;; amdgpu-corpus repo=ROCm/aiter kind=compiled arch=gfx942 opt=O3
	.text
	.amdgcn_target "amdgcn-amd-amdhsa--gfx942"
	.amdhsa_code_object_version 6
	.section	.text._ZN7ck_tileL11flush_cacheEv,"axG",@progbits,_ZN7ck_tileL11flush_cacheEv,comdat
	.globl	_ZN7ck_tileL11flush_cacheEv     ; -- Begin function _ZN7ck_tileL11flush_cacheEv
	.p2align	8
	.type	_ZN7ck_tileL11flush_cacheEv,@function
_ZN7ck_tileL11flush_cacheEv:            ; @_ZN7ck_tileL11flush_cacheEv
; %bb.0:
	;;#ASMSTART
	s_icache_inv 
	s_nop 0 
	s_nop 0 
	;; [unrolled: 1-line block ×16, first 2 shown]
	
	;;#ASMEND
	s_endpgm
	.section	.rodata,"a",@progbits
	.p2align	6, 0x0
	.amdhsa_kernel _ZN7ck_tileL11flush_cacheEv
		.amdhsa_group_segment_fixed_size 0
		.amdhsa_private_segment_fixed_size 0
		.amdhsa_kernarg_size 0
		.amdhsa_user_sgpr_count 0
		.amdhsa_user_sgpr_dispatch_ptr 0
		.amdhsa_user_sgpr_queue_ptr 0
		.amdhsa_user_sgpr_kernarg_segment_ptr 0
		.amdhsa_user_sgpr_dispatch_id 0
		.amdhsa_user_sgpr_kernarg_preload_length 0
		.amdhsa_user_sgpr_kernarg_preload_offset 0
		.amdhsa_user_sgpr_private_segment_size 0
		.amdhsa_uses_dynamic_stack 0
		.amdhsa_enable_private_segment 0
		.amdhsa_system_sgpr_workgroup_id_x 1
		.amdhsa_system_sgpr_workgroup_id_y 0
		.amdhsa_system_sgpr_workgroup_id_z 0
		.amdhsa_system_sgpr_workgroup_info 0
		.amdhsa_system_vgpr_workitem_id 0
		.amdhsa_next_free_vgpr 1
		.amdhsa_next_free_sgpr 0
		.amdhsa_accum_offset 4
		.amdhsa_reserve_vcc 0
		.amdhsa_float_round_mode_32 0
		.amdhsa_float_round_mode_16_64 0
		.amdhsa_float_denorm_mode_32 3
		.amdhsa_float_denorm_mode_16_64 3
		.amdhsa_dx10_clamp 1
		.amdhsa_ieee_mode 1
		.amdhsa_fp16_overflow 0
		.amdhsa_tg_split 0
		.amdhsa_exception_fp_ieee_invalid_op 0
		.amdhsa_exception_fp_denorm_src 0
		.amdhsa_exception_fp_ieee_div_zero 0
		.amdhsa_exception_fp_ieee_overflow 0
		.amdhsa_exception_fp_ieee_underflow 0
		.amdhsa_exception_fp_ieee_inexact 0
		.amdhsa_exception_int_div_zero 0
	.end_amdhsa_kernel
	.section	.text._ZN7ck_tileL11flush_cacheEv,"axG",@progbits,_ZN7ck_tileL11flush_cacheEv,comdat
.Lfunc_end0:
	.size	_ZN7ck_tileL11flush_cacheEv, .Lfunc_end0-_ZN7ck_tileL11flush_cacheEv
                                        ; -- End function
	.section	.AMDGPU.csdata,"",@progbits
; Kernel info:
; codeLenInByte = 140
; NumSgprs: 6
; NumVgprs: 0
; NumAgprs: 0
; TotalNumVgprs: 0
; ScratchSize: 0
; MemoryBound: 0
; FloatMode: 240
; IeeeMode: 1
; LDSByteSize: 0 bytes/workgroup (compile time only)
; SGPRBlocks: 0
; VGPRBlocks: 0
; NumSGPRsForWavesPerEU: 6
; NumVGPRsForWavesPerEU: 1
; AccumOffset: 4
; Occupancy: 8
; WaveLimiterHint : 0
; COMPUTE_PGM_RSRC2:SCRATCH_EN: 0
; COMPUTE_PGM_RSRC2:USER_SGPR: 0
; COMPUTE_PGM_RSRC2:TRAP_HANDLER: 0
; COMPUTE_PGM_RSRC2:TGID_X_EN: 1
; COMPUTE_PGM_RSRC2:TGID_Y_EN: 0
; COMPUTE_PGM_RSRC2:TGID_Z_EN: 0
; COMPUTE_PGM_RSRC2:TIDIG_COMP_CNT: 0
; COMPUTE_PGM_RSRC3_GFX90A:ACCUM_OFFSET: 0
; COMPUTE_PGM_RSRC3_GFX90A:TG_SPLIT: 0
	.section	.text._ZN12_GLOBAL__N_139chunk_gated_delta_rule_fwd_h_hip_kernelILi64ELb1ELb1ELb1ELb1ELb1ELb1ELb1ELb1EEEvPK12hip_bfloat16S3_S3_PKfS5_PKvPS1_S8_PvPKiSB_iiiiilll,"axG",@progbits,_ZN12_GLOBAL__N_139chunk_gated_delta_rule_fwd_h_hip_kernelILi64ELb1ELb1ELb1ELb1ELb1ELb1ELb1ELb1EEEvPK12hip_bfloat16S3_S3_PKfS5_PKvPS1_S8_PvPKiSB_iiiiilll,comdat
	.globl	_ZN12_GLOBAL__N_139chunk_gated_delta_rule_fwd_h_hip_kernelILi64ELb1ELb1ELb1ELb1ELb1ELb1ELb1ELb1EEEvPK12hip_bfloat16S3_S3_PKfS5_PKvPS1_S8_PvPKiSB_iiiiilll ; -- Begin function _ZN12_GLOBAL__N_139chunk_gated_delta_rule_fwd_h_hip_kernelILi64ELb1ELb1ELb1ELb1ELb1ELb1ELb1ELb1EEEvPK12hip_bfloat16S3_S3_PKfS5_PKvPS1_S8_PvPKiSB_iiiiilll
	.p2align	8
	.type	_ZN12_GLOBAL__N_139chunk_gated_delta_rule_fwd_h_hip_kernelILi64ELb1ELb1ELb1ELb1ELb1ELb1ELb1ELb1EEEvPK12hip_bfloat16S3_S3_PKfS5_PKvPS1_S8_PvPKiSB_iiiiilll,@function
_ZN12_GLOBAL__N_139chunk_gated_delta_rule_fwd_h_hip_kernelILi64ELb1ELb1ELb1ELb1ELb1ELb1ELb1ELb1EEEvPK12hip_bfloat16S3_S3_PKfS5_PKvPS1_S8_PvPKiSB_iiiiilll: ; @_ZN12_GLOBAL__N_139chunk_gated_delta_rule_fwd_h_hip_kernelILi64ELb1ELb1ELb1ELb1ELb1ELb1ELb1ELb1EEEvPK12hip_bfloat16S3_S3_PKfS5_PKvPS1_S8_PvPKiSB_iiiiilll
; %bb.0:
	s_load_dwordx4 s[28:31], s[0:1], 0x5c
	s_load_dwordx4 s[4:7], s[0:1], 0x70
	s_abs_i32 s11, s3
	s_ashr_i32 s10, s3, 31
	s_load_dwordx4 s[24:27], s[0:1], 0x40
	s_load_dwordx2 s[8:9], s[0:1], 0x50
	s_waitcnt lgkmcnt(0)
	s_abs_i32 s14, s29
	v_cvt_f32_u32_e32 v1, s14
	s_sub_i32 s12, 0, s14
	s_ashr_i32 s15, s29, 31
	s_xor_b32 s10, s10, s15
	v_rcp_iflag_f32_e32 v1, v1
	v_and_b32_e32 v99, 15, v0
	v_bfe_u32 v98, v0, 4, 2
	v_mov_b32_e32 v47, 0
	v_mul_f32_e32 v1, 0x4f7ffffe, v1
	v_cvt_u32_f32_e32 v1, v1
	v_lshlrev_b32_e32 v100, 3, v0
	v_readfirstlane_b32 s13, v1
	s_mul_i32 s12, s12, s13
	s_mul_hi_u32 s12, s13, s12
	s_add_i32 s13, s13, s12
	s_mul_hi_u32 s12, s11, s13
	s_mul_i32 s13, s12, s14
	s_sub_i32 s11, s11, s13
	s_add_i32 s16, s12, 1
	s_sub_i32 s13, s11, s14
	s_cmp_ge_u32 s11, s14
	s_cselect_b32 s12, s16, s12
	s_cselect_b32 s11, s13, s11
	s_add_i32 s13, s12, 1
	s_cmp_ge_u32 s11, s14
	s_cselect_b32 s11, s13, s12
	s_xor_b32 s11, s11, s10
	s_sub_i32 s36, s11, s10
	s_mul_i32 s16, s36, s29
	s_ashr_i32 s37, s36, 31
	s_sub_i32 s33, s3, s16
	s_lshl_b64 s[10:11], s[36:37], 2
	s_add_u32 s12, s26, s10
	s_addc_u32 s13, s27, s11
	s_add_u32 s38, s8, s10
	s_addc_u32 s39, s9, s11
	s_abs_i32 s3, s30
	v_cvt_f32_u32_e32 v1, s3
	s_load_dwordx2 s[34:35], s[12:13], 0x0
	s_sub_i32 s9, 0, s3
	s_lshl_b32 s2, s2, 6
	v_rcp_iflag_f32_e32 v1, v1
	v_or_b32_e32 v88, s2, v99
	s_waitcnt lgkmcnt(0)
	s_sub_i32 s56, s35, s34
	s_ashr_i32 s8, s56, 31
	v_mul_f32_e32 v1, 0x4f7ffffe, v1
	v_cvt_u32_f32_e32 v1, v1
	s_lshr_b32 s8, s8, 26
	s_add_i32 s8, s56, s8
	s_ashr_i32 s55, s8, 6
	v_readfirstlane_b32 s10, v1
	s_mul_i32 s9, s9, s10
	s_mul_hi_u32 s9, s10, s9
	s_add_i32 s10, s10, s9
	s_mul_hi_u32 s9, s14, s10
	s_mul_i32 s10, s9, s3
	s_ashr_i32 s8, s30, 31
	s_sub_i32 s10, s14, s10
	s_xor_b32 s8, s15, s8
	s_add_i32 s11, s9, 1
	s_sub_i32 s12, s10, s3
	s_cmp_ge_u32 s10, s3
	s_cselect_b32 s9, s11, s9
	s_cselect_b32 s10, s12, s10
	s_add_i32 s11, s9, 1
	s_cmp_ge_u32 s10, s3
	s_cselect_b32 s3, s11, s9
	s_xor_b32 s3, s3, s8
	s_sub_i32 s3, s3, s8
	s_abs_i32 s17, s3
	v_cvt_f32_u32_e32 v1, s17
	s_sub_i32 s19, 0, s17
	s_abs_i32 s18, s33
	s_xor_b32 s3, s33, s3
	v_rcp_iflag_f32_e32 v2, v1
	s_ashr_i32 s3, s3, 31
	s_load_dwordx8 s[8:15], s[0:1], 0x20
	v_lshrrev_b32_e32 v1, 6, v0
	v_mul_f32_e32 v2, 0x4f7ffffe, v2
	v_cvt_u32_f32_e32 v2, v2
	v_lshlrev_b32_e32 v48, 7, v88
	v_lshlrev_b32_e32 v45, 4, v1
	v_or_b32_e32 v50, 0x800, v48
	v_readfirstlane_b32 s20, v2
	s_mul_i32 s19, s19, s20
	s_mul_hi_u32 s19, s20, s19
	s_add_i32 s20, s20, s19
	s_mul_hi_u32 s19, s18, s20
	s_mul_i32 s20, s19, s17
	s_sub_i32 s18, s18, s20
	s_add_i32 s20, s19, 1
	s_sub_i32 s21, s18, s17
	s_cmp_ge_u32 s18, s17
	s_cselect_b32 s19, s20, s19
	s_cselect_b32 s18, s21, s18
	s_add_i32 s20, s19, 1
	s_cmp_ge_u32 s18, s17
	s_cselect_b32 s17, s20, s19
	s_xor_b32 s17, s17, s3
	s_sub_i32 s57, s17, s3
	s_ashr_i32 s48, s33, 31
	s_mul_hi_i32 s3, s36, s29
	s_add_u32 s16, s16, s33
	s_addc_u32 s17, s3, s48
	s_lshl_b64 s[26:27], s[16:17], 15
	s_waitcnt lgkmcnt(0)
	s_add_u32 s10, s10, s26
	v_lshl_or_b32 v102, v98, 2, v45
	s_addc_u32 s11, s11, s27
	v_ashrrev_i32_e32 v49, 31, v48
	v_ashrrev_i32_e32 v51, 31, v50
	v_lshl_add_u64 v[2:3], v[48:49], 1, s[10:11]
	v_lshlrev_b32_e32 v46, 1, v102
	v_lshl_add_u64 v[6:7], v[50:51], 1, s[10:11]
	v_or_b32_e32 v52, 0x1000, v48
	v_or_b32_e32 v54, 0x1800, v48
	v_lshl_add_u64 v[2:3], v[2:3], 0, v[46:47]
	v_lshl_add_u64 v[6:7], v[6:7], 0, v[46:47]
	v_ashrrev_i32_e32 v53, 31, v52
	v_ashrrev_i32_e32 v55, 31, v54
	global_load_dwordx2 v[4:5], v[2:3], off
	v_lshl_add_u64 v[14:15], v[54:55], 1, s[10:11]
	global_load_dwordx2 v[2:3], v[2:3], off offset:128
	s_nop 0
	global_load_dwordx2 v[8:9], v[6:7], off
	global_load_dwordx2 v[10:11], v[6:7], off offset:128
	v_lshl_add_u64 v[6:7], v[52:53], 1, s[10:11]
	v_lshl_add_u64 v[6:7], v[6:7], 0, v[46:47]
	;; [unrolled: 1-line block ×3, first 2 shown]
	global_load_dwordx2 v[12:13], v[6:7], off
	v_and_b32_e32 v47, 63, v0
	global_load_dwordx2 v[6:7], v[6:7], off offset:128
	s_nop 0
	global_load_dwordx2 v[16:17], v[14:15], off
	global_load_dwordx2 v[18:19], v[14:15], off offset:128
	s_load_dwordx8 s[16:23], s[0:1], 0x0
	s_load_dwordx2 s[10:11], s[0:1], 0x80
	s_load_dword s60, s[38:39], 0x0
	v_lshrrev_b32_e32 v101, 3, v47
	v_or_b32_e32 v103, 64, v102
	s_mul_i32 s49, s36, s5
	s_mul_hi_u32 s50, s36, s4
	s_mul_hi_i32 s58, s33, s28
	s_mul_i32 s59, s33, s28
	s_cmp_lt_i32 s56, 64
	s_mul_i32 s51, s37, s4
	s_mul_i32 s42, s36, s4
	;; [unrolled: 1-line block ×3, first 2 shown]
	s_mul_hi_u32 s53, s33, s6
	s_mul_i32 s54, s48, s6
	s_mul_i32 s40, s33, s6
	s_waitcnt vmcnt(7)
	v_and_b32_e32 v83, 0xffff0000, v4
	v_lshlrev_b32_e32 v82, 16, v4
	v_and_b32_e32 v87, 0xffff0000, v5
	v_lshlrev_b32_e32 v86, 16, v5
	s_waitcnt vmcnt(6)
	v_and_b32_e32 v81, 0xffff0000, v2
	v_lshlrev_b32_e32 v80, 16, v2
	v_and_b32_e32 v85, 0xffff0000, v3
	v_lshlrev_b32_e32 v84, 16, v3
	;; [unrolled: 5-line block ×8, first 2 shown]
	s_cbranch_scc1 .LBB1_18
; %bb.1:
	s_ashr_i32 s1, s34, 31
	s_add_u32 s0, s59, s34
	s_addc_u32 s1, s58, s1
	s_lshl_b64 s[0:1], s[0:1], 8
	v_and_b32_e32 v105, 56, v100
	s_waitcnt lgkmcnt(0)
	s_add_u32 s4, s18, s0
	v_lshl_or_b32 v104, v1, 3, v101
	v_lshlrev_b32_e32 v2, 1, v105
	s_addc_u32 s0, s19, s1
	v_lshl_or_b32 v106, v104, 8, v2
	s_and_b32 s5, s0, 0xffff
	s_mov_b32 s7, 0x20000
	s_movk_i32 s6, 0x4000
	s_movk_i32 s0, 0x80
	v_or_b32_e32 v107, 0x2000, v106
	buffer_load_dwordx4 v[4:7], v106, s[4:7], 0 offen
	buffer_load_dwordx4 v[8:11], v106, s[4:7], s0 offen
	;; [unrolled: 1-line block ×4, first 2 shown]
	v_lshlrev_b32_e32 v3, 3, v104
	v_and_or_b32 v21, v0, 7, v3
	v_and_b32_e32 v3, 0x78, v3
	v_lshlrev_b32_e32 v21, 4, v21
	v_xor_b32_e32 v108, v21, v3
	v_mul_lo_u32 v20, v104, s31
	v_or_b32_e32 v109, 0x1000, v108
	v_xor_b32_e32 v3, 8, v108
	s_cmpk_eq_i32 s31, 0x80
	s_mov_b32 s61, s34
	v_xor_b32_e32 v21, 8, v109
	s_cselect_b64 s[0:1], -1, 0
	s_cmpk_lg_i32 s31, 0x80
	s_waitcnt vmcnt(3)
	ds_write_b64 v108, v[4:5] offset:49152
	ds_write_b64 v3, v[6:7] offset:49152
	s_waitcnt vmcnt(2)
	ds_write_b64 v108, v[8:9] offset:57344
	ds_write_b64 v3, v[10:11] offset:57344
	;; [unrolled: 3-line block ×4, first 2 shown]
	v_lshl_add_u32 v3, v20, 1, v105
	s_cbranch_scc0 .LBB1_3
; %bb.2:
	v_lshlrev_b32_e32 v5, 1, v3
	v_add_lshl_u32 v4, v3, s31, 1
	s_lshl_b32 s6, s31, 7
	v_lshl_or_b32 v2, v104, 9, v2
	s_cbranch_execz .LBB1_4
	s_branch .LBB1_5
.LBB1_3:
                                        ; implicit-def: $vgpr4
                                        ; implicit-def: $vgpr5
                                        ; implicit-def: $sgpr6
	v_lshl_or_b32 v2, v104, 9, v2
.LBB1_4:
	v_or_b32_e32 v4, 0x100, v2
	s_movk_i32 s6, 0x4000
	v_mov_b32_e32 v5, v2
.LBB1_5:
	s_mul_i32 s4, s34, s30
	s_ashr_i32 s62, s57, 31
	s_mul_hi_i32 s3, s34, s30
	s_add_u32 s4, s4, s57
	s_addc_u32 s5, s3, s62
	s_lshl_b64 s[4:5], s[4:5], 8
	s_add_u32 s4, s16, s4
	s_addc_u32 s3, s17, s5
	s_and_b32 s5, s3, 0xffff
	s_movk_i32 s63, 0x80
	buffer_load_dwordx4 v[6:9], v5, s[4:7], 0 offen
	buffer_load_dwordx4 v[10:13], v5, s[4:7], s63 offen
	;; [unrolled: 1-line block ×4, first 2 shown]
	v_and_b32_e32 v5, 6, v0
	v_lshlrev_b32_e32 v4, 7, v102
	v_xor_b32_e32 v27, v104, v5
	v_and_b32_e32 v22, 1, v0
	v_lshl_or_b32 v30, v99, 3, v4
	v_lshlrev_b32_e32 v27, 2, v27
	v_lshlrev_b32_e32 v23, 2, v99
	v_or_b32_e32 v110, 0x4000, v30
	v_or_b32_e32 v111, 0x6000, v30
	v_xor_b32_e32 v30, 0x440, v27
	v_cmp_eq_u32_e32 vcc, 0, v22
	v_or_b32_e32 v25, 16, v99
	v_or_b32_e32 v26, 32, v99
	v_xor_b32_e32 v28, v102, v23
	v_xor_b32_e32 v29, v103, v23
	v_cndmask_b32_e32 v22, v30, v27, vcc
	s_mov_b32 s64, 0x1000504
	v_lshl_or_b32 v31, v25, 3, v4
	v_lshlrev_b32_e32 v25, 8, v25
	v_lshl_or_b32 v32, v26, 3, v4
	v_lshlrev_b32_e32 v28, 1, v28
	v_lshlrev_b32_e32 v29, 1, v29
	v_lshl_or_b32 v5, v5, 10, v22
	s_add_i32 s3, s50, s49
	s_mov_b32 s65, 0x3020706
	v_lshlrev_b32_e32 v24, 8, v99
	v_or_b32_e32 v114, 0x4000, v32
	v_or_b32_e32 v115, 0x6000, v32
	;; [unrolled: 1-line block ×4, first 2 shown]
	v_xor_b32_e32 v22, 8, v5
	v_xor_b32_e32 v25, 24, v5
	;; [unrolled: 1-line block ×4, first 2 shown]
	s_add_i32 s43, s3, s51
	s_add_i32 s3, s53, s52
	v_or_b32_e32 v112, 0x4000, v31
	v_or_b32_e32 v113, 0x6000, v31
	v_or_b32_e32 v116, v24, v28
	v_or_b32_e32 v117, v24, v29
	v_xor_b32_e32 v24, 16, v5
	v_xor_b32_e32 v27, 32, v5
	v_xor_b32_e32 v31, 48, v5
	v_add_u32_e32 v22, 0x80, v22
	v_add_u32_e32 v25, 0x80, v25
	;; [unrolled: 1-line block ×4, first 2 shown]
	s_add_i32 s41, s3, s54
	s_lshl_b64 s[4:5], s[42:43], 2
	s_add_u32 s3, s22, s4
	s_addc_u32 s36, s23, s5
	s_lshl_b64 s[4:5], s[40:41], 2
	s_add_u32 s44, s3, s4
	s_movk_i32 s3, 0xf8
	s_addc_u32 s45, s36, s5
	s_lshl_b32 s38, s31, 7
	s_movk_i32 s36, 0x100
	v_mov_b32_e32 v91, 0
	v_lshlrev_b32_e32 v90, 4, v99
	v_ashrrev_i32_e32 v89, 31, v88
	v_lshlrev_b32_e32 v26, 8, v26
	s_mov_b32 s66, 0
	s_movk_i32 s6, 0x4000
	v_or_b32_e32 v120, v26, v28
	v_or_b32_e32 v121, v26, v29
	s_movk_i32 s41, 0x2000
	s_movk_i32 s43, 0x3000
	s_waitcnt vmcnt(1)
	v_perm_b32 v33, v6, v14, s64
	s_waitcnt vmcnt(0)
	v_perm_b32 v34, v10, v18, s64
	v_perm_b32 v6, v6, v14, s65
	;; [unrolled: 1-line block ×15, first 2 shown]
	ds_write2st64_b32 v5, v33, v34 offset0:128 offset1:160
	ds_write2st64_b32 v22, v6, v10 offset0:128 offset1:160
	;; [unrolled: 1-line block ×8, first 2 shown]
	v_or_b32_e32 v5, 48, v99
	v_lshl_or_b32 v6, v5, 3, v4
	v_lshlrev_b32_e32 v5, 8, v5
	v_or_b32_e32 v124, v5, v28
	v_or_b32_e32 v125, v5, v29
	;; [unrolled: 1-line block ×3, first 2 shown]
	v_lshlrev_b32_e32 v5, 3, v5
	v_lshrrev_b32_e32 v7, 5, v47
	v_and_or_b32 v7, v5, s3, v7
	v_lshlrev_b32_e32 v7, 4, v7
	v_or_b32_e32 v122, 0x4000, v6
	v_or_b32_e32 v123, 0x6000, v6
	v_lshrrev_b32_e32 v6, 2, v47
	v_lshlrev_b32_e32 v9, 11, v1
	v_and_b32_e32 v5, 0x78, v5
	v_or_b32_e32 v13, 32, v7
	v_and_b32_e32 v8, 12, v6
	v_and_b32_e32 v6, 0x1000, v9
	v_lshrrev_b32_e32 v11, 1, v47
	v_xor_b32_e32 v13, v13, v5
	v_xor_b32_e32 v10, v7, v5
	v_and_b32_e32 v11, 8, v11
	v_or_b32_e32 v13, v13, v6
	v_or_b32_e32 v10, v10, v6
	v_xor_b32_e32 v128, v13, v11
	v_or_b32_e32 v13, 64, v7
	v_or_b32_e32 v7, 0x60, v7
	v_xor_b32_e32 v126, v10, v11
	v_lshlrev_b32_e32 v10, 8, v98
	v_xor_b32_e32 v13, v13, v5
	v_xor_b32_e32 v5, v7, v5
	s_ashr_i32 s3, s2, 31
	v_or_b32_e32 v12, v10, v23
	v_or_b32_e32 v13, v13, v6
	;; [unrolled: 1-line block ×3, first 2 shown]
	s_lshl_b64 s[4:5], s[2:3], 8
	v_lshlrev_b32_e32 v15, 2, v0
	v_lshlrev_b32_e32 v12, 1, v12
	v_xor_b32_e32 v132, v13, v11
	v_xor_b32_e32 v133, v5, v11
	v_lshlrev_b32_e32 v5, 1, v3
	v_add_lshl_u32 v3, v3, s31, 1
	v_or_b32_e32 v11, 0x100, v2
	s_add_u32 s4, s12, s4
	v_lshlrev_b32_e32 v6, 1, v99
	v_lshrrev_b32_e32 v16, 1, v0
	v_and_or_b32 v10, v15, 60, v10
	v_or_b32_e32 v127, 0x4000, v12
	v_or_b32_e32 v129, 0x4080, v12
	v_or_b32_e32 v130, 0x4100, v12
	v_or_b32_e32 v131, 0x4180, v12
	v_or_b32_e32 v134, 0x6000, v12
	v_or_b32_e32 v135, 0x6080, v12
	v_or_b32_e32 v136, 0x6100, v12
	v_or_b32_e32 v137, 0x6180, v12
	v_lshrrev_b32_e32 v12, 4, v0
	s_addc_u32 s5, s13, s5
	v_or_b32_e32 v7, 1, v6
	v_and_b32_e32 v16, 24, v16
	v_lshlrev_b32_e32 v10, 1, v10
	v_cndmask_b32_e64 v144, v5, v2, s[0:1]
	v_cndmask_b32_e64 v145, v3, v11, s[0:1]
	v_mov_b32_e32 v3, 0xa000
	v_mov_b32_e32 v5, 0x8000
	v_cmp_gt_u32_e64 s[0:1], s36, v0
	v_xor_b32_e32 v13, v12, v6
	v_xor_b32_e32 v14, v7, v12
	v_lshl_add_u64 v[6:7], s[4:5], 0, v[90:91]
	v_lshlrev_b32_e32 v90, 8, v12
	v_or_b32_e32 v140, 0x6000, v10
	v_or_b32_e32 v15, 32, v16
	;; [unrolled: 1-line block ×6, first 2 shown]
	v_cndmask_b32_e64 v3, v3, v5, s[0:1]
	v_lshlrev_b32_e32 v5, 3, v1
	v_lshl_or_b32 v138, v13, 3, v90
	v_and_b32_e32 v13, 8, v0
	v_xor_b32_e32 v11, v5, v16
	v_xor_b32_e32 v15, v5, v15
	v_xor_b32_e32 v5, v5, v10
	v_mov_b32_e32 v17, 0x400
	v_cmp_eq_u32_e32 vcc, 0, v13
	v_or_b32_e32 v16, 0x440, v11
	v_or_b32_e32 v18, 0x440, v15
	v_xor_b32_e32 v10, 0x440, v5
	v_and_b32_e32 v12, 7, v0
	v_cndmask_b32_e64 v13, v17, 64, vcc
	v_cndmask_b32_e32 v16, v16, v11, vcc
	v_cndmask_b32_e32 v15, v18, v15, vcc
	;; [unrolled: 1-line block ×3, first 2 shown]
	v_lshl_or_b32 v139, v14, 3, v90
	v_lshlrev_b32_e32 v14, 3, v12
	v_or_b32_e32 v16, v16, v9
	v_or_b32_e32 v15, v15, v9
	v_or3_b32 v11, v9, v13, v11
	v_or_b32_e32 v5, v5, v9
	v_lshlrev_b32_e32 v12, 7, v12
	v_xor_b32_e32 v16, v16, v14
	v_xor_b32_e32 v15, v15, v14
	v_xor_b32_e32 v11, v11, v14
	v_xor_b32_e32 v5, v5, v14
	v_or_b32_e32 v2, v45, v8
	v_add_u32_e32 v17, v3, v16
	v_add_u32_e32 v18, v3, v15
	v_or_b32_e32 v146, v11, v12
	v_add_u32_e32 v9, v3, v5
	v_or3_b32 v8, v45, v8, 64
	v_add_u32_e32 v13, 0xa000, v16
	v_add_u32_e32 v14, 0xa000, v15
	;; [unrolled: 1-line block ×3, first 2 shown]
	v_lshlrev_b64 v[10:11], 1, v[88:89]
	v_lshl_add_u64 v[92:93], s[20:21], 0, v[10:11]
	v_lshl_add_u64 v[94:95], s[14:15], 0, v[10:11]
	;; [unrolled: 1-line block ×3, first 2 shown]
	s_mov_b32 s3, 0x7060302
	v_lshlrev_b32_e32 v90, 1, v4
	v_lshlrev_b32_e32 v89, 2, v2
	v_add_u32_e32 v147, v17, v12
	v_add_u32_e32 v148, v18, v12
	;; [unrolled: 1-line block ×4, first 2 shown]
	v_lshlrev_b32_e32 v151, 2, v8
	v_add_u32_e32 v152, v13, v12
	v_add_u32_e32 v153, v14, v12
	;; [unrolled: 1-line block ×3, first 2 shown]
	s_waitcnt lgkmcnt(0)
	s_barrier
.LBB1_6:                                ; =>This Inner Loop Header: Depth=1
	s_add_i32 s67, s66, 1
	s_cmp_lt_i32 s67, s55
	s_mov_b64 s[36:37], 0
	s_cselect_b64 s[46:47], -1, 0
	s_cmp_ge_i32 s67, s55
	s_mov_b64 s[4:5], 0
	s_cbranch_scc1 .LBB1_8
; %bb.7:                                ;   in Loop: Header=BB1_6 Depth=1
	s_add_i32 s0, s61, 64
	s_ashr_i32 s1, s0, 31
	s_add_u32 s0, s59, s0
	s_addc_u32 s1, s58, s1
	s_lshl_b64 s[0:1], s[0:1], 8
	s_add_u32 s4, s18, s0
	s_addc_u32 s5, s19, s1
.LBB1_8:                                ;   in Loop: Header=BB1_6 Depth=1
	v_cndmask_b32_e64 v2, 0, 1, s[46:47]
	v_cmp_ne_u32_e64 s[0:1], 1, v2
	s_andn2_b64 vcc, exec, s[46:47]
	s_cbranch_vccnz .LBB1_10
; %bb.9:                                ;   in Loop: Header=BB1_6 Depth=1
	s_add_i32 s36, s61, 64
	s_mul_hi_i32 s37, s36, s30
	s_mul_i32 s36, s36, s30
	s_add_u32 s36, s36, s57
	s_addc_u32 s37, s37, s62
	s_lshl_b64 s[36:37], s[36:37], 8
	s_add_u32 s36, s16, s36
	s_addc_u32 s37, s17, s37
.LBB1_10:                               ;   in Loop: Header=BB1_6 Depth=1
	v_perm_b32 v3, v87, v86, s3
	v_perm_b32 v2, v83, v82, s3
	v_perm_b32 v5, v85, v84, s3
	v_perm_b32 v4, v81, v80, s3
	ds_write_b64 v110, v[2:3]
	ds_write_b64 v111, v[4:5]
	ds_write_b64 v116, v[2:3]
	ds_write_b64 v117, v[4:5]
	v_perm_b32 v3, v79, v78, s3
	v_perm_b32 v2, v75, v74, s3
	v_perm_b32 v5, v77, v76, s3
	v_perm_b32 v4, v73, v72, s3
	ds_write_b64 v112, v[2:3]
	ds_write_b64 v113, v[4:5]
	ds_write_b64 v118, v[2:3]
	ds_write_b64 v119, v[4:5]
	;; [unrolled: 8-line block ×4, first 2 shown]
	s_waitcnt lgkmcnt(0)
	s_barrier
	ds_read_b64 v[6:7], v126 offset:49152
	ds_read2_b64 v[2:5], v127 offset1:16
	ds_read_b64 v[18:19], v129 offset:6144
	ds_read_b64 v[20:21], v127 offset:6144
	s_waitcnt lgkmcnt(2)
	v_mfma_f32_16x16x16_bf16 a[0:3], v[6:7], v[2:3], 0
	ds_read_b64 v[22:23], v128 offset:49152
	ds_read2st64_b64 v[10:13], v130 offset0:4 offset1:8
	ds_read2st64_b64 v[14:17], v131 offset0:4 offset1:8
	v_mfma_f32_16x16x16_bf16 a[4:7], v[6:7], v[4:5], 0
	ds_read2_b64 v[2:5], v127 offset0:32 offset1:48
	s_add_i32 s68, s61, 63
	s_ashr_i32 s39, s68, 31
	s_waitcnt lgkmcnt(0)
	v_mfma_f32_16x16x16_bf16 a[8:11], v[6:7], v[2:3], 0
	s_mul_i32 s46, s68, s11
	s_mul_hi_u32 s47, s68, s10
	s_add_i32 s46, s47, s46
	v_mfma_f32_16x16x16_bf16 a[12:15], v[6:7], v[4:5], 0
	ds_read2st64_b64 v[2:5], v127 offset0:4 offset1:8
	ds_read2st64_b64 v[6:9], v129 offset0:4 offset1:8
	s_mul_i32 s39, s39, s10
	s_waitcnt lgkmcnt(1)
	v_mfma_f32_16x16x16_bf16 a[0:3], v[22:23], v[2:3], a[0:3]
	s_add_i32 s47, s46, s39
	s_mul_i32 s46, s68, s10
	s_lshl_b64 s[46:47], s[46:47], 2
	s_waitcnt lgkmcnt(0)
	v_mfma_f32_16x16x16_bf16 a[4:7], v[22:23], v[6:7], a[4:7]
	s_add_u32 s46, s44, s46
	s_addc_u32 s47, s45, s47
	s_and_b64 vcc, exec, s[0:1]
	v_mfma_f32_16x16x16_bf16 a[8:11], v[22:23], v[10:11], a[8:11]
	ds_read_b64 v[2:3], v132 offset:49152
	ds_read_b64 v[6:7], v133 offset:49152
	;; [unrolled: 1-line block ×3, first 2 shown]
	v_mov_b32_e32 v157, 0
	v_mov_b32_e32 v156, 0
	v_mfma_f32_16x16x16_bf16 a[12:15], v[22:23], v[14:15], a[12:15]
	v_mov_b32_e32 v155, 0
	v_mov_b32_e32 v14, 0
	;; [unrolled: 1-line block ×3, first 2 shown]
	s_waitcnt lgkmcnt(2)
	v_mfma_f32_16x16x16_bf16 a[0:3], v[2:3], v[4:5], a[0:3]
	v_mov_b32_e32 v4, 0
	v_mov_b32_e32 v5, 0
	v_mfma_f32_16x16x16_bf16 a[16:19], v[2:3], v[8:9], a[4:7]
	v_mov_b32_e32 v8, 0
	v_mov_b32_e32 v9, 0
	;; [unrolled: 3-line block ×3, first 2 shown]
	v_mfma_f32_16x16x16_bf16 a[24:27], v[2:3], v[16:17], a[12:15]
	ds_read_b64 v[2:3], v130 offset:6144
	v_mov_b32_e32 v16, 0
	v_mov_b32_e32 v17, 0
	s_waitcnt lgkmcnt(2)
	v_mfma_f32_16x16x16_bf16 a[4:7], v[6:7], v[20:21], a[0:3]
	v_mfma_f32_16x16x16_bf16 a[8:11], v[6:7], v[18:19], a[16:19]
	s_waitcnt lgkmcnt(0)
	v_mfma_f32_16x16x16_bf16 a[12:15], v[6:7], v[2:3], a[20:23]
	v_mov_b32_e32 v2, 0
	v_mov_b32_e32 v3, 0
	v_mfma_f32_16x16x16_bf16 a[0:3], v[6:7], v[10:11], a[24:27]
	v_mov_b32_e32 v6, 0
	v_mov_b32_e32 v7, 0
	;; [unrolled: 1-line block ×4, first 2 shown]
	s_cbranch_vccnz .LBB1_12
; %bb.11:                               ;   in Loop: Header=BB1_6 Depth=1
	s_and_b32 s5, s5, 0xffff
	buffer_load_dwordx4 v[14:17], v106, s[4:7], 0 offen
	buffer_load_dwordx4 v[10:13], v106, s[4:7], s63 offen
	;; [unrolled: 1-line block ×4, first 2 shown]
	v_mov_b32_e32 v156, v108
	v_mov_b32_e32 v155, v109
.LBB1_12:                               ;   in Loop: Header=BB1_6 Depth=1
	ds_read_b64 v[30:31], v126 offset:57344
	ds_read2_b64 v[18:21], v134 offset1:16
	ds_read_b64 v[34:35], v128 offset:57344
	ds_read_b64 v[36:37], v132 offset:57344
	;; [unrolled: 1-line block ×3, first 2 shown]
	v_add_u32_e32 v32, s61, v102
	s_waitcnt lgkmcnt(3)
	v_mfma_f32_16x16x16_bf16 a[4:7], v[30:31], v[18:19], a[4:7]
	v_mfma_f32_16x16x16_bf16 a[8:11], v[30:31], v[20:21], a[8:11]
	ds_read2_b64 v[18:21], v134 offset0:32 offset1:48
	ds_read2st64_b64 v[22:25], v134 offset0:4 offset1:8
	ds_read2st64_b64 v[26:29], v135 offset0:4 offset1:8
	s_waitcnt lgkmcnt(2)
	v_mfma_f32_16x16x16_bf16 a[12:15], v[30:31], v[18:19], a[12:15]
	v_ashrrev_i32_e32 v18, 31, v32
	v_mul_lo_u32 v33, v18, s10
	v_mad_u64_u32 v[18:19], s[4:5], v32, s10, 0
	v_mfma_f32_16x16x16_bf16 a[0:3], v[30:31], v[20:21], a[0:3]
	v_mul_lo_u32 v20, v32, s11
	v_add3_u32 v19, v19, v20, v33
	v_add_u32_e32 v20, 1, v32
	v_ashrrev_i32_e32 v21, 31, v20
	s_waitcnt lgkmcnt(1)
	v_mfma_f32_16x16x16_bf16 a[4:7], v[34:35], v[22:23], a[4:7]
	v_mul_lo_u32 v22, v21, s10
	v_mul_lo_u32 v23, v20, s11
	v_mad_u64_u32 v[20:21], s[4:5], v20, s10, 0
	v_add3_u32 v21, v21, v23, v22
	v_add_u32_e32 v22, 2, v32
	v_ashrrev_i32_e32 v23, 31, v22
	v_mul_lo_u32 v30, v23, s10
	v_mul_lo_u32 v31, v22, s11
	v_mad_u64_u32 v[22:23], s[4:5], v22, s10, 0
	v_add3_u32 v23, v23, v31, v30
	v_add_u32_e32 v30, 3, v32
	v_ashrrev_i32_e32 v31, 31, v30
	v_mul_lo_u32 v32, v31, s10
	v_mul_lo_u32 v33, v30, s11
	v_mad_u64_u32 v[30:31], s[4:5], v30, s10, 0
	s_ashr_i32 s5, s61, 31
	s_add_u32 s4, s59, s61
	s_addc_u32 s5, s58, s5
	v_lshl_add_u64 v[18:19], v[18:19], 2, s[44:45]
	v_add3_u32 v31, v31, v33, v32
	s_lshl_b64 s[4:5], s[4:5], 8
	v_lshl_add_u64 v[20:21], v[20:21], 2, s[44:45]
	v_lshl_add_u64 v[22:23], v[22:23], 2, s[44:45]
	;; [unrolled: 1-line block ×3, first 2 shown]
	global_load_dword v40, v[18:19], off
	global_load_dword v41, v[20:21], off
	;; [unrolled: 1-line block ×4, first 2 shown]
	v_lshl_add_u64 v[18:19], v[92:93], 0, s[4:5]
	v_lshl_add_u64 v[22:23], v[18:19], 0, v[90:91]
	global_load_ushort v44, v[22:23], off offset:256
	global_load_ushort v158, v[22:23], off
	ds_read2st64_b64 v[18:21], v136 offset0:4 offset1:8
	global_load_ushort v159, v[22:23], off offset:768
	global_load_ushort v160, v[22:23], off offset:512
	ds_read2st64_b64 v[30:33], v137 offset0:4 offset1:8
	global_load_ushort v161, v[22:23], off offset:288
	global_load_ushort v162, v[22:23], off offset:32
	;; [unrolled: 1-line block ×4, first 2 shown]
	s_waitcnt lgkmcnt(2)
	v_mfma_f32_16x16x16_bf16 a[8:11], v[34:35], v[26:27], a[8:11]
	global_load_ushort v165, v[22:23], off offset:320
	global_load_ushort v166, v[22:23], off offset:64
	;; [unrolled: 1-line block ×4, first 2 shown]
	s_and_b64 vcc, exec, s[0:1]
	s_waitcnt lgkmcnt(1)
	v_mfma_f32_16x16x16_bf16 a[12:15], v[34:35], v[18:19], a[12:15]
	ds_read_b64 v[18:19], v134 offset:6144
	s_waitcnt lgkmcnt(1)
	v_mfma_f32_16x16x16_bf16 a[0:3], v[34:35], v[30:31], a[0:3]
	v_lshl_add_u64 v[30:31], v[94:95], 0, s[4:5]
	v_lshl_add_u64 v[30:31], v[30:31], 0, v[90:91]
	v_mfma_f32_16x16x16_bf16 a[4:7], v[36:37], v[24:25], a[4:7]
	v_mfma_f32_16x16x16_bf16 a[8:11], v[36:37], v[28:29], a[8:11]
	v_mfma_f32_16x16x16_bf16 a[12:15], v[36:37], v[20:21], a[12:15]
	v_mfma_f32_16x16x16_bf16 a[0:3], v[36:37], v[32:33], a[0:3]
	global_load_ushort v36, v[22:23], off offset:352
	global_load_ushort v37, v[22:23], off offset:96
	ds_read_b64 v[20:21], v135 offset:6144
	ds_read_b64 v[24:25], v136 offset:6144
	;; [unrolled: 1-line block ×3, first 2 shown]
	s_load_dword s46, s[46:47], 0x0
	global_load_ushort v169, v[22:23], off offset:864
	global_load_ushort v170, v[22:23], off offset:608
	s_waitcnt lgkmcnt(0)
	v_mfma_f32_16x16x16_bf16 a[4:7], v[38:39], v[18:19], a[4:7]
	s_waitcnt vmcnt(17)
	v_sub_f32_e32 v28, s46, v42
	v_mfma_f32_16x16x16_bf16 a[0:3], v[38:39], v[26:27], a[0:3]
	v_sub_f32_e32 v26, s46, v40
	v_sub_f32_e32 v27, s46, v41
	s_waitcnt vmcnt(16)
	v_sub_f32_e32 v29, s46, v43
	v_mfma_f32_16x16x16_bf16 a[8:11], v[38:39], v[20:21], a[8:11]
	v_exp_f32_e32 v26, v26
	v_exp_f32_e32 v27, v27
	;; [unrolled: 1-line block ×4, first 2 shown]
	v_accvgpr_read_b32 v35, a5
	s_waitcnt vmcnt(15)
	v_lshlrev_b32_e32 v33, 16, v44
	s_waitcnt vmcnt(14)
	v_lshlrev_b32_e32 v32, 16, v158
	v_accvgpr_read_b32 v34, a4
	v_accvgpr_read_b32 v19, a7
	;; [unrolled: 1-line block ×3, first 2 shown]
	v_pk_add_f32 v[32:33], v[32:33], v[34:35] neg_lo:[0,1] neg_hi:[0,1]
	s_waitcnt vmcnt(13)
	v_lshlrev_b32_e32 v35, 16, v159
	s_waitcnt vmcnt(12)
	v_lshlrev_b32_e32 v34, 16, v160
	v_pk_add_f32 v[18:19], v[34:35], v[18:19] neg_lo:[0,1] neg_hi:[0,1]
	global_store_short_d16_hi v[30:31], v32, off
	global_store_short_d16_hi v[30:31], v33, off offset:256
	global_store_short_d16_hi v[30:31], v18, off offset:512
	;; [unrolled: 1-line block ×3, first 2 shown]
	v_pk_mul_f32 v[32:33], v[26:27], v[32:33]
	v_pk_mul_f32 v[18:19], v[28:29], v[18:19]
	v_accvgpr_read_b32 v35, a9
	v_perm_b32 v32, v33, v32, s3
	v_perm_b32 v33, v19, v18, s3
	s_waitcnt vmcnt(15)
	v_lshlrev_b32_e32 v19, 16, v161
	s_waitcnt vmcnt(14)
	v_lshlrev_b32_e32 v18, 16, v162
	v_accvgpr_read_b32 v34, a8
	v_accvgpr_read_b32 v21, a11
	v_mfma_f32_16x16x16_bf16 a[12:15], v[38:39], v[24:25], a[12:15]
	v_accvgpr_read_b32 v20, a10
	v_pk_add_f32 v[18:19], v[18:19], v[34:35] neg_lo:[0,1] neg_hi:[0,1]
	s_waitcnt vmcnt(13)
	v_lshlrev_b32_e32 v35, 16, v163
	s_waitcnt vmcnt(12)
	v_lshlrev_b32_e32 v34, 16, v164
	v_pk_add_f32 v[20:21], v[34:35], v[20:21] neg_lo:[0,1] neg_hi:[0,1]
	global_store_short_d16_hi v[30:31], v18, off offset:32
	global_store_short_d16_hi v[30:31], v19, off offset:288
	;; [unrolled: 1-line block ×4, first 2 shown]
	v_pk_mul_f32 v[18:19], v[26:27], v[18:19]
	v_pk_mul_f32 v[20:21], v[28:29], v[20:21]
	v_accvgpr_read_b32 v23, a15
	v_perm_b32 v21, v21, v20, s3
	v_perm_b32 v20, v19, v18, s3
	ds_write2_b64 v111, v[32:33], v[20:21] offset1:16
	v_accvgpr_read_b32 v21, a13
	s_waitcnt vmcnt(15)
	v_lshlrev_b32_e32 v19, 16, v165
	s_waitcnt vmcnt(14)
	v_lshlrev_b32_e32 v18, 16, v166
	v_accvgpr_read_b32 v20, a12
	v_accvgpr_read_b32 v22, a14
	v_pk_add_f32 v[18:19], v[18:19], v[20:21] neg_lo:[0,1] neg_hi:[0,1]
	s_waitcnt vmcnt(13)
	v_lshlrev_b32_e32 v21, 16, v167
	s_waitcnt vmcnt(12)
	v_lshlrev_b32_e32 v20, 16, v168
	v_pk_add_f32 v[20:21], v[20:21], v[22:23] neg_lo:[0,1] neg_hi:[0,1]
	global_store_short_d16_hi v[30:31], v18, off offset:64
	global_store_short_d16_hi v[30:31], v19, off offset:320
	;; [unrolled: 1-line block ×4, first 2 shown]
	v_pk_mul_f32 v[18:19], v[26:27], v[18:19]
	v_pk_mul_f32 v[20:21], v[28:29], v[20:21]
	v_accvgpr_read_b32 v23, a1
	v_perm_b32 v18, v19, v18, s3
	v_perm_b32 v19, v21, v20, s3
	s_waitcnt vmcnt(15)
	v_lshlrev_b32_e32 v21, 16, v36
	s_waitcnt vmcnt(14)
	v_lshlrev_b32_e32 v20, 16, v37
	v_accvgpr_read_b32 v22, a0
	v_accvgpr_read_b32 v25, a3
	;; [unrolled: 1-line block ×3, first 2 shown]
	v_pk_add_f32 v[20:21], v[20:21], v[22:23] neg_lo:[0,1] neg_hi:[0,1]
	s_waitcnt vmcnt(13)
	v_lshlrev_b32_e32 v23, 16, v169
	s_waitcnt vmcnt(12)
	v_lshlrev_b32_e32 v22, 16, v170
	v_pk_add_f32 v[22:23], v[22:23], v[24:25] neg_lo:[0,1] neg_hi:[0,1]
	global_store_short_d16_hi v[30:31], v20, off offset:96
	global_store_short_d16_hi v[30:31], v21, off offset:352
	;; [unrolled: 1-line block ×4, first 2 shown]
	v_pk_mul_f32 v[20:21], v[26:27], v[20:21]
	v_pk_mul_f32 v[22:23], v[28:29], v[22:23]
	v_mov_b32_e32 v158, 0
	v_perm_b32 v23, v23, v22, s3
	v_perm_b32 v22, v21, v20, s3
	ds_write2_b64 v111, v[18:19], v[22:23] offset0:32 offset1:48
	v_mov_b32_e32 v18, 0
	v_mov_b32_e32 v19, 0
	;; [unrolled: 1-line block ×16, first 2 shown]
	s_cbranch_vccnz .LBB1_14
; %bb.13:                               ;   in Loop: Header=BB1_6 Depth=1
	s_and_b32 s37, s37, 0xffff
	s_mov_b32 s39, s7
	buffer_load_dwordx4 v[30:33], v144, s[36:39], 0 offen
	buffer_load_dwordx4 v[22:25], v144, s[36:39], s63 offen
	buffer_load_dwordx4 v[26:29], v145, s[36:39], 0 offen
	buffer_load_dwordx4 v[18:21], v145, s[36:39], s63 offen
	v_mov_b32_e32 v157, v105
	v_mov_b32_e32 v158, v104
.LBB1_14:                               ;   in Loop: Header=BB1_6 Depth=1
	s_waitcnt lgkmcnt(0)
	s_barrier
	ds_read_b64 v[42:43], v147
	ds_read2_b64 v[34:37], v140 offset1:16
	ds_read_b64 v[176:177], v148
	ds_read_b64 v[178:179], v149
	ds_read_b64 v[180:181], v150
	ds_read2_b64 v[38:41], v140 offset0:32 offset1:48
	ds_read2st64_b64 v[160:163], v140 offset0:4 offset1:8
	ds_read2st64_b64 v[164:167], v141 offset0:4 offset1:8
	;; [unrolled: 1-line block ×4, first 2 shown]
	s_waitcnt lgkmcnt(8)
	v_mfma_f32_16x16x16_bf16 a[0:3], v[42:43], v[34:35], 0
	s_add_i32 s4, s60, s66
	s_mul_hi_i32 s5, s4, s29
	s_mul_i32 s4, s4, s29
	v_mfma_f32_16x16x16_bf16 a[4:7], v[42:43], v[36:37], 0
	s_add_u32 s4, s4, s33
	s_addc_u32 s5, s5, s48
	s_lshl_b64 s[4:5], s[4:5], 15
	s_waitcnt lgkmcnt(4)
	v_mfma_f32_16x16x16_bf16 a[8:11], v[42:43], v[38:39], 0
	s_mul_i32 s36, s68, s29
	s_mul_hi_i32 s37, s68, s29
	s_add_u32 s36, s36, s33
	v_mfma_f32_16x16x16_bf16 a[12:15], v[42:43], v[40:41], 0
	ds_read_b64 v[42:43], v140 offset:6144
	ds_read_b64 v[188:189], v141 offset:6144
	;; [unrolled: 1-line block ×4, first 2 shown]
	s_addc_u32 s37, s37, s48
	s_waitcnt lgkmcnt(7)
	v_mfma_f32_16x16x16_bf16 a[0:3], v[176:177], v[160:161], a[0:3]
	s_lshl_b64 s[36:37], s[36:37], 9
	s_add_u32 s36, s8, s36
	s_addc_u32 s37, s9, s37
	s_waitcnt lgkmcnt(6)
	v_mfma_f32_16x16x16_bf16 a[4:7], v[176:177], v[164:165], a[4:7]
	v_lshl_add_u64 v[198:199], v[96:97], 0, s[4:5]
	s_waitcnt lgkmcnt(5)
	v_mfma_f32_16x16x16_bf16 a[8:11], v[176:177], v[168:169], a[8:11]
	s_waitcnt lgkmcnt(4)
	v_mfma_f32_16x16x16_bf16 a[12:15], v[176:177], v[172:173], a[12:15]
	ds_read_b64 v[176:177], v152
	ds_read_b64 v[186:187], v153
	;; [unrolled: 1-line block ×3, first 2 shown]
	s_waitcnt lgkmcnt(2)
	v_mfma_f32_16x16x16_bf16 a[16:19], v[176:177], v[34:35], 0
	v_mfma_f32_16x16x16_bf16 a[20:23], v[176:177], v[36:37], 0
	global_load_dwordx4 v[34:37], v151, s[36:37]
	v_mfma_f32_16x16x16_bf16 a[24:27], v[176:177], v[38:39], 0
	v_mfma_f32_16x16x16_bf16 a[28:31], v[176:177], v[40:41], 0
	global_load_dwordx4 v[38:41], v89, s[36:37]
	v_mfma_f32_16x16x16_bf16 a[0:3], v[178:179], v[162:163], a[0:3]
	v_mfma_f32_16x16x16_bf16 a[4:7], v[178:179], v[166:167], a[4:7]
	;; [unrolled: 1-line block ×8, first 2 shown]
	ds_read2st64_b64 v[176:179], v138 offset1:8
	ds_read2st64_b64 v[180:183], v139 offset1:8
	ds_read_b64 v[196:197], v146 offset:40960
	s_waitcnt lgkmcnt(2)
	v_mov_b32_e32 v184, v176
	v_mfma_f32_16x16x16_bf16 a[16:19], v[186:187], v[160:161], a[16:19]
	v_mov_b32_e32 v185, v177
	v_mfma_f32_16x16x16_bf16 a[20:23], v[186:187], v[164:165], a[20:23]
	v_mfma_f32_16x16x16_bf16 a[24:27], v[186:187], v[168:169], a[24:27]
	;; [unrolled: 1-line block ×3, first 2 shown]
	v_add_co_u32_e32 v172, vcc, s41, v198
	s_waitcnt lgkmcnt(1)
	v_mov_b32_e32 v186, v180
	s_waitcnt lgkmcnt(0)
	v_mfma_f32_16x16x16_bf16 a[16:19], v[196:197], v[162:163], a[16:19]
	ds_read2st64_b64 v[160:163], v138 offset0:16 offset1:24
	v_addc_co_u32_e32 v173, vcc, 0, v199, vcc
	v_mfma_f32_16x16x16_bf16 a[32:35], v[196:197], v[166:167], a[20:23]
	ds_read2st64_b64 v[164:167], v139 offset0:16 offset1:24
	v_mov_b32_e32 v187, v181
	v_mov_b32_e32 v180, v178
	v_mfma_f32_16x16x16_bf16 a[24:27], v[196:197], v[170:171], a[24:27]
	v_mov_b32_e32 v181, v179
	s_waitcnt lgkmcnt(0)
	v_mov_b32_e32 v170, v164
	v_mov_b32_e32 v171, v165
	v_mfma_f32_16x16x16_bf16 a[36:39], v[196:197], v[174:175], a[28:31]
	v_mov_b32_e32 v164, v162
	v_mov_b32_e32 v165, v163
	;; [unrolled: 1-line block ×3, first 2 shown]
	v_mfma_f32_16x16x16_bf16 a[20:23], v[194:195], v[42:43], a[16:19]
	v_add_co_u32_e32 v42, vcc, s43, v198
	v_mov_b32_e32 v169, v161
	v_mfma_f32_16x16x16_bf16 a[28:31], v[194:195], v[188:189], a[32:35]
	v_addc_co_u32_e32 v43, vcc, 0, v199, vcc
	global_store_dwordx4 v[42:43], v[164:167], off
	v_mfma_f32_16x16x16_bf16 a[16:19], v[194:195], v[190:191], a[24:27]
	s_waitcnt vmcnt(2)
	v_mov_b32_e32 v44, v37
	v_mov_b32_e32 v43, v36
	;; [unrolled: 1-line block ×3, first 2 shown]
	v_mfma_f32_16x16x16_bf16 a[24:27], v[194:195], v[192:193], a[36:39]
	s_and_b64 vcc, exec, s[0:1]
	global_store_dwordx4 v[198:199], v[184:187], off
	global_store_dwordx4 v[172:173], v[180:183], off offset:-4096
	global_store_dwordx4 v[172:173], v[168:171], off
	s_cbranch_vccnz .LBB1_16
; %bb.15:                               ;   in Loop: Header=BB1_6 Depth=1
	v_lshrrev_b32_e32 v35, 3, v157
	v_and_b32_e32 v35, 6, v35
	v_xor_b32_e32 v36, v35, v158
	v_lshlrev_b32_e32 v36, 2, v36
	v_and_b32_e32 v37, 8, v157
	v_xor_b32_e32 v157, 0x440, v36
	v_cmp_eq_u32_e32 vcc, 0, v37
	v_perm_b32 v37, v22, v18, s64
	s_nop 0
	v_cndmask_b32_e32 v36, v157, v36, vcc
	v_lshl_or_b32 v35, v35, 10, v36
	v_perm_b32 v36, v30, v26, s64
	s_barrier
	ds_write2st64_b32 v35, v36, v37 offset0:128 offset1:160
	v_xor_b32_e32 v36, 8, v35
	v_perm_b32 v26, v30, v26, s65
	v_perm_b32 v18, v22, v18, s65
	v_add_u32_e32 v22, 0x80, v36
	ds_write2st64_b32 v22, v26, v18 offset0:128 offset1:160
	v_xor_b32_e32 v18, 16, v35
	v_perm_b32 v22, v31, v27, s64
	v_perm_b32 v26, v23, v19, s64
	ds_write2st64_b32 v18, v22, v26 offset0:129 offset1:161
	v_xor_b32_e32 v18, 24, v35
	v_perm_b32 v22, v31, v27, s65
	v_perm_b32 v19, v23, v19, s65
	v_add_u32_e32 v18, 0x80, v18
	ds_write2st64_b32 v18, v22, v19 offset0:129 offset1:161
	v_xor_b32_e32 v18, 32, v35
	v_perm_b32 v19, v32, v28, s64
	v_perm_b32 v22, v24, v20, s64
	;; [unrolled: 9-line block ×3, first 2 shown]
	ds_write2st64_b32 v18, v19, v20 offset0:131 offset1:163
	v_xor_b32_e32 v18, 56, v35
	v_perm_b32 v19, v33, v29, s65
	v_perm_b32 v20, v25, v21, s65
	v_add_u32_e32 v18, 0x80, v18
	ds_write2st64_b32 v18, v19, v20 offset0:131 offset1:163
	ds_write_b64 v156, v[14:15] offset:49152
	v_xor_b32_e32 v14, 8, v156
	ds_write_b64 v14, v[16:17] offset:49152
	ds_write_b64 v156, v[10:11] offset:57344
	;; [unrolled: 1-line block ×4, first 2 shown]
	v_xor_b32_e32 v6, 8, v155
	ds_write_b64 v6, v[8:9] offset:49152
	ds_write_b64 v155, v[2:3] offset:57344
	;; [unrolled: 1-line block ×3, first 2 shown]
.LBB1_16:                               ;   in Loop: Header=BB1_6 Depth=1
	v_exp_f32_e32 v36, s46
	s_waitcnt vmcnt(4)
	v_exp_f32_e32 v38, v38
	v_exp_f32_e32 v39, v39
	;; [unrolled: 1-line block ×4, first 2 shown]
	v_accvgpr_read_b32 v5, a3
	v_accvgpr_read_b32 v4, a2
	;; [unrolled: 1-line block ×4, first 2 shown]
	v_pk_mul_f32 v[38:39], v[36:37], v[38:39] op_sel_hi:[0,1]
	v_pk_mul_f32 v[40:41], v[36:37], v[40:41] op_sel_hi:[0,1]
	v_pk_fma_f32 v[82:83], v[82:83], v[38:39], v[2:3]
	v_pk_fma_f32 v[86:87], v[86:87], v[40:41], v[4:5]
	v_exp_f32_e32 v2, v34
	v_exp_f32_e32 v3, v42
	;; [unrolled: 1-line block ×4, first 2 shown]
	v_accvgpr_read_b32 v9, a7
	v_accvgpr_read_b32 v13, a11
	v_accvgpr_read_b32 v17, a15
	v_accvgpr_read_b32 v18, a20
	v_accvgpr_read_b32 v22, a28
	v_accvgpr_read_b32 v29, a19
	v_accvgpr_read_b32 v33, a27
	v_accvgpr_read_b32 v8, a6
	v_accvgpr_read_b32 v7, a5
	v_accvgpr_read_b32 v6, a4
	v_accvgpr_read_b32 v12, a10
	v_accvgpr_read_b32 v11, a9
	v_accvgpr_read_b32 v10, a8
	v_accvgpr_read_b32 v16, a14
	v_accvgpr_read_b32 v15, a13
	v_accvgpr_read_b32 v14, a12
	v_accvgpr_read_b32 v19, a21
	v_accvgpr_read_b32 v20, a22
	v_accvgpr_read_b32 v21, a23
	v_accvgpr_read_b32 v23, a29
	v_accvgpr_read_b32 v24, a30
	v_accvgpr_read_b32 v25, a31
	v_accvgpr_read_b32 v28, a18
	v_accvgpr_read_b32 v27, a17
	v_accvgpr_read_b32 v26, a16
	v_accvgpr_read_b32 v32, a26
	v_accvgpr_read_b32 v31, a25
	v_accvgpr_read_b32 v30, a24
	v_pk_mul_f32 v[2:3], v[36:37], v[2:3] op_sel_hi:[0,1]
	v_pk_mul_f32 v[4:5], v[36:37], v[4:5] op_sel_hi:[0,1]
	s_add_i32 s61, s61, 64
	v_pk_fma_f32 v[74:75], v[38:39], v[74:75], v[6:7]
	v_pk_fma_f32 v[78:79], v[40:41], v[78:79], v[8:9]
	;; [unrolled: 1-line block ×13, first 2 shown]
	s_cmp_eq_u32 s55, s67
	v_pk_fma_f32 v[60:61], v[4:5], v[60:61], v[32:33]
	s_cbranch_scc1 .LBB1_18
; %bb.17:                               ;   in Loop: Header=BB1_6 Depth=1
	s_mov_b32 s66, s67
	s_branch .LBB1_6
.LBB1_18:
	s_lshl_b32 s0, s55, 6
	s_sub_i32 s46, s56, s0
	s_cmp_gt_i32 s46, 0
	s_cbranch_scc0 .LBB1_99
; %bb.19:
	s_add_i32 s34, s0, s34
	s_ashr_i32 s3, s34, 31
	s_cmpk_lg_i32 s31, 0x80
	s_cselect_b64 s[38:39], -1, 0
	s_and_b64 vcc, exec, s[38:39]
	s_cbranch_vccz .LBB1_21
; %bb.20:
	s_mul_i32 s1, s34, s30
	s_ashr_i32 s4, s57, 31
	s_mul_hi_i32 s0, s34, s30
	s_add_u32 s44, s1, s57
	s_addc_u32 s45, s0, s4
	s_cbranch_execz .LBB1_22
	s_branch .LBB1_23
.LBB1_21:
                                        ; implicit-def: $sgpr44_sgpr45
.LBB1_22:
	s_mul_i32 s1, s57, s28
	s_mul_hi_i32 s0, s57, s28
	s_add_u32 s44, s1, s34
	s_addc_u32 s45, s0, s3
.LBB1_23:
	s_waitcnt lgkmcnt(0)
	s_add_i32 s4, s55, s60
	s_add_u32 s0, s59, s34
	v_lshlrev_b32_e32 v6, 6, v102
	v_lshlrev_b32_e32 v25, 2, v99
	s_addc_u32 s1, s58, s3
	s_mov_b32 s3, 0x7060302
	v_or_b32_e32 v9, v6, v25
	v_xor_b32_e32 v7, v102, v25
	v_perm_b32 v3, v87, v86, s3
	v_perm_b32 v2, v83, v82, s3
	;; [unrolled: 1-line block ×4, first 2 shown]
	v_lshlrev_b32_e32 v9, 1, v9
	v_xor_b32_e32 v8, v103, v25
	ds_write2st64_b64 v9, v[2:3], v[4:5] offset0:32 offset1:48
	v_lshlrev_b32_e32 v7, 1, v7
	v_lshlrev_b32_e32 v9, 8, v99
	v_or_b32_e32 v10, v7, v9
	v_lshlrev_b32_e32 v8, 1, v8
	ds_write_b64 v10, v[2:3]
	v_or_b32_e32 v2, v8, v9
	v_or_b32_e32 v9, 16, v99
	v_lshlrev_b32_e32 v23, 2, v9
	v_or_b32_e32 v10, v6, v23
	ds_write_b64 v2, v[4:5]
	v_perm_b32 v3, v79, v78, s3
	v_perm_b32 v2, v75, v74, s3
	;; [unrolled: 1-line block ×4, first 2 shown]
	v_lshlrev_b32_e32 v10, 1, v10
	v_lshlrev_b32_e32 v9, 8, v9
	ds_write2st64_b64 v10, v[2:3], v[4:5] offset0:32 offset1:48
	v_or_b32_e32 v10, v7, v9
	ds_write_b64 v10, v[2:3]
	v_or_b32_e32 v2, v8, v9
	v_or_b32_e32 v9, 32, v99
	v_lshlrev_b32_e32 v22, 2, v9
	v_or_b32_e32 v10, v6, v22
	ds_write_b64 v2, v[4:5]
	v_perm_b32 v3, v71, v70, s3
	v_perm_b32 v2, v67, v66, s3
	v_perm_b32 v5, v69, v68, s3
	v_perm_b32 v4, v65, v64, s3
	v_lshlrev_b32_e32 v10, 1, v10
	v_lshlrev_b32_e32 v9, 8, v9
	s_lshl_b64 s[36:37], s[0:1], 8
	ds_write2st64_b64 v10, v[2:3], v[4:5] offset0:32 offset1:48
	v_or_b32_e32 v10, v7, v9
	s_add_u32 s0, s18, s36
	ds_write_b64 v10, v[2:3]
	v_or_b32_e32 v2, v8, v9
	s_addc_u32 s1, s19, s37
	ds_write_b64 v2, v[4:5]
	v_perm_b32 v3, v63, v62, s3
	v_perm_b32 v2, v59, v58, s3
	;; [unrolled: 1-line block ×4, first 2 shown]
	v_or_b32_e32 v9, 48, v99
	s_mul_hi_i32 s3, s4, s29
	s_mul_i32 s4, s4, s29
	v_lshlrev_b32_e32 v19, 2, v9
	s_add_u32 s4, s4, s33
	v_or_b32_e32 v6, v6, v19
	s_addc_u32 s5, s3, s48
	v_lshlrev_b32_e32 v6, 1, v6
	s_ashr_i32 s3, s2, 31
	s_lshl_b64 s[4:5], s[4:5], 15
	ds_write2st64_b64 v6, v[2:3], v[4:5] offset0:32 offset1:48
	v_lshlrev_b32_e32 v6, 8, v9
	s_add_u32 s4, s12, s4
	v_or_b32_e32 v7, v7, v6
	s_addc_u32 s5, s13, s5
	s_lshl_b64 s[2:3], s[2:3], 8
	ds_write_b64 v7, v[2:3]
	v_or_b32_e32 v2, v8, v6
	s_add_u32 s2, s4, s2
	v_lshlrev_b32_e32 v3, 1, v99
	ds_write_b64 v2, v[4:5]
	v_lshrrev_b32_e32 v2, 4, v0
	s_addc_u32 s3, s5, s3
	v_or_b32_e32 v4, 1, v3
	v_lshlrev_b32_e32 v10, 4, v99
	v_mov_b32_e32 v11, 0
	v_xor_b32_e32 v3, v2, v3
	v_xor_b32_e32 v6, v4, v2
	v_lshl_add_u64 v[12:13], s[2:3], 0, v[10:11]
	v_lshlrev_b32_e32 v10, 8, v2
	v_lshl_or_b32 v16, v3, 3, v10
	v_lshl_or_b32 v17, v6, 3, v10
	s_waitcnt lgkmcnt(0)
	s_barrier
	ds_read2st64_b64 v[2:5], v16 offset1:8
	ds_read2st64_b64 v[6:9], v17 offset1:8
	v_lshl_add_u64 v[14:15], v[12:13], 0, v[10:11]
	s_movk_i32 s2, 0x2000
	s_cmp_lg_u32 s46, 64
	s_waitcnt lgkmcnt(1)
	v_mov_b32_e32 v10, v2
	v_mov_b32_e32 v11, v3
	s_waitcnt lgkmcnt(0)
	v_mov_b32_e32 v12, v6
	v_mov_b32_e32 v13, v7
	global_store_dwordx4 v[14:15], v[10:13], off
	v_mov_b32_e32 v6, v4
	v_mov_b32_e32 v7, v5
	ds_read2st64_b64 v[2:5], v16 offset0:16 offset1:24
	ds_read2st64_b64 v[10:13], v17 offset0:16 offset1:24
	v_add_co_u32_e32 v16, vcc, s2, v14
	s_cselect_b64 s[18:19], -1, 0
	s_nop 0
	v_addc_co_u32_e32 v17, vcc, 0, v15, vcc
	global_store_dwordx4 v[16:17], v[6:9], off offset:-4096
	v_lshl_or_b32 v30, v1, 3, v101
	s_mov_b32 s4, 0
	s_waitcnt lgkmcnt(1)
	v_mov_b32_e32 v6, v2
	v_add_co_u32_e32 v2, vcc, 0x3000, v14
	v_mov_b32_e32 v7, v3
	s_nop 0
	v_addc_co_u32_e32 v3, vcc, 0, v15, vcc
	s_waitcnt lgkmcnt(0)
	v_mov_b32_e32 v8, v10
	v_mov_b32_e32 v9, v11
	;; [unrolled: 1-line block ×4, first 2 shown]
	v_or_b32_e32 v20, 32, v30
	v_and_b32_e32 v18, 56, v100
	s_and_b64 vcc, exec, s[18:19]
	global_store_dwordx4 v[16:17], v[6:9], off
	global_store_dwordx4 v[2:3], v[10:13], off
	s_cbranch_vccz .LBB1_29
; %bb.24:
	s_mov_b32 s6, s4
	s_mov_b32 s7, s4
	;; [unrolled: 1-line block ×3, first 2 shown]
	v_mov_b64_e32 v[8:9], s[6:7]
	v_mov_b64_e32 v[6:7], s[4:5]
	;; [unrolled: 1-line block ×3, first 2 shown]
	v_cmp_gt_i32_e32 vcc, s46, v30
	v_mov_b64_e32 v[4:5], v[8:9]
	s_and_saveexec_b64 s[2:3], vcc
	s_cbranch_execz .LBB1_26
; %bb.25:
	v_lshlrev_b32_e32 v2, 8, v30
	v_mov_b32_e32 v3, 0
	v_lshl_add_u64 v[4:5], s[0:1], 0, v[2:3]
	v_lshlrev_b32_e32 v2, 1, v18
	v_lshl_add_u64 v[10:11], v[4:5], 0, v[2:3]
	global_load_dwordx4 v[6:9], v[10:11], off
	global_load_dwordx4 v[2:5], v[10:11], off offset:128
.LBB1_26:
	s_or_b64 exec, exec, s[2:3]
	s_mov_b32 s6, s4
	s_mov_b32 s7, s4
	;; [unrolled: 1-line block ×3, first 2 shown]
	v_mov_b64_e32 v[16:17], s[6:7]
	v_mov_b64_e32 v[14:15], s[4:5]
	;; [unrolled: 1-line block ×3, first 2 shown]
	v_cmp_gt_i32_e32 vcc, s46, v20
	v_lshlrev_b32_e32 v21, 7, v20
	v_mov_b64_e32 v[12:13], v[16:17]
	s_and_saveexec_b64 s[2:3], vcc
	s_cbranch_execz .LBB1_28
; %bb.27:
	v_lshlrev_b32_e32 v10, 1, v21
	v_mov_b32_e32 v11, 0
	v_lshl_add_u64 v[12:13], s[0:1], 0, v[10:11]
	v_lshlrev_b32_e32 v10, 1, v18
	v_lshl_add_u64 v[26:27], v[12:13], 0, v[10:11]
	global_load_dwordx4 v[14:17], v[26:27], off
	global_load_dwordx4 v[10:13], v[26:27], off offset:128
.LBB1_28:
	s_or_b64 exec, exec, s[2:3]
	v_lshrrev_b32_e32 v24, 3, v18
	v_lshlrev_b32_e32 v26, 3, v30
	v_or_b32_e32 v24, v26, v24
	v_lshlrev_b32_e32 v24, 4, v24
	v_and_b32_e32 v26, 0x78, v26
	v_xor_b32_e32 v24, v24, v26
	s_branch .LBB1_31
.LBB1_29:
                                        ; implicit-def: $vgpr24
                                        ; implicit-def: $vgpr21
                                        ; implicit-def: $vgpr6_vgpr7_vgpr8_vgpr9
                                        ; implicit-def: $vgpr2_vgpr3_vgpr4_vgpr5
                                        ; implicit-def: $vgpr14_vgpr15_vgpr16_vgpr17
                                        ; implicit-def: $vgpr10_vgpr11_vgpr12_vgpr13
	s_cbranch_execz .LBB1_31
; %bb.30:
	s_waitcnt vmcnt(0)
	v_lshlrev_b32_e32 v2, 1, v18
	v_lshl_or_b32 v21, v30, 8, v2
	s_and_b32 s1, s1, 0xffff
	s_mov_b32 s3, 0x20000
	s_movk_i32 s2, 0x4000
	v_lshl_or_b32 v24, v20, 8, v2
	s_movk_i32 s4, 0x80
	buffer_load_dwordx4 v[6:9], v21, s[0:3], 0 offen
	buffer_load_dwordx4 v[2:5], v21, s[0:3], s4 offen
	;; [unrolled: 1-line block ×4, first 2 shown]
	v_lshrrev_b32_e32 v21, 3, v18
	v_lshlrev_b32_e32 v24, 3, v30
	v_or_b32_e32 v21, v24, v21
	v_lshlrev_b32_e32 v21, 4, v21
	v_and_b32_e32 v24, 0x78, v24
	v_xor_b32_e32 v24, v21, v24
	v_lshlrev_b32_e32 v21, 7, v20
.LBB1_31:
	s_movk_i32 s0, 0x1000
	v_and_or_b32 v20, v21, s0, v24
	s_waitcnt vmcnt(1)
	ds_write_b64 v24, v[6:7] offset:49152
	v_xor_b32_e32 v6, 8, v24
	ds_write_b64 v6, v[8:9] offset:49152
	s_waitcnt vmcnt(0)
	ds_write_b64 v24, v[2:3] offset:57344
	ds_write_b64 v6, v[4:5] offset:57344
	;; [unrolled: 1-line block ×3, first 2 shown]
	v_xor_b32_e32 v2, 8, v20
	ds_write_b64 v2, v[16:17] offset:49152
	ds_write_b64 v20, v[10:11] offset:57344
	;; [unrolled: 1-line block ×3, first 2 shown]
	v_or_b32_e32 v2, v45, v99
	v_lshlrev_b32_e32 v2, 3, v2
	v_lshrrev_b32_e32 v3, 5, v47
	s_movk_i32 s0, 0xf8
	v_and_or_b32 v3, v2, s0, v3
	v_lshlrev_b32_e32 v7, 4, v3
	v_lshlrev_b32_e32 v24, 11, v1
	v_and_b32_e32 v8, 0x78, v2
	v_or_b32_e32 v10, 32, v7
	v_and_b32_e32 v6, 0x1000, v24
	v_lshrrev_b32_e32 v3, 1, v47
	v_xor_b32_e32 v10, v10, v8
	v_xor_b32_e32 v2, v7, v8
	v_and_b32_e32 v9, 8, v3
	v_or_b32_e32 v10, v10, v6
	v_or_b32_e32 v2, v2, v6
	v_xor_b32_e32 v32, v10, v9
	v_or_b32_e32 v10, 64, v7
	v_xor_b32_e32 v31, v2, v9
	v_xor_b32_e32 v10, v10, v8
	s_waitcnt lgkmcnt(0)
	s_barrier
	v_or_b32_e32 v13, v10, v6
	ds_read_b64 v[10:11], v31 offset:49152
	v_lshl_or_b32 v14, v98, 8, v25
	v_lshlrev_b32_e32 v26, 1, v14
	v_add_u32_e32 v12, 0x4000, v26
	ds_read2_b64 v[2:5], v12 offset1:16
	v_or_b32_e32 v7, 0x60, v7
	v_xor_b32_e32 v7, v7, v8
	v_or_b32_e32 v6, v7, v6
	v_xor_b32_e32 v33, v13, v9
	v_xor_b32_e32 v34, v6, v9
	ds_read_b64 v[20:21], v32 offset:49152
	ds_read_b64 v[36:37], v33 offset:49152
	;; [unrolled: 1-line block ×3, first 2 shown]
	s_waitcnt lgkmcnt(3)
	v_mfma_f32_16x16x16_bf16 a[0:3], v[10:11], v[2:3], 0
	ds_read2st64_b64 v[6:9], v26 offset0:36 offset1:40
	s_lshl_b64 s[0:1], s[44:45], 8
	s_add_u32 s4, s16, s0
	v_mfma_f32_16x16x16_bf16 a[4:7], v[10:11], v[4:5], 0
	ds_read2_b64 v[2:5], v12 offset0:32 offset1:48
	s_addc_u32 s5, s17, s1
	s_add_i32 s0, s50, s49
	s_waitcnt lgkmcnt(0)
	v_mfma_f32_16x16x16_bf16 a[8:11], v[10:11], v[2:3], 0
	v_or_b32_e32 v2, 64, v14
	v_lshlrev_b32_e32 v27, 1, v2
	s_add_i32 s17, s35, -1
	v_mfma_f32_16x16x16_bf16 a[12:15], v[10:11], v[4:5], 0
	ds_read2st64_b64 v[2:5], v27 offset0:36 offset1:40
	s_add_i32 s43, s0, s51
	s_add_i32 s0, s53, s52
	v_mfma_f32_16x16x16_bf16 a[0:3], v[20:21], v[6:7], a[0:3]
	v_or_b32_e32 v6, 0x80, v14
	v_lshlrev_b32_e32 v28, 1, v6
	ds_read2st64_b64 v[10:13], v28 offset0:36 offset1:40
	s_waitcnt lgkmcnt(1)
	v_mfma_f32_16x16x16_bf16 a[4:7], v[20:21], v[2:3], a[4:7]
	v_or_b32_e32 v2, 0xc0, v14
	v_lshlrev_b32_e32 v29, 1, v2
	ds_read2st64_b64 v[14:17], v29 offset0:36 offset1:40
	s_add_i32 s41, s0, s54
	s_ashr_i32 s0, s17, 31
	s_mul_i32 s1, s17, s11
	s_mul_hi_u32 s2, s17, s10
	s_add_i32 s1, s2, s1
	s_mul_i32 s0, s0, s10
	s_waitcnt lgkmcnt(1)
	v_mfma_f32_16x16x16_bf16 a[8:11], v[20:21], v[10:11], a[8:11]
	s_add_i32 s1, s1, s0
	s_lshl_b64 s[2:3], s[42:43], 2
	s_add_u32 s6, s22, s2
	s_waitcnt lgkmcnt(0)
	v_mfma_f32_16x16x16_bf16 a[12:15], v[20:21], v[14:15], a[12:15]
	s_addc_u32 s7, s23, s3
	s_lshl_b64 s[2:3], s[40:41], 2
	s_mul_i32 s0, s17, s10
	v_mfma_f32_16x16x16_bf16 a[0:3], v[36:37], v[8:9], a[0:3]
	ds_read_b64 v[2:3], v26 offset:22528
	s_add_u32 s12, s6, s2
	s_addc_u32 s13, s7, s3
	v_mfma_f32_16x16x16_bf16 a[4:7], v[36:37], v[4:5], a[4:7]
	ds_read_b64 v[4:5], v27 offset:22528
	ds_read_b64 v[6:7], v28 offset:22528
	;; [unrolled: 1-line block ×3, first 2 shown]
	s_lshl_b64 s[0:1], s[0:1], 2
	s_add_u32 s0, s12, s0
	v_mfma_f32_16x16x16_bf16 a[8:11], v[36:37], v[12:13], a[8:11]
	s_addc_u32 s1, s13, s1
	s_load_dword s16, s[0:1], 0x0
	s_and_b64 vcc, exec, s[38:39]
	v_mfma_f32_16x16x16_bf16 a[12:15], v[36:37], v[16:17], a[12:15]
	s_waitcnt lgkmcnt(0)
	v_mfma_f32_16x16x16_bf16 a[0:3], v[38:39], v[2:3], a[0:3]
	v_mfma_f32_16x16x16_bf16 a[4:7], v[38:39], v[4:5], a[4:7]
	v_mfma_f32_16x16x16_bf16 a[8:11], v[38:39], v[6:7], a[8:11]
	v_mfma_f32_16x16x16_bf16 a[12:15], v[38:39], v[8:9], a[12:15]
	s_cbranch_vccz .LBB1_42
; %bb.32:
	v_lshlrev_b32_e32 v20, 1, v30
	s_and_b64 vcc, exec, s[18:19]
	s_cbranch_vccz .LBB1_43
; %bb.33:
	v_cmp_gt_i32_e32 vcc, s46, v20
	v_mov_b32_e32 v6, 0
	v_mov_b32_e32 v2, 0
	;; [unrolled: 1-line block ×5, first 2 shown]
	s_and_saveexec_b64 s[0:1], vcc
	s_cbranch_execz .LBB1_35
; %bb.34:
	v_mad_i64_i32 v[2:3], s[2:3], s31, v20, 0
	v_lshl_add_u64 v[2:3], v[2:3], 1, s[4:5]
	v_lshlrev_b32_e32 v4, 1, v18
	v_mov_b32_e32 v5, 0
	v_lshl_add_u64 v[2:3], v[2:3], 0, v[4:5]
	global_load_dwordx4 v[2:5], v[2:3], off
.LBB1_35:
	s_or_b64 exec, exec, s[0:1]
	v_or_b32_e32 v21, 1, v20
	v_cmp_gt_i32_e64 s[0:1], s46, v21
	v_mov_b32_e32 v7, 0
	v_mov_b32_e32 v8, 0
	;; [unrolled: 1-line block ×3, first 2 shown]
	s_and_saveexec_b64 s[2:3], s[0:1]
	s_cbranch_execz .LBB1_37
; %bb.36:
	v_mad_i64_i32 v[6:7], s[6:7], s31, v21, 0
	v_lshl_add_u64 v[6:7], v[6:7], 1, s[4:5]
	v_lshlrev_b32_e32 v8, 1, v18
	v_mov_b32_e32 v9, 0
	v_lshl_add_u64 v[6:7], v[6:7], 0, v[8:9]
	global_load_dwordx4 v[6:9], v[6:7], off
.LBB1_37:
	s_or_b64 exec, exec, s[2:3]
	v_mov_b32_e32 v17, 0
	v_mov_b32_e32 v10, 0
	;; [unrolled: 1-line block ×5, first 2 shown]
	s_and_saveexec_b64 s[2:3], vcc
	s_cbranch_execz .LBB1_39
; %bb.38:
	v_mad_i64_i32 v[10:11], s[6:7], s31, v20, 0
	v_lshl_add_u64 v[10:11], v[10:11], 1, s[4:5]
	v_lshlrev_b32_e32 v12, 1, v18
	v_mov_b32_e32 v13, 0
	v_lshl_add_u64 v[10:11], v[10:11], 0, v[12:13]
	global_load_dwordx4 v[10:13], v[10:11], off offset:128
.LBB1_39:
	s_or_b64 exec, exec, s[2:3]
	v_mov_b32_e32 v16, 0
	v_mov_b32_e32 v15, 0
	;; [unrolled: 1-line block ×3, first 2 shown]
	s_and_saveexec_b64 s[2:3], s[0:1]
	s_cbranch_execz .LBB1_41
; %bb.40:
	v_mad_i64_i32 v[14:15], s[0:1], s31, v21, 0
	v_lshl_add_u64 v[14:15], v[14:15], 1, s[4:5]
	v_lshlrev_b32_e32 v16, 1, v18
	v_mov_b32_e32 v17, 0
	v_lshl_add_u64 v[14:15], v[14:15], 0, v[16:17]
	global_load_dwordx4 v[14:17], v[14:15], off offset:128
.LBB1_41:
	s_or_b64 exec, exec, s[2:3]
	s_branch .LBB1_45
.LBB1_42:
                                        ; implicit-def: $vgpr5
                                        ; implicit-def: $vgpr9
                                        ; implicit-def: $vgpr13
                                        ; implicit-def: $vgpr17
	v_lshrrev_b32_e32 v35, 2, v47
	s_branch .LBB1_46
.LBB1_43:
                                        ; implicit-def: $vgpr5
                                        ; implicit-def: $vgpr9
                                        ; implicit-def: $vgpr13
                                        ; implicit-def: $vgpr17
	s_cbranch_execz .LBB1_45
; %bb.44:
	s_waitcnt vmcnt(0)
	v_mad_u64_u32 v[2:3], s[0:1], v20, s31, v[18:19]
	v_lshlrev_b32_e32 v20, 1, v2
	s_lshl_b32 s2, s31, 7
	s_and_b32 s1, s5, 0xffff
	s_mov_b32 s3, 0x20000
	s_mov_b32 s0, s4
	v_add_lshl_u32 v21, v2, s31, 1
	s_movk_i32 s6, 0x80
	buffer_load_dwordx4 v[2:5], v20, s[0:3], 0 offen
	buffer_load_dwordx4 v[10:13], v20, s[0:3], s6 offen
	;; [unrolled: 1-line block ×4, first 2 shown]
.LBB1_45:
	v_lshrrev_b32_e32 v35, 2, v47
	s_cbranch_execnz .LBB1_58
.LBB1_46:
	s_and_b64 vcc, exec, s[18:19]
	s_cbranch_vccz .LBB1_56
; %bb.47:
	s_waitcnt vmcnt(0)
	v_lshlrev_b32_e32 v7, 1, v30
	v_cmp_gt_i32_e32 vcc, s46, v7
	v_mov_b32_e32 v6, 0
	v_lshlrev_b32_e32 v14, 9, v30
	v_mov_b32_e32 v2, 0
	v_mov_b32_e32 v3, 0
	;; [unrolled: 1-line block ×4, first 2 shown]
	s_and_saveexec_b64 s[0:1], vcc
	s_cbranch_execz .LBB1_49
; %bb.48:
	v_mov_b32_e32 v15, 0
	v_lshl_add_u64 v[2:3], s[4:5], 0, v[14:15]
	v_lshlrev_b32_e32 v4, 1, v18
	v_mov_b32_e32 v5, v15
	v_lshl_add_u64 v[2:3], v[2:3], 0, v[4:5]
	global_load_dwordx4 v[2:5], v[2:3], off
.LBB1_49:
	s_or_b64 exec, exec, s[0:1]
	v_or_b32_e32 v7, 1, v7
	v_cmp_gt_i32_e64 s[0:1], s46, v7
	v_lshlrev_b32_e32 v20, 8, v7
	v_mov_b32_e32 v7, 0
	v_mov_b32_e32 v8, 0
	;; [unrolled: 1-line block ×3, first 2 shown]
	s_and_saveexec_b64 s[2:3], s[0:1]
	s_cbranch_execz .LBB1_51
; %bb.50:
	v_mov_b32_e32 v21, 0
	v_lshl_add_u64 v[6:7], s[4:5], 0, v[20:21]
	v_lshlrev_b32_e32 v8, 1, v18
	v_mov_b32_e32 v9, v21
	v_lshl_add_u64 v[6:7], v[6:7], 0, v[8:9]
	global_load_dwordx4 v[6:9], v[6:7], off
.LBB1_51:
	s_or_b64 exec, exec, s[2:3]
	v_mov_b32_e32 v17, 0
	v_mov_b32_e32 v10, 0
	;; [unrolled: 1-line block ×5, first 2 shown]
	s_and_saveexec_b64 s[2:3], vcc
	s_cbranch_execz .LBB1_53
; %bb.52:
	v_mov_b32_e32 v15, 0
	v_lshl_add_u64 v[10:11], s[4:5], 0, v[14:15]
	v_lshlrev_b32_e32 v14, 1, v18
	v_lshl_add_u64 v[10:11], v[10:11], 0, v[14:15]
	global_load_dwordx4 v[10:13], v[10:11], off offset:128
.LBB1_53:
	s_or_b64 exec, exec, s[2:3]
	v_mov_b32_e32 v16, 0
	v_mov_b32_e32 v15, 0
	;; [unrolled: 1-line block ×3, first 2 shown]
	s_and_saveexec_b64 s[2:3], s[0:1]
	s_cbranch_execz .LBB1_55
; %bb.54:
	v_mov_b32_e32 v21, 0
	v_lshl_add_u64 v[14:15], s[4:5], 0, v[20:21]
	v_lshlrev_b32_e32 v20, 1, v18
	v_lshl_add_u64 v[14:15], v[14:15], 0, v[20:21]
	global_load_dwordx4 v[14:17], v[14:15], off offset:128
.LBB1_55:
	s_or_b64 exec, exec, s[2:3]
	s_branch .LBB1_58
.LBB1_56:
                                        ; implicit-def: $vgpr5
                                        ; implicit-def: $vgpr9
                                        ; implicit-def: $vgpr13
                                        ; implicit-def: $vgpr17
	s_cbranch_execz .LBB1_58
; %bb.57:
	s_waitcnt vmcnt(0)
	v_lshlrev_b32_e32 v2, 1, v18
	v_lshl_or_b32 v18, v30, 9, v2
	s_and_b32 s5, s5, 0xffff
	s_mov_b32 s7, 0x20000
	s_movk_i32 s6, 0x4000
	s_movk_i32 s0, 0x80
	buffer_load_dwordx4 v[2:5], v18, s[4:7], 0 offen
	buffer_load_dwordx4 v[6:9], v18, s[4:7], 0 offen offset:256
	buffer_load_dwordx4 v[10:13], v18, s[4:7], s0 offen
	buffer_load_dwordx4 v[14:17], v18, s[4:7], s0 offen offset:256
.LBB1_58:
	ds_read_b64 v[20:21], v31 offset:57344
	v_add_u32_e32 v18, 0x6000, v26
	ds_read2_b64 v[36:39], v18 offset1:16
	ds_read_b64 v[94:95], v32 offset:57344
	ds_read_b64 v[96:97], v33 offset:57344
	;; [unrolled: 1-line block ×3, first 2 shown]
	v_and_b32_e32 v31, 6, v0
	v_xor_b32_e32 v30, v30, v31
	v_lshlrev_b32_e32 v30, 2, v30
	s_mov_b32 s0, 0x1000504
	s_mov_b32 s1, 0x3020706
	s_waitcnt lgkmcnt(3)
	v_mfma_f32_16x16x16_bf16 a[0:3], v[20:21], v[36:37], a[0:3]
	v_mfma_f32_16x16x16_bf16 a[4:7], v[20:21], v[38:39], a[4:7]
	ds_read2_b64 v[36:39], v18 offset0:32 offset1:48
	v_and_b32_e32 v18, 12, v35
	ds_read2st64_b64 v[32:35], v26 offset0:52 offset1:56
	s_waitcnt lgkmcnt(1)
	v_mfma_f32_16x16x16_bf16 a[8:11], v[20:21], v[36:37], a[8:11]
	v_mfma_f32_16x16x16_bf16 a[12:15], v[20:21], v[38:39], a[12:15]
	ds_read2st64_b64 v[36:39], v27 offset0:52 offset1:56
	ds_read2st64_b64 v[40:43], v28 offset0:52 offset1:56
	;; [unrolled: 1-line block ×3, first 2 shown]
	s_waitcnt lgkmcnt(3)
	v_mfma_f32_16x16x16_bf16 a[0:3], v[94:95], v[32:33], a[0:3]
	ds_read_b64 v[20:21], v26 offset:30720
	ds_read_b64 v[32:33], v27 offset:30720
	;; [unrolled: 1-line block ×4, first 2 shown]
	s_waitcnt lgkmcnt(6)
	v_mfma_f32_16x16x16_bf16 a[4:7], v[94:95], v[36:37], a[4:7]
	v_and_b32_e32 v36, 1, v0
	v_xor_b32_e32 v37, 0x440, v30
	v_cmp_eq_u32_e32 vcc, 0, v36
	s_waitcnt lgkmcnt(5)
	v_mfma_f32_16x16x16_bf16 a[8:11], v[94:95], v[40:41], a[8:11]
	v_cndmask_b32_e32 v30, v37, v30, vcc
	v_lshl_or_b32 v30, v31, 10, v30
	s_waitcnt lgkmcnt(4)
	v_mfma_f32_16x16x16_bf16 a[12:15], v[94:95], v[90:91], a[12:15]
	s_waitcnt vmcnt(0)
	v_perm_b32 v31, v2, v6, s0
	v_perm_b32 v2, v2, v6, s1
	;; [unrolled: 1-line block ×3, first 2 shown]
	v_mfma_f32_16x16x16_bf16 a[0:3], v[96:97], v[34:35], a[0:3]
	v_perm_b32 v34, v10, v14, s0
	ds_write2st64_b32 v30, v31, v34 offset0:128 offset1:160
	v_xor_b32_e32 v31, 8, v30
	v_add_u32_e32 v10, 0x80, v31
	ds_write2st64_b32 v10, v2, v6 offset0:128 offset1:160
	v_xor_b32_e32 v2, 16, v30
	v_perm_b32 v6, v3, v7, s0
	v_perm_b32 v10, v11, v15, s0
	v_mfma_f32_16x16x16_bf16 a[4:7], v[96:97], v[38:39], a[4:7]
	ds_write2st64_b32 v2, v6, v10 offset0:129 offset1:161
	v_xor_b32_e32 v2, 24, v30
	v_perm_b32 v3, v3, v7, s1
	v_mfma_f32_16x16x16_bf16 a[16:19], v[96:97], v[42:43], a[8:11]
	v_perm_b32 v6, v11, v15, s1
	v_add_u32_e32 v2, 0x80, v2
	ds_write2st64_b32 v2, v3, v6 offset0:129 offset1:161
	v_mfma_f32_16x16x16_bf16 a[20:23], v[96:97], v[92:93], a[12:15]
	v_xor_b32_e32 v2, 32, v30
	v_perm_b32 v3, v4, v8, s0
	v_perm_b32 v6, v12, v16, s0
	ds_write2st64_b32 v2, v3, v6 offset0:130 offset1:162
	v_xor_b32_e32 v2, 40, v30
	s_waitcnt lgkmcnt(8)
	v_mfma_f32_16x16x16_bf16 a[12:15], v[98:99], v[20:21], a[0:3]
	v_perm_b32 v3, v4, v8, s1
	v_perm_b32 v4, v12, v16, s1
	v_add_u32_e32 v2, 0x80, v2
	s_waitcnt lgkmcnt(7)
	v_mfma_f32_16x16x16_bf16 a[8:11], v[98:99], v[32:33], a[4:7]
	ds_write2st64_b32 v2, v3, v4 offset0:130 offset1:162
	v_xor_b32_e32 v2, 48, v30
	v_perm_b32 v3, v5, v9, s0
	s_waitcnt lgkmcnt(7)
	v_mfma_f32_16x16x16_bf16 a[4:7], v[98:99], v[100:101], a[16:19]
	v_perm_b32 v4, v13, v17, s0
	ds_write2st64_b32 v2, v3, v4 offset0:131 offset1:163
	v_xor_b32_e32 v2, 56, v30
	s_waitcnt lgkmcnt(7)
	v_mfma_f32_16x16x16_bf16 a[0:3], v[98:99], v[102:103], a[20:23]
	v_or_b32_e32 v20, v18, v45
	v_perm_b32 v3, v5, v9, s1
	v_perm_b32 v4, v13, v17, s1
	v_add_u32_e32 v2, 0x80, v2
	v_cmp_gt_i32_e64 s[0:1], s46, v20
	v_mov_b32_e32 v30, 0
	v_mov_b32_e32 v31, 0
	ds_write2st64_b32 v2, v3, v4 offset0:131 offset1:163
	s_and_saveexec_b64 s[2:3], s[0:1]
	s_cbranch_execz .LBB1_60
; %bb.59:
	v_add_u32_e32 v2, s34, v20
	v_ashrrev_i32_e32 v3, 31, v2
	v_mul_lo_u32 v4, v3, s10
	v_mul_lo_u32 v5, v2, s11
	v_mad_u64_u32 v[2:3], s[4:5], v2, s10, 0
	v_add3_u32 v3, v3, v5, v4
	v_lshl_add_u64 v[2:3], v[2:3], 2, s[12:13]
	global_load_dword v2, v[2:3], off
	s_waitcnt vmcnt(0)
	v_sub_f32_e32 v2, s16, v2
	v_exp_f32_e32 v31, v2
.LBB1_60:
	s_or_b64 exec, exec, s[2:3]
	v_or_b32_e32 v14, 1, v20
	v_cmp_gt_i32_e64 s[4:5], s46, v14
	s_and_saveexec_b64 s[2:3], s[4:5]
	s_cbranch_execz .LBB1_62
; %bb.61:
	v_add_u32_e32 v2, s34, v14
	v_ashrrev_i32_e32 v3, 31, v2
	v_mul_lo_u32 v4, v3, s10
	v_mul_lo_u32 v5, v2, s11
	v_mad_u64_u32 v[2:3], s[6:7], v2, s10, 0
	v_add3_u32 v3, v3, v5, v4
	v_lshl_add_u64 v[2:3], v[2:3], 2, s[12:13]
	global_load_dword v2, v[2:3], off
	s_waitcnt vmcnt(0)
	v_sub_f32_e32 v2, s16, v2
	v_exp_f32_e32 v30, v2
.LBB1_62:
	s_or_b64 exec, exec, s[2:3]
	v_or_b32_e32 v10, 2, v20
	v_cmp_gt_i32_e64 s[2:3], s46, v10
	v_mov_b32_e32 v21, 0
	v_mov_b32_e32 v32, 0
	s_and_saveexec_b64 s[6:7], s[2:3]
	s_cbranch_execz .LBB1_64
; %bb.63:
	v_add_u32_e32 v2, s34, v10
	v_ashrrev_i32_e32 v3, 31, v2
	v_mul_lo_u32 v4, v3, s10
	v_mul_lo_u32 v5, v2, s11
	v_mad_u64_u32 v[2:3], s[18:19], v2, s10, 0
	v_add3_u32 v3, v3, v5, v4
	v_lshl_add_u64 v[2:3], v[2:3], 2, s[12:13]
	global_load_dword v2, v[2:3], off
	s_waitcnt vmcnt(0)
	v_sub_f32_e32 v2, s16, v2
	v_exp_f32_e32 v32, v2
.LBB1_64:
	s_or_b64 exec, exec, s[6:7]
	v_or_b32_e32 v11, 3, v20
	v_cmp_gt_i32_e32 vcc, s46, v11
	s_and_saveexec_b64 s[6:7], vcc
	s_cbranch_execz .LBB1_66
; %bb.65:
	v_add_u32_e32 v2, s34, v11
	v_ashrrev_i32_e32 v3, 31, v2
	v_mul_lo_u32 v4, v3, s10
	v_mul_lo_u32 v5, v2, s11
	v_mad_u64_u32 v[2:3], s[10:11], v2, s10, 0
	v_add3_u32 v3, v3, v5, v4
	v_lshl_add_u64 v[2:3], v[2:3], 2, s[12:13]
	global_load_dword v2, v[2:3], off
	s_waitcnt vmcnt(0)
	v_sub_f32_e32 v2, s16, v2
	v_exp_f32_e32 v21, v2
.LBB1_66:
	s_or_b64 exec, exec, s[6:7]
	s_add_u32 s6, s20, s36
	s_addc_u32 s7, s21, s37
	s_add_u32 s10, s14, s36
	v_ashrrev_i32_e32 v89, 31, v88
	v_accvgpr_read_b32 v2, a12
	s_addc_u32 s11, s15, s37
	v_lshlrev_b64 v[6:7], 1, v[88:89]
	v_accvgpr_read_b32 v3, a13
	v_accvgpr_read_b32 v4, a14
	;; [unrolled: 1-line block ×3, first 2 shown]
	v_lshl_add_u64 v[8:9], s[6:7], 0, v[6:7]
	v_lshl_add_u64 v[6:7], s[10:11], 0, v[6:7]
	v_mov_b32_e32 v15, 0
	v_lshlrev_b32_e32 v12, 8, v20
	v_mov_b32_e32 v13, 0
	s_and_saveexec_b64 s[6:7], s[0:1]
	s_cbranch_execz .LBB1_68
; %bb.67:
	v_mov_b32_e32 v13, 0
	v_lshl_add_u64 v[16:17], v[8:9], 0, v[12:13]
	global_load_ushort v33, v[16:17], off
	v_lshl_add_u64 v[16:17], v[6:7], 0, v[12:13]
	s_waitcnt vmcnt(0)
	v_lshlrev_b32_e32 v13, 16, v33
	v_sub_f32_e32 v2, v13, v2
	global_store_short_d16_hi v[16:17], v2, off
	v_mul_f32_e32 v2, v31, v2
	v_lshrrev_b32_e32 v13, 16, v2
.LBB1_68:
	s_or_b64 exec, exec, s[6:7]
	v_lshlrev_b32_e32 v14, 8, v14
	s_and_saveexec_b64 s[6:7], s[4:5]
	s_cbranch_execz .LBB1_70
; %bb.69:
	v_mov_b32_e32 v15, 0
	v_lshl_add_u64 v[16:17], v[8:9], 0, v[14:15]
	global_load_ushort v2, v[16:17], off
	v_lshl_add_u64 v[16:17], v[6:7], 0, v[14:15]
	s_waitcnt vmcnt(0)
	v_lshlrev_b32_e32 v2, 16, v2
	v_sub_f32_e32 v2, v2, v3
	global_store_short_d16_hi v[16:17], v2, off
	v_mul_f32_e32 v2, v30, v2
	v_lshrrev_b32_e32 v15, 16, v2
.LBB1_70:
	s_or_b64 exec, exec, s[6:7]
	v_mov_b32_e32 v34, 0
	v_lshlrev_b32_e32 v16, 8, v10
	v_mov_b32_e32 v17, 0
	s_and_saveexec_b64 s[6:7], s[2:3]
	s_cbranch_execz .LBB1_72
; %bb.71:
	v_mov_b32_e32 v17, 0
	v_lshl_add_u64 v[2:3], v[8:9], 0, v[16:17]
	global_load_ushort v10, v[2:3], off
	v_lshl_add_u64 v[2:3], v[6:7], 0, v[16:17]
	s_waitcnt vmcnt(0)
	v_lshlrev_b32_e32 v10, 16, v10
	v_sub_f32_e32 v4, v10, v4
	global_store_short_d16_hi v[2:3], v4, off
	v_mul_f32_e32 v2, v32, v4
	v_lshrrev_b32_e32 v17, 16, v2
.LBB1_72:
	s_or_b64 exec, exec, s[6:7]
	v_lshlrev_b32_e32 v10, 8, v11
	s_and_saveexec_b64 s[6:7], vcc
	s_cbranch_execz .LBB1_74
; %bb.73:
	v_mov_b32_e32 v11, 0
	v_lshl_add_u64 v[2:3], v[8:9], 0, v[10:11]
	global_load_ushort v4, v[2:3], off
	v_lshl_add_u64 v[2:3], v[6:7], 0, v[10:11]
	s_waitcnt vmcnt(0)
	v_lshlrev_b32_e32 v4, 16, v4
	v_sub_f32_e32 v4, v4, v5
	global_store_short_d16_hi v[2:3], v4, off
	v_mul_f32_e32 v2, v21, v4
	v_lshrrev_b32_e32 v34, 16, v2
.LBB1_74:
	s_or_b64 exec, exec, s[6:7]
	v_lshlrev_b32_e32 v33, 6, v20
	v_accvgpr_read_b32 v2, a8
	s_mov_b32 s6, 0x5040100
	v_or_b32_e32 v11, v33, v25
	v_accvgpr_read_b32 v3, a9
	v_accvgpr_read_b32 v4, a10
	;; [unrolled: 1-line block ×3, first 2 shown]
	v_perm_b32 v35, v34, v17, s6
	v_perm_b32 v34, v15, v13, s6
	v_lshlrev_b32_e32 v11, 1, v11
	v_mov_b32_e32 v15, 0
	v_mov_b32_e32 v13, 0
	ds_write_b64 v11, v[34:35] offset:24576
	s_and_saveexec_b64 s[6:7], s[0:1]
	s_cbranch_execz .LBB1_76
; %bb.75:
	v_mov_b32_e32 v13, 0
	v_lshl_add_u64 v[34:35], v[8:9], 0, v[12:13]
	global_load_ushort v11, v[34:35], off offset:32
	v_lshl_add_u64 v[34:35], v[6:7], 0, v[12:13]
	s_waitcnt vmcnt(0)
	v_lshlrev_b32_e32 v11, 16, v11
	v_sub_f32_e32 v2, v11, v2
	global_store_short_d16_hi v[34:35], v2, off offset:32
	v_mul_f32_e32 v2, v31, v2
	v_lshrrev_b32_e32 v13, 16, v2
.LBB1_76:
	s_or_b64 exec, exec, s[6:7]
	s_and_saveexec_b64 s[6:7], s[4:5]
	s_cbranch_execz .LBB1_78
; %bb.77:
	v_mov_b32_e32 v15, 0
	v_lshl_add_u64 v[34:35], v[8:9], 0, v[14:15]
	global_load_ushort v2, v[34:35], off offset:32
	v_lshl_add_u64 v[34:35], v[6:7], 0, v[14:15]
	s_waitcnt vmcnt(0)
	v_lshlrev_b32_e32 v2, 16, v2
	v_sub_f32_e32 v2, v2, v3
	global_store_short_d16_hi v[34:35], v2, off offset:32
	v_mul_f32_e32 v2, v30, v2
	v_lshrrev_b32_e32 v15, 16, v2
.LBB1_78:
	s_or_b64 exec, exec, s[6:7]
	v_mov_b32_e32 v11, 0
	v_mov_b32_e32 v17, 0
	s_and_saveexec_b64 s[6:7], s[2:3]
	s_cbranch_execz .LBB1_80
; %bb.79:
	v_mov_b32_e32 v17, 0
	v_lshl_add_u64 v[2:3], v[8:9], 0, v[16:17]
	global_load_ushort v25, v[2:3], off offset:32
	v_lshl_add_u64 v[2:3], v[6:7], 0, v[16:17]
	s_waitcnt vmcnt(0)
	v_lshlrev_b32_e32 v17, 16, v25
	v_sub_f32_e32 v4, v17, v4
	global_store_short_d16_hi v[2:3], v4, off offset:32
	v_mul_f32_e32 v2, v32, v4
	v_lshrrev_b32_e32 v17, 16, v2
.LBB1_80:
	s_or_b64 exec, exec, s[6:7]
	s_and_saveexec_b64 s[6:7], vcc
	s_cbranch_execz .LBB1_82
; %bb.81:
	v_mov_b32_e32 v11, 0
	v_lshl_add_u64 v[2:3], v[8:9], 0, v[10:11]
	global_load_ushort v4, v[2:3], off offset:32
	v_lshl_add_u64 v[2:3], v[6:7], 0, v[10:11]
	s_waitcnt vmcnt(0)
	v_lshlrev_b32_e32 v4, 16, v4
	v_sub_f32_e32 v4, v4, v5
	global_store_short_d16_hi v[2:3], v4, off offset:32
	v_mul_f32_e32 v2, v21, v4
	v_lshrrev_b32_e32 v11, 16, v2
.LBB1_82:
	s_or_b64 exec, exec, s[6:7]
	s_mov_b32 s6, 0x5040100
	v_accvgpr_read_b32 v2, a4
	v_perm_b32 v35, v11, v17, s6
	v_or_b32_e32 v11, v33, v23
	v_accvgpr_read_b32 v3, a5
	v_accvgpr_read_b32 v4, a6
	;; [unrolled: 1-line block ×3, first 2 shown]
	v_perm_b32 v34, v15, v13, s6
	v_lshlrev_b32_e32 v11, 1, v11
	v_mov_b32_e32 v15, 0
	v_mov_b32_e32 v13, 0
	ds_write_b64 v11, v[34:35] offset:24576
	s_and_saveexec_b64 s[6:7], s[0:1]
	s_cbranch_execz .LBB1_84
; %bb.83:
	v_mov_b32_e32 v13, 0
	v_lshl_add_u64 v[34:35], v[8:9], 0, v[12:13]
	global_load_ushort v11, v[34:35], off offset:64
	v_lshl_add_u64 v[34:35], v[6:7], 0, v[12:13]
	s_waitcnt vmcnt(0)
	v_lshlrev_b32_e32 v11, 16, v11
	v_sub_f32_e32 v2, v11, v2
	global_store_short_d16_hi v[34:35], v2, off offset:64
	v_mul_f32_e32 v2, v31, v2
	v_lshrrev_b32_e32 v13, 16, v2
.LBB1_84:
	s_or_b64 exec, exec, s[6:7]
	s_and_saveexec_b64 s[6:7], s[4:5]
	s_cbranch_execz .LBB1_86
; %bb.85:
	v_mov_b32_e32 v15, 0
	v_lshl_add_u64 v[34:35], v[8:9], 0, v[14:15]
	global_load_ushort v2, v[34:35], off offset:64
	v_lshl_add_u64 v[34:35], v[6:7], 0, v[14:15]
	s_waitcnt vmcnt(0)
	v_lshlrev_b32_e32 v2, 16, v2
	v_sub_f32_e32 v2, v2, v3
	global_store_short_d16_hi v[34:35], v2, off offset:64
	v_mul_f32_e32 v2, v30, v2
	v_lshrrev_b32_e32 v15, 16, v2
.LBB1_86:
	s_or_b64 exec, exec, s[6:7]
	v_mov_b32_e32 v11, 0
	v_mov_b32_e32 v17, 0
	s_and_saveexec_b64 s[6:7], s[2:3]
	s_cbranch_execz .LBB1_88
; %bb.87:
	v_mov_b32_e32 v17, 0
	v_lshl_add_u64 v[2:3], v[8:9], 0, v[16:17]
	global_load_ushort v23, v[2:3], off offset:64
	v_lshl_add_u64 v[2:3], v[6:7], 0, v[16:17]
	s_waitcnt vmcnt(0)
	v_lshlrev_b32_e32 v17, 16, v23
	v_sub_f32_e32 v4, v17, v4
	global_store_short_d16_hi v[2:3], v4, off offset:64
	v_mul_f32_e32 v2, v32, v4
	v_lshrrev_b32_e32 v17, 16, v2
.LBB1_88:
	s_or_b64 exec, exec, s[6:7]
	s_and_saveexec_b64 s[6:7], vcc
	s_cbranch_execz .LBB1_90
; %bb.89:
	v_mov_b32_e32 v11, 0
	v_lshl_add_u64 v[2:3], v[8:9], 0, v[10:11]
	global_load_ushort v4, v[2:3], off offset:64
	v_lshl_add_u64 v[2:3], v[6:7], 0, v[10:11]
	s_waitcnt vmcnt(0)
	v_lshlrev_b32_e32 v4, 16, v4
	v_sub_f32_e32 v4, v4, v5
	global_store_short_d16_hi v[2:3], v4, off offset:64
	v_mul_f32_e32 v2, v21, v4
	v_lshrrev_b32_e32 v11, 16, v2
.LBB1_90:
	s_or_b64 exec, exec, s[6:7]
	s_mov_b32 s6, 0x5040100
	v_accvgpr_read_b32 v5, a3
	v_perm_b32 v35, v11, v17, s6
	v_or_b32_e32 v11, v33, v22
	v_accvgpr_read_b32 v4, a2
	v_accvgpr_read_b32 v3, a1
	;; [unrolled: 1-line block ×3, first 2 shown]
	v_perm_b32 v34, v15, v13, s6
	v_lshlrev_b32_e32 v11, 1, v11
	v_mov_b32_e32 v15, 0
	v_mov_b32_e32 v13, 0
	ds_write_b64 v11, v[34:35] offset:24576
	s_and_saveexec_b64 s[6:7], s[0:1]
	s_cbranch_execz .LBB1_92
; %bb.91:
	v_mov_b32_e32 v13, 0
	v_lshl_add_u64 v[22:23], v[8:9], 0, v[12:13]
	global_load_ushort v11, v[22:23], off offset:96
	v_lshl_add_u64 v[12:13], v[6:7], 0, v[12:13]
	s_waitcnt vmcnt(0)
	v_lshlrev_b32_e32 v11, 16, v11
	v_sub_f32_e32 v2, v11, v2
	global_store_short_d16_hi v[12:13], v2, off offset:96
	v_mul_f32_e32 v2, v31, v2
	v_lshrrev_b32_e32 v13, 16, v2
.LBB1_92:
	s_or_b64 exec, exec, s[6:7]
	s_and_saveexec_b64 s[0:1], s[4:5]
	s_cbranch_execz .LBB1_94
; %bb.93:
	v_mov_b32_e32 v15, 0
	v_lshl_add_u64 v[22:23], v[8:9], 0, v[14:15]
	global_load_ushort v2, v[22:23], off offset:96
	v_lshl_add_u64 v[14:15], v[6:7], 0, v[14:15]
	s_waitcnt vmcnt(0)
	v_lshlrev_b32_e32 v2, 16, v2
	v_sub_f32_e32 v2, v2, v3
	global_store_short_d16_hi v[14:15], v2, off offset:96
	v_mul_f32_e32 v2, v30, v2
	v_lshrrev_b32_e32 v15, 16, v2
.LBB1_94:
	s_or_b64 exec, exec, s[0:1]
	v_mov_b32_e32 v11, 0
	v_mov_b32_e32 v14, 0
	s_and_saveexec_b64 s[0:1], s[2:3]
	s_cbranch_execz .LBB1_96
; %bb.95:
	v_mov_b32_e32 v17, 0
	v_lshl_add_u64 v[2:3], v[8:9], 0, v[16:17]
	global_load_ushort v12, v[2:3], off offset:96
	v_lshl_add_u64 v[2:3], v[6:7], 0, v[16:17]
	s_waitcnt vmcnt(0)
	v_lshlrev_b32_e32 v12, 16, v12
	v_sub_f32_e32 v4, v12, v4
	global_store_short_d16_hi v[2:3], v4, off offset:96
	v_mul_f32_e32 v2, v32, v4
	v_lshrrev_b32_e32 v14, 16, v2
.LBB1_96:
	s_or_b64 exec, exec, s[0:1]
	v_or_b32_e32 v12, 0x6000, v26
	v_or_b32_e32 v2, 0x6000, v27
	v_or_b32_e32 v3, 0x6000, v28
	v_or_b32_e32 v4, 0x6000, v29
	s_and_saveexec_b64 s[0:1], vcc
	s_cbranch_execz .LBB1_98
; %bb.97:
	v_mov_b32_e32 v11, 0
	v_lshl_add_u64 v[8:9], v[8:9], 0, v[10:11]
	global_load_ushort v8, v[8:9], off offset:96
	v_lshl_add_u64 v[6:7], v[6:7], 0, v[10:11]
	s_waitcnt vmcnt(0)
	v_lshlrev_b32_e32 v8, 16, v8
	v_sub_f32_e32 v5, v8, v5
	global_store_short_d16_hi v[6:7], v5, off offset:96
	v_mul_f32_e32 v5, v21, v5
	v_lshrrev_b32_e32 v11, 16, v5
.LBB1_98:
	s_or_b64 exec, exec, s[0:1]
	s_mov_b32 s0, 0x5040100
	v_or_b32_e32 v5, v33, v19
	v_perm_b32 v7, v11, v14, s0
	v_perm_b32 v6, v15, v13, s0
	v_lshlrev_b32_e32 v5, 1, v5
	ds_write_b64 v5, v[6:7] offset:24576
	v_and_b32_e32 v5, 7, v0
	v_and_b32_e32 v10, 8, v0
	v_lshlrev_b32_e32 v13, 3, v5
	v_lshlrev_b32_e32 v19, 7, v5
	v_lshrrev_b32_e32 v5, 1, v0
	v_and_b32_e32 v5, 24, v5
	v_mov_b32_e32 v11, 0x400
	v_cmp_eq_u32_e32 vcc, 0, v10
	s_movk_i32 s2, 0x100
	v_lshlrev_b32_e32 v25, 3, v1
	v_cndmask_b32_e64 v21, v11, 64, vcc
	v_mov_b32_e32 v10, 0xa000
	v_mov_b32_e32 v11, 0x8000
	v_cmp_gt_u32_e64 s[0:1], s2, v0
	v_xor_b32_e32 v42, v25, v5
	v_or_b32_e32 v14, 32, v5
	v_cndmask_b32_e64 v0, v10, v11, s[0:1]
	v_or_b32_e32 v10, 0x440, v42
	v_cndmask_b32_e32 v10, v10, v42, vcc
	v_or_b32_e32 v10, v10, v24
	v_xor_b32_e32 v47, v10, v13
	v_xor_b32_e32 v14, v25, v14
	v_add3_u32 v10, v0, v47, v19
	v_or_b32_e32 v15, 0x440, v14
	s_waitcnt lgkmcnt(0)
	s_barrier
	ds_read_b64 v[10:11], v10
	v_cndmask_b32_e32 v14, v15, v14, vcc
	v_or_b32_e32 v14, v14, v24
	v_xor_b32_e32 v90, v14, v13
	v_add3_u32 v14, v0, v90, v19
	ds_read_b64 v[22:23], v14
	ds_read2_b64 v[6:9], v12 offset1:16
	ds_read2_b64 v[14:17], v12 offset0:32 offset1:48
	v_or_b32_e32 v5, 0x60, v5
	v_xor_b32_e32 v5, v25, v5
	s_waitcnt lgkmcnt(1)
	v_mfma_f32_16x16x16_bf16 a[0:3], v[10:11], v[6:7], 0
	ds_read2st64_b64 v[26:29], v12 offset0:4 offset1:8
	ds_read2st64_b64 v[30:33], v2 offset0:4 offset1:8
	;; [unrolled: 1-line block ×4, first 2 shown]
	v_mfma_f32_16x16x16_bf16 a[4:7], v[10:11], v[8:9], 0
	s_mul_i32 s0, s17, s29
	s_mul_hi_i32 s1, s17, s29
	s_add_u32 s0, s0, s33
	s_waitcnt lgkmcnt(4)
	v_mfma_f32_16x16x16_bf16 a[8:11], v[10:11], v[14:15], 0
	s_addc_u32 s1, s1, s48
	s_lshl_b64 s[0:1], s[0:1], 9
	s_add_u32 s0, s8, s0
	v_mfma_f32_16x16x16_bf16 a[12:15], v[10:11], v[16:17], 0
	v_or3_b32 v10, v24, v21, v42
	v_xor_b32_e32 v21, 0x440, v5
	v_cndmask_b32_e32 v5, v21, v5, vcc
	v_xor_b32_e32 v10, v10, v13
	v_or_b32_e32 v5, v5, v24
	v_or_b32_e32 v91, v10, v19
	v_xor_b32_e32 v13, v5, v13
	v_or_b32_e32 v10, v0, v91
	v_add3_u32 v0, v0, v13, v19
	s_waitcnt lgkmcnt(3)
	v_mfma_f32_16x16x16_bf16 a[0:3], v[22:23], v[26:27], a[0:3]
	ds_read_b64 v[10:11], v10
	s_addc_u32 s1, s9, s1
	ds_read_b64 v[24:25], v12 offset:6144
	s_waitcnt lgkmcnt(4)
	v_mfma_f32_16x16x16_bf16 a[4:7], v[22:23], v[30:31], a[4:7]
	s_waitcnt lgkmcnt(3)
	v_mfma_f32_16x16x16_bf16 a[8:11], v[22:23], v[34:35], a[8:11]
	s_waitcnt lgkmcnt(2)
	v_mfma_f32_16x16x16_bf16 a[12:15], v[22:23], v[38:39], a[12:15]
	ds_read_b64 v[22:23], v0
	v_lshlrev_b32_e32 v0, 2, v20
	ds_read_b64 v[42:43], v2 offset:6144
	ds_read_b64 v[44:45], v3 offset:6144
	ds_read_b64 v[88:89], v4 offset:6144
	global_load_dwordx4 v[2:5], v0, s[0:1]
	v_add_u32_e32 v0, v47, v19
	ds_read_b64 v[20:21], v0 offset:40960
	v_lshlrev_b32_e32 v0, 6, v1
	v_lshlrev_b32_e32 v1, 2, v18
	s_waitcnt lgkmcnt(6)
	v_mfma_f32_16x16x16_bf16 a[0:3], v[10:11], v[28:29], a[0:3]
	s_waitcnt vmcnt(0)
	v_exp_f32_e32 v2, v2
	v_mfma_f32_16x16x16_bf16 a[4:7], v[10:11], v[32:33], a[4:7]
	v_exp_f32_e32 v3, v3
	v_exp_f32_e32 v4, v4
	v_exp_f32_e32 v5, v5
	v_mfma_f32_16x16x16_bf16 a[8:11], v[10:11], v[36:37], a[8:11]
	v_mfma_f32_16x16x16_bf16 a[12:15], v[10:11], v[40:41], a[12:15]
	v_or3_b32 v10, v0, v1, s2
	v_add_u32_e32 v0, v90, v19
	v_add_u32_e32 v11, v13, v19
	ds_read_b64 v[0:1], v0 offset:40960
	ds_read_b64 v[18:19], v11 offset:40960
	global_load_dwordx4 v[10:13], v10, s[0:1]
	s_waitcnt lgkmcnt(6)
	v_mfma_f32_16x16x16_bf16 a[0:3], v[22:23], v[24:25], a[0:3]
	s_waitcnt lgkmcnt(2)
	v_mfma_f32_16x16x16_bf16 a[16:19], v[20:21], v[6:7], 0
	v_exp_f32_e32 v6, s16
	s_nop 0
	v_pk_mul_f32 v[2:3], v[6:7], v[2:3] op_sel_hi:[0,1]
	v_mfma_f32_16x16x16_bf16 a[20:23], v[20:21], v[8:9], 0
	s_nop 0
	v_accvgpr_read_b32 v9, a3
	v_accvgpr_read_b32 v8, a2
	v_pk_mul_f32 v[4:5], v[6:7], v[4:5] op_sel_hi:[0,1]
	v_mfma_f32_16x16x16_bf16 a[24:27], v[20:21], v[14:15], 0
	v_pk_fma_f32 v[86:87], v[86:87], v[4:5], v[8:9]
	s_waitcnt vmcnt(0)
	v_exp_f32_e32 v8, v10
	v_mfma_f32_16x16x16_bf16 a[28:31], v[20:21], v[16:17], 0
	ds_read_b64 v[20:21], v91 offset:40960
	v_mfma_f32_16x16x16_bf16 a[4:7], v[22:23], v[42:43], a[4:7]
	v_mfma_f32_16x16x16_bf16 a[8:11], v[22:23], v[44:45], a[8:11]
	s_waitcnt lgkmcnt(2)
	v_mfma_f32_16x16x16_bf16 a[16:19], v[0:1], v[26:27], a[16:19]
	v_accvgpr_read_b32 v27, a1
	v_accvgpr_read_b32 v26, a0
	s_nop 1
	v_accvgpr_read_b32 v15, a7
	v_mfma_f32_16x16x16_bf16 a[12:15], v[22:23], v[88:89], a[12:15]
	v_accvgpr_read_b32 v14, a6
	v_accvgpr_read_b32 v17, a11
	;; [unrolled: 1-line block ×3, first 2 shown]
	v_mfma_f32_16x16x16_bf16 a[20:23], v[0:1], v[30:31], a[20:23]
	v_pk_fma_f32 v[82:83], v[82:83], v[2:3], v[26:27]
	v_pk_fma_f32 v[78:79], v[4:5], v[78:79], v[14:15]
	;; [unrolled: 1-line block ×3, first 2 shown]
	v_mfma_f32_16x16x16_bf16 a[24:27], v[0:1], v[34:35], a[24:27]
	v_accvgpr_read_b32 v23, a15
	v_accvgpr_read_b32 v22, a14
	v_pk_fma_f32 v[62:63], v[4:5], v[62:63], v[22:23]
	v_mfma_f32_16x16x16_bf16 a[0:3], v[0:1], v[38:39], a[28:31]
	v_accvgpr_read_b32 v0, a4
	v_accvgpr_read_b32 v1, a5
	v_pk_fma_f32 v[74:75], v[2:3], v[74:75], v[0:1]
	v_accvgpr_read_b32 v0, a8
	v_accvgpr_read_b32 v1, a9
	s_waitcnt lgkmcnt(0)
	v_mfma_f32_16x16x16_bf16 a[4:7], v[20:21], v[28:29], a[16:19]
	v_pk_fma_f32 v[66:67], v[2:3], v[66:67], v[0:1]
	v_accvgpr_read_b32 v0, a12
	v_accvgpr_read_b32 v1, a13
	v_mfma_f32_16x16x16_bf16 a[8:11], v[20:21], v[32:33], a[20:23]
	v_pk_fma_f32 v[58:59], v[2:3], v[58:59], v[0:1]
	v_mov_b32_e32 v0, v11
	v_mov_b32_e32 v1, v12
	v_mfma_f32_16x16x16_bf16 a[12:15], v[20:21], v[36:37], a[24:27]
	v_mov_b32_e32 v2, v13
	v_exp_f32_e32 v9, v0
	v_exp_f32_e32 v0, v1
	;; [unrolled: 1-line block ×3, first 2 shown]
	v_mfma_f32_16x16x16_bf16 a[4:7], v[18:19], v[24:25], a[4:7]
	v_pk_mul_f32 v[2:3], v[6:7], v[8:9] op_sel_hi:[0,1]
	v_pk_mul_f32 v[0:1], v[6:7], v[0:1] op_sel_hi:[0,1]
	v_mfma_f32_16x16x16_bf16 a[0:3], v[20:21], v[40:41], a[0:3]
	v_mfma_f32_16x16x16_bf16 a[8:11], v[18:19], v[42:43], a[8:11]
	s_nop 2
	v_accvgpr_read_b32 v5, a7
	v_accvgpr_read_b32 v4, a6
	v_pk_fma_f32 v[84:85], v[84:85], v[0:1], v[4:5]
	v_mfma_f32_16x16x16_bf16 a[12:15], v[18:19], v[44:45], a[12:15]
	v_accvgpr_read_b32 v13, a5
	v_accvgpr_read_b32 v12, a4
	v_pk_fma_f32 v[80:81], v[80:81], v[2:3], v[12:13]
	v_mfma_f32_16x16x16_bf16 a[0:3], v[18:19], v[88:89], a[0:3]
	v_accvgpr_read_b32 v4, a8
	v_accvgpr_read_b32 v5, a9
	v_pk_fma_f32 v[72:73], v[2:3], v[72:73], v[4:5]
	v_accvgpr_read_b32 v4, a12
	v_accvgpr_read_b32 v5, a13
	v_pk_fma_f32 v[64:65], v[2:3], v[64:65], v[4:5]
	v_accvgpr_read_b32 v7, a11
	v_accvgpr_read_b32 v5, a1
	;; [unrolled: 1-line block ×8, first 2 shown]
	v_pk_fma_f32 v[76:77], v[0:1], v[76:77], v[6:7]
	v_pk_fma_f32 v[68:69], v[0:1], v[68:69], v[8:9]
	;; [unrolled: 1-line block ×4, first 2 shown]
.LBB1_99:
	s_add_u32 s0, s24, s26
	s_addc_u32 s1, s25, s27
	v_lshl_add_u64 v[0:1], v[48:49], 1, s[0:1]
	v_mov_b32_e32 v47, 0
	s_mov_b32 s2, 0x7060302
	v_lshl_add_u64 v[0:1], v[0:1], 0, v[46:47]
	v_perm_b32 v3, v87, v86, s2
	v_perm_b32 v2, v83, v82, s2
	global_store_dwordx2 v[0:1], v[2:3], off
	v_perm_b32 v3, v85, v84, s2
	v_perm_b32 v2, v81, v80, s2
	global_store_dwordx2 v[0:1], v[2:3], off offset:128
	v_lshl_add_u64 v[0:1], v[50:51], 1, s[0:1]
	v_lshl_add_u64 v[0:1], v[0:1], 0, v[46:47]
	v_perm_b32 v3, v79, v78, s2
	v_perm_b32 v2, v75, v74, s2
	global_store_dwordx2 v[0:1], v[2:3], off
	v_perm_b32 v3, v77, v76, s2
	v_perm_b32 v2, v73, v72, s2
	global_store_dwordx2 v[0:1], v[2:3], off offset:128
	v_lshl_add_u64 v[0:1], v[52:53], 1, s[0:1]
	;; [unrolled: 8-line block ×3, first 2 shown]
	v_lshl_add_u64 v[0:1], v[0:1], 0, v[46:47]
	v_perm_b32 v3, v63, v62, s2
	v_perm_b32 v2, v59, v58, s2
	global_store_dwordx2 v[0:1], v[2:3], off
	v_perm_b32 v3, v61, v60, s2
	v_perm_b32 v2, v57, v56, s2
	global_store_dwordx2 v[0:1], v[2:3], off offset:128
	s_endpgm
	.section	.rodata,"a",@progbits
	.p2align	6, 0x0
	.amdhsa_kernel _ZN12_GLOBAL__N_139chunk_gated_delta_rule_fwd_h_hip_kernelILi64ELb1ELb1ELb1ELb1ELb1ELb1ELb1ELb1EEEvPK12hip_bfloat16S3_S3_PKfS5_PKvPS1_S8_PvPKiSB_iiiiilll
		.amdhsa_group_segment_fixed_size 65536
		.amdhsa_private_segment_fixed_size 0
		.amdhsa_kernarg_size 136
		.amdhsa_user_sgpr_count 2
		.amdhsa_user_sgpr_dispatch_ptr 0
		.amdhsa_user_sgpr_queue_ptr 0
		.amdhsa_user_sgpr_kernarg_segment_ptr 1
		.amdhsa_user_sgpr_dispatch_id 0
		.amdhsa_user_sgpr_kernarg_preload_length 0
		.amdhsa_user_sgpr_kernarg_preload_offset 0
		.amdhsa_user_sgpr_private_segment_size 0
		.amdhsa_uses_dynamic_stack 0
		.amdhsa_enable_private_segment 0
		.amdhsa_system_sgpr_workgroup_id_x 1
		.amdhsa_system_sgpr_workgroup_id_y 1
		.amdhsa_system_sgpr_workgroup_id_z 0
		.amdhsa_system_sgpr_workgroup_info 0
		.amdhsa_system_vgpr_workitem_id 0
		.amdhsa_next_free_vgpr 240
		.amdhsa_next_free_sgpr 69
		.amdhsa_accum_offset 200
		.amdhsa_reserve_vcc 1
		.amdhsa_float_round_mode_32 0
		.amdhsa_float_round_mode_16_64 0
		.amdhsa_float_denorm_mode_32 3
		.amdhsa_float_denorm_mode_16_64 3
		.amdhsa_dx10_clamp 1
		.amdhsa_ieee_mode 1
		.amdhsa_fp16_overflow 0
		.amdhsa_tg_split 0
		.amdhsa_exception_fp_ieee_invalid_op 0
		.amdhsa_exception_fp_denorm_src 0
		.amdhsa_exception_fp_ieee_div_zero 0
		.amdhsa_exception_fp_ieee_overflow 0
		.amdhsa_exception_fp_ieee_underflow 0
		.amdhsa_exception_fp_ieee_inexact 0
		.amdhsa_exception_int_div_zero 0
	.end_amdhsa_kernel
	.section	.text._ZN12_GLOBAL__N_139chunk_gated_delta_rule_fwd_h_hip_kernelILi64ELb1ELb1ELb1ELb1ELb1ELb1ELb1ELb1EEEvPK12hip_bfloat16S3_S3_PKfS5_PKvPS1_S8_PvPKiSB_iiiiilll,"axG",@progbits,_ZN12_GLOBAL__N_139chunk_gated_delta_rule_fwd_h_hip_kernelILi64ELb1ELb1ELb1ELb1ELb1ELb1ELb1ELb1EEEvPK12hip_bfloat16S3_S3_PKfS5_PKvPS1_S8_PvPKiSB_iiiiilll,comdat
.Lfunc_end1:
	.size	_ZN12_GLOBAL__N_139chunk_gated_delta_rule_fwd_h_hip_kernelILi64ELb1ELb1ELb1ELb1ELb1ELb1ELb1ELb1EEEvPK12hip_bfloat16S3_S3_PKfS5_PKvPS1_S8_PvPKiSB_iiiiilll, .Lfunc_end1-_ZN12_GLOBAL__N_139chunk_gated_delta_rule_fwd_h_hip_kernelILi64ELb1ELb1ELb1ELb1ELb1ELb1ELb1ELb1EEEvPK12hip_bfloat16S3_S3_PKfS5_PKvPS1_S8_PvPKiSB_iiiiilll
                                        ; -- End function
	.section	.AMDGPU.csdata,"",@progbits
; Kernel info:
; codeLenInByte = 13000
; NumSgprs: 75
; NumVgprs: 200
; NumAgprs: 40
; TotalNumVgprs: 240
; ScratchSize: 0
; MemoryBound: 0
; FloatMode: 240
; IeeeMode: 1
; LDSByteSize: 65536 bytes/workgroup (compile time only)
; SGPRBlocks: 9
; VGPRBlocks: 29
; NumSGPRsForWavesPerEU: 75
; NumVGPRsForWavesPerEU: 240
; AccumOffset: 200
; Occupancy: 1
; WaveLimiterHint : 1
; COMPUTE_PGM_RSRC2:SCRATCH_EN: 0
; COMPUTE_PGM_RSRC2:USER_SGPR: 2
; COMPUTE_PGM_RSRC2:TRAP_HANDLER: 0
; COMPUTE_PGM_RSRC2:TGID_X_EN: 1
; COMPUTE_PGM_RSRC2:TGID_Y_EN: 1
; COMPUTE_PGM_RSRC2:TGID_Z_EN: 0
; COMPUTE_PGM_RSRC2:TIDIG_COMP_CNT: 0
; COMPUTE_PGM_RSRC3_GFX90A:ACCUM_OFFSET: 49
; COMPUTE_PGM_RSRC3_GFX90A:TG_SPLIT: 0
	.section	.text._ZN12_GLOBAL__N_139chunk_gated_delta_rule_fwd_h_hip_kernelILi64ELb1ELb1ELb0ELb1ELb1ELb1ELb1ELb1EEEvPK12hip_bfloat16S3_S3_PKfS5_PKvPS1_S8_PvPKiSB_iiiiilll,"axG",@progbits,_ZN12_GLOBAL__N_139chunk_gated_delta_rule_fwd_h_hip_kernelILi64ELb1ELb1ELb0ELb1ELb1ELb1ELb1ELb1EEEvPK12hip_bfloat16S3_S3_PKfS5_PKvPS1_S8_PvPKiSB_iiiiilll,comdat
	.globl	_ZN12_GLOBAL__N_139chunk_gated_delta_rule_fwd_h_hip_kernelILi64ELb1ELb1ELb0ELb1ELb1ELb1ELb1ELb1EEEvPK12hip_bfloat16S3_S3_PKfS5_PKvPS1_S8_PvPKiSB_iiiiilll ; -- Begin function _ZN12_GLOBAL__N_139chunk_gated_delta_rule_fwd_h_hip_kernelILi64ELb1ELb1ELb0ELb1ELb1ELb1ELb1ELb1EEEvPK12hip_bfloat16S3_S3_PKfS5_PKvPS1_S8_PvPKiSB_iiiiilll
	.p2align	8
	.type	_ZN12_GLOBAL__N_139chunk_gated_delta_rule_fwd_h_hip_kernelILi64ELb1ELb1ELb0ELb1ELb1ELb1ELb1ELb1EEEvPK12hip_bfloat16S3_S3_PKfS5_PKvPS1_S8_PvPKiSB_iiiiilll,@function
_ZN12_GLOBAL__N_139chunk_gated_delta_rule_fwd_h_hip_kernelILi64ELb1ELb1ELb0ELb1ELb1ELb1ELb1ELb1EEEvPK12hip_bfloat16S3_S3_PKfS5_PKvPS1_S8_PvPKiSB_iiiiilll: ; @_ZN12_GLOBAL__N_139chunk_gated_delta_rule_fwd_h_hip_kernelILi64ELb1ELb1ELb0ELb1ELb1ELb1ELb1ELb1EEEvPK12hip_bfloat16S3_S3_PKfS5_PKvPS1_S8_PvPKiSB_iiiiilll
; %bb.0:
	s_load_dwordx4 s[16:19], s[0:1], 0x5c
	s_load_dwordx4 s[24:27], s[0:1], 0x70
	s_abs_i32 s7, s3
	s_ashr_i32 s6, s3, 31
	s_load_dwordx4 s[12:15], s[0:1], 0x40
	s_load_dwordx2 s[4:5], s[0:1], 0x50
	s_waitcnt lgkmcnt(0)
	s_abs_i32 s10, s17
	v_cvt_f32_u32_e32 v1, s10
	s_sub_i32 s8, 0, s10
	s_ashr_i32 s11, s17, 31
	s_xor_b32 s6, s6, s11
	v_rcp_iflag_f32_e32 v1, v1
	v_and_b32_e32 v97, 15, v0
	v_bfe_u32 v96, v0, 4, 2
	v_mov_b32_e32 v47, 0
	v_mul_f32_e32 v1, 0x4f7ffffe, v1
	v_cvt_u32_f32_e32 v1, v1
	v_lshlrev_b32_e32 v98, 3, v0
	v_readfirstlane_b32 s9, v1
	s_mul_i32 s8, s8, s9
	s_mul_hi_u32 s8, s9, s8
	s_add_i32 s9, s9, s8
	s_mul_hi_u32 s8, s7, s9
	s_mul_i32 s9, s8, s10
	s_sub_i32 s7, s7, s9
	s_add_i32 s20, s8, 1
	s_sub_i32 s9, s7, s10
	s_cmp_ge_u32 s7, s10
	s_cselect_b32 s8, s20, s8
	s_cselect_b32 s7, s9, s7
	s_add_i32 s9, s8, 1
	s_cmp_ge_u32 s7, s10
	s_cselect_b32 s7, s9, s8
	s_xor_b32 s7, s7, s6
	s_sub_i32 s28, s7, s6
	s_mul_i32 s36, s28, s17
	s_ashr_i32 s29, s28, 31
	s_sub_i32 s33, s3, s36
	s_lshl_b64 s[6:7], s[28:29], 2
	s_add_u32 s8, s14, s6
	s_addc_u32 s9, s15, s7
	s_add_u32 s30, s4, s6
	s_addc_u32 s31, s5, s7
	s_abs_i32 s3, s18
	v_cvt_f32_u32_e32 v1, s3
	s_load_dwordx2 s[34:35], s[8:9], 0x0
	s_sub_i32 s5, 0, s3
	s_lshl_b32 s2, s2, 6
	v_rcp_iflag_f32_e32 v1, v1
	s_load_dwordx4 s[20:23], s[0:1], 0x20
	s_load_dwordx2 s[40:41], s[0:1], 0x30
	s_waitcnt lgkmcnt(0)
	s_sub_i32 s54, s35, s34
	s_ashr_i32 s4, s54, 31
	v_mul_f32_e32 v1, 0x4f7ffffe, v1
	v_cvt_u32_f32_e32 v1, v1
	s_lshr_b32 s4, s4, 26
	s_add_i32 s4, s54, s4
	s_ashr_i32 s53, s4, 6
	v_readfirstlane_b32 s6, v1
	s_mul_i32 s5, s5, s6
	s_mul_hi_u32 s5, s6, s5
	s_add_i32 s6, s6, s5
	s_mul_hi_u32 s5, s10, s6
	s_mul_i32 s6, s5, s3
	s_ashr_i32 s4, s18, 31
	s_sub_i32 s6, s10, s6
	s_xor_b32 s4, s11, s4
	s_add_i32 s7, s5, 1
	s_sub_i32 s8, s6, s3
	s_cmp_ge_u32 s6, s3
	s_cselect_b32 s5, s7, s5
	s_cselect_b32 s6, s8, s6
	s_add_i32 s7, s5, 1
	s_cmp_ge_u32 s6, s3
	s_cselect_b32 s3, s7, s5
	s_xor_b32 s3, s3, s4
	s_sub_i32 s3, s3, s4
	s_abs_i32 s4, s3
	v_cvt_f32_u32_e32 v1, s4
	s_sub_i32 s6, 0, s4
	s_abs_i32 s5, s33
	s_xor_b32 s3, s33, s3
	v_rcp_iflag_f32_e32 v2, v1
	s_ashr_i32 s3, s3, 31
	v_or_b32_e32 v88, s2, v97
	v_lshrrev_b32_e32 v1, 6, v0
	v_mul_f32_e32 v2, 0x4f7ffffe, v2
	v_cvt_u32_f32_e32 v2, v2
	v_lshlrev_b32_e32 v48, 7, v88
	v_lshlrev_b32_e32 v45, 4, v1
	v_or_b32_e32 v50, 0x800, v48
	v_readfirstlane_b32 s7, v2
	s_mul_i32 s6, s6, s7
	s_mul_hi_u32 s6, s7, s6
	s_add_i32 s7, s7, s6
	s_mul_hi_u32 s6, s5, s7
	s_mul_i32 s7, s6, s4
	s_sub_i32 s5, s5, s7
	s_add_i32 s7, s6, 1
	s_sub_i32 s8, s5, s4
	s_cmp_ge_u32 s5, s4
	s_cselect_b32 s6, s7, s6
	s_cselect_b32 s5, s8, s5
	s_add_i32 s7, s6, 1
	s_cmp_ge_u32 s5, s4
	s_cselect_b32 s4, s7, s6
	s_xor_b32 s4, s4, s3
	s_sub_i32 s55, s4, s3
	s_ashr_i32 s46, s33, 31
	s_mul_hi_i32 s3, s28, s17
	s_add_u32 s4, s36, s33
	s_addc_u32 s5, s3, s46
	s_lshl_b64 s[14:15], s[4:5], 15
	s_add_u32 s4, s22, s14
	v_lshl_or_b32 v100, v96, 2, v45
	s_addc_u32 s5, s23, s15
	v_ashrrev_i32_e32 v49, 31, v48
	v_ashrrev_i32_e32 v51, 31, v50
	v_lshl_add_u64 v[2:3], v[48:49], 1, s[4:5]
	v_lshlrev_b32_e32 v46, 1, v100
	v_lshl_add_u64 v[6:7], v[50:51], 1, s[4:5]
	v_or_b32_e32 v52, 0x1000, v48
	v_or_b32_e32 v54, 0x1800, v48
	v_lshl_add_u64 v[2:3], v[2:3], 0, v[46:47]
	v_lshl_add_u64 v[6:7], v[6:7], 0, v[46:47]
	v_ashrrev_i32_e32 v53, 31, v52
	v_ashrrev_i32_e32 v55, 31, v54
	global_load_dwordx2 v[4:5], v[2:3], off
	v_lshl_add_u64 v[14:15], v[54:55], 1, s[4:5]
	global_load_dwordx2 v[2:3], v[2:3], off offset:128
	s_nop 0
	global_load_dwordx2 v[8:9], v[6:7], off
	global_load_dwordx2 v[10:11], v[6:7], off offset:128
	v_lshl_add_u64 v[6:7], v[52:53], 1, s[4:5]
	v_lshl_add_u64 v[6:7], v[6:7], 0, v[46:47]
	;; [unrolled: 1-line block ×3, first 2 shown]
	global_load_dwordx2 v[12:13], v[6:7], off
	v_and_b32_e32 v47, 63, v0
	global_load_dwordx2 v[6:7], v[6:7], off offset:128
	s_nop 0
	global_load_dwordx2 v[16:17], v[14:15], off
	global_load_dwordx2 v[18:19], v[14:15], off offset:128
	s_load_dwordx8 s[4:11], s[0:1], 0x0
	s_load_dwordx2 s[22:23], s[0:1], 0x80
	s_load_dword s58, s[30:31], 0x0
	v_lshrrev_b32_e32 v99, 3, v47
	v_or_b32_e32 v101, 64, v100
	s_mul_i32 s47, s28, s25
	s_mul_hi_i32 s56, s33, s16
	s_mul_i32 s57, s33, s16
	s_cmp_lt_i32 s54, 64
	s_mul_hi_u32 s49, s28, s24
	s_mul_i32 s48, s29, s24
	s_mul_i32 s38, s28, s24
	;; [unrolled: 1-line block ×3, first 2 shown]
	s_mul_hi_u32 s51, s33, s26
	s_mul_i32 s52, s46, s26
	s_mul_i32 s36, s33, s26
	s_waitcnt vmcnt(7)
	v_and_b32_e32 v83, 0xffff0000, v4
	v_lshlrev_b32_e32 v82, 16, v4
	v_and_b32_e32 v87, 0xffff0000, v5
	v_lshlrev_b32_e32 v86, 16, v5
	s_waitcnt vmcnt(6)
	v_and_b32_e32 v81, 0xffff0000, v2
	v_lshlrev_b32_e32 v80, 16, v2
	v_and_b32_e32 v85, 0xffff0000, v3
	v_lshlrev_b32_e32 v84, 16, v3
	;; [unrolled: 5-line block ×8, first 2 shown]
	s_cbranch_scc1 .LBB2_18
; %bb.1:
	s_ashr_i32 s1, s34, 31
	s_add_u32 s0, s57, s34
	s_addc_u32 s1, s56, s1
	s_lshl_b64 s[0:1], s[0:1], 8
	v_and_b32_e32 v103, 56, v98
	s_waitcnt lgkmcnt(0)
	s_add_u32 s24, s6, s0
	v_lshl_or_b32 v102, v1, 3, v99
	v_lshlrev_b32_e32 v2, 1, v103
	s_addc_u32 s0, s7, s1
	v_lshl_or_b32 v104, v102, 8, v2
	s_and_b32 s25, s0, 0xffff
	s_mov_b32 s27, 0x20000
	s_movk_i32 s26, 0x4000
	s_movk_i32 s0, 0x80
	v_or_b32_e32 v105, 0x2000, v104
	buffer_load_dwordx4 v[4:7], v104, s[24:27], 0 offen
	buffer_load_dwordx4 v[8:11], v104, s[24:27], s0 offen
	;; [unrolled: 1-line block ×4, first 2 shown]
	v_lshlrev_b32_e32 v3, 3, v102
	v_and_or_b32 v21, v0, 7, v3
	v_and_b32_e32 v3, 0x78, v3
	v_lshlrev_b32_e32 v21, 4, v21
	v_xor_b32_e32 v106, v21, v3
	v_mul_lo_u32 v20, v102, s19
	v_or_b32_e32 v107, 0x1000, v106
	v_xor_b32_e32 v3, 8, v106
	s_cmpk_eq_i32 s19, 0x80
	s_mov_b32 s59, s34
	v_xor_b32_e32 v21, 8, v107
	s_cselect_b64 s[0:1], -1, 0
	s_cmpk_lg_i32 s19, 0x80
	s_waitcnt vmcnt(3)
	ds_write_b64 v106, v[4:5] offset:49152
	ds_write_b64 v3, v[6:7] offset:49152
	s_waitcnt vmcnt(2)
	ds_write_b64 v106, v[8:9] offset:57344
	ds_write_b64 v3, v[10:11] offset:57344
	;; [unrolled: 3-line block ×4, first 2 shown]
	v_lshl_add_u32 v3, v20, 1, v103
	s_cbranch_scc0 .LBB2_3
; %bb.2:
	v_lshlrev_b32_e32 v5, 1, v3
	v_add_lshl_u32 v4, v3, s19, 1
	s_lshl_b32 s26, s19, 7
	v_lshl_or_b32 v2, v102, 9, v2
	s_cbranch_execz .LBB2_4
	s_branch .LBB2_5
.LBB2_3:
                                        ; implicit-def: $vgpr4
                                        ; implicit-def: $vgpr5
                                        ; implicit-def: $sgpr26
	v_lshl_or_b32 v2, v102, 9, v2
.LBB2_4:
	v_or_b32_e32 v4, 0x100, v2
	s_movk_i32 s26, 0x4000
	v_mov_b32_e32 v5, v2
.LBB2_5:
	s_mul_i32 s24, s34, s18
	s_ashr_i32 s60, s55, 31
	s_mul_hi_i32 s3, s34, s18
	s_add_u32 s24, s24, s55
	s_addc_u32 s25, s3, s60
	s_lshl_b64 s[24:25], s[24:25], 8
	s_add_u32 s24, s4, s24
	s_addc_u32 s3, s5, s25
	s_and_b32 s25, s3, 0xffff
	s_movk_i32 s61, 0x80
	buffer_load_dwordx4 v[6:9], v5, s[24:27], 0 offen
	buffer_load_dwordx4 v[10:13], v5, s[24:27], s61 offen
	;; [unrolled: 1-line block ×4, first 2 shown]
	v_and_b32_e32 v5, 6, v0
	v_lshlrev_b32_e32 v4, 7, v100
	v_xor_b32_e32 v27, v102, v5
	v_and_b32_e32 v22, 1, v0
	v_lshl_or_b32 v30, v97, 3, v4
	v_lshlrev_b32_e32 v27, 2, v27
	v_lshlrev_b32_e32 v23, 2, v97
	v_or_b32_e32 v108, 0x4000, v30
	v_or_b32_e32 v109, 0x6000, v30
	v_xor_b32_e32 v30, 0x440, v27
	v_cmp_eq_u32_e32 vcc, 0, v22
	v_or_b32_e32 v25, 16, v97
	v_or_b32_e32 v26, 32, v97
	v_xor_b32_e32 v28, v100, v23
	v_xor_b32_e32 v29, v101, v23
	v_cndmask_b32_e32 v22, v30, v27, vcc
	s_mov_b32 s62, 0x1000504
	v_lshl_or_b32 v31, v25, 3, v4
	v_lshlrev_b32_e32 v25, 8, v25
	v_lshl_or_b32 v32, v26, 3, v4
	v_lshlrev_b32_e32 v28, 1, v28
	v_lshlrev_b32_e32 v29, 1, v29
	v_lshl_or_b32 v5, v5, 10, v22
	s_add_i32 s3, s49, s47
	s_mov_b32 s63, 0x3020706
	v_lshlrev_b32_e32 v24, 8, v97
	v_or_b32_e32 v112, 0x4000, v32
	v_or_b32_e32 v113, 0x6000, v32
	;; [unrolled: 1-line block ×4, first 2 shown]
	v_xor_b32_e32 v22, 8, v5
	v_xor_b32_e32 v25, 24, v5
	;; [unrolled: 1-line block ×4, first 2 shown]
	s_add_i32 s39, s3, s48
	s_add_i32 s3, s51, s50
	v_or_b32_e32 v110, 0x4000, v31
	v_or_b32_e32 v111, 0x6000, v31
	;; [unrolled: 1-line block ×4, first 2 shown]
	v_xor_b32_e32 v24, 16, v5
	v_xor_b32_e32 v27, 32, v5
	;; [unrolled: 1-line block ×3, first 2 shown]
	v_add_u32_e32 v22, 0x80, v22
	v_add_u32_e32 v25, 0x80, v25
	;; [unrolled: 1-line block ×4, first 2 shown]
	s_add_i32 s37, s3, s52
	s_lshl_b64 s[24:25], s[38:39], 2
	s_add_u32 s3, s10, s24
	s_addc_u32 s28, s11, s25
	s_lshl_b64 s[24:25], s[36:37], 2
	s_add_u32 s42, s3, s24
	s_movk_i32 s3, 0xf8
	s_addc_u32 s43, s28, s25
	s_lshl_b32 s30, s19, 7
	s_movk_i32 s28, 0x100
	v_mov_b32_e32 v91, 0
	v_lshlrev_b32_e32 v90, 4, v97
	v_lshlrev_b32_e32 v26, 8, v26
	v_ashrrev_i32_e32 v89, 31, v88
	s_mov_b32 s64, 0
	s_movk_i32 s26, 0x4000
	v_or_b32_e32 v118, v26, v28
	v_or_b32_e32 v119, v26, v29
	v_lshl_add_u64 v[92:93], v[88:89], 1, s[8:9]
	s_movk_i32 s37, 0x2000
	s_movk_i32 s39, 0x3000
	s_waitcnt vmcnt(1)
	v_perm_b32 v33, v6, v14, s62
	s_waitcnt vmcnt(0)
	v_perm_b32 v34, v10, v18, s62
	v_perm_b32 v6, v6, v14, s63
	;; [unrolled: 1-line block ×15, first 2 shown]
	ds_write2st64_b32 v5, v33, v34 offset0:128 offset1:160
	ds_write2st64_b32 v22, v6, v10 offset0:128 offset1:160
	;; [unrolled: 1-line block ×8, first 2 shown]
	v_or_b32_e32 v5, 48, v97
	v_lshl_or_b32 v6, v5, 3, v4
	v_lshlrev_b32_e32 v5, 8, v5
	v_or_b32_e32 v122, v5, v28
	v_or_b32_e32 v123, v5, v29
	v_or_b32_e32 v5, v45, v97
	v_lshlrev_b32_e32 v5, 3, v5
	v_lshrrev_b32_e32 v7, 5, v47
	v_and_or_b32 v7, v5, s3, v7
	v_lshlrev_b32_e32 v7, 4, v7
	v_or_b32_e32 v120, 0x4000, v6
	v_or_b32_e32 v121, 0x6000, v6
	v_lshrrev_b32_e32 v6, 2, v47
	v_lshlrev_b32_e32 v9, 11, v1
	v_and_b32_e32 v5, 0x78, v5
	v_or_b32_e32 v13, 32, v7
	v_and_b32_e32 v8, 12, v6
	v_and_b32_e32 v6, 0x1000, v9
	v_lshrrev_b32_e32 v11, 1, v47
	v_xor_b32_e32 v13, v13, v5
	v_xor_b32_e32 v10, v7, v5
	v_and_b32_e32 v11, 8, v11
	v_or_b32_e32 v13, v13, v6
	v_or_b32_e32 v10, v10, v6
	v_xor_b32_e32 v126, v13, v11
	v_or_b32_e32 v13, 64, v7
	v_or_b32_e32 v7, 0x60, v7
	v_xor_b32_e32 v124, v10, v11
	v_lshlrev_b32_e32 v10, 8, v96
	v_xor_b32_e32 v13, v13, v5
	v_xor_b32_e32 v5, v7, v5
	s_ashr_i32 s3, s2, 31
	v_or_b32_e32 v12, v10, v23
	v_or_b32_e32 v13, v13, v6
	;; [unrolled: 1-line block ×3, first 2 shown]
	s_lshl_b64 s[24:25], s[2:3], 8
	v_lshlrev_b32_e32 v15, 2, v0
	v_lshlrev_b32_e32 v12, 1, v12
	v_xor_b32_e32 v130, v13, v11
	v_xor_b32_e32 v131, v5, v11
	v_lshlrev_b32_e32 v5, 1, v3
	v_add_lshl_u32 v3, v3, s19, 1
	v_or_b32_e32 v11, 0x100, v2
	s_add_u32 s24, s40, s24
	v_lshlrev_b32_e32 v6, 1, v97
	v_lshrrev_b32_e32 v16, 1, v0
	v_and_or_b32 v10, v15, 60, v10
	v_or_b32_e32 v125, 0x4000, v12
	v_or_b32_e32 v127, 0x4080, v12
	;; [unrolled: 1-line block ×8, first 2 shown]
	v_lshrrev_b32_e32 v12, 4, v0
	s_addc_u32 s25, s41, s25
	v_or_b32_e32 v7, 1, v6
	v_and_b32_e32 v16, 24, v16
	v_lshlrev_b32_e32 v10, 1, v10
	v_cndmask_b32_e64 v142, v5, v2, s[0:1]
	v_cndmask_b32_e64 v143, v3, v11, s[0:1]
	v_mov_b32_e32 v3, 0xa000
	v_mov_b32_e32 v5, 0x8000
	v_cmp_gt_u32_e64 s[0:1], s28, v0
	v_xor_b32_e32 v13, v12, v6
	v_xor_b32_e32 v14, v7, v12
	v_lshl_add_u64 v[6:7], s[24:25], 0, v[90:91]
	v_lshlrev_b32_e32 v90, 8, v12
	v_or_b32_e32 v138, 0x6000, v10
	v_or_b32_e32 v15, 32, v16
	;; [unrolled: 1-line block ×6, first 2 shown]
	v_cndmask_b32_e64 v3, v3, v5, s[0:1]
	v_lshlrev_b32_e32 v5, 3, v1
	v_lshl_or_b32 v136, v13, 3, v90
	v_and_b32_e32 v13, 8, v0
	v_xor_b32_e32 v11, v5, v16
	v_xor_b32_e32 v15, v5, v15
	;; [unrolled: 1-line block ×3, first 2 shown]
	v_mov_b32_e32 v17, 0x400
	v_cmp_eq_u32_e32 vcc, 0, v13
	v_or_b32_e32 v16, 0x440, v11
	v_or_b32_e32 v18, 0x440, v15
	v_xor_b32_e32 v10, 0x440, v5
	v_and_b32_e32 v12, 7, v0
	v_cndmask_b32_e64 v13, v17, 64, vcc
	v_cndmask_b32_e32 v16, v16, v11, vcc
	v_cndmask_b32_e32 v15, v18, v15, vcc
	;; [unrolled: 1-line block ×3, first 2 shown]
	v_lshl_or_b32 v137, v14, 3, v90
	v_lshlrev_b32_e32 v14, 3, v12
	v_or_b32_e32 v16, v16, v9
	v_or_b32_e32 v15, v15, v9
	v_or3_b32 v11, v9, v13, v11
	v_or_b32_e32 v5, v5, v9
	v_lshlrev_b32_e32 v12, 7, v12
	v_xor_b32_e32 v16, v16, v14
	v_xor_b32_e32 v15, v15, v14
	;; [unrolled: 1-line block ×4, first 2 shown]
	v_or_b32_e32 v2, v45, v8
	v_add_u32_e32 v17, v3, v16
	v_add_u32_e32 v18, v3, v15
	v_or_b32_e32 v144, v11, v12
	v_add_u32_e32 v9, v3, v5
	v_or3_b32 v8, v45, v8, 64
	v_add_u32_e32 v10, 0xa000, v16
	v_add_u32_e32 v11, 0xa000, v15
	;; [unrolled: 1-line block ×3, first 2 shown]
	v_lshl_add_u64 v[94:95], v[6:7], 0, v[90:91]
	s_mov_b32 s3, 0x7060302
	v_lshlrev_b32_e32 v90, 1, v4
	v_lshlrev_b32_e32 v89, 2, v2
	v_add_u32_e32 v145, v17, v12
	v_add_u32_e32 v146, v18, v12
	;; [unrolled: 1-line block ×4, first 2 shown]
	v_lshlrev_b32_e32 v149, 2, v8
	v_add_u32_e32 v150, v10, v12
	v_add_u32_e32 v151, v11, v12
	;; [unrolled: 1-line block ×3, first 2 shown]
	s_waitcnt lgkmcnt(0)
	s_barrier
.LBB2_6:                                ; =>This Inner Loop Header: Depth=1
	s_add_i32 s65, s64, 1
	s_cmp_lt_i32 s65, s53
	s_mov_b64 s[28:29], 0
	s_cselect_b64 s[44:45], -1, 0
	s_cmp_ge_i32 s65, s53
	s_mov_b64 s[24:25], 0
	s_cbranch_scc1 .LBB2_8
; %bb.7:                                ;   in Loop: Header=BB2_6 Depth=1
	s_add_i32 s0, s59, 64
	s_ashr_i32 s1, s0, 31
	s_add_u32 s0, s57, s0
	s_addc_u32 s1, s56, s1
	s_lshl_b64 s[0:1], s[0:1], 8
	s_add_u32 s24, s6, s0
	s_addc_u32 s25, s7, s1
.LBB2_8:                                ;   in Loop: Header=BB2_6 Depth=1
	v_cndmask_b32_e64 v2, 0, 1, s[44:45]
	v_cmp_ne_u32_e64 s[0:1], 1, v2
	s_andn2_b64 vcc, exec, s[44:45]
	s_cbranch_vccnz .LBB2_10
; %bb.9:                                ;   in Loop: Header=BB2_6 Depth=1
	s_add_i32 s28, s59, 64
	s_mul_hi_i32 s29, s28, s18
	s_mul_i32 s28, s28, s18
	s_add_u32 s28, s28, s55
	s_addc_u32 s29, s29, s60
	s_lshl_b64 s[28:29], s[28:29], 8
	s_add_u32 s28, s4, s28
	s_addc_u32 s29, s5, s29
.LBB2_10:                               ;   in Loop: Header=BB2_6 Depth=1
	v_perm_b32 v3, v87, v86, s3
	v_perm_b32 v2, v83, v82, s3
	v_perm_b32 v5, v85, v84, s3
	v_perm_b32 v4, v81, v80, s3
	ds_write_b64 v108, v[2:3]
	ds_write_b64 v109, v[4:5]
	ds_write_b64 v114, v[2:3]
	ds_write_b64 v115, v[4:5]
	v_perm_b32 v3, v79, v78, s3
	v_perm_b32 v2, v75, v74, s3
	v_perm_b32 v5, v77, v76, s3
	v_perm_b32 v4, v73, v72, s3
	ds_write_b64 v110, v[2:3]
	ds_write_b64 v111, v[4:5]
	ds_write_b64 v116, v[2:3]
	ds_write_b64 v117, v[4:5]
	;; [unrolled: 8-line block ×4, first 2 shown]
	s_waitcnt lgkmcnt(0)
	s_barrier
	ds_read_b64 v[6:7], v124 offset:49152
	ds_read2_b64 v[2:5], v125 offset1:16
	ds_read_b64 v[18:19], v127 offset:6144
	ds_read_b64 v[20:21], v125 offset:6144
	s_waitcnt lgkmcnt(2)
	v_mfma_f32_16x16x16_bf16 a[0:3], v[6:7], v[2:3], 0
	ds_read_b64 v[22:23], v126 offset:49152
	ds_read2st64_b64 v[10:13], v128 offset0:4 offset1:8
	ds_read2st64_b64 v[14:17], v129 offset0:4 offset1:8
	v_mfma_f32_16x16x16_bf16 a[4:7], v[6:7], v[4:5], 0
	ds_read2_b64 v[2:5], v125 offset0:32 offset1:48
	s_add_i32 s66, s59, 63
	s_ashr_i32 s31, s66, 31
	s_waitcnt lgkmcnt(0)
	v_mfma_f32_16x16x16_bf16 a[8:11], v[6:7], v[2:3], 0
	s_mul_i32 s44, s66, s23
	s_mul_hi_u32 s45, s66, s22
	s_add_i32 s44, s45, s44
	v_mfma_f32_16x16x16_bf16 a[12:15], v[6:7], v[4:5], 0
	ds_read2st64_b64 v[2:5], v125 offset0:4 offset1:8
	ds_read2st64_b64 v[6:9], v127 offset0:4 offset1:8
	s_mul_i32 s31, s31, s22
	s_waitcnt lgkmcnt(1)
	v_mfma_f32_16x16x16_bf16 a[0:3], v[22:23], v[2:3], a[0:3]
	s_add_i32 s45, s44, s31
	s_mul_i32 s44, s66, s22
	s_lshl_b64 s[44:45], s[44:45], 2
	s_waitcnt lgkmcnt(0)
	v_mfma_f32_16x16x16_bf16 a[4:7], v[22:23], v[6:7], a[4:7]
	s_add_u32 s44, s42, s44
	s_addc_u32 s45, s43, s45
	s_and_b64 vcc, exec, s[0:1]
	v_mfma_f32_16x16x16_bf16 a[8:11], v[22:23], v[10:11], a[8:11]
	ds_read_b64 v[2:3], v130 offset:49152
	ds_read_b64 v[6:7], v131 offset:49152
	;; [unrolled: 1-line block ×3, first 2 shown]
	v_mov_b32_e32 v155, 0
	v_mov_b32_e32 v154, 0
	v_mfma_f32_16x16x16_bf16 a[12:15], v[22:23], v[14:15], a[12:15]
	v_mov_b32_e32 v153, 0
	v_mov_b32_e32 v14, 0
	;; [unrolled: 1-line block ×3, first 2 shown]
	s_waitcnt lgkmcnt(2)
	v_mfma_f32_16x16x16_bf16 a[0:3], v[2:3], v[4:5], a[0:3]
	v_mov_b32_e32 v4, 0
	v_mov_b32_e32 v5, 0
	v_mfma_f32_16x16x16_bf16 a[16:19], v[2:3], v[8:9], a[4:7]
	v_mov_b32_e32 v8, 0
	v_mov_b32_e32 v9, 0
	;; [unrolled: 3-line block ×3, first 2 shown]
	v_mfma_f32_16x16x16_bf16 a[24:27], v[2:3], v[16:17], a[12:15]
	ds_read_b64 v[2:3], v128 offset:6144
	v_mov_b32_e32 v16, 0
	v_mov_b32_e32 v17, 0
	s_waitcnt lgkmcnt(2)
	v_mfma_f32_16x16x16_bf16 a[4:7], v[6:7], v[20:21], a[0:3]
	v_mfma_f32_16x16x16_bf16 a[8:11], v[6:7], v[18:19], a[16:19]
	s_waitcnt lgkmcnt(0)
	v_mfma_f32_16x16x16_bf16 a[12:15], v[6:7], v[2:3], a[20:23]
	v_mov_b32_e32 v2, 0
	v_mov_b32_e32 v3, 0
	v_mfma_f32_16x16x16_bf16 a[0:3], v[6:7], v[10:11], a[24:27]
	v_mov_b32_e32 v6, 0
	v_mov_b32_e32 v7, 0
	;; [unrolled: 1-line block ×4, first 2 shown]
	s_cbranch_vccnz .LBB2_12
; %bb.11:                               ;   in Loop: Header=BB2_6 Depth=1
	s_and_b32 s25, s25, 0xffff
	buffer_load_dwordx4 v[14:17], v104, s[24:27], 0 offen
	buffer_load_dwordx4 v[10:13], v104, s[24:27], s61 offen
	;; [unrolled: 1-line block ×4, first 2 shown]
	v_mov_b32_e32 v154, v106
	v_mov_b32_e32 v153, v107
.LBB2_12:                               ;   in Loop: Header=BB2_6 Depth=1
	ds_read_b64 v[34:35], v124 offset:57344
	ds_read2_b64 v[18:21], v132 offset1:16
	ds_read_b64 v[36:37], v126 offset:57344
	ds_read_b64 v[38:39], v130 offset:57344
	;; [unrolled: 1-line block ×3, first 2 shown]
	v_add_u32_e32 v42, s59, v100
	s_waitcnt lgkmcnt(3)
	v_mfma_f32_16x16x16_bf16 a[4:7], v[34:35], v[18:19], a[4:7]
	v_mfma_f32_16x16x16_bf16 a[8:11], v[34:35], v[20:21], a[8:11]
	ds_read2_b64 v[18:21], v132 offset0:32 offset1:48
	ds_read2st64_b64 v[22:25], v132 offset0:4 offset1:8
	ds_read2st64_b64 v[26:29], v133 offset0:4 offset1:8
	;; [unrolled: 1-line block ×3, first 2 shown]
	s_waitcnt lgkmcnt(3)
	v_mfma_f32_16x16x16_bf16 a[12:15], v[34:35], v[18:19], a[12:15]
	v_ashrrev_i32_e32 v18, 31, v42
	v_mfma_f32_16x16x16_bf16 a[0:3], v[34:35], v[20:21], a[0:3]
	v_mul_lo_u32 v20, v18, s22
	v_mul_lo_u32 v21, v42, s23
	v_mad_u64_u32 v[18:19], s[24:25], v42, s22, 0
	v_add3_u32 v19, v19, v21, v20
	v_add_u32_e32 v20, 1, v42
	v_ashrrev_i32_e32 v21, 31, v20
	s_waitcnt lgkmcnt(2)
	v_mfma_f32_16x16x16_bf16 a[4:7], v[36:37], v[22:23], a[4:7]
	v_mul_lo_u32 v22, v21, s22
	v_mul_lo_u32 v23, v20, s23
	v_mad_u64_u32 v[20:21], s[24:25], v20, s22, 0
	v_add3_u32 v21, v21, v23, v22
	v_add_u32_e32 v22, 2, v42
	v_ashrrev_i32_e32 v23, 31, v22
	s_waitcnt lgkmcnt(1)
	v_mfma_f32_16x16x16_bf16 a[8:11], v[36:37], v[26:27], a[8:11]
	v_mul_lo_u32 v26, v23, s22
	v_mul_lo_u32 v27, v22, s23
	v_mad_u64_u32 v[22:23], s[24:25], v22, s22, 0
	v_add3_u32 v23, v23, v27, v26
	v_add_u32_e32 v26, 3, v42
	v_ashrrev_i32_e32 v27, 31, v26
	v_mul_lo_u32 v34, v27, s22
	v_mul_lo_u32 v35, v26, s23
	v_mad_u64_u32 v[26:27], s[24:25], v26, s22, 0
	s_ashr_i32 s25, s59, 31
	s_add_u32 s24, s57, s59
	s_addc_u32 s25, s56, s25
	v_lshl_add_u64 v[18:19], v[18:19], 2, s[42:43]
	v_add3_u32 v27, v27, v35, v34
	s_lshl_b64 s[24:25], s[24:25], 8
	v_lshl_add_u64 v[20:21], v[20:21], 2, s[42:43]
	v_lshl_add_u64 v[22:23], v[22:23], 2, s[42:43]
	;; [unrolled: 1-line block ×3, first 2 shown]
	global_load_dword v34, v[18:19], off
	global_load_dword v35, v[20:21], off
	;; [unrolled: 1-line block ×4, first 2 shown]
	v_lshl_add_u64 v[18:19], v[92:93], 0, s[24:25]
	v_lshl_add_u64 v[22:23], v[18:19], 0, v[90:91]
	global_load_ushort v44, v[22:23], off offset:256
	global_load_ushort v156, v[22:23], off
	ds_read2st64_b64 v[18:21], v135 offset0:4 offset1:8
	global_load_ushort v157, v[22:23], off offset:768
	global_load_ushort v158, v[22:23], off offset:512
	s_waitcnt lgkmcnt(1)
	v_mfma_f32_16x16x16_bf16 a[12:15], v[36:37], v[30:31], a[12:15]
	s_and_b64 vcc, exec, s[0:1]
	s_waitcnt vmcnt(3)
	v_lshlrev_b32_e32 v31, 16, v44
	s_waitcnt lgkmcnt(0)
	v_mfma_f32_16x16x16_bf16 a[0:3], v[36:37], v[18:19], a[0:3]
	global_load_ushort v36, v[22:23], off offset:288
	global_load_ushort v37, v[22:23], off offset:32
	;; [unrolled: 1-line block ×8, first 2 shown]
	v_mfma_f32_16x16x16_bf16 a[4:7], v[38:39], v[24:25], a[4:7]
	ds_read_b64 v[18:19], v132 offset:6144
	s_waitcnt vmcnt(10)
	v_lshlrev_b32_e32 v30, 16, v156
	v_mov_b32_e32 v156, 0
	v_mfma_f32_16x16x16_bf16 a[8:11], v[38:39], v[28:29], a[8:11]
	v_mfma_f32_16x16x16_bf16 a[12:15], v[38:39], v[32:33], a[12:15]
	;; [unrolled: 1-line block ×3, first 2 shown]
	global_load_ushort v38, v[22:23], off offset:352
	global_load_ushort v39, v[22:23], off offset:96
	ds_read_b64 v[20:21], v133 offset:6144
	ds_read_b64 v[24:25], v134 offset:6144
	;; [unrolled: 1-line block ×3, first 2 shown]
	global_load_ushort v165, v[22:23], off offset:864
	global_load_ushort v166, v[22:23], off offset:608
	s_load_dword s24, s[44:45], 0x0
	s_waitcnt lgkmcnt(0)
	v_mfma_f32_16x16x16_bf16 a[4:7], v[40:41], v[18:19], a[4:7]
	v_sub_f32_e32 v28, s24, v42
	v_mfma_f32_16x16x16_bf16 a[0:3], v[40:41], v[26:27], a[0:3]
	v_sub_f32_e32 v26, s24, v34
	v_sub_f32_e32 v27, s24, v35
	;; [unrolled: 1-line block ×3, first 2 shown]
	v_mfma_f32_16x16x16_bf16 a[8:11], v[40:41], v[20:21], a[8:11]
	v_exp_f32_e32 v26, v26
	v_exp_f32_e32 v27, v27
	;; [unrolled: 1-line block ×4, first 2 shown]
	v_accvgpr_read_b32 v33, a5
	v_accvgpr_read_b32 v32, a4
	;; [unrolled: 1-line block ×4, first 2 shown]
	v_pk_add_f32 v[30:31], v[30:31], v[32:33] neg_lo:[0,1] neg_hi:[0,1]
	s_waitcnt vmcnt(13)
	v_lshlrev_b32_e32 v33, 16, v157
	s_waitcnt vmcnt(12)
	v_lshlrev_b32_e32 v32, 16, v158
	v_pk_add_f32 v[18:19], v[32:33], v[18:19] neg_lo:[0,1] neg_hi:[0,1]
	v_pk_mul_f32 v[30:31], v[26:27], v[30:31]
	v_pk_mul_f32 v[18:19], v[28:29], v[18:19]
	v_accvgpr_read_b32 v33, a9
	v_perm_b32 v19, v19, v18, s3
	v_perm_b32 v18, v31, v30, s3
	v_accvgpr_read_b32 v32, a8
	v_accvgpr_read_b32 v21, a11
	v_mfma_f32_16x16x16_bf16 a[12:15], v[40:41], v[24:25], a[12:15]
	v_accvgpr_read_b32 v20, a10
	v_accvgpr_read_b32 v25, a3
	;; [unrolled: 1-line block ×3, first 2 shown]
	s_waitcnt vmcnt(11)
	v_lshlrev_b32_e32 v31, 16, v36
	s_waitcnt vmcnt(10)
	v_lshlrev_b32_e32 v30, 16, v37
	v_pk_add_f32 v[30:31], v[30:31], v[32:33] neg_lo:[0,1] neg_hi:[0,1]
	s_waitcnt vmcnt(9)
	v_lshlrev_b32_e32 v33, 16, v159
	s_waitcnt vmcnt(8)
	v_lshlrev_b32_e32 v32, 16, v160
	v_pk_add_f32 v[20:21], v[32:33], v[20:21] neg_lo:[0,1] neg_hi:[0,1]
	v_pk_mul_f32 v[30:31], v[26:27], v[30:31]
	v_pk_mul_f32 v[20:21], v[28:29], v[20:21]
	v_accvgpr_read_b32 v23, a15
	v_perm_b32 v21, v21, v20, s3
	v_perm_b32 v20, v31, v30, s3
	ds_write2_b64 v109, v[18:19], v[20:21] offset1:16
	v_accvgpr_read_b32 v21, a13
	s_waitcnt vmcnt(7)
	v_lshlrev_b32_e32 v19, 16, v161
	s_waitcnt vmcnt(6)
	v_lshlrev_b32_e32 v18, 16, v162
	v_accvgpr_read_b32 v20, a12
	v_accvgpr_read_b32 v22, a14
	v_pk_add_f32 v[18:19], v[18:19], v[20:21] neg_lo:[0,1] neg_hi:[0,1]
	s_waitcnt vmcnt(5)
	v_lshlrev_b32_e32 v21, 16, v163
	s_waitcnt vmcnt(4)
	v_lshlrev_b32_e32 v20, 16, v164
	v_pk_add_f32 v[20:21], v[20:21], v[22:23] neg_lo:[0,1] neg_hi:[0,1]
	v_pk_mul_f32 v[18:19], v[26:27], v[18:19]
	v_pk_mul_f32 v[20:21], v[28:29], v[20:21]
	v_accvgpr_read_b32 v23, a1
	v_perm_b32 v21, v21, v20, s3
	v_perm_b32 v20, v19, v18, s3
	s_waitcnt vmcnt(3)
	v_lshlrev_b32_e32 v19, 16, v38
	s_waitcnt vmcnt(2)
	v_lshlrev_b32_e32 v18, 16, v39
	v_accvgpr_read_b32 v22, a0
	v_pk_add_f32 v[18:19], v[18:19], v[22:23] neg_lo:[0,1] neg_hi:[0,1]
	s_waitcnt vmcnt(1)
	v_lshlrev_b32_e32 v23, 16, v165
	s_waitcnt vmcnt(0)
	v_lshlrev_b32_e32 v22, 16, v166
	v_pk_add_f32 v[22:23], v[22:23], v[24:25] neg_lo:[0,1] neg_hi:[0,1]
	v_pk_mul_f32 v[18:19], v[26:27], v[18:19]
	v_pk_mul_f32 v[22:23], v[28:29], v[22:23]
	v_mov_b32_e32 v24, 0
	v_perm_b32 v23, v23, v22, s3
	v_perm_b32 v22, v19, v18, s3
	ds_write2_b64 v109, v[20:21], v[22:23] offset0:32 offset1:48
	v_mov_b32_e32 v18, 0
	v_mov_b32_e32 v19, 0
	;; [unrolled: 1-line block ×15, first 2 shown]
	s_cbranch_vccnz .LBB2_14
; %bb.13:                               ;   in Loop: Header=BB2_6 Depth=1
	s_and_b32 s29, s29, 0xffff
	s_mov_b32 s31, s27
	buffer_load_dwordx4 v[30:33], v142, s[28:31], 0 offen
	buffer_load_dwordx4 v[22:25], v142, s[28:31], s61 offen
	;; [unrolled: 1-line block ×4, first 2 shown]
	v_mov_b32_e32 v155, v103
	v_mov_b32_e32 v156, v102
.LBB2_14:                               ;   in Loop: Header=BB2_6 Depth=1
	s_waitcnt lgkmcnt(0)
	s_barrier
	ds_read_b64 v[42:43], v145
	ds_read2_b64 v[34:37], v138 offset1:16
	ds_read_b64 v[174:175], v146
	ds_read_b64 v[176:177], v147
	;; [unrolled: 1-line block ×3, first 2 shown]
	ds_read2_b64 v[38:41], v138 offset0:32 offset1:48
	ds_read2st64_b64 v[158:161], v138 offset0:4 offset1:8
	ds_read2st64_b64 v[162:165], v139 offset0:4 offset1:8
	;; [unrolled: 1-line block ×4, first 2 shown]
	s_waitcnt lgkmcnt(8)
	v_mfma_f32_16x16x16_bf16 a[0:3], v[42:43], v[34:35], 0
	s_add_i32 s25, s58, s64
	s_mul_hi_i32 s29, s25, s17
	s_mul_i32 s25, s25, s17
	v_mfma_f32_16x16x16_bf16 a[4:7], v[42:43], v[36:37], 0
	s_add_u32 s28, s25, s33
	s_addc_u32 s29, s29, s46
	s_lshl_b64 s[28:29], s[28:29], 15
	s_waitcnt lgkmcnt(4)
	v_mfma_f32_16x16x16_bf16 a[8:11], v[42:43], v[38:39], 0
	s_mul_i32 s31, s66, s17
	s_mul_hi_i32 s25, s66, s17
	s_add_u32 s44, s31, s33
	v_mfma_f32_16x16x16_bf16 a[12:15], v[42:43], v[40:41], 0
	ds_read_b64 v[42:43], v138 offset:6144
	ds_read_b64 v[186:187], v139 offset:6144
	;; [unrolled: 1-line block ×4, first 2 shown]
	s_addc_u32 s45, s25, s46
	s_waitcnt lgkmcnt(7)
	v_mfma_f32_16x16x16_bf16 a[0:3], v[174:175], v[158:159], a[0:3]
	s_lshl_b64 s[44:45], s[44:45], 9
	s_add_u32 s44, s20, s44
	s_addc_u32 s45, s21, s45
	s_waitcnt lgkmcnt(6)
	v_mfma_f32_16x16x16_bf16 a[4:7], v[174:175], v[162:163], a[4:7]
	v_lshl_add_u64 v[196:197], v[94:95], 0, s[28:29]
	s_waitcnt lgkmcnt(5)
	v_mfma_f32_16x16x16_bf16 a[8:11], v[174:175], v[166:167], a[8:11]
	s_waitcnt lgkmcnt(4)
	v_mfma_f32_16x16x16_bf16 a[12:15], v[174:175], v[170:171], a[12:15]
	ds_read_b64 v[174:175], v150
	ds_read_b64 v[184:185], v151
	;; [unrolled: 1-line block ×3, first 2 shown]
	s_waitcnt lgkmcnt(2)
	v_mfma_f32_16x16x16_bf16 a[16:19], v[174:175], v[34:35], 0
	v_mfma_f32_16x16x16_bf16 a[20:23], v[174:175], v[36:37], 0
	global_load_dwordx4 v[34:37], v149, s[44:45]
	v_mfma_f32_16x16x16_bf16 a[24:27], v[174:175], v[38:39], 0
	v_mfma_f32_16x16x16_bf16 a[28:31], v[174:175], v[40:41], 0
	global_load_dwordx4 v[38:41], v89, s[44:45]
	v_mfma_f32_16x16x16_bf16 a[0:3], v[176:177], v[160:161], a[0:3]
	v_mfma_f32_16x16x16_bf16 a[4:7], v[176:177], v[164:165], a[4:7]
	v_mfma_f32_16x16x16_bf16 a[8:11], v[176:177], v[168:169], a[8:11]
	v_mfma_f32_16x16x16_bf16 a[12:15], v[176:177], v[172:173], a[12:15]
	v_mfma_f32_16x16x16_bf16 a[0:3], v[178:179], v[42:43], a[0:3]
	v_mfma_f32_16x16x16_bf16 a[4:7], v[178:179], v[186:187], a[4:7]
	v_mfma_f32_16x16x16_bf16 a[8:11], v[178:179], v[188:189], a[8:11]
	v_mfma_f32_16x16x16_bf16 a[12:15], v[178:179], v[190:191], a[12:15]
	ds_read2st64_b64 v[174:177], v136 offset1:8
	ds_read2st64_b64 v[178:181], v137 offset1:8
	ds_read_b64 v[194:195], v144 offset:40960
	s_waitcnt lgkmcnt(2)
	v_mov_b32_e32 v182, v174
	v_mfma_f32_16x16x16_bf16 a[16:19], v[184:185], v[158:159], a[16:19]
	v_mov_b32_e32 v183, v175
	v_mfma_f32_16x16x16_bf16 a[20:23], v[184:185], v[162:163], a[20:23]
	v_mfma_f32_16x16x16_bf16 a[24:27], v[184:185], v[166:167], a[24:27]
	;; [unrolled: 1-line block ×3, first 2 shown]
	v_add_co_u32_e32 v170, vcc, s37, v196
	s_waitcnt lgkmcnt(1)
	v_mov_b32_e32 v184, v178
	s_waitcnt lgkmcnt(0)
	v_mfma_f32_16x16x16_bf16 a[16:19], v[194:195], v[160:161], a[16:19]
	ds_read2st64_b64 v[158:161], v136 offset0:16 offset1:24
	v_addc_co_u32_e32 v171, vcc, 0, v197, vcc
	v_mfma_f32_16x16x16_bf16 a[32:35], v[194:195], v[164:165], a[20:23]
	ds_read2st64_b64 v[162:165], v137 offset0:16 offset1:24
	v_mov_b32_e32 v185, v179
	v_mov_b32_e32 v178, v176
	v_mfma_f32_16x16x16_bf16 a[24:27], v[194:195], v[168:169], a[24:27]
	v_mov_b32_e32 v179, v177
	s_waitcnt lgkmcnt(0)
	v_mov_b32_e32 v168, v162
	v_mov_b32_e32 v169, v163
	v_mfma_f32_16x16x16_bf16 a[36:39], v[194:195], v[172:173], a[28:31]
	v_mov_b32_e32 v162, v160
	v_mov_b32_e32 v163, v161
	;; [unrolled: 1-line block ×3, first 2 shown]
	v_mfma_f32_16x16x16_bf16 a[20:23], v[192:193], v[42:43], a[16:19]
	v_add_co_u32_e32 v42, vcc, s39, v196
	v_mov_b32_e32 v167, v159
	v_mfma_f32_16x16x16_bf16 a[28:31], v[192:193], v[186:187], a[32:35]
	v_addc_co_u32_e32 v43, vcc, 0, v197, vcc
	global_store_dwordx4 v[42:43], v[162:165], off
	v_mfma_f32_16x16x16_bf16 a[16:19], v[192:193], v[188:189], a[24:27]
	s_waitcnt vmcnt(2)
	v_mov_b32_e32 v44, v37
	v_mov_b32_e32 v43, v36
	;; [unrolled: 1-line block ×3, first 2 shown]
	v_mfma_f32_16x16x16_bf16 a[24:27], v[192:193], v[190:191], a[36:39]
	s_and_b64 vcc, exec, s[0:1]
	global_store_dwordx4 v[196:197], v[182:185], off
	global_store_dwordx4 v[170:171], v[178:181], off offset:-4096
	global_store_dwordx4 v[170:171], v[166:169], off
	s_cbranch_vccnz .LBB2_16
; %bb.15:                               ;   in Loop: Header=BB2_6 Depth=1
	v_lshrrev_b32_e32 v35, 3, v155
	v_and_b32_e32 v35, 6, v35
	v_xor_b32_e32 v36, v35, v156
	v_lshlrev_b32_e32 v36, 2, v36
	v_and_b32_e32 v37, 8, v155
	v_xor_b32_e32 v155, 0x440, v36
	v_cmp_eq_u32_e32 vcc, 0, v37
	v_perm_b32 v37, v22, v18, s62
	s_nop 0
	v_cndmask_b32_e32 v36, v155, v36, vcc
	v_lshl_or_b32 v35, v35, 10, v36
	v_perm_b32 v36, v30, v26, s62
	s_barrier
	ds_write2st64_b32 v35, v36, v37 offset0:128 offset1:160
	v_xor_b32_e32 v36, 8, v35
	v_perm_b32 v26, v30, v26, s63
	v_perm_b32 v18, v22, v18, s63
	v_add_u32_e32 v22, 0x80, v36
	ds_write2st64_b32 v22, v26, v18 offset0:128 offset1:160
	v_xor_b32_e32 v18, 16, v35
	v_perm_b32 v22, v31, v27, s62
	v_perm_b32 v26, v23, v19, s62
	ds_write2st64_b32 v18, v22, v26 offset0:129 offset1:161
	v_xor_b32_e32 v18, 24, v35
	v_perm_b32 v22, v31, v27, s63
	v_perm_b32 v19, v23, v19, s63
	v_add_u32_e32 v18, 0x80, v18
	ds_write2st64_b32 v18, v22, v19 offset0:129 offset1:161
	v_xor_b32_e32 v18, 32, v35
	v_perm_b32 v19, v32, v28, s62
	v_perm_b32 v22, v24, v20, s62
	ds_write2st64_b32 v18, v19, v22 offset0:130 offset1:162
	v_xor_b32_e32 v18, 40, v35
	v_perm_b32 v19, v32, v28, s63
	v_perm_b32 v20, v24, v20, s63
	v_add_u32_e32 v18, 0x80, v18
	ds_write2st64_b32 v18, v19, v20 offset0:130 offset1:162
	v_xor_b32_e32 v18, 48, v35
	v_perm_b32 v19, v33, v29, s62
	v_perm_b32 v20, v25, v21, s62
	ds_write2st64_b32 v18, v19, v20 offset0:131 offset1:163
	v_xor_b32_e32 v18, 56, v35
	v_perm_b32 v19, v33, v29, s63
	v_perm_b32 v20, v25, v21, s63
	v_add_u32_e32 v18, 0x80, v18
	ds_write2st64_b32 v18, v19, v20 offset0:131 offset1:163
	ds_write_b64 v154, v[14:15] offset:49152
	v_xor_b32_e32 v14, 8, v154
	ds_write_b64 v14, v[16:17] offset:49152
	ds_write_b64 v154, v[10:11] offset:57344
	;; [unrolled: 1-line block ×4, first 2 shown]
	v_xor_b32_e32 v6, 8, v153
	ds_write_b64 v6, v[8:9] offset:49152
	ds_write_b64 v153, v[2:3] offset:57344
	;; [unrolled: 1-line block ×3, first 2 shown]
.LBB2_16:                               ;   in Loop: Header=BB2_6 Depth=1
	v_exp_f32_e32 v36, s24
	s_waitcnt vmcnt(4)
	v_exp_f32_e32 v38, v38
	v_exp_f32_e32 v39, v39
	;; [unrolled: 1-line block ×4, first 2 shown]
	v_accvgpr_read_b32 v5, a3
	v_accvgpr_read_b32 v4, a2
	;; [unrolled: 1-line block ×4, first 2 shown]
	v_pk_mul_f32 v[38:39], v[36:37], v[38:39] op_sel_hi:[0,1]
	v_pk_mul_f32 v[40:41], v[36:37], v[40:41] op_sel_hi:[0,1]
	v_pk_fma_f32 v[82:83], v[82:83], v[38:39], v[2:3]
	v_pk_fma_f32 v[86:87], v[86:87], v[40:41], v[4:5]
	v_exp_f32_e32 v2, v34
	v_exp_f32_e32 v3, v42
	;; [unrolled: 1-line block ×4, first 2 shown]
	v_accvgpr_read_b32 v9, a7
	v_accvgpr_read_b32 v13, a11
	v_accvgpr_read_b32 v17, a15
	v_accvgpr_read_b32 v18, a20
	v_accvgpr_read_b32 v22, a28
	v_accvgpr_read_b32 v29, a19
	v_accvgpr_read_b32 v33, a27
	v_accvgpr_read_b32 v8, a6
	v_accvgpr_read_b32 v7, a5
	v_accvgpr_read_b32 v6, a4
	v_accvgpr_read_b32 v12, a10
	v_accvgpr_read_b32 v11, a9
	v_accvgpr_read_b32 v10, a8
	v_accvgpr_read_b32 v16, a14
	v_accvgpr_read_b32 v15, a13
	v_accvgpr_read_b32 v14, a12
	v_accvgpr_read_b32 v19, a21
	v_accvgpr_read_b32 v20, a22
	v_accvgpr_read_b32 v21, a23
	v_accvgpr_read_b32 v23, a29
	v_accvgpr_read_b32 v24, a30
	v_accvgpr_read_b32 v25, a31
	v_accvgpr_read_b32 v28, a18
	v_accvgpr_read_b32 v27, a17
	v_accvgpr_read_b32 v26, a16
	v_accvgpr_read_b32 v32, a26
	v_accvgpr_read_b32 v31, a25
	v_accvgpr_read_b32 v30, a24
	v_pk_mul_f32 v[2:3], v[36:37], v[2:3] op_sel_hi:[0,1]
	v_pk_mul_f32 v[4:5], v[36:37], v[4:5] op_sel_hi:[0,1]
	s_add_i32 s59, s59, 64
	v_pk_fma_f32 v[74:75], v[38:39], v[74:75], v[6:7]
	v_pk_fma_f32 v[78:79], v[40:41], v[78:79], v[8:9]
	;; [unrolled: 1-line block ×13, first 2 shown]
	s_cmp_eq_u32 s53, s65
	v_pk_fma_f32 v[60:61], v[4:5], v[60:61], v[32:33]
	s_cbranch_scc1 .LBB2_18
; %bb.17:                               ;   in Loop: Header=BB2_6 Depth=1
	s_mov_b32 s64, s65
	s_branch .LBB2_6
.LBB2_18:
	s_lshl_b32 s0, s53, 6
	s_sub_i32 s44, s54, s0
	s_cmp_gt_i32 s44, 0
	s_cbranch_scc0 .LBB2_99
; %bb.19:
	s_add_i32 s34, s0, s34
	s_ashr_i32 s3, s34, 31
	s_cmpk_lg_i32 s19, 0x80
	s_cselect_b64 s[30:31], -1, 0
	s_and_b64 vcc, exec, s[30:31]
	s_cbranch_vccz .LBB2_21
; %bb.20:
	s_mul_hi_i32 s0, s34, s18
	s_mul_i32 s1, s34, s18
	s_ashr_i32 s18, s55, 31
	s_add_u32 s42, s1, s55
	s_addc_u32 s43, s0, s18
	s_cbranch_execz .LBB2_22
	s_branch .LBB2_23
.LBB2_21:
                                        ; implicit-def: $sgpr42_sgpr43
.LBB2_22:
	s_mul_i32 s1, s55, s16
	s_mul_hi_i32 s0, s55, s16
	s_add_u32 s42, s1, s34
	s_addc_u32 s43, s0, s3
.LBB2_23:
	s_waitcnt lgkmcnt(0)
	s_add_i32 s16, s53, s58
	s_add_u32 s0, s57, s34
	v_lshlrev_b32_e32 v6, 6, v100
	v_lshlrev_b32_e32 v24, 2, v97
	s_addc_u32 s1, s56, s3
	s_mov_b32 s3, 0x7060302
	v_or_b32_e32 v9, v6, v24
	v_xor_b32_e32 v7, v100, v24
	v_perm_b32 v3, v87, v86, s3
	v_perm_b32 v2, v83, v82, s3
	;; [unrolled: 1-line block ×4, first 2 shown]
	v_lshlrev_b32_e32 v9, 1, v9
	v_xor_b32_e32 v8, v101, v24
	ds_write2st64_b64 v9, v[2:3], v[4:5] offset0:32 offset1:48
	v_lshlrev_b32_e32 v7, 1, v7
	v_lshlrev_b32_e32 v9, 8, v97
	v_or_b32_e32 v10, v7, v9
	v_lshlrev_b32_e32 v8, 1, v8
	ds_write_b64 v10, v[2:3]
	v_or_b32_e32 v2, v8, v9
	v_or_b32_e32 v9, 16, v97
	v_lshlrev_b32_e32 v23, 2, v9
	v_or_b32_e32 v10, v6, v23
	ds_write_b64 v2, v[4:5]
	v_perm_b32 v3, v79, v78, s3
	v_perm_b32 v2, v75, v74, s3
	;; [unrolled: 1-line block ×4, first 2 shown]
	v_lshlrev_b32_e32 v10, 1, v10
	v_lshlrev_b32_e32 v9, 8, v9
	ds_write2st64_b64 v10, v[2:3], v[4:5] offset0:32 offset1:48
	v_or_b32_e32 v10, v7, v9
	ds_write_b64 v10, v[2:3]
	v_or_b32_e32 v2, v8, v9
	v_or_b32_e32 v9, 32, v97
	v_lshlrev_b32_e32 v22, 2, v9
	v_or_b32_e32 v10, v6, v22
	ds_write_b64 v2, v[4:5]
	v_perm_b32 v3, v71, v70, s3
	v_perm_b32 v2, v67, v66, s3
	;; [unrolled: 1-line block ×4, first 2 shown]
	v_lshlrev_b32_e32 v10, 1, v10
	v_lshlrev_b32_e32 v9, 8, v9
	s_lshl_b64 s[28:29], s[0:1], 8
	ds_write2st64_b64 v10, v[2:3], v[4:5] offset0:32 offset1:48
	v_or_b32_e32 v10, v7, v9
	s_add_u32 s0, s6, s28
	ds_write_b64 v10, v[2:3]
	v_or_b32_e32 v2, v8, v9
	s_addc_u32 s1, s7, s29
	ds_write_b64 v2, v[4:5]
	v_perm_b32 v3, v63, v62, s3
	v_perm_b32 v2, v59, v58, s3
	;; [unrolled: 1-line block ×4, first 2 shown]
	v_or_b32_e32 v9, 48, v97
	s_mul_hi_i32 s3, s16, s17
	s_mul_i32 s16, s16, s17
	v_lshlrev_b32_e32 v19, 2, v9
	s_add_u32 s6, s16, s33
	v_or_b32_e32 v6, v6, v19
	s_addc_u32 s7, s3, s46
	v_lshlrev_b32_e32 v6, 1, v6
	s_ashr_i32 s3, s2, 31
	s_lshl_b64 s[6:7], s[6:7], 15
	ds_write2st64_b64 v6, v[2:3], v[4:5] offset0:32 offset1:48
	v_lshlrev_b32_e32 v6, 8, v9
	s_add_u32 s6, s40, s6
	v_or_b32_e32 v7, v7, v6
	s_addc_u32 s7, s41, s7
	s_lshl_b64 s[2:3], s[2:3], 8
	ds_write_b64 v7, v[2:3]
	v_or_b32_e32 v2, v8, v6
	s_add_u32 s2, s6, s2
	v_lshlrev_b32_e32 v3, 1, v97
	ds_write_b64 v2, v[4:5]
	v_lshrrev_b32_e32 v2, 4, v0
	s_addc_u32 s3, s7, s3
	v_or_b32_e32 v4, 1, v3
	v_lshlrev_b32_e32 v10, 4, v97
	v_mov_b32_e32 v11, 0
	v_xor_b32_e32 v3, v2, v3
	v_xor_b32_e32 v6, v4, v2
	v_lshl_add_u64 v[12:13], s[2:3], 0, v[10:11]
	v_lshlrev_b32_e32 v10, 8, v2
	v_lshl_or_b32 v16, v3, 3, v10
	v_lshl_or_b32 v17, v6, 3, v10
	s_waitcnt lgkmcnt(0)
	s_barrier
	ds_read2st64_b64 v[2:5], v16 offset1:8
	ds_read2st64_b64 v[6:9], v17 offset1:8
	v_lshl_add_u64 v[14:15], v[12:13], 0, v[10:11]
	s_movk_i32 s2, 0x2000
	s_cmp_lg_u32 s44, 64
	s_waitcnt lgkmcnt(1)
	v_mov_b32_e32 v10, v2
	v_mov_b32_e32 v11, v3
	s_waitcnt lgkmcnt(0)
	v_mov_b32_e32 v12, v6
	v_mov_b32_e32 v13, v7
	global_store_dwordx4 v[14:15], v[10:13], off
	v_mov_b32_e32 v6, v4
	v_mov_b32_e32 v7, v5
	ds_read2st64_b64 v[2:5], v16 offset0:16 offset1:24
	ds_read2st64_b64 v[10:13], v17 offset0:16 offset1:24
	v_add_co_u32_e32 v16, vcc, s2, v14
	s_cselect_b64 s[6:7], -1, 0
	s_nop 0
	v_addc_co_u32_e32 v17, vcc, 0, v15, vcc
	global_store_dwordx4 v[16:17], v[6:9], off offset:-4096
	v_lshl_or_b32 v30, v1, 3, v99
	s_mov_b32 s24, 0
	s_waitcnt lgkmcnt(1)
	v_mov_b32_e32 v6, v2
	v_add_co_u32_e32 v2, vcc, 0x3000, v14
	v_mov_b32_e32 v7, v3
	s_nop 0
	v_addc_co_u32_e32 v3, vcc, 0, v15, vcc
	s_waitcnt lgkmcnt(0)
	v_mov_b32_e32 v8, v10
	v_mov_b32_e32 v9, v11
	v_mov_b32_e32 v10, v4
	v_mov_b32_e32 v11, v5
	v_or_b32_e32 v20, 32, v30
	v_and_b32_e32 v18, 56, v98
	s_and_b64 vcc, exec, s[6:7]
	global_store_dwordx4 v[16:17], v[6:9], off
	global_store_dwordx4 v[2:3], v[10:13], off
	s_cbranch_vccz .LBB2_29
; %bb.24:
	s_mov_b32 s25, s24
	s_mov_b32 s26, s24
	;; [unrolled: 1-line block ×3, first 2 shown]
	v_mov_b64_e32 v[6:7], s[24:25]
	v_mov_b64_e32 v[8:9], s[26:27]
	;; [unrolled: 1-line block ×3, first 2 shown]
	v_cmp_gt_i32_e32 vcc, s44, v30
	v_mov_b64_e32 v[4:5], v[8:9]
	s_and_saveexec_b64 s[2:3], vcc
	s_cbranch_execz .LBB2_26
; %bb.25:
	v_lshlrev_b32_e32 v2, 8, v30
	v_mov_b32_e32 v3, 0
	v_lshl_add_u64 v[4:5], s[0:1], 0, v[2:3]
	v_lshlrev_b32_e32 v2, 1, v18
	v_lshl_add_u64 v[10:11], v[4:5], 0, v[2:3]
	global_load_dwordx4 v[6:9], v[10:11], off
	global_load_dwordx4 v[2:5], v[10:11], off offset:128
.LBB2_26:
	s_or_b64 exec, exec, s[2:3]
	s_mov_b32 s25, s24
	s_mov_b32 s26, s24
	;; [unrolled: 1-line block ×3, first 2 shown]
	v_mov_b64_e32 v[14:15], s[24:25]
	v_mov_b64_e32 v[16:17], s[26:27]
	;; [unrolled: 1-line block ×3, first 2 shown]
	v_cmp_gt_i32_e32 vcc, s44, v20
	v_lshlrev_b32_e32 v21, 7, v20
	v_mov_b64_e32 v[12:13], v[16:17]
	s_and_saveexec_b64 s[2:3], vcc
	s_cbranch_execz .LBB2_28
; %bb.27:
	v_lshlrev_b32_e32 v10, 1, v21
	v_mov_b32_e32 v11, 0
	v_lshl_add_u64 v[12:13], s[0:1], 0, v[10:11]
	v_lshlrev_b32_e32 v10, 1, v18
	v_lshl_add_u64 v[26:27], v[12:13], 0, v[10:11]
	global_load_dwordx4 v[14:17], v[26:27], off
	global_load_dwordx4 v[10:13], v[26:27], off offset:128
.LBB2_28:
	s_or_b64 exec, exec, s[2:3]
	v_lshrrev_b32_e32 v25, 3, v18
	v_lshlrev_b32_e32 v26, 3, v30
	v_or_b32_e32 v25, v26, v25
	v_lshlrev_b32_e32 v25, 4, v25
	v_and_b32_e32 v26, 0x78, v26
	v_xor_b32_e32 v25, v25, v26
	s_branch .LBB2_31
.LBB2_29:
                                        ; implicit-def: $vgpr25
                                        ; implicit-def: $vgpr21
                                        ; implicit-def: $vgpr6_vgpr7_vgpr8_vgpr9
                                        ; implicit-def: $vgpr2_vgpr3_vgpr4_vgpr5
                                        ; implicit-def: $vgpr14_vgpr15_vgpr16_vgpr17
                                        ; implicit-def: $vgpr10_vgpr11_vgpr12_vgpr13
	s_cbranch_execz .LBB2_31
; %bb.30:
	s_waitcnt vmcnt(0)
	v_lshlrev_b32_e32 v2, 1, v18
	v_lshl_or_b32 v21, v30, 8, v2
	s_and_b32 s1, s1, 0xffff
	s_mov_b32 s3, 0x20000
	s_movk_i32 s2, 0x4000
	v_lshl_or_b32 v25, v20, 8, v2
	s_movk_i32 s16, 0x80
	buffer_load_dwordx4 v[6:9], v21, s[0:3], 0 offen
	buffer_load_dwordx4 v[2:5], v21, s[0:3], s16 offen
	;; [unrolled: 1-line block ×4, first 2 shown]
	v_lshrrev_b32_e32 v21, 3, v18
	v_lshlrev_b32_e32 v25, 3, v30
	v_or_b32_e32 v21, v25, v21
	v_lshlrev_b32_e32 v21, 4, v21
	v_and_b32_e32 v25, 0x78, v25
	v_xor_b32_e32 v25, v21, v25
	v_lshlrev_b32_e32 v21, 7, v20
.LBB2_31:
	s_movk_i32 s0, 0x1000
	v_and_or_b32 v20, v21, s0, v25
	s_waitcnt vmcnt(1)
	ds_write_b64 v25, v[6:7] offset:49152
	v_xor_b32_e32 v6, 8, v25
	ds_write_b64 v6, v[8:9] offset:49152
	s_waitcnt vmcnt(0)
	ds_write_b64 v25, v[2:3] offset:57344
	ds_write_b64 v6, v[4:5] offset:57344
	;; [unrolled: 1-line block ×3, first 2 shown]
	v_xor_b32_e32 v2, 8, v20
	ds_write_b64 v2, v[16:17] offset:49152
	ds_write_b64 v20, v[10:11] offset:57344
	;; [unrolled: 1-line block ×3, first 2 shown]
	v_or_b32_e32 v2, v45, v97
	v_lshlrev_b32_e32 v2, 3, v2
	v_lshrrev_b32_e32 v3, 5, v47
	s_movk_i32 s0, 0xf8
	v_and_or_b32 v3, v2, s0, v3
	v_lshlrev_b32_e32 v7, 4, v3
	v_lshlrev_b32_e32 v25, 11, v1
	v_and_b32_e32 v8, 0x78, v2
	v_or_b32_e32 v10, 32, v7
	v_and_b32_e32 v6, 0x1000, v25
	v_lshrrev_b32_e32 v3, 1, v47
	v_xor_b32_e32 v10, v10, v8
	v_xor_b32_e32 v2, v7, v8
	v_and_b32_e32 v9, 8, v3
	v_or_b32_e32 v10, v10, v6
	v_or_b32_e32 v2, v2, v6
	v_xor_b32_e32 v32, v10, v9
	v_or_b32_e32 v10, 64, v7
	v_xor_b32_e32 v31, v2, v9
	v_xor_b32_e32 v10, v10, v8
	s_waitcnt lgkmcnt(0)
	s_barrier
	v_or_b32_e32 v13, v10, v6
	ds_read_b64 v[10:11], v31 offset:49152
	v_lshl_or_b32 v14, v96, 8, v24
	v_lshlrev_b32_e32 v26, 1, v14
	v_add_u32_e32 v12, 0x4000, v26
	ds_read2_b64 v[2:5], v12 offset1:16
	v_or_b32_e32 v7, 0x60, v7
	v_xor_b32_e32 v7, v7, v8
	v_or_b32_e32 v6, v7, v6
	v_xor_b32_e32 v33, v13, v9
	v_xor_b32_e32 v34, v6, v9
	ds_read_b64 v[20:21], v32 offset:49152
	ds_read_b64 v[36:37], v33 offset:49152
	ds_read_b64 v[38:39], v34 offset:49152
	s_waitcnt lgkmcnt(3)
	v_mfma_f32_16x16x16_bf16 a[0:3], v[10:11], v[2:3], 0
	ds_read2st64_b64 v[6:9], v26 offset0:36 offset1:40
	s_lshl_b64 s[0:1], s[42:43], 8
	s_add_u32 s4, s4, s0
	v_mfma_f32_16x16x16_bf16 a[4:7], v[10:11], v[4:5], 0
	ds_read2_b64 v[2:5], v12 offset0:32 offset1:48
	s_addc_u32 s5, s5, s1
	s_add_i32 s0, s49, s47
	s_waitcnt lgkmcnt(0)
	v_mfma_f32_16x16x16_bf16 a[8:11], v[10:11], v[2:3], 0
	v_or_b32_e32 v2, 64, v14
	v_lshlrev_b32_e32 v27, 1, v2
	s_add_i32 s18, s35, -1
	v_mfma_f32_16x16x16_bf16 a[12:15], v[10:11], v[4:5], 0
	ds_read2st64_b64 v[2:5], v27 offset0:36 offset1:40
	s_add_i32 s39, s0, s48
	s_add_i32 s0, s51, s50
	v_mfma_f32_16x16x16_bf16 a[0:3], v[20:21], v[6:7], a[0:3]
	v_or_b32_e32 v6, 0x80, v14
	v_lshlrev_b32_e32 v28, 1, v6
	ds_read2st64_b64 v[10:13], v28 offset0:36 offset1:40
	s_waitcnt lgkmcnt(1)
	v_mfma_f32_16x16x16_bf16 a[4:7], v[20:21], v[2:3], a[4:7]
	v_or_b32_e32 v2, 0xc0, v14
	v_lshlrev_b32_e32 v29, 1, v2
	ds_read2st64_b64 v[14:17], v29 offset0:36 offset1:40
	s_add_i32 s37, s0, s52
	s_ashr_i32 s0, s18, 31
	s_mul_i32 s1, s18, s23
	s_mul_hi_u32 s2, s18, s22
	s_add_i32 s1, s2, s1
	s_mul_i32 s0, s0, s22
	s_waitcnt lgkmcnt(1)
	v_mfma_f32_16x16x16_bf16 a[8:11], v[20:21], v[10:11], a[8:11]
	s_add_i32 s1, s1, s0
	s_lshl_b64 s[2:3], s[38:39], 2
	s_add_u32 s10, s10, s2
	s_waitcnt lgkmcnt(0)
	v_mfma_f32_16x16x16_bf16 a[12:15], v[20:21], v[14:15], a[12:15]
	s_addc_u32 s11, s11, s3
	s_lshl_b64 s[2:3], s[36:37], 2
	s_mul_i32 s0, s18, s22
	v_mfma_f32_16x16x16_bf16 a[0:3], v[36:37], v[8:9], a[0:3]
	ds_read_b64 v[2:3], v26 offset:22528
	s_add_u32 s10, s10, s2
	s_addc_u32 s11, s11, s3
	v_mfma_f32_16x16x16_bf16 a[4:7], v[36:37], v[4:5], a[4:7]
	ds_read_b64 v[4:5], v27 offset:22528
	ds_read_b64 v[6:7], v28 offset:22528
	;; [unrolled: 1-line block ×3, first 2 shown]
	s_lshl_b64 s[0:1], s[0:1], 2
	s_add_u32 s0, s10, s0
	v_mfma_f32_16x16x16_bf16 a[8:11], v[36:37], v[12:13], a[8:11]
	s_addc_u32 s1, s11, s1
	s_load_dword s16, s[0:1], 0x0
	s_and_b64 vcc, exec, s[30:31]
	v_mfma_f32_16x16x16_bf16 a[12:15], v[36:37], v[16:17], a[12:15]
	s_waitcnt lgkmcnt(0)
	v_mfma_f32_16x16x16_bf16 a[0:3], v[38:39], v[2:3], a[0:3]
	v_mfma_f32_16x16x16_bf16 a[4:7], v[38:39], v[4:5], a[4:7]
	;; [unrolled: 1-line block ×4, first 2 shown]
	s_cbranch_vccz .LBB2_42
; %bb.32:
	v_lshlrev_b32_e32 v20, 1, v30
	s_and_b64 vcc, exec, s[6:7]
	s_cbranch_vccz .LBB2_43
; %bb.33:
	v_cmp_gt_i32_e32 vcc, s44, v20
	v_mov_b32_e32 v6, 0
	v_mov_b32_e32 v2, 0
	;; [unrolled: 1-line block ×5, first 2 shown]
	s_and_saveexec_b64 s[0:1], vcc
	s_cbranch_execz .LBB2_35
; %bb.34:
	v_mad_i64_i32 v[2:3], s[2:3], s19, v20, 0
	v_lshl_add_u64 v[2:3], v[2:3], 1, s[4:5]
	v_lshlrev_b32_e32 v4, 1, v18
	v_mov_b32_e32 v5, 0
	v_lshl_add_u64 v[2:3], v[2:3], 0, v[4:5]
	global_load_dwordx4 v[2:5], v[2:3], off
.LBB2_35:
	s_or_b64 exec, exec, s[0:1]
	v_or_b32_e32 v21, 1, v20
	v_cmp_gt_i32_e64 s[0:1], s44, v21
	v_mov_b32_e32 v7, 0
	v_mov_b32_e32 v8, 0
	;; [unrolled: 1-line block ×3, first 2 shown]
	s_and_saveexec_b64 s[2:3], s[0:1]
	s_cbranch_execz .LBB2_37
; %bb.36:
	v_mad_i64_i32 v[6:7], s[24:25], s19, v21, 0
	v_lshl_add_u64 v[6:7], v[6:7], 1, s[4:5]
	v_lshlrev_b32_e32 v8, 1, v18
	v_mov_b32_e32 v9, 0
	v_lshl_add_u64 v[6:7], v[6:7], 0, v[8:9]
	global_load_dwordx4 v[6:9], v[6:7], off
.LBB2_37:
	s_or_b64 exec, exec, s[2:3]
	v_mov_b32_e32 v17, 0
	v_mov_b32_e32 v10, 0
	;; [unrolled: 1-line block ×5, first 2 shown]
	s_and_saveexec_b64 s[2:3], vcc
	s_cbranch_execz .LBB2_39
; %bb.38:
	v_mad_i64_i32 v[10:11], s[24:25], s19, v20, 0
	v_lshl_add_u64 v[10:11], v[10:11], 1, s[4:5]
	v_lshlrev_b32_e32 v12, 1, v18
	v_mov_b32_e32 v13, 0
	v_lshl_add_u64 v[10:11], v[10:11], 0, v[12:13]
	global_load_dwordx4 v[10:13], v[10:11], off offset:128
.LBB2_39:
	s_or_b64 exec, exec, s[2:3]
	v_mov_b32_e32 v16, 0
	v_mov_b32_e32 v15, 0
	;; [unrolled: 1-line block ×3, first 2 shown]
	s_and_saveexec_b64 s[2:3], s[0:1]
	s_cbranch_execz .LBB2_41
; %bb.40:
	v_mad_i64_i32 v[14:15], s[0:1], s19, v21, 0
	v_lshl_add_u64 v[14:15], v[14:15], 1, s[4:5]
	v_lshlrev_b32_e32 v16, 1, v18
	v_mov_b32_e32 v17, 0
	v_lshl_add_u64 v[14:15], v[14:15], 0, v[16:17]
	global_load_dwordx4 v[14:17], v[14:15], off offset:128
.LBB2_41:
	s_or_b64 exec, exec, s[2:3]
	s_branch .LBB2_45
.LBB2_42:
                                        ; implicit-def: $vgpr5
                                        ; implicit-def: $vgpr9
                                        ; implicit-def: $vgpr13
                                        ; implicit-def: $vgpr17
	v_lshrrev_b32_e32 v35, 2, v47
	s_branch .LBB2_46
.LBB2_43:
                                        ; implicit-def: $vgpr5
                                        ; implicit-def: $vgpr9
                                        ; implicit-def: $vgpr13
                                        ; implicit-def: $vgpr17
	s_cbranch_execz .LBB2_45
; %bb.44:
	s_waitcnt vmcnt(0)
	v_mad_u64_u32 v[2:3], s[0:1], v20, s19, v[18:19]
	v_lshlrev_b32_e32 v20, 1, v2
	s_lshl_b32 s2, s19, 7
	s_and_b32 s1, s5, 0xffff
	s_mov_b32 s3, 0x20000
	s_mov_b32 s0, s4
	v_add_lshl_u32 v21, v2, s19, 1
	s_movk_i32 s19, 0x80
	buffer_load_dwordx4 v[2:5], v20, s[0:3], 0 offen
	buffer_load_dwordx4 v[10:13], v20, s[0:3], s19 offen
	;; [unrolled: 1-line block ×4, first 2 shown]
.LBB2_45:
	v_lshrrev_b32_e32 v35, 2, v47
	s_cbranch_execnz .LBB2_58
.LBB2_46:
	s_and_b64 vcc, exec, s[6:7]
	s_cbranch_vccz .LBB2_56
; %bb.47:
	s_waitcnt vmcnt(0)
	v_lshlrev_b32_e32 v7, 1, v30
	v_cmp_gt_i32_e32 vcc, s44, v7
	v_mov_b32_e32 v6, 0
	v_lshlrev_b32_e32 v14, 9, v30
	v_mov_b32_e32 v2, 0
	v_mov_b32_e32 v3, 0
	;; [unrolled: 1-line block ×4, first 2 shown]
	s_and_saveexec_b64 s[0:1], vcc
	s_cbranch_execz .LBB2_49
; %bb.48:
	v_mov_b32_e32 v15, 0
	v_lshl_add_u64 v[2:3], s[4:5], 0, v[14:15]
	v_lshlrev_b32_e32 v4, 1, v18
	v_mov_b32_e32 v5, v15
	v_lshl_add_u64 v[2:3], v[2:3], 0, v[4:5]
	global_load_dwordx4 v[2:5], v[2:3], off
.LBB2_49:
	s_or_b64 exec, exec, s[0:1]
	v_or_b32_e32 v7, 1, v7
	v_cmp_gt_i32_e64 s[0:1], s44, v7
	v_lshlrev_b32_e32 v20, 8, v7
	v_mov_b32_e32 v7, 0
	v_mov_b32_e32 v8, 0
	;; [unrolled: 1-line block ×3, first 2 shown]
	s_and_saveexec_b64 s[2:3], s[0:1]
	s_cbranch_execz .LBB2_51
; %bb.50:
	v_mov_b32_e32 v21, 0
	v_lshl_add_u64 v[6:7], s[4:5], 0, v[20:21]
	v_lshlrev_b32_e32 v8, 1, v18
	v_mov_b32_e32 v9, v21
	v_lshl_add_u64 v[6:7], v[6:7], 0, v[8:9]
	global_load_dwordx4 v[6:9], v[6:7], off
.LBB2_51:
	s_or_b64 exec, exec, s[2:3]
	v_mov_b32_e32 v17, 0
	v_mov_b32_e32 v10, 0
	;; [unrolled: 1-line block ×5, first 2 shown]
	s_and_saveexec_b64 s[2:3], vcc
	s_cbranch_execz .LBB2_53
; %bb.52:
	v_mov_b32_e32 v15, 0
	v_lshl_add_u64 v[10:11], s[4:5], 0, v[14:15]
	v_lshlrev_b32_e32 v14, 1, v18
	v_lshl_add_u64 v[10:11], v[10:11], 0, v[14:15]
	global_load_dwordx4 v[10:13], v[10:11], off offset:128
.LBB2_53:
	s_or_b64 exec, exec, s[2:3]
	v_mov_b32_e32 v16, 0
	v_mov_b32_e32 v15, 0
	;; [unrolled: 1-line block ×3, first 2 shown]
	s_and_saveexec_b64 s[2:3], s[0:1]
	s_cbranch_execz .LBB2_55
; %bb.54:
	v_mov_b32_e32 v21, 0
	v_lshl_add_u64 v[14:15], s[4:5], 0, v[20:21]
	v_lshlrev_b32_e32 v20, 1, v18
	v_lshl_add_u64 v[14:15], v[14:15], 0, v[20:21]
	global_load_dwordx4 v[14:17], v[14:15], off offset:128
.LBB2_55:
	s_or_b64 exec, exec, s[2:3]
	s_branch .LBB2_58
.LBB2_56:
                                        ; implicit-def: $vgpr5
                                        ; implicit-def: $vgpr9
                                        ; implicit-def: $vgpr13
                                        ; implicit-def: $vgpr17
	s_cbranch_execz .LBB2_58
; %bb.57:
	s_waitcnt vmcnt(0)
	v_lshlrev_b32_e32 v2, 1, v18
	v_lshl_or_b32 v18, v30, 9, v2
	s_and_b32 s5, s5, 0xffff
	s_mov_b32 s7, 0x20000
	s_movk_i32 s6, 0x4000
	s_movk_i32 s0, 0x80
	buffer_load_dwordx4 v[2:5], v18, s[4:7], 0 offen
	buffer_load_dwordx4 v[6:9], v18, s[4:7], 0 offen offset:256
	buffer_load_dwordx4 v[10:13], v18, s[4:7], s0 offen
	buffer_load_dwordx4 v[14:17], v18, s[4:7], s0 offen offset:256
.LBB2_58:
	ds_read_b64 v[20:21], v31 offset:57344
	v_add_u32_e32 v18, 0x6000, v26
	ds_read2_b64 v[36:39], v18 offset1:16
	ds_read_b64 v[94:95], v32 offset:57344
	ds_read_b64 v[96:97], v33 offset:57344
	;; [unrolled: 1-line block ×3, first 2 shown]
	v_and_b32_e32 v31, 6, v0
	v_xor_b32_e32 v30, v30, v31
	v_lshlrev_b32_e32 v30, 2, v30
	s_mov_b32 s0, 0x1000504
	s_mov_b32 s1, 0x3020706
	s_waitcnt lgkmcnt(3)
	v_mfma_f32_16x16x16_bf16 a[0:3], v[20:21], v[36:37], a[0:3]
	v_mfma_f32_16x16x16_bf16 a[4:7], v[20:21], v[38:39], a[4:7]
	ds_read2_b64 v[36:39], v18 offset0:32 offset1:48
	v_and_b32_e32 v18, 12, v35
	ds_read2st64_b64 v[32:35], v26 offset0:52 offset1:56
	s_waitcnt lgkmcnt(1)
	v_mfma_f32_16x16x16_bf16 a[8:11], v[20:21], v[36:37], a[8:11]
	v_mfma_f32_16x16x16_bf16 a[12:15], v[20:21], v[38:39], a[12:15]
	ds_read2st64_b64 v[36:39], v27 offset0:52 offset1:56
	ds_read2st64_b64 v[40:43], v28 offset0:52 offset1:56
	;; [unrolled: 1-line block ×3, first 2 shown]
	s_waitcnt lgkmcnt(3)
	v_mfma_f32_16x16x16_bf16 a[0:3], v[94:95], v[32:33], a[0:3]
	ds_read_b64 v[20:21], v26 offset:30720
	ds_read_b64 v[32:33], v27 offset:30720
	;; [unrolled: 1-line block ×4, first 2 shown]
	s_waitcnt lgkmcnt(6)
	v_mfma_f32_16x16x16_bf16 a[4:7], v[94:95], v[36:37], a[4:7]
	v_and_b32_e32 v36, 1, v0
	v_xor_b32_e32 v37, 0x440, v30
	v_cmp_eq_u32_e32 vcc, 0, v36
	s_waitcnt lgkmcnt(5)
	v_mfma_f32_16x16x16_bf16 a[8:11], v[94:95], v[40:41], a[8:11]
	v_cndmask_b32_e32 v30, v37, v30, vcc
	v_lshl_or_b32 v30, v31, 10, v30
	s_waitcnt lgkmcnt(4)
	v_mfma_f32_16x16x16_bf16 a[12:15], v[94:95], v[90:91], a[12:15]
	s_waitcnt vmcnt(0)
	v_perm_b32 v31, v2, v6, s0
	v_perm_b32 v2, v2, v6, s1
	;; [unrolled: 1-line block ×3, first 2 shown]
	v_mfma_f32_16x16x16_bf16 a[0:3], v[96:97], v[34:35], a[0:3]
	v_perm_b32 v34, v10, v14, s0
	ds_write2st64_b32 v30, v31, v34 offset0:128 offset1:160
	v_xor_b32_e32 v31, 8, v30
	v_add_u32_e32 v10, 0x80, v31
	ds_write2st64_b32 v10, v2, v6 offset0:128 offset1:160
	v_xor_b32_e32 v2, 16, v30
	v_perm_b32 v6, v3, v7, s0
	v_perm_b32 v10, v11, v15, s0
	v_mfma_f32_16x16x16_bf16 a[4:7], v[96:97], v[38:39], a[4:7]
	ds_write2st64_b32 v2, v6, v10 offset0:129 offset1:161
	v_xor_b32_e32 v2, 24, v30
	v_perm_b32 v3, v3, v7, s1
	v_mfma_f32_16x16x16_bf16 a[16:19], v[96:97], v[42:43], a[8:11]
	v_perm_b32 v6, v11, v15, s1
	v_add_u32_e32 v2, 0x80, v2
	ds_write2st64_b32 v2, v3, v6 offset0:129 offset1:161
	v_mfma_f32_16x16x16_bf16 a[20:23], v[96:97], v[92:93], a[12:15]
	v_xor_b32_e32 v2, 32, v30
	v_perm_b32 v3, v4, v8, s0
	v_perm_b32 v6, v12, v16, s0
	ds_write2st64_b32 v2, v3, v6 offset0:130 offset1:162
	v_xor_b32_e32 v2, 40, v30
	s_waitcnt lgkmcnt(8)
	v_mfma_f32_16x16x16_bf16 a[12:15], v[98:99], v[20:21], a[0:3]
	v_perm_b32 v3, v4, v8, s1
	v_perm_b32 v4, v12, v16, s1
	v_add_u32_e32 v2, 0x80, v2
	s_waitcnt lgkmcnt(7)
	v_mfma_f32_16x16x16_bf16 a[8:11], v[98:99], v[32:33], a[4:7]
	ds_write2st64_b32 v2, v3, v4 offset0:130 offset1:162
	v_xor_b32_e32 v2, 48, v30
	v_perm_b32 v3, v5, v9, s0
	s_waitcnt lgkmcnt(7)
	v_mfma_f32_16x16x16_bf16 a[4:7], v[98:99], v[100:101], a[16:19]
	v_perm_b32 v4, v13, v17, s0
	ds_write2st64_b32 v2, v3, v4 offset0:131 offset1:163
	v_xor_b32_e32 v2, 56, v30
	s_waitcnt lgkmcnt(7)
	v_mfma_f32_16x16x16_bf16 a[0:3], v[98:99], v[102:103], a[20:23]
	v_or_b32_e32 v16, v18, v45
	v_perm_b32 v3, v5, v9, s1
	v_perm_b32 v4, v13, v17, s1
	v_add_u32_e32 v2, 0x80, v2
	v_cmp_gt_i32_e32 vcc, s44, v16
	v_mov_b32_e32 v17, 0
	v_mov_b32_e32 v21, 0
	ds_write2st64_b32 v2, v3, v4 offset0:131 offset1:163
	s_and_saveexec_b64 s[0:1], vcc
	s_cbranch_execz .LBB2_60
; %bb.59:
	v_add_u32_e32 v2, s34, v16
	v_ashrrev_i32_e32 v3, 31, v2
	v_mul_lo_u32 v4, v3, s22
	v_mul_lo_u32 v5, v2, s23
	v_mad_u64_u32 v[2:3], s[2:3], v2, s22, 0
	v_add3_u32 v3, v3, v5, v4
	v_lshl_add_u64 v[2:3], v[2:3], 2, s[10:11]
	global_load_dword v2, v[2:3], off
	s_waitcnt vmcnt(0)
	v_sub_f32_e32 v2, s16, v2
	v_exp_f32_e32 v21, v2
.LBB2_60:
	s_or_b64 exec, exec, s[0:1]
	v_or_b32_e32 v8, 1, v16
	v_cmp_gt_i32_e64 s[0:1], s44, v8
	s_and_saveexec_b64 s[2:3], s[0:1]
	s_cbranch_execz .LBB2_62
; %bb.61:
	v_add_u32_e32 v2, s34, v8
	v_ashrrev_i32_e32 v3, 31, v2
	v_mul_lo_u32 v4, v3, s22
	v_mul_lo_u32 v5, v2, s23
	v_mad_u64_u32 v[2:3], s[4:5], v2, s22, 0
	v_add3_u32 v3, v3, v5, v4
	v_lshl_add_u64 v[2:3], v[2:3], 2, s[10:11]
	global_load_dword v2, v[2:3], off
	s_waitcnt vmcnt(0)
	v_sub_f32_e32 v2, s16, v2
	v_exp_f32_e32 v17, v2
.LBB2_62:
	s_or_b64 exec, exec, s[2:3]
	v_or_b32_e32 v9, 2, v16
	v_cmp_gt_i32_e64 s[2:3], s44, v9
	v_mov_b32_e32 v20, 0
	v_mov_b32_e32 v30, 0
	s_and_saveexec_b64 s[4:5], s[2:3]
	s_cbranch_execz .LBB2_64
; %bb.63:
	v_add_u32_e32 v2, s34, v9
	v_ashrrev_i32_e32 v3, 31, v2
	v_mul_lo_u32 v4, v3, s22
	v_mul_lo_u32 v5, v2, s23
	v_mad_u64_u32 v[2:3], s[6:7], v2, s22, 0
	v_add3_u32 v3, v3, v5, v4
	v_lshl_add_u64 v[2:3], v[2:3], 2, s[10:11]
	global_load_dword v2, v[2:3], off
	s_waitcnt vmcnt(0)
	v_sub_f32_e32 v2, s16, v2
	v_exp_f32_e32 v30, v2
.LBB2_64:
	s_or_b64 exec, exec, s[4:5]
	v_or_b32_e32 v31, 3, v16
	v_cmp_gt_i32_e64 s[4:5], s44, v31
	s_and_saveexec_b64 s[6:7], s[4:5]
	s_cbranch_execz .LBB2_66
; %bb.65:
	v_add_u32_e32 v2, s34, v31
	v_ashrrev_i32_e32 v3, 31, v2
	v_mul_lo_u32 v4, v3, s22
	v_mul_lo_u32 v5, v2, s23
	v_mad_u64_u32 v[2:3], s[22:23], v2, s22, 0
	v_add3_u32 v3, v3, v5, v4
	v_lshl_add_u64 v[2:3], v[2:3], 2, s[10:11]
	global_load_dword v2, v[2:3], off
	s_waitcnt vmcnt(0)
	v_sub_f32_e32 v2, s16, v2
	v_exp_f32_e32 v20, v2
.LBB2_66:
	s_or_b64 exec, exec, s[6:7]
	s_add_u32 s6, s8, s28
	v_accvgpr_read_b32 v2, a12
	s_addc_u32 s7, s9, s29
	v_ashrrev_i32_e32 v89, 31, v88
	v_accvgpr_read_b32 v3, a13
	v_accvgpr_read_b32 v4, a14
	;; [unrolled: 1-line block ×3, first 2 shown]
	v_lshl_add_u64 v[6:7], v[88:89], 1, s[6:7]
	v_mov_b32_e32 v13, 0
	v_lshlrev_b32_e32 v10, 8, v16
	v_mov_b32_e32 v11, 0
	s_and_saveexec_b64 s[6:7], vcc
	s_cbranch_execz .LBB2_68
; %bb.67:
	v_mov_b32_e32 v11, 0
	v_lshl_add_u64 v[14:15], v[6:7], 0, v[10:11]
	global_load_ushort v11, v[14:15], off
	s_waitcnt vmcnt(0)
	v_lshlrev_b32_e32 v11, 16, v11
	v_sub_f32_e32 v2, v11, v2
	v_mul_f32_e32 v2, v21, v2
	v_lshrrev_b32_e32 v11, 16, v2
.LBB2_68:
	s_or_b64 exec, exec, s[6:7]
	v_lshlrev_b32_e32 v12, 8, v8
	s_and_saveexec_b64 s[6:7], s[0:1]
	s_cbranch_execz .LBB2_70
; %bb.69:
	v_mov_b32_e32 v13, 0
	v_lshl_add_u64 v[14:15], v[6:7], 0, v[12:13]
	global_load_ushort v2, v[14:15], off
	s_waitcnt vmcnt(0)
	v_lshlrev_b32_e32 v2, 16, v2
	v_sub_f32_e32 v2, v2, v3
	v_mul_f32_e32 v2, v17, v2
	v_lshrrev_b32_e32 v13, 16, v2
.LBB2_70:
	s_or_b64 exec, exec, s[6:7]
	v_mov_b32_e32 v32, 0
	v_lshlrev_b32_e32 v14, 8, v9
	v_mov_b32_e32 v15, 0
	s_and_saveexec_b64 s[6:7], s[2:3]
	s_cbranch_execz .LBB2_72
; %bb.71:
	v_mov_b32_e32 v15, 0
	v_lshl_add_u64 v[2:3], v[6:7], 0, v[14:15]
	global_load_ushort v2, v[2:3], off
	s_waitcnt vmcnt(0)
	v_lshlrev_b32_e32 v2, 16, v2
	v_sub_f32_e32 v2, v2, v4
	v_mul_f32_e32 v2, v30, v2
	v_lshrrev_b32_e32 v15, 16, v2
.LBB2_72:
	s_or_b64 exec, exec, s[6:7]
	v_lshlrev_b32_e32 v8, 8, v31
	s_and_saveexec_b64 s[6:7], s[4:5]
	s_cbranch_execz .LBB2_74
; %bb.73:
	v_mov_b32_e32 v9, 0
	v_lshl_add_u64 v[2:3], v[6:7], 0, v[8:9]
	global_load_ushort v2, v[2:3], off
	s_waitcnt vmcnt(0)
	v_lshlrev_b32_e32 v2, 16, v2
	v_sub_f32_e32 v2, v2, v5
	v_mul_f32_e32 v2, v20, v2
	v_lshrrev_b32_e32 v32, 16, v2
.LBB2_74:
	s_or_b64 exec, exec, s[6:7]
	v_lshlrev_b32_e32 v31, 6, v16
	v_accvgpr_read_b32 v2, a8
	s_mov_b32 s6, 0x5040100
	v_or_b32_e32 v9, v31, v24
	v_accvgpr_read_b32 v3, a9
	v_accvgpr_read_b32 v4, a10
	;; [unrolled: 1-line block ×3, first 2 shown]
	v_perm_b32 v33, v32, v15, s6
	v_perm_b32 v32, v13, v11, s6
	v_lshlrev_b32_e32 v9, 1, v9
	v_mov_b32_e32 v13, 0
	v_mov_b32_e32 v11, 0
	ds_write_b64 v9, v[32:33] offset:24576
	s_and_saveexec_b64 s[6:7], vcc
	s_cbranch_execz .LBB2_76
; %bb.75:
	v_mov_b32_e32 v11, 0
	v_lshl_add_u64 v[32:33], v[6:7], 0, v[10:11]
	global_load_ushort v9, v[32:33], off offset:32
	s_waitcnt vmcnt(0)
	v_lshlrev_b32_e32 v9, 16, v9
	v_sub_f32_e32 v2, v9, v2
	v_mul_f32_e32 v2, v21, v2
	v_lshrrev_b32_e32 v11, 16, v2
.LBB2_76:
	s_or_b64 exec, exec, s[6:7]
	s_and_saveexec_b64 s[6:7], s[0:1]
	s_cbranch_execz .LBB2_78
; %bb.77:
	v_mov_b32_e32 v13, 0
	v_lshl_add_u64 v[32:33], v[6:7], 0, v[12:13]
	global_load_ushort v2, v[32:33], off offset:32
	s_waitcnt vmcnt(0)
	v_lshlrev_b32_e32 v2, 16, v2
	v_sub_f32_e32 v2, v2, v3
	v_mul_f32_e32 v2, v17, v2
	v_lshrrev_b32_e32 v13, 16, v2
.LBB2_78:
	s_or_b64 exec, exec, s[6:7]
	v_mov_b32_e32 v9, 0
	v_mov_b32_e32 v15, 0
	s_and_saveexec_b64 s[6:7], s[2:3]
	s_cbranch_execz .LBB2_80
; %bb.79:
	v_mov_b32_e32 v15, 0
	v_lshl_add_u64 v[2:3], v[6:7], 0, v[14:15]
	global_load_ushort v2, v[2:3], off offset:32
	s_waitcnt vmcnt(0)
	v_lshlrev_b32_e32 v2, 16, v2
	v_sub_f32_e32 v2, v2, v4
	v_mul_f32_e32 v2, v30, v2
	v_lshrrev_b32_e32 v15, 16, v2
.LBB2_80:
	s_or_b64 exec, exec, s[6:7]
	s_and_saveexec_b64 s[6:7], s[4:5]
	s_cbranch_execz .LBB2_82
; %bb.81:
	v_mov_b32_e32 v9, 0
	v_lshl_add_u64 v[2:3], v[6:7], 0, v[8:9]
	global_load_ushort v2, v[2:3], off offset:32
	s_waitcnt vmcnt(0)
	v_lshlrev_b32_e32 v2, 16, v2
	v_sub_f32_e32 v2, v2, v5
	v_mul_f32_e32 v2, v20, v2
	v_lshrrev_b32_e32 v9, 16, v2
.LBB2_82:
	s_or_b64 exec, exec, s[6:7]
	s_mov_b32 s6, 0x5040100
	v_accvgpr_read_b32 v2, a4
	v_perm_b32 v33, v9, v15, s6
	v_or_b32_e32 v9, v31, v23
	v_accvgpr_read_b32 v3, a5
	v_accvgpr_read_b32 v4, a6
	;; [unrolled: 1-line block ×3, first 2 shown]
	v_perm_b32 v32, v13, v11, s6
	v_lshlrev_b32_e32 v9, 1, v9
	v_mov_b32_e32 v13, 0
	v_mov_b32_e32 v11, 0
	ds_write_b64 v9, v[32:33] offset:24576
	s_and_saveexec_b64 s[6:7], vcc
	s_cbranch_execz .LBB2_84
; %bb.83:
	v_mov_b32_e32 v11, 0
	v_lshl_add_u64 v[32:33], v[6:7], 0, v[10:11]
	global_load_ushort v9, v[32:33], off offset:64
	s_waitcnt vmcnt(0)
	v_lshlrev_b32_e32 v9, 16, v9
	v_sub_f32_e32 v2, v9, v2
	v_mul_f32_e32 v2, v21, v2
	v_lshrrev_b32_e32 v11, 16, v2
.LBB2_84:
	s_or_b64 exec, exec, s[6:7]
	s_and_saveexec_b64 s[6:7], s[0:1]
	s_cbranch_execz .LBB2_86
; %bb.85:
	v_mov_b32_e32 v13, 0
	v_lshl_add_u64 v[32:33], v[6:7], 0, v[12:13]
	global_load_ushort v2, v[32:33], off offset:64
	s_waitcnt vmcnt(0)
	v_lshlrev_b32_e32 v2, 16, v2
	v_sub_f32_e32 v2, v2, v3
	v_mul_f32_e32 v2, v17, v2
	v_lshrrev_b32_e32 v13, 16, v2
.LBB2_86:
	s_or_b64 exec, exec, s[6:7]
	v_mov_b32_e32 v9, 0
	v_mov_b32_e32 v15, 0
	s_and_saveexec_b64 s[6:7], s[2:3]
	s_cbranch_execz .LBB2_88
; %bb.87:
	v_mov_b32_e32 v15, 0
	v_lshl_add_u64 v[2:3], v[6:7], 0, v[14:15]
	global_load_ushort v2, v[2:3], off offset:64
	s_waitcnt vmcnt(0)
	v_lshlrev_b32_e32 v2, 16, v2
	v_sub_f32_e32 v2, v2, v4
	v_mul_f32_e32 v2, v30, v2
	v_lshrrev_b32_e32 v15, 16, v2
.LBB2_88:
	s_or_b64 exec, exec, s[6:7]
	s_and_saveexec_b64 s[6:7], s[4:5]
	s_cbranch_execz .LBB2_90
; %bb.89:
	v_mov_b32_e32 v9, 0
	v_lshl_add_u64 v[2:3], v[6:7], 0, v[8:9]
	global_load_ushort v2, v[2:3], off offset:64
	s_waitcnt vmcnt(0)
	v_lshlrev_b32_e32 v2, 16, v2
	v_sub_f32_e32 v2, v2, v5
	v_mul_f32_e32 v2, v20, v2
	v_lshrrev_b32_e32 v9, 16, v2
.LBB2_90:
	s_or_b64 exec, exec, s[6:7]
	s_mov_b32 s6, 0x5040100
	v_accvgpr_read_b32 v5, a3
	v_perm_b32 v33, v9, v15, s6
	v_or_b32_e32 v9, v31, v22
	v_accvgpr_read_b32 v4, a2
	v_accvgpr_read_b32 v3, a1
	;; [unrolled: 1-line block ×3, first 2 shown]
	v_perm_b32 v32, v13, v11, s6
	v_lshlrev_b32_e32 v9, 1, v9
	v_mov_b32_e32 v13, 0
	v_mov_b32_e32 v11, 0
	ds_write_b64 v9, v[32:33] offset:24576
	s_and_saveexec_b64 s[6:7], vcc
	s_cbranch_execz .LBB2_92
; %bb.91:
	v_mov_b32_e32 v11, 0
	v_lshl_add_u64 v[10:11], v[6:7], 0, v[10:11]
	global_load_ushort v9, v[10:11], off offset:96
	s_waitcnt vmcnt(0)
	v_lshlrev_b32_e32 v9, 16, v9
	v_sub_f32_e32 v2, v9, v2
	v_mul_f32_e32 v2, v21, v2
	v_lshrrev_b32_e32 v11, 16, v2
.LBB2_92:
	s_or_b64 exec, exec, s[6:7]
	s_and_saveexec_b64 s[6:7], s[0:1]
	s_cbranch_execz .LBB2_94
; %bb.93:
	v_mov_b32_e32 v13, 0
	v_lshl_add_u64 v[12:13], v[6:7], 0, v[12:13]
	global_load_ushort v2, v[12:13], off offset:96
	s_waitcnt vmcnt(0)
	v_lshlrev_b32_e32 v2, 16, v2
	v_sub_f32_e32 v2, v2, v3
	v_mul_f32_e32 v2, v17, v2
	v_lshrrev_b32_e32 v13, 16, v2
.LBB2_94:
	s_or_b64 exec, exec, s[6:7]
	v_mov_b32_e32 v9, 0
	v_mov_b32_e32 v12, 0
	s_and_saveexec_b64 s[0:1], s[2:3]
	s_cbranch_execz .LBB2_96
; %bb.95:
	v_mov_b32_e32 v15, 0
	v_lshl_add_u64 v[2:3], v[6:7], 0, v[14:15]
	global_load_ushort v2, v[2:3], off offset:96
	s_waitcnt vmcnt(0)
	v_lshlrev_b32_e32 v2, 16, v2
	v_sub_f32_e32 v2, v2, v4
	v_mul_f32_e32 v2, v30, v2
	v_lshrrev_b32_e32 v12, 16, v2
.LBB2_96:
	s_or_b64 exec, exec, s[0:1]
	v_or_b32_e32 v10, 0x6000, v26
	v_or_b32_e32 v2, 0x6000, v27
	v_or_b32_e32 v3, 0x6000, v28
	v_or_b32_e32 v4, 0x6000, v29
	s_and_saveexec_b64 s[0:1], s[4:5]
	s_cbranch_execz .LBB2_98
; %bb.97:
	v_mov_b32_e32 v9, 0
	v_lshl_add_u64 v[6:7], v[6:7], 0, v[8:9]
	global_load_ushort v6, v[6:7], off offset:96
	s_waitcnt vmcnt(0)
	v_lshlrev_b32_e32 v6, 16, v6
	v_sub_f32_e32 v5, v6, v5
	v_mul_f32_e32 v5, v20, v5
	v_lshrrev_b32_e32 v9, 16, v5
.LBB2_98:
	s_or_b64 exec, exec, s[0:1]
	s_mov_b32 s0, 0x5040100
	v_or_b32_e32 v5, v31, v19
	v_perm_b32 v7, v9, v12, s0
	v_perm_b32 v6, v13, v11, s0
	v_lshlrev_b32_e32 v5, 1, v5
	ds_write_b64 v5, v[6:7] offset:24576
	v_and_b32_e32 v5, 7, v0
	v_and_b32_e32 v11, 8, v0
	v_lshlrev_b32_e32 v17, 3, v5
	v_lshlrev_b32_e32 v19, 7, v5
	v_lshrrev_b32_e32 v5, 1, v0
	v_and_b32_e32 v5, 24, v5
	v_mov_b32_e32 v12, 0x400
	v_cmp_eq_u32_e32 vcc, 0, v11
	s_movk_i32 s2, 0x100
	v_lshlrev_b32_e32 v24, 3, v1
	v_cndmask_b32_e64 v11, v12, 64, vcc
	v_mov_b32_e32 v12, 0xa000
	v_mov_b32_e32 v13, 0x8000
	v_cmp_gt_u32_e64 s[0:1], s2, v0
	v_xor_b32_e32 v40, v24, v5
	s_waitcnt lgkmcnt(0)
	v_cndmask_b32_e64 v0, v12, v13, s[0:1]
	v_or_b32_e32 v12, 0x440, v40
	v_cndmask_b32_e32 v12, v12, v40, vcc
	v_or_b32_e32 v12, v12, v25
	v_xor_b32_e32 v44, v12, v17
	v_add3_u32 v12, v0, v44, v19
	s_barrier
	ds_read_b64 v[20:21], v12
	v_or_b32_e32 v12, 32, v5
	v_xor_b32_e32 v12, v24, v12
	v_or_b32_e32 v13, 0x440, v12
	v_cndmask_b32_e32 v12, v13, v12, vcc
	v_or_b32_e32 v12, v12, v25
	v_xor_b32_e32 v47, v12, v17
	v_add3_u32 v12, v0, v47, v19
	ds_read2_b64 v[6:9], v10 offset1:16
	ds_read_b64 v[38:39], v12
	ds_read2_b64 v[12:15], v10 offset0:32 offset1:48
	v_or3_b32 v11, v25, v11, v40
	v_xor_b32_e32 v11, v11, v17
	v_or_b32_e32 v88, v11, v19
	v_or_b32_e32 v11, v0, v88
	s_waitcnt lgkmcnt(2)
	v_mfma_f32_16x16x16_bf16 a[0:3], v[20:21], v[6:7], 0
	ds_read2st64_b64 v[26:29], v2 offset0:4 offset1:8
	v_or_b32_e32 v5, 0x60, v5
	v_xor_b32_e32 v5, v24, v5
	v_mfma_f32_16x16x16_bf16 a[4:7], v[20:21], v[8:9], 0
	s_mul_i32 s0, s18, s17
	s_mul_hi_i32 s1, s18, s17
	s_add_u32 s0, s0, s33
	s_waitcnt lgkmcnt(1)
	v_mfma_f32_16x16x16_bf16 a[8:11], v[20:21], v[12:13], 0
	s_addc_u32 s1, s1, s46
	s_lshl_b64 s[0:1], s[0:1], 9
	s_add_u32 s0, s20, s0
	v_mfma_f32_16x16x16_bf16 a[12:15], v[20:21], v[14:15], 0
	ds_read2st64_b64 v[20:23], v10 offset0:4 offset1:8
	ds_read2st64_b64 v[30:33], v3 offset0:4 offset1:8
	;; [unrolled: 1-line block ×3, first 2 shown]
	ds_read_b64 v[40:41], v11
	v_xor_b32_e32 v11, 0x440, v5
	v_cndmask_b32_e32 v5, v11, v5, vcc
	s_waitcnt lgkmcnt(3)
	v_mfma_f32_16x16x16_bf16 a[0:3], v[38:39], v[20:21], a[0:3]
	v_or_b32_e32 v5, v5, v25
	v_xor_b32_e32 v17, v5, v17
	v_add3_u32 v0, v0, v17, v19
	v_mfma_f32_16x16x16_bf16 a[4:7], v[38:39], v[26:27], a[4:7]
	ds_read_b64 v[24:25], v0
	s_addc_u32 s1, s21, s1
	v_lshlrev_b32_e32 v0, 2, v16
	s_waitcnt lgkmcnt(3)
	v_mfma_f32_16x16x16_bf16 a[8:11], v[38:39], v[30:31], a[8:11]
	ds_read_b64 v[10:11], v10 offset:6144
	v_add_u32_e32 v17, v17, v19
	s_waitcnt lgkmcnt(3)
	v_mfma_f32_16x16x16_bf16 a[12:15], v[38:39], v[34:35], a[12:15]
	s_waitcnt lgkmcnt(2)
	v_mfma_f32_16x16x16_bf16 a[0:3], v[40:41], v[22:23], a[0:3]
	v_mfma_f32_16x16x16_bf16 a[4:7], v[40:41], v[28:29], a[4:7]
	;; [unrolled: 1-line block ×4, first 2 shown]
	ds_read_b64 v[38:39], v2 offset:6144
	ds_read_b64 v[40:41], v3 offset:6144
	;; [unrolled: 1-line block ×3, first 2 shown]
	global_load_dwordx4 v[2:5], v0, s[0:1]
	v_add_u32_e32 v0, v44, v19
	ds_read_b64 v[44:45], v0 offset:40960
	v_lshlrev_b32_e32 v0, 6, v1
	v_lshlrev_b32_e32 v1, 2, v18
	v_or3_b32 v16, v0, v1, s2
	v_add_u32_e32 v0, v47, v19
	s_waitcnt lgkmcnt(4)
	v_mfma_f32_16x16x16_bf16 a[0:3], v[24:25], v[10:11], a[0:3]
	s_waitcnt vmcnt(0)
	v_exp_f32_e32 v2, v2
	s_waitcnt lgkmcnt(3)
	v_mfma_f32_16x16x16_bf16 a[4:7], v[24:25], v[38:39], a[4:7]
	v_exp_f32_e32 v3, v3
	v_exp_f32_e32 v4, v4
	;; [unrolled: 1-line block ×3, first 2 shown]
	s_waitcnt lgkmcnt(2)
	v_mfma_f32_16x16x16_bf16 a[8:11], v[24:25], v[40:41], a[8:11]
	s_waitcnt lgkmcnt(1)
	v_mfma_f32_16x16x16_bf16 a[12:15], v[24:25], v[42:43], a[12:15]
	ds_read_b64 v[0:1], v0 offset:40960
	ds_read_b64 v[24:25], v17 offset:40960
	global_load_dwordx4 v[16:19], v16, s[0:1]
	s_waitcnt lgkmcnt(2)
	v_mfma_f32_16x16x16_bf16 a[16:19], v[44:45], v[6:7], 0
	v_exp_f32_e32 v6, s16
	s_nop 0
	v_pk_mul_f32 v[2:3], v[6:7], v[2:3] op_sel_hi:[0,1]
	v_mfma_f32_16x16x16_bf16 a[24:27], v[44:45], v[12:13], 0
	v_accvgpr_read_b32 v13, a7
	v_accvgpr_read_b32 v12, a6
	v_pk_mul_f32 v[4:5], v[6:7], v[4:5] op_sel_hi:[0,1]
	s_waitcnt lgkmcnt(1)
	v_mfma_f32_16x16x16_bf16 a[16:19], v[0:1], v[20:21], a[16:19]
	ds_read_b64 v[20:21], v88 offset:40960
	v_pk_fma_f32 v[78:79], v[4:5], v[78:79], v[12:13]
	v_mfma_f32_16x16x16_bf16 a[20:23], v[44:45], v[8:9], 0
	v_accvgpr_read_b32 v9, a3
	v_accvgpr_read_b32 v8, a2
	v_pk_fma_f32 v[86:87], v[86:87], v[4:5], v[8:9]
	v_mfma_f32_16x16x16_bf16 a[28:31], v[44:45], v[14:15], 0
	v_accvgpr_read_b32 v15, a11
	v_accvgpr_read_b32 v14, a10
	;; [unrolled: 4-line block ×5, first 2 shown]
	v_pk_fma_f32 v[74:75], v[2:3], v[74:75], v[0:1]
	v_accvgpr_read_b32 v0, a8
	v_accvgpr_read_b32 v1, a9
	s_waitcnt lgkmcnt(0)
	v_mfma_f32_16x16x16_bf16 a[4:7], v[20:21], v[22:23], a[16:19]
	v_pk_fma_f32 v[66:67], v[2:3], v[66:67], v[0:1]
	v_accvgpr_read_b32 v0, a12
	v_accvgpr_read_b32 v1, a13
	v_mfma_f32_16x16x16_bf16 a[8:11], v[20:21], v[28:29], a[20:23]
	v_pk_fma_f32 v[58:59], v[2:3], v[58:59], v[0:1]
	s_waitcnt vmcnt(0)
	v_mov_b32_e32 v0, v17
	v_mfma_f32_16x16x16_bf16 a[12:15], v[20:21], v[32:33], a[24:27]
	v_mov_b32_e32 v1, v18
	v_mov_b32_e32 v2, v19
	v_exp_f32_e32 v9, v0
	v_exp_f32_e32 v0, v1
	;; [unrolled: 1-line block ×3, first 2 shown]
	v_mfma_f32_16x16x16_bf16 a[4:7], v[24:25], v[10:11], a[4:7]
	v_exp_f32_e32 v8, v16
	v_pk_mul_f32 v[0:1], v[6:7], v[0:1] op_sel_hi:[0,1]
	v_mfma_f32_16x16x16_bf16 a[0:3], v[20:21], v[36:37], a[0:3]
	v_pk_mul_f32 v[2:3], v[6:7], v[8:9] op_sel_hi:[0,1]
	v_mfma_f32_16x16x16_bf16 a[8:11], v[24:25], v[38:39], a[8:11]
	s_nop 1
	v_accvgpr_read_b32 v5, a7
	v_accvgpr_read_b32 v4, a6
	v_pk_fma_f32 v[84:85], v[84:85], v[0:1], v[4:5]
	v_mfma_f32_16x16x16_bf16 a[12:15], v[24:25], v[40:41], a[12:15]
	v_accvgpr_read_b32 v13, a5
	v_accvgpr_read_b32 v12, a4
	v_pk_fma_f32 v[80:81], v[80:81], v[2:3], v[12:13]
	v_mfma_f32_16x16x16_bf16 a[0:3], v[24:25], v[42:43], a[0:3]
	v_accvgpr_read_b32 v4, a8
	v_accvgpr_read_b32 v5, a9
	v_pk_fma_f32 v[72:73], v[2:3], v[72:73], v[4:5]
	v_accvgpr_read_b32 v4, a12
	v_accvgpr_read_b32 v5, a13
	v_pk_fma_f32 v[64:65], v[2:3], v[64:65], v[4:5]
	v_accvgpr_read_b32 v7, a11
	v_accvgpr_read_b32 v5, a1
	v_accvgpr_read_b32 v6, a10
	v_accvgpr_read_b32 v9, a15
	v_accvgpr_read_b32 v8, a14
	v_accvgpr_read_b32 v11, a3
	v_accvgpr_read_b32 v10, a2
	v_accvgpr_read_b32 v4, a0
	v_pk_fma_f32 v[76:77], v[0:1], v[76:77], v[6:7]
	v_pk_fma_f32 v[68:69], v[0:1], v[68:69], v[8:9]
	;; [unrolled: 1-line block ×4, first 2 shown]
.LBB2_99:
	s_add_u32 s0, s12, s14
	s_addc_u32 s1, s13, s15
	v_lshl_add_u64 v[0:1], v[48:49], 1, s[0:1]
	v_mov_b32_e32 v47, 0
	s_mov_b32 s2, 0x7060302
	v_lshl_add_u64 v[0:1], v[0:1], 0, v[46:47]
	v_perm_b32 v3, v87, v86, s2
	v_perm_b32 v2, v83, v82, s2
	global_store_dwordx2 v[0:1], v[2:3], off
	v_perm_b32 v3, v85, v84, s2
	v_perm_b32 v2, v81, v80, s2
	global_store_dwordx2 v[0:1], v[2:3], off offset:128
	v_lshl_add_u64 v[0:1], v[50:51], 1, s[0:1]
	v_lshl_add_u64 v[0:1], v[0:1], 0, v[46:47]
	v_perm_b32 v3, v79, v78, s2
	v_perm_b32 v2, v75, v74, s2
	global_store_dwordx2 v[0:1], v[2:3], off
	v_perm_b32 v3, v77, v76, s2
	v_perm_b32 v2, v73, v72, s2
	global_store_dwordx2 v[0:1], v[2:3], off offset:128
	v_lshl_add_u64 v[0:1], v[52:53], 1, s[0:1]
	;; [unrolled: 8-line block ×3, first 2 shown]
	v_lshl_add_u64 v[0:1], v[0:1], 0, v[46:47]
	v_perm_b32 v3, v63, v62, s2
	v_perm_b32 v2, v59, v58, s2
	global_store_dwordx2 v[0:1], v[2:3], off
	v_perm_b32 v3, v61, v60, s2
	v_perm_b32 v2, v57, v56, s2
	global_store_dwordx2 v[0:1], v[2:3], off offset:128
	s_endpgm
	.section	.rodata,"a",@progbits
	.p2align	6, 0x0
	.amdhsa_kernel _ZN12_GLOBAL__N_139chunk_gated_delta_rule_fwd_h_hip_kernelILi64ELb1ELb1ELb0ELb1ELb1ELb1ELb1ELb1EEEvPK12hip_bfloat16S3_S3_PKfS5_PKvPS1_S8_PvPKiSB_iiiiilll
		.amdhsa_group_segment_fixed_size 65536
		.amdhsa_private_segment_fixed_size 0
		.amdhsa_kernarg_size 136
		.amdhsa_user_sgpr_count 2
		.amdhsa_user_sgpr_dispatch_ptr 0
		.amdhsa_user_sgpr_queue_ptr 0
		.amdhsa_user_sgpr_kernarg_segment_ptr 1
		.amdhsa_user_sgpr_dispatch_id 0
		.amdhsa_user_sgpr_kernarg_preload_length 0
		.amdhsa_user_sgpr_kernarg_preload_offset 0
		.amdhsa_user_sgpr_private_segment_size 0
		.amdhsa_uses_dynamic_stack 0
		.amdhsa_enable_private_segment 0
		.amdhsa_system_sgpr_workgroup_id_x 1
		.amdhsa_system_sgpr_workgroup_id_y 1
		.amdhsa_system_sgpr_workgroup_id_z 0
		.amdhsa_system_sgpr_workgroup_info 0
		.amdhsa_system_vgpr_workitem_id 0
		.amdhsa_next_free_vgpr 240
		.amdhsa_next_free_sgpr 67
		.amdhsa_accum_offset 200
		.amdhsa_reserve_vcc 1
		.amdhsa_float_round_mode_32 0
		.amdhsa_float_round_mode_16_64 0
		.amdhsa_float_denorm_mode_32 3
		.amdhsa_float_denorm_mode_16_64 3
		.amdhsa_dx10_clamp 1
		.amdhsa_ieee_mode 1
		.amdhsa_fp16_overflow 0
		.amdhsa_tg_split 0
		.amdhsa_exception_fp_ieee_invalid_op 0
		.amdhsa_exception_fp_denorm_src 0
		.amdhsa_exception_fp_ieee_div_zero 0
		.amdhsa_exception_fp_ieee_overflow 0
		.amdhsa_exception_fp_ieee_underflow 0
		.amdhsa_exception_fp_ieee_inexact 0
		.amdhsa_exception_int_div_zero 0
	.end_amdhsa_kernel
	.section	.text._ZN12_GLOBAL__N_139chunk_gated_delta_rule_fwd_h_hip_kernelILi64ELb1ELb1ELb0ELb1ELb1ELb1ELb1ELb1EEEvPK12hip_bfloat16S3_S3_PKfS5_PKvPS1_S8_PvPKiSB_iiiiilll,"axG",@progbits,_ZN12_GLOBAL__N_139chunk_gated_delta_rule_fwd_h_hip_kernelILi64ELb1ELb1ELb0ELb1ELb1ELb1ELb1ELb1EEEvPK12hip_bfloat16S3_S3_PKfS5_PKvPS1_S8_PvPKiSB_iiiiilll,comdat
.Lfunc_end2:
	.size	_ZN12_GLOBAL__N_139chunk_gated_delta_rule_fwd_h_hip_kernelILi64ELb1ELb1ELb0ELb1ELb1ELb1ELb1ELb1EEEvPK12hip_bfloat16S3_S3_PKfS5_PKvPS1_S8_PvPKiSB_iiiiilll, .Lfunc_end2-_ZN12_GLOBAL__N_139chunk_gated_delta_rule_fwd_h_hip_kernelILi64ELb1ELb1ELb0ELb1ELb1ELb1ELb1ELb1EEEvPK12hip_bfloat16S3_S3_PKfS5_PKvPS1_S8_PvPKiSB_iiiiilll
                                        ; -- End function
	.section	.AMDGPU.csdata,"",@progbits
; Kernel info:
; codeLenInByte = 12556
; NumSgprs: 73
; NumVgprs: 198
; NumAgprs: 40
; TotalNumVgprs: 240
; ScratchSize: 0
; MemoryBound: 0
; FloatMode: 240
; IeeeMode: 1
; LDSByteSize: 65536 bytes/workgroup (compile time only)
; SGPRBlocks: 9
; VGPRBlocks: 29
; NumSGPRsForWavesPerEU: 73
; NumVGPRsForWavesPerEU: 240
; AccumOffset: 200
; Occupancy: 1
; WaveLimiterHint : 1
; COMPUTE_PGM_RSRC2:SCRATCH_EN: 0
; COMPUTE_PGM_RSRC2:USER_SGPR: 2
; COMPUTE_PGM_RSRC2:TRAP_HANDLER: 0
; COMPUTE_PGM_RSRC2:TGID_X_EN: 1
; COMPUTE_PGM_RSRC2:TGID_Y_EN: 1
; COMPUTE_PGM_RSRC2:TGID_Z_EN: 0
; COMPUTE_PGM_RSRC2:TIDIG_COMP_CNT: 0
; COMPUTE_PGM_RSRC3_GFX90A:ACCUM_OFFSET: 49
; COMPUTE_PGM_RSRC3_GFX90A:TG_SPLIT: 0
	.section	.text._ZN12_GLOBAL__N_139chunk_gated_delta_rule_fwd_h_hip_kernelILi64ELb1ELb0ELb1ELb1ELb1ELb1ELb1ELb1EEEvPK12hip_bfloat16S3_S3_PKfS5_PKvPS1_S8_PvPKiSB_iiiiilll,"axG",@progbits,_ZN12_GLOBAL__N_139chunk_gated_delta_rule_fwd_h_hip_kernelILi64ELb1ELb0ELb1ELb1ELb1ELb1ELb1ELb1EEEvPK12hip_bfloat16S3_S3_PKfS5_PKvPS1_S8_PvPKiSB_iiiiilll,comdat
	.globl	_ZN12_GLOBAL__N_139chunk_gated_delta_rule_fwd_h_hip_kernelILi64ELb1ELb0ELb1ELb1ELb1ELb1ELb1ELb1EEEvPK12hip_bfloat16S3_S3_PKfS5_PKvPS1_S8_PvPKiSB_iiiiilll ; -- Begin function _ZN12_GLOBAL__N_139chunk_gated_delta_rule_fwd_h_hip_kernelILi64ELb1ELb0ELb1ELb1ELb1ELb1ELb1ELb1EEEvPK12hip_bfloat16S3_S3_PKfS5_PKvPS1_S8_PvPKiSB_iiiiilll
	.p2align	8
	.type	_ZN12_GLOBAL__N_139chunk_gated_delta_rule_fwd_h_hip_kernelILi64ELb1ELb0ELb1ELb1ELb1ELb1ELb1ELb1EEEvPK12hip_bfloat16S3_S3_PKfS5_PKvPS1_S8_PvPKiSB_iiiiilll,@function
_ZN12_GLOBAL__N_139chunk_gated_delta_rule_fwd_h_hip_kernelILi64ELb1ELb0ELb1ELb1ELb1ELb1ELb1ELb1EEEvPK12hip_bfloat16S3_S3_PKfS5_PKvPS1_S8_PvPKiSB_iiiiilll: ; @_ZN12_GLOBAL__N_139chunk_gated_delta_rule_fwd_h_hip_kernelILi64ELb1ELb0ELb1ELb1ELb1ELb1ELb1ELb1EEEvPK12hip_bfloat16S3_S3_PKfS5_PKvPS1_S8_PvPKiSB_iiiiilll
; %bb.0:
	s_load_dwordx4 s[12:15], s[0:1], 0x5c
	s_load_dwordx4 s[4:7], s[0:1], 0x48
	s_abs_i32 s9, s3
	s_ashr_i32 s8, s3, 31
	v_and_b32_e32 v90, 15, v0
	s_waitcnt lgkmcnt(0)
	s_abs_i32 s10, s13
	v_cvt_f32_u32_e32 v1, s10
	s_sub_i32 s16, 0, s10
	s_ashr_i32 s11, s13, 31
	s_xor_b32 s8, s8, s11
	v_rcp_iflag_f32_e32 v1, v1
	v_lshrrev_b32_e32 v88, 6, v0
	v_bfe_u32 v89, v0, 4, 2
	v_mov_b32_e32 v7, 0
	v_mul_f32_e32 v1, 0x4f7ffffe, v1
	v_cvt_u32_f32_e32 v1, v1
	v_and_b32_e32 v45, 63, v0
	v_lshlrev_b32_e32 v91, 3, v0
	v_lshrrev_b32_e32 v92, 3, v45
	v_readfirstlane_b32 s17, v1
	s_mul_i32 s16, s16, s17
	s_mul_hi_u32 s16, s17, s16
	s_add_i32 s17, s17, s16
	s_mul_hi_u32 s16, s9, s17
	s_mul_i32 s17, s16, s10
	s_sub_i32 s9, s9, s17
	s_add_i32 s18, s16, 1
	s_sub_i32 s17, s9, s10
	s_cmp_ge_u32 s9, s10
	s_cselect_b32 s16, s18, s16
	s_cselect_b32 s9, s17, s9
	s_add_i32 s17, s16, 1
	s_cmp_ge_u32 s9, s10
	s_cselect_b32 s9, s17, s16
	s_xor_b32 s9, s9, s8
	s_sub_i32 s24, s9, s8
	s_mul_i32 s20, s24, s13
	s_ashr_i32 s25, s24, 31
	s_sub_i32 s49, s3, s20
	s_lshl_b64 s[8:9], s[24:25], 2
	s_add_u32 s4, s4, s8
	s_addc_u32 s5, s5, s9
	s_add_u32 s26, s6, s8
	s_addc_u32 s27, s7, s9
	s_abs_i32 s3, s14
	v_cvt_f32_u32_e32 v1, s3
	s_load_dwordx2 s[34:35], s[4:5], 0x0
	s_lshl_b32 s40, s2, 6
	s_ashr_i32 s2, s14, 31
	v_rcp_iflag_f32_e32 v1, v1
	s_xor_b32 s2, s11, s2
	s_waitcnt lgkmcnt(0)
	s_sub_i32 s52, s35, s34
	s_ashr_i32 s4, s52, 31
	v_mul_f32_e32 v1, 0x4f7ffffe, v1
	v_cvt_u32_f32_e32 v1, v1
	s_lshr_b32 s4, s4, 26
	s_add_i32 s4, s52, s4
	s_ashr_i32 s51, s4, 6
	s_sub_i32 s4, 0, s3
	v_readfirstlane_b32 s5, v1
	s_mul_i32 s4, s4, s5
	s_mul_hi_u32 s4, s5, s4
	s_add_i32 s5, s5, s4
	s_mul_hi_u32 s4, s10, s5
	s_mul_i32 s5, s4, s3
	s_sub_i32 s5, s10, s5
	s_add_i32 s6, s4, 1
	s_sub_i32 s7, s5, s3
	s_cmp_ge_u32 s5, s3
	s_cselect_b32 s4, s6, s4
	s_cselect_b32 s5, s7, s5
	s_add_i32 s6, s4, 1
	s_cmp_ge_u32 s5, s3
	s_cselect_b32 s3, s6, s4
	s_xor_b32 s3, s3, s2
	s_sub_i32 s2, s3, s2
	s_abs_i32 s3, s2
	v_cvt_f32_u32_e32 v1, s3
	s_sub_i32 s5, 0, s3
	s_abs_i32 s4, s49
	s_xor_b32 s2, s49, s2
	v_rcp_iflag_f32_e32 v1, v1
	s_ashr_i32 s2, s2, 31
	s_load_dwordx4 s[16:19], s[0:1], 0x28
	s_load_dwordx2 s[28:29], s[0:1], 0x38
	v_or_b32_e32 v46, s40, v90
	v_mul_f32_e32 v1, 0x4f7ffffe, v1
	v_cvt_u32_f32_e32 v1, v1
	v_lshlrev_b32_e32 v2, 7, v46
	v_or_b32_e32 v10, 0x800, v2
	v_ashrrev_i32_e32 v3, 31, v2
	v_readfirstlane_b32 s6, v1
	s_mul_i32 s5, s5, s6
	s_mul_hi_u32 s5, s6, s5
	s_add_i32 s6, s6, s5
	s_mul_hi_u32 s5, s4, s6
	s_mul_i32 s6, s5, s3
	s_sub_i32 s4, s4, s6
	s_add_i32 s6, s5, 1
	s_sub_i32 s7, s4, s3
	s_cmp_ge_u32 s4, s3
	s_cselect_b32 s5, s6, s5
	s_cselect_b32 s4, s7, s4
	s_add_i32 s6, s5, 1
	s_cmp_ge_u32 s4, s3
	s_cselect_b32 s3, s6, s5
	s_xor_b32 s3, s3, s2
	s_sub_i32 s53, s3, s2
	s_ashr_i32 s50, s49, 31
	s_mul_hi_i32 s3, s24, s13
	s_add_u32 s2, s20, s49
	s_addc_u32 s3, s3, s50
	s_lshl_b64 s[2:3], s[2:3], 15
	v_lshlrev_b32_e32 v1, 4, v88
	s_waitcnt lgkmcnt(0)
	s_add_u32 s2, s16, s2
	v_lshl_or_b32 v93, v89, 2, v1
	s_addc_u32 s3, s17, s3
	v_ashrrev_i32_e32 v11, 31, v10
	v_lshl_add_u64 v[4:5], v[2:3], 1, s[2:3]
	v_lshlrev_b32_e32 v6, 1, v93
	v_lshl_add_u64 v[10:11], v[10:11], 1, s[2:3]
	v_lshl_add_u64 v[4:5], v[4:5], 0, v[6:7]
	;; [unrolled: 1-line block ×3, first 2 shown]
	global_load_dwordx2 v[8:9], v[4:5], off
	v_or_b32_e32 v94, 64, v93
	global_load_dwordx2 v[4:5], v[4:5], off offset:128
	s_nop 0
	global_load_dwordx2 v[12:13], v[10:11], off
	global_load_dwordx2 v[14:15], v[10:11], off offset:128
	v_or_b32_e32 v10, 0x1000, v2
	v_or_b32_e32 v2, 0x1800, v2
	v_ashrrev_i32_e32 v11, 31, v10
	v_ashrrev_i32_e32 v3, 31, v2
	v_lshl_add_u64 v[10:11], v[10:11], 1, s[2:3]
	v_lshl_add_u64 v[2:3], v[2:3], 1, s[2:3]
	;; [unrolled: 1-line block ×4, first 2 shown]
	global_load_dwordx2 v[16:17], v[10:11], off
	s_mul_hi_i32 s54, s49, s12
	global_load_dwordx2 v[10:11], v[10:11], off offset:128
	s_nop 0
	global_load_dwordx2 v[6:7], v[2:3], off
	global_load_dwordx2 v[18:19], v[2:3], off offset:128
	s_load_dwordx8 s[4:11], s[0:1], 0x0
	s_load_dwordx2 s[30:31], s[0:1], 0x80
	s_load_dwordx4 s[20:23], s[0:1], 0x70
	s_load_dword s56, s[26:27], 0x0
	s_mul_i32 s55, s49, s12
	s_cmp_lt_i32 s52, 64
	s_waitcnt lgkmcnt(0)
	s_mul_i32 s33, s24, s21
	s_mul_hi_u32 s44, s24, s20
	s_mul_i32 s45, s25, s20
	s_mul_i32 s38, s24, s20
	;; [unrolled: 1-line block ×3, first 2 shown]
	s_mul_hi_u32 s47, s49, s22
	s_mul_i32 s48, s50, s22
	s_mul_i32 s36, s49, s22
	s_waitcnt vmcnt(7)
	v_and_b32_e32 v75, 0xffff0000, v8
	v_lshlrev_b32_e32 v74, 16, v8
	v_and_b32_e32 v79, 0xffff0000, v9
	v_lshlrev_b32_e32 v78, 16, v9
	s_waitcnt vmcnt(6)
	v_and_b32_e32 v73, 0xffff0000, v4
	v_lshlrev_b32_e32 v72, 16, v4
	v_and_b32_e32 v77, 0xffff0000, v5
	v_lshlrev_b32_e32 v76, 16, v5
	;; [unrolled: 5-line block ×8, first 2 shown]
	s_cbranch_scc1 .LBB3_18
; %bb.1:
	s_ashr_i32 s3, s34, 31
	s_add_u32 s2, s55, s34
	s_addc_u32 s3, s54, s3
	s_lshl_b64 s[2:3], s[2:3], 8
	v_and_b32_e32 v96, 56, v91
	s_add_u32 s20, s6, s2
	v_lshl_or_b32 v95, v88, 3, v92
	v_lshlrev_b32_e32 v2, 1, v96
	s_addc_u32 s2, s7, s3
	v_lshl_or_b32 v97, v95, 8, v2
	s_and_b32 s21, s2, 0xffff
	s_mov_b32 s23, 0x20000
	s_movk_i32 s22, 0x4000
	s_movk_i32 s2, 0x80
	v_or_b32_e32 v98, 0x2000, v97
	buffer_load_dwordx4 v[4:7], v97, s[20:23], 0 offen
	buffer_load_dwordx4 v[8:11], v97, s[20:23], s2 offen
	;; [unrolled: 1-line block ×4, first 2 shown]
	v_lshlrev_b32_e32 v3, 3, v95
	v_and_or_b32 v21, v0, 7, v3
	v_and_b32_e32 v3, 0x78, v3
	v_lshlrev_b32_e32 v21, 4, v21
	v_xor_b32_e32 v99, v21, v3
	v_mul_lo_u32 v20, v95, s15
	v_or_b32_e32 v100, 0x1000, v99
	v_xor_b32_e32 v3, 8, v99
	s_cmpk_eq_i32 s15, 0x80
	s_mov_b32 s57, s34
	v_xor_b32_e32 v21, 8, v100
	s_cselect_b64 s[2:3], -1, 0
	s_cmpk_lg_i32 s15, 0x80
	s_waitcnt vmcnt(3)
	ds_write_b64 v99, v[4:5] offset:49152
	ds_write_b64 v3, v[6:7] offset:49152
	s_waitcnt vmcnt(2)
	ds_write_b64 v99, v[8:9] offset:57344
	ds_write_b64 v3, v[10:11] offset:57344
	;; [unrolled: 3-line block ×4, first 2 shown]
	v_lshl_add_u32 v3, v20, 1, v96
	s_cbranch_scc0 .LBB3_3
; %bb.2:
	v_lshlrev_b32_e32 v5, 1, v3
	v_add_lshl_u32 v4, v3, s15, 1
	s_lshl_b32 s22, s15, 7
	s_load_dwordx2 s[16:17], s[0:1], 0x20
	v_lshl_or_b32 v2, v95, 9, v2
	s_cbranch_execz .LBB3_4
	s_branch .LBB3_5
.LBB3_3:
                                        ; implicit-def: $vgpr4
                                        ; implicit-def: $vgpr5
                                        ; implicit-def: $sgpr22
	s_load_dwordx2 s[16:17], s[0:1], 0x20
	v_lshl_or_b32 v2, v95, 9, v2
.LBB3_4:
	v_or_b32_e32 v4, 0x100, v2
	s_movk_i32 s22, 0x4000
	v_mov_b32_e32 v5, v2
.LBB3_5:
	s_mul_i32 s0, s34, s14
	s_ashr_i32 s58, s53, 31
	s_mul_hi_i32 s1, s34, s14
	s_add_u32 s0, s0, s53
	s_addc_u32 s1, s1, s58
	s_lshl_b64 s[0:1], s[0:1], 8
	s_add_u32 s20, s4, s0
	s_addc_u32 s0, s5, s1
	s_and_b32 s21, s0, 0xffff
	s_movk_i32 s59, 0x80
	buffer_load_dwordx4 v[6:9], v5, s[20:23], 0 offen
	buffer_load_dwordx4 v[10:13], v5, s[20:23], s59 offen
	;; [unrolled: 1-line block ×4, first 2 shown]
	v_and_b32_e32 v5, 6, v0
	v_lshlrev_b32_e32 v4, 7, v93
	v_xor_b32_e32 v27, v95, v5
	v_and_b32_e32 v22, 1, v0
	v_lshl_or_b32 v30, v90, 3, v4
	v_lshlrev_b32_e32 v27, 2, v27
	v_lshlrev_b32_e32 v23, 2, v90
	v_or_b32_e32 v101, 0x4000, v30
	v_or_b32_e32 v102, 0x6000, v30
	v_xor_b32_e32 v30, 0x440, v27
	v_cmp_eq_u32_e32 vcc, 0, v22
	v_or_b32_e32 v25, 16, v90
	v_or_b32_e32 v26, 32, v90
	v_xor_b32_e32 v28, v93, v23
	v_xor_b32_e32 v29, v94, v23
	v_cndmask_b32_e32 v22, v30, v27, vcc
	s_mov_b32 s60, 0x1000504
	v_lshl_or_b32 v31, v25, 3, v4
	v_lshlrev_b32_e32 v25, 8, v25
	v_lshl_or_b32 v32, v26, 3, v4
	v_lshlrev_b32_e32 v28, 1, v28
	v_lshlrev_b32_e32 v29, 1, v29
	v_lshl_or_b32 v5, v5, 10, v22
	s_add_i32 s0, s44, s33
	s_mov_b32 s61, 0x3020706
	v_lshlrev_b32_e32 v24, 8, v90
	v_or_b32_e32 v105, 0x4000, v32
	v_or_b32_e32 v106, 0x6000, v32
	;; [unrolled: 1-line block ×4, first 2 shown]
	v_xor_b32_e32 v22, 8, v5
	v_xor_b32_e32 v25, 24, v5
	;; [unrolled: 1-line block ×4, first 2 shown]
	s_add_i32 s39, s0, s45
	s_add_i32 s0, s47, s46
	v_or_b32_e32 v103, 0x4000, v31
	v_or_b32_e32 v104, 0x6000, v31
	;; [unrolled: 1-line block ×4, first 2 shown]
	v_xor_b32_e32 v24, 16, v5
	v_xor_b32_e32 v27, 32, v5
	;; [unrolled: 1-line block ×3, first 2 shown]
	v_add_u32_e32 v22, 0x80, v22
	v_add_u32_e32 v25, 0x80, v25
	;; [unrolled: 1-line block ×4, first 2 shown]
	s_add_i32 s37, s0, s48
	s_lshl_b64 s[0:1], s[38:39], 2
	s_add_u32 s20, s10, s0
	s_addc_u32 s21, s11, s1
	s_lshl_b64 s[0:1], s[36:37], 2
	s_add_u32 s42, s20, s0
	s_movk_i32 s0, 0xf8
	s_addc_u32 s43, s21, s1
	s_ashr_i32 s41, s40, 31
	s_lshl_b32 s26, s15, 7
	v_mov_b32_e32 v81, 0
	s_movk_i32 s20, 0x100
	v_lshlrev_b32_e32 v80, 4, v90
	v_ashrrev_i32_e32 v47, 31, v46
	v_lshlrev_b32_e32 v26, 8, v26
	s_mov_b32 s62, 0
	s_movk_i32 s22, 0x4000
	v_or_b32_e32 v111, v26, v28
	v_or_b32_e32 v112, v26, v29
	s_mov_b32 s37, 0x7060302
	s_movk_i32 s39, 0x2000
	s_waitcnt vmcnt(1)
	v_perm_b32 v33, v6, v14, s60
	s_waitcnt vmcnt(0)
	v_perm_b32 v34, v10, v18, s60
	v_perm_b32 v6, v6, v14, s61
	;; [unrolled: 1-line block ×15, first 2 shown]
	ds_write2st64_b32 v5, v33, v34 offset0:128 offset1:160
	ds_write2st64_b32 v22, v6, v10 offset0:128 offset1:160
	;; [unrolled: 1-line block ×8, first 2 shown]
	v_or_b32_e32 v5, 48, v90
	v_lshl_or_b32 v6, v5, 3, v4
	v_lshlrev_b32_e32 v5, 8, v5
	v_or_b32_e32 v115, v5, v28
	v_or_b32_e32 v116, v5, v29
	;; [unrolled: 1-line block ×3, first 2 shown]
	v_lshlrev_b32_e32 v5, 3, v5
	v_lshrrev_b32_e32 v7, 5, v45
	v_and_or_b32 v7, v5, s0, v7
	v_lshlrev_b32_e32 v7, 4, v7
	v_or_b32_e32 v113, 0x4000, v6
	v_or_b32_e32 v114, 0x6000, v6
	v_lshrrev_b32_e32 v6, 2, v45
	v_lshlrev_b32_e32 v9, 11, v88
	v_and_b32_e32 v5, 0x78, v5
	v_or_b32_e32 v13, 32, v7
	v_and_b32_e32 v8, 12, v6
	v_and_b32_e32 v6, 0x1000, v9
	v_xor_b32_e32 v10, v7, v5
	v_lshrrev_b32_e32 v11, 1, v45
	v_xor_b32_e32 v13, v13, v5
	v_or_b32_e32 v10, v10, v6
	v_and_b32_e32 v11, 8, v11
	v_or_b32_e32 v13, v13, v6
	v_xor_b32_e32 v117, v10, v11
	v_lshlrev_b32_e32 v10, 8, v89
	v_xor_b32_e32 v119, v13, v11
	v_or_b32_e32 v13, 64, v7
	v_or_b32_e32 v7, 0x60, v7
	;; [unrolled: 1-line block ×3, first 2 shown]
	v_xor_b32_e32 v13, v13, v5
	v_xor_b32_e32 v5, v7, v5
	s_lshl_b64 s[0:1], s[40:41], 8
	v_lshlrev_b32_e32 v12, 1, v12
	v_or_b32_e32 v13, v13, v6
	v_or_b32_e32 v5, v5, v6
	s_add_u32 s0, s18, s0
	v_lshlrev_b32_e32 v6, 1, v90
	v_lshlrev_b32_e32 v15, 2, v0
	v_or_b32_e32 v118, 0x4000, v12
	v_or_b32_e32 v120, 0x4080, v12
	;; [unrolled: 1-line block ×4, first 2 shown]
	v_xor_b32_e32 v123, v13, v11
	v_xor_b32_e32 v124, v5, v11
	v_or_b32_e32 v125, 0x6000, v12
	v_or_b32_e32 v126, 0x6080, v12
	;; [unrolled: 1-line block ×4, first 2 shown]
	v_lshlrev_b32_e32 v5, 1, v3
	v_add_lshl_u32 v3, v3, s15, 1
	v_or_b32_e32 v11, 0x100, v2
	v_lshrrev_b32_e32 v12, 4, v0
	s_addc_u32 s1, s19, s1
	v_or_b32_e32 v7, 1, v6
	v_lshrrev_b32_e32 v16, 1, v0
	v_and_or_b32 v10, v15, 60, v10
	v_xor_b32_e32 v13, v12, v6
	v_xor_b32_e32 v14, v7, v12
	v_lshl_add_u64 v[6:7], s[0:1], 0, v[80:81]
	v_and_b32_e32 v16, 24, v16
	v_lshlrev_b32_e32 v10, 1, v10
	v_cndmask_b32_e64 v135, v5, v2, s[2:3]
	v_cndmask_b32_e64 v136, v3, v11, s[2:3]
	v_mov_b32_e32 v3, 0xa000
	v_mov_b32_e32 v5, 0x8000
	v_cmp_gt_u32_e64 s[0:1], s20, v0
	v_lshlrev_b32_e32 v80, 8, v12
	v_or_b32_e32 v131, 0x6000, v10
	v_or_b32_e32 v15, 32, v16
	;; [unrolled: 1-line block ×6, first 2 shown]
	v_cndmask_b32_e64 v3, v3, v5, s[0:1]
	v_lshlrev_b32_e32 v5, 3, v88
	v_lshl_or_b32 v129, v13, 3, v80
	v_and_b32_e32 v13, 8, v0
	v_xor_b32_e32 v11, v5, v16
	v_xor_b32_e32 v15, v5, v15
	;; [unrolled: 1-line block ×3, first 2 shown]
	v_mov_b32_e32 v17, 0x400
	v_cmp_eq_u32_e32 vcc, 0, v13
	v_or_b32_e32 v16, 0x440, v11
	v_or_b32_e32 v18, 0x440, v15
	v_xor_b32_e32 v10, 0x440, v5
	v_and_b32_e32 v12, 7, v0
	v_cndmask_b32_e64 v13, v17, 64, vcc
	v_cndmask_b32_e32 v16, v16, v11, vcc
	v_cndmask_b32_e32 v15, v18, v15, vcc
	;; [unrolled: 1-line block ×3, first 2 shown]
	v_lshl_or_b32 v130, v14, 3, v80
	v_lshlrev_b32_e32 v14, 3, v12
	v_or_b32_e32 v16, v16, v9
	v_or_b32_e32 v15, v15, v9
	v_or3_b32 v11, v9, v13, v11
	v_or_b32_e32 v5, v5, v9
	v_lshlrev_b32_e32 v12, 7, v12
	v_xor_b32_e32 v16, v16, v14
	v_xor_b32_e32 v15, v15, v14
	v_xor_b32_e32 v11, v11, v14
	v_xor_b32_e32 v5, v5, v14
	v_or_b32_e32 v2, v1, v8
	v_add_u32_e32 v17, v3, v16
	v_add_u32_e32 v18, v3, v15
	v_or_b32_e32 v137, v11, v12
	v_add_u32_e32 v9, v3, v5
	v_or3_b32 v8, v1, v8, 64
	v_add_u32_e32 v13, 0xa000, v16
	v_add_u32_e32 v14, 0xa000, v15
	;; [unrolled: 1-line block ×3, first 2 shown]
	v_lshlrev_b64 v[10:11], 1, v[46:47]
	v_lshl_add_u64 v[82:83], s[8:9], 0, v[10:11]
	v_lshl_add_u64 v[84:85], s[28:29], 0, v[10:11]
	;; [unrolled: 1-line block ×3, first 2 shown]
	v_lshlrev_b32_e32 v80, 1, v4
	s_movk_i32 s41, 0x3000
	v_lshlrev_b32_e32 v47, 2, v2
	v_add_u32_e32 v138, v17, v12
	v_add_u32_e32 v139, v18, v12
	;; [unrolled: 1-line block ×4, first 2 shown]
	v_lshlrev_b32_e32 v142, 2, v8
	v_add_u32_e32 v143, v13, v12
	v_add_u32_e32 v144, v14, v12
	;; [unrolled: 1-line block ×3, first 2 shown]
	s_waitcnt lgkmcnt(0)
	s_barrier
.LBB3_6:                                ; =>This Inner Loop Header: Depth=1
	s_add_i32 s63, s62, 1
	s_cmp_lt_i32 s63, s51
	s_mov_b64 s[24:25], 0
	s_cselect_b64 s[2:3], -1, 0
	s_cmp_ge_i32 s63, s51
	s_mov_b64 s[20:21], 0
	s_cbranch_scc1 .LBB3_8
; %bb.7:                                ;   in Loop: Header=BB3_6 Depth=1
	s_add_i32 s0, s57, 64
	s_ashr_i32 s1, s0, 31
	s_add_u32 s0, s55, s0
	s_addc_u32 s1, s54, s1
	s_lshl_b64 s[0:1], s[0:1], 8
	s_add_u32 s20, s6, s0
	s_addc_u32 s21, s7, s1
.LBB3_8:                                ;   in Loop: Header=BB3_6 Depth=1
	v_cndmask_b32_e64 v2, 0, 1, s[2:3]
	v_cmp_ne_u32_e64 s[0:1], 1, v2
	s_andn2_b64 vcc, exec, s[2:3]
	s_cbranch_vccnz .LBB3_10
; %bb.9:                                ;   in Loop: Header=BB3_6 Depth=1
	s_add_i32 s2, s57, 64
	s_mul_hi_i32 s3, s2, s14
	s_mul_i32 s2, s2, s14
	s_add_u32 s2, s2, s53
	s_addc_u32 s3, s3, s58
	s_lshl_b64 s[2:3], s[2:3], 8
	s_add_u32 s24, s4, s2
	s_addc_u32 s25, s5, s3
.LBB3_10:                               ;   in Loop: Header=BB3_6 Depth=1
	v_perm_b32 v3, v79, v78, s37
	v_perm_b32 v2, v75, v74, s37
	v_perm_b32 v5, v77, v76, s37
	v_perm_b32 v4, v73, v72, s37
	ds_write_b64 v101, v[2:3]
	ds_write_b64 v102, v[4:5]
	ds_write_b64 v107, v[2:3]
	ds_write_b64 v108, v[4:5]
	v_perm_b32 v3, v71, v70, s37
	v_perm_b32 v2, v67, v66, s37
	v_perm_b32 v5, v69, v68, s37
	v_perm_b32 v4, v65, v64, s37
	ds_write_b64 v103, v[2:3]
	ds_write_b64 v104, v[4:5]
	ds_write_b64 v109, v[2:3]
	ds_write_b64 v110, v[4:5]
	;; [unrolled: 8-line block ×4, first 2 shown]
	s_waitcnt lgkmcnt(0)
	s_barrier
	ds_read_b64 v[6:7], v117 offset:49152
	ds_read2_b64 v[2:5], v118 offset1:16
	ds_read_b64 v[18:19], v120 offset:6144
	ds_read_b64 v[20:21], v118 offset:6144
	s_waitcnt lgkmcnt(2)
	v_mfma_f32_16x16x16_bf16 a[0:3], v[6:7], v[2:3], 0
	ds_read_b64 v[22:23], v119 offset:49152
	ds_read2st64_b64 v[10:13], v121 offset0:4 offset1:8
	ds_read2st64_b64 v[14:17], v122 offset0:4 offset1:8
	v_mfma_f32_16x16x16_bf16 a[4:7], v[6:7], v[4:5], 0
	ds_read2_b64 v[2:5], v118 offset0:32 offset1:48
	s_add_i32 s64, s57, 63
	s_ashr_i32 s2, s64, 31
	s_waitcnt lgkmcnt(0)
	v_mfma_f32_16x16x16_bf16 a[8:11], v[6:7], v[2:3], 0
	s_mul_i32 s3, s64, s31
	s_mul_hi_u32 s27, s64, s30
	s_add_i32 s3, s27, s3
	v_mfma_f32_16x16x16_bf16 a[12:15], v[6:7], v[4:5], 0
	ds_read2st64_b64 v[2:5], v118 offset0:4 offset1:8
	ds_read2st64_b64 v[6:9], v120 offset0:4 offset1:8
	s_mul_i32 s2, s2, s30
	s_waitcnt lgkmcnt(1)
	v_mfma_f32_16x16x16_bf16 a[0:3], v[22:23], v[2:3], a[0:3]
	s_add_i32 s3, s3, s2
	s_mul_i32 s2, s64, s30
	s_lshl_b64 s[2:3], s[2:3], 2
	s_waitcnt lgkmcnt(0)
	v_mfma_f32_16x16x16_bf16 a[4:7], v[22:23], v[6:7], a[4:7]
	s_add_u32 s2, s42, s2
	s_addc_u32 s3, s43, s3
	s_and_b64 vcc, exec, s[0:1]
	v_mfma_f32_16x16x16_bf16 a[8:11], v[22:23], v[10:11], a[8:11]
	ds_read_b64 v[2:3], v123 offset:49152
	ds_read_b64 v[6:7], v124 offset:49152
	ds_read_b64 v[10:11], v122 offset:6144
	v_mov_b32_e32 v148, 0
	v_mov_b32_e32 v147, 0
	v_mfma_f32_16x16x16_bf16 a[12:15], v[22:23], v[14:15], a[12:15]
	v_mov_b32_e32 v146, 0
	v_mov_b32_e32 v14, 0
	;; [unrolled: 1-line block ×3, first 2 shown]
	s_waitcnt lgkmcnt(2)
	v_mfma_f32_16x16x16_bf16 a[0:3], v[2:3], v[4:5], a[0:3]
	v_mov_b32_e32 v4, 0
	v_mov_b32_e32 v5, 0
	v_mfma_f32_16x16x16_bf16 a[16:19], v[2:3], v[8:9], a[4:7]
	v_mov_b32_e32 v8, 0
	v_mov_b32_e32 v9, 0
	;; [unrolled: 3-line block ×3, first 2 shown]
	v_mfma_f32_16x16x16_bf16 a[24:27], v[2:3], v[16:17], a[12:15]
	ds_read_b64 v[2:3], v121 offset:6144
	v_mov_b32_e32 v16, 0
	v_mov_b32_e32 v17, 0
	s_waitcnt lgkmcnt(2)
	v_mfma_f32_16x16x16_bf16 a[4:7], v[6:7], v[20:21], a[0:3]
	v_mfma_f32_16x16x16_bf16 a[8:11], v[6:7], v[18:19], a[16:19]
	s_waitcnt lgkmcnt(0)
	v_mfma_f32_16x16x16_bf16 a[12:15], v[6:7], v[2:3], a[20:23]
	v_mov_b32_e32 v2, 0
	v_mov_b32_e32 v3, 0
	v_mfma_f32_16x16x16_bf16 a[0:3], v[6:7], v[10:11], a[24:27]
	v_mov_b32_e32 v6, 0
	v_mov_b32_e32 v7, 0
	;; [unrolled: 1-line block ×4, first 2 shown]
	s_cbranch_vccnz .LBB3_12
; %bb.11:                               ;   in Loop: Header=BB3_6 Depth=1
	s_and_b32 s21, s21, 0xffff
	buffer_load_dwordx4 v[14:17], v97, s[20:23], 0 offen
	buffer_load_dwordx4 v[10:13], v97, s[20:23], s59 offen
	;; [unrolled: 1-line block ×4, first 2 shown]
	v_mov_b32_e32 v147, v99
	v_mov_b32_e32 v146, v100
.LBB3_12:                               ;   in Loop: Header=BB3_6 Depth=1
	ds_read_b64 v[30:31], v117 offset:57344
	ds_read2_b64 v[18:21], v125 offset1:16
	ds_read_b64 v[34:35], v119 offset:57344
	ds_read_b64 v[36:37], v123 offset:57344
	ds_read_b64 v[38:39], v124 offset:57344
	v_add_u32_e32 v32, s57, v93
	s_waitcnt lgkmcnt(3)
	v_mfma_f32_16x16x16_bf16 a[4:7], v[30:31], v[18:19], a[4:7]
	v_mfma_f32_16x16x16_bf16 a[8:11], v[30:31], v[20:21], a[8:11]
	ds_read2_b64 v[18:21], v125 offset0:32 offset1:48
	ds_read2st64_b64 v[22:25], v125 offset0:4 offset1:8
	ds_read2st64_b64 v[26:29], v126 offset0:4 offset1:8
	s_waitcnt lgkmcnt(2)
	v_mfma_f32_16x16x16_bf16 a[12:15], v[30:31], v[18:19], a[12:15]
	v_ashrrev_i32_e32 v18, 31, v32
	v_mul_lo_u32 v33, v18, s30
	v_mad_u64_u32 v[18:19], s[20:21], v32, s30, 0
	v_mfma_f32_16x16x16_bf16 a[0:3], v[30:31], v[20:21], a[0:3]
	v_mul_lo_u32 v20, v32, s31
	v_add3_u32 v19, v19, v20, v33
	v_add_u32_e32 v20, 1, v32
	v_ashrrev_i32_e32 v21, 31, v20
	s_waitcnt lgkmcnt(1)
	v_mfma_f32_16x16x16_bf16 a[4:7], v[34:35], v[22:23], a[4:7]
	v_mul_lo_u32 v22, v21, s30
	v_mul_lo_u32 v23, v20, s31
	v_mad_u64_u32 v[20:21], s[20:21], v20, s30, 0
	v_add3_u32 v21, v21, v23, v22
	v_add_u32_e32 v22, 2, v32
	v_ashrrev_i32_e32 v23, 31, v22
	v_mul_lo_u32 v30, v23, s30
	v_mul_lo_u32 v31, v22, s31
	v_mad_u64_u32 v[22:23], s[20:21], v22, s30, 0
	v_add3_u32 v23, v23, v31, v30
	v_add_u32_e32 v30, 3, v32
	v_ashrrev_i32_e32 v31, 31, v30
	v_mul_lo_u32 v32, v31, s30
	v_mul_lo_u32 v33, v30, s31
	v_mad_u64_u32 v[30:31], s[20:21], v30, s30, 0
	s_ashr_i32 s21, s57, 31
	s_add_u32 s20, s55, s57
	s_addc_u32 s21, s54, s21
	v_lshl_add_u64 v[18:19], v[18:19], 2, s[42:43]
	v_add3_u32 v31, v31, v33, v32
	s_lshl_b64 s[20:21], s[20:21], 8
	v_lshl_add_u64 v[20:21], v[20:21], 2, s[42:43]
	v_lshl_add_u64 v[22:23], v[22:23], 2, s[42:43]
	;; [unrolled: 1-line block ×3, first 2 shown]
	global_load_dword v40, v[18:19], off
	global_load_dword v41, v[20:21], off
	;; [unrolled: 1-line block ×4, first 2 shown]
	v_lshl_add_u64 v[18:19], v[82:83], 0, s[20:21]
	v_lshl_add_u64 v[22:23], v[18:19], 0, v[80:81]
	global_load_ushort v44, v[22:23], off offset:256
	global_load_ushort v149, v[22:23], off
	ds_read2st64_b64 v[18:21], v127 offset0:4 offset1:8
	global_load_ushort v150, v[22:23], off offset:768
	global_load_ushort v151, v[22:23], off offset:512
	ds_read2st64_b64 v[30:33], v128 offset0:4 offset1:8
	global_load_ushort v152, v[22:23], off offset:288
	global_load_ushort v153, v[22:23], off offset:32
	global_load_ushort v154, v[22:23], off offset:800
	global_load_ushort v155, v[22:23], off offset:544
	s_waitcnt lgkmcnt(2)
	v_mfma_f32_16x16x16_bf16 a[8:11], v[34:35], v[26:27], a[8:11]
	global_load_ushort v156, v[22:23], off offset:320
	global_load_ushort v157, v[22:23], off offset:64
	;; [unrolled: 1-line block ×4, first 2 shown]
	s_and_b64 vcc, exec, s[0:1]
	s_waitcnt lgkmcnt(1)
	v_mfma_f32_16x16x16_bf16 a[12:15], v[34:35], v[18:19], a[12:15]
	ds_read_b64 v[18:19], v125 offset:6144
	s_waitcnt lgkmcnt(1)
	v_mfma_f32_16x16x16_bf16 a[0:3], v[34:35], v[30:31], a[0:3]
	v_lshl_add_u64 v[30:31], v[84:85], 0, s[20:21]
	v_lshl_add_u64 v[30:31], v[30:31], 0, v[80:81]
	v_mfma_f32_16x16x16_bf16 a[4:7], v[36:37], v[24:25], a[4:7]
	v_mfma_f32_16x16x16_bf16 a[8:11], v[36:37], v[28:29], a[8:11]
	v_mfma_f32_16x16x16_bf16 a[12:15], v[36:37], v[20:21], a[12:15]
	v_mfma_f32_16x16x16_bf16 a[0:3], v[36:37], v[32:33], a[0:3]
	global_load_ushort v36, v[22:23], off offset:352
	global_load_ushort v37, v[22:23], off offset:96
	ds_read_b64 v[20:21], v126 offset:6144
	ds_read_b64 v[24:25], v127 offset:6144
	;; [unrolled: 1-line block ×3, first 2 shown]
	s_load_dword s2, s[2:3], 0x0
	global_load_ushort v160, v[22:23], off offset:864
	global_load_ushort v161, v[22:23], off offset:608
	s_waitcnt lgkmcnt(0)
	v_mfma_f32_16x16x16_bf16 a[4:7], v[38:39], v[18:19], a[4:7]
	s_waitcnt vmcnt(17)
	v_sub_f32_e32 v28, s2, v42
	v_mfma_f32_16x16x16_bf16 a[0:3], v[38:39], v[26:27], a[0:3]
	v_sub_f32_e32 v26, s2, v40
	v_sub_f32_e32 v27, s2, v41
	s_waitcnt vmcnt(16)
	v_sub_f32_e32 v29, s2, v43
	v_mfma_f32_16x16x16_bf16 a[8:11], v[38:39], v[20:21], a[8:11]
	v_exp_f32_e32 v26, v26
	v_exp_f32_e32 v27, v27
	;; [unrolled: 1-line block ×4, first 2 shown]
	v_accvgpr_read_b32 v35, a5
	s_waitcnt vmcnt(15)
	v_lshlrev_b32_e32 v33, 16, v44
	s_waitcnt vmcnt(14)
	v_lshlrev_b32_e32 v32, 16, v149
	v_accvgpr_read_b32 v34, a4
	v_accvgpr_read_b32 v19, a7
	;; [unrolled: 1-line block ×3, first 2 shown]
	v_pk_add_f32 v[32:33], v[32:33], v[34:35] neg_lo:[0,1] neg_hi:[0,1]
	s_waitcnt vmcnt(13)
	v_lshlrev_b32_e32 v35, 16, v150
	s_waitcnt vmcnt(12)
	v_lshlrev_b32_e32 v34, 16, v151
	v_pk_add_f32 v[18:19], v[34:35], v[18:19] neg_lo:[0,1] neg_hi:[0,1]
	global_store_short_d16_hi v[30:31], v32, off
	global_store_short_d16_hi v[30:31], v33, off offset:256
	global_store_short_d16_hi v[30:31], v18, off offset:512
	;; [unrolled: 1-line block ×3, first 2 shown]
	v_pk_mul_f32 v[32:33], v[26:27], v[32:33]
	v_pk_mul_f32 v[18:19], v[28:29], v[18:19]
	v_accvgpr_read_b32 v35, a9
	v_perm_b32 v32, v33, v32, s37
	v_perm_b32 v33, v19, v18, s37
	s_waitcnt vmcnt(15)
	v_lshlrev_b32_e32 v19, 16, v152
	s_waitcnt vmcnt(14)
	v_lshlrev_b32_e32 v18, 16, v153
	v_accvgpr_read_b32 v34, a8
	v_accvgpr_read_b32 v21, a11
	v_mfma_f32_16x16x16_bf16 a[12:15], v[38:39], v[24:25], a[12:15]
	v_accvgpr_read_b32 v20, a10
	v_pk_add_f32 v[18:19], v[18:19], v[34:35] neg_lo:[0,1] neg_hi:[0,1]
	s_waitcnt vmcnt(13)
	v_lshlrev_b32_e32 v35, 16, v154
	s_waitcnt vmcnt(12)
	v_lshlrev_b32_e32 v34, 16, v155
	v_pk_add_f32 v[20:21], v[34:35], v[20:21] neg_lo:[0,1] neg_hi:[0,1]
	global_store_short_d16_hi v[30:31], v18, off offset:32
	global_store_short_d16_hi v[30:31], v19, off offset:288
	;; [unrolled: 1-line block ×4, first 2 shown]
	v_pk_mul_f32 v[18:19], v[26:27], v[18:19]
	v_pk_mul_f32 v[20:21], v[28:29], v[20:21]
	v_accvgpr_read_b32 v23, a15
	v_perm_b32 v21, v21, v20, s37
	v_perm_b32 v20, v19, v18, s37
	ds_write2_b64 v102, v[32:33], v[20:21] offset1:16
	v_accvgpr_read_b32 v21, a13
	s_waitcnt vmcnt(15)
	v_lshlrev_b32_e32 v19, 16, v156
	s_waitcnt vmcnt(14)
	v_lshlrev_b32_e32 v18, 16, v157
	v_accvgpr_read_b32 v20, a12
	v_accvgpr_read_b32 v22, a14
	v_pk_add_f32 v[18:19], v[18:19], v[20:21] neg_lo:[0,1] neg_hi:[0,1]
	s_waitcnt vmcnt(13)
	v_lshlrev_b32_e32 v21, 16, v158
	s_waitcnt vmcnt(12)
	v_lshlrev_b32_e32 v20, 16, v159
	v_pk_add_f32 v[20:21], v[20:21], v[22:23] neg_lo:[0,1] neg_hi:[0,1]
	global_store_short_d16_hi v[30:31], v18, off offset:64
	global_store_short_d16_hi v[30:31], v19, off offset:320
	;; [unrolled: 1-line block ×4, first 2 shown]
	v_pk_mul_f32 v[18:19], v[26:27], v[18:19]
	v_pk_mul_f32 v[20:21], v[28:29], v[20:21]
	v_accvgpr_read_b32 v23, a1
	v_perm_b32 v18, v19, v18, s37
	v_perm_b32 v19, v21, v20, s37
	s_waitcnt vmcnt(15)
	v_lshlrev_b32_e32 v21, 16, v36
	s_waitcnt vmcnt(14)
	v_lshlrev_b32_e32 v20, 16, v37
	v_accvgpr_read_b32 v22, a0
	v_accvgpr_read_b32 v25, a3
	;; [unrolled: 1-line block ×3, first 2 shown]
	v_pk_add_f32 v[20:21], v[20:21], v[22:23] neg_lo:[0,1] neg_hi:[0,1]
	s_waitcnt vmcnt(13)
	v_lshlrev_b32_e32 v23, 16, v160
	s_waitcnt vmcnt(12)
	v_lshlrev_b32_e32 v22, 16, v161
	v_pk_add_f32 v[22:23], v[22:23], v[24:25] neg_lo:[0,1] neg_hi:[0,1]
	global_store_short_d16_hi v[30:31], v20, off offset:96
	global_store_short_d16_hi v[30:31], v21, off offset:352
	;; [unrolled: 1-line block ×4, first 2 shown]
	v_pk_mul_f32 v[20:21], v[26:27], v[20:21]
	v_pk_mul_f32 v[22:23], v[28:29], v[22:23]
	v_mov_b32_e32 v149, 0
	v_perm_b32 v23, v23, v22, s37
	v_perm_b32 v22, v21, v20, s37
	ds_write2_b64 v102, v[18:19], v[22:23] offset0:32 offset1:48
	v_mov_b32_e32 v18, 0
	v_mov_b32_e32 v19, 0
	;; [unrolled: 1-line block ×16, first 2 shown]
	s_cbranch_vccnz .LBB3_14
; %bb.13:                               ;   in Loop: Header=BB3_6 Depth=1
	s_and_b32 s25, s25, 0xffff
	s_mov_b32 s27, s23
	buffer_load_dwordx4 v[30:33], v135, s[24:27], 0 offen
	buffer_load_dwordx4 v[22:25], v135, s[24:27], s59 offen
	;; [unrolled: 1-line block ×4, first 2 shown]
	v_mov_b32_e32 v148, v96
	v_mov_b32_e32 v149, v95
.LBB3_14:                               ;   in Loop: Header=BB3_6 Depth=1
	s_waitcnt lgkmcnt(0)
	s_barrier
	ds_read_b64 v[42:43], v138
	ds_read2_b64 v[34:37], v131 offset1:16
	ds_read_b64 v[166:167], v139
	ds_read_b64 v[168:169], v140
	;; [unrolled: 1-line block ×3, first 2 shown]
	ds_read2_b64 v[38:41], v131 offset0:32 offset1:48
	ds_read2st64_b64 v[150:153], v131 offset0:4 offset1:8
	ds_read2st64_b64 v[154:157], v132 offset0:4 offset1:8
	;; [unrolled: 1-line block ×4, first 2 shown]
	s_waitcnt lgkmcnt(8)
	v_mfma_f32_16x16x16_bf16 a[0:3], v[42:43], v[34:35], 0
	s_add_i32 s3, s56, s62
	s_mul_hi_i32 s21, s3, s13
	s_mul_i32 s3, s3, s13
	v_mfma_f32_16x16x16_bf16 a[4:7], v[42:43], v[36:37], 0
	s_add_u32 s20, s3, s49
	s_addc_u32 s21, s21, s50
	s_lshl_b64 s[20:21], s[20:21], 15
	s_waitcnt lgkmcnt(4)
	v_mfma_f32_16x16x16_bf16 a[8:11], v[42:43], v[38:39], 0
	s_mul_i32 s24, s64, s13
	s_mul_hi_i32 s3, s64, s13
	s_add_u32 s24, s24, s49
	v_mfma_f32_16x16x16_bf16 a[12:15], v[42:43], v[40:41], 0
	ds_read_b64 v[42:43], v131 offset:6144
	ds_read_b64 v[178:179], v132 offset:6144
	;; [unrolled: 1-line block ×4, first 2 shown]
	s_addc_u32 s25, s3, s50
	s_waitcnt lgkmcnt(7)
	v_mfma_f32_16x16x16_bf16 a[0:3], v[166:167], v[150:151], a[0:3]
	s_lshl_b64 s[24:25], s[24:25], 9
	s_add_u32 s24, s16, s24
	s_addc_u32 s25, s17, s25
	s_waitcnt lgkmcnt(6)
	v_mfma_f32_16x16x16_bf16 a[4:7], v[166:167], v[154:155], a[4:7]
	v_lshl_add_u64 v[188:189], v[86:87], 0, s[20:21]
	s_waitcnt lgkmcnt(5)
	v_mfma_f32_16x16x16_bf16 a[8:11], v[166:167], v[158:159], a[8:11]
	s_waitcnt lgkmcnt(4)
	v_mfma_f32_16x16x16_bf16 a[12:15], v[166:167], v[162:163], a[12:15]
	ds_read_b64 v[166:167], v143
	ds_read_b64 v[176:177], v144
	;; [unrolled: 1-line block ×3, first 2 shown]
	s_waitcnt lgkmcnt(2)
	v_mfma_f32_16x16x16_bf16 a[16:19], v[166:167], v[34:35], 0
	v_mfma_f32_16x16x16_bf16 a[20:23], v[166:167], v[36:37], 0
	global_load_dwordx4 v[34:37], v142, s[24:25]
	v_mfma_f32_16x16x16_bf16 a[24:27], v[166:167], v[38:39], 0
	v_mfma_f32_16x16x16_bf16 a[28:31], v[166:167], v[40:41], 0
	global_load_dwordx4 v[38:41], v47, s[24:25]
	v_mfma_f32_16x16x16_bf16 a[0:3], v[168:169], v[152:153], a[0:3]
	v_mfma_f32_16x16x16_bf16 a[4:7], v[168:169], v[156:157], a[4:7]
	;; [unrolled: 1-line block ×8, first 2 shown]
	ds_read2st64_b64 v[166:169], v129 offset1:8
	ds_read2st64_b64 v[170:173], v130 offset1:8
	ds_read_b64 v[186:187], v137 offset:40960
	s_waitcnt lgkmcnt(2)
	v_mov_b32_e32 v174, v166
	v_mfma_f32_16x16x16_bf16 a[16:19], v[176:177], v[150:151], a[16:19]
	v_mov_b32_e32 v175, v167
	v_mfma_f32_16x16x16_bf16 a[20:23], v[176:177], v[154:155], a[20:23]
	v_mfma_f32_16x16x16_bf16 a[24:27], v[176:177], v[158:159], a[24:27]
	;; [unrolled: 1-line block ×3, first 2 shown]
	v_add_co_u32_e32 v162, vcc, s39, v188
	s_waitcnt lgkmcnt(1)
	v_mov_b32_e32 v176, v170
	s_waitcnt lgkmcnt(0)
	v_mfma_f32_16x16x16_bf16 a[16:19], v[186:187], v[152:153], a[16:19]
	ds_read2st64_b64 v[150:153], v129 offset0:16 offset1:24
	v_addc_co_u32_e32 v163, vcc, 0, v189, vcc
	v_mfma_f32_16x16x16_bf16 a[20:23], v[186:187], v[156:157], a[20:23]
	ds_read2st64_b64 v[154:157], v130 offset0:16 offset1:24
	v_mov_b32_e32 v177, v171
	v_mov_b32_e32 v170, v168
	v_mfma_f32_16x16x16_bf16 a[32:35], v[186:187], v[160:161], a[24:27]
	v_mov_b32_e32 v171, v169
	s_waitcnt lgkmcnt(0)
	v_mov_b32_e32 v160, v154
	v_mov_b32_e32 v161, v155
	v_mfma_f32_16x16x16_bf16 a[36:39], v[186:187], v[164:165], a[28:31]
	v_mov_b32_e32 v154, v152
	v_mov_b32_e32 v155, v153
	v_mov_b32_e32 v158, v150
	v_mfma_f32_16x16x16_bf16 a[24:27], v[184:185], v[42:43], a[16:19]
	v_add_co_u32_e32 v42, vcc, s41, v188
	v_mov_b32_e32 v159, v151
	v_mfma_f32_16x16x16_bf16 a[28:31], v[184:185], v[178:179], a[20:23]
	v_addc_co_u32_e32 v43, vcc, 0, v189, vcc
	global_store_dwordx4 v[42:43], v[154:157], off
	v_mfma_f32_16x16x16_bf16 a[16:19], v[184:185], v[180:181], a[32:35]
	s_waitcnt vmcnt(2)
	v_mov_b32_e32 v44, v37
	v_mov_b32_e32 v43, v36
	;; [unrolled: 1-line block ×3, first 2 shown]
	v_mfma_f32_16x16x16_bf16 a[20:23], v[184:185], v[182:183], a[36:39]
	s_and_b64 vcc, exec, s[0:1]
	global_store_dwordx4 v[188:189], v[174:177], off
	global_store_dwordx4 v[162:163], v[170:173], off offset:-4096
	global_store_dwordx4 v[162:163], v[158:161], off
	s_cbranch_vccnz .LBB3_16
; %bb.15:                               ;   in Loop: Header=BB3_6 Depth=1
	v_lshrrev_b32_e32 v35, 3, v148
	v_and_b32_e32 v35, 6, v35
	v_xor_b32_e32 v36, v35, v149
	v_lshlrev_b32_e32 v36, 2, v36
	v_and_b32_e32 v37, 8, v148
	v_xor_b32_e32 v148, 0x440, v36
	v_cmp_eq_u32_e32 vcc, 0, v37
	v_perm_b32 v37, v22, v18, s60
	s_nop 0
	v_cndmask_b32_e32 v36, v148, v36, vcc
	v_lshl_or_b32 v35, v35, 10, v36
	v_perm_b32 v36, v30, v26, s60
	s_barrier
	ds_write2st64_b32 v35, v36, v37 offset0:128 offset1:160
	v_xor_b32_e32 v36, 8, v35
	v_perm_b32 v26, v30, v26, s61
	v_perm_b32 v18, v22, v18, s61
	v_add_u32_e32 v22, 0x80, v36
	ds_write2st64_b32 v22, v26, v18 offset0:128 offset1:160
	v_xor_b32_e32 v18, 16, v35
	v_perm_b32 v22, v31, v27, s60
	v_perm_b32 v26, v23, v19, s60
	ds_write2st64_b32 v18, v22, v26 offset0:129 offset1:161
	v_xor_b32_e32 v18, 24, v35
	v_perm_b32 v22, v31, v27, s61
	v_perm_b32 v19, v23, v19, s61
	v_add_u32_e32 v18, 0x80, v18
	ds_write2st64_b32 v18, v22, v19 offset0:129 offset1:161
	v_xor_b32_e32 v18, 32, v35
	v_perm_b32 v19, v32, v28, s60
	v_perm_b32 v22, v24, v20, s60
	;; [unrolled: 9-line block ×3, first 2 shown]
	ds_write2st64_b32 v18, v19, v20 offset0:131 offset1:163
	v_xor_b32_e32 v18, 56, v35
	v_perm_b32 v19, v33, v29, s61
	v_perm_b32 v20, v25, v21, s61
	v_add_u32_e32 v18, 0x80, v18
	ds_write2st64_b32 v18, v19, v20 offset0:131 offset1:163
	ds_write_b64 v147, v[14:15] offset:49152
	v_xor_b32_e32 v14, 8, v147
	ds_write_b64 v14, v[16:17] offset:49152
	ds_write_b64 v147, v[10:11] offset:57344
	;; [unrolled: 1-line block ×4, first 2 shown]
	v_xor_b32_e32 v6, 8, v146
	ds_write_b64 v6, v[8:9] offset:49152
	ds_write_b64 v146, v[2:3] offset:57344
	;; [unrolled: 1-line block ×3, first 2 shown]
.LBB3_16:                               ;   in Loop: Header=BB3_6 Depth=1
	v_exp_f32_e32 v36, s2
	s_waitcnt vmcnt(4)
	v_exp_f32_e32 v38, v38
	v_exp_f32_e32 v39, v39
	;; [unrolled: 1-line block ×4, first 2 shown]
	v_accvgpr_read_b32 v5, a3
	v_accvgpr_read_b32 v4, a2
	;; [unrolled: 1-line block ×4, first 2 shown]
	v_pk_mul_f32 v[38:39], v[36:37], v[38:39] op_sel_hi:[0,1]
	v_pk_mul_f32 v[40:41], v[36:37], v[40:41] op_sel_hi:[0,1]
	v_pk_fma_f32 v[74:75], v[74:75], v[38:39], v[2:3]
	v_pk_fma_f32 v[78:79], v[78:79], v[40:41], v[4:5]
	v_exp_f32_e32 v2, v34
	v_exp_f32_e32 v3, v42
	v_exp_f32_e32 v4, v43
	v_exp_f32_e32 v5, v44
	v_accvgpr_read_b32 v9, a7
	v_accvgpr_read_b32 v13, a11
	;; [unrolled: 1-line block ×28, first 2 shown]
	v_pk_mul_f32 v[2:3], v[36:37], v[2:3] op_sel_hi:[0,1]
	v_pk_mul_f32 v[4:5], v[36:37], v[4:5] op_sel_hi:[0,1]
	s_add_i32 s57, s57, 64
	v_pk_fma_f32 v[66:67], v[38:39], v[66:67], v[6:7]
	v_pk_fma_f32 v[70:71], v[40:41], v[70:71], v[8:9]
	;; [unrolled: 1-line block ×13, first 2 shown]
	s_cmp_eq_u32 s51, s63
	v_pk_fma_f32 v[52:53], v[4:5], v[52:53], v[32:33]
	s_cbranch_scc1 .LBB3_18
; %bb.17:                               ;   in Loop: Header=BB3_6 Depth=1
	s_mov_b32 s62, s63
	s_branch .LBB3_6
.LBB3_18:
	s_lshl_b32 s26, s51, 6
	s_sub_i32 s27, s52, s26
	s_cmp_gt_i32 s27, 0
	s_cbranch_scc0 .LBB3_99
; %bb.19:
	s_add_i32 s26, s26, s34
	s_ashr_i32 s2, s26, 31
	s_cmpk_lg_i32 s15, 0x80
	s_cselect_b64 s[22:23], -1, 0
	s_and_b64 vcc, exec, s[22:23]
	s_cbranch_vccz .LBB3_21
; %bb.20:
	s_mul_i32 s1, s26, s14
	s_ashr_i32 s3, s53, 31
	s_mul_hi_i32 s0, s26, s14
	s_add_u32 s24, s1, s53
	s_addc_u32 s25, s0, s3
	s_cbranch_execz .LBB3_22
	s_branch .LBB3_23
.LBB3_21:
                                        ; implicit-def: $sgpr24_sgpr25
.LBB3_22:
	s_mul_i32 s1, s53, s12
	s_mul_hi_i32 s0, s53, s12
	s_add_u32 s24, s1, s26
	s_addc_u32 s25, s0, s2
.LBB3_23:
	s_add_i32 s3, s51, s56
	s_add_u32 s0, s55, s26
	v_lshlrev_b32_e32 v6, 6, v93
	v_lshlrev_b32_e32 v24, 2, v90
	s_addc_u32 s1, s54, s2
	s_mov_b32 s2, 0x7060302
	v_or_b32_e32 v9, v6, v24
	v_xor_b32_e32 v7, v93, v24
	v_perm_b32 v3, v79, v78, s2
	v_perm_b32 v2, v75, v74, s2
	;; [unrolled: 1-line block ×4, first 2 shown]
	v_lshlrev_b32_e32 v9, 1, v9
	v_xor_b32_e32 v8, v94, v24
	ds_write2st64_b64 v9, v[2:3], v[4:5] offset0:32 offset1:48
	v_lshlrev_b32_e32 v7, 1, v7
	v_lshlrev_b32_e32 v9, 8, v90
	v_or_b32_e32 v10, v7, v9
	v_lshlrev_b32_e32 v8, 1, v8
	ds_write_b64 v10, v[2:3]
	v_or_b32_e32 v2, v8, v9
	v_or_b32_e32 v9, 16, v90
	v_lshlrev_b32_e32 v23, 2, v9
	v_or_b32_e32 v10, v6, v23
	ds_write_b64 v2, v[4:5]
	v_perm_b32 v3, v71, v70, s2
	v_perm_b32 v2, v67, v66, s2
	;; [unrolled: 1-line block ×4, first 2 shown]
	v_lshlrev_b32_e32 v10, 1, v10
	v_lshlrev_b32_e32 v9, 8, v9
	ds_write2st64_b64 v10, v[2:3], v[4:5] offset0:32 offset1:48
	v_or_b32_e32 v10, v7, v9
	ds_write_b64 v10, v[2:3]
	v_or_b32_e32 v2, v8, v9
	v_or_b32_e32 v9, 32, v90
	v_lshlrev_b32_e32 v22, 2, v9
	v_or_b32_e32 v10, v6, v22
	s_lshl_b64 s[20:21], s[0:1], 8
	ds_write_b64 v2, v[4:5]
	v_perm_b32 v3, v63, v62, s2
	v_perm_b32 v2, v59, v58, s2
	;; [unrolled: 1-line block ×4, first 2 shown]
	v_lshlrev_b32_e32 v10, 1, v10
	v_lshlrev_b32_e32 v9, 8, v9
	s_add_u32 s0, s6, s20
	ds_write2st64_b64 v10, v[2:3], v[4:5] offset0:32 offset1:48
	v_or_b32_e32 v10, v7, v9
	s_addc_u32 s1, s7, s21
	ds_write_b64 v10, v[2:3]
	v_or_b32_e32 v2, v8, v9
	v_or_b32_e32 v9, 48, v90
	s_mul_hi_i32 s6, s3, s13
	s_mul_i32 s3, s3, s13
	ds_write_b64 v2, v[4:5]
	v_perm_b32 v3, v55, v54, s2
	v_perm_b32 v2, v51, v50, s2
	;; [unrolled: 1-line block ×4, first 2 shown]
	v_lshlrev_b32_e32 v19, 2, v9
	s_add_u32 s2, s3, s49
	v_or_b32_e32 v6, v6, v19
	s_addc_u32 s3, s6, s50
	v_lshlrev_b32_e32 v6, 1, v6
	s_ashr_i32 s41, s40, 31
	s_lshl_b64 s[2:3], s[2:3], 15
	ds_write2st64_b64 v6, v[2:3], v[4:5] offset0:32 offset1:48
	v_lshlrev_b32_e32 v6, 8, v9
	s_add_u32 s6, s18, s2
	v_or_b32_e32 v7, v7, v6
	s_addc_u32 s7, s19, s3
	s_lshl_b64 s[2:3], s[40:41], 8
	ds_write_b64 v7, v[2:3]
	v_or_b32_e32 v2, v8, v6
	s_add_u32 s2, s6, s2
	v_lshlrev_b32_e32 v3, 1, v90
	ds_write_b64 v2, v[4:5]
	v_lshrrev_b32_e32 v2, 4, v0
	s_addc_u32 s3, s7, s3
	v_or_b32_e32 v4, 1, v3
	v_lshlrev_b32_e32 v10, 4, v90
	v_mov_b32_e32 v11, 0
	v_xor_b32_e32 v3, v2, v3
	v_xor_b32_e32 v6, v4, v2
	v_lshl_add_u64 v[12:13], s[2:3], 0, v[10:11]
	v_lshlrev_b32_e32 v10, 8, v2
	v_lshl_or_b32 v16, v3, 3, v10
	v_lshl_or_b32 v17, v6, 3, v10
	s_waitcnt lgkmcnt(0)
	s_barrier
	ds_read2st64_b64 v[2:5], v16 offset1:8
	ds_read2st64_b64 v[6:9], v17 offset1:8
	v_lshl_add_u64 v[14:15], v[12:13], 0, v[10:11]
	s_movk_i32 s2, 0x2000
	s_cmp_lg_u32 s27, 64
	s_waitcnt lgkmcnt(1)
	v_mov_b32_e32 v10, v2
	v_mov_b32_e32 v11, v3
	s_waitcnt lgkmcnt(0)
	v_mov_b32_e32 v12, v6
	v_mov_b32_e32 v13, v7
	global_store_dwordx4 v[14:15], v[10:13], off
	v_mov_b32_e32 v6, v4
	v_mov_b32_e32 v7, v5
	ds_read2st64_b64 v[2:5], v16 offset0:16 offset1:24
	ds_read2st64_b64 v[10:13], v17 offset0:16 offset1:24
	v_add_co_u32_e32 v16, vcc, s2, v14
	s_cselect_b64 s[6:7], -1, 0
	s_nop 0
	v_addc_co_u32_e32 v17, vcc, 0, v15, vcc
	global_store_dwordx4 v[16:17], v[6:9], off offset:-4096
	v_lshl_or_b32 v25, v88, 3, v92
	s_mov_b32 s16, 0
	s_waitcnt lgkmcnt(1)
	v_mov_b32_e32 v6, v2
	v_add_co_u32_e32 v2, vcc, 0x3000, v14
	v_mov_b32_e32 v7, v3
	s_nop 0
	v_addc_co_u32_e32 v3, vcc, 0, v15, vcc
	s_waitcnt lgkmcnt(0)
	v_mov_b32_e32 v8, v10
	v_mov_b32_e32 v9, v11
	;; [unrolled: 1-line block ×4, first 2 shown]
	v_or_b32_e32 v20, 32, v25
	v_and_b32_e32 v18, 56, v91
	s_and_b64 vcc, exec, s[6:7]
	global_store_dwordx4 v[16:17], v[6:9], off
	global_store_dwordx4 v[2:3], v[10:13], off
	s_cbranch_vccz .LBB3_29
; %bb.24:
	s_mov_b32 s17, s16
	s_mov_b32 s18, s16
	;; [unrolled: 1-line block ×3, first 2 shown]
	v_mov_b64_e32 v[6:7], s[16:17]
	v_mov_b64_e32 v[8:9], s[18:19]
	v_mov_b64_e32 v[2:3], v[6:7]
	v_cmp_gt_i32_e32 vcc, s27, v25
	v_mov_b64_e32 v[4:5], v[8:9]
	s_and_saveexec_b64 s[2:3], vcc
	s_cbranch_execz .LBB3_26
; %bb.25:
	v_lshlrev_b32_e32 v2, 8, v25
	v_mov_b32_e32 v3, 0
	v_lshl_add_u64 v[4:5], s[0:1], 0, v[2:3]
	v_lshlrev_b32_e32 v2, 1, v18
	v_lshl_add_u64 v[10:11], v[4:5], 0, v[2:3]
	global_load_dwordx4 v[6:9], v[10:11], off
	global_load_dwordx4 v[2:5], v[10:11], off offset:128
.LBB3_26:
	s_or_b64 exec, exec, s[2:3]
	s_mov_b32 s17, s16
	s_mov_b32 s18, s16
	;; [unrolled: 1-line block ×3, first 2 shown]
	v_mov_b64_e32 v[14:15], s[16:17]
	v_mov_b64_e32 v[16:17], s[18:19]
	;; [unrolled: 1-line block ×3, first 2 shown]
	v_cmp_gt_i32_e32 vcc, s27, v20
	v_lshlrev_b32_e32 v21, 7, v20
	v_mov_b64_e32 v[12:13], v[16:17]
	s_and_saveexec_b64 s[2:3], vcc
	s_cbranch_execz .LBB3_28
; %bb.27:
	v_lshlrev_b32_e32 v10, 1, v21
	v_mov_b32_e32 v11, 0
	v_lshl_add_u64 v[12:13], s[0:1], 0, v[10:11]
	v_lshlrev_b32_e32 v10, 1, v18
	v_lshl_add_u64 v[26:27], v[12:13], 0, v[10:11]
	global_load_dwordx4 v[14:17], v[26:27], off
	global_load_dwordx4 v[10:13], v[26:27], off offset:128
.LBB3_28:
	s_or_b64 exec, exec, s[2:3]
	v_lshrrev_b32_e32 v26, 3, v18
	v_lshlrev_b32_e32 v27, 3, v25
	v_or_b32_e32 v26, v27, v26
	v_lshlrev_b32_e32 v26, 4, v26
	v_and_b32_e32 v27, 0x78, v27
	v_xor_b32_e32 v26, v26, v27
	s_branch .LBB3_31
.LBB3_29:
                                        ; implicit-def: $vgpr26
                                        ; implicit-def: $vgpr21
                                        ; implicit-def: $vgpr6_vgpr7_vgpr8_vgpr9
                                        ; implicit-def: $vgpr2_vgpr3_vgpr4_vgpr5
                                        ; implicit-def: $vgpr14_vgpr15_vgpr16_vgpr17
                                        ; implicit-def: $vgpr10_vgpr11_vgpr12_vgpr13
	s_cbranch_execz .LBB3_31
; %bb.30:
	s_waitcnt vmcnt(0)
	v_lshlrev_b32_e32 v2, 1, v18
	v_lshl_or_b32 v21, v25, 8, v2
	s_and_b32 s1, s1, 0xffff
	s_mov_b32 s3, 0x20000
	s_movk_i32 s2, 0x4000
	v_lshl_or_b32 v26, v20, 8, v2
	s_movk_i32 s12, 0x80
	buffer_load_dwordx4 v[6:9], v21, s[0:3], 0 offen
	buffer_load_dwordx4 v[2:5], v21, s[0:3], s12 offen
	;; [unrolled: 1-line block ×4, first 2 shown]
	v_lshrrev_b32_e32 v21, 3, v18
	v_lshlrev_b32_e32 v26, 3, v25
	v_or_b32_e32 v21, v26, v21
	v_lshlrev_b32_e32 v21, 4, v21
	v_and_b32_e32 v26, 0x78, v26
	v_xor_b32_e32 v26, v21, v26
	v_lshlrev_b32_e32 v21, 7, v20
.LBB3_31:
	s_movk_i32 s0, 0x1000
	v_and_or_b32 v20, v21, s0, v26
	s_waitcnt vmcnt(1)
	ds_write_b64 v26, v[6:7] offset:49152
	v_xor_b32_e32 v6, 8, v26
	ds_write_b64 v6, v[8:9] offset:49152
	s_waitcnt vmcnt(0)
	ds_write_b64 v26, v[2:3] offset:57344
	ds_write_b64 v6, v[4:5] offset:57344
	;; [unrolled: 1-line block ×3, first 2 shown]
	v_xor_b32_e32 v2, 8, v20
	ds_write_b64 v2, v[16:17] offset:49152
	ds_write_b64 v20, v[10:11] offset:57344
	;; [unrolled: 1-line block ×3, first 2 shown]
	v_or_b32_e32 v2, v1, v90
	v_lshlrev_b32_e32 v3, 11, v88
	v_lshlrev_b32_e32 v2, 3, v2
	v_and_b32_e32 v6, 0x1000, v3
	v_lshrrev_b32_e32 v3, 5, v45
	s_movk_i32 s0, 0xf8
	v_and_or_b32 v3, v2, s0, v3
	v_lshlrev_b32_e32 v7, 4, v3
	v_and_b32_e32 v8, 0x78, v2
	v_or_b32_e32 v10, 32, v7
	v_lshrrev_b32_e32 v3, 1, v45
	v_xor_b32_e32 v10, v10, v8
	v_xor_b32_e32 v2, v7, v8
	v_and_b32_e32 v9, 8, v3
	v_or_b32_e32 v10, v10, v6
	v_or_b32_e32 v2, v2, v6
	v_xor_b32_e32 v28, v10, v9
	v_or_b32_e32 v10, 64, v7
	v_xor_b32_e32 v27, v2, v9
	v_xor_b32_e32 v10, v10, v8
	s_waitcnt lgkmcnt(0)
	s_barrier
	v_or_b32_e32 v13, v10, v6
	ds_read_b64 v[10:11], v27 offset:49152
	v_lshl_or_b32 v14, v89, 8, v24
	v_lshlrev_b32_e32 v26, 1, v14
	v_add_u32_e32 v12, 0x4000, v26
	ds_read2_b64 v[2:5], v12 offset1:16
	v_or_b32_e32 v7, 0x60, v7
	v_xor_b32_e32 v7, v7, v8
	v_or_b32_e32 v6, v7, v6
	v_xor_b32_e32 v29, v13, v9
	v_xor_b32_e32 v30, v6, v9
	ds_read_b64 v[20:21], v28 offset:49152
	ds_read_b64 v[34:35], v29 offset:49152
	;; [unrolled: 1-line block ×3, first 2 shown]
	s_waitcnt lgkmcnt(3)
	v_mfma_f32_16x16x16_bf16 a[0:3], v[10:11], v[2:3], 0
	ds_read2st64_b64 v[6:9], v26 offset0:36 offset1:40
	s_lshl_b64 s[0:1], s[24:25], 8
	s_add_u32 s4, s4, s0
	v_mfma_f32_16x16x16_bf16 a[4:7], v[10:11], v[4:5], 0
	ds_read2_b64 v[2:5], v12 offset0:32 offset1:48
	s_addc_u32 s5, s5, s1
	s_add_i32 s1, s44, s33
	s_waitcnt lgkmcnt(0)
	v_mfma_f32_16x16x16_bf16 a[8:11], v[10:11], v[2:3], 0
	v_or_b32_e32 v2, 64, v14
	v_lshlrev_b32_e32 v31, 1, v2
	s_add_i32 s0, s35, -1
	v_mfma_f32_16x16x16_bf16 a[12:15], v[10:11], v[4:5], 0
	ds_read2st64_b64 v[2:5], v31 offset0:36 offset1:40
	s_add_i32 s39, s1, s45
	s_add_i32 s1, s47, s46
	v_mfma_f32_16x16x16_bf16 a[0:3], v[20:21], v[6:7], a[0:3]
	v_or_b32_e32 v6, 0x80, v14
	v_lshlrev_b32_e32 v32, 1, v6
	ds_read2st64_b64 v[10:13], v32 offset0:36 offset1:40
	s_waitcnt lgkmcnt(1)
	v_mfma_f32_16x16x16_bf16 a[4:7], v[20:21], v[2:3], a[4:7]
	v_or_b32_e32 v2, 0xc0, v14
	v_lshlrev_b32_e32 v33, 1, v2
	ds_read2st64_b64 v[14:17], v33 offset0:36 offset1:40
	s_add_i32 s37, s1, s48
	s_ashr_i32 s1, s0, 31
	s_mul_i32 s2, s0, s31
	s_mul_hi_u32 s3, s0, s30
	s_add_i32 s2, s3, s2
	s_mul_i32 s1, s1, s30
	s_waitcnt lgkmcnt(1)
	v_mfma_f32_16x16x16_bf16 a[8:11], v[20:21], v[10:11], a[8:11]
	s_add_i32 s1, s2, s1
	s_lshl_b64 s[2:3], s[38:39], 2
	s_add_u32 s10, s10, s2
	s_waitcnt lgkmcnt(0)
	v_mfma_f32_16x16x16_bf16 a[12:15], v[20:21], v[14:15], a[12:15]
	s_addc_u32 s11, s11, s3
	s_lshl_b64 s[2:3], s[36:37], 2
	s_mul_i32 s0, s0, s30
	v_mfma_f32_16x16x16_bf16 a[0:3], v[34:35], v[8:9], a[0:3]
	ds_read_b64 v[2:3], v26 offset:22528
	s_add_u32 s10, s10, s2
	s_addc_u32 s11, s11, s3
	v_mfma_f32_16x16x16_bf16 a[4:7], v[34:35], v[4:5], a[4:7]
	ds_read_b64 v[4:5], v31 offset:22528
	ds_read_b64 v[6:7], v32 offset:22528
	;; [unrolled: 1-line block ×3, first 2 shown]
	s_lshl_b64 s[0:1], s[0:1], 2
	s_add_u32 s0, s10, s0
	v_mfma_f32_16x16x16_bf16 a[8:11], v[34:35], v[12:13], a[8:11]
	s_addc_u32 s1, s11, s1
	s_load_dword s12, s[0:1], 0x0
	s_and_b64 vcc, exec, s[22:23]
	v_mfma_f32_16x16x16_bf16 a[12:15], v[34:35], v[16:17], a[12:15]
	s_waitcnt lgkmcnt(0)
	v_mfma_f32_16x16x16_bf16 a[0:3], v[36:37], v[2:3], a[0:3]
	v_mfma_f32_16x16x16_bf16 a[4:7], v[36:37], v[4:5], a[4:7]
	;; [unrolled: 1-line block ×4, first 2 shown]
	s_cbranch_vccz .LBB3_42
; %bb.32:
	v_lshlrev_b32_e32 v20, 1, v25
	s_and_b64 vcc, exec, s[6:7]
	s_cbranch_vccz .LBB3_43
; %bb.33:
	v_cmp_gt_i32_e32 vcc, s27, v20
	v_mov_b32_e32 v6, 0
	v_mov_b32_e32 v2, 0
	;; [unrolled: 1-line block ×5, first 2 shown]
	s_and_saveexec_b64 s[0:1], vcc
	s_cbranch_execz .LBB3_35
; %bb.34:
	v_mad_i64_i32 v[2:3], s[2:3], s15, v20, 0
	v_lshl_add_u64 v[2:3], v[2:3], 1, s[4:5]
	v_lshlrev_b32_e32 v4, 1, v18
	v_mov_b32_e32 v5, 0
	v_lshl_add_u64 v[2:3], v[2:3], 0, v[4:5]
	global_load_dwordx4 v[2:5], v[2:3], off
.LBB3_35:
	s_or_b64 exec, exec, s[0:1]
	v_or_b32_e32 v21, 1, v20
	v_cmp_gt_i32_e64 s[0:1], s27, v21
	v_mov_b32_e32 v7, 0
	v_mov_b32_e32 v8, 0
	;; [unrolled: 1-line block ×3, first 2 shown]
	s_and_saveexec_b64 s[2:3], s[0:1]
	s_cbranch_execz .LBB3_37
; %bb.36:
	v_mad_i64_i32 v[6:7], s[16:17], s15, v21, 0
	v_lshl_add_u64 v[6:7], v[6:7], 1, s[4:5]
	v_lshlrev_b32_e32 v8, 1, v18
	v_mov_b32_e32 v9, 0
	v_lshl_add_u64 v[6:7], v[6:7], 0, v[8:9]
	global_load_dwordx4 v[6:9], v[6:7], off
.LBB3_37:
	s_or_b64 exec, exec, s[2:3]
	v_mov_b32_e32 v17, 0
	v_mov_b32_e32 v10, 0
	v_mov_b32_e32 v11, 0
	v_mov_b32_e32 v12, 0
	v_mov_b32_e32 v13, 0
	s_and_saveexec_b64 s[2:3], vcc
	s_cbranch_execz .LBB3_39
; %bb.38:
	v_mad_i64_i32 v[10:11], s[16:17], s15, v20, 0
	v_lshl_add_u64 v[10:11], v[10:11], 1, s[4:5]
	v_lshlrev_b32_e32 v12, 1, v18
	v_mov_b32_e32 v13, 0
	v_lshl_add_u64 v[10:11], v[10:11], 0, v[12:13]
	global_load_dwordx4 v[10:13], v[10:11], off offset:128
.LBB3_39:
	s_or_b64 exec, exec, s[2:3]
	v_mov_b32_e32 v16, 0
	v_mov_b32_e32 v15, 0
	v_mov_b32_e32 v14, 0
	s_and_saveexec_b64 s[2:3], s[0:1]
	s_cbranch_execz .LBB3_41
; %bb.40:
	v_mad_i64_i32 v[14:15], s[0:1], s15, v21, 0
	v_lshl_add_u64 v[14:15], v[14:15], 1, s[4:5]
	v_lshlrev_b32_e32 v16, 1, v18
	v_mov_b32_e32 v17, 0
	v_lshl_add_u64 v[14:15], v[14:15], 0, v[16:17]
	global_load_dwordx4 v[14:17], v[14:15], off offset:128
.LBB3_41:
	s_or_b64 exec, exec, s[2:3]
	s_branch .LBB3_45
.LBB3_42:
                                        ; implicit-def: $vgpr5
                                        ; implicit-def: $vgpr9
                                        ; implicit-def: $vgpr13
                                        ; implicit-def: $vgpr17
	v_lshrrev_b32_e32 v34, 2, v45
	s_branch .LBB3_46
.LBB3_43:
                                        ; implicit-def: $vgpr5
                                        ; implicit-def: $vgpr9
                                        ; implicit-def: $vgpr13
                                        ; implicit-def: $vgpr17
	s_cbranch_execz .LBB3_45
; %bb.44:
	s_waitcnt vmcnt(0)
	v_mad_u64_u32 v[2:3], s[0:1], v20, s15, v[18:19]
	v_lshlrev_b32_e32 v20, 1, v2
	s_lshl_b32 s2, s15, 7
	s_and_b32 s1, s5, 0xffff
	s_mov_b32 s3, 0x20000
	s_mov_b32 s0, s4
	v_add_lshl_u32 v21, v2, s15, 1
	s_movk_i32 s13, 0x80
	buffer_load_dwordx4 v[2:5], v20, s[0:3], 0 offen
	buffer_load_dwordx4 v[10:13], v20, s[0:3], s13 offen
	;; [unrolled: 1-line block ×4, first 2 shown]
.LBB3_45:
	v_lshrrev_b32_e32 v34, 2, v45
	s_cbranch_execnz .LBB3_58
.LBB3_46:
	s_and_b64 vcc, exec, s[6:7]
	s_cbranch_vccz .LBB3_56
; %bb.47:
	s_waitcnt vmcnt(0)
	v_lshlrev_b32_e32 v7, 1, v25
	v_cmp_gt_i32_e32 vcc, s27, v7
	v_mov_b32_e32 v6, 0
	v_lshlrev_b32_e32 v14, 9, v25
	v_mov_b32_e32 v2, 0
	v_mov_b32_e32 v3, 0
	;; [unrolled: 1-line block ×4, first 2 shown]
	s_and_saveexec_b64 s[0:1], vcc
	s_cbranch_execz .LBB3_49
; %bb.48:
	v_mov_b32_e32 v15, 0
	v_lshl_add_u64 v[2:3], s[4:5], 0, v[14:15]
	v_lshlrev_b32_e32 v4, 1, v18
	v_mov_b32_e32 v5, v15
	v_lshl_add_u64 v[2:3], v[2:3], 0, v[4:5]
	global_load_dwordx4 v[2:5], v[2:3], off
.LBB3_49:
	s_or_b64 exec, exec, s[0:1]
	v_or_b32_e32 v7, 1, v7
	v_cmp_gt_i32_e64 s[0:1], s27, v7
	v_lshlrev_b32_e32 v20, 8, v7
	v_mov_b32_e32 v7, 0
	v_mov_b32_e32 v8, 0
	;; [unrolled: 1-line block ×3, first 2 shown]
	s_and_saveexec_b64 s[2:3], s[0:1]
	s_cbranch_execz .LBB3_51
; %bb.50:
	v_mov_b32_e32 v21, 0
	v_lshl_add_u64 v[6:7], s[4:5], 0, v[20:21]
	v_lshlrev_b32_e32 v8, 1, v18
	v_mov_b32_e32 v9, v21
	v_lshl_add_u64 v[6:7], v[6:7], 0, v[8:9]
	global_load_dwordx4 v[6:9], v[6:7], off
.LBB3_51:
	s_or_b64 exec, exec, s[2:3]
	v_mov_b32_e32 v17, 0
	v_mov_b32_e32 v10, 0
	;; [unrolled: 1-line block ×5, first 2 shown]
	s_and_saveexec_b64 s[2:3], vcc
	s_cbranch_execz .LBB3_53
; %bb.52:
	v_mov_b32_e32 v15, 0
	v_lshl_add_u64 v[10:11], s[4:5], 0, v[14:15]
	v_lshlrev_b32_e32 v14, 1, v18
	v_lshl_add_u64 v[10:11], v[10:11], 0, v[14:15]
	global_load_dwordx4 v[10:13], v[10:11], off offset:128
.LBB3_53:
	s_or_b64 exec, exec, s[2:3]
	v_mov_b32_e32 v16, 0
	v_mov_b32_e32 v15, 0
	;; [unrolled: 1-line block ×3, first 2 shown]
	s_and_saveexec_b64 s[2:3], s[0:1]
	s_cbranch_execz .LBB3_55
; %bb.54:
	v_mov_b32_e32 v21, 0
	v_lshl_add_u64 v[14:15], s[4:5], 0, v[20:21]
	v_lshlrev_b32_e32 v20, 1, v18
	v_lshl_add_u64 v[14:15], v[14:15], 0, v[20:21]
	global_load_dwordx4 v[14:17], v[14:15], off offset:128
.LBB3_55:
	s_or_b64 exec, exec, s[2:3]
	s_branch .LBB3_58
.LBB3_56:
                                        ; implicit-def: $vgpr5
                                        ; implicit-def: $vgpr9
                                        ; implicit-def: $vgpr13
                                        ; implicit-def: $vgpr17
	s_cbranch_execz .LBB3_58
; %bb.57:
	s_waitcnt vmcnt(0)
	v_lshlrev_b32_e32 v2, 1, v18
	v_lshl_or_b32 v18, v25, 9, v2
	s_and_b32 s5, s5, 0xffff
	s_mov_b32 s7, 0x20000
	s_movk_i32 s6, 0x4000
	s_movk_i32 s0, 0x80
	buffer_load_dwordx4 v[2:5], v18, s[4:7], 0 offen
	buffer_load_dwordx4 v[6:9], v18, s[4:7], 0 offen offset:256
	buffer_load_dwordx4 v[10:13], v18, s[4:7], s0 offen
	buffer_load_dwordx4 v[14:17], v18, s[4:7], s0 offen offset:256
.LBB3_58:
	ds_read_b64 v[20:21], v27 offset:57344
	v_add_u32_e32 v18, 0x6000, v26
	ds_read2_b64 v[36:39], v18 offset1:16
	ds_read_b64 v[44:45], v28 offset:57344
	ds_read_b64 v[28:29], v29 offset:57344
	;; [unrolled: 1-line block ×3, first 2 shown]
	ds_read2st64_b64 v[40:43], v26 offset0:52 offset1:56
	s_mov_b32 s0, 0x1000504
	s_mov_b32 s1, 0x3020706
	s_waitcnt lgkmcnt(4)
	v_mfma_f32_16x16x16_bf16 a[0:3], v[20:21], v[36:37], a[0:3]
	v_mfma_f32_16x16x16_bf16 a[4:7], v[20:21], v[38:39], a[4:7]
	ds_read2_b64 v[36:39], v18 offset0:32 offset1:48
	v_and_b32_e32 v18, 6, v0
	v_xor_b32_e32 v25, v25, v18
	s_waitcnt lgkmcnt(0)
	v_mfma_f32_16x16x16_bf16 a[8:11], v[20:21], v[36:37], a[8:11]
	v_lshlrev_b32_e32 v25, 2, v25
	v_and_b32_e32 v0, 1, v0
	v_xor_b32_e32 v35, 0x440, v25
	v_mfma_f32_16x16x16_bf16 a[12:15], v[20:21], v[38:39], a[12:15]
	ds_read2st64_b64 v[36:39], v31 offset0:52 offset1:56
	ds_read2st64_b64 v[48:51], v32 offset0:52 offset1:56
	;; [unrolled: 1-line block ×3, first 2 shown]
	v_cmp_eq_u32_e32 vcc, 0, v0
	ds_read_b64 v[20:21], v26 offset:30720
	ds_read_b64 v[26:27], v31 offset:30720
	;; [unrolled: 1-line block ×4, first 2 shown]
	v_mfma_f32_16x16x16_bf16 a[0:3], v[44:45], v[40:41], a[0:3]
	v_cndmask_b32_e32 v0, v35, v25, vcc
	v_lshl_or_b32 v0, v18, 10, v0
	s_waitcnt vmcnt(0)
	v_perm_b32 v18, v2, v6, s0
	s_waitcnt lgkmcnt(6)
	v_mfma_f32_16x16x16_bf16 a[4:7], v[44:45], v[36:37], a[4:7]
	v_perm_b32 v25, v10, v14, s0
	ds_write2st64_b32 v0, v18, v25 offset0:128 offset1:160
	v_xor_b32_e32 v18, 8, v0
	s_waitcnt lgkmcnt(6)
	v_mfma_f32_16x16x16_bf16 a[8:11], v[44:45], v[48:49], a[8:11]
	v_perm_b32 v2, v2, v6, s1
	v_perm_b32 v6, v10, v14, s1
	v_add_u32_e32 v10, 0x80, v18
	s_waitcnt lgkmcnt(5)
	v_mfma_f32_16x16x16_bf16 a[12:15], v[44:45], v[52:53], a[12:15]
	ds_write2st64_b32 v10, v2, v6 offset0:128 offset1:160
	v_xor_b32_e32 v2, 16, v0
	v_perm_b32 v6, v3, v7, s0
	v_mfma_f32_16x16x16_bf16 a[0:3], v[28:29], v[42:43], a[0:3]
	v_perm_b32 v10, v11, v15, s0
	ds_write2st64_b32 v2, v6, v10 offset0:129 offset1:161
	v_xor_b32_e32 v2, 24, v0
	v_mfma_f32_16x16x16_bf16 a[4:7], v[28:29], v[38:39], a[4:7]
	v_perm_b32 v3, v3, v7, s1
	v_perm_b32 v6, v11, v15, s1
	v_add_u32_e32 v2, 0x80, v2
	v_mfma_f32_16x16x16_bf16 a[16:19], v[28:29], v[50:51], a[8:11]
	ds_write2st64_b32 v2, v3, v6 offset0:129 offset1:161
	v_xor_b32_e32 v2, 32, v0
	v_perm_b32 v3, v4, v8, s0
	v_mfma_f32_16x16x16_bf16 a[20:23], v[28:29], v[54:55], a[12:15]
	v_perm_b32 v6, v12, v16, s0
	ds_write2st64_b32 v2, v3, v6 offset0:130 offset1:162
	v_xor_b32_e32 v2, 40, v0
	s_waitcnt lgkmcnt(8)
	v_mfma_f32_16x16x16_bf16 a[12:15], v[56:57], v[20:21], a[0:3]
	v_perm_b32 v3, v4, v8, s1
	v_perm_b32 v4, v12, v16, s1
	v_add_u32_e32 v2, 0x80, v2
	s_waitcnt lgkmcnt(7)
	v_mfma_f32_16x16x16_bf16 a[8:11], v[56:57], v[26:27], a[4:7]
	ds_write2st64_b32 v2, v3, v4 offset0:130 offset1:162
	v_xor_b32_e32 v2, 48, v0
	v_perm_b32 v3, v5, v9, s0
	s_waitcnt lgkmcnt(7)
	v_mfma_f32_16x16x16_bf16 a[4:7], v[56:57], v[30:31], a[16:19]
	v_perm_b32 v4, v13, v17, s0
	v_xor_b32_e32 v0, 56, v0
	v_and_or_b32 v21, v34, 12, v1
	s_waitcnt lgkmcnt(6)
	v_mfma_f32_16x16x16_bf16 a[0:3], v[56:57], v[32:33], a[20:23]
	ds_write2st64_b32 v2, v3, v4 offset0:131 offset1:163
	v_perm_b32 v2, v5, v9, s1
	v_perm_b32 v3, v13, v17, s1
	v_add_u32_e32 v0, 0x80, v0
	v_cmp_gt_i32_e32 vcc, s27, v21
	v_mov_b32_e32 v16, 0
	v_mov_b32_e32 v18, 0
	ds_write2st64_b32 v0, v2, v3 offset0:131 offset1:163
	s_and_saveexec_b64 s[0:1], vcc
	s_cbranch_execz .LBB3_60
; %bb.59:
	v_add_u32_e32 v0, s26, v21
	v_ashrrev_i32_e32 v1, 31, v0
	v_mul_lo_u32 v2, v1, s30
	v_mul_lo_u32 v3, v0, s31
	v_mad_u64_u32 v[0:1], s[2:3], v0, s30, 0
	v_add3_u32 v1, v1, v3, v2
	v_lshl_add_u64 v[0:1], v[0:1], 2, s[10:11]
	global_load_dword v0, v[0:1], off
	s_waitcnt vmcnt(0)
	v_sub_f32_e32 v0, s12, v0
	v_exp_f32_e32 v18, v0
.LBB3_60:
	s_or_b64 exec, exec, s[0:1]
	v_or_b32_e32 v10, 1, v21
	v_cmp_gt_i32_e64 s[2:3], s27, v10
	s_and_saveexec_b64 s[0:1], s[2:3]
	s_cbranch_execz .LBB3_62
; %bb.61:
	v_add_u32_e32 v0, s26, v10
	v_ashrrev_i32_e32 v1, 31, v0
	v_mul_lo_u32 v2, v1, s30
	v_mul_lo_u32 v3, v0, s31
	v_mad_u64_u32 v[0:1], s[4:5], v0, s30, 0
	v_add3_u32 v1, v1, v3, v2
	v_lshl_add_u64 v[0:1], v[0:1], 2, s[10:11]
	global_load_dword v0, v[0:1], off
	s_waitcnt vmcnt(0)
	v_sub_f32_e32 v0, s12, v0
	v_exp_f32_e32 v16, v0
.LBB3_62:
	s_or_b64 exec, exec, s[0:1]
	v_or_b32_e32 v12, 2, v21
	v_cmp_gt_i32_e64 s[0:1], s27, v12
	v_mov_b32_e32 v17, 0
	v_mov_b32_e32 v20, 0
	s_and_saveexec_b64 s[4:5], s[0:1]
	s_cbranch_execz .LBB3_64
; %bb.63:
	v_add_u32_e32 v0, s26, v12
	v_ashrrev_i32_e32 v1, 31, v0
	v_mul_lo_u32 v2, v1, s30
	v_mul_lo_u32 v3, v0, s31
	v_mad_u64_u32 v[0:1], s[6:7], v0, s30, 0
	v_add3_u32 v1, v1, v3, v2
	v_lshl_add_u64 v[0:1], v[0:1], 2, s[10:11]
	global_load_dword v0, v[0:1], off
	s_waitcnt vmcnt(0)
	v_sub_f32_e32 v0, s12, v0
	v_exp_f32_e32 v20, v0
.LBB3_64:
	s_or_b64 exec, exec, s[4:5]
	v_or_b32_e32 v14, 3, v21
	v_cmp_gt_i32_e64 s[4:5], s27, v14
	s_and_saveexec_b64 s[6:7], s[4:5]
	s_cbranch_execz .LBB3_66
; %bb.65:
	v_add_u32_e32 v0, s26, v14
	v_ashrrev_i32_e32 v1, 31, v0
	v_mul_lo_u32 v2, v1, s30
	v_mul_lo_u32 v3, v0, s31
	v_mad_u64_u32 v[0:1], s[14:15], v0, s30, 0
	v_add3_u32 v1, v1, v3, v2
	v_lshl_add_u64 v[0:1], v[0:1], 2, s[10:11]
	global_load_dword v0, v[0:1], off
	s_waitcnt vmcnt(0)
	v_sub_f32_e32 v0, s12, v0
	v_exp_f32_e32 v17, v0
.LBB3_66:
	s_or_b64 exec, exec, s[6:7]
	s_add_u32 s6, s8, s20
	s_addc_u32 s7, s9, s21
	s_add_u32 s8, s28, s20
	v_ashrrev_i32_e32 v47, 31, v46
	v_accvgpr_read_b32 v0, a12
	s_addc_u32 s9, s29, s21
	v_lshlrev_b64 v[4:5], 1, v[46:47]
	v_accvgpr_read_b32 v1, a13
	v_accvgpr_read_b32 v2, a14
	;; [unrolled: 1-line block ×3, first 2 shown]
	v_lshl_add_u64 v[6:7], s[6:7], 0, v[4:5]
	v_lshl_add_u64 v[4:5], s[8:9], 0, v[4:5]
	v_mov_b32_e32 v11, 0
	v_lshlrev_b32_e32 v8, 8, v21
	v_mov_b32_e32 v9, 0
	s_and_saveexec_b64 s[6:7], vcc
	s_cbranch_execz .LBB3_68
; %bb.67:
	v_mov_b32_e32 v9, 0
	v_lshl_add_u64 v[26:27], v[6:7], 0, v[8:9]
	global_load_ushort v13, v[26:27], off
	v_lshl_add_u64 v[26:27], v[4:5], 0, v[8:9]
	s_waitcnt vmcnt(0)
	v_lshlrev_b32_e32 v9, 16, v13
	v_sub_f32_e32 v0, v9, v0
	global_store_short_d16_hi v[26:27], v0, off
	v_mul_f32_e32 v0, v18, v0
	v_lshrrev_b32_e32 v9, 16, v0
.LBB3_68:
	s_or_b64 exec, exec, s[6:7]
	v_lshlrev_b32_e32 v10, 8, v10
	s_and_saveexec_b64 s[6:7], s[2:3]
	s_cbranch_execz .LBB3_70
; %bb.69:
	v_mov_b32_e32 v11, 0
	v_lshl_add_u64 v[26:27], v[6:7], 0, v[10:11]
	global_load_ushort v0, v[26:27], off
	v_lshl_add_u64 v[26:27], v[4:5], 0, v[10:11]
	s_waitcnt vmcnt(0)
	v_lshlrev_b32_e32 v0, 16, v0
	v_sub_f32_e32 v0, v0, v1
	global_store_short_d16_hi v[26:27], v0, off
	v_mul_f32_e32 v0, v16, v0
	v_lshrrev_b32_e32 v11, 16, v0
.LBB3_70:
	s_or_b64 exec, exec, s[6:7]
	v_mov_b32_e32 v15, 0
	v_lshlrev_b32_e32 v12, 8, v12
	v_mov_b32_e32 v13, 0
	s_and_saveexec_b64 s[6:7], s[0:1]
	s_cbranch_execz .LBB3_72
; %bb.71:
	v_mov_b32_e32 v13, 0
	v_lshl_add_u64 v[0:1], v[6:7], 0, v[12:13]
	global_load_ushort v25, v[0:1], off
	v_lshl_add_u64 v[0:1], v[4:5], 0, v[12:13]
	s_waitcnt vmcnt(0)
	v_lshlrev_b32_e32 v13, 16, v25
	v_sub_f32_e32 v2, v13, v2
	global_store_short_d16_hi v[0:1], v2, off
	v_mul_f32_e32 v0, v20, v2
	v_lshrrev_b32_e32 v13, 16, v0
.LBB3_72:
	s_or_b64 exec, exec, s[6:7]
	v_lshlrev_b32_e32 v14, 8, v14
	s_and_saveexec_b64 s[6:7], s[4:5]
	s_cbranch_execz .LBB3_74
; %bb.73:
	v_mov_b32_e32 v15, 0
	v_lshl_add_u64 v[0:1], v[6:7], 0, v[14:15]
	global_load_ushort v2, v[0:1], off
	v_lshl_add_u64 v[0:1], v[4:5], 0, v[14:15]
	s_waitcnt vmcnt(0)
	v_lshlrev_b32_e32 v2, 16, v2
	v_sub_f32_e32 v2, v2, v3
	global_store_short_d16_hi v[0:1], v2, off
	v_mul_f32_e32 v0, v17, v2
	v_lshrrev_b32_e32 v15, 16, v0
.LBB3_74:
	s_or_b64 exec, exec, s[6:7]
	v_lshlrev_b32_e32 v21, 6, v21
	s_mov_b32 s6, 0x5040100
	v_perm_b32 v26, v11, v9, s6
	v_or_b32_e32 v9, v21, v24
	v_accvgpr_read_b32 v0, a8
	v_perm_b32 v27, v15, v13, s6
	v_lshlrev_b32_e32 v9, 1, v9
	v_accvgpr_read_b32 v1, a9
	v_accvgpr_read_b32 v2, a10
	v_accvgpr_read_b32 v3, a11
	ds_write_b64 v9, v[26:27] offset:24576
	v_mov_b32_e32 v11, 0
	v_mov_b32_e32 v9, 0
	s_and_saveexec_b64 s[6:7], vcc
	s_cbranch_execz .LBB3_76
; %bb.75:
	v_mov_b32_e32 v9, 0
	v_lshl_add_u64 v[24:25], v[6:7], 0, v[8:9]
	global_load_ushort v13, v[24:25], off offset:32
	v_lshl_add_u64 v[24:25], v[4:5], 0, v[8:9]
	s_waitcnt vmcnt(0)
	v_lshlrev_b32_e32 v9, 16, v13
	v_sub_f32_e32 v0, v9, v0
	global_store_short_d16_hi v[24:25], v0, off offset:32
	v_mul_f32_e32 v0, v18, v0
	v_lshrrev_b32_e32 v9, 16, v0
.LBB3_76:
	s_or_b64 exec, exec, s[6:7]
	s_and_saveexec_b64 s[6:7], s[2:3]
	s_cbranch_execz .LBB3_78
; %bb.77:
	v_mov_b32_e32 v11, 0
	v_lshl_add_u64 v[24:25], v[6:7], 0, v[10:11]
	global_load_ushort v0, v[24:25], off offset:32
	v_lshl_add_u64 v[24:25], v[4:5], 0, v[10:11]
	s_waitcnt vmcnt(0)
	v_lshlrev_b32_e32 v0, 16, v0
	v_sub_f32_e32 v0, v0, v1
	global_store_short_d16_hi v[24:25], v0, off offset:32
	v_mul_f32_e32 v0, v16, v0
	v_lshrrev_b32_e32 v11, 16, v0
.LBB3_78:
	s_or_b64 exec, exec, s[6:7]
	v_mov_b32_e32 v15, 0
	v_mov_b32_e32 v13, 0
	s_and_saveexec_b64 s[6:7], s[0:1]
	s_cbranch_execz .LBB3_80
; %bb.79:
	v_mov_b32_e32 v13, 0
	v_lshl_add_u64 v[0:1], v[6:7], 0, v[12:13]
	global_load_ushort v24, v[0:1], off offset:32
	v_lshl_add_u64 v[0:1], v[4:5], 0, v[12:13]
	s_waitcnt vmcnt(0)
	v_lshlrev_b32_e32 v13, 16, v24
	v_sub_f32_e32 v2, v13, v2
	global_store_short_d16_hi v[0:1], v2, off offset:32
	v_mul_f32_e32 v0, v20, v2
	v_lshrrev_b32_e32 v13, 16, v0
.LBB3_80:
	s_or_b64 exec, exec, s[6:7]
	s_and_saveexec_b64 s[6:7], s[4:5]
	s_cbranch_execz .LBB3_82
; %bb.81:
	v_mov_b32_e32 v15, 0
	v_lshl_add_u64 v[0:1], v[6:7], 0, v[14:15]
	global_load_ushort v2, v[0:1], off offset:32
	v_lshl_add_u64 v[0:1], v[4:5], 0, v[14:15]
	s_waitcnt vmcnt(0)
	v_lshlrev_b32_e32 v2, 16, v2
	v_sub_f32_e32 v2, v2, v3
	global_store_short_d16_hi v[0:1], v2, off offset:32
	v_mul_f32_e32 v0, v17, v2
	v_lshrrev_b32_e32 v15, 16, v0
.LBB3_82:
	s_or_b64 exec, exec, s[6:7]
	s_mov_b32 s6, 0x5040100
	v_perm_b32 v24, v11, v9, s6
	v_or_b32_e32 v9, v21, v23
	v_accvgpr_read_b32 v0, a4
	v_perm_b32 v25, v15, v13, s6
	v_lshlrev_b32_e32 v9, 1, v9
	v_accvgpr_read_b32 v1, a5
	v_accvgpr_read_b32 v2, a6
	;; [unrolled: 1-line block ×3, first 2 shown]
	ds_write_b64 v9, v[24:25] offset:24576
	v_mov_b32_e32 v11, 0
	v_mov_b32_e32 v9, 0
	s_and_saveexec_b64 s[6:7], vcc
	s_cbranch_execz .LBB3_84
; %bb.83:
	v_mov_b32_e32 v9, 0
	v_lshl_add_u64 v[24:25], v[6:7], 0, v[8:9]
	global_load_ushort v13, v[24:25], off offset:64
	v_lshl_add_u64 v[24:25], v[4:5], 0, v[8:9]
	s_waitcnt vmcnt(0)
	v_lshlrev_b32_e32 v9, 16, v13
	v_sub_f32_e32 v0, v9, v0
	global_store_short_d16_hi v[24:25], v0, off offset:64
	v_mul_f32_e32 v0, v18, v0
	v_lshrrev_b32_e32 v9, 16, v0
.LBB3_84:
	s_or_b64 exec, exec, s[6:7]
	s_and_saveexec_b64 s[6:7], s[2:3]
	s_cbranch_execz .LBB3_86
; %bb.85:
	v_mov_b32_e32 v11, 0
	v_lshl_add_u64 v[24:25], v[6:7], 0, v[10:11]
	global_load_ushort v0, v[24:25], off offset:64
	v_lshl_add_u64 v[24:25], v[4:5], 0, v[10:11]
	s_waitcnt vmcnt(0)
	v_lshlrev_b32_e32 v0, 16, v0
	v_sub_f32_e32 v0, v0, v1
	global_store_short_d16_hi v[24:25], v0, off offset:64
	v_mul_f32_e32 v0, v16, v0
	v_lshrrev_b32_e32 v11, 16, v0
.LBB3_86:
	s_or_b64 exec, exec, s[6:7]
	v_mov_b32_e32 v15, 0
	v_mov_b32_e32 v13, 0
	s_and_saveexec_b64 s[6:7], s[0:1]
	s_cbranch_execz .LBB3_88
; %bb.87:
	v_mov_b32_e32 v13, 0
	v_lshl_add_u64 v[0:1], v[6:7], 0, v[12:13]
	global_load_ushort v23, v[0:1], off offset:64
	v_lshl_add_u64 v[0:1], v[4:5], 0, v[12:13]
	s_waitcnt vmcnt(0)
	v_lshlrev_b32_e32 v13, 16, v23
	v_sub_f32_e32 v2, v13, v2
	global_store_short_d16_hi v[0:1], v2, off offset:64
	v_mul_f32_e32 v0, v20, v2
	v_lshrrev_b32_e32 v13, 16, v0
.LBB3_88:
	s_or_b64 exec, exec, s[6:7]
	s_and_saveexec_b64 s[6:7], s[4:5]
	s_cbranch_execz .LBB3_90
; %bb.89:
	v_mov_b32_e32 v15, 0
	v_lshl_add_u64 v[0:1], v[6:7], 0, v[14:15]
	global_load_ushort v2, v[0:1], off offset:64
	v_lshl_add_u64 v[0:1], v[4:5], 0, v[14:15]
	s_waitcnt vmcnt(0)
	v_lshlrev_b32_e32 v2, 16, v2
	v_sub_f32_e32 v2, v2, v3
	global_store_short_d16_hi v[0:1], v2, off offset:64
	v_mul_f32_e32 v0, v17, v2
	v_lshrrev_b32_e32 v15, 16, v0
.LBB3_90:
	s_or_b64 exec, exec, s[6:7]
	s_mov_b32 s6, 0x5040100
	v_perm_b32 v24, v11, v9, s6
	v_or_b32_e32 v9, v21, v22
	v_accvgpr_read_b32 v0, a0
	v_perm_b32 v25, v15, v13, s6
	v_lshlrev_b32_e32 v9, 1, v9
	v_accvgpr_read_b32 v1, a1
	v_accvgpr_read_b32 v2, a2
	;; [unrolled: 1-line block ×3, first 2 shown]
	ds_write_b64 v9, v[24:25] offset:24576
	v_mov_b32_e32 v11, 0
	v_mov_b32_e32 v9, 0
	s_and_saveexec_b64 s[6:7], vcc
	s_cbranch_execz .LBB3_92
; %bb.91:
	v_mov_b32_e32 v9, 0
	v_lshl_add_u64 v[22:23], v[6:7], 0, v[8:9]
	global_load_ushort v13, v[22:23], off offset:96
	v_lshl_add_u64 v[8:9], v[4:5], 0, v[8:9]
	s_waitcnt vmcnt(0)
	v_lshlrev_b32_e32 v13, 16, v13
	v_sub_f32_e32 v0, v13, v0
	global_store_short_d16_hi v[8:9], v0, off offset:96
	v_mul_f32_e32 v0, v18, v0
	v_lshrrev_b32_e32 v9, 16, v0
.LBB3_92:
	s_or_b64 exec, exec, s[6:7]
	s_and_saveexec_b64 s[6:7], s[2:3]
	s_cbranch_execz .LBB3_94
; %bb.93:
	v_mov_b32_e32 v11, 0
	v_lshl_add_u64 v[22:23], v[6:7], 0, v[10:11]
	global_load_ushort v0, v[22:23], off offset:96
	v_lshl_add_u64 v[10:11], v[4:5], 0, v[10:11]
	s_waitcnt vmcnt(0)
	v_lshlrev_b32_e32 v0, 16, v0
	v_sub_f32_e32 v0, v0, v1
	global_store_short_d16_hi v[10:11], v0, off offset:96
	v_mul_f32_e32 v0, v16, v0
	v_lshrrev_b32_e32 v11, 16, v0
.LBB3_94:
	s_or_b64 exec, exec, s[6:7]
	v_mov_b32_e32 v0, 0
	v_mov_b32_e32 v1, 0
	s_and_saveexec_b64 s[2:3], s[0:1]
	s_cbranch_execz .LBB3_96
; %bb.95:
	v_mov_b32_e32 v13, 0
	v_lshl_add_u64 v[22:23], v[6:7], 0, v[12:13]
	global_load_ushort v1, v[22:23], off offset:96
	v_lshl_add_u64 v[12:13], v[4:5], 0, v[12:13]
	s_waitcnt vmcnt(0)
	v_lshlrev_b32_e32 v1, 16, v1
	v_sub_f32_e32 v1, v1, v2
	global_store_short_d16_hi v[12:13], v1, off offset:96
	v_mul_f32_e32 v1, v20, v1
	v_lshrrev_b32_e32 v1, 16, v1
.LBB3_96:
	s_or_b64 exec, exec, s[2:3]
	s_and_saveexec_b64 s[0:1], s[4:5]
	s_cbranch_execz .LBB3_98
; %bb.97:
	v_mov_b32_e32 v15, 0
	v_lshl_add_u64 v[6:7], v[6:7], 0, v[14:15]
	global_load_ushort v0, v[6:7], off offset:96
	v_lshl_add_u64 v[4:5], v[4:5], 0, v[14:15]
	s_waitcnt vmcnt(0)
	v_lshlrev_b32_e32 v0, 16, v0
	v_sub_f32_e32 v0, v0, v3
	global_store_short_d16_hi v[4:5], v0, off offset:96
	v_mul_f32_e32 v0, v17, v0
	v_lshrrev_b32_e32 v0, 16, v0
.LBB3_98:
	s_or_b64 exec, exec, s[0:1]
	s_mov_b32 s0, 0x5040100
	v_or_b32_e32 v2, v21, v19
	v_perm_b32 v1, v0, v1, s0
	v_perm_b32 v0, v11, v9, s0
	v_lshlrev_b32_e32 v2, 1, v2
	ds_write_b64 v2, v[0:1] offset:24576
	s_waitcnt lgkmcnt(0)
	s_barrier
.LBB3_99:
	s_endpgm
	.section	.rodata,"a",@progbits
	.p2align	6, 0x0
	.amdhsa_kernel _ZN12_GLOBAL__N_139chunk_gated_delta_rule_fwd_h_hip_kernelILi64ELb1ELb0ELb1ELb1ELb1ELb1ELb1ELb1EEEvPK12hip_bfloat16S3_S3_PKfS5_PKvPS1_S8_PvPKiSB_iiiiilll
		.amdhsa_group_segment_fixed_size 65536
		.amdhsa_private_segment_fixed_size 0
		.amdhsa_kernarg_size 136
		.amdhsa_user_sgpr_count 2
		.amdhsa_user_sgpr_dispatch_ptr 0
		.amdhsa_user_sgpr_queue_ptr 0
		.amdhsa_user_sgpr_kernarg_segment_ptr 1
		.amdhsa_user_sgpr_dispatch_id 0
		.amdhsa_user_sgpr_kernarg_preload_length 0
		.amdhsa_user_sgpr_kernarg_preload_offset 0
		.amdhsa_user_sgpr_private_segment_size 0
		.amdhsa_uses_dynamic_stack 0
		.amdhsa_enable_private_segment 0
		.amdhsa_system_sgpr_workgroup_id_x 1
		.amdhsa_system_sgpr_workgroup_id_y 1
		.amdhsa_system_sgpr_workgroup_id_z 0
		.amdhsa_system_sgpr_workgroup_info 0
		.amdhsa_system_vgpr_workitem_id 0
		.amdhsa_next_free_vgpr 232
		.amdhsa_next_free_sgpr 65
		.amdhsa_accum_offset 192
		.amdhsa_reserve_vcc 1
		.amdhsa_float_round_mode_32 0
		.amdhsa_float_round_mode_16_64 0
		.amdhsa_float_denorm_mode_32 3
		.amdhsa_float_denorm_mode_16_64 3
		.amdhsa_dx10_clamp 1
		.amdhsa_ieee_mode 1
		.amdhsa_fp16_overflow 0
		.amdhsa_tg_split 0
		.amdhsa_exception_fp_ieee_invalid_op 0
		.amdhsa_exception_fp_denorm_src 0
		.amdhsa_exception_fp_ieee_div_zero 0
		.amdhsa_exception_fp_ieee_overflow 0
		.amdhsa_exception_fp_ieee_underflow 0
		.amdhsa_exception_fp_ieee_inexact 0
		.amdhsa_exception_int_div_zero 0
	.end_amdhsa_kernel
	.section	.text._ZN12_GLOBAL__N_139chunk_gated_delta_rule_fwd_h_hip_kernelILi64ELb1ELb0ELb1ELb1ELb1ELb1ELb1ELb1EEEvPK12hip_bfloat16S3_S3_PKfS5_PKvPS1_S8_PvPKiSB_iiiiilll,"axG",@progbits,_ZN12_GLOBAL__N_139chunk_gated_delta_rule_fwd_h_hip_kernelILi64ELb1ELb0ELb1ELb1ELb1ELb1ELb1ELb1EEEvPK12hip_bfloat16S3_S3_PKfS5_PKvPS1_S8_PvPKiSB_iiiiilll,comdat
.Lfunc_end3:
	.size	_ZN12_GLOBAL__N_139chunk_gated_delta_rule_fwd_h_hip_kernelILi64ELb1ELb0ELb1ELb1ELb1ELb1ELb1ELb1EEEvPK12hip_bfloat16S3_S3_PKfS5_PKvPS1_S8_PvPKiSB_iiiiilll, .Lfunc_end3-_ZN12_GLOBAL__N_139chunk_gated_delta_rule_fwd_h_hip_kernelILi64ELb1ELb0ELb1ELb1ELb1ELb1ELb1ELb1EEEvPK12hip_bfloat16S3_S3_PKfS5_PKvPS1_S8_PvPKiSB_iiiiilll
                                        ; -- End function
	.section	.AMDGPU.csdata,"",@progbits
; Kernel info:
; codeLenInByte = 11480
; NumSgprs: 71
; NumVgprs: 190
; NumAgprs: 40
; TotalNumVgprs: 232
; ScratchSize: 0
; MemoryBound: 0
; FloatMode: 240
; IeeeMode: 1
; LDSByteSize: 65536 bytes/workgroup (compile time only)
; SGPRBlocks: 8
; VGPRBlocks: 28
; NumSGPRsForWavesPerEU: 71
; NumVGPRsForWavesPerEU: 232
; AccumOffset: 192
; Occupancy: 1
; WaveLimiterHint : 1
; COMPUTE_PGM_RSRC2:SCRATCH_EN: 0
; COMPUTE_PGM_RSRC2:USER_SGPR: 2
; COMPUTE_PGM_RSRC2:TRAP_HANDLER: 0
; COMPUTE_PGM_RSRC2:TGID_X_EN: 1
; COMPUTE_PGM_RSRC2:TGID_Y_EN: 1
; COMPUTE_PGM_RSRC2:TGID_Z_EN: 0
; COMPUTE_PGM_RSRC2:TIDIG_COMP_CNT: 0
; COMPUTE_PGM_RSRC3_GFX90A:ACCUM_OFFSET: 47
; COMPUTE_PGM_RSRC3_GFX90A:TG_SPLIT: 0
	.section	.text._ZN12_GLOBAL__N_139chunk_gated_delta_rule_fwd_h_hip_kernelILi64ELb1ELb0ELb0ELb1ELb1ELb1ELb1ELb1EEEvPK12hip_bfloat16S3_S3_PKfS5_PKvPS1_S8_PvPKiSB_iiiiilll,"axG",@progbits,_ZN12_GLOBAL__N_139chunk_gated_delta_rule_fwd_h_hip_kernelILi64ELb1ELb0ELb0ELb1ELb1ELb1ELb1ELb1EEEvPK12hip_bfloat16S3_S3_PKfS5_PKvPS1_S8_PvPKiSB_iiiiilll,comdat
	.globl	_ZN12_GLOBAL__N_139chunk_gated_delta_rule_fwd_h_hip_kernelILi64ELb1ELb0ELb0ELb1ELb1ELb1ELb1ELb1EEEvPK12hip_bfloat16S3_S3_PKfS5_PKvPS1_S8_PvPKiSB_iiiiilll ; -- Begin function _ZN12_GLOBAL__N_139chunk_gated_delta_rule_fwd_h_hip_kernelILi64ELb1ELb0ELb0ELb1ELb1ELb1ELb1ELb1EEEvPK12hip_bfloat16S3_S3_PKfS5_PKvPS1_S8_PvPKiSB_iiiiilll
	.p2align	8
	.type	_ZN12_GLOBAL__N_139chunk_gated_delta_rule_fwd_h_hip_kernelILi64ELb1ELb0ELb0ELb1ELb1ELb1ELb1ELb1EEEvPK12hip_bfloat16S3_S3_PKfS5_PKvPS1_S8_PvPKiSB_iiiiilll,@function
_ZN12_GLOBAL__N_139chunk_gated_delta_rule_fwd_h_hip_kernelILi64ELb1ELb0ELb0ELb1ELb1ELb1ELb1ELb1EEEvPK12hip_bfloat16S3_S3_PKfS5_PKvPS1_S8_PvPKiSB_iiiiilll: ; @_ZN12_GLOBAL__N_139chunk_gated_delta_rule_fwd_h_hip_kernelILi64ELb1ELb0ELb0ELb1ELb1ELb1ELb1ELb1EEEvPK12hip_bfloat16S3_S3_PKfS5_PKvPS1_S8_PvPKiSB_iiiiilll
; %bb.0:
	s_load_dwordx4 s[12:15], s[0:1], 0x5c
	s_load_dwordx4 s[20:23], s[0:1], 0x70
	s_abs_i32 s9, s3
	s_ashr_i32 s8, s3, 31
	s_load_dwordx4 s[4:7], s[0:1], 0x48
	s_waitcnt lgkmcnt(0)
	s_abs_i32 s10, s13
	v_cvt_f32_u32_e32 v1, s10
	s_sub_i32 s16, 0, s10
	s_ashr_i32 s11, s13, 31
	s_xor_b32 s8, s8, s11
	v_rcp_iflag_f32_e32 v1, v1
	v_and_b32_e32 v88, 15, v0
	v_lshrrev_b32_e32 v86, 6, v0
	v_bfe_u32 v87, v0, 4, 2
	v_mul_f32_e32 v1, 0x4f7ffffe, v1
	v_cvt_u32_f32_e32 v1, v1
	v_mov_b32_e32 v7, 0
	v_and_b32_e32 v45, 63, v0
	v_lshlrev_b32_e32 v89, 3, v0
	v_readfirstlane_b32 s17, v1
	s_mul_i32 s16, s16, s17
	s_mul_hi_u32 s16, s17, s16
	s_add_i32 s17, s17, s16
	s_mul_hi_u32 s16, s9, s17
	s_mul_i32 s17, s16, s10
	s_sub_i32 s9, s9, s17
	s_add_i32 s18, s16, 1
	s_sub_i32 s17, s9, s10
	s_cmp_ge_u32 s9, s10
	s_cselect_b32 s16, s18, s16
	s_cselect_b32 s9, s17, s9
	s_add_i32 s17, s16, 1
	s_cmp_ge_u32 s9, s10
	s_cselect_b32 s9, s17, s16
	s_load_dwordx4 s[16:19], s[0:1], 0x28
	s_xor_b32 s9, s9, s8
	s_sub_i32 s24, s9, s8
	s_mul_i32 s28, s24, s13
	s_ashr_i32 s25, s24, 31
	s_sub_i32 s47, s3, s28
	s_lshl_b64 s[8:9], s[24:25], 2
	s_add_u32 s4, s4, s8
	s_addc_u32 s5, s5, s9
	s_add_u32 s26, s6, s8
	s_addc_u32 s27, s7, s9
	s_abs_i32 s3, s14
	v_cvt_f32_u32_e32 v1, s3
	s_load_dwordx2 s[30:31], s[4:5], 0x0
	s_lshl_b32 s38, s2, 6
	s_ashr_i32 s2, s14, 31
	v_rcp_iflag_f32_e32 v1, v1
	s_xor_b32 s2, s11, s2
	s_waitcnt lgkmcnt(0)
	s_sub_i32 s50, s31, s30
	s_ashr_i32 s4, s50, 31
	v_mul_f32_e32 v1, 0x4f7ffffe, v1
	v_cvt_u32_f32_e32 v1, v1
	s_lshr_b32 s4, s4, 26
	s_add_i32 s4, s50, s4
	s_ashr_i32 s49, s4, 6
	s_sub_i32 s4, 0, s3
	v_readfirstlane_b32 s5, v1
	s_mul_i32 s4, s4, s5
	s_mul_hi_u32 s4, s5, s4
	s_add_i32 s5, s5, s4
	s_mul_hi_u32 s4, s10, s5
	s_mul_i32 s5, s4, s3
	s_sub_i32 s5, s10, s5
	s_add_i32 s6, s4, 1
	s_sub_i32 s7, s5, s3
	s_cmp_ge_u32 s5, s3
	s_cselect_b32 s4, s6, s4
	s_cselect_b32 s5, s7, s5
	s_add_i32 s6, s4, 1
	s_cmp_ge_u32 s5, s3
	s_cselect_b32 s3, s6, s4
	s_xor_b32 s3, s3, s2
	s_sub_i32 s2, s3, s2
	s_abs_i32 s3, s2
	v_cvt_f32_u32_e32 v1, s3
	s_sub_i32 s5, 0, s3
	s_abs_i32 s4, s47
	s_xor_b32 s2, s47, s2
	v_rcp_iflag_f32_e32 v1, v1
	s_ashr_i32 s2, s2, 31
	v_or_b32_e32 v46, s38, v88
	v_lshlrev_b32_e32 v2, 7, v46
	v_mul_f32_e32 v1, 0x4f7ffffe, v1
	v_cvt_u32_f32_e32 v1, v1
	v_or_b32_e32 v10, 0x800, v2
	v_ashrrev_i32_e32 v3, 31, v2
	v_ashrrev_i32_e32 v11, 31, v10
	v_readfirstlane_b32 s6, v1
	s_mul_i32 s5, s5, s6
	s_mul_hi_u32 s5, s6, s5
	s_add_i32 s6, s6, s5
	s_mul_hi_u32 s5, s4, s6
	s_mul_i32 s6, s5, s3
	s_sub_i32 s4, s4, s6
	s_add_i32 s6, s5, 1
	s_sub_i32 s7, s4, s3
	s_cmp_ge_u32 s4, s3
	s_cselect_b32 s5, s6, s5
	s_cselect_b32 s4, s7, s4
	s_add_i32 s6, s5, 1
	s_cmp_ge_u32 s4, s3
	s_cselect_b32 s3, s6, s5
	s_xor_b32 s3, s3, s2
	s_sub_i32 s51, s3, s2
	s_ashr_i32 s48, s47, 31
	s_mul_hi_i32 s3, s24, s13
	s_add_u32 s2, s28, s47
	s_addc_u32 s3, s3, s48
	s_lshl_b64 s[2:3], s[2:3], 15
	v_lshlrev_b32_e32 v1, 4, v86
	s_add_u32 s2, s16, s2
	v_lshl_or_b32 v91, v87, 2, v1
	s_addc_u32 s3, s17, s3
	v_lshl_add_u64 v[4:5], v[2:3], 1, s[2:3]
	v_lshlrev_b32_e32 v6, 1, v91
	v_lshl_add_u64 v[10:11], v[10:11], 1, s[2:3]
	v_lshl_add_u64 v[4:5], v[4:5], 0, v[6:7]
	;; [unrolled: 1-line block ×3, first 2 shown]
	global_load_dwordx2 v[8:9], v[4:5], off
	v_lshrrev_b32_e32 v90, 3, v45
	global_load_dwordx2 v[4:5], v[4:5], off offset:128
	s_nop 0
	global_load_dwordx2 v[12:13], v[10:11], off
	global_load_dwordx2 v[14:15], v[10:11], off offset:128
	v_or_b32_e32 v10, 0x1000, v2
	v_or_b32_e32 v2, 0x1800, v2
	v_ashrrev_i32_e32 v11, 31, v10
	v_ashrrev_i32_e32 v3, 31, v2
	v_lshl_add_u64 v[10:11], v[10:11], 1, s[2:3]
	v_lshl_add_u64 v[2:3], v[2:3], 1, s[2:3]
	;; [unrolled: 1-line block ×4, first 2 shown]
	global_load_dwordx2 v[16:17], v[10:11], off
	v_or_b32_e32 v92, 64, v91
	global_load_dwordx2 v[10:11], v[10:11], off offset:128
	s_nop 0
	global_load_dwordx2 v[6:7], v[2:3], off
	global_load_dwordx2 v[18:19], v[2:3], off offset:128
	s_load_dwordx8 s[4:11], s[0:1], 0x0
	s_load_dwordx2 s[28:29], s[0:1], 0x80
	s_load_dword s54, s[26:27], 0x0
	s_mul_i32 s33, s24, s21
	s_mul_hi_u32 s43, s24, s20
	s_mul_i32 s42, s25, s20
	s_mul_hi_i32 s52, s47, s12
	s_mul_i32 s53, s47, s12
	s_cmp_lt_i32 s50, 64
	s_mul_i32 s36, s24, s20
	s_mul_i32 s44, s47, s23
	s_mul_hi_u32 s45, s47, s22
	s_mul_i32 s46, s48, s22
	s_mul_i32 s34, s47, s22
	s_waitcnt vmcnt(7)
	v_and_b32_e32 v75, 0xffff0000, v8
	v_lshlrev_b32_e32 v74, 16, v8
	v_and_b32_e32 v79, 0xffff0000, v9
	v_lshlrev_b32_e32 v78, 16, v9
	s_waitcnt vmcnt(6)
	v_and_b32_e32 v73, 0xffff0000, v4
	v_lshlrev_b32_e32 v72, 16, v4
	v_and_b32_e32 v77, 0xffff0000, v5
	v_lshlrev_b32_e32 v76, 16, v5
	s_waitcnt vmcnt(5)
	v_and_b32_e32 v67, 0xffff0000, v12
	v_lshlrev_b32_e32 v66, 16, v12
	v_and_b32_e32 v71, 0xffff0000, v13
	v_lshlrev_b32_e32 v70, 16, v13
	s_waitcnt vmcnt(4)
	v_and_b32_e32 v65, 0xffff0000, v14
	v_lshlrev_b32_e32 v64, 16, v14
	v_and_b32_e32 v69, 0xffff0000, v15
	v_lshlrev_b32_e32 v68, 16, v15
	s_waitcnt vmcnt(3)
	v_and_b32_e32 v59, 0xffff0000, v16
	v_lshlrev_b32_e32 v58, 16, v16
	v_and_b32_e32 v63, 0xffff0000, v17
	v_lshlrev_b32_e32 v62, 16, v17
	s_waitcnt vmcnt(2)
	v_and_b32_e32 v57, 0xffff0000, v10
	v_lshlrev_b32_e32 v56, 16, v10
	v_and_b32_e32 v61, 0xffff0000, v11
	v_lshlrev_b32_e32 v60, 16, v11
	s_waitcnt vmcnt(1)
	v_and_b32_e32 v51, 0xffff0000, v6
	v_lshlrev_b32_e32 v50, 16, v6
	v_and_b32_e32 v55, 0xffff0000, v7
	v_lshlrev_b32_e32 v54, 16, v7
	s_waitcnt vmcnt(0)
	v_and_b32_e32 v49, 0xffff0000, v18
	v_lshlrev_b32_e32 v48, 16, v18
	v_and_b32_e32 v53, 0xffff0000, v19
	v_lshlrev_b32_e32 v52, 16, v19
	s_cbranch_scc1 .LBB4_18
; %bb.1:
	s_ashr_i32 s3, s30, 31
	s_add_u32 s2, s53, s30
	s_addc_u32 s3, s52, s3
	s_lshl_b64 s[2:3], s[2:3], 8
	v_and_b32_e32 v94, 56, v89
	s_waitcnt lgkmcnt(0)
	s_add_u32 s20, s6, s2
	v_lshl_or_b32 v93, v86, 3, v90
	v_lshlrev_b32_e32 v2, 1, v94
	s_addc_u32 s2, s7, s3
	v_lshl_or_b32 v95, v93, 8, v2
	s_and_b32 s21, s2, 0xffff
	s_mov_b32 s23, 0x20000
	s_movk_i32 s22, 0x4000
	s_movk_i32 s2, 0x80
	v_or_b32_e32 v96, 0x2000, v95
	buffer_load_dwordx4 v[4:7], v95, s[20:23], 0 offen
	buffer_load_dwordx4 v[8:11], v95, s[20:23], s2 offen
	;; [unrolled: 1-line block ×4, first 2 shown]
	v_lshlrev_b32_e32 v3, 3, v93
	v_and_or_b32 v21, v0, 7, v3
	v_and_b32_e32 v3, 0x78, v3
	v_lshlrev_b32_e32 v21, 4, v21
	v_xor_b32_e32 v97, v21, v3
	v_mul_lo_u32 v20, v93, s15
	v_or_b32_e32 v98, 0x1000, v97
	v_xor_b32_e32 v3, 8, v97
	s_cmpk_eq_i32 s15, 0x80
	s_mov_b32 s55, s30
	v_xor_b32_e32 v21, 8, v98
	s_cselect_b64 s[2:3], -1, 0
	s_cmpk_lg_i32 s15, 0x80
	s_waitcnt vmcnt(3)
	ds_write_b64 v97, v[4:5] offset:49152
	ds_write_b64 v3, v[6:7] offset:49152
	s_waitcnt vmcnt(2)
	ds_write_b64 v97, v[8:9] offset:57344
	ds_write_b64 v3, v[10:11] offset:57344
	;; [unrolled: 3-line block ×4, first 2 shown]
	v_lshl_add_u32 v3, v20, 1, v94
	s_cbranch_scc0 .LBB4_3
; %bb.2:
	v_lshlrev_b32_e32 v5, 1, v3
	v_add_lshl_u32 v4, v3, s15, 1
	s_lshl_b32 s22, s15, 7
	s_load_dwordx2 s[16:17], s[0:1], 0x20
	v_lshl_or_b32 v2, v93, 9, v2
	s_cbranch_execz .LBB4_4
	s_branch .LBB4_5
.LBB4_3:
                                        ; implicit-def: $vgpr4
                                        ; implicit-def: $vgpr5
                                        ; implicit-def: $sgpr22
	s_load_dwordx2 s[16:17], s[0:1], 0x20
	v_lshl_or_b32 v2, v93, 9, v2
.LBB4_4:
	v_or_b32_e32 v4, 0x100, v2
	s_movk_i32 s22, 0x4000
	v_mov_b32_e32 v5, v2
.LBB4_5:
	s_mul_i32 s0, s30, s14
	s_ashr_i32 s56, s51, 31
	s_mul_hi_i32 s1, s30, s14
	s_add_u32 s0, s0, s51
	s_addc_u32 s1, s1, s56
	s_lshl_b64 s[0:1], s[0:1], 8
	s_add_u32 s20, s4, s0
	s_addc_u32 s0, s5, s1
	s_and_b32 s21, s0, 0xffff
	s_movk_i32 s57, 0x80
	buffer_load_dwordx4 v[6:9], v5, s[20:23], 0 offen
	buffer_load_dwordx4 v[10:13], v5, s[20:23], s57 offen
	;; [unrolled: 1-line block ×4, first 2 shown]
	v_and_b32_e32 v5, 6, v0
	v_lshlrev_b32_e32 v4, 7, v91
	v_xor_b32_e32 v27, v93, v5
	v_and_b32_e32 v22, 1, v0
	v_lshl_or_b32 v30, v88, 3, v4
	v_lshlrev_b32_e32 v27, 2, v27
	v_lshlrev_b32_e32 v23, 2, v88
	v_or_b32_e32 v99, 0x4000, v30
	v_or_b32_e32 v100, 0x6000, v30
	v_xor_b32_e32 v30, 0x440, v27
	v_cmp_eq_u32_e32 vcc, 0, v22
	v_or_b32_e32 v25, 16, v88
	v_or_b32_e32 v26, 32, v88
	v_xor_b32_e32 v28, v91, v23
	v_xor_b32_e32 v29, v92, v23
	v_cndmask_b32_e32 v22, v30, v27, vcc
	s_mov_b32 s58, 0x1000504
	v_lshl_or_b32 v31, v25, 3, v4
	v_lshlrev_b32_e32 v25, 8, v25
	v_lshl_or_b32 v32, v26, 3, v4
	v_lshlrev_b32_e32 v28, 1, v28
	v_lshlrev_b32_e32 v29, 1, v29
	v_lshl_or_b32 v5, v5, 10, v22
	s_add_i32 s0, s43, s33
	s_mov_b32 s59, 0x3020706
	v_lshlrev_b32_e32 v24, 8, v88
	v_or_b32_e32 v103, 0x4000, v32
	v_or_b32_e32 v104, 0x6000, v32
	v_or_b32_e32 v107, v25, v28
	v_or_b32_e32 v108, v25, v29
	v_xor_b32_e32 v22, 8, v5
	v_xor_b32_e32 v25, 24, v5
	;; [unrolled: 1-line block ×4, first 2 shown]
	s_add_i32 s37, s0, s42
	s_add_i32 s0, s45, s44
	v_or_b32_e32 v101, 0x4000, v31
	v_or_b32_e32 v102, 0x6000, v31
	;; [unrolled: 1-line block ×4, first 2 shown]
	v_xor_b32_e32 v24, 16, v5
	v_xor_b32_e32 v27, 32, v5
	;; [unrolled: 1-line block ×3, first 2 shown]
	v_add_u32_e32 v22, 0x80, v22
	v_add_u32_e32 v25, 0x80, v25
	;; [unrolled: 1-line block ×4, first 2 shown]
	s_add_i32 s35, s0, s46
	s_lshl_b64 s[0:1], s[36:37], 2
	s_add_u32 s20, s10, s0
	s_addc_u32 s21, s11, s1
	s_lshl_b64 s[0:1], s[34:35], 2
	s_add_u32 s40, s20, s0
	s_movk_i32 s0, 0xf8
	s_addc_u32 s41, s21, s1
	s_ashr_i32 s39, s38, 31
	s_lshl_b32 s26, s15, 7
	v_mov_b32_e32 v81, 0
	s_movk_i32 s20, 0x100
	v_lshlrev_b32_e32 v80, 4, v88
	v_lshlrev_b32_e32 v26, 8, v26
	v_ashrrev_i32_e32 v47, 31, v46
	s_mov_b32 s60, 0
	s_movk_i32 s22, 0x4000
	v_or_b32_e32 v109, v26, v28
	v_or_b32_e32 v110, v26, v29
	v_lshl_add_u64 v[82:83], v[46:47], 1, s[8:9]
	s_mov_b32 s35, 0x7060302
	s_movk_i32 s37, 0x2000
	s_waitcnt vmcnt(1)
	v_perm_b32 v33, v6, v14, s58
	s_waitcnt vmcnt(0)
	v_perm_b32 v34, v10, v18, s58
	v_perm_b32 v6, v6, v14, s59
	;; [unrolled: 1-line block ×15, first 2 shown]
	ds_write2st64_b32 v5, v33, v34 offset0:128 offset1:160
	ds_write2st64_b32 v22, v6, v10 offset0:128 offset1:160
	;; [unrolled: 1-line block ×8, first 2 shown]
	v_or_b32_e32 v5, 48, v88
	v_lshl_or_b32 v6, v5, 3, v4
	v_lshlrev_b32_e32 v5, 8, v5
	v_or_b32_e32 v113, v5, v28
	v_or_b32_e32 v114, v5, v29
	v_or_b32_e32 v5, v1, v88
	v_lshlrev_b32_e32 v5, 3, v5
	v_lshrrev_b32_e32 v7, 5, v45
	v_and_or_b32 v7, v5, s0, v7
	v_lshlrev_b32_e32 v7, 4, v7
	v_or_b32_e32 v111, 0x4000, v6
	v_or_b32_e32 v112, 0x6000, v6
	v_lshrrev_b32_e32 v6, 2, v45
	v_lshlrev_b32_e32 v9, 11, v86
	v_and_b32_e32 v5, 0x78, v5
	v_or_b32_e32 v13, 32, v7
	v_and_b32_e32 v8, 12, v6
	v_and_b32_e32 v6, 0x1000, v9
	v_xor_b32_e32 v10, v7, v5
	v_lshrrev_b32_e32 v11, 1, v45
	v_xor_b32_e32 v13, v13, v5
	v_or_b32_e32 v10, v10, v6
	v_and_b32_e32 v11, 8, v11
	v_or_b32_e32 v13, v13, v6
	v_xor_b32_e32 v115, v10, v11
	v_lshlrev_b32_e32 v10, 8, v87
	v_xor_b32_e32 v117, v13, v11
	v_or_b32_e32 v13, 64, v7
	v_or_b32_e32 v7, 0x60, v7
	;; [unrolled: 1-line block ×3, first 2 shown]
	v_xor_b32_e32 v13, v13, v5
	v_xor_b32_e32 v5, v7, v5
	s_lshl_b64 s[0:1], s[38:39], 8
	v_lshlrev_b32_e32 v12, 1, v12
	v_or_b32_e32 v13, v13, v6
	v_or_b32_e32 v5, v5, v6
	s_add_u32 s0, s18, s0
	v_lshlrev_b32_e32 v6, 1, v88
	v_lshlrev_b32_e32 v15, 2, v0
	v_or_b32_e32 v116, 0x4000, v12
	v_or_b32_e32 v118, 0x4080, v12
	;; [unrolled: 1-line block ×4, first 2 shown]
	v_xor_b32_e32 v121, v13, v11
	v_xor_b32_e32 v122, v5, v11
	v_or_b32_e32 v123, 0x6000, v12
	v_or_b32_e32 v124, 0x6080, v12
	;; [unrolled: 1-line block ×4, first 2 shown]
	v_lshlrev_b32_e32 v5, 1, v3
	v_add_lshl_u32 v3, v3, s15, 1
	v_or_b32_e32 v11, 0x100, v2
	v_lshrrev_b32_e32 v12, 4, v0
	s_addc_u32 s1, s19, s1
	v_or_b32_e32 v7, 1, v6
	v_lshrrev_b32_e32 v16, 1, v0
	v_and_or_b32 v10, v15, 60, v10
	v_xor_b32_e32 v13, v12, v6
	v_xor_b32_e32 v14, v7, v12
	v_lshl_add_u64 v[6:7], s[0:1], 0, v[80:81]
	v_and_b32_e32 v16, 24, v16
	v_lshlrev_b32_e32 v10, 1, v10
	v_cndmask_b32_e64 v133, v5, v2, s[2:3]
	v_cndmask_b32_e64 v134, v3, v11, s[2:3]
	v_mov_b32_e32 v3, 0xa000
	v_mov_b32_e32 v5, 0x8000
	v_cmp_gt_u32_e64 s[0:1], s20, v0
	v_lshlrev_b32_e32 v80, 8, v12
	v_or_b32_e32 v129, 0x6000, v10
	v_or_b32_e32 v15, 32, v16
	;; [unrolled: 1-line block ×6, first 2 shown]
	v_cndmask_b32_e64 v3, v3, v5, s[0:1]
	v_lshlrev_b32_e32 v5, 3, v86
	v_lshl_or_b32 v127, v13, 3, v80
	v_and_b32_e32 v13, 8, v0
	v_xor_b32_e32 v11, v5, v16
	v_xor_b32_e32 v15, v5, v15
	;; [unrolled: 1-line block ×3, first 2 shown]
	v_mov_b32_e32 v17, 0x400
	v_cmp_eq_u32_e32 vcc, 0, v13
	v_or_b32_e32 v16, 0x440, v11
	v_or_b32_e32 v18, 0x440, v15
	v_xor_b32_e32 v10, 0x440, v5
	v_and_b32_e32 v12, 7, v0
	v_cndmask_b32_e64 v13, v17, 64, vcc
	v_cndmask_b32_e32 v16, v16, v11, vcc
	v_cndmask_b32_e32 v15, v18, v15, vcc
	;; [unrolled: 1-line block ×3, first 2 shown]
	v_lshl_or_b32 v128, v14, 3, v80
	v_lshlrev_b32_e32 v14, 3, v12
	v_or_b32_e32 v16, v16, v9
	v_or_b32_e32 v15, v15, v9
	v_or3_b32 v11, v9, v13, v11
	v_or_b32_e32 v5, v5, v9
	v_lshlrev_b32_e32 v12, 7, v12
	v_xor_b32_e32 v16, v16, v14
	v_xor_b32_e32 v15, v15, v14
	;; [unrolled: 1-line block ×4, first 2 shown]
	v_or_b32_e32 v2, v1, v8
	v_add_u32_e32 v17, v3, v16
	v_add_u32_e32 v18, v3, v15
	v_or_b32_e32 v135, v11, v12
	v_add_u32_e32 v9, v3, v5
	v_or3_b32 v8, v1, v8, 64
	v_add_u32_e32 v10, 0xa000, v16
	v_add_u32_e32 v11, 0xa000, v15
	v_add_u32_e32 v5, 0xa000, v5
	v_lshl_add_u64 v[84:85], v[6:7], 0, v[80:81]
	v_lshlrev_b32_e32 v80, 1, v4
	s_movk_i32 s39, 0x3000
	v_lshlrev_b32_e32 v47, 2, v2
	v_add_u32_e32 v136, v17, v12
	v_add_u32_e32 v137, v18, v12
	;; [unrolled: 1-line block ×4, first 2 shown]
	v_lshlrev_b32_e32 v140, 2, v8
	v_add_u32_e32 v141, v10, v12
	v_add_u32_e32 v142, v11, v12
	;; [unrolled: 1-line block ×3, first 2 shown]
	s_waitcnt lgkmcnt(0)
	s_barrier
.LBB4_6:                                ; =>This Inner Loop Header: Depth=1
	s_add_i32 s61, s60, 1
	s_cmp_lt_i32 s61, s49
	s_mov_b64 s[24:25], 0
	s_cselect_b64 s[2:3], -1, 0
	s_cmp_ge_i32 s61, s49
	s_mov_b64 s[20:21], 0
	s_cbranch_scc1 .LBB4_8
; %bb.7:                                ;   in Loop: Header=BB4_6 Depth=1
	s_add_i32 s0, s55, 64
	s_ashr_i32 s1, s0, 31
	s_add_u32 s0, s53, s0
	s_addc_u32 s1, s52, s1
	s_lshl_b64 s[0:1], s[0:1], 8
	s_add_u32 s20, s6, s0
	s_addc_u32 s21, s7, s1
.LBB4_8:                                ;   in Loop: Header=BB4_6 Depth=1
	v_cndmask_b32_e64 v2, 0, 1, s[2:3]
	v_cmp_ne_u32_e64 s[0:1], 1, v2
	s_andn2_b64 vcc, exec, s[2:3]
	s_cbranch_vccnz .LBB4_10
; %bb.9:                                ;   in Loop: Header=BB4_6 Depth=1
	s_add_i32 s2, s55, 64
	s_mul_hi_i32 s3, s2, s14
	s_mul_i32 s2, s2, s14
	s_add_u32 s2, s2, s51
	s_addc_u32 s3, s3, s56
	s_lshl_b64 s[2:3], s[2:3], 8
	s_add_u32 s24, s4, s2
	s_addc_u32 s25, s5, s3
.LBB4_10:                               ;   in Loop: Header=BB4_6 Depth=1
	v_perm_b32 v3, v79, v78, s35
	v_perm_b32 v2, v75, v74, s35
	v_perm_b32 v5, v77, v76, s35
	v_perm_b32 v4, v73, v72, s35
	ds_write_b64 v99, v[2:3]
	ds_write_b64 v100, v[4:5]
	ds_write_b64 v105, v[2:3]
	ds_write_b64 v106, v[4:5]
	v_perm_b32 v3, v71, v70, s35
	v_perm_b32 v2, v67, v66, s35
	v_perm_b32 v5, v69, v68, s35
	v_perm_b32 v4, v65, v64, s35
	ds_write_b64 v101, v[2:3]
	ds_write_b64 v102, v[4:5]
	ds_write_b64 v107, v[2:3]
	ds_write_b64 v108, v[4:5]
	;; [unrolled: 8-line block ×4, first 2 shown]
	s_waitcnt lgkmcnt(0)
	s_barrier
	ds_read_b64 v[6:7], v115 offset:49152
	ds_read2_b64 v[2:5], v116 offset1:16
	ds_read_b64 v[18:19], v118 offset:6144
	ds_read_b64 v[20:21], v116 offset:6144
	s_waitcnt lgkmcnt(2)
	v_mfma_f32_16x16x16_bf16 a[0:3], v[6:7], v[2:3], 0
	ds_read_b64 v[22:23], v117 offset:49152
	ds_read2st64_b64 v[10:13], v119 offset0:4 offset1:8
	ds_read2st64_b64 v[14:17], v120 offset0:4 offset1:8
	v_mfma_f32_16x16x16_bf16 a[4:7], v[6:7], v[4:5], 0
	ds_read2_b64 v[2:5], v116 offset0:32 offset1:48
	s_add_i32 s62, s55, 63
	s_ashr_i32 s2, s62, 31
	s_waitcnt lgkmcnt(0)
	v_mfma_f32_16x16x16_bf16 a[8:11], v[6:7], v[2:3], 0
	s_mul_i32 s3, s62, s29
	s_mul_hi_u32 s27, s62, s28
	s_add_i32 s3, s27, s3
	v_mfma_f32_16x16x16_bf16 a[12:15], v[6:7], v[4:5], 0
	ds_read2st64_b64 v[2:5], v116 offset0:4 offset1:8
	ds_read2st64_b64 v[6:9], v118 offset0:4 offset1:8
	s_mul_i32 s2, s2, s28
	s_waitcnt lgkmcnt(1)
	v_mfma_f32_16x16x16_bf16 a[0:3], v[22:23], v[2:3], a[0:3]
	s_add_i32 s3, s3, s2
	s_mul_i32 s2, s62, s28
	s_lshl_b64 s[2:3], s[2:3], 2
	s_waitcnt lgkmcnt(0)
	v_mfma_f32_16x16x16_bf16 a[4:7], v[22:23], v[6:7], a[4:7]
	s_add_u32 s2, s40, s2
	s_addc_u32 s3, s41, s3
	s_and_b64 vcc, exec, s[0:1]
	v_mfma_f32_16x16x16_bf16 a[8:11], v[22:23], v[10:11], a[8:11]
	ds_read_b64 v[2:3], v121 offset:49152
	ds_read_b64 v[6:7], v122 offset:49152
	;; [unrolled: 1-line block ×3, first 2 shown]
	v_mov_b32_e32 v146, 0
	v_mov_b32_e32 v145, 0
	v_mfma_f32_16x16x16_bf16 a[12:15], v[22:23], v[14:15], a[12:15]
	v_mov_b32_e32 v144, 0
	v_mov_b32_e32 v14, 0
	;; [unrolled: 1-line block ×3, first 2 shown]
	s_waitcnt lgkmcnt(2)
	v_mfma_f32_16x16x16_bf16 a[0:3], v[2:3], v[4:5], a[0:3]
	v_mov_b32_e32 v4, 0
	v_mov_b32_e32 v5, 0
	v_mfma_f32_16x16x16_bf16 a[16:19], v[2:3], v[8:9], a[4:7]
	v_mov_b32_e32 v8, 0
	v_mov_b32_e32 v9, 0
	;; [unrolled: 3-line block ×3, first 2 shown]
	v_mfma_f32_16x16x16_bf16 a[24:27], v[2:3], v[16:17], a[12:15]
	ds_read_b64 v[2:3], v119 offset:6144
	v_mov_b32_e32 v16, 0
	v_mov_b32_e32 v17, 0
	s_waitcnt lgkmcnt(2)
	v_mfma_f32_16x16x16_bf16 a[4:7], v[6:7], v[20:21], a[0:3]
	v_mfma_f32_16x16x16_bf16 a[8:11], v[6:7], v[18:19], a[16:19]
	s_waitcnt lgkmcnt(0)
	v_mfma_f32_16x16x16_bf16 a[12:15], v[6:7], v[2:3], a[20:23]
	v_mov_b32_e32 v2, 0
	v_mov_b32_e32 v3, 0
	v_mfma_f32_16x16x16_bf16 a[0:3], v[6:7], v[10:11], a[24:27]
	v_mov_b32_e32 v6, 0
	v_mov_b32_e32 v7, 0
	;; [unrolled: 1-line block ×4, first 2 shown]
	s_cbranch_vccnz .LBB4_12
; %bb.11:                               ;   in Loop: Header=BB4_6 Depth=1
	s_and_b32 s21, s21, 0xffff
	buffer_load_dwordx4 v[14:17], v95, s[20:23], 0 offen
	buffer_load_dwordx4 v[10:13], v95, s[20:23], s57 offen
	;; [unrolled: 1-line block ×4, first 2 shown]
	v_mov_b32_e32 v145, v97
	v_mov_b32_e32 v144, v98
.LBB4_12:                               ;   in Loop: Header=BB4_6 Depth=1
	ds_read_b64 v[34:35], v115 offset:57344
	ds_read2_b64 v[18:21], v123 offset1:16
	ds_read_b64 v[36:37], v117 offset:57344
	ds_read_b64 v[38:39], v121 offset:57344
	;; [unrolled: 1-line block ×3, first 2 shown]
	v_add_u32_e32 v42, s55, v91
	s_waitcnt lgkmcnt(3)
	v_mfma_f32_16x16x16_bf16 a[4:7], v[34:35], v[18:19], a[4:7]
	v_mfma_f32_16x16x16_bf16 a[8:11], v[34:35], v[20:21], a[8:11]
	ds_read2_b64 v[18:21], v123 offset0:32 offset1:48
	ds_read2st64_b64 v[22:25], v123 offset0:4 offset1:8
	ds_read2st64_b64 v[26:29], v124 offset0:4 offset1:8
	;; [unrolled: 1-line block ×3, first 2 shown]
	s_waitcnt lgkmcnt(3)
	v_mfma_f32_16x16x16_bf16 a[12:15], v[34:35], v[18:19], a[12:15]
	v_ashrrev_i32_e32 v18, 31, v42
	v_mfma_f32_16x16x16_bf16 a[0:3], v[34:35], v[20:21], a[0:3]
	v_mul_lo_u32 v20, v18, s28
	v_mul_lo_u32 v21, v42, s29
	v_mad_u64_u32 v[18:19], s[20:21], v42, s28, 0
	v_add3_u32 v19, v19, v21, v20
	v_add_u32_e32 v20, 1, v42
	v_ashrrev_i32_e32 v21, 31, v20
	s_waitcnt lgkmcnt(2)
	v_mfma_f32_16x16x16_bf16 a[4:7], v[36:37], v[22:23], a[4:7]
	v_mul_lo_u32 v22, v21, s28
	v_mul_lo_u32 v23, v20, s29
	v_mad_u64_u32 v[20:21], s[20:21], v20, s28, 0
	v_add3_u32 v21, v21, v23, v22
	v_add_u32_e32 v22, 2, v42
	v_ashrrev_i32_e32 v23, 31, v22
	s_waitcnt lgkmcnt(1)
	v_mfma_f32_16x16x16_bf16 a[8:11], v[36:37], v[26:27], a[8:11]
	v_mul_lo_u32 v26, v23, s28
	v_mul_lo_u32 v27, v22, s29
	v_mad_u64_u32 v[22:23], s[20:21], v22, s28, 0
	v_add3_u32 v23, v23, v27, v26
	v_add_u32_e32 v26, 3, v42
	v_ashrrev_i32_e32 v27, 31, v26
	v_mul_lo_u32 v34, v27, s28
	v_mul_lo_u32 v35, v26, s29
	v_mad_u64_u32 v[26:27], s[20:21], v26, s28, 0
	s_ashr_i32 s21, s55, 31
	s_add_u32 s20, s53, s55
	s_addc_u32 s21, s52, s21
	v_lshl_add_u64 v[18:19], v[18:19], 2, s[40:41]
	v_add3_u32 v27, v27, v35, v34
	s_lshl_b64 s[20:21], s[20:21], 8
	v_lshl_add_u64 v[20:21], v[20:21], 2, s[40:41]
	v_lshl_add_u64 v[22:23], v[22:23], 2, s[40:41]
	;; [unrolled: 1-line block ×3, first 2 shown]
	global_load_dword v34, v[18:19], off
	global_load_dword v35, v[20:21], off
	;; [unrolled: 1-line block ×4, first 2 shown]
	v_lshl_add_u64 v[18:19], v[82:83], 0, s[20:21]
	v_lshl_add_u64 v[22:23], v[18:19], 0, v[80:81]
	global_load_ushort v44, v[22:23], off offset:256
	global_load_ushort v147, v[22:23], off
	ds_read2st64_b64 v[18:21], v126 offset0:4 offset1:8
	global_load_ushort v148, v[22:23], off offset:768
	global_load_ushort v149, v[22:23], off offset:512
	s_waitcnt lgkmcnt(1)
	v_mfma_f32_16x16x16_bf16 a[12:15], v[36:37], v[30:31], a[12:15]
	s_and_b64 vcc, exec, s[0:1]
	s_waitcnt vmcnt(3)
	v_lshlrev_b32_e32 v31, 16, v44
	s_waitcnt lgkmcnt(0)
	v_mfma_f32_16x16x16_bf16 a[0:3], v[36:37], v[18:19], a[0:3]
	global_load_ushort v36, v[22:23], off offset:288
	global_load_ushort v37, v[22:23], off offset:32
	;; [unrolled: 1-line block ×8, first 2 shown]
	v_mfma_f32_16x16x16_bf16 a[4:7], v[38:39], v[24:25], a[4:7]
	ds_read_b64 v[18:19], v123 offset:6144
	s_waitcnt vmcnt(10)
	v_lshlrev_b32_e32 v30, 16, v147
	v_mov_b32_e32 v147, 0
	v_mfma_f32_16x16x16_bf16 a[8:11], v[38:39], v[28:29], a[8:11]
	v_mfma_f32_16x16x16_bf16 a[12:15], v[38:39], v[32:33], a[12:15]
	;; [unrolled: 1-line block ×3, first 2 shown]
	global_load_ushort v38, v[22:23], off offset:352
	global_load_ushort v39, v[22:23], off offset:96
	ds_read_b64 v[20:21], v124 offset:6144
	ds_read_b64 v[24:25], v125 offset:6144
	;; [unrolled: 1-line block ×3, first 2 shown]
	global_load_ushort v156, v[22:23], off offset:864
	global_load_ushort v157, v[22:23], off offset:608
	s_load_dword s2, s[2:3], 0x0
	s_waitcnt lgkmcnt(0)
	v_mfma_f32_16x16x16_bf16 a[4:7], v[40:41], v[18:19], a[4:7]
	v_sub_f32_e32 v28, s2, v42
	v_mfma_f32_16x16x16_bf16 a[0:3], v[40:41], v[26:27], a[0:3]
	v_sub_f32_e32 v26, s2, v34
	v_sub_f32_e32 v27, s2, v35
	;; [unrolled: 1-line block ×3, first 2 shown]
	v_mfma_f32_16x16x16_bf16 a[8:11], v[40:41], v[20:21], a[8:11]
	v_exp_f32_e32 v26, v26
	v_exp_f32_e32 v27, v27
	;; [unrolled: 1-line block ×4, first 2 shown]
	v_accvgpr_read_b32 v33, a5
	v_accvgpr_read_b32 v32, a4
	;; [unrolled: 1-line block ×4, first 2 shown]
	v_pk_add_f32 v[30:31], v[30:31], v[32:33] neg_lo:[0,1] neg_hi:[0,1]
	s_waitcnt vmcnt(13)
	v_lshlrev_b32_e32 v33, 16, v148
	s_waitcnt vmcnt(12)
	v_lshlrev_b32_e32 v32, 16, v149
	v_pk_add_f32 v[18:19], v[32:33], v[18:19] neg_lo:[0,1] neg_hi:[0,1]
	v_pk_mul_f32 v[30:31], v[26:27], v[30:31]
	v_pk_mul_f32 v[18:19], v[28:29], v[18:19]
	v_accvgpr_read_b32 v33, a9
	v_perm_b32 v19, v19, v18, s35
	v_perm_b32 v18, v31, v30, s35
	v_accvgpr_read_b32 v32, a8
	v_accvgpr_read_b32 v21, a11
	v_mfma_f32_16x16x16_bf16 a[12:15], v[40:41], v[24:25], a[12:15]
	v_accvgpr_read_b32 v20, a10
	v_accvgpr_read_b32 v25, a3
	;; [unrolled: 1-line block ×3, first 2 shown]
	s_waitcnt vmcnt(11)
	v_lshlrev_b32_e32 v31, 16, v36
	s_waitcnt vmcnt(10)
	v_lshlrev_b32_e32 v30, 16, v37
	v_pk_add_f32 v[30:31], v[30:31], v[32:33] neg_lo:[0,1] neg_hi:[0,1]
	s_waitcnt vmcnt(9)
	v_lshlrev_b32_e32 v33, 16, v150
	s_waitcnt vmcnt(8)
	v_lshlrev_b32_e32 v32, 16, v151
	v_pk_add_f32 v[20:21], v[32:33], v[20:21] neg_lo:[0,1] neg_hi:[0,1]
	v_pk_mul_f32 v[30:31], v[26:27], v[30:31]
	v_pk_mul_f32 v[20:21], v[28:29], v[20:21]
	v_accvgpr_read_b32 v23, a15
	v_perm_b32 v21, v21, v20, s35
	v_perm_b32 v20, v31, v30, s35
	ds_write2_b64 v100, v[18:19], v[20:21] offset1:16
	v_accvgpr_read_b32 v21, a13
	s_waitcnt vmcnt(7)
	v_lshlrev_b32_e32 v19, 16, v152
	s_waitcnt vmcnt(6)
	v_lshlrev_b32_e32 v18, 16, v153
	v_accvgpr_read_b32 v20, a12
	v_accvgpr_read_b32 v22, a14
	v_pk_add_f32 v[18:19], v[18:19], v[20:21] neg_lo:[0,1] neg_hi:[0,1]
	s_waitcnt vmcnt(5)
	v_lshlrev_b32_e32 v21, 16, v154
	s_waitcnt vmcnt(4)
	v_lshlrev_b32_e32 v20, 16, v155
	v_pk_add_f32 v[20:21], v[20:21], v[22:23] neg_lo:[0,1] neg_hi:[0,1]
	v_pk_mul_f32 v[18:19], v[26:27], v[18:19]
	v_pk_mul_f32 v[20:21], v[28:29], v[20:21]
	v_accvgpr_read_b32 v23, a1
	v_perm_b32 v21, v21, v20, s35
	v_perm_b32 v20, v19, v18, s35
	s_waitcnt vmcnt(3)
	v_lshlrev_b32_e32 v19, 16, v38
	s_waitcnt vmcnt(2)
	v_lshlrev_b32_e32 v18, 16, v39
	v_accvgpr_read_b32 v22, a0
	v_pk_add_f32 v[18:19], v[18:19], v[22:23] neg_lo:[0,1] neg_hi:[0,1]
	s_waitcnt vmcnt(1)
	v_lshlrev_b32_e32 v23, 16, v156
	s_waitcnt vmcnt(0)
	v_lshlrev_b32_e32 v22, 16, v157
	v_pk_add_f32 v[22:23], v[22:23], v[24:25] neg_lo:[0,1] neg_hi:[0,1]
	v_pk_mul_f32 v[18:19], v[26:27], v[18:19]
	v_pk_mul_f32 v[22:23], v[28:29], v[22:23]
	v_mov_b32_e32 v24, 0
	v_perm_b32 v23, v23, v22, s35
	v_perm_b32 v22, v19, v18, s35
	ds_write2_b64 v100, v[20:21], v[22:23] offset0:32 offset1:48
	v_mov_b32_e32 v18, 0
	v_mov_b32_e32 v19, 0
	;; [unrolled: 1-line block ×15, first 2 shown]
	s_cbranch_vccnz .LBB4_14
; %bb.13:                               ;   in Loop: Header=BB4_6 Depth=1
	s_and_b32 s25, s25, 0xffff
	s_mov_b32 s27, s23
	buffer_load_dwordx4 v[30:33], v133, s[24:27], 0 offen
	buffer_load_dwordx4 v[22:25], v133, s[24:27], s57 offen
	;; [unrolled: 1-line block ×4, first 2 shown]
	v_mov_b32_e32 v146, v94
	v_mov_b32_e32 v147, v93
.LBB4_14:                               ;   in Loop: Header=BB4_6 Depth=1
	s_waitcnt lgkmcnt(0)
	s_barrier
	ds_read_b64 v[42:43], v136
	ds_read2_b64 v[34:37], v129 offset1:16
	ds_read_b64 v[164:165], v137
	ds_read_b64 v[166:167], v138
	ds_read_b64 v[168:169], v139
	ds_read2_b64 v[38:41], v129 offset0:32 offset1:48
	ds_read2st64_b64 v[148:151], v129 offset0:4 offset1:8
	ds_read2st64_b64 v[152:155], v130 offset0:4 offset1:8
	ds_read2st64_b64 v[156:159], v131 offset0:4 offset1:8
	ds_read2st64_b64 v[160:163], v132 offset0:4 offset1:8
	s_waitcnt lgkmcnt(8)
	v_mfma_f32_16x16x16_bf16 a[0:3], v[42:43], v[34:35], 0
	s_add_i32 s3, s54, s60
	s_mul_hi_i32 s21, s3, s13
	s_mul_i32 s3, s3, s13
	v_mfma_f32_16x16x16_bf16 a[4:7], v[42:43], v[36:37], 0
	s_add_u32 s20, s3, s47
	s_addc_u32 s21, s21, s48
	s_lshl_b64 s[20:21], s[20:21], 15
	s_waitcnt lgkmcnt(4)
	v_mfma_f32_16x16x16_bf16 a[8:11], v[42:43], v[38:39], 0
	s_mul_i32 s24, s62, s13
	s_mul_hi_i32 s3, s62, s13
	s_add_u32 s24, s24, s47
	v_mfma_f32_16x16x16_bf16 a[12:15], v[42:43], v[40:41], 0
	ds_read_b64 v[42:43], v129 offset:6144
	ds_read_b64 v[176:177], v130 offset:6144
	;; [unrolled: 1-line block ×4, first 2 shown]
	s_addc_u32 s25, s3, s48
	s_waitcnt lgkmcnt(7)
	v_mfma_f32_16x16x16_bf16 a[0:3], v[164:165], v[148:149], a[0:3]
	s_lshl_b64 s[24:25], s[24:25], 9
	s_add_u32 s24, s16, s24
	s_addc_u32 s25, s17, s25
	s_waitcnt lgkmcnt(6)
	v_mfma_f32_16x16x16_bf16 a[4:7], v[164:165], v[152:153], a[4:7]
	v_lshl_add_u64 v[186:187], v[84:85], 0, s[20:21]
	s_waitcnt lgkmcnt(5)
	v_mfma_f32_16x16x16_bf16 a[8:11], v[164:165], v[156:157], a[8:11]
	s_waitcnt lgkmcnt(4)
	v_mfma_f32_16x16x16_bf16 a[12:15], v[164:165], v[160:161], a[12:15]
	ds_read_b64 v[164:165], v141
	ds_read_b64 v[174:175], v142
	;; [unrolled: 1-line block ×3, first 2 shown]
	s_waitcnt lgkmcnt(2)
	v_mfma_f32_16x16x16_bf16 a[16:19], v[164:165], v[34:35], 0
	v_mfma_f32_16x16x16_bf16 a[20:23], v[164:165], v[36:37], 0
	global_load_dwordx4 v[34:37], v140, s[24:25]
	v_mfma_f32_16x16x16_bf16 a[24:27], v[164:165], v[38:39], 0
	v_mfma_f32_16x16x16_bf16 a[28:31], v[164:165], v[40:41], 0
	global_load_dwordx4 v[38:41], v47, s[24:25]
	v_mfma_f32_16x16x16_bf16 a[0:3], v[166:167], v[150:151], a[0:3]
	v_mfma_f32_16x16x16_bf16 a[4:7], v[166:167], v[154:155], a[4:7]
	;; [unrolled: 1-line block ×8, first 2 shown]
	ds_read2st64_b64 v[164:167], v127 offset1:8
	ds_read2st64_b64 v[168:171], v128 offset1:8
	ds_read_b64 v[184:185], v135 offset:40960
	s_waitcnt lgkmcnt(2)
	v_mov_b32_e32 v172, v164
	v_mfma_f32_16x16x16_bf16 a[16:19], v[174:175], v[148:149], a[16:19]
	v_mov_b32_e32 v173, v165
	v_mfma_f32_16x16x16_bf16 a[20:23], v[174:175], v[152:153], a[20:23]
	v_mfma_f32_16x16x16_bf16 a[24:27], v[174:175], v[156:157], a[24:27]
	;; [unrolled: 1-line block ×3, first 2 shown]
	v_add_co_u32_e32 v160, vcc, s37, v186
	s_waitcnt lgkmcnt(1)
	v_mov_b32_e32 v174, v168
	s_waitcnt lgkmcnt(0)
	v_mfma_f32_16x16x16_bf16 a[16:19], v[184:185], v[150:151], a[16:19]
	ds_read2st64_b64 v[148:151], v127 offset0:16 offset1:24
	v_addc_co_u32_e32 v161, vcc, 0, v187, vcc
	v_mfma_f32_16x16x16_bf16 a[20:23], v[184:185], v[154:155], a[20:23]
	ds_read2st64_b64 v[152:155], v128 offset0:16 offset1:24
	v_mov_b32_e32 v175, v169
	v_mov_b32_e32 v168, v166
	v_mfma_f32_16x16x16_bf16 a[32:35], v[184:185], v[158:159], a[24:27]
	v_mov_b32_e32 v169, v167
	s_waitcnt lgkmcnt(0)
	v_mov_b32_e32 v158, v152
	v_mov_b32_e32 v159, v153
	v_mfma_f32_16x16x16_bf16 a[36:39], v[184:185], v[162:163], a[28:31]
	v_mov_b32_e32 v152, v150
	v_mov_b32_e32 v153, v151
	;; [unrolled: 1-line block ×3, first 2 shown]
	v_mfma_f32_16x16x16_bf16 a[24:27], v[182:183], v[42:43], a[16:19]
	v_add_co_u32_e32 v42, vcc, s39, v186
	v_mov_b32_e32 v157, v149
	v_mfma_f32_16x16x16_bf16 a[28:31], v[182:183], v[176:177], a[20:23]
	v_addc_co_u32_e32 v43, vcc, 0, v187, vcc
	global_store_dwordx4 v[42:43], v[152:155], off
	v_mfma_f32_16x16x16_bf16 a[16:19], v[182:183], v[178:179], a[32:35]
	s_waitcnt vmcnt(2)
	v_mov_b32_e32 v44, v37
	v_mov_b32_e32 v43, v36
	;; [unrolled: 1-line block ×3, first 2 shown]
	v_mfma_f32_16x16x16_bf16 a[20:23], v[182:183], v[180:181], a[36:39]
	s_and_b64 vcc, exec, s[0:1]
	global_store_dwordx4 v[186:187], v[172:175], off
	global_store_dwordx4 v[160:161], v[168:171], off offset:-4096
	global_store_dwordx4 v[160:161], v[156:159], off
	s_cbranch_vccnz .LBB4_16
; %bb.15:                               ;   in Loop: Header=BB4_6 Depth=1
	v_lshrrev_b32_e32 v35, 3, v146
	v_and_b32_e32 v35, 6, v35
	v_xor_b32_e32 v36, v35, v147
	v_lshlrev_b32_e32 v36, 2, v36
	v_and_b32_e32 v37, 8, v146
	v_xor_b32_e32 v146, 0x440, v36
	v_cmp_eq_u32_e32 vcc, 0, v37
	v_perm_b32 v37, v22, v18, s58
	s_nop 0
	v_cndmask_b32_e32 v36, v146, v36, vcc
	v_lshl_or_b32 v35, v35, 10, v36
	v_perm_b32 v36, v30, v26, s58
	s_barrier
	ds_write2st64_b32 v35, v36, v37 offset0:128 offset1:160
	v_xor_b32_e32 v36, 8, v35
	v_perm_b32 v26, v30, v26, s59
	v_perm_b32 v18, v22, v18, s59
	v_add_u32_e32 v22, 0x80, v36
	ds_write2st64_b32 v22, v26, v18 offset0:128 offset1:160
	v_xor_b32_e32 v18, 16, v35
	v_perm_b32 v22, v31, v27, s58
	v_perm_b32 v26, v23, v19, s58
	ds_write2st64_b32 v18, v22, v26 offset0:129 offset1:161
	v_xor_b32_e32 v18, 24, v35
	v_perm_b32 v22, v31, v27, s59
	v_perm_b32 v19, v23, v19, s59
	v_add_u32_e32 v18, 0x80, v18
	ds_write2st64_b32 v18, v22, v19 offset0:129 offset1:161
	v_xor_b32_e32 v18, 32, v35
	v_perm_b32 v19, v32, v28, s58
	v_perm_b32 v22, v24, v20, s58
	;; [unrolled: 9-line block ×3, first 2 shown]
	ds_write2st64_b32 v18, v19, v20 offset0:131 offset1:163
	v_xor_b32_e32 v18, 56, v35
	v_perm_b32 v19, v33, v29, s59
	v_perm_b32 v20, v25, v21, s59
	v_add_u32_e32 v18, 0x80, v18
	ds_write2st64_b32 v18, v19, v20 offset0:131 offset1:163
	ds_write_b64 v145, v[14:15] offset:49152
	v_xor_b32_e32 v14, 8, v145
	ds_write_b64 v14, v[16:17] offset:49152
	ds_write_b64 v145, v[10:11] offset:57344
	;; [unrolled: 1-line block ×4, first 2 shown]
	v_xor_b32_e32 v6, 8, v144
	ds_write_b64 v6, v[8:9] offset:49152
	ds_write_b64 v144, v[2:3] offset:57344
	;; [unrolled: 1-line block ×3, first 2 shown]
.LBB4_16:                               ;   in Loop: Header=BB4_6 Depth=1
	v_exp_f32_e32 v36, s2
	s_waitcnt vmcnt(4)
	v_exp_f32_e32 v38, v38
	v_exp_f32_e32 v39, v39
	;; [unrolled: 1-line block ×4, first 2 shown]
	v_accvgpr_read_b32 v5, a3
	v_accvgpr_read_b32 v4, a2
	;; [unrolled: 1-line block ×4, first 2 shown]
	v_pk_mul_f32 v[38:39], v[36:37], v[38:39] op_sel_hi:[0,1]
	v_pk_mul_f32 v[40:41], v[36:37], v[40:41] op_sel_hi:[0,1]
	v_pk_fma_f32 v[74:75], v[74:75], v[38:39], v[2:3]
	v_pk_fma_f32 v[78:79], v[78:79], v[40:41], v[4:5]
	v_exp_f32_e32 v2, v34
	v_exp_f32_e32 v3, v42
	;; [unrolled: 1-line block ×4, first 2 shown]
	v_accvgpr_read_b32 v9, a7
	v_accvgpr_read_b32 v13, a11
	;; [unrolled: 1-line block ×28, first 2 shown]
	v_pk_mul_f32 v[2:3], v[36:37], v[2:3] op_sel_hi:[0,1]
	v_pk_mul_f32 v[4:5], v[36:37], v[4:5] op_sel_hi:[0,1]
	s_add_i32 s55, s55, 64
	v_pk_fma_f32 v[66:67], v[38:39], v[66:67], v[6:7]
	v_pk_fma_f32 v[70:71], v[40:41], v[70:71], v[8:9]
	;; [unrolled: 1-line block ×13, first 2 shown]
	s_cmp_eq_u32 s49, s61
	v_pk_fma_f32 v[52:53], v[4:5], v[52:53], v[32:33]
	s_cbranch_scc1 .LBB4_18
; %bb.17:                               ;   in Loop: Header=BB4_6 Depth=1
	s_mov_b32 s60, s61
	s_branch .LBB4_6
.LBB4_18:
	s_lshl_b32 s26, s49, 6
	s_sub_i32 s27, s50, s26
	s_cmp_gt_i32 s27, 0
	s_cbranch_scc0 .LBB4_99
; %bb.19:
	s_add_i32 s26, s26, s30
	s_ashr_i32 s2, s26, 31
	s_cmpk_lg_i32 s15, 0x80
	s_cselect_b64 s[22:23], -1, 0
	s_and_b64 vcc, exec, s[22:23]
	s_cbranch_vccz .LBB4_21
; %bb.20:
	s_mul_i32 s1, s26, s14
	s_ashr_i32 s3, s51, 31
	s_mul_hi_i32 s0, s26, s14
	s_add_u32 s24, s1, s51
	s_addc_u32 s25, s0, s3
	s_cbranch_execz .LBB4_22
	s_branch .LBB4_23
.LBB4_21:
                                        ; implicit-def: $sgpr24_sgpr25
.LBB4_22:
	s_mul_i32 s1, s51, s12
	s_mul_hi_i32 s0, s51, s12
	s_add_u32 s24, s1, s26
	s_addc_u32 s25, s0, s2
.LBB4_23:
	s_waitcnt lgkmcnt(0)
	s_add_i32 s3, s49, s54
	s_add_u32 s0, s53, s26
	v_lshlrev_b32_e32 v6, 6, v91
	v_lshlrev_b32_e32 v24, 2, v88
	s_addc_u32 s1, s52, s2
	s_mov_b32 s2, 0x7060302
	v_or_b32_e32 v9, v6, v24
	v_xor_b32_e32 v7, v91, v24
	v_perm_b32 v3, v79, v78, s2
	v_perm_b32 v2, v75, v74, s2
	;; [unrolled: 1-line block ×4, first 2 shown]
	v_lshlrev_b32_e32 v9, 1, v9
	v_xor_b32_e32 v8, v92, v24
	ds_write2st64_b64 v9, v[2:3], v[4:5] offset0:32 offset1:48
	v_lshlrev_b32_e32 v7, 1, v7
	v_lshlrev_b32_e32 v9, 8, v88
	v_or_b32_e32 v10, v7, v9
	v_lshlrev_b32_e32 v8, 1, v8
	ds_write_b64 v10, v[2:3]
	v_or_b32_e32 v2, v8, v9
	v_or_b32_e32 v9, 16, v88
	v_lshlrev_b32_e32 v23, 2, v9
	v_or_b32_e32 v10, v6, v23
	ds_write_b64 v2, v[4:5]
	v_perm_b32 v3, v71, v70, s2
	v_perm_b32 v2, v67, v66, s2
	;; [unrolled: 1-line block ×4, first 2 shown]
	v_lshlrev_b32_e32 v10, 1, v10
	v_lshlrev_b32_e32 v9, 8, v9
	ds_write2st64_b64 v10, v[2:3], v[4:5] offset0:32 offset1:48
	v_or_b32_e32 v10, v7, v9
	ds_write_b64 v10, v[2:3]
	v_or_b32_e32 v2, v8, v9
	v_or_b32_e32 v9, 32, v88
	v_lshlrev_b32_e32 v22, 2, v9
	v_or_b32_e32 v10, v6, v22
	s_lshl_b64 s[20:21], s[0:1], 8
	ds_write_b64 v2, v[4:5]
	v_perm_b32 v3, v63, v62, s2
	v_perm_b32 v2, v59, v58, s2
	;; [unrolled: 1-line block ×4, first 2 shown]
	v_lshlrev_b32_e32 v10, 1, v10
	v_lshlrev_b32_e32 v9, 8, v9
	s_add_u32 s0, s6, s20
	ds_write2st64_b64 v10, v[2:3], v[4:5] offset0:32 offset1:48
	v_or_b32_e32 v10, v7, v9
	s_addc_u32 s1, s7, s21
	ds_write_b64 v10, v[2:3]
	v_or_b32_e32 v2, v8, v9
	v_or_b32_e32 v9, 48, v88
	s_mul_hi_i32 s6, s3, s13
	s_mul_i32 s3, s3, s13
	ds_write_b64 v2, v[4:5]
	v_perm_b32 v3, v55, v54, s2
	v_perm_b32 v2, v51, v50, s2
	;; [unrolled: 1-line block ×4, first 2 shown]
	v_lshlrev_b32_e32 v19, 2, v9
	s_add_u32 s2, s3, s47
	v_or_b32_e32 v6, v6, v19
	s_addc_u32 s3, s6, s48
	v_lshlrev_b32_e32 v6, 1, v6
	s_ashr_i32 s39, s38, 31
	s_lshl_b64 s[2:3], s[2:3], 15
	ds_write2st64_b64 v6, v[2:3], v[4:5] offset0:32 offset1:48
	v_lshlrev_b32_e32 v6, 8, v9
	s_add_u32 s6, s18, s2
	v_or_b32_e32 v7, v7, v6
	s_addc_u32 s7, s19, s3
	s_lshl_b64 s[2:3], s[38:39], 8
	ds_write_b64 v7, v[2:3]
	v_or_b32_e32 v2, v8, v6
	s_add_u32 s2, s6, s2
	v_lshlrev_b32_e32 v3, 1, v88
	ds_write_b64 v2, v[4:5]
	v_lshrrev_b32_e32 v2, 4, v0
	s_addc_u32 s3, s7, s3
	v_or_b32_e32 v4, 1, v3
	v_lshlrev_b32_e32 v10, 4, v88
	v_mov_b32_e32 v11, 0
	v_xor_b32_e32 v3, v2, v3
	v_xor_b32_e32 v6, v4, v2
	v_lshl_add_u64 v[12:13], s[2:3], 0, v[10:11]
	v_lshlrev_b32_e32 v10, 8, v2
	v_lshl_or_b32 v16, v3, 3, v10
	v_lshl_or_b32 v17, v6, 3, v10
	s_waitcnt lgkmcnt(0)
	s_barrier
	ds_read2st64_b64 v[2:5], v16 offset1:8
	ds_read2st64_b64 v[6:9], v17 offset1:8
	v_lshl_add_u64 v[14:15], v[12:13], 0, v[10:11]
	s_movk_i32 s2, 0x2000
	s_cmp_lg_u32 s27, 64
	s_waitcnt lgkmcnt(1)
	v_mov_b32_e32 v10, v2
	v_mov_b32_e32 v11, v3
	s_waitcnt lgkmcnt(0)
	v_mov_b32_e32 v12, v6
	v_mov_b32_e32 v13, v7
	global_store_dwordx4 v[14:15], v[10:13], off
	v_mov_b32_e32 v6, v4
	v_mov_b32_e32 v7, v5
	ds_read2st64_b64 v[2:5], v16 offset0:16 offset1:24
	ds_read2st64_b64 v[10:13], v17 offset0:16 offset1:24
	v_add_co_u32_e32 v16, vcc, s2, v14
	s_cselect_b64 s[6:7], -1, 0
	s_nop 0
	v_addc_co_u32_e32 v17, vcc, 0, v15, vcc
	global_store_dwordx4 v[16:17], v[6:9], off offset:-4096
	v_lshl_or_b32 v25, v86, 3, v90
	s_mov_b32 s16, 0
	s_waitcnt lgkmcnt(1)
	v_mov_b32_e32 v6, v2
	v_add_co_u32_e32 v2, vcc, 0x3000, v14
	v_mov_b32_e32 v7, v3
	s_nop 0
	v_addc_co_u32_e32 v3, vcc, 0, v15, vcc
	s_waitcnt lgkmcnt(0)
	v_mov_b32_e32 v8, v10
	v_mov_b32_e32 v9, v11
	v_mov_b32_e32 v10, v4
	v_mov_b32_e32 v11, v5
	v_or_b32_e32 v20, 32, v25
	v_and_b32_e32 v18, 56, v89
	s_and_b64 vcc, exec, s[6:7]
	global_store_dwordx4 v[16:17], v[6:9], off
	global_store_dwordx4 v[2:3], v[10:13], off
	s_cbranch_vccz .LBB4_29
; %bb.24:
	s_mov_b32 s17, s16
	s_mov_b32 s18, s16
	;; [unrolled: 1-line block ×3, first 2 shown]
	v_mov_b64_e32 v[6:7], s[16:17]
	v_mov_b64_e32 v[8:9], s[18:19]
	;; [unrolled: 1-line block ×3, first 2 shown]
	v_cmp_gt_i32_e32 vcc, s27, v25
	v_mov_b64_e32 v[4:5], v[8:9]
	s_and_saveexec_b64 s[2:3], vcc
	s_cbranch_execz .LBB4_26
; %bb.25:
	v_lshlrev_b32_e32 v2, 8, v25
	v_mov_b32_e32 v3, 0
	v_lshl_add_u64 v[4:5], s[0:1], 0, v[2:3]
	v_lshlrev_b32_e32 v2, 1, v18
	v_lshl_add_u64 v[10:11], v[4:5], 0, v[2:3]
	global_load_dwordx4 v[6:9], v[10:11], off
	global_load_dwordx4 v[2:5], v[10:11], off offset:128
.LBB4_26:
	s_or_b64 exec, exec, s[2:3]
	s_mov_b32 s17, s16
	s_mov_b32 s18, s16
	;; [unrolled: 1-line block ×3, first 2 shown]
	v_mov_b64_e32 v[14:15], s[16:17]
	v_mov_b64_e32 v[16:17], s[18:19]
	;; [unrolled: 1-line block ×3, first 2 shown]
	v_cmp_gt_i32_e32 vcc, s27, v20
	v_lshlrev_b32_e32 v21, 7, v20
	v_mov_b64_e32 v[12:13], v[16:17]
	s_and_saveexec_b64 s[2:3], vcc
	s_cbranch_execz .LBB4_28
; %bb.27:
	v_lshlrev_b32_e32 v10, 1, v21
	v_mov_b32_e32 v11, 0
	v_lshl_add_u64 v[12:13], s[0:1], 0, v[10:11]
	v_lshlrev_b32_e32 v10, 1, v18
	v_lshl_add_u64 v[26:27], v[12:13], 0, v[10:11]
	global_load_dwordx4 v[14:17], v[26:27], off
	global_load_dwordx4 v[10:13], v[26:27], off offset:128
.LBB4_28:
	s_or_b64 exec, exec, s[2:3]
	v_lshrrev_b32_e32 v26, 3, v18
	v_lshlrev_b32_e32 v27, 3, v25
	v_or_b32_e32 v26, v27, v26
	v_lshlrev_b32_e32 v26, 4, v26
	v_and_b32_e32 v27, 0x78, v27
	v_xor_b32_e32 v26, v26, v27
	s_branch .LBB4_31
.LBB4_29:
                                        ; implicit-def: $vgpr26
                                        ; implicit-def: $vgpr21
                                        ; implicit-def: $vgpr6_vgpr7_vgpr8_vgpr9
                                        ; implicit-def: $vgpr2_vgpr3_vgpr4_vgpr5
                                        ; implicit-def: $vgpr14_vgpr15_vgpr16_vgpr17
                                        ; implicit-def: $vgpr10_vgpr11_vgpr12_vgpr13
	s_cbranch_execz .LBB4_31
; %bb.30:
	s_waitcnt vmcnt(0)
	v_lshlrev_b32_e32 v2, 1, v18
	v_lshl_or_b32 v21, v25, 8, v2
	s_and_b32 s1, s1, 0xffff
	s_mov_b32 s3, 0x20000
	s_movk_i32 s2, 0x4000
	v_lshl_or_b32 v26, v20, 8, v2
	s_movk_i32 s12, 0x80
	buffer_load_dwordx4 v[6:9], v21, s[0:3], 0 offen
	buffer_load_dwordx4 v[2:5], v21, s[0:3], s12 offen
	;; [unrolled: 1-line block ×4, first 2 shown]
	v_lshrrev_b32_e32 v21, 3, v18
	v_lshlrev_b32_e32 v26, 3, v25
	v_or_b32_e32 v21, v26, v21
	v_lshlrev_b32_e32 v21, 4, v21
	v_and_b32_e32 v26, 0x78, v26
	v_xor_b32_e32 v26, v21, v26
	v_lshlrev_b32_e32 v21, 7, v20
.LBB4_31:
	s_movk_i32 s0, 0x1000
	v_and_or_b32 v20, v21, s0, v26
	s_waitcnt vmcnt(1)
	ds_write_b64 v26, v[6:7] offset:49152
	v_xor_b32_e32 v6, 8, v26
	ds_write_b64 v6, v[8:9] offset:49152
	s_waitcnt vmcnt(0)
	ds_write_b64 v26, v[2:3] offset:57344
	ds_write_b64 v6, v[4:5] offset:57344
	;; [unrolled: 1-line block ×3, first 2 shown]
	v_xor_b32_e32 v2, 8, v20
	ds_write_b64 v2, v[16:17] offset:49152
	ds_write_b64 v20, v[10:11] offset:57344
	;; [unrolled: 1-line block ×3, first 2 shown]
	v_or_b32_e32 v2, v1, v88
	v_lshlrev_b32_e32 v3, 11, v86
	v_lshlrev_b32_e32 v2, 3, v2
	v_and_b32_e32 v6, 0x1000, v3
	v_lshrrev_b32_e32 v3, 5, v45
	s_movk_i32 s0, 0xf8
	v_and_or_b32 v3, v2, s0, v3
	v_lshlrev_b32_e32 v7, 4, v3
	v_and_b32_e32 v8, 0x78, v2
	v_or_b32_e32 v10, 32, v7
	v_lshrrev_b32_e32 v3, 1, v45
	v_xor_b32_e32 v10, v10, v8
	v_xor_b32_e32 v2, v7, v8
	v_and_b32_e32 v9, 8, v3
	v_or_b32_e32 v10, v10, v6
	v_or_b32_e32 v2, v2, v6
	v_xor_b32_e32 v28, v10, v9
	v_or_b32_e32 v10, 64, v7
	v_xor_b32_e32 v27, v2, v9
	v_xor_b32_e32 v10, v10, v8
	s_waitcnt lgkmcnt(0)
	s_barrier
	v_or_b32_e32 v13, v10, v6
	ds_read_b64 v[10:11], v27 offset:49152
	v_lshl_or_b32 v14, v87, 8, v24
	v_lshlrev_b32_e32 v26, 1, v14
	v_add_u32_e32 v12, 0x4000, v26
	ds_read2_b64 v[2:5], v12 offset1:16
	v_or_b32_e32 v7, 0x60, v7
	v_xor_b32_e32 v7, v7, v8
	v_or_b32_e32 v6, v7, v6
	v_xor_b32_e32 v29, v13, v9
	v_xor_b32_e32 v30, v6, v9
	ds_read_b64 v[20:21], v28 offset:49152
	ds_read_b64 v[34:35], v29 offset:49152
	;; [unrolled: 1-line block ×3, first 2 shown]
	s_waitcnt lgkmcnt(3)
	v_mfma_f32_16x16x16_bf16 a[0:3], v[10:11], v[2:3], 0
	ds_read2st64_b64 v[6:9], v26 offset0:36 offset1:40
	s_lshl_b64 s[0:1], s[24:25], 8
	s_add_u32 s4, s4, s0
	v_mfma_f32_16x16x16_bf16 a[4:7], v[10:11], v[4:5], 0
	ds_read2_b64 v[2:5], v12 offset0:32 offset1:48
	s_addc_u32 s5, s5, s1
	s_add_i32 s1, s43, s33
	s_waitcnt lgkmcnt(0)
	v_mfma_f32_16x16x16_bf16 a[8:11], v[10:11], v[2:3], 0
	v_or_b32_e32 v2, 64, v14
	v_lshlrev_b32_e32 v31, 1, v2
	s_add_i32 s0, s31, -1
	v_mfma_f32_16x16x16_bf16 a[12:15], v[10:11], v[4:5], 0
	ds_read2st64_b64 v[2:5], v31 offset0:36 offset1:40
	s_add_i32 s37, s1, s42
	s_add_i32 s1, s45, s44
	v_mfma_f32_16x16x16_bf16 a[0:3], v[20:21], v[6:7], a[0:3]
	v_or_b32_e32 v6, 0x80, v14
	v_lshlrev_b32_e32 v32, 1, v6
	ds_read2st64_b64 v[10:13], v32 offset0:36 offset1:40
	s_waitcnt lgkmcnt(1)
	v_mfma_f32_16x16x16_bf16 a[4:7], v[20:21], v[2:3], a[4:7]
	v_or_b32_e32 v2, 0xc0, v14
	v_lshlrev_b32_e32 v33, 1, v2
	ds_read2st64_b64 v[14:17], v33 offset0:36 offset1:40
	s_add_i32 s35, s1, s46
	s_ashr_i32 s1, s0, 31
	s_mul_i32 s2, s0, s29
	s_mul_hi_u32 s3, s0, s28
	s_add_i32 s2, s3, s2
	s_mul_i32 s1, s1, s28
	s_waitcnt lgkmcnt(1)
	v_mfma_f32_16x16x16_bf16 a[8:11], v[20:21], v[10:11], a[8:11]
	s_add_i32 s1, s2, s1
	s_lshl_b64 s[2:3], s[36:37], 2
	s_add_u32 s10, s10, s2
	s_waitcnt lgkmcnt(0)
	v_mfma_f32_16x16x16_bf16 a[12:15], v[20:21], v[14:15], a[12:15]
	s_addc_u32 s11, s11, s3
	s_lshl_b64 s[2:3], s[34:35], 2
	s_mul_i32 s0, s0, s28
	v_mfma_f32_16x16x16_bf16 a[0:3], v[34:35], v[8:9], a[0:3]
	ds_read_b64 v[2:3], v26 offset:22528
	s_add_u32 s10, s10, s2
	s_addc_u32 s11, s11, s3
	v_mfma_f32_16x16x16_bf16 a[4:7], v[34:35], v[4:5], a[4:7]
	ds_read_b64 v[4:5], v31 offset:22528
	ds_read_b64 v[6:7], v32 offset:22528
	;; [unrolled: 1-line block ×3, first 2 shown]
	s_lshl_b64 s[0:1], s[0:1], 2
	s_add_u32 s0, s10, s0
	v_mfma_f32_16x16x16_bf16 a[8:11], v[34:35], v[12:13], a[8:11]
	s_addc_u32 s1, s11, s1
	s_load_dword s12, s[0:1], 0x0
	s_and_b64 vcc, exec, s[22:23]
	v_mfma_f32_16x16x16_bf16 a[12:15], v[34:35], v[16:17], a[12:15]
	s_waitcnt lgkmcnt(0)
	v_mfma_f32_16x16x16_bf16 a[0:3], v[36:37], v[2:3], a[0:3]
	v_mfma_f32_16x16x16_bf16 a[4:7], v[36:37], v[4:5], a[4:7]
	;; [unrolled: 1-line block ×4, first 2 shown]
	s_cbranch_vccz .LBB4_42
; %bb.32:
	v_lshlrev_b32_e32 v20, 1, v25
	s_and_b64 vcc, exec, s[6:7]
	s_cbranch_vccz .LBB4_43
; %bb.33:
	v_cmp_gt_i32_e32 vcc, s27, v20
	v_mov_b32_e32 v6, 0
	v_mov_b32_e32 v2, 0
	;; [unrolled: 1-line block ×5, first 2 shown]
	s_and_saveexec_b64 s[0:1], vcc
	s_cbranch_execz .LBB4_35
; %bb.34:
	v_mad_i64_i32 v[2:3], s[2:3], s15, v20, 0
	v_lshl_add_u64 v[2:3], v[2:3], 1, s[4:5]
	v_lshlrev_b32_e32 v4, 1, v18
	v_mov_b32_e32 v5, 0
	v_lshl_add_u64 v[2:3], v[2:3], 0, v[4:5]
	global_load_dwordx4 v[2:5], v[2:3], off
.LBB4_35:
	s_or_b64 exec, exec, s[0:1]
	v_or_b32_e32 v21, 1, v20
	v_cmp_gt_i32_e64 s[0:1], s27, v21
	v_mov_b32_e32 v7, 0
	v_mov_b32_e32 v8, 0
	;; [unrolled: 1-line block ×3, first 2 shown]
	s_and_saveexec_b64 s[2:3], s[0:1]
	s_cbranch_execz .LBB4_37
; %bb.36:
	v_mad_i64_i32 v[6:7], s[16:17], s15, v21, 0
	v_lshl_add_u64 v[6:7], v[6:7], 1, s[4:5]
	v_lshlrev_b32_e32 v8, 1, v18
	v_mov_b32_e32 v9, 0
	v_lshl_add_u64 v[6:7], v[6:7], 0, v[8:9]
	global_load_dwordx4 v[6:9], v[6:7], off
.LBB4_37:
	s_or_b64 exec, exec, s[2:3]
	v_mov_b32_e32 v17, 0
	v_mov_b32_e32 v10, 0
	;; [unrolled: 1-line block ×5, first 2 shown]
	s_and_saveexec_b64 s[2:3], vcc
	s_cbranch_execz .LBB4_39
; %bb.38:
	v_mad_i64_i32 v[10:11], s[16:17], s15, v20, 0
	v_lshl_add_u64 v[10:11], v[10:11], 1, s[4:5]
	v_lshlrev_b32_e32 v12, 1, v18
	v_mov_b32_e32 v13, 0
	v_lshl_add_u64 v[10:11], v[10:11], 0, v[12:13]
	global_load_dwordx4 v[10:13], v[10:11], off offset:128
.LBB4_39:
	s_or_b64 exec, exec, s[2:3]
	v_mov_b32_e32 v16, 0
	v_mov_b32_e32 v15, 0
	;; [unrolled: 1-line block ×3, first 2 shown]
	s_and_saveexec_b64 s[2:3], s[0:1]
	s_cbranch_execz .LBB4_41
; %bb.40:
	v_mad_i64_i32 v[14:15], s[0:1], s15, v21, 0
	v_lshl_add_u64 v[14:15], v[14:15], 1, s[4:5]
	v_lshlrev_b32_e32 v16, 1, v18
	v_mov_b32_e32 v17, 0
	v_lshl_add_u64 v[14:15], v[14:15], 0, v[16:17]
	global_load_dwordx4 v[14:17], v[14:15], off offset:128
.LBB4_41:
	s_or_b64 exec, exec, s[2:3]
	s_branch .LBB4_45
.LBB4_42:
                                        ; implicit-def: $vgpr5
                                        ; implicit-def: $vgpr9
                                        ; implicit-def: $vgpr13
                                        ; implicit-def: $vgpr17
	v_lshrrev_b32_e32 v34, 2, v45
	s_branch .LBB4_46
.LBB4_43:
                                        ; implicit-def: $vgpr5
                                        ; implicit-def: $vgpr9
                                        ; implicit-def: $vgpr13
                                        ; implicit-def: $vgpr17
	s_cbranch_execz .LBB4_45
; %bb.44:
	s_waitcnt vmcnt(0)
	v_mad_u64_u32 v[2:3], s[0:1], v20, s15, v[18:19]
	v_lshlrev_b32_e32 v20, 1, v2
	s_lshl_b32 s2, s15, 7
	s_and_b32 s1, s5, 0xffff
	s_mov_b32 s3, 0x20000
	s_mov_b32 s0, s4
	v_add_lshl_u32 v21, v2, s15, 1
	s_movk_i32 s13, 0x80
	buffer_load_dwordx4 v[2:5], v20, s[0:3], 0 offen
	buffer_load_dwordx4 v[10:13], v20, s[0:3], s13 offen
	;; [unrolled: 1-line block ×4, first 2 shown]
.LBB4_45:
	v_lshrrev_b32_e32 v34, 2, v45
	s_cbranch_execnz .LBB4_58
.LBB4_46:
	s_and_b64 vcc, exec, s[6:7]
	s_cbranch_vccz .LBB4_56
; %bb.47:
	s_waitcnt vmcnt(0)
	v_lshlrev_b32_e32 v7, 1, v25
	v_cmp_gt_i32_e32 vcc, s27, v7
	v_mov_b32_e32 v6, 0
	v_lshlrev_b32_e32 v14, 9, v25
	v_mov_b32_e32 v2, 0
	v_mov_b32_e32 v3, 0
	;; [unrolled: 1-line block ×4, first 2 shown]
	s_and_saveexec_b64 s[0:1], vcc
	s_cbranch_execz .LBB4_49
; %bb.48:
	v_mov_b32_e32 v15, 0
	v_lshl_add_u64 v[2:3], s[4:5], 0, v[14:15]
	v_lshlrev_b32_e32 v4, 1, v18
	v_mov_b32_e32 v5, v15
	v_lshl_add_u64 v[2:3], v[2:3], 0, v[4:5]
	global_load_dwordx4 v[2:5], v[2:3], off
.LBB4_49:
	s_or_b64 exec, exec, s[0:1]
	v_or_b32_e32 v7, 1, v7
	v_cmp_gt_i32_e64 s[0:1], s27, v7
	v_lshlrev_b32_e32 v20, 8, v7
	v_mov_b32_e32 v7, 0
	v_mov_b32_e32 v8, 0
	v_mov_b32_e32 v9, 0
	s_and_saveexec_b64 s[2:3], s[0:1]
	s_cbranch_execz .LBB4_51
; %bb.50:
	v_mov_b32_e32 v21, 0
	v_lshl_add_u64 v[6:7], s[4:5], 0, v[20:21]
	v_lshlrev_b32_e32 v8, 1, v18
	v_mov_b32_e32 v9, v21
	v_lshl_add_u64 v[6:7], v[6:7], 0, v[8:9]
	global_load_dwordx4 v[6:9], v[6:7], off
.LBB4_51:
	s_or_b64 exec, exec, s[2:3]
	v_mov_b32_e32 v17, 0
	v_mov_b32_e32 v10, 0
	;; [unrolled: 1-line block ×5, first 2 shown]
	s_and_saveexec_b64 s[2:3], vcc
	s_cbranch_execz .LBB4_53
; %bb.52:
	v_mov_b32_e32 v15, 0
	v_lshl_add_u64 v[10:11], s[4:5], 0, v[14:15]
	v_lshlrev_b32_e32 v14, 1, v18
	v_lshl_add_u64 v[10:11], v[10:11], 0, v[14:15]
	global_load_dwordx4 v[10:13], v[10:11], off offset:128
.LBB4_53:
	s_or_b64 exec, exec, s[2:3]
	v_mov_b32_e32 v16, 0
	v_mov_b32_e32 v15, 0
	;; [unrolled: 1-line block ×3, first 2 shown]
	s_and_saveexec_b64 s[2:3], s[0:1]
	s_cbranch_execz .LBB4_55
; %bb.54:
	v_mov_b32_e32 v21, 0
	v_lshl_add_u64 v[14:15], s[4:5], 0, v[20:21]
	v_lshlrev_b32_e32 v20, 1, v18
	v_lshl_add_u64 v[14:15], v[14:15], 0, v[20:21]
	global_load_dwordx4 v[14:17], v[14:15], off offset:128
.LBB4_55:
	s_or_b64 exec, exec, s[2:3]
	s_branch .LBB4_58
.LBB4_56:
                                        ; implicit-def: $vgpr5
                                        ; implicit-def: $vgpr9
                                        ; implicit-def: $vgpr13
                                        ; implicit-def: $vgpr17
	s_cbranch_execz .LBB4_58
; %bb.57:
	s_waitcnt vmcnt(0)
	v_lshlrev_b32_e32 v2, 1, v18
	v_lshl_or_b32 v18, v25, 9, v2
	s_and_b32 s5, s5, 0xffff
	s_mov_b32 s7, 0x20000
	s_movk_i32 s6, 0x4000
	s_movk_i32 s0, 0x80
	buffer_load_dwordx4 v[2:5], v18, s[4:7], 0 offen
	buffer_load_dwordx4 v[6:9], v18, s[4:7], 0 offen offset:256
	buffer_load_dwordx4 v[10:13], v18, s[4:7], s0 offen
	buffer_load_dwordx4 v[14:17], v18, s[4:7], s0 offen offset:256
.LBB4_58:
	ds_read_b64 v[20:21], v27 offset:57344
	v_add_u32_e32 v18, 0x6000, v26
	ds_read2_b64 v[36:39], v18 offset1:16
	ds_read_b64 v[44:45], v28 offset:57344
	ds_read_b64 v[28:29], v29 offset:57344
	;; [unrolled: 1-line block ×3, first 2 shown]
	ds_read2st64_b64 v[40:43], v26 offset0:52 offset1:56
	s_mov_b32 s0, 0x1000504
	s_mov_b32 s1, 0x3020706
	s_waitcnt lgkmcnt(4)
	v_mfma_f32_16x16x16_bf16 a[0:3], v[20:21], v[36:37], a[0:3]
	v_mfma_f32_16x16x16_bf16 a[4:7], v[20:21], v[38:39], a[4:7]
	ds_read2_b64 v[36:39], v18 offset0:32 offset1:48
	v_and_b32_e32 v18, 6, v0
	v_xor_b32_e32 v25, v25, v18
	s_waitcnt lgkmcnt(0)
	v_mfma_f32_16x16x16_bf16 a[8:11], v[20:21], v[36:37], a[8:11]
	v_lshlrev_b32_e32 v25, 2, v25
	v_and_b32_e32 v0, 1, v0
	v_xor_b32_e32 v35, 0x440, v25
	v_mfma_f32_16x16x16_bf16 a[12:15], v[20:21], v[38:39], a[12:15]
	ds_read2st64_b64 v[36:39], v31 offset0:52 offset1:56
	ds_read2st64_b64 v[48:51], v32 offset0:52 offset1:56
	;; [unrolled: 1-line block ×3, first 2 shown]
	v_cmp_eq_u32_e32 vcc, 0, v0
	ds_read_b64 v[20:21], v26 offset:30720
	ds_read_b64 v[26:27], v31 offset:30720
	;; [unrolled: 1-line block ×4, first 2 shown]
	v_mfma_f32_16x16x16_bf16 a[0:3], v[44:45], v[40:41], a[0:3]
	v_cndmask_b32_e32 v0, v35, v25, vcc
	v_lshl_or_b32 v0, v18, 10, v0
	s_waitcnt vmcnt(0)
	v_perm_b32 v18, v2, v6, s0
	s_waitcnt lgkmcnt(6)
	v_mfma_f32_16x16x16_bf16 a[4:7], v[44:45], v[36:37], a[4:7]
	v_perm_b32 v25, v10, v14, s0
	ds_write2st64_b32 v0, v18, v25 offset0:128 offset1:160
	v_xor_b32_e32 v18, 8, v0
	s_waitcnt lgkmcnt(6)
	v_mfma_f32_16x16x16_bf16 a[8:11], v[44:45], v[48:49], a[8:11]
	v_perm_b32 v2, v2, v6, s1
	v_perm_b32 v6, v10, v14, s1
	v_add_u32_e32 v10, 0x80, v18
	s_waitcnt lgkmcnt(5)
	v_mfma_f32_16x16x16_bf16 a[12:15], v[44:45], v[52:53], a[12:15]
	ds_write2st64_b32 v10, v2, v6 offset0:128 offset1:160
	v_xor_b32_e32 v2, 16, v0
	v_perm_b32 v6, v3, v7, s0
	v_mfma_f32_16x16x16_bf16 a[0:3], v[28:29], v[42:43], a[0:3]
	v_perm_b32 v10, v11, v15, s0
	ds_write2st64_b32 v2, v6, v10 offset0:129 offset1:161
	v_xor_b32_e32 v2, 24, v0
	v_mfma_f32_16x16x16_bf16 a[4:7], v[28:29], v[38:39], a[4:7]
	v_perm_b32 v3, v3, v7, s1
	v_perm_b32 v6, v11, v15, s1
	v_add_u32_e32 v2, 0x80, v2
	v_mfma_f32_16x16x16_bf16 a[16:19], v[28:29], v[50:51], a[8:11]
	ds_write2st64_b32 v2, v3, v6 offset0:129 offset1:161
	v_xor_b32_e32 v2, 32, v0
	v_perm_b32 v3, v4, v8, s0
	v_mfma_f32_16x16x16_bf16 a[20:23], v[28:29], v[54:55], a[12:15]
	v_perm_b32 v6, v12, v16, s0
	ds_write2st64_b32 v2, v3, v6 offset0:130 offset1:162
	v_xor_b32_e32 v2, 40, v0
	s_waitcnt lgkmcnt(8)
	v_mfma_f32_16x16x16_bf16 a[12:15], v[56:57], v[20:21], a[0:3]
	v_perm_b32 v3, v4, v8, s1
	v_perm_b32 v4, v12, v16, s1
	v_add_u32_e32 v2, 0x80, v2
	s_waitcnt lgkmcnt(7)
	v_mfma_f32_16x16x16_bf16 a[8:11], v[56:57], v[26:27], a[4:7]
	ds_write2st64_b32 v2, v3, v4 offset0:130 offset1:162
	v_xor_b32_e32 v2, 48, v0
	v_perm_b32 v3, v5, v9, s0
	s_waitcnt lgkmcnt(7)
	v_mfma_f32_16x16x16_bf16 a[4:7], v[56:57], v[30:31], a[16:19]
	v_perm_b32 v4, v13, v17, s0
	v_xor_b32_e32 v0, 56, v0
	v_and_or_b32 v18, v34, 12, v1
	s_waitcnt lgkmcnt(6)
	v_mfma_f32_16x16x16_bf16 a[0:3], v[56:57], v[32:33], a[20:23]
	ds_write2st64_b32 v2, v3, v4 offset0:131 offset1:163
	v_perm_b32 v2, v5, v9, s1
	v_perm_b32 v3, v13, v17, s1
	v_add_u32_e32 v0, 0x80, v0
	v_cmp_gt_i32_e32 vcc, s27, v18
	v_mov_b32_e32 v14, 0
	v_mov_b32_e32 v16, 0
	ds_write2st64_b32 v0, v2, v3 offset0:131 offset1:163
	s_and_saveexec_b64 s[0:1], vcc
	s_cbranch_execz .LBB4_60
; %bb.59:
	v_add_u32_e32 v0, s26, v18
	v_ashrrev_i32_e32 v1, 31, v0
	v_mul_lo_u32 v2, v1, s28
	v_mul_lo_u32 v3, v0, s29
	v_mad_u64_u32 v[0:1], s[2:3], v0, s28, 0
	v_add3_u32 v1, v1, v3, v2
	v_lshl_add_u64 v[0:1], v[0:1], 2, s[10:11]
	global_load_dword v0, v[0:1], off
	s_waitcnt vmcnt(0)
	v_sub_f32_e32 v0, s12, v0
	v_exp_f32_e32 v16, v0
.LBB4_60:
	s_or_b64 exec, exec, s[0:1]
	v_or_b32_e32 v8, 1, v18
	v_cmp_gt_i32_e64 s[0:1], s27, v8
	s_and_saveexec_b64 s[2:3], s[0:1]
	s_cbranch_execz .LBB4_62
; %bb.61:
	v_add_u32_e32 v0, s26, v8
	v_ashrrev_i32_e32 v1, 31, v0
	v_mul_lo_u32 v2, v1, s28
	v_mul_lo_u32 v3, v0, s29
	v_mad_u64_u32 v[0:1], s[4:5], v0, s28, 0
	v_add3_u32 v1, v1, v3, v2
	v_lshl_add_u64 v[0:1], v[0:1], 2, s[10:11]
	global_load_dword v0, v[0:1], off
	s_waitcnt vmcnt(0)
	v_sub_f32_e32 v0, s12, v0
	v_exp_f32_e32 v14, v0
.LBB4_62:
	s_or_b64 exec, exec, s[2:3]
	v_or_b32_e32 v10, 2, v18
	v_cmp_gt_i32_e64 s[2:3], s27, v10
	v_mov_b32_e32 v15, 0
	v_mov_b32_e32 v17, 0
	s_and_saveexec_b64 s[4:5], s[2:3]
	s_cbranch_execz .LBB4_64
; %bb.63:
	v_add_u32_e32 v0, s26, v10
	v_ashrrev_i32_e32 v1, 31, v0
	v_mul_lo_u32 v2, v1, s28
	v_mul_lo_u32 v3, v0, s29
	v_mad_u64_u32 v[0:1], s[6:7], v0, s28, 0
	v_add3_u32 v1, v1, v3, v2
	v_lshl_add_u64 v[0:1], v[0:1], 2, s[10:11]
	global_load_dword v0, v[0:1], off
	s_waitcnt vmcnt(0)
	v_sub_f32_e32 v0, s12, v0
	v_exp_f32_e32 v17, v0
.LBB4_64:
	s_or_b64 exec, exec, s[4:5]
	v_or_b32_e32 v12, 3, v18
	v_cmp_gt_i32_e64 s[4:5], s27, v12
	s_and_saveexec_b64 s[6:7], s[4:5]
	s_cbranch_execz .LBB4_66
; %bb.65:
	v_add_u32_e32 v0, s26, v12
	v_ashrrev_i32_e32 v1, 31, v0
	v_mul_lo_u32 v2, v1, s28
	v_mul_lo_u32 v3, v0, s29
	v_mad_u64_u32 v[0:1], s[14:15], v0, s28, 0
	v_add3_u32 v1, v1, v3, v2
	v_lshl_add_u64 v[0:1], v[0:1], 2, s[10:11]
	global_load_dword v0, v[0:1], off
	s_waitcnt vmcnt(0)
	v_sub_f32_e32 v0, s12, v0
	v_exp_f32_e32 v15, v0
.LBB4_66:
	s_or_b64 exec, exec, s[6:7]
	s_add_u32 s6, s8, s20
	v_accvgpr_read_b32 v0, a12
	s_addc_u32 s7, s9, s21
	v_ashrrev_i32_e32 v47, 31, v46
	v_accvgpr_read_b32 v1, a13
	v_accvgpr_read_b32 v2, a14
	;; [unrolled: 1-line block ×3, first 2 shown]
	v_lshl_add_u64 v[4:5], v[46:47], 1, s[6:7]
	v_mov_b32_e32 v9, 0
	v_lshlrev_b32_e32 v6, 8, v18
	v_mov_b32_e32 v7, 0
	s_and_saveexec_b64 s[6:7], vcc
	s_cbranch_execz .LBB4_68
; %bb.67:
	v_mov_b32_e32 v7, 0
	v_lshl_add_u64 v[20:21], v[4:5], 0, v[6:7]
	global_load_ushort v7, v[20:21], off
	s_waitcnt vmcnt(0)
	v_lshlrev_b32_e32 v7, 16, v7
	v_sub_f32_e32 v0, v7, v0
	v_mul_f32_e32 v0, v16, v0
	v_lshrrev_b32_e32 v7, 16, v0
.LBB4_68:
	s_or_b64 exec, exec, s[6:7]
	v_lshlrev_b32_e32 v8, 8, v8
	s_and_saveexec_b64 s[6:7], s[0:1]
	s_cbranch_execz .LBB4_70
; %bb.69:
	v_mov_b32_e32 v9, 0
	v_lshl_add_u64 v[20:21], v[4:5], 0, v[8:9]
	global_load_ushort v0, v[20:21], off
	s_waitcnt vmcnt(0)
	v_lshlrev_b32_e32 v0, 16, v0
	v_sub_f32_e32 v0, v0, v1
	v_mul_f32_e32 v0, v14, v0
	v_lshrrev_b32_e32 v9, 16, v0
.LBB4_70:
	s_or_b64 exec, exec, s[6:7]
	v_mov_b32_e32 v13, 0
	v_lshlrev_b32_e32 v10, 8, v10
	v_mov_b32_e32 v11, 0
	s_and_saveexec_b64 s[6:7], s[2:3]
	s_cbranch_execz .LBB4_72
; %bb.71:
	v_mov_b32_e32 v11, 0
	v_lshl_add_u64 v[0:1], v[4:5], 0, v[10:11]
	global_load_ushort v0, v[0:1], off
	s_waitcnt vmcnt(0)
	v_lshlrev_b32_e32 v0, 16, v0
	v_sub_f32_e32 v0, v0, v2
	v_mul_f32_e32 v0, v17, v0
	v_lshrrev_b32_e32 v11, 16, v0
.LBB4_72:
	s_or_b64 exec, exec, s[6:7]
	v_lshlrev_b32_e32 v12, 8, v12
	s_and_saveexec_b64 s[6:7], s[4:5]
	s_cbranch_execz .LBB4_74
; %bb.73:
	v_mov_b32_e32 v13, 0
	v_lshl_add_u64 v[0:1], v[4:5], 0, v[12:13]
	global_load_ushort v0, v[0:1], off
	s_waitcnt vmcnt(0)
	v_lshlrev_b32_e32 v0, 16, v0
	v_sub_f32_e32 v0, v0, v3
	v_mul_f32_e32 v0, v15, v0
	v_lshrrev_b32_e32 v13, 16, v0
.LBB4_74:
	s_or_b64 exec, exec, s[6:7]
	v_lshlrev_b32_e32 v18, 6, v18
	s_mov_b32 s6, 0x5040100
	v_perm_b32 v20, v9, v7, s6
	v_or_b32_e32 v7, v18, v24
	v_accvgpr_read_b32 v0, a8
	v_perm_b32 v21, v13, v11, s6
	v_lshlrev_b32_e32 v7, 1, v7
	v_accvgpr_read_b32 v1, a9
	v_accvgpr_read_b32 v2, a10
	v_accvgpr_read_b32 v3, a11
	ds_write_b64 v7, v[20:21] offset:24576
	v_mov_b32_e32 v9, 0
	v_mov_b32_e32 v7, 0
	s_and_saveexec_b64 s[6:7], vcc
	s_cbranch_execz .LBB4_76
; %bb.75:
	v_mov_b32_e32 v7, 0
	v_lshl_add_u64 v[20:21], v[4:5], 0, v[6:7]
	global_load_ushort v7, v[20:21], off offset:32
	s_waitcnt vmcnt(0)
	v_lshlrev_b32_e32 v7, 16, v7
	v_sub_f32_e32 v0, v7, v0
	v_mul_f32_e32 v0, v16, v0
	v_lshrrev_b32_e32 v7, 16, v0
.LBB4_76:
	s_or_b64 exec, exec, s[6:7]
	s_and_saveexec_b64 s[6:7], s[0:1]
	s_cbranch_execz .LBB4_78
; %bb.77:
	v_mov_b32_e32 v9, 0
	v_lshl_add_u64 v[20:21], v[4:5], 0, v[8:9]
	global_load_ushort v0, v[20:21], off offset:32
	s_waitcnt vmcnt(0)
	v_lshlrev_b32_e32 v0, 16, v0
	v_sub_f32_e32 v0, v0, v1
	v_mul_f32_e32 v0, v14, v0
	v_lshrrev_b32_e32 v9, 16, v0
.LBB4_78:
	s_or_b64 exec, exec, s[6:7]
	v_mov_b32_e32 v13, 0
	v_mov_b32_e32 v11, 0
	s_and_saveexec_b64 s[6:7], s[2:3]
	s_cbranch_execz .LBB4_80
; %bb.79:
	v_mov_b32_e32 v11, 0
	v_lshl_add_u64 v[0:1], v[4:5], 0, v[10:11]
	global_load_ushort v0, v[0:1], off offset:32
	s_waitcnt vmcnt(0)
	v_lshlrev_b32_e32 v0, 16, v0
	v_sub_f32_e32 v0, v0, v2
	v_mul_f32_e32 v0, v17, v0
	v_lshrrev_b32_e32 v11, 16, v0
.LBB4_80:
	s_or_b64 exec, exec, s[6:7]
	s_and_saveexec_b64 s[6:7], s[4:5]
	s_cbranch_execz .LBB4_82
; %bb.81:
	v_mov_b32_e32 v13, 0
	v_lshl_add_u64 v[0:1], v[4:5], 0, v[12:13]
	global_load_ushort v0, v[0:1], off offset:32
	s_waitcnt vmcnt(0)
	v_lshlrev_b32_e32 v0, 16, v0
	v_sub_f32_e32 v0, v0, v3
	v_mul_f32_e32 v0, v15, v0
	v_lshrrev_b32_e32 v13, 16, v0
.LBB4_82:
	s_or_b64 exec, exec, s[6:7]
	s_mov_b32 s6, 0x5040100
	v_perm_b32 v20, v9, v7, s6
	v_or_b32_e32 v7, v18, v23
	v_accvgpr_read_b32 v0, a4
	v_perm_b32 v21, v13, v11, s6
	v_lshlrev_b32_e32 v7, 1, v7
	v_accvgpr_read_b32 v1, a5
	v_accvgpr_read_b32 v2, a6
	;; [unrolled: 1-line block ×3, first 2 shown]
	ds_write_b64 v7, v[20:21] offset:24576
	v_mov_b32_e32 v9, 0
	v_mov_b32_e32 v7, 0
	s_and_saveexec_b64 s[6:7], vcc
	s_cbranch_execz .LBB4_84
; %bb.83:
	v_mov_b32_e32 v7, 0
	v_lshl_add_u64 v[20:21], v[4:5], 0, v[6:7]
	global_load_ushort v7, v[20:21], off offset:64
	s_waitcnt vmcnt(0)
	v_lshlrev_b32_e32 v7, 16, v7
	v_sub_f32_e32 v0, v7, v0
	v_mul_f32_e32 v0, v16, v0
	v_lshrrev_b32_e32 v7, 16, v0
.LBB4_84:
	s_or_b64 exec, exec, s[6:7]
	s_and_saveexec_b64 s[6:7], s[0:1]
	s_cbranch_execz .LBB4_86
; %bb.85:
	v_mov_b32_e32 v9, 0
	v_lshl_add_u64 v[20:21], v[4:5], 0, v[8:9]
	global_load_ushort v0, v[20:21], off offset:64
	s_waitcnt vmcnt(0)
	v_lshlrev_b32_e32 v0, 16, v0
	v_sub_f32_e32 v0, v0, v1
	v_mul_f32_e32 v0, v14, v0
	v_lshrrev_b32_e32 v9, 16, v0
.LBB4_86:
	s_or_b64 exec, exec, s[6:7]
	v_mov_b32_e32 v13, 0
	v_mov_b32_e32 v11, 0
	s_and_saveexec_b64 s[6:7], s[2:3]
	s_cbranch_execz .LBB4_88
; %bb.87:
	v_mov_b32_e32 v11, 0
	v_lshl_add_u64 v[0:1], v[4:5], 0, v[10:11]
	global_load_ushort v0, v[0:1], off offset:64
	s_waitcnt vmcnt(0)
	v_lshlrev_b32_e32 v0, 16, v0
	v_sub_f32_e32 v0, v0, v2
	v_mul_f32_e32 v0, v17, v0
	v_lshrrev_b32_e32 v11, 16, v0
.LBB4_88:
	s_or_b64 exec, exec, s[6:7]
	s_and_saveexec_b64 s[6:7], s[4:5]
	s_cbranch_execz .LBB4_90
; %bb.89:
	v_mov_b32_e32 v13, 0
	v_lshl_add_u64 v[0:1], v[4:5], 0, v[12:13]
	global_load_ushort v0, v[0:1], off offset:64
	s_waitcnt vmcnt(0)
	v_lshlrev_b32_e32 v0, 16, v0
	v_sub_f32_e32 v0, v0, v3
	v_mul_f32_e32 v0, v15, v0
	v_lshrrev_b32_e32 v13, 16, v0
.LBB4_90:
	s_or_b64 exec, exec, s[6:7]
	s_mov_b32 s6, 0x5040100
	v_perm_b32 v20, v9, v7, s6
	v_or_b32_e32 v7, v18, v22
	v_accvgpr_read_b32 v0, a0
	v_perm_b32 v21, v13, v11, s6
	v_lshlrev_b32_e32 v7, 1, v7
	v_accvgpr_read_b32 v1, a1
	v_accvgpr_read_b32 v2, a2
	;; [unrolled: 1-line block ×3, first 2 shown]
	ds_write_b64 v7, v[20:21] offset:24576
	v_mov_b32_e32 v9, 0
	v_mov_b32_e32 v7, 0
	s_and_saveexec_b64 s[6:7], vcc
	s_cbranch_execz .LBB4_92
; %bb.91:
	v_mov_b32_e32 v7, 0
	v_lshl_add_u64 v[6:7], v[4:5], 0, v[6:7]
	global_load_ushort v6, v[6:7], off offset:96
	s_waitcnt vmcnt(0)
	v_lshlrev_b32_e32 v6, 16, v6
	v_sub_f32_e32 v0, v6, v0
	v_mul_f32_e32 v0, v16, v0
	v_lshrrev_b32_e32 v7, 16, v0
.LBB4_92:
	s_or_b64 exec, exec, s[6:7]
	s_and_saveexec_b64 s[6:7], s[0:1]
	s_cbranch_execz .LBB4_94
; %bb.93:
	v_mov_b32_e32 v9, 0
	v_lshl_add_u64 v[8:9], v[4:5], 0, v[8:9]
	global_load_ushort v0, v[8:9], off offset:96
	s_waitcnt vmcnt(0)
	v_lshlrev_b32_e32 v0, 16, v0
	v_sub_f32_e32 v0, v0, v1
	v_mul_f32_e32 v0, v14, v0
	v_lshrrev_b32_e32 v9, 16, v0
.LBB4_94:
	s_or_b64 exec, exec, s[6:7]
	v_mov_b32_e32 v0, 0
	v_mov_b32_e32 v1, 0
	s_and_saveexec_b64 s[0:1], s[2:3]
	s_cbranch_execz .LBB4_96
; %bb.95:
	v_mov_b32_e32 v11, 0
	v_lshl_add_u64 v[10:11], v[4:5], 0, v[10:11]
	global_load_ushort v1, v[10:11], off offset:96
	s_waitcnt vmcnt(0)
	v_lshlrev_b32_e32 v1, 16, v1
	v_sub_f32_e32 v1, v1, v2
	v_mul_f32_e32 v1, v17, v1
	v_lshrrev_b32_e32 v1, 16, v1
.LBB4_96:
	s_or_b64 exec, exec, s[0:1]
	s_and_saveexec_b64 s[0:1], s[4:5]
	s_cbranch_execz .LBB4_98
; %bb.97:
	v_mov_b32_e32 v13, 0
	v_lshl_add_u64 v[4:5], v[4:5], 0, v[12:13]
	global_load_ushort v0, v[4:5], off offset:96
	s_waitcnt vmcnt(0)
	v_lshlrev_b32_e32 v0, 16, v0
	v_sub_f32_e32 v0, v0, v3
	v_mul_f32_e32 v0, v15, v0
	v_lshrrev_b32_e32 v0, 16, v0
.LBB4_98:
	s_or_b64 exec, exec, s[0:1]
	s_mov_b32 s0, 0x5040100
	v_or_b32_e32 v2, v18, v19
	v_perm_b32 v1, v0, v1, s0
	v_perm_b32 v0, v9, v7, s0
	v_lshlrev_b32_e32 v2, 1, v2
	ds_write_b64 v2, v[0:1] offset:24576
	s_waitcnt lgkmcnt(0)
	s_barrier
.LBB4_99:
	s_endpgm
	.section	.rodata,"a",@progbits
	.p2align	6, 0x0
	.amdhsa_kernel _ZN12_GLOBAL__N_139chunk_gated_delta_rule_fwd_h_hip_kernelILi64ELb1ELb0ELb0ELb1ELb1ELb1ELb1ELb1EEEvPK12hip_bfloat16S3_S3_PKfS5_PKvPS1_S8_PvPKiSB_iiiiilll
		.amdhsa_group_segment_fixed_size 65536
		.amdhsa_private_segment_fixed_size 0
		.amdhsa_kernarg_size 136
		.amdhsa_user_sgpr_count 2
		.amdhsa_user_sgpr_dispatch_ptr 0
		.amdhsa_user_sgpr_queue_ptr 0
		.amdhsa_user_sgpr_kernarg_segment_ptr 1
		.amdhsa_user_sgpr_dispatch_id 0
		.amdhsa_user_sgpr_kernarg_preload_length 0
		.amdhsa_user_sgpr_kernarg_preload_offset 0
		.amdhsa_user_sgpr_private_segment_size 0
		.amdhsa_uses_dynamic_stack 0
		.amdhsa_enable_private_segment 0
		.amdhsa_system_sgpr_workgroup_id_x 1
		.amdhsa_system_sgpr_workgroup_id_y 1
		.amdhsa_system_sgpr_workgroup_id_z 0
		.amdhsa_system_sgpr_workgroup_info 0
		.amdhsa_system_vgpr_workitem_id 0
		.amdhsa_next_free_vgpr 228
		.amdhsa_next_free_sgpr 63
		.amdhsa_accum_offset 188
		.amdhsa_reserve_vcc 1
		.amdhsa_float_round_mode_32 0
		.amdhsa_float_round_mode_16_64 0
		.amdhsa_float_denorm_mode_32 3
		.amdhsa_float_denorm_mode_16_64 3
		.amdhsa_dx10_clamp 1
		.amdhsa_ieee_mode 1
		.amdhsa_fp16_overflow 0
		.amdhsa_tg_split 0
		.amdhsa_exception_fp_ieee_invalid_op 0
		.amdhsa_exception_fp_denorm_src 0
		.amdhsa_exception_fp_ieee_div_zero 0
		.amdhsa_exception_fp_ieee_overflow 0
		.amdhsa_exception_fp_ieee_underflow 0
		.amdhsa_exception_fp_ieee_inexact 0
		.amdhsa_exception_int_div_zero 0
	.end_amdhsa_kernel
	.section	.text._ZN12_GLOBAL__N_139chunk_gated_delta_rule_fwd_h_hip_kernelILi64ELb1ELb0ELb0ELb1ELb1ELb1ELb1ELb1EEEvPK12hip_bfloat16S3_S3_PKfS5_PKvPS1_S8_PvPKiSB_iiiiilll,"axG",@progbits,_ZN12_GLOBAL__N_139chunk_gated_delta_rule_fwd_h_hip_kernelILi64ELb1ELb0ELb0ELb1ELb1ELb1ELb1ELb1EEEvPK12hip_bfloat16S3_S3_PKfS5_PKvPS1_S8_PvPKiSB_iiiiilll,comdat
.Lfunc_end4:
	.size	_ZN12_GLOBAL__N_139chunk_gated_delta_rule_fwd_h_hip_kernelILi64ELb1ELb0ELb0ELb1ELb1ELb1ELb1ELb1EEEvPK12hip_bfloat16S3_S3_PKfS5_PKvPS1_S8_PvPKiSB_iiiiilll, .Lfunc_end4-_ZN12_GLOBAL__N_139chunk_gated_delta_rule_fwd_h_hip_kernelILi64ELb1ELb0ELb0ELb1ELb1ELb1ELb1ELb1EEEvPK12hip_bfloat16S3_S3_PKfS5_PKvPS1_S8_PvPKiSB_iiiiilll
                                        ; -- End function
	.section	.AMDGPU.csdata,"",@progbits
; Kernel info:
; codeLenInByte = 11024
; NumSgprs: 69
; NumVgprs: 188
; NumAgprs: 40
; TotalNumVgprs: 228
; ScratchSize: 0
; MemoryBound: 0
; FloatMode: 240
; IeeeMode: 1
; LDSByteSize: 65536 bytes/workgroup (compile time only)
; SGPRBlocks: 8
; VGPRBlocks: 28
; NumSGPRsForWavesPerEU: 69
; NumVGPRsForWavesPerEU: 228
; AccumOffset: 188
; Occupancy: 1
; WaveLimiterHint : 1
; COMPUTE_PGM_RSRC2:SCRATCH_EN: 0
; COMPUTE_PGM_RSRC2:USER_SGPR: 2
; COMPUTE_PGM_RSRC2:TRAP_HANDLER: 0
; COMPUTE_PGM_RSRC2:TGID_X_EN: 1
; COMPUTE_PGM_RSRC2:TGID_Y_EN: 1
; COMPUTE_PGM_RSRC2:TGID_Z_EN: 0
; COMPUTE_PGM_RSRC2:TIDIG_COMP_CNT: 0
; COMPUTE_PGM_RSRC3_GFX90A:ACCUM_OFFSET: 46
; COMPUTE_PGM_RSRC3_GFX90A:TG_SPLIT: 0
	.section	.text._ZN12_GLOBAL__N_139chunk_gated_delta_rule_fwd_h_hip_kernelILi64ELb0ELb1ELb1ELb1ELb1ELb1ELb1ELb1EEEvPK12hip_bfloat16S3_S3_PKfS5_PKvPS1_S8_PvPKiSB_iiiiilll,"axG",@progbits,_ZN12_GLOBAL__N_139chunk_gated_delta_rule_fwd_h_hip_kernelILi64ELb0ELb1ELb1ELb1ELb1ELb1ELb1ELb1EEEvPK12hip_bfloat16S3_S3_PKfS5_PKvPS1_S8_PvPKiSB_iiiiilll,comdat
	.globl	_ZN12_GLOBAL__N_139chunk_gated_delta_rule_fwd_h_hip_kernelILi64ELb0ELb1ELb1ELb1ELb1ELb1ELb1ELb1EEEvPK12hip_bfloat16S3_S3_PKfS5_PKvPS1_S8_PvPKiSB_iiiiilll ; -- Begin function _ZN12_GLOBAL__N_139chunk_gated_delta_rule_fwd_h_hip_kernelILi64ELb0ELb1ELb1ELb1ELb1ELb1ELb1ELb1EEEvPK12hip_bfloat16S3_S3_PKfS5_PKvPS1_S8_PvPKiSB_iiiiilll
	.p2align	8
	.type	_ZN12_GLOBAL__N_139chunk_gated_delta_rule_fwd_h_hip_kernelILi64ELb0ELb1ELb1ELb1ELb1ELb1ELb1ELb1EEEvPK12hip_bfloat16S3_S3_PKfS5_PKvPS1_S8_PvPKiSB_iiiiilll,@function
_ZN12_GLOBAL__N_139chunk_gated_delta_rule_fwd_h_hip_kernelILi64ELb0ELb1ELb1ELb1ELb1ELb1ELb1ELb1EEEvPK12hip_bfloat16S3_S3_PKfS5_PKvPS1_S8_PvPKiSB_iiiiilll: ; @_ZN12_GLOBAL__N_139chunk_gated_delta_rule_fwd_h_hip_kernelILi64ELb0ELb1ELb1ELb1ELb1ELb1ELb1ELb1EEEvPK12hip_bfloat16S3_S3_PKfS5_PKvPS1_S8_PvPKiSB_iiiiilll
; %bb.0:
	s_load_dwordx4 s[20:23], s[0:1], 0x5c
	s_load_dwordx2 s[24:25], s[0:1], 0x50
	s_abs_i32 s27, s3
	s_ashr_i32 s26, s3, 31
	s_load_dwordx8 s[4:11], s[0:1], 0x30
	s_load_dwordx8 s[12:19], s[0:1], 0x0
	s_load_dwordx2 s[40:41], s[0:1], 0x20
	s_waitcnt lgkmcnt(0)
	s_abs_i32 s30, s21
	v_cvt_f32_u32_e32 v1, s30
	s_sub_i32 s28, 0, s30
	s_ashr_i32 s48, s21, 31
	s_xor_b32 s26, s26, s48
	v_rcp_iflag_f32_e32 v1, v1
	v_lshrrev_b32_e32 v45, 6, v0
	v_bfe_u32 v88, v0, 4, 2
	v_lshlrev_b32_e32 v86, 4, v45
	v_mul_f32_e32 v1, 0x4f7ffffe, v1
	v_cvt_u32_f32_e32 v1, v1
	v_lshlrev_b32_e32 v2, 2, v88
	v_and_b32_e32 v87, 63, v0
	s_mov_b32 s33, s21
	v_readfirstlane_b32 s29, v1
	s_mul_i32 s28, s28, s29
	s_mul_hi_u32 s28, s29, s28
	s_add_i32 s29, s29, s28
	s_mul_hi_u32 s28, s27, s29
	s_mul_i32 s29, s28, s30
	s_sub_i32 s27, s27, s29
	s_add_i32 s29, s28, 1
	s_sub_i32 s31, s27, s30
	s_cmp_ge_u32 s27, s30
	s_cselect_b32 s28, s29, s28
	s_cselect_b32 s27, s31, s27
	s_add_i32 s29, s28, 1
	s_cmp_ge_u32 s27, s30
	s_cselect_b32 s27, s29, s28
	s_xor_b32 s27, s27, s26
	s_sub_i32 s34, s27, s26
	s_mul_i32 s26, s34, s21
	s_ashr_i32 s35, s34, 31
	s_sub_i32 s49, s3, s26
	s_lshl_b64 s[26:27], s[34:35], 2
	s_add_u32 s10, s10, s26
	s_addc_u32 s11, s11, s27
	s_add_u32 s28, s24, s26
	s_addc_u32 s29, s25, s27
	s_abs_i32 s3, s22
	v_cvt_f32_u32_e32 v1, s3
	s_load_dwordx2 s[42:43], s[10:11], 0x0
	s_nop 0
	s_load_dwordx2 s[10:11], s[0:1], 0x80
	s_load_dwordx4 s[24:27], s[0:1], 0x70
	s_sub_i32 s1, 0, s3
	v_rcp_iflag_f32_e32 v1, v1
	s_load_dword s54, s[28:29], 0x0
	s_waitcnt lgkmcnt(0)
	s_sub_i32 s58, s43, s42
	s_ashr_i32 s0, s58, 31
	v_mul_f32_e32 v1, 0x4f7ffffe, v1
	v_cvt_u32_f32_e32 v1, v1
	s_lshr_b32 s0, s0, 26
	s_add_i32 s0, s58, s0
	s_ashr_i32 s53, s0, 6
	v_readfirstlane_b32 s31, v1
	s_mul_i32 s1, s1, s31
	s_mul_hi_u32 s1, s31, s1
	s_add_i32 s31, s31, s1
	s_mul_hi_u32 s1, s30, s31
	s_mul_i32 s31, s1, s3
	s_ashr_i32 s0, s22, 31
	s_sub_i32 s30, s30, s31
	s_xor_b32 s0, s48, s0
	s_add_i32 s31, s1, 1
	s_sub_i32 s36, s30, s3
	s_cmp_ge_u32 s30, s3
	s_cselect_b32 s1, s31, s1
	s_cselect_b32 s30, s36, s30
	s_add_i32 s31, s1, 1
	s_cmp_ge_u32 s30, s3
	s_cselect_b32 s1, s31, s1
	s_xor_b32 s1, s1, s0
	s_sub_i32 s1, s1, s0
	s_abs_i32 s3, s1
	v_cvt_f32_u32_e32 v1, s3
	s_sub_i32 s29, 0, s3
	s_abs_i32 s28, s49
	s_xor_b32 s1, s49, s1
	v_rcp_iflag_f32_e32 v1, v1
	s_ashr_i32 s1, s1, 31
	s_mov_b32 s0, 0
	v_and_b32_e32 v89, 15, v0
	v_mul_f32_e32 v1, 0x4f7ffffe, v1
	v_cvt_u32_f32_e32 v1, v1
	s_mul_hi_i32 s55, s49, s20
	s_mul_i32 s56, s49, s20
	v_lshrrev_b32_e32 v91, 3, v87
	v_readfirstlane_b32 s30, v1
	s_mul_i32 s29, s29, s30
	s_mul_hi_u32 s29, s30, s29
	s_add_i32 s30, s30, s29
	s_mul_hi_u32 s29, s28, s30
	s_mul_i32 s30, s29, s3
	s_sub_i32 s28, s28, s30
	s_add_i32 s30, s29, 1
	s_sub_i32 s31, s28, s3
	s_cmp_ge_u32 s28, s3
	s_cselect_b32 s29, s30, s29
	s_cselect_b32 s28, s31, s28
	s_add_i32 s30, s29, 1
	s_cmp_ge_u32 s28, s3
	s_cselect_b32 s3, s30, s29
	s_xor_b32 s3, s3, s1
	s_sub_i32 s57, s3, s1
	v_or_b32_e32 v1, v2, v86
	s_lshl_b32 s2, s2, 6
	s_mov_b32 s1, s0
	v_or_b32_e32 v92, 64, v1
	s_cmp_lt_i32 s58, 64
	v_mov_b64_e32 v[54:55], s[0:1]
	v_lshlrev_b32_e32 v90, 3, v0
	s_mul_i32 s50, s34, s25
	s_mul_hi_u32 s51, s34, s24
	s_mul_i32 s52, s35, s24
	s_mul_i32 s24, s34, s24
	v_mov_b64_e32 v[56:57], s[0:1]
	v_mov_b64_e32 v[60:61], s[0:1]
	;; [unrolled: 1-line block ×15, first 2 shown]
	s_cbranch_scc1 .LBB5_17
; %bb.1:
	s_ashr_i32 s60, s49, 31
	s_ashr_i32 s1, s42, 31
	s_add_u32 s0, s56, s42
	s_addc_u32 s1, s55, s1
	s_lshl_b64 s[0:1], s[0:1], 8
	v_and_b32_e32 v94, 56, v90
	s_add_u32 s28, s14, s0
	v_lshl_or_b32 v93, v45, 3, v91
	v_lshlrev_b32_e32 v3, 1, v94
	s_addc_u32 s0, s15, s1
	v_lshl_or_b32 v95, v93, 8, v3
	s_and_b32 s29, s0, 0xffff
	s_mov_b32 s31, 0x20000
	s_movk_i32 s30, 0x4000
	s_movk_i32 s0, 0x80
	v_or_b32_e32 v96, 0x2000, v95
	buffer_load_dwordx4 v[4:7], v95, s[28:31], 0 offen
	buffer_load_dwordx4 v[8:11], v95, s[28:31], s0 offen
	;; [unrolled: 1-line block ×4, first 2 shown]
	v_lshlrev_b32_e32 v20, 3, v93
	v_and_or_b32 v22, v0, 7, v20
	v_and_b32_e32 v20, 0x78, v20
	v_lshlrev_b32_e32 v22, 4, v22
	v_xor_b32_e32 v97, v22, v20
	v_mul_lo_u32 v21, v93, s23
	v_or_b32_e32 v98, 0x1000, v97
	s_cmpk_eq_i32 s23, 0x80
	s_mov_b32 s59, s42
	v_xor_b32_e32 v20, 8, v97
	v_xor_b32_e32 v22, 8, v98
	s_cselect_b64 s[0:1], -1, 0
	s_cmpk_lg_i32 s23, 0x80
	s_waitcnt vmcnt(3)
	ds_write_b64 v97, v[4:5] offset:49152
	ds_write_b64 v20, v[6:7] offset:49152
	s_waitcnt vmcnt(2)
	ds_write_b64 v97, v[8:9] offset:57344
	ds_write_b64 v20, v[10:11] offset:57344
	;; [unrolled: 3-line block ×4, first 2 shown]
	v_lshl_add_u32 v4, v21, 1, v94
	s_cbranch_scc0 .LBB5_3
; %bb.2:
	v_lshlrev_b32_e32 v6, 1, v4
	v_add_lshl_u32 v5, v4, s23, 1
	s_lshl_b32 s30, s23, 7
	v_lshl_or_b32 v3, v93, 9, v3
	s_cbranch_execz .LBB5_4
	s_branch .LBB5_5
.LBB5_3:
                                        ; implicit-def: $vgpr5
                                        ; implicit-def: $vgpr6
                                        ; implicit-def: $sgpr30
	v_lshl_or_b32 v3, v93, 9, v3
.LBB5_4:
	v_or_b32_e32 v5, 0x100, v3
	s_movk_i32 s30, 0x4000
	v_mov_b32_e32 v6, v3
.LBB5_5:
	s_mul_i32 s25, s42, s22
	s_ashr_i32 s61, s57, 31
	s_mul_hi_i32 s3, s42, s22
	s_add_u32 s28, s25, s57
	s_addc_u32 s29, s3, s61
	s_lshl_b64 s[28:29], s[28:29], 8
	s_add_u32 s28, s12, s28
	s_addc_u32 s3, s13, s29
	s_and_b32 s29, s3, 0xffff
	s_movk_i32 s62, 0x80
	buffer_load_dwordx4 v[8:11], v6, s[28:31], 0 offen
	buffer_load_dwordx4 v[12:15], v6, s[28:31], s62 offen
	;; [unrolled: 1-line block ×4, first 2 shown]
	v_and_b32_e32 v5, 6, v0
	v_lshlrev_b32_e32 v6, 7, v1
	v_xor_b32_e32 v28, v93, v5
	v_and_b32_e32 v7, 1, v0
	v_lshl_or_b32 v31, v89, 3, v6
	v_lshlrev_b32_e32 v28, 2, v28
	v_lshlrev_b32_e32 v24, 2, v89
	v_or_b32_e32 v99, 0x4000, v31
	v_or_b32_e32 v100, 0x6000, v31
	v_xor_b32_e32 v31, 0x440, v28
	v_cmp_eq_u32_e32 vcc, 0, v7
	v_or_b32_e32 v26, 16, v89
	v_or_b32_e32 v27, 32, v89
	v_xor_b32_e32 v29, v1, v24
	v_xor_b32_e32 v30, v92, v24
	v_cndmask_b32_e32 v7, v31, v28, vcc
	s_add_i32 s3, s51, s50
	s_mov_b32 s63, 0x1000504
	v_lshl_or_b32 v32, v26, 3, v6
	v_lshlrev_b32_e32 v26, 8, v26
	v_lshl_or_b32 v33, v27, 3, v6
	v_lshlrev_b32_e32 v29, 1, v29
	v_lshlrev_b32_e32 v30, 1, v30
	v_lshl_or_b32 v5, v5, 10, v7
	s_add_i32 s25, s3, s52
	s_mul_i32 s3, s49, s27
	s_mul_hi_u32 s28, s49, s26
	s_mov_b32 s64, 0x3020706
	v_lshlrev_b32_e32 v25, 8, v89
	v_or_b32_e32 v103, 0x4000, v33
	v_or_b32_e32 v104, 0x6000, v33
	;; [unrolled: 1-line block ×4, first 2 shown]
	v_xor_b32_e32 v7, 8, v5
	v_xor_b32_e32 v26, 24, v5
	;; [unrolled: 1-line block ×4, first 2 shown]
	s_add_i32 s3, s28, s3
	s_mul_i32 s28, s60, s26
	v_or_b32_e32 v101, 0x4000, v32
	v_or_b32_e32 v102, 0x6000, v32
	;; [unrolled: 1-line block ×4, first 2 shown]
	v_xor_b32_e32 v25, 16, v5
	v_xor_b32_e32 v28, 32, v5
	;; [unrolled: 1-line block ×3, first 2 shown]
	v_add_u32_e32 v7, 0x80, v7
	v_add_u32_e32 v26, 0x80, v26
	;; [unrolled: 1-line block ×4, first 2 shown]
	s_add_i32 s29, s3, s28
	s_lshl_b64 s[36:37], s[24:25], 2
	s_mul_i32 s28, s49, s26
	s_add_u32 s3, s18, s36
	s_addc_u32 s25, s19, s37
	s_lshl_b64 s[28:29], s[28:29], 2
	s_add_u32 s44, s3, s28
	s_movk_i32 s3, 0xf8
	s_addc_u32 s45, s25, s29
	s_lshl_b32 s38, s23, 7
	v_mov_b32_e32 v79, 0
	s_movk_i32 s25, 0x100
	v_lshlrev_b32_e32 v78, 4, v89
	v_lshlrev_b32_e32 v27, 8, v27
	s_mov_b32 s66, 0
	s_movk_i32 s30, 0x4000
	v_or_b32_e32 v109, v27, v29
	v_or_b32_e32 v110, v27, v30
	v_add_u32_e32 v136, v86, v2
	s_movk_i32 s65, 0x3000
	v_mov_b32_e32 v48, v79
	v_mov_b32_e32 v49, v79
	;; [unrolled: 1-line block ×8, first 2 shown]
	s_waitcnt vmcnt(1)
	v_perm_b32 v34, v8, v16, s63
	s_waitcnt vmcnt(0)
	v_perm_b32 v35, v12, v20, s63
	v_perm_b32 v8, v8, v16, s64
	v_perm_b32 v12, v12, v20, s64
	v_perm_b32 v16, v9, v17, s63
	v_perm_b32 v20, v13, v21, s63
	v_perm_b32 v9, v9, v17, s64
	v_perm_b32 v13, v13, v21, s64
	v_perm_b32 v17, v10, v18, s63
	v_perm_b32 v21, v14, v22, s63
	v_perm_b32 v10, v10, v18, s64
	v_perm_b32 v14, v14, v22, s64
	v_perm_b32 v18, v11, v19, s63
	v_perm_b32 v22, v15, v23, s63
	v_perm_b32 v11, v11, v19, s64
	v_perm_b32 v15, v15, v23, s64
	ds_write2st64_b32 v5, v34, v35 offset0:128 offset1:160
	ds_write2st64_b32 v7, v8, v12 offset0:128 offset1:160
	;; [unrolled: 1-line block ×8, first 2 shown]
	v_or_b32_e32 v5, 48, v89
	v_lshl_or_b32 v7, v5, 3, v6
	v_lshlrev_b32_e32 v5, 8, v5
	v_or_b32_e32 v113, v5, v29
	v_or_b32_e32 v114, v5, v30
	;; [unrolled: 1-line block ×3, first 2 shown]
	v_lshlrev_b32_e32 v5, 3, v5
	v_lshrrev_b32_e32 v9, 5, v87
	v_and_or_b32 v9, v5, s3, v9
	v_lshlrev_b32_e32 v9, 4, v9
	v_lshlrev_b32_e32 v11, 11, v45
	v_and_b32_e32 v5, 0x78, v5
	v_or_b32_e32 v14, 32, v9
	v_and_b32_e32 v8, 0x1000, v11
	v_xor_b32_e32 v10, v9, v5
	v_lshrrev_b32_e32 v12, 1, v87
	v_xor_b32_e32 v14, v14, v5
	v_or_b32_e32 v10, v10, v8
	v_and_b32_e32 v12, 8, v12
	v_or_b32_e32 v14, v14, v8
	v_xor_b32_e32 v115, v10, v12
	v_lshlrev_b32_e32 v10, 8, v88
	v_xor_b32_e32 v117, v14, v12
	v_or_b32_e32 v14, 64, v9
	v_or_b32_e32 v9, 0x60, v9
	;; [unrolled: 1-line block ×3, first 2 shown]
	v_xor_b32_e32 v14, v14, v5
	v_xor_b32_e32 v5, v9, v5
	s_ashr_i32 s3, s2, 31
	v_lshlrev_b32_e32 v13, 1, v13
	v_or_b32_e32 v14, v14, v8
	v_or_b32_e32 v5, v5, v8
	s_lshl_b64 s[28:29], s[2:3], 8
	v_or_b32_e32 v116, 0x4000, v13
	v_or_b32_e32 v118, 0x4080, v13
	;; [unrolled: 1-line block ×4, first 2 shown]
	v_xor_b32_e32 v121, v14, v12
	v_xor_b32_e32 v122, v5, v12
	v_or_b32_e32 v123, 0x6000, v13
	v_or_b32_e32 v124, 0x6080, v13
	;; [unrolled: 1-line block ×4, first 2 shown]
	v_lshlrev_b32_e32 v12, 1, v4
	v_add_lshl_u32 v13, v4, s23, 1
	s_add_u32 s28, s4, s28
	v_lshlrev_b32_e32 v4, 1, v89
	v_or_b32_e32 v14, 0x100, v3
	v_lshrrev_b32_e32 v15, 4, v0
	s_addc_u32 s29, s5, s29
	v_or_b32_e32 v5, 1, v4
	v_lshlrev_b32_e32 v18, 2, v0
	v_xor_b32_e32 v16, v15, v4
	v_xor_b32_e32 v17, v5, v15
	v_lshl_add_u64 v[4:5], s[28:29], 0, v[78:79]
	v_lshlrev_b32_e32 v78, 8, v15
	v_lshrrev_b32_e32 v19, 1, v0
	v_and_or_b32 v10, v18, 60, v10
	v_cndmask_b32_e64 v133, v12, v3, s[0:1]
	v_cndmask_b32_e64 v134, v13, v14, s[0:1]
	v_mov_b32_e32 v3, 0xa000
	v_mov_b32_e32 v12, 0x8000
	v_cmp_gt_u32_e64 s[0:1], s25, v0
	v_lshl_or_b32 v127, v16, 3, v78
	v_and_b32_e32 v16, 8, v0
	v_and_b32_e32 v19, 24, v19
	v_lshlrev_b32_e32 v10, 1, v10
	v_cndmask_b32_e64 v3, v3, v12, s[0:1]
	v_lshlrev_b32_e32 v12, 3, v45
	v_or_b32_e32 v129, 0x6000, v10
	v_or_b32_e32 v130, 0x6080, v10
	;; [unrolled: 1-line block ×4, first 2 shown]
	v_mov_b32_e32 v10, 0x400
	v_cmp_eq_u32_e32 vcc, 0, v16
	v_xor_b32_e32 v13, v12, v19
	v_and_b32_e32 v15, 7, v0
	v_cndmask_b32_e64 v16, v10, 64, vcc
	v_or_b32_e32 v14, 0x440, v13
	v_lshl_or_b32 v128, v17, 3, v78
	v_lshlrev_b32_e32 v17, 3, v15
	v_or_b32_e32 v18, 32, v19
	v_or_b32_e32 v20, 0x60, v19
	v_cndmask_b32_e32 v14, v14, v13, vcc
	v_or3_b32 v13, v11, v16, v13
	v_lshlrev_b32_e32 v15, 7, v15
	v_xor_b32_e32 v18, v12, v18
	v_xor_b32_e32 v13, v13, v17
	;; [unrolled: 1-line block ×3, first 2 shown]
	v_or_b32_e32 v21, 0x440, v18
	v_or_b32_e32 v135, v13, v15
	v_xor_b32_e32 v13, 0x440, v12
	v_cndmask_b32_e32 v18, v21, v18, vcc
	v_cndmask_b32_e32 v12, v13, v12, vcc
	v_or_b32_e32 v111, 0x4000, v7
	v_or_b32_e32 v112, 0x6000, v7
	v_lshrrev_b32_e32 v7, 2, v87
	v_or_b32_e32 v8, s2, v89
	v_or_b32_e32 v14, v14, v11
	;; [unrolled: 1-line block ×4, first 2 shown]
	v_and_b32_e32 v7, 12, v7
	v_ashrrev_i32_e32 v9, 31, v8
	v_xor_b32_e32 v14, v14, v17
	v_xor_b32_e32 v18, v18, v17
	;; [unrolled: 1-line block ×3, first 2 shown]
	v_or_b32_e32 v10, v86, v7
	v_add_u32_e32 v19, v3, v14
	v_add_u32_e32 v21, v3, v18
	;; [unrolled: 1-line block ×3, first 2 shown]
	v_or3_b32 v12, v86, v7, 64
	v_add_u32_e32 v7, 0xa000, v14
	v_add_u32_e32 v14, 0xa000, v18
	;; [unrolled: 1-line block ×3, first 2 shown]
	v_lshlrev_b64 v[8:9], 1, v[8:9]
	v_lshl_add_u64 v[80:81], s[16:17], 0, v[8:9]
	v_lshl_add_u64 v[82:83], s[6:7], 0, v[8:9]
	;; [unrolled: 1-line block ×3, first 2 shown]
	s_mov_b32 s3, 0x7060302
	v_lshlrev_b32_e32 v78, 1, v6
	s_movk_i32 s25, 0x2000
	v_lshlrev_b32_e32 v137, 2, v10
	v_add_u32_e32 v138, v19, v15
	v_add_u32_e32 v139, v21, v15
	;; [unrolled: 1-line block ×4, first 2 shown]
	v_lshlrev_b32_e32 v142, 2, v12
	v_add_u32_e32 v143, v7, v15
	v_add_u32_e32 v144, v14, v15
	;; [unrolled: 1-line block ×3, first 2 shown]
	v_mov_b32_e32 v74, v79
	v_mov_b32_e32 v75, v79
	;; [unrolled: 1-line block ×24, first 2 shown]
	s_waitcnt lgkmcnt(0)
	s_barrier
	s_branch .LBB5_7
.LBB5_6:                                ;   in Loop: Header=BB5_7 Depth=1
	v_exp_f32_e32 v36, s46
	s_waitcnt vmcnt(4)
	v_exp_f32_e32 v38, v38
	v_exp_f32_e32 v39, v39
	;; [unrolled: 1-line block ×4, first 2 shown]
	v_accvgpr_read_b32 v5, a3
	v_accvgpr_read_b32 v4, a2
	;; [unrolled: 1-line block ×4, first 2 shown]
	v_pk_mul_f32 v[38:39], v[36:37], v[38:39] op_sel_hi:[0,1]
	v_pk_mul_f32 v[40:41], v[36:37], v[40:41] op_sel_hi:[0,1]
	v_pk_fma_f32 v[74:75], v[74:75], v[38:39], v[2:3]
	v_pk_fma_f32 v[76:77], v[76:77], v[40:41], v[4:5]
	v_exp_f32_e32 v2, v34
	v_exp_f32_e32 v3, v42
	;; [unrolled: 1-line block ×4, first 2 shown]
	v_accvgpr_read_b32 v9, a7
	v_accvgpr_read_b32 v13, a11
	;; [unrolled: 1-line block ×28, first 2 shown]
	v_pk_mul_f32 v[2:3], v[36:37], v[2:3] op_sel_hi:[0,1]
	v_pk_mul_f32 v[4:5], v[36:37], v[4:5] op_sel_hi:[0,1]
	s_add_i32 s59, s59, 64
	v_pk_fma_f32 v[66:67], v[38:39], v[66:67], v[6:7]
	v_pk_fma_f32 v[68:69], v[40:41], v[68:69], v[8:9]
	;; [unrolled: 1-line block ×14, first 2 shown]
	s_cmp_eq_u32 s53, s67
	s_mov_b32 s66, s67
	s_cbranch_scc1 .LBB5_17
.LBB5_7:                                ; =>This Inner Loop Header: Depth=1
	s_add_i32 s67, s66, 1
	s_cmp_lt_i32 s67, s53
	s_mov_b64 s[36:37], 0
	s_cselect_b64 s[46:47], -1, 0
	s_cmp_ge_i32 s67, s53
	s_mov_b64 s[28:29], 0
	s_cbranch_scc1 .LBB5_9
; %bb.8:                                ;   in Loop: Header=BB5_7 Depth=1
	s_add_i32 s0, s59, 64
	s_ashr_i32 s1, s0, 31
	s_add_u32 s0, s56, s0
	s_addc_u32 s1, s55, s1
	s_lshl_b64 s[0:1], s[0:1], 8
	s_add_u32 s28, s14, s0
	s_addc_u32 s29, s15, s1
.LBB5_9:                                ;   in Loop: Header=BB5_7 Depth=1
	v_cndmask_b32_e64 v2, 0, 1, s[46:47]
	v_cmp_ne_u32_e64 s[0:1], 1, v2
	s_andn2_b64 vcc, exec, s[46:47]
	s_cbranch_vccnz .LBB5_11
; %bb.10:                               ;   in Loop: Header=BB5_7 Depth=1
	s_add_i32 s36, s59, 64
	s_mul_hi_i32 s37, s36, s22
	s_mul_i32 s36, s36, s22
	s_add_u32 s36, s36, s57
	s_addc_u32 s37, s37, s61
	s_lshl_b64 s[36:37], s[36:37], 8
	s_add_u32 s36, s12, s36
	s_addc_u32 s37, s13, s37
.LBB5_11:                               ;   in Loop: Header=BB5_7 Depth=1
	v_perm_b32 v3, v77, v76, s3
	v_perm_b32 v2, v75, v74, s3
	v_perm_b32 v5, v73, v72, s3
	v_perm_b32 v4, v71, v70, s3
	ds_write_b64 v99, v[2:3]
	ds_write_b64 v100, v[4:5]
	ds_write_b64 v105, v[2:3]
	ds_write_b64 v106, v[4:5]
	v_perm_b32 v3, v69, v68, s3
	v_perm_b32 v2, v67, v66, s3
	v_perm_b32 v5, v65, v64, s3
	v_perm_b32 v4, v63, v62, s3
	ds_write_b64 v101, v[2:3]
	ds_write_b64 v102, v[4:5]
	ds_write_b64 v107, v[2:3]
	ds_write_b64 v108, v[4:5]
	;; [unrolled: 8-line block ×4, first 2 shown]
	s_waitcnt lgkmcnt(0)
	s_barrier
	ds_read_b64 v[6:7], v115 offset:49152
	ds_read2_b64 v[2:5], v116 offset1:16
	ds_read_b64 v[18:19], v118 offset:6144
	ds_read_b64 v[20:21], v116 offset:6144
	s_waitcnt lgkmcnt(2)
	v_mfma_f32_16x16x16_bf16 a[0:3], v[6:7], v[2:3], 0
	ds_read_b64 v[22:23], v117 offset:49152
	ds_read2st64_b64 v[10:13], v119 offset0:4 offset1:8
	ds_read2st64_b64 v[14:17], v120 offset0:4 offset1:8
	v_mfma_f32_16x16x16_bf16 a[4:7], v[6:7], v[4:5], 0
	ds_read2_b64 v[2:5], v116 offset0:32 offset1:48
	s_add_i32 s68, s59, 63
	s_ashr_i32 s39, s68, 31
	s_waitcnt lgkmcnt(0)
	v_mfma_f32_16x16x16_bf16 a[8:11], v[6:7], v[2:3], 0
	s_mul_i32 s46, s68, s11
	s_mul_hi_u32 s47, s68, s10
	s_add_i32 s46, s47, s46
	v_mfma_f32_16x16x16_bf16 a[12:15], v[6:7], v[4:5], 0
	ds_read2st64_b64 v[2:5], v116 offset0:4 offset1:8
	ds_read2st64_b64 v[6:9], v118 offset0:4 offset1:8
	s_mul_i32 s39, s39, s10
	s_waitcnt lgkmcnt(1)
	v_mfma_f32_16x16x16_bf16 a[0:3], v[22:23], v[2:3], a[0:3]
	s_add_i32 s47, s46, s39
	s_mul_i32 s46, s68, s10
	s_lshl_b64 s[46:47], s[46:47], 2
	s_waitcnt lgkmcnt(0)
	v_mfma_f32_16x16x16_bf16 a[4:7], v[22:23], v[6:7], a[4:7]
	s_add_u32 s46, s44, s46
	s_addc_u32 s47, s45, s47
	s_and_b64 vcc, exec, s[0:1]
	v_mfma_f32_16x16x16_bf16 a[8:11], v[22:23], v[10:11], a[8:11]
	ds_read_b64 v[2:3], v121 offset:49152
	ds_read_b64 v[6:7], v122 offset:49152
	;; [unrolled: 1-line block ×3, first 2 shown]
	v_mov_b32_e32 v148, 0
	v_mov_b32_e32 v147, 0
	v_mfma_f32_16x16x16_bf16 a[12:15], v[22:23], v[14:15], a[12:15]
	v_mov_b32_e32 v146, 0
	v_mov_b32_e32 v14, 0
	;; [unrolled: 1-line block ×3, first 2 shown]
	s_waitcnt lgkmcnt(2)
	v_mfma_f32_16x16x16_bf16 a[0:3], v[2:3], v[4:5], a[0:3]
	v_mov_b32_e32 v4, 0
	v_mov_b32_e32 v5, 0
	v_mfma_f32_16x16x16_bf16 a[16:19], v[2:3], v[8:9], a[4:7]
	v_mov_b32_e32 v8, 0
	v_mov_b32_e32 v9, 0
	;; [unrolled: 3-line block ×3, first 2 shown]
	v_mfma_f32_16x16x16_bf16 a[24:27], v[2:3], v[16:17], a[12:15]
	ds_read_b64 v[2:3], v119 offset:6144
	v_mov_b32_e32 v16, 0
	v_mov_b32_e32 v17, 0
	s_waitcnt lgkmcnt(2)
	v_mfma_f32_16x16x16_bf16 a[4:7], v[6:7], v[20:21], a[0:3]
	v_mfma_f32_16x16x16_bf16 a[8:11], v[6:7], v[18:19], a[16:19]
	s_waitcnt lgkmcnt(0)
	v_mfma_f32_16x16x16_bf16 a[12:15], v[6:7], v[2:3], a[20:23]
	v_mov_b32_e32 v2, 0
	v_mov_b32_e32 v3, 0
	v_mfma_f32_16x16x16_bf16 a[0:3], v[6:7], v[10:11], a[24:27]
	v_mov_b32_e32 v6, 0
	v_mov_b32_e32 v7, 0
	;; [unrolled: 1-line block ×4, first 2 shown]
	s_cbranch_vccnz .LBB5_13
; %bb.12:                               ;   in Loop: Header=BB5_7 Depth=1
	s_and_b32 s29, s29, 0xffff
	buffer_load_dwordx4 v[14:17], v95, s[28:31], 0 offen
	buffer_load_dwordx4 v[10:13], v95, s[28:31], s62 offen
	;; [unrolled: 1-line block ×4, first 2 shown]
	v_mov_b32_e32 v147, v97
	v_mov_b32_e32 v146, v98
.LBB5_13:                               ;   in Loop: Header=BB5_7 Depth=1
	ds_read_b64 v[30:31], v115 offset:57344
	ds_read2_b64 v[18:21], v123 offset1:16
	ds_read_b64 v[34:35], v117 offset:57344
	ds_read_b64 v[36:37], v121 offset:57344
	;; [unrolled: 1-line block ×3, first 2 shown]
	v_add_u32_e32 v32, s59, v136
	s_waitcnt lgkmcnt(3)
	v_mfma_f32_16x16x16_bf16 a[4:7], v[30:31], v[18:19], a[4:7]
	v_mfma_f32_16x16x16_bf16 a[8:11], v[30:31], v[20:21], a[8:11]
	ds_read2_b64 v[18:21], v123 offset0:32 offset1:48
	ds_read2st64_b64 v[22:25], v123 offset0:4 offset1:8
	ds_read2st64_b64 v[26:29], v124 offset0:4 offset1:8
	s_waitcnt lgkmcnt(2)
	v_mfma_f32_16x16x16_bf16 a[12:15], v[30:31], v[18:19], a[12:15]
	v_ashrrev_i32_e32 v18, 31, v32
	v_mul_lo_u32 v33, v18, s10
	v_mad_u64_u32 v[18:19], s[28:29], v32, s10, 0
	v_mfma_f32_16x16x16_bf16 a[0:3], v[30:31], v[20:21], a[0:3]
	v_mul_lo_u32 v20, v32, s11
	v_add3_u32 v19, v19, v20, v33
	v_add_u32_e32 v20, 1, v32
	v_ashrrev_i32_e32 v21, 31, v20
	s_waitcnt lgkmcnt(1)
	v_mfma_f32_16x16x16_bf16 a[4:7], v[34:35], v[22:23], a[4:7]
	v_mul_lo_u32 v22, v21, s10
	v_mul_lo_u32 v23, v20, s11
	v_mad_u64_u32 v[20:21], s[28:29], v20, s10, 0
	v_add3_u32 v21, v21, v23, v22
	v_add_u32_e32 v22, 2, v32
	v_ashrrev_i32_e32 v23, 31, v22
	v_mul_lo_u32 v30, v23, s10
	v_mul_lo_u32 v31, v22, s11
	v_mad_u64_u32 v[22:23], s[28:29], v22, s10, 0
	v_add3_u32 v23, v23, v31, v30
	v_add_u32_e32 v30, 3, v32
	v_ashrrev_i32_e32 v31, 31, v30
	v_mul_lo_u32 v32, v31, s10
	v_mul_lo_u32 v33, v30, s11
	v_mad_u64_u32 v[30:31], s[28:29], v30, s10, 0
	s_ashr_i32 s29, s59, 31
	s_add_u32 s28, s56, s59
	s_addc_u32 s29, s55, s29
	v_lshl_add_u64 v[18:19], v[18:19], 2, s[44:45]
	v_add3_u32 v31, v31, v33, v32
	s_lshl_b64 s[28:29], s[28:29], 8
	v_lshl_add_u64 v[20:21], v[20:21], 2, s[44:45]
	v_lshl_add_u64 v[22:23], v[22:23], 2, s[44:45]
	;; [unrolled: 1-line block ×3, first 2 shown]
	global_load_dword v40, v[18:19], off
	global_load_dword v41, v[20:21], off
	;; [unrolled: 1-line block ×4, first 2 shown]
	v_lshl_add_u64 v[18:19], v[80:81], 0, s[28:29]
	v_lshl_add_u64 v[22:23], v[18:19], 0, v[78:79]
	global_load_ushort v44, v[22:23], off offset:256
	global_load_ushort v149, v[22:23], off
	ds_read2st64_b64 v[18:21], v125 offset0:4 offset1:8
	global_load_ushort v150, v[22:23], off offset:768
	global_load_ushort v151, v[22:23], off offset:512
	ds_read2st64_b64 v[30:33], v126 offset0:4 offset1:8
	global_load_ushort v152, v[22:23], off offset:288
	global_load_ushort v153, v[22:23], off offset:32
	;; [unrolled: 1-line block ×4, first 2 shown]
	s_waitcnt lgkmcnt(2)
	v_mfma_f32_16x16x16_bf16 a[8:11], v[34:35], v[26:27], a[8:11]
	global_load_ushort v156, v[22:23], off offset:320
	global_load_ushort v157, v[22:23], off offset:64
	;; [unrolled: 1-line block ×4, first 2 shown]
	s_and_b64 vcc, exec, s[0:1]
	s_waitcnt lgkmcnt(1)
	v_mfma_f32_16x16x16_bf16 a[12:15], v[34:35], v[18:19], a[12:15]
	ds_read_b64 v[18:19], v123 offset:6144
	s_waitcnt lgkmcnt(1)
	v_mfma_f32_16x16x16_bf16 a[0:3], v[34:35], v[30:31], a[0:3]
	v_lshl_add_u64 v[30:31], v[82:83], 0, s[28:29]
	v_lshl_add_u64 v[30:31], v[30:31], 0, v[78:79]
	v_mfma_f32_16x16x16_bf16 a[4:7], v[36:37], v[24:25], a[4:7]
	v_mfma_f32_16x16x16_bf16 a[8:11], v[36:37], v[28:29], a[8:11]
	;; [unrolled: 1-line block ×4, first 2 shown]
	global_load_ushort v36, v[22:23], off offset:352
	global_load_ushort v37, v[22:23], off offset:96
	ds_read_b64 v[20:21], v124 offset:6144
	ds_read_b64 v[24:25], v125 offset:6144
	;; [unrolled: 1-line block ×3, first 2 shown]
	s_load_dword s46, s[46:47], 0x0
	global_load_ushort v160, v[22:23], off offset:864
	global_load_ushort v161, v[22:23], off offset:608
	s_waitcnt lgkmcnt(0)
	v_mfma_f32_16x16x16_bf16 a[4:7], v[38:39], v[18:19], a[4:7]
	s_waitcnt vmcnt(17)
	v_sub_f32_e32 v28, s46, v42
	v_mfma_f32_16x16x16_bf16 a[0:3], v[38:39], v[26:27], a[0:3]
	v_sub_f32_e32 v26, s46, v40
	v_sub_f32_e32 v27, s46, v41
	s_waitcnt vmcnt(16)
	v_sub_f32_e32 v29, s46, v43
	v_mfma_f32_16x16x16_bf16 a[8:11], v[38:39], v[20:21], a[8:11]
	v_exp_f32_e32 v26, v26
	v_exp_f32_e32 v27, v27
	;; [unrolled: 1-line block ×4, first 2 shown]
	v_accvgpr_read_b32 v35, a5
	s_waitcnt vmcnt(15)
	v_lshlrev_b32_e32 v33, 16, v44
	s_waitcnt vmcnt(14)
	v_lshlrev_b32_e32 v32, 16, v149
	v_accvgpr_read_b32 v34, a4
	v_accvgpr_read_b32 v19, a7
	;; [unrolled: 1-line block ×3, first 2 shown]
	v_pk_add_f32 v[32:33], v[32:33], v[34:35] neg_lo:[0,1] neg_hi:[0,1]
	s_waitcnt vmcnt(13)
	v_lshlrev_b32_e32 v35, 16, v150
	s_waitcnt vmcnt(12)
	v_lshlrev_b32_e32 v34, 16, v151
	v_pk_add_f32 v[18:19], v[34:35], v[18:19] neg_lo:[0,1] neg_hi:[0,1]
	global_store_short_d16_hi v[30:31], v32, off
	global_store_short_d16_hi v[30:31], v33, off offset:256
	global_store_short_d16_hi v[30:31], v18, off offset:512
	;; [unrolled: 1-line block ×3, first 2 shown]
	v_pk_mul_f32 v[32:33], v[26:27], v[32:33]
	v_pk_mul_f32 v[18:19], v[28:29], v[18:19]
	v_accvgpr_read_b32 v35, a9
	v_perm_b32 v32, v33, v32, s3
	v_perm_b32 v33, v19, v18, s3
	s_waitcnt vmcnt(15)
	v_lshlrev_b32_e32 v19, 16, v152
	s_waitcnt vmcnt(14)
	v_lshlrev_b32_e32 v18, 16, v153
	v_accvgpr_read_b32 v34, a8
	v_accvgpr_read_b32 v21, a11
	v_mfma_f32_16x16x16_bf16 a[12:15], v[38:39], v[24:25], a[12:15]
	v_accvgpr_read_b32 v20, a10
	v_pk_add_f32 v[18:19], v[18:19], v[34:35] neg_lo:[0,1] neg_hi:[0,1]
	s_waitcnt vmcnt(13)
	v_lshlrev_b32_e32 v35, 16, v154
	s_waitcnt vmcnt(12)
	v_lshlrev_b32_e32 v34, 16, v155
	v_pk_add_f32 v[20:21], v[34:35], v[20:21] neg_lo:[0,1] neg_hi:[0,1]
	global_store_short_d16_hi v[30:31], v18, off offset:32
	global_store_short_d16_hi v[30:31], v19, off offset:288
	;; [unrolled: 1-line block ×4, first 2 shown]
	v_pk_mul_f32 v[18:19], v[26:27], v[18:19]
	v_pk_mul_f32 v[20:21], v[28:29], v[20:21]
	v_accvgpr_read_b32 v23, a15
	v_perm_b32 v21, v21, v20, s3
	v_perm_b32 v20, v19, v18, s3
	ds_write2_b64 v100, v[32:33], v[20:21] offset1:16
	v_accvgpr_read_b32 v21, a13
	s_waitcnt vmcnt(15)
	v_lshlrev_b32_e32 v19, 16, v156
	s_waitcnt vmcnt(14)
	v_lshlrev_b32_e32 v18, 16, v157
	v_accvgpr_read_b32 v20, a12
	v_accvgpr_read_b32 v22, a14
	v_pk_add_f32 v[18:19], v[18:19], v[20:21] neg_lo:[0,1] neg_hi:[0,1]
	s_waitcnt vmcnt(13)
	v_lshlrev_b32_e32 v21, 16, v158
	s_waitcnt vmcnt(12)
	v_lshlrev_b32_e32 v20, 16, v159
	v_pk_add_f32 v[20:21], v[20:21], v[22:23] neg_lo:[0,1] neg_hi:[0,1]
	global_store_short_d16_hi v[30:31], v18, off offset:64
	global_store_short_d16_hi v[30:31], v19, off offset:320
	;; [unrolled: 1-line block ×4, first 2 shown]
	v_pk_mul_f32 v[18:19], v[26:27], v[18:19]
	v_pk_mul_f32 v[20:21], v[28:29], v[20:21]
	v_accvgpr_read_b32 v23, a1
	v_perm_b32 v18, v19, v18, s3
	v_perm_b32 v19, v21, v20, s3
	s_waitcnt vmcnt(15)
	v_lshlrev_b32_e32 v21, 16, v36
	s_waitcnt vmcnt(14)
	v_lshlrev_b32_e32 v20, 16, v37
	v_accvgpr_read_b32 v22, a0
	v_accvgpr_read_b32 v25, a3
	;; [unrolled: 1-line block ×3, first 2 shown]
	v_pk_add_f32 v[20:21], v[20:21], v[22:23] neg_lo:[0,1] neg_hi:[0,1]
	s_waitcnt vmcnt(13)
	v_lshlrev_b32_e32 v23, 16, v160
	s_waitcnt vmcnt(12)
	v_lshlrev_b32_e32 v22, 16, v161
	v_pk_add_f32 v[22:23], v[22:23], v[24:25] neg_lo:[0,1] neg_hi:[0,1]
	global_store_short_d16_hi v[30:31], v20, off offset:96
	global_store_short_d16_hi v[30:31], v21, off offset:352
	;; [unrolled: 1-line block ×4, first 2 shown]
	v_pk_mul_f32 v[20:21], v[26:27], v[20:21]
	v_pk_mul_f32 v[22:23], v[28:29], v[22:23]
	v_mov_b32_e32 v149, 0
	v_perm_b32 v23, v23, v22, s3
	v_perm_b32 v22, v21, v20, s3
	ds_write2_b64 v100, v[18:19], v[22:23] offset0:32 offset1:48
	v_mov_b32_e32 v18, 0
	v_mov_b32_e32 v19, 0
	;; [unrolled: 1-line block ×16, first 2 shown]
	s_cbranch_vccnz .LBB5_15
; %bb.14:                               ;   in Loop: Header=BB5_7 Depth=1
	s_and_b32 s37, s37, 0xffff
	s_mov_b32 s39, s31
	buffer_load_dwordx4 v[30:33], v133, s[36:39], 0 offen
	buffer_load_dwordx4 v[22:25], v133, s[36:39], s62 offen
	;; [unrolled: 1-line block ×4, first 2 shown]
	v_mov_b32_e32 v148, v94
	v_mov_b32_e32 v149, v93
.LBB5_15:                               ;   in Loop: Header=BB5_7 Depth=1
	s_waitcnt lgkmcnt(0)
	s_barrier
	ds_read_b64 v[42:43], v138
	ds_read2_b64 v[34:37], v129 offset1:16
	ds_read_b64 v[166:167], v139
	ds_read_b64 v[168:169], v140
	;; [unrolled: 1-line block ×3, first 2 shown]
	ds_read2_b64 v[38:41], v129 offset0:32 offset1:48
	ds_read2st64_b64 v[150:153], v129 offset0:4 offset1:8
	ds_read2st64_b64 v[154:157], v130 offset0:4 offset1:8
	;; [unrolled: 1-line block ×4, first 2 shown]
	s_waitcnt lgkmcnt(8)
	v_mfma_f32_16x16x16_bf16 a[0:3], v[42:43], v[34:35], 0
	s_add_i32 s28, s54, s66
	s_mul_hi_i32 s29, s28, s33
	s_mul_i32 s28, s28, s33
	v_mfma_f32_16x16x16_bf16 a[4:7], v[42:43], v[36:37], 0
	s_add_u32 s28, s28, s49
	s_addc_u32 s29, s29, s60
	s_lshl_b64 s[28:29], s[28:29], 15
	s_waitcnt lgkmcnt(4)
	v_mfma_f32_16x16x16_bf16 a[8:11], v[42:43], v[38:39], 0
	s_mul_i32 s36, s68, s33
	s_mul_hi_i32 s37, s68, s33
	s_add_u32 s36, s36, s49
	v_mfma_f32_16x16x16_bf16 a[12:15], v[42:43], v[40:41], 0
	ds_read_b64 v[42:43], v129 offset:6144
	ds_read_b64 v[178:179], v130 offset:6144
	;; [unrolled: 1-line block ×4, first 2 shown]
	s_addc_u32 s37, s37, s60
	s_waitcnt lgkmcnt(7)
	v_mfma_f32_16x16x16_bf16 a[0:3], v[166:167], v[150:151], a[0:3]
	s_lshl_b64 s[36:37], s[36:37], 9
	s_add_u32 s36, s40, s36
	s_addc_u32 s37, s41, s37
	s_waitcnt lgkmcnt(6)
	v_mfma_f32_16x16x16_bf16 a[4:7], v[166:167], v[154:155], a[4:7]
	v_lshl_add_u64 v[188:189], v[84:85], 0, s[28:29]
	s_waitcnt lgkmcnt(5)
	v_mfma_f32_16x16x16_bf16 a[8:11], v[166:167], v[158:159], a[8:11]
	s_waitcnt lgkmcnt(4)
	v_mfma_f32_16x16x16_bf16 a[12:15], v[166:167], v[162:163], a[12:15]
	ds_read_b64 v[166:167], v143
	ds_read_b64 v[176:177], v144
	ds_read_b64 v[184:185], v145
	s_waitcnt lgkmcnt(2)
	v_mfma_f32_16x16x16_bf16 a[16:19], v[166:167], v[34:35], 0
	v_mfma_f32_16x16x16_bf16 a[20:23], v[166:167], v[36:37], 0
	global_load_dwordx4 v[34:37], v142, s[36:37]
	v_mfma_f32_16x16x16_bf16 a[24:27], v[166:167], v[38:39], 0
	v_mfma_f32_16x16x16_bf16 a[28:31], v[166:167], v[40:41], 0
	global_load_dwordx4 v[38:41], v137, s[36:37]
	v_mfma_f32_16x16x16_bf16 a[0:3], v[168:169], v[152:153], a[0:3]
	v_mfma_f32_16x16x16_bf16 a[4:7], v[168:169], v[156:157], a[4:7]
	;; [unrolled: 1-line block ×8, first 2 shown]
	ds_read2st64_b64 v[166:169], v127 offset1:8
	ds_read2st64_b64 v[170:173], v128 offset1:8
	ds_read_b64 v[186:187], v135 offset:40960
	s_waitcnt lgkmcnt(2)
	v_mov_b32_e32 v174, v166
	v_mfma_f32_16x16x16_bf16 a[16:19], v[176:177], v[150:151], a[16:19]
	v_mov_b32_e32 v175, v167
	v_mfma_f32_16x16x16_bf16 a[20:23], v[176:177], v[154:155], a[20:23]
	v_mfma_f32_16x16x16_bf16 a[24:27], v[176:177], v[158:159], a[24:27]
	;; [unrolled: 1-line block ×3, first 2 shown]
	v_add_co_u32_e32 v162, vcc, s25, v188
	s_waitcnt lgkmcnt(1)
	v_mov_b32_e32 v176, v170
	s_waitcnt lgkmcnt(0)
	v_mfma_f32_16x16x16_bf16 a[16:19], v[186:187], v[152:153], a[16:19]
	ds_read2st64_b64 v[150:153], v127 offset0:16 offset1:24
	v_addc_co_u32_e32 v163, vcc, 0, v189, vcc
	v_mfma_f32_16x16x16_bf16 a[32:35], v[186:187], v[156:157], a[20:23]
	ds_read2st64_b64 v[154:157], v128 offset0:16 offset1:24
	v_mov_b32_e32 v177, v171
	v_mov_b32_e32 v170, v168
	v_mfma_f32_16x16x16_bf16 a[24:27], v[186:187], v[160:161], a[24:27]
	v_mov_b32_e32 v171, v169
	s_waitcnt lgkmcnt(0)
	v_mov_b32_e32 v160, v154
	v_mov_b32_e32 v161, v155
	v_mfma_f32_16x16x16_bf16 a[36:39], v[186:187], v[164:165], a[28:31]
	v_mov_b32_e32 v154, v152
	v_mov_b32_e32 v155, v153
	;; [unrolled: 1-line block ×3, first 2 shown]
	v_mfma_f32_16x16x16_bf16 a[20:23], v[184:185], v[42:43], a[16:19]
	v_add_co_u32_e32 v42, vcc, s65, v188
	v_mov_b32_e32 v159, v151
	v_mfma_f32_16x16x16_bf16 a[28:31], v[184:185], v[178:179], a[32:35]
	v_addc_co_u32_e32 v43, vcc, 0, v189, vcc
	global_store_dwordx4 v[42:43], v[154:157], off
	v_mfma_f32_16x16x16_bf16 a[16:19], v[184:185], v[180:181], a[24:27]
	s_waitcnt vmcnt(2)
	v_mov_b32_e32 v44, v37
	v_mov_b32_e32 v43, v36
	;; [unrolled: 1-line block ×3, first 2 shown]
	v_mfma_f32_16x16x16_bf16 a[24:27], v[184:185], v[182:183], a[36:39]
	s_and_b64 vcc, exec, s[0:1]
	global_store_dwordx4 v[188:189], v[174:177], off
	global_store_dwordx4 v[162:163], v[170:173], off offset:-4096
	global_store_dwordx4 v[162:163], v[158:161], off
	s_cbranch_vccnz .LBB5_6
; %bb.16:                               ;   in Loop: Header=BB5_7 Depth=1
	v_lshrrev_b32_e32 v35, 3, v148
	v_and_b32_e32 v35, 6, v35
	v_xor_b32_e32 v36, v35, v149
	v_lshlrev_b32_e32 v36, 2, v36
	v_and_b32_e32 v37, 8, v148
	v_xor_b32_e32 v148, 0x440, v36
	v_cmp_eq_u32_e32 vcc, 0, v37
	v_perm_b32 v37, v22, v18, s63
	s_nop 0
	v_cndmask_b32_e32 v36, v148, v36, vcc
	v_lshl_or_b32 v35, v35, 10, v36
	v_perm_b32 v36, v30, v26, s63
	s_barrier
	ds_write2st64_b32 v35, v36, v37 offset0:128 offset1:160
	v_xor_b32_e32 v36, 8, v35
	v_perm_b32 v26, v30, v26, s64
	v_perm_b32 v18, v22, v18, s64
	v_add_u32_e32 v22, 0x80, v36
	ds_write2st64_b32 v22, v26, v18 offset0:128 offset1:160
	v_xor_b32_e32 v18, 16, v35
	v_perm_b32 v22, v31, v27, s63
	v_perm_b32 v26, v23, v19, s63
	ds_write2st64_b32 v18, v22, v26 offset0:129 offset1:161
	v_xor_b32_e32 v18, 24, v35
	v_perm_b32 v22, v31, v27, s64
	v_perm_b32 v19, v23, v19, s64
	v_add_u32_e32 v18, 0x80, v18
	ds_write2st64_b32 v18, v22, v19 offset0:129 offset1:161
	v_xor_b32_e32 v18, 32, v35
	v_perm_b32 v19, v32, v28, s63
	v_perm_b32 v22, v24, v20, s63
	ds_write2st64_b32 v18, v19, v22 offset0:130 offset1:162
	v_xor_b32_e32 v18, 40, v35
	v_perm_b32 v19, v32, v28, s64
	v_perm_b32 v20, v24, v20, s64
	v_add_u32_e32 v18, 0x80, v18
	ds_write2st64_b32 v18, v19, v20 offset0:130 offset1:162
	v_xor_b32_e32 v18, 48, v35
	v_perm_b32 v19, v33, v29, s63
	v_perm_b32 v20, v25, v21, s63
	ds_write2st64_b32 v18, v19, v20 offset0:131 offset1:163
	v_xor_b32_e32 v18, 56, v35
	v_perm_b32 v19, v33, v29, s64
	v_perm_b32 v20, v25, v21, s64
	v_add_u32_e32 v18, 0x80, v18
	ds_write2st64_b32 v18, v19, v20 offset0:131 offset1:163
	ds_write_b64 v147, v[14:15] offset:49152
	v_xor_b32_e32 v14, 8, v147
	ds_write_b64 v14, v[16:17] offset:49152
	ds_write_b64 v147, v[10:11] offset:57344
	;; [unrolled: 1-line block ×4, first 2 shown]
	v_xor_b32_e32 v6, 8, v146
	ds_write_b64 v6, v[8:9] offset:49152
	ds_write_b64 v146, v[2:3] offset:57344
	;; [unrolled: 1-line block ×3, first 2 shown]
	s_branch .LBB5_6
.LBB5_17:
	s_lshl_b32 s3, s53, 6
	s_sub_i32 s58, s58, s3
	s_cmp_gt_i32 s58, 0
	v_or_b32_e32 v18, s2, v89
	s_cbranch_scc1 .LBB5_19
; %bb.18:
	s_ashr_i32 s37, s49, 31
	v_or_b32_e32 v2, s2, v89
	s_cbranch_execz .LBB5_20
	s_branch .LBB5_100
.LBB5_19:
                                        ; implicit-def: $vgpr2
                                        ; implicit-def: $sgpr36_sgpr37
.LBB5_20:
	s_add_i32 s36, s3, s42
	s_ashr_i32 s3, s36, 31
	s_cmpk_lg_i32 s23, 0x80
	s_cselect_b64 s[44:45], -1, 0
	s_and_b64 vcc, exec, s[44:45]
	s_cbranch_vccz .LBB5_22
; %bb.21:
	s_mul_hi_i32 s0, s36, s22
	s_mul_i32 s1, s36, s22
	s_ashr_i32 s22, s57, 31
	s_add_u32 s46, s1, s57
	s_addc_u32 s47, s0, s22
	s_cbranch_execz .LBB5_23
	s_branch .LBB5_24
.LBB5_22:
                                        ; implicit-def: $sgpr46_sgpr47
.LBB5_23:
	s_mul_i32 s1, s57, s20
	s_mul_hi_i32 s0, s57, s20
	s_add_u32 s46, s1, s36
	s_addc_u32 s47, s0, s3
.LBB5_24:
	s_add_i32 s20, s53, s54
	s_ashr_i32 s37, s49, 31
	s_add_u32 s0, s56, s36
	v_lshlrev_b32_e32 v6, 6, v1
	v_lshlrev_b32_e32 v27, 2, v89
	s_addc_u32 s1, s55, s3
	s_mov_b32 s3, 0x7060302
	v_or_b32_e32 v9, v6, v27
	v_xor_b32_e32 v7, v1, v27
	v_perm_b32 v3, v77, v76, s3
	v_perm_b32 v2, v75, v74, s3
	;; [unrolled: 1-line block ×4, first 2 shown]
	v_lshlrev_b32_e32 v9, 1, v9
	v_xor_b32_e32 v8, v92, v27
	ds_write2st64_b64 v9, v[2:3], v[4:5] offset0:32 offset1:48
	v_lshlrev_b32_e32 v7, 1, v7
	v_lshlrev_b32_e32 v9, 8, v89
	v_or_b32_e32 v10, v7, v9
	v_lshlrev_b32_e32 v8, 1, v8
	ds_write_b64 v10, v[2:3]
	v_or_b32_e32 v2, v8, v9
	v_or_b32_e32 v9, 16, v89
	v_lshlrev_b32_e32 v25, 2, v9
	v_or_b32_e32 v10, v6, v25
	ds_write_b64 v2, v[4:5]
	v_perm_b32 v3, v69, v68, s3
	v_perm_b32 v2, v67, v66, s3
	;; [unrolled: 1-line block ×4, first 2 shown]
	v_lshlrev_b32_e32 v10, 1, v10
	v_lshlrev_b32_e32 v9, 8, v9
	ds_write2st64_b64 v10, v[2:3], v[4:5] offset0:32 offset1:48
	v_or_b32_e32 v10, v7, v9
	ds_write_b64 v10, v[2:3]
	v_or_b32_e32 v2, v8, v9
	v_or_b32_e32 v9, 32, v89
	v_lshlrev_b32_e32 v24, 2, v9
	v_or_b32_e32 v10, v6, v24
	ds_write_b64 v2, v[4:5]
	v_perm_b32 v3, v61, v60, s3
	v_perm_b32 v2, v59, v58, s3
	;; [unrolled: 1-line block ×4, first 2 shown]
	v_lshlrev_b32_e32 v10, 1, v10
	v_lshlrev_b32_e32 v9, 8, v9
	s_lshl_b64 s[38:39], s[0:1], 8
	ds_write2st64_b64 v10, v[2:3], v[4:5] offset0:32 offset1:48
	v_or_b32_e32 v10, v7, v9
	s_add_u32 s0, s14, s38
	ds_write_b64 v10, v[2:3]
	v_or_b32_e32 v2, v8, v9
	s_addc_u32 s1, s15, s39
	ds_write_b64 v2, v[4:5]
	v_perm_b32 v3, v53, v52, s3
	v_perm_b32 v2, v51, v50, s3
	;; [unrolled: 1-line block ×4, first 2 shown]
	v_or_b32_e32 v9, 48, v89
	s_mul_hi_i32 s3, s20, s21
	s_mul_i32 s20, s20, s21
	v_lshlrev_b32_e32 v21, 2, v9
	s_add_u32 s14, s20, s49
	v_or_b32_e32 v6, v6, v21
	s_addc_u32 s15, s3, s37
	v_lshlrev_b32_e32 v6, 1, v6
	s_ashr_i32 s3, s2, 31
	s_lshl_b64 s[14:15], s[14:15], 15
	ds_write2st64_b64 v6, v[2:3], v[4:5] offset0:32 offset1:48
	v_lshlrev_b32_e32 v6, 8, v9
	s_add_u32 s4, s4, s14
	v_or_b32_e32 v7, v7, v6
	s_addc_u32 s5, s5, s15
	s_lshl_b64 s[2:3], s[2:3], 8
	ds_write_b64 v7, v[2:3]
	v_or_b32_e32 v2, v8, v6
	s_add_u32 s2, s4, s2
	v_lshlrev_b32_e32 v3, 1, v89
	ds_write_b64 v2, v[4:5]
	v_lshrrev_b32_e32 v2, 4, v0
	s_addc_u32 s3, s5, s3
	v_or_b32_e32 v4, 1, v3
	v_lshlrev_b32_e32 v10, 4, v89
	v_mov_b32_e32 v11, 0
	v_xor_b32_e32 v3, v2, v3
	v_xor_b32_e32 v6, v4, v2
	v_lshl_add_u64 v[12:13], s[2:3], 0, v[10:11]
	v_lshlrev_b32_e32 v10, 8, v2
	v_lshl_or_b32 v16, v3, 3, v10
	v_lshl_or_b32 v17, v6, 3, v10
	s_waitcnt lgkmcnt(0)
	s_barrier
	ds_read2st64_b64 v[2:5], v16 offset1:8
	ds_read2st64_b64 v[6:9], v17 offset1:8
	v_lshl_add_u64 v[14:15], v[12:13], 0, v[10:11]
	s_movk_i32 s2, 0x2000
	s_cmp_lg_u32 s58, 64
	s_waitcnt lgkmcnt(1)
	v_mov_b32_e32 v10, v2
	v_mov_b32_e32 v11, v3
	s_waitcnt lgkmcnt(0)
	v_mov_b32_e32 v12, v6
	v_mov_b32_e32 v13, v7
	global_store_dwordx4 v[14:15], v[10:13], off
	v_mov_b32_e32 v6, v4
	v_mov_b32_e32 v7, v5
	ds_read2st64_b64 v[2:5], v16 offset0:16 offset1:24
	ds_read2st64_b64 v[10:13], v17 offset0:16 offset1:24
	v_add_co_u32_e32 v16, vcc, s2, v14
	s_cselect_b64 s[4:5], -1, 0
	s_nop 0
	v_addc_co_u32_e32 v17, vcc, 0, v15, vcc
	global_store_dwordx4 v[16:17], v[6:9], off offset:-4096
	v_lshl_or_b32 v19, v45, 3, v91
	s_mov_b32 s28, 0
	s_waitcnt lgkmcnt(1)
	v_mov_b32_e32 v6, v2
	v_add_co_u32_e32 v2, vcc, 0x3000, v14
	v_mov_b32_e32 v7, v3
	s_nop 0
	v_addc_co_u32_e32 v3, vcc, 0, v15, vcc
	s_waitcnt lgkmcnt(0)
	v_mov_b32_e32 v8, v10
	v_mov_b32_e32 v9, v11
	;; [unrolled: 1-line block ×4, first 2 shown]
	v_or_b32_e32 v22, 32, v19
	v_and_b32_e32 v20, 56, v90
	s_and_b64 vcc, exec, s[4:5]
	global_store_dwordx4 v[16:17], v[6:9], off
	global_store_dwordx4 v[2:3], v[10:13], off
	s_cbranch_vccz .LBB5_30
; %bb.25:
	s_mov_b32 s29, s28
	s_mov_b32 s30, s28
	s_mov_b32 s31, s28
	v_mov_b64_e32 v[6:7], s[28:29]
	v_mov_b64_e32 v[8:9], s[30:31]
	;; [unrolled: 1-line block ×3, first 2 shown]
	v_cmp_gt_i32_e32 vcc, s58, v19
	v_mov_b64_e32 v[4:5], v[8:9]
	s_and_saveexec_b64 s[2:3], vcc
	s_cbranch_execz .LBB5_27
; %bb.26:
	v_lshlrev_b32_e32 v2, 8, v19
	v_mov_b32_e32 v3, 0
	v_lshl_add_u64 v[4:5], s[0:1], 0, v[2:3]
	v_lshlrev_b32_e32 v2, 1, v20
	v_lshl_add_u64 v[10:11], v[4:5], 0, v[2:3]
	global_load_dwordx4 v[6:9], v[10:11], off
	global_load_dwordx4 v[2:5], v[10:11], off offset:128
.LBB5_27:
	s_or_b64 exec, exec, s[2:3]
	s_mov_b32 s29, s28
	s_mov_b32 s30, s28
	s_mov_b32 s31, s28
	v_mov_b64_e32 v[14:15], s[28:29]
	v_mov_b64_e32 v[16:17], s[30:31]
	;; [unrolled: 1-line block ×3, first 2 shown]
	v_cmp_gt_i32_e32 vcc, s58, v22
	v_lshlrev_b32_e32 v23, 7, v22
	v_mov_b64_e32 v[12:13], v[16:17]
	s_and_saveexec_b64 s[2:3], vcc
	s_cbranch_execz .LBB5_29
; %bb.28:
	v_lshlrev_b32_e32 v10, 1, v23
	v_mov_b32_e32 v11, 0
	v_lshl_add_u64 v[12:13], s[0:1], 0, v[10:11]
	v_lshlrev_b32_e32 v10, 1, v20
	v_lshl_add_u64 v[28:29], v[12:13], 0, v[10:11]
	global_load_dwordx4 v[14:17], v[28:29], off
	global_load_dwordx4 v[10:13], v[28:29], off offset:128
.LBB5_29:
	s_or_b64 exec, exec, s[2:3]
	v_lshrrev_b32_e32 v26, 3, v20
	v_lshlrev_b32_e32 v28, 3, v19
	v_or_b32_e32 v26, v28, v26
	v_lshlrev_b32_e32 v26, 4, v26
	v_and_b32_e32 v28, 0x78, v28
	v_xor_b32_e32 v26, v26, v28
	s_branch .LBB5_32
.LBB5_30:
                                        ; implicit-def: $vgpr26
                                        ; implicit-def: $vgpr23
                                        ; implicit-def: $vgpr6_vgpr7_vgpr8_vgpr9
                                        ; implicit-def: $vgpr2_vgpr3_vgpr4_vgpr5
                                        ; implicit-def: $vgpr14_vgpr15_vgpr16_vgpr17
                                        ; implicit-def: $vgpr10_vgpr11_vgpr12_vgpr13
	s_cbranch_execz .LBB5_32
; %bb.31:
	s_waitcnt vmcnt(0)
	v_lshlrev_b32_e32 v2, 1, v20
	v_lshl_or_b32 v23, v19, 8, v2
	s_and_b32 s1, s1, 0xffff
	s_mov_b32 s3, 0x20000
	s_movk_i32 s2, 0x4000
	v_lshl_or_b32 v26, v22, 8, v2
	s_movk_i32 s14, 0x80
	buffer_load_dwordx4 v[6:9], v23, s[0:3], 0 offen
	buffer_load_dwordx4 v[2:5], v23, s[0:3], s14 offen
	;; [unrolled: 1-line block ×4, first 2 shown]
	v_lshrrev_b32_e32 v23, 3, v20
	v_lshlrev_b32_e32 v26, 3, v19
	v_or_b32_e32 v23, v26, v23
	v_lshlrev_b32_e32 v23, 4, v23
	v_and_b32_e32 v26, 0x78, v26
	v_xor_b32_e32 v26, v23, v26
	v_lshlrev_b32_e32 v23, 7, v22
.LBB5_32:
	s_movk_i32 s0, 0x1000
	v_and_or_b32 v22, v23, s0, v26
	s_waitcnt vmcnt(1)
	ds_write_b64 v26, v[6:7] offset:49152
	v_xor_b32_e32 v6, 8, v26
	ds_write_b64 v6, v[8:9] offset:49152
	s_waitcnt vmcnt(0)
	ds_write_b64 v26, v[2:3] offset:57344
	ds_write_b64 v6, v[4:5] offset:57344
	;; [unrolled: 1-line block ×3, first 2 shown]
	v_xor_b32_e32 v2, 8, v22
	ds_write_b64 v2, v[16:17] offset:49152
	ds_write_b64 v22, v[10:11] offset:57344
	;; [unrolled: 1-line block ×3, first 2 shown]
	v_or_b32_e32 v2, v86, v89
	v_lshlrev_b32_e32 v2, 3, v2
	v_lshrrev_b32_e32 v3, 5, v87
	s_movk_i32 s0, 0xf8
	v_and_or_b32 v3, v2, s0, v3
	v_lshlrev_b32_e32 v7, 4, v3
	v_lshlrev_b32_e32 v26, 11, v45
	v_and_b32_e32 v8, 0x78, v2
	v_or_b32_e32 v10, 32, v7
	v_and_b32_e32 v6, 0x1000, v26
	v_lshrrev_b32_e32 v3, 1, v87
	v_xor_b32_e32 v10, v10, v8
	v_xor_b32_e32 v2, v7, v8
	v_and_b32_e32 v9, 8, v3
	v_or_b32_e32 v10, v10, v6
	v_or_b32_e32 v2, v2, v6
	v_xor_b32_e32 v33, v10, v9
	v_or_b32_e32 v10, 64, v7
	v_xor_b32_e32 v32, v2, v9
	v_xor_b32_e32 v10, v10, v8
	s_waitcnt lgkmcnt(0)
	s_barrier
	v_or_b32_e32 v13, v10, v6
	ds_read_b64 v[10:11], v32 offset:49152
	v_lshl_or_b32 v14, v88, 8, v27
	v_lshlrev_b32_e32 v28, 1, v14
	v_add_u32_e32 v12, 0x4000, v28
	ds_read2_b64 v[2:5], v12 offset1:16
	v_or_b32_e32 v7, 0x60, v7
	v_xor_b32_e32 v7, v7, v8
	v_or_b32_e32 v6, v7, v6
	v_xor_b32_e32 v34, v13, v9
	v_xor_b32_e32 v35, v6, v9
	ds_read_b64 v[22:23], v33 offset:49152
	ds_read_b64 v[36:37], v34 offset:49152
	;; [unrolled: 1-line block ×3, first 2 shown]
	s_waitcnt lgkmcnt(3)
	v_mfma_f32_16x16x16_bf16 a[0:3], v[10:11], v[2:3], 0
	ds_read2_b64 v[6:9], v12 offset0:32 offset1:48
	s_lshl_b64 s[0:1], s[46:47], 8
	s_add_u32 s12, s12, s0
	v_mfma_f32_16x16x16_bf16 a[4:7], v[10:11], v[4:5], 0
	ds_read2st64_b64 v[2:5], v28 offset0:36 offset1:40
	s_addc_u32 s13, s13, s1
	s_add_i32 s22, s43, -1
	s_waitcnt lgkmcnt(1)
	v_mfma_f32_16x16x16_bf16 a[8:11], v[10:11], v[6:7], 0
	v_or_b32_e32 v6, 64, v14
	v_lshlrev_b32_e32 v29, 1, v6
	s_add_i32 s0, s51, s50
	s_waitcnt lgkmcnt(0)
	v_mfma_f32_16x16x16_bf16 a[0:3], v[22:23], v[2:3], a[0:3]
	v_or_b32_e32 v2, 0x80, v14
	v_lshlrev_b32_e32 v30, 1, v2
	v_or_b32_e32 v2, 0xc0, v14
	v_mfma_f32_16x16x16_bf16 a[12:15], v[10:11], v[8:9], 0
	ds_read2st64_b64 v[6:9], v29 offset0:36 offset1:40
	v_lshlrev_b32_e32 v31, 1, v2
	ds_read2st64_b64 v[10:13], v30 offset0:36 offset1:40
	ds_read2st64_b64 v[14:17], v31 offset0:36 offset1:40
	s_add_i32 s25, s0, s52
	s_mul_i32 s0, s49, s27
	s_mul_hi_u32 s1, s49, s26
	s_ashr_i32 s2, s22, 31
	s_mul_i32 s3, s22, s11
	s_mul_hi_u32 s14, s22, s10
	s_waitcnt lgkmcnt(2)
	v_mfma_f32_16x16x16_bf16 a[4:7], v[22:23], v[6:7], a[4:7]
	s_add_i32 s0, s1, s0
	s_mul_i32 s1, s37, s26
	s_add_i32 s3, s14, s3
	s_mul_i32 s2, s2, s10
	s_waitcnt lgkmcnt(1)
	v_mfma_f32_16x16x16_bf16 a[8:11], v[22:23], v[10:11], a[8:11]
	s_add_i32 s1, s0, s1
	s_add_i32 s3, s3, s2
	s_lshl_b64 s[14:15], s[24:25], 2
	s_waitcnt lgkmcnt(0)
	v_mfma_f32_16x16x16_bf16 a[12:15], v[22:23], v[14:15], a[12:15]
	s_mul_i32 s0, s49, s26
	s_add_u32 s14, s18, s14
	s_addc_u32 s15, s19, s15
	s_lshl_b64 s[0:1], s[0:1], 2
	v_mfma_f32_16x16x16_bf16 a[0:3], v[36:37], v[4:5], a[0:3]
	s_mul_i32 s2, s22, s10
	ds_read_b64 v[2:3], v28 offset:22528
	s_add_u32 s18, s14, s0
	v_mfma_f32_16x16x16_bf16 a[4:7], v[36:37], v[8:9], a[4:7]
	ds_read_b64 v[4:5], v29 offset:22528
	ds_read_b64 v[6:7], v30 offset:22528
	;; [unrolled: 1-line block ×3, first 2 shown]
	s_addc_u32 s19, s15, s1
	s_lshl_b64 s[0:1], s[2:3], 2
	v_mfma_f32_16x16x16_bf16 a[8:11], v[36:37], v[12:13], a[8:11]
	s_add_u32 s0, s18, s0
	s_addc_u32 s1, s19, s1
	s_load_dword s20, s[0:1], 0x0
	v_mfma_f32_16x16x16_bf16 a[12:15], v[36:37], v[16:17], a[12:15]
	s_and_b64 vcc, exec, s[44:45]
	s_waitcnt lgkmcnt(0)
	v_mfma_f32_16x16x16_bf16 a[0:3], v[38:39], v[2:3], a[0:3]
	v_mfma_f32_16x16x16_bf16 a[4:7], v[38:39], v[4:5], a[4:7]
	;; [unrolled: 1-line block ×4, first 2 shown]
	s_cbranch_vccz .LBB5_43
; %bb.33:
	v_lshlrev_b32_e32 v22, 1, v19
	s_and_b64 vcc, exec, s[4:5]
	s_cbranch_vccz .LBB5_44
; %bb.34:
	v_cmp_gt_i32_e32 vcc, s58, v22
	v_mov_b32_e32 v6, 0
	v_mov_b32_e32 v2, 0
	;; [unrolled: 1-line block ×5, first 2 shown]
	s_and_saveexec_b64 s[0:1], vcc
	s_cbranch_execz .LBB5_36
; %bb.35:
	v_mad_i64_i32 v[2:3], s[2:3], s23, v22, 0
	v_lshl_add_u64 v[2:3], v[2:3], 1, s[12:13]
	v_lshlrev_b32_e32 v4, 1, v20
	v_mov_b32_e32 v5, 0
	v_lshl_add_u64 v[2:3], v[2:3], 0, v[4:5]
	global_load_dwordx4 v[2:5], v[2:3], off
.LBB5_36:
	s_or_b64 exec, exec, s[0:1]
	v_or_b32_e32 v23, 1, v22
	v_cmp_gt_i32_e64 s[0:1], s58, v23
	v_mov_b32_e32 v7, 0
	v_mov_b32_e32 v8, 0
	;; [unrolled: 1-line block ×3, first 2 shown]
	s_and_saveexec_b64 s[2:3], s[0:1]
	s_cbranch_execz .LBB5_38
; %bb.37:
	v_mad_i64_i32 v[6:7], s[14:15], s23, v23, 0
	v_lshl_add_u64 v[6:7], v[6:7], 1, s[12:13]
	v_lshlrev_b32_e32 v8, 1, v20
	v_mov_b32_e32 v9, 0
	v_lshl_add_u64 v[6:7], v[6:7], 0, v[8:9]
	global_load_dwordx4 v[6:9], v[6:7], off
.LBB5_38:
	s_or_b64 exec, exec, s[2:3]
	v_mov_b32_e32 v17, 0
	v_mov_b32_e32 v10, 0
	v_mov_b32_e32 v11, 0
	v_mov_b32_e32 v12, 0
	v_mov_b32_e32 v13, 0
	s_and_saveexec_b64 s[2:3], vcc
	s_cbranch_execz .LBB5_40
; %bb.39:
	v_mad_i64_i32 v[10:11], s[14:15], s23, v22, 0
	v_lshl_add_u64 v[10:11], v[10:11], 1, s[12:13]
	v_lshlrev_b32_e32 v12, 1, v20
	v_mov_b32_e32 v13, 0
	v_lshl_add_u64 v[10:11], v[10:11], 0, v[12:13]
	global_load_dwordx4 v[10:13], v[10:11], off offset:128
.LBB5_40:
	s_or_b64 exec, exec, s[2:3]
	v_mov_b32_e32 v16, 0
	v_mov_b32_e32 v15, 0
	;; [unrolled: 1-line block ×3, first 2 shown]
	s_and_saveexec_b64 s[2:3], s[0:1]
	s_cbranch_execz .LBB5_42
; %bb.41:
	v_mad_i64_i32 v[14:15], s[0:1], s23, v23, 0
	v_lshl_add_u64 v[14:15], v[14:15], 1, s[12:13]
	v_lshlrev_b32_e32 v16, 1, v20
	v_mov_b32_e32 v17, 0
	v_lshl_add_u64 v[14:15], v[14:15], 0, v[16:17]
	global_load_dwordx4 v[14:17], v[14:15], off offset:128
.LBB5_42:
	s_or_b64 exec, exec, s[2:3]
	s_branch .LBB5_46
.LBB5_43:
                                        ; implicit-def: $vgpr5
                                        ; implicit-def: $vgpr9
                                        ; implicit-def: $vgpr13
                                        ; implicit-def: $vgpr17
	v_lshrrev_b32_e32 v36, 2, v87
	s_branch .LBB5_47
.LBB5_44:
                                        ; implicit-def: $vgpr5
                                        ; implicit-def: $vgpr9
                                        ; implicit-def: $vgpr13
                                        ; implicit-def: $vgpr17
	s_cbranch_execz .LBB5_46
; %bb.45:
	s_waitcnt vmcnt(0)
	v_mad_u64_u32 v[2:3], s[0:1], v22, s23, v[20:21]
	v_lshlrev_b32_e32 v22, 1, v2
	s_lshl_b32 s2, s23, 7
	s_and_b32 s1, s13, 0xffff
	s_mov_b32 s3, 0x20000
	s_mov_b32 s0, s12
	v_add_lshl_u32 v23, v2, s23, 1
	s_movk_i32 s14, 0x80
	buffer_load_dwordx4 v[2:5], v22, s[0:3], 0 offen
	buffer_load_dwordx4 v[10:13], v22, s[0:3], s14 offen
	;; [unrolled: 1-line block ×4, first 2 shown]
.LBB5_46:
	v_lshrrev_b32_e32 v36, 2, v87
	s_cbranch_execnz .LBB5_59
.LBB5_47:
	s_and_b64 vcc, exec, s[4:5]
	s_cbranch_vccz .LBB5_57
; %bb.48:
	s_waitcnt vmcnt(0)
	v_lshlrev_b32_e32 v7, 1, v19
	v_cmp_gt_i32_e32 vcc, s58, v7
	v_mov_b32_e32 v6, 0
	v_lshlrev_b32_e32 v14, 9, v19
	v_mov_b32_e32 v2, 0
	v_mov_b32_e32 v3, 0
	;; [unrolled: 1-line block ×4, first 2 shown]
	s_and_saveexec_b64 s[0:1], vcc
	s_cbranch_execz .LBB5_50
; %bb.49:
	v_mov_b32_e32 v15, 0
	v_lshl_add_u64 v[2:3], s[12:13], 0, v[14:15]
	v_lshlrev_b32_e32 v4, 1, v20
	v_mov_b32_e32 v5, v15
	v_lshl_add_u64 v[2:3], v[2:3], 0, v[4:5]
	global_load_dwordx4 v[2:5], v[2:3], off
.LBB5_50:
	s_or_b64 exec, exec, s[0:1]
	v_or_b32_e32 v7, 1, v7
	v_cmp_gt_i32_e64 s[0:1], s58, v7
	v_lshlrev_b32_e32 v22, 8, v7
	v_mov_b32_e32 v7, 0
	v_mov_b32_e32 v8, 0
	;; [unrolled: 1-line block ×3, first 2 shown]
	s_and_saveexec_b64 s[2:3], s[0:1]
	s_cbranch_execz .LBB5_52
; %bb.51:
	v_mov_b32_e32 v23, 0
	v_lshl_add_u64 v[6:7], s[12:13], 0, v[22:23]
	v_lshlrev_b32_e32 v8, 1, v20
	v_mov_b32_e32 v9, v23
	v_lshl_add_u64 v[6:7], v[6:7], 0, v[8:9]
	global_load_dwordx4 v[6:9], v[6:7], off
.LBB5_52:
	s_or_b64 exec, exec, s[2:3]
	v_mov_b32_e32 v17, 0
	v_mov_b32_e32 v10, 0
	;; [unrolled: 1-line block ×5, first 2 shown]
	s_and_saveexec_b64 s[2:3], vcc
	s_cbranch_execz .LBB5_54
; %bb.53:
	v_mov_b32_e32 v15, 0
	v_lshl_add_u64 v[10:11], s[12:13], 0, v[14:15]
	v_lshlrev_b32_e32 v14, 1, v20
	v_lshl_add_u64 v[10:11], v[10:11], 0, v[14:15]
	global_load_dwordx4 v[10:13], v[10:11], off offset:128
.LBB5_54:
	s_or_b64 exec, exec, s[2:3]
	v_mov_b32_e32 v16, 0
	v_mov_b32_e32 v15, 0
	;; [unrolled: 1-line block ×3, first 2 shown]
	s_and_saveexec_b64 s[2:3], s[0:1]
	s_cbranch_execz .LBB5_56
; %bb.55:
	v_mov_b32_e32 v23, 0
	v_lshl_add_u64 v[14:15], s[12:13], 0, v[22:23]
	v_lshlrev_b32_e32 v22, 1, v20
	v_lshl_add_u64 v[14:15], v[14:15], 0, v[22:23]
	global_load_dwordx4 v[14:17], v[14:15], off offset:128
.LBB5_56:
	s_or_b64 exec, exec, s[2:3]
	s_branch .LBB5_59
.LBB5_57:
                                        ; implicit-def: $vgpr5
                                        ; implicit-def: $vgpr9
                                        ; implicit-def: $vgpr13
                                        ; implicit-def: $vgpr17
	s_cbranch_execz .LBB5_59
; %bb.58:
	s_waitcnt vmcnt(0)
	v_lshlrev_b32_e32 v2, 1, v20
	v_lshl_or_b32 v20, v19, 9, v2
	s_and_b32 s13, s13, 0xffff
	s_mov_b32 s15, 0x20000
	s_movk_i32 s14, 0x4000
	s_movk_i32 s0, 0x80
	buffer_load_dwordx4 v[2:5], v20, s[12:15], 0 offen
	buffer_load_dwordx4 v[6:9], v20, s[12:15], 0 offen offset:256
	buffer_load_dwordx4 v[10:13], v20, s[12:15], s0 offen
	buffer_load_dwordx4 v[14:17], v20, s[12:15], s0 offen offset:256
.LBB5_59:
	ds_read_b64 v[22:23], v32 offset:57344
	v_add_u32_e32 v20, 0x6000, v28
	ds_read2_b64 v[38:41], v20 offset1:16
	ds_read_b64 v[82:83], v33 offset:57344
	ds_read_b64 v[84:85], v34 offset:57344
	;; [unrolled: 1-line block ×3, first 2 shown]
	ds_read2_b64 v[32:35], v20 offset0:32 offset1:48
	v_and_b32_e32 v20, 12, v36
	v_and_b32_e32 v44, 6, v0
	v_xor_b32_e32 v19, v19, v44
	v_lshlrev_b32_e32 v19, 2, v19
	s_mov_b32 s0, 0x1000504
	s_waitcnt lgkmcnt(4)
	v_mfma_f32_16x16x16_bf16 a[4:7], v[22:23], v[40:41], a[4:7]
	s_mov_b32 s1, 0x3020706
	v_mfma_f32_16x16x16_bf16 a[0:3], v[22:23], v[38:39], a[0:3]
	ds_read2st64_b64 v[36:39], v28 offset0:52 offset1:56
	s_waitcnt lgkmcnt(1)
	v_mfma_f32_16x16x16_bf16 a[8:11], v[22:23], v[32:33], a[8:11]
	v_mfma_f32_16x16x16_bf16 a[12:15], v[22:23], v[34:35], a[12:15]
	ds_read2st64_b64 v[32:35], v29 offset0:52 offset1:56
	ds_read2st64_b64 v[40:43], v30 offset0:52 offset1:56
	ds_read2st64_b64 v[78:81], v31 offset0:52 offset1:56
	s_waitcnt lgkmcnt(2)
	v_mfma_f32_16x16x16_bf16 a[4:7], v[82:83], v[32:33], a[4:7]
	v_and_b32_e32 v32, 1, v0
	v_xor_b32_e32 v33, 0x440, v19
	v_cmp_eq_u32_e32 vcc, 0, v32
	v_mfma_f32_16x16x16_bf16 a[0:3], v[82:83], v[36:37], a[0:3]
	s_waitcnt vmcnt(0)
	v_perm_b32 v32, v2, v6, s0
	v_cndmask_b32_e32 v19, v33, v19, vcc
	v_lshl_or_b32 v19, v44, 10, v19
	s_waitcnt lgkmcnt(1)
	v_mfma_f32_16x16x16_bf16 a[8:11], v[82:83], v[40:41], a[8:11]
	v_perm_b32 v33, v10, v14, s0
	ds_read_b64 v[22:23], v28 offset:30720
	ds_read_b64 v[36:37], v29 offset:30720
	ds_read_b64 v[90:91], v30 offset:30720
	ds_read_b64 v[92:93], v31 offset:30720
	ds_write2st64_b32 v19, v32, v33 offset0:128 offset1:160
	s_waitcnt lgkmcnt(5)
	v_mfma_f32_16x16x16_bf16 a[12:15], v[82:83], v[78:79], a[12:15]
	v_xor_b32_e32 v32, 8, v19
	v_perm_b32 v2, v2, v6, s1
	v_perm_b32 v6, v10, v14, s1
	v_add_u32_e32 v10, 0x80, v32
	ds_write2st64_b32 v10, v2, v6 offset0:128 offset1:160
	v_xor_b32_e32 v2, 16, v19
	v_perm_b32 v6, v3, v7, s0
	v_perm_b32 v10, v11, v15, s0
	v_mfma_f32_16x16x16_bf16 a[0:3], v[84:85], v[38:39], a[0:3]
	ds_write2st64_b32 v2, v6, v10 offset0:129 offset1:161
	v_xor_b32_e32 v2, 24, v19
	v_perm_b32 v3, v3, v7, s1
	v_mfma_f32_16x16x16_bf16 a[4:7], v[84:85], v[34:35], a[4:7]
	v_perm_b32 v6, v11, v15, s1
	v_add_u32_e32 v2, 0x80, v2
	ds_write2st64_b32 v2, v3, v6 offset0:129 offset1:161
	v_mfma_f32_16x16x16_bf16 a[16:19], v[84:85], v[42:43], a[8:11]
	v_xor_b32_e32 v2, 32, v19
	v_perm_b32 v3, v4, v8, s0
	v_perm_b32 v6, v12, v16, s0
	v_mfma_f32_16x16x16_bf16 a[20:23], v[84:85], v[80:81], a[12:15]
	ds_write2st64_b32 v2, v3, v6 offset0:130 offset1:162
	v_xor_b32_e32 v2, 40, v19
	v_perm_b32 v3, v4, v8, s1
	s_waitcnt lgkmcnt(8)
	v_mfma_f32_16x16x16_bf16 a[12:15], v[88:89], v[22:23], a[0:3]
	v_perm_b32 v4, v12, v16, s1
	v_add_u32_e32 v2, 0x80, v2
	ds_write2st64_b32 v2, v3, v4 offset0:130 offset1:162
	s_waitcnt lgkmcnt(8)
	v_mfma_f32_16x16x16_bf16 a[8:11], v[88:89], v[36:37], a[4:7]
	v_xor_b32_e32 v2, 48, v19
	v_perm_b32 v3, v5, v9, s0
	v_perm_b32 v4, v13, v17, s0
	s_waitcnt lgkmcnt(7)
	v_mfma_f32_16x16x16_bf16 a[4:7], v[88:89], v[90:91], a[16:19]
	ds_write2st64_b32 v2, v3, v4 offset0:131 offset1:163
	v_xor_b32_e32 v2, 56, v19
	v_or_b32_e32 v22, v20, v86
	s_waitcnt lgkmcnt(7)
	v_mfma_f32_16x16x16_bf16 a[0:3], v[88:89], v[92:93], a[20:23]
	v_perm_b32 v3, v5, v9, s1
	v_perm_b32 v4, v13, v17, s1
	v_add_u32_e32 v2, 0x80, v2
	v_cmp_gt_i32_e64 s[0:1], s58, v22
	v_mov_b32_e32 v32, 0
	v_mov_b32_e32 v33, 0
	ds_write2st64_b32 v2, v3, v4 offset0:131 offset1:163
	s_and_saveexec_b64 s[2:3], s[0:1]
	s_cbranch_execz .LBB5_61
; %bb.60:
	v_add_u32_e32 v2, s36, v22
	v_ashrrev_i32_e32 v3, 31, v2
	v_mul_lo_u32 v4, v3, s10
	v_mul_lo_u32 v5, v2, s11
	v_mad_u64_u32 v[2:3], s[4:5], v2, s10, 0
	v_add3_u32 v3, v3, v5, v4
	v_lshl_add_u64 v[2:3], v[2:3], 2, s[18:19]
	global_load_dword v2, v[2:3], off
	s_waitcnt vmcnt(0)
	v_sub_f32_e32 v2, s20, v2
	v_exp_f32_e32 v33, v2
.LBB5_61:
	s_or_b64 exec, exec, s[2:3]
	v_or_b32_e32 v14, 1, v22
	v_cmp_gt_i32_e64 s[4:5], s58, v14
	s_and_saveexec_b64 s[2:3], s[4:5]
	s_cbranch_execz .LBB5_63
; %bb.62:
	v_add_u32_e32 v2, s36, v14
	v_ashrrev_i32_e32 v3, 31, v2
	v_mul_lo_u32 v4, v3, s10
	v_mul_lo_u32 v5, v2, s11
	v_mad_u64_u32 v[2:3], s[12:13], v2, s10, 0
	v_add3_u32 v3, v3, v5, v4
	v_lshl_add_u64 v[2:3], v[2:3], 2, s[18:19]
	global_load_dword v2, v[2:3], off
	s_waitcnt vmcnt(0)
	v_sub_f32_e32 v2, s20, v2
	v_exp_f32_e32 v32, v2
.LBB5_63:
	s_or_b64 exec, exec, s[2:3]
	v_or_b32_e32 v10, 2, v22
	v_cmp_gt_i32_e64 s[2:3], s58, v10
	v_mov_b32_e32 v23, 0
	v_mov_b32_e32 v34, 0
	s_and_saveexec_b64 s[12:13], s[2:3]
	s_cbranch_execz .LBB5_65
; %bb.64:
	v_add_u32_e32 v2, s36, v10
	v_ashrrev_i32_e32 v3, 31, v2
	v_mul_lo_u32 v4, v3, s10
	v_mul_lo_u32 v5, v2, s11
	v_mad_u64_u32 v[2:3], s[14:15], v2, s10, 0
	v_add3_u32 v3, v3, v5, v4
	v_lshl_add_u64 v[2:3], v[2:3], 2, s[18:19]
	global_load_dword v2, v[2:3], off
	s_waitcnt vmcnt(0)
	v_sub_f32_e32 v2, s20, v2
	v_exp_f32_e32 v34, v2
.LBB5_65:
	s_or_b64 exec, exec, s[12:13]
	v_or_b32_e32 v11, 3, v22
	v_cmp_gt_i32_e32 vcc, s58, v11
	s_and_saveexec_b64 s[12:13], vcc
	s_cbranch_execz .LBB5_67
; %bb.66:
	v_add_u32_e32 v2, s36, v11
	v_ashrrev_i32_e32 v3, 31, v2
	v_mul_lo_u32 v4, v3, s10
	v_mul_lo_u32 v5, v2, s11
	v_mad_u64_u32 v[2:3], s[10:11], v2, s10, 0
	v_add3_u32 v3, v3, v5, v4
	v_lshl_add_u64 v[2:3], v[2:3], 2, s[18:19]
	global_load_dword v2, v[2:3], off
	s_waitcnt vmcnt(0)
	v_sub_f32_e32 v2, s20, v2
	v_exp_f32_e32 v23, v2
.LBB5_67:
	s_or_b64 exec, exec, s[12:13]
	s_add_u32 s10, s16, s38
	s_addc_u32 s11, s17, s39
	s_add_u32 s6, s6, s38
	v_ashrrev_i32_e32 v19, 31, v18
	v_accvgpr_read_b32 v2, a12
	s_addc_u32 s7, s7, s39
	v_lshlrev_b64 v[6:7], 1, v[18:19]
	v_accvgpr_read_b32 v3, a13
	v_accvgpr_read_b32 v4, a14
	;; [unrolled: 1-line block ×3, first 2 shown]
	v_lshl_add_u64 v[8:9], s[10:11], 0, v[6:7]
	v_lshl_add_u64 v[6:7], s[6:7], 0, v[6:7]
	v_mov_b32_e32 v15, 0
	v_lshlrev_b32_e32 v12, 8, v22
	v_mov_b32_e32 v13, 0
	s_and_saveexec_b64 s[6:7], s[0:1]
	s_cbranch_execz .LBB5_69
; %bb.68:
	v_mov_b32_e32 v13, 0
	v_lshl_add_u64 v[16:17], v[8:9], 0, v[12:13]
	global_load_ushort v19, v[16:17], off
	v_lshl_add_u64 v[16:17], v[6:7], 0, v[12:13]
	s_waitcnt vmcnt(0)
	v_lshlrev_b32_e32 v13, 16, v19
	v_sub_f32_e32 v2, v13, v2
	global_store_short_d16_hi v[16:17], v2, off
	v_mul_f32_e32 v2, v33, v2
	v_lshrrev_b32_e32 v13, 16, v2
.LBB5_69:
	s_or_b64 exec, exec, s[6:7]
	v_lshlrev_b32_e32 v14, 8, v14
	s_and_saveexec_b64 s[6:7], s[4:5]
	s_cbranch_execz .LBB5_71
; %bb.70:
	v_mov_b32_e32 v15, 0
	v_lshl_add_u64 v[16:17], v[8:9], 0, v[14:15]
	global_load_ushort v2, v[16:17], off
	v_lshl_add_u64 v[16:17], v[6:7], 0, v[14:15]
	s_waitcnt vmcnt(0)
	v_lshlrev_b32_e32 v2, 16, v2
	v_sub_f32_e32 v2, v2, v3
	global_store_short_d16_hi v[16:17], v2, off
	v_mul_f32_e32 v2, v32, v2
	v_lshrrev_b32_e32 v15, 16, v2
.LBB5_71:
	s_or_b64 exec, exec, s[6:7]
	v_mov_b32_e32 v35, 0
	v_lshlrev_b32_e32 v16, 8, v10
	v_mov_b32_e32 v17, 0
	s_and_saveexec_b64 s[6:7], s[2:3]
	s_cbranch_execz .LBB5_73
; %bb.72:
	v_mov_b32_e32 v17, 0
	v_lshl_add_u64 v[2:3], v[8:9], 0, v[16:17]
	global_load_ushort v10, v[2:3], off
	v_lshl_add_u64 v[2:3], v[6:7], 0, v[16:17]
	s_waitcnt vmcnt(0)
	v_lshlrev_b32_e32 v10, 16, v10
	v_sub_f32_e32 v4, v10, v4
	global_store_short_d16_hi v[2:3], v4, off
	v_mul_f32_e32 v2, v34, v4
	v_lshrrev_b32_e32 v17, 16, v2
.LBB5_73:
	s_or_b64 exec, exec, s[6:7]
	v_lshlrev_b32_e32 v10, 8, v11
	s_and_saveexec_b64 s[6:7], vcc
	s_cbranch_execz .LBB5_75
; %bb.74:
	v_mov_b32_e32 v11, 0
	v_lshl_add_u64 v[2:3], v[8:9], 0, v[10:11]
	global_load_ushort v4, v[2:3], off
	v_lshl_add_u64 v[2:3], v[6:7], 0, v[10:11]
	s_waitcnt vmcnt(0)
	v_lshlrev_b32_e32 v4, 16, v4
	v_sub_f32_e32 v4, v4, v5
	global_store_short_d16_hi v[2:3], v4, off
	v_mul_f32_e32 v2, v23, v4
	v_lshrrev_b32_e32 v35, 16, v2
.LBB5_75:
	s_or_b64 exec, exec, s[6:7]
	v_lshlrev_b32_e32 v19, 6, v22
	v_accvgpr_read_b32 v2, a8
	s_mov_b32 s6, 0x5040100
	v_or_b32_e32 v11, v19, v27
	v_accvgpr_read_b32 v3, a9
	v_accvgpr_read_b32 v4, a10
	;; [unrolled: 1-line block ×3, first 2 shown]
	v_perm_b32 v37, v35, v17, s6
	v_perm_b32 v36, v15, v13, s6
	v_lshlrev_b32_e32 v11, 1, v11
	v_mov_b32_e32 v15, 0
	v_mov_b32_e32 v13, 0
	ds_write_b64 v11, v[36:37] offset:24576
	s_and_saveexec_b64 s[6:7], s[0:1]
	s_cbranch_execz .LBB5_77
; %bb.76:
	v_mov_b32_e32 v13, 0
	v_lshl_add_u64 v[36:37], v[8:9], 0, v[12:13]
	global_load_ushort v11, v[36:37], off offset:32
	v_lshl_add_u64 v[36:37], v[6:7], 0, v[12:13]
	s_waitcnt vmcnt(0)
	v_lshlrev_b32_e32 v11, 16, v11
	v_sub_f32_e32 v2, v11, v2
	global_store_short_d16_hi v[36:37], v2, off offset:32
	v_mul_f32_e32 v2, v33, v2
	v_lshrrev_b32_e32 v13, 16, v2
.LBB5_77:
	s_or_b64 exec, exec, s[6:7]
	s_and_saveexec_b64 s[6:7], s[4:5]
	s_cbranch_execz .LBB5_79
; %bb.78:
	v_mov_b32_e32 v15, 0
	v_lshl_add_u64 v[36:37], v[8:9], 0, v[14:15]
	global_load_ushort v2, v[36:37], off offset:32
	v_lshl_add_u64 v[36:37], v[6:7], 0, v[14:15]
	s_waitcnt vmcnt(0)
	v_lshlrev_b32_e32 v2, 16, v2
	v_sub_f32_e32 v2, v2, v3
	global_store_short_d16_hi v[36:37], v2, off offset:32
	v_mul_f32_e32 v2, v32, v2
	v_lshrrev_b32_e32 v15, 16, v2
.LBB5_79:
	s_or_b64 exec, exec, s[6:7]
	v_mov_b32_e32 v11, 0
	v_mov_b32_e32 v17, 0
	s_and_saveexec_b64 s[6:7], s[2:3]
	s_cbranch_execz .LBB5_81
; %bb.80:
	v_mov_b32_e32 v17, 0
	v_lshl_add_u64 v[2:3], v[8:9], 0, v[16:17]
	global_load_ushort v27, v[2:3], off offset:32
	v_lshl_add_u64 v[2:3], v[6:7], 0, v[16:17]
	s_waitcnt vmcnt(0)
	v_lshlrev_b32_e32 v17, 16, v27
	v_sub_f32_e32 v4, v17, v4
	global_store_short_d16_hi v[2:3], v4, off offset:32
	v_mul_f32_e32 v2, v34, v4
	v_lshrrev_b32_e32 v17, 16, v2
.LBB5_81:
	s_or_b64 exec, exec, s[6:7]
	s_and_saveexec_b64 s[6:7], vcc
	s_cbranch_execz .LBB5_83
; %bb.82:
	v_mov_b32_e32 v11, 0
	v_lshl_add_u64 v[2:3], v[8:9], 0, v[10:11]
	global_load_ushort v4, v[2:3], off offset:32
	v_lshl_add_u64 v[2:3], v[6:7], 0, v[10:11]
	s_waitcnt vmcnt(0)
	v_lshlrev_b32_e32 v4, 16, v4
	v_sub_f32_e32 v4, v4, v5
	global_store_short_d16_hi v[2:3], v4, off offset:32
	v_mul_f32_e32 v2, v23, v4
	v_lshrrev_b32_e32 v11, 16, v2
.LBB5_83:
	s_or_b64 exec, exec, s[6:7]
	s_mov_b32 s6, 0x5040100
	v_accvgpr_read_b32 v2, a4
	v_perm_b32 v37, v11, v17, s6
	v_or_b32_e32 v11, v19, v25
	v_accvgpr_read_b32 v3, a5
	v_accvgpr_read_b32 v4, a6
	;; [unrolled: 1-line block ×3, first 2 shown]
	v_perm_b32 v36, v15, v13, s6
	v_lshlrev_b32_e32 v11, 1, v11
	v_mov_b32_e32 v15, 0
	v_mov_b32_e32 v13, 0
	ds_write_b64 v11, v[36:37] offset:24576
	s_and_saveexec_b64 s[6:7], s[0:1]
	s_cbranch_execz .LBB5_85
; %bb.84:
	v_mov_b32_e32 v13, 0
	v_lshl_add_u64 v[36:37], v[8:9], 0, v[12:13]
	global_load_ushort v11, v[36:37], off offset:64
	v_lshl_add_u64 v[36:37], v[6:7], 0, v[12:13]
	s_waitcnt vmcnt(0)
	v_lshlrev_b32_e32 v11, 16, v11
	v_sub_f32_e32 v2, v11, v2
	global_store_short_d16_hi v[36:37], v2, off offset:64
	v_mul_f32_e32 v2, v33, v2
	v_lshrrev_b32_e32 v13, 16, v2
.LBB5_85:
	s_or_b64 exec, exec, s[6:7]
	s_and_saveexec_b64 s[6:7], s[4:5]
	s_cbranch_execz .LBB5_87
; %bb.86:
	v_mov_b32_e32 v15, 0
	v_lshl_add_u64 v[36:37], v[8:9], 0, v[14:15]
	global_load_ushort v2, v[36:37], off offset:64
	v_lshl_add_u64 v[36:37], v[6:7], 0, v[14:15]
	s_waitcnt vmcnt(0)
	v_lshlrev_b32_e32 v2, 16, v2
	v_sub_f32_e32 v2, v2, v3
	global_store_short_d16_hi v[36:37], v2, off offset:64
	v_mul_f32_e32 v2, v32, v2
	v_lshrrev_b32_e32 v15, 16, v2
.LBB5_87:
	s_or_b64 exec, exec, s[6:7]
	v_mov_b32_e32 v11, 0
	v_mov_b32_e32 v17, 0
	s_and_saveexec_b64 s[6:7], s[2:3]
	s_cbranch_execz .LBB5_89
; %bb.88:
	v_mov_b32_e32 v17, 0
	v_lshl_add_u64 v[2:3], v[8:9], 0, v[16:17]
	global_load_ushort v25, v[2:3], off offset:64
	v_lshl_add_u64 v[2:3], v[6:7], 0, v[16:17]
	s_waitcnt vmcnt(0)
	v_lshlrev_b32_e32 v17, 16, v25
	v_sub_f32_e32 v4, v17, v4
	global_store_short_d16_hi v[2:3], v4, off offset:64
	v_mul_f32_e32 v2, v34, v4
	v_lshrrev_b32_e32 v17, 16, v2
.LBB5_89:
	s_or_b64 exec, exec, s[6:7]
	s_and_saveexec_b64 s[6:7], vcc
	s_cbranch_execz .LBB5_91
; %bb.90:
	v_mov_b32_e32 v11, 0
	v_lshl_add_u64 v[2:3], v[8:9], 0, v[10:11]
	global_load_ushort v4, v[2:3], off offset:64
	v_lshl_add_u64 v[2:3], v[6:7], 0, v[10:11]
	s_waitcnt vmcnt(0)
	v_lshlrev_b32_e32 v4, 16, v4
	v_sub_f32_e32 v4, v4, v5
	global_store_short_d16_hi v[2:3], v4, off offset:64
	v_mul_f32_e32 v2, v23, v4
	v_lshrrev_b32_e32 v11, 16, v2
.LBB5_91:
	s_or_b64 exec, exec, s[6:7]
	s_mov_b32 s6, 0x5040100
	v_accvgpr_read_b32 v5, a3
	v_perm_b32 v37, v11, v17, s6
	v_or_b32_e32 v11, v19, v24
	v_accvgpr_read_b32 v4, a2
	v_accvgpr_read_b32 v3, a1
	v_accvgpr_read_b32 v2, a0
	v_perm_b32 v36, v15, v13, s6
	v_lshlrev_b32_e32 v11, 1, v11
	v_mov_b32_e32 v15, 0
	v_mov_b32_e32 v13, 0
	ds_write_b64 v11, v[36:37] offset:24576
	s_and_saveexec_b64 s[6:7], s[0:1]
	s_cbranch_execz .LBB5_93
; %bb.92:
	v_mov_b32_e32 v13, 0
	v_lshl_add_u64 v[24:25], v[8:9], 0, v[12:13]
	global_load_ushort v11, v[24:25], off offset:96
	v_lshl_add_u64 v[12:13], v[6:7], 0, v[12:13]
	s_waitcnt vmcnt(0)
	v_lshlrev_b32_e32 v11, 16, v11
	v_sub_f32_e32 v2, v11, v2
	global_store_short_d16_hi v[12:13], v2, off offset:96
	v_mul_f32_e32 v2, v33, v2
	v_lshrrev_b32_e32 v13, 16, v2
.LBB5_93:
	s_or_b64 exec, exec, s[6:7]
	s_and_saveexec_b64 s[0:1], s[4:5]
	s_cbranch_execz .LBB5_95
; %bb.94:
	v_mov_b32_e32 v15, 0
	v_lshl_add_u64 v[24:25], v[8:9], 0, v[14:15]
	global_load_ushort v2, v[24:25], off offset:96
	v_lshl_add_u64 v[14:15], v[6:7], 0, v[14:15]
	s_waitcnt vmcnt(0)
	v_lshlrev_b32_e32 v2, 16, v2
	v_sub_f32_e32 v2, v2, v3
	global_store_short_d16_hi v[14:15], v2, off offset:96
	v_mul_f32_e32 v2, v32, v2
	v_lshrrev_b32_e32 v15, 16, v2
.LBB5_95:
	s_or_b64 exec, exec, s[0:1]
	v_mov_b32_e32 v11, 0
	v_mov_b32_e32 v14, 0
	s_and_saveexec_b64 s[0:1], s[2:3]
	s_cbranch_execz .LBB5_97
; %bb.96:
	v_mov_b32_e32 v17, 0
	v_lshl_add_u64 v[2:3], v[8:9], 0, v[16:17]
	global_load_ushort v12, v[2:3], off offset:96
	v_lshl_add_u64 v[2:3], v[6:7], 0, v[16:17]
	s_waitcnt vmcnt(0)
	v_lshlrev_b32_e32 v12, 16, v12
	v_sub_f32_e32 v4, v12, v4
	global_store_short_d16_hi v[2:3], v4, off offset:96
	v_mul_f32_e32 v2, v34, v4
	v_lshrrev_b32_e32 v14, 16, v2
.LBB5_97:
	s_or_b64 exec, exec, s[0:1]
	v_or_b32_e32 v12, 0x6000, v28
	v_or_b32_e32 v2, 0x6000, v29
	;; [unrolled: 1-line block ×4, first 2 shown]
	s_and_saveexec_b64 s[0:1], vcc
	s_cbranch_execz .LBB5_99
; %bb.98:
	v_mov_b32_e32 v11, 0
	v_lshl_add_u64 v[8:9], v[8:9], 0, v[10:11]
	global_load_ushort v8, v[8:9], off offset:96
	v_lshl_add_u64 v[6:7], v[6:7], 0, v[10:11]
	s_waitcnt vmcnt(0)
	v_lshlrev_b32_e32 v8, 16, v8
	v_sub_f32_e32 v5, v8, v5
	global_store_short_d16_hi v[6:7], v5, off offset:96
	v_mul_f32_e32 v5, v23, v5
	v_lshrrev_b32_e32 v11, 16, v5
.LBB5_99:
	s_or_b64 exec, exec, s[0:1]
	s_mov_b32 s0, 0x5040100
	v_or_b32_e32 v5, v19, v21
	v_perm_b32 v7, v11, v14, s0
	v_perm_b32 v6, v15, v13, s0
	v_lshlrev_b32_e32 v5, 1, v5
	ds_write_b64 v5, v[6:7] offset:24576
	v_and_b32_e32 v5, 7, v0
	v_and_b32_e32 v10, 8, v0
	v_lshlrev_b32_e32 v13, 3, v5
	v_lshlrev_b32_e32 v19, 7, v5
	v_lshrrev_b32_e32 v5, 1, v0
	v_and_b32_e32 v5, 24, v5
	v_mov_b32_e32 v11, 0x400
	v_cmp_eq_u32_e32 vcc, 0, v10
	s_movk_i32 s2, 0x100
	v_lshlrev_b32_e32 v23, 3, v45
	v_cndmask_b32_e64 v21, v11, 64, vcc
	v_mov_b32_e32 v10, 0xa000
	v_mov_b32_e32 v11, 0x8000
	v_cmp_gt_u32_e64 s[0:1], s2, v0
	v_xor_b32_e32 v27, v23, v5
	v_or_b32_e32 v14, 32, v5
	v_cndmask_b32_e64 v0, v10, v11, s[0:1]
	v_or_b32_e32 v10, 0x440, v27
	v_cndmask_b32_e32 v10, v10, v27, vcc
	v_or_b32_e32 v10, v10, v26
	v_xor_b32_e32 v44, v10, v13
	v_xor_b32_e32 v14, v23, v14
	v_add3_u32 v10, v0, v44, v19
	v_or_b32_e32 v15, 0x440, v14
	s_waitcnt lgkmcnt(0)
	s_barrier
	ds_read_b64 v[10:11], v10
	v_cndmask_b32_e32 v14, v15, v14, vcc
	v_or_b32_e32 v14, v14, v26
	v_xor_b32_e32 v84, v14, v13
	v_add3_u32 v14, v0, v84, v19
	ds_read_b64 v[24:25], v14
	ds_read2_b64 v[6:9], v12 offset1:16
	ds_read2_b64 v[14:17], v12 offset0:32 offset1:48
	v_or_b32_e32 v5, 0x60, v5
	v_xor_b32_e32 v5, v23, v5
	s_waitcnt lgkmcnt(1)
	v_mfma_f32_16x16x16_bf16 a[0:3], v[10:11], v[6:7], 0
	ds_read2st64_b64 v[28:31], v12 offset0:4 offset1:8
	ds_read2st64_b64 v[32:35], v2 offset0:4 offset1:8
	;; [unrolled: 1-line block ×4, first 2 shown]
	v_mfma_f32_16x16x16_bf16 a[4:7], v[10:11], v[8:9], 0
	s_mul_i32 s0, s22, s21
	s_mul_hi_i32 s1, s22, s21
	s_add_u32 s0, s0, s49
	s_waitcnt lgkmcnt(4)
	v_mfma_f32_16x16x16_bf16 a[8:11], v[10:11], v[14:15], 0
	s_addc_u32 s1, s1, s37
	s_lshl_b64 s[0:1], s[0:1], 9
	s_add_u32 s0, s40, s0
	v_mfma_f32_16x16x16_bf16 a[12:15], v[10:11], v[16:17], 0
	v_or3_b32 v10, v26, v21, v27
	v_xor_b32_e32 v21, 0x440, v5
	v_xor_b32_e32 v10, v10, v13
	v_cndmask_b32_e32 v5, v21, v5, vcc
	v_or_b32_e32 v85, v10, v19
	v_or_b32_e32 v5, v5, v26
	;; [unrolled: 1-line block ×3, first 2 shown]
	v_xor_b32_e32 v13, v5, v13
	ds_read_b64 v[10:11], v10
	v_add3_u32 v0, v0, v13, v19
	s_waitcnt lgkmcnt(4)
	v_mfma_f32_16x16x16_bf16 a[0:3], v[24:25], v[28:29], a[0:3]
	s_addc_u32 s1, s41, s1
	ds_read_b64 v[26:27], v12 offset:6144
	s_waitcnt lgkmcnt(4)
	v_mfma_f32_16x16x16_bf16 a[4:7], v[24:25], v[32:33], a[4:7]
	s_waitcnt lgkmcnt(3)
	v_mfma_f32_16x16x16_bf16 a[8:11], v[24:25], v[36:37], a[8:11]
	s_waitcnt lgkmcnt(2)
	v_mfma_f32_16x16x16_bf16 a[12:15], v[24:25], v[40:41], a[12:15]
	ds_read_b64 v[24:25], v0
	v_lshlrev_b32_e32 v0, 2, v22
	ds_read_b64 v[78:79], v2 offset:6144
	ds_read_b64 v[80:81], v3 offset:6144
	;; [unrolled: 1-line block ×3, first 2 shown]
	global_load_dwordx4 v[2:5], v0, s[0:1]
	s_waitcnt lgkmcnt(5)
	v_mfma_f32_16x16x16_bf16 a[0:3], v[10:11], v[30:31], a[0:3]
	v_add_u32_e32 v0, v44, v19
	ds_read_b64 v[22:23], v0 offset:40960
	v_lshlrev_b32_e32 v0, 6, v45
	v_mfma_f32_16x16x16_bf16 a[4:7], v[10:11], v[34:35], a[4:7]
	s_waitcnt vmcnt(0)
	v_exp_f32_e32 v4, v4
	v_mfma_f32_16x16x16_bf16 a[8:11], v[10:11], v[38:39], a[8:11]
	v_exp_f32_e32 v5, v5
	v_exp_f32_e32 v2, v2
	;; [unrolled: 1-line block ×3, first 2 shown]
	v_mfma_f32_16x16x16_bf16 a[12:15], v[10:11], v[42:43], a[12:15]
	v_lshlrev_b32_e32 v10, 2, v20
	v_or3_b32 v0, v0, v10, s2
	v_add_u32_e32 v10, v84, v19
	v_add_u32_e32 v11, v13, v19
	s_waitcnt lgkmcnt(4)
	v_mfma_f32_16x16x16_bf16 a[0:3], v[24:25], v[26:27], a[0:3]
	s_waitcnt lgkmcnt(3)
	v_mfma_f32_16x16x16_bf16 a[4:7], v[24:25], v[78:79], a[4:7]
	;; [unrolled: 2-line block ×4, first 2 shown]
	ds_read_b64 v[20:21], v10 offset:40960
	ds_read_b64 v[24:25], v11 offset:40960
	global_load_dwordx4 v[10:13], v0, s[0:1]
	v_exp_f32_e32 v0, s20
	s_waitcnt lgkmcnt(2)
	v_mfma_f32_16x16x16_bf16 a[28:31], v[22:23], v[16:17], 0
	ds_read_b64 v[16:17], v85 offset:40960
	v_pk_mul_f32 v[2:3], v[0:1], v[2:3] op_sel_hi:[0,1]
	v_mfma_f32_16x16x16_bf16 a[16:19], v[22:23], v[6:7], 0
	v_pk_mul_f32 v[6:7], v[0:1], v[4:5] op_sel_hi:[0,1]
	v_accvgpr_read_b32 v5, a3
	v_accvgpr_read_b32 v4, a2
	v_mfma_f32_16x16x16_bf16 a[20:23], v[22:23], v[8:9], 0
	v_pk_fma_f32 v[76:77], v[76:77], v[6:7], v[4:5]
	v_accvgpr_read_b32 v4, a4
	v_accvgpr_read_b32 v5, a5
	v_mfma_f32_16x16x16_bf16 a[24:27], v[22:23], v[14:15], 0
	v_pk_fma_f32 v[66:67], v[2:3], v[66:67], v[4:5]
	v_accvgpr_read_b32 v4, a8
	v_accvgpr_read_b32 v5, a9
	s_waitcnt lgkmcnt(2)
	v_mfma_f32_16x16x16_bf16 a[16:19], v[20:21], v[28:29], a[16:19]
	v_accvgpr_read_b32 v9, a7
	v_accvgpr_read_b32 v8, a6
	;; [unrolled: 1-line block ×3, first 2 shown]
	v_mfma_f32_16x16x16_bf16 a[20:23], v[20:21], v[32:33], a[20:23]
	v_pk_fma_f32 v[58:59], v[2:3], v[58:59], v[4:5]
	v_accvgpr_read_b32 v4, a12
	v_accvgpr_read_b32 v15, a11
	v_mfma_f32_16x16x16_bf16 a[24:27], v[20:21], v[36:37], a[24:27]
	v_accvgpr_read_b32 v14, a10
	v_accvgpr_read_b32 v28, a0
	;; [unrolled: 1-line block ×3, first 2 shown]
	s_waitcnt lgkmcnt(0)
	v_mfma_f32_16x16x16_bf16 a[4:7], v[16:17], v[30:31], a[16:19]
	v_pk_fma_f32 v[74:75], v[74:75], v[2:3], v[28:29]
	v_pk_fma_f32 v[50:51], v[2:3], v[50:51], v[4:5]
	v_accvgpr_read_b32 v23, a15
	v_mfma_f32_16x16x16_bf16 a[0:3], v[20:21], v[40:41], a[28:31]
	v_accvgpr_read_b32 v22, a14
	v_pk_fma_f32 v[68:69], v[6:7], v[68:69], v[8:9]
	v_pk_fma_f32 v[60:61], v[6:7], v[60:61], v[14:15]
	v_mfma_f32_16x16x16_bf16 a[8:11], v[16:17], v[34:35], a[20:23]
	v_pk_fma_f32 v[52:53], v[6:7], v[52:53], v[22:23]
	s_waitcnt vmcnt(0)
	v_mov_b32_e32 v2, v11
	v_mfma_f32_16x16x16_bf16 a[12:15], v[16:17], v[38:39], a[24:27]
	v_mov_b32_e32 v3, v12
	v_mov_b32_e32 v4, v13
	v_exp_f32_e32 v9, v2
	v_exp_f32_e32 v2, v3
	;; [unrolled: 1-line block ×3, first 2 shown]
	v_mfma_f32_16x16x16_bf16 a[4:7], v[24:25], v[26:27], a[4:7]
	v_exp_f32_e32 v8, v10
	v_pk_mul_f32 v[2:3], v[0:1], v[2:3] op_sel_hi:[0,1]
	v_mfma_f32_16x16x16_bf16 a[0:3], v[16:17], v[42:43], a[0:3]
	v_pk_mul_f32 v[4:5], v[0:1], v[8:9] op_sel_hi:[0,1]
	v_mfma_f32_16x16x16_bf16 a[8:11], v[24:25], v[78:79], a[8:11]
	s_nop 1
	v_accvgpr_read_b32 v7, a7
	v_accvgpr_read_b32 v6, a6
	v_pk_fma_f32 v[72:73], v[72:73], v[2:3], v[6:7]
	v_mfma_f32_16x16x16_bf16 a[12:15], v[24:25], v[80:81], a[12:15]
	v_accvgpr_read_b32 v15, a5
	v_accvgpr_read_b32 v14, a4
	v_pk_fma_f32 v[70:71], v[70:71], v[4:5], v[14:15]
	v_mfma_f32_16x16x16_bf16 a[0:3], v[24:25], v[82:83], a[0:3]
	v_accvgpr_read_b32 v6, a8
	v_accvgpr_read_b32 v7, a9
	v_pk_fma_f32 v[62:63], v[4:5], v[62:63], v[6:7]
	v_accvgpr_read_b32 v6, a12
	v_accvgpr_read_b32 v7, a13
	v_pk_fma_f32 v[56:57], v[4:5], v[56:57], v[6:7]
	v_accvgpr_read_b32 v9, a11
	v_accvgpr_read_b32 v7, a1
	;; [unrolled: 1-line block ×8, first 2 shown]
	v_pk_fma_f32 v[64:65], v[2:3], v[64:65], v[8:9]
	v_pk_fma_f32 v[54:55], v[2:3], v[54:55], v[10:11]
	;; [unrolled: 1-line block ×4, first 2 shown]
	v_mov_b32_e32 v2, v18
.LBB5_100:
	s_mul_i32 s0, s33, s35
	s_mul_hi_u32 s1, s33, s34
	s_add_i32 s0, s1, s0
	s_mul_i32 s1, s48, s34
	s_add_i32 s1, s0, s1
	s_mul_i32 s0, s33, s34
	s_add_u32 s0, s0, s49
	s_addc_u32 s1, s1, s37
	s_lshl_b64 s[0:1], s[0:1], 15
	s_add_u32 s0, s8, s0
	v_lshlrev_b32_e32 v2, 7, v2
	s_addc_u32 s1, s9, s1
	v_ashrrev_i32_e32 v3, 31, v2
	v_lshl_add_u64 v[4:5], v[2:3], 1, s[0:1]
	v_lshlrev_b32_e32 v0, 1, v1
	v_mov_b32_e32 v1, 0
	s_mov_b32 s2, 0x7060302
	v_lshl_add_u64 v[4:5], v[4:5], 0, v[0:1]
	v_perm_b32 v7, v77, v76, s2
	v_perm_b32 v6, v75, v74, s2
	global_store_dwordx2 v[4:5], v[6:7], off
	v_perm_b32 v7, v73, v72, s2
	v_perm_b32 v6, v71, v70, s2
	global_store_dwordx2 v[4:5], v[6:7], off offset:128
	v_or_b32_e32 v4, 0x800, v2
	v_ashrrev_i32_e32 v5, 31, v4
	v_lshl_add_u64 v[4:5], v[4:5], 1, s[0:1]
	v_lshl_add_u64 v[4:5], v[4:5], 0, v[0:1]
	v_perm_b32 v7, v69, v68, s2
	v_perm_b32 v6, v67, v66, s2
	global_store_dwordx2 v[4:5], v[6:7], off
	v_perm_b32 v7, v65, v64, s2
	v_perm_b32 v6, v63, v62, s2
	global_store_dwordx2 v[4:5], v[6:7], off offset:128
	v_or_b32_e32 v4, 0x1000, v2
	v_or_b32_e32 v2, 0x1800, v2
	v_ashrrev_i32_e32 v5, 31, v4
	v_ashrrev_i32_e32 v3, 31, v2
	v_lshl_add_u64 v[4:5], v[4:5], 1, s[0:1]
	v_lshl_add_u64 v[2:3], v[2:3], 1, s[0:1]
	;; [unrolled: 1-line block ×3, first 2 shown]
	v_perm_b32 v7, v61, v60, s2
	v_perm_b32 v6, v59, v58, s2
	v_lshl_add_u64 v[0:1], v[2:3], 0, v[0:1]
	v_perm_b32 v3, v53, v52, s2
	v_perm_b32 v2, v51, v50, s2
	global_store_dwordx2 v[4:5], v[6:7], off
	v_perm_b32 v7, v55, v54, s2
	v_perm_b32 v6, v57, v56, s2
	global_store_dwordx2 v[0:1], v[2:3], off
	v_perm_b32 v3, v49, v48, s2
	v_perm_b32 v2, v47, v46, s2
	global_store_dwordx2 v[4:5], v[6:7], off offset:128
	global_store_dwordx2 v[0:1], v[2:3], off offset:128
	s_endpgm
	.section	.rodata,"a",@progbits
	.p2align	6, 0x0
	.amdhsa_kernel _ZN12_GLOBAL__N_139chunk_gated_delta_rule_fwd_h_hip_kernelILi64ELb0ELb1ELb1ELb1ELb1ELb1ELb1ELb1EEEvPK12hip_bfloat16S3_S3_PKfS5_PKvPS1_S8_PvPKiSB_iiiiilll
		.amdhsa_group_segment_fixed_size 65536
		.amdhsa_private_segment_fixed_size 0
		.amdhsa_kernarg_size 136
		.amdhsa_user_sgpr_count 2
		.amdhsa_user_sgpr_dispatch_ptr 0
		.amdhsa_user_sgpr_queue_ptr 0
		.amdhsa_user_sgpr_kernarg_segment_ptr 1
		.amdhsa_user_sgpr_dispatch_id 0
		.amdhsa_user_sgpr_kernarg_preload_length 0
		.amdhsa_user_sgpr_kernarg_preload_offset 0
		.amdhsa_user_sgpr_private_segment_size 0
		.amdhsa_uses_dynamic_stack 0
		.amdhsa_enable_private_segment 0
		.amdhsa_system_sgpr_workgroup_id_x 1
		.amdhsa_system_sgpr_workgroup_id_y 1
		.amdhsa_system_sgpr_workgroup_id_z 0
		.amdhsa_system_sgpr_workgroup_info 0
		.amdhsa_system_vgpr_workitem_id 0
		.amdhsa_next_free_vgpr 232
		.amdhsa_next_free_sgpr 69
		.amdhsa_accum_offset 192
		.amdhsa_reserve_vcc 1
		.amdhsa_float_round_mode_32 0
		.amdhsa_float_round_mode_16_64 0
		.amdhsa_float_denorm_mode_32 3
		.amdhsa_float_denorm_mode_16_64 3
		.amdhsa_dx10_clamp 1
		.amdhsa_ieee_mode 1
		.amdhsa_fp16_overflow 0
		.amdhsa_tg_split 0
		.amdhsa_exception_fp_ieee_invalid_op 0
		.amdhsa_exception_fp_denorm_src 0
		.amdhsa_exception_fp_ieee_div_zero 0
		.amdhsa_exception_fp_ieee_overflow 0
		.amdhsa_exception_fp_ieee_underflow 0
		.amdhsa_exception_fp_ieee_inexact 0
		.amdhsa_exception_int_div_zero 0
	.end_amdhsa_kernel
	.section	.text._ZN12_GLOBAL__N_139chunk_gated_delta_rule_fwd_h_hip_kernelILi64ELb0ELb1ELb1ELb1ELb1ELb1ELb1ELb1EEEvPK12hip_bfloat16S3_S3_PKfS5_PKvPS1_S8_PvPKiSB_iiiiilll,"axG",@progbits,_ZN12_GLOBAL__N_139chunk_gated_delta_rule_fwd_h_hip_kernelILi64ELb0ELb1ELb1ELb1ELb1ELb1ELb1ELb1EEEvPK12hip_bfloat16S3_S3_PKfS5_PKvPS1_S8_PvPKiSB_iiiiilll,comdat
.Lfunc_end5:
	.size	_ZN12_GLOBAL__N_139chunk_gated_delta_rule_fwd_h_hip_kernelILi64ELb0ELb1ELb1ELb1ELb1ELb1ELb1ELb1EEEvPK12hip_bfloat16S3_S3_PKfS5_PKvPS1_S8_PvPKiSB_iiiiilll, .Lfunc_end5-_ZN12_GLOBAL__N_139chunk_gated_delta_rule_fwd_h_hip_kernelILi64ELb0ELb1ELb1ELb1ELb1ELb1ELb1ELb1EEEvPK12hip_bfloat16S3_S3_PKfS5_PKvPS1_S8_PvPKiSB_iiiiilll
                                        ; -- End function
	.section	.AMDGPU.csdata,"",@progbits
; Kernel info:
; codeLenInByte = 12896
; NumSgprs: 75
; NumVgprs: 190
; NumAgprs: 40
; TotalNumVgprs: 232
; ScratchSize: 0
; MemoryBound: 0
; FloatMode: 240
; IeeeMode: 1
; LDSByteSize: 65536 bytes/workgroup (compile time only)
; SGPRBlocks: 9
; VGPRBlocks: 28
; NumSGPRsForWavesPerEU: 75
; NumVGPRsForWavesPerEU: 232
; AccumOffset: 192
; Occupancy: 1
; WaveLimiterHint : 1
; COMPUTE_PGM_RSRC2:SCRATCH_EN: 0
; COMPUTE_PGM_RSRC2:USER_SGPR: 2
; COMPUTE_PGM_RSRC2:TRAP_HANDLER: 0
; COMPUTE_PGM_RSRC2:TGID_X_EN: 1
; COMPUTE_PGM_RSRC2:TGID_Y_EN: 1
; COMPUTE_PGM_RSRC2:TGID_Z_EN: 0
; COMPUTE_PGM_RSRC2:TIDIG_COMP_CNT: 0
; COMPUTE_PGM_RSRC3_GFX90A:ACCUM_OFFSET: 47
; COMPUTE_PGM_RSRC3_GFX90A:TG_SPLIT: 0
	.section	.text._ZN12_GLOBAL__N_139chunk_gated_delta_rule_fwd_h_hip_kernelILi64ELb0ELb1ELb0ELb1ELb1ELb1ELb1ELb1EEEvPK12hip_bfloat16S3_S3_PKfS5_PKvPS1_S8_PvPKiSB_iiiiilll,"axG",@progbits,_ZN12_GLOBAL__N_139chunk_gated_delta_rule_fwd_h_hip_kernelILi64ELb0ELb1ELb0ELb1ELb1ELb1ELb1ELb1EEEvPK12hip_bfloat16S3_S3_PKfS5_PKvPS1_S8_PvPKiSB_iiiiilll,comdat
	.globl	_ZN12_GLOBAL__N_139chunk_gated_delta_rule_fwd_h_hip_kernelILi64ELb0ELb1ELb0ELb1ELb1ELb1ELb1ELb1EEEvPK12hip_bfloat16S3_S3_PKfS5_PKvPS1_S8_PvPKiSB_iiiiilll ; -- Begin function _ZN12_GLOBAL__N_139chunk_gated_delta_rule_fwd_h_hip_kernelILi64ELb0ELb1ELb0ELb1ELb1ELb1ELb1ELb1EEEvPK12hip_bfloat16S3_S3_PKfS5_PKvPS1_S8_PvPKiSB_iiiiilll
	.p2align	8
	.type	_ZN12_GLOBAL__N_139chunk_gated_delta_rule_fwd_h_hip_kernelILi64ELb0ELb1ELb0ELb1ELb1ELb1ELb1ELb1EEEvPK12hip_bfloat16S3_S3_PKfS5_PKvPS1_S8_PvPKiSB_iiiiilll,@function
_ZN12_GLOBAL__N_139chunk_gated_delta_rule_fwd_h_hip_kernelILi64ELb0ELb1ELb0ELb1ELb1ELb1ELb1ELb1EEEvPK12hip_bfloat16S3_S3_PKfS5_PKvPS1_S8_PvPKiSB_iiiiilll: ; @_ZN12_GLOBAL__N_139chunk_gated_delta_rule_fwd_h_hip_kernelILi64ELb0ELb1ELb0ELb1ELb1ELb1ELb1ELb1EEEvPK12hip_bfloat16S3_S3_PKfS5_PKvPS1_S8_PvPKiSB_iiiiilll
; %bb.0:
	s_load_dwordx4 s[16:19], s[0:1], 0x5c
	s_load_dwordx8 s[4:11], s[0:1], 0x0
	s_load_dwordx4 s[20:23], s[0:1], 0x70
	s_abs_i32 s27, s3
	s_ashr_i32 s26, s3, 31
	s_waitcnt lgkmcnt(0)
	s_abs_i32 s28, s17
	v_cvt_f32_u32_e32 v1, s28
	s_sub_i32 s29, 0, s28
	s_ashr_i32 s46, s17, 31
	s_xor_b32 s26, s26, s46
	v_rcp_iflag_f32_e32 v1, v1
	s_load_dwordx2 s[36:37], s[0:1], 0x20
	s_load_dwordx2 s[40:41], s[0:1], 0x30
	s_load_dwordx4 s[12:15], s[0:1], 0x40
	s_load_dwordx2 s[24:25], s[0:1], 0x50
	v_lshrrev_b32_e32 v45, 6, v0
	v_bfe_u32 v86, v0, 4, 2
	v_mul_f32_e32 v1, 0x4f7ffffe, v1
	v_cvt_u32_f32_e32 v1, v1
	v_lshlrev_b32_e32 v84, 4, v45
	v_lshlrev_b32_e32 v2, 2, v86
	v_and_b32_e32 v85, 63, v0
	v_readfirstlane_b32 s30, v1
	s_mul_i32 s29, s29, s30
	s_mul_hi_u32 s29, s30, s29
	s_add_i32 s30, s30, s29
	s_mul_hi_u32 s29, s27, s30
	s_mul_i32 s30, s29, s28
	s_sub_i32 s27, s27, s30
	s_add_i32 s30, s29, 1
	s_sub_i32 s31, s27, s28
	s_cmp_ge_u32 s27, s28
	s_cselect_b32 s29, s30, s29
	s_cselect_b32 s27, s31, s27
	s_add_i32 s30, s29, 1
	s_cmp_ge_u32 s27, s28
	s_cselect_b32 s27, s30, s29
	s_xor_b32 s27, s27, s26
	s_sub_i32 s34, s27, s26
	s_mul_i32 s26, s34, s17
	s_ashr_i32 s35, s34, 31
	s_sub_i32 s47, s3, s26
	s_lshl_b64 s[26:27], s[34:35], 2
	s_waitcnt lgkmcnt(0)
	s_add_u32 s14, s14, s26
	s_addc_u32 s15, s15, s27
	s_add_u32 s24, s24, s26
	s_addc_u32 s25, s25, s27
	s_abs_i32 s3, s18
	v_cvt_f32_u32_e32 v1, s3
	s_load_dwordx2 s[38:39], s[14:15], 0x0
	s_load_dword s52, s[24:25], 0x0
	s_mov_b32 s33, s17
	v_rcp_iflag_f32_e32 v1, v1
	s_load_dwordx2 s[14:15], s[0:1], 0x80
	s_sub_i32 s1, 0, s3
	s_waitcnt lgkmcnt(0)
	s_sub_i32 s56, s39, s38
	v_mul_f32_e32 v1, 0x4f7ffffe, v1
	v_cvt_u32_f32_e32 v1, v1
	s_ashr_i32 s0, s56, 31
	s_lshr_b32 s0, s0, 26
	s_add_i32 s0, s56, s0
	v_readfirstlane_b32 s26, v1
	s_mul_i32 s1, s1, s26
	s_mul_hi_u32 s1, s26, s1
	s_add_i32 s26, s26, s1
	s_mul_hi_u32 s1, s28, s26
	s_mul_i32 s26, s1, s3
	s_ashr_i32 s51, s0, 6
	s_ashr_i32 s0, s18, 31
	s_sub_i32 s26, s28, s26
	s_xor_b32 s0, s46, s0
	s_add_i32 s27, s1, 1
	s_sub_i32 s28, s26, s3
	s_cmp_ge_u32 s26, s3
	s_cselect_b32 s1, s27, s1
	s_cselect_b32 s26, s28, s26
	s_add_i32 s27, s1, 1
	s_cmp_ge_u32 s26, s3
	s_cselect_b32 s1, s27, s1
	s_xor_b32 s1, s1, s0
	s_sub_i32 s1, s1, s0
	s_abs_i32 s3, s1
	v_cvt_f32_u32_e32 v1, s3
	s_sub_i32 s25, 0, s3
	s_abs_i32 s24, s47
	s_xor_b32 s1, s47, s1
	v_rcp_iflag_f32_e32 v1, v1
	s_ashr_i32 s1, s1, 31
	s_mov_b32 s0, 0
	v_and_b32_e32 v87, 15, v0
	v_mul_f32_e32 v1, 0x4f7ffffe, v1
	v_cvt_u32_f32_e32 v1, v1
	s_mul_hi_i32 s53, s47, s16
	s_mul_i32 s54, s47, s16
	v_lshrrev_b32_e32 v89, 3, v85
	v_readfirstlane_b32 s26, v1
	s_mul_i32 s25, s25, s26
	s_mul_hi_u32 s25, s26, s25
	s_add_i32 s26, s26, s25
	s_mul_hi_u32 s25, s24, s26
	s_mul_i32 s26, s25, s3
	s_sub_i32 s24, s24, s26
	s_add_i32 s26, s25, 1
	s_sub_i32 s27, s24, s3
	s_cmp_ge_u32 s24, s3
	s_cselect_b32 s25, s26, s25
	s_cselect_b32 s24, s27, s24
	s_add_i32 s26, s25, 1
	s_cmp_ge_u32 s24, s3
	s_cselect_b32 s3, s26, s25
	s_xor_b32 s3, s3, s1
	s_sub_i32 s55, s3, s1
	v_or_b32_e32 v1, v2, v84
	s_lshl_b32 s2, s2, 6
	s_mov_b32 s1, s0
	v_or_b32_e32 v90, 64, v1
	s_cmp_lt_i32 s56, 64
	v_mov_b64_e32 v[54:55], s[0:1]
	v_lshlrev_b32_e32 v88, 3, v0
	s_mul_i32 s48, s34, s21
	s_mul_hi_u32 s49, s34, s20
	s_mul_i32 s50, s35, s20
	s_mul_i32 s20, s34, s20
	v_mov_b64_e32 v[56:57], s[0:1]
	v_mov_b64_e32 v[60:61], s[0:1]
	;; [unrolled: 1-line block ×15, first 2 shown]
	s_cbranch_scc1 .LBB6_17
; %bb.1:
	s_ashr_i32 s58, s47, 31
	s_ashr_i32 s1, s38, 31
	s_add_u32 s0, s54, s38
	s_addc_u32 s1, s53, s1
	s_lshl_b64 s[0:1], s[0:1], 8
	v_and_b32_e32 v92, 56, v88
	s_add_u32 s24, s6, s0
	v_lshl_or_b32 v91, v45, 3, v89
	v_lshlrev_b32_e32 v3, 1, v92
	s_addc_u32 s0, s7, s1
	v_lshl_or_b32 v93, v91, 8, v3
	s_and_b32 s25, s0, 0xffff
	s_mov_b32 s27, 0x20000
	s_movk_i32 s26, 0x4000
	s_movk_i32 s0, 0x80
	v_or_b32_e32 v94, 0x2000, v93
	buffer_load_dwordx4 v[4:7], v93, s[24:27], 0 offen
	buffer_load_dwordx4 v[8:11], v93, s[24:27], s0 offen
	;; [unrolled: 1-line block ×4, first 2 shown]
	v_lshlrev_b32_e32 v20, 3, v91
	v_and_or_b32 v22, v0, 7, v20
	v_and_b32_e32 v20, 0x78, v20
	v_lshlrev_b32_e32 v22, 4, v22
	v_xor_b32_e32 v95, v22, v20
	v_mul_lo_u32 v21, v91, s19
	v_or_b32_e32 v96, 0x1000, v95
	s_cmpk_eq_i32 s19, 0x80
	s_mov_b32 s57, s38
	v_xor_b32_e32 v20, 8, v95
	v_xor_b32_e32 v22, 8, v96
	s_cselect_b64 s[0:1], -1, 0
	s_cmpk_lg_i32 s19, 0x80
	s_waitcnt vmcnt(3)
	ds_write_b64 v95, v[4:5] offset:49152
	ds_write_b64 v20, v[6:7] offset:49152
	s_waitcnt vmcnt(2)
	ds_write_b64 v95, v[8:9] offset:57344
	ds_write_b64 v20, v[10:11] offset:57344
	s_waitcnt vmcnt(1)
	ds_write_b64 v95, v[12:13] offset:53248
	ds_write_b64 v22, v[14:15] offset:49152
	s_waitcnt vmcnt(0)
	ds_write_b64 v95, v[16:17] offset:61440
	ds_write_b64 v22, v[18:19] offset:57344
	v_lshl_add_u32 v4, v21, 1, v92
	s_cbranch_scc0 .LBB6_3
; %bb.2:
	v_lshlrev_b32_e32 v6, 1, v4
	v_add_lshl_u32 v5, v4, s19, 1
	s_lshl_b32 s26, s19, 7
	v_lshl_or_b32 v3, v91, 9, v3
	s_cbranch_execz .LBB6_4
	s_branch .LBB6_5
.LBB6_3:
                                        ; implicit-def: $vgpr5
                                        ; implicit-def: $vgpr6
                                        ; implicit-def: $sgpr26
	v_lshl_or_b32 v3, v91, 9, v3
.LBB6_4:
	v_or_b32_e32 v5, 0x100, v3
	s_movk_i32 s26, 0x4000
	v_mov_b32_e32 v6, v3
.LBB6_5:
	s_mul_i32 s21, s38, s18
	s_ashr_i32 s59, s55, 31
	s_mul_hi_i32 s3, s38, s18
	s_add_u32 s24, s21, s55
	s_addc_u32 s25, s3, s59
	s_lshl_b64 s[24:25], s[24:25], 8
	s_add_u32 s24, s4, s24
	s_addc_u32 s3, s5, s25
	s_and_b32 s25, s3, 0xffff
	s_movk_i32 s60, 0x80
	buffer_load_dwordx4 v[8:11], v6, s[24:27], 0 offen
	buffer_load_dwordx4 v[12:15], v6, s[24:27], s60 offen
	;; [unrolled: 1-line block ×4, first 2 shown]
	v_and_b32_e32 v5, 6, v0
	v_lshlrev_b32_e32 v6, 7, v1
	v_xor_b32_e32 v28, v91, v5
	v_and_b32_e32 v7, 1, v0
	v_lshl_or_b32 v31, v87, 3, v6
	v_lshlrev_b32_e32 v28, 2, v28
	v_lshlrev_b32_e32 v24, 2, v87
	v_or_b32_e32 v97, 0x4000, v31
	v_or_b32_e32 v98, 0x6000, v31
	v_xor_b32_e32 v31, 0x440, v28
	v_cmp_eq_u32_e32 vcc, 0, v7
	v_or_b32_e32 v26, 16, v87
	v_or_b32_e32 v27, 32, v87
	v_xor_b32_e32 v29, v1, v24
	v_xor_b32_e32 v30, v90, v24
	v_cndmask_b32_e32 v7, v31, v28, vcc
	s_add_i32 s3, s49, s48
	s_mov_b32 s61, 0x1000504
	v_lshl_or_b32 v32, v26, 3, v6
	v_lshlrev_b32_e32 v26, 8, v26
	v_lshl_or_b32 v33, v27, 3, v6
	v_lshlrev_b32_e32 v29, 1, v29
	v_lshlrev_b32_e32 v30, 1, v30
	v_lshl_or_b32 v5, v5, 10, v7
	s_add_i32 s21, s3, s50
	s_mul_i32 s3, s47, s23
	s_mul_hi_u32 s24, s47, s22
	s_mov_b32 s62, 0x3020706
	v_lshlrev_b32_e32 v25, 8, v87
	v_or_b32_e32 v101, 0x4000, v33
	v_or_b32_e32 v102, 0x6000, v33
	;; [unrolled: 1-line block ×4, first 2 shown]
	v_xor_b32_e32 v7, 8, v5
	v_xor_b32_e32 v26, 24, v5
	v_xor_b32_e32 v31, 40, v5
	v_xor_b32_e32 v33, 56, v5
	s_add_i32 s3, s24, s3
	s_mul_i32 s24, s58, s22
	v_or_b32_e32 v99, 0x4000, v32
	v_or_b32_e32 v100, 0x6000, v32
	;; [unrolled: 1-line block ×4, first 2 shown]
	v_xor_b32_e32 v25, 16, v5
	v_xor_b32_e32 v28, 32, v5
	;; [unrolled: 1-line block ×3, first 2 shown]
	v_add_u32_e32 v7, 0x80, v7
	v_add_u32_e32 v26, 0x80, v26
	;; [unrolled: 1-line block ×4, first 2 shown]
	s_add_i32 s25, s3, s24
	s_lshl_b64 s[28:29], s[20:21], 2
	s_mul_i32 s24, s47, s22
	s_add_u32 s3, s10, s28
	s_addc_u32 s21, s11, s29
	s_lshl_b64 s[24:25], s[24:25], 2
	s_add_u32 s42, s3, s24
	s_movk_i32 s3, 0xf8
	s_addc_u32 s43, s21, s25
	s_lshl_b32 s30, s19, 7
	v_mov_b32_e32 v79, 0
	s_movk_i32 s21, 0x100
	v_lshlrev_b32_e32 v78, 4, v87
	v_lshlrev_b32_e32 v27, 8, v27
	s_mov_b32 s64, 0
	s_movk_i32 s26, 0x4000
	v_or_b32_e32 v107, v27, v29
	v_or_b32_e32 v108, v27, v30
	v_add_u32_e32 v134, v84, v2
	s_movk_i32 s63, 0x3000
	v_mov_b32_e32 v48, v79
	v_mov_b32_e32 v49, v79
	v_mov_b32_e32 v46, v79
	v_mov_b32_e32 v47, v79
	v_mov_b32_e32 v52, v79
	v_mov_b32_e32 v53, v79
	v_mov_b32_e32 v50, v79
	v_mov_b32_e32 v51, v79
	s_waitcnt vmcnt(1)
	v_perm_b32 v34, v8, v16, s61
	s_waitcnt vmcnt(0)
	v_perm_b32 v35, v12, v20, s61
	v_perm_b32 v8, v8, v16, s62
	;; [unrolled: 1-line block ×15, first 2 shown]
	ds_write2st64_b32 v5, v34, v35 offset0:128 offset1:160
	ds_write2st64_b32 v7, v8, v12 offset0:128 offset1:160
	ds_write2st64_b32 v25, v16, v20 offset0:129 offset1:161
	ds_write2st64_b32 v26, v9, v13 offset0:129 offset1:161
	ds_write2st64_b32 v28, v17, v21 offset0:130 offset1:162
	ds_write2st64_b32 v31, v10, v14 offset0:130 offset1:162
	ds_write2st64_b32 v32, v18, v22 offset0:131 offset1:163
	ds_write2st64_b32 v33, v11, v15 offset0:131 offset1:163
	v_or_b32_e32 v5, 48, v87
	v_lshl_or_b32 v7, v5, 3, v6
	v_lshlrev_b32_e32 v5, 8, v5
	v_or_b32_e32 v111, v5, v29
	v_or_b32_e32 v112, v5, v30
	;; [unrolled: 1-line block ×3, first 2 shown]
	v_lshlrev_b32_e32 v5, 3, v5
	v_lshrrev_b32_e32 v9, 5, v85
	v_and_or_b32 v9, v5, s3, v9
	v_lshlrev_b32_e32 v9, 4, v9
	v_lshlrev_b32_e32 v11, 11, v45
	v_and_b32_e32 v5, 0x78, v5
	v_or_b32_e32 v14, 32, v9
	v_and_b32_e32 v8, 0x1000, v11
	v_xor_b32_e32 v10, v9, v5
	v_lshrrev_b32_e32 v12, 1, v85
	v_xor_b32_e32 v14, v14, v5
	v_or_b32_e32 v10, v10, v8
	v_and_b32_e32 v12, 8, v12
	v_or_b32_e32 v14, v14, v8
	v_xor_b32_e32 v113, v10, v12
	v_lshlrev_b32_e32 v10, 8, v86
	v_xor_b32_e32 v115, v14, v12
	v_or_b32_e32 v14, 64, v9
	v_or_b32_e32 v9, 0x60, v9
	;; [unrolled: 1-line block ×3, first 2 shown]
	v_xor_b32_e32 v14, v14, v5
	v_xor_b32_e32 v5, v9, v5
	s_ashr_i32 s3, s2, 31
	v_lshlrev_b32_e32 v13, 1, v13
	v_or_b32_e32 v14, v14, v8
	v_or_b32_e32 v5, v5, v8
	s_lshl_b64 s[24:25], s[2:3], 8
	v_or_b32_e32 v114, 0x4000, v13
	v_or_b32_e32 v116, 0x4080, v13
	;; [unrolled: 1-line block ×4, first 2 shown]
	v_xor_b32_e32 v119, v14, v12
	v_xor_b32_e32 v120, v5, v12
	v_or_b32_e32 v121, 0x6000, v13
	v_or_b32_e32 v122, 0x6080, v13
	;; [unrolled: 1-line block ×4, first 2 shown]
	v_lshlrev_b32_e32 v12, 1, v4
	v_add_lshl_u32 v13, v4, s19, 1
	s_add_u32 s24, s40, s24
	v_lshlrev_b32_e32 v4, 1, v87
	v_or_b32_e32 v14, 0x100, v3
	v_lshrrev_b32_e32 v15, 4, v0
	s_addc_u32 s25, s41, s25
	v_or_b32_e32 v5, 1, v4
	v_lshlrev_b32_e32 v18, 2, v0
	v_xor_b32_e32 v16, v15, v4
	v_xor_b32_e32 v17, v5, v15
	v_lshl_add_u64 v[4:5], s[24:25], 0, v[78:79]
	v_lshlrev_b32_e32 v78, 8, v15
	v_lshrrev_b32_e32 v19, 1, v0
	v_and_or_b32 v10, v18, 60, v10
	v_cndmask_b32_e64 v131, v12, v3, s[0:1]
	v_cndmask_b32_e64 v132, v13, v14, s[0:1]
	v_mov_b32_e32 v3, 0xa000
	v_mov_b32_e32 v12, 0x8000
	v_cmp_gt_u32_e64 s[0:1], s21, v0
	v_lshl_or_b32 v125, v16, 3, v78
	v_and_b32_e32 v16, 8, v0
	v_and_b32_e32 v19, 24, v19
	v_lshlrev_b32_e32 v10, 1, v10
	v_cndmask_b32_e64 v3, v3, v12, s[0:1]
	v_lshlrev_b32_e32 v12, 3, v45
	v_or_b32_e32 v127, 0x6000, v10
	v_or_b32_e32 v128, 0x6080, v10
	;; [unrolled: 1-line block ×4, first 2 shown]
	v_mov_b32_e32 v10, 0x400
	v_cmp_eq_u32_e32 vcc, 0, v16
	v_xor_b32_e32 v13, v12, v19
	v_and_b32_e32 v15, 7, v0
	v_cndmask_b32_e64 v16, v10, 64, vcc
	v_or_b32_e32 v14, 0x440, v13
	v_lshl_or_b32 v126, v17, 3, v78
	v_lshlrev_b32_e32 v17, 3, v15
	v_or_b32_e32 v18, 32, v19
	v_or_b32_e32 v20, 0x60, v19
	v_cndmask_b32_e32 v14, v14, v13, vcc
	v_or3_b32 v13, v11, v16, v13
	v_lshlrev_b32_e32 v15, 7, v15
	v_xor_b32_e32 v18, v12, v18
	v_xor_b32_e32 v13, v13, v17
	;; [unrolled: 1-line block ×3, first 2 shown]
	v_or_b32_e32 v21, 0x440, v18
	v_or_b32_e32 v133, v13, v15
	v_xor_b32_e32 v13, 0x440, v12
	v_cndmask_b32_e32 v18, v21, v18, vcc
	v_cndmask_b32_e32 v12, v13, v12, vcc
	v_or_b32_e32 v109, 0x4000, v7
	v_or_b32_e32 v110, 0x6000, v7
	v_lshrrev_b32_e32 v7, 2, v85
	v_or_b32_e32 v14, v14, v11
	v_or_b32_e32 v18, v18, v11
	;; [unrolled: 1-line block ×3, first 2 shown]
	v_and_b32_e32 v7, 12, v7
	v_or_b32_e32 v8, s2, v87
	v_xor_b32_e32 v14, v14, v17
	v_xor_b32_e32 v18, v18, v17
	;; [unrolled: 1-line block ×3, first 2 shown]
	v_ashrrev_i32_e32 v9, 31, v8
	v_or_b32_e32 v10, v84, v7
	v_add_u32_e32 v19, v3, v14
	v_add_u32_e32 v21, v3, v18
	;; [unrolled: 1-line block ×3, first 2 shown]
	v_or3_b32 v12, v84, v7, 64
	v_add_u32_e32 v7, 0xa000, v14
	v_add_u32_e32 v14, 0xa000, v18
	;; [unrolled: 1-line block ×3, first 2 shown]
	v_lshl_add_u64 v[80:81], v[8:9], 1, s[8:9]
	v_lshl_add_u64 v[82:83], v[4:5], 0, v[78:79]
	s_mov_b32 s3, 0x7060302
	v_lshlrev_b32_e32 v78, 1, v6
	s_movk_i32 s21, 0x2000
	v_lshlrev_b32_e32 v135, 2, v10
	v_add_u32_e32 v136, v19, v15
	v_add_u32_e32 v137, v21, v15
	;; [unrolled: 1-line block ×4, first 2 shown]
	v_lshlrev_b32_e32 v140, 2, v12
	v_add_u32_e32 v141, v7, v15
	v_add_u32_e32 v142, v14, v15
	;; [unrolled: 1-line block ×3, first 2 shown]
	v_mov_b32_e32 v74, v79
	v_mov_b32_e32 v75, v79
	;; [unrolled: 1-line block ×24, first 2 shown]
	s_waitcnt lgkmcnt(0)
	s_barrier
	s_branch .LBB6_7
.LBB6_6:                                ;   in Loop: Header=BB6_7 Depth=1
	v_exp_f32_e32 v36, s24
	s_waitcnt vmcnt(4)
	v_exp_f32_e32 v38, v38
	v_exp_f32_e32 v39, v39
	;; [unrolled: 1-line block ×4, first 2 shown]
	v_accvgpr_read_b32 v5, a3
	v_accvgpr_read_b32 v4, a2
	;; [unrolled: 1-line block ×4, first 2 shown]
	v_pk_mul_f32 v[38:39], v[36:37], v[38:39] op_sel_hi:[0,1]
	v_pk_mul_f32 v[40:41], v[36:37], v[40:41] op_sel_hi:[0,1]
	v_pk_fma_f32 v[74:75], v[74:75], v[38:39], v[2:3]
	v_pk_fma_f32 v[76:77], v[76:77], v[40:41], v[4:5]
	v_exp_f32_e32 v2, v34
	v_exp_f32_e32 v3, v42
	;; [unrolled: 1-line block ×4, first 2 shown]
	v_accvgpr_read_b32 v9, a7
	v_accvgpr_read_b32 v13, a11
	;; [unrolled: 1-line block ×28, first 2 shown]
	v_pk_mul_f32 v[2:3], v[36:37], v[2:3] op_sel_hi:[0,1]
	v_pk_mul_f32 v[4:5], v[36:37], v[4:5] op_sel_hi:[0,1]
	s_add_i32 s57, s57, 64
	v_pk_fma_f32 v[66:67], v[38:39], v[66:67], v[6:7]
	v_pk_fma_f32 v[68:69], v[40:41], v[68:69], v[8:9]
	;; [unrolled: 1-line block ×14, first 2 shown]
	s_cmp_eq_u32 s51, s65
	s_mov_b32 s64, s65
	s_cbranch_scc1 .LBB6_17
.LBB6_7:                                ; =>This Inner Loop Header: Depth=1
	s_add_i32 s65, s64, 1
	s_cmp_lt_i32 s65, s51
	s_mov_b64 s[28:29], 0
	s_cselect_b64 s[44:45], -1, 0
	s_cmp_ge_i32 s65, s51
	s_mov_b64 s[24:25], 0
	s_cbranch_scc1 .LBB6_9
; %bb.8:                                ;   in Loop: Header=BB6_7 Depth=1
	s_add_i32 s0, s57, 64
	s_ashr_i32 s1, s0, 31
	s_add_u32 s0, s54, s0
	s_addc_u32 s1, s53, s1
	s_lshl_b64 s[0:1], s[0:1], 8
	s_add_u32 s24, s6, s0
	s_addc_u32 s25, s7, s1
.LBB6_9:                                ;   in Loop: Header=BB6_7 Depth=1
	v_cndmask_b32_e64 v2, 0, 1, s[44:45]
	v_cmp_ne_u32_e64 s[0:1], 1, v2
	s_andn2_b64 vcc, exec, s[44:45]
	s_cbranch_vccnz .LBB6_11
; %bb.10:                               ;   in Loop: Header=BB6_7 Depth=1
	s_add_i32 s28, s57, 64
	s_mul_hi_i32 s29, s28, s18
	s_mul_i32 s28, s28, s18
	s_add_u32 s28, s28, s55
	s_addc_u32 s29, s29, s59
	s_lshl_b64 s[28:29], s[28:29], 8
	s_add_u32 s28, s4, s28
	s_addc_u32 s29, s5, s29
.LBB6_11:                               ;   in Loop: Header=BB6_7 Depth=1
	v_perm_b32 v3, v77, v76, s3
	v_perm_b32 v2, v75, v74, s3
	v_perm_b32 v5, v73, v72, s3
	v_perm_b32 v4, v71, v70, s3
	ds_write_b64 v97, v[2:3]
	ds_write_b64 v98, v[4:5]
	ds_write_b64 v103, v[2:3]
	ds_write_b64 v104, v[4:5]
	v_perm_b32 v3, v69, v68, s3
	v_perm_b32 v2, v67, v66, s3
	v_perm_b32 v5, v65, v64, s3
	v_perm_b32 v4, v63, v62, s3
	ds_write_b64 v99, v[2:3]
	ds_write_b64 v100, v[4:5]
	ds_write_b64 v105, v[2:3]
	ds_write_b64 v106, v[4:5]
	;; [unrolled: 8-line block ×4, first 2 shown]
	s_waitcnt lgkmcnt(0)
	s_barrier
	ds_read_b64 v[6:7], v113 offset:49152
	ds_read2_b64 v[2:5], v114 offset1:16
	ds_read_b64 v[18:19], v116 offset:6144
	ds_read_b64 v[20:21], v114 offset:6144
	s_waitcnt lgkmcnt(2)
	v_mfma_f32_16x16x16_bf16 a[0:3], v[6:7], v[2:3], 0
	ds_read_b64 v[22:23], v115 offset:49152
	ds_read2st64_b64 v[10:13], v117 offset0:4 offset1:8
	ds_read2st64_b64 v[14:17], v118 offset0:4 offset1:8
	v_mfma_f32_16x16x16_bf16 a[4:7], v[6:7], v[4:5], 0
	ds_read2_b64 v[2:5], v114 offset0:32 offset1:48
	s_add_i32 s66, s57, 63
	s_ashr_i32 s31, s66, 31
	s_waitcnt lgkmcnt(0)
	v_mfma_f32_16x16x16_bf16 a[8:11], v[6:7], v[2:3], 0
	s_mul_i32 s44, s66, s15
	s_mul_hi_u32 s45, s66, s14
	s_add_i32 s44, s45, s44
	v_mfma_f32_16x16x16_bf16 a[12:15], v[6:7], v[4:5], 0
	ds_read2st64_b64 v[2:5], v114 offset0:4 offset1:8
	ds_read2st64_b64 v[6:9], v116 offset0:4 offset1:8
	s_mul_i32 s31, s31, s14
	s_waitcnt lgkmcnt(1)
	v_mfma_f32_16x16x16_bf16 a[0:3], v[22:23], v[2:3], a[0:3]
	s_add_i32 s45, s44, s31
	s_mul_i32 s44, s66, s14
	s_lshl_b64 s[44:45], s[44:45], 2
	s_waitcnt lgkmcnt(0)
	v_mfma_f32_16x16x16_bf16 a[4:7], v[22:23], v[6:7], a[4:7]
	s_add_u32 s44, s42, s44
	s_addc_u32 s45, s43, s45
	s_and_b64 vcc, exec, s[0:1]
	v_mfma_f32_16x16x16_bf16 a[8:11], v[22:23], v[10:11], a[8:11]
	ds_read_b64 v[2:3], v119 offset:49152
	ds_read_b64 v[6:7], v120 offset:49152
	;; [unrolled: 1-line block ×3, first 2 shown]
	v_mov_b32_e32 v146, 0
	v_mov_b32_e32 v145, 0
	v_mfma_f32_16x16x16_bf16 a[12:15], v[22:23], v[14:15], a[12:15]
	v_mov_b32_e32 v144, 0
	v_mov_b32_e32 v14, 0
	;; [unrolled: 1-line block ×3, first 2 shown]
	s_waitcnt lgkmcnt(2)
	v_mfma_f32_16x16x16_bf16 a[0:3], v[2:3], v[4:5], a[0:3]
	v_mov_b32_e32 v4, 0
	v_mov_b32_e32 v5, 0
	v_mfma_f32_16x16x16_bf16 a[16:19], v[2:3], v[8:9], a[4:7]
	v_mov_b32_e32 v8, 0
	v_mov_b32_e32 v9, 0
	;; [unrolled: 3-line block ×3, first 2 shown]
	v_mfma_f32_16x16x16_bf16 a[24:27], v[2:3], v[16:17], a[12:15]
	ds_read_b64 v[2:3], v117 offset:6144
	v_mov_b32_e32 v16, 0
	v_mov_b32_e32 v17, 0
	s_waitcnt lgkmcnt(2)
	v_mfma_f32_16x16x16_bf16 a[4:7], v[6:7], v[20:21], a[0:3]
	v_mfma_f32_16x16x16_bf16 a[8:11], v[6:7], v[18:19], a[16:19]
	s_waitcnt lgkmcnt(0)
	v_mfma_f32_16x16x16_bf16 a[12:15], v[6:7], v[2:3], a[20:23]
	v_mov_b32_e32 v2, 0
	v_mov_b32_e32 v3, 0
	v_mfma_f32_16x16x16_bf16 a[0:3], v[6:7], v[10:11], a[24:27]
	v_mov_b32_e32 v6, 0
	v_mov_b32_e32 v7, 0
	v_mov_b32_e32 v10, 0
	v_mov_b32_e32 v11, 0
	s_cbranch_vccnz .LBB6_13
; %bb.12:                               ;   in Loop: Header=BB6_7 Depth=1
	s_and_b32 s25, s25, 0xffff
	buffer_load_dwordx4 v[14:17], v93, s[24:27], 0 offen
	buffer_load_dwordx4 v[10:13], v93, s[24:27], s60 offen
	;; [unrolled: 1-line block ×4, first 2 shown]
	v_mov_b32_e32 v145, v95
	v_mov_b32_e32 v144, v96
.LBB6_13:                               ;   in Loop: Header=BB6_7 Depth=1
	ds_read_b64 v[34:35], v113 offset:57344
	ds_read2_b64 v[18:21], v121 offset1:16
	ds_read_b64 v[36:37], v115 offset:57344
	ds_read_b64 v[38:39], v119 offset:57344
	;; [unrolled: 1-line block ×3, first 2 shown]
	v_add_u32_e32 v42, s57, v134
	s_waitcnt lgkmcnt(3)
	v_mfma_f32_16x16x16_bf16 a[4:7], v[34:35], v[18:19], a[4:7]
	v_mfma_f32_16x16x16_bf16 a[8:11], v[34:35], v[20:21], a[8:11]
	ds_read2_b64 v[18:21], v121 offset0:32 offset1:48
	ds_read2st64_b64 v[22:25], v121 offset0:4 offset1:8
	ds_read2st64_b64 v[26:29], v122 offset0:4 offset1:8
	;; [unrolled: 1-line block ×3, first 2 shown]
	s_waitcnt lgkmcnt(3)
	v_mfma_f32_16x16x16_bf16 a[12:15], v[34:35], v[18:19], a[12:15]
	v_ashrrev_i32_e32 v18, 31, v42
	v_mfma_f32_16x16x16_bf16 a[0:3], v[34:35], v[20:21], a[0:3]
	v_mul_lo_u32 v20, v18, s14
	v_mul_lo_u32 v21, v42, s15
	v_mad_u64_u32 v[18:19], s[24:25], v42, s14, 0
	v_add3_u32 v19, v19, v21, v20
	v_add_u32_e32 v20, 1, v42
	v_ashrrev_i32_e32 v21, 31, v20
	s_waitcnt lgkmcnt(2)
	v_mfma_f32_16x16x16_bf16 a[4:7], v[36:37], v[22:23], a[4:7]
	v_mul_lo_u32 v22, v21, s14
	v_mul_lo_u32 v23, v20, s15
	v_mad_u64_u32 v[20:21], s[24:25], v20, s14, 0
	v_add3_u32 v21, v21, v23, v22
	v_add_u32_e32 v22, 2, v42
	v_ashrrev_i32_e32 v23, 31, v22
	s_waitcnt lgkmcnt(1)
	v_mfma_f32_16x16x16_bf16 a[8:11], v[36:37], v[26:27], a[8:11]
	v_mul_lo_u32 v26, v23, s14
	v_mul_lo_u32 v27, v22, s15
	v_mad_u64_u32 v[22:23], s[24:25], v22, s14, 0
	v_add3_u32 v23, v23, v27, v26
	v_add_u32_e32 v26, 3, v42
	v_ashrrev_i32_e32 v27, 31, v26
	v_mul_lo_u32 v34, v27, s14
	v_mul_lo_u32 v35, v26, s15
	v_mad_u64_u32 v[26:27], s[24:25], v26, s14, 0
	s_ashr_i32 s25, s57, 31
	s_add_u32 s24, s54, s57
	s_addc_u32 s25, s53, s25
	v_lshl_add_u64 v[18:19], v[18:19], 2, s[42:43]
	v_add3_u32 v27, v27, v35, v34
	s_lshl_b64 s[24:25], s[24:25], 8
	v_lshl_add_u64 v[20:21], v[20:21], 2, s[42:43]
	v_lshl_add_u64 v[22:23], v[22:23], 2, s[42:43]
	v_lshl_add_u64 v[26:27], v[26:27], 2, s[42:43]
	global_load_dword v34, v[18:19], off
	global_load_dword v35, v[20:21], off
	;; [unrolled: 1-line block ×4, first 2 shown]
	v_lshl_add_u64 v[18:19], v[80:81], 0, s[24:25]
	v_lshl_add_u64 v[22:23], v[18:19], 0, v[78:79]
	global_load_ushort v44, v[22:23], off offset:256
	global_load_ushort v147, v[22:23], off
	ds_read2st64_b64 v[18:21], v124 offset0:4 offset1:8
	global_load_ushort v148, v[22:23], off offset:768
	global_load_ushort v149, v[22:23], off offset:512
	s_waitcnt lgkmcnt(1)
	v_mfma_f32_16x16x16_bf16 a[12:15], v[36:37], v[30:31], a[12:15]
	s_and_b64 vcc, exec, s[0:1]
	s_waitcnt vmcnt(3)
	v_lshlrev_b32_e32 v31, 16, v44
	s_waitcnt lgkmcnt(0)
	v_mfma_f32_16x16x16_bf16 a[0:3], v[36:37], v[18:19], a[0:3]
	global_load_ushort v36, v[22:23], off offset:288
	global_load_ushort v37, v[22:23], off offset:32
	;; [unrolled: 1-line block ×8, first 2 shown]
	v_mfma_f32_16x16x16_bf16 a[4:7], v[38:39], v[24:25], a[4:7]
	ds_read_b64 v[18:19], v121 offset:6144
	s_waitcnt vmcnt(10)
	v_lshlrev_b32_e32 v30, 16, v147
	v_mov_b32_e32 v147, 0
	v_mfma_f32_16x16x16_bf16 a[8:11], v[38:39], v[28:29], a[8:11]
	v_mfma_f32_16x16x16_bf16 a[12:15], v[38:39], v[32:33], a[12:15]
	;; [unrolled: 1-line block ×3, first 2 shown]
	global_load_ushort v38, v[22:23], off offset:352
	global_load_ushort v39, v[22:23], off offset:96
	ds_read_b64 v[20:21], v122 offset:6144
	ds_read_b64 v[24:25], v123 offset:6144
	;; [unrolled: 1-line block ×3, first 2 shown]
	global_load_ushort v156, v[22:23], off offset:864
	global_load_ushort v157, v[22:23], off offset:608
	s_load_dword s24, s[44:45], 0x0
	s_waitcnt lgkmcnt(0)
	v_mfma_f32_16x16x16_bf16 a[4:7], v[40:41], v[18:19], a[4:7]
	v_sub_f32_e32 v28, s24, v42
	v_mfma_f32_16x16x16_bf16 a[0:3], v[40:41], v[26:27], a[0:3]
	v_sub_f32_e32 v26, s24, v34
	v_sub_f32_e32 v27, s24, v35
	;; [unrolled: 1-line block ×3, first 2 shown]
	v_mfma_f32_16x16x16_bf16 a[8:11], v[40:41], v[20:21], a[8:11]
	v_exp_f32_e32 v26, v26
	v_exp_f32_e32 v27, v27
	;; [unrolled: 1-line block ×4, first 2 shown]
	v_accvgpr_read_b32 v33, a5
	v_accvgpr_read_b32 v32, a4
	;; [unrolled: 1-line block ×4, first 2 shown]
	v_pk_add_f32 v[30:31], v[30:31], v[32:33] neg_lo:[0,1] neg_hi:[0,1]
	s_waitcnt vmcnt(13)
	v_lshlrev_b32_e32 v33, 16, v148
	s_waitcnt vmcnt(12)
	v_lshlrev_b32_e32 v32, 16, v149
	v_pk_add_f32 v[18:19], v[32:33], v[18:19] neg_lo:[0,1] neg_hi:[0,1]
	v_pk_mul_f32 v[30:31], v[26:27], v[30:31]
	v_pk_mul_f32 v[18:19], v[28:29], v[18:19]
	v_accvgpr_read_b32 v33, a9
	v_perm_b32 v19, v19, v18, s3
	v_perm_b32 v18, v31, v30, s3
	v_accvgpr_read_b32 v32, a8
	v_accvgpr_read_b32 v21, a11
	v_mfma_f32_16x16x16_bf16 a[12:15], v[40:41], v[24:25], a[12:15]
	v_accvgpr_read_b32 v20, a10
	v_accvgpr_read_b32 v25, a3
	;; [unrolled: 1-line block ×3, first 2 shown]
	s_waitcnt vmcnt(11)
	v_lshlrev_b32_e32 v31, 16, v36
	s_waitcnt vmcnt(10)
	v_lshlrev_b32_e32 v30, 16, v37
	v_pk_add_f32 v[30:31], v[30:31], v[32:33] neg_lo:[0,1] neg_hi:[0,1]
	s_waitcnt vmcnt(9)
	v_lshlrev_b32_e32 v33, 16, v150
	s_waitcnt vmcnt(8)
	v_lshlrev_b32_e32 v32, 16, v151
	v_pk_add_f32 v[20:21], v[32:33], v[20:21] neg_lo:[0,1] neg_hi:[0,1]
	v_pk_mul_f32 v[30:31], v[26:27], v[30:31]
	v_pk_mul_f32 v[20:21], v[28:29], v[20:21]
	v_accvgpr_read_b32 v23, a15
	v_perm_b32 v21, v21, v20, s3
	v_perm_b32 v20, v31, v30, s3
	ds_write2_b64 v98, v[18:19], v[20:21] offset1:16
	v_accvgpr_read_b32 v21, a13
	s_waitcnt vmcnt(7)
	v_lshlrev_b32_e32 v19, 16, v152
	s_waitcnt vmcnt(6)
	v_lshlrev_b32_e32 v18, 16, v153
	v_accvgpr_read_b32 v20, a12
	v_accvgpr_read_b32 v22, a14
	v_pk_add_f32 v[18:19], v[18:19], v[20:21] neg_lo:[0,1] neg_hi:[0,1]
	s_waitcnt vmcnt(5)
	v_lshlrev_b32_e32 v21, 16, v154
	s_waitcnt vmcnt(4)
	v_lshlrev_b32_e32 v20, 16, v155
	v_pk_add_f32 v[20:21], v[20:21], v[22:23] neg_lo:[0,1] neg_hi:[0,1]
	v_pk_mul_f32 v[18:19], v[26:27], v[18:19]
	v_pk_mul_f32 v[20:21], v[28:29], v[20:21]
	v_accvgpr_read_b32 v23, a1
	v_perm_b32 v21, v21, v20, s3
	v_perm_b32 v20, v19, v18, s3
	s_waitcnt vmcnt(3)
	v_lshlrev_b32_e32 v19, 16, v38
	s_waitcnt vmcnt(2)
	v_lshlrev_b32_e32 v18, 16, v39
	v_accvgpr_read_b32 v22, a0
	v_pk_add_f32 v[18:19], v[18:19], v[22:23] neg_lo:[0,1] neg_hi:[0,1]
	s_waitcnt vmcnt(1)
	v_lshlrev_b32_e32 v23, 16, v156
	s_waitcnt vmcnt(0)
	v_lshlrev_b32_e32 v22, 16, v157
	v_pk_add_f32 v[22:23], v[22:23], v[24:25] neg_lo:[0,1] neg_hi:[0,1]
	v_pk_mul_f32 v[18:19], v[26:27], v[18:19]
	v_pk_mul_f32 v[22:23], v[28:29], v[22:23]
	v_mov_b32_e32 v24, 0
	v_perm_b32 v23, v23, v22, s3
	v_perm_b32 v22, v19, v18, s3
	ds_write2_b64 v98, v[20:21], v[22:23] offset0:32 offset1:48
	v_mov_b32_e32 v18, 0
	v_mov_b32_e32 v19, 0
	;; [unrolled: 1-line block ×15, first 2 shown]
	s_cbranch_vccnz .LBB6_15
; %bb.14:                               ;   in Loop: Header=BB6_7 Depth=1
	s_and_b32 s29, s29, 0xffff
	s_mov_b32 s31, s27
	buffer_load_dwordx4 v[30:33], v131, s[28:31], 0 offen
	buffer_load_dwordx4 v[22:25], v131, s[28:31], s60 offen
	;; [unrolled: 1-line block ×4, first 2 shown]
	v_mov_b32_e32 v146, v92
	v_mov_b32_e32 v147, v91
.LBB6_15:                               ;   in Loop: Header=BB6_7 Depth=1
	s_waitcnt lgkmcnt(0)
	s_barrier
	ds_read_b64 v[42:43], v136
	ds_read2_b64 v[34:37], v127 offset1:16
	ds_read_b64 v[164:165], v137
	ds_read_b64 v[166:167], v138
	;; [unrolled: 1-line block ×3, first 2 shown]
	ds_read2_b64 v[38:41], v127 offset0:32 offset1:48
	ds_read2st64_b64 v[148:151], v127 offset0:4 offset1:8
	ds_read2st64_b64 v[152:155], v128 offset0:4 offset1:8
	;; [unrolled: 1-line block ×4, first 2 shown]
	s_waitcnt lgkmcnt(8)
	v_mfma_f32_16x16x16_bf16 a[0:3], v[42:43], v[34:35], 0
	s_add_i32 s25, s52, s64
	s_mul_hi_i32 s29, s25, s33
	s_mul_i32 s25, s25, s33
	v_mfma_f32_16x16x16_bf16 a[4:7], v[42:43], v[36:37], 0
	s_add_u32 s28, s25, s47
	s_addc_u32 s29, s29, s58
	s_lshl_b64 s[28:29], s[28:29], 15
	s_waitcnt lgkmcnt(4)
	v_mfma_f32_16x16x16_bf16 a[8:11], v[42:43], v[38:39], 0
	s_mul_i32 s31, s66, s33
	s_mul_hi_i32 s25, s66, s33
	s_add_u32 s44, s31, s47
	v_mfma_f32_16x16x16_bf16 a[12:15], v[42:43], v[40:41], 0
	ds_read_b64 v[42:43], v127 offset:6144
	ds_read_b64 v[176:177], v128 offset:6144
	;; [unrolled: 1-line block ×4, first 2 shown]
	s_addc_u32 s45, s25, s58
	s_waitcnt lgkmcnt(7)
	v_mfma_f32_16x16x16_bf16 a[0:3], v[164:165], v[148:149], a[0:3]
	s_lshl_b64 s[44:45], s[44:45], 9
	s_add_u32 s44, s36, s44
	s_addc_u32 s45, s37, s45
	s_waitcnt lgkmcnt(6)
	v_mfma_f32_16x16x16_bf16 a[4:7], v[164:165], v[152:153], a[4:7]
	v_lshl_add_u64 v[186:187], v[82:83], 0, s[28:29]
	s_waitcnt lgkmcnt(5)
	v_mfma_f32_16x16x16_bf16 a[8:11], v[164:165], v[156:157], a[8:11]
	s_waitcnt lgkmcnt(4)
	v_mfma_f32_16x16x16_bf16 a[12:15], v[164:165], v[160:161], a[12:15]
	ds_read_b64 v[164:165], v141
	ds_read_b64 v[174:175], v142
	;; [unrolled: 1-line block ×3, first 2 shown]
	s_waitcnt lgkmcnt(2)
	v_mfma_f32_16x16x16_bf16 a[16:19], v[164:165], v[34:35], 0
	v_mfma_f32_16x16x16_bf16 a[20:23], v[164:165], v[36:37], 0
	global_load_dwordx4 v[34:37], v140, s[44:45]
	v_mfma_f32_16x16x16_bf16 a[24:27], v[164:165], v[38:39], 0
	v_mfma_f32_16x16x16_bf16 a[28:31], v[164:165], v[40:41], 0
	global_load_dwordx4 v[38:41], v135, s[44:45]
	v_mfma_f32_16x16x16_bf16 a[0:3], v[166:167], v[150:151], a[0:3]
	v_mfma_f32_16x16x16_bf16 a[4:7], v[166:167], v[154:155], a[4:7]
	;; [unrolled: 1-line block ×8, first 2 shown]
	ds_read2st64_b64 v[164:167], v125 offset1:8
	ds_read2st64_b64 v[168:171], v126 offset1:8
	ds_read_b64 v[184:185], v133 offset:40960
	s_waitcnt lgkmcnt(2)
	v_mov_b32_e32 v172, v164
	v_mfma_f32_16x16x16_bf16 a[16:19], v[174:175], v[148:149], a[16:19]
	v_mov_b32_e32 v173, v165
	v_mfma_f32_16x16x16_bf16 a[20:23], v[174:175], v[152:153], a[20:23]
	v_mfma_f32_16x16x16_bf16 a[24:27], v[174:175], v[156:157], a[24:27]
	;; [unrolled: 1-line block ×3, first 2 shown]
	v_add_co_u32_e32 v160, vcc, s21, v186
	s_waitcnt lgkmcnt(1)
	v_mov_b32_e32 v174, v168
	s_waitcnt lgkmcnt(0)
	v_mfma_f32_16x16x16_bf16 a[16:19], v[184:185], v[150:151], a[16:19]
	ds_read2st64_b64 v[148:151], v125 offset0:16 offset1:24
	v_addc_co_u32_e32 v161, vcc, 0, v187, vcc
	v_mfma_f32_16x16x16_bf16 a[32:35], v[184:185], v[154:155], a[20:23]
	ds_read2st64_b64 v[152:155], v126 offset0:16 offset1:24
	v_mov_b32_e32 v175, v169
	v_mov_b32_e32 v168, v166
	v_mfma_f32_16x16x16_bf16 a[24:27], v[184:185], v[158:159], a[24:27]
	v_mov_b32_e32 v169, v167
	s_waitcnt lgkmcnt(0)
	v_mov_b32_e32 v158, v152
	v_mov_b32_e32 v159, v153
	v_mfma_f32_16x16x16_bf16 a[36:39], v[184:185], v[162:163], a[28:31]
	v_mov_b32_e32 v152, v150
	v_mov_b32_e32 v153, v151
	;; [unrolled: 1-line block ×3, first 2 shown]
	v_mfma_f32_16x16x16_bf16 a[20:23], v[182:183], v[42:43], a[16:19]
	v_add_co_u32_e32 v42, vcc, s63, v186
	v_mov_b32_e32 v157, v149
	v_mfma_f32_16x16x16_bf16 a[28:31], v[182:183], v[176:177], a[32:35]
	v_addc_co_u32_e32 v43, vcc, 0, v187, vcc
	global_store_dwordx4 v[42:43], v[152:155], off
	v_mfma_f32_16x16x16_bf16 a[16:19], v[182:183], v[178:179], a[24:27]
	s_waitcnt vmcnt(2)
	v_mov_b32_e32 v44, v37
	v_mov_b32_e32 v43, v36
	;; [unrolled: 1-line block ×3, first 2 shown]
	v_mfma_f32_16x16x16_bf16 a[24:27], v[182:183], v[180:181], a[36:39]
	s_and_b64 vcc, exec, s[0:1]
	global_store_dwordx4 v[186:187], v[172:175], off
	global_store_dwordx4 v[160:161], v[168:171], off offset:-4096
	global_store_dwordx4 v[160:161], v[156:159], off
	s_cbranch_vccnz .LBB6_6
; %bb.16:                               ;   in Loop: Header=BB6_7 Depth=1
	v_lshrrev_b32_e32 v35, 3, v146
	v_and_b32_e32 v35, 6, v35
	v_xor_b32_e32 v36, v35, v147
	v_lshlrev_b32_e32 v36, 2, v36
	v_and_b32_e32 v37, 8, v146
	v_xor_b32_e32 v146, 0x440, v36
	v_cmp_eq_u32_e32 vcc, 0, v37
	v_perm_b32 v37, v22, v18, s61
	s_nop 0
	v_cndmask_b32_e32 v36, v146, v36, vcc
	v_lshl_or_b32 v35, v35, 10, v36
	v_perm_b32 v36, v30, v26, s61
	s_barrier
	ds_write2st64_b32 v35, v36, v37 offset0:128 offset1:160
	v_xor_b32_e32 v36, 8, v35
	v_perm_b32 v26, v30, v26, s62
	v_perm_b32 v18, v22, v18, s62
	v_add_u32_e32 v22, 0x80, v36
	ds_write2st64_b32 v22, v26, v18 offset0:128 offset1:160
	v_xor_b32_e32 v18, 16, v35
	v_perm_b32 v22, v31, v27, s61
	v_perm_b32 v26, v23, v19, s61
	ds_write2st64_b32 v18, v22, v26 offset0:129 offset1:161
	v_xor_b32_e32 v18, 24, v35
	v_perm_b32 v22, v31, v27, s62
	v_perm_b32 v19, v23, v19, s62
	v_add_u32_e32 v18, 0x80, v18
	ds_write2st64_b32 v18, v22, v19 offset0:129 offset1:161
	v_xor_b32_e32 v18, 32, v35
	v_perm_b32 v19, v32, v28, s61
	v_perm_b32 v22, v24, v20, s61
	;; [unrolled: 9-line block ×3, first 2 shown]
	ds_write2st64_b32 v18, v19, v20 offset0:131 offset1:163
	v_xor_b32_e32 v18, 56, v35
	v_perm_b32 v19, v33, v29, s62
	v_perm_b32 v20, v25, v21, s62
	v_add_u32_e32 v18, 0x80, v18
	ds_write2st64_b32 v18, v19, v20 offset0:131 offset1:163
	ds_write_b64 v145, v[14:15] offset:49152
	v_xor_b32_e32 v14, 8, v145
	ds_write_b64 v14, v[16:17] offset:49152
	ds_write_b64 v145, v[10:11] offset:57344
	;; [unrolled: 1-line block ×4, first 2 shown]
	v_xor_b32_e32 v6, 8, v144
	ds_write_b64 v6, v[8:9] offset:49152
	ds_write_b64 v144, v[2:3] offset:57344
	;; [unrolled: 1-line block ×3, first 2 shown]
	s_branch .LBB6_6
.LBB6_17:
	s_lshl_b32 s3, s51, 6
	s_sub_i32 s56, s56, s3
	s_cmp_gt_i32 s56, 0
	v_or_b32_e32 v18, s2, v87
	s_cbranch_scc1 .LBB6_19
; %bb.18:
	s_ashr_i32 s29, s47, 31
	v_or_b32_e32 v2, s2, v87
	s_cbranch_execz .LBB6_20
	s_branch .LBB6_100
.LBB6_19:
                                        ; implicit-def: $vgpr2
                                        ; implicit-def: $sgpr28_sgpr29
.LBB6_20:
	s_add_i32 s28, s3, s38
	s_ashr_i32 s3, s28, 31
	s_cmpk_lg_i32 s19, 0x80
	s_cselect_b64 s[42:43], -1, 0
	s_and_b64 vcc, exec, s[42:43]
	s_cbranch_vccz .LBB6_22
; %bb.21:
	s_mul_hi_i32 s0, s28, s18
	s_mul_i32 s1, s28, s18
	s_ashr_i32 s18, s55, 31
	s_add_u32 s44, s1, s55
	s_addc_u32 s45, s0, s18
	s_cbranch_execz .LBB6_23
	s_branch .LBB6_24
.LBB6_22:
                                        ; implicit-def: $sgpr44_sgpr45
.LBB6_23:
	s_mul_i32 s1, s55, s16
	s_mul_hi_i32 s0, s55, s16
	s_add_u32 s44, s1, s28
	s_addc_u32 s45, s0, s3
.LBB6_24:
	s_add_i32 s16, s51, s52
	s_ashr_i32 s29, s47, 31
	s_add_u32 s0, s54, s28
	v_lshlrev_b32_e32 v6, 6, v1
	v_lshlrev_b32_e32 v26, 2, v87
	s_addc_u32 s1, s53, s3
	s_mov_b32 s3, 0x7060302
	v_or_b32_e32 v9, v6, v26
	v_xor_b32_e32 v7, v1, v26
	v_perm_b32 v3, v77, v76, s3
	v_perm_b32 v2, v75, v74, s3
	;; [unrolled: 1-line block ×4, first 2 shown]
	v_lshlrev_b32_e32 v9, 1, v9
	v_xor_b32_e32 v8, v90, v26
	ds_write2st64_b64 v9, v[2:3], v[4:5] offset0:32 offset1:48
	v_lshlrev_b32_e32 v7, 1, v7
	v_lshlrev_b32_e32 v9, 8, v87
	v_or_b32_e32 v10, v7, v9
	v_lshlrev_b32_e32 v8, 1, v8
	ds_write_b64 v10, v[2:3]
	v_or_b32_e32 v2, v8, v9
	v_or_b32_e32 v9, 16, v87
	v_lshlrev_b32_e32 v25, 2, v9
	v_or_b32_e32 v10, v6, v25
	ds_write_b64 v2, v[4:5]
	v_perm_b32 v3, v69, v68, s3
	v_perm_b32 v2, v67, v66, s3
	v_perm_b32 v5, v65, v64, s3
	v_perm_b32 v4, v63, v62, s3
	v_lshlrev_b32_e32 v10, 1, v10
	v_lshlrev_b32_e32 v9, 8, v9
	ds_write2st64_b64 v10, v[2:3], v[4:5] offset0:32 offset1:48
	v_or_b32_e32 v10, v7, v9
	ds_write_b64 v10, v[2:3]
	v_or_b32_e32 v2, v8, v9
	v_or_b32_e32 v9, 32, v87
	v_lshlrev_b32_e32 v24, 2, v9
	v_or_b32_e32 v10, v6, v24
	ds_write_b64 v2, v[4:5]
	v_perm_b32 v3, v61, v60, s3
	v_perm_b32 v2, v59, v58, s3
	;; [unrolled: 1-line block ×4, first 2 shown]
	v_lshlrev_b32_e32 v10, 1, v10
	v_lshlrev_b32_e32 v9, 8, v9
	s_lshl_b64 s[30:31], s[0:1], 8
	ds_write2st64_b64 v10, v[2:3], v[4:5] offset0:32 offset1:48
	v_or_b32_e32 v10, v7, v9
	s_add_u32 s0, s6, s30
	ds_write_b64 v10, v[2:3]
	v_or_b32_e32 v2, v8, v9
	s_addc_u32 s1, s7, s31
	ds_write_b64 v2, v[4:5]
	v_perm_b32 v3, v53, v52, s3
	v_perm_b32 v2, v51, v50, s3
	;; [unrolled: 1-line block ×4, first 2 shown]
	v_or_b32_e32 v9, 48, v87
	s_mul_hi_i32 s3, s16, s17
	s_mul_i32 s16, s16, s17
	v_lshlrev_b32_e32 v21, 2, v9
	s_add_u32 s6, s16, s47
	v_or_b32_e32 v6, v6, v21
	s_addc_u32 s7, s3, s29
	v_lshlrev_b32_e32 v6, 1, v6
	s_ashr_i32 s3, s2, 31
	s_lshl_b64 s[6:7], s[6:7], 15
	ds_write2st64_b64 v6, v[2:3], v[4:5] offset0:32 offset1:48
	v_lshlrev_b32_e32 v6, 8, v9
	s_add_u32 s6, s40, s6
	v_or_b32_e32 v7, v7, v6
	s_addc_u32 s7, s41, s7
	s_lshl_b64 s[2:3], s[2:3], 8
	ds_write_b64 v7, v[2:3]
	v_or_b32_e32 v2, v8, v6
	s_add_u32 s2, s6, s2
	v_lshlrev_b32_e32 v3, 1, v87
	ds_write_b64 v2, v[4:5]
	v_lshrrev_b32_e32 v2, 4, v0
	s_addc_u32 s3, s7, s3
	v_or_b32_e32 v4, 1, v3
	v_lshlrev_b32_e32 v10, 4, v87
	v_mov_b32_e32 v11, 0
	v_xor_b32_e32 v3, v2, v3
	v_xor_b32_e32 v6, v4, v2
	v_lshl_add_u64 v[12:13], s[2:3], 0, v[10:11]
	v_lshlrev_b32_e32 v10, 8, v2
	v_lshl_or_b32 v16, v3, 3, v10
	v_lshl_or_b32 v17, v6, 3, v10
	s_waitcnt lgkmcnt(0)
	s_barrier
	ds_read2st64_b64 v[2:5], v16 offset1:8
	ds_read2st64_b64 v[6:9], v17 offset1:8
	v_lshl_add_u64 v[14:15], v[12:13], 0, v[10:11]
	s_movk_i32 s2, 0x2000
	s_cmp_lg_u32 s56, 64
	s_waitcnt lgkmcnt(1)
	v_mov_b32_e32 v10, v2
	v_mov_b32_e32 v11, v3
	s_waitcnt lgkmcnt(0)
	v_mov_b32_e32 v12, v6
	v_mov_b32_e32 v13, v7
	global_store_dwordx4 v[14:15], v[10:13], off
	v_mov_b32_e32 v6, v4
	v_mov_b32_e32 v7, v5
	ds_read2st64_b64 v[2:5], v16 offset0:16 offset1:24
	ds_read2st64_b64 v[10:13], v17 offset0:16 offset1:24
	v_add_co_u32_e32 v16, vcc, s2, v14
	s_cselect_b64 s[6:7], -1, 0
	s_nop 0
	v_addc_co_u32_e32 v17, vcc, 0, v15, vcc
	global_store_dwordx4 v[16:17], v[6:9], off offset:-4096
	v_lshl_or_b32 v19, v45, 3, v89
	s_mov_b32 s24, 0
	s_waitcnt lgkmcnt(1)
	v_mov_b32_e32 v6, v2
	v_add_co_u32_e32 v2, vcc, 0x3000, v14
	v_mov_b32_e32 v7, v3
	s_nop 0
	v_addc_co_u32_e32 v3, vcc, 0, v15, vcc
	s_waitcnt lgkmcnt(0)
	v_mov_b32_e32 v8, v10
	v_mov_b32_e32 v9, v11
	v_mov_b32_e32 v10, v4
	v_mov_b32_e32 v11, v5
	v_or_b32_e32 v22, 32, v19
	v_and_b32_e32 v20, 56, v88
	s_and_b64 vcc, exec, s[6:7]
	global_store_dwordx4 v[16:17], v[6:9], off
	global_store_dwordx4 v[2:3], v[10:13], off
	s_cbranch_vccz .LBB6_30
; %bb.25:
	s_mov_b32 s25, s24
	s_mov_b32 s26, s24
	;; [unrolled: 1-line block ×3, first 2 shown]
	v_mov_b64_e32 v[6:7], s[24:25]
	v_mov_b64_e32 v[8:9], s[26:27]
	;; [unrolled: 1-line block ×3, first 2 shown]
	v_cmp_gt_i32_e32 vcc, s56, v19
	v_mov_b64_e32 v[4:5], v[8:9]
	s_and_saveexec_b64 s[2:3], vcc
	s_cbranch_execz .LBB6_27
; %bb.26:
	v_lshlrev_b32_e32 v2, 8, v19
	v_mov_b32_e32 v3, 0
	v_lshl_add_u64 v[4:5], s[0:1], 0, v[2:3]
	v_lshlrev_b32_e32 v2, 1, v20
	v_lshl_add_u64 v[10:11], v[4:5], 0, v[2:3]
	global_load_dwordx4 v[6:9], v[10:11], off
	global_load_dwordx4 v[2:5], v[10:11], off offset:128
.LBB6_27:
	s_or_b64 exec, exec, s[2:3]
	s_mov_b32 s25, s24
	s_mov_b32 s26, s24
	;; [unrolled: 1-line block ×3, first 2 shown]
	v_mov_b64_e32 v[14:15], s[24:25]
	v_mov_b64_e32 v[16:17], s[26:27]
	v_mov_b64_e32 v[10:11], v[14:15]
	v_cmp_gt_i32_e32 vcc, s56, v22
	v_lshlrev_b32_e32 v23, 7, v22
	v_mov_b64_e32 v[12:13], v[16:17]
	s_and_saveexec_b64 s[2:3], vcc
	s_cbranch_execz .LBB6_29
; %bb.28:
	v_lshlrev_b32_e32 v10, 1, v23
	v_mov_b32_e32 v11, 0
	v_lshl_add_u64 v[12:13], s[0:1], 0, v[10:11]
	v_lshlrev_b32_e32 v10, 1, v20
	v_lshl_add_u64 v[28:29], v[12:13], 0, v[10:11]
	global_load_dwordx4 v[14:17], v[28:29], off
	global_load_dwordx4 v[10:13], v[28:29], off offset:128
.LBB6_29:
	s_or_b64 exec, exec, s[2:3]
	v_lshrrev_b32_e32 v27, 3, v20
	v_lshlrev_b32_e32 v28, 3, v19
	v_or_b32_e32 v27, v28, v27
	v_lshlrev_b32_e32 v27, 4, v27
	v_and_b32_e32 v28, 0x78, v28
	v_xor_b32_e32 v27, v27, v28
	s_branch .LBB6_32
.LBB6_30:
                                        ; implicit-def: $vgpr27
                                        ; implicit-def: $vgpr23
                                        ; implicit-def: $vgpr6_vgpr7_vgpr8_vgpr9
                                        ; implicit-def: $vgpr2_vgpr3_vgpr4_vgpr5
                                        ; implicit-def: $vgpr14_vgpr15_vgpr16_vgpr17
                                        ; implicit-def: $vgpr10_vgpr11_vgpr12_vgpr13
	s_cbranch_execz .LBB6_32
; %bb.31:
	s_waitcnt vmcnt(0)
	v_lshlrev_b32_e32 v2, 1, v20
	v_lshl_or_b32 v23, v19, 8, v2
	s_and_b32 s1, s1, 0xffff
	s_mov_b32 s3, 0x20000
	s_movk_i32 s2, 0x4000
	v_lshl_or_b32 v27, v22, 8, v2
	s_movk_i32 s16, 0x80
	buffer_load_dwordx4 v[6:9], v23, s[0:3], 0 offen
	buffer_load_dwordx4 v[2:5], v23, s[0:3], s16 offen
	;; [unrolled: 1-line block ×4, first 2 shown]
	v_lshrrev_b32_e32 v23, 3, v20
	v_lshlrev_b32_e32 v27, 3, v19
	v_or_b32_e32 v23, v27, v23
	v_lshlrev_b32_e32 v23, 4, v23
	v_and_b32_e32 v27, 0x78, v27
	v_xor_b32_e32 v27, v23, v27
	v_lshlrev_b32_e32 v23, 7, v22
.LBB6_32:
	s_movk_i32 s0, 0x1000
	v_and_or_b32 v22, v23, s0, v27
	s_waitcnt vmcnt(1)
	ds_write_b64 v27, v[6:7] offset:49152
	v_xor_b32_e32 v6, 8, v27
	ds_write_b64 v6, v[8:9] offset:49152
	s_waitcnt vmcnt(0)
	ds_write_b64 v27, v[2:3] offset:57344
	ds_write_b64 v6, v[4:5] offset:57344
	;; [unrolled: 1-line block ×3, first 2 shown]
	v_xor_b32_e32 v2, 8, v22
	ds_write_b64 v2, v[16:17] offset:49152
	ds_write_b64 v22, v[10:11] offset:57344
	;; [unrolled: 1-line block ×3, first 2 shown]
	v_or_b32_e32 v2, v84, v87
	v_lshlrev_b32_e32 v2, 3, v2
	v_lshrrev_b32_e32 v3, 5, v85
	s_movk_i32 s0, 0xf8
	v_and_or_b32 v3, v2, s0, v3
	v_lshlrev_b32_e32 v7, 4, v3
	v_lshlrev_b32_e32 v27, 11, v45
	v_and_b32_e32 v8, 0x78, v2
	v_or_b32_e32 v10, 32, v7
	v_and_b32_e32 v6, 0x1000, v27
	v_lshrrev_b32_e32 v3, 1, v85
	v_xor_b32_e32 v10, v10, v8
	v_xor_b32_e32 v2, v7, v8
	v_and_b32_e32 v9, 8, v3
	v_or_b32_e32 v10, v10, v6
	v_or_b32_e32 v2, v2, v6
	v_xor_b32_e32 v33, v10, v9
	v_or_b32_e32 v10, 64, v7
	v_xor_b32_e32 v32, v2, v9
	v_xor_b32_e32 v10, v10, v8
	s_waitcnt lgkmcnt(0)
	s_barrier
	v_or_b32_e32 v13, v10, v6
	ds_read_b64 v[10:11], v32 offset:49152
	v_lshl_or_b32 v14, v86, 8, v26
	v_lshlrev_b32_e32 v28, 1, v14
	v_add_u32_e32 v12, 0x4000, v28
	ds_read2_b64 v[2:5], v12 offset1:16
	v_or_b32_e32 v7, 0x60, v7
	v_xor_b32_e32 v7, v7, v8
	v_or_b32_e32 v6, v7, v6
	v_xor_b32_e32 v34, v13, v9
	v_xor_b32_e32 v35, v6, v9
	ds_read_b64 v[22:23], v33 offset:49152
	ds_read_b64 v[36:37], v34 offset:49152
	;; [unrolled: 1-line block ×3, first 2 shown]
	s_waitcnt lgkmcnt(3)
	v_mfma_f32_16x16x16_bf16 a[0:3], v[10:11], v[2:3], 0
	ds_read2_b64 v[6:9], v12 offset0:32 offset1:48
	s_lshl_b64 s[0:1], s[44:45], 8
	s_add_u32 s4, s4, s0
	v_mfma_f32_16x16x16_bf16 a[4:7], v[10:11], v[4:5], 0
	ds_read2st64_b64 v[2:5], v28 offset0:36 offset1:40
	s_addc_u32 s5, s5, s1
	s_add_i32 s18, s39, -1
	s_waitcnt lgkmcnt(1)
	v_mfma_f32_16x16x16_bf16 a[8:11], v[10:11], v[6:7], 0
	v_or_b32_e32 v6, 64, v14
	v_lshlrev_b32_e32 v29, 1, v6
	s_add_i32 s0, s49, s48
	s_waitcnt lgkmcnt(0)
	v_mfma_f32_16x16x16_bf16 a[0:3], v[22:23], v[2:3], a[0:3]
	v_or_b32_e32 v2, 0x80, v14
	v_lshlrev_b32_e32 v30, 1, v2
	v_or_b32_e32 v2, 0xc0, v14
	v_mfma_f32_16x16x16_bf16 a[12:15], v[10:11], v[8:9], 0
	ds_read2st64_b64 v[6:9], v29 offset0:36 offset1:40
	v_lshlrev_b32_e32 v31, 1, v2
	ds_read2st64_b64 v[10:13], v30 offset0:36 offset1:40
	ds_read2st64_b64 v[14:17], v31 offset0:36 offset1:40
	s_add_i32 s21, s0, s50
	s_mul_i32 s0, s47, s23
	s_mul_hi_u32 s1, s47, s22
	s_ashr_i32 s2, s18, 31
	s_mul_i32 s3, s18, s15
	s_mul_hi_u32 s16, s18, s14
	s_waitcnt lgkmcnt(2)
	v_mfma_f32_16x16x16_bf16 a[4:7], v[22:23], v[6:7], a[4:7]
	s_add_i32 s0, s1, s0
	s_mul_i32 s1, s29, s22
	s_add_i32 s3, s16, s3
	s_mul_i32 s2, s2, s14
	s_waitcnt lgkmcnt(1)
	v_mfma_f32_16x16x16_bf16 a[8:11], v[22:23], v[10:11], a[8:11]
	s_add_i32 s1, s0, s1
	s_add_i32 s3, s3, s2
	s_lshl_b64 s[20:21], s[20:21], 2
	s_waitcnt lgkmcnt(0)
	v_mfma_f32_16x16x16_bf16 a[12:15], v[22:23], v[14:15], a[12:15]
	s_mul_i32 s0, s47, s22
	s_add_u32 s10, s10, s20
	s_addc_u32 s11, s11, s21
	s_lshl_b64 s[0:1], s[0:1], 2
	v_mfma_f32_16x16x16_bf16 a[0:3], v[36:37], v[4:5], a[0:3]
	s_mul_i32 s2, s18, s14
	ds_read_b64 v[2:3], v28 offset:22528
	s_add_u32 s10, s10, s0
	v_mfma_f32_16x16x16_bf16 a[4:7], v[36:37], v[8:9], a[4:7]
	ds_read_b64 v[4:5], v29 offset:22528
	ds_read_b64 v[6:7], v30 offset:22528
	;; [unrolled: 1-line block ×3, first 2 shown]
	s_addc_u32 s11, s11, s1
	s_lshl_b64 s[0:1], s[2:3], 2
	v_mfma_f32_16x16x16_bf16 a[8:11], v[36:37], v[12:13], a[8:11]
	s_add_u32 s0, s10, s0
	s_addc_u32 s1, s11, s1
	s_load_dword s16, s[0:1], 0x0
	v_mfma_f32_16x16x16_bf16 a[12:15], v[36:37], v[16:17], a[12:15]
	s_and_b64 vcc, exec, s[42:43]
	s_waitcnt lgkmcnt(0)
	v_mfma_f32_16x16x16_bf16 a[0:3], v[38:39], v[2:3], a[0:3]
	v_mfma_f32_16x16x16_bf16 a[4:7], v[38:39], v[4:5], a[4:7]
	;; [unrolled: 1-line block ×4, first 2 shown]
	s_cbranch_vccz .LBB6_43
; %bb.33:
	v_lshlrev_b32_e32 v22, 1, v19
	s_and_b64 vcc, exec, s[6:7]
	s_cbranch_vccz .LBB6_44
; %bb.34:
	v_cmp_gt_i32_e32 vcc, s56, v22
	v_mov_b32_e32 v6, 0
	v_mov_b32_e32 v2, 0
	;; [unrolled: 1-line block ×5, first 2 shown]
	s_and_saveexec_b64 s[0:1], vcc
	s_cbranch_execz .LBB6_36
; %bb.35:
	v_mad_i64_i32 v[2:3], s[2:3], s19, v22, 0
	v_lshl_add_u64 v[2:3], v[2:3], 1, s[4:5]
	v_lshlrev_b32_e32 v4, 1, v20
	v_mov_b32_e32 v5, 0
	v_lshl_add_u64 v[2:3], v[2:3], 0, v[4:5]
	global_load_dwordx4 v[2:5], v[2:3], off
.LBB6_36:
	s_or_b64 exec, exec, s[0:1]
	v_or_b32_e32 v23, 1, v22
	v_cmp_gt_i32_e64 s[0:1], s56, v23
	v_mov_b32_e32 v7, 0
	v_mov_b32_e32 v8, 0
	;; [unrolled: 1-line block ×3, first 2 shown]
	s_and_saveexec_b64 s[2:3], s[0:1]
	s_cbranch_execz .LBB6_38
; %bb.37:
	v_mad_i64_i32 v[6:7], s[20:21], s19, v23, 0
	v_lshl_add_u64 v[6:7], v[6:7], 1, s[4:5]
	v_lshlrev_b32_e32 v8, 1, v20
	v_mov_b32_e32 v9, 0
	v_lshl_add_u64 v[6:7], v[6:7], 0, v[8:9]
	global_load_dwordx4 v[6:9], v[6:7], off
.LBB6_38:
	s_or_b64 exec, exec, s[2:3]
	v_mov_b32_e32 v17, 0
	v_mov_b32_e32 v10, 0
	;; [unrolled: 1-line block ×5, first 2 shown]
	s_and_saveexec_b64 s[2:3], vcc
	s_cbranch_execz .LBB6_40
; %bb.39:
	v_mad_i64_i32 v[10:11], s[20:21], s19, v22, 0
	v_lshl_add_u64 v[10:11], v[10:11], 1, s[4:5]
	v_lshlrev_b32_e32 v12, 1, v20
	v_mov_b32_e32 v13, 0
	v_lshl_add_u64 v[10:11], v[10:11], 0, v[12:13]
	global_load_dwordx4 v[10:13], v[10:11], off offset:128
.LBB6_40:
	s_or_b64 exec, exec, s[2:3]
	v_mov_b32_e32 v16, 0
	v_mov_b32_e32 v15, 0
	;; [unrolled: 1-line block ×3, first 2 shown]
	s_and_saveexec_b64 s[2:3], s[0:1]
	s_cbranch_execz .LBB6_42
; %bb.41:
	v_mad_i64_i32 v[14:15], s[0:1], s19, v23, 0
	v_lshl_add_u64 v[14:15], v[14:15], 1, s[4:5]
	v_lshlrev_b32_e32 v16, 1, v20
	v_mov_b32_e32 v17, 0
	v_lshl_add_u64 v[14:15], v[14:15], 0, v[16:17]
	global_load_dwordx4 v[14:17], v[14:15], off offset:128
.LBB6_42:
	s_or_b64 exec, exec, s[2:3]
	s_branch .LBB6_46
.LBB6_43:
                                        ; implicit-def: $vgpr5
                                        ; implicit-def: $vgpr9
                                        ; implicit-def: $vgpr13
                                        ; implicit-def: $vgpr17
	v_lshrrev_b32_e32 v36, 2, v85
	s_branch .LBB6_47
.LBB6_44:
                                        ; implicit-def: $vgpr5
                                        ; implicit-def: $vgpr9
                                        ; implicit-def: $vgpr13
                                        ; implicit-def: $vgpr17
	s_cbranch_execz .LBB6_46
; %bb.45:
	s_waitcnt vmcnt(0)
	v_mad_u64_u32 v[2:3], s[0:1], v22, s19, v[20:21]
	v_lshlrev_b32_e32 v22, 1, v2
	s_lshl_b32 s2, s19, 7
	s_and_b32 s1, s5, 0xffff
	s_mov_b32 s3, 0x20000
	s_mov_b32 s0, s4
	v_add_lshl_u32 v23, v2, s19, 1
	s_movk_i32 s19, 0x80
	buffer_load_dwordx4 v[2:5], v22, s[0:3], 0 offen
	buffer_load_dwordx4 v[10:13], v22, s[0:3], s19 offen
	;; [unrolled: 1-line block ×4, first 2 shown]
.LBB6_46:
	v_lshrrev_b32_e32 v36, 2, v85
	s_cbranch_execnz .LBB6_59
.LBB6_47:
	s_and_b64 vcc, exec, s[6:7]
	s_cbranch_vccz .LBB6_57
; %bb.48:
	s_waitcnt vmcnt(0)
	v_lshlrev_b32_e32 v7, 1, v19
	v_cmp_gt_i32_e32 vcc, s56, v7
	v_mov_b32_e32 v6, 0
	v_lshlrev_b32_e32 v14, 9, v19
	v_mov_b32_e32 v2, 0
	v_mov_b32_e32 v3, 0
	;; [unrolled: 1-line block ×4, first 2 shown]
	s_and_saveexec_b64 s[0:1], vcc
	s_cbranch_execz .LBB6_50
; %bb.49:
	v_mov_b32_e32 v15, 0
	v_lshl_add_u64 v[2:3], s[4:5], 0, v[14:15]
	v_lshlrev_b32_e32 v4, 1, v20
	v_mov_b32_e32 v5, v15
	v_lshl_add_u64 v[2:3], v[2:3], 0, v[4:5]
	global_load_dwordx4 v[2:5], v[2:3], off
.LBB6_50:
	s_or_b64 exec, exec, s[0:1]
	v_or_b32_e32 v7, 1, v7
	v_cmp_gt_i32_e64 s[0:1], s56, v7
	v_lshlrev_b32_e32 v22, 8, v7
	v_mov_b32_e32 v7, 0
	v_mov_b32_e32 v8, 0
	;; [unrolled: 1-line block ×3, first 2 shown]
	s_and_saveexec_b64 s[2:3], s[0:1]
	s_cbranch_execz .LBB6_52
; %bb.51:
	v_mov_b32_e32 v23, 0
	v_lshl_add_u64 v[6:7], s[4:5], 0, v[22:23]
	v_lshlrev_b32_e32 v8, 1, v20
	v_mov_b32_e32 v9, v23
	v_lshl_add_u64 v[6:7], v[6:7], 0, v[8:9]
	global_load_dwordx4 v[6:9], v[6:7], off
.LBB6_52:
	s_or_b64 exec, exec, s[2:3]
	v_mov_b32_e32 v17, 0
	v_mov_b32_e32 v10, 0
	;; [unrolled: 1-line block ×5, first 2 shown]
	s_and_saveexec_b64 s[2:3], vcc
	s_cbranch_execz .LBB6_54
; %bb.53:
	v_mov_b32_e32 v15, 0
	v_lshl_add_u64 v[10:11], s[4:5], 0, v[14:15]
	v_lshlrev_b32_e32 v14, 1, v20
	v_lshl_add_u64 v[10:11], v[10:11], 0, v[14:15]
	global_load_dwordx4 v[10:13], v[10:11], off offset:128
.LBB6_54:
	s_or_b64 exec, exec, s[2:3]
	v_mov_b32_e32 v16, 0
	v_mov_b32_e32 v15, 0
	;; [unrolled: 1-line block ×3, first 2 shown]
	s_and_saveexec_b64 s[2:3], s[0:1]
	s_cbranch_execz .LBB6_56
; %bb.55:
	v_mov_b32_e32 v23, 0
	v_lshl_add_u64 v[14:15], s[4:5], 0, v[22:23]
	v_lshlrev_b32_e32 v22, 1, v20
	v_lshl_add_u64 v[14:15], v[14:15], 0, v[22:23]
	global_load_dwordx4 v[14:17], v[14:15], off offset:128
.LBB6_56:
	s_or_b64 exec, exec, s[2:3]
	s_branch .LBB6_59
.LBB6_57:
                                        ; implicit-def: $vgpr5
                                        ; implicit-def: $vgpr9
                                        ; implicit-def: $vgpr13
                                        ; implicit-def: $vgpr17
	s_cbranch_execz .LBB6_59
; %bb.58:
	s_waitcnt vmcnt(0)
	v_lshlrev_b32_e32 v2, 1, v20
	v_lshl_or_b32 v20, v19, 9, v2
	s_and_b32 s5, s5, 0xffff
	s_mov_b32 s7, 0x20000
	s_movk_i32 s6, 0x4000
	s_movk_i32 s0, 0x80
	buffer_load_dwordx4 v[2:5], v20, s[4:7], 0 offen
	buffer_load_dwordx4 v[6:9], v20, s[4:7], 0 offen offset:256
	buffer_load_dwordx4 v[10:13], v20, s[4:7], s0 offen
	buffer_load_dwordx4 v[14:17], v20, s[4:7], s0 offen offset:256
.LBB6_59:
	ds_read_b64 v[22:23], v32 offset:57344
	v_add_u32_e32 v20, 0x6000, v28
	ds_read2_b64 v[38:41], v20 offset1:16
	ds_read_b64 v[82:83], v33 offset:57344
	ds_read_b64 v[86:87], v34 offset:57344
	;; [unrolled: 1-line block ×3, first 2 shown]
	ds_read2_b64 v[32:35], v20 offset0:32 offset1:48
	v_and_b32_e32 v20, 12, v36
	v_and_b32_e32 v44, 6, v0
	v_xor_b32_e32 v19, v19, v44
	v_lshlrev_b32_e32 v19, 2, v19
	s_mov_b32 s0, 0x1000504
	s_waitcnt lgkmcnt(4)
	v_mfma_f32_16x16x16_bf16 a[4:7], v[22:23], v[40:41], a[4:7]
	s_mov_b32 s1, 0x3020706
	v_mfma_f32_16x16x16_bf16 a[0:3], v[22:23], v[38:39], a[0:3]
	ds_read2st64_b64 v[36:39], v28 offset0:52 offset1:56
	s_waitcnt lgkmcnt(1)
	v_mfma_f32_16x16x16_bf16 a[8:11], v[22:23], v[32:33], a[8:11]
	v_mfma_f32_16x16x16_bf16 a[12:15], v[22:23], v[34:35], a[12:15]
	ds_read2st64_b64 v[32:35], v29 offset0:52 offset1:56
	ds_read2st64_b64 v[40:43], v30 offset0:52 offset1:56
	;; [unrolled: 1-line block ×3, first 2 shown]
	s_waitcnt lgkmcnt(2)
	v_mfma_f32_16x16x16_bf16 a[4:7], v[82:83], v[32:33], a[4:7]
	v_and_b32_e32 v32, 1, v0
	v_xor_b32_e32 v33, 0x440, v19
	v_cmp_eq_u32_e32 vcc, 0, v32
	v_mfma_f32_16x16x16_bf16 a[0:3], v[82:83], v[36:37], a[0:3]
	s_waitcnt vmcnt(0)
	v_perm_b32 v32, v2, v6, s0
	v_cndmask_b32_e32 v19, v33, v19, vcc
	v_lshl_or_b32 v19, v44, 10, v19
	s_waitcnt lgkmcnt(1)
	v_mfma_f32_16x16x16_bf16 a[8:11], v[82:83], v[40:41], a[8:11]
	v_perm_b32 v33, v10, v14, s0
	ds_read_b64 v[22:23], v28 offset:30720
	ds_read_b64 v[36:37], v29 offset:30720
	;; [unrolled: 1-line block ×4, first 2 shown]
	ds_write2st64_b32 v19, v32, v33 offset0:128 offset1:160
	s_waitcnt lgkmcnt(5)
	v_mfma_f32_16x16x16_bf16 a[12:15], v[82:83], v[78:79], a[12:15]
	v_xor_b32_e32 v32, 8, v19
	v_perm_b32 v2, v2, v6, s1
	v_perm_b32 v6, v10, v14, s1
	v_add_u32_e32 v10, 0x80, v32
	ds_write2st64_b32 v10, v2, v6 offset0:128 offset1:160
	v_xor_b32_e32 v2, 16, v19
	v_perm_b32 v6, v3, v7, s0
	v_perm_b32 v10, v11, v15, s0
	v_mfma_f32_16x16x16_bf16 a[0:3], v[86:87], v[38:39], a[0:3]
	ds_write2st64_b32 v2, v6, v10 offset0:129 offset1:161
	v_xor_b32_e32 v2, 24, v19
	v_perm_b32 v3, v3, v7, s1
	v_mfma_f32_16x16x16_bf16 a[4:7], v[86:87], v[34:35], a[4:7]
	v_perm_b32 v6, v11, v15, s1
	v_add_u32_e32 v2, 0x80, v2
	ds_write2st64_b32 v2, v3, v6 offset0:129 offset1:161
	v_mfma_f32_16x16x16_bf16 a[16:19], v[86:87], v[42:43], a[8:11]
	v_xor_b32_e32 v2, 32, v19
	v_perm_b32 v3, v4, v8, s0
	v_perm_b32 v6, v12, v16, s0
	v_mfma_f32_16x16x16_bf16 a[20:23], v[86:87], v[80:81], a[12:15]
	ds_write2st64_b32 v2, v3, v6 offset0:130 offset1:162
	v_xor_b32_e32 v2, 40, v19
	v_perm_b32 v3, v4, v8, s1
	s_waitcnt lgkmcnt(8)
	v_mfma_f32_16x16x16_bf16 a[12:15], v[88:89], v[22:23], a[0:3]
	v_perm_b32 v4, v12, v16, s1
	v_add_u32_e32 v2, 0x80, v2
	ds_write2st64_b32 v2, v3, v4 offset0:130 offset1:162
	s_waitcnt lgkmcnt(8)
	v_mfma_f32_16x16x16_bf16 a[8:11], v[88:89], v[36:37], a[4:7]
	v_xor_b32_e32 v2, 48, v19
	v_perm_b32 v3, v5, v9, s0
	v_perm_b32 v4, v13, v17, s0
	s_waitcnt lgkmcnt(7)
	v_mfma_f32_16x16x16_bf16 a[4:7], v[88:89], v[90:91], a[16:19]
	ds_write2st64_b32 v2, v3, v4 offset0:131 offset1:163
	v_xor_b32_e32 v2, 56, v19
	v_or_b32_e32 v16, v20, v84
	s_waitcnt lgkmcnt(7)
	v_mfma_f32_16x16x16_bf16 a[0:3], v[88:89], v[92:93], a[20:23]
	v_perm_b32 v3, v5, v9, s1
	v_perm_b32 v4, v13, v17, s1
	v_add_u32_e32 v2, 0x80, v2
	v_cmp_gt_i32_e32 vcc, s56, v16
	v_mov_b32_e32 v17, 0
	v_mov_b32_e32 v23, 0
	ds_write2st64_b32 v2, v3, v4 offset0:131 offset1:163
	s_and_saveexec_b64 s[0:1], vcc
	s_cbranch_execz .LBB6_61
; %bb.60:
	v_add_u32_e32 v2, s28, v16
	v_ashrrev_i32_e32 v3, 31, v2
	v_mul_lo_u32 v4, v3, s14
	v_mul_lo_u32 v5, v2, s15
	v_mad_u64_u32 v[2:3], s[2:3], v2, s14, 0
	v_add3_u32 v3, v3, v5, v4
	v_lshl_add_u64 v[2:3], v[2:3], 2, s[10:11]
	global_load_dword v2, v[2:3], off
	s_waitcnt vmcnt(0)
	v_sub_f32_e32 v2, s16, v2
	v_exp_f32_e32 v23, v2
.LBB6_61:
	s_or_b64 exec, exec, s[0:1]
	v_or_b32_e32 v8, 1, v16
	v_cmp_gt_i32_e64 s[0:1], s56, v8
	s_and_saveexec_b64 s[2:3], s[0:1]
	s_cbranch_execz .LBB6_63
; %bb.62:
	v_add_u32_e32 v2, s28, v8
	v_ashrrev_i32_e32 v3, 31, v2
	v_mul_lo_u32 v4, v3, s14
	v_mul_lo_u32 v5, v2, s15
	v_mad_u64_u32 v[2:3], s[4:5], v2, s14, 0
	v_add3_u32 v3, v3, v5, v4
	v_lshl_add_u64 v[2:3], v[2:3], 2, s[10:11]
	global_load_dword v2, v[2:3], off
	s_waitcnt vmcnt(0)
	v_sub_f32_e32 v2, s16, v2
	v_exp_f32_e32 v17, v2
.LBB6_63:
	s_or_b64 exec, exec, s[2:3]
	v_or_b32_e32 v9, 2, v16
	v_cmp_gt_i32_e64 s[4:5], s56, v9
	v_mov_b32_e32 v22, 0
	v_mov_b32_e32 v32, 0
	s_and_saveexec_b64 s[2:3], s[4:5]
	s_cbranch_execz .LBB6_65
; %bb.64:
	v_add_u32_e32 v2, s28, v9
	v_ashrrev_i32_e32 v3, 31, v2
	v_mul_lo_u32 v4, v3, s14
	v_mul_lo_u32 v5, v2, s15
	v_mad_u64_u32 v[2:3], s[6:7], v2, s14, 0
	v_add3_u32 v3, v3, v5, v4
	v_lshl_add_u64 v[2:3], v[2:3], 2, s[10:11]
	global_load_dword v2, v[2:3], off
	s_waitcnt vmcnt(0)
	v_sub_f32_e32 v2, s16, v2
	v_exp_f32_e32 v32, v2
.LBB6_65:
	s_or_b64 exec, exec, s[2:3]
	v_or_b32_e32 v33, 3, v16
	v_cmp_gt_i32_e64 s[2:3], s56, v33
	s_and_saveexec_b64 s[6:7], s[2:3]
	s_cbranch_execz .LBB6_67
; %bb.66:
	v_add_u32_e32 v2, s28, v33
	v_ashrrev_i32_e32 v3, 31, v2
	v_mul_lo_u32 v4, v3, s14
	v_mul_lo_u32 v5, v2, s15
	v_mad_u64_u32 v[2:3], s[14:15], v2, s14, 0
	v_add3_u32 v3, v3, v5, v4
	v_lshl_add_u64 v[2:3], v[2:3], 2, s[10:11]
	global_load_dword v2, v[2:3], off
	s_waitcnt vmcnt(0)
	v_sub_f32_e32 v2, s16, v2
	v_exp_f32_e32 v22, v2
.LBB6_67:
	s_or_b64 exec, exec, s[6:7]
	s_add_u32 s6, s8, s30
	v_accvgpr_read_b32 v2, a12
	s_addc_u32 s7, s9, s31
	v_ashrrev_i32_e32 v19, 31, v18
	v_accvgpr_read_b32 v3, a13
	v_accvgpr_read_b32 v4, a14
	;; [unrolled: 1-line block ×3, first 2 shown]
	v_lshl_add_u64 v[6:7], v[18:19], 1, s[6:7]
	v_mov_b32_e32 v13, 0
	v_lshlrev_b32_e32 v10, 8, v16
	v_mov_b32_e32 v11, 0
	s_and_saveexec_b64 s[6:7], vcc
	s_cbranch_execz .LBB6_69
; %bb.68:
	v_mov_b32_e32 v11, 0
	v_lshl_add_u64 v[14:15], v[6:7], 0, v[10:11]
	global_load_ushort v11, v[14:15], off
	s_waitcnt vmcnt(0)
	v_lshlrev_b32_e32 v11, 16, v11
	v_sub_f32_e32 v2, v11, v2
	v_mul_f32_e32 v2, v23, v2
	v_lshrrev_b32_e32 v11, 16, v2
.LBB6_69:
	s_or_b64 exec, exec, s[6:7]
	v_lshlrev_b32_e32 v12, 8, v8
	s_and_saveexec_b64 s[6:7], s[0:1]
	s_cbranch_execz .LBB6_71
; %bb.70:
	v_mov_b32_e32 v13, 0
	v_lshl_add_u64 v[14:15], v[6:7], 0, v[12:13]
	global_load_ushort v2, v[14:15], off
	s_waitcnt vmcnt(0)
	v_lshlrev_b32_e32 v2, 16, v2
	v_sub_f32_e32 v2, v2, v3
	v_mul_f32_e32 v2, v17, v2
	v_lshrrev_b32_e32 v13, 16, v2
.LBB6_71:
	s_or_b64 exec, exec, s[6:7]
	v_mov_b32_e32 v34, 0
	v_lshlrev_b32_e32 v14, 8, v9
	v_mov_b32_e32 v15, 0
	s_and_saveexec_b64 s[6:7], s[4:5]
	s_cbranch_execz .LBB6_73
; %bb.72:
	v_mov_b32_e32 v15, 0
	v_lshl_add_u64 v[2:3], v[6:7], 0, v[14:15]
	global_load_ushort v2, v[2:3], off
	s_waitcnt vmcnt(0)
	v_lshlrev_b32_e32 v2, 16, v2
	v_sub_f32_e32 v2, v2, v4
	v_mul_f32_e32 v2, v32, v2
	v_lshrrev_b32_e32 v15, 16, v2
.LBB6_73:
	s_or_b64 exec, exec, s[6:7]
	v_lshlrev_b32_e32 v8, 8, v33
	s_and_saveexec_b64 s[6:7], s[2:3]
	s_cbranch_execz .LBB6_75
; %bb.74:
	v_mov_b32_e32 v9, 0
	v_lshl_add_u64 v[2:3], v[6:7], 0, v[8:9]
	global_load_ushort v2, v[2:3], off
	s_waitcnt vmcnt(0)
	v_lshlrev_b32_e32 v2, 16, v2
	v_sub_f32_e32 v2, v2, v5
	v_mul_f32_e32 v2, v22, v2
	v_lshrrev_b32_e32 v34, 16, v2
.LBB6_75:
	s_or_b64 exec, exec, s[6:7]
	v_lshlrev_b32_e32 v19, 6, v16
	v_accvgpr_read_b32 v2, a8
	s_mov_b32 s6, 0x5040100
	v_or_b32_e32 v9, v19, v26
	v_accvgpr_read_b32 v3, a9
	v_accvgpr_read_b32 v4, a10
	v_accvgpr_read_b32 v5, a11
	v_perm_b32 v35, v34, v15, s6
	v_perm_b32 v34, v13, v11, s6
	v_lshlrev_b32_e32 v9, 1, v9
	v_mov_b32_e32 v13, 0
	v_mov_b32_e32 v11, 0
	ds_write_b64 v9, v[34:35] offset:24576
	s_and_saveexec_b64 s[6:7], vcc
	s_cbranch_execz .LBB6_77
; %bb.76:
	v_mov_b32_e32 v11, 0
	v_lshl_add_u64 v[34:35], v[6:7], 0, v[10:11]
	global_load_ushort v9, v[34:35], off offset:32
	s_waitcnt vmcnt(0)
	v_lshlrev_b32_e32 v9, 16, v9
	v_sub_f32_e32 v2, v9, v2
	v_mul_f32_e32 v2, v23, v2
	v_lshrrev_b32_e32 v11, 16, v2
.LBB6_77:
	s_or_b64 exec, exec, s[6:7]
	s_and_saveexec_b64 s[6:7], s[0:1]
	s_cbranch_execz .LBB6_79
; %bb.78:
	v_mov_b32_e32 v13, 0
	v_lshl_add_u64 v[34:35], v[6:7], 0, v[12:13]
	global_load_ushort v2, v[34:35], off offset:32
	s_waitcnt vmcnt(0)
	v_lshlrev_b32_e32 v2, 16, v2
	v_sub_f32_e32 v2, v2, v3
	v_mul_f32_e32 v2, v17, v2
	v_lshrrev_b32_e32 v13, 16, v2
.LBB6_79:
	s_or_b64 exec, exec, s[6:7]
	v_mov_b32_e32 v9, 0
	v_mov_b32_e32 v15, 0
	s_and_saveexec_b64 s[6:7], s[4:5]
	s_cbranch_execz .LBB6_81
; %bb.80:
	v_mov_b32_e32 v15, 0
	v_lshl_add_u64 v[2:3], v[6:7], 0, v[14:15]
	global_load_ushort v2, v[2:3], off offset:32
	s_waitcnt vmcnt(0)
	v_lshlrev_b32_e32 v2, 16, v2
	v_sub_f32_e32 v2, v2, v4
	v_mul_f32_e32 v2, v32, v2
	v_lshrrev_b32_e32 v15, 16, v2
.LBB6_81:
	s_or_b64 exec, exec, s[6:7]
	s_and_saveexec_b64 s[6:7], s[2:3]
	s_cbranch_execz .LBB6_83
; %bb.82:
	v_mov_b32_e32 v9, 0
	v_lshl_add_u64 v[2:3], v[6:7], 0, v[8:9]
	global_load_ushort v2, v[2:3], off offset:32
	s_waitcnt vmcnt(0)
	v_lshlrev_b32_e32 v2, 16, v2
	v_sub_f32_e32 v2, v2, v5
	v_mul_f32_e32 v2, v22, v2
	v_lshrrev_b32_e32 v9, 16, v2
.LBB6_83:
	s_or_b64 exec, exec, s[6:7]
	s_mov_b32 s6, 0x5040100
	v_accvgpr_read_b32 v2, a4
	v_perm_b32 v35, v9, v15, s6
	v_or_b32_e32 v9, v19, v25
	v_accvgpr_read_b32 v3, a5
	v_accvgpr_read_b32 v4, a6
	;; [unrolled: 1-line block ×3, first 2 shown]
	v_perm_b32 v34, v13, v11, s6
	v_lshlrev_b32_e32 v9, 1, v9
	v_mov_b32_e32 v13, 0
	v_mov_b32_e32 v11, 0
	ds_write_b64 v9, v[34:35] offset:24576
	s_and_saveexec_b64 s[6:7], vcc
	s_cbranch_execz .LBB6_85
; %bb.84:
	v_mov_b32_e32 v11, 0
	v_lshl_add_u64 v[34:35], v[6:7], 0, v[10:11]
	global_load_ushort v9, v[34:35], off offset:64
	s_waitcnt vmcnt(0)
	v_lshlrev_b32_e32 v9, 16, v9
	v_sub_f32_e32 v2, v9, v2
	v_mul_f32_e32 v2, v23, v2
	v_lshrrev_b32_e32 v11, 16, v2
.LBB6_85:
	s_or_b64 exec, exec, s[6:7]
	s_and_saveexec_b64 s[6:7], s[0:1]
	s_cbranch_execz .LBB6_87
; %bb.86:
	v_mov_b32_e32 v13, 0
	v_lshl_add_u64 v[34:35], v[6:7], 0, v[12:13]
	global_load_ushort v2, v[34:35], off offset:64
	s_waitcnt vmcnt(0)
	v_lshlrev_b32_e32 v2, 16, v2
	v_sub_f32_e32 v2, v2, v3
	v_mul_f32_e32 v2, v17, v2
	v_lshrrev_b32_e32 v13, 16, v2
.LBB6_87:
	s_or_b64 exec, exec, s[6:7]
	v_mov_b32_e32 v9, 0
	v_mov_b32_e32 v15, 0
	s_and_saveexec_b64 s[6:7], s[4:5]
	s_cbranch_execz .LBB6_89
; %bb.88:
	v_mov_b32_e32 v15, 0
	v_lshl_add_u64 v[2:3], v[6:7], 0, v[14:15]
	global_load_ushort v2, v[2:3], off offset:64
	s_waitcnt vmcnt(0)
	v_lshlrev_b32_e32 v2, 16, v2
	v_sub_f32_e32 v2, v2, v4
	v_mul_f32_e32 v2, v32, v2
	v_lshrrev_b32_e32 v15, 16, v2
.LBB6_89:
	s_or_b64 exec, exec, s[6:7]
	s_and_saveexec_b64 s[6:7], s[2:3]
	s_cbranch_execz .LBB6_91
; %bb.90:
	v_mov_b32_e32 v9, 0
	v_lshl_add_u64 v[2:3], v[6:7], 0, v[8:9]
	global_load_ushort v2, v[2:3], off offset:64
	s_waitcnt vmcnt(0)
	v_lshlrev_b32_e32 v2, 16, v2
	v_sub_f32_e32 v2, v2, v5
	v_mul_f32_e32 v2, v22, v2
	v_lshrrev_b32_e32 v9, 16, v2
.LBB6_91:
	s_or_b64 exec, exec, s[6:7]
	s_mov_b32 s6, 0x5040100
	v_accvgpr_read_b32 v5, a3
	v_perm_b32 v35, v9, v15, s6
	v_or_b32_e32 v9, v19, v24
	v_accvgpr_read_b32 v4, a2
	v_accvgpr_read_b32 v3, a1
	;; [unrolled: 1-line block ×3, first 2 shown]
	v_perm_b32 v34, v13, v11, s6
	v_lshlrev_b32_e32 v9, 1, v9
	v_mov_b32_e32 v13, 0
	v_mov_b32_e32 v11, 0
	ds_write_b64 v9, v[34:35] offset:24576
	s_and_saveexec_b64 s[6:7], vcc
	s_cbranch_execz .LBB6_93
; %bb.92:
	v_mov_b32_e32 v11, 0
	v_lshl_add_u64 v[10:11], v[6:7], 0, v[10:11]
	global_load_ushort v9, v[10:11], off offset:96
	s_waitcnt vmcnt(0)
	v_lshlrev_b32_e32 v9, 16, v9
	v_sub_f32_e32 v2, v9, v2
	v_mul_f32_e32 v2, v23, v2
	v_lshrrev_b32_e32 v11, 16, v2
.LBB6_93:
	s_or_b64 exec, exec, s[6:7]
	s_and_saveexec_b64 s[6:7], s[0:1]
	s_cbranch_execz .LBB6_95
; %bb.94:
	v_mov_b32_e32 v13, 0
	v_lshl_add_u64 v[12:13], v[6:7], 0, v[12:13]
	global_load_ushort v2, v[12:13], off offset:96
	s_waitcnt vmcnt(0)
	v_lshlrev_b32_e32 v2, 16, v2
	v_sub_f32_e32 v2, v2, v3
	v_mul_f32_e32 v2, v17, v2
	v_lshrrev_b32_e32 v13, 16, v2
.LBB6_95:
	s_or_b64 exec, exec, s[6:7]
	v_mov_b32_e32 v9, 0
	v_mov_b32_e32 v12, 0
	s_and_saveexec_b64 s[0:1], s[4:5]
	s_cbranch_execz .LBB6_97
; %bb.96:
	v_mov_b32_e32 v15, 0
	v_lshl_add_u64 v[2:3], v[6:7], 0, v[14:15]
	global_load_ushort v2, v[2:3], off offset:96
	s_waitcnt vmcnt(0)
	v_lshlrev_b32_e32 v2, 16, v2
	v_sub_f32_e32 v2, v2, v4
	v_mul_f32_e32 v2, v32, v2
	v_lshrrev_b32_e32 v12, 16, v2
.LBB6_97:
	s_or_b64 exec, exec, s[0:1]
	v_or_b32_e32 v10, 0x6000, v28
	v_or_b32_e32 v2, 0x6000, v29
	;; [unrolled: 1-line block ×4, first 2 shown]
	s_and_saveexec_b64 s[0:1], s[2:3]
	s_cbranch_execz .LBB6_99
; %bb.98:
	v_mov_b32_e32 v9, 0
	v_lshl_add_u64 v[6:7], v[6:7], 0, v[8:9]
	global_load_ushort v6, v[6:7], off offset:96
	s_waitcnt vmcnt(0)
	v_lshlrev_b32_e32 v6, 16, v6
	v_sub_f32_e32 v5, v6, v5
	v_mul_f32_e32 v5, v22, v5
	v_lshrrev_b32_e32 v9, 16, v5
.LBB6_99:
	s_or_b64 exec, exec, s[0:1]
	s_mov_b32 s0, 0x5040100
	v_or_b32_e32 v5, v19, v21
	v_perm_b32 v7, v9, v12, s0
	v_perm_b32 v6, v13, v11, s0
	v_lshlrev_b32_e32 v5, 1, v5
	ds_write_b64 v5, v[6:7] offset:24576
	v_and_b32_e32 v5, 7, v0
	v_and_b32_e32 v11, 8, v0
	v_lshlrev_b32_e32 v17, 3, v5
	v_lshlrev_b32_e32 v19, 7, v5
	v_lshrrev_b32_e32 v5, 1, v0
	v_and_b32_e32 v5, 24, v5
	v_mov_b32_e32 v12, 0x400
	v_cmp_eq_u32_e32 vcc, 0, v11
	s_movk_i32 s2, 0x100
	v_lshlrev_b32_e32 v21, 3, v45
	v_cndmask_b32_e64 v11, v12, 64, vcc
	v_mov_b32_e32 v12, 0xa000
	v_mov_b32_e32 v13, 0x8000
	v_cmp_gt_u32_e64 s[0:1], s2, v0
	v_xor_b32_e32 v26, v21, v5
	s_waitcnt lgkmcnt(0)
	v_cndmask_b32_e64 v0, v12, v13, s[0:1]
	v_or_b32_e32 v12, 0x440, v26
	v_cndmask_b32_e32 v12, v12, v26, vcc
	v_or_b32_e32 v12, v12, v27
	v_xor_b32_e32 v44, v12, v17
	v_add3_u32 v12, v0, v44, v19
	s_barrier
	ds_read_b64 v[22:23], v12
	v_or_b32_e32 v12, 32, v5
	v_xor_b32_e32 v12, v21, v12
	v_or_b32_e32 v13, 0x440, v12
	v_cndmask_b32_e32 v12, v13, v12, vcc
	v_or_b32_e32 v12, v12, v27
	v_xor_b32_e32 v84, v12, v17
	v_add3_u32 v12, v0, v84, v19
	ds_read2_b64 v[6:9], v10 offset1:16
	ds_read_b64 v[40:41], v12
	ds_read2_b64 v[12:15], v10 offset0:32 offset1:48
	v_or3_b32 v11, v27, v11, v26
	v_xor_b32_e32 v11, v11, v17
	v_or_b32_e32 v5, 0x60, v5
	v_or_b32_e32 v85, v11, v19
	;; [unrolled: 1-line block ×3, first 2 shown]
	v_xor_b32_e32 v5, v21, v5
	s_waitcnt lgkmcnt(2)
	v_mfma_f32_16x16x16_bf16 a[0:3], v[22:23], v[6:7], 0
	ds_read2st64_b64 v[28:31], v2 offset0:4 offset1:8
	s_mul_i32 s0, s18, s17
	s_mul_hi_i32 s1, s18, s17
	v_mfma_f32_16x16x16_bf16 a[4:7], v[22:23], v[8:9], 0
	s_add_u32 s0, s0, s47
	s_addc_u32 s1, s1, s29
	s_lshl_b64 s[0:1], s[0:1], 9
	s_waitcnt lgkmcnt(1)
	v_mfma_f32_16x16x16_bf16 a[8:11], v[22:23], v[12:13], 0
	s_add_u32 s0, s36, s0
	s_addc_u32 s1, s37, s1
	v_lshlrev_b32_e32 v20, 2, v20
	v_mfma_f32_16x16x16_bf16 a[12:15], v[22:23], v[14:15], 0
	ds_read2st64_b64 v[22:25], v10 offset0:4 offset1:8
	ds_read2st64_b64 v[32:35], v3 offset0:4 offset1:8
	;; [unrolled: 1-line block ×3, first 2 shown]
	ds_read_b64 v[42:43], v11
	v_xor_b32_e32 v11, 0x440, v5
	v_cndmask_b32_e32 v5, v11, v5, vcc
	v_or_b32_e32 v5, v5, v27
	v_xor_b32_e32 v21, v5, v17
	v_add3_u32 v0, v0, v21, v19
	ds_read_b64 v[26:27], v0
	v_lshlrev_b32_e32 v0, 2, v16
	ds_read_b64 v[10:11], v10 offset:6144
	ds_read_b64 v[78:79], v2 offset:6144
	;; [unrolled: 1-line block ×4, first 2 shown]
	global_load_dwordx4 v[2:5], v0, s[0:1]
	s_waitcnt lgkmcnt(8)
	v_mfma_f32_16x16x16_bf16 a[0:3], v[40:41], v[22:23], a[0:3]
	v_add_u32_e32 v0, v44, v19
	ds_read_b64 v[16:17], v0 offset:40960
	v_lshlrev_b32_e32 v0, 6, v45
	v_mfma_f32_16x16x16_bf16 a[4:7], v[40:41], v[28:29], a[4:7]
	v_or3_b32 v0, v0, v20, s2
	v_add_u32_e32 v20, v84, v19
	v_add_u32_e32 v19, v21, v19
	s_waitcnt lgkmcnt(8)
	v_mfma_f32_16x16x16_bf16 a[8:11], v[40:41], v[32:33], a[8:11]
	s_waitcnt vmcnt(0)
	v_exp_f32_e32 v4, v4
	s_waitcnt lgkmcnt(7)
	v_mfma_f32_16x16x16_bf16 a[12:15], v[40:41], v[36:37], a[12:15]
	v_exp_f32_e32 v5, v5
	v_exp_f32_e32 v2, v2
	;; [unrolled: 1-line block ×3, first 2 shown]
	s_waitcnt lgkmcnt(6)
	v_mfma_f32_16x16x16_bf16 a[0:3], v[42:43], v[24:25], a[0:3]
	v_mfma_f32_16x16x16_bf16 a[4:7], v[42:43], v[30:31], a[4:7]
	;; [unrolled: 1-line block ×4, first 2 shown]
	s_waitcnt lgkmcnt(4)
	v_mfma_f32_16x16x16_bf16 a[0:3], v[26:27], v[10:11], a[0:3]
	s_waitcnt lgkmcnt(3)
	v_mfma_f32_16x16x16_bf16 a[4:7], v[26:27], v[78:79], a[4:7]
	;; [unrolled: 2-line block ×4, first 2 shown]
	ds_read_b64 v[20:21], v20 offset:40960
	ds_read_b64 v[26:27], v19 offset:40960
	global_load_dwordx4 v[40:43], v0, s[0:1]
	v_exp_f32_e32 v0, s16
	s_waitcnt lgkmcnt(2)
	v_mfma_f32_16x16x16_bf16 a[28:31], v[16:17], v[14:15], 0
	ds_read_b64 v[14:15], v85 offset:40960
	v_pk_mul_f32 v[2:3], v[0:1], v[2:3] op_sel_hi:[0,1]
	v_mfma_f32_16x16x16_bf16 a[16:19], v[16:17], v[6:7], 0
	v_pk_mul_f32 v[6:7], v[0:1], v[4:5] op_sel_hi:[0,1]
	v_accvgpr_read_b32 v5, a3
	v_accvgpr_read_b32 v4, a2
	v_mfma_f32_16x16x16_bf16 a[20:23], v[16:17], v[8:9], 0
	v_pk_fma_f32 v[76:77], v[76:77], v[6:7], v[4:5]
	v_accvgpr_read_b32 v4, a4
	v_accvgpr_read_b32 v5, a5
	v_mfma_f32_16x16x16_bf16 a[24:27], v[16:17], v[12:13], 0
	v_pk_fma_f32 v[66:67], v[2:3], v[66:67], v[4:5]
	v_accvgpr_read_b32 v4, a8
	v_accvgpr_read_b32 v5, a9
	s_waitcnt lgkmcnt(2)
	v_mfma_f32_16x16x16_bf16 a[16:19], v[20:21], v[22:23], a[16:19]
	v_accvgpr_read_b32 v9, a7
	v_accvgpr_read_b32 v8, a6
	;; [unrolled: 1-line block ×3, first 2 shown]
	v_mfma_f32_16x16x16_bf16 a[20:23], v[20:21], v[28:29], a[20:23]
	v_pk_fma_f32 v[58:59], v[2:3], v[58:59], v[4:5]
	v_accvgpr_read_b32 v4, a12
	v_accvgpr_read_b32 v13, a11
	v_mfma_f32_16x16x16_bf16 a[24:27], v[20:21], v[32:33], a[24:27]
	v_accvgpr_read_b32 v12, a10
	v_accvgpr_read_b32 v22, a0
	;; [unrolled: 1-line block ×3, first 2 shown]
	s_waitcnt lgkmcnt(0)
	v_mfma_f32_16x16x16_bf16 a[4:7], v[14:15], v[24:25], a[16:19]
	v_pk_fma_f32 v[74:75], v[74:75], v[2:3], v[22:23]
	v_pk_fma_f32 v[50:51], v[2:3], v[50:51], v[4:5]
	v_accvgpr_read_b32 v17, a15
	v_mfma_f32_16x16x16_bf16 a[0:3], v[20:21], v[36:37], a[28:31]
	v_accvgpr_read_b32 v16, a14
	v_pk_fma_f32 v[68:69], v[6:7], v[68:69], v[8:9]
	v_pk_fma_f32 v[60:61], v[6:7], v[60:61], v[12:13]
	v_mfma_f32_16x16x16_bf16 a[8:11], v[14:15], v[30:31], a[20:23]
	v_pk_fma_f32 v[52:53], v[6:7], v[52:53], v[16:17]
	s_waitcnt vmcnt(0)
	v_mov_b32_e32 v2, v41
	v_mfma_f32_16x16x16_bf16 a[12:15], v[14:15], v[34:35], a[24:27]
	v_mov_b32_e32 v3, v42
	v_mov_b32_e32 v4, v43
	v_exp_f32_e32 v9, v2
	v_exp_f32_e32 v2, v3
	;; [unrolled: 1-line block ×3, first 2 shown]
	v_mfma_f32_16x16x16_bf16 a[4:7], v[26:27], v[10:11], a[4:7]
	v_exp_f32_e32 v8, v40
	v_pk_mul_f32 v[2:3], v[0:1], v[2:3] op_sel_hi:[0,1]
	v_mfma_f32_16x16x16_bf16 a[0:3], v[14:15], v[38:39], a[0:3]
	v_pk_mul_f32 v[4:5], v[0:1], v[8:9] op_sel_hi:[0,1]
	v_mfma_f32_16x16x16_bf16 a[8:11], v[26:27], v[78:79], a[8:11]
	s_nop 1
	v_accvgpr_read_b32 v7, a7
	v_accvgpr_read_b32 v6, a6
	v_pk_fma_f32 v[72:73], v[72:73], v[2:3], v[6:7]
	v_mfma_f32_16x16x16_bf16 a[12:15], v[26:27], v[80:81], a[12:15]
	v_accvgpr_read_b32 v15, a5
	v_accvgpr_read_b32 v14, a4
	v_pk_fma_f32 v[70:71], v[70:71], v[4:5], v[14:15]
	v_mfma_f32_16x16x16_bf16 a[0:3], v[26:27], v[82:83], a[0:3]
	v_accvgpr_read_b32 v6, a8
	v_accvgpr_read_b32 v7, a9
	v_pk_fma_f32 v[62:63], v[4:5], v[62:63], v[6:7]
	v_accvgpr_read_b32 v6, a12
	v_accvgpr_read_b32 v7, a13
	v_pk_fma_f32 v[56:57], v[4:5], v[56:57], v[6:7]
	v_accvgpr_read_b32 v9, a11
	v_accvgpr_read_b32 v7, a1
	;; [unrolled: 1-line block ×8, first 2 shown]
	v_pk_fma_f32 v[64:65], v[2:3], v[64:65], v[8:9]
	v_pk_fma_f32 v[54:55], v[2:3], v[54:55], v[10:11]
	;; [unrolled: 1-line block ×4, first 2 shown]
	v_mov_b32_e32 v2, v18
.LBB6_100:
	s_mul_i32 s0, s33, s35
	s_mul_hi_u32 s1, s33, s34
	s_add_i32 s0, s1, s0
	s_mul_i32 s1, s46, s34
	s_add_i32 s1, s0, s1
	s_mul_i32 s0, s33, s34
	s_add_u32 s0, s0, s47
	s_addc_u32 s1, s1, s29
	s_lshl_b64 s[0:1], s[0:1], 15
	s_add_u32 s0, s12, s0
	v_lshlrev_b32_e32 v2, 7, v2
	s_addc_u32 s1, s13, s1
	v_ashrrev_i32_e32 v3, 31, v2
	v_lshl_add_u64 v[4:5], v[2:3], 1, s[0:1]
	v_lshlrev_b32_e32 v0, 1, v1
	v_mov_b32_e32 v1, 0
	s_mov_b32 s2, 0x7060302
	v_lshl_add_u64 v[4:5], v[4:5], 0, v[0:1]
	v_perm_b32 v7, v77, v76, s2
	v_perm_b32 v6, v75, v74, s2
	global_store_dwordx2 v[4:5], v[6:7], off
	v_perm_b32 v7, v73, v72, s2
	v_perm_b32 v6, v71, v70, s2
	global_store_dwordx2 v[4:5], v[6:7], off offset:128
	v_or_b32_e32 v4, 0x800, v2
	v_ashrrev_i32_e32 v5, 31, v4
	v_lshl_add_u64 v[4:5], v[4:5], 1, s[0:1]
	v_lshl_add_u64 v[4:5], v[4:5], 0, v[0:1]
	v_perm_b32 v7, v69, v68, s2
	v_perm_b32 v6, v67, v66, s2
	global_store_dwordx2 v[4:5], v[6:7], off
	v_perm_b32 v7, v65, v64, s2
	v_perm_b32 v6, v63, v62, s2
	global_store_dwordx2 v[4:5], v[6:7], off offset:128
	v_or_b32_e32 v4, 0x1000, v2
	v_or_b32_e32 v2, 0x1800, v2
	v_ashrrev_i32_e32 v5, 31, v4
	v_ashrrev_i32_e32 v3, 31, v2
	v_lshl_add_u64 v[4:5], v[4:5], 1, s[0:1]
	v_lshl_add_u64 v[2:3], v[2:3], 1, s[0:1]
	;; [unrolled: 1-line block ×3, first 2 shown]
	v_perm_b32 v7, v61, v60, s2
	v_perm_b32 v6, v59, v58, s2
	v_lshl_add_u64 v[0:1], v[2:3], 0, v[0:1]
	v_perm_b32 v3, v53, v52, s2
	v_perm_b32 v2, v51, v50, s2
	global_store_dwordx2 v[4:5], v[6:7], off
	v_perm_b32 v7, v55, v54, s2
	v_perm_b32 v6, v57, v56, s2
	global_store_dwordx2 v[0:1], v[2:3], off
	v_perm_b32 v3, v49, v48, s2
	v_perm_b32 v2, v47, v46, s2
	global_store_dwordx2 v[4:5], v[6:7], off offset:128
	global_store_dwordx2 v[0:1], v[2:3], off offset:128
	s_endpgm
	.section	.rodata,"a",@progbits
	.p2align	6, 0x0
	.amdhsa_kernel _ZN12_GLOBAL__N_139chunk_gated_delta_rule_fwd_h_hip_kernelILi64ELb0ELb1ELb0ELb1ELb1ELb1ELb1ELb1EEEvPK12hip_bfloat16S3_S3_PKfS5_PKvPS1_S8_PvPKiSB_iiiiilll
		.amdhsa_group_segment_fixed_size 65536
		.amdhsa_private_segment_fixed_size 0
		.amdhsa_kernarg_size 136
		.amdhsa_user_sgpr_count 2
		.amdhsa_user_sgpr_dispatch_ptr 0
		.amdhsa_user_sgpr_queue_ptr 0
		.amdhsa_user_sgpr_kernarg_segment_ptr 1
		.amdhsa_user_sgpr_dispatch_id 0
		.amdhsa_user_sgpr_kernarg_preload_length 0
		.amdhsa_user_sgpr_kernarg_preload_offset 0
		.amdhsa_user_sgpr_private_segment_size 0
		.amdhsa_uses_dynamic_stack 0
		.amdhsa_enable_private_segment 0
		.amdhsa_system_sgpr_workgroup_id_x 1
		.amdhsa_system_sgpr_workgroup_id_y 1
		.amdhsa_system_sgpr_workgroup_id_z 0
		.amdhsa_system_sgpr_workgroup_info 0
		.amdhsa_system_vgpr_workitem_id 0
		.amdhsa_next_free_vgpr 228
		.amdhsa_next_free_sgpr 67
		.amdhsa_accum_offset 188
		.amdhsa_reserve_vcc 1
		.amdhsa_float_round_mode_32 0
		.amdhsa_float_round_mode_16_64 0
		.amdhsa_float_denorm_mode_32 3
		.amdhsa_float_denorm_mode_16_64 3
		.amdhsa_dx10_clamp 1
		.amdhsa_ieee_mode 1
		.amdhsa_fp16_overflow 0
		.amdhsa_tg_split 0
		.amdhsa_exception_fp_ieee_invalid_op 0
		.amdhsa_exception_fp_denorm_src 0
		.amdhsa_exception_fp_ieee_div_zero 0
		.amdhsa_exception_fp_ieee_overflow 0
		.amdhsa_exception_fp_ieee_underflow 0
		.amdhsa_exception_fp_ieee_inexact 0
		.amdhsa_exception_int_div_zero 0
	.end_amdhsa_kernel
	.section	.text._ZN12_GLOBAL__N_139chunk_gated_delta_rule_fwd_h_hip_kernelILi64ELb0ELb1ELb0ELb1ELb1ELb1ELb1ELb1EEEvPK12hip_bfloat16S3_S3_PKfS5_PKvPS1_S8_PvPKiSB_iiiiilll,"axG",@progbits,_ZN12_GLOBAL__N_139chunk_gated_delta_rule_fwd_h_hip_kernelILi64ELb0ELb1ELb0ELb1ELb1ELb1ELb1ELb1EEEvPK12hip_bfloat16S3_S3_PKfS5_PKvPS1_S8_PvPKiSB_iiiiilll,comdat
.Lfunc_end6:
	.size	_ZN12_GLOBAL__N_139chunk_gated_delta_rule_fwd_h_hip_kernelILi64ELb0ELb1ELb0ELb1ELb1ELb1ELb1ELb1EEEvPK12hip_bfloat16S3_S3_PKfS5_PKvPS1_S8_PvPKiSB_iiiiilll, .Lfunc_end6-_ZN12_GLOBAL__N_139chunk_gated_delta_rule_fwd_h_hip_kernelILi64ELb0ELb1ELb0ELb1ELb1ELb1ELb1ELb1EEEvPK12hip_bfloat16S3_S3_PKfS5_PKvPS1_S8_PvPKiSB_iiiiilll
                                        ; -- End function
	.section	.AMDGPU.csdata,"",@progbits
; Kernel info:
; codeLenInByte = 12452
; NumSgprs: 73
; NumVgprs: 188
; NumAgprs: 40
; TotalNumVgprs: 228
; ScratchSize: 0
; MemoryBound: 0
; FloatMode: 240
; IeeeMode: 1
; LDSByteSize: 65536 bytes/workgroup (compile time only)
; SGPRBlocks: 9
; VGPRBlocks: 28
; NumSGPRsForWavesPerEU: 73
; NumVGPRsForWavesPerEU: 228
; AccumOffset: 188
; Occupancy: 1
; WaveLimiterHint : 1
; COMPUTE_PGM_RSRC2:SCRATCH_EN: 0
; COMPUTE_PGM_RSRC2:USER_SGPR: 2
; COMPUTE_PGM_RSRC2:TRAP_HANDLER: 0
; COMPUTE_PGM_RSRC2:TGID_X_EN: 1
; COMPUTE_PGM_RSRC2:TGID_Y_EN: 1
; COMPUTE_PGM_RSRC2:TGID_Z_EN: 0
; COMPUTE_PGM_RSRC2:TIDIG_COMP_CNT: 0
; COMPUTE_PGM_RSRC3_GFX90A:ACCUM_OFFSET: 46
; COMPUTE_PGM_RSRC3_GFX90A:TG_SPLIT: 0
	.section	.text._ZN12_GLOBAL__N_139chunk_gated_delta_rule_fwd_h_hip_kernelILi64ELb0ELb0ELb1ELb1ELb1ELb1ELb1ELb1EEEvPK12hip_bfloat16S3_S3_PKfS5_PKvPS1_S8_PvPKiSB_iiiiilll,"axG",@progbits,_ZN12_GLOBAL__N_139chunk_gated_delta_rule_fwd_h_hip_kernelILi64ELb0ELb0ELb1ELb1ELb1ELb1ELb1ELb1EEEvPK12hip_bfloat16S3_S3_PKfS5_PKvPS1_S8_PvPKiSB_iiiiilll,comdat
	.globl	_ZN12_GLOBAL__N_139chunk_gated_delta_rule_fwd_h_hip_kernelILi64ELb0ELb0ELb1ELb1ELb1ELb1ELb1ELb1EEEvPK12hip_bfloat16S3_S3_PKfS5_PKvPS1_S8_PvPKiSB_iiiiilll ; -- Begin function _ZN12_GLOBAL__N_139chunk_gated_delta_rule_fwd_h_hip_kernelILi64ELb0ELb0ELb1ELb1ELb1ELb1ELb1ELb1EEEvPK12hip_bfloat16S3_S3_PKfS5_PKvPS1_S8_PvPKiSB_iiiiilll
	.p2align	8
	.type	_ZN12_GLOBAL__N_139chunk_gated_delta_rule_fwd_h_hip_kernelILi64ELb0ELb0ELb1ELb1ELb1ELb1ELb1ELb1EEEvPK12hip_bfloat16S3_S3_PKfS5_PKvPS1_S8_PvPKiSB_iiiiilll,@function
_ZN12_GLOBAL__N_139chunk_gated_delta_rule_fwd_h_hip_kernelILi64ELb0ELb0ELb1ELb1ELb1ELb1ELb1ELb1EEEvPK12hip_bfloat16S3_S3_PKfS5_PKvPS1_S8_PvPKiSB_iiiiilll: ; @_ZN12_GLOBAL__N_139chunk_gated_delta_rule_fwd_h_hip_kernelILi64ELb0ELb0ELb1ELb1ELb1ELb1ELb1ELb1EEEvPK12hip_bfloat16S3_S3_PKfS5_PKvPS1_S8_PvPKiSB_iiiiilll
; %bb.0:
	s_load_dwordx4 s[16:19], s[0:1], 0x5c
	s_load_dwordx4 s[20:23], s[0:1], 0x70
	s_abs_i32 s25, s3
	s_ashr_i32 s24, s3, 31
	s_load_dwordx4 s[12:15], s[0:1], 0x30
	s_load_dwordx4 s[28:31], s[0:1], 0x48
	s_waitcnt lgkmcnt(0)
	s_abs_i32 s34, s17
	v_cvt_f32_u32_e32 v1, s34
	s_sub_i32 s26, 0, s34
	s_ashr_i32 s35, s17, 31
	s_xor_b32 s24, s24, s35
	v_rcp_iflag_f32_e32 v1, v1
	s_load_dwordx8 s[4:11], s[0:1], 0x0
	v_lshrrev_b32_e32 v87, 6, v0
	v_bfe_u32 v88, v0, 4, 2
	v_mul_f32_e32 v1, 0x4f7ffffe, v1
	v_cvt_u32_f32_e32 v1, v1
	v_lshlrev_b32_e32 v2, 2, v88
	v_and_b32_e32 v86, 63, v0
	v_mov_b32_e32 v47, 0
	v_readfirstlane_b32 s27, v1
	s_mul_i32 s26, s26, s27
	s_mul_hi_u32 s26, s27, s26
	s_add_i32 s27, s27, s26
	s_mul_hi_u32 s26, s25, s27
	s_mul_i32 s27, s26, s34
	s_sub_i32 s25, s25, s27
	s_add_i32 s33, s26, 1
	s_sub_i32 s27, s25, s34
	s_cmp_ge_u32 s25, s34
	s_cselect_b32 s26, s33, s26
	s_cselect_b32 s25, s27, s25
	s_add_i32 s27, s26, 1
	s_cmp_ge_u32 s25, s34
	s_cselect_b32 s25, s27, s26
	s_xor_b32 s25, s25, s24
	s_sub_i32 s24, s25, s24
	s_mul_i32 s25, s24, s17
	s_sub_i32 s33, s3, s25
	s_ashr_i32 s25, s24, 31
	s_lshl_b64 s[26:27], s[24:25], 2
	s_add_u32 s28, s28, s26
	s_addc_u32 s29, s29, s27
	s_add_u32 s26, s30, s26
	s_addc_u32 s27, s31, s27
	s_abs_i32 s3, s18
	v_cvt_f32_u32_e32 v1, s3
	s_load_dwordx2 s[38:39], s[28:29], 0x0
	s_sub_i32 s29, 0, s3
	s_load_dword s48, s[26:27], 0x0
	v_rcp_iflag_f32_e32 v1, v1
	v_and_b32_e32 v45, 15, v0
	s_waitcnt lgkmcnt(0)
	s_sub_i32 s49, s39, s38
	s_ashr_i32 s28, s49, 31
	v_mul_f32_e32 v1, 0x4f7ffffe, v1
	v_cvt_u32_f32_e32 v1, v1
	s_lshr_b32 s28, s28, 26
	s_add_i32 s28, s49, s28
	s_ashr_i32 s47, s28, 6
	v_readfirstlane_b32 s30, v1
	s_mul_i32 s29, s29, s30
	s_mul_hi_u32 s29, s30, s29
	s_add_i32 s30, s30, s29
	s_mul_hi_u32 s29, s34, s30
	s_mul_i32 s30, s29, s3
	s_ashr_i32 s28, s18, 31
	s_sub_i32 s30, s34, s30
	s_xor_b32 s28, s35, s28
	s_add_i32 s31, s29, 1
	s_sub_i32 s34, s30, s3
	s_cmp_ge_u32 s30, s3
	s_cselect_b32 s29, s31, s29
	s_cselect_b32 s30, s34, s30
	s_add_i32 s31, s29, 1
	s_cmp_ge_u32 s30, s3
	s_cselect_b32 s3, s31, s29
	s_xor_b32 s3, s3, s28
	s_sub_i32 s3, s3, s28
	s_abs_i32 s28, s3
	v_cvt_f32_u32_e32 v1, s28
	s_sub_i32 s27, 0, s28
	s_abs_i32 s26, s33
	s_xor_b32 s3, s33, s3
	v_rcp_iflag_f32_e32 v1, v1
	s_ashr_i32 s3, s3, 31
	s_load_dwordx2 s[34:35], s[0:1], 0x80
	s_mul_hi_i32 s50, s33, s16
	v_mul_f32_e32 v1, 0x4f7ffffe, v1
	v_cvt_u32_f32_e32 v1, v1
	s_mul_i32 s51, s33, s16
	v_lshrrev_b32_e32 v90, 3, v86
	v_lshlrev_b32_e32 v89, 3, v0
	v_readfirstlane_b32 s29, v1
	s_mul_i32 s27, s27, s29
	s_mul_hi_u32 s27, s29, s27
	s_add_i32 s29, s29, s27
	s_mul_hi_u32 s27, s26, s29
	s_mul_i32 s29, s27, s28
	s_sub_i32 s26, s26, s29
	s_add_i32 s29, s27, 1
	s_sub_i32 s30, s26, s28
	s_cmp_ge_u32 s26, s28
	s_cselect_b32 s27, s29, s27
	s_cselect_b32 s26, s30, s26
	s_add_i32 s29, s27, 1
	s_cmp_ge_u32 s26, s28
	s_cselect_b32 s26, s29, s27
	s_xor_b32 s26, s26, s3
	v_lshlrev_b32_e32 v1, 4, v87
	s_sub_i32 s52, s26, s3
	v_or_b32_e32 v91, v2, v1
	s_lshl_b32 s36, s2, 6
	v_or_b32_e32 v92, 64, v91
	s_cmp_lt_i32 s49, 64
	s_mul_i32 s44, s24, s21
	s_mul_hi_u32 s45, s24, s20
	s_mul_i32 s46, s25, s20
	s_mul_i32 s20, s24, s20
	v_mov_b32_e32 v46, v47
	v_mov_b32_e32 v53, v47
	;; [unrolled: 1-line block ×31, first 2 shown]
	s_cbranch_scc1 .LBB7_18
; %bb.1:
	s_ashr_i32 s55, s33, 31
	s_ashr_i32 s3, s38, 31
	s_add_u32 s2, s51, s38
	s_addc_u32 s3, s50, s3
	s_lshl_b64 s[2:3], s[2:3], 8
	v_and_b32_e32 v94, 56, v89
	s_add_u32 s24, s6, s2
	v_lshl_or_b32 v93, v87, 3, v90
	v_lshlrev_b32_e32 v3, 1, v94
	s_addc_u32 s2, s7, s3
	v_lshl_or_b32 v95, v93, 8, v3
	s_and_b32 s25, s2, 0xffff
	s_mov_b32 s27, 0x20000
	s_movk_i32 s26, 0x4000
	s_movk_i32 s2, 0x80
	v_or_b32_e32 v96, 0x2000, v95
	buffer_load_dwordx4 v[4:7], v95, s[24:27], 0 offen
	buffer_load_dwordx4 v[8:11], v95, s[24:27], s2 offen
	;; [unrolled: 1-line block ×4, first 2 shown]
	v_lshlrev_b32_e32 v20, 3, v93
	v_and_or_b32 v22, v0, 7, v20
	v_and_b32_e32 v20, 0x78, v20
	v_lshlrev_b32_e32 v22, 4, v22
	v_xor_b32_e32 v97, v22, v20
	v_mul_lo_u32 v21, v93, s19
	v_or_b32_e32 v98, 0x1000, v97
	s_cmpk_eq_i32 s19, 0x80
	s_mov_b32 s53, s17
	s_mov_b32 s54, s38
	v_xor_b32_e32 v20, 8, v97
	v_xor_b32_e32 v22, 8, v98
	s_cselect_b64 s[2:3], -1, 0
	s_cmpk_lg_i32 s19, 0x80
	s_waitcnt vmcnt(3)
	ds_write_b64 v97, v[4:5] offset:49152
	ds_write_b64 v20, v[6:7] offset:49152
	s_waitcnt vmcnt(2)
	ds_write_b64 v97, v[8:9] offset:57344
	ds_write_b64 v20, v[10:11] offset:57344
	;; [unrolled: 3-line block ×4, first 2 shown]
	v_lshl_add_u32 v4, v21, 1, v94
	s_cbranch_scc0 .LBB7_3
; %bb.2:
	v_lshlrev_b32_e32 v6, 1, v4
	v_add_lshl_u32 v5, v4, s19, 1
	s_lshl_b32 s26, s19, 7
	s_load_dwordx2 s[40:41], s[0:1], 0x20
	v_lshl_or_b32 v3, v93, 9, v3
	s_cbranch_execz .LBB7_4
	s_branch .LBB7_5
.LBB7_3:
                                        ; implicit-def: $vgpr5
                                        ; implicit-def: $vgpr6
                                        ; implicit-def: $sgpr26
	s_load_dwordx2 s[40:41], s[0:1], 0x20
	v_lshl_or_b32 v3, v93, 9, v3
.LBB7_4:
	v_or_b32_e32 v5, 0x100, v3
	s_movk_i32 s26, 0x4000
	v_mov_b32_e32 v6, v3
.LBB7_5:
	s_mul_i32 s0, s38, s18
	s_ashr_i32 s56, s52, 31
	s_mul_hi_i32 s1, s38, s18
	s_add_u32 s0, s0, s52
	s_addc_u32 s1, s1, s56
	s_lshl_b64 s[0:1], s[0:1], 8
	s_add_u32 s24, s4, s0
	s_addc_u32 s0, s5, s1
	s_and_b32 s25, s0, 0xffff
	s_movk_i32 s57, 0x80
	buffer_load_dwordx4 v[8:11], v6, s[24:27], 0 offen
	buffer_load_dwordx4 v[12:15], v6, s[24:27], s57 offen
	;; [unrolled: 1-line block ×4, first 2 shown]
	v_and_b32_e32 v5, 6, v0
	v_lshlrev_b32_e32 v6, 7, v91
	v_xor_b32_e32 v28, v93, v5
	v_and_b32_e32 v7, 1, v0
	v_lshl_or_b32 v31, v45, 3, v6
	v_lshlrev_b32_e32 v28, 2, v28
	v_lshlrev_b32_e32 v24, 2, v45
	v_or_b32_e32 v99, 0x4000, v31
	v_or_b32_e32 v100, 0x6000, v31
	v_xor_b32_e32 v31, 0x440, v28
	v_cmp_eq_u32_e32 vcc, 0, v7
	v_or_b32_e32 v26, 16, v45
	v_or_b32_e32 v27, 32, v45
	v_xor_b32_e32 v29, v91, v24
	v_xor_b32_e32 v30, v92, v24
	v_cndmask_b32_e32 v7, v31, v28, vcc
	s_add_i32 s0, s45, s44
	s_mov_b32 s58, 0x1000504
	v_lshl_or_b32 v32, v26, 3, v6
	v_lshlrev_b32_e32 v26, 8, v26
	v_lshl_or_b32 v33, v27, 3, v6
	v_lshlrev_b32_e32 v29, 1, v29
	v_lshlrev_b32_e32 v30, 1, v30
	v_lshl_or_b32 v5, v5, 10, v7
	s_add_i32 s21, s0, s46
	s_mul_i32 s0, s33, s23
	s_mul_hi_u32 s1, s33, s22
	s_mov_b32 s59, 0x3020706
	v_lshlrev_b32_e32 v25, 8, v45
	v_or_b32_e32 v103, 0x4000, v33
	v_or_b32_e32 v104, 0x6000, v33
	;; [unrolled: 1-line block ×4, first 2 shown]
	v_xor_b32_e32 v7, 8, v5
	v_xor_b32_e32 v26, 24, v5
	;; [unrolled: 1-line block ×4, first 2 shown]
	s_add_i32 s0, s1, s0
	s_mul_i32 s1, s55, s22
	v_or_b32_e32 v101, 0x4000, v32
	v_or_b32_e32 v102, 0x6000, v32
	;; [unrolled: 1-line block ×4, first 2 shown]
	v_xor_b32_e32 v25, 16, v5
	v_xor_b32_e32 v28, 32, v5
	v_xor_b32_e32 v32, 48, v5
	v_add_u32_e32 v7, 0x80, v7
	v_add_u32_e32 v26, 0x80, v26
	;; [unrolled: 1-line block ×4, first 2 shown]
	s_add_i32 s1, s0, s1
	s_lshl_b64 s[24:25], s[20:21], 2
	s_mul_i32 s0, s33, s22
	s_add_u32 s21, s10, s24
	s_addc_u32 s24, s11, s25
	s_lshl_b64 s[0:1], s[0:1], 2
	s_add_u32 s42, s21, s0
	s_movk_i32 s0, 0xf8
	s_addc_u32 s43, s24, s1
	s_ashr_i32 s37, s36, 31
	s_lshl_b32 s30, s19, 7
	v_mov_b32_e32 v79, 0
	s_movk_i32 s21, 0x100
	v_lshlrev_b32_e32 v78, 4, v45
	v_lshlrev_b32_e32 v27, 8, v27
	s_mov_b32 s61, 0
	s_movk_i32 s26, 0x4000
	v_or_b32_e32 v109, v27, v29
	v_or_b32_e32 v110, v27, v30
	v_add_u32_e32 v136, v1, v2
	s_movk_i32 s60, 0x3000
	v_mov_b32_e32 v70, v79
	v_mov_b32_e32 v71, v79
	;; [unrolled: 1-line block ×7, first 2 shown]
	s_waitcnt vmcnt(1)
	v_perm_b32 v34, v8, v16, s58
	s_waitcnt vmcnt(0)
	v_perm_b32 v35, v12, v20, s58
	v_perm_b32 v8, v8, v16, s59
	;; [unrolled: 1-line block ×15, first 2 shown]
	ds_write2st64_b32 v5, v34, v35 offset0:128 offset1:160
	ds_write2st64_b32 v7, v8, v12 offset0:128 offset1:160
	;; [unrolled: 1-line block ×8, first 2 shown]
	v_or_b32_e32 v5, 48, v45
	v_lshl_or_b32 v7, v5, 3, v6
	v_lshlrev_b32_e32 v5, 8, v5
	v_or_b32_e32 v113, v5, v29
	v_or_b32_e32 v114, v5, v30
	;; [unrolled: 1-line block ×3, first 2 shown]
	v_lshlrev_b32_e32 v5, 3, v5
	v_lshrrev_b32_e32 v9, 5, v86
	v_and_or_b32 v9, v5, s0, v9
	v_lshlrev_b32_e32 v9, 4, v9
	v_lshlrev_b32_e32 v11, 11, v87
	v_and_b32_e32 v5, 0x78, v5
	v_or_b32_e32 v14, 32, v9
	v_and_b32_e32 v8, 0x1000, v11
	v_xor_b32_e32 v10, v9, v5
	v_lshrrev_b32_e32 v12, 1, v86
	v_xor_b32_e32 v14, v14, v5
	v_or_b32_e32 v10, v10, v8
	v_and_b32_e32 v12, 8, v12
	v_or_b32_e32 v14, v14, v8
	v_xor_b32_e32 v115, v10, v12
	v_lshlrev_b32_e32 v10, 8, v88
	v_xor_b32_e32 v117, v14, v12
	v_or_b32_e32 v14, 64, v9
	v_or_b32_e32 v9, 0x60, v9
	;; [unrolled: 1-line block ×3, first 2 shown]
	v_xor_b32_e32 v14, v14, v5
	v_xor_b32_e32 v5, v9, v5
	v_lshlrev_b32_e32 v13, 1, v13
	v_or_b32_e32 v14, v14, v8
	v_or_b32_e32 v5, v5, v8
	s_lshl_b64 s[0:1], s[36:37], 8
	v_or_b32_e32 v116, 0x4000, v13
	v_or_b32_e32 v118, 0x4080, v13
	;; [unrolled: 1-line block ×4, first 2 shown]
	v_xor_b32_e32 v121, v14, v12
	v_xor_b32_e32 v122, v5, v12
	v_or_b32_e32 v123, 0x6000, v13
	v_or_b32_e32 v124, 0x6080, v13
	;; [unrolled: 1-line block ×4, first 2 shown]
	v_lshlrev_b32_e32 v12, 1, v4
	v_add_lshl_u32 v13, v4, s19, 1
	s_add_u32 s0, s12, s0
	v_lshlrev_b32_e32 v4, 1, v45
	v_lshrrev_b32_e32 v15, 4, v0
	s_addc_u32 s1, s13, s1
	v_or_b32_e32 v5, 1, v4
	v_lshlrev_b32_e32 v18, 2, v0
	v_or_b32_e32 v14, 0x100, v3
	v_xor_b32_e32 v16, v15, v4
	v_xor_b32_e32 v17, v5, v15
	v_lshl_add_u64 v[4:5], s[0:1], 0, v[78:79]
	v_lshlrev_b32_e32 v78, 8, v15
	v_lshrrev_b32_e32 v19, 1, v0
	v_and_or_b32 v10, v18, 60, v10
	v_cndmask_b32_e64 v133, v12, v3, s[2:3]
	v_mov_b32_e32 v3, 0xa000
	v_mov_b32_e32 v12, 0x8000
	v_cmp_gt_u32_e64 s[0:1], s21, v0
	v_lshl_or_b32 v127, v16, 3, v78
	v_and_b32_e32 v16, 8, v0
	v_and_b32_e32 v19, 24, v19
	v_lshlrev_b32_e32 v10, 1, v10
	v_cndmask_b32_e64 v3, v3, v12, s[0:1]
	v_lshlrev_b32_e32 v12, 3, v87
	v_or_b32_e32 v129, 0x6000, v10
	v_or_b32_e32 v130, 0x6080, v10
	;; [unrolled: 1-line block ×4, first 2 shown]
	v_mov_b32_e32 v10, 0x400
	v_cmp_eq_u32_e32 vcc, 0, v16
	v_cndmask_b32_e64 v134, v13, v14, s[2:3]
	v_xor_b32_e32 v13, v12, v19
	v_and_b32_e32 v15, 7, v0
	v_cndmask_b32_e64 v16, v10, 64, vcc
	v_or_b32_e32 v14, 0x440, v13
	v_lshl_or_b32 v128, v17, 3, v78
	v_lshlrev_b32_e32 v17, 3, v15
	v_or_b32_e32 v18, 32, v19
	v_or_b32_e32 v20, 0x60, v19
	v_cndmask_b32_e32 v14, v14, v13, vcc
	v_or3_b32 v13, v11, v16, v13
	v_lshlrev_b32_e32 v15, 7, v15
	v_xor_b32_e32 v18, v12, v18
	v_xor_b32_e32 v13, v13, v17
	;; [unrolled: 1-line block ×3, first 2 shown]
	v_or_b32_e32 v21, 0x440, v18
	v_or_b32_e32 v135, v13, v15
	v_xor_b32_e32 v13, 0x440, v12
	v_cndmask_b32_e32 v18, v21, v18, vcc
	v_cndmask_b32_e32 v12, v13, v12, vcc
	v_or_b32_e32 v111, 0x4000, v7
	v_or_b32_e32 v112, 0x6000, v7
	v_lshrrev_b32_e32 v7, 2, v86
	v_or_b32_e32 v8, s36, v45
	v_or_b32_e32 v14, v14, v11
	;; [unrolled: 1-line block ×4, first 2 shown]
	v_and_b32_e32 v7, 12, v7
	v_ashrrev_i32_e32 v9, 31, v8
	v_xor_b32_e32 v14, v14, v17
	v_xor_b32_e32 v18, v18, v17
	;; [unrolled: 1-line block ×3, first 2 shown]
	v_or_b32_e32 v10, v1, v7
	v_add_u32_e32 v19, v3, v14
	v_add_u32_e32 v21, v3, v18
	;; [unrolled: 1-line block ×3, first 2 shown]
	v_or3_b32 v12, v1, v7, 64
	v_add_u32_e32 v7, 0xa000, v14
	v_add_u32_e32 v14, 0xa000, v18
	;; [unrolled: 1-line block ×3, first 2 shown]
	v_lshlrev_b64 v[8:9], 1, v[8:9]
	v_lshl_add_u64 v[80:81], s[8:9], 0, v[8:9]
	v_lshl_add_u64 v[82:83], s[14:15], 0, v[8:9]
	;; [unrolled: 1-line block ×3, first 2 shown]
	s_mov_b32 s21, 0x7060302
	v_lshlrev_b32_e32 v78, 1, v6
	s_movk_i32 s37, 0x2000
	v_lshlrev_b32_e32 v137, 2, v10
	v_add_u32_e32 v138, v19, v15
	v_add_u32_e32 v139, v21, v15
	;; [unrolled: 1-line block ×4, first 2 shown]
	v_lshlrev_b32_e32 v142, 2, v12
	v_add_u32_e32 v143, v7, v15
	v_add_u32_e32 v144, v14, v15
	;; [unrolled: 1-line block ×3, first 2 shown]
	v_mov_b32_e32 v77, v79
	v_mov_b32_e32 v62, v79
	;; [unrolled: 1-line block ×25, first 2 shown]
	s_waitcnt lgkmcnt(0)
	s_barrier
.LBB7_6:                                ; =>This Inner Loop Header: Depth=1
	s_add_i32 s62, s61, 1
	s_cmp_lt_i32 s62, s47
	s_mov_b64 s[28:29], 0
	s_cselect_b64 s[2:3], -1, 0
	s_cmp_ge_i32 s62, s47
	s_mov_b64 s[24:25], 0
	s_cbranch_scc1 .LBB7_8
; %bb.7:                                ;   in Loop: Header=BB7_6 Depth=1
	s_add_i32 s0, s54, 64
	s_ashr_i32 s1, s0, 31
	s_add_u32 s0, s51, s0
	s_addc_u32 s1, s50, s1
	s_lshl_b64 s[0:1], s[0:1], 8
	s_add_u32 s24, s6, s0
	s_addc_u32 s25, s7, s1
.LBB7_8:                                ;   in Loop: Header=BB7_6 Depth=1
	v_cndmask_b32_e64 v2, 0, 1, s[2:3]
	v_cmp_ne_u32_e64 s[0:1], 1, v2
	s_andn2_b64 vcc, exec, s[2:3]
	s_cbranch_vccnz .LBB7_10
; %bb.9:                                ;   in Loop: Header=BB7_6 Depth=1
	s_add_i32 s2, s54, 64
	s_mul_hi_i32 s3, s2, s18
	s_mul_i32 s2, s2, s18
	s_add_u32 s2, s2, s52
	s_addc_u32 s3, s3, s56
	s_lshl_b64 s[2:3], s[2:3], 8
	s_add_u32 s28, s4, s2
	s_addc_u32 s29, s5, s3
.LBB7_10:                               ;   in Loop: Header=BB7_6 Depth=1
	v_perm_b32 v3, v77, v76, s21
	v_perm_b32 v2, v75, v74, s21
	v_perm_b32 v5, v73, v72, s21
	v_perm_b32 v4, v71, v70, s21
	ds_write_b64 v99, v[2:3]
	ds_write_b64 v100, v[4:5]
	ds_write_b64 v105, v[2:3]
	ds_write_b64 v106, v[4:5]
	v_perm_b32 v3, v69, v68, s21
	v_perm_b32 v2, v67, v66, s21
	v_perm_b32 v5, v65, v64, s21
	v_perm_b32 v4, v63, v62, s21
	ds_write_b64 v101, v[2:3]
	ds_write_b64 v102, v[4:5]
	ds_write_b64 v107, v[2:3]
	ds_write_b64 v108, v[4:5]
	;; [unrolled: 8-line block ×4, first 2 shown]
	s_waitcnt lgkmcnt(0)
	s_barrier
	ds_read_b64 v[6:7], v115 offset:49152
	ds_read2_b64 v[2:5], v116 offset1:16
	ds_read_b64 v[18:19], v118 offset:6144
	ds_read_b64 v[20:21], v116 offset:6144
	s_waitcnt lgkmcnt(2)
	v_mfma_f32_16x16x16_bf16 a[0:3], v[6:7], v[2:3], 0
	ds_read_b64 v[22:23], v117 offset:49152
	ds_read2st64_b64 v[10:13], v119 offset0:4 offset1:8
	ds_read2st64_b64 v[14:17], v120 offset0:4 offset1:8
	v_mfma_f32_16x16x16_bf16 a[4:7], v[6:7], v[4:5], 0
	ds_read2_b64 v[2:5], v116 offset0:32 offset1:48
	s_add_i32 s63, s54, 63
	s_ashr_i32 s2, s63, 31
	s_waitcnt lgkmcnt(0)
	v_mfma_f32_16x16x16_bf16 a[8:11], v[6:7], v[2:3], 0
	s_mul_i32 s3, s63, s35
	s_mul_hi_u32 s31, s63, s34
	s_add_i32 s3, s31, s3
	v_mfma_f32_16x16x16_bf16 a[12:15], v[6:7], v[4:5], 0
	ds_read2st64_b64 v[2:5], v116 offset0:4 offset1:8
	ds_read2st64_b64 v[6:9], v118 offset0:4 offset1:8
	s_mul_i32 s2, s2, s34
	s_waitcnt lgkmcnt(1)
	v_mfma_f32_16x16x16_bf16 a[0:3], v[22:23], v[2:3], a[0:3]
	s_add_i32 s3, s3, s2
	s_mul_i32 s2, s63, s34
	s_lshl_b64 s[2:3], s[2:3], 2
	s_waitcnt lgkmcnt(0)
	v_mfma_f32_16x16x16_bf16 a[4:7], v[22:23], v[6:7], a[4:7]
	s_add_u32 s2, s42, s2
	s_addc_u32 s3, s43, s3
	s_and_b64 vcc, exec, s[0:1]
	v_mfma_f32_16x16x16_bf16 a[8:11], v[22:23], v[10:11], a[8:11]
	ds_read_b64 v[2:3], v121 offset:49152
	ds_read_b64 v[6:7], v122 offset:49152
	;; [unrolled: 1-line block ×3, first 2 shown]
	v_mov_b32_e32 v148, 0
	v_mov_b32_e32 v147, 0
	v_mfma_f32_16x16x16_bf16 a[12:15], v[22:23], v[14:15], a[12:15]
	v_mov_b32_e32 v146, 0
	v_mov_b32_e32 v14, 0
	v_mov_b32_e32 v15, 0
	s_waitcnt lgkmcnt(2)
	v_mfma_f32_16x16x16_bf16 a[0:3], v[2:3], v[4:5], a[0:3]
	v_mov_b32_e32 v4, 0
	v_mov_b32_e32 v5, 0
	v_mfma_f32_16x16x16_bf16 a[16:19], v[2:3], v[8:9], a[4:7]
	v_mov_b32_e32 v8, 0
	v_mov_b32_e32 v9, 0
	;; [unrolled: 3-line block ×3, first 2 shown]
	v_mfma_f32_16x16x16_bf16 a[24:27], v[2:3], v[16:17], a[12:15]
	ds_read_b64 v[2:3], v119 offset:6144
	v_mov_b32_e32 v16, 0
	v_mov_b32_e32 v17, 0
	s_waitcnt lgkmcnt(2)
	v_mfma_f32_16x16x16_bf16 a[4:7], v[6:7], v[20:21], a[0:3]
	v_mfma_f32_16x16x16_bf16 a[8:11], v[6:7], v[18:19], a[16:19]
	s_waitcnt lgkmcnt(0)
	v_mfma_f32_16x16x16_bf16 a[12:15], v[6:7], v[2:3], a[20:23]
	v_mov_b32_e32 v2, 0
	v_mov_b32_e32 v3, 0
	v_mfma_f32_16x16x16_bf16 a[0:3], v[6:7], v[10:11], a[24:27]
	v_mov_b32_e32 v6, 0
	v_mov_b32_e32 v7, 0
	;; [unrolled: 1-line block ×4, first 2 shown]
	s_cbranch_vccnz .LBB7_12
; %bb.11:                               ;   in Loop: Header=BB7_6 Depth=1
	s_and_b32 s25, s25, 0xffff
	buffer_load_dwordx4 v[14:17], v95, s[24:27], 0 offen
	buffer_load_dwordx4 v[10:13], v95, s[24:27], s57 offen
	;; [unrolled: 1-line block ×4, first 2 shown]
	v_mov_b32_e32 v147, v97
	v_mov_b32_e32 v146, v98
.LBB7_12:                               ;   in Loop: Header=BB7_6 Depth=1
	ds_read_b64 v[30:31], v115 offset:57344
	ds_read2_b64 v[18:21], v123 offset1:16
	ds_read_b64 v[34:35], v117 offset:57344
	ds_read_b64 v[36:37], v121 offset:57344
	;; [unrolled: 1-line block ×3, first 2 shown]
	v_add_u32_e32 v32, s54, v136
	s_waitcnt lgkmcnt(3)
	v_mfma_f32_16x16x16_bf16 a[4:7], v[30:31], v[18:19], a[4:7]
	v_mfma_f32_16x16x16_bf16 a[8:11], v[30:31], v[20:21], a[8:11]
	ds_read2_b64 v[18:21], v123 offset0:32 offset1:48
	ds_read2st64_b64 v[22:25], v123 offset0:4 offset1:8
	ds_read2st64_b64 v[26:29], v124 offset0:4 offset1:8
	s_waitcnt lgkmcnt(2)
	v_mfma_f32_16x16x16_bf16 a[12:15], v[30:31], v[18:19], a[12:15]
	v_ashrrev_i32_e32 v18, 31, v32
	v_mul_lo_u32 v33, v18, s34
	v_mad_u64_u32 v[18:19], s[24:25], v32, s34, 0
	v_mfma_f32_16x16x16_bf16 a[0:3], v[30:31], v[20:21], a[0:3]
	v_mul_lo_u32 v20, v32, s35
	v_add3_u32 v19, v19, v20, v33
	v_add_u32_e32 v20, 1, v32
	v_ashrrev_i32_e32 v21, 31, v20
	s_waitcnt lgkmcnt(1)
	v_mfma_f32_16x16x16_bf16 a[4:7], v[34:35], v[22:23], a[4:7]
	v_mul_lo_u32 v22, v21, s34
	v_mul_lo_u32 v23, v20, s35
	v_mad_u64_u32 v[20:21], s[24:25], v20, s34, 0
	v_add3_u32 v21, v21, v23, v22
	v_add_u32_e32 v22, 2, v32
	v_ashrrev_i32_e32 v23, 31, v22
	v_mul_lo_u32 v30, v23, s34
	v_mul_lo_u32 v31, v22, s35
	v_mad_u64_u32 v[22:23], s[24:25], v22, s34, 0
	v_add3_u32 v23, v23, v31, v30
	v_add_u32_e32 v30, 3, v32
	v_ashrrev_i32_e32 v31, 31, v30
	v_mul_lo_u32 v32, v31, s34
	v_mul_lo_u32 v33, v30, s35
	v_mad_u64_u32 v[30:31], s[24:25], v30, s34, 0
	s_ashr_i32 s25, s54, 31
	s_add_u32 s24, s51, s54
	s_addc_u32 s25, s50, s25
	v_lshl_add_u64 v[18:19], v[18:19], 2, s[42:43]
	v_add3_u32 v31, v31, v33, v32
	s_lshl_b64 s[24:25], s[24:25], 8
	v_lshl_add_u64 v[20:21], v[20:21], 2, s[42:43]
	v_lshl_add_u64 v[22:23], v[22:23], 2, s[42:43]
	;; [unrolled: 1-line block ×3, first 2 shown]
	global_load_dword v40, v[18:19], off
	global_load_dword v41, v[20:21], off
	;; [unrolled: 1-line block ×4, first 2 shown]
	v_lshl_add_u64 v[18:19], v[80:81], 0, s[24:25]
	v_lshl_add_u64 v[22:23], v[18:19], 0, v[78:79]
	global_load_ushort v44, v[22:23], off offset:256
	global_load_ushort v149, v[22:23], off
	ds_read2st64_b64 v[18:21], v125 offset0:4 offset1:8
	global_load_ushort v150, v[22:23], off offset:768
	global_load_ushort v151, v[22:23], off offset:512
	ds_read2st64_b64 v[30:33], v126 offset0:4 offset1:8
	global_load_ushort v152, v[22:23], off offset:288
	global_load_ushort v153, v[22:23], off offset:32
	;; [unrolled: 1-line block ×4, first 2 shown]
	s_waitcnt lgkmcnt(2)
	v_mfma_f32_16x16x16_bf16 a[8:11], v[34:35], v[26:27], a[8:11]
	global_load_ushort v156, v[22:23], off offset:320
	global_load_ushort v157, v[22:23], off offset:64
	;; [unrolled: 1-line block ×4, first 2 shown]
	s_and_b64 vcc, exec, s[0:1]
	s_waitcnt lgkmcnt(1)
	v_mfma_f32_16x16x16_bf16 a[12:15], v[34:35], v[18:19], a[12:15]
	ds_read_b64 v[18:19], v123 offset:6144
	s_waitcnt lgkmcnt(1)
	v_mfma_f32_16x16x16_bf16 a[0:3], v[34:35], v[30:31], a[0:3]
	v_lshl_add_u64 v[30:31], v[82:83], 0, s[24:25]
	v_lshl_add_u64 v[30:31], v[30:31], 0, v[78:79]
	v_mfma_f32_16x16x16_bf16 a[4:7], v[36:37], v[24:25], a[4:7]
	v_mfma_f32_16x16x16_bf16 a[8:11], v[36:37], v[28:29], a[8:11]
	v_mfma_f32_16x16x16_bf16 a[12:15], v[36:37], v[20:21], a[12:15]
	v_mfma_f32_16x16x16_bf16 a[0:3], v[36:37], v[32:33], a[0:3]
	global_load_ushort v36, v[22:23], off offset:352
	global_load_ushort v37, v[22:23], off offset:96
	ds_read_b64 v[20:21], v124 offset:6144
	ds_read_b64 v[24:25], v125 offset:6144
	;; [unrolled: 1-line block ×3, first 2 shown]
	s_load_dword s2, s[2:3], 0x0
	global_load_ushort v160, v[22:23], off offset:864
	global_load_ushort v161, v[22:23], off offset:608
	s_waitcnt lgkmcnt(0)
	v_mfma_f32_16x16x16_bf16 a[4:7], v[38:39], v[18:19], a[4:7]
	s_waitcnt vmcnt(17)
	v_sub_f32_e32 v28, s2, v42
	v_mfma_f32_16x16x16_bf16 a[0:3], v[38:39], v[26:27], a[0:3]
	v_sub_f32_e32 v26, s2, v40
	v_sub_f32_e32 v27, s2, v41
	s_waitcnt vmcnt(16)
	v_sub_f32_e32 v29, s2, v43
	v_mfma_f32_16x16x16_bf16 a[8:11], v[38:39], v[20:21], a[8:11]
	v_exp_f32_e32 v26, v26
	v_exp_f32_e32 v27, v27
	;; [unrolled: 1-line block ×4, first 2 shown]
	v_accvgpr_read_b32 v35, a5
	s_waitcnt vmcnt(15)
	v_lshlrev_b32_e32 v33, 16, v44
	s_waitcnt vmcnt(14)
	v_lshlrev_b32_e32 v32, 16, v149
	v_accvgpr_read_b32 v34, a4
	v_accvgpr_read_b32 v19, a7
	;; [unrolled: 1-line block ×3, first 2 shown]
	v_pk_add_f32 v[32:33], v[32:33], v[34:35] neg_lo:[0,1] neg_hi:[0,1]
	s_waitcnt vmcnt(13)
	v_lshlrev_b32_e32 v35, 16, v150
	s_waitcnt vmcnt(12)
	v_lshlrev_b32_e32 v34, 16, v151
	v_pk_add_f32 v[18:19], v[34:35], v[18:19] neg_lo:[0,1] neg_hi:[0,1]
	global_store_short_d16_hi v[30:31], v32, off
	global_store_short_d16_hi v[30:31], v33, off offset:256
	global_store_short_d16_hi v[30:31], v18, off offset:512
	;; [unrolled: 1-line block ×3, first 2 shown]
	v_pk_mul_f32 v[32:33], v[26:27], v[32:33]
	v_pk_mul_f32 v[18:19], v[28:29], v[18:19]
	v_accvgpr_read_b32 v35, a9
	v_perm_b32 v32, v33, v32, s21
	v_perm_b32 v33, v19, v18, s21
	s_waitcnt vmcnt(15)
	v_lshlrev_b32_e32 v19, 16, v152
	s_waitcnt vmcnt(14)
	v_lshlrev_b32_e32 v18, 16, v153
	v_accvgpr_read_b32 v34, a8
	v_accvgpr_read_b32 v21, a11
	v_mfma_f32_16x16x16_bf16 a[12:15], v[38:39], v[24:25], a[12:15]
	v_accvgpr_read_b32 v20, a10
	v_pk_add_f32 v[18:19], v[18:19], v[34:35] neg_lo:[0,1] neg_hi:[0,1]
	s_waitcnt vmcnt(13)
	v_lshlrev_b32_e32 v35, 16, v154
	s_waitcnt vmcnt(12)
	v_lshlrev_b32_e32 v34, 16, v155
	v_pk_add_f32 v[20:21], v[34:35], v[20:21] neg_lo:[0,1] neg_hi:[0,1]
	global_store_short_d16_hi v[30:31], v18, off offset:32
	global_store_short_d16_hi v[30:31], v19, off offset:288
	global_store_short_d16_hi v[30:31], v20, off offset:544
	global_store_short_d16_hi v[30:31], v21, off offset:800
	v_pk_mul_f32 v[18:19], v[26:27], v[18:19]
	v_pk_mul_f32 v[20:21], v[28:29], v[20:21]
	v_accvgpr_read_b32 v23, a15
	v_perm_b32 v21, v21, v20, s21
	v_perm_b32 v20, v19, v18, s21
	ds_write2_b64 v100, v[32:33], v[20:21] offset1:16
	v_accvgpr_read_b32 v21, a13
	s_waitcnt vmcnt(15)
	v_lshlrev_b32_e32 v19, 16, v156
	s_waitcnt vmcnt(14)
	v_lshlrev_b32_e32 v18, 16, v157
	v_accvgpr_read_b32 v20, a12
	v_accvgpr_read_b32 v22, a14
	v_pk_add_f32 v[18:19], v[18:19], v[20:21] neg_lo:[0,1] neg_hi:[0,1]
	s_waitcnt vmcnt(13)
	v_lshlrev_b32_e32 v21, 16, v158
	s_waitcnt vmcnt(12)
	v_lshlrev_b32_e32 v20, 16, v159
	v_pk_add_f32 v[20:21], v[20:21], v[22:23] neg_lo:[0,1] neg_hi:[0,1]
	global_store_short_d16_hi v[30:31], v18, off offset:64
	global_store_short_d16_hi v[30:31], v19, off offset:320
	;; [unrolled: 1-line block ×4, first 2 shown]
	v_pk_mul_f32 v[18:19], v[26:27], v[18:19]
	v_pk_mul_f32 v[20:21], v[28:29], v[20:21]
	v_accvgpr_read_b32 v23, a1
	v_perm_b32 v18, v19, v18, s21
	v_perm_b32 v19, v21, v20, s21
	s_waitcnt vmcnt(15)
	v_lshlrev_b32_e32 v21, 16, v36
	s_waitcnt vmcnt(14)
	v_lshlrev_b32_e32 v20, 16, v37
	v_accvgpr_read_b32 v22, a0
	v_accvgpr_read_b32 v25, a3
	;; [unrolled: 1-line block ×3, first 2 shown]
	v_pk_add_f32 v[20:21], v[20:21], v[22:23] neg_lo:[0,1] neg_hi:[0,1]
	s_waitcnt vmcnt(13)
	v_lshlrev_b32_e32 v23, 16, v160
	s_waitcnt vmcnt(12)
	v_lshlrev_b32_e32 v22, 16, v161
	v_pk_add_f32 v[22:23], v[22:23], v[24:25] neg_lo:[0,1] neg_hi:[0,1]
	global_store_short_d16_hi v[30:31], v20, off offset:96
	global_store_short_d16_hi v[30:31], v21, off offset:352
	;; [unrolled: 1-line block ×4, first 2 shown]
	v_pk_mul_f32 v[20:21], v[26:27], v[20:21]
	v_pk_mul_f32 v[22:23], v[28:29], v[22:23]
	v_mov_b32_e32 v149, 0
	v_perm_b32 v23, v23, v22, s21
	v_perm_b32 v22, v21, v20, s21
	ds_write2_b64 v100, v[18:19], v[22:23] offset0:32 offset1:48
	v_mov_b32_e32 v18, 0
	v_mov_b32_e32 v19, 0
	;; [unrolled: 1-line block ×16, first 2 shown]
	s_cbranch_vccnz .LBB7_14
; %bb.13:                               ;   in Loop: Header=BB7_6 Depth=1
	s_and_b32 s29, s29, 0xffff
	s_mov_b32 s31, s27
	buffer_load_dwordx4 v[30:33], v133, s[28:31], 0 offen
	buffer_load_dwordx4 v[22:25], v133, s[28:31], s57 offen
	;; [unrolled: 1-line block ×4, first 2 shown]
	v_mov_b32_e32 v148, v94
	v_mov_b32_e32 v149, v93
.LBB7_14:                               ;   in Loop: Header=BB7_6 Depth=1
	s_waitcnt lgkmcnt(0)
	s_barrier
	ds_read_b64 v[42:43], v138
	ds_read2_b64 v[34:37], v129 offset1:16
	ds_read_b64 v[166:167], v139
	ds_read_b64 v[168:169], v140
	;; [unrolled: 1-line block ×3, first 2 shown]
	ds_read2_b64 v[38:41], v129 offset0:32 offset1:48
	ds_read2st64_b64 v[150:153], v129 offset0:4 offset1:8
	ds_read2st64_b64 v[154:157], v130 offset0:4 offset1:8
	;; [unrolled: 1-line block ×4, first 2 shown]
	s_waitcnt lgkmcnt(8)
	v_mfma_f32_16x16x16_bf16 a[0:3], v[42:43], v[34:35], 0
	s_add_i32 s3, s48, s61
	s_mul_hi_i32 s25, s3, s53
	s_mul_i32 s3, s3, s53
	v_mfma_f32_16x16x16_bf16 a[4:7], v[42:43], v[36:37], 0
	s_add_u32 s24, s3, s33
	s_addc_u32 s25, s25, s55
	s_lshl_b64 s[24:25], s[24:25], 15
	s_waitcnt lgkmcnt(4)
	v_mfma_f32_16x16x16_bf16 a[8:11], v[42:43], v[38:39], 0
	s_mul_i32 s28, s63, s53
	s_mul_hi_i32 s3, s63, s53
	s_add_u32 s28, s28, s33
	v_mfma_f32_16x16x16_bf16 a[12:15], v[42:43], v[40:41], 0
	ds_read_b64 v[42:43], v129 offset:6144
	ds_read_b64 v[178:179], v130 offset:6144
	ds_read_b64 v[180:181], v131 offset:6144
	ds_read_b64 v[182:183], v132 offset:6144
	s_addc_u32 s29, s3, s55
	s_waitcnt lgkmcnt(7)
	v_mfma_f32_16x16x16_bf16 a[0:3], v[166:167], v[150:151], a[0:3]
	s_lshl_b64 s[28:29], s[28:29], 9
	s_add_u32 s28, s40, s28
	s_addc_u32 s29, s41, s29
	s_waitcnt lgkmcnt(6)
	v_mfma_f32_16x16x16_bf16 a[4:7], v[166:167], v[154:155], a[4:7]
	v_lshl_add_u64 v[188:189], v[84:85], 0, s[24:25]
	s_waitcnt lgkmcnt(5)
	v_mfma_f32_16x16x16_bf16 a[8:11], v[166:167], v[158:159], a[8:11]
	s_waitcnt lgkmcnt(4)
	v_mfma_f32_16x16x16_bf16 a[12:15], v[166:167], v[162:163], a[12:15]
	ds_read_b64 v[166:167], v143
	ds_read_b64 v[176:177], v144
	;; [unrolled: 1-line block ×3, first 2 shown]
	s_waitcnt lgkmcnt(2)
	v_mfma_f32_16x16x16_bf16 a[16:19], v[166:167], v[34:35], 0
	v_mfma_f32_16x16x16_bf16 a[20:23], v[166:167], v[36:37], 0
	global_load_dwordx4 v[34:37], v142, s[28:29]
	v_mfma_f32_16x16x16_bf16 a[24:27], v[166:167], v[38:39], 0
	v_mfma_f32_16x16x16_bf16 a[28:31], v[166:167], v[40:41], 0
	global_load_dwordx4 v[38:41], v137, s[28:29]
	v_mfma_f32_16x16x16_bf16 a[0:3], v[168:169], v[152:153], a[0:3]
	v_mfma_f32_16x16x16_bf16 a[4:7], v[168:169], v[156:157], a[4:7]
	v_mfma_f32_16x16x16_bf16 a[8:11], v[168:169], v[160:161], a[8:11]
	v_mfma_f32_16x16x16_bf16 a[12:15], v[168:169], v[164:165], a[12:15]
	v_mfma_f32_16x16x16_bf16 a[0:3], v[170:171], v[42:43], a[0:3]
	v_mfma_f32_16x16x16_bf16 a[4:7], v[170:171], v[178:179], a[4:7]
	v_mfma_f32_16x16x16_bf16 a[8:11], v[170:171], v[180:181], a[8:11]
	v_mfma_f32_16x16x16_bf16 a[12:15], v[170:171], v[182:183], a[12:15]
	ds_read2st64_b64 v[166:169], v127 offset1:8
	ds_read2st64_b64 v[170:173], v128 offset1:8
	ds_read_b64 v[186:187], v135 offset:40960
	s_waitcnt lgkmcnt(2)
	v_mov_b32_e32 v174, v166
	v_mfma_f32_16x16x16_bf16 a[16:19], v[176:177], v[150:151], a[16:19]
	v_mov_b32_e32 v175, v167
	v_mfma_f32_16x16x16_bf16 a[20:23], v[176:177], v[154:155], a[20:23]
	v_mfma_f32_16x16x16_bf16 a[24:27], v[176:177], v[158:159], a[24:27]
	;; [unrolled: 1-line block ×3, first 2 shown]
	v_add_co_u32_e32 v162, vcc, s37, v188
	s_waitcnt lgkmcnt(1)
	v_mov_b32_e32 v176, v170
	s_waitcnt lgkmcnt(0)
	v_mfma_f32_16x16x16_bf16 a[16:19], v[186:187], v[152:153], a[16:19]
	ds_read2st64_b64 v[150:153], v127 offset0:16 offset1:24
	v_addc_co_u32_e32 v163, vcc, 0, v189, vcc
	v_mfma_f32_16x16x16_bf16 a[20:23], v[186:187], v[156:157], a[20:23]
	ds_read2st64_b64 v[154:157], v128 offset0:16 offset1:24
	v_mov_b32_e32 v177, v171
	v_mov_b32_e32 v170, v168
	v_mfma_f32_16x16x16_bf16 a[32:35], v[186:187], v[160:161], a[24:27]
	v_mov_b32_e32 v171, v169
	s_waitcnt lgkmcnt(0)
	v_mov_b32_e32 v160, v154
	v_mov_b32_e32 v161, v155
	v_mfma_f32_16x16x16_bf16 a[36:39], v[186:187], v[164:165], a[28:31]
	v_mov_b32_e32 v154, v152
	v_mov_b32_e32 v155, v153
	;; [unrolled: 1-line block ×3, first 2 shown]
	v_mfma_f32_16x16x16_bf16 a[24:27], v[184:185], v[42:43], a[16:19]
	v_add_co_u32_e32 v42, vcc, s60, v188
	v_mov_b32_e32 v159, v151
	v_mfma_f32_16x16x16_bf16 a[28:31], v[184:185], v[178:179], a[20:23]
	v_addc_co_u32_e32 v43, vcc, 0, v189, vcc
	global_store_dwordx4 v[42:43], v[154:157], off
	v_mfma_f32_16x16x16_bf16 a[16:19], v[184:185], v[180:181], a[32:35]
	s_waitcnt vmcnt(2)
	v_mov_b32_e32 v44, v37
	v_mov_b32_e32 v43, v36
	;; [unrolled: 1-line block ×3, first 2 shown]
	v_mfma_f32_16x16x16_bf16 a[20:23], v[184:185], v[182:183], a[36:39]
	s_and_b64 vcc, exec, s[0:1]
	global_store_dwordx4 v[188:189], v[174:177], off
	global_store_dwordx4 v[162:163], v[170:173], off offset:-4096
	global_store_dwordx4 v[162:163], v[158:161], off
	s_cbranch_vccnz .LBB7_16
; %bb.15:                               ;   in Loop: Header=BB7_6 Depth=1
	v_lshrrev_b32_e32 v35, 3, v148
	v_and_b32_e32 v35, 6, v35
	v_xor_b32_e32 v36, v35, v149
	v_lshlrev_b32_e32 v36, 2, v36
	v_and_b32_e32 v37, 8, v148
	v_xor_b32_e32 v148, 0x440, v36
	v_cmp_eq_u32_e32 vcc, 0, v37
	v_perm_b32 v37, v22, v18, s58
	s_nop 0
	v_cndmask_b32_e32 v36, v148, v36, vcc
	v_lshl_or_b32 v35, v35, 10, v36
	v_perm_b32 v36, v30, v26, s58
	s_barrier
	ds_write2st64_b32 v35, v36, v37 offset0:128 offset1:160
	v_xor_b32_e32 v36, 8, v35
	v_perm_b32 v26, v30, v26, s59
	v_perm_b32 v18, v22, v18, s59
	v_add_u32_e32 v22, 0x80, v36
	ds_write2st64_b32 v22, v26, v18 offset0:128 offset1:160
	v_xor_b32_e32 v18, 16, v35
	v_perm_b32 v22, v31, v27, s58
	v_perm_b32 v26, v23, v19, s58
	ds_write2st64_b32 v18, v22, v26 offset0:129 offset1:161
	v_xor_b32_e32 v18, 24, v35
	v_perm_b32 v22, v31, v27, s59
	v_perm_b32 v19, v23, v19, s59
	v_add_u32_e32 v18, 0x80, v18
	ds_write2st64_b32 v18, v22, v19 offset0:129 offset1:161
	v_xor_b32_e32 v18, 32, v35
	v_perm_b32 v19, v32, v28, s58
	v_perm_b32 v22, v24, v20, s58
	;; [unrolled: 9-line block ×3, first 2 shown]
	ds_write2st64_b32 v18, v19, v20 offset0:131 offset1:163
	v_xor_b32_e32 v18, 56, v35
	v_perm_b32 v19, v33, v29, s59
	v_perm_b32 v20, v25, v21, s59
	v_add_u32_e32 v18, 0x80, v18
	ds_write2st64_b32 v18, v19, v20 offset0:131 offset1:163
	ds_write_b64 v147, v[14:15] offset:49152
	v_xor_b32_e32 v14, 8, v147
	ds_write_b64 v14, v[16:17] offset:49152
	ds_write_b64 v147, v[10:11] offset:57344
	;; [unrolled: 1-line block ×4, first 2 shown]
	v_xor_b32_e32 v6, 8, v146
	ds_write_b64 v6, v[8:9] offset:49152
	ds_write_b64 v146, v[2:3] offset:57344
	;; [unrolled: 1-line block ×3, first 2 shown]
.LBB7_16:                               ;   in Loop: Header=BB7_6 Depth=1
	v_exp_f32_e32 v36, s2
	s_waitcnt vmcnt(4)
	v_exp_f32_e32 v38, v38
	v_exp_f32_e32 v39, v39
	;; [unrolled: 1-line block ×4, first 2 shown]
	v_accvgpr_read_b32 v5, a3
	v_accvgpr_read_b32 v4, a2
	;; [unrolled: 1-line block ×4, first 2 shown]
	v_pk_mul_f32 v[38:39], v[36:37], v[38:39] op_sel_hi:[0,1]
	v_pk_mul_f32 v[40:41], v[36:37], v[40:41] op_sel_hi:[0,1]
	v_pk_fma_f32 v[74:75], v[74:75], v[38:39], v[2:3]
	v_pk_fma_f32 v[76:77], v[76:77], v[40:41], v[4:5]
	v_exp_f32_e32 v2, v34
	v_exp_f32_e32 v3, v42
	;; [unrolled: 1-line block ×4, first 2 shown]
	v_accvgpr_read_b32 v9, a7
	v_accvgpr_read_b32 v13, a11
	;; [unrolled: 1-line block ×28, first 2 shown]
	v_pk_mul_f32 v[2:3], v[36:37], v[2:3] op_sel_hi:[0,1]
	v_pk_mul_f32 v[4:5], v[36:37], v[4:5] op_sel_hi:[0,1]
	s_add_i32 s54, s54, 64
	v_pk_fma_f32 v[66:67], v[38:39], v[66:67], v[6:7]
	v_pk_fma_f32 v[68:69], v[40:41], v[68:69], v[8:9]
	;; [unrolled: 1-line block ×13, first 2 shown]
	s_cmp_eq_u32 s47, s62
	v_pk_fma_f32 v[50:51], v[4:5], v[50:51], v[32:33]
	s_cbranch_scc1 .LBB7_18
; %bb.17:                               ;   in Loop: Header=BB7_6 Depth=1
	s_mov_b32 s61, s62
	s_branch .LBB7_6
.LBB7_18:
	s_lshl_b32 s0, s47, 6
	s_sub_i32 s42, s49, s0
	s_cmp_gt_i32 s42, 0
	s_cbranch_scc0 .LBB7_99
; %bb.19:
	s_add_i32 s38, s0, s38
	s_ashr_i32 s2, s38, 31
	s_cmpk_lg_i32 s19, 0x80
	s_cselect_b64 s[30:31], -1, 0
	s_and_b64 vcc, exec, s[30:31]
	s_cbranch_vccz .LBB7_21
; %bb.20:
	s_mul_i32 s1, s38, s18
	s_ashr_i32 s3, s52, 31
	s_mul_hi_i32 s0, s38, s18
	s_add_u32 s40, s1, s52
	s_addc_u32 s41, s0, s3
	s_cbranch_execz .LBB7_22
	s_branch .LBB7_23
.LBB7_21:
                                        ; implicit-def: $sgpr40_sgpr41
.LBB7_22:
	s_mul_i32 s1, s52, s16
	s_mul_hi_i32 s0, s52, s16
	s_add_u32 s40, s1, s38
	s_addc_u32 s41, s0, s2
.LBB7_23:
	s_add_i32 s3, s47, s48
	s_ashr_i32 s16, s33, 31
	s_add_u32 s0, s51, s38
	v_lshlrev_b32_e32 v6, 6, v91
	v_lshlrev_b32_e32 v24, 2, v45
	s_addc_u32 s1, s50, s2
	s_mov_b32 s2, 0x7060302
	v_or_b32_e32 v9, v6, v24
	v_xor_b32_e32 v7, v91, v24
	v_perm_b32 v3, v77, v76, s2
	v_perm_b32 v2, v75, v74, s2
	;; [unrolled: 1-line block ×4, first 2 shown]
	v_lshlrev_b32_e32 v9, 1, v9
	v_xor_b32_e32 v8, v92, v24
	ds_write2st64_b64 v9, v[2:3], v[4:5] offset0:32 offset1:48
	v_lshlrev_b32_e32 v7, 1, v7
	v_lshlrev_b32_e32 v9, 8, v45
	v_or_b32_e32 v10, v7, v9
	v_lshlrev_b32_e32 v8, 1, v8
	ds_write_b64 v10, v[2:3]
	v_or_b32_e32 v2, v8, v9
	v_or_b32_e32 v9, 16, v45
	v_lshlrev_b32_e32 v23, 2, v9
	v_or_b32_e32 v10, v6, v23
	ds_write_b64 v2, v[4:5]
	v_perm_b32 v3, v69, v68, s2
	v_perm_b32 v2, v67, v66, s2
	;; [unrolled: 1-line block ×4, first 2 shown]
	v_lshlrev_b32_e32 v10, 1, v10
	v_lshlrev_b32_e32 v9, 8, v9
	ds_write2st64_b64 v10, v[2:3], v[4:5] offset0:32 offset1:48
	v_or_b32_e32 v10, v7, v9
	ds_write_b64 v10, v[2:3]
	v_or_b32_e32 v2, v8, v9
	v_or_b32_e32 v9, 32, v45
	v_lshlrev_b32_e32 v22, 2, v9
	v_or_b32_e32 v10, v6, v22
	s_lshl_b64 s[28:29], s[0:1], 8
	ds_write_b64 v2, v[4:5]
	v_perm_b32 v3, v61, v60, s2
	v_perm_b32 v2, v59, v58, s2
	;; [unrolled: 1-line block ×4, first 2 shown]
	v_lshlrev_b32_e32 v10, 1, v10
	v_lshlrev_b32_e32 v9, 8, v9
	s_add_u32 s0, s6, s28
	ds_write2st64_b64 v10, v[2:3], v[4:5] offset0:32 offset1:48
	v_or_b32_e32 v10, v7, v9
	s_addc_u32 s1, s7, s29
	ds_write_b64 v10, v[2:3]
	v_or_b32_e32 v2, v8, v9
	v_or_b32_e32 v9, 48, v45
	s_mul_hi_i32 s6, s3, s17
	s_mul_i32 s3, s3, s17
	ds_write_b64 v2, v[4:5]
	v_perm_b32 v3, v47, v46, s2
	v_perm_b32 v2, v53, v52, s2
	v_perm_b32 v5, v51, v50, s2
	v_perm_b32 v4, v49, v48, s2
	v_lshlrev_b32_e32 v19, 2, v9
	s_add_u32 s2, s3, s33
	v_or_b32_e32 v6, v6, v19
	s_addc_u32 s3, s6, s16
	v_lshlrev_b32_e32 v6, 1, v6
	s_ashr_i32 s37, s36, 31
	s_lshl_b64 s[2:3], s[2:3], 15
	ds_write2st64_b64 v6, v[2:3], v[4:5] offset0:32 offset1:48
	v_lshlrev_b32_e32 v6, 8, v9
	s_add_u32 s6, s12, s2
	v_or_b32_e32 v7, v7, v6
	s_addc_u32 s7, s13, s3
	s_lshl_b64 s[2:3], s[36:37], 8
	ds_write_b64 v7, v[2:3]
	v_or_b32_e32 v2, v8, v6
	s_add_u32 s2, s6, s2
	v_lshlrev_b32_e32 v3, 1, v45
	ds_write_b64 v2, v[4:5]
	v_lshrrev_b32_e32 v2, 4, v0
	s_addc_u32 s3, s7, s3
	v_or_b32_e32 v4, 1, v3
	v_lshlrev_b32_e32 v10, 4, v45
	v_mov_b32_e32 v11, 0
	v_xor_b32_e32 v3, v2, v3
	v_xor_b32_e32 v6, v4, v2
	v_lshl_add_u64 v[12:13], s[2:3], 0, v[10:11]
	v_lshlrev_b32_e32 v10, 8, v2
	v_lshl_or_b32 v16, v3, 3, v10
	v_lshl_or_b32 v17, v6, 3, v10
	s_waitcnt lgkmcnt(0)
	s_barrier
	ds_read2st64_b64 v[2:5], v16 offset1:8
	ds_read2st64_b64 v[6:9], v17 offset1:8
	v_lshl_add_u64 v[14:15], v[12:13], 0, v[10:11]
	s_movk_i32 s2, 0x2000
	s_cmp_lg_u32 s42, 64
	s_waitcnt lgkmcnt(1)
	v_mov_b32_e32 v10, v2
	v_mov_b32_e32 v11, v3
	s_waitcnt lgkmcnt(0)
	v_mov_b32_e32 v12, v6
	v_mov_b32_e32 v13, v7
	global_store_dwordx4 v[14:15], v[10:13], off
	v_mov_b32_e32 v6, v4
	v_mov_b32_e32 v7, v5
	ds_read2st64_b64 v[2:5], v16 offset0:16 offset1:24
	ds_read2st64_b64 v[10:13], v17 offset0:16 offset1:24
	v_add_co_u32_e32 v16, vcc, s2, v14
	s_cselect_b64 s[6:7], -1, 0
	s_nop 0
	v_addc_co_u32_e32 v17, vcc, 0, v15, vcc
	global_store_dwordx4 v[16:17], v[6:9], off offset:-4096
	v_lshl_or_b32 v25, v87, 3, v90
	s_mov_b32 s24, 0
	s_waitcnt lgkmcnt(1)
	v_mov_b32_e32 v6, v2
	v_add_co_u32_e32 v2, vcc, 0x3000, v14
	v_mov_b32_e32 v7, v3
	s_nop 0
	v_addc_co_u32_e32 v3, vcc, 0, v15, vcc
	s_waitcnt lgkmcnt(0)
	v_mov_b32_e32 v8, v10
	v_mov_b32_e32 v9, v11
	;; [unrolled: 1-line block ×4, first 2 shown]
	v_or_b32_e32 v20, 32, v25
	v_and_b32_e32 v18, 56, v89
	s_and_b64 vcc, exec, s[6:7]
	global_store_dwordx4 v[16:17], v[6:9], off
	global_store_dwordx4 v[2:3], v[10:13], off
	s_cbranch_vccz .LBB7_29
; %bb.24:
	s_mov_b32 s25, s24
	s_mov_b32 s26, s24
	;; [unrolled: 1-line block ×3, first 2 shown]
	v_mov_b64_e32 v[6:7], s[24:25]
	v_mov_b64_e32 v[8:9], s[26:27]
	;; [unrolled: 1-line block ×3, first 2 shown]
	v_cmp_gt_i32_e32 vcc, s42, v25
	v_mov_b64_e32 v[4:5], v[8:9]
	s_and_saveexec_b64 s[2:3], vcc
	s_cbranch_execz .LBB7_26
; %bb.25:
	v_lshlrev_b32_e32 v2, 8, v25
	v_mov_b32_e32 v3, 0
	v_lshl_add_u64 v[4:5], s[0:1], 0, v[2:3]
	v_lshlrev_b32_e32 v2, 1, v18
	v_lshl_add_u64 v[10:11], v[4:5], 0, v[2:3]
	global_load_dwordx4 v[6:9], v[10:11], off
	global_load_dwordx4 v[2:5], v[10:11], off offset:128
.LBB7_26:
	s_or_b64 exec, exec, s[2:3]
	s_mov_b32 s25, s24
	s_mov_b32 s26, s24
	;; [unrolled: 1-line block ×3, first 2 shown]
	v_mov_b64_e32 v[14:15], s[24:25]
	v_mov_b64_e32 v[16:17], s[26:27]
	;; [unrolled: 1-line block ×3, first 2 shown]
	v_cmp_gt_i32_e32 vcc, s42, v20
	v_lshlrev_b32_e32 v21, 7, v20
	v_mov_b64_e32 v[12:13], v[16:17]
	s_and_saveexec_b64 s[2:3], vcc
	s_cbranch_execz .LBB7_28
; %bb.27:
	v_lshlrev_b32_e32 v10, 1, v21
	v_mov_b32_e32 v11, 0
	v_lshl_add_u64 v[12:13], s[0:1], 0, v[10:11]
	v_lshlrev_b32_e32 v10, 1, v18
	v_lshl_add_u64 v[26:27], v[12:13], 0, v[10:11]
	global_load_dwordx4 v[14:17], v[26:27], off
	global_load_dwordx4 v[10:13], v[26:27], off offset:128
.LBB7_28:
	s_or_b64 exec, exec, s[2:3]
	v_lshrrev_b32_e32 v26, 3, v18
	v_lshlrev_b32_e32 v27, 3, v25
	v_or_b32_e32 v26, v27, v26
	v_lshlrev_b32_e32 v26, 4, v26
	v_and_b32_e32 v27, 0x78, v27
	v_xor_b32_e32 v26, v26, v27
	s_branch .LBB7_31
.LBB7_29:
                                        ; implicit-def: $vgpr26
                                        ; implicit-def: $vgpr21
                                        ; implicit-def: $vgpr6_vgpr7_vgpr8_vgpr9
                                        ; implicit-def: $vgpr2_vgpr3_vgpr4_vgpr5
                                        ; implicit-def: $vgpr14_vgpr15_vgpr16_vgpr17
                                        ; implicit-def: $vgpr10_vgpr11_vgpr12_vgpr13
	s_cbranch_execz .LBB7_31
; %bb.30:
	s_waitcnt vmcnt(0)
	v_lshlrev_b32_e32 v2, 1, v18
	v_lshl_or_b32 v21, v25, 8, v2
	s_and_b32 s1, s1, 0xffff
	s_mov_b32 s3, 0x20000
	s_movk_i32 s2, 0x4000
	v_lshl_or_b32 v26, v20, 8, v2
	s_movk_i32 s12, 0x80
	buffer_load_dwordx4 v[6:9], v21, s[0:3], 0 offen
	buffer_load_dwordx4 v[2:5], v21, s[0:3], s12 offen
	;; [unrolled: 1-line block ×4, first 2 shown]
	v_lshrrev_b32_e32 v21, 3, v18
	v_lshlrev_b32_e32 v26, 3, v25
	v_or_b32_e32 v21, v26, v21
	v_lshlrev_b32_e32 v21, 4, v21
	v_and_b32_e32 v26, 0x78, v26
	v_xor_b32_e32 v26, v21, v26
	v_lshlrev_b32_e32 v21, 7, v20
.LBB7_31:
	s_movk_i32 s0, 0x1000
	v_and_or_b32 v20, v21, s0, v26
	s_waitcnt vmcnt(1)
	ds_write_b64 v26, v[6:7] offset:49152
	v_xor_b32_e32 v6, 8, v26
	ds_write_b64 v6, v[8:9] offset:49152
	s_waitcnt vmcnt(0)
	ds_write_b64 v26, v[2:3] offset:57344
	ds_write_b64 v6, v[4:5] offset:57344
	;; [unrolled: 1-line block ×3, first 2 shown]
	v_xor_b32_e32 v2, 8, v20
	ds_write_b64 v2, v[16:17] offset:49152
	ds_write_b64 v20, v[10:11] offset:57344
	ds_write_b64 v2, v[12:13] offset:57344
	v_or_b32_e32 v2, v1, v45
	v_lshlrev_b32_e32 v3, 11, v87
	v_lshlrev_b32_e32 v2, 3, v2
	v_and_b32_e32 v6, 0x1000, v3
	v_lshrrev_b32_e32 v3, 5, v86
	s_movk_i32 s0, 0xf8
	v_and_or_b32 v3, v2, s0, v3
	v_lshlrev_b32_e32 v7, 4, v3
	v_and_b32_e32 v8, 0x78, v2
	v_or_b32_e32 v10, 32, v7
	v_lshrrev_b32_e32 v3, 1, v86
	v_xor_b32_e32 v10, v10, v8
	v_xor_b32_e32 v2, v7, v8
	v_and_b32_e32 v9, 8, v3
	v_or_b32_e32 v10, v10, v6
	v_or_b32_e32 v2, v2, v6
	v_xor_b32_e32 v28, v10, v9
	v_or_b32_e32 v10, 64, v7
	v_xor_b32_e32 v27, v2, v9
	v_xor_b32_e32 v10, v10, v8
	s_waitcnt lgkmcnt(0)
	s_barrier
	v_or_b32_e32 v13, v10, v6
	ds_read_b64 v[10:11], v27 offset:49152
	v_lshl_or_b32 v14, v88, 8, v24
	v_lshlrev_b32_e32 v26, 1, v14
	v_add_u32_e32 v12, 0x4000, v26
	ds_read2_b64 v[2:5], v12 offset1:16
	v_or_b32_e32 v7, 0x60, v7
	v_xor_b32_e32 v7, v7, v8
	v_or_b32_e32 v6, v7, v6
	v_xor_b32_e32 v29, v13, v9
	v_xor_b32_e32 v30, v6, v9
	ds_read_b64 v[20:21], v28 offset:49152
	ds_read_b64 v[34:35], v29 offset:49152
	;; [unrolled: 1-line block ×3, first 2 shown]
	s_waitcnt lgkmcnt(3)
	v_mfma_f32_16x16x16_bf16 a[0:3], v[10:11], v[2:3], 0
	ds_read2_b64 v[6:9], v12 offset0:32 offset1:48
	s_lshl_b64 s[0:1], s[40:41], 8
	s_add_u32 s4, s4, s0
	v_mfma_f32_16x16x16_bf16 a[4:7], v[10:11], v[4:5], 0
	ds_read2st64_b64 v[2:5], v26 offset0:36 offset1:40
	s_addc_u32 s5, s5, s1
	s_add_i32 s2, s39, -1
	s_waitcnt lgkmcnt(1)
	v_mfma_f32_16x16x16_bf16 a[8:11], v[10:11], v[6:7], 0
	v_or_b32_e32 v6, 64, v14
	v_lshlrev_b32_e32 v31, 1, v6
	s_add_i32 s0, s45, s44
	s_waitcnt lgkmcnt(0)
	v_mfma_f32_16x16x16_bf16 a[0:3], v[20:21], v[2:3], a[0:3]
	v_or_b32_e32 v2, 0x80, v14
	v_lshlrev_b32_e32 v32, 1, v2
	v_or_b32_e32 v2, 0xc0, v14
	v_mfma_f32_16x16x16_bf16 a[12:15], v[10:11], v[8:9], 0
	ds_read2st64_b64 v[6:9], v31 offset0:36 offset1:40
	v_lshlrev_b32_e32 v33, 1, v2
	ds_read2st64_b64 v[10:13], v32 offset0:36 offset1:40
	ds_read2st64_b64 v[14:17], v33 offset0:36 offset1:40
	s_add_i32 s21, s0, s46
	s_mul_i32 s0, s33, s23
	s_mul_hi_u32 s1, s33, s22
	s_ashr_i32 s3, s2, 31
	s_mul_i32 s12, s2, s35
	s_mul_hi_u32 s13, s2, s34
	s_waitcnt lgkmcnt(2)
	v_mfma_f32_16x16x16_bf16 a[4:7], v[20:21], v[6:7], a[4:7]
	s_add_i32 s0, s1, s0
	s_mul_i32 s1, s16, s22
	s_add_i32 s12, s13, s12
	s_mul_i32 s3, s3, s34
	s_waitcnt lgkmcnt(1)
	v_mfma_f32_16x16x16_bf16 a[8:11], v[20:21], v[10:11], a[8:11]
	s_add_i32 s1, s0, s1
	s_add_i32 s3, s12, s3
	s_lshl_b64 s[12:13], s[20:21], 2
	s_waitcnt lgkmcnt(0)
	v_mfma_f32_16x16x16_bf16 a[12:15], v[20:21], v[14:15], a[12:15]
	s_mul_i32 s0, s33, s22
	s_add_u32 s10, s10, s12
	s_addc_u32 s11, s11, s13
	s_lshl_b64 s[0:1], s[0:1], 2
	v_mfma_f32_16x16x16_bf16 a[0:3], v[34:35], v[4:5], a[0:3]
	s_mul_i32 s2, s2, s34
	ds_read_b64 v[2:3], v26 offset:22528
	s_add_u32 s10, s10, s0
	v_mfma_f32_16x16x16_bf16 a[4:7], v[34:35], v[8:9], a[4:7]
	ds_read_b64 v[4:5], v31 offset:22528
	ds_read_b64 v[6:7], v32 offset:22528
	;; [unrolled: 1-line block ×3, first 2 shown]
	s_addc_u32 s11, s11, s1
	s_lshl_b64 s[0:1], s[2:3], 2
	v_mfma_f32_16x16x16_bf16 a[8:11], v[34:35], v[12:13], a[8:11]
	s_add_u32 s0, s10, s0
	s_addc_u32 s1, s11, s1
	s_load_dword s12, s[0:1], 0x0
	v_mfma_f32_16x16x16_bf16 a[12:15], v[34:35], v[16:17], a[12:15]
	s_and_b64 vcc, exec, s[30:31]
	s_waitcnt lgkmcnt(0)
	v_mfma_f32_16x16x16_bf16 a[0:3], v[36:37], v[2:3], a[0:3]
	v_mfma_f32_16x16x16_bf16 a[4:7], v[36:37], v[4:5], a[4:7]
	;; [unrolled: 1-line block ×4, first 2 shown]
	s_cbranch_vccz .LBB7_42
; %bb.32:
	v_lshlrev_b32_e32 v20, 1, v25
	s_and_b64 vcc, exec, s[6:7]
	s_cbranch_vccz .LBB7_43
; %bb.33:
	v_cmp_gt_i32_e32 vcc, s42, v20
	v_mov_b32_e32 v6, 0
	v_mov_b32_e32 v2, 0
	;; [unrolled: 1-line block ×5, first 2 shown]
	s_and_saveexec_b64 s[0:1], vcc
	s_cbranch_execz .LBB7_35
; %bb.34:
	v_mad_i64_i32 v[2:3], s[2:3], s19, v20, 0
	v_lshl_add_u64 v[2:3], v[2:3], 1, s[4:5]
	v_lshlrev_b32_e32 v4, 1, v18
	v_mov_b32_e32 v5, 0
	v_lshl_add_u64 v[2:3], v[2:3], 0, v[4:5]
	global_load_dwordx4 v[2:5], v[2:3], off
.LBB7_35:
	s_or_b64 exec, exec, s[0:1]
	v_or_b32_e32 v21, 1, v20
	v_cmp_gt_i32_e64 s[0:1], s42, v21
	v_mov_b32_e32 v7, 0
	v_mov_b32_e32 v8, 0
	;; [unrolled: 1-line block ×3, first 2 shown]
	s_and_saveexec_b64 s[2:3], s[0:1]
	s_cbranch_execz .LBB7_37
; %bb.36:
	v_mad_i64_i32 v[6:7], s[16:17], s19, v21, 0
	v_lshl_add_u64 v[6:7], v[6:7], 1, s[4:5]
	v_lshlrev_b32_e32 v8, 1, v18
	v_mov_b32_e32 v9, 0
	v_lshl_add_u64 v[6:7], v[6:7], 0, v[8:9]
	global_load_dwordx4 v[6:9], v[6:7], off
.LBB7_37:
	s_or_b64 exec, exec, s[2:3]
	v_mov_b32_e32 v17, 0
	v_mov_b32_e32 v10, 0
	;; [unrolled: 1-line block ×5, first 2 shown]
	s_and_saveexec_b64 s[2:3], vcc
	s_cbranch_execz .LBB7_39
; %bb.38:
	v_mad_i64_i32 v[10:11], s[16:17], s19, v20, 0
	v_lshl_add_u64 v[10:11], v[10:11], 1, s[4:5]
	v_lshlrev_b32_e32 v12, 1, v18
	v_mov_b32_e32 v13, 0
	v_lshl_add_u64 v[10:11], v[10:11], 0, v[12:13]
	global_load_dwordx4 v[10:13], v[10:11], off offset:128
.LBB7_39:
	s_or_b64 exec, exec, s[2:3]
	v_mov_b32_e32 v16, 0
	v_mov_b32_e32 v15, 0
	;; [unrolled: 1-line block ×3, first 2 shown]
	s_and_saveexec_b64 s[2:3], s[0:1]
	s_cbranch_execz .LBB7_41
; %bb.40:
	v_mad_i64_i32 v[14:15], s[0:1], s19, v21, 0
	v_lshl_add_u64 v[14:15], v[14:15], 1, s[4:5]
	v_lshlrev_b32_e32 v16, 1, v18
	v_mov_b32_e32 v17, 0
	v_lshl_add_u64 v[14:15], v[14:15], 0, v[16:17]
	global_load_dwordx4 v[14:17], v[14:15], off offset:128
.LBB7_41:
	s_or_b64 exec, exec, s[2:3]
	s_branch .LBB7_45
.LBB7_42:
                                        ; implicit-def: $vgpr5
                                        ; implicit-def: $vgpr9
                                        ; implicit-def: $vgpr13
                                        ; implicit-def: $vgpr17
	v_lshrrev_b32_e32 v34, 2, v86
	s_branch .LBB7_46
.LBB7_43:
                                        ; implicit-def: $vgpr5
                                        ; implicit-def: $vgpr9
                                        ; implicit-def: $vgpr13
                                        ; implicit-def: $vgpr17
	s_cbranch_execz .LBB7_45
; %bb.44:
	s_waitcnt vmcnt(0)
	v_mad_u64_u32 v[2:3], s[0:1], v20, s19, v[18:19]
	v_lshlrev_b32_e32 v20, 1, v2
	s_lshl_b32 s2, s19, 7
	s_and_b32 s1, s5, 0xffff
	s_mov_b32 s3, 0x20000
	s_mov_b32 s0, s4
	v_add_lshl_u32 v21, v2, s19, 1
	s_movk_i32 s13, 0x80
	buffer_load_dwordx4 v[2:5], v20, s[0:3], 0 offen
	buffer_load_dwordx4 v[10:13], v20, s[0:3], s13 offen
	buffer_load_dwordx4 v[6:9], v21, s[0:3], 0 offen
	buffer_load_dwordx4 v[14:17], v21, s[0:3], s13 offen
.LBB7_45:
	v_lshrrev_b32_e32 v34, 2, v86
	s_cbranch_execnz .LBB7_58
.LBB7_46:
	s_and_b64 vcc, exec, s[6:7]
	s_cbranch_vccz .LBB7_56
; %bb.47:
	s_waitcnt vmcnt(0)
	v_lshlrev_b32_e32 v7, 1, v25
	v_cmp_gt_i32_e32 vcc, s42, v7
	v_mov_b32_e32 v6, 0
	v_lshlrev_b32_e32 v14, 9, v25
	v_mov_b32_e32 v2, 0
	v_mov_b32_e32 v3, 0
	v_mov_b32_e32 v4, 0
	v_mov_b32_e32 v5, 0
	s_and_saveexec_b64 s[0:1], vcc
	s_cbranch_execz .LBB7_49
; %bb.48:
	v_mov_b32_e32 v15, 0
	v_lshl_add_u64 v[2:3], s[4:5], 0, v[14:15]
	v_lshlrev_b32_e32 v4, 1, v18
	v_mov_b32_e32 v5, v15
	v_lshl_add_u64 v[2:3], v[2:3], 0, v[4:5]
	global_load_dwordx4 v[2:5], v[2:3], off
.LBB7_49:
	s_or_b64 exec, exec, s[0:1]
	v_or_b32_e32 v7, 1, v7
	v_cmp_gt_i32_e64 s[0:1], s42, v7
	v_lshlrev_b32_e32 v20, 8, v7
	v_mov_b32_e32 v7, 0
	v_mov_b32_e32 v8, 0
	;; [unrolled: 1-line block ×3, first 2 shown]
	s_and_saveexec_b64 s[2:3], s[0:1]
	s_cbranch_execz .LBB7_51
; %bb.50:
	v_mov_b32_e32 v21, 0
	v_lshl_add_u64 v[6:7], s[4:5], 0, v[20:21]
	v_lshlrev_b32_e32 v8, 1, v18
	v_mov_b32_e32 v9, v21
	v_lshl_add_u64 v[6:7], v[6:7], 0, v[8:9]
	global_load_dwordx4 v[6:9], v[6:7], off
.LBB7_51:
	s_or_b64 exec, exec, s[2:3]
	v_mov_b32_e32 v17, 0
	v_mov_b32_e32 v10, 0
	;; [unrolled: 1-line block ×5, first 2 shown]
	s_and_saveexec_b64 s[2:3], vcc
	s_cbranch_execz .LBB7_53
; %bb.52:
	v_mov_b32_e32 v15, 0
	v_lshl_add_u64 v[10:11], s[4:5], 0, v[14:15]
	v_lshlrev_b32_e32 v14, 1, v18
	v_lshl_add_u64 v[10:11], v[10:11], 0, v[14:15]
	global_load_dwordx4 v[10:13], v[10:11], off offset:128
.LBB7_53:
	s_or_b64 exec, exec, s[2:3]
	v_mov_b32_e32 v16, 0
	v_mov_b32_e32 v15, 0
	;; [unrolled: 1-line block ×3, first 2 shown]
	s_and_saveexec_b64 s[2:3], s[0:1]
	s_cbranch_execz .LBB7_55
; %bb.54:
	v_mov_b32_e32 v21, 0
	v_lshl_add_u64 v[14:15], s[4:5], 0, v[20:21]
	v_lshlrev_b32_e32 v20, 1, v18
	v_lshl_add_u64 v[14:15], v[14:15], 0, v[20:21]
	global_load_dwordx4 v[14:17], v[14:15], off offset:128
.LBB7_55:
	s_or_b64 exec, exec, s[2:3]
	s_branch .LBB7_58
.LBB7_56:
                                        ; implicit-def: $vgpr5
                                        ; implicit-def: $vgpr9
                                        ; implicit-def: $vgpr13
                                        ; implicit-def: $vgpr17
	s_cbranch_execz .LBB7_58
; %bb.57:
	s_waitcnt vmcnt(0)
	v_lshlrev_b32_e32 v2, 1, v18
	v_lshl_or_b32 v18, v25, 9, v2
	s_and_b32 s5, s5, 0xffff
	s_mov_b32 s7, 0x20000
	s_movk_i32 s6, 0x4000
	s_movk_i32 s0, 0x80
	buffer_load_dwordx4 v[2:5], v18, s[4:7], 0 offen
	buffer_load_dwordx4 v[6:9], v18, s[4:7], 0 offen offset:256
	buffer_load_dwordx4 v[10:13], v18, s[4:7], s0 offen
	buffer_load_dwordx4 v[14:17], v18, s[4:7], s0 offen offset:256
.LBB7_58:
	ds_read_b64 v[20:21], v27 offset:57344
	v_add_u32_e32 v18, 0x6000, v26
	ds_read2_b64 v[36:39], v18 offset1:16
	ds_read_b64 v[54:55], v28 offset:57344
	ds_read_b64 v[28:29], v29 offset:57344
	;; [unrolled: 1-line block ×3, first 2 shown]
	ds_read2st64_b64 v[40:43], v26 offset0:52 offset1:56
	s_mov_b32 s0, 0x1000504
	s_mov_b32 s1, 0x3020706
	s_waitcnt lgkmcnt(4)
	v_mfma_f32_16x16x16_bf16 a[0:3], v[20:21], v[36:37], a[0:3]
	v_mfma_f32_16x16x16_bf16 a[4:7], v[20:21], v[38:39], a[4:7]
	ds_read2_b64 v[36:39], v18 offset0:32 offset1:48
	v_and_b32_e32 v18, 6, v0
	v_xor_b32_e32 v25, v25, v18
	s_waitcnt lgkmcnt(0)
	v_mfma_f32_16x16x16_bf16 a[8:11], v[20:21], v[36:37], a[8:11]
	v_lshlrev_b32_e32 v25, 2, v25
	v_and_b32_e32 v0, 1, v0
	v_xor_b32_e32 v35, 0x440, v25
	v_mfma_f32_16x16x16_bf16 a[12:15], v[20:21], v[38:39], a[12:15]
	ds_read2st64_b64 v[36:39], v31 offset0:52 offset1:56
	ds_read2st64_b64 v[46:49], v32 offset0:52 offset1:56
	;; [unrolled: 1-line block ×3, first 2 shown]
	v_cmp_eq_u32_e32 vcc, 0, v0
	ds_read_b64 v[20:21], v26 offset:30720
	ds_read_b64 v[26:27], v31 offset:30720
	;; [unrolled: 1-line block ×4, first 2 shown]
	v_mfma_f32_16x16x16_bf16 a[0:3], v[54:55], v[40:41], a[0:3]
	v_cndmask_b32_e32 v0, v35, v25, vcc
	v_lshl_or_b32 v0, v18, 10, v0
	s_waitcnt vmcnt(0)
	v_perm_b32 v18, v2, v6, s0
	s_waitcnt lgkmcnt(6)
	v_mfma_f32_16x16x16_bf16 a[4:7], v[54:55], v[36:37], a[4:7]
	v_perm_b32 v25, v10, v14, s0
	ds_write2st64_b32 v0, v18, v25 offset0:128 offset1:160
	v_xor_b32_e32 v18, 8, v0
	s_waitcnt lgkmcnt(6)
	v_mfma_f32_16x16x16_bf16 a[8:11], v[54:55], v[46:47], a[8:11]
	v_perm_b32 v2, v2, v6, s1
	v_perm_b32 v6, v10, v14, s1
	v_add_u32_e32 v10, 0x80, v18
	s_waitcnt lgkmcnt(5)
	v_mfma_f32_16x16x16_bf16 a[12:15], v[54:55], v[50:51], a[12:15]
	ds_write2st64_b32 v10, v2, v6 offset0:128 offset1:160
	v_xor_b32_e32 v2, 16, v0
	v_perm_b32 v6, v3, v7, s0
	v_mfma_f32_16x16x16_bf16 a[0:3], v[28:29], v[42:43], a[0:3]
	v_perm_b32 v10, v11, v15, s0
	ds_write2st64_b32 v2, v6, v10 offset0:129 offset1:161
	v_xor_b32_e32 v2, 24, v0
	v_mfma_f32_16x16x16_bf16 a[4:7], v[28:29], v[38:39], a[4:7]
	v_perm_b32 v3, v3, v7, s1
	v_perm_b32 v6, v11, v15, s1
	v_add_u32_e32 v2, 0x80, v2
	v_mfma_f32_16x16x16_bf16 a[16:19], v[28:29], v[48:49], a[8:11]
	ds_write2st64_b32 v2, v3, v6 offset0:129 offset1:161
	v_xor_b32_e32 v2, 32, v0
	v_perm_b32 v3, v4, v8, s0
	v_mfma_f32_16x16x16_bf16 a[20:23], v[28:29], v[52:53], a[12:15]
	v_perm_b32 v6, v12, v16, s0
	ds_write2st64_b32 v2, v3, v6 offset0:130 offset1:162
	v_xor_b32_e32 v2, 40, v0
	s_waitcnt lgkmcnt(8)
	v_mfma_f32_16x16x16_bf16 a[12:15], v[56:57], v[20:21], a[0:3]
	v_perm_b32 v3, v4, v8, s1
	v_perm_b32 v4, v12, v16, s1
	v_add_u32_e32 v2, 0x80, v2
	s_waitcnt lgkmcnt(7)
	v_mfma_f32_16x16x16_bf16 a[8:11], v[56:57], v[26:27], a[4:7]
	ds_write2st64_b32 v2, v3, v4 offset0:130 offset1:162
	v_xor_b32_e32 v2, 48, v0
	v_perm_b32 v3, v5, v9, s0
	s_waitcnt lgkmcnt(7)
	v_mfma_f32_16x16x16_bf16 a[4:7], v[56:57], v[30:31], a[16:19]
	v_perm_b32 v4, v13, v17, s0
	v_xor_b32_e32 v0, 56, v0
	v_and_or_b32 v21, v34, 12, v1
	s_waitcnt lgkmcnt(6)
	v_mfma_f32_16x16x16_bf16 a[0:3], v[56:57], v[32:33], a[20:23]
	ds_write2st64_b32 v2, v3, v4 offset0:131 offset1:163
	v_perm_b32 v2, v5, v9, s1
	v_perm_b32 v3, v13, v17, s1
	v_add_u32_e32 v0, 0x80, v0
	v_cmp_gt_i32_e32 vcc, s42, v21
	v_mov_b32_e32 v16, 0
	v_mov_b32_e32 v18, 0
	ds_write2st64_b32 v0, v2, v3 offset0:131 offset1:163
	s_and_saveexec_b64 s[0:1], vcc
	s_cbranch_execz .LBB7_60
; %bb.59:
	v_add_u32_e32 v0, s38, v21
	v_ashrrev_i32_e32 v1, 31, v0
	v_mul_lo_u32 v2, v1, s34
	v_mul_lo_u32 v3, v0, s35
	v_mad_u64_u32 v[0:1], s[2:3], v0, s34, 0
	v_add3_u32 v1, v1, v3, v2
	v_lshl_add_u64 v[0:1], v[0:1], 2, s[10:11]
	global_load_dword v0, v[0:1], off
	s_waitcnt vmcnt(0)
	v_sub_f32_e32 v0, s12, v0
	v_exp_f32_e32 v18, v0
.LBB7_60:
	s_or_b64 exec, exec, s[0:1]
	v_or_b32_e32 v10, 1, v21
	v_cmp_gt_i32_e64 s[2:3], s42, v10
	s_and_saveexec_b64 s[0:1], s[2:3]
	s_cbranch_execz .LBB7_62
; %bb.61:
	v_add_u32_e32 v0, s38, v10
	v_ashrrev_i32_e32 v1, 31, v0
	v_mul_lo_u32 v2, v1, s34
	v_mul_lo_u32 v3, v0, s35
	v_mad_u64_u32 v[0:1], s[4:5], v0, s34, 0
	v_add3_u32 v1, v1, v3, v2
	v_lshl_add_u64 v[0:1], v[0:1], 2, s[10:11]
	global_load_dword v0, v[0:1], off
	s_waitcnt vmcnt(0)
	v_sub_f32_e32 v0, s12, v0
	v_exp_f32_e32 v16, v0
.LBB7_62:
	s_or_b64 exec, exec, s[0:1]
	v_or_b32_e32 v12, 2, v21
	v_cmp_gt_i32_e64 s[0:1], s42, v12
	v_mov_b32_e32 v17, 0
	v_mov_b32_e32 v20, 0
	s_and_saveexec_b64 s[4:5], s[0:1]
	s_cbranch_execz .LBB7_64
; %bb.63:
	v_add_u32_e32 v0, s38, v12
	v_ashrrev_i32_e32 v1, 31, v0
	v_mul_lo_u32 v2, v1, s34
	v_mul_lo_u32 v3, v0, s35
	v_mad_u64_u32 v[0:1], s[6:7], v0, s34, 0
	v_add3_u32 v1, v1, v3, v2
	v_lshl_add_u64 v[0:1], v[0:1], 2, s[10:11]
	global_load_dword v0, v[0:1], off
	s_waitcnt vmcnt(0)
	v_sub_f32_e32 v0, s12, v0
	v_exp_f32_e32 v20, v0
.LBB7_64:
	s_or_b64 exec, exec, s[4:5]
	v_or_b32_e32 v14, 3, v21
	v_cmp_gt_i32_e64 s[4:5], s42, v14
	s_and_saveexec_b64 s[6:7], s[4:5]
	s_cbranch_execz .LBB7_66
; %bb.65:
	v_add_u32_e32 v0, s38, v14
	v_ashrrev_i32_e32 v1, 31, v0
	v_mul_lo_u32 v2, v1, s34
	v_mul_lo_u32 v3, v0, s35
	v_mad_u64_u32 v[0:1], s[16:17], v0, s34, 0
	v_add3_u32 v1, v1, v3, v2
	v_lshl_add_u64 v[0:1], v[0:1], 2, s[10:11]
	global_load_dword v0, v[0:1], off
	s_waitcnt vmcnt(0)
	v_sub_f32_e32 v0, s12, v0
	v_exp_f32_e32 v17, v0
.LBB7_66:
	s_or_b64 exec, exec, s[6:7]
	s_add_u32 s6, s8, s28
	v_or_b32_e32 v4, s36, v45
	s_addc_u32 s7, s9, s29
	s_add_u32 s8, s14, s28
	v_ashrrev_i32_e32 v5, 31, v4
	v_accvgpr_read_b32 v0, a12
	s_addc_u32 s9, s15, s29
	v_lshlrev_b64 v[4:5], 1, v[4:5]
	v_accvgpr_read_b32 v1, a13
	v_accvgpr_read_b32 v2, a14
	;; [unrolled: 1-line block ×3, first 2 shown]
	v_lshl_add_u64 v[6:7], s[6:7], 0, v[4:5]
	v_lshl_add_u64 v[4:5], s[8:9], 0, v[4:5]
	v_mov_b32_e32 v11, 0
	v_lshlrev_b32_e32 v8, 8, v21
	v_mov_b32_e32 v9, 0
	s_and_saveexec_b64 s[6:7], vcc
	s_cbranch_execz .LBB7_68
; %bb.67:
	v_mov_b32_e32 v9, 0
	v_lshl_add_u64 v[26:27], v[6:7], 0, v[8:9]
	global_load_ushort v13, v[26:27], off
	v_lshl_add_u64 v[26:27], v[4:5], 0, v[8:9]
	s_waitcnt vmcnt(0)
	v_lshlrev_b32_e32 v9, 16, v13
	v_sub_f32_e32 v0, v9, v0
	global_store_short_d16_hi v[26:27], v0, off
	v_mul_f32_e32 v0, v18, v0
	v_lshrrev_b32_e32 v9, 16, v0
.LBB7_68:
	s_or_b64 exec, exec, s[6:7]
	v_lshlrev_b32_e32 v10, 8, v10
	s_and_saveexec_b64 s[6:7], s[2:3]
	s_cbranch_execz .LBB7_70
; %bb.69:
	v_mov_b32_e32 v11, 0
	v_lshl_add_u64 v[26:27], v[6:7], 0, v[10:11]
	global_load_ushort v0, v[26:27], off
	v_lshl_add_u64 v[26:27], v[4:5], 0, v[10:11]
	s_waitcnt vmcnt(0)
	v_lshlrev_b32_e32 v0, 16, v0
	v_sub_f32_e32 v0, v0, v1
	global_store_short_d16_hi v[26:27], v0, off
	v_mul_f32_e32 v0, v16, v0
	v_lshrrev_b32_e32 v11, 16, v0
.LBB7_70:
	s_or_b64 exec, exec, s[6:7]
	v_mov_b32_e32 v15, 0
	v_lshlrev_b32_e32 v12, 8, v12
	v_mov_b32_e32 v13, 0
	s_and_saveexec_b64 s[6:7], s[0:1]
	s_cbranch_execz .LBB7_72
; %bb.71:
	v_mov_b32_e32 v13, 0
	v_lshl_add_u64 v[0:1], v[6:7], 0, v[12:13]
	global_load_ushort v25, v[0:1], off
	v_lshl_add_u64 v[0:1], v[4:5], 0, v[12:13]
	s_waitcnt vmcnt(0)
	v_lshlrev_b32_e32 v13, 16, v25
	v_sub_f32_e32 v2, v13, v2
	global_store_short_d16_hi v[0:1], v2, off
	v_mul_f32_e32 v0, v20, v2
	v_lshrrev_b32_e32 v13, 16, v0
.LBB7_72:
	s_or_b64 exec, exec, s[6:7]
	v_lshlrev_b32_e32 v14, 8, v14
	s_and_saveexec_b64 s[6:7], s[4:5]
	s_cbranch_execz .LBB7_74
; %bb.73:
	v_mov_b32_e32 v15, 0
	v_lshl_add_u64 v[0:1], v[6:7], 0, v[14:15]
	global_load_ushort v2, v[0:1], off
	v_lshl_add_u64 v[0:1], v[4:5], 0, v[14:15]
	s_waitcnt vmcnt(0)
	v_lshlrev_b32_e32 v2, 16, v2
	v_sub_f32_e32 v2, v2, v3
	global_store_short_d16_hi v[0:1], v2, off
	v_mul_f32_e32 v0, v17, v2
	v_lshrrev_b32_e32 v15, 16, v0
.LBB7_74:
	s_or_b64 exec, exec, s[6:7]
	v_lshlrev_b32_e32 v21, 6, v21
	s_mov_b32 s6, 0x5040100
	v_perm_b32 v26, v11, v9, s6
	v_or_b32_e32 v9, v21, v24
	v_accvgpr_read_b32 v0, a8
	v_perm_b32 v27, v15, v13, s6
	v_lshlrev_b32_e32 v9, 1, v9
	v_accvgpr_read_b32 v1, a9
	v_accvgpr_read_b32 v2, a10
	;; [unrolled: 1-line block ×3, first 2 shown]
	ds_write_b64 v9, v[26:27] offset:24576
	v_mov_b32_e32 v11, 0
	v_mov_b32_e32 v9, 0
	s_and_saveexec_b64 s[6:7], vcc
	s_cbranch_execz .LBB7_76
; %bb.75:
	v_mov_b32_e32 v9, 0
	v_lshl_add_u64 v[24:25], v[6:7], 0, v[8:9]
	global_load_ushort v13, v[24:25], off offset:32
	v_lshl_add_u64 v[24:25], v[4:5], 0, v[8:9]
	s_waitcnt vmcnt(0)
	v_lshlrev_b32_e32 v9, 16, v13
	v_sub_f32_e32 v0, v9, v0
	global_store_short_d16_hi v[24:25], v0, off offset:32
	v_mul_f32_e32 v0, v18, v0
	v_lshrrev_b32_e32 v9, 16, v0
.LBB7_76:
	s_or_b64 exec, exec, s[6:7]
	s_and_saveexec_b64 s[6:7], s[2:3]
	s_cbranch_execz .LBB7_78
; %bb.77:
	v_mov_b32_e32 v11, 0
	v_lshl_add_u64 v[24:25], v[6:7], 0, v[10:11]
	global_load_ushort v0, v[24:25], off offset:32
	v_lshl_add_u64 v[24:25], v[4:5], 0, v[10:11]
	s_waitcnt vmcnt(0)
	v_lshlrev_b32_e32 v0, 16, v0
	v_sub_f32_e32 v0, v0, v1
	global_store_short_d16_hi v[24:25], v0, off offset:32
	v_mul_f32_e32 v0, v16, v0
	v_lshrrev_b32_e32 v11, 16, v0
.LBB7_78:
	s_or_b64 exec, exec, s[6:7]
	v_mov_b32_e32 v15, 0
	v_mov_b32_e32 v13, 0
	s_and_saveexec_b64 s[6:7], s[0:1]
	s_cbranch_execz .LBB7_80
; %bb.79:
	v_mov_b32_e32 v13, 0
	v_lshl_add_u64 v[0:1], v[6:7], 0, v[12:13]
	global_load_ushort v24, v[0:1], off offset:32
	v_lshl_add_u64 v[0:1], v[4:5], 0, v[12:13]
	s_waitcnt vmcnt(0)
	v_lshlrev_b32_e32 v13, 16, v24
	v_sub_f32_e32 v2, v13, v2
	global_store_short_d16_hi v[0:1], v2, off offset:32
	v_mul_f32_e32 v0, v20, v2
	v_lshrrev_b32_e32 v13, 16, v0
.LBB7_80:
	s_or_b64 exec, exec, s[6:7]
	s_and_saveexec_b64 s[6:7], s[4:5]
	s_cbranch_execz .LBB7_82
; %bb.81:
	v_mov_b32_e32 v15, 0
	v_lshl_add_u64 v[0:1], v[6:7], 0, v[14:15]
	global_load_ushort v2, v[0:1], off offset:32
	v_lshl_add_u64 v[0:1], v[4:5], 0, v[14:15]
	s_waitcnt vmcnt(0)
	v_lshlrev_b32_e32 v2, 16, v2
	v_sub_f32_e32 v2, v2, v3
	global_store_short_d16_hi v[0:1], v2, off offset:32
	v_mul_f32_e32 v0, v17, v2
	v_lshrrev_b32_e32 v15, 16, v0
.LBB7_82:
	s_or_b64 exec, exec, s[6:7]
	s_mov_b32 s6, 0x5040100
	v_perm_b32 v24, v11, v9, s6
	v_or_b32_e32 v9, v21, v23
	v_accvgpr_read_b32 v0, a4
	v_perm_b32 v25, v15, v13, s6
	v_lshlrev_b32_e32 v9, 1, v9
	v_accvgpr_read_b32 v1, a5
	v_accvgpr_read_b32 v2, a6
	v_accvgpr_read_b32 v3, a7
	ds_write_b64 v9, v[24:25] offset:24576
	v_mov_b32_e32 v11, 0
	v_mov_b32_e32 v9, 0
	s_and_saveexec_b64 s[6:7], vcc
	s_cbranch_execz .LBB7_84
; %bb.83:
	v_mov_b32_e32 v9, 0
	v_lshl_add_u64 v[24:25], v[6:7], 0, v[8:9]
	global_load_ushort v13, v[24:25], off offset:64
	v_lshl_add_u64 v[24:25], v[4:5], 0, v[8:9]
	s_waitcnt vmcnt(0)
	v_lshlrev_b32_e32 v9, 16, v13
	v_sub_f32_e32 v0, v9, v0
	global_store_short_d16_hi v[24:25], v0, off offset:64
	v_mul_f32_e32 v0, v18, v0
	v_lshrrev_b32_e32 v9, 16, v0
.LBB7_84:
	s_or_b64 exec, exec, s[6:7]
	s_and_saveexec_b64 s[6:7], s[2:3]
	s_cbranch_execz .LBB7_86
; %bb.85:
	v_mov_b32_e32 v11, 0
	v_lshl_add_u64 v[24:25], v[6:7], 0, v[10:11]
	global_load_ushort v0, v[24:25], off offset:64
	v_lshl_add_u64 v[24:25], v[4:5], 0, v[10:11]
	s_waitcnt vmcnt(0)
	v_lshlrev_b32_e32 v0, 16, v0
	v_sub_f32_e32 v0, v0, v1
	global_store_short_d16_hi v[24:25], v0, off offset:64
	v_mul_f32_e32 v0, v16, v0
	v_lshrrev_b32_e32 v11, 16, v0
.LBB7_86:
	s_or_b64 exec, exec, s[6:7]
	v_mov_b32_e32 v15, 0
	v_mov_b32_e32 v13, 0
	s_and_saveexec_b64 s[6:7], s[0:1]
	s_cbranch_execz .LBB7_88
; %bb.87:
	v_mov_b32_e32 v13, 0
	v_lshl_add_u64 v[0:1], v[6:7], 0, v[12:13]
	global_load_ushort v23, v[0:1], off offset:64
	v_lshl_add_u64 v[0:1], v[4:5], 0, v[12:13]
	s_waitcnt vmcnt(0)
	v_lshlrev_b32_e32 v13, 16, v23
	v_sub_f32_e32 v2, v13, v2
	global_store_short_d16_hi v[0:1], v2, off offset:64
	v_mul_f32_e32 v0, v20, v2
	v_lshrrev_b32_e32 v13, 16, v0
.LBB7_88:
	s_or_b64 exec, exec, s[6:7]
	s_and_saveexec_b64 s[6:7], s[4:5]
	s_cbranch_execz .LBB7_90
; %bb.89:
	v_mov_b32_e32 v15, 0
	v_lshl_add_u64 v[0:1], v[6:7], 0, v[14:15]
	global_load_ushort v2, v[0:1], off offset:64
	v_lshl_add_u64 v[0:1], v[4:5], 0, v[14:15]
	s_waitcnt vmcnt(0)
	v_lshlrev_b32_e32 v2, 16, v2
	v_sub_f32_e32 v2, v2, v3
	global_store_short_d16_hi v[0:1], v2, off offset:64
	v_mul_f32_e32 v0, v17, v2
	v_lshrrev_b32_e32 v15, 16, v0
.LBB7_90:
	s_or_b64 exec, exec, s[6:7]
	s_mov_b32 s6, 0x5040100
	v_perm_b32 v24, v11, v9, s6
	v_or_b32_e32 v9, v21, v22
	v_accvgpr_read_b32 v0, a0
	v_perm_b32 v25, v15, v13, s6
	v_lshlrev_b32_e32 v9, 1, v9
	v_accvgpr_read_b32 v1, a1
	v_accvgpr_read_b32 v2, a2
	;; [unrolled: 1-line block ×3, first 2 shown]
	ds_write_b64 v9, v[24:25] offset:24576
	v_mov_b32_e32 v11, 0
	v_mov_b32_e32 v9, 0
	s_and_saveexec_b64 s[6:7], vcc
	s_cbranch_execz .LBB7_92
; %bb.91:
	v_mov_b32_e32 v9, 0
	v_lshl_add_u64 v[22:23], v[6:7], 0, v[8:9]
	global_load_ushort v13, v[22:23], off offset:96
	v_lshl_add_u64 v[8:9], v[4:5], 0, v[8:9]
	s_waitcnt vmcnt(0)
	v_lshlrev_b32_e32 v13, 16, v13
	v_sub_f32_e32 v0, v13, v0
	global_store_short_d16_hi v[8:9], v0, off offset:96
	v_mul_f32_e32 v0, v18, v0
	v_lshrrev_b32_e32 v9, 16, v0
.LBB7_92:
	s_or_b64 exec, exec, s[6:7]
	s_and_saveexec_b64 s[6:7], s[2:3]
	s_cbranch_execz .LBB7_94
; %bb.93:
	v_mov_b32_e32 v11, 0
	v_lshl_add_u64 v[22:23], v[6:7], 0, v[10:11]
	global_load_ushort v0, v[22:23], off offset:96
	v_lshl_add_u64 v[10:11], v[4:5], 0, v[10:11]
	s_waitcnt vmcnt(0)
	v_lshlrev_b32_e32 v0, 16, v0
	v_sub_f32_e32 v0, v0, v1
	global_store_short_d16_hi v[10:11], v0, off offset:96
	v_mul_f32_e32 v0, v16, v0
	v_lshrrev_b32_e32 v11, 16, v0
.LBB7_94:
	s_or_b64 exec, exec, s[6:7]
	v_mov_b32_e32 v0, 0
	v_mov_b32_e32 v1, 0
	s_and_saveexec_b64 s[2:3], s[0:1]
	s_cbranch_execz .LBB7_96
; %bb.95:
	v_mov_b32_e32 v13, 0
	v_lshl_add_u64 v[22:23], v[6:7], 0, v[12:13]
	global_load_ushort v1, v[22:23], off offset:96
	v_lshl_add_u64 v[12:13], v[4:5], 0, v[12:13]
	s_waitcnt vmcnt(0)
	v_lshlrev_b32_e32 v1, 16, v1
	v_sub_f32_e32 v1, v1, v2
	global_store_short_d16_hi v[12:13], v1, off offset:96
	v_mul_f32_e32 v1, v20, v1
	v_lshrrev_b32_e32 v1, 16, v1
.LBB7_96:
	s_or_b64 exec, exec, s[2:3]
	s_and_saveexec_b64 s[0:1], s[4:5]
	s_cbranch_execz .LBB7_98
; %bb.97:
	v_mov_b32_e32 v15, 0
	v_lshl_add_u64 v[6:7], v[6:7], 0, v[14:15]
	global_load_ushort v0, v[6:7], off offset:96
	v_lshl_add_u64 v[4:5], v[4:5], 0, v[14:15]
	s_waitcnt vmcnt(0)
	v_lshlrev_b32_e32 v0, 16, v0
	v_sub_f32_e32 v0, v0, v3
	global_store_short_d16_hi v[4:5], v0, off offset:96
	v_mul_f32_e32 v0, v17, v0
	v_lshrrev_b32_e32 v0, 16, v0
.LBB7_98:
	s_or_b64 exec, exec, s[0:1]
	s_mov_b32 s0, 0x5040100
	v_or_b32_e32 v2, v21, v19
	v_perm_b32 v1, v0, v1, s0
	v_perm_b32 v0, v11, v9, s0
	v_lshlrev_b32_e32 v2, 1, v2
	ds_write_b64 v2, v[0:1] offset:24576
	s_waitcnt lgkmcnt(0)
	s_barrier
.LBB7_99:
	s_endpgm
	.section	.rodata,"a",@progbits
	.p2align	6, 0x0
	.amdhsa_kernel _ZN12_GLOBAL__N_139chunk_gated_delta_rule_fwd_h_hip_kernelILi64ELb0ELb0ELb1ELb1ELb1ELb1ELb1ELb1EEEvPK12hip_bfloat16S3_S3_PKfS5_PKvPS1_S8_PvPKiSB_iiiiilll
		.amdhsa_group_segment_fixed_size 65536
		.amdhsa_private_segment_fixed_size 0
		.amdhsa_kernarg_size 136
		.amdhsa_user_sgpr_count 2
		.amdhsa_user_sgpr_dispatch_ptr 0
		.amdhsa_user_sgpr_queue_ptr 0
		.amdhsa_user_sgpr_kernarg_segment_ptr 1
		.amdhsa_user_sgpr_dispatch_id 0
		.amdhsa_user_sgpr_kernarg_preload_length 0
		.amdhsa_user_sgpr_kernarg_preload_offset 0
		.amdhsa_user_sgpr_private_segment_size 0
		.amdhsa_uses_dynamic_stack 0
		.amdhsa_enable_private_segment 0
		.amdhsa_system_sgpr_workgroup_id_x 1
		.amdhsa_system_sgpr_workgroup_id_y 1
		.amdhsa_system_sgpr_workgroup_id_z 0
		.amdhsa_system_sgpr_workgroup_info 0
		.amdhsa_system_vgpr_workitem_id 0
		.amdhsa_next_free_vgpr 232
		.amdhsa_next_free_sgpr 64
		.amdhsa_accum_offset 192
		.amdhsa_reserve_vcc 1
		.amdhsa_float_round_mode_32 0
		.amdhsa_float_round_mode_16_64 0
		.amdhsa_float_denorm_mode_32 3
		.amdhsa_float_denorm_mode_16_64 3
		.amdhsa_dx10_clamp 1
		.amdhsa_ieee_mode 1
		.amdhsa_fp16_overflow 0
		.amdhsa_tg_split 0
		.amdhsa_exception_fp_ieee_invalid_op 0
		.amdhsa_exception_fp_denorm_src 0
		.amdhsa_exception_fp_ieee_div_zero 0
		.amdhsa_exception_fp_ieee_overflow 0
		.amdhsa_exception_fp_ieee_underflow 0
		.amdhsa_exception_fp_ieee_inexact 0
		.amdhsa_exception_int_div_zero 0
	.end_amdhsa_kernel
	.section	.text._ZN12_GLOBAL__N_139chunk_gated_delta_rule_fwd_h_hip_kernelILi64ELb0ELb0ELb1ELb1ELb1ELb1ELb1ELb1EEEvPK12hip_bfloat16S3_S3_PKfS5_PKvPS1_S8_PvPKiSB_iiiiilll,"axG",@progbits,_ZN12_GLOBAL__N_139chunk_gated_delta_rule_fwd_h_hip_kernelILi64ELb0ELb0ELb1ELb1ELb1ELb1ELb1ELb1EEEvPK12hip_bfloat16S3_S3_PKfS5_PKvPS1_S8_PvPKiSB_iiiiilll,comdat
.Lfunc_end7:
	.size	_ZN12_GLOBAL__N_139chunk_gated_delta_rule_fwd_h_hip_kernelILi64ELb0ELb0ELb1ELb1ELb1ELb1ELb1ELb1EEEvPK12hip_bfloat16S3_S3_PKfS5_PKvPS1_S8_PvPKiSB_iiiiilll, .Lfunc_end7-_ZN12_GLOBAL__N_139chunk_gated_delta_rule_fwd_h_hip_kernelILi64ELb0ELb0ELb1ELb1ELb1ELb1ELb1ELb1EEEvPK12hip_bfloat16S3_S3_PKfS5_PKvPS1_S8_PvPKiSB_iiiiilll
                                        ; -- End function
	.section	.AMDGPU.csdata,"",@progbits
; Kernel info:
; codeLenInByte = 11320
; NumSgprs: 70
; NumVgprs: 190
; NumAgprs: 40
; TotalNumVgprs: 232
; ScratchSize: 0
; MemoryBound: 0
; FloatMode: 240
; IeeeMode: 1
; LDSByteSize: 65536 bytes/workgroup (compile time only)
; SGPRBlocks: 8
; VGPRBlocks: 28
; NumSGPRsForWavesPerEU: 70
; NumVGPRsForWavesPerEU: 232
; AccumOffset: 192
; Occupancy: 1
; WaveLimiterHint : 1
; COMPUTE_PGM_RSRC2:SCRATCH_EN: 0
; COMPUTE_PGM_RSRC2:USER_SGPR: 2
; COMPUTE_PGM_RSRC2:TRAP_HANDLER: 0
; COMPUTE_PGM_RSRC2:TGID_X_EN: 1
; COMPUTE_PGM_RSRC2:TGID_Y_EN: 1
; COMPUTE_PGM_RSRC2:TGID_Z_EN: 0
; COMPUTE_PGM_RSRC2:TIDIG_COMP_CNT: 0
; COMPUTE_PGM_RSRC3_GFX90A:ACCUM_OFFSET: 47
; COMPUTE_PGM_RSRC3_GFX90A:TG_SPLIT: 0
	.section	.text._ZN12_GLOBAL__N_139chunk_gated_delta_rule_fwd_h_hip_kernelILi64ELb0ELb0ELb0ELb1ELb1ELb1ELb1ELb1EEEvPK12hip_bfloat16S3_S3_PKfS5_PKvPS1_S8_PvPKiSB_iiiiilll,"axG",@progbits,_ZN12_GLOBAL__N_139chunk_gated_delta_rule_fwd_h_hip_kernelILi64ELb0ELb0ELb0ELb1ELb1ELb1ELb1ELb1EEEvPK12hip_bfloat16S3_S3_PKfS5_PKvPS1_S8_PvPKiSB_iiiiilll,comdat
	.globl	_ZN12_GLOBAL__N_139chunk_gated_delta_rule_fwd_h_hip_kernelILi64ELb0ELb0ELb0ELb1ELb1ELb1ELb1ELb1EEEvPK12hip_bfloat16S3_S3_PKfS5_PKvPS1_S8_PvPKiSB_iiiiilll ; -- Begin function _ZN12_GLOBAL__N_139chunk_gated_delta_rule_fwd_h_hip_kernelILi64ELb0ELb0ELb0ELb1ELb1ELb1ELb1ELb1EEEvPK12hip_bfloat16S3_S3_PKfS5_PKvPS1_S8_PvPKiSB_iiiiilll
	.p2align	8
	.type	_ZN12_GLOBAL__N_139chunk_gated_delta_rule_fwd_h_hip_kernelILi64ELb0ELb0ELb0ELb1ELb1ELb1ELb1ELb1EEEvPK12hip_bfloat16S3_S3_PKfS5_PKvPS1_S8_PvPKiSB_iiiiilll,@function
_ZN12_GLOBAL__N_139chunk_gated_delta_rule_fwd_h_hip_kernelILi64ELb0ELb0ELb0ELb1ELb1ELb1ELb1ELb1EEEvPK12hip_bfloat16S3_S3_PKfS5_PKvPS1_S8_PvPKiSB_iiiiilll: ; @_ZN12_GLOBAL__N_139chunk_gated_delta_rule_fwd_h_hip_kernelILi64ELb0ELb0ELb0ELb1ELb1ELb1ELb1ELb1EEEvPK12hip_bfloat16S3_S3_PKfS5_PKvPS1_S8_PvPKiSB_iiiiilll
; %bb.0:
	s_load_dwordx4 s[12:15], s[0:1], 0x5c
	s_load_dwordx4 s[16:19], s[0:1], 0x70
	s_abs_i32 s21, s3
	s_ashr_i32 s20, s3, 31
	s_load_dwordx2 s[36:37], s[0:1], 0x30
	s_load_dwordx4 s[24:27], s[0:1], 0x48
	s_waitcnt lgkmcnt(0)
	s_abs_i32 s28, s13
	v_cvt_f32_u32_e32 v1, s28
	s_sub_i32 s22, 0, s28
	s_ashr_i32 s29, s13, 31
	s_xor_b32 s20, s20, s29
	v_rcp_iflag_f32_e32 v1, v1
	s_load_dwordx8 s[4:11], s[0:1], 0x0
	v_lshrrev_b32_e32 v85, 6, v0
	v_bfe_u32 v86, v0, 4, 2
	v_mul_f32_e32 v1, 0x4f7ffffe, v1
	v_cvt_u32_f32_e32 v1, v1
	v_lshlrev_b32_e32 v2, 2, v86
	v_and_b32_e32 v84, 63, v0
	v_mov_b32_e32 v47, 0
	v_readfirstlane_b32 s23, v1
	s_mul_i32 s22, s22, s23
	s_mul_hi_u32 s22, s23, s22
	s_add_i32 s23, s23, s22
	s_mul_hi_u32 s22, s21, s23
	s_mul_i32 s23, s22, s28
	s_sub_i32 s21, s21, s23
	s_add_i32 s30, s22, 1
	s_sub_i32 s23, s21, s28
	s_cmp_ge_u32 s21, s28
	s_cselect_b32 s22, s30, s22
	s_cselect_b32 s21, s23, s21
	s_add_i32 s23, s22, 1
	s_cmp_ge_u32 s21, s28
	s_cselect_b32 s21, s23, s22
	s_xor_b32 s21, s21, s20
	s_sub_i32 s20, s21, s20
	s_mul_i32 s21, s20, s13
	s_sub_i32 s33, s3, s21
	s_ashr_i32 s21, s20, 31
	s_lshl_b64 s[22:23], s[20:21], 2
	s_add_u32 s24, s24, s22
	s_addc_u32 s25, s25, s23
	s_add_u32 s22, s26, s22
	s_addc_u32 s23, s27, s23
	s_abs_i32 s3, s14
	v_cvt_f32_u32_e32 v1, s3
	s_load_dwordx2 s[34:35], s[24:25], 0x0
	s_sub_i32 s25, 0, s3
	s_load_dword s46, s[22:23], 0x0
	v_rcp_iflag_f32_e32 v1, v1
	v_and_b32_e32 v45, 15, v0
	s_waitcnt lgkmcnt(0)
	s_sub_i32 s47, s35, s34
	s_ashr_i32 s24, s47, 31
	v_mul_f32_e32 v1, 0x4f7ffffe, v1
	v_cvt_u32_f32_e32 v1, v1
	s_lshr_b32 s24, s24, 26
	s_add_i32 s24, s47, s24
	s_ashr_i32 s45, s24, 6
	v_readfirstlane_b32 s26, v1
	s_mul_i32 s25, s25, s26
	s_mul_hi_u32 s25, s26, s25
	s_add_i32 s26, s26, s25
	s_mul_hi_u32 s25, s28, s26
	s_mul_i32 s26, s25, s3
	s_ashr_i32 s24, s14, 31
	s_sub_i32 s26, s28, s26
	s_xor_b32 s24, s29, s24
	s_add_i32 s27, s25, 1
	s_sub_i32 s28, s26, s3
	s_cmp_ge_u32 s26, s3
	s_cselect_b32 s25, s27, s25
	s_cselect_b32 s26, s28, s26
	s_add_i32 s27, s25, 1
	s_cmp_ge_u32 s26, s3
	s_cselect_b32 s3, s27, s25
	s_xor_b32 s3, s3, s24
	s_sub_i32 s3, s3, s24
	s_abs_i32 s24, s3
	v_cvt_f32_u32_e32 v1, s24
	s_sub_i32 s23, 0, s24
	s_abs_i32 s22, s33
	s_xor_b32 s3, s33, s3
	v_rcp_iflag_f32_e32 v1, v1
	s_ashr_i32 s3, s3, 31
	s_load_dwordx2 s[28:29], s[0:1], 0x80
	s_mul_hi_i32 s48, s33, s12
	v_mul_f32_e32 v1, 0x4f7ffffe, v1
	v_cvt_u32_f32_e32 v1, v1
	s_mul_i32 s49, s33, s12
	v_lshrrev_b32_e32 v88, 3, v84
	v_lshlrev_b32_e32 v87, 3, v0
	v_readfirstlane_b32 s25, v1
	s_mul_i32 s23, s23, s25
	s_mul_hi_u32 s23, s25, s23
	s_add_i32 s25, s25, s23
	s_mul_hi_u32 s23, s22, s25
	s_mul_i32 s25, s23, s24
	s_sub_i32 s22, s22, s25
	s_add_i32 s25, s23, 1
	s_sub_i32 s26, s22, s24
	s_cmp_ge_u32 s22, s24
	s_cselect_b32 s23, s25, s23
	s_cselect_b32 s22, s26, s22
	s_add_i32 s25, s23, 1
	s_cmp_ge_u32 s22, s24
	s_cselect_b32 s22, s25, s23
	s_xor_b32 s22, s22, s3
	v_lshlrev_b32_e32 v1, 4, v85
	s_sub_i32 s50, s22, s3
	v_or_b32_e32 v89, v2, v1
	s_lshl_b32 s30, s2, 6
	v_or_b32_e32 v90, 64, v89
	s_cmp_lt_i32 s47, 64
	s_mul_i32 s42, s20, s17
	s_mul_hi_u32 s43, s20, s16
	s_mul_i32 s44, s21, s16
	s_mul_i32 s16, s20, s16
	v_mov_b32_e32 v46, v47
	v_mov_b32_e32 v53, v47
	;; [unrolled: 1-line block ×31, first 2 shown]
	s_cbranch_scc1 .LBB8_18
; %bb.1:
	s_ashr_i32 s53, s33, 31
	s_ashr_i32 s3, s34, 31
	s_add_u32 s2, s49, s34
	s_addc_u32 s3, s48, s3
	s_lshl_b64 s[2:3], s[2:3], 8
	v_and_b32_e32 v92, 56, v87
	s_add_u32 s20, s6, s2
	v_lshl_or_b32 v91, v85, 3, v88
	v_lshlrev_b32_e32 v3, 1, v92
	s_addc_u32 s2, s7, s3
	v_lshl_or_b32 v93, v91, 8, v3
	s_and_b32 s21, s2, 0xffff
	s_mov_b32 s23, 0x20000
	s_movk_i32 s22, 0x4000
	s_movk_i32 s2, 0x80
	v_or_b32_e32 v94, 0x2000, v93
	buffer_load_dwordx4 v[4:7], v93, s[20:23], 0 offen
	buffer_load_dwordx4 v[8:11], v93, s[20:23], s2 offen
	;; [unrolled: 1-line block ×4, first 2 shown]
	v_lshlrev_b32_e32 v20, 3, v91
	v_and_or_b32 v22, v0, 7, v20
	v_and_b32_e32 v20, 0x78, v20
	v_lshlrev_b32_e32 v22, 4, v22
	v_xor_b32_e32 v95, v22, v20
	v_mul_lo_u32 v21, v91, s15
	v_or_b32_e32 v96, 0x1000, v95
	s_cmpk_eq_i32 s15, 0x80
	s_mov_b32 s51, s13
	s_mov_b32 s52, s34
	v_xor_b32_e32 v20, 8, v95
	v_xor_b32_e32 v22, 8, v96
	s_cselect_b64 s[2:3], -1, 0
	s_cmpk_lg_i32 s15, 0x80
	s_waitcnt vmcnt(3)
	ds_write_b64 v95, v[4:5] offset:49152
	ds_write_b64 v20, v[6:7] offset:49152
	s_waitcnt vmcnt(2)
	ds_write_b64 v95, v[8:9] offset:57344
	ds_write_b64 v20, v[10:11] offset:57344
	;; [unrolled: 3-line block ×4, first 2 shown]
	v_lshl_add_u32 v4, v21, 1, v92
	s_cbranch_scc0 .LBB8_3
; %bb.2:
	v_lshlrev_b32_e32 v6, 1, v4
	v_add_lshl_u32 v5, v4, s15, 1
	s_lshl_b32 s22, s15, 7
	s_load_dwordx2 s[38:39], s[0:1], 0x20
	v_lshl_or_b32 v3, v91, 9, v3
	s_cbranch_execz .LBB8_4
	s_branch .LBB8_5
.LBB8_3:
                                        ; implicit-def: $vgpr5
                                        ; implicit-def: $vgpr6
                                        ; implicit-def: $sgpr22
	s_load_dwordx2 s[38:39], s[0:1], 0x20
	v_lshl_or_b32 v3, v91, 9, v3
.LBB8_4:
	v_or_b32_e32 v5, 0x100, v3
	s_movk_i32 s22, 0x4000
	v_mov_b32_e32 v6, v3
.LBB8_5:
	s_mul_i32 s0, s34, s14
	s_ashr_i32 s54, s50, 31
	s_mul_hi_i32 s1, s34, s14
	s_add_u32 s0, s0, s50
	s_addc_u32 s1, s1, s54
	s_lshl_b64 s[0:1], s[0:1], 8
	s_add_u32 s20, s4, s0
	s_addc_u32 s0, s5, s1
	s_and_b32 s21, s0, 0xffff
	s_movk_i32 s55, 0x80
	buffer_load_dwordx4 v[8:11], v6, s[20:23], 0 offen
	buffer_load_dwordx4 v[12:15], v6, s[20:23], s55 offen
	;; [unrolled: 1-line block ×4, first 2 shown]
	v_and_b32_e32 v5, 6, v0
	v_lshlrev_b32_e32 v6, 7, v89
	v_xor_b32_e32 v28, v91, v5
	v_and_b32_e32 v7, 1, v0
	v_lshl_or_b32 v31, v45, 3, v6
	v_lshlrev_b32_e32 v28, 2, v28
	v_lshlrev_b32_e32 v24, 2, v45
	v_or_b32_e32 v97, 0x4000, v31
	v_or_b32_e32 v98, 0x6000, v31
	v_xor_b32_e32 v31, 0x440, v28
	v_cmp_eq_u32_e32 vcc, 0, v7
	v_or_b32_e32 v26, 16, v45
	v_or_b32_e32 v27, 32, v45
	v_xor_b32_e32 v29, v89, v24
	v_xor_b32_e32 v30, v90, v24
	v_cndmask_b32_e32 v7, v31, v28, vcc
	s_add_i32 s0, s43, s42
	s_mov_b32 s56, 0x1000504
	v_lshl_or_b32 v32, v26, 3, v6
	v_lshlrev_b32_e32 v26, 8, v26
	v_lshl_or_b32 v33, v27, 3, v6
	v_lshlrev_b32_e32 v29, 1, v29
	v_lshlrev_b32_e32 v30, 1, v30
	v_lshl_or_b32 v5, v5, 10, v7
	s_add_i32 s17, s0, s44
	s_mul_i32 s0, s33, s19
	s_mul_hi_u32 s1, s33, s18
	s_mov_b32 s57, 0x3020706
	v_lshlrev_b32_e32 v25, 8, v45
	v_or_b32_e32 v101, 0x4000, v33
	v_or_b32_e32 v102, 0x6000, v33
	;; [unrolled: 1-line block ×4, first 2 shown]
	v_xor_b32_e32 v7, 8, v5
	v_xor_b32_e32 v26, 24, v5
	;; [unrolled: 1-line block ×4, first 2 shown]
	s_add_i32 s0, s1, s0
	s_mul_i32 s1, s53, s18
	v_or_b32_e32 v99, 0x4000, v32
	v_or_b32_e32 v100, 0x6000, v32
	;; [unrolled: 1-line block ×4, first 2 shown]
	v_xor_b32_e32 v25, 16, v5
	v_xor_b32_e32 v28, 32, v5
	;; [unrolled: 1-line block ×3, first 2 shown]
	v_add_u32_e32 v7, 0x80, v7
	v_add_u32_e32 v26, 0x80, v26
	;; [unrolled: 1-line block ×4, first 2 shown]
	s_add_i32 s1, s0, s1
	s_lshl_b64 s[20:21], s[16:17], 2
	s_mul_i32 s0, s33, s18
	s_add_u32 s17, s10, s20
	s_addc_u32 s20, s11, s21
	s_lshl_b64 s[0:1], s[0:1], 2
	s_add_u32 s40, s17, s0
	s_movk_i32 s0, 0xf8
	s_addc_u32 s41, s20, s1
	s_ashr_i32 s31, s30, 31
	s_lshl_b32 s26, s15, 7
	v_mov_b32_e32 v79, 0
	s_movk_i32 s17, 0x100
	v_lshlrev_b32_e32 v78, 4, v45
	v_lshlrev_b32_e32 v27, 8, v27
	s_mov_b32 s59, 0
	s_movk_i32 s22, 0x4000
	v_or_b32_e32 v107, v27, v29
	v_or_b32_e32 v108, v27, v30
	v_add_u32_e32 v134, v1, v2
	s_movk_i32 s58, 0x3000
	v_mov_b32_e32 v70, v79
	v_mov_b32_e32 v71, v79
	;; [unrolled: 1-line block ×7, first 2 shown]
	s_waitcnt vmcnt(1)
	v_perm_b32 v34, v8, v16, s56
	s_waitcnt vmcnt(0)
	v_perm_b32 v35, v12, v20, s56
	v_perm_b32 v8, v8, v16, s57
	;; [unrolled: 1-line block ×15, first 2 shown]
	ds_write2st64_b32 v5, v34, v35 offset0:128 offset1:160
	ds_write2st64_b32 v7, v8, v12 offset0:128 offset1:160
	;; [unrolled: 1-line block ×8, first 2 shown]
	v_or_b32_e32 v5, 48, v45
	v_lshl_or_b32 v7, v5, 3, v6
	v_lshlrev_b32_e32 v5, 8, v5
	v_or_b32_e32 v111, v5, v29
	v_or_b32_e32 v112, v5, v30
	;; [unrolled: 1-line block ×3, first 2 shown]
	v_lshlrev_b32_e32 v5, 3, v5
	v_lshrrev_b32_e32 v9, 5, v84
	v_and_or_b32 v9, v5, s0, v9
	v_lshlrev_b32_e32 v9, 4, v9
	v_lshlrev_b32_e32 v11, 11, v85
	v_and_b32_e32 v5, 0x78, v5
	v_or_b32_e32 v14, 32, v9
	v_and_b32_e32 v8, 0x1000, v11
	v_xor_b32_e32 v10, v9, v5
	v_lshrrev_b32_e32 v12, 1, v84
	v_xor_b32_e32 v14, v14, v5
	v_or_b32_e32 v10, v10, v8
	v_and_b32_e32 v12, 8, v12
	v_or_b32_e32 v14, v14, v8
	v_xor_b32_e32 v113, v10, v12
	v_lshlrev_b32_e32 v10, 8, v86
	v_xor_b32_e32 v115, v14, v12
	v_or_b32_e32 v14, 64, v9
	v_or_b32_e32 v9, 0x60, v9
	v_or_b32_e32 v13, v10, v24
	v_xor_b32_e32 v14, v14, v5
	v_xor_b32_e32 v5, v9, v5
	v_lshlrev_b32_e32 v13, 1, v13
	v_or_b32_e32 v14, v14, v8
	v_or_b32_e32 v5, v5, v8
	s_lshl_b64 s[0:1], s[30:31], 8
	v_or_b32_e32 v114, 0x4000, v13
	v_or_b32_e32 v116, 0x4080, v13
	;; [unrolled: 1-line block ×4, first 2 shown]
	v_xor_b32_e32 v119, v14, v12
	v_xor_b32_e32 v120, v5, v12
	v_or_b32_e32 v121, 0x6000, v13
	v_or_b32_e32 v122, 0x6080, v13
	;; [unrolled: 1-line block ×4, first 2 shown]
	v_lshlrev_b32_e32 v12, 1, v4
	v_add_lshl_u32 v13, v4, s15, 1
	s_add_u32 s0, s36, s0
	v_lshlrev_b32_e32 v4, 1, v45
	v_lshrrev_b32_e32 v15, 4, v0
	s_addc_u32 s1, s37, s1
	v_or_b32_e32 v5, 1, v4
	v_lshlrev_b32_e32 v18, 2, v0
	v_or_b32_e32 v14, 0x100, v3
	v_xor_b32_e32 v16, v15, v4
	v_xor_b32_e32 v17, v5, v15
	v_lshl_add_u64 v[4:5], s[0:1], 0, v[78:79]
	v_lshlrev_b32_e32 v78, 8, v15
	v_lshrrev_b32_e32 v19, 1, v0
	v_and_or_b32 v10, v18, 60, v10
	v_cndmask_b32_e64 v131, v12, v3, s[2:3]
	v_mov_b32_e32 v3, 0xa000
	v_mov_b32_e32 v12, 0x8000
	v_cmp_gt_u32_e64 s[0:1], s17, v0
	v_lshl_or_b32 v125, v16, 3, v78
	v_and_b32_e32 v16, 8, v0
	v_and_b32_e32 v19, 24, v19
	v_lshlrev_b32_e32 v10, 1, v10
	v_cndmask_b32_e64 v3, v3, v12, s[0:1]
	v_lshlrev_b32_e32 v12, 3, v85
	v_or_b32_e32 v127, 0x6000, v10
	v_or_b32_e32 v128, 0x6080, v10
	;; [unrolled: 1-line block ×4, first 2 shown]
	v_mov_b32_e32 v10, 0x400
	v_cmp_eq_u32_e32 vcc, 0, v16
	v_cndmask_b32_e64 v132, v13, v14, s[2:3]
	v_xor_b32_e32 v13, v12, v19
	v_and_b32_e32 v15, 7, v0
	v_cndmask_b32_e64 v16, v10, 64, vcc
	v_or_b32_e32 v14, 0x440, v13
	v_lshl_or_b32 v126, v17, 3, v78
	v_lshlrev_b32_e32 v17, 3, v15
	v_or_b32_e32 v18, 32, v19
	v_or_b32_e32 v20, 0x60, v19
	v_cndmask_b32_e32 v14, v14, v13, vcc
	v_or3_b32 v13, v11, v16, v13
	v_lshlrev_b32_e32 v15, 7, v15
	v_xor_b32_e32 v18, v12, v18
	v_xor_b32_e32 v13, v13, v17
	;; [unrolled: 1-line block ×3, first 2 shown]
	v_or_b32_e32 v21, 0x440, v18
	v_or_b32_e32 v133, v13, v15
	v_xor_b32_e32 v13, 0x440, v12
	v_cndmask_b32_e32 v18, v21, v18, vcc
	v_cndmask_b32_e32 v12, v13, v12, vcc
	v_or_b32_e32 v109, 0x4000, v7
	v_or_b32_e32 v110, 0x6000, v7
	v_lshrrev_b32_e32 v7, 2, v84
	v_or_b32_e32 v14, v14, v11
	v_or_b32_e32 v18, v18, v11
	;; [unrolled: 1-line block ×3, first 2 shown]
	v_and_b32_e32 v7, 12, v7
	v_or_b32_e32 v8, s30, v45
	v_xor_b32_e32 v14, v14, v17
	v_xor_b32_e32 v18, v18, v17
	;; [unrolled: 1-line block ×3, first 2 shown]
	v_ashrrev_i32_e32 v9, 31, v8
	v_or_b32_e32 v10, v1, v7
	v_add_u32_e32 v19, v3, v14
	v_add_u32_e32 v21, v3, v18
	;; [unrolled: 1-line block ×3, first 2 shown]
	v_or3_b32 v12, v1, v7, 64
	v_add_u32_e32 v7, 0xa000, v14
	v_add_u32_e32 v14, 0xa000, v18
	;; [unrolled: 1-line block ×3, first 2 shown]
	v_lshl_add_u64 v[80:81], v[8:9], 1, s[8:9]
	v_lshl_add_u64 v[82:83], v[4:5], 0, v[78:79]
	s_mov_b32 s17, 0x7060302
	v_lshlrev_b32_e32 v78, 1, v6
	s_movk_i32 s31, 0x2000
	v_lshlrev_b32_e32 v135, 2, v10
	v_add_u32_e32 v136, v19, v15
	v_add_u32_e32 v137, v21, v15
	;; [unrolled: 1-line block ×4, first 2 shown]
	v_lshlrev_b32_e32 v140, 2, v12
	v_add_u32_e32 v141, v7, v15
	v_add_u32_e32 v142, v14, v15
	v_add_u32_e32 v143, v11, v15
	v_mov_b32_e32 v77, v79
	v_mov_b32_e32 v62, v79
	;; [unrolled: 1-line block ×25, first 2 shown]
	s_waitcnt lgkmcnt(0)
	s_barrier
.LBB8_6:                                ; =>This Inner Loop Header: Depth=1
	s_add_i32 s60, s59, 1
	s_cmp_lt_i32 s60, s45
	s_mov_b64 s[24:25], 0
	s_cselect_b64 s[2:3], -1, 0
	s_cmp_ge_i32 s60, s45
	s_mov_b64 s[20:21], 0
	s_cbranch_scc1 .LBB8_8
; %bb.7:                                ;   in Loop: Header=BB8_6 Depth=1
	s_add_i32 s0, s52, 64
	s_ashr_i32 s1, s0, 31
	s_add_u32 s0, s49, s0
	s_addc_u32 s1, s48, s1
	s_lshl_b64 s[0:1], s[0:1], 8
	s_add_u32 s20, s6, s0
	s_addc_u32 s21, s7, s1
.LBB8_8:                                ;   in Loop: Header=BB8_6 Depth=1
	v_cndmask_b32_e64 v2, 0, 1, s[2:3]
	v_cmp_ne_u32_e64 s[0:1], 1, v2
	s_andn2_b64 vcc, exec, s[2:3]
	s_cbranch_vccnz .LBB8_10
; %bb.9:                                ;   in Loop: Header=BB8_6 Depth=1
	s_add_i32 s2, s52, 64
	s_mul_hi_i32 s3, s2, s14
	s_mul_i32 s2, s2, s14
	s_add_u32 s2, s2, s50
	s_addc_u32 s3, s3, s54
	s_lshl_b64 s[2:3], s[2:3], 8
	s_add_u32 s24, s4, s2
	s_addc_u32 s25, s5, s3
.LBB8_10:                               ;   in Loop: Header=BB8_6 Depth=1
	v_perm_b32 v3, v77, v76, s17
	v_perm_b32 v2, v75, v74, s17
	v_perm_b32 v5, v73, v72, s17
	v_perm_b32 v4, v71, v70, s17
	ds_write_b64 v97, v[2:3]
	ds_write_b64 v98, v[4:5]
	ds_write_b64 v103, v[2:3]
	ds_write_b64 v104, v[4:5]
	v_perm_b32 v3, v69, v68, s17
	v_perm_b32 v2, v67, v66, s17
	v_perm_b32 v5, v65, v64, s17
	v_perm_b32 v4, v63, v62, s17
	ds_write_b64 v99, v[2:3]
	ds_write_b64 v100, v[4:5]
	ds_write_b64 v105, v[2:3]
	ds_write_b64 v106, v[4:5]
	;; [unrolled: 8-line block ×4, first 2 shown]
	s_waitcnt lgkmcnt(0)
	s_barrier
	ds_read_b64 v[6:7], v113 offset:49152
	ds_read2_b64 v[2:5], v114 offset1:16
	ds_read_b64 v[18:19], v116 offset:6144
	ds_read_b64 v[20:21], v114 offset:6144
	s_waitcnt lgkmcnt(2)
	v_mfma_f32_16x16x16_bf16 a[0:3], v[6:7], v[2:3], 0
	ds_read_b64 v[22:23], v115 offset:49152
	ds_read2st64_b64 v[10:13], v117 offset0:4 offset1:8
	ds_read2st64_b64 v[14:17], v118 offset0:4 offset1:8
	v_mfma_f32_16x16x16_bf16 a[4:7], v[6:7], v[4:5], 0
	ds_read2_b64 v[2:5], v114 offset0:32 offset1:48
	s_add_i32 s61, s52, 63
	s_ashr_i32 s2, s61, 31
	s_waitcnt lgkmcnt(0)
	v_mfma_f32_16x16x16_bf16 a[8:11], v[6:7], v[2:3], 0
	s_mul_i32 s3, s61, s29
	s_mul_hi_u32 s27, s61, s28
	s_add_i32 s3, s27, s3
	v_mfma_f32_16x16x16_bf16 a[12:15], v[6:7], v[4:5], 0
	ds_read2st64_b64 v[2:5], v114 offset0:4 offset1:8
	ds_read2st64_b64 v[6:9], v116 offset0:4 offset1:8
	s_mul_i32 s2, s2, s28
	s_waitcnt lgkmcnt(1)
	v_mfma_f32_16x16x16_bf16 a[0:3], v[22:23], v[2:3], a[0:3]
	s_add_i32 s3, s3, s2
	s_mul_i32 s2, s61, s28
	s_lshl_b64 s[2:3], s[2:3], 2
	s_waitcnt lgkmcnt(0)
	v_mfma_f32_16x16x16_bf16 a[4:7], v[22:23], v[6:7], a[4:7]
	s_add_u32 s2, s40, s2
	s_addc_u32 s3, s41, s3
	s_and_b64 vcc, exec, s[0:1]
	v_mfma_f32_16x16x16_bf16 a[8:11], v[22:23], v[10:11], a[8:11]
	ds_read_b64 v[2:3], v119 offset:49152
	ds_read_b64 v[6:7], v120 offset:49152
	;; [unrolled: 1-line block ×3, first 2 shown]
	v_mov_b32_e32 v146, 0
	v_mov_b32_e32 v145, 0
	v_mfma_f32_16x16x16_bf16 a[12:15], v[22:23], v[14:15], a[12:15]
	v_mov_b32_e32 v144, 0
	v_mov_b32_e32 v14, 0
	;; [unrolled: 1-line block ×3, first 2 shown]
	s_waitcnt lgkmcnt(2)
	v_mfma_f32_16x16x16_bf16 a[0:3], v[2:3], v[4:5], a[0:3]
	v_mov_b32_e32 v4, 0
	v_mov_b32_e32 v5, 0
	v_mfma_f32_16x16x16_bf16 a[16:19], v[2:3], v[8:9], a[4:7]
	v_mov_b32_e32 v8, 0
	v_mov_b32_e32 v9, 0
	;; [unrolled: 3-line block ×3, first 2 shown]
	v_mfma_f32_16x16x16_bf16 a[24:27], v[2:3], v[16:17], a[12:15]
	ds_read_b64 v[2:3], v117 offset:6144
	v_mov_b32_e32 v16, 0
	v_mov_b32_e32 v17, 0
	s_waitcnt lgkmcnt(2)
	v_mfma_f32_16x16x16_bf16 a[4:7], v[6:7], v[20:21], a[0:3]
	v_mfma_f32_16x16x16_bf16 a[8:11], v[6:7], v[18:19], a[16:19]
	s_waitcnt lgkmcnt(0)
	v_mfma_f32_16x16x16_bf16 a[12:15], v[6:7], v[2:3], a[20:23]
	v_mov_b32_e32 v2, 0
	v_mov_b32_e32 v3, 0
	v_mfma_f32_16x16x16_bf16 a[0:3], v[6:7], v[10:11], a[24:27]
	v_mov_b32_e32 v6, 0
	v_mov_b32_e32 v7, 0
	;; [unrolled: 1-line block ×4, first 2 shown]
	s_cbranch_vccnz .LBB8_12
; %bb.11:                               ;   in Loop: Header=BB8_6 Depth=1
	s_and_b32 s21, s21, 0xffff
	buffer_load_dwordx4 v[14:17], v93, s[20:23], 0 offen
	buffer_load_dwordx4 v[10:13], v93, s[20:23], s55 offen
	;; [unrolled: 1-line block ×4, first 2 shown]
	v_mov_b32_e32 v145, v95
	v_mov_b32_e32 v144, v96
.LBB8_12:                               ;   in Loop: Header=BB8_6 Depth=1
	ds_read_b64 v[34:35], v113 offset:57344
	ds_read2_b64 v[18:21], v121 offset1:16
	ds_read_b64 v[36:37], v115 offset:57344
	ds_read_b64 v[38:39], v119 offset:57344
	;; [unrolled: 1-line block ×3, first 2 shown]
	v_add_u32_e32 v42, s52, v134
	s_waitcnt lgkmcnt(3)
	v_mfma_f32_16x16x16_bf16 a[4:7], v[34:35], v[18:19], a[4:7]
	v_mfma_f32_16x16x16_bf16 a[8:11], v[34:35], v[20:21], a[8:11]
	ds_read2_b64 v[18:21], v121 offset0:32 offset1:48
	ds_read2st64_b64 v[22:25], v121 offset0:4 offset1:8
	ds_read2st64_b64 v[26:29], v122 offset0:4 offset1:8
	ds_read2st64_b64 v[30:33], v123 offset0:4 offset1:8
	s_waitcnt lgkmcnt(3)
	v_mfma_f32_16x16x16_bf16 a[12:15], v[34:35], v[18:19], a[12:15]
	v_ashrrev_i32_e32 v18, 31, v42
	v_mfma_f32_16x16x16_bf16 a[0:3], v[34:35], v[20:21], a[0:3]
	v_mul_lo_u32 v20, v18, s28
	v_mul_lo_u32 v21, v42, s29
	v_mad_u64_u32 v[18:19], s[20:21], v42, s28, 0
	v_add3_u32 v19, v19, v21, v20
	v_add_u32_e32 v20, 1, v42
	v_ashrrev_i32_e32 v21, 31, v20
	s_waitcnt lgkmcnt(2)
	v_mfma_f32_16x16x16_bf16 a[4:7], v[36:37], v[22:23], a[4:7]
	v_mul_lo_u32 v22, v21, s28
	v_mul_lo_u32 v23, v20, s29
	v_mad_u64_u32 v[20:21], s[20:21], v20, s28, 0
	v_add3_u32 v21, v21, v23, v22
	v_add_u32_e32 v22, 2, v42
	v_ashrrev_i32_e32 v23, 31, v22
	s_waitcnt lgkmcnt(1)
	v_mfma_f32_16x16x16_bf16 a[8:11], v[36:37], v[26:27], a[8:11]
	v_mul_lo_u32 v26, v23, s28
	v_mul_lo_u32 v27, v22, s29
	v_mad_u64_u32 v[22:23], s[20:21], v22, s28, 0
	v_add3_u32 v23, v23, v27, v26
	v_add_u32_e32 v26, 3, v42
	v_ashrrev_i32_e32 v27, 31, v26
	v_mul_lo_u32 v34, v27, s28
	v_mul_lo_u32 v35, v26, s29
	v_mad_u64_u32 v[26:27], s[20:21], v26, s28, 0
	s_ashr_i32 s21, s52, 31
	s_add_u32 s20, s49, s52
	s_addc_u32 s21, s48, s21
	v_lshl_add_u64 v[18:19], v[18:19], 2, s[40:41]
	v_add3_u32 v27, v27, v35, v34
	s_lshl_b64 s[20:21], s[20:21], 8
	v_lshl_add_u64 v[20:21], v[20:21], 2, s[40:41]
	v_lshl_add_u64 v[22:23], v[22:23], 2, s[40:41]
	v_lshl_add_u64 v[26:27], v[26:27], 2, s[40:41]
	global_load_dword v34, v[18:19], off
	global_load_dword v35, v[20:21], off
	;; [unrolled: 1-line block ×4, first 2 shown]
	v_lshl_add_u64 v[18:19], v[80:81], 0, s[20:21]
	v_lshl_add_u64 v[22:23], v[18:19], 0, v[78:79]
	global_load_ushort v44, v[22:23], off offset:256
	global_load_ushort v147, v[22:23], off
	ds_read2st64_b64 v[18:21], v124 offset0:4 offset1:8
	global_load_ushort v148, v[22:23], off offset:768
	global_load_ushort v149, v[22:23], off offset:512
	s_waitcnt lgkmcnt(1)
	v_mfma_f32_16x16x16_bf16 a[12:15], v[36:37], v[30:31], a[12:15]
	s_and_b64 vcc, exec, s[0:1]
	s_waitcnt vmcnt(3)
	v_lshlrev_b32_e32 v31, 16, v44
	s_waitcnt lgkmcnt(0)
	v_mfma_f32_16x16x16_bf16 a[0:3], v[36:37], v[18:19], a[0:3]
	global_load_ushort v36, v[22:23], off offset:288
	global_load_ushort v37, v[22:23], off offset:32
	;; [unrolled: 1-line block ×8, first 2 shown]
	v_mfma_f32_16x16x16_bf16 a[4:7], v[38:39], v[24:25], a[4:7]
	ds_read_b64 v[18:19], v121 offset:6144
	s_waitcnt vmcnt(10)
	v_lshlrev_b32_e32 v30, 16, v147
	v_mov_b32_e32 v147, 0
	v_mfma_f32_16x16x16_bf16 a[8:11], v[38:39], v[28:29], a[8:11]
	v_mfma_f32_16x16x16_bf16 a[12:15], v[38:39], v[32:33], a[12:15]
	;; [unrolled: 1-line block ×3, first 2 shown]
	global_load_ushort v38, v[22:23], off offset:352
	global_load_ushort v39, v[22:23], off offset:96
	ds_read_b64 v[20:21], v122 offset:6144
	ds_read_b64 v[24:25], v123 offset:6144
	;; [unrolled: 1-line block ×3, first 2 shown]
	global_load_ushort v156, v[22:23], off offset:864
	global_load_ushort v157, v[22:23], off offset:608
	s_load_dword s2, s[2:3], 0x0
	s_waitcnt lgkmcnt(0)
	v_mfma_f32_16x16x16_bf16 a[4:7], v[40:41], v[18:19], a[4:7]
	v_sub_f32_e32 v28, s2, v42
	v_mfma_f32_16x16x16_bf16 a[0:3], v[40:41], v[26:27], a[0:3]
	v_sub_f32_e32 v26, s2, v34
	v_sub_f32_e32 v27, s2, v35
	;; [unrolled: 1-line block ×3, first 2 shown]
	v_mfma_f32_16x16x16_bf16 a[8:11], v[40:41], v[20:21], a[8:11]
	v_exp_f32_e32 v26, v26
	v_exp_f32_e32 v27, v27
	;; [unrolled: 1-line block ×4, first 2 shown]
	v_accvgpr_read_b32 v33, a5
	v_accvgpr_read_b32 v32, a4
	;; [unrolled: 1-line block ×4, first 2 shown]
	v_pk_add_f32 v[30:31], v[30:31], v[32:33] neg_lo:[0,1] neg_hi:[0,1]
	s_waitcnt vmcnt(13)
	v_lshlrev_b32_e32 v33, 16, v148
	s_waitcnt vmcnt(12)
	v_lshlrev_b32_e32 v32, 16, v149
	v_pk_add_f32 v[18:19], v[32:33], v[18:19] neg_lo:[0,1] neg_hi:[0,1]
	v_pk_mul_f32 v[30:31], v[26:27], v[30:31]
	v_pk_mul_f32 v[18:19], v[28:29], v[18:19]
	v_accvgpr_read_b32 v33, a9
	v_perm_b32 v19, v19, v18, s17
	v_perm_b32 v18, v31, v30, s17
	v_accvgpr_read_b32 v32, a8
	v_accvgpr_read_b32 v21, a11
	v_mfma_f32_16x16x16_bf16 a[12:15], v[40:41], v[24:25], a[12:15]
	v_accvgpr_read_b32 v20, a10
	v_accvgpr_read_b32 v25, a3
	;; [unrolled: 1-line block ×3, first 2 shown]
	s_waitcnt vmcnt(11)
	v_lshlrev_b32_e32 v31, 16, v36
	s_waitcnt vmcnt(10)
	v_lshlrev_b32_e32 v30, 16, v37
	v_pk_add_f32 v[30:31], v[30:31], v[32:33] neg_lo:[0,1] neg_hi:[0,1]
	s_waitcnt vmcnt(9)
	v_lshlrev_b32_e32 v33, 16, v150
	s_waitcnt vmcnt(8)
	v_lshlrev_b32_e32 v32, 16, v151
	v_pk_add_f32 v[20:21], v[32:33], v[20:21] neg_lo:[0,1] neg_hi:[0,1]
	v_pk_mul_f32 v[30:31], v[26:27], v[30:31]
	v_pk_mul_f32 v[20:21], v[28:29], v[20:21]
	v_accvgpr_read_b32 v23, a15
	v_perm_b32 v21, v21, v20, s17
	v_perm_b32 v20, v31, v30, s17
	ds_write2_b64 v98, v[18:19], v[20:21] offset1:16
	v_accvgpr_read_b32 v21, a13
	s_waitcnt vmcnt(7)
	v_lshlrev_b32_e32 v19, 16, v152
	s_waitcnt vmcnt(6)
	v_lshlrev_b32_e32 v18, 16, v153
	v_accvgpr_read_b32 v20, a12
	v_accvgpr_read_b32 v22, a14
	v_pk_add_f32 v[18:19], v[18:19], v[20:21] neg_lo:[0,1] neg_hi:[0,1]
	s_waitcnt vmcnt(5)
	v_lshlrev_b32_e32 v21, 16, v154
	s_waitcnt vmcnt(4)
	v_lshlrev_b32_e32 v20, 16, v155
	v_pk_add_f32 v[20:21], v[20:21], v[22:23] neg_lo:[0,1] neg_hi:[0,1]
	v_pk_mul_f32 v[18:19], v[26:27], v[18:19]
	v_pk_mul_f32 v[20:21], v[28:29], v[20:21]
	v_accvgpr_read_b32 v23, a1
	v_perm_b32 v21, v21, v20, s17
	v_perm_b32 v20, v19, v18, s17
	s_waitcnt vmcnt(3)
	v_lshlrev_b32_e32 v19, 16, v38
	s_waitcnt vmcnt(2)
	v_lshlrev_b32_e32 v18, 16, v39
	v_accvgpr_read_b32 v22, a0
	v_pk_add_f32 v[18:19], v[18:19], v[22:23] neg_lo:[0,1] neg_hi:[0,1]
	s_waitcnt vmcnt(1)
	v_lshlrev_b32_e32 v23, 16, v156
	s_waitcnt vmcnt(0)
	v_lshlrev_b32_e32 v22, 16, v157
	v_pk_add_f32 v[22:23], v[22:23], v[24:25] neg_lo:[0,1] neg_hi:[0,1]
	v_pk_mul_f32 v[18:19], v[26:27], v[18:19]
	v_pk_mul_f32 v[22:23], v[28:29], v[22:23]
	v_mov_b32_e32 v24, 0
	v_perm_b32 v23, v23, v22, s17
	v_perm_b32 v22, v19, v18, s17
	ds_write2_b64 v98, v[20:21], v[22:23] offset0:32 offset1:48
	v_mov_b32_e32 v18, 0
	v_mov_b32_e32 v19, 0
	;; [unrolled: 1-line block ×15, first 2 shown]
	s_cbranch_vccnz .LBB8_14
; %bb.13:                               ;   in Loop: Header=BB8_6 Depth=1
	s_and_b32 s25, s25, 0xffff
	s_mov_b32 s27, s23
	buffer_load_dwordx4 v[30:33], v131, s[24:27], 0 offen
	buffer_load_dwordx4 v[22:25], v131, s[24:27], s55 offen
	;; [unrolled: 1-line block ×4, first 2 shown]
	v_mov_b32_e32 v146, v92
	v_mov_b32_e32 v147, v91
.LBB8_14:                               ;   in Loop: Header=BB8_6 Depth=1
	s_waitcnt lgkmcnt(0)
	s_barrier
	ds_read_b64 v[42:43], v136
	ds_read2_b64 v[34:37], v127 offset1:16
	ds_read_b64 v[164:165], v137
	ds_read_b64 v[166:167], v138
	;; [unrolled: 1-line block ×3, first 2 shown]
	ds_read2_b64 v[38:41], v127 offset0:32 offset1:48
	ds_read2st64_b64 v[148:151], v127 offset0:4 offset1:8
	ds_read2st64_b64 v[152:155], v128 offset0:4 offset1:8
	;; [unrolled: 1-line block ×4, first 2 shown]
	s_waitcnt lgkmcnt(8)
	v_mfma_f32_16x16x16_bf16 a[0:3], v[42:43], v[34:35], 0
	s_add_i32 s3, s46, s59
	s_mul_hi_i32 s21, s3, s51
	s_mul_i32 s3, s3, s51
	v_mfma_f32_16x16x16_bf16 a[4:7], v[42:43], v[36:37], 0
	s_add_u32 s20, s3, s33
	s_addc_u32 s21, s21, s53
	s_lshl_b64 s[20:21], s[20:21], 15
	s_waitcnt lgkmcnt(4)
	v_mfma_f32_16x16x16_bf16 a[8:11], v[42:43], v[38:39], 0
	s_mul_i32 s24, s61, s51
	s_mul_hi_i32 s3, s61, s51
	s_add_u32 s24, s24, s33
	v_mfma_f32_16x16x16_bf16 a[12:15], v[42:43], v[40:41], 0
	ds_read_b64 v[42:43], v127 offset:6144
	ds_read_b64 v[176:177], v128 offset:6144
	;; [unrolled: 1-line block ×4, first 2 shown]
	s_addc_u32 s25, s3, s53
	s_waitcnt lgkmcnt(7)
	v_mfma_f32_16x16x16_bf16 a[0:3], v[164:165], v[148:149], a[0:3]
	s_lshl_b64 s[24:25], s[24:25], 9
	s_add_u32 s24, s38, s24
	s_addc_u32 s25, s39, s25
	s_waitcnt lgkmcnt(6)
	v_mfma_f32_16x16x16_bf16 a[4:7], v[164:165], v[152:153], a[4:7]
	v_lshl_add_u64 v[186:187], v[82:83], 0, s[20:21]
	s_waitcnt lgkmcnt(5)
	v_mfma_f32_16x16x16_bf16 a[8:11], v[164:165], v[156:157], a[8:11]
	s_waitcnt lgkmcnt(4)
	v_mfma_f32_16x16x16_bf16 a[12:15], v[164:165], v[160:161], a[12:15]
	ds_read_b64 v[164:165], v141
	ds_read_b64 v[174:175], v142
	;; [unrolled: 1-line block ×3, first 2 shown]
	s_waitcnt lgkmcnt(2)
	v_mfma_f32_16x16x16_bf16 a[16:19], v[164:165], v[34:35], 0
	v_mfma_f32_16x16x16_bf16 a[20:23], v[164:165], v[36:37], 0
	global_load_dwordx4 v[34:37], v140, s[24:25]
	v_mfma_f32_16x16x16_bf16 a[24:27], v[164:165], v[38:39], 0
	v_mfma_f32_16x16x16_bf16 a[28:31], v[164:165], v[40:41], 0
	global_load_dwordx4 v[38:41], v135, s[24:25]
	v_mfma_f32_16x16x16_bf16 a[0:3], v[166:167], v[150:151], a[0:3]
	v_mfma_f32_16x16x16_bf16 a[4:7], v[166:167], v[154:155], a[4:7]
	;; [unrolled: 1-line block ×8, first 2 shown]
	ds_read2st64_b64 v[164:167], v125 offset1:8
	ds_read2st64_b64 v[168:171], v126 offset1:8
	ds_read_b64 v[184:185], v133 offset:40960
	s_waitcnt lgkmcnt(2)
	v_mov_b32_e32 v172, v164
	v_mfma_f32_16x16x16_bf16 a[16:19], v[174:175], v[148:149], a[16:19]
	v_mov_b32_e32 v173, v165
	v_mfma_f32_16x16x16_bf16 a[20:23], v[174:175], v[152:153], a[20:23]
	v_mfma_f32_16x16x16_bf16 a[24:27], v[174:175], v[156:157], a[24:27]
	;; [unrolled: 1-line block ×3, first 2 shown]
	v_add_co_u32_e32 v160, vcc, s31, v186
	s_waitcnt lgkmcnt(1)
	v_mov_b32_e32 v174, v168
	s_waitcnt lgkmcnt(0)
	v_mfma_f32_16x16x16_bf16 a[16:19], v[184:185], v[150:151], a[16:19]
	ds_read2st64_b64 v[148:151], v125 offset0:16 offset1:24
	v_addc_co_u32_e32 v161, vcc, 0, v187, vcc
	v_mfma_f32_16x16x16_bf16 a[20:23], v[184:185], v[154:155], a[20:23]
	ds_read2st64_b64 v[152:155], v126 offset0:16 offset1:24
	v_mov_b32_e32 v175, v169
	v_mov_b32_e32 v168, v166
	v_mfma_f32_16x16x16_bf16 a[32:35], v[184:185], v[158:159], a[24:27]
	v_mov_b32_e32 v169, v167
	s_waitcnt lgkmcnt(0)
	v_mov_b32_e32 v158, v152
	v_mov_b32_e32 v159, v153
	v_mfma_f32_16x16x16_bf16 a[36:39], v[184:185], v[162:163], a[28:31]
	v_mov_b32_e32 v152, v150
	v_mov_b32_e32 v153, v151
	;; [unrolled: 1-line block ×3, first 2 shown]
	v_mfma_f32_16x16x16_bf16 a[24:27], v[182:183], v[42:43], a[16:19]
	v_add_co_u32_e32 v42, vcc, s58, v186
	v_mov_b32_e32 v157, v149
	v_mfma_f32_16x16x16_bf16 a[28:31], v[182:183], v[176:177], a[20:23]
	v_addc_co_u32_e32 v43, vcc, 0, v187, vcc
	global_store_dwordx4 v[42:43], v[152:155], off
	v_mfma_f32_16x16x16_bf16 a[16:19], v[182:183], v[178:179], a[32:35]
	s_waitcnt vmcnt(2)
	v_mov_b32_e32 v44, v37
	v_mov_b32_e32 v43, v36
	;; [unrolled: 1-line block ×3, first 2 shown]
	v_mfma_f32_16x16x16_bf16 a[20:23], v[182:183], v[180:181], a[36:39]
	s_and_b64 vcc, exec, s[0:1]
	global_store_dwordx4 v[186:187], v[172:175], off
	global_store_dwordx4 v[160:161], v[168:171], off offset:-4096
	global_store_dwordx4 v[160:161], v[156:159], off
	s_cbranch_vccnz .LBB8_16
; %bb.15:                               ;   in Loop: Header=BB8_6 Depth=1
	v_lshrrev_b32_e32 v35, 3, v146
	v_and_b32_e32 v35, 6, v35
	v_xor_b32_e32 v36, v35, v147
	v_lshlrev_b32_e32 v36, 2, v36
	v_and_b32_e32 v37, 8, v146
	v_xor_b32_e32 v146, 0x440, v36
	v_cmp_eq_u32_e32 vcc, 0, v37
	v_perm_b32 v37, v22, v18, s56
	s_nop 0
	v_cndmask_b32_e32 v36, v146, v36, vcc
	v_lshl_or_b32 v35, v35, 10, v36
	v_perm_b32 v36, v30, v26, s56
	s_barrier
	ds_write2st64_b32 v35, v36, v37 offset0:128 offset1:160
	v_xor_b32_e32 v36, 8, v35
	v_perm_b32 v26, v30, v26, s57
	v_perm_b32 v18, v22, v18, s57
	v_add_u32_e32 v22, 0x80, v36
	ds_write2st64_b32 v22, v26, v18 offset0:128 offset1:160
	v_xor_b32_e32 v18, 16, v35
	v_perm_b32 v22, v31, v27, s56
	v_perm_b32 v26, v23, v19, s56
	ds_write2st64_b32 v18, v22, v26 offset0:129 offset1:161
	v_xor_b32_e32 v18, 24, v35
	v_perm_b32 v22, v31, v27, s57
	v_perm_b32 v19, v23, v19, s57
	v_add_u32_e32 v18, 0x80, v18
	ds_write2st64_b32 v18, v22, v19 offset0:129 offset1:161
	v_xor_b32_e32 v18, 32, v35
	v_perm_b32 v19, v32, v28, s56
	v_perm_b32 v22, v24, v20, s56
	;; [unrolled: 9-line block ×3, first 2 shown]
	ds_write2st64_b32 v18, v19, v20 offset0:131 offset1:163
	v_xor_b32_e32 v18, 56, v35
	v_perm_b32 v19, v33, v29, s57
	v_perm_b32 v20, v25, v21, s57
	v_add_u32_e32 v18, 0x80, v18
	ds_write2st64_b32 v18, v19, v20 offset0:131 offset1:163
	ds_write_b64 v145, v[14:15] offset:49152
	v_xor_b32_e32 v14, 8, v145
	ds_write_b64 v14, v[16:17] offset:49152
	ds_write_b64 v145, v[10:11] offset:57344
	;; [unrolled: 1-line block ×4, first 2 shown]
	v_xor_b32_e32 v6, 8, v144
	ds_write_b64 v6, v[8:9] offset:49152
	ds_write_b64 v144, v[2:3] offset:57344
	;; [unrolled: 1-line block ×3, first 2 shown]
.LBB8_16:                               ;   in Loop: Header=BB8_6 Depth=1
	v_exp_f32_e32 v36, s2
	s_waitcnt vmcnt(4)
	v_exp_f32_e32 v38, v38
	v_exp_f32_e32 v39, v39
	;; [unrolled: 1-line block ×4, first 2 shown]
	v_accvgpr_read_b32 v5, a3
	v_accvgpr_read_b32 v4, a2
	;; [unrolled: 1-line block ×4, first 2 shown]
	v_pk_mul_f32 v[38:39], v[36:37], v[38:39] op_sel_hi:[0,1]
	v_pk_mul_f32 v[40:41], v[36:37], v[40:41] op_sel_hi:[0,1]
	v_pk_fma_f32 v[74:75], v[74:75], v[38:39], v[2:3]
	v_pk_fma_f32 v[76:77], v[76:77], v[40:41], v[4:5]
	v_exp_f32_e32 v2, v34
	v_exp_f32_e32 v3, v42
	;; [unrolled: 1-line block ×4, first 2 shown]
	v_accvgpr_read_b32 v9, a7
	v_accvgpr_read_b32 v13, a11
	;; [unrolled: 1-line block ×28, first 2 shown]
	v_pk_mul_f32 v[2:3], v[36:37], v[2:3] op_sel_hi:[0,1]
	v_pk_mul_f32 v[4:5], v[36:37], v[4:5] op_sel_hi:[0,1]
	s_add_i32 s52, s52, 64
	v_pk_fma_f32 v[66:67], v[38:39], v[66:67], v[6:7]
	v_pk_fma_f32 v[68:69], v[40:41], v[68:69], v[8:9]
	;; [unrolled: 1-line block ×13, first 2 shown]
	s_cmp_eq_u32 s45, s60
	v_pk_fma_f32 v[50:51], v[4:5], v[50:51], v[32:33]
	s_cbranch_scc1 .LBB8_18
; %bb.17:                               ;   in Loop: Header=BB8_6 Depth=1
	s_mov_b32 s59, s60
	s_branch .LBB8_6
.LBB8_18:
	s_lshl_b32 s0, s45, 6
	s_sub_i32 s40, s47, s0
	s_cmp_gt_i32 s40, 0
	s_cbranch_scc0 .LBB8_99
; %bb.19:
	s_add_i32 s34, s0, s34
	s_ashr_i32 s2, s34, 31
	s_cmpk_lg_i32 s15, 0x80
	s_cselect_b64 s[26:27], -1, 0
	s_and_b64 vcc, exec, s[26:27]
	s_cbranch_vccz .LBB8_21
; %bb.20:
	s_mul_i32 s1, s34, s14
	s_ashr_i32 s3, s50, 31
	s_mul_hi_i32 s0, s34, s14
	s_add_u32 s38, s1, s50
	s_addc_u32 s39, s0, s3
	s_cbranch_execz .LBB8_22
	s_branch .LBB8_23
.LBB8_21:
                                        ; implicit-def: $sgpr38_sgpr39
.LBB8_22:
	s_mul_i32 s1, s50, s12
	s_mul_hi_i32 s0, s50, s12
	s_add_u32 s38, s1, s34
	s_addc_u32 s39, s0, s2
.LBB8_23:
	s_add_i32 s3, s45, s46
	s_ashr_i32 s12, s33, 31
	s_add_u32 s0, s49, s34
	v_lshlrev_b32_e32 v6, 6, v89
	v_lshlrev_b32_e32 v24, 2, v45
	s_addc_u32 s1, s48, s2
	s_mov_b32 s2, 0x7060302
	v_or_b32_e32 v9, v6, v24
	v_xor_b32_e32 v7, v89, v24
	v_perm_b32 v3, v77, v76, s2
	v_perm_b32 v2, v75, v74, s2
	;; [unrolled: 1-line block ×4, first 2 shown]
	v_lshlrev_b32_e32 v9, 1, v9
	v_xor_b32_e32 v8, v90, v24
	ds_write2st64_b64 v9, v[2:3], v[4:5] offset0:32 offset1:48
	v_lshlrev_b32_e32 v7, 1, v7
	v_lshlrev_b32_e32 v9, 8, v45
	v_or_b32_e32 v10, v7, v9
	v_lshlrev_b32_e32 v8, 1, v8
	ds_write_b64 v10, v[2:3]
	v_or_b32_e32 v2, v8, v9
	v_or_b32_e32 v9, 16, v45
	v_lshlrev_b32_e32 v23, 2, v9
	v_or_b32_e32 v10, v6, v23
	ds_write_b64 v2, v[4:5]
	v_perm_b32 v3, v69, v68, s2
	v_perm_b32 v2, v67, v66, s2
	;; [unrolled: 1-line block ×4, first 2 shown]
	v_lshlrev_b32_e32 v10, 1, v10
	v_lshlrev_b32_e32 v9, 8, v9
	ds_write2st64_b64 v10, v[2:3], v[4:5] offset0:32 offset1:48
	v_or_b32_e32 v10, v7, v9
	ds_write_b64 v10, v[2:3]
	v_or_b32_e32 v2, v8, v9
	v_or_b32_e32 v9, 32, v45
	v_lshlrev_b32_e32 v22, 2, v9
	v_or_b32_e32 v10, v6, v22
	s_lshl_b64 s[24:25], s[0:1], 8
	ds_write_b64 v2, v[4:5]
	v_perm_b32 v3, v61, v60, s2
	v_perm_b32 v2, v59, v58, s2
	;; [unrolled: 1-line block ×4, first 2 shown]
	v_lshlrev_b32_e32 v10, 1, v10
	v_lshlrev_b32_e32 v9, 8, v9
	s_add_u32 s0, s6, s24
	ds_write2st64_b64 v10, v[2:3], v[4:5] offset0:32 offset1:48
	v_or_b32_e32 v10, v7, v9
	s_addc_u32 s1, s7, s25
	ds_write_b64 v10, v[2:3]
	v_or_b32_e32 v2, v8, v9
	v_or_b32_e32 v9, 48, v45
	s_mul_hi_i32 s6, s3, s13
	s_mul_i32 s3, s3, s13
	ds_write_b64 v2, v[4:5]
	v_perm_b32 v3, v47, v46, s2
	v_perm_b32 v2, v53, v52, s2
	;; [unrolled: 1-line block ×4, first 2 shown]
	v_lshlrev_b32_e32 v19, 2, v9
	s_add_u32 s2, s3, s33
	v_or_b32_e32 v6, v6, v19
	s_addc_u32 s3, s6, s12
	v_lshlrev_b32_e32 v6, 1, v6
	s_ashr_i32 s31, s30, 31
	s_lshl_b64 s[2:3], s[2:3], 15
	ds_write2st64_b64 v6, v[2:3], v[4:5] offset0:32 offset1:48
	v_lshlrev_b32_e32 v6, 8, v9
	s_add_u32 s6, s36, s2
	v_or_b32_e32 v7, v7, v6
	s_addc_u32 s7, s37, s3
	s_lshl_b64 s[2:3], s[30:31], 8
	ds_write_b64 v7, v[2:3]
	v_or_b32_e32 v2, v8, v6
	s_add_u32 s2, s6, s2
	v_lshlrev_b32_e32 v3, 1, v45
	ds_write_b64 v2, v[4:5]
	v_lshrrev_b32_e32 v2, 4, v0
	s_addc_u32 s3, s7, s3
	v_or_b32_e32 v4, 1, v3
	v_lshlrev_b32_e32 v10, 4, v45
	v_mov_b32_e32 v11, 0
	v_xor_b32_e32 v3, v2, v3
	v_xor_b32_e32 v6, v4, v2
	v_lshl_add_u64 v[12:13], s[2:3], 0, v[10:11]
	v_lshlrev_b32_e32 v10, 8, v2
	v_lshl_or_b32 v16, v3, 3, v10
	v_lshl_or_b32 v17, v6, 3, v10
	s_waitcnt lgkmcnt(0)
	s_barrier
	ds_read2st64_b64 v[2:5], v16 offset1:8
	ds_read2st64_b64 v[6:9], v17 offset1:8
	v_lshl_add_u64 v[14:15], v[12:13], 0, v[10:11]
	s_movk_i32 s2, 0x2000
	s_cmp_lg_u32 s40, 64
	s_waitcnt lgkmcnt(1)
	v_mov_b32_e32 v10, v2
	v_mov_b32_e32 v11, v3
	s_waitcnt lgkmcnt(0)
	v_mov_b32_e32 v12, v6
	v_mov_b32_e32 v13, v7
	global_store_dwordx4 v[14:15], v[10:13], off
	v_mov_b32_e32 v6, v4
	v_mov_b32_e32 v7, v5
	ds_read2st64_b64 v[2:5], v16 offset0:16 offset1:24
	ds_read2st64_b64 v[10:13], v17 offset0:16 offset1:24
	v_add_co_u32_e32 v16, vcc, s2, v14
	s_cselect_b64 s[6:7], -1, 0
	s_nop 0
	v_addc_co_u32_e32 v17, vcc, 0, v15, vcc
	global_store_dwordx4 v[16:17], v[6:9], off offset:-4096
	v_lshl_or_b32 v25, v85, 3, v88
	s_mov_b32 s20, 0
	s_waitcnt lgkmcnt(1)
	v_mov_b32_e32 v6, v2
	v_add_co_u32_e32 v2, vcc, 0x3000, v14
	v_mov_b32_e32 v7, v3
	s_nop 0
	v_addc_co_u32_e32 v3, vcc, 0, v15, vcc
	s_waitcnt lgkmcnt(0)
	v_mov_b32_e32 v8, v10
	v_mov_b32_e32 v9, v11
	;; [unrolled: 1-line block ×4, first 2 shown]
	v_or_b32_e32 v20, 32, v25
	v_and_b32_e32 v18, 56, v87
	s_and_b64 vcc, exec, s[6:7]
	global_store_dwordx4 v[16:17], v[6:9], off
	global_store_dwordx4 v[2:3], v[10:13], off
	s_cbranch_vccz .LBB8_29
; %bb.24:
	s_mov_b32 s21, s20
	s_mov_b32 s22, s20
	;; [unrolled: 1-line block ×3, first 2 shown]
	v_mov_b64_e32 v[6:7], s[20:21]
	v_mov_b64_e32 v[8:9], s[22:23]
	;; [unrolled: 1-line block ×3, first 2 shown]
	v_cmp_gt_i32_e32 vcc, s40, v25
	v_mov_b64_e32 v[4:5], v[8:9]
	s_and_saveexec_b64 s[2:3], vcc
	s_cbranch_execz .LBB8_26
; %bb.25:
	v_lshlrev_b32_e32 v2, 8, v25
	v_mov_b32_e32 v3, 0
	v_lshl_add_u64 v[4:5], s[0:1], 0, v[2:3]
	v_lshlrev_b32_e32 v2, 1, v18
	v_lshl_add_u64 v[10:11], v[4:5], 0, v[2:3]
	global_load_dwordx4 v[6:9], v[10:11], off
	global_load_dwordx4 v[2:5], v[10:11], off offset:128
.LBB8_26:
	s_or_b64 exec, exec, s[2:3]
	s_mov_b32 s21, s20
	s_mov_b32 s22, s20
	;; [unrolled: 1-line block ×3, first 2 shown]
	v_mov_b64_e32 v[14:15], s[20:21]
	v_mov_b64_e32 v[16:17], s[22:23]
	;; [unrolled: 1-line block ×3, first 2 shown]
	v_cmp_gt_i32_e32 vcc, s40, v20
	v_lshlrev_b32_e32 v21, 7, v20
	v_mov_b64_e32 v[12:13], v[16:17]
	s_and_saveexec_b64 s[2:3], vcc
	s_cbranch_execz .LBB8_28
; %bb.27:
	v_lshlrev_b32_e32 v10, 1, v21
	v_mov_b32_e32 v11, 0
	v_lshl_add_u64 v[12:13], s[0:1], 0, v[10:11]
	v_lshlrev_b32_e32 v10, 1, v18
	v_lshl_add_u64 v[26:27], v[12:13], 0, v[10:11]
	global_load_dwordx4 v[14:17], v[26:27], off
	global_load_dwordx4 v[10:13], v[26:27], off offset:128
.LBB8_28:
	s_or_b64 exec, exec, s[2:3]
	v_lshrrev_b32_e32 v26, 3, v18
	v_lshlrev_b32_e32 v27, 3, v25
	v_or_b32_e32 v26, v27, v26
	v_lshlrev_b32_e32 v26, 4, v26
	v_and_b32_e32 v27, 0x78, v27
	v_xor_b32_e32 v26, v26, v27
	s_branch .LBB8_31
.LBB8_29:
                                        ; implicit-def: $vgpr26
                                        ; implicit-def: $vgpr21
                                        ; implicit-def: $vgpr6_vgpr7_vgpr8_vgpr9
                                        ; implicit-def: $vgpr2_vgpr3_vgpr4_vgpr5
                                        ; implicit-def: $vgpr14_vgpr15_vgpr16_vgpr17
                                        ; implicit-def: $vgpr10_vgpr11_vgpr12_vgpr13
	s_cbranch_execz .LBB8_31
; %bb.30:
	s_waitcnt vmcnt(0)
	v_lshlrev_b32_e32 v2, 1, v18
	v_lshl_or_b32 v21, v25, 8, v2
	s_and_b32 s1, s1, 0xffff
	s_mov_b32 s3, 0x20000
	s_movk_i32 s2, 0x4000
	v_lshl_or_b32 v26, v20, 8, v2
	s_movk_i32 s13, 0x80
	buffer_load_dwordx4 v[6:9], v21, s[0:3], 0 offen
	buffer_load_dwordx4 v[2:5], v21, s[0:3], s13 offen
	buffer_load_dwordx4 v[14:17], v26, s[0:3], 0 offen
	buffer_load_dwordx4 v[10:13], v26, s[0:3], s13 offen
	v_lshrrev_b32_e32 v21, 3, v18
	v_lshlrev_b32_e32 v26, 3, v25
	v_or_b32_e32 v21, v26, v21
	v_lshlrev_b32_e32 v21, 4, v21
	v_and_b32_e32 v26, 0x78, v26
	v_xor_b32_e32 v26, v21, v26
	v_lshlrev_b32_e32 v21, 7, v20
.LBB8_31:
	s_movk_i32 s0, 0x1000
	v_and_or_b32 v20, v21, s0, v26
	s_waitcnt vmcnt(1)
	ds_write_b64 v26, v[6:7] offset:49152
	v_xor_b32_e32 v6, 8, v26
	ds_write_b64 v6, v[8:9] offset:49152
	s_waitcnt vmcnt(0)
	ds_write_b64 v26, v[2:3] offset:57344
	ds_write_b64 v6, v[4:5] offset:57344
	;; [unrolled: 1-line block ×3, first 2 shown]
	v_xor_b32_e32 v2, 8, v20
	ds_write_b64 v2, v[16:17] offset:49152
	ds_write_b64 v20, v[10:11] offset:57344
	;; [unrolled: 1-line block ×3, first 2 shown]
	v_or_b32_e32 v2, v1, v45
	v_lshlrev_b32_e32 v3, 11, v85
	v_lshlrev_b32_e32 v2, 3, v2
	v_and_b32_e32 v6, 0x1000, v3
	v_lshrrev_b32_e32 v3, 5, v84
	s_movk_i32 s0, 0xf8
	v_and_or_b32 v3, v2, s0, v3
	v_lshlrev_b32_e32 v7, 4, v3
	v_and_b32_e32 v8, 0x78, v2
	v_or_b32_e32 v10, 32, v7
	v_lshrrev_b32_e32 v3, 1, v84
	v_xor_b32_e32 v10, v10, v8
	v_xor_b32_e32 v2, v7, v8
	v_and_b32_e32 v9, 8, v3
	v_or_b32_e32 v10, v10, v6
	v_or_b32_e32 v2, v2, v6
	v_xor_b32_e32 v28, v10, v9
	v_or_b32_e32 v10, 64, v7
	v_xor_b32_e32 v27, v2, v9
	v_xor_b32_e32 v10, v10, v8
	s_waitcnt lgkmcnt(0)
	s_barrier
	v_or_b32_e32 v13, v10, v6
	ds_read_b64 v[10:11], v27 offset:49152
	v_lshl_or_b32 v14, v86, 8, v24
	v_lshlrev_b32_e32 v26, 1, v14
	v_add_u32_e32 v12, 0x4000, v26
	ds_read2_b64 v[2:5], v12 offset1:16
	v_or_b32_e32 v7, 0x60, v7
	v_xor_b32_e32 v7, v7, v8
	v_or_b32_e32 v6, v7, v6
	v_xor_b32_e32 v29, v13, v9
	v_xor_b32_e32 v30, v6, v9
	ds_read_b64 v[20:21], v28 offset:49152
	ds_read_b64 v[34:35], v29 offset:49152
	;; [unrolled: 1-line block ×3, first 2 shown]
	s_waitcnt lgkmcnt(3)
	v_mfma_f32_16x16x16_bf16 a[0:3], v[10:11], v[2:3], 0
	ds_read2_b64 v[6:9], v12 offset0:32 offset1:48
	s_lshl_b64 s[0:1], s[38:39], 8
	s_add_u32 s4, s4, s0
	v_mfma_f32_16x16x16_bf16 a[4:7], v[10:11], v[4:5], 0
	ds_read2st64_b64 v[2:5], v26 offset0:36 offset1:40
	s_addc_u32 s5, s5, s1
	s_add_i32 s0, s43, s42
	s_waitcnt lgkmcnt(1)
	v_mfma_f32_16x16x16_bf16 a[8:11], v[10:11], v[6:7], 0
	v_or_b32_e32 v6, 64, v14
	v_lshlrev_b32_e32 v31, 1, v6
	s_add_i32 s2, s35, -1
	s_waitcnt lgkmcnt(0)
	v_mfma_f32_16x16x16_bf16 a[0:3], v[20:21], v[2:3], a[0:3]
	v_or_b32_e32 v2, 0x80, v14
	v_lshlrev_b32_e32 v32, 1, v2
	v_or_b32_e32 v2, 0xc0, v14
	v_mfma_f32_16x16x16_bf16 a[12:15], v[10:11], v[8:9], 0
	ds_read2st64_b64 v[6:9], v31 offset0:36 offset1:40
	v_lshlrev_b32_e32 v33, 1, v2
	ds_read2st64_b64 v[10:13], v32 offset0:36 offset1:40
	ds_read2st64_b64 v[14:17], v33 offset0:36 offset1:40
	s_add_i32 s17, s0, s44
	s_mul_i32 s0, s33, s19
	s_mul_hi_u32 s1, s33, s18
	s_add_i32 s0, s1, s0
	s_mul_i32 s1, s12, s18
	s_ashr_i32 s3, s2, 31
	s_mul_i32 s12, s2, s29
	s_mul_hi_u32 s13, s2, s28
	s_waitcnt lgkmcnt(2)
	v_mfma_f32_16x16x16_bf16 a[4:7], v[20:21], v[6:7], a[4:7]
	s_add_i32 s12, s13, s12
	s_mul_i32 s3, s3, s28
	s_add_i32 s1, s0, s1
	s_waitcnt lgkmcnt(1)
	v_mfma_f32_16x16x16_bf16 a[8:11], v[20:21], v[10:11], a[8:11]
	s_add_i32 s3, s12, s3
	s_lshl_b64 s[12:13], s[16:17], 2
	s_mul_i32 s0, s33, s18
	s_waitcnt lgkmcnt(0)
	v_mfma_f32_16x16x16_bf16 a[12:15], v[20:21], v[14:15], a[12:15]
	s_add_u32 s10, s10, s12
	s_addc_u32 s11, s11, s13
	s_lshl_b64 s[0:1], s[0:1], 2
	v_mfma_f32_16x16x16_bf16 a[0:3], v[34:35], v[4:5], a[0:3]
	s_mul_i32 s2, s2, s28
	ds_read_b64 v[2:3], v26 offset:22528
	s_add_u32 s10, s10, s0
	v_mfma_f32_16x16x16_bf16 a[4:7], v[34:35], v[8:9], a[4:7]
	ds_read_b64 v[4:5], v31 offset:22528
	ds_read_b64 v[6:7], v32 offset:22528
	;; [unrolled: 1-line block ×3, first 2 shown]
	s_addc_u32 s11, s11, s1
	s_lshl_b64 s[0:1], s[2:3], 2
	v_mfma_f32_16x16x16_bf16 a[8:11], v[34:35], v[12:13], a[8:11]
	s_add_u32 s0, s10, s0
	s_addc_u32 s1, s11, s1
	s_load_dword s12, s[0:1], 0x0
	v_mfma_f32_16x16x16_bf16 a[12:15], v[34:35], v[16:17], a[12:15]
	s_and_b64 vcc, exec, s[26:27]
	s_waitcnt lgkmcnt(0)
	v_mfma_f32_16x16x16_bf16 a[0:3], v[36:37], v[2:3], a[0:3]
	v_mfma_f32_16x16x16_bf16 a[4:7], v[36:37], v[4:5], a[4:7]
	;; [unrolled: 1-line block ×4, first 2 shown]
	s_cbranch_vccz .LBB8_42
; %bb.32:
	v_lshlrev_b32_e32 v20, 1, v25
	s_and_b64 vcc, exec, s[6:7]
	s_cbranch_vccz .LBB8_43
; %bb.33:
	v_cmp_gt_i32_e32 vcc, s40, v20
	v_mov_b32_e32 v6, 0
	v_mov_b32_e32 v2, 0
	;; [unrolled: 1-line block ×5, first 2 shown]
	s_and_saveexec_b64 s[0:1], vcc
	s_cbranch_execz .LBB8_35
; %bb.34:
	v_mad_i64_i32 v[2:3], s[2:3], s15, v20, 0
	v_lshl_add_u64 v[2:3], v[2:3], 1, s[4:5]
	v_lshlrev_b32_e32 v4, 1, v18
	v_mov_b32_e32 v5, 0
	v_lshl_add_u64 v[2:3], v[2:3], 0, v[4:5]
	global_load_dwordx4 v[2:5], v[2:3], off
.LBB8_35:
	s_or_b64 exec, exec, s[0:1]
	v_or_b32_e32 v21, 1, v20
	v_cmp_gt_i32_e64 s[0:1], s40, v21
	v_mov_b32_e32 v7, 0
	v_mov_b32_e32 v8, 0
	;; [unrolled: 1-line block ×3, first 2 shown]
	s_and_saveexec_b64 s[2:3], s[0:1]
	s_cbranch_execz .LBB8_37
; %bb.36:
	v_mad_i64_i32 v[6:7], s[16:17], s15, v21, 0
	v_lshl_add_u64 v[6:7], v[6:7], 1, s[4:5]
	v_lshlrev_b32_e32 v8, 1, v18
	v_mov_b32_e32 v9, 0
	v_lshl_add_u64 v[6:7], v[6:7], 0, v[8:9]
	global_load_dwordx4 v[6:9], v[6:7], off
.LBB8_37:
	s_or_b64 exec, exec, s[2:3]
	v_mov_b32_e32 v17, 0
	v_mov_b32_e32 v10, 0
	;; [unrolled: 1-line block ×5, first 2 shown]
	s_and_saveexec_b64 s[2:3], vcc
	s_cbranch_execz .LBB8_39
; %bb.38:
	v_mad_i64_i32 v[10:11], s[16:17], s15, v20, 0
	v_lshl_add_u64 v[10:11], v[10:11], 1, s[4:5]
	v_lshlrev_b32_e32 v12, 1, v18
	v_mov_b32_e32 v13, 0
	v_lshl_add_u64 v[10:11], v[10:11], 0, v[12:13]
	global_load_dwordx4 v[10:13], v[10:11], off offset:128
.LBB8_39:
	s_or_b64 exec, exec, s[2:3]
	v_mov_b32_e32 v16, 0
	v_mov_b32_e32 v15, 0
	;; [unrolled: 1-line block ×3, first 2 shown]
	s_and_saveexec_b64 s[2:3], s[0:1]
	s_cbranch_execz .LBB8_41
; %bb.40:
	v_mad_i64_i32 v[14:15], s[0:1], s15, v21, 0
	v_lshl_add_u64 v[14:15], v[14:15], 1, s[4:5]
	v_lshlrev_b32_e32 v16, 1, v18
	v_mov_b32_e32 v17, 0
	v_lshl_add_u64 v[14:15], v[14:15], 0, v[16:17]
	global_load_dwordx4 v[14:17], v[14:15], off offset:128
.LBB8_41:
	s_or_b64 exec, exec, s[2:3]
	s_branch .LBB8_45
.LBB8_42:
                                        ; implicit-def: $vgpr5
                                        ; implicit-def: $vgpr9
                                        ; implicit-def: $vgpr13
                                        ; implicit-def: $vgpr17
	v_lshrrev_b32_e32 v34, 2, v84
	s_branch .LBB8_46
.LBB8_43:
                                        ; implicit-def: $vgpr5
                                        ; implicit-def: $vgpr9
                                        ; implicit-def: $vgpr13
                                        ; implicit-def: $vgpr17
	s_cbranch_execz .LBB8_45
; %bb.44:
	s_waitcnt vmcnt(0)
	v_mad_u64_u32 v[2:3], s[0:1], v20, s15, v[18:19]
	v_lshlrev_b32_e32 v20, 1, v2
	s_lshl_b32 s2, s15, 7
	s_and_b32 s1, s5, 0xffff
	s_mov_b32 s3, 0x20000
	s_mov_b32 s0, s4
	v_add_lshl_u32 v21, v2, s15, 1
	s_movk_i32 s13, 0x80
	buffer_load_dwordx4 v[2:5], v20, s[0:3], 0 offen
	buffer_load_dwordx4 v[10:13], v20, s[0:3], s13 offen
	;; [unrolled: 1-line block ×4, first 2 shown]
.LBB8_45:
	v_lshrrev_b32_e32 v34, 2, v84
	s_cbranch_execnz .LBB8_58
.LBB8_46:
	s_and_b64 vcc, exec, s[6:7]
	s_cbranch_vccz .LBB8_56
; %bb.47:
	s_waitcnt vmcnt(0)
	v_lshlrev_b32_e32 v7, 1, v25
	v_cmp_gt_i32_e32 vcc, s40, v7
	v_mov_b32_e32 v6, 0
	v_lshlrev_b32_e32 v14, 9, v25
	v_mov_b32_e32 v2, 0
	v_mov_b32_e32 v3, 0
	;; [unrolled: 1-line block ×4, first 2 shown]
	s_and_saveexec_b64 s[0:1], vcc
	s_cbranch_execz .LBB8_49
; %bb.48:
	v_mov_b32_e32 v15, 0
	v_lshl_add_u64 v[2:3], s[4:5], 0, v[14:15]
	v_lshlrev_b32_e32 v4, 1, v18
	v_mov_b32_e32 v5, v15
	v_lshl_add_u64 v[2:3], v[2:3], 0, v[4:5]
	global_load_dwordx4 v[2:5], v[2:3], off
.LBB8_49:
	s_or_b64 exec, exec, s[0:1]
	v_or_b32_e32 v7, 1, v7
	v_cmp_gt_i32_e64 s[0:1], s40, v7
	v_lshlrev_b32_e32 v20, 8, v7
	v_mov_b32_e32 v7, 0
	v_mov_b32_e32 v8, 0
	;; [unrolled: 1-line block ×3, first 2 shown]
	s_and_saveexec_b64 s[2:3], s[0:1]
	s_cbranch_execz .LBB8_51
; %bb.50:
	v_mov_b32_e32 v21, 0
	v_lshl_add_u64 v[6:7], s[4:5], 0, v[20:21]
	v_lshlrev_b32_e32 v8, 1, v18
	v_mov_b32_e32 v9, v21
	v_lshl_add_u64 v[6:7], v[6:7], 0, v[8:9]
	global_load_dwordx4 v[6:9], v[6:7], off
.LBB8_51:
	s_or_b64 exec, exec, s[2:3]
	v_mov_b32_e32 v17, 0
	v_mov_b32_e32 v10, 0
	;; [unrolled: 1-line block ×5, first 2 shown]
	s_and_saveexec_b64 s[2:3], vcc
	s_cbranch_execz .LBB8_53
; %bb.52:
	v_mov_b32_e32 v15, 0
	v_lshl_add_u64 v[10:11], s[4:5], 0, v[14:15]
	v_lshlrev_b32_e32 v14, 1, v18
	v_lshl_add_u64 v[10:11], v[10:11], 0, v[14:15]
	global_load_dwordx4 v[10:13], v[10:11], off offset:128
.LBB8_53:
	s_or_b64 exec, exec, s[2:3]
	v_mov_b32_e32 v16, 0
	v_mov_b32_e32 v15, 0
	;; [unrolled: 1-line block ×3, first 2 shown]
	s_and_saveexec_b64 s[2:3], s[0:1]
	s_cbranch_execz .LBB8_55
; %bb.54:
	v_mov_b32_e32 v21, 0
	v_lshl_add_u64 v[14:15], s[4:5], 0, v[20:21]
	v_lshlrev_b32_e32 v20, 1, v18
	v_lshl_add_u64 v[14:15], v[14:15], 0, v[20:21]
	global_load_dwordx4 v[14:17], v[14:15], off offset:128
.LBB8_55:
	s_or_b64 exec, exec, s[2:3]
	s_branch .LBB8_58
.LBB8_56:
                                        ; implicit-def: $vgpr5
                                        ; implicit-def: $vgpr9
                                        ; implicit-def: $vgpr13
                                        ; implicit-def: $vgpr17
	s_cbranch_execz .LBB8_58
; %bb.57:
	s_waitcnt vmcnt(0)
	v_lshlrev_b32_e32 v2, 1, v18
	v_lshl_or_b32 v18, v25, 9, v2
	s_and_b32 s5, s5, 0xffff
	s_mov_b32 s7, 0x20000
	s_movk_i32 s6, 0x4000
	s_movk_i32 s0, 0x80
	buffer_load_dwordx4 v[2:5], v18, s[4:7], 0 offen
	buffer_load_dwordx4 v[6:9], v18, s[4:7], 0 offen offset:256
	buffer_load_dwordx4 v[10:13], v18, s[4:7], s0 offen
	buffer_load_dwordx4 v[14:17], v18, s[4:7], s0 offen offset:256
.LBB8_58:
	ds_read_b64 v[20:21], v27 offset:57344
	v_add_u32_e32 v18, 0x6000, v26
	ds_read2_b64 v[36:39], v18 offset1:16
	ds_read_b64 v[54:55], v28 offset:57344
	ds_read_b64 v[28:29], v29 offset:57344
	;; [unrolled: 1-line block ×3, first 2 shown]
	ds_read2st64_b64 v[40:43], v26 offset0:52 offset1:56
	s_mov_b32 s0, 0x1000504
	s_mov_b32 s1, 0x3020706
	s_waitcnt lgkmcnt(4)
	v_mfma_f32_16x16x16_bf16 a[0:3], v[20:21], v[36:37], a[0:3]
	v_mfma_f32_16x16x16_bf16 a[4:7], v[20:21], v[38:39], a[4:7]
	ds_read2_b64 v[36:39], v18 offset0:32 offset1:48
	v_and_b32_e32 v18, 6, v0
	v_xor_b32_e32 v25, v25, v18
	s_waitcnt lgkmcnt(0)
	v_mfma_f32_16x16x16_bf16 a[8:11], v[20:21], v[36:37], a[8:11]
	v_lshlrev_b32_e32 v25, 2, v25
	v_and_b32_e32 v0, 1, v0
	v_xor_b32_e32 v35, 0x440, v25
	v_mfma_f32_16x16x16_bf16 a[12:15], v[20:21], v[38:39], a[12:15]
	ds_read2st64_b64 v[36:39], v31 offset0:52 offset1:56
	ds_read2st64_b64 v[46:49], v32 offset0:52 offset1:56
	;; [unrolled: 1-line block ×3, first 2 shown]
	v_cmp_eq_u32_e32 vcc, 0, v0
	ds_read_b64 v[20:21], v26 offset:30720
	ds_read_b64 v[26:27], v31 offset:30720
	ds_read_b64 v[30:31], v32 offset:30720
	ds_read_b64 v[32:33], v33 offset:30720
	v_mfma_f32_16x16x16_bf16 a[0:3], v[54:55], v[40:41], a[0:3]
	v_cndmask_b32_e32 v0, v35, v25, vcc
	v_lshl_or_b32 v0, v18, 10, v0
	s_waitcnt vmcnt(0)
	v_perm_b32 v18, v2, v6, s0
	s_waitcnt lgkmcnt(6)
	v_mfma_f32_16x16x16_bf16 a[4:7], v[54:55], v[36:37], a[4:7]
	v_perm_b32 v25, v10, v14, s0
	ds_write2st64_b32 v0, v18, v25 offset0:128 offset1:160
	v_xor_b32_e32 v18, 8, v0
	s_waitcnt lgkmcnt(6)
	v_mfma_f32_16x16x16_bf16 a[8:11], v[54:55], v[46:47], a[8:11]
	v_perm_b32 v2, v2, v6, s1
	v_perm_b32 v6, v10, v14, s1
	v_add_u32_e32 v10, 0x80, v18
	s_waitcnt lgkmcnt(5)
	v_mfma_f32_16x16x16_bf16 a[12:15], v[54:55], v[50:51], a[12:15]
	ds_write2st64_b32 v10, v2, v6 offset0:128 offset1:160
	v_xor_b32_e32 v2, 16, v0
	v_perm_b32 v6, v3, v7, s0
	v_mfma_f32_16x16x16_bf16 a[0:3], v[28:29], v[42:43], a[0:3]
	v_perm_b32 v10, v11, v15, s0
	ds_write2st64_b32 v2, v6, v10 offset0:129 offset1:161
	v_xor_b32_e32 v2, 24, v0
	v_mfma_f32_16x16x16_bf16 a[4:7], v[28:29], v[38:39], a[4:7]
	v_perm_b32 v3, v3, v7, s1
	v_perm_b32 v6, v11, v15, s1
	v_add_u32_e32 v2, 0x80, v2
	v_mfma_f32_16x16x16_bf16 a[16:19], v[28:29], v[48:49], a[8:11]
	ds_write2st64_b32 v2, v3, v6 offset0:129 offset1:161
	v_xor_b32_e32 v2, 32, v0
	v_perm_b32 v3, v4, v8, s0
	v_mfma_f32_16x16x16_bf16 a[20:23], v[28:29], v[52:53], a[12:15]
	v_perm_b32 v6, v12, v16, s0
	ds_write2st64_b32 v2, v3, v6 offset0:130 offset1:162
	v_xor_b32_e32 v2, 40, v0
	s_waitcnt lgkmcnt(8)
	v_mfma_f32_16x16x16_bf16 a[12:15], v[56:57], v[20:21], a[0:3]
	v_perm_b32 v3, v4, v8, s1
	v_perm_b32 v4, v12, v16, s1
	v_add_u32_e32 v2, 0x80, v2
	s_waitcnt lgkmcnt(7)
	v_mfma_f32_16x16x16_bf16 a[8:11], v[56:57], v[26:27], a[4:7]
	ds_write2st64_b32 v2, v3, v4 offset0:130 offset1:162
	v_xor_b32_e32 v2, 48, v0
	v_perm_b32 v3, v5, v9, s0
	s_waitcnt lgkmcnt(7)
	v_mfma_f32_16x16x16_bf16 a[4:7], v[56:57], v[30:31], a[16:19]
	v_perm_b32 v4, v13, v17, s0
	v_xor_b32_e32 v0, 56, v0
	v_and_or_b32 v18, v34, 12, v1
	s_waitcnt lgkmcnt(6)
	v_mfma_f32_16x16x16_bf16 a[0:3], v[56:57], v[32:33], a[20:23]
	ds_write2st64_b32 v2, v3, v4 offset0:131 offset1:163
	v_perm_b32 v2, v5, v9, s1
	v_perm_b32 v3, v13, v17, s1
	v_add_u32_e32 v0, 0x80, v0
	v_cmp_gt_i32_e32 vcc, s40, v18
	v_mov_b32_e32 v14, 0
	v_mov_b32_e32 v16, 0
	ds_write2st64_b32 v0, v2, v3 offset0:131 offset1:163
	s_and_saveexec_b64 s[0:1], vcc
	s_cbranch_execz .LBB8_60
; %bb.59:
	v_add_u32_e32 v0, s34, v18
	v_ashrrev_i32_e32 v1, 31, v0
	v_mul_lo_u32 v2, v1, s28
	v_mul_lo_u32 v3, v0, s29
	v_mad_u64_u32 v[0:1], s[2:3], v0, s28, 0
	v_add3_u32 v1, v1, v3, v2
	v_lshl_add_u64 v[0:1], v[0:1], 2, s[10:11]
	global_load_dword v0, v[0:1], off
	s_waitcnt vmcnt(0)
	v_sub_f32_e32 v0, s12, v0
	v_exp_f32_e32 v16, v0
.LBB8_60:
	s_or_b64 exec, exec, s[0:1]
	v_or_b32_e32 v8, 1, v18
	v_cmp_gt_i32_e64 s[0:1], s40, v8
	s_and_saveexec_b64 s[2:3], s[0:1]
	s_cbranch_execz .LBB8_62
; %bb.61:
	v_add_u32_e32 v0, s34, v8
	v_ashrrev_i32_e32 v1, 31, v0
	v_mul_lo_u32 v2, v1, s28
	v_mul_lo_u32 v3, v0, s29
	v_mad_u64_u32 v[0:1], s[4:5], v0, s28, 0
	v_add3_u32 v1, v1, v3, v2
	v_lshl_add_u64 v[0:1], v[0:1], 2, s[10:11]
	global_load_dword v0, v[0:1], off
	s_waitcnt vmcnt(0)
	v_sub_f32_e32 v0, s12, v0
	v_exp_f32_e32 v14, v0
.LBB8_62:
	s_or_b64 exec, exec, s[2:3]
	v_or_b32_e32 v10, 2, v18
	v_cmp_gt_i32_e64 s[2:3], s40, v10
	v_mov_b32_e32 v15, 0
	v_mov_b32_e32 v17, 0
	s_and_saveexec_b64 s[4:5], s[2:3]
	s_cbranch_execz .LBB8_64
; %bb.63:
	v_add_u32_e32 v0, s34, v10
	v_ashrrev_i32_e32 v1, 31, v0
	v_mul_lo_u32 v2, v1, s28
	v_mul_lo_u32 v3, v0, s29
	v_mad_u64_u32 v[0:1], s[6:7], v0, s28, 0
	v_add3_u32 v1, v1, v3, v2
	v_lshl_add_u64 v[0:1], v[0:1], 2, s[10:11]
	global_load_dword v0, v[0:1], off
	s_waitcnt vmcnt(0)
	v_sub_f32_e32 v0, s12, v0
	v_exp_f32_e32 v17, v0
.LBB8_64:
	s_or_b64 exec, exec, s[4:5]
	v_or_b32_e32 v12, 3, v18
	v_cmp_gt_i32_e64 s[4:5], s40, v12
	s_and_saveexec_b64 s[6:7], s[4:5]
	s_cbranch_execz .LBB8_66
; %bb.65:
	v_add_u32_e32 v0, s34, v12
	v_ashrrev_i32_e32 v1, 31, v0
	v_mul_lo_u32 v2, v1, s28
	v_mul_lo_u32 v3, v0, s29
	v_mad_u64_u32 v[0:1], s[14:15], v0, s28, 0
	v_add3_u32 v1, v1, v3, v2
	v_lshl_add_u64 v[0:1], v[0:1], 2, s[10:11]
	global_load_dword v0, v[0:1], off
	s_waitcnt vmcnt(0)
	v_sub_f32_e32 v0, s12, v0
	v_exp_f32_e32 v15, v0
.LBB8_66:
	s_or_b64 exec, exec, s[6:7]
	v_or_b32_e32 v4, s30, v45
	s_add_u32 s6, s8, s24
	v_accvgpr_read_b32 v0, a12
	s_addc_u32 s7, s9, s25
	v_ashrrev_i32_e32 v5, 31, v4
	v_accvgpr_read_b32 v1, a13
	v_accvgpr_read_b32 v2, a14
	;; [unrolled: 1-line block ×3, first 2 shown]
	v_lshl_add_u64 v[4:5], v[4:5], 1, s[6:7]
	v_mov_b32_e32 v9, 0
	v_lshlrev_b32_e32 v6, 8, v18
	v_mov_b32_e32 v7, 0
	s_and_saveexec_b64 s[6:7], vcc
	s_cbranch_execz .LBB8_68
; %bb.67:
	v_mov_b32_e32 v7, 0
	v_lshl_add_u64 v[20:21], v[4:5], 0, v[6:7]
	global_load_ushort v7, v[20:21], off
	s_waitcnt vmcnt(0)
	v_lshlrev_b32_e32 v7, 16, v7
	v_sub_f32_e32 v0, v7, v0
	v_mul_f32_e32 v0, v16, v0
	v_lshrrev_b32_e32 v7, 16, v0
.LBB8_68:
	s_or_b64 exec, exec, s[6:7]
	v_lshlrev_b32_e32 v8, 8, v8
	s_and_saveexec_b64 s[6:7], s[0:1]
	s_cbranch_execz .LBB8_70
; %bb.69:
	v_mov_b32_e32 v9, 0
	v_lshl_add_u64 v[20:21], v[4:5], 0, v[8:9]
	global_load_ushort v0, v[20:21], off
	s_waitcnt vmcnt(0)
	v_lshlrev_b32_e32 v0, 16, v0
	v_sub_f32_e32 v0, v0, v1
	v_mul_f32_e32 v0, v14, v0
	v_lshrrev_b32_e32 v9, 16, v0
.LBB8_70:
	s_or_b64 exec, exec, s[6:7]
	v_mov_b32_e32 v13, 0
	v_lshlrev_b32_e32 v10, 8, v10
	v_mov_b32_e32 v11, 0
	s_and_saveexec_b64 s[6:7], s[2:3]
	s_cbranch_execz .LBB8_72
; %bb.71:
	v_mov_b32_e32 v11, 0
	v_lshl_add_u64 v[0:1], v[4:5], 0, v[10:11]
	global_load_ushort v0, v[0:1], off
	s_waitcnt vmcnt(0)
	v_lshlrev_b32_e32 v0, 16, v0
	v_sub_f32_e32 v0, v0, v2
	v_mul_f32_e32 v0, v17, v0
	v_lshrrev_b32_e32 v11, 16, v0
.LBB8_72:
	s_or_b64 exec, exec, s[6:7]
	v_lshlrev_b32_e32 v12, 8, v12
	s_and_saveexec_b64 s[6:7], s[4:5]
	s_cbranch_execz .LBB8_74
; %bb.73:
	v_mov_b32_e32 v13, 0
	v_lshl_add_u64 v[0:1], v[4:5], 0, v[12:13]
	global_load_ushort v0, v[0:1], off
	s_waitcnt vmcnt(0)
	v_lshlrev_b32_e32 v0, 16, v0
	v_sub_f32_e32 v0, v0, v3
	v_mul_f32_e32 v0, v15, v0
	v_lshrrev_b32_e32 v13, 16, v0
.LBB8_74:
	s_or_b64 exec, exec, s[6:7]
	v_lshlrev_b32_e32 v18, 6, v18
	s_mov_b32 s6, 0x5040100
	v_perm_b32 v20, v9, v7, s6
	v_or_b32_e32 v7, v18, v24
	v_accvgpr_read_b32 v0, a8
	v_perm_b32 v21, v13, v11, s6
	v_lshlrev_b32_e32 v7, 1, v7
	v_accvgpr_read_b32 v1, a9
	v_accvgpr_read_b32 v2, a10
	;; [unrolled: 1-line block ×3, first 2 shown]
	ds_write_b64 v7, v[20:21] offset:24576
	v_mov_b32_e32 v9, 0
	v_mov_b32_e32 v7, 0
	s_and_saveexec_b64 s[6:7], vcc
	s_cbranch_execz .LBB8_76
; %bb.75:
	v_mov_b32_e32 v7, 0
	v_lshl_add_u64 v[20:21], v[4:5], 0, v[6:7]
	global_load_ushort v7, v[20:21], off offset:32
	s_waitcnt vmcnt(0)
	v_lshlrev_b32_e32 v7, 16, v7
	v_sub_f32_e32 v0, v7, v0
	v_mul_f32_e32 v0, v16, v0
	v_lshrrev_b32_e32 v7, 16, v0
.LBB8_76:
	s_or_b64 exec, exec, s[6:7]
	s_and_saveexec_b64 s[6:7], s[0:1]
	s_cbranch_execz .LBB8_78
; %bb.77:
	v_mov_b32_e32 v9, 0
	v_lshl_add_u64 v[20:21], v[4:5], 0, v[8:9]
	global_load_ushort v0, v[20:21], off offset:32
	s_waitcnt vmcnt(0)
	v_lshlrev_b32_e32 v0, 16, v0
	v_sub_f32_e32 v0, v0, v1
	v_mul_f32_e32 v0, v14, v0
	v_lshrrev_b32_e32 v9, 16, v0
.LBB8_78:
	s_or_b64 exec, exec, s[6:7]
	v_mov_b32_e32 v13, 0
	v_mov_b32_e32 v11, 0
	s_and_saveexec_b64 s[6:7], s[2:3]
	s_cbranch_execz .LBB8_80
; %bb.79:
	v_mov_b32_e32 v11, 0
	v_lshl_add_u64 v[0:1], v[4:5], 0, v[10:11]
	global_load_ushort v0, v[0:1], off offset:32
	s_waitcnt vmcnt(0)
	v_lshlrev_b32_e32 v0, 16, v0
	v_sub_f32_e32 v0, v0, v2
	v_mul_f32_e32 v0, v17, v0
	v_lshrrev_b32_e32 v11, 16, v0
.LBB8_80:
	s_or_b64 exec, exec, s[6:7]
	s_and_saveexec_b64 s[6:7], s[4:5]
	s_cbranch_execz .LBB8_82
; %bb.81:
	v_mov_b32_e32 v13, 0
	v_lshl_add_u64 v[0:1], v[4:5], 0, v[12:13]
	global_load_ushort v0, v[0:1], off offset:32
	s_waitcnt vmcnt(0)
	v_lshlrev_b32_e32 v0, 16, v0
	v_sub_f32_e32 v0, v0, v3
	v_mul_f32_e32 v0, v15, v0
	v_lshrrev_b32_e32 v13, 16, v0
.LBB8_82:
	s_or_b64 exec, exec, s[6:7]
	s_mov_b32 s6, 0x5040100
	v_perm_b32 v20, v9, v7, s6
	v_or_b32_e32 v7, v18, v23
	v_accvgpr_read_b32 v0, a4
	v_perm_b32 v21, v13, v11, s6
	v_lshlrev_b32_e32 v7, 1, v7
	v_accvgpr_read_b32 v1, a5
	v_accvgpr_read_b32 v2, a6
	;; [unrolled: 1-line block ×3, first 2 shown]
	ds_write_b64 v7, v[20:21] offset:24576
	v_mov_b32_e32 v9, 0
	v_mov_b32_e32 v7, 0
	s_and_saveexec_b64 s[6:7], vcc
	s_cbranch_execz .LBB8_84
; %bb.83:
	v_mov_b32_e32 v7, 0
	v_lshl_add_u64 v[20:21], v[4:5], 0, v[6:7]
	global_load_ushort v7, v[20:21], off offset:64
	s_waitcnt vmcnt(0)
	v_lshlrev_b32_e32 v7, 16, v7
	v_sub_f32_e32 v0, v7, v0
	v_mul_f32_e32 v0, v16, v0
	v_lshrrev_b32_e32 v7, 16, v0
.LBB8_84:
	s_or_b64 exec, exec, s[6:7]
	s_and_saveexec_b64 s[6:7], s[0:1]
	s_cbranch_execz .LBB8_86
; %bb.85:
	v_mov_b32_e32 v9, 0
	v_lshl_add_u64 v[20:21], v[4:5], 0, v[8:9]
	global_load_ushort v0, v[20:21], off offset:64
	s_waitcnt vmcnt(0)
	v_lshlrev_b32_e32 v0, 16, v0
	v_sub_f32_e32 v0, v0, v1
	v_mul_f32_e32 v0, v14, v0
	v_lshrrev_b32_e32 v9, 16, v0
.LBB8_86:
	s_or_b64 exec, exec, s[6:7]
	v_mov_b32_e32 v13, 0
	v_mov_b32_e32 v11, 0
	s_and_saveexec_b64 s[6:7], s[2:3]
	s_cbranch_execz .LBB8_88
; %bb.87:
	v_mov_b32_e32 v11, 0
	v_lshl_add_u64 v[0:1], v[4:5], 0, v[10:11]
	global_load_ushort v0, v[0:1], off offset:64
	s_waitcnt vmcnt(0)
	v_lshlrev_b32_e32 v0, 16, v0
	v_sub_f32_e32 v0, v0, v2
	v_mul_f32_e32 v0, v17, v0
	v_lshrrev_b32_e32 v11, 16, v0
.LBB8_88:
	s_or_b64 exec, exec, s[6:7]
	s_and_saveexec_b64 s[6:7], s[4:5]
	s_cbranch_execz .LBB8_90
; %bb.89:
	v_mov_b32_e32 v13, 0
	v_lshl_add_u64 v[0:1], v[4:5], 0, v[12:13]
	global_load_ushort v0, v[0:1], off offset:64
	s_waitcnt vmcnt(0)
	v_lshlrev_b32_e32 v0, 16, v0
	v_sub_f32_e32 v0, v0, v3
	v_mul_f32_e32 v0, v15, v0
	v_lshrrev_b32_e32 v13, 16, v0
.LBB8_90:
	s_or_b64 exec, exec, s[6:7]
	s_mov_b32 s6, 0x5040100
	v_perm_b32 v20, v9, v7, s6
	v_or_b32_e32 v7, v18, v22
	v_accvgpr_read_b32 v0, a0
	v_perm_b32 v21, v13, v11, s6
	v_lshlrev_b32_e32 v7, 1, v7
	v_accvgpr_read_b32 v1, a1
	v_accvgpr_read_b32 v2, a2
	;; [unrolled: 1-line block ×3, first 2 shown]
	ds_write_b64 v7, v[20:21] offset:24576
	v_mov_b32_e32 v9, 0
	v_mov_b32_e32 v7, 0
	s_and_saveexec_b64 s[6:7], vcc
	s_cbranch_execz .LBB8_92
; %bb.91:
	v_mov_b32_e32 v7, 0
	v_lshl_add_u64 v[6:7], v[4:5], 0, v[6:7]
	global_load_ushort v6, v[6:7], off offset:96
	s_waitcnt vmcnt(0)
	v_lshlrev_b32_e32 v6, 16, v6
	v_sub_f32_e32 v0, v6, v0
	v_mul_f32_e32 v0, v16, v0
	v_lshrrev_b32_e32 v7, 16, v0
.LBB8_92:
	s_or_b64 exec, exec, s[6:7]
	s_and_saveexec_b64 s[6:7], s[0:1]
	s_cbranch_execz .LBB8_94
; %bb.93:
	v_mov_b32_e32 v9, 0
	v_lshl_add_u64 v[8:9], v[4:5], 0, v[8:9]
	global_load_ushort v0, v[8:9], off offset:96
	s_waitcnt vmcnt(0)
	v_lshlrev_b32_e32 v0, 16, v0
	v_sub_f32_e32 v0, v0, v1
	v_mul_f32_e32 v0, v14, v0
	v_lshrrev_b32_e32 v9, 16, v0
.LBB8_94:
	s_or_b64 exec, exec, s[6:7]
	v_mov_b32_e32 v0, 0
	v_mov_b32_e32 v1, 0
	s_and_saveexec_b64 s[0:1], s[2:3]
	s_cbranch_execz .LBB8_96
; %bb.95:
	v_mov_b32_e32 v11, 0
	v_lshl_add_u64 v[10:11], v[4:5], 0, v[10:11]
	global_load_ushort v1, v[10:11], off offset:96
	s_waitcnt vmcnt(0)
	v_lshlrev_b32_e32 v1, 16, v1
	v_sub_f32_e32 v1, v1, v2
	v_mul_f32_e32 v1, v17, v1
	v_lshrrev_b32_e32 v1, 16, v1
.LBB8_96:
	s_or_b64 exec, exec, s[0:1]
	s_and_saveexec_b64 s[0:1], s[4:5]
	s_cbranch_execz .LBB8_98
; %bb.97:
	v_mov_b32_e32 v13, 0
	v_lshl_add_u64 v[4:5], v[4:5], 0, v[12:13]
	global_load_ushort v0, v[4:5], off offset:96
	s_waitcnt vmcnt(0)
	v_lshlrev_b32_e32 v0, 16, v0
	v_sub_f32_e32 v0, v0, v3
	v_mul_f32_e32 v0, v15, v0
	v_lshrrev_b32_e32 v0, 16, v0
.LBB8_98:
	s_or_b64 exec, exec, s[0:1]
	s_mov_b32 s0, 0x5040100
	v_or_b32_e32 v2, v18, v19
	v_perm_b32 v1, v0, v1, s0
	v_perm_b32 v0, v9, v7, s0
	v_lshlrev_b32_e32 v2, 1, v2
	ds_write_b64 v2, v[0:1] offset:24576
	s_waitcnt lgkmcnt(0)
	s_barrier
.LBB8_99:
	s_endpgm
	.section	.rodata,"a",@progbits
	.p2align	6, 0x0
	.amdhsa_kernel _ZN12_GLOBAL__N_139chunk_gated_delta_rule_fwd_h_hip_kernelILi64ELb0ELb0ELb0ELb1ELb1ELb1ELb1ELb1EEEvPK12hip_bfloat16S3_S3_PKfS5_PKvPS1_S8_PvPKiSB_iiiiilll
		.amdhsa_group_segment_fixed_size 65536
		.amdhsa_private_segment_fixed_size 0
		.amdhsa_kernarg_size 136
		.amdhsa_user_sgpr_count 2
		.amdhsa_user_sgpr_dispatch_ptr 0
		.amdhsa_user_sgpr_queue_ptr 0
		.amdhsa_user_sgpr_kernarg_segment_ptr 1
		.amdhsa_user_sgpr_dispatch_id 0
		.amdhsa_user_sgpr_kernarg_preload_length 0
		.amdhsa_user_sgpr_kernarg_preload_offset 0
		.amdhsa_user_sgpr_private_segment_size 0
		.amdhsa_uses_dynamic_stack 0
		.amdhsa_enable_private_segment 0
		.amdhsa_system_sgpr_workgroup_id_x 1
		.amdhsa_system_sgpr_workgroup_id_y 1
		.amdhsa_system_sgpr_workgroup_id_z 0
		.amdhsa_system_sgpr_workgroup_info 0
		.amdhsa_system_vgpr_workitem_id 0
		.amdhsa_next_free_vgpr 228
		.amdhsa_next_free_sgpr 62
		.amdhsa_accum_offset 188
		.amdhsa_reserve_vcc 1
		.amdhsa_float_round_mode_32 0
		.amdhsa_float_round_mode_16_64 0
		.amdhsa_float_denorm_mode_32 3
		.amdhsa_float_denorm_mode_16_64 3
		.amdhsa_dx10_clamp 1
		.amdhsa_ieee_mode 1
		.amdhsa_fp16_overflow 0
		.amdhsa_tg_split 0
		.amdhsa_exception_fp_ieee_invalid_op 0
		.amdhsa_exception_fp_denorm_src 0
		.amdhsa_exception_fp_ieee_div_zero 0
		.amdhsa_exception_fp_ieee_overflow 0
		.amdhsa_exception_fp_ieee_underflow 0
		.amdhsa_exception_fp_ieee_inexact 0
		.amdhsa_exception_int_div_zero 0
	.end_amdhsa_kernel
	.section	.text._ZN12_GLOBAL__N_139chunk_gated_delta_rule_fwd_h_hip_kernelILi64ELb0ELb0ELb0ELb1ELb1ELb1ELb1ELb1EEEvPK12hip_bfloat16S3_S3_PKfS5_PKvPS1_S8_PvPKiSB_iiiiilll,"axG",@progbits,_ZN12_GLOBAL__N_139chunk_gated_delta_rule_fwd_h_hip_kernelILi64ELb0ELb0ELb0ELb1ELb1ELb1ELb1ELb1EEEvPK12hip_bfloat16S3_S3_PKfS5_PKvPS1_S8_PvPKiSB_iiiiilll,comdat
.Lfunc_end8:
	.size	_ZN12_GLOBAL__N_139chunk_gated_delta_rule_fwd_h_hip_kernelILi64ELb0ELb0ELb0ELb1ELb1ELb1ELb1ELb1EEEvPK12hip_bfloat16S3_S3_PKfS5_PKvPS1_S8_PvPKiSB_iiiiilll, .Lfunc_end8-_ZN12_GLOBAL__N_139chunk_gated_delta_rule_fwd_h_hip_kernelILi64ELb0ELb0ELb0ELb1ELb1ELb1ELb1ELb1EEEvPK12hip_bfloat16S3_S3_PKfS5_PKvPS1_S8_PvPKiSB_iiiiilll
                                        ; -- End function
	.section	.AMDGPU.csdata,"",@progbits
; Kernel info:
; codeLenInByte = 10872
; NumSgprs: 68
; NumVgprs: 188
; NumAgprs: 40
; TotalNumVgprs: 228
; ScratchSize: 0
; MemoryBound: 0
; FloatMode: 240
; IeeeMode: 1
; LDSByteSize: 65536 bytes/workgroup (compile time only)
; SGPRBlocks: 8
; VGPRBlocks: 28
; NumSGPRsForWavesPerEU: 68
; NumVGPRsForWavesPerEU: 228
; AccumOffset: 188
; Occupancy: 1
; WaveLimiterHint : 1
; COMPUTE_PGM_RSRC2:SCRATCH_EN: 0
; COMPUTE_PGM_RSRC2:USER_SGPR: 2
; COMPUTE_PGM_RSRC2:TRAP_HANDLER: 0
; COMPUTE_PGM_RSRC2:TGID_X_EN: 1
; COMPUTE_PGM_RSRC2:TGID_Y_EN: 1
; COMPUTE_PGM_RSRC2:TGID_Z_EN: 0
; COMPUTE_PGM_RSRC2:TIDIG_COMP_CNT: 0
; COMPUTE_PGM_RSRC3_GFX90A:ACCUM_OFFSET: 46
; COMPUTE_PGM_RSRC3_GFX90A:TG_SPLIT: 0
	.section	.text._ZN12_GLOBAL__N_139chunk_gated_delta_rule_fwd_h_hip_kernelILi64ELb1ELb1ELb1ELb0ELb1ELb1ELb1ELb1EEEvPK12hip_bfloat16S3_S3_PKfS5_PKvPS1_S8_PvPKiSB_iiiiilll,"axG",@progbits,_ZN12_GLOBAL__N_139chunk_gated_delta_rule_fwd_h_hip_kernelILi64ELb1ELb1ELb1ELb0ELb1ELb1ELb1ELb1EEEvPK12hip_bfloat16S3_S3_PKfS5_PKvPS1_S8_PvPKiSB_iiiiilll,comdat
	.globl	_ZN12_GLOBAL__N_139chunk_gated_delta_rule_fwd_h_hip_kernelILi64ELb1ELb1ELb1ELb0ELb1ELb1ELb1ELb1EEEvPK12hip_bfloat16S3_S3_PKfS5_PKvPS1_S8_PvPKiSB_iiiiilll ; -- Begin function _ZN12_GLOBAL__N_139chunk_gated_delta_rule_fwd_h_hip_kernelILi64ELb1ELb1ELb1ELb0ELb1ELb1ELb1ELb1EEEvPK12hip_bfloat16S3_S3_PKfS5_PKvPS1_S8_PvPKiSB_iiiiilll
	.p2align	8
	.type	_ZN12_GLOBAL__N_139chunk_gated_delta_rule_fwd_h_hip_kernelILi64ELb1ELb1ELb1ELb0ELb1ELb1ELb1ELb1EEEvPK12hip_bfloat16S3_S3_PKfS5_PKvPS1_S8_PvPKiSB_iiiiilll,@function
_ZN12_GLOBAL__N_139chunk_gated_delta_rule_fwd_h_hip_kernelILi64ELb1ELb1ELb1ELb0ELb1ELb1ELb1ELb1EEEvPK12hip_bfloat16S3_S3_PKfS5_PKvPS1_S8_PvPKiSB_iiiiilll: ; @_ZN12_GLOBAL__N_139chunk_gated_delta_rule_fwd_h_hip_kernelILi64ELb1ELb1ELb1ELb0ELb1ELb1ELb1ELb1EEEvPK12hip_bfloat16S3_S3_PKfS5_PKvPS1_S8_PvPKiSB_iiiiilll
; %bb.0:
	s_load_dwordx4 s[24:27], s[0:1], 0x5c
	s_abs_i32 s6, s3
	s_ashr_i32 s5, s3, 31
	v_and_b32_e32 v99, 15, v0
	v_bfe_u32 v98, v0, 4, 2
	s_waitcnt lgkmcnt(0)
	s_abs_i32 s4, s25
	v_cvt_f32_u32_e32 v1, s4
	s_sub_i32 s8, 0, s4
	s_ashr_i32 s7, s25, 31
	s_xor_b32 s5, s5, s7
	v_rcp_iflag_f32_e32 v1, v1
	v_mov_b32_e32 v47, 0
	v_lshlrev_b32_e32 v100, 3, v0
	v_mul_f32_e32 v1, 0x4f7ffffe, v1
	v_cvt_u32_f32_e32 v1, v1
	s_nop 0
	v_readfirstlane_b32 s9, v1
	s_mul_i32 s8, s8, s9
	s_mul_hi_u32 s8, s9, s8
	s_add_i32 s9, s9, s8
	s_mul_hi_u32 s8, s6, s9
	s_mul_i32 s9, s8, s4
	s_sub_i32 s6, s6, s9
	s_add_i32 s10, s8, 1
	s_sub_i32 s9, s6, s4
	s_cmp_ge_u32 s6, s4
	s_cselect_b32 s8, s10, s8
	s_cselect_b32 s6, s9, s6
	s_add_i32 s9, s8, 1
	s_cmp_ge_u32 s6, s4
	s_cselect_b32 s6, s9, s8
	s_xor_b32 s6, s6, s5
	s_sub_i32 s58, s6, s5
	s_mul_i32 s6, s58, s25
	s_sub_i32 s33, s3, s6
	s_abs_i32 s3, s26
	v_cvt_f32_u32_e32 v1, s3
	s_add_i32 s8, s24, 63
	s_ashr_i32 s9, s8, 31
	s_lshr_b32 s5, s9, 26
	v_rcp_iflag_f32_e32 v1, v1
	s_ashr_i32 s57, s24, 31
	s_add_i32 s8, s8, s5
	s_lshr_b32 s5, s57, 26
	v_mul_f32_e32 v1, 0x4f7ffffe, v1
	v_cvt_u32_f32_e32 v1, v1
	s_add_i32 s5, s24, s5
	s_ashr_i32 s60, s26, 31
	s_ashr_i32 s28, s8, 6
	;; [unrolled: 1-line block ×3, first 2 shown]
	s_xor_b32 s5, s7, s60
	s_sub_i32 s7, 0, s3
	v_readfirstlane_b32 s8, v1
	s_mul_i32 s7, s7, s8
	s_mul_hi_u32 s7, s8, s7
	s_add_i32 s8, s8, s7
	s_mul_hi_u32 s7, s4, s8
	s_mul_i32 s8, s7, s3
	s_sub_i32 s4, s4, s8
	s_lshl_b32 s2, s2, 6
	s_add_i32 s8, s7, 1
	s_sub_i32 s9, s4, s3
	s_cmp_ge_u32 s4, s3
	s_cselect_b32 s7, s8, s7
	s_cselect_b32 s4, s9, s4
	s_add_i32 s8, s7, 1
	s_cmp_ge_u32 s4, s3
	s_cselect_b32 s3, s8, s7
	s_xor_b32 s3, s3, s5
	s_sub_i32 s3, s3, s5
	s_abs_i32 s4, s3
	v_cvt_f32_u32_e32 v1, s4
	s_sub_i32 s7, 0, s4
	s_abs_i32 s5, s33
	s_xor_b32 s3, s33, s3
	v_rcp_iflag_f32_e32 v2, v1
	s_ashr_i32 s3, s3, 31
	s_load_dwordx8 s[8:15], s[0:1], 0x20
	v_or_b32_e32 v88, s2, v99
	v_mul_f32_e32 v2, 0x4f7ffffe, v2
	v_cvt_u32_f32_e32 v2, v2
	v_lshrrev_b32_e32 v1, 6, v0
	v_lshlrev_b32_e32 v48, 7, v88
	v_lshlrev_b32_e32 v45, 4, v1
	v_readfirstlane_b32 s16, v2
	s_mul_i32 s7, s7, s16
	s_mul_hi_u32 s7, s16, s7
	s_add_i32 s16, s16, s7
	s_mul_hi_u32 s7, s5, s16
	s_mul_i32 s16, s7, s4
	s_sub_i32 s5, s5, s16
	s_add_i32 s16, s7, 1
	s_sub_i32 s17, s5, s4
	s_cmp_ge_u32 s5, s4
	s_cselect_b32 s7, s16, s7
	s_cselect_b32 s5, s17, s5
	s_add_i32 s16, s7, 1
	s_cmp_ge_u32 s5, s4
	s_cselect_b32 s4, s16, s7
	s_xor_b32 s4, s4, s3
	s_sub_i32 s61, s4, s3
	s_ashr_i32 s3, s58, 31
	s_ashr_i32 s50, s33, 31
	s_mul_hi_i32 s4, s58, s25
	s_add_u32 s42, s6, s33
	s_addc_u32 s43, s4, s50
	s_lshl_b64 s[34:35], s[42:43], 15
	s_waitcnt lgkmcnt(0)
	s_add_u32 s4, s10, s34
	v_or_b32_e32 v50, 0x800, v48
	v_lshl_or_b32 v102, v98, 2, v45
	s_addc_u32 s5, s11, s35
	v_ashrrev_i32_e32 v49, 31, v48
	v_ashrrev_i32_e32 v51, 31, v50
	v_lshl_add_u64 v[2:3], v[48:49], 1, s[4:5]
	v_lshlrev_b32_e32 v46, 1, v102
	v_lshl_add_u64 v[6:7], v[50:51], 1, s[4:5]
	v_or_b32_e32 v52, 0x1000, v48
	v_or_b32_e32 v54, 0x1800, v48
	v_lshl_add_u64 v[2:3], v[2:3], 0, v[46:47]
	v_lshl_add_u64 v[6:7], v[6:7], 0, v[46:47]
	v_ashrrev_i32_e32 v53, 31, v52
	v_ashrrev_i32_e32 v55, 31, v54
	global_load_dwordx2 v[4:5], v[2:3], off
	v_lshl_add_u64 v[14:15], v[54:55], 1, s[4:5]
	global_load_dwordx2 v[2:3], v[2:3], off offset:128
	s_nop 0
	global_load_dwordx2 v[8:9], v[6:7], off
	global_load_dwordx2 v[10:11], v[6:7], off offset:128
	v_lshl_add_u64 v[6:7], v[52:53], 1, s[4:5]
	v_lshl_add_u64 v[6:7], v[6:7], 0, v[46:47]
	;; [unrolled: 1-line block ×3, first 2 shown]
	global_load_dwordx2 v[12:13], v[6:7], off
	v_and_b32_e32 v47, 63, v0
	global_load_dwordx2 v[6:7], v[6:7], off offset:128
	s_nop 0
	global_load_dwordx2 v[16:17], v[14:15], off
	global_load_dwordx2 v[18:19], v[14:15], off offset:128
	s_load_dwordx2 s[10:11], s[0:1], 0x40
	s_load_dwordx8 s[16:23], s[0:1], 0x0
	s_load_dwordx2 s[36:37], s[0:1], 0x80
	s_load_dwordx4 s[4:7], s[0:1], 0x70
	v_or_b32_e32 v103, 64, v102
	s_mul_i32 s51, s58, s24
	s_mul_i32 s62, s58, s28
	s_cmp_lt_i32 s24, 64
	v_lshrrev_b32_e32 v101, 3, v47
	s_mul_i32 s63, s43, s24
	s_mul_hi_u32 s64, s42, s24
	s_mul_i32 s44, s42, s24
	s_waitcnt lgkmcnt(0)
	s_mul_i32 s43, s58, s5
	s_mul_hi_u32 s53, s58, s4
	s_mul_i32 s52, s3, s4
	s_mul_i32 s40, s58, s4
	;; [unrolled: 1-line block ×3, first 2 shown]
	s_mul_hi_u32 s55, s33, s6
	s_mul_i32 s56, s50, s6
	s_mul_i32 s38, s33, s6
	s_waitcnt vmcnt(7)
	v_and_b32_e32 v83, 0xffff0000, v4
	v_lshlrev_b32_e32 v82, 16, v4
	v_and_b32_e32 v87, 0xffff0000, v5
	v_lshlrev_b32_e32 v86, 16, v5
	s_waitcnt vmcnt(6)
	v_and_b32_e32 v81, 0xffff0000, v2
	v_lshlrev_b32_e32 v80, 16, v2
	v_and_b32_e32 v85, 0xffff0000, v3
	v_lshlrev_b32_e32 v84, 16, v3
	;; [unrolled: 5-line block ×8, first 2 shown]
	s_cbranch_scc1 .LBB9_18
; %bb.1:
	s_add_i32 s45, s64, s63
	s_lshl_b64 s[0:1], s[44:45], 8
	v_and_b32_e32 v105, 56, v100
	s_add_u32 s4, s18, s0
	v_lshl_or_b32 v104, v1, 3, v101
	v_lshlrev_b32_e32 v2, 1, v105
	s_addc_u32 s0, s19, s1
	v_lshl_or_b32 v106, v104, 8, v2
	s_and_b32 s5, s0, 0xffff
	s_mov_b32 s7, 0x20000
	s_movk_i32 s6, 0x4000
	s_movk_i32 s0, 0x80
	v_or_b32_e32 v107, 0x2000, v106
	buffer_load_dwordx4 v[4:7], v106, s[4:7], 0 offen
	buffer_load_dwordx4 v[8:11], v106, s[4:7], s0 offen
	;; [unrolled: 1-line block ×4, first 2 shown]
	v_lshlrev_b32_e32 v3, 3, v104
	v_and_or_b32 v21, v0, 7, v3
	v_and_b32_e32 v3, 0x78, v3
	v_lshlrev_b32_e32 v21, 4, v21
	v_xor_b32_e32 v108, v21, v3
	v_mul_lo_u32 v20, v104, s27
	v_or_b32_e32 v109, 0x1000, v108
	v_xor_b32_e32 v3, 8, v108
	s_cmpk_eq_i32 s27, 0x80
	s_mov_b32 s65, s26
	v_xor_b32_e32 v21, 8, v109
	s_cselect_b64 s[0:1], -1, 0
	s_cmpk_lg_i32 s27, 0x80
	s_waitcnt vmcnt(3)
	ds_write_b64 v108, v[4:5] offset:49152
	ds_write_b64 v3, v[6:7] offset:49152
	s_waitcnt vmcnt(2)
	ds_write_b64 v108, v[8:9] offset:57344
	ds_write_b64 v3, v[10:11] offset:57344
	;; [unrolled: 3-line block ×4, first 2 shown]
	v_lshl_add_u32 v3, v20, 1, v105
	s_cbranch_scc0 .LBB9_3
; %bb.2:
	v_lshlrev_b32_e32 v5, 1, v3
	v_add_lshl_u32 v4, v3, s27, 1
	s_lshl_b32 s6, s27, 7
	v_lshl_or_b32 v2, v104, 9, v2
	s_cbranch_execz .LBB9_4
	s_branch .LBB9_5
.LBB9_3:
                                        ; implicit-def: $vgpr4
                                        ; implicit-def: $vgpr5
                                        ; implicit-def: $sgpr6
	v_lshl_or_b32 v2, v104, 9, v2
.LBB9_4:
	v_or_b32_e32 v4, 0x100, v2
	s_movk_i32 s6, 0x4000
	v_mov_b32_e32 v5, v2
.LBB9_5:
	s_mul_hi_u32 s4, s26, s24
	s_mul_i32 s5, s60, s24
	s_add_i32 s4, s4, s5
	s_mul_i32 s5, s26, s24
	s_mul_i32 s7, s5, s3
	s_mul_hi_u32 s28, s5, s58
	s_add_i32 s7, s28, s7
	s_mul_i32 s4, s4, s58
	s_add_i32 s7, s7, s4
	s_mul_i32 s5, s5, s58
	s_ashr_i32 s66, s61, 31
	s_add_u32 s4, s5, s61
	s_addc_u32 s5, s7, s66
	s_lshl_b64 s[4:5], s[4:5], 8
	s_add_u32 s4, s16, s4
	s_addc_u32 s5, s17, s5
	s_and_b32 s5, s5, 0xffff
	s_mov_b32 s7, 0x20000
	s_movk_i32 s67, 0x80
	buffer_load_dwordx4 v[6:9], v5, s[4:7], 0 offen
	buffer_load_dwordx4 v[10:13], v5, s[4:7], s67 offen
	;; [unrolled: 1-line block ×4, first 2 shown]
	v_and_b32_e32 v5, 6, v0
	v_lshlrev_b32_e32 v4, 7, v102
	v_xor_b32_e32 v26, v104, v5
	v_and_b32_e32 v22, 1, v0
	v_lshl_or_b32 v29, v99, 3, v4
	v_lshlrev_b32_e32 v26, 2, v26
	v_or_b32_e32 v110, 0x4000, v29
	v_or_b32_e32 v111, 0x6000, v29
	v_xor_b32_e32 v29, 0x440, v26
	v_cmp_eq_u32_e32 vcc, 0, v22
	v_lshlrev_b32_e32 v23, 2, v99
	v_or_b32_e32 v25, 16, v99
	v_cndmask_b32_e32 v22, v29, v26, vcc
	s_mov_b32 s69, 0x1000504
	v_xor_b32_e32 v27, v102, v23
	v_xor_b32_e32 v28, v103, v23
	v_lshl_or_b32 v30, v25, 3, v4
	v_lshl_or_b32 v5, v5, 10, v22
	s_mov_b32 s70, 0x3020706
	v_lshlrev_b32_e32 v24, 8, v99
	v_lshlrev_b32_e32 v27, 1, v27
	;; [unrolled: 1-line block ×3, first 2 shown]
	v_or_b32_e32 v112, 0x4000, v30
	v_or_b32_e32 v113, 0x6000, v30
	v_xor_b32_e32 v22, 8, v5
	v_xor_b32_e32 v26, 24, v5
	;; [unrolled: 1-line block ×4, first 2 shown]
	s_mul_i32 s3, s3, s24
	s_mul_hi_u32 s4, s58, s24
	v_or_b32_e32 v114, v24, v27
	v_or_b32_e32 v115, v24, v28
	v_xor_b32_e32 v24, 16, v5
	v_xor_b32_e32 v29, 32, v5
	;; [unrolled: 1-line block ×3, first 2 shown]
	v_add_u32_e32 v22, 0x80, v22
	v_add_u32_e32 v26, 0x80, v26
	;; [unrolled: 1-line block ×4, first 2 shown]
	s_add_i32 s71, s4, s3
	s_add_i32 s3, s53, s43
	;; [unrolled: 1-line block ×5, first 2 shown]
	s_lshl_b64 s[4:5], s[40:41], 2
	s_add_u32 s3, s22, s4
	s_addc_u32 s28, s23, s5
	s_lshl_b64 s[4:5], s[38:39], 2
	s_add_u32 s46, s3, s4
	s_movk_i32 s3, 0xf8
	s_addc_u32 s47, s28, s5
	s_lshl_b32 s30, s27, 7
	s_movk_i32 s28, 0x100
	v_mov_b32_e32 v91, 0
	v_lshlrev_b32_e32 v90, 4, v99
	v_ashrrev_i32_e32 v89, 31, v88
	s_mov_b32 s68, 0
	s_movk_i32 s6, 0x4000
	s_mov_b32 s39, 0x7060302
	s_movk_i32 s41, 0x2000
	s_movk_i32 s72, 0x3000
	s_mov_b32 s74, 0
	s_waitcnt vmcnt(1)
	v_perm_b32 v33, v6, v14, s69
	s_waitcnt vmcnt(0)
	v_perm_b32 v34, v10, v18, s69
	v_perm_b32 v6, v6, v14, s70
	;; [unrolled: 1-line block ×15, first 2 shown]
	ds_write2st64_b32 v5, v33, v34 offset0:128 offset1:160
	ds_write2st64_b32 v22, v6, v10 offset0:128 offset1:160
	;; [unrolled: 1-line block ×8, first 2 shown]
	v_lshlrev_b32_e32 v5, 8, v25
	v_or_b32_e32 v116, v5, v27
	v_or_b32_e32 v117, v5, v28
	;; [unrolled: 1-line block ×3, first 2 shown]
	v_lshl_or_b32 v6, v5, 3, v4
	v_lshlrev_b32_e32 v5, 8, v5
	v_or_b32_e32 v120, v5, v27
	v_or_b32_e32 v121, v5, v28
	;; [unrolled: 1-line block ×5, first 2 shown]
	v_lshl_or_b32 v6, v5, 3, v4
	v_lshlrev_b32_e32 v5, 8, v5
	v_or_b32_e32 v124, v5, v27
	v_or_b32_e32 v125, v5, v28
	;; [unrolled: 1-line block ×3, first 2 shown]
	v_lshlrev_b32_e32 v5, 3, v5
	v_lshrrev_b32_e32 v7, 5, v47
	v_and_or_b32 v7, v5, s3, v7
	v_lshlrev_b32_e32 v7, 4, v7
	v_or_b32_e32 v122, 0x4000, v6
	v_or_b32_e32 v123, 0x6000, v6
	v_lshrrev_b32_e32 v6, 2, v47
	v_lshlrev_b32_e32 v9, 11, v1
	v_and_b32_e32 v5, 0x78, v5
	v_or_b32_e32 v13, 32, v7
	v_and_b32_e32 v8, 12, v6
	v_and_b32_e32 v6, 0x1000, v9
	v_lshrrev_b32_e32 v11, 1, v47
	v_xor_b32_e32 v13, v13, v5
	v_xor_b32_e32 v10, v7, v5
	v_and_b32_e32 v11, 8, v11
	v_or_b32_e32 v13, v13, v6
	v_or_b32_e32 v10, v10, v6
	v_xor_b32_e32 v128, v13, v11
	v_or_b32_e32 v13, 64, v7
	v_or_b32_e32 v7, 0x60, v7
	v_xor_b32_e32 v126, v10, v11
	v_lshlrev_b32_e32 v10, 8, v98
	v_xor_b32_e32 v13, v13, v5
	v_xor_b32_e32 v5, v7, v5
	s_ashr_i32 s3, s2, 31
	v_or_b32_e32 v12, v10, v23
	v_or_b32_e32 v13, v13, v6
	;; [unrolled: 1-line block ×3, first 2 shown]
	s_lshl_b64 s[4:5], s[2:3], 8
	v_lshlrev_b32_e32 v15, 2, v0
	v_lshlrev_b32_e32 v12, 1, v12
	v_xor_b32_e32 v132, v13, v11
	v_xor_b32_e32 v133, v5, v11
	v_lshlrev_b32_e32 v5, 1, v3
	v_add_lshl_u32 v3, v3, s27, 1
	v_or_b32_e32 v11, 0x100, v2
	s_add_u32 s4, s12, s4
	v_lshlrev_b32_e32 v6, 1, v99
	v_lshrrev_b32_e32 v16, 1, v0
	v_and_or_b32 v10, v15, 60, v10
	v_or_b32_e32 v127, 0x4000, v12
	v_or_b32_e32 v129, 0x4080, v12
	;; [unrolled: 1-line block ×8, first 2 shown]
	v_lshrrev_b32_e32 v12, 4, v0
	s_addc_u32 s5, s13, s5
	v_or_b32_e32 v7, 1, v6
	v_and_b32_e32 v16, 24, v16
	v_lshlrev_b32_e32 v10, 1, v10
	v_cndmask_b32_e64 v144, v5, v2, s[0:1]
	v_cndmask_b32_e64 v145, v3, v11, s[0:1]
	v_mov_b32_e32 v3, 0xa000
	v_mov_b32_e32 v5, 0x8000
	v_cmp_gt_u32_e64 s[0:1], s28, v0
	v_xor_b32_e32 v13, v12, v6
	v_xor_b32_e32 v14, v7, v12
	v_lshl_add_u64 v[6:7], s[4:5], 0, v[90:91]
	v_lshlrev_b32_e32 v90, 8, v12
	v_or_b32_e32 v140, 0x6000, v10
	v_or_b32_e32 v15, 32, v16
	;; [unrolled: 1-line block ×6, first 2 shown]
	v_cndmask_b32_e64 v3, v3, v5, s[0:1]
	v_lshlrev_b32_e32 v5, 3, v1
	v_lshl_or_b32 v138, v13, 3, v90
	v_and_b32_e32 v13, 8, v0
	v_xor_b32_e32 v11, v5, v16
	v_xor_b32_e32 v15, v5, v15
	;; [unrolled: 1-line block ×3, first 2 shown]
	v_mov_b32_e32 v17, 0x400
	v_cmp_eq_u32_e32 vcc, 0, v13
	v_or_b32_e32 v16, 0x440, v11
	v_or_b32_e32 v18, 0x440, v15
	v_xor_b32_e32 v10, 0x440, v5
	v_and_b32_e32 v12, 7, v0
	v_cndmask_b32_e64 v13, v17, 64, vcc
	v_cndmask_b32_e32 v16, v16, v11, vcc
	v_cndmask_b32_e32 v15, v18, v15, vcc
	;; [unrolled: 1-line block ×3, first 2 shown]
	v_lshl_or_b32 v139, v14, 3, v90
	v_lshlrev_b32_e32 v14, 3, v12
	v_or_b32_e32 v16, v16, v9
	v_or_b32_e32 v15, v15, v9
	v_or3_b32 v11, v9, v13, v11
	v_or_b32_e32 v5, v5, v9
	v_lshlrev_b32_e32 v12, 7, v12
	v_xor_b32_e32 v16, v16, v14
	v_xor_b32_e32 v15, v15, v14
	;; [unrolled: 1-line block ×4, first 2 shown]
	v_or_b32_e32 v2, v45, v8
	v_add_u32_e32 v17, v3, v16
	v_add_u32_e32 v18, v3, v15
	v_or_b32_e32 v146, v11, v12
	v_add_u32_e32 v9, v3, v5
	v_or3_b32 v8, v45, v8, 64
	v_add_u32_e32 v13, 0xa000, v16
	v_add_u32_e32 v14, 0xa000, v15
	;; [unrolled: 1-line block ×3, first 2 shown]
	v_lshlrev_b64 v[10:11], 1, v[88:89]
	v_lshl_add_u64 v[92:93], s[20:21], 0, v[10:11]
	v_lshl_add_u64 v[94:95], s[14:15], 0, v[10:11]
	;; [unrolled: 1-line block ×3, first 2 shown]
	s_add_i32 s3, s51, 63
	v_lshlrev_b32_e32 v90, 1, v4
	v_lshlrev_b32_e32 v89, 2, v2
	v_add_u32_e32 v147, v17, v12
	v_add_u32_e32 v148, v18, v12
	;; [unrolled: 1-line block ×4, first 2 shown]
	v_lshlrev_b32_e32 v151, 2, v8
	v_add_u32_e32 v152, v13, v12
	v_add_u32_e32 v153, v14, v12
	;; [unrolled: 1-line block ×3, first 2 shown]
	s_waitcnt lgkmcnt(0)
	s_barrier
.LBB9_6:                                ; =>This Inner Loop Header: Depth=1
	s_add_i32 s73, s74, 1
	s_cmp_lt_i32 s73, s59
	s_mov_b64 s[28:29], 0
	s_cselect_b64 s[48:49], -1, 0
	s_cmp_ge_i32 s73, s59
	s_mov_b64 s[4:5], 0
	s_cbranch_scc1 .LBB9_8
; %bb.7:                                ;   in Loop: Header=BB9_6 Depth=1
	s_add_i32 s0, s68, 64
	s_add_u32 s0, s44, s0
	s_addc_u32 s1, s45, 0
	s_lshl_b64 s[0:1], s[0:1], 8
	s_add_u32 s4, s18, s0
	s_addc_u32 s5, s19, s1
.LBB9_8:                                ;   in Loop: Header=BB9_6 Depth=1
	v_cndmask_b32_e64 v2, 0, 1, s[48:49]
	v_cmp_ne_u32_e64 s[0:1], 1, v2
	s_andn2_b64 vcc, exec, s[48:49]
	s_cbranch_vccnz .LBB9_10
; %bb.9:                                ;   in Loop: Header=BB9_6 Depth=1
	s_add_i32 s28, s68, 64
	s_add_u32 s28, s51, s28
	s_addc_u32 s29, s71, 0
	s_mul_i32 s31, s28, s60
	s_mul_hi_u32 s48, s28, s65
	s_add_i32 s31, s48, s31
	s_mul_i32 s29, s29, s65
	s_add_i32 s31, s31, s29
	s_mul_i32 s28, s28, s65
	s_add_u32 s28, s28, s61
	s_addc_u32 s29, s31, s66
	s_lshl_b64 s[28:29], s[28:29], 8
	s_add_u32 s28, s16, s28
	s_addc_u32 s29, s17, s29
.LBB9_10:                               ;   in Loop: Header=BB9_6 Depth=1
	v_perm_b32 v3, v87, v86, s39
	v_perm_b32 v2, v83, v82, s39
	v_perm_b32 v5, v85, v84, s39
	v_perm_b32 v4, v81, v80, s39
	ds_write_b64 v110, v[2:3]
	ds_write_b64 v111, v[4:5]
	ds_write_b64 v114, v[2:3]
	ds_write_b64 v115, v[4:5]
	v_perm_b32 v3, v79, v78, s39
	v_perm_b32 v2, v75, v74, s39
	v_perm_b32 v5, v77, v76, s39
	v_perm_b32 v4, v73, v72, s39
	ds_write_b64 v112, v[2:3]
	ds_write_b64 v113, v[4:5]
	ds_write_b64 v116, v[2:3]
	ds_write_b64 v117, v[4:5]
	;; [unrolled: 8-line block ×4, first 2 shown]
	s_waitcnt lgkmcnt(0)
	s_barrier
	ds_read_b64 v[6:7], v126 offset:49152
	ds_read2_b64 v[2:5], v127 offset1:16
	ds_read_b64 v[18:19], v129 offset:6144
	ds_read_b64 v[20:21], v127 offset:6144
	s_waitcnt lgkmcnt(2)
	v_mfma_f32_16x16x16_bf16 a[0:3], v[6:7], v[2:3], 0
	ds_read_b64 v[22:23], v128 offset:49152
	ds_read2st64_b64 v[10:13], v130 offset0:4 offset1:8
	ds_read2st64_b64 v[14:17], v131 offset0:4 offset1:8
	v_mfma_f32_16x16x16_bf16 a[4:7], v[6:7], v[4:5], 0
	ds_read2_b64 v[2:5], v127 offset0:32 offset1:48
	s_add_i32 s31, s68, 63
	s_mul_i32 s48, s31, s37
	s_waitcnt lgkmcnt(0)
	v_mfma_f32_16x16x16_bf16 a[8:11], v[6:7], v[2:3], 0
	s_mul_hi_u32 s49, s31, s36
	s_add_i32 s49, s49, s48
	s_mul_i32 s48, s31, s36
	v_mfma_f32_16x16x16_bf16 a[12:15], v[6:7], v[4:5], 0
	ds_read2st64_b64 v[2:5], v127 offset0:4 offset1:8
	ds_read2st64_b64 v[6:9], v129 offset0:4 offset1:8
	s_lshl_b64 s[48:49], s[48:49], 2
	s_waitcnt lgkmcnt(1)
	v_mfma_f32_16x16x16_bf16 a[0:3], v[22:23], v[2:3], a[0:3]
	s_add_u32 s48, s46, s48
	s_addc_u32 s49, s47, s49
	s_and_b64 vcc, exec, s[0:1]
	s_waitcnt lgkmcnt(0)
	v_mfma_f32_16x16x16_bf16 a[4:7], v[22:23], v[6:7], a[4:7]
	v_mov_b32_e32 v157, 0
	v_mov_b32_e32 v156, 0
	;; [unrolled: 1-line block ×3, first 2 shown]
	v_mfma_f32_16x16x16_bf16 a[8:11], v[22:23], v[10:11], a[8:11]
	ds_read_b64 v[2:3], v132 offset:49152
	ds_read_b64 v[6:7], v133 offset:49152
	ds_read_b64 v[10:11], v131 offset:6144
	v_mfma_f32_16x16x16_bf16 a[12:15], v[22:23], v[14:15], a[12:15]
	v_mov_b32_e32 v14, 0
	v_mov_b32_e32 v15, 0
	s_waitcnt lgkmcnt(2)
	v_mfma_f32_16x16x16_bf16 a[0:3], v[2:3], v[4:5], a[0:3]
	v_mov_b32_e32 v4, 0
	v_mov_b32_e32 v5, 0
	v_mfma_f32_16x16x16_bf16 a[16:19], v[2:3], v[8:9], a[4:7]
	v_mov_b32_e32 v8, 0
	v_mov_b32_e32 v9, 0
	;; [unrolled: 3-line block ×3, first 2 shown]
	v_mfma_f32_16x16x16_bf16 a[24:27], v[2:3], v[16:17], a[12:15]
	ds_read_b64 v[2:3], v130 offset:6144
	v_mov_b32_e32 v16, 0
	v_mov_b32_e32 v17, 0
	s_waitcnt lgkmcnt(2)
	v_mfma_f32_16x16x16_bf16 a[4:7], v[6:7], v[20:21], a[0:3]
	v_mfma_f32_16x16x16_bf16 a[8:11], v[6:7], v[18:19], a[16:19]
	s_waitcnt lgkmcnt(0)
	v_mfma_f32_16x16x16_bf16 a[12:15], v[6:7], v[2:3], a[20:23]
	v_mov_b32_e32 v2, 0
	v_mov_b32_e32 v3, 0
	v_mfma_f32_16x16x16_bf16 a[0:3], v[6:7], v[10:11], a[24:27]
	v_mov_b32_e32 v6, 0
	v_mov_b32_e32 v7, 0
	;; [unrolled: 1-line block ×4, first 2 shown]
	s_cbranch_vccnz .LBB9_12
; %bb.11:                               ;   in Loop: Header=BB9_6 Depth=1
	s_and_b32 s5, s5, 0xffff
	buffer_load_dwordx4 v[14:17], v106, s[4:7], 0 offen
	buffer_load_dwordx4 v[10:13], v106, s[4:7], s67 offen
	;; [unrolled: 1-line block ×4, first 2 shown]
	v_mov_b32_e32 v156, v108
	v_mov_b32_e32 v155, v109
.LBB9_12:                               ;   in Loop: Header=BB9_6 Depth=1
	ds_read_b64 v[30:31], v126 offset:57344
	ds_read2_b64 v[18:21], v134 offset1:16
	ds_read_b64 v[34:35], v128 offset:57344
	ds_read_b64 v[36:37], v132 offset:57344
	;; [unrolled: 1-line block ×3, first 2 shown]
	v_add_u32_e32 v32, s68, v102
	s_waitcnt lgkmcnt(3)
	v_mfma_f32_16x16x16_bf16 a[4:7], v[30:31], v[18:19], a[4:7]
	v_mfma_f32_16x16x16_bf16 a[8:11], v[30:31], v[20:21], a[8:11]
	ds_read2_b64 v[18:21], v134 offset0:32 offset1:48
	ds_read2st64_b64 v[22:25], v134 offset0:4 offset1:8
	ds_read2st64_b64 v[26:29], v135 offset0:4 offset1:8
	s_waitcnt lgkmcnt(2)
	v_mfma_f32_16x16x16_bf16 a[12:15], v[30:31], v[18:19], a[12:15]
	v_ashrrev_i32_e32 v18, 31, v32
	v_mul_lo_u32 v33, v18, s36
	v_mad_u64_u32 v[18:19], s[4:5], v32, s36, 0
	v_mfma_f32_16x16x16_bf16 a[0:3], v[30:31], v[20:21], a[0:3]
	v_mul_lo_u32 v20, v32, s37
	v_add3_u32 v19, v19, v20, v33
	v_add_u32_e32 v20, 1, v32
	v_ashrrev_i32_e32 v21, 31, v20
	s_waitcnt lgkmcnt(1)
	v_mfma_f32_16x16x16_bf16 a[4:7], v[34:35], v[22:23], a[4:7]
	v_mul_lo_u32 v22, v21, s36
	v_mul_lo_u32 v23, v20, s37
	v_mad_u64_u32 v[20:21], s[4:5], v20, s36, 0
	v_add3_u32 v21, v21, v23, v22
	v_add_u32_e32 v22, 2, v32
	v_ashrrev_i32_e32 v23, 31, v22
	v_mul_lo_u32 v30, v23, s36
	v_mul_lo_u32 v31, v22, s37
	v_mad_u64_u32 v[22:23], s[4:5], v22, s36, 0
	v_add3_u32 v23, v23, v31, v30
	v_add_u32_e32 v30, 3, v32
	v_ashrrev_i32_e32 v31, 31, v30
	v_mul_lo_u32 v32, v31, s36
	v_mul_lo_u32 v33, v30, s37
	v_mad_u64_u32 v[30:31], s[4:5], v30, s36, 0
	s_add_u32 s4, s44, s68
	v_lshl_add_u64 v[18:19], v[18:19], 2, s[46:47]
	v_add3_u32 v31, v31, v33, v32
	s_addc_u32 s5, s45, 0
	v_lshl_add_u64 v[20:21], v[20:21], 2, s[46:47]
	global_load_dword v40, v[18:19], off
	v_lshl_add_u64 v[18:19], v[30:31], 2, s[46:47]
	s_lshl_b64 s[4:5], s[4:5], 8
	v_lshl_add_u64 v[22:23], v[22:23], 2, s[46:47]
	global_load_dword v41, v[20:21], off
	global_load_dword v42, v[22:23], off
	;; [unrolled: 1-line block ×3, first 2 shown]
	v_lshl_add_u64 v[18:19], v[92:93], 0, s[4:5]
	v_lshl_add_u64 v[22:23], v[18:19], 0, v[90:91]
	global_load_ushort v44, v[22:23], off offset:256
	global_load_ushort v158, v[22:23], off
	ds_read2st64_b64 v[18:21], v136 offset0:4 offset1:8
	global_load_ushort v159, v[22:23], off offset:768
	global_load_ushort v160, v[22:23], off offset:512
	ds_read2st64_b64 v[30:33], v137 offset0:4 offset1:8
	global_load_ushort v161, v[22:23], off offset:288
	global_load_ushort v162, v[22:23], off offset:32
	;; [unrolled: 1-line block ×4, first 2 shown]
	s_waitcnt lgkmcnt(2)
	v_mfma_f32_16x16x16_bf16 a[8:11], v[34:35], v[26:27], a[8:11]
	global_load_ushort v165, v[22:23], off offset:320
	global_load_ushort v166, v[22:23], off offset:64
	;; [unrolled: 1-line block ×4, first 2 shown]
	s_and_b64 vcc, exec, s[0:1]
	s_waitcnt lgkmcnt(1)
	v_mfma_f32_16x16x16_bf16 a[12:15], v[34:35], v[18:19], a[12:15]
	ds_read_b64 v[18:19], v134 offset:6144
	s_waitcnt lgkmcnt(1)
	v_mfma_f32_16x16x16_bf16 a[0:3], v[34:35], v[30:31], a[0:3]
	v_lshl_add_u64 v[30:31], v[94:95], 0, s[4:5]
	v_lshl_add_u64 v[30:31], v[30:31], 0, v[90:91]
	v_mfma_f32_16x16x16_bf16 a[4:7], v[36:37], v[24:25], a[4:7]
	v_mfma_f32_16x16x16_bf16 a[8:11], v[36:37], v[28:29], a[8:11]
	;; [unrolled: 1-line block ×4, first 2 shown]
	global_load_ushort v36, v[22:23], off offset:352
	global_load_ushort v37, v[22:23], off offset:96
	ds_read_b64 v[20:21], v135 offset:6144
	ds_read_b64 v[24:25], v136 offset:6144
	;; [unrolled: 1-line block ×3, first 2 shown]
	s_load_dword s48, s[48:49], 0x0
	global_load_ushort v169, v[22:23], off offset:864
	global_load_ushort v170, v[22:23], off offset:608
	s_waitcnt lgkmcnt(0)
	v_mfma_f32_16x16x16_bf16 a[4:7], v[38:39], v[18:19], a[4:7]
	s_waitcnt vmcnt(17)
	v_sub_f32_e32 v28, s48, v42
	v_mfma_f32_16x16x16_bf16 a[0:3], v[38:39], v[26:27], a[0:3]
	v_sub_f32_e32 v26, s48, v40
	v_sub_f32_e32 v27, s48, v41
	s_waitcnt vmcnt(16)
	v_sub_f32_e32 v29, s48, v43
	v_mfma_f32_16x16x16_bf16 a[8:11], v[38:39], v[20:21], a[8:11]
	v_exp_f32_e32 v26, v26
	v_exp_f32_e32 v27, v27
	;; [unrolled: 1-line block ×4, first 2 shown]
	v_accvgpr_read_b32 v35, a5
	s_waitcnt vmcnt(15)
	v_lshlrev_b32_e32 v33, 16, v44
	s_waitcnt vmcnt(14)
	v_lshlrev_b32_e32 v32, 16, v158
	v_accvgpr_read_b32 v34, a4
	v_accvgpr_read_b32 v19, a7
	;; [unrolled: 1-line block ×3, first 2 shown]
	v_pk_add_f32 v[32:33], v[32:33], v[34:35] neg_lo:[0,1] neg_hi:[0,1]
	s_waitcnt vmcnt(13)
	v_lshlrev_b32_e32 v35, 16, v159
	s_waitcnt vmcnt(12)
	v_lshlrev_b32_e32 v34, 16, v160
	v_pk_add_f32 v[18:19], v[34:35], v[18:19] neg_lo:[0,1] neg_hi:[0,1]
	global_store_short_d16_hi v[30:31], v32, off
	global_store_short_d16_hi v[30:31], v33, off offset:256
	global_store_short_d16_hi v[30:31], v18, off offset:512
	;; [unrolled: 1-line block ×3, first 2 shown]
	v_pk_mul_f32 v[32:33], v[26:27], v[32:33]
	v_pk_mul_f32 v[18:19], v[28:29], v[18:19]
	v_accvgpr_read_b32 v35, a9
	v_perm_b32 v32, v33, v32, s39
	v_perm_b32 v33, v19, v18, s39
	s_waitcnt vmcnt(15)
	v_lshlrev_b32_e32 v19, 16, v161
	s_waitcnt vmcnt(14)
	v_lshlrev_b32_e32 v18, 16, v162
	v_accvgpr_read_b32 v34, a8
	v_accvgpr_read_b32 v21, a11
	v_mfma_f32_16x16x16_bf16 a[12:15], v[38:39], v[24:25], a[12:15]
	v_accvgpr_read_b32 v20, a10
	v_pk_add_f32 v[18:19], v[18:19], v[34:35] neg_lo:[0,1] neg_hi:[0,1]
	s_waitcnt vmcnt(13)
	v_lshlrev_b32_e32 v35, 16, v163
	s_waitcnt vmcnt(12)
	v_lshlrev_b32_e32 v34, 16, v164
	v_pk_add_f32 v[20:21], v[34:35], v[20:21] neg_lo:[0,1] neg_hi:[0,1]
	global_store_short_d16_hi v[30:31], v18, off offset:32
	global_store_short_d16_hi v[30:31], v19, off offset:288
	;; [unrolled: 1-line block ×4, first 2 shown]
	v_pk_mul_f32 v[18:19], v[26:27], v[18:19]
	v_pk_mul_f32 v[20:21], v[28:29], v[20:21]
	v_accvgpr_read_b32 v23, a15
	v_perm_b32 v21, v21, v20, s39
	v_perm_b32 v20, v19, v18, s39
	ds_write2_b64 v111, v[32:33], v[20:21] offset1:16
	v_accvgpr_read_b32 v21, a13
	s_waitcnt vmcnt(15)
	v_lshlrev_b32_e32 v19, 16, v165
	s_waitcnt vmcnt(14)
	v_lshlrev_b32_e32 v18, 16, v166
	v_accvgpr_read_b32 v20, a12
	v_accvgpr_read_b32 v22, a14
	v_pk_add_f32 v[18:19], v[18:19], v[20:21] neg_lo:[0,1] neg_hi:[0,1]
	s_waitcnt vmcnt(13)
	v_lshlrev_b32_e32 v21, 16, v167
	s_waitcnt vmcnt(12)
	v_lshlrev_b32_e32 v20, 16, v168
	v_pk_add_f32 v[20:21], v[20:21], v[22:23] neg_lo:[0,1] neg_hi:[0,1]
	global_store_short_d16_hi v[30:31], v18, off offset:64
	global_store_short_d16_hi v[30:31], v19, off offset:320
	;; [unrolled: 1-line block ×4, first 2 shown]
	v_pk_mul_f32 v[18:19], v[26:27], v[18:19]
	v_pk_mul_f32 v[20:21], v[28:29], v[20:21]
	v_accvgpr_read_b32 v23, a1
	v_perm_b32 v18, v19, v18, s39
	v_perm_b32 v19, v21, v20, s39
	s_waitcnt vmcnt(15)
	v_lshlrev_b32_e32 v21, 16, v36
	s_waitcnt vmcnt(14)
	v_lshlrev_b32_e32 v20, 16, v37
	v_accvgpr_read_b32 v22, a0
	v_accvgpr_read_b32 v25, a3
	;; [unrolled: 1-line block ×3, first 2 shown]
	v_pk_add_f32 v[20:21], v[20:21], v[22:23] neg_lo:[0,1] neg_hi:[0,1]
	s_waitcnt vmcnt(13)
	v_lshlrev_b32_e32 v23, 16, v169
	s_waitcnt vmcnt(12)
	v_lshlrev_b32_e32 v22, 16, v170
	v_pk_add_f32 v[22:23], v[22:23], v[24:25] neg_lo:[0,1] neg_hi:[0,1]
	global_store_short_d16_hi v[30:31], v20, off offset:96
	global_store_short_d16_hi v[30:31], v21, off offset:352
	;; [unrolled: 1-line block ×4, first 2 shown]
	v_pk_mul_f32 v[20:21], v[26:27], v[20:21]
	v_pk_mul_f32 v[22:23], v[28:29], v[22:23]
	v_mov_b32_e32 v158, 0
	v_perm_b32 v23, v23, v22, s39
	v_perm_b32 v22, v21, v20, s39
	ds_write2_b64 v111, v[18:19], v[22:23] offset0:32 offset1:48
	v_mov_b32_e32 v18, 0
	v_mov_b32_e32 v19, 0
	;; [unrolled: 1-line block ×16, first 2 shown]
	s_cbranch_vccnz .LBB9_14
; %bb.13:                               ;   in Loop: Header=BB9_6 Depth=1
	s_and_b32 s29, s29, 0xffff
	s_mov_b32 s31, s7
	buffer_load_dwordx4 v[30:33], v144, s[28:31], 0 offen
	buffer_load_dwordx4 v[22:25], v144, s[28:31], s67 offen
	;; [unrolled: 1-line block ×4, first 2 shown]
	v_mov_b32_e32 v157, v105
	v_mov_b32_e32 v158, v104
.LBB9_14:                               ;   in Loop: Header=BB9_6 Depth=1
	s_waitcnt lgkmcnt(0)
	s_barrier
	ds_read_b64 v[42:43], v147
	ds_read2_b64 v[34:37], v140 offset1:16
	ds_read_b64 v[176:177], v148
	ds_read_b64 v[178:179], v149
	;; [unrolled: 1-line block ×3, first 2 shown]
	ds_read2_b64 v[38:41], v140 offset0:32 offset1:48
	ds_read2st64_b64 v[160:163], v140 offset0:4 offset1:8
	ds_read2st64_b64 v[164:167], v141 offset0:4 offset1:8
	;; [unrolled: 1-line block ×4, first 2 shown]
	s_waitcnt lgkmcnt(8)
	v_mfma_f32_16x16x16_bf16 a[0:3], v[42:43], v[34:35], 0
	s_add_i32 s4, s62, s74
	s_mul_hi_i32 s5, s4, s25
	s_mul_i32 s4, s4, s25
	v_mfma_f32_16x16x16_bf16 a[4:7], v[42:43], v[36:37], 0
	s_add_u32 s4, s4, s33
	s_addc_u32 s5, s5, s50
	s_add_i32 s28, s3, s68
	s_waitcnt lgkmcnt(4)
	v_mfma_f32_16x16x16_bf16 a[8:11], v[42:43], v[38:39], 0
	s_lshl_b64 s[4:5], s[4:5], 15
	s_mul_hi_i32 s29, s28, s25
	s_mul_i32 s28, s28, s25
	v_mfma_f32_16x16x16_bf16 a[12:15], v[42:43], v[40:41], 0
	ds_read_b64 v[42:43], v140 offset:6144
	ds_read_b64 v[188:189], v141 offset:6144
	;; [unrolled: 1-line block ×4, first 2 shown]
	s_add_u32 s28, s28, s33
	s_waitcnt lgkmcnt(7)
	v_mfma_f32_16x16x16_bf16 a[0:3], v[176:177], v[160:161], a[0:3]
	s_addc_u32 s29, s29, s50
	s_lshl_b64 s[28:29], s[28:29], 9
	s_add_u32 s28, s8, s28
	s_waitcnt lgkmcnt(6)
	v_mfma_f32_16x16x16_bf16 a[4:7], v[176:177], v[164:165], a[4:7]
	s_addc_u32 s29, s9, s29
	v_lshl_add_u64 v[198:199], v[96:97], 0, s[4:5]
	s_waitcnt lgkmcnt(5)
	v_mfma_f32_16x16x16_bf16 a[8:11], v[176:177], v[168:169], a[8:11]
	s_waitcnt lgkmcnt(4)
	v_mfma_f32_16x16x16_bf16 a[12:15], v[176:177], v[172:173], a[12:15]
	ds_read_b64 v[176:177], v152
	ds_read_b64 v[186:187], v153
	ds_read_b64 v[194:195], v154
	s_waitcnt lgkmcnt(2)
	v_mfma_f32_16x16x16_bf16 a[16:19], v[176:177], v[34:35], 0
	v_mfma_f32_16x16x16_bf16 a[20:23], v[176:177], v[36:37], 0
	global_load_dwordx4 v[34:37], v151, s[28:29]
	v_mfma_f32_16x16x16_bf16 a[24:27], v[176:177], v[38:39], 0
	v_mfma_f32_16x16x16_bf16 a[28:31], v[176:177], v[40:41], 0
	global_load_dwordx4 v[38:41], v89, s[28:29]
	v_mfma_f32_16x16x16_bf16 a[0:3], v[178:179], v[162:163], a[0:3]
	v_mfma_f32_16x16x16_bf16 a[4:7], v[178:179], v[166:167], a[4:7]
	;; [unrolled: 1-line block ×8, first 2 shown]
	ds_read2st64_b64 v[176:179], v138 offset1:8
	ds_read2st64_b64 v[180:183], v139 offset1:8
	ds_read_b64 v[196:197], v146 offset:40960
	s_waitcnt lgkmcnt(2)
	v_mov_b32_e32 v184, v176
	v_mfma_f32_16x16x16_bf16 a[16:19], v[186:187], v[160:161], a[16:19]
	v_mov_b32_e32 v185, v177
	v_mfma_f32_16x16x16_bf16 a[20:23], v[186:187], v[164:165], a[20:23]
	v_mfma_f32_16x16x16_bf16 a[24:27], v[186:187], v[168:169], a[24:27]
	v_mfma_f32_16x16x16_bf16 a[28:31], v[186:187], v[172:173], a[28:31]
	v_add_co_u32_e32 v172, vcc, s41, v198
	s_waitcnt lgkmcnt(1)
	v_mov_b32_e32 v186, v180
	s_waitcnt lgkmcnt(0)
	v_mfma_f32_16x16x16_bf16 a[16:19], v[196:197], v[162:163], a[16:19]
	ds_read2st64_b64 v[160:163], v138 offset0:16 offset1:24
	v_addc_co_u32_e32 v173, vcc, 0, v199, vcc
	v_mfma_f32_16x16x16_bf16 a[32:35], v[196:197], v[166:167], a[20:23]
	ds_read2st64_b64 v[164:167], v139 offset0:16 offset1:24
	v_mov_b32_e32 v187, v181
	v_mov_b32_e32 v180, v178
	v_mfma_f32_16x16x16_bf16 a[24:27], v[196:197], v[170:171], a[24:27]
	v_mov_b32_e32 v181, v179
	s_waitcnt lgkmcnt(0)
	v_mov_b32_e32 v170, v164
	v_mov_b32_e32 v171, v165
	v_mfma_f32_16x16x16_bf16 a[36:39], v[196:197], v[174:175], a[28:31]
	v_mov_b32_e32 v164, v162
	v_mov_b32_e32 v165, v163
	;; [unrolled: 1-line block ×3, first 2 shown]
	v_mfma_f32_16x16x16_bf16 a[20:23], v[194:195], v[42:43], a[16:19]
	v_add_co_u32_e32 v42, vcc, s72, v198
	v_mov_b32_e32 v169, v161
	v_mfma_f32_16x16x16_bf16 a[28:31], v[194:195], v[188:189], a[32:35]
	v_addc_co_u32_e32 v43, vcc, 0, v199, vcc
	global_store_dwordx4 v[42:43], v[164:167], off
	v_mfma_f32_16x16x16_bf16 a[16:19], v[194:195], v[190:191], a[24:27]
	s_waitcnt vmcnt(2)
	v_mov_b32_e32 v44, v37
	v_mov_b32_e32 v43, v36
	;; [unrolled: 1-line block ×3, first 2 shown]
	v_mfma_f32_16x16x16_bf16 a[24:27], v[194:195], v[192:193], a[36:39]
	s_and_b64 vcc, exec, s[0:1]
	global_store_dwordx4 v[198:199], v[184:187], off
	global_store_dwordx4 v[172:173], v[180:183], off offset:-4096
	global_store_dwordx4 v[172:173], v[168:171], off
	s_cbranch_vccnz .LBB9_16
; %bb.15:                               ;   in Loop: Header=BB9_6 Depth=1
	v_lshrrev_b32_e32 v35, 3, v157
	v_and_b32_e32 v35, 6, v35
	v_xor_b32_e32 v36, v35, v158
	v_lshlrev_b32_e32 v36, 2, v36
	v_and_b32_e32 v37, 8, v157
	v_xor_b32_e32 v157, 0x440, v36
	v_cmp_eq_u32_e32 vcc, 0, v37
	v_perm_b32 v37, v22, v18, s69
	s_nop 0
	v_cndmask_b32_e32 v36, v157, v36, vcc
	v_lshl_or_b32 v35, v35, 10, v36
	v_perm_b32 v36, v30, v26, s69
	s_barrier
	ds_write2st64_b32 v35, v36, v37 offset0:128 offset1:160
	v_xor_b32_e32 v36, 8, v35
	v_perm_b32 v26, v30, v26, s70
	v_perm_b32 v18, v22, v18, s70
	v_add_u32_e32 v22, 0x80, v36
	ds_write2st64_b32 v22, v26, v18 offset0:128 offset1:160
	v_xor_b32_e32 v18, 16, v35
	v_perm_b32 v22, v31, v27, s69
	v_perm_b32 v26, v23, v19, s69
	ds_write2st64_b32 v18, v22, v26 offset0:129 offset1:161
	v_xor_b32_e32 v18, 24, v35
	v_perm_b32 v22, v31, v27, s70
	v_perm_b32 v19, v23, v19, s70
	v_add_u32_e32 v18, 0x80, v18
	ds_write2st64_b32 v18, v22, v19 offset0:129 offset1:161
	v_xor_b32_e32 v18, 32, v35
	v_perm_b32 v19, v32, v28, s69
	v_perm_b32 v22, v24, v20, s69
	;; [unrolled: 9-line block ×3, first 2 shown]
	ds_write2st64_b32 v18, v19, v20 offset0:131 offset1:163
	v_xor_b32_e32 v18, 56, v35
	v_perm_b32 v19, v33, v29, s70
	v_perm_b32 v20, v25, v21, s70
	v_add_u32_e32 v18, 0x80, v18
	ds_write2st64_b32 v18, v19, v20 offset0:131 offset1:163
	ds_write_b64 v156, v[14:15] offset:49152
	v_xor_b32_e32 v14, 8, v156
	ds_write_b64 v14, v[16:17] offset:49152
	ds_write_b64 v156, v[10:11] offset:57344
	;; [unrolled: 1-line block ×4, first 2 shown]
	v_xor_b32_e32 v6, 8, v155
	ds_write_b64 v6, v[8:9] offset:49152
	ds_write_b64 v155, v[2:3] offset:57344
	;; [unrolled: 1-line block ×3, first 2 shown]
.LBB9_16:                               ;   in Loop: Header=BB9_6 Depth=1
	v_exp_f32_e32 v36, s48
	s_waitcnt vmcnt(4)
	v_exp_f32_e32 v38, v38
	v_exp_f32_e32 v39, v39
	;; [unrolled: 1-line block ×4, first 2 shown]
	v_accvgpr_read_b32 v5, a3
	v_accvgpr_read_b32 v4, a2
	v_accvgpr_read_b32 v3, a1
	v_accvgpr_read_b32 v2, a0
	v_pk_mul_f32 v[38:39], v[36:37], v[38:39] op_sel_hi:[0,1]
	v_pk_mul_f32 v[40:41], v[36:37], v[40:41] op_sel_hi:[0,1]
	v_pk_fma_f32 v[82:83], v[82:83], v[38:39], v[2:3]
	v_pk_fma_f32 v[86:87], v[86:87], v[40:41], v[4:5]
	v_exp_f32_e32 v2, v34
	v_exp_f32_e32 v3, v42
	;; [unrolled: 1-line block ×4, first 2 shown]
	v_accvgpr_read_b32 v9, a7
	v_accvgpr_read_b32 v13, a11
	;; [unrolled: 1-line block ×28, first 2 shown]
	v_pk_mul_f32 v[2:3], v[36:37], v[2:3] op_sel_hi:[0,1]
	v_pk_mul_f32 v[4:5], v[36:37], v[4:5] op_sel_hi:[0,1]
	s_add_i32 s68, s68, 64
	v_pk_fma_f32 v[74:75], v[38:39], v[74:75], v[6:7]
	v_pk_fma_f32 v[78:79], v[40:41], v[78:79], v[8:9]
	;; [unrolled: 1-line block ×13, first 2 shown]
	s_cmp_eq_u32 s59, s73
	v_pk_fma_f32 v[60:61], v[4:5], v[60:61], v[32:33]
	s_cbranch_scc1 .LBB9_18
; %bb.17:                               ;   in Loop: Header=BB9_6 Depth=1
	s_mov_b32 s74, s73
	s_branch .LBB9_6
.LBB9_18:
	s_lshl_b32 s45, s59, 6
	s_sub_i32 s48, s24, s45
	s_cmp_gt_i32 s48, 0
	s_cbranch_scc0 .LBB9_99
; %bb.19:
	s_ashr_i32 s3, s45, 31
	s_cmpk_lg_i32 s27, 0x80
	s_cselect_b64 s[30:31], -1, 0
	s_and_b64 vcc, exec, s[30:31]
	s_cbranch_vccz .LBB9_21
; %bb.20:
	s_mul_hi_i32 s0, s58, s24
	s_add_u32 s1, s51, s45
	s_addc_u32 s0, s0, s3
	s_mul_i32 s4, s1, s60
	s_mul_hi_u32 s5, s1, s26
	s_add_i32 s4, s5, s4
	s_mul_i32 s0, s0, s26
	s_add_i32 s4, s4, s0
	s_mul_i32 s1, s1, s26
	s_ashr_i32 s0, s61, 31
	s_add_u32 s46, s1, s61
	s_addc_u32 s47, s4, s0
	s_cbranch_execz .LBB9_22
	s_branch .LBB9_23
.LBB9_21:
                                        ; implicit-def: $sgpr46_sgpr47
.LBB9_22:
	s_mul_hi_i32 s0, s58, s26
	s_mul_i32 s58, s58, s26
	s_ashr_i32 s1, s61, 31
	s_add_u32 s4, s58, s61
	s_addc_u32 s0, s0, s1
	s_mul_i32 s1, s4, s57
	s_mul_hi_u32 s5, s4, s24
	s_add_i32 s1, s5, s1
	s_mul_i32 s0, s0, s24
	s_add_i32 s1, s1, s0
	s_mul_i32 s4, s4, s24
	s_add_u32 s46, s4, s45
	s_addc_u32 s47, s1, s3
.LBB9_23:
	s_mul_i32 s0, s42, s57
	s_add_i32 s0, s64, s0
	s_add_i32 s4, s62, s59
	;; [unrolled: 1-line block ×3, first 2 shown]
	s_add_u32 s0, s44, s45
	v_lshlrev_b32_e32 v6, 6, v102
	v_lshlrev_b32_e32 v25, 2, v99
	s_addc_u32 s1, s1, s3
	s_mov_b32 s3, 0x7060302
	v_or_b32_e32 v9, v6, v25
	v_xor_b32_e32 v7, v102, v25
	v_perm_b32 v3, v87, v86, s3
	v_perm_b32 v2, v83, v82, s3
	;; [unrolled: 1-line block ×4, first 2 shown]
	v_lshlrev_b32_e32 v9, 1, v9
	v_xor_b32_e32 v8, v103, v25
	ds_write2st64_b64 v9, v[2:3], v[4:5] offset0:32 offset1:48
	v_lshlrev_b32_e32 v7, 1, v7
	v_lshlrev_b32_e32 v9, 8, v99
	v_or_b32_e32 v10, v7, v9
	v_lshlrev_b32_e32 v8, 1, v8
	ds_write_b64 v10, v[2:3]
	v_or_b32_e32 v2, v8, v9
	v_or_b32_e32 v9, 16, v99
	v_lshlrev_b32_e32 v23, 2, v9
	v_or_b32_e32 v10, v6, v23
	ds_write_b64 v2, v[4:5]
	v_perm_b32 v3, v79, v78, s3
	v_perm_b32 v2, v75, v74, s3
	;; [unrolled: 1-line block ×4, first 2 shown]
	v_lshlrev_b32_e32 v10, 1, v10
	v_lshlrev_b32_e32 v9, 8, v9
	ds_write2st64_b64 v10, v[2:3], v[4:5] offset0:32 offset1:48
	v_or_b32_e32 v10, v7, v9
	ds_write_b64 v10, v[2:3]
	v_or_b32_e32 v2, v8, v9
	v_or_b32_e32 v9, 32, v99
	v_lshlrev_b32_e32 v22, 2, v9
	v_or_b32_e32 v10, v6, v22
	ds_write_b64 v2, v[4:5]
	v_perm_b32 v3, v71, v70, s3
	v_perm_b32 v2, v67, v66, s3
	;; [unrolled: 1-line block ×4, first 2 shown]
	v_lshlrev_b32_e32 v10, 1, v10
	v_lshlrev_b32_e32 v9, 8, v9
	s_lshl_b64 s[28:29], s[0:1], 8
	ds_write2st64_b64 v10, v[2:3], v[4:5] offset0:32 offset1:48
	v_or_b32_e32 v10, v7, v9
	s_add_u32 s0, s18, s28
	ds_write_b64 v10, v[2:3]
	v_or_b32_e32 v2, v8, v9
	s_addc_u32 s1, s19, s29
	ds_write_b64 v2, v[4:5]
	v_perm_b32 v3, v63, v62, s3
	v_perm_b32 v2, v59, v58, s3
	;; [unrolled: 1-line block ×4, first 2 shown]
	v_or_b32_e32 v9, 48, v99
	s_mul_hi_i32 s3, s4, s25
	s_mul_i32 s4, s4, s25
	v_lshlrev_b32_e32 v19, 2, v9
	s_add_u32 s4, s4, s33
	v_or_b32_e32 v6, v6, v19
	s_addc_u32 s5, s3, s50
	v_lshlrev_b32_e32 v6, 1, v6
	s_ashr_i32 s3, s2, 31
	s_lshl_b64 s[4:5], s[4:5], 15
	ds_write2st64_b64 v6, v[2:3], v[4:5] offset0:32 offset1:48
	v_lshlrev_b32_e32 v6, 8, v9
	s_add_u32 s4, s12, s4
	v_or_b32_e32 v7, v7, v6
	s_addc_u32 s5, s13, s5
	s_lshl_b64 s[2:3], s[2:3], 8
	ds_write_b64 v7, v[2:3]
	v_or_b32_e32 v2, v8, v6
	s_add_u32 s2, s4, s2
	v_lshlrev_b32_e32 v3, 1, v99
	ds_write_b64 v2, v[4:5]
	v_lshrrev_b32_e32 v2, 4, v0
	s_addc_u32 s3, s5, s3
	v_or_b32_e32 v4, 1, v3
	v_lshlrev_b32_e32 v10, 4, v99
	v_mov_b32_e32 v11, 0
	v_xor_b32_e32 v3, v2, v3
	v_xor_b32_e32 v6, v4, v2
	v_lshl_add_u64 v[12:13], s[2:3], 0, v[10:11]
	v_lshlrev_b32_e32 v10, 8, v2
	v_lshl_or_b32 v16, v3, 3, v10
	v_lshl_or_b32 v17, v6, 3, v10
	s_waitcnt lgkmcnt(0)
	s_barrier
	ds_read2st64_b64 v[2:5], v16 offset1:8
	ds_read2st64_b64 v[6:9], v17 offset1:8
	v_lshl_add_u64 v[14:15], v[12:13], 0, v[10:11]
	s_movk_i32 s2, 0x2000
	s_cmp_lg_u32 s48, 64
	s_waitcnt lgkmcnt(1)
	v_mov_b32_e32 v10, v2
	v_mov_b32_e32 v11, v3
	s_waitcnt lgkmcnt(0)
	v_mov_b32_e32 v12, v6
	v_mov_b32_e32 v13, v7
	global_store_dwordx4 v[14:15], v[10:13], off
	v_mov_b32_e32 v6, v4
	v_mov_b32_e32 v7, v5
	ds_read2st64_b64 v[2:5], v16 offset0:16 offset1:24
	ds_read2st64_b64 v[10:13], v17 offset0:16 offset1:24
	v_add_co_u32_e32 v16, vcc, s2, v14
	s_cselect_b64 s[18:19], -1, 0
	s_nop 0
	v_addc_co_u32_e32 v17, vcc, 0, v15, vcc
	global_store_dwordx4 v[16:17], v[6:9], off offset:-4096
	v_lshl_or_b32 v30, v1, 3, v101
	s_mov_b32 s4, 0
	s_waitcnt lgkmcnt(1)
	v_mov_b32_e32 v6, v2
	v_add_co_u32_e32 v2, vcc, 0x3000, v14
	v_mov_b32_e32 v7, v3
	s_nop 0
	v_addc_co_u32_e32 v3, vcc, 0, v15, vcc
	s_waitcnt lgkmcnt(0)
	v_mov_b32_e32 v8, v10
	v_mov_b32_e32 v9, v11
	;; [unrolled: 1-line block ×4, first 2 shown]
	v_or_b32_e32 v20, 32, v30
	v_and_b32_e32 v18, 56, v100
	s_and_b64 vcc, exec, s[18:19]
	global_store_dwordx4 v[16:17], v[6:9], off
	global_store_dwordx4 v[2:3], v[10:13], off
	s_cbranch_vccz .LBB9_29
; %bb.24:
	s_mov_b32 s6, s4
	s_mov_b32 s7, s4
	;; [unrolled: 1-line block ×3, first 2 shown]
	v_mov_b64_e32 v[8:9], s[6:7]
	v_mov_b64_e32 v[6:7], s[4:5]
	;; [unrolled: 1-line block ×3, first 2 shown]
	v_cmp_gt_i32_e32 vcc, s48, v30
	v_mov_b64_e32 v[4:5], v[8:9]
	s_and_saveexec_b64 s[2:3], vcc
	s_cbranch_execz .LBB9_26
; %bb.25:
	v_lshlrev_b32_e32 v2, 8, v30
	v_mov_b32_e32 v3, 0
	v_lshl_add_u64 v[4:5], s[0:1], 0, v[2:3]
	v_lshlrev_b32_e32 v2, 1, v18
	v_lshl_add_u64 v[10:11], v[4:5], 0, v[2:3]
	global_load_dwordx4 v[6:9], v[10:11], off
	global_load_dwordx4 v[2:5], v[10:11], off offset:128
.LBB9_26:
	s_or_b64 exec, exec, s[2:3]
	s_mov_b32 s6, s4
	s_mov_b32 s7, s4
	;; [unrolled: 1-line block ×3, first 2 shown]
	v_mov_b64_e32 v[16:17], s[6:7]
	v_mov_b64_e32 v[14:15], s[4:5]
	;; [unrolled: 1-line block ×3, first 2 shown]
	v_cmp_gt_i32_e32 vcc, s48, v20
	v_lshlrev_b32_e32 v21, 7, v20
	v_mov_b64_e32 v[12:13], v[16:17]
	s_and_saveexec_b64 s[2:3], vcc
	s_cbranch_execz .LBB9_28
; %bb.27:
	v_lshlrev_b32_e32 v10, 1, v21
	v_mov_b32_e32 v11, 0
	v_lshl_add_u64 v[12:13], s[0:1], 0, v[10:11]
	v_lshlrev_b32_e32 v10, 1, v18
	v_lshl_add_u64 v[26:27], v[12:13], 0, v[10:11]
	global_load_dwordx4 v[14:17], v[26:27], off
	global_load_dwordx4 v[10:13], v[26:27], off offset:128
.LBB9_28:
	s_or_b64 exec, exec, s[2:3]
	v_lshrrev_b32_e32 v24, 3, v18
	v_lshlrev_b32_e32 v26, 3, v30
	v_or_b32_e32 v24, v26, v24
	v_lshlrev_b32_e32 v24, 4, v24
	v_and_b32_e32 v26, 0x78, v26
	v_xor_b32_e32 v24, v24, v26
	s_branch .LBB9_31
.LBB9_29:
                                        ; implicit-def: $vgpr24
                                        ; implicit-def: $vgpr21
                                        ; implicit-def: $vgpr6_vgpr7_vgpr8_vgpr9
                                        ; implicit-def: $vgpr2_vgpr3_vgpr4_vgpr5
                                        ; implicit-def: $vgpr14_vgpr15_vgpr16_vgpr17
                                        ; implicit-def: $vgpr10_vgpr11_vgpr12_vgpr13
	s_cbranch_execz .LBB9_31
; %bb.30:
	s_waitcnt vmcnt(0)
	v_lshlrev_b32_e32 v2, 1, v18
	v_lshl_or_b32 v21, v30, 8, v2
	s_and_b32 s1, s1, 0xffff
	s_mov_b32 s3, 0x20000
	s_movk_i32 s2, 0x4000
	v_lshl_or_b32 v24, v20, 8, v2
	s_movk_i32 s4, 0x80
	buffer_load_dwordx4 v[6:9], v21, s[0:3], 0 offen
	buffer_load_dwordx4 v[2:5], v21, s[0:3], s4 offen
	;; [unrolled: 1-line block ×4, first 2 shown]
	v_lshrrev_b32_e32 v21, 3, v18
	v_lshlrev_b32_e32 v24, 3, v30
	v_or_b32_e32 v21, v24, v21
	v_lshlrev_b32_e32 v21, 4, v21
	v_and_b32_e32 v24, 0x78, v24
	v_xor_b32_e32 v24, v21, v24
	v_lshlrev_b32_e32 v21, 7, v20
.LBB9_31:
	s_movk_i32 s0, 0x1000
	v_and_or_b32 v20, v21, s0, v24
	s_waitcnt vmcnt(1)
	ds_write_b64 v24, v[6:7] offset:49152
	v_xor_b32_e32 v6, 8, v24
	ds_write_b64 v6, v[8:9] offset:49152
	s_waitcnt vmcnt(0)
	ds_write_b64 v24, v[2:3] offset:57344
	ds_write_b64 v6, v[4:5] offset:57344
	;; [unrolled: 1-line block ×3, first 2 shown]
	v_xor_b32_e32 v2, 8, v20
	ds_write_b64 v2, v[16:17] offset:49152
	ds_write_b64 v20, v[10:11] offset:57344
	;; [unrolled: 1-line block ×3, first 2 shown]
	v_or_b32_e32 v2, v45, v99
	v_lshlrev_b32_e32 v2, 3, v2
	v_lshrrev_b32_e32 v3, 5, v47
	s_movk_i32 s0, 0xf8
	v_and_or_b32 v3, v2, s0, v3
	v_lshlrev_b32_e32 v7, 4, v3
	v_lshlrev_b32_e32 v24, 11, v1
	v_and_b32_e32 v8, 0x78, v2
	v_or_b32_e32 v10, 32, v7
	v_and_b32_e32 v6, 0x1000, v24
	v_lshrrev_b32_e32 v3, 1, v47
	v_xor_b32_e32 v10, v10, v8
	v_xor_b32_e32 v2, v7, v8
	v_and_b32_e32 v9, 8, v3
	v_or_b32_e32 v10, v10, v6
	v_or_b32_e32 v2, v2, v6
	v_xor_b32_e32 v32, v10, v9
	v_or_b32_e32 v10, 64, v7
	v_xor_b32_e32 v31, v2, v9
	v_xor_b32_e32 v10, v10, v8
	s_waitcnt lgkmcnt(0)
	s_barrier
	v_or_b32_e32 v13, v10, v6
	ds_read_b64 v[10:11], v31 offset:49152
	v_lshl_or_b32 v14, v98, 8, v25
	v_lshlrev_b32_e32 v26, 1, v14
	v_add_u32_e32 v12, 0x4000, v26
	ds_read2_b64 v[2:5], v12 offset1:16
	v_or_b32_e32 v7, 0x60, v7
	v_xor_b32_e32 v7, v7, v8
	v_or_b32_e32 v6, v7, v6
	v_xor_b32_e32 v33, v13, v9
	v_xor_b32_e32 v34, v6, v9
	ds_read_b64 v[20:21], v32 offset:49152
	ds_read_b64 v[36:37], v33 offset:49152
	;; [unrolled: 1-line block ×3, first 2 shown]
	s_waitcnt lgkmcnt(3)
	v_mfma_f32_16x16x16_bf16 a[0:3], v[10:11], v[2:3], 0
	ds_read2st64_b64 v[6:9], v26 offset0:36 offset1:40
	s_lshl_b64 s[0:1], s[46:47], 8
	s_add_u32 s4, s16, s0
	v_mfma_f32_16x16x16_bf16 a[4:7], v[10:11], v[4:5], 0
	ds_read2_b64 v[2:5], v12 offset0:32 offset1:48
	s_addc_u32 s5, s17, s1
	s_add_i32 s0, s53, s43
	s_waitcnt lgkmcnt(0)
	v_mfma_f32_16x16x16_bf16 a[8:11], v[10:11], v[2:3], 0
	v_or_b32_e32 v2, 64, v14
	v_lshlrev_b32_e32 v27, 1, v2
	s_add_i32 s17, s24, -1
	v_mfma_f32_16x16x16_bf16 a[12:15], v[10:11], v[4:5], 0
	ds_read2st64_b64 v[2:5], v27 offset0:36 offset1:40
	s_add_i32 s41, s0, s52
	s_add_i32 s0, s55, s54
	v_mfma_f32_16x16x16_bf16 a[0:3], v[20:21], v[6:7], a[0:3]
	v_or_b32_e32 v6, 0x80, v14
	v_lshlrev_b32_e32 v28, 1, v6
	ds_read2st64_b64 v[10:13], v28 offset0:36 offset1:40
	s_waitcnt lgkmcnt(1)
	v_mfma_f32_16x16x16_bf16 a[4:7], v[20:21], v[2:3], a[4:7]
	v_or_b32_e32 v2, 0xc0, v14
	v_lshlrev_b32_e32 v29, 1, v2
	ds_read2st64_b64 v[14:17], v29 offset0:36 offset1:40
	s_add_i32 s39, s0, s56
	s_ashr_i32 s0, s17, 31
	s_mul_i32 s1, s17, s37
	s_mul_hi_u32 s2, s17, s36
	s_add_i32 s1, s2, s1
	s_mul_i32 s0, s0, s36
	s_waitcnt lgkmcnt(1)
	v_mfma_f32_16x16x16_bf16 a[8:11], v[20:21], v[10:11], a[8:11]
	s_add_i32 s1, s1, s0
	s_lshl_b64 s[2:3], s[40:41], 2
	s_add_u32 s6, s22, s2
	s_waitcnt lgkmcnt(0)
	v_mfma_f32_16x16x16_bf16 a[12:15], v[20:21], v[14:15], a[12:15]
	s_addc_u32 s7, s23, s3
	s_lshl_b64 s[2:3], s[38:39], 2
	s_mul_i32 s0, s17, s36
	v_mfma_f32_16x16x16_bf16 a[0:3], v[36:37], v[8:9], a[0:3]
	ds_read_b64 v[2:3], v26 offset:22528
	s_add_u32 s12, s6, s2
	s_addc_u32 s13, s7, s3
	v_mfma_f32_16x16x16_bf16 a[4:7], v[36:37], v[4:5], a[4:7]
	ds_read_b64 v[4:5], v27 offset:22528
	ds_read_b64 v[6:7], v28 offset:22528
	;; [unrolled: 1-line block ×3, first 2 shown]
	s_lshl_b64 s[0:1], s[0:1], 2
	s_add_u32 s0, s12, s0
	v_mfma_f32_16x16x16_bf16 a[8:11], v[36:37], v[12:13], a[8:11]
	s_addc_u32 s1, s13, s1
	s_load_dword s16, s[0:1], 0x0
	s_and_b64 vcc, exec, s[30:31]
	v_mfma_f32_16x16x16_bf16 a[12:15], v[36:37], v[16:17], a[12:15]
	s_waitcnt lgkmcnt(0)
	v_mfma_f32_16x16x16_bf16 a[0:3], v[38:39], v[2:3], a[0:3]
	v_mfma_f32_16x16x16_bf16 a[4:7], v[38:39], v[4:5], a[4:7]
	;; [unrolled: 1-line block ×4, first 2 shown]
	s_cbranch_vccz .LBB9_42
; %bb.32:
	v_lshlrev_b32_e32 v20, 1, v30
	s_and_b64 vcc, exec, s[18:19]
	s_cbranch_vccz .LBB9_43
; %bb.33:
	v_cmp_gt_i32_e32 vcc, s48, v20
	v_mov_b32_e32 v6, 0
	v_mov_b32_e32 v2, 0
	;; [unrolled: 1-line block ×5, first 2 shown]
	s_and_saveexec_b64 s[0:1], vcc
	s_cbranch_execz .LBB9_35
; %bb.34:
	v_mad_i64_i32 v[2:3], s[2:3], s27, v20, 0
	v_lshl_add_u64 v[2:3], v[2:3], 1, s[4:5]
	v_lshlrev_b32_e32 v4, 1, v18
	v_mov_b32_e32 v5, 0
	v_lshl_add_u64 v[2:3], v[2:3], 0, v[4:5]
	global_load_dwordx4 v[2:5], v[2:3], off
.LBB9_35:
	s_or_b64 exec, exec, s[0:1]
	v_or_b32_e32 v21, 1, v20
	v_cmp_gt_i32_e64 s[0:1], s48, v21
	v_mov_b32_e32 v7, 0
	v_mov_b32_e32 v8, 0
	;; [unrolled: 1-line block ×3, first 2 shown]
	s_and_saveexec_b64 s[2:3], s[0:1]
	s_cbranch_execz .LBB9_37
; %bb.36:
	v_mad_i64_i32 v[6:7], s[6:7], s27, v21, 0
	v_lshl_add_u64 v[6:7], v[6:7], 1, s[4:5]
	v_lshlrev_b32_e32 v8, 1, v18
	v_mov_b32_e32 v9, 0
	v_lshl_add_u64 v[6:7], v[6:7], 0, v[8:9]
	global_load_dwordx4 v[6:9], v[6:7], off
.LBB9_37:
	s_or_b64 exec, exec, s[2:3]
	v_mov_b32_e32 v17, 0
	v_mov_b32_e32 v10, 0
	v_mov_b32_e32 v11, 0
	v_mov_b32_e32 v12, 0
	v_mov_b32_e32 v13, 0
	s_and_saveexec_b64 s[2:3], vcc
	s_cbranch_execz .LBB9_39
; %bb.38:
	v_mad_i64_i32 v[10:11], s[6:7], s27, v20, 0
	v_lshl_add_u64 v[10:11], v[10:11], 1, s[4:5]
	v_lshlrev_b32_e32 v12, 1, v18
	v_mov_b32_e32 v13, 0
	v_lshl_add_u64 v[10:11], v[10:11], 0, v[12:13]
	global_load_dwordx4 v[10:13], v[10:11], off offset:128
.LBB9_39:
	s_or_b64 exec, exec, s[2:3]
	v_mov_b32_e32 v16, 0
	v_mov_b32_e32 v15, 0
	;; [unrolled: 1-line block ×3, first 2 shown]
	s_and_saveexec_b64 s[2:3], s[0:1]
	s_cbranch_execz .LBB9_41
; %bb.40:
	v_mad_i64_i32 v[14:15], s[0:1], s27, v21, 0
	v_lshl_add_u64 v[14:15], v[14:15], 1, s[4:5]
	v_lshlrev_b32_e32 v16, 1, v18
	v_mov_b32_e32 v17, 0
	v_lshl_add_u64 v[14:15], v[14:15], 0, v[16:17]
	global_load_dwordx4 v[14:17], v[14:15], off offset:128
.LBB9_41:
	s_or_b64 exec, exec, s[2:3]
	s_branch .LBB9_45
.LBB9_42:
                                        ; implicit-def: $vgpr5
                                        ; implicit-def: $vgpr9
                                        ; implicit-def: $vgpr13
                                        ; implicit-def: $vgpr17
	v_lshrrev_b32_e32 v35, 2, v47
	s_branch .LBB9_46
.LBB9_43:
                                        ; implicit-def: $vgpr5
                                        ; implicit-def: $vgpr9
                                        ; implicit-def: $vgpr13
                                        ; implicit-def: $vgpr17
	s_cbranch_execz .LBB9_45
; %bb.44:
	s_waitcnt vmcnt(0)
	v_mad_u64_u32 v[2:3], s[0:1], v20, s27, v[18:19]
	v_lshlrev_b32_e32 v20, 1, v2
	s_lshl_b32 s2, s27, 7
	s_and_b32 s1, s5, 0xffff
	s_mov_b32 s3, 0x20000
	s_mov_b32 s0, s4
	v_add_lshl_u32 v21, v2, s27, 1
	s_movk_i32 s6, 0x80
	buffer_load_dwordx4 v[2:5], v20, s[0:3], 0 offen
	buffer_load_dwordx4 v[10:13], v20, s[0:3], s6 offen
	;; [unrolled: 1-line block ×4, first 2 shown]
.LBB9_45:
	v_lshrrev_b32_e32 v35, 2, v47
	s_cbranch_execnz .LBB9_58
.LBB9_46:
	s_and_b64 vcc, exec, s[18:19]
	s_cbranch_vccz .LBB9_56
; %bb.47:
	s_waitcnt vmcnt(0)
	v_lshlrev_b32_e32 v7, 1, v30
	v_cmp_gt_i32_e32 vcc, s48, v7
	v_mov_b32_e32 v6, 0
	v_lshlrev_b32_e32 v14, 9, v30
	v_mov_b32_e32 v2, 0
	v_mov_b32_e32 v3, 0
	;; [unrolled: 1-line block ×4, first 2 shown]
	s_and_saveexec_b64 s[0:1], vcc
	s_cbranch_execz .LBB9_49
; %bb.48:
	v_mov_b32_e32 v15, 0
	v_lshl_add_u64 v[2:3], s[4:5], 0, v[14:15]
	v_lshlrev_b32_e32 v4, 1, v18
	v_mov_b32_e32 v5, v15
	v_lshl_add_u64 v[2:3], v[2:3], 0, v[4:5]
	global_load_dwordx4 v[2:5], v[2:3], off
.LBB9_49:
	s_or_b64 exec, exec, s[0:1]
	v_or_b32_e32 v7, 1, v7
	v_cmp_gt_i32_e64 s[0:1], s48, v7
	v_lshlrev_b32_e32 v20, 8, v7
	v_mov_b32_e32 v7, 0
	v_mov_b32_e32 v8, 0
	v_mov_b32_e32 v9, 0
	s_and_saveexec_b64 s[2:3], s[0:1]
	s_cbranch_execz .LBB9_51
; %bb.50:
	v_mov_b32_e32 v21, 0
	v_lshl_add_u64 v[6:7], s[4:5], 0, v[20:21]
	v_lshlrev_b32_e32 v8, 1, v18
	v_mov_b32_e32 v9, v21
	v_lshl_add_u64 v[6:7], v[6:7], 0, v[8:9]
	global_load_dwordx4 v[6:9], v[6:7], off
.LBB9_51:
	s_or_b64 exec, exec, s[2:3]
	v_mov_b32_e32 v17, 0
	v_mov_b32_e32 v10, 0
	;; [unrolled: 1-line block ×5, first 2 shown]
	s_and_saveexec_b64 s[2:3], vcc
	s_cbranch_execz .LBB9_53
; %bb.52:
	v_mov_b32_e32 v15, 0
	v_lshl_add_u64 v[10:11], s[4:5], 0, v[14:15]
	v_lshlrev_b32_e32 v14, 1, v18
	v_lshl_add_u64 v[10:11], v[10:11], 0, v[14:15]
	global_load_dwordx4 v[10:13], v[10:11], off offset:128
.LBB9_53:
	s_or_b64 exec, exec, s[2:3]
	v_mov_b32_e32 v16, 0
	v_mov_b32_e32 v15, 0
	;; [unrolled: 1-line block ×3, first 2 shown]
	s_and_saveexec_b64 s[2:3], s[0:1]
	s_cbranch_execz .LBB9_55
; %bb.54:
	v_mov_b32_e32 v21, 0
	v_lshl_add_u64 v[14:15], s[4:5], 0, v[20:21]
	v_lshlrev_b32_e32 v20, 1, v18
	v_lshl_add_u64 v[14:15], v[14:15], 0, v[20:21]
	global_load_dwordx4 v[14:17], v[14:15], off offset:128
.LBB9_55:
	s_or_b64 exec, exec, s[2:3]
	s_branch .LBB9_58
.LBB9_56:
                                        ; implicit-def: $vgpr5
                                        ; implicit-def: $vgpr9
                                        ; implicit-def: $vgpr13
                                        ; implicit-def: $vgpr17
	s_cbranch_execz .LBB9_58
; %bb.57:
	s_waitcnt vmcnt(0)
	v_lshlrev_b32_e32 v2, 1, v18
	v_lshl_or_b32 v18, v30, 9, v2
	s_and_b32 s5, s5, 0xffff
	s_mov_b32 s7, 0x20000
	s_movk_i32 s6, 0x4000
	s_movk_i32 s0, 0x80
	buffer_load_dwordx4 v[2:5], v18, s[4:7], 0 offen
	buffer_load_dwordx4 v[6:9], v18, s[4:7], 0 offen offset:256
	buffer_load_dwordx4 v[10:13], v18, s[4:7], s0 offen
	buffer_load_dwordx4 v[14:17], v18, s[4:7], s0 offen offset:256
.LBB9_58:
	ds_read_b64 v[20:21], v31 offset:57344
	v_add_u32_e32 v18, 0x6000, v26
	ds_read2_b64 v[36:39], v18 offset1:16
	ds_read_b64 v[94:95], v32 offset:57344
	ds_read_b64 v[96:97], v33 offset:57344
	;; [unrolled: 1-line block ×3, first 2 shown]
	v_and_b32_e32 v31, 6, v0
	v_xor_b32_e32 v30, v30, v31
	v_lshlrev_b32_e32 v30, 2, v30
	s_mov_b32 s0, 0x1000504
	s_mov_b32 s1, 0x3020706
	s_waitcnt lgkmcnt(3)
	v_mfma_f32_16x16x16_bf16 a[0:3], v[20:21], v[36:37], a[0:3]
	v_mfma_f32_16x16x16_bf16 a[4:7], v[20:21], v[38:39], a[4:7]
	ds_read2_b64 v[36:39], v18 offset0:32 offset1:48
	v_and_b32_e32 v18, 12, v35
	ds_read2st64_b64 v[32:35], v26 offset0:52 offset1:56
	s_waitcnt lgkmcnt(1)
	v_mfma_f32_16x16x16_bf16 a[8:11], v[20:21], v[36:37], a[8:11]
	v_mfma_f32_16x16x16_bf16 a[12:15], v[20:21], v[38:39], a[12:15]
	ds_read2st64_b64 v[36:39], v27 offset0:52 offset1:56
	ds_read2st64_b64 v[40:43], v28 offset0:52 offset1:56
	;; [unrolled: 1-line block ×3, first 2 shown]
	s_waitcnt lgkmcnt(3)
	v_mfma_f32_16x16x16_bf16 a[0:3], v[94:95], v[32:33], a[0:3]
	ds_read_b64 v[20:21], v26 offset:30720
	ds_read_b64 v[32:33], v27 offset:30720
	;; [unrolled: 1-line block ×4, first 2 shown]
	s_waitcnt lgkmcnt(6)
	v_mfma_f32_16x16x16_bf16 a[4:7], v[94:95], v[36:37], a[4:7]
	v_and_b32_e32 v36, 1, v0
	v_xor_b32_e32 v37, 0x440, v30
	v_cmp_eq_u32_e32 vcc, 0, v36
	s_waitcnt lgkmcnt(5)
	v_mfma_f32_16x16x16_bf16 a[8:11], v[94:95], v[40:41], a[8:11]
	v_cndmask_b32_e32 v30, v37, v30, vcc
	v_lshl_or_b32 v30, v31, 10, v30
	s_waitcnt lgkmcnt(4)
	v_mfma_f32_16x16x16_bf16 a[12:15], v[94:95], v[90:91], a[12:15]
	s_waitcnt vmcnt(0)
	v_perm_b32 v31, v2, v6, s0
	v_perm_b32 v2, v2, v6, s1
	;; [unrolled: 1-line block ×3, first 2 shown]
	v_mfma_f32_16x16x16_bf16 a[0:3], v[96:97], v[34:35], a[0:3]
	v_perm_b32 v34, v10, v14, s0
	ds_write2st64_b32 v30, v31, v34 offset0:128 offset1:160
	v_xor_b32_e32 v31, 8, v30
	v_add_u32_e32 v10, 0x80, v31
	ds_write2st64_b32 v10, v2, v6 offset0:128 offset1:160
	v_xor_b32_e32 v2, 16, v30
	v_perm_b32 v6, v3, v7, s0
	v_perm_b32 v10, v11, v15, s0
	v_mfma_f32_16x16x16_bf16 a[4:7], v[96:97], v[38:39], a[4:7]
	ds_write2st64_b32 v2, v6, v10 offset0:129 offset1:161
	v_xor_b32_e32 v2, 24, v30
	v_perm_b32 v3, v3, v7, s1
	v_mfma_f32_16x16x16_bf16 a[16:19], v[96:97], v[42:43], a[8:11]
	v_perm_b32 v6, v11, v15, s1
	v_add_u32_e32 v2, 0x80, v2
	ds_write2st64_b32 v2, v3, v6 offset0:129 offset1:161
	v_mfma_f32_16x16x16_bf16 a[20:23], v[96:97], v[92:93], a[12:15]
	v_xor_b32_e32 v2, 32, v30
	v_perm_b32 v3, v4, v8, s0
	v_perm_b32 v6, v12, v16, s0
	ds_write2st64_b32 v2, v3, v6 offset0:130 offset1:162
	v_xor_b32_e32 v2, 40, v30
	s_waitcnt lgkmcnt(8)
	v_mfma_f32_16x16x16_bf16 a[12:15], v[98:99], v[20:21], a[0:3]
	v_perm_b32 v3, v4, v8, s1
	v_perm_b32 v4, v12, v16, s1
	v_add_u32_e32 v2, 0x80, v2
	s_waitcnt lgkmcnt(7)
	v_mfma_f32_16x16x16_bf16 a[8:11], v[98:99], v[32:33], a[4:7]
	ds_write2st64_b32 v2, v3, v4 offset0:130 offset1:162
	v_xor_b32_e32 v2, 48, v30
	v_perm_b32 v3, v5, v9, s0
	s_waitcnt lgkmcnt(7)
	v_mfma_f32_16x16x16_bf16 a[4:7], v[98:99], v[100:101], a[16:19]
	v_perm_b32 v4, v13, v17, s0
	ds_write2st64_b32 v2, v3, v4 offset0:131 offset1:163
	v_xor_b32_e32 v2, 56, v30
	s_waitcnt lgkmcnt(7)
	v_mfma_f32_16x16x16_bf16 a[0:3], v[98:99], v[102:103], a[20:23]
	v_or_b32_e32 v20, v18, v45
	v_perm_b32 v3, v5, v9, s1
	v_perm_b32 v4, v13, v17, s1
	v_add_u32_e32 v2, 0x80, v2
	v_cmp_gt_i32_e64 s[0:1], s48, v20
	v_mov_b32_e32 v30, 0
	v_mov_b32_e32 v31, 0
	ds_write2st64_b32 v2, v3, v4 offset0:131 offset1:163
	s_and_saveexec_b64 s[2:3], s[0:1]
	s_cbranch_execz .LBB9_60
; %bb.59:
	v_add_u32_e32 v2, s45, v20
	v_ashrrev_i32_e32 v3, 31, v2
	v_mul_lo_u32 v4, v3, s36
	v_mul_lo_u32 v5, v2, s37
	v_mad_u64_u32 v[2:3], s[4:5], v2, s36, 0
	v_add3_u32 v3, v3, v5, v4
	v_lshl_add_u64 v[2:3], v[2:3], 2, s[12:13]
	global_load_dword v2, v[2:3], off
	s_waitcnt vmcnt(0)
	v_sub_f32_e32 v2, s16, v2
	v_exp_f32_e32 v31, v2
.LBB9_60:
	s_or_b64 exec, exec, s[2:3]
	v_or_b32_e32 v14, 1, v20
	v_cmp_gt_i32_e64 s[4:5], s48, v14
	s_and_saveexec_b64 s[2:3], s[4:5]
	s_cbranch_execz .LBB9_62
; %bb.61:
	v_add_u32_e32 v2, s45, v14
	v_ashrrev_i32_e32 v3, 31, v2
	v_mul_lo_u32 v4, v3, s36
	v_mul_lo_u32 v5, v2, s37
	v_mad_u64_u32 v[2:3], s[6:7], v2, s36, 0
	v_add3_u32 v3, v3, v5, v4
	v_lshl_add_u64 v[2:3], v[2:3], 2, s[12:13]
	global_load_dword v2, v[2:3], off
	s_waitcnt vmcnt(0)
	v_sub_f32_e32 v2, s16, v2
	v_exp_f32_e32 v30, v2
.LBB9_62:
	s_or_b64 exec, exec, s[2:3]
	v_or_b32_e32 v10, 2, v20
	v_cmp_gt_i32_e64 s[2:3], s48, v10
	v_mov_b32_e32 v21, 0
	v_mov_b32_e32 v32, 0
	s_and_saveexec_b64 s[6:7], s[2:3]
	s_cbranch_execz .LBB9_64
; %bb.63:
	v_add_u32_e32 v2, s45, v10
	v_ashrrev_i32_e32 v3, 31, v2
	v_mul_lo_u32 v4, v3, s36
	v_mul_lo_u32 v5, v2, s37
	v_mad_u64_u32 v[2:3], s[18:19], v2, s36, 0
	v_add3_u32 v3, v3, v5, v4
	v_lshl_add_u64 v[2:3], v[2:3], 2, s[12:13]
	global_load_dword v2, v[2:3], off
	s_waitcnt vmcnt(0)
	v_sub_f32_e32 v2, s16, v2
	v_exp_f32_e32 v32, v2
.LBB9_64:
	s_or_b64 exec, exec, s[6:7]
	v_or_b32_e32 v11, 3, v20
	v_cmp_gt_i32_e32 vcc, s48, v11
	s_and_saveexec_b64 s[6:7], vcc
	s_cbranch_execz .LBB9_66
; %bb.65:
	v_add_u32_e32 v2, s45, v11
	v_ashrrev_i32_e32 v3, 31, v2
	v_mul_lo_u32 v4, v3, s36
	v_mul_lo_u32 v5, v2, s37
	v_mad_u64_u32 v[2:3], s[18:19], v2, s36, 0
	v_add3_u32 v3, v3, v5, v4
	v_lshl_add_u64 v[2:3], v[2:3], 2, s[12:13]
	global_load_dword v2, v[2:3], off
	s_waitcnt vmcnt(0)
	v_sub_f32_e32 v2, s16, v2
	v_exp_f32_e32 v21, v2
.LBB9_66:
	s_or_b64 exec, exec, s[6:7]
	s_add_u32 s6, s20, s28
	s_addc_u32 s7, s21, s29
	s_add_u32 s12, s14, s28
	v_ashrrev_i32_e32 v89, 31, v88
	v_accvgpr_read_b32 v2, a12
	s_addc_u32 s13, s15, s29
	v_lshlrev_b64 v[6:7], 1, v[88:89]
	v_accvgpr_read_b32 v3, a13
	v_accvgpr_read_b32 v4, a14
	;; [unrolled: 1-line block ×3, first 2 shown]
	v_lshl_add_u64 v[8:9], s[6:7], 0, v[6:7]
	v_lshl_add_u64 v[6:7], s[12:13], 0, v[6:7]
	v_mov_b32_e32 v15, 0
	v_lshlrev_b32_e32 v12, 8, v20
	v_mov_b32_e32 v13, 0
	s_and_saveexec_b64 s[6:7], s[0:1]
	s_cbranch_execz .LBB9_68
; %bb.67:
	v_mov_b32_e32 v13, 0
	v_lshl_add_u64 v[16:17], v[8:9], 0, v[12:13]
	global_load_ushort v33, v[16:17], off
	v_lshl_add_u64 v[16:17], v[6:7], 0, v[12:13]
	s_waitcnt vmcnt(0)
	v_lshlrev_b32_e32 v13, 16, v33
	v_sub_f32_e32 v2, v13, v2
	global_store_short_d16_hi v[16:17], v2, off
	v_mul_f32_e32 v2, v31, v2
	v_lshrrev_b32_e32 v13, 16, v2
.LBB9_68:
	s_or_b64 exec, exec, s[6:7]
	v_lshlrev_b32_e32 v14, 8, v14
	s_and_saveexec_b64 s[6:7], s[4:5]
	s_cbranch_execz .LBB9_70
; %bb.69:
	v_mov_b32_e32 v15, 0
	v_lshl_add_u64 v[16:17], v[8:9], 0, v[14:15]
	global_load_ushort v2, v[16:17], off
	v_lshl_add_u64 v[16:17], v[6:7], 0, v[14:15]
	s_waitcnt vmcnt(0)
	v_lshlrev_b32_e32 v2, 16, v2
	v_sub_f32_e32 v2, v2, v3
	global_store_short_d16_hi v[16:17], v2, off
	v_mul_f32_e32 v2, v30, v2
	v_lshrrev_b32_e32 v15, 16, v2
.LBB9_70:
	s_or_b64 exec, exec, s[6:7]
	v_mov_b32_e32 v34, 0
	v_lshlrev_b32_e32 v16, 8, v10
	v_mov_b32_e32 v17, 0
	s_and_saveexec_b64 s[6:7], s[2:3]
	s_cbranch_execz .LBB9_72
; %bb.71:
	v_mov_b32_e32 v17, 0
	v_lshl_add_u64 v[2:3], v[8:9], 0, v[16:17]
	global_load_ushort v10, v[2:3], off
	v_lshl_add_u64 v[2:3], v[6:7], 0, v[16:17]
	s_waitcnt vmcnt(0)
	v_lshlrev_b32_e32 v10, 16, v10
	v_sub_f32_e32 v4, v10, v4
	global_store_short_d16_hi v[2:3], v4, off
	v_mul_f32_e32 v2, v32, v4
	v_lshrrev_b32_e32 v17, 16, v2
.LBB9_72:
	s_or_b64 exec, exec, s[6:7]
	v_lshlrev_b32_e32 v10, 8, v11
	s_and_saveexec_b64 s[6:7], vcc
	s_cbranch_execz .LBB9_74
; %bb.73:
	v_mov_b32_e32 v11, 0
	v_lshl_add_u64 v[2:3], v[8:9], 0, v[10:11]
	global_load_ushort v4, v[2:3], off
	v_lshl_add_u64 v[2:3], v[6:7], 0, v[10:11]
	s_waitcnt vmcnt(0)
	v_lshlrev_b32_e32 v4, 16, v4
	v_sub_f32_e32 v4, v4, v5
	global_store_short_d16_hi v[2:3], v4, off
	v_mul_f32_e32 v2, v21, v4
	v_lshrrev_b32_e32 v34, 16, v2
.LBB9_74:
	s_or_b64 exec, exec, s[6:7]
	v_lshlrev_b32_e32 v33, 6, v20
	v_accvgpr_read_b32 v2, a8
	s_mov_b32 s6, 0x5040100
	v_or_b32_e32 v11, v33, v25
	v_accvgpr_read_b32 v3, a9
	v_accvgpr_read_b32 v4, a10
	;; [unrolled: 1-line block ×3, first 2 shown]
	v_perm_b32 v35, v34, v17, s6
	v_perm_b32 v34, v15, v13, s6
	v_lshlrev_b32_e32 v11, 1, v11
	v_mov_b32_e32 v15, 0
	v_mov_b32_e32 v13, 0
	ds_write_b64 v11, v[34:35] offset:24576
	s_and_saveexec_b64 s[6:7], s[0:1]
	s_cbranch_execz .LBB9_76
; %bb.75:
	v_mov_b32_e32 v13, 0
	v_lshl_add_u64 v[34:35], v[8:9], 0, v[12:13]
	global_load_ushort v11, v[34:35], off offset:32
	v_lshl_add_u64 v[34:35], v[6:7], 0, v[12:13]
	s_waitcnt vmcnt(0)
	v_lshlrev_b32_e32 v11, 16, v11
	v_sub_f32_e32 v2, v11, v2
	global_store_short_d16_hi v[34:35], v2, off offset:32
	v_mul_f32_e32 v2, v31, v2
	v_lshrrev_b32_e32 v13, 16, v2
.LBB9_76:
	s_or_b64 exec, exec, s[6:7]
	s_and_saveexec_b64 s[6:7], s[4:5]
	s_cbranch_execz .LBB9_78
; %bb.77:
	v_mov_b32_e32 v15, 0
	v_lshl_add_u64 v[34:35], v[8:9], 0, v[14:15]
	global_load_ushort v2, v[34:35], off offset:32
	v_lshl_add_u64 v[34:35], v[6:7], 0, v[14:15]
	s_waitcnt vmcnt(0)
	v_lshlrev_b32_e32 v2, 16, v2
	v_sub_f32_e32 v2, v2, v3
	global_store_short_d16_hi v[34:35], v2, off offset:32
	v_mul_f32_e32 v2, v30, v2
	v_lshrrev_b32_e32 v15, 16, v2
.LBB9_78:
	s_or_b64 exec, exec, s[6:7]
	v_mov_b32_e32 v11, 0
	v_mov_b32_e32 v17, 0
	s_and_saveexec_b64 s[6:7], s[2:3]
	s_cbranch_execz .LBB9_80
; %bb.79:
	v_mov_b32_e32 v17, 0
	v_lshl_add_u64 v[2:3], v[8:9], 0, v[16:17]
	global_load_ushort v25, v[2:3], off offset:32
	v_lshl_add_u64 v[2:3], v[6:7], 0, v[16:17]
	s_waitcnt vmcnt(0)
	v_lshlrev_b32_e32 v17, 16, v25
	v_sub_f32_e32 v4, v17, v4
	global_store_short_d16_hi v[2:3], v4, off offset:32
	v_mul_f32_e32 v2, v32, v4
	v_lshrrev_b32_e32 v17, 16, v2
.LBB9_80:
	s_or_b64 exec, exec, s[6:7]
	s_and_saveexec_b64 s[6:7], vcc
	s_cbranch_execz .LBB9_82
; %bb.81:
	v_mov_b32_e32 v11, 0
	v_lshl_add_u64 v[2:3], v[8:9], 0, v[10:11]
	global_load_ushort v4, v[2:3], off offset:32
	v_lshl_add_u64 v[2:3], v[6:7], 0, v[10:11]
	s_waitcnt vmcnt(0)
	v_lshlrev_b32_e32 v4, 16, v4
	v_sub_f32_e32 v4, v4, v5
	global_store_short_d16_hi v[2:3], v4, off offset:32
	v_mul_f32_e32 v2, v21, v4
	v_lshrrev_b32_e32 v11, 16, v2
.LBB9_82:
	s_or_b64 exec, exec, s[6:7]
	s_mov_b32 s6, 0x5040100
	v_accvgpr_read_b32 v2, a4
	v_perm_b32 v35, v11, v17, s6
	v_or_b32_e32 v11, v33, v23
	v_accvgpr_read_b32 v3, a5
	v_accvgpr_read_b32 v4, a6
	;; [unrolled: 1-line block ×3, first 2 shown]
	v_perm_b32 v34, v15, v13, s6
	v_lshlrev_b32_e32 v11, 1, v11
	v_mov_b32_e32 v15, 0
	v_mov_b32_e32 v13, 0
	ds_write_b64 v11, v[34:35] offset:24576
	s_and_saveexec_b64 s[6:7], s[0:1]
	s_cbranch_execz .LBB9_84
; %bb.83:
	v_mov_b32_e32 v13, 0
	v_lshl_add_u64 v[34:35], v[8:9], 0, v[12:13]
	global_load_ushort v11, v[34:35], off offset:64
	v_lshl_add_u64 v[34:35], v[6:7], 0, v[12:13]
	s_waitcnt vmcnt(0)
	v_lshlrev_b32_e32 v11, 16, v11
	v_sub_f32_e32 v2, v11, v2
	global_store_short_d16_hi v[34:35], v2, off offset:64
	v_mul_f32_e32 v2, v31, v2
	v_lshrrev_b32_e32 v13, 16, v2
.LBB9_84:
	s_or_b64 exec, exec, s[6:7]
	s_and_saveexec_b64 s[6:7], s[4:5]
	s_cbranch_execz .LBB9_86
; %bb.85:
	v_mov_b32_e32 v15, 0
	v_lshl_add_u64 v[34:35], v[8:9], 0, v[14:15]
	global_load_ushort v2, v[34:35], off offset:64
	v_lshl_add_u64 v[34:35], v[6:7], 0, v[14:15]
	s_waitcnt vmcnt(0)
	v_lshlrev_b32_e32 v2, 16, v2
	v_sub_f32_e32 v2, v2, v3
	global_store_short_d16_hi v[34:35], v2, off offset:64
	v_mul_f32_e32 v2, v30, v2
	v_lshrrev_b32_e32 v15, 16, v2
.LBB9_86:
	s_or_b64 exec, exec, s[6:7]
	v_mov_b32_e32 v11, 0
	v_mov_b32_e32 v17, 0
	s_and_saveexec_b64 s[6:7], s[2:3]
	s_cbranch_execz .LBB9_88
; %bb.87:
	v_mov_b32_e32 v17, 0
	v_lshl_add_u64 v[2:3], v[8:9], 0, v[16:17]
	global_load_ushort v23, v[2:3], off offset:64
	v_lshl_add_u64 v[2:3], v[6:7], 0, v[16:17]
	s_waitcnt vmcnt(0)
	v_lshlrev_b32_e32 v17, 16, v23
	v_sub_f32_e32 v4, v17, v4
	global_store_short_d16_hi v[2:3], v4, off offset:64
	v_mul_f32_e32 v2, v32, v4
	v_lshrrev_b32_e32 v17, 16, v2
.LBB9_88:
	s_or_b64 exec, exec, s[6:7]
	s_and_saveexec_b64 s[6:7], vcc
	s_cbranch_execz .LBB9_90
; %bb.89:
	v_mov_b32_e32 v11, 0
	v_lshl_add_u64 v[2:3], v[8:9], 0, v[10:11]
	global_load_ushort v4, v[2:3], off offset:64
	v_lshl_add_u64 v[2:3], v[6:7], 0, v[10:11]
	s_waitcnt vmcnt(0)
	v_lshlrev_b32_e32 v4, 16, v4
	v_sub_f32_e32 v4, v4, v5
	global_store_short_d16_hi v[2:3], v4, off offset:64
	v_mul_f32_e32 v2, v21, v4
	v_lshrrev_b32_e32 v11, 16, v2
.LBB9_90:
	s_or_b64 exec, exec, s[6:7]
	s_mov_b32 s6, 0x5040100
	v_accvgpr_read_b32 v5, a3
	v_perm_b32 v35, v11, v17, s6
	v_or_b32_e32 v11, v33, v22
	v_accvgpr_read_b32 v4, a2
	v_accvgpr_read_b32 v3, a1
	;; [unrolled: 1-line block ×3, first 2 shown]
	v_perm_b32 v34, v15, v13, s6
	v_lshlrev_b32_e32 v11, 1, v11
	v_mov_b32_e32 v15, 0
	v_mov_b32_e32 v13, 0
	ds_write_b64 v11, v[34:35] offset:24576
	s_and_saveexec_b64 s[6:7], s[0:1]
	s_cbranch_execz .LBB9_92
; %bb.91:
	v_mov_b32_e32 v13, 0
	v_lshl_add_u64 v[22:23], v[8:9], 0, v[12:13]
	global_load_ushort v11, v[22:23], off offset:96
	v_lshl_add_u64 v[12:13], v[6:7], 0, v[12:13]
	s_waitcnt vmcnt(0)
	v_lshlrev_b32_e32 v11, 16, v11
	v_sub_f32_e32 v2, v11, v2
	global_store_short_d16_hi v[12:13], v2, off offset:96
	v_mul_f32_e32 v2, v31, v2
	v_lshrrev_b32_e32 v13, 16, v2
.LBB9_92:
	s_or_b64 exec, exec, s[6:7]
	s_and_saveexec_b64 s[0:1], s[4:5]
	s_cbranch_execz .LBB9_94
; %bb.93:
	v_mov_b32_e32 v15, 0
	v_lshl_add_u64 v[22:23], v[8:9], 0, v[14:15]
	global_load_ushort v2, v[22:23], off offset:96
	v_lshl_add_u64 v[14:15], v[6:7], 0, v[14:15]
	s_waitcnt vmcnt(0)
	v_lshlrev_b32_e32 v2, 16, v2
	v_sub_f32_e32 v2, v2, v3
	global_store_short_d16_hi v[14:15], v2, off offset:96
	v_mul_f32_e32 v2, v30, v2
	v_lshrrev_b32_e32 v15, 16, v2
.LBB9_94:
	s_or_b64 exec, exec, s[0:1]
	v_mov_b32_e32 v11, 0
	v_mov_b32_e32 v14, 0
	s_and_saveexec_b64 s[0:1], s[2:3]
	s_cbranch_execz .LBB9_96
; %bb.95:
	v_mov_b32_e32 v17, 0
	v_lshl_add_u64 v[2:3], v[8:9], 0, v[16:17]
	global_load_ushort v12, v[2:3], off offset:96
	v_lshl_add_u64 v[2:3], v[6:7], 0, v[16:17]
	s_waitcnt vmcnt(0)
	v_lshlrev_b32_e32 v12, 16, v12
	v_sub_f32_e32 v4, v12, v4
	global_store_short_d16_hi v[2:3], v4, off offset:96
	v_mul_f32_e32 v2, v32, v4
	v_lshrrev_b32_e32 v14, 16, v2
.LBB9_96:
	s_or_b64 exec, exec, s[0:1]
	v_or_b32_e32 v12, 0x6000, v26
	v_or_b32_e32 v2, 0x6000, v27
	v_or_b32_e32 v3, 0x6000, v28
	v_or_b32_e32 v4, 0x6000, v29
	s_and_saveexec_b64 s[0:1], vcc
	s_cbranch_execz .LBB9_98
; %bb.97:
	v_mov_b32_e32 v11, 0
	v_lshl_add_u64 v[8:9], v[8:9], 0, v[10:11]
	global_load_ushort v8, v[8:9], off offset:96
	v_lshl_add_u64 v[6:7], v[6:7], 0, v[10:11]
	s_waitcnt vmcnt(0)
	v_lshlrev_b32_e32 v8, 16, v8
	v_sub_f32_e32 v5, v8, v5
	global_store_short_d16_hi v[6:7], v5, off offset:96
	v_mul_f32_e32 v5, v21, v5
	v_lshrrev_b32_e32 v11, 16, v5
.LBB9_98:
	s_or_b64 exec, exec, s[0:1]
	s_mov_b32 s0, 0x5040100
	v_or_b32_e32 v5, v33, v19
	v_perm_b32 v7, v11, v14, s0
	v_perm_b32 v6, v15, v13, s0
	v_lshlrev_b32_e32 v5, 1, v5
	ds_write_b64 v5, v[6:7] offset:24576
	v_and_b32_e32 v5, 7, v0
	v_and_b32_e32 v10, 8, v0
	v_lshlrev_b32_e32 v13, 3, v5
	v_lshlrev_b32_e32 v19, 7, v5
	v_lshrrev_b32_e32 v5, 1, v0
	v_and_b32_e32 v5, 24, v5
	v_mov_b32_e32 v11, 0x400
	v_cmp_eq_u32_e32 vcc, 0, v10
	s_movk_i32 s2, 0x100
	v_lshlrev_b32_e32 v25, 3, v1
	v_cndmask_b32_e64 v21, v11, 64, vcc
	v_mov_b32_e32 v10, 0xa000
	v_mov_b32_e32 v11, 0x8000
	v_cmp_gt_u32_e64 s[0:1], s2, v0
	v_xor_b32_e32 v42, v25, v5
	v_or_b32_e32 v14, 32, v5
	v_cndmask_b32_e64 v0, v10, v11, s[0:1]
	v_or_b32_e32 v10, 0x440, v42
	v_cndmask_b32_e32 v10, v10, v42, vcc
	v_or_b32_e32 v10, v10, v24
	v_xor_b32_e32 v47, v10, v13
	v_xor_b32_e32 v14, v25, v14
	v_add3_u32 v10, v0, v47, v19
	v_or_b32_e32 v15, 0x440, v14
	s_waitcnt lgkmcnt(0)
	s_barrier
	ds_read_b64 v[10:11], v10
	v_cndmask_b32_e32 v14, v15, v14, vcc
	v_or_b32_e32 v14, v14, v24
	v_xor_b32_e32 v90, v14, v13
	v_add3_u32 v14, v0, v90, v19
	ds_read_b64 v[22:23], v14
	ds_read2_b64 v[6:9], v12 offset1:16
	ds_read2_b64 v[14:17], v12 offset0:32 offset1:48
	v_or_b32_e32 v5, 0x60, v5
	v_xor_b32_e32 v5, v25, v5
	s_add_i32 s0, s17, s51
	s_waitcnt lgkmcnt(1)
	v_mfma_f32_16x16x16_bf16 a[0:3], v[10:11], v[6:7], 0
	ds_read2st64_b64 v[26:29], v12 offset0:4 offset1:8
	ds_read2st64_b64 v[30:33], v2 offset0:4 offset1:8
	;; [unrolled: 1-line block ×4, first 2 shown]
	v_mfma_f32_16x16x16_bf16 a[4:7], v[10:11], v[8:9], 0
	s_mul_hi_i32 s1, s0, s25
	s_mul_i32 s0, s0, s25
	s_add_u32 s0, s0, s33
	s_waitcnt lgkmcnt(4)
	v_mfma_f32_16x16x16_bf16 a[8:11], v[10:11], v[14:15], 0
	s_addc_u32 s1, s1, s50
	s_lshl_b64 s[0:1], s[0:1], 9
	s_add_u32 s0, s8, s0
	v_mfma_f32_16x16x16_bf16 a[12:15], v[10:11], v[16:17], 0
	v_or3_b32 v10, v24, v21, v42
	v_xor_b32_e32 v21, 0x440, v5
	v_cndmask_b32_e32 v5, v21, v5, vcc
	v_xor_b32_e32 v10, v10, v13
	v_or_b32_e32 v5, v5, v24
	v_or_b32_e32 v91, v10, v19
	v_xor_b32_e32 v13, v5, v13
	v_or_b32_e32 v10, v0, v91
	v_add3_u32 v0, v0, v13, v19
	s_waitcnt lgkmcnt(3)
	v_mfma_f32_16x16x16_bf16 a[0:3], v[22:23], v[26:27], a[0:3]
	ds_read_b64 v[10:11], v10
	s_addc_u32 s1, s9, s1
	ds_read_b64 v[24:25], v12 offset:6144
	s_waitcnt lgkmcnt(4)
	v_mfma_f32_16x16x16_bf16 a[4:7], v[22:23], v[30:31], a[4:7]
	s_waitcnt lgkmcnt(3)
	v_mfma_f32_16x16x16_bf16 a[8:11], v[22:23], v[34:35], a[8:11]
	;; [unrolled: 2-line block ×3, first 2 shown]
	ds_read_b64 v[22:23], v0
	v_lshlrev_b32_e32 v0, 2, v20
	ds_read_b64 v[42:43], v2 offset:6144
	ds_read_b64 v[44:45], v3 offset:6144
	;; [unrolled: 1-line block ×3, first 2 shown]
	global_load_dwordx4 v[2:5], v0, s[0:1]
	v_add_u32_e32 v0, v47, v19
	ds_read_b64 v[20:21], v0 offset:40960
	v_lshlrev_b32_e32 v0, 6, v1
	v_lshlrev_b32_e32 v1, 2, v18
	s_waitcnt lgkmcnt(6)
	v_mfma_f32_16x16x16_bf16 a[0:3], v[10:11], v[28:29], a[0:3]
	s_waitcnt vmcnt(0)
	v_exp_f32_e32 v2, v2
	v_mfma_f32_16x16x16_bf16 a[4:7], v[10:11], v[32:33], a[4:7]
	v_exp_f32_e32 v3, v3
	v_exp_f32_e32 v4, v4
	;; [unrolled: 1-line block ×3, first 2 shown]
	v_mfma_f32_16x16x16_bf16 a[8:11], v[10:11], v[36:37], a[8:11]
	v_mfma_f32_16x16x16_bf16 a[12:15], v[10:11], v[40:41], a[12:15]
	v_or3_b32 v10, v0, v1, s2
	v_add_u32_e32 v0, v90, v19
	v_add_u32_e32 v11, v13, v19
	ds_read_b64 v[0:1], v0 offset:40960
	ds_read_b64 v[18:19], v11 offset:40960
	global_load_dwordx4 v[10:13], v10, s[0:1]
	s_waitcnt lgkmcnt(6)
	v_mfma_f32_16x16x16_bf16 a[0:3], v[22:23], v[24:25], a[0:3]
	s_waitcnt lgkmcnt(2)
	v_mfma_f32_16x16x16_bf16 a[16:19], v[20:21], v[6:7], 0
	v_exp_f32_e32 v6, s16
	s_nop 0
	v_pk_mul_f32 v[2:3], v[6:7], v[2:3] op_sel_hi:[0,1]
	v_mfma_f32_16x16x16_bf16 a[20:23], v[20:21], v[8:9], 0
	s_nop 0
	v_accvgpr_read_b32 v9, a3
	v_accvgpr_read_b32 v8, a2
	v_pk_mul_f32 v[4:5], v[6:7], v[4:5] op_sel_hi:[0,1]
	v_mfma_f32_16x16x16_bf16 a[24:27], v[20:21], v[14:15], 0
	v_pk_fma_f32 v[86:87], v[86:87], v[4:5], v[8:9]
	s_waitcnt vmcnt(0)
	v_exp_f32_e32 v8, v10
	v_mfma_f32_16x16x16_bf16 a[28:31], v[20:21], v[16:17], 0
	ds_read_b64 v[20:21], v91 offset:40960
	v_mfma_f32_16x16x16_bf16 a[4:7], v[22:23], v[42:43], a[4:7]
	v_mfma_f32_16x16x16_bf16 a[8:11], v[22:23], v[44:45], a[8:11]
	s_waitcnt lgkmcnt(2)
	v_mfma_f32_16x16x16_bf16 a[16:19], v[0:1], v[26:27], a[16:19]
	v_accvgpr_read_b32 v27, a1
	v_accvgpr_read_b32 v26, a0
	s_nop 1
	v_accvgpr_read_b32 v15, a7
	v_mfma_f32_16x16x16_bf16 a[12:15], v[22:23], v[88:89], a[12:15]
	v_accvgpr_read_b32 v14, a6
	v_accvgpr_read_b32 v17, a11
	;; [unrolled: 1-line block ×3, first 2 shown]
	v_mfma_f32_16x16x16_bf16 a[20:23], v[0:1], v[30:31], a[20:23]
	v_pk_fma_f32 v[82:83], v[82:83], v[2:3], v[26:27]
	v_pk_fma_f32 v[78:79], v[4:5], v[78:79], v[14:15]
	;; [unrolled: 1-line block ×3, first 2 shown]
	v_mfma_f32_16x16x16_bf16 a[24:27], v[0:1], v[34:35], a[24:27]
	v_accvgpr_read_b32 v23, a15
	v_accvgpr_read_b32 v22, a14
	v_pk_fma_f32 v[62:63], v[4:5], v[62:63], v[22:23]
	v_mfma_f32_16x16x16_bf16 a[0:3], v[0:1], v[38:39], a[28:31]
	v_accvgpr_read_b32 v0, a4
	v_accvgpr_read_b32 v1, a5
	v_pk_fma_f32 v[74:75], v[2:3], v[74:75], v[0:1]
	v_accvgpr_read_b32 v0, a8
	v_accvgpr_read_b32 v1, a9
	s_waitcnt lgkmcnt(0)
	v_mfma_f32_16x16x16_bf16 a[4:7], v[20:21], v[28:29], a[16:19]
	v_pk_fma_f32 v[66:67], v[2:3], v[66:67], v[0:1]
	v_accvgpr_read_b32 v0, a12
	v_accvgpr_read_b32 v1, a13
	v_mfma_f32_16x16x16_bf16 a[8:11], v[20:21], v[32:33], a[20:23]
	v_pk_fma_f32 v[58:59], v[2:3], v[58:59], v[0:1]
	v_mov_b32_e32 v0, v11
	v_mov_b32_e32 v1, v12
	v_mfma_f32_16x16x16_bf16 a[12:15], v[20:21], v[36:37], a[24:27]
	v_mov_b32_e32 v2, v13
	v_exp_f32_e32 v9, v0
	v_exp_f32_e32 v0, v1
	;; [unrolled: 1-line block ×3, first 2 shown]
	v_mfma_f32_16x16x16_bf16 a[4:7], v[18:19], v[24:25], a[4:7]
	v_pk_mul_f32 v[2:3], v[6:7], v[8:9] op_sel_hi:[0,1]
	v_pk_mul_f32 v[0:1], v[6:7], v[0:1] op_sel_hi:[0,1]
	v_mfma_f32_16x16x16_bf16 a[0:3], v[20:21], v[40:41], a[0:3]
	v_mfma_f32_16x16x16_bf16 a[8:11], v[18:19], v[42:43], a[8:11]
	s_nop 2
	v_accvgpr_read_b32 v5, a7
	v_accvgpr_read_b32 v4, a6
	v_pk_fma_f32 v[84:85], v[84:85], v[0:1], v[4:5]
	v_mfma_f32_16x16x16_bf16 a[12:15], v[18:19], v[44:45], a[12:15]
	v_accvgpr_read_b32 v13, a5
	v_accvgpr_read_b32 v12, a4
	v_pk_fma_f32 v[80:81], v[80:81], v[2:3], v[12:13]
	v_mfma_f32_16x16x16_bf16 a[0:3], v[18:19], v[88:89], a[0:3]
	v_accvgpr_read_b32 v4, a8
	v_accvgpr_read_b32 v5, a9
	v_pk_fma_f32 v[72:73], v[2:3], v[72:73], v[4:5]
	v_accvgpr_read_b32 v4, a12
	v_accvgpr_read_b32 v5, a13
	v_pk_fma_f32 v[64:65], v[2:3], v[64:65], v[4:5]
	v_accvgpr_read_b32 v7, a11
	v_accvgpr_read_b32 v5, a1
	;; [unrolled: 1-line block ×8, first 2 shown]
	v_pk_fma_f32 v[76:77], v[0:1], v[76:77], v[6:7]
	v_pk_fma_f32 v[68:69], v[0:1], v[68:69], v[8:9]
	;; [unrolled: 1-line block ×4, first 2 shown]
.LBB9_99:
	s_add_u32 s0, s10, s34
	s_addc_u32 s1, s11, s35
	v_lshl_add_u64 v[0:1], v[48:49], 1, s[0:1]
	v_mov_b32_e32 v47, 0
	s_mov_b32 s2, 0x7060302
	v_lshl_add_u64 v[0:1], v[0:1], 0, v[46:47]
	v_perm_b32 v3, v87, v86, s2
	v_perm_b32 v2, v83, v82, s2
	global_store_dwordx2 v[0:1], v[2:3], off
	v_perm_b32 v3, v85, v84, s2
	v_perm_b32 v2, v81, v80, s2
	global_store_dwordx2 v[0:1], v[2:3], off offset:128
	v_lshl_add_u64 v[0:1], v[50:51], 1, s[0:1]
	v_lshl_add_u64 v[0:1], v[0:1], 0, v[46:47]
	v_perm_b32 v3, v79, v78, s2
	v_perm_b32 v2, v75, v74, s2
	global_store_dwordx2 v[0:1], v[2:3], off
	v_perm_b32 v3, v77, v76, s2
	v_perm_b32 v2, v73, v72, s2
	global_store_dwordx2 v[0:1], v[2:3], off offset:128
	v_lshl_add_u64 v[0:1], v[52:53], 1, s[0:1]
	;; [unrolled: 8-line block ×3, first 2 shown]
	v_lshl_add_u64 v[0:1], v[0:1], 0, v[46:47]
	v_perm_b32 v3, v63, v62, s2
	v_perm_b32 v2, v59, v58, s2
	global_store_dwordx2 v[0:1], v[2:3], off
	v_perm_b32 v3, v61, v60, s2
	v_perm_b32 v2, v57, v56, s2
	global_store_dwordx2 v[0:1], v[2:3], off offset:128
	s_endpgm
	.section	.rodata,"a",@progbits
	.p2align	6, 0x0
	.amdhsa_kernel _ZN12_GLOBAL__N_139chunk_gated_delta_rule_fwd_h_hip_kernelILi64ELb1ELb1ELb1ELb0ELb1ELb1ELb1ELb1EEEvPK12hip_bfloat16S3_S3_PKfS5_PKvPS1_S8_PvPKiSB_iiiiilll
		.amdhsa_group_segment_fixed_size 65536
		.amdhsa_private_segment_fixed_size 0
		.amdhsa_kernarg_size 136
		.amdhsa_user_sgpr_count 2
		.amdhsa_user_sgpr_dispatch_ptr 0
		.amdhsa_user_sgpr_queue_ptr 0
		.amdhsa_user_sgpr_kernarg_segment_ptr 1
		.amdhsa_user_sgpr_dispatch_id 0
		.amdhsa_user_sgpr_kernarg_preload_length 0
		.amdhsa_user_sgpr_kernarg_preload_offset 0
		.amdhsa_user_sgpr_private_segment_size 0
		.amdhsa_uses_dynamic_stack 0
		.amdhsa_enable_private_segment 0
		.amdhsa_system_sgpr_workgroup_id_x 1
		.amdhsa_system_sgpr_workgroup_id_y 1
		.amdhsa_system_sgpr_workgroup_id_z 0
		.amdhsa_system_sgpr_workgroup_info 0
		.amdhsa_system_vgpr_workitem_id 0
		.amdhsa_next_free_vgpr 240
		.amdhsa_next_free_sgpr 75
		.amdhsa_accum_offset 200
		.amdhsa_reserve_vcc 1
		.amdhsa_float_round_mode_32 0
		.amdhsa_float_round_mode_16_64 0
		.amdhsa_float_denorm_mode_32 3
		.amdhsa_float_denorm_mode_16_64 3
		.amdhsa_dx10_clamp 1
		.amdhsa_ieee_mode 1
		.amdhsa_fp16_overflow 0
		.amdhsa_tg_split 0
		.amdhsa_exception_fp_ieee_invalid_op 0
		.amdhsa_exception_fp_denorm_src 0
		.amdhsa_exception_fp_ieee_div_zero 0
		.amdhsa_exception_fp_ieee_overflow 0
		.amdhsa_exception_fp_ieee_underflow 0
		.amdhsa_exception_fp_ieee_inexact 0
		.amdhsa_exception_int_div_zero 0
	.end_amdhsa_kernel
	.section	.text._ZN12_GLOBAL__N_139chunk_gated_delta_rule_fwd_h_hip_kernelILi64ELb1ELb1ELb1ELb0ELb1ELb1ELb1ELb1EEEvPK12hip_bfloat16S3_S3_PKfS5_PKvPS1_S8_PvPKiSB_iiiiilll,"axG",@progbits,_ZN12_GLOBAL__N_139chunk_gated_delta_rule_fwd_h_hip_kernelILi64ELb1ELb1ELb1ELb0ELb1ELb1ELb1ELb1EEEvPK12hip_bfloat16S3_S3_PKfS5_PKvPS1_S8_PvPKiSB_iiiiilll,comdat
.Lfunc_end9:
	.size	_ZN12_GLOBAL__N_139chunk_gated_delta_rule_fwd_h_hip_kernelILi64ELb1ELb1ELb1ELb0ELb1ELb1ELb1ELb1EEEvPK12hip_bfloat16S3_S3_PKfS5_PKvPS1_S8_PvPKiSB_iiiiilll, .Lfunc_end9-_ZN12_GLOBAL__N_139chunk_gated_delta_rule_fwd_h_hip_kernelILi64ELb1ELb1ELb1ELb0ELb1ELb1ELb1ELb1EEEvPK12hip_bfloat16S3_S3_PKfS5_PKvPS1_S8_PvPKiSB_iiiiilll
                                        ; -- End function
	.section	.AMDGPU.csdata,"",@progbits
; Kernel info:
; codeLenInByte = 13116
; NumSgprs: 81
; NumVgprs: 200
; NumAgprs: 40
; TotalNumVgprs: 240
; ScratchSize: 0
; MemoryBound: 0
; FloatMode: 240
; IeeeMode: 1
; LDSByteSize: 65536 bytes/workgroup (compile time only)
; SGPRBlocks: 10
; VGPRBlocks: 29
; NumSGPRsForWavesPerEU: 81
; NumVGPRsForWavesPerEU: 240
; AccumOffset: 200
; Occupancy: 1
; WaveLimiterHint : 1
; COMPUTE_PGM_RSRC2:SCRATCH_EN: 0
; COMPUTE_PGM_RSRC2:USER_SGPR: 2
; COMPUTE_PGM_RSRC2:TRAP_HANDLER: 0
; COMPUTE_PGM_RSRC2:TGID_X_EN: 1
; COMPUTE_PGM_RSRC2:TGID_Y_EN: 1
; COMPUTE_PGM_RSRC2:TGID_Z_EN: 0
; COMPUTE_PGM_RSRC2:TIDIG_COMP_CNT: 0
; COMPUTE_PGM_RSRC3_GFX90A:ACCUM_OFFSET: 49
; COMPUTE_PGM_RSRC3_GFX90A:TG_SPLIT: 0
	.section	.text._ZN12_GLOBAL__N_139chunk_gated_delta_rule_fwd_h_hip_kernelILi64ELb1ELb1ELb0ELb0ELb1ELb1ELb1ELb1EEEvPK12hip_bfloat16S3_S3_PKfS5_PKvPS1_S8_PvPKiSB_iiiiilll,"axG",@progbits,_ZN12_GLOBAL__N_139chunk_gated_delta_rule_fwd_h_hip_kernelILi64ELb1ELb1ELb0ELb0ELb1ELb1ELb1ELb1EEEvPK12hip_bfloat16S3_S3_PKfS5_PKvPS1_S8_PvPKiSB_iiiiilll,comdat
	.globl	_ZN12_GLOBAL__N_139chunk_gated_delta_rule_fwd_h_hip_kernelILi64ELb1ELb1ELb0ELb0ELb1ELb1ELb1ELb1EEEvPK12hip_bfloat16S3_S3_PKfS5_PKvPS1_S8_PvPKiSB_iiiiilll ; -- Begin function _ZN12_GLOBAL__N_139chunk_gated_delta_rule_fwd_h_hip_kernelILi64ELb1ELb1ELb0ELb0ELb1ELb1ELb1ELb1EEEvPK12hip_bfloat16S3_S3_PKfS5_PKvPS1_S8_PvPKiSB_iiiiilll
	.p2align	8
	.type	_ZN12_GLOBAL__N_139chunk_gated_delta_rule_fwd_h_hip_kernelILi64ELb1ELb1ELb0ELb0ELb1ELb1ELb1ELb1EEEvPK12hip_bfloat16S3_S3_PKfS5_PKvPS1_S8_PvPKiSB_iiiiilll,@function
_ZN12_GLOBAL__N_139chunk_gated_delta_rule_fwd_h_hip_kernelILi64ELb1ELb1ELb0ELb0ELb1ELb1ELb1ELb1EEEvPK12hip_bfloat16S3_S3_PKfS5_PKvPS1_S8_PvPKiSB_iiiiilll: ; @_ZN12_GLOBAL__N_139chunk_gated_delta_rule_fwd_h_hip_kernelILi64ELb1ELb1ELb0ELb0ELb1ELb1ELb1ELb1EEEvPK12hip_bfloat16S3_S3_PKfS5_PKvPS1_S8_PvPKiSB_iiiiilll
; %bb.0:
	s_load_dwordx4 s[12:15], s[0:1], 0x5c
	s_abs_i32 s6, s3
	s_ashr_i32 s5, s3, 31
	s_load_dwordx4 s[16:19], s[0:1], 0x20
	s_load_dwordx2 s[38:39], s[0:1], 0x30
	v_and_b32_e32 v97, 15, v0
	s_waitcnt lgkmcnt(0)
	s_abs_i32 s4, s13
	v_cvt_f32_u32_e32 v1, s4
	s_sub_i32 s8, 0, s4
	s_ashr_i32 s7, s13, 31
	s_xor_b32 s5, s5, s7
	v_rcp_iflag_f32_e32 v1, v1
	v_bfe_u32 v96, v0, 4, 2
	v_mov_b32_e32 v47, 0
	v_lshlrev_b32_e32 v98, 3, v0
	v_mul_f32_e32 v1, 0x4f7ffffe, v1
	v_cvt_u32_f32_e32 v1, v1
	s_nop 0
	v_readfirstlane_b32 s9, v1
	s_mul_i32 s8, s8, s9
	s_mul_hi_u32 s8, s9, s8
	s_add_i32 s9, s9, s8
	s_mul_hi_u32 s8, s6, s9
	s_mul_i32 s9, s8, s4
	s_sub_i32 s6, s6, s9
	s_add_i32 s10, s8, 1
	s_sub_i32 s9, s6, s4
	s_cmp_ge_u32 s6, s4
	s_cselect_b32 s8, s10, s8
	s_cselect_b32 s6, s9, s6
	s_add_i32 s9, s8, 1
	s_cmp_ge_u32 s6, s4
	s_cselect_b32 s6, s9, s8
	s_xor_b32 s6, s6, s5
	s_sub_i32 s56, s6, s5
	s_mul_i32 s6, s56, s13
	s_sub_i32 s33, s3, s6
	s_abs_i32 s3, s14
	v_cvt_f32_u32_e32 v1, s3
	s_add_i32 s8, s12, 63
	s_ashr_i32 s9, s8, 31
	s_lshr_b32 s5, s9, 26
	v_rcp_iflag_f32_e32 v1, v1
	s_ashr_i32 s55, s12, 31
	s_add_i32 s8, s8, s5
	s_lshr_b32 s5, s55, 26
	v_mul_f32_e32 v1, 0x4f7ffffe, v1
	v_cvt_u32_f32_e32 v1, v1
	s_add_i32 s5, s12, s5
	s_ashr_i32 s58, s14, 31
	s_ashr_i32 s24, s8, 6
	;; [unrolled: 1-line block ×3, first 2 shown]
	s_xor_b32 s5, s7, s58
	s_sub_i32 s7, 0, s3
	v_readfirstlane_b32 s8, v1
	s_mul_i32 s7, s7, s8
	s_mul_hi_u32 s7, s8, s7
	s_add_i32 s8, s8, s7
	s_mul_hi_u32 s7, s4, s8
	s_mul_i32 s8, s7, s3
	s_sub_i32 s4, s4, s8
	s_lshl_b32 s2, s2, 6
	s_add_i32 s8, s7, 1
	s_sub_i32 s9, s4, s3
	s_cmp_ge_u32 s4, s3
	s_cselect_b32 s7, s8, s7
	s_cselect_b32 s4, s9, s4
	s_add_i32 s8, s7, 1
	s_cmp_ge_u32 s4, s3
	s_cselect_b32 s3, s8, s7
	s_xor_b32 s3, s3, s5
	s_sub_i32 s3, s3, s5
	s_abs_i32 s4, s3
	v_cvt_f32_u32_e32 v1, s4
	s_sub_i32 s7, 0, s4
	s_abs_i32 s5, s33
	s_xor_b32 s3, s33, s3
	v_rcp_iflag_f32_e32 v2, v1
	s_ashr_i32 s3, s3, 31
	v_or_b32_e32 v88, s2, v97
	v_lshrrev_b32_e32 v1, 6, v0
	v_mul_f32_e32 v2, 0x4f7ffffe, v2
	v_cvt_u32_f32_e32 v2, v2
	v_lshlrev_b32_e32 v48, 7, v88
	v_lshlrev_b32_e32 v45, 4, v1
	v_or_b32_e32 v50, 0x800, v48
	v_readfirstlane_b32 s8, v2
	s_mul_i32 s7, s7, s8
	s_mul_hi_u32 s7, s8, s7
	s_add_i32 s8, s8, s7
	s_mul_hi_u32 s7, s5, s8
	s_mul_i32 s8, s7, s4
	s_sub_i32 s5, s5, s8
	s_add_i32 s8, s7, 1
	s_sub_i32 s9, s5, s4
	s_cmp_ge_u32 s5, s4
	s_cselect_b32 s7, s8, s7
	s_cselect_b32 s5, s9, s5
	s_add_i32 s8, s7, 1
	s_cmp_ge_u32 s5, s4
	s_cselect_b32 s4, s8, s7
	s_xor_b32 s4, s4, s3
	s_sub_i32 s59, s4, s3
	s_ashr_i32 s3, s56, 31
	s_ashr_i32 s48, s33, 31
	s_mul_hi_i32 s4, s56, s13
	s_add_u32 s40, s6, s33
	s_addc_u32 s41, s4, s48
	s_lshl_b64 s[28:29], s[40:41], 15
	s_add_u32 s4, s18, s28
	v_lshl_or_b32 v100, v96, 2, v45
	s_addc_u32 s5, s19, s29
	v_ashrrev_i32_e32 v49, 31, v48
	v_ashrrev_i32_e32 v51, 31, v50
	v_lshl_add_u64 v[2:3], v[48:49], 1, s[4:5]
	v_lshlrev_b32_e32 v46, 1, v100
	v_lshl_add_u64 v[6:7], v[50:51], 1, s[4:5]
	v_or_b32_e32 v52, 0x1000, v48
	v_or_b32_e32 v54, 0x1800, v48
	v_lshl_add_u64 v[2:3], v[2:3], 0, v[46:47]
	v_lshl_add_u64 v[6:7], v[6:7], 0, v[46:47]
	v_ashrrev_i32_e32 v53, 31, v52
	v_ashrrev_i32_e32 v55, 31, v54
	global_load_dwordx2 v[4:5], v[2:3], off
	v_lshl_add_u64 v[14:15], v[54:55], 1, s[4:5]
	global_load_dwordx2 v[2:3], v[2:3], off offset:128
	s_nop 0
	global_load_dwordx2 v[8:9], v[6:7], off
	global_load_dwordx2 v[10:11], v[6:7], off offset:128
	v_lshl_add_u64 v[6:7], v[52:53], 1, s[4:5]
	v_lshl_add_u64 v[6:7], v[6:7], 0, v[46:47]
	;; [unrolled: 1-line block ×3, first 2 shown]
	global_load_dwordx2 v[12:13], v[6:7], off
	v_and_b32_e32 v47, 63, v0
	global_load_dwordx2 v[6:7], v[6:7], off offset:128
	s_nop 0
	global_load_dwordx2 v[16:17], v[14:15], off
	global_load_dwordx2 v[18:19], v[14:15], off offset:128
	s_load_dwordx2 s[18:19], s[0:1], 0x40
	s_load_dwordx8 s[4:11], s[0:1], 0x0
	s_load_dwordx2 s[30:31], s[0:1], 0x80
	s_load_dwordx4 s[20:23], s[0:1], 0x70
	v_or_b32_e32 v101, 64, v100
	s_mul_i32 s49, s56, s12
	s_mul_i32 s60, s56, s24
	s_cmp_lt_i32 s12, 64
	v_lshrrev_b32_e32 v99, 3, v47
	s_mul_i32 s61, s41, s12
	s_mul_hi_u32 s62, s40, s12
	s_mul_i32 s42, s40, s12
	s_waitcnt lgkmcnt(0)
	s_mul_i32 s41, s56, s21
	s_mul_hi_u32 s51, s56, s20
	s_mul_i32 s50, s3, s20
	s_mul_i32 s36, s56, s20
	s_mul_i32 s52, s33, s23
	s_mul_hi_u32 s53, s33, s22
	s_mul_i32 s54, s48, s22
	s_mul_i32 s34, s33, s22
	s_waitcnt vmcnt(7)
	v_and_b32_e32 v83, 0xffff0000, v4
	v_lshlrev_b32_e32 v82, 16, v4
	v_and_b32_e32 v87, 0xffff0000, v5
	v_lshlrev_b32_e32 v86, 16, v5
	s_waitcnt vmcnt(6)
	v_and_b32_e32 v81, 0xffff0000, v2
	v_lshlrev_b32_e32 v80, 16, v2
	v_and_b32_e32 v85, 0xffff0000, v3
	v_lshlrev_b32_e32 v84, 16, v3
	;; [unrolled: 5-line block ×8, first 2 shown]
	s_cbranch_scc1 .LBB10_18
; %bb.1:
	s_add_i32 s43, s62, s61
	s_lshl_b64 s[0:1], s[42:43], 8
	v_and_b32_e32 v103, 56, v98
	s_add_u32 s20, s6, s0
	v_lshl_or_b32 v102, v1, 3, v99
	v_lshlrev_b32_e32 v2, 1, v103
	s_addc_u32 s0, s7, s1
	v_lshl_or_b32 v104, v102, 8, v2
	s_and_b32 s21, s0, 0xffff
	s_mov_b32 s23, 0x20000
	s_movk_i32 s22, 0x4000
	s_movk_i32 s0, 0x80
	v_or_b32_e32 v105, 0x2000, v104
	buffer_load_dwordx4 v[4:7], v104, s[20:23], 0 offen
	buffer_load_dwordx4 v[8:11], v104, s[20:23], s0 offen
	;; [unrolled: 1-line block ×4, first 2 shown]
	v_lshlrev_b32_e32 v3, 3, v102
	v_and_or_b32 v21, v0, 7, v3
	v_and_b32_e32 v3, 0x78, v3
	v_lshlrev_b32_e32 v21, 4, v21
	v_xor_b32_e32 v106, v21, v3
	v_mul_lo_u32 v20, v102, s15
	v_or_b32_e32 v107, 0x1000, v106
	v_xor_b32_e32 v3, 8, v106
	s_cmpk_eq_i32 s15, 0x80
	s_mov_b32 s63, s14
	v_xor_b32_e32 v21, 8, v107
	s_cselect_b64 s[0:1], -1, 0
	s_cmpk_lg_i32 s15, 0x80
	s_waitcnt vmcnt(3)
	ds_write_b64 v106, v[4:5] offset:49152
	ds_write_b64 v3, v[6:7] offset:49152
	s_waitcnt vmcnt(2)
	ds_write_b64 v106, v[8:9] offset:57344
	ds_write_b64 v3, v[10:11] offset:57344
	;; [unrolled: 3-line block ×4, first 2 shown]
	v_lshl_add_u32 v3, v20, 1, v103
	s_cbranch_scc0 .LBB10_3
; %bb.2:
	v_lshlrev_b32_e32 v5, 1, v3
	v_add_lshl_u32 v4, v3, s15, 1
	s_lshl_b32 s22, s15, 7
	v_lshl_or_b32 v2, v102, 9, v2
	s_cbranch_execz .LBB10_4
	s_branch .LBB10_5
.LBB10_3:
                                        ; implicit-def: $vgpr4
                                        ; implicit-def: $vgpr5
                                        ; implicit-def: $sgpr22
	v_lshl_or_b32 v2, v102, 9, v2
.LBB10_4:
	v_or_b32_e32 v4, 0x100, v2
	s_movk_i32 s22, 0x4000
	v_mov_b32_e32 v5, v2
.LBB10_5:
	s_mul_hi_u32 s20, s14, s12
	s_mul_i32 s21, s58, s12
	s_add_i32 s20, s20, s21
	s_mul_i32 s21, s14, s12
	s_mul_i32 s23, s21, s3
	s_mul_hi_u32 s24, s21, s56
	s_add_i32 s23, s24, s23
	s_mul_i32 s20, s20, s56
	s_add_i32 s23, s23, s20
	s_mul_i32 s21, s21, s56
	s_ashr_i32 s64, s59, 31
	s_add_u32 s20, s21, s59
	s_addc_u32 s21, s23, s64
	s_lshl_b64 s[20:21], s[20:21], 8
	s_add_u32 s20, s4, s20
	s_addc_u32 s21, s5, s21
	s_and_b32 s21, s21, 0xffff
	s_mov_b32 s23, 0x20000
	s_movk_i32 s65, 0x80
	buffer_load_dwordx4 v[6:9], v5, s[20:23], 0 offen
	buffer_load_dwordx4 v[10:13], v5, s[20:23], s65 offen
	;; [unrolled: 1-line block ×4, first 2 shown]
	v_and_b32_e32 v5, 6, v0
	v_lshlrev_b32_e32 v4, 7, v100
	v_xor_b32_e32 v26, v102, v5
	v_and_b32_e32 v22, 1, v0
	v_lshl_or_b32 v29, v97, 3, v4
	v_lshlrev_b32_e32 v26, 2, v26
	v_or_b32_e32 v108, 0x4000, v29
	v_or_b32_e32 v109, 0x6000, v29
	v_xor_b32_e32 v29, 0x440, v26
	v_cmp_eq_u32_e32 vcc, 0, v22
	v_lshlrev_b32_e32 v23, 2, v97
	v_or_b32_e32 v25, 16, v97
	v_cndmask_b32_e32 v22, v29, v26, vcc
	s_mov_b32 s67, 0x1000504
	v_xor_b32_e32 v27, v100, v23
	v_xor_b32_e32 v28, v101, v23
	v_lshl_or_b32 v30, v25, 3, v4
	v_lshl_or_b32 v5, v5, 10, v22
	s_mov_b32 s68, 0x3020706
	v_lshlrev_b32_e32 v24, 8, v97
	v_lshlrev_b32_e32 v27, 1, v27
	;; [unrolled: 1-line block ×3, first 2 shown]
	v_or_b32_e32 v110, 0x4000, v30
	v_or_b32_e32 v111, 0x6000, v30
	v_xor_b32_e32 v22, 8, v5
	v_xor_b32_e32 v26, 24, v5
	;; [unrolled: 1-line block ×4, first 2 shown]
	s_mul_i32 s3, s3, s12
	s_mul_hi_u32 s20, s56, s12
	v_or_b32_e32 v112, v24, v27
	v_or_b32_e32 v113, v24, v28
	v_xor_b32_e32 v24, 16, v5
	v_xor_b32_e32 v29, 32, v5
	;; [unrolled: 1-line block ×3, first 2 shown]
	v_add_u32_e32 v22, 0x80, v22
	v_add_u32_e32 v26, 0x80, v26
	;; [unrolled: 1-line block ×4, first 2 shown]
	s_add_i32 s69, s20, s3
	s_add_i32 s3, s51, s41
	;; [unrolled: 1-line block ×5, first 2 shown]
	s_lshl_b64 s[20:21], s[36:37], 2
	s_add_u32 s3, s10, s20
	s_addc_u32 s24, s11, s21
	s_lshl_b64 s[20:21], s[34:35], 2
	s_add_u32 s44, s3, s20
	s_movk_i32 s3, 0xf8
	s_addc_u32 s45, s24, s21
	s_lshl_b32 s26, s15, 7
	s_movk_i32 s24, 0x100
	v_mov_b32_e32 v91, 0
	v_lshlrev_b32_e32 v90, 4, v97
	v_ashrrev_i32_e32 v89, 31, v88
	s_mov_b32 s66, 0
	s_movk_i32 s22, 0x4000
	v_lshl_add_u64 v[92:93], v[88:89], 1, s[8:9]
	s_mov_b32 s35, 0x7060302
	s_movk_i32 s37, 0x2000
	s_movk_i32 s70, 0x3000
	s_mov_b32 s72, 0
	s_waitcnt vmcnt(1)
	v_perm_b32 v33, v6, v14, s67
	s_waitcnt vmcnt(0)
	v_perm_b32 v34, v10, v18, s67
	v_perm_b32 v6, v6, v14, s68
	;; [unrolled: 1-line block ×15, first 2 shown]
	ds_write2st64_b32 v5, v33, v34 offset0:128 offset1:160
	ds_write2st64_b32 v22, v6, v10 offset0:128 offset1:160
	;; [unrolled: 1-line block ×8, first 2 shown]
	v_lshlrev_b32_e32 v5, 8, v25
	v_or_b32_e32 v114, v5, v27
	v_or_b32_e32 v115, v5, v28
	;; [unrolled: 1-line block ×3, first 2 shown]
	v_lshl_or_b32 v6, v5, 3, v4
	v_lshlrev_b32_e32 v5, 8, v5
	v_or_b32_e32 v118, v5, v27
	v_or_b32_e32 v119, v5, v28
	;; [unrolled: 1-line block ×5, first 2 shown]
	v_lshl_or_b32 v6, v5, 3, v4
	v_lshlrev_b32_e32 v5, 8, v5
	v_or_b32_e32 v122, v5, v27
	v_or_b32_e32 v123, v5, v28
	;; [unrolled: 1-line block ×3, first 2 shown]
	v_lshlrev_b32_e32 v5, 3, v5
	v_lshrrev_b32_e32 v7, 5, v47
	v_and_or_b32 v7, v5, s3, v7
	v_lshlrev_b32_e32 v7, 4, v7
	v_or_b32_e32 v120, 0x4000, v6
	v_or_b32_e32 v121, 0x6000, v6
	v_lshrrev_b32_e32 v6, 2, v47
	v_lshlrev_b32_e32 v9, 11, v1
	v_and_b32_e32 v5, 0x78, v5
	v_or_b32_e32 v13, 32, v7
	v_and_b32_e32 v8, 12, v6
	v_and_b32_e32 v6, 0x1000, v9
	v_lshrrev_b32_e32 v11, 1, v47
	v_xor_b32_e32 v13, v13, v5
	v_xor_b32_e32 v10, v7, v5
	v_and_b32_e32 v11, 8, v11
	v_or_b32_e32 v13, v13, v6
	v_or_b32_e32 v10, v10, v6
	v_xor_b32_e32 v126, v13, v11
	v_or_b32_e32 v13, 64, v7
	v_or_b32_e32 v7, 0x60, v7
	v_xor_b32_e32 v124, v10, v11
	v_lshlrev_b32_e32 v10, 8, v96
	v_xor_b32_e32 v13, v13, v5
	v_xor_b32_e32 v5, v7, v5
	s_ashr_i32 s3, s2, 31
	v_or_b32_e32 v12, v10, v23
	v_or_b32_e32 v13, v13, v6
	;; [unrolled: 1-line block ×3, first 2 shown]
	s_lshl_b64 s[20:21], s[2:3], 8
	v_lshlrev_b32_e32 v15, 2, v0
	v_lshlrev_b32_e32 v12, 1, v12
	v_xor_b32_e32 v130, v13, v11
	v_xor_b32_e32 v131, v5, v11
	v_lshlrev_b32_e32 v5, 1, v3
	v_add_lshl_u32 v3, v3, s15, 1
	v_or_b32_e32 v11, 0x100, v2
	s_add_u32 s20, s38, s20
	v_lshlrev_b32_e32 v6, 1, v97
	v_lshrrev_b32_e32 v16, 1, v0
	v_and_or_b32 v10, v15, 60, v10
	v_or_b32_e32 v125, 0x4000, v12
	v_or_b32_e32 v127, 0x4080, v12
	;; [unrolled: 1-line block ×8, first 2 shown]
	v_lshrrev_b32_e32 v12, 4, v0
	s_addc_u32 s21, s39, s21
	v_or_b32_e32 v7, 1, v6
	v_and_b32_e32 v16, 24, v16
	v_lshlrev_b32_e32 v10, 1, v10
	v_cndmask_b32_e64 v142, v5, v2, s[0:1]
	v_cndmask_b32_e64 v143, v3, v11, s[0:1]
	v_mov_b32_e32 v3, 0xa000
	v_mov_b32_e32 v5, 0x8000
	v_cmp_gt_u32_e64 s[0:1], s24, v0
	v_xor_b32_e32 v13, v12, v6
	v_xor_b32_e32 v14, v7, v12
	v_lshl_add_u64 v[6:7], s[20:21], 0, v[90:91]
	v_lshlrev_b32_e32 v90, 8, v12
	v_or_b32_e32 v138, 0x6000, v10
	v_or_b32_e32 v15, 32, v16
	;; [unrolled: 1-line block ×6, first 2 shown]
	v_cndmask_b32_e64 v3, v3, v5, s[0:1]
	v_lshlrev_b32_e32 v5, 3, v1
	v_lshl_or_b32 v136, v13, 3, v90
	v_and_b32_e32 v13, 8, v0
	v_xor_b32_e32 v11, v5, v16
	v_xor_b32_e32 v15, v5, v15
	v_xor_b32_e32 v5, v5, v10
	v_mov_b32_e32 v17, 0x400
	v_cmp_eq_u32_e32 vcc, 0, v13
	v_or_b32_e32 v16, 0x440, v11
	v_or_b32_e32 v18, 0x440, v15
	v_xor_b32_e32 v10, 0x440, v5
	v_and_b32_e32 v12, 7, v0
	v_cndmask_b32_e64 v13, v17, 64, vcc
	v_cndmask_b32_e32 v16, v16, v11, vcc
	v_cndmask_b32_e32 v15, v18, v15, vcc
	;; [unrolled: 1-line block ×3, first 2 shown]
	v_lshl_or_b32 v137, v14, 3, v90
	v_lshlrev_b32_e32 v14, 3, v12
	v_or_b32_e32 v16, v16, v9
	v_or_b32_e32 v15, v15, v9
	v_or3_b32 v11, v9, v13, v11
	v_or_b32_e32 v5, v5, v9
	v_lshlrev_b32_e32 v12, 7, v12
	v_xor_b32_e32 v16, v16, v14
	v_xor_b32_e32 v15, v15, v14
	;; [unrolled: 1-line block ×4, first 2 shown]
	v_or_b32_e32 v2, v45, v8
	v_add_u32_e32 v17, v3, v16
	v_add_u32_e32 v18, v3, v15
	v_or_b32_e32 v144, v11, v12
	v_add_u32_e32 v9, v3, v5
	v_or3_b32 v8, v45, v8, 64
	v_add_u32_e32 v10, 0xa000, v16
	v_add_u32_e32 v11, 0xa000, v15
	;; [unrolled: 1-line block ×3, first 2 shown]
	v_lshl_add_u64 v[94:95], v[6:7], 0, v[90:91]
	s_add_i32 s3, s49, 63
	v_lshlrev_b32_e32 v90, 1, v4
	v_lshlrev_b32_e32 v89, 2, v2
	v_add_u32_e32 v145, v17, v12
	v_add_u32_e32 v146, v18, v12
	;; [unrolled: 1-line block ×4, first 2 shown]
	v_lshlrev_b32_e32 v149, 2, v8
	v_add_u32_e32 v150, v10, v12
	v_add_u32_e32 v151, v11, v12
	;; [unrolled: 1-line block ×3, first 2 shown]
	s_waitcnt lgkmcnt(0)
	s_barrier
.LBB10_6:                               ; =>This Inner Loop Header: Depth=1
	s_add_i32 s71, s72, 1
	s_cmp_lt_i32 s71, s57
	s_mov_b64 s[24:25], 0
	s_cselect_b64 s[46:47], -1, 0
	s_cmp_ge_i32 s71, s57
	s_mov_b64 s[20:21], 0
	s_cbranch_scc1 .LBB10_8
; %bb.7:                                ;   in Loop: Header=BB10_6 Depth=1
	s_add_i32 s0, s66, 64
	s_add_u32 s0, s42, s0
	s_addc_u32 s1, s43, 0
	s_lshl_b64 s[0:1], s[0:1], 8
	s_add_u32 s20, s6, s0
	s_addc_u32 s21, s7, s1
.LBB10_8:                               ;   in Loop: Header=BB10_6 Depth=1
	v_cndmask_b32_e64 v2, 0, 1, s[46:47]
	v_cmp_ne_u32_e64 s[0:1], 1, v2
	s_andn2_b64 vcc, exec, s[46:47]
	s_cbranch_vccnz .LBB10_10
; %bb.9:                                ;   in Loop: Header=BB10_6 Depth=1
	s_add_i32 s24, s66, 64
	s_add_u32 s24, s49, s24
	s_addc_u32 s25, s69, 0
	s_mul_i32 s27, s24, s58
	s_mul_hi_u32 s46, s24, s63
	s_add_i32 s27, s46, s27
	s_mul_i32 s25, s25, s63
	s_add_i32 s27, s27, s25
	s_mul_i32 s24, s24, s63
	s_add_u32 s24, s24, s59
	s_addc_u32 s25, s27, s64
	s_lshl_b64 s[24:25], s[24:25], 8
	s_add_u32 s24, s4, s24
	s_addc_u32 s25, s5, s25
.LBB10_10:                              ;   in Loop: Header=BB10_6 Depth=1
	v_perm_b32 v3, v87, v86, s35
	v_perm_b32 v2, v83, v82, s35
	v_perm_b32 v5, v85, v84, s35
	v_perm_b32 v4, v81, v80, s35
	ds_write_b64 v108, v[2:3]
	ds_write_b64 v109, v[4:5]
	ds_write_b64 v112, v[2:3]
	ds_write_b64 v113, v[4:5]
	v_perm_b32 v3, v79, v78, s35
	v_perm_b32 v2, v75, v74, s35
	v_perm_b32 v5, v77, v76, s35
	v_perm_b32 v4, v73, v72, s35
	ds_write_b64 v110, v[2:3]
	ds_write_b64 v111, v[4:5]
	ds_write_b64 v114, v[2:3]
	ds_write_b64 v115, v[4:5]
	;; [unrolled: 8-line block ×4, first 2 shown]
	s_waitcnt lgkmcnt(0)
	s_barrier
	ds_read_b64 v[6:7], v124 offset:49152
	ds_read2_b64 v[2:5], v125 offset1:16
	ds_read_b64 v[18:19], v127 offset:6144
	ds_read_b64 v[20:21], v125 offset:6144
	s_waitcnt lgkmcnt(2)
	v_mfma_f32_16x16x16_bf16 a[0:3], v[6:7], v[2:3], 0
	ds_read_b64 v[22:23], v126 offset:49152
	ds_read2st64_b64 v[10:13], v128 offset0:4 offset1:8
	ds_read2st64_b64 v[14:17], v129 offset0:4 offset1:8
	v_mfma_f32_16x16x16_bf16 a[4:7], v[6:7], v[4:5], 0
	ds_read2_b64 v[2:5], v125 offset0:32 offset1:48
	s_add_i32 s27, s66, 63
	s_mul_i32 s46, s27, s31
	s_waitcnt lgkmcnt(0)
	v_mfma_f32_16x16x16_bf16 a[8:11], v[6:7], v[2:3], 0
	s_mul_hi_u32 s47, s27, s30
	s_add_i32 s47, s47, s46
	s_mul_i32 s46, s27, s30
	v_mfma_f32_16x16x16_bf16 a[12:15], v[6:7], v[4:5], 0
	ds_read2st64_b64 v[2:5], v125 offset0:4 offset1:8
	ds_read2st64_b64 v[6:9], v127 offset0:4 offset1:8
	s_lshl_b64 s[46:47], s[46:47], 2
	s_waitcnt lgkmcnt(1)
	v_mfma_f32_16x16x16_bf16 a[0:3], v[22:23], v[2:3], a[0:3]
	s_add_u32 s46, s44, s46
	s_addc_u32 s47, s45, s47
	s_and_b64 vcc, exec, s[0:1]
	s_waitcnt lgkmcnt(0)
	v_mfma_f32_16x16x16_bf16 a[4:7], v[22:23], v[6:7], a[4:7]
	v_mov_b32_e32 v155, 0
	v_mov_b32_e32 v154, 0
	;; [unrolled: 1-line block ×3, first 2 shown]
	v_mfma_f32_16x16x16_bf16 a[8:11], v[22:23], v[10:11], a[8:11]
	ds_read_b64 v[2:3], v130 offset:49152
	ds_read_b64 v[6:7], v131 offset:49152
	;; [unrolled: 1-line block ×3, first 2 shown]
	v_mfma_f32_16x16x16_bf16 a[12:15], v[22:23], v[14:15], a[12:15]
	v_mov_b32_e32 v14, 0
	v_mov_b32_e32 v15, 0
	s_waitcnt lgkmcnt(2)
	v_mfma_f32_16x16x16_bf16 a[0:3], v[2:3], v[4:5], a[0:3]
	v_mov_b32_e32 v4, 0
	v_mov_b32_e32 v5, 0
	v_mfma_f32_16x16x16_bf16 a[16:19], v[2:3], v[8:9], a[4:7]
	v_mov_b32_e32 v8, 0
	v_mov_b32_e32 v9, 0
	;; [unrolled: 3-line block ×3, first 2 shown]
	v_mfma_f32_16x16x16_bf16 a[24:27], v[2:3], v[16:17], a[12:15]
	ds_read_b64 v[2:3], v128 offset:6144
	v_mov_b32_e32 v16, 0
	v_mov_b32_e32 v17, 0
	s_waitcnt lgkmcnt(2)
	v_mfma_f32_16x16x16_bf16 a[4:7], v[6:7], v[20:21], a[0:3]
	v_mfma_f32_16x16x16_bf16 a[8:11], v[6:7], v[18:19], a[16:19]
	s_waitcnt lgkmcnt(0)
	v_mfma_f32_16x16x16_bf16 a[12:15], v[6:7], v[2:3], a[20:23]
	v_mov_b32_e32 v2, 0
	v_mov_b32_e32 v3, 0
	v_mfma_f32_16x16x16_bf16 a[0:3], v[6:7], v[10:11], a[24:27]
	v_mov_b32_e32 v6, 0
	v_mov_b32_e32 v7, 0
	;; [unrolled: 1-line block ×4, first 2 shown]
	s_cbranch_vccnz .LBB10_12
; %bb.11:                               ;   in Loop: Header=BB10_6 Depth=1
	s_and_b32 s21, s21, 0xffff
	buffer_load_dwordx4 v[14:17], v104, s[20:23], 0 offen
	buffer_load_dwordx4 v[10:13], v104, s[20:23], s65 offen
	;; [unrolled: 1-line block ×4, first 2 shown]
	v_mov_b32_e32 v154, v106
	v_mov_b32_e32 v153, v107
.LBB10_12:                              ;   in Loop: Header=BB10_6 Depth=1
	ds_read_b64 v[34:35], v124 offset:57344
	ds_read2_b64 v[18:21], v132 offset1:16
	ds_read_b64 v[36:37], v126 offset:57344
	ds_read_b64 v[38:39], v130 offset:57344
	;; [unrolled: 1-line block ×3, first 2 shown]
	v_add_u32_e32 v42, s66, v100
	s_waitcnt lgkmcnt(3)
	v_mfma_f32_16x16x16_bf16 a[4:7], v[34:35], v[18:19], a[4:7]
	v_mfma_f32_16x16x16_bf16 a[8:11], v[34:35], v[20:21], a[8:11]
	ds_read2_b64 v[18:21], v132 offset0:32 offset1:48
	ds_read2st64_b64 v[22:25], v132 offset0:4 offset1:8
	ds_read2st64_b64 v[26:29], v133 offset0:4 offset1:8
	;; [unrolled: 1-line block ×3, first 2 shown]
	s_waitcnt lgkmcnt(3)
	v_mfma_f32_16x16x16_bf16 a[12:15], v[34:35], v[18:19], a[12:15]
	v_ashrrev_i32_e32 v18, 31, v42
	v_mfma_f32_16x16x16_bf16 a[0:3], v[34:35], v[20:21], a[0:3]
	v_mul_lo_u32 v20, v18, s30
	v_mul_lo_u32 v21, v42, s31
	v_mad_u64_u32 v[18:19], s[20:21], v42, s30, 0
	v_add3_u32 v19, v19, v21, v20
	v_add_u32_e32 v20, 1, v42
	v_ashrrev_i32_e32 v21, 31, v20
	s_waitcnt lgkmcnt(2)
	v_mfma_f32_16x16x16_bf16 a[4:7], v[36:37], v[22:23], a[4:7]
	v_mul_lo_u32 v22, v21, s30
	v_mul_lo_u32 v23, v20, s31
	v_mad_u64_u32 v[20:21], s[20:21], v20, s30, 0
	v_add3_u32 v21, v21, v23, v22
	v_add_u32_e32 v22, 2, v42
	v_ashrrev_i32_e32 v23, 31, v22
	s_waitcnt lgkmcnt(1)
	v_mfma_f32_16x16x16_bf16 a[8:11], v[36:37], v[26:27], a[8:11]
	v_mul_lo_u32 v26, v23, s30
	v_mul_lo_u32 v27, v22, s31
	v_mad_u64_u32 v[22:23], s[20:21], v22, s30, 0
	v_add3_u32 v23, v23, v27, v26
	v_add_u32_e32 v26, 3, v42
	v_ashrrev_i32_e32 v27, 31, v26
	v_mul_lo_u32 v34, v27, s30
	v_mul_lo_u32 v35, v26, s31
	v_mad_u64_u32 v[26:27], s[20:21], v26, s30, 0
	s_add_u32 s20, s42, s66
	s_addc_u32 s21, s43, 0
	v_lshl_add_u64 v[18:19], v[18:19], 2, s[44:45]
	v_add3_u32 v27, v27, v35, v34
	s_lshl_b64 s[20:21], s[20:21], 8
	v_lshl_add_u64 v[20:21], v[20:21], 2, s[44:45]
	v_lshl_add_u64 v[22:23], v[22:23], 2, s[44:45]
	;; [unrolled: 1-line block ×3, first 2 shown]
	global_load_dword v34, v[18:19], off
	global_load_dword v35, v[20:21], off
	;; [unrolled: 1-line block ×4, first 2 shown]
	v_lshl_add_u64 v[18:19], v[92:93], 0, s[20:21]
	v_lshl_add_u64 v[22:23], v[18:19], 0, v[90:91]
	global_load_ushort v44, v[22:23], off offset:256
	global_load_ushort v156, v[22:23], off
	ds_read2st64_b64 v[18:21], v135 offset0:4 offset1:8
	global_load_ushort v157, v[22:23], off offset:768
	global_load_ushort v158, v[22:23], off offset:512
	s_waitcnt lgkmcnt(1)
	v_mfma_f32_16x16x16_bf16 a[12:15], v[36:37], v[30:31], a[12:15]
	s_and_b64 vcc, exec, s[0:1]
	s_waitcnt vmcnt(3)
	v_lshlrev_b32_e32 v31, 16, v44
	s_waitcnt lgkmcnt(0)
	v_mfma_f32_16x16x16_bf16 a[0:3], v[36:37], v[18:19], a[0:3]
	global_load_ushort v36, v[22:23], off offset:288
	global_load_ushort v37, v[22:23], off offset:32
	global_load_ushort v159, v[22:23], off offset:800
	global_load_ushort v160, v[22:23], off offset:544
	global_load_ushort v161, v[22:23], off offset:320
	global_load_ushort v162, v[22:23], off offset:64
	global_load_ushort v163, v[22:23], off offset:832
	global_load_ushort v164, v[22:23], off offset:576
	v_mfma_f32_16x16x16_bf16 a[4:7], v[38:39], v[24:25], a[4:7]
	ds_read_b64 v[18:19], v132 offset:6144
	s_waitcnt vmcnt(10)
	v_lshlrev_b32_e32 v30, 16, v156
	v_mov_b32_e32 v156, 0
	v_mfma_f32_16x16x16_bf16 a[8:11], v[38:39], v[28:29], a[8:11]
	v_mfma_f32_16x16x16_bf16 a[12:15], v[38:39], v[32:33], a[12:15]
	v_mfma_f32_16x16x16_bf16 a[0:3], v[38:39], v[20:21], a[0:3]
	global_load_ushort v38, v[22:23], off offset:352
	global_load_ushort v39, v[22:23], off offset:96
	ds_read_b64 v[20:21], v133 offset:6144
	ds_read_b64 v[24:25], v134 offset:6144
	;; [unrolled: 1-line block ×3, first 2 shown]
	global_load_ushort v165, v[22:23], off offset:864
	global_load_ushort v166, v[22:23], off offset:608
	s_load_dword s20, s[46:47], 0x0
	s_waitcnt lgkmcnt(0)
	v_mfma_f32_16x16x16_bf16 a[4:7], v[40:41], v[18:19], a[4:7]
	v_sub_f32_e32 v28, s20, v42
	v_mfma_f32_16x16x16_bf16 a[0:3], v[40:41], v[26:27], a[0:3]
	v_sub_f32_e32 v26, s20, v34
	v_sub_f32_e32 v27, s20, v35
	;; [unrolled: 1-line block ×3, first 2 shown]
	v_mfma_f32_16x16x16_bf16 a[8:11], v[40:41], v[20:21], a[8:11]
	v_exp_f32_e32 v26, v26
	v_exp_f32_e32 v27, v27
	;; [unrolled: 1-line block ×4, first 2 shown]
	v_accvgpr_read_b32 v33, a5
	v_accvgpr_read_b32 v32, a4
	;; [unrolled: 1-line block ×4, first 2 shown]
	v_pk_add_f32 v[30:31], v[30:31], v[32:33] neg_lo:[0,1] neg_hi:[0,1]
	s_waitcnt vmcnt(13)
	v_lshlrev_b32_e32 v33, 16, v157
	s_waitcnt vmcnt(12)
	v_lshlrev_b32_e32 v32, 16, v158
	v_pk_add_f32 v[18:19], v[32:33], v[18:19] neg_lo:[0,1] neg_hi:[0,1]
	v_pk_mul_f32 v[30:31], v[26:27], v[30:31]
	v_pk_mul_f32 v[18:19], v[28:29], v[18:19]
	v_accvgpr_read_b32 v33, a9
	v_perm_b32 v19, v19, v18, s35
	v_perm_b32 v18, v31, v30, s35
	v_accvgpr_read_b32 v32, a8
	v_accvgpr_read_b32 v21, a11
	v_mfma_f32_16x16x16_bf16 a[12:15], v[40:41], v[24:25], a[12:15]
	v_accvgpr_read_b32 v20, a10
	v_accvgpr_read_b32 v25, a3
	v_accvgpr_read_b32 v24, a2
	s_waitcnt vmcnt(11)
	v_lshlrev_b32_e32 v31, 16, v36
	s_waitcnt vmcnt(10)
	v_lshlrev_b32_e32 v30, 16, v37
	v_pk_add_f32 v[30:31], v[30:31], v[32:33] neg_lo:[0,1] neg_hi:[0,1]
	s_waitcnt vmcnt(9)
	v_lshlrev_b32_e32 v33, 16, v159
	s_waitcnt vmcnt(8)
	v_lshlrev_b32_e32 v32, 16, v160
	v_pk_add_f32 v[20:21], v[32:33], v[20:21] neg_lo:[0,1] neg_hi:[0,1]
	v_pk_mul_f32 v[30:31], v[26:27], v[30:31]
	v_pk_mul_f32 v[20:21], v[28:29], v[20:21]
	v_accvgpr_read_b32 v23, a15
	v_perm_b32 v21, v21, v20, s35
	v_perm_b32 v20, v31, v30, s35
	ds_write2_b64 v109, v[18:19], v[20:21] offset1:16
	v_accvgpr_read_b32 v21, a13
	s_waitcnt vmcnt(7)
	v_lshlrev_b32_e32 v19, 16, v161
	s_waitcnt vmcnt(6)
	v_lshlrev_b32_e32 v18, 16, v162
	v_accvgpr_read_b32 v20, a12
	v_accvgpr_read_b32 v22, a14
	v_pk_add_f32 v[18:19], v[18:19], v[20:21] neg_lo:[0,1] neg_hi:[0,1]
	s_waitcnt vmcnt(5)
	v_lshlrev_b32_e32 v21, 16, v163
	s_waitcnt vmcnt(4)
	v_lshlrev_b32_e32 v20, 16, v164
	v_pk_add_f32 v[20:21], v[20:21], v[22:23] neg_lo:[0,1] neg_hi:[0,1]
	v_pk_mul_f32 v[18:19], v[26:27], v[18:19]
	v_pk_mul_f32 v[20:21], v[28:29], v[20:21]
	v_accvgpr_read_b32 v23, a1
	v_perm_b32 v21, v21, v20, s35
	v_perm_b32 v20, v19, v18, s35
	s_waitcnt vmcnt(3)
	v_lshlrev_b32_e32 v19, 16, v38
	s_waitcnt vmcnt(2)
	v_lshlrev_b32_e32 v18, 16, v39
	v_accvgpr_read_b32 v22, a0
	v_pk_add_f32 v[18:19], v[18:19], v[22:23] neg_lo:[0,1] neg_hi:[0,1]
	s_waitcnt vmcnt(1)
	v_lshlrev_b32_e32 v23, 16, v165
	s_waitcnt vmcnt(0)
	v_lshlrev_b32_e32 v22, 16, v166
	v_pk_add_f32 v[22:23], v[22:23], v[24:25] neg_lo:[0,1] neg_hi:[0,1]
	v_pk_mul_f32 v[18:19], v[26:27], v[18:19]
	v_pk_mul_f32 v[22:23], v[28:29], v[22:23]
	v_mov_b32_e32 v24, 0
	v_perm_b32 v23, v23, v22, s35
	v_perm_b32 v22, v19, v18, s35
	ds_write2_b64 v109, v[20:21], v[22:23] offset0:32 offset1:48
	v_mov_b32_e32 v18, 0
	v_mov_b32_e32 v19, 0
	;; [unrolled: 1-line block ×15, first 2 shown]
	s_cbranch_vccnz .LBB10_14
; %bb.13:                               ;   in Loop: Header=BB10_6 Depth=1
	s_and_b32 s25, s25, 0xffff
	s_mov_b32 s27, s23
	buffer_load_dwordx4 v[30:33], v142, s[24:27], 0 offen
	buffer_load_dwordx4 v[22:25], v142, s[24:27], s65 offen
	;; [unrolled: 1-line block ×4, first 2 shown]
	v_mov_b32_e32 v155, v103
	v_mov_b32_e32 v156, v102
.LBB10_14:                              ;   in Loop: Header=BB10_6 Depth=1
	s_waitcnt lgkmcnt(0)
	s_barrier
	ds_read_b64 v[42:43], v145
	ds_read2_b64 v[34:37], v138 offset1:16
	ds_read_b64 v[174:175], v146
	ds_read_b64 v[176:177], v147
	;; [unrolled: 1-line block ×3, first 2 shown]
	ds_read2_b64 v[38:41], v138 offset0:32 offset1:48
	ds_read2st64_b64 v[158:161], v138 offset0:4 offset1:8
	ds_read2st64_b64 v[162:165], v139 offset0:4 offset1:8
	;; [unrolled: 1-line block ×4, first 2 shown]
	s_waitcnt lgkmcnt(8)
	v_mfma_f32_16x16x16_bf16 a[0:3], v[42:43], v[34:35], 0
	s_add_i32 s21, s60, s72
	s_mul_hi_i32 s25, s21, s13
	s_mul_i32 s21, s21, s13
	v_mfma_f32_16x16x16_bf16 a[4:7], v[42:43], v[36:37], 0
	s_add_u32 s24, s21, s33
	s_addc_u32 s25, s25, s48
	s_add_i32 s21, s3, s66
	s_waitcnt lgkmcnt(4)
	v_mfma_f32_16x16x16_bf16 a[8:11], v[42:43], v[38:39], 0
	s_lshl_b64 s[24:25], s[24:25], 15
	s_mul_hi_i32 s27, s21, s13
	s_mul_i32 s21, s21, s13
	v_mfma_f32_16x16x16_bf16 a[12:15], v[42:43], v[40:41], 0
	ds_read_b64 v[42:43], v138 offset:6144
	ds_read_b64 v[186:187], v139 offset:6144
	;; [unrolled: 1-line block ×4, first 2 shown]
	s_add_u32 s46, s21, s33
	s_waitcnt lgkmcnt(7)
	v_mfma_f32_16x16x16_bf16 a[0:3], v[174:175], v[158:159], a[0:3]
	s_addc_u32 s47, s27, s48
	s_lshl_b64 s[46:47], s[46:47], 9
	s_add_u32 s46, s16, s46
	s_waitcnt lgkmcnt(6)
	v_mfma_f32_16x16x16_bf16 a[4:7], v[174:175], v[162:163], a[4:7]
	s_addc_u32 s47, s17, s47
	v_lshl_add_u64 v[196:197], v[94:95], 0, s[24:25]
	s_waitcnt lgkmcnt(5)
	v_mfma_f32_16x16x16_bf16 a[8:11], v[174:175], v[166:167], a[8:11]
	s_waitcnt lgkmcnt(4)
	v_mfma_f32_16x16x16_bf16 a[12:15], v[174:175], v[170:171], a[12:15]
	ds_read_b64 v[174:175], v150
	ds_read_b64 v[184:185], v151
	ds_read_b64 v[192:193], v152
	s_waitcnt lgkmcnt(2)
	v_mfma_f32_16x16x16_bf16 a[16:19], v[174:175], v[34:35], 0
	v_mfma_f32_16x16x16_bf16 a[20:23], v[174:175], v[36:37], 0
	global_load_dwordx4 v[34:37], v149, s[46:47]
	v_mfma_f32_16x16x16_bf16 a[24:27], v[174:175], v[38:39], 0
	v_mfma_f32_16x16x16_bf16 a[28:31], v[174:175], v[40:41], 0
	global_load_dwordx4 v[38:41], v89, s[46:47]
	v_mfma_f32_16x16x16_bf16 a[0:3], v[176:177], v[160:161], a[0:3]
	v_mfma_f32_16x16x16_bf16 a[4:7], v[176:177], v[164:165], a[4:7]
	;; [unrolled: 1-line block ×8, first 2 shown]
	ds_read2st64_b64 v[174:177], v136 offset1:8
	ds_read2st64_b64 v[178:181], v137 offset1:8
	ds_read_b64 v[194:195], v144 offset:40960
	s_waitcnt lgkmcnt(2)
	v_mov_b32_e32 v182, v174
	v_mfma_f32_16x16x16_bf16 a[16:19], v[184:185], v[158:159], a[16:19]
	v_mov_b32_e32 v183, v175
	v_mfma_f32_16x16x16_bf16 a[20:23], v[184:185], v[162:163], a[20:23]
	v_mfma_f32_16x16x16_bf16 a[24:27], v[184:185], v[166:167], a[24:27]
	;; [unrolled: 1-line block ×3, first 2 shown]
	v_add_co_u32_e32 v170, vcc, s37, v196
	s_waitcnt lgkmcnt(1)
	v_mov_b32_e32 v184, v178
	s_waitcnt lgkmcnt(0)
	v_mfma_f32_16x16x16_bf16 a[16:19], v[194:195], v[160:161], a[16:19]
	ds_read2st64_b64 v[158:161], v136 offset0:16 offset1:24
	v_addc_co_u32_e32 v171, vcc, 0, v197, vcc
	v_mfma_f32_16x16x16_bf16 a[32:35], v[194:195], v[164:165], a[20:23]
	ds_read2st64_b64 v[162:165], v137 offset0:16 offset1:24
	v_mov_b32_e32 v185, v179
	v_mov_b32_e32 v178, v176
	v_mfma_f32_16x16x16_bf16 a[24:27], v[194:195], v[168:169], a[24:27]
	v_mov_b32_e32 v179, v177
	s_waitcnt lgkmcnt(0)
	v_mov_b32_e32 v168, v162
	v_mov_b32_e32 v169, v163
	v_mfma_f32_16x16x16_bf16 a[36:39], v[194:195], v[172:173], a[28:31]
	v_mov_b32_e32 v162, v160
	v_mov_b32_e32 v163, v161
	;; [unrolled: 1-line block ×3, first 2 shown]
	v_mfma_f32_16x16x16_bf16 a[20:23], v[192:193], v[42:43], a[16:19]
	v_add_co_u32_e32 v42, vcc, s70, v196
	v_mov_b32_e32 v167, v159
	v_mfma_f32_16x16x16_bf16 a[28:31], v[192:193], v[186:187], a[32:35]
	v_addc_co_u32_e32 v43, vcc, 0, v197, vcc
	global_store_dwordx4 v[42:43], v[162:165], off
	v_mfma_f32_16x16x16_bf16 a[16:19], v[192:193], v[188:189], a[24:27]
	s_waitcnt vmcnt(2)
	v_mov_b32_e32 v44, v37
	v_mov_b32_e32 v43, v36
	;; [unrolled: 1-line block ×3, first 2 shown]
	v_mfma_f32_16x16x16_bf16 a[24:27], v[192:193], v[190:191], a[36:39]
	s_and_b64 vcc, exec, s[0:1]
	global_store_dwordx4 v[196:197], v[182:185], off
	global_store_dwordx4 v[170:171], v[178:181], off offset:-4096
	global_store_dwordx4 v[170:171], v[166:169], off
	s_cbranch_vccnz .LBB10_16
; %bb.15:                               ;   in Loop: Header=BB10_6 Depth=1
	v_lshrrev_b32_e32 v35, 3, v155
	v_and_b32_e32 v35, 6, v35
	v_xor_b32_e32 v36, v35, v156
	v_lshlrev_b32_e32 v36, 2, v36
	v_and_b32_e32 v37, 8, v155
	v_xor_b32_e32 v155, 0x440, v36
	v_cmp_eq_u32_e32 vcc, 0, v37
	v_perm_b32 v37, v22, v18, s67
	s_nop 0
	v_cndmask_b32_e32 v36, v155, v36, vcc
	v_lshl_or_b32 v35, v35, 10, v36
	v_perm_b32 v36, v30, v26, s67
	s_barrier
	ds_write2st64_b32 v35, v36, v37 offset0:128 offset1:160
	v_xor_b32_e32 v36, 8, v35
	v_perm_b32 v26, v30, v26, s68
	v_perm_b32 v18, v22, v18, s68
	v_add_u32_e32 v22, 0x80, v36
	ds_write2st64_b32 v22, v26, v18 offset0:128 offset1:160
	v_xor_b32_e32 v18, 16, v35
	v_perm_b32 v22, v31, v27, s67
	v_perm_b32 v26, v23, v19, s67
	ds_write2st64_b32 v18, v22, v26 offset0:129 offset1:161
	v_xor_b32_e32 v18, 24, v35
	v_perm_b32 v22, v31, v27, s68
	v_perm_b32 v19, v23, v19, s68
	v_add_u32_e32 v18, 0x80, v18
	ds_write2st64_b32 v18, v22, v19 offset0:129 offset1:161
	v_xor_b32_e32 v18, 32, v35
	v_perm_b32 v19, v32, v28, s67
	v_perm_b32 v22, v24, v20, s67
	ds_write2st64_b32 v18, v19, v22 offset0:130 offset1:162
	v_xor_b32_e32 v18, 40, v35
	v_perm_b32 v19, v32, v28, s68
	v_perm_b32 v20, v24, v20, s68
	v_add_u32_e32 v18, 0x80, v18
	ds_write2st64_b32 v18, v19, v20 offset0:130 offset1:162
	v_xor_b32_e32 v18, 48, v35
	v_perm_b32 v19, v33, v29, s67
	v_perm_b32 v20, v25, v21, s67
	ds_write2st64_b32 v18, v19, v20 offset0:131 offset1:163
	v_xor_b32_e32 v18, 56, v35
	v_perm_b32 v19, v33, v29, s68
	v_perm_b32 v20, v25, v21, s68
	v_add_u32_e32 v18, 0x80, v18
	ds_write2st64_b32 v18, v19, v20 offset0:131 offset1:163
	ds_write_b64 v154, v[14:15] offset:49152
	v_xor_b32_e32 v14, 8, v154
	ds_write_b64 v14, v[16:17] offset:49152
	ds_write_b64 v154, v[10:11] offset:57344
	;; [unrolled: 1-line block ×4, first 2 shown]
	v_xor_b32_e32 v6, 8, v153
	ds_write_b64 v6, v[8:9] offset:49152
	ds_write_b64 v153, v[2:3] offset:57344
	;; [unrolled: 1-line block ×3, first 2 shown]
.LBB10_16:                              ;   in Loop: Header=BB10_6 Depth=1
	v_exp_f32_e32 v36, s20
	s_waitcnt vmcnt(4)
	v_exp_f32_e32 v38, v38
	v_exp_f32_e32 v39, v39
	;; [unrolled: 1-line block ×4, first 2 shown]
	v_accvgpr_read_b32 v5, a3
	v_accvgpr_read_b32 v4, a2
	;; [unrolled: 1-line block ×4, first 2 shown]
	v_pk_mul_f32 v[38:39], v[36:37], v[38:39] op_sel_hi:[0,1]
	v_pk_mul_f32 v[40:41], v[36:37], v[40:41] op_sel_hi:[0,1]
	v_pk_fma_f32 v[82:83], v[82:83], v[38:39], v[2:3]
	v_pk_fma_f32 v[86:87], v[86:87], v[40:41], v[4:5]
	v_exp_f32_e32 v2, v34
	v_exp_f32_e32 v3, v42
	;; [unrolled: 1-line block ×4, first 2 shown]
	v_accvgpr_read_b32 v9, a7
	v_accvgpr_read_b32 v13, a11
	;; [unrolled: 1-line block ×28, first 2 shown]
	v_pk_mul_f32 v[2:3], v[36:37], v[2:3] op_sel_hi:[0,1]
	v_pk_mul_f32 v[4:5], v[36:37], v[4:5] op_sel_hi:[0,1]
	s_add_i32 s66, s66, 64
	v_pk_fma_f32 v[74:75], v[38:39], v[74:75], v[6:7]
	v_pk_fma_f32 v[78:79], v[40:41], v[78:79], v[8:9]
	;; [unrolled: 1-line block ×13, first 2 shown]
	s_cmp_eq_u32 s57, s71
	v_pk_fma_f32 v[60:61], v[4:5], v[60:61], v[32:33]
	s_cbranch_scc1 .LBB10_18
; %bb.17:                               ;   in Loop: Header=BB10_6 Depth=1
	s_mov_b32 s72, s71
	s_branch .LBB10_6
.LBB10_18:
	s_lshl_b32 s43, s57, 6
	s_sub_i32 s46, s12, s43
	s_cmp_gt_i32 s46, 0
	s_cbranch_scc0 .LBB10_99
; %bb.19:
	s_ashr_i32 s3, s43, 31
	s_cmpk_lg_i32 s15, 0x80
	s_cselect_b64 s[26:27], -1, 0
	s_and_b64 vcc, exec, s[26:27]
	s_cbranch_vccz .LBB10_21
; %bb.20:
	s_mul_hi_i32 s0, s56, s12
	s_add_u32 s1, s49, s43
	s_addc_u32 s0, s0, s3
	s_mul_i32 s20, s1, s58
	s_mul_hi_u32 s21, s1, s14
	s_add_i32 s20, s21, s20
	s_mul_i32 s0, s0, s14
	s_add_i32 s20, s20, s0
	s_mul_i32 s1, s1, s14
	s_ashr_i32 s0, s59, 31
	s_add_u32 s44, s1, s59
	s_addc_u32 s45, s20, s0
	s_cbranch_execz .LBB10_22
	s_branch .LBB10_23
.LBB10_21:
                                        ; implicit-def: $sgpr44_sgpr45
.LBB10_22:
	s_mul_hi_i32 s0, s56, s14
	s_mul_i32 s56, s56, s14
	s_ashr_i32 s1, s59, 31
	s_add_u32 s14, s56, s59
	s_addc_u32 s0, s0, s1
	s_mul_i32 s1, s14, s55
	s_mul_hi_u32 s20, s14, s12
	s_add_i32 s1, s20, s1
	s_mul_i32 s0, s0, s12
	s_add_i32 s1, s1, s0
	s_mul_i32 s14, s14, s12
	s_add_u32 s44, s14, s43
	s_addc_u32 s45, s1, s3
.LBB10_23:
	s_mul_i32 s0, s40, s55
	s_add_i32 s0, s62, s0
	s_add_i32 s14, s60, s57
	s_add_i32 s1, s0, s61
	s_add_u32 s0, s42, s43
	v_lshlrev_b32_e32 v6, 6, v100
	v_lshlrev_b32_e32 v24, 2, v97
	s_addc_u32 s1, s1, s3
	s_mov_b32 s3, 0x7060302
	v_or_b32_e32 v9, v6, v24
	v_xor_b32_e32 v7, v100, v24
	v_perm_b32 v3, v87, v86, s3
	v_perm_b32 v2, v83, v82, s3
	;; [unrolled: 1-line block ×4, first 2 shown]
	v_lshlrev_b32_e32 v9, 1, v9
	v_xor_b32_e32 v8, v101, v24
	ds_write2st64_b64 v9, v[2:3], v[4:5] offset0:32 offset1:48
	v_lshlrev_b32_e32 v7, 1, v7
	v_lshlrev_b32_e32 v9, 8, v97
	v_or_b32_e32 v10, v7, v9
	v_lshlrev_b32_e32 v8, 1, v8
	ds_write_b64 v10, v[2:3]
	v_or_b32_e32 v2, v8, v9
	v_or_b32_e32 v9, 16, v97
	v_lshlrev_b32_e32 v23, 2, v9
	v_or_b32_e32 v10, v6, v23
	ds_write_b64 v2, v[4:5]
	v_perm_b32 v3, v79, v78, s3
	v_perm_b32 v2, v75, v74, s3
	;; [unrolled: 1-line block ×4, first 2 shown]
	v_lshlrev_b32_e32 v10, 1, v10
	v_lshlrev_b32_e32 v9, 8, v9
	ds_write2st64_b64 v10, v[2:3], v[4:5] offset0:32 offset1:48
	v_or_b32_e32 v10, v7, v9
	ds_write_b64 v10, v[2:3]
	v_or_b32_e32 v2, v8, v9
	v_or_b32_e32 v9, 32, v97
	v_lshlrev_b32_e32 v22, 2, v9
	v_or_b32_e32 v10, v6, v22
	ds_write_b64 v2, v[4:5]
	v_perm_b32 v3, v71, v70, s3
	v_perm_b32 v2, v67, v66, s3
	;; [unrolled: 1-line block ×4, first 2 shown]
	v_lshlrev_b32_e32 v10, 1, v10
	v_lshlrev_b32_e32 v9, 8, v9
	s_lshl_b64 s[24:25], s[0:1], 8
	ds_write2st64_b64 v10, v[2:3], v[4:5] offset0:32 offset1:48
	v_or_b32_e32 v10, v7, v9
	s_add_u32 s0, s6, s24
	ds_write_b64 v10, v[2:3]
	v_or_b32_e32 v2, v8, v9
	s_addc_u32 s1, s7, s25
	ds_write_b64 v2, v[4:5]
	v_perm_b32 v3, v63, v62, s3
	v_perm_b32 v2, v59, v58, s3
	;; [unrolled: 1-line block ×4, first 2 shown]
	v_or_b32_e32 v9, 48, v97
	s_mul_hi_i32 s3, s14, s13
	s_mul_i32 s14, s14, s13
	v_lshlrev_b32_e32 v19, 2, v9
	s_add_u32 s6, s14, s33
	v_or_b32_e32 v6, v6, v19
	s_addc_u32 s7, s3, s48
	v_lshlrev_b32_e32 v6, 1, v6
	s_ashr_i32 s3, s2, 31
	s_lshl_b64 s[6:7], s[6:7], 15
	ds_write2st64_b64 v6, v[2:3], v[4:5] offset0:32 offset1:48
	v_lshlrev_b32_e32 v6, 8, v9
	s_add_u32 s6, s38, s6
	v_or_b32_e32 v7, v7, v6
	s_addc_u32 s7, s39, s7
	s_lshl_b64 s[2:3], s[2:3], 8
	ds_write_b64 v7, v[2:3]
	v_or_b32_e32 v2, v8, v6
	s_add_u32 s2, s6, s2
	v_lshlrev_b32_e32 v3, 1, v97
	ds_write_b64 v2, v[4:5]
	v_lshrrev_b32_e32 v2, 4, v0
	s_addc_u32 s3, s7, s3
	v_or_b32_e32 v4, 1, v3
	v_lshlrev_b32_e32 v10, 4, v97
	v_mov_b32_e32 v11, 0
	v_xor_b32_e32 v3, v2, v3
	v_xor_b32_e32 v6, v4, v2
	v_lshl_add_u64 v[12:13], s[2:3], 0, v[10:11]
	v_lshlrev_b32_e32 v10, 8, v2
	v_lshl_or_b32 v16, v3, 3, v10
	v_lshl_or_b32 v17, v6, 3, v10
	s_waitcnt lgkmcnt(0)
	s_barrier
	ds_read2st64_b64 v[2:5], v16 offset1:8
	ds_read2st64_b64 v[6:9], v17 offset1:8
	v_lshl_add_u64 v[14:15], v[12:13], 0, v[10:11]
	s_movk_i32 s2, 0x2000
	s_cmp_lg_u32 s46, 64
	s_waitcnt lgkmcnt(1)
	v_mov_b32_e32 v10, v2
	v_mov_b32_e32 v11, v3
	s_waitcnt lgkmcnt(0)
	v_mov_b32_e32 v12, v6
	v_mov_b32_e32 v13, v7
	global_store_dwordx4 v[14:15], v[10:13], off
	v_mov_b32_e32 v6, v4
	v_mov_b32_e32 v7, v5
	ds_read2st64_b64 v[2:5], v16 offset0:16 offset1:24
	ds_read2st64_b64 v[10:13], v17 offset0:16 offset1:24
	v_add_co_u32_e32 v16, vcc, s2, v14
	s_cselect_b64 s[6:7], -1, 0
	s_nop 0
	v_addc_co_u32_e32 v17, vcc, 0, v15, vcc
	global_store_dwordx4 v[16:17], v[6:9], off offset:-4096
	v_lshl_or_b32 v30, v1, 3, v99
	s_mov_b32 s20, 0
	s_waitcnt lgkmcnt(1)
	v_mov_b32_e32 v6, v2
	v_add_co_u32_e32 v2, vcc, 0x3000, v14
	v_mov_b32_e32 v7, v3
	s_nop 0
	v_addc_co_u32_e32 v3, vcc, 0, v15, vcc
	s_waitcnt lgkmcnt(0)
	v_mov_b32_e32 v8, v10
	v_mov_b32_e32 v9, v11
	;; [unrolled: 1-line block ×4, first 2 shown]
	v_or_b32_e32 v20, 32, v30
	v_and_b32_e32 v18, 56, v98
	s_and_b64 vcc, exec, s[6:7]
	global_store_dwordx4 v[16:17], v[6:9], off
	global_store_dwordx4 v[2:3], v[10:13], off
	s_cbranch_vccz .LBB10_29
; %bb.24:
	s_mov_b32 s21, s20
	s_mov_b32 s22, s20
	s_mov_b32 s23, s20
	v_mov_b64_e32 v[6:7], s[20:21]
	v_mov_b64_e32 v[8:9], s[22:23]
	;; [unrolled: 1-line block ×3, first 2 shown]
	v_cmp_gt_i32_e32 vcc, s46, v30
	v_mov_b64_e32 v[4:5], v[8:9]
	s_and_saveexec_b64 s[2:3], vcc
	s_cbranch_execz .LBB10_26
; %bb.25:
	v_lshlrev_b32_e32 v2, 8, v30
	v_mov_b32_e32 v3, 0
	v_lshl_add_u64 v[4:5], s[0:1], 0, v[2:3]
	v_lshlrev_b32_e32 v2, 1, v18
	v_lshl_add_u64 v[10:11], v[4:5], 0, v[2:3]
	global_load_dwordx4 v[6:9], v[10:11], off
	global_load_dwordx4 v[2:5], v[10:11], off offset:128
.LBB10_26:
	s_or_b64 exec, exec, s[2:3]
	s_mov_b32 s21, s20
	s_mov_b32 s22, s20
	;; [unrolled: 1-line block ×3, first 2 shown]
	v_mov_b64_e32 v[14:15], s[20:21]
	v_mov_b64_e32 v[16:17], s[22:23]
	;; [unrolled: 1-line block ×3, first 2 shown]
	v_cmp_gt_i32_e32 vcc, s46, v20
	v_lshlrev_b32_e32 v21, 7, v20
	v_mov_b64_e32 v[12:13], v[16:17]
	s_and_saveexec_b64 s[2:3], vcc
	s_cbranch_execz .LBB10_28
; %bb.27:
	v_lshlrev_b32_e32 v10, 1, v21
	v_mov_b32_e32 v11, 0
	v_lshl_add_u64 v[12:13], s[0:1], 0, v[10:11]
	v_lshlrev_b32_e32 v10, 1, v18
	v_lshl_add_u64 v[26:27], v[12:13], 0, v[10:11]
	global_load_dwordx4 v[14:17], v[26:27], off
	global_load_dwordx4 v[10:13], v[26:27], off offset:128
.LBB10_28:
	s_or_b64 exec, exec, s[2:3]
	v_lshrrev_b32_e32 v25, 3, v18
	v_lshlrev_b32_e32 v26, 3, v30
	v_or_b32_e32 v25, v26, v25
	v_lshlrev_b32_e32 v25, 4, v25
	v_and_b32_e32 v26, 0x78, v26
	v_xor_b32_e32 v25, v25, v26
	s_branch .LBB10_31
.LBB10_29:
                                        ; implicit-def: $vgpr25
                                        ; implicit-def: $vgpr21
                                        ; implicit-def: $vgpr6_vgpr7_vgpr8_vgpr9
                                        ; implicit-def: $vgpr2_vgpr3_vgpr4_vgpr5
                                        ; implicit-def: $vgpr14_vgpr15_vgpr16_vgpr17
                                        ; implicit-def: $vgpr10_vgpr11_vgpr12_vgpr13
	s_cbranch_execz .LBB10_31
; %bb.30:
	s_waitcnt vmcnt(0)
	v_lshlrev_b32_e32 v2, 1, v18
	v_lshl_or_b32 v21, v30, 8, v2
	s_and_b32 s1, s1, 0xffff
	s_mov_b32 s3, 0x20000
	s_movk_i32 s2, 0x4000
	v_lshl_or_b32 v25, v20, 8, v2
	s_movk_i32 s14, 0x80
	buffer_load_dwordx4 v[6:9], v21, s[0:3], 0 offen
	buffer_load_dwordx4 v[2:5], v21, s[0:3], s14 offen
	;; [unrolled: 1-line block ×4, first 2 shown]
	v_lshrrev_b32_e32 v21, 3, v18
	v_lshlrev_b32_e32 v25, 3, v30
	v_or_b32_e32 v21, v25, v21
	v_lshlrev_b32_e32 v21, 4, v21
	v_and_b32_e32 v25, 0x78, v25
	v_xor_b32_e32 v25, v21, v25
	v_lshlrev_b32_e32 v21, 7, v20
.LBB10_31:
	s_movk_i32 s0, 0x1000
	v_and_or_b32 v20, v21, s0, v25
	s_waitcnt vmcnt(1)
	ds_write_b64 v25, v[6:7] offset:49152
	v_xor_b32_e32 v6, 8, v25
	ds_write_b64 v6, v[8:9] offset:49152
	s_waitcnt vmcnt(0)
	ds_write_b64 v25, v[2:3] offset:57344
	ds_write_b64 v6, v[4:5] offset:57344
	;; [unrolled: 1-line block ×3, first 2 shown]
	v_xor_b32_e32 v2, 8, v20
	ds_write_b64 v2, v[16:17] offset:49152
	ds_write_b64 v20, v[10:11] offset:57344
	;; [unrolled: 1-line block ×3, first 2 shown]
	v_or_b32_e32 v2, v45, v97
	v_lshlrev_b32_e32 v2, 3, v2
	v_lshrrev_b32_e32 v3, 5, v47
	s_movk_i32 s0, 0xf8
	v_and_or_b32 v3, v2, s0, v3
	v_lshlrev_b32_e32 v7, 4, v3
	v_lshlrev_b32_e32 v25, 11, v1
	v_and_b32_e32 v8, 0x78, v2
	v_or_b32_e32 v10, 32, v7
	v_and_b32_e32 v6, 0x1000, v25
	v_lshrrev_b32_e32 v3, 1, v47
	v_xor_b32_e32 v10, v10, v8
	v_xor_b32_e32 v2, v7, v8
	v_and_b32_e32 v9, 8, v3
	v_or_b32_e32 v10, v10, v6
	v_or_b32_e32 v2, v2, v6
	v_xor_b32_e32 v32, v10, v9
	v_or_b32_e32 v10, 64, v7
	v_xor_b32_e32 v31, v2, v9
	v_xor_b32_e32 v10, v10, v8
	s_waitcnt lgkmcnt(0)
	s_barrier
	v_or_b32_e32 v13, v10, v6
	ds_read_b64 v[10:11], v31 offset:49152
	v_lshl_or_b32 v14, v96, 8, v24
	v_lshlrev_b32_e32 v26, 1, v14
	v_add_u32_e32 v12, 0x4000, v26
	ds_read2_b64 v[2:5], v12 offset1:16
	v_or_b32_e32 v7, 0x60, v7
	v_xor_b32_e32 v7, v7, v8
	v_or_b32_e32 v6, v7, v6
	v_xor_b32_e32 v33, v13, v9
	v_xor_b32_e32 v34, v6, v9
	ds_read_b64 v[20:21], v32 offset:49152
	ds_read_b64 v[36:37], v33 offset:49152
	;; [unrolled: 1-line block ×3, first 2 shown]
	s_waitcnt lgkmcnt(3)
	v_mfma_f32_16x16x16_bf16 a[0:3], v[10:11], v[2:3], 0
	ds_read2st64_b64 v[6:9], v26 offset0:36 offset1:40
	s_lshl_b64 s[0:1], s[44:45], 8
	s_add_u32 s4, s4, s0
	v_mfma_f32_16x16x16_bf16 a[4:7], v[10:11], v[4:5], 0
	ds_read2_b64 v[2:5], v12 offset0:32 offset1:48
	s_addc_u32 s5, s5, s1
	s_add_i32 s0, s51, s41
	s_waitcnt lgkmcnt(0)
	v_mfma_f32_16x16x16_bf16 a[8:11], v[10:11], v[2:3], 0
	v_or_b32_e32 v2, 64, v14
	v_lshlrev_b32_e32 v27, 1, v2
	s_add_i32 s14, s12, -1
	v_mfma_f32_16x16x16_bf16 a[12:15], v[10:11], v[4:5], 0
	ds_read2st64_b64 v[2:5], v27 offset0:36 offset1:40
	s_add_i32 s37, s0, s50
	s_add_i32 s0, s53, s52
	v_mfma_f32_16x16x16_bf16 a[0:3], v[20:21], v[6:7], a[0:3]
	v_or_b32_e32 v6, 0x80, v14
	v_lshlrev_b32_e32 v28, 1, v6
	ds_read2st64_b64 v[10:13], v28 offset0:36 offset1:40
	s_waitcnt lgkmcnt(1)
	v_mfma_f32_16x16x16_bf16 a[4:7], v[20:21], v[2:3], a[4:7]
	v_or_b32_e32 v2, 0xc0, v14
	v_lshlrev_b32_e32 v29, 1, v2
	ds_read2st64_b64 v[14:17], v29 offset0:36 offset1:40
	s_add_i32 s35, s0, s54
	s_ashr_i32 s0, s14, 31
	s_mul_i32 s1, s14, s31
	s_mul_hi_u32 s2, s14, s30
	s_add_i32 s1, s2, s1
	s_mul_i32 s0, s0, s30
	s_waitcnt lgkmcnt(1)
	v_mfma_f32_16x16x16_bf16 a[8:11], v[20:21], v[10:11], a[8:11]
	s_add_i32 s1, s1, s0
	s_lshl_b64 s[2:3], s[36:37], 2
	s_add_u32 s10, s10, s2
	s_waitcnt lgkmcnt(0)
	v_mfma_f32_16x16x16_bf16 a[12:15], v[20:21], v[14:15], a[12:15]
	s_addc_u32 s11, s11, s3
	s_lshl_b64 s[2:3], s[34:35], 2
	s_mul_i32 s0, s14, s30
	v_mfma_f32_16x16x16_bf16 a[0:3], v[36:37], v[8:9], a[0:3]
	ds_read_b64 v[2:3], v26 offset:22528
	s_add_u32 s10, s10, s2
	s_addc_u32 s11, s11, s3
	v_mfma_f32_16x16x16_bf16 a[4:7], v[36:37], v[4:5], a[4:7]
	ds_read_b64 v[4:5], v27 offset:22528
	ds_read_b64 v[6:7], v28 offset:22528
	;; [unrolled: 1-line block ×3, first 2 shown]
	s_lshl_b64 s[0:1], s[0:1], 2
	s_add_u32 s0, s10, s0
	v_mfma_f32_16x16x16_bf16 a[8:11], v[36:37], v[12:13], a[8:11]
	s_addc_u32 s1, s11, s1
	s_load_dword s12, s[0:1], 0x0
	s_and_b64 vcc, exec, s[26:27]
	v_mfma_f32_16x16x16_bf16 a[12:15], v[36:37], v[16:17], a[12:15]
	s_waitcnt lgkmcnt(0)
	v_mfma_f32_16x16x16_bf16 a[0:3], v[38:39], v[2:3], a[0:3]
	v_mfma_f32_16x16x16_bf16 a[4:7], v[38:39], v[4:5], a[4:7]
	v_mfma_f32_16x16x16_bf16 a[8:11], v[38:39], v[6:7], a[8:11]
	v_mfma_f32_16x16x16_bf16 a[12:15], v[38:39], v[8:9], a[12:15]
	s_cbranch_vccz .LBB10_42
; %bb.32:
	v_lshlrev_b32_e32 v20, 1, v30
	s_and_b64 vcc, exec, s[6:7]
	s_cbranch_vccz .LBB10_43
; %bb.33:
	v_cmp_gt_i32_e32 vcc, s46, v20
	v_mov_b32_e32 v6, 0
	v_mov_b32_e32 v2, 0
	;; [unrolled: 1-line block ×5, first 2 shown]
	s_and_saveexec_b64 s[0:1], vcc
	s_cbranch_execz .LBB10_35
; %bb.34:
	v_mad_i64_i32 v[2:3], s[2:3], s15, v20, 0
	v_lshl_add_u64 v[2:3], v[2:3], 1, s[4:5]
	v_lshlrev_b32_e32 v4, 1, v18
	v_mov_b32_e32 v5, 0
	v_lshl_add_u64 v[2:3], v[2:3], 0, v[4:5]
	global_load_dwordx4 v[2:5], v[2:3], off
.LBB10_35:
	s_or_b64 exec, exec, s[0:1]
	v_or_b32_e32 v21, 1, v20
	v_cmp_gt_i32_e64 s[0:1], s46, v21
	v_mov_b32_e32 v7, 0
	v_mov_b32_e32 v8, 0
	;; [unrolled: 1-line block ×3, first 2 shown]
	s_and_saveexec_b64 s[2:3], s[0:1]
	s_cbranch_execz .LBB10_37
; %bb.36:
	v_mad_i64_i32 v[6:7], s[20:21], s15, v21, 0
	v_lshl_add_u64 v[6:7], v[6:7], 1, s[4:5]
	v_lshlrev_b32_e32 v8, 1, v18
	v_mov_b32_e32 v9, 0
	v_lshl_add_u64 v[6:7], v[6:7], 0, v[8:9]
	global_load_dwordx4 v[6:9], v[6:7], off
.LBB10_37:
	s_or_b64 exec, exec, s[2:3]
	v_mov_b32_e32 v17, 0
	v_mov_b32_e32 v10, 0
	;; [unrolled: 1-line block ×5, first 2 shown]
	s_and_saveexec_b64 s[2:3], vcc
	s_cbranch_execz .LBB10_39
; %bb.38:
	v_mad_i64_i32 v[10:11], s[20:21], s15, v20, 0
	v_lshl_add_u64 v[10:11], v[10:11], 1, s[4:5]
	v_lshlrev_b32_e32 v12, 1, v18
	v_mov_b32_e32 v13, 0
	v_lshl_add_u64 v[10:11], v[10:11], 0, v[12:13]
	global_load_dwordx4 v[10:13], v[10:11], off offset:128
.LBB10_39:
	s_or_b64 exec, exec, s[2:3]
	v_mov_b32_e32 v16, 0
	v_mov_b32_e32 v15, 0
	;; [unrolled: 1-line block ×3, first 2 shown]
	s_and_saveexec_b64 s[2:3], s[0:1]
	s_cbranch_execz .LBB10_41
; %bb.40:
	v_mad_i64_i32 v[14:15], s[0:1], s15, v21, 0
	v_lshl_add_u64 v[14:15], v[14:15], 1, s[4:5]
	v_lshlrev_b32_e32 v16, 1, v18
	v_mov_b32_e32 v17, 0
	v_lshl_add_u64 v[14:15], v[14:15], 0, v[16:17]
	global_load_dwordx4 v[14:17], v[14:15], off offset:128
.LBB10_41:
	s_or_b64 exec, exec, s[2:3]
	s_branch .LBB10_45
.LBB10_42:
                                        ; implicit-def: $vgpr5
                                        ; implicit-def: $vgpr9
                                        ; implicit-def: $vgpr13
                                        ; implicit-def: $vgpr17
	v_lshrrev_b32_e32 v35, 2, v47
	s_branch .LBB10_46
.LBB10_43:
                                        ; implicit-def: $vgpr5
                                        ; implicit-def: $vgpr9
                                        ; implicit-def: $vgpr13
                                        ; implicit-def: $vgpr17
	s_cbranch_execz .LBB10_45
; %bb.44:
	s_waitcnt vmcnt(0)
	v_mad_u64_u32 v[2:3], s[0:1], v20, s15, v[18:19]
	v_lshlrev_b32_e32 v20, 1, v2
	s_lshl_b32 s2, s15, 7
	s_and_b32 s1, s5, 0xffff
	s_mov_b32 s3, 0x20000
	s_mov_b32 s0, s4
	v_add_lshl_u32 v21, v2, s15, 1
	s_movk_i32 s15, 0x80
	buffer_load_dwordx4 v[2:5], v20, s[0:3], 0 offen
	buffer_load_dwordx4 v[10:13], v20, s[0:3], s15 offen
	;; [unrolled: 1-line block ×4, first 2 shown]
.LBB10_45:
	v_lshrrev_b32_e32 v35, 2, v47
	s_cbranch_execnz .LBB10_58
.LBB10_46:
	s_and_b64 vcc, exec, s[6:7]
	s_cbranch_vccz .LBB10_56
; %bb.47:
	s_waitcnt vmcnt(0)
	v_lshlrev_b32_e32 v7, 1, v30
	v_cmp_gt_i32_e32 vcc, s46, v7
	v_mov_b32_e32 v6, 0
	v_lshlrev_b32_e32 v14, 9, v30
	v_mov_b32_e32 v2, 0
	v_mov_b32_e32 v3, 0
	;; [unrolled: 1-line block ×4, first 2 shown]
	s_and_saveexec_b64 s[0:1], vcc
	s_cbranch_execz .LBB10_49
; %bb.48:
	v_mov_b32_e32 v15, 0
	v_lshl_add_u64 v[2:3], s[4:5], 0, v[14:15]
	v_lshlrev_b32_e32 v4, 1, v18
	v_mov_b32_e32 v5, v15
	v_lshl_add_u64 v[2:3], v[2:3], 0, v[4:5]
	global_load_dwordx4 v[2:5], v[2:3], off
.LBB10_49:
	s_or_b64 exec, exec, s[0:1]
	v_or_b32_e32 v7, 1, v7
	v_cmp_gt_i32_e64 s[0:1], s46, v7
	v_lshlrev_b32_e32 v20, 8, v7
	v_mov_b32_e32 v7, 0
	v_mov_b32_e32 v8, 0
	;; [unrolled: 1-line block ×3, first 2 shown]
	s_and_saveexec_b64 s[2:3], s[0:1]
	s_cbranch_execz .LBB10_51
; %bb.50:
	v_mov_b32_e32 v21, 0
	v_lshl_add_u64 v[6:7], s[4:5], 0, v[20:21]
	v_lshlrev_b32_e32 v8, 1, v18
	v_mov_b32_e32 v9, v21
	v_lshl_add_u64 v[6:7], v[6:7], 0, v[8:9]
	global_load_dwordx4 v[6:9], v[6:7], off
.LBB10_51:
	s_or_b64 exec, exec, s[2:3]
	v_mov_b32_e32 v17, 0
	v_mov_b32_e32 v10, 0
	v_mov_b32_e32 v11, 0
	v_mov_b32_e32 v12, 0
	v_mov_b32_e32 v13, 0
	s_and_saveexec_b64 s[2:3], vcc
	s_cbranch_execz .LBB10_53
; %bb.52:
	v_mov_b32_e32 v15, 0
	v_lshl_add_u64 v[10:11], s[4:5], 0, v[14:15]
	v_lshlrev_b32_e32 v14, 1, v18
	v_lshl_add_u64 v[10:11], v[10:11], 0, v[14:15]
	global_load_dwordx4 v[10:13], v[10:11], off offset:128
.LBB10_53:
	s_or_b64 exec, exec, s[2:3]
	v_mov_b32_e32 v16, 0
	v_mov_b32_e32 v15, 0
	;; [unrolled: 1-line block ×3, first 2 shown]
	s_and_saveexec_b64 s[2:3], s[0:1]
	s_cbranch_execz .LBB10_55
; %bb.54:
	v_mov_b32_e32 v21, 0
	v_lshl_add_u64 v[14:15], s[4:5], 0, v[20:21]
	v_lshlrev_b32_e32 v20, 1, v18
	v_lshl_add_u64 v[14:15], v[14:15], 0, v[20:21]
	global_load_dwordx4 v[14:17], v[14:15], off offset:128
.LBB10_55:
	s_or_b64 exec, exec, s[2:3]
	s_branch .LBB10_58
.LBB10_56:
                                        ; implicit-def: $vgpr5
                                        ; implicit-def: $vgpr9
                                        ; implicit-def: $vgpr13
                                        ; implicit-def: $vgpr17
	s_cbranch_execz .LBB10_58
; %bb.57:
	s_waitcnt vmcnt(0)
	v_lshlrev_b32_e32 v2, 1, v18
	v_lshl_or_b32 v18, v30, 9, v2
	s_and_b32 s5, s5, 0xffff
	s_mov_b32 s7, 0x20000
	s_movk_i32 s6, 0x4000
	s_movk_i32 s0, 0x80
	buffer_load_dwordx4 v[2:5], v18, s[4:7], 0 offen
	buffer_load_dwordx4 v[6:9], v18, s[4:7], 0 offen offset:256
	buffer_load_dwordx4 v[10:13], v18, s[4:7], s0 offen
	buffer_load_dwordx4 v[14:17], v18, s[4:7], s0 offen offset:256
.LBB10_58:
	ds_read_b64 v[20:21], v31 offset:57344
	v_add_u32_e32 v18, 0x6000, v26
	ds_read2_b64 v[36:39], v18 offset1:16
	ds_read_b64 v[94:95], v32 offset:57344
	ds_read_b64 v[96:97], v33 offset:57344
	;; [unrolled: 1-line block ×3, first 2 shown]
	v_and_b32_e32 v31, 6, v0
	v_xor_b32_e32 v30, v30, v31
	v_lshlrev_b32_e32 v30, 2, v30
	s_mov_b32 s0, 0x1000504
	s_mov_b32 s1, 0x3020706
	s_waitcnt lgkmcnt(3)
	v_mfma_f32_16x16x16_bf16 a[0:3], v[20:21], v[36:37], a[0:3]
	v_mfma_f32_16x16x16_bf16 a[4:7], v[20:21], v[38:39], a[4:7]
	ds_read2_b64 v[36:39], v18 offset0:32 offset1:48
	v_and_b32_e32 v18, 12, v35
	ds_read2st64_b64 v[32:35], v26 offset0:52 offset1:56
	s_waitcnt lgkmcnt(1)
	v_mfma_f32_16x16x16_bf16 a[8:11], v[20:21], v[36:37], a[8:11]
	v_mfma_f32_16x16x16_bf16 a[12:15], v[20:21], v[38:39], a[12:15]
	ds_read2st64_b64 v[36:39], v27 offset0:52 offset1:56
	ds_read2st64_b64 v[40:43], v28 offset0:52 offset1:56
	;; [unrolled: 1-line block ×3, first 2 shown]
	s_waitcnt lgkmcnt(3)
	v_mfma_f32_16x16x16_bf16 a[0:3], v[94:95], v[32:33], a[0:3]
	ds_read_b64 v[20:21], v26 offset:30720
	ds_read_b64 v[32:33], v27 offset:30720
	;; [unrolled: 1-line block ×4, first 2 shown]
	s_waitcnt lgkmcnt(6)
	v_mfma_f32_16x16x16_bf16 a[4:7], v[94:95], v[36:37], a[4:7]
	v_and_b32_e32 v36, 1, v0
	v_xor_b32_e32 v37, 0x440, v30
	v_cmp_eq_u32_e32 vcc, 0, v36
	s_waitcnt lgkmcnt(5)
	v_mfma_f32_16x16x16_bf16 a[8:11], v[94:95], v[40:41], a[8:11]
	v_cndmask_b32_e32 v30, v37, v30, vcc
	v_lshl_or_b32 v30, v31, 10, v30
	s_waitcnt lgkmcnt(4)
	v_mfma_f32_16x16x16_bf16 a[12:15], v[94:95], v[90:91], a[12:15]
	s_waitcnt vmcnt(0)
	v_perm_b32 v31, v2, v6, s0
	v_perm_b32 v2, v2, v6, s1
	;; [unrolled: 1-line block ×3, first 2 shown]
	v_mfma_f32_16x16x16_bf16 a[0:3], v[96:97], v[34:35], a[0:3]
	v_perm_b32 v34, v10, v14, s0
	ds_write2st64_b32 v30, v31, v34 offset0:128 offset1:160
	v_xor_b32_e32 v31, 8, v30
	v_add_u32_e32 v10, 0x80, v31
	ds_write2st64_b32 v10, v2, v6 offset0:128 offset1:160
	v_xor_b32_e32 v2, 16, v30
	v_perm_b32 v6, v3, v7, s0
	v_perm_b32 v10, v11, v15, s0
	v_mfma_f32_16x16x16_bf16 a[4:7], v[96:97], v[38:39], a[4:7]
	ds_write2st64_b32 v2, v6, v10 offset0:129 offset1:161
	v_xor_b32_e32 v2, 24, v30
	v_perm_b32 v3, v3, v7, s1
	v_mfma_f32_16x16x16_bf16 a[16:19], v[96:97], v[42:43], a[8:11]
	v_perm_b32 v6, v11, v15, s1
	v_add_u32_e32 v2, 0x80, v2
	ds_write2st64_b32 v2, v3, v6 offset0:129 offset1:161
	v_mfma_f32_16x16x16_bf16 a[20:23], v[96:97], v[92:93], a[12:15]
	v_xor_b32_e32 v2, 32, v30
	v_perm_b32 v3, v4, v8, s0
	v_perm_b32 v6, v12, v16, s0
	ds_write2st64_b32 v2, v3, v6 offset0:130 offset1:162
	v_xor_b32_e32 v2, 40, v30
	s_waitcnt lgkmcnt(8)
	v_mfma_f32_16x16x16_bf16 a[12:15], v[98:99], v[20:21], a[0:3]
	v_perm_b32 v3, v4, v8, s1
	v_perm_b32 v4, v12, v16, s1
	v_add_u32_e32 v2, 0x80, v2
	s_waitcnt lgkmcnt(7)
	v_mfma_f32_16x16x16_bf16 a[8:11], v[98:99], v[32:33], a[4:7]
	ds_write2st64_b32 v2, v3, v4 offset0:130 offset1:162
	v_xor_b32_e32 v2, 48, v30
	v_perm_b32 v3, v5, v9, s0
	s_waitcnt lgkmcnt(7)
	v_mfma_f32_16x16x16_bf16 a[4:7], v[98:99], v[100:101], a[16:19]
	v_perm_b32 v4, v13, v17, s0
	ds_write2st64_b32 v2, v3, v4 offset0:131 offset1:163
	v_xor_b32_e32 v2, 56, v30
	s_waitcnt lgkmcnt(7)
	v_mfma_f32_16x16x16_bf16 a[0:3], v[98:99], v[102:103], a[20:23]
	v_or_b32_e32 v16, v18, v45
	v_perm_b32 v3, v5, v9, s1
	v_perm_b32 v4, v13, v17, s1
	v_add_u32_e32 v2, 0x80, v2
	v_cmp_gt_i32_e32 vcc, s46, v16
	v_mov_b32_e32 v17, 0
	v_mov_b32_e32 v21, 0
	ds_write2st64_b32 v2, v3, v4 offset0:131 offset1:163
	s_and_saveexec_b64 s[0:1], vcc
	s_cbranch_execz .LBB10_60
; %bb.59:
	v_add_u32_e32 v2, s43, v16
	v_ashrrev_i32_e32 v3, 31, v2
	v_mul_lo_u32 v4, v3, s30
	v_mul_lo_u32 v5, v2, s31
	v_mad_u64_u32 v[2:3], s[2:3], v2, s30, 0
	v_add3_u32 v3, v3, v5, v4
	v_lshl_add_u64 v[2:3], v[2:3], 2, s[10:11]
	global_load_dword v2, v[2:3], off
	s_waitcnt vmcnt(0)
	v_sub_f32_e32 v2, s12, v2
	v_exp_f32_e32 v21, v2
.LBB10_60:
	s_or_b64 exec, exec, s[0:1]
	v_or_b32_e32 v8, 1, v16
	v_cmp_gt_i32_e64 s[0:1], s46, v8
	s_and_saveexec_b64 s[2:3], s[0:1]
	s_cbranch_execz .LBB10_62
; %bb.61:
	v_add_u32_e32 v2, s43, v8
	v_ashrrev_i32_e32 v3, 31, v2
	v_mul_lo_u32 v4, v3, s30
	v_mul_lo_u32 v5, v2, s31
	v_mad_u64_u32 v[2:3], s[4:5], v2, s30, 0
	v_add3_u32 v3, v3, v5, v4
	v_lshl_add_u64 v[2:3], v[2:3], 2, s[10:11]
	global_load_dword v2, v[2:3], off
	s_waitcnt vmcnt(0)
	v_sub_f32_e32 v2, s12, v2
	v_exp_f32_e32 v17, v2
.LBB10_62:
	s_or_b64 exec, exec, s[2:3]
	v_or_b32_e32 v9, 2, v16
	v_cmp_gt_i32_e64 s[2:3], s46, v9
	v_mov_b32_e32 v20, 0
	v_mov_b32_e32 v30, 0
	s_and_saveexec_b64 s[4:5], s[2:3]
	s_cbranch_execz .LBB10_64
; %bb.63:
	v_add_u32_e32 v2, s43, v9
	v_ashrrev_i32_e32 v3, 31, v2
	v_mul_lo_u32 v4, v3, s30
	v_mul_lo_u32 v5, v2, s31
	v_mad_u64_u32 v[2:3], s[6:7], v2, s30, 0
	v_add3_u32 v3, v3, v5, v4
	v_lshl_add_u64 v[2:3], v[2:3], 2, s[10:11]
	global_load_dword v2, v[2:3], off
	s_waitcnt vmcnt(0)
	v_sub_f32_e32 v2, s12, v2
	v_exp_f32_e32 v30, v2
.LBB10_64:
	s_or_b64 exec, exec, s[4:5]
	v_or_b32_e32 v31, 3, v16
	v_cmp_gt_i32_e64 s[4:5], s46, v31
	s_and_saveexec_b64 s[6:7], s[4:5]
	s_cbranch_execz .LBB10_66
; %bb.65:
	v_add_u32_e32 v2, s43, v31
	v_ashrrev_i32_e32 v3, 31, v2
	v_mul_lo_u32 v4, v3, s30
	v_mul_lo_u32 v5, v2, s31
	v_mad_u64_u32 v[2:3], s[20:21], v2, s30, 0
	v_add3_u32 v3, v3, v5, v4
	v_lshl_add_u64 v[2:3], v[2:3], 2, s[10:11]
	global_load_dword v2, v[2:3], off
	s_waitcnt vmcnt(0)
	v_sub_f32_e32 v2, s12, v2
	v_exp_f32_e32 v20, v2
.LBB10_66:
	s_or_b64 exec, exec, s[6:7]
	s_add_u32 s6, s8, s24
	v_accvgpr_read_b32 v2, a12
	s_addc_u32 s7, s9, s25
	v_ashrrev_i32_e32 v89, 31, v88
	v_accvgpr_read_b32 v3, a13
	v_accvgpr_read_b32 v4, a14
	;; [unrolled: 1-line block ×3, first 2 shown]
	v_lshl_add_u64 v[6:7], v[88:89], 1, s[6:7]
	v_mov_b32_e32 v13, 0
	v_lshlrev_b32_e32 v10, 8, v16
	v_mov_b32_e32 v11, 0
	s_and_saveexec_b64 s[6:7], vcc
	s_cbranch_execz .LBB10_68
; %bb.67:
	v_mov_b32_e32 v11, 0
	v_lshl_add_u64 v[14:15], v[6:7], 0, v[10:11]
	global_load_ushort v11, v[14:15], off
	s_waitcnt vmcnt(0)
	v_lshlrev_b32_e32 v11, 16, v11
	v_sub_f32_e32 v2, v11, v2
	v_mul_f32_e32 v2, v21, v2
	v_lshrrev_b32_e32 v11, 16, v2
.LBB10_68:
	s_or_b64 exec, exec, s[6:7]
	v_lshlrev_b32_e32 v12, 8, v8
	s_and_saveexec_b64 s[6:7], s[0:1]
	s_cbranch_execz .LBB10_70
; %bb.69:
	v_mov_b32_e32 v13, 0
	v_lshl_add_u64 v[14:15], v[6:7], 0, v[12:13]
	global_load_ushort v2, v[14:15], off
	s_waitcnt vmcnt(0)
	v_lshlrev_b32_e32 v2, 16, v2
	v_sub_f32_e32 v2, v2, v3
	v_mul_f32_e32 v2, v17, v2
	v_lshrrev_b32_e32 v13, 16, v2
.LBB10_70:
	s_or_b64 exec, exec, s[6:7]
	v_mov_b32_e32 v32, 0
	v_lshlrev_b32_e32 v14, 8, v9
	v_mov_b32_e32 v15, 0
	s_and_saveexec_b64 s[6:7], s[2:3]
	s_cbranch_execz .LBB10_72
; %bb.71:
	v_mov_b32_e32 v15, 0
	v_lshl_add_u64 v[2:3], v[6:7], 0, v[14:15]
	global_load_ushort v2, v[2:3], off
	s_waitcnt vmcnt(0)
	v_lshlrev_b32_e32 v2, 16, v2
	v_sub_f32_e32 v2, v2, v4
	v_mul_f32_e32 v2, v30, v2
	v_lshrrev_b32_e32 v15, 16, v2
.LBB10_72:
	s_or_b64 exec, exec, s[6:7]
	v_lshlrev_b32_e32 v8, 8, v31
	s_and_saveexec_b64 s[6:7], s[4:5]
	s_cbranch_execz .LBB10_74
; %bb.73:
	v_mov_b32_e32 v9, 0
	v_lshl_add_u64 v[2:3], v[6:7], 0, v[8:9]
	global_load_ushort v2, v[2:3], off
	s_waitcnt vmcnt(0)
	v_lshlrev_b32_e32 v2, 16, v2
	v_sub_f32_e32 v2, v2, v5
	v_mul_f32_e32 v2, v20, v2
	v_lshrrev_b32_e32 v32, 16, v2
.LBB10_74:
	s_or_b64 exec, exec, s[6:7]
	v_lshlrev_b32_e32 v31, 6, v16
	v_accvgpr_read_b32 v2, a8
	s_mov_b32 s6, 0x5040100
	v_or_b32_e32 v9, v31, v24
	v_accvgpr_read_b32 v3, a9
	v_accvgpr_read_b32 v4, a10
	;; [unrolled: 1-line block ×3, first 2 shown]
	v_perm_b32 v33, v32, v15, s6
	v_perm_b32 v32, v13, v11, s6
	v_lshlrev_b32_e32 v9, 1, v9
	v_mov_b32_e32 v13, 0
	v_mov_b32_e32 v11, 0
	ds_write_b64 v9, v[32:33] offset:24576
	s_and_saveexec_b64 s[6:7], vcc
	s_cbranch_execz .LBB10_76
; %bb.75:
	v_mov_b32_e32 v11, 0
	v_lshl_add_u64 v[32:33], v[6:7], 0, v[10:11]
	global_load_ushort v9, v[32:33], off offset:32
	s_waitcnt vmcnt(0)
	v_lshlrev_b32_e32 v9, 16, v9
	v_sub_f32_e32 v2, v9, v2
	v_mul_f32_e32 v2, v21, v2
	v_lshrrev_b32_e32 v11, 16, v2
.LBB10_76:
	s_or_b64 exec, exec, s[6:7]
	s_and_saveexec_b64 s[6:7], s[0:1]
	s_cbranch_execz .LBB10_78
; %bb.77:
	v_mov_b32_e32 v13, 0
	v_lshl_add_u64 v[32:33], v[6:7], 0, v[12:13]
	global_load_ushort v2, v[32:33], off offset:32
	s_waitcnt vmcnt(0)
	v_lshlrev_b32_e32 v2, 16, v2
	v_sub_f32_e32 v2, v2, v3
	v_mul_f32_e32 v2, v17, v2
	v_lshrrev_b32_e32 v13, 16, v2
.LBB10_78:
	s_or_b64 exec, exec, s[6:7]
	v_mov_b32_e32 v9, 0
	v_mov_b32_e32 v15, 0
	s_and_saveexec_b64 s[6:7], s[2:3]
	s_cbranch_execz .LBB10_80
; %bb.79:
	v_mov_b32_e32 v15, 0
	v_lshl_add_u64 v[2:3], v[6:7], 0, v[14:15]
	global_load_ushort v2, v[2:3], off offset:32
	s_waitcnt vmcnt(0)
	v_lshlrev_b32_e32 v2, 16, v2
	v_sub_f32_e32 v2, v2, v4
	v_mul_f32_e32 v2, v30, v2
	v_lshrrev_b32_e32 v15, 16, v2
.LBB10_80:
	s_or_b64 exec, exec, s[6:7]
	s_and_saveexec_b64 s[6:7], s[4:5]
	s_cbranch_execz .LBB10_82
; %bb.81:
	v_mov_b32_e32 v9, 0
	v_lshl_add_u64 v[2:3], v[6:7], 0, v[8:9]
	global_load_ushort v2, v[2:3], off offset:32
	s_waitcnt vmcnt(0)
	v_lshlrev_b32_e32 v2, 16, v2
	v_sub_f32_e32 v2, v2, v5
	v_mul_f32_e32 v2, v20, v2
	v_lshrrev_b32_e32 v9, 16, v2
.LBB10_82:
	s_or_b64 exec, exec, s[6:7]
	s_mov_b32 s6, 0x5040100
	v_accvgpr_read_b32 v2, a4
	v_perm_b32 v33, v9, v15, s6
	v_or_b32_e32 v9, v31, v23
	v_accvgpr_read_b32 v3, a5
	v_accvgpr_read_b32 v4, a6
	;; [unrolled: 1-line block ×3, first 2 shown]
	v_perm_b32 v32, v13, v11, s6
	v_lshlrev_b32_e32 v9, 1, v9
	v_mov_b32_e32 v13, 0
	v_mov_b32_e32 v11, 0
	ds_write_b64 v9, v[32:33] offset:24576
	s_and_saveexec_b64 s[6:7], vcc
	s_cbranch_execz .LBB10_84
; %bb.83:
	v_mov_b32_e32 v11, 0
	v_lshl_add_u64 v[32:33], v[6:7], 0, v[10:11]
	global_load_ushort v9, v[32:33], off offset:64
	s_waitcnt vmcnt(0)
	v_lshlrev_b32_e32 v9, 16, v9
	v_sub_f32_e32 v2, v9, v2
	v_mul_f32_e32 v2, v21, v2
	v_lshrrev_b32_e32 v11, 16, v2
.LBB10_84:
	s_or_b64 exec, exec, s[6:7]
	s_and_saveexec_b64 s[6:7], s[0:1]
	s_cbranch_execz .LBB10_86
; %bb.85:
	v_mov_b32_e32 v13, 0
	v_lshl_add_u64 v[32:33], v[6:7], 0, v[12:13]
	global_load_ushort v2, v[32:33], off offset:64
	s_waitcnt vmcnt(0)
	v_lshlrev_b32_e32 v2, 16, v2
	v_sub_f32_e32 v2, v2, v3
	v_mul_f32_e32 v2, v17, v2
	v_lshrrev_b32_e32 v13, 16, v2
.LBB10_86:
	s_or_b64 exec, exec, s[6:7]
	v_mov_b32_e32 v9, 0
	v_mov_b32_e32 v15, 0
	s_and_saveexec_b64 s[6:7], s[2:3]
	s_cbranch_execz .LBB10_88
; %bb.87:
	v_mov_b32_e32 v15, 0
	v_lshl_add_u64 v[2:3], v[6:7], 0, v[14:15]
	global_load_ushort v2, v[2:3], off offset:64
	s_waitcnt vmcnt(0)
	v_lshlrev_b32_e32 v2, 16, v2
	v_sub_f32_e32 v2, v2, v4
	v_mul_f32_e32 v2, v30, v2
	v_lshrrev_b32_e32 v15, 16, v2
.LBB10_88:
	s_or_b64 exec, exec, s[6:7]
	s_and_saveexec_b64 s[6:7], s[4:5]
	s_cbranch_execz .LBB10_90
; %bb.89:
	v_mov_b32_e32 v9, 0
	v_lshl_add_u64 v[2:3], v[6:7], 0, v[8:9]
	global_load_ushort v2, v[2:3], off offset:64
	s_waitcnt vmcnt(0)
	v_lshlrev_b32_e32 v2, 16, v2
	v_sub_f32_e32 v2, v2, v5
	v_mul_f32_e32 v2, v20, v2
	v_lshrrev_b32_e32 v9, 16, v2
.LBB10_90:
	s_or_b64 exec, exec, s[6:7]
	s_mov_b32 s6, 0x5040100
	v_accvgpr_read_b32 v5, a3
	v_perm_b32 v33, v9, v15, s6
	v_or_b32_e32 v9, v31, v22
	v_accvgpr_read_b32 v4, a2
	v_accvgpr_read_b32 v3, a1
	;; [unrolled: 1-line block ×3, first 2 shown]
	v_perm_b32 v32, v13, v11, s6
	v_lshlrev_b32_e32 v9, 1, v9
	v_mov_b32_e32 v13, 0
	v_mov_b32_e32 v11, 0
	ds_write_b64 v9, v[32:33] offset:24576
	s_and_saveexec_b64 s[6:7], vcc
	s_cbranch_execz .LBB10_92
; %bb.91:
	v_mov_b32_e32 v11, 0
	v_lshl_add_u64 v[10:11], v[6:7], 0, v[10:11]
	global_load_ushort v9, v[10:11], off offset:96
	s_waitcnt vmcnt(0)
	v_lshlrev_b32_e32 v9, 16, v9
	v_sub_f32_e32 v2, v9, v2
	v_mul_f32_e32 v2, v21, v2
	v_lshrrev_b32_e32 v11, 16, v2
.LBB10_92:
	s_or_b64 exec, exec, s[6:7]
	s_and_saveexec_b64 s[6:7], s[0:1]
	s_cbranch_execz .LBB10_94
; %bb.93:
	v_mov_b32_e32 v13, 0
	v_lshl_add_u64 v[12:13], v[6:7], 0, v[12:13]
	global_load_ushort v2, v[12:13], off offset:96
	s_waitcnt vmcnt(0)
	v_lshlrev_b32_e32 v2, 16, v2
	v_sub_f32_e32 v2, v2, v3
	v_mul_f32_e32 v2, v17, v2
	v_lshrrev_b32_e32 v13, 16, v2
.LBB10_94:
	s_or_b64 exec, exec, s[6:7]
	v_mov_b32_e32 v9, 0
	v_mov_b32_e32 v12, 0
	s_and_saveexec_b64 s[0:1], s[2:3]
	s_cbranch_execz .LBB10_96
; %bb.95:
	v_mov_b32_e32 v15, 0
	v_lshl_add_u64 v[2:3], v[6:7], 0, v[14:15]
	global_load_ushort v2, v[2:3], off offset:96
	s_waitcnt vmcnt(0)
	v_lshlrev_b32_e32 v2, 16, v2
	v_sub_f32_e32 v2, v2, v4
	v_mul_f32_e32 v2, v30, v2
	v_lshrrev_b32_e32 v12, 16, v2
.LBB10_96:
	s_or_b64 exec, exec, s[0:1]
	v_or_b32_e32 v10, 0x6000, v26
	v_or_b32_e32 v2, 0x6000, v27
	;; [unrolled: 1-line block ×4, first 2 shown]
	s_and_saveexec_b64 s[0:1], s[4:5]
	s_cbranch_execz .LBB10_98
; %bb.97:
	v_mov_b32_e32 v9, 0
	v_lshl_add_u64 v[6:7], v[6:7], 0, v[8:9]
	global_load_ushort v6, v[6:7], off offset:96
	s_waitcnt vmcnt(0)
	v_lshlrev_b32_e32 v6, 16, v6
	v_sub_f32_e32 v5, v6, v5
	v_mul_f32_e32 v5, v20, v5
	v_lshrrev_b32_e32 v9, 16, v5
.LBB10_98:
	s_or_b64 exec, exec, s[0:1]
	s_mov_b32 s0, 0x5040100
	v_or_b32_e32 v5, v31, v19
	v_perm_b32 v7, v9, v12, s0
	v_perm_b32 v6, v13, v11, s0
	v_lshlrev_b32_e32 v5, 1, v5
	ds_write_b64 v5, v[6:7] offset:24576
	v_and_b32_e32 v5, 7, v0
	v_and_b32_e32 v11, 8, v0
	v_lshlrev_b32_e32 v17, 3, v5
	v_lshlrev_b32_e32 v19, 7, v5
	v_lshrrev_b32_e32 v5, 1, v0
	v_and_b32_e32 v5, 24, v5
	v_mov_b32_e32 v12, 0x400
	v_cmp_eq_u32_e32 vcc, 0, v11
	s_movk_i32 s2, 0x100
	v_lshlrev_b32_e32 v24, 3, v1
	v_cndmask_b32_e64 v11, v12, 64, vcc
	v_mov_b32_e32 v12, 0xa000
	v_mov_b32_e32 v13, 0x8000
	v_cmp_gt_u32_e64 s[0:1], s2, v0
	v_xor_b32_e32 v40, v24, v5
	s_waitcnt lgkmcnt(0)
	v_cndmask_b32_e64 v0, v12, v13, s[0:1]
	v_or_b32_e32 v12, 0x440, v40
	v_cndmask_b32_e32 v12, v12, v40, vcc
	v_or_b32_e32 v12, v12, v25
	v_xor_b32_e32 v44, v12, v17
	v_add3_u32 v12, v0, v44, v19
	s_barrier
	ds_read_b64 v[20:21], v12
	v_or_b32_e32 v12, 32, v5
	v_xor_b32_e32 v12, v24, v12
	v_or_b32_e32 v13, 0x440, v12
	v_cndmask_b32_e32 v12, v13, v12, vcc
	v_or_b32_e32 v12, v12, v25
	v_xor_b32_e32 v47, v12, v17
	v_add3_u32 v12, v0, v47, v19
	ds_read2_b64 v[6:9], v10 offset1:16
	ds_read_b64 v[38:39], v12
	ds_read2_b64 v[12:15], v10 offset0:32 offset1:48
	v_or3_b32 v11, v25, v11, v40
	v_xor_b32_e32 v11, v11, v17
	v_or_b32_e32 v88, v11, v19
	v_or_b32_e32 v11, v0, v88
	s_waitcnt lgkmcnt(2)
	v_mfma_f32_16x16x16_bf16 a[0:3], v[20:21], v[6:7], 0
	ds_read2st64_b64 v[26:29], v2 offset0:4 offset1:8
	v_or_b32_e32 v5, 0x60, v5
	v_xor_b32_e32 v5, v24, v5
	v_mfma_f32_16x16x16_bf16 a[4:7], v[20:21], v[8:9], 0
	s_add_i32 s0, s14, s49
	s_mul_hi_i32 s1, s0, s13
	s_mul_i32 s0, s0, s13
	s_waitcnt lgkmcnt(1)
	v_mfma_f32_16x16x16_bf16 a[8:11], v[20:21], v[12:13], 0
	s_add_u32 s0, s0, s33
	s_addc_u32 s1, s1, s48
	s_lshl_b64 s[0:1], s[0:1], 9
	v_mfma_f32_16x16x16_bf16 a[12:15], v[20:21], v[14:15], 0
	ds_read2st64_b64 v[20:23], v10 offset0:4 offset1:8
	ds_read2st64_b64 v[30:33], v3 offset0:4 offset1:8
	;; [unrolled: 1-line block ×3, first 2 shown]
	ds_read_b64 v[40:41], v11
	v_xor_b32_e32 v11, 0x440, v5
	v_cndmask_b32_e32 v5, v11, v5, vcc
	s_waitcnt lgkmcnt(3)
	v_mfma_f32_16x16x16_bf16 a[0:3], v[38:39], v[20:21], a[0:3]
	v_or_b32_e32 v5, v5, v25
	v_xor_b32_e32 v17, v5, v17
	v_add3_u32 v0, v0, v17, v19
	v_mfma_f32_16x16x16_bf16 a[4:7], v[38:39], v[26:27], a[4:7]
	s_add_u32 s0, s16, s0
	ds_read_b64 v[24:25], v0
	s_addc_u32 s1, s17, s1
	s_waitcnt lgkmcnt(3)
	v_mfma_f32_16x16x16_bf16 a[8:11], v[38:39], v[30:31], a[8:11]
	v_lshlrev_b32_e32 v0, 2, v16
	ds_read_b64 v[10:11], v10 offset:6144
	v_add_u32_e32 v17, v17, v19
	s_waitcnt lgkmcnt(3)
	v_mfma_f32_16x16x16_bf16 a[12:15], v[38:39], v[34:35], a[12:15]
	s_waitcnt lgkmcnt(2)
	v_mfma_f32_16x16x16_bf16 a[0:3], v[40:41], v[22:23], a[0:3]
	v_mfma_f32_16x16x16_bf16 a[4:7], v[40:41], v[28:29], a[4:7]
	;; [unrolled: 1-line block ×4, first 2 shown]
	ds_read_b64 v[38:39], v2 offset:6144
	ds_read_b64 v[40:41], v3 offset:6144
	;; [unrolled: 1-line block ×3, first 2 shown]
	global_load_dwordx4 v[2:5], v0, s[0:1]
	v_add_u32_e32 v0, v44, v19
	ds_read_b64 v[44:45], v0 offset:40960
	v_lshlrev_b32_e32 v0, 6, v1
	v_lshlrev_b32_e32 v1, 2, v18
	v_or3_b32 v16, v0, v1, s2
	v_add_u32_e32 v0, v47, v19
	s_waitcnt lgkmcnt(4)
	v_mfma_f32_16x16x16_bf16 a[0:3], v[24:25], v[10:11], a[0:3]
	s_waitcnt vmcnt(0)
	v_exp_f32_e32 v2, v2
	s_waitcnt lgkmcnt(3)
	v_mfma_f32_16x16x16_bf16 a[4:7], v[24:25], v[38:39], a[4:7]
	v_exp_f32_e32 v3, v3
	v_exp_f32_e32 v4, v4
	;; [unrolled: 1-line block ×3, first 2 shown]
	s_waitcnt lgkmcnt(2)
	v_mfma_f32_16x16x16_bf16 a[8:11], v[24:25], v[40:41], a[8:11]
	s_waitcnt lgkmcnt(1)
	v_mfma_f32_16x16x16_bf16 a[12:15], v[24:25], v[42:43], a[12:15]
	ds_read_b64 v[0:1], v0 offset:40960
	ds_read_b64 v[24:25], v17 offset:40960
	global_load_dwordx4 v[16:19], v16, s[0:1]
	s_waitcnt lgkmcnt(2)
	v_mfma_f32_16x16x16_bf16 a[16:19], v[44:45], v[6:7], 0
	v_exp_f32_e32 v6, s12
	s_nop 0
	v_pk_mul_f32 v[2:3], v[6:7], v[2:3] op_sel_hi:[0,1]
	v_mfma_f32_16x16x16_bf16 a[24:27], v[44:45], v[12:13], 0
	v_accvgpr_read_b32 v13, a7
	v_accvgpr_read_b32 v12, a6
	v_pk_mul_f32 v[4:5], v[6:7], v[4:5] op_sel_hi:[0,1]
	s_waitcnt lgkmcnt(1)
	v_mfma_f32_16x16x16_bf16 a[16:19], v[0:1], v[20:21], a[16:19]
	ds_read_b64 v[20:21], v88 offset:40960
	v_pk_fma_f32 v[78:79], v[4:5], v[78:79], v[12:13]
	v_mfma_f32_16x16x16_bf16 a[20:23], v[44:45], v[8:9], 0
	v_accvgpr_read_b32 v9, a3
	v_accvgpr_read_b32 v8, a2
	v_pk_fma_f32 v[86:87], v[86:87], v[4:5], v[8:9]
	v_mfma_f32_16x16x16_bf16 a[28:31], v[44:45], v[14:15], 0
	v_accvgpr_read_b32 v15, a11
	v_accvgpr_read_b32 v14, a10
	;; [unrolled: 4-line block ×5, first 2 shown]
	v_pk_fma_f32 v[74:75], v[2:3], v[74:75], v[0:1]
	v_accvgpr_read_b32 v0, a8
	v_accvgpr_read_b32 v1, a9
	s_waitcnt lgkmcnt(0)
	v_mfma_f32_16x16x16_bf16 a[4:7], v[20:21], v[22:23], a[16:19]
	v_pk_fma_f32 v[66:67], v[2:3], v[66:67], v[0:1]
	v_accvgpr_read_b32 v0, a12
	v_accvgpr_read_b32 v1, a13
	v_mfma_f32_16x16x16_bf16 a[8:11], v[20:21], v[28:29], a[20:23]
	v_pk_fma_f32 v[58:59], v[2:3], v[58:59], v[0:1]
	s_waitcnt vmcnt(0)
	v_mov_b32_e32 v0, v17
	v_mfma_f32_16x16x16_bf16 a[12:15], v[20:21], v[32:33], a[24:27]
	v_mov_b32_e32 v1, v18
	v_mov_b32_e32 v2, v19
	v_exp_f32_e32 v9, v0
	v_exp_f32_e32 v0, v1
	;; [unrolled: 1-line block ×3, first 2 shown]
	v_mfma_f32_16x16x16_bf16 a[4:7], v[24:25], v[10:11], a[4:7]
	v_exp_f32_e32 v8, v16
	v_pk_mul_f32 v[0:1], v[6:7], v[0:1] op_sel_hi:[0,1]
	v_mfma_f32_16x16x16_bf16 a[0:3], v[20:21], v[36:37], a[0:3]
	v_pk_mul_f32 v[2:3], v[6:7], v[8:9] op_sel_hi:[0,1]
	v_mfma_f32_16x16x16_bf16 a[8:11], v[24:25], v[38:39], a[8:11]
	s_nop 1
	v_accvgpr_read_b32 v5, a7
	v_accvgpr_read_b32 v4, a6
	v_pk_fma_f32 v[84:85], v[84:85], v[0:1], v[4:5]
	v_mfma_f32_16x16x16_bf16 a[12:15], v[24:25], v[40:41], a[12:15]
	v_accvgpr_read_b32 v13, a5
	v_accvgpr_read_b32 v12, a4
	v_pk_fma_f32 v[80:81], v[80:81], v[2:3], v[12:13]
	v_mfma_f32_16x16x16_bf16 a[0:3], v[24:25], v[42:43], a[0:3]
	v_accvgpr_read_b32 v4, a8
	v_accvgpr_read_b32 v5, a9
	v_pk_fma_f32 v[72:73], v[2:3], v[72:73], v[4:5]
	v_accvgpr_read_b32 v4, a12
	v_accvgpr_read_b32 v5, a13
	v_pk_fma_f32 v[64:65], v[2:3], v[64:65], v[4:5]
	v_accvgpr_read_b32 v7, a11
	v_accvgpr_read_b32 v5, a1
	;; [unrolled: 1-line block ×8, first 2 shown]
	v_pk_fma_f32 v[76:77], v[0:1], v[76:77], v[6:7]
	v_pk_fma_f32 v[68:69], v[0:1], v[68:69], v[8:9]
	;; [unrolled: 1-line block ×4, first 2 shown]
.LBB10_99:
	s_add_u32 s0, s18, s28
	s_addc_u32 s1, s19, s29
	v_lshl_add_u64 v[0:1], v[48:49], 1, s[0:1]
	v_mov_b32_e32 v47, 0
	s_mov_b32 s2, 0x7060302
	v_lshl_add_u64 v[0:1], v[0:1], 0, v[46:47]
	v_perm_b32 v3, v87, v86, s2
	v_perm_b32 v2, v83, v82, s2
	global_store_dwordx2 v[0:1], v[2:3], off
	v_perm_b32 v3, v85, v84, s2
	v_perm_b32 v2, v81, v80, s2
	global_store_dwordx2 v[0:1], v[2:3], off offset:128
	v_lshl_add_u64 v[0:1], v[50:51], 1, s[0:1]
	v_lshl_add_u64 v[0:1], v[0:1], 0, v[46:47]
	v_perm_b32 v3, v79, v78, s2
	v_perm_b32 v2, v75, v74, s2
	global_store_dwordx2 v[0:1], v[2:3], off
	v_perm_b32 v3, v77, v76, s2
	v_perm_b32 v2, v73, v72, s2
	global_store_dwordx2 v[0:1], v[2:3], off offset:128
	v_lshl_add_u64 v[0:1], v[52:53], 1, s[0:1]
	;; [unrolled: 8-line block ×3, first 2 shown]
	v_lshl_add_u64 v[0:1], v[0:1], 0, v[46:47]
	v_perm_b32 v3, v63, v62, s2
	v_perm_b32 v2, v59, v58, s2
	global_store_dwordx2 v[0:1], v[2:3], off
	v_perm_b32 v3, v61, v60, s2
	v_perm_b32 v2, v57, v56, s2
	global_store_dwordx2 v[0:1], v[2:3], off offset:128
	s_endpgm
	.section	.rodata,"a",@progbits
	.p2align	6, 0x0
	.amdhsa_kernel _ZN12_GLOBAL__N_139chunk_gated_delta_rule_fwd_h_hip_kernelILi64ELb1ELb1ELb0ELb0ELb1ELb1ELb1ELb1EEEvPK12hip_bfloat16S3_S3_PKfS5_PKvPS1_S8_PvPKiSB_iiiiilll
		.amdhsa_group_segment_fixed_size 65536
		.amdhsa_private_segment_fixed_size 0
		.amdhsa_kernarg_size 136
		.amdhsa_user_sgpr_count 2
		.amdhsa_user_sgpr_dispatch_ptr 0
		.amdhsa_user_sgpr_queue_ptr 0
		.amdhsa_user_sgpr_kernarg_segment_ptr 1
		.amdhsa_user_sgpr_dispatch_id 0
		.amdhsa_user_sgpr_kernarg_preload_length 0
		.amdhsa_user_sgpr_kernarg_preload_offset 0
		.amdhsa_user_sgpr_private_segment_size 0
		.amdhsa_uses_dynamic_stack 0
		.amdhsa_enable_private_segment 0
		.amdhsa_system_sgpr_workgroup_id_x 1
		.amdhsa_system_sgpr_workgroup_id_y 1
		.amdhsa_system_sgpr_workgroup_id_z 0
		.amdhsa_system_sgpr_workgroup_info 0
		.amdhsa_system_vgpr_workitem_id 0
		.amdhsa_next_free_vgpr 240
		.amdhsa_next_free_sgpr 73
		.amdhsa_accum_offset 200
		.amdhsa_reserve_vcc 1
		.amdhsa_float_round_mode_32 0
		.amdhsa_float_round_mode_16_64 0
		.amdhsa_float_denorm_mode_32 3
		.amdhsa_float_denorm_mode_16_64 3
		.amdhsa_dx10_clamp 1
		.amdhsa_ieee_mode 1
		.amdhsa_fp16_overflow 0
		.amdhsa_tg_split 0
		.amdhsa_exception_fp_ieee_invalid_op 0
		.amdhsa_exception_fp_denorm_src 0
		.amdhsa_exception_fp_ieee_div_zero 0
		.amdhsa_exception_fp_ieee_overflow 0
		.amdhsa_exception_fp_ieee_underflow 0
		.amdhsa_exception_fp_ieee_inexact 0
		.amdhsa_exception_int_div_zero 0
	.end_amdhsa_kernel
	.section	.text._ZN12_GLOBAL__N_139chunk_gated_delta_rule_fwd_h_hip_kernelILi64ELb1ELb1ELb0ELb0ELb1ELb1ELb1ELb1EEEvPK12hip_bfloat16S3_S3_PKfS5_PKvPS1_S8_PvPKiSB_iiiiilll,"axG",@progbits,_ZN12_GLOBAL__N_139chunk_gated_delta_rule_fwd_h_hip_kernelILi64ELb1ELb1ELb0ELb0ELb1ELb1ELb1ELb1EEEvPK12hip_bfloat16S3_S3_PKfS5_PKvPS1_S8_PvPKiSB_iiiiilll,comdat
.Lfunc_end10:
	.size	_ZN12_GLOBAL__N_139chunk_gated_delta_rule_fwd_h_hip_kernelILi64ELb1ELb1ELb0ELb0ELb1ELb1ELb1ELb1EEEvPK12hip_bfloat16S3_S3_PKfS5_PKvPS1_S8_PvPKiSB_iiiiilll, .Lfunc_end10-_ZN12_GLOBAL__N_139chunk_gated_delta_rule_fwd_h_hip_kernelILi64ELb1ELb1ELb0ELb0ELb1ELb1ELb1ELb1EEEvPK12hip_bfloat16S3_S3_PKfS5_PKvPS1_S8_PvPKiSB_iiiiilll
                                        ; -- End function
	.section	.AMDGPU.csdata,"",@progbits
; Kernel info:
; codeLenInByte = 12672
; NumSgprs: 79
; NumVgprs: 198
; NumAgprs: 40
; TotalNumVgprs: 240
; ScratchSize: 0
; MemoryBound: 0
; FloatMode: 240
; IeeeMode: 1
; LDSByteSize: 65536 bytes/workgroup (compile time only)
; SGPRBlocks: 9
; VGPRBlocks: 29
; NumSGPRsForWavesPerEU: 79
; NumVGPRsForWavesPerEU: 240
; AccumOffset: 200
; Occupancy: 1
; WaveLimiterHint : 1
; COMPUTE_PGM_RSRC2:SCRATCH_EN: 0
; COMPUTE_PGM_RSRC2:USER_SGPR: 2
; COMPUTE_PGM_RSRC2:TRAP_HANDLER: 0
; COMPUTE_PGM_RSRC2:TGID_X_EN: 1
; COMPUTE_PGM_RSRC2:TGID_Y_EN: 1
; COMPUTE_PGM_RSRC2:TGID_Z_EN: 0
; COMPUTE_PGM_RSRC2:TIDIG_COMP_CNT: 0
; COMPUTE_PGM_RSRC3_GFX90A:ACCUM_OFFSET: 49
; COMPUTE_PGM_RSRC3_GFX90A:TG_SPLIT: 0
	.section	.text._ZN12_GLOBAL__N_139chunk_gated_delta_rule_fwd_h_hip_kernelILi64ELb1ELb0ELb1ELb0ELb1ELb1ELb1ELb1EEEvPK12hip_bfloat16S3_S3_PKfS5_PKvPS1_S8_PvPKiSB_iiiiilll,"axG",@progbits,_ZN12_GLOBAL__N_139chunk_gated_delta_rule_fwd_h_hip_kernelILi64ELb1ELb0ELb1ELb0ELb1ELb1ELb1ELb1EEEvPK12hip_bfloat16S3_S3_PKfS5_PKvPS1_S8_PvPKiSB_iiiiilll,comdat
	.globl	_ZN12_GLOBAL__N_139chunk_gated_delta_rule_fwd_h_hip_kernelILi64ELb1ELb0ELb1ELb0ELb1ELb1ELb1ELb1EEEvPK12hip_bfloat16S3_S3_PKfS5_PKvPS1_S8_PvPKiSB_iiiiilll ; -- Begin function _ZN12_GLOBAL__N_139chunk_gated_delta_rule_fwd_h_hip_kernelILi64ELb1ELb0ELb1ELb0ELb1ELb1ELb1ELb1EEEvPK12hip_bfloat16S3_S3_PKfS5_PKvPS1_S8_PvPKiSB_iiiiilll
	.p2align	8
	.type	_ZN12_GLOBAL__N_139chunk_gated_delta_rule_fwd_h_hip_kernelILi64ELb1ELb0ELb1ELb0ELb1ELb1ELb1ELb1EEEvPK12hip_bfloat16S3_S3_PKfS5_PKvPS1_S8_PvPKiSB_iiiiilll,@function
_ZN12_GLOBAL__N_139chunk_gated_delta_rule_fwd_h_hip_kernelILi64ELb1ELb0ELb1ELb0ELb1ELb1ELb1ELb1EEEvPK12hip_bfloat16S3_S3_PKfS5_PKvPS1_S8_PvPKiSB_iiiiilll: ; @_ZN12_GLOBAL__N_139chunk_gated_delta_rule_fwd_h_hip_kernelILi64ELb1ELb0ELb1ELb0ELb1ELb1ELb1ELb1EEEvPK12hip_bfloat16S3_S3_PKfS5_PKvPS1_S8_PvPKiSB_iiiiilll
; %bb.0:
	s_load_dwordx4 s[12:15], s[0:1], 0x5c
	s_load_dwordx4 s[20:23], s[0:1], 0x70
	s_abs_i32 s6, s3
	s_ashr_i32 s5, s3, 31
	s_load_dwordx4 s[16:19], s[0:1], 0x28
	s_load_dwordx2 s[28:29], s[0:1], 0x38
	s_waitcnt lgkmcnt(0)
	s_abs_i32 s4, s13
	v_cvt_f32_u32_e32 v1, s4
	s_sub_i32 s8, 0, s4
	s_ashr_i32 s7, s13, 31
	s_xor_b32 s5, s5, s7
	v_rcp_iflag_f32_e32 v1, v1
	v_and_b32_e32 v90, 15, v0
	v_lshrrev_b32_e32 v88, 6, v0
	v_bfe_u32 v89, v0, 4, 2
	v_mul_f32_e32 v1, 0x4f7ffffe, v1
	v_cvt_u32_f32_e32 v1, v1
	v_mov_b32_e32 v7, 0
	v_and_b32_e32 v45, 63, v0
	v_lshrrev_b32_e32 v91, 3, v45
	v_readfirstlane_b32 s9, v1
	s_mul_i32 s8, s8, s9
	s_mul_hi_u32 s8, s9, s8
	s_add_i32 s9, s9, s8
	s_mul_hi_u32 s8, s6, s9
	s_mul_i32 s9, s8, s4
	s_sub_i32 s6, s6, s9
	s_add_i32 s10, s8, 1
	s_sub_i32 s9, s6, s4
	s_cmp_ge_u32 s6, s4
	s_cselect_b32 s8, s10, s8
	s_cselect_b32 s6, s9, s6
	s_add_i32 s9, s8, 1
	s_cmp_ge_u32 s6, s4
	s_cselect_b32 s6, s9, s8
	s_xor_b32 s6, s6, s5
	s_add_i32 s8, s12, 63
	s_sub_i32 s53, s6, s5
	s_ashr_i32 s9, s8, 31
	s_mul_i32 s5, s53, s13
	s_sub_i32 s50, s3, s5
	s_lshr_b32 s3, s9, 26
	s_add_i32 s8, s8, s3
	s_abs_i32 s3, s14
	v_cvt_f32_u32_e32 v1, s3
	s_ashr_i32 s52, s12, 31
	s_lshr_b32 s6, s52, 26
	s_add_i32 s6, s12, s6
	v_rcp_iflag_f32_e32 v1, v1
	s_ashr_i32 s55, s14, 31
	s_ashr_i32 s54, s6, 6
	s_lshl_b32 s38, s2, 6
	v_mul_f32_e32 v1, 0x4f7ffffe, v1
	v_cvt_u32_f32_e32 v1, v1
	s_xor_b32 s2, s7, s55
	s_sub_i32 s6, 0, s3
	s_ashr_i32 s25, s8, 6
	v_readfirstlane_b32 s7, v1
	s_mul_i32 s6, s6, s7
	s_mul_hi_u32 s6, s7, s6
	s_add_i32 s7, s7, s6
	s_mul_hi_u32 s6, s4, s7
	s_mul_i32 s7, s6, s3
	s_sub_i32 s4, s4, s7
	s_add_i32 s7, s6, 1
	s_sub_i32 s8, s4, s3
	s_cmp_ge_u32 s4, s3
	s_cselect_b32 s6, s7, s6
	s_cselect_b32 s4, s8, s4
	s_add_i32 s7, s6, 1
	s_cmp_ge_u32 s4, s3
	s_cselect_b32 s3, s7, s6
	s_xor_b32 s3, s3, s2
	s_sub_i32 s2, s3, s2
	s_abs_i32 s3, s2
	v_cvt_f32_u32_e32 v1, s3
	s_sub_i32 s6, 0, s3
	s_abs_i32 s4, s50
	s_xor_b32 s2, s50, s2
	v_rcp_iflag_f32_e32 v1, v1
	s_ashr_i32 s2, s2, 31
	v_or_b32_e32 v46, s38, v90
	v_lshlrev_b32_e32 v2, 7, v46
	v_mul_f32_e32 v1, 0x4f7ffffe, v1
	v_cvt_u32_f32_e32 v1, v1
	v_or_b32_e32 v10, 0x800, v2
	v_ashrrev_i32_e32 v3, 31, v2
	v_ashrrev_i32_e32 v11, 31, v10
	v_readfirstlane_b32 s7, v1
	s_mul_i32 s6, s6, s7
	s_mul_hi_u32 s6, s7, s6
	s_add_i32 s7, s7, s6
	s_mul_hi_u32 s6, s4, s7
	s_mul_i32 s7, s6, s3
	s_sub_i32 s4, s4, s7
	s_add_i32 s7, s6, 1
	s_sub_i32 s8, s4, s3
	s_cmp_ge_u32 s4, s3
	s_cselect_b32 s6, s7, s6
	s_cselect_b32 s4, s8, s4
	s_add_i32 s7, s6, 1
	s_cmp_ge_u32 s4, s3
	s_cselect_b32 s3, s7, s6
	s_xor_b32 s3, s3, s2
	s_sub_i32 s56, s3, s2
	s_ashr_i32 s24, s53, 31
	s_ashr_i32 s51, s50, 31
	s_mul_hi_i32 s2, s53, s13
	s_add_u32 s40, s5, s50
	s_addc_u32 s41, s2, s51
	s_lshl_b64 s[2:3], s[40:41], 15
	v_lshlrev_b32_e32 v1, 4, v88
	s_add_u32 s2, s16, s2
	v_lshl_or_b32 v93, v89, 2, v1
	s_addc_u32 s3, s17, s3
	v_lshl_add_u64 v[4:5], v[2:3], 1, s[2:3]
	v_lshlrev_b32_e32 v6, 1, v93
	v_lshl_add_u64 v[10:11], v[10:11], 1, s[2:3]
	v_lshl_add_u64 v[4:5], v[4:5], 0, v[6:7]
	;; [unrolled: 1-line block ×3, first 2 shown]
	global_load_dwordx2 v[8:9], v[4:5], off
	v_or_b32_e32 v94, 64, v93
	global_load_dwordx2 v[4:5], v[4:5], off offset:128
	s_nop 0
	global_load_dwordx2 v[12:13], v[10:11], off
	global_load_dwordx2 v[14:15], v[10:11], off offset:128
	v_or_b32_e32 v10, 0x1000, v2
	v_or_b32_e32 v2, 0x1800, v2
	v_ashrrev_i32_e32 v11, 31, v10
	v_ashrrev_i32_e32 v3, 31, v2
	v_lshl_add_u64 v[10:11], v[10:11], 1, s[2:3]
	v_lshl_add_u64 v[2:3], v[2:3], 1, s[2:3]
	;; [unrolled: 1-line block ×4, first 2 shown]
	global_load_dwordx2 v[16:17], v[10:11], off
	s_mul_i32 s57, s53, s25
	global_load_dwordx2 v[10:11], v[10:11], off offset:128
	s_nop 0
	global_load_dwordx2 v[6:7], v[2:3], off
	global_load_dwordx2 v[18:19], v[2:3], off offset:128
	s_load_dwordx8 s[4:11], s[0:1], 0x0
	s_load_dwordx2 s[30:31], s[0:1], 0x80
	s_cmp_lt_i32 s12, 64
	v_lshlrev_b32_e32 v92, 3, v0
	s_mul_i32 s58, s41, s12
	s_mul_hi_u32 s59, s40, s12
	s_mul_i32 s16, s40, s12
	s_mul_i32 s33, s53, s21
	s_mul_hi_u32 s46, s53, s20
	s_mul_i32 s41, s24, s20
	s_mul_i32 s36, s53, s20
	;; [unrolled: 1-line block ×3, first 2 shown]
	s_mul_hi_u32 s48, s50, s22
	s_mul_i32 s49, s51, s22
	s_mul_i32 s34, s50, s22
	s_waitcnt vmcnt(7)
	v_and_b32_e32 v75, 0xffff0000, v8
	v_lshlrev_b32_e32 v74, 16, v8
	v_and_b32_e32 v79, 0xffff0000, v9
	v_lshlrev_b32_e32 v78, 16, v9
	s_waitcnt vmcnt(6)
	v_and_b32_e32 v73, 0xffff0000, v4
	v_lshlrev_b32_e32 v72, 16, v4
	v_and_b32_e32 v77, 0xffff0000, v5
	v_lshlrev_b32_e32 v76, 16, v5
	;; [unrolled: 5-line block ×8, first 2 shown]
	s_cbranch_scc1 .LBB11_18
; %bb.1:
	s_add_i32 s17, s59, s58
	s_lshl_b64 s[2:3], s[16:17], 8
	v_and_b32_e32 v96, 56, v92
	s_waitcnt lgkmcnt(0)
	s_add_u32 s20, s6, s2
	v_lshl_or_b32 v95, v88, 3, v91
	v_lshlrev_b32_e32 v2, 1, v96
	s_addc_u32 s2, s7, s3
	v_lshl_or_b32 v97, v95, 8, v2
	s_and_b32 s21, s2, 0xffff
	s_mov_b32 s23, 0x20000
	s_movk_i32 s22, 0x4000
	s_movk_i32 s2, 0x80
	v_or_b32_e32 v98, 0x2000, v97
	buffer_load_dwordx4 v[4:7], v97, s[20:23], 0 offen
	buffer_load_dwordx4 v[8:11], v97, s[20:23], s2 offen
	;; [unrolled: 1-line block ×4, first 2 shown]
	v_lshlrev_b32_e32 v3, 3, v95
	v_and_or_b32 v21, v0, 7, v3
	v_and_b32_e32 v3, 0x78, v3
	v_lshlrev_b32_e32 v21, 4, v21
	v_xor_b32_e32 v99, v21, v3
	v_mul_lo_u32 v20, v95, s15
	v_or_b32_e32 v100, 0x1000, v99
	v_xor_b32_e32 v3, 8, v99
	s_cmpk_eq_i32 s15, 0x80
	s_mov_b32 s60, s14
	v_xor_b32_e32 v21, 8, v100
	s_cselect_b64 s[2:3], -1, 0
	s_cmpk_lg_i32 s15, 0x80
	s_waitcnt vmcnt(3)
	ds_write_b64 v99, v[4:5] offset:49152
	ds_write_b64 v3, v[6:7] offset:49152
	s_waitcnt vmcnt(2)
	ds_write_b64 v99, v[8:9] offset:57344
	ds_write_b64 v3, v[10:11] offset:57344
	;; [unrolled: 3-line block ×4, first 2 shown]
	v_lshl_add_u32 v3, v20, 1, v96
	s_cbranch_scc0 .LBB11_3
; %bb.2:
	v_lshlrev_b32_e32 v5, 1, v3
	v_add_lshl_u32 v4, v3, s15, 1
	s_lshl_b32 s22, s15, 7
	s_load_dwordx2 s[42:43], s[0:1], 0x20
	v_lshl_or_b32 v2, v95, 9, v2
	s_cbranch_execz .LBB11_4
	s_branch .LBB11_5
.LBB11_3:
                                        ; implicit-def: $vgpr4
                                        ; implicit-def: $vgpr5
                                        ; implicit-def: $sgpr22
	s_load_dwordx2 s[42:43], s[0:1], 0x20
	v_lshl_or_b32 v2, v95, 9, v2
.LBB11_4:
	v_or_b32_e32 v4, 0x100, v2
	s_movk_i32 s22, 0x4000
	v_mov_b32_e32 v5, v2
.LBB11_5:
	s_mul_hi_u32 s0, s14, s12
	s_mul_i32 s1, s55, s12
	s_add_i32 s0, s0, s1
	s_mul_i32 s1, s14, s12
	s_mul_i32 s20, s1, s24
	s_mul_hi_u32 s21, s1, s53
	s_add_i32 s20, s21, s20
	s_mul_i32 s0, s0, s53
	s_add_i32 s20, s20, s0
	s_mul_i32 s1, s1, s53
	s_ashr_i32 s61, s56, 31
	s_add_u32 s0, s1, s56
	s_addc_u32 s1, s20, s61
	s_lshl_b64 s[0:1], s[0:1], 8
	s_add_u32 s20, s4, s0
	s_addc_u32 s0, s5, s1
	s_and_b32 s21, s0, 0xffff
	s_movk_i32 s62, 0x80
	buffer_load_dwordx4 v[6:9], v5, s[20:23], 0 offen
	buffer_load_dwordx4 v[10:13], v5, s[20:23], s62 offen
	;; [unrolled: 1-line block ×4, first 2 shown]
	v_and_b32_e32 v5, 6, v0
	v_lshlrev_b32_e32 v4, 7, v93
	v_xor_b32_e32 v26, v95, v5
	v_and_b32_e32 v22, 1, v0
	v_lshl_or_b32 v29, v90, 3, v4
	v_lshlrev_b32_e32 v26, 2, v26
	v_or_b32_e32 v101, 0x4000, v29
	v_or_b32_e32 v102, 0x6000, v29
	v_xor_b32_e32 v29, 0x440, v26
	v_cmp_eq_u32_e32 vcc, 0, v22
	v_lshlrev_b32_e32 v23, 2, v90
	s_mov_b32 s65, 0x1000504
	v_cndmask_b32_e32 v22, v29, v26, vcc
	v_xor_b32_e32 v27, v93, v23
	v_xor_b32_e32 v28, v94, v23
	v_lshl_or_b32 v5, v5, 10, v22
	s_mov_b32 s66, 0x3020706
	v_lshlrev_b32_e32 v24, 8, v90
	v_or_b32_e32 v25, 16, v90
	v_lshlrev_b32_e32 v27, 1, v27
	v_lshlrev_b32_e32 v28, 1, v28
	v_xor_b32_e32 v22, 8, v5
	v_xor_b32_e32 v26, 24, v5
	;; [unrolled: 1-line block ×4, first 2 shown]
	s_mul_i32 s24, s24, s12
	s_mul_hi_u32 s0, s53, s12
	v_or_b32_e32 v104, v24, v27
	v_or_b32_e32 v105, v24, v28
	v_xor_b32_e32 v24, 16, v5
	v_xor_b32_e32 v29, 32, v5
	;; [unrolled: 1-line block ×3, first 2 shown]
	v_add_u32_e32 v22, 0x80, v22
	v_add_u32_e32 v26, 0x80, v26
	;; [unrolled: 1-line block ×4, first 2 shown]
	s_add_i32 s67, s0, s24
	s_add_i32 s0, s46, s33
	;; [unrolled: 1-line block ×5, first 2 shown]
	s_lshl_b64 s[0:1], s[36:37], 2
	s_add_u32 s20, s10, s0
	s_addc_u32 s21, s11, s1
	s_lshl_b64 s[0:1], s[34:35], 2
	s_add_u32 s44, s20, s0
	s_movk_i32 s0, 0xf8
	s_addc_u32 s45, s21, s1
	s_ashr_i32 s39, s38, 31
	s_lshl_b32 s26, s15, 7
	v_mov_b32_e32 v81, 0
	s_movk_i32 s20, 0x100
	v_lshlrev_b32_e32 v80, 4, v90
	v_ashrrev_i32_e32 v47, 31, v46
	s_mul_i32 s63, s53, s12
	v_lshl_or_b32 v30, v25, 3, v4
	s_mov_b32 s64, 0
	v_or_b32_e32 v103, 0x4000, v30
	s_movk_i32 s22, 0x4000
	v_or_b32_e32 v106, 0x6000, v30
	s_mov_b32 s37, 0x7060302
	s_movk_i32 s68, 0x3000
	s_mov_b32 s70, 0
	s_waitcnt vmcnt(1)
	v_perm_b32 v34, v6, v14, s65
	s_waitcnt vmcnt(0)
	v_perm_b32 v35, v10, v18, s65
	v_perm_b32 v6, v6, v14, s66
	;; [unrolled: 1-line block ×15, first 2 shown]
	ds_write2st64_b32 v5, v34, v35 offset0:128 offset1:160
	ds_write2st64_b32 v22, v6, v10 offset0:128 offset1:160
	;; [unrolled: 1-line block ×8, first 2 shown]
	v_lshlrev_b32_e32 v5, 8, v25
	v_or_b32_e32 v107, v5, v27
	v_or_b32_e32 v108, v5, v28
	;; [unrolled: 1-line block ×3, first 2 shown]
	v_lshl_or_b32 v6, v5, 3, v4
	v_lshlrev_b32_e32 v5, 8, v5
	v_or_b32_e32 v111, v5, v27
	v_or_b32_e32 v112, v5, v28
	;; [unrolled: 1-line block ×5, first 2 shown]
	v_lshl_or_b32 v6, v5, 3, v4
	v_lshlrev_b32_e32 v5, 8, v5
	v_or_b32_e32 v115, v5, v27
	v_or_b32_e32 v116, v5, v28
	;; [unrolled: 1-line block ×3, first 2 shown]
	v_lshlrev_b32_e32 v5, 3, v5
	v_lshrrev_b32_e32 v7, 5, v45
	v_and_or_b32 v7, v5, s0, v7
	v_lshlrev_b32_e32 v7, 4, v7
	v_or_b32_e32 v113, 0x4000, v6
	v_or_b32_e32 v114, 0x6000, v6
	v_lshrrev_b32_e32 v6, 2, v45
	v_lshlrev_b32_e32 v9, 11, v88
	v_and_b32_e32 v5, 0x78, v5
	v_or_b32_e32 v13, 32, v7
	v_and_b32_e32 v8, 12, v6
	v_and_b32_e32 v6, 0x1000, v9
	v_xor_b32_e32 v10, v7, v5
	v_lshrrev_b32_e32 v11, 1, v45
	v_xor_b32_e32 v13, v13, v5
	v_or_b32_e32 v10, v10, v6
	v_and_b32_e32 v11, 8, v11
	v_or_b32_e32 v13, v13, v6
	v_xor_b32_e32 v117, v10, v11
	v_lshlrev_b32_e32 v10, 8, v89
	v_xor_b32_e32 v119, v13, v11
	v_or_b32_e32 v13, 64, v7
	v_or_b32_e32 v7, 0x60, v7
	;; [unrolled: 1-line block ×3, first 2 shown]
	v_xor_b32_e32 v13, v13, v5
	v_xor_b32_e32 v5, v7, v5
	s_lshl_b64 s[0:1], s[38:39], 8
	v_lshlrev_b32_e32 v12, 1, v12
	v_or_b32_e32 v13, v13, v6
	v_or_b32_e32 v5, v5, v6
	s_add_u32 s0, s18, s0
	v_lshlrev_b32_e32 v6, 1, v90
	v_lshlrev_b32_e32 v15, 2, v0
	v_or_b32_e32 v118, 0x4000, v12
	v_or_b32_e32 v120, 0x4080, v12
	;; [unrolled: 1-line block ×4, first 2 shown]
	v_xor_b32_e32 v123, v13, v11
	v_xor_b32_e32 v124, v5, v11
	v_or_b32_e32 v125, 0x6000, v12
	v_or_b32_e32 v126, 0x6080, v12
	;; [unrolled: 1-line block ×4, first 2 shown]
	v_lshlrev_b32_e32 v5, 1, v3
	v_add_lshl_u32 v3, v3, s15, 1
	v_or_b32_e32 v11, 0x100, v2
	v_lshrrev_b32_e32 v12, 4, v0
	s_addc_u32 s1, s19, s1
	v_or_b32_e32 v7, 1, v6
	v_lshrrev_b32_e32 v16, 1, v0
	v_and_or_b32 v10, v15, 60, v10
	v_xor_b32_e32 v13, v12, v6
	v_xor_b32_e32 v14, v7, v12
	v_lshl_add_u64 v[6:7], s[0:1], 0, v[80:81]
	v_and_b32_e32 v16, 24, v16
	v_lshlrev_b32_e32 v10, 1, v10
	v_cndmask_b32_e64 v135, v5, v2, s[2:3]
	v_cndmask_b32_e64 v136, v3, v11, s[2:3]
	v_mov_b32_e32 v3, 0xa000
	v_mov_b32_e32 v5, 0x8000
	v_cmp_gt_u32_e64 s[0:1], s20, v0
	v_lshlrev_b32_e32 v80, 8, v12
	v_or_b32_e32 v131, 0x6000, v10
	v_or_b32_e32 v15, 32, v16
	v_or_b32_e32 v132, 0x6080, v10
	v_or_b32_e32 v133, 0x6100, v10
	v_or_b32_e32 v134, 0x6180, v10
	v_or_b32_e32 v10, 0x60, v16
	v_cndmask_b32_e64 v3, v3, v5, s[0:1]
	v_lshlrev_b32_e32 v5, 3, v88
	v_lshl_or_b32 v129, v13, 3, v80
	v_and_b32_e32 v13, 8, v0
	v_xor_b32_e32 v11, v5, v16
	v_xor_b32_e32 v15, v5, v15
	v_xor_b32_e32 v5, v5, v10
	v_mov_b32_e32 v17, 0x400
	v_cmp_eq_u32_e32 vcc, 0, v13
	v_or_b32_e32 v16, 0x440, v11
	v_or_b32_e32 v18, 0x440, v15
	v_xor_b32_e32 v10, 0x440, v5
	v_and_b32_e32 v12, 7, v0
	v_cndmask_b32_e64 v13, v17, 64, vcc
	v_cndmask_b32_e32 v16, v16, v11, vcc
	v_cndmask_b32_e32 v15, v18, v15, vcc
	v_cndmask_b32_e32 v5, v10, v5, vcc
	v_lshl_or_b32 v130, v14, 3, v80
	v_lshlrev_b32_e32 v14, 3, v12
	v_or_b32_e32 v16, v16, v9
	v_or_b32_e32 v15, v15, v9
	v_or3_b32 v11, v9, v13, v11
	v_or_b32_e32 v5, v5, v9
	v_lshlrev_b32_e32 v12, 7, v12
	v_xor_b32_e32 v16, v16, v14
	v_xor_b32_e32 v15, v15, v14
	;; [unrolled: 1-line block ×4, first 2 shown]
	v_or_b32_e32 v2, v1, v8
	v_add_u32_e32 v17, v3, v16
	v_add_u32_e32 v18, v3, v15
	v_or_b32_e32 v137, v11, v12
	v_add_u32_e32 v9, v3, v5
	v_or3_b32 v8, v1, v8, 64
	v_add_u32_e32 v13, 0xa000, v16
	v_add_u32_e32 v14, 0xa000, v15
	;; [unrolled: 1-line block ×3, first 2 shown]
	v_lshlrev_b64 v[10:11], 1, v[46:47]
	v_lshl_add_u64 v[82:83], s[8:9], 0, v[10:11]
	v_lshl_add_u64 v[84:85], s[28:29], 0, v[10:11]
	;; [unrolled: 1-line block ×3, first 2 shown]
	s_add_i32 s35, s63, 63
	v_lshlrev_b32_e32 v80, 1, v4
	s_movk_i32 s39, 0x2000
	v_lshlrev_b32_e32 v47, 2, v2
	v_add_u32_e32 v138, v17, v12
	v_add_u32_e32 v139, v18, v12
	;; [unrolled: 1-line block ×4, first 2 shown]
	v_lshlrev_b32_e32 v142, 2, v8
	v_add_u32_e32 v143, v13, v12
	v_add_u32_e32 v144, v14, v12
	;; [unrolled: 1-line block ×3, first 2 shown]
	s_waitcnt lgkmcnt(0)
	s_barrier
.LBB11_6:                               ; =>This Inner Loop Header: Depth=1
	s_add_i32 s69, s70, 1
	s_cmp_lt_i32 s69, s54
	s_mov_b64 s[24:25], 0
	s_cselect_b64 s[2:3], -1, 0
	s_cmp_ge_i32 s69, s54
	s_mov_b64 s[20:21], 0
	s_cbranch_scc1 .LBB11_8
; %bb.7:                                ;   in Loop: Header=BB11_6 Depth=1
	s_add_i32 s0, s64, 64
	s_add_u32 s0, s16, s0
	s_addc_u32 s1, s17, 0
	s_lshl_b64 s[0:1], s[0:1], 8
	s_add_u32 s20, s6, s0
	s_addc_u32 s21, s7, s1
.LBB11_8:                               ;   in Loop: Header=BB11_6 Depth=1
	v_cndmask_b32_e64 v2, 0, 1, s[2:3]
	v_cmp_ne_u32_e64 s[0:1], 1, v2
	s_andn2_b64 vcc, exec, s[2:3]
	s_cbranch_vccnz .LBB11_10
; %bb.9:                                ;   in Loop: Header=BB11_6 Depth=1
	s_add_i32 s2, s64, 64
	s_add_u32 s2, s63, s2
	s_addc_u32 s3, s67, 0
	s_mul_i32 s24, s2, s55
	s_mul_hi_u32 s25, s2, s60
	s_add_i32 s24, s25, s24
	s_mul_i32 s3, s3, s60
	s_add_i32 s24, s24, s3
	s_mul_i32 s2, s2, s60
	s_add_u32 s2, s2, s56
	s_addc_u32 s3, s24, s61
	s_lshl_b64 s[2:3], s[2:3], 8
	s_add_u32 s24, s4, s2
	s_addc_u32 s25, s5, s3
.LBB11_10:                              ;   in Loop: Header=BB11_6 Depth=1
	v_perm_b32 v3, v79, v78, s37
	v_perm_b32 v2, v75, v74, s37
	v_perm_b32 v5, v77, v76, s37
	v_perm_b32 v4, v73, v72, s37
	ds_write_b64 v101, v[2:3]
	ds_write_b64 v102, v[4:5]
	ds_write_b64 v104, v[2:3]
	ds_write_b64 v105, v[4:5]
	v_perm_b32 v3, v71, v70, s37
	v_perm_b32 v2, v67, v66, s37
	v_perm_b32 v5, v69, v68, s37
	v_perm_b32 v4, v65, v64, s37
	ds_write_b64 v103, v[2:3]
	ds_write_b64 v106, v[4:5]
	ds_write_b64 v107, v[2:3]
	ds_write_b64 v108, v[4:5]
	;; [unrolled: 8-line block ×4, first 2 shown]
	s_waitcnt lgkmcnt(0)
	s_barrier
	ds_read_b64 v[6:7], v117 offset:49152
	ds_read2_b64 v[2:5], v118 offset1:16
	ds_read_b64 v[18:19], v120 offset:6144
	ds_read_b64 v[20:21], v118 offset:6144
	s_waitcnt lgkmcnt(2)
	v_mfma_f32_16x16x16_bf16 a[0:3], v[6:7], v[2:3], 0
	ds_read_b64 v[22:23], v119 offset:49152
	ds_read2st64_b64 v[10:13], v121 offset0:4 offset1:8
	ds_read2st64_b64 v[14:17], v122 offset0:4 offset1:8
	v_mfma_f32_16x16x16_bf16 a[4:7], v[6:7], v[4:5], 0
	ds_read2_b64 v[2:5], v118 offset0:32 offset1:48
	s_add_i32 s2, s64, 63
	s_mul_i32 s3, s2, s31
	s_waitcnt lgkmcnt(0)
	v_mfma_f32_16x16x16_bf16 a[8:11], v[6:7], v[2:3], 0
	s_mul_hi_u32 s27, s2, s30
	s_add_i32 s3, s27, s3
	s_mul_i32 s2, s2, s30
	v_mfma_f32_16x16x16_bf16 a[12:15], v[6:7], v[4:5], 0
	ds_read2st64_b64 v[2:5], v118 offset0:4 offset1:8
	ds_read2st64_b64 v[6:9], v120 offset0:4 offset1:8
	s_lshl_b64 s[2:3], s[2:3], 2
	s_waitcnt lgkmcnt(1)
	v_mfma_f32_16x16x16_bf16 a[0:3], v[22:23], v[2:3], a[0:3]
	s_add_u32 s2, s44, s2
	s_addc_u32 s3, s45, s3
	s_and_b64 vcc, exec, s[0:1]
	s_waitcnt lgkmcnt(0)
	v_mfma_f32_16x16x16_bf16 a[4:7], v[22:23], v[6:7], a[4:7]
	v_mov_b32_e32 v148, 0
	v_mov_b32_e32 v147, 0
	;; [unrolled: 1-line block ×3, first 2 shown]
	v_mfma_f32_16x16x16_bf16 a[8:11], v[22:23], v[10:11], a[8:11]
	ds_read_b64 v[2:3], v123 offset:49152
	ds_read_b64 v[6:7], v124 offset:49152
	;; [unrolled: 1-line block ×3, first 2 shown]
	v_mfma_f32_16x16x16_bf16 a[12:15], v[22:23], v[14:15], a[12:15]
	v_mov_b32_e32 v14, 0
	v_mov_b32_e32 v15, 0
	s_waitcnt lgkmcnt(2)
	v_mfma_f32_16x16x16_bf16 a[0:3], v[2:3], v[4:5], a[0:3]
	v_mov_b32_e32 v4, 0
	v_mov_b32_e32 v5, 0
	v_mfma_f32_16x16x16_bf16 a[16:19], v[2:3], v[8:9], a[4:7]
	v_mov_b32_e32 v8, 0
	v_mov_b32_e32 v9, 0
	;; [unrolled: 3-line block ×3, first 2 shown]
	v_mfma_f32_16x16x16_bf16 a[24:27], v[2:3], v[16:17], a[12:15]
	ds_read_b64 v[2:3], v121 offset:6144
	v_mov_b32_e32 v16, 0
	v_mov_b32_e32 v17, 0
	s_waitcnt lgkmcnt(2)
	v_mfma_f32_16x16x16_bf16 a[4:7], v[6:7], v[20:21], a[0:3]
	v_mfma_f32_16x16x16_bf16 a[8:11], v[6:7], v[18:19], a[16:19]
	s_waitcnt lgkmcnt(0)
	v_mfma_f32_16x16x16_bf16 a[12:15], v[6:7], v[2:3], a[20:23]
	v_mov_b32_e32 v2, 0
	v_mov_b32_e32 v3, 0
	v_mfma_f32_16x16x16_bf16 a[0:3], v[6:7], v[10:11], a[24:27]
	v_mov_b32_e32 v6, 0
	v_mov_b32_e32 v7, 0
	;; [unrolled: 1-line block ×4, first 2 shown]
	s_cbranch_vccnz .LBB11_12
; %bb.11:                               ;   in Loop: Header=BB11_6 Depth=1
	s_and_b32 s21, s21, 0xffff
	buffer_load_dwordx4 v[14:17], v97, s[20:23], 0 offen
	buffer_load_dwordx4 v[10:13], v97, s[20:23], s62 offen
	buffer_load_dwordx4 v[6:9], v98, s[20:23], 0 offen
	buffer_load_dwordx4 v[2:5], v98, s[20:23], s62 offen
	v_mov_b32_e32 v147, v99
	v_mov_b32_e32 v146, v100
.LBB11_12:                              ;   in Loop: Header=BB11_6 Depth=1
	ds_read_b64 v[30:31], v117 offset:57344
	ds_read2_b64 v[18:21], v125 offset1:16
	ds_read_b64 v[34:35], v119 offset:57344
	ds_read_b64 v[36:37], v123 offset:57344
	;; [unrolled: 1-line block ×3, first 2 shown]
	v_add_u32_e32 v32, s64, v93
	s_waitcnt lgkmcnt(3)
	v_mfma_f32_16x16x16_bf16 a[4:7], v[30:31], v[18:19], a[4:7]
	v_mfma_f32_16x16x16_bf16 a[8:11], v[30:31], v[20:21], a[8:11]
	ds_read2_b64 v[18:21], v125 offset0:32 offset1:48
	ds_read2st64_b64 v[22:25], v125 offset0:4 offset1:8
	ds_read2st64_b64 v[26:29], v126 offset0:4 offset1:8
	s_waitcnt lgkmcnt(2)
	v_mfma_f32_16x16x16_bf16 a[12:15], v[30:31], v[18:19], a[12:15]
	v_ashrrev_i32_e32 v18, 31, v32
	v_mul_lo_u32 v33, v18, s30
	v_mad_u64_u32 v[18:19], s[20:21], v32, s30, 0
	v_mfma_f32_16x16x16_bf16 a[0:3], v[30:31], v[20:21], a[0:3]
	v_mul_lo_u32 v20, v32, s31
	v_add3_u32 v19, v19, v20, v33
	v_add_u32_e32 v20, 1, v32
	v_ashrrev_i32_e32 v21, 31, v20
	s_waitcnt lgkmcnt(1)
	v_mfma_f32_16x16x16_bf16 a[4:7], v[34:35], v[22:23], a[4:7]
	v_mul_lo_u32 v22, v21, s30
	v_mul_lo_u32 v23, v20, s31
	v_mad_u64_u32 v[20:21], s[20:21], v20, s30, 0
	v_add3_u32 v21, v21, v23, v22
	v_add_u32_e32 v22, 2, v32
	v_ashrrev_i32_e32 v23, 31, v22
	v_mul_lo_u32 v30, v23, s30
	v_mul_lo_u32 v31, v22, s31
	v_mad_u64_u32 v[22:23], s[20:21], v22, s30, 0
	v_add3_u32 v23, v23, v31, v30
	v_add_u32_e32 v30, 3, v32
	v_ashrrev_i32_e32 v31, 31, v30
	v_mul_lo_u32 v32, v31, s30
	v_mul_lo_u32 v33, v30, s31
	v_mad_u64_u32 v[30:31], s[20:21], v30, s30, 0
	s_add_u32 s20, s16, s64
	v_lshl_add_u64 v[18:19], v[18:19], 2, s[44:45]
	v_add3_u32 v31, v31, v33, v32
	s_addc_u32 s21, s17, 0
	v_lshl_add_u64 v[20:21], v[20:21], 2, s[44:45]
	global_load_dword v40, v[18:19], off
	v_lshl_add_u64 v[18:19], v[30:31], 2, s[44:45]
	s_lshl_b64 s[20:21], s[20:21], 8
	v_lshl_add_u64 v[22:23], v[22:23], 2, s[44:45]
	global_load_dword v41, v[20:21], off
	global_load_dword v42, v[22:23], off
	;; [unrolled: 1-line block ×3, first 2 shown]
	v_lshl_add_u64 v[18:19], v[82:83], 0, s[20:21]
	v_lshl_add_u64 v[22:23], v[18:19], 0, v[80:81]
	global_load_ushort v44, v[22:23], off offset:256
	global_load_ushort v149, v[22:23], off
	ds_read2st64_b64 v[18:21], v127 offset0:4 offset1:8
	global_load_ushort v150, v[22:23], off offset:768
	global_load_ushort v151, v[22:23], off offset:512
	ds_read2st64_b64 v[30:33], v128 offset0:4 offset1:8
	global_load_ushort v152, v[22:23], off offset:288
	global_load_ushort v153, v[22:23], off offset:32
	;; [unrolled: 1-line block ×4, first 2 shown]
	s_waitcnt lgkmcnt(2)
	v_mfma_f32_16x16x16_bf16 a[8:11], v[34:35], v[26:27], a[8:11]
	global_load_ushort v156, v[22:23], off offset:320
	global_load_ushort v157, v[22:23], off offset:64
	;; [unrolled: 1-line block ×4, first 2 shown]
	s_and_b64 vcc, exec, s[0:1]
	s_waitcnt lgkmcnt(1)
	v_mfma_f32_16x16x16_bf16 a[12:15], v[34:35], v[18:19], a[12:15]
	ds_read_b64 v[18:19], v125 offset:6144
	s_waitcnt lgkmcnt(1)
	v_mfma_f32_16x16x16_bf16 a[0:3], v[34:35], v[30:31], a[0:3]
	v_lshl_add_u64 v[30:31], v[84:85], 0, s[20:21]
	v_lshl_add_u64 v[30:31], v[30:31], 0, v[80:81]
	v_mfma_f32_16x16x16_bf16 a[4:7], v[36:37], v[24:25], a[4:7]
	v_mfma_f32_16x16x16_bf16 a[8:11], v[36:37], v[28:29], a[8:11]
	;; [unrolled: 1-line block ×4, first 2 shown]
	global_load_ushort v36, v[22:23], off offset:352
	global_load_ushort v37, v[22:23], off offset:96
	ds_read_b64 v[20:21], v126 offset:6144
	ds_read_b64 v[24:25], v127 offset:6144
	;; [unrolled: 1-line block ×3, first 2 shown]
	s_load_dword s2, s[2:3], 0x0
	global_load_ushort v160, v[22:23], off offset:864
	global_load_ushort v161, v[22:23], off offset:608
	s_waitcnt lgkmcnt(0)
	v_mfma_f32_16x16x16_bf16 a[4:7], v[38:39], v[18:19], a[4:7]
	s_waitcnt vmcnt(17)
	v_sub_f32_e32 v28, s2, v42
	v_mfma_f32_16x16x16_bf16 a[0:3], v[38:39], v[26:27], a[0:3]
	v_sub_f32_e32 v26, s2, v40
	v_sub_f32_e32 v27, s2, v41
	s_waitcnt vmcnt(16)
	v_sub_f32_e32 v29, s2, v43
	v_mfma_f32_16x16x16_bf16 a[8:11], v[38:39], v[20:21], a[8:11]
	v_exp_f32_e32 v26, v26
	v_exp_f32_e32 v27, v27
	;; [unrolled: 1-line block ×4, first 2 shown]
	v_accvgpr_read_b32 v35, a5
	s_waitcnt vmcnt(15)
	v_lshlrev_b32_e32 v33, 16, v44
	s_waitcnt vmcnt(14)
	v_lshlrev_b32_e32 v32, 16, v149
	v_accvgpr_read_b32 v34, a4
	v_accvgpr_read_b32 v19, a7
	;; [unrolled: 1-line block ×3, first 2 shown]
	v_pk_add_f32 v[32:33], v[32:33], v[34:35] neg_lo:[0,1] neg_hi:[0,1]
	s_waitcnt vmcnt(13)
	v_lshlrev_b32_e32 v35, 16, v150
	s_waitcnt vmcnt(12)
	v_lshlrev_b32_e32 v34, 16, v151
	v_pk_add_f32 v[18:19], v[34:35], v[18:19] neg_lo:[0,1] neg_hi:[0,1]
	global_store_short_d16_hi v[30:31], v32, off
	global_store_short_d16_hi v[30:31], v33, off offset:256
	global_store_short_d16_hi v[30:31], v18, off offset:512
	;; [unrolled: 1-line block ×3, first 2 shown]
	v_pk_mul_f32 v[32:33], v[26:27], v[32:33]
	v_pk_mul_f32 v[18:19], v[28:29], v[18:19]
	v_accvgpr_read_b32 v35, a9
	v_perm_b32 v32, v33, v32, s37
	v_perm_b32 v33, v19, v18, s37
	s_waitcnt vmcnt(15)
	v_lshlrev_b32_e32 v19, 16, v152
	s_waitcnt vmcnt(14)
	v_lshlrev_b32_e32 v18, 16, v153
	v_accvgpr_read_b32 v34, a8
	v_accvgpr_read_b32 v21, a11
	v_mfma_f32_16x16x16_bf16 a[12:15], v[38:39], v[24:25], a[12:15]
	v_accvgpr_read_b32 v20, a10
	v_pk_add_f32 v[18:19], v[18:19], v[34:35] neg_lo:[0,1] neg_hi:[0,1]
	s_waitcnt vmcnt(13)
	v_lshlrev_b32_e32 v35, 16, v154
	s_waitcnt vmcnt(12)
	v_lshlrev_b32_e32 v34, 16, v155
	v_pk_add_f32 v[20:21], v[34:35], v[20:21] neg_lo:[0,1] neg_hi:[0,1]
	global_store_short_d16_hi v[30:31], v18, off offset:32
	global_store_short_d16_hi v[30:31], v19, off offset:288
	;; [unrolled: 1-line block ×4, first 2 shown]
	v_pk_mul_f32 v[18:19], v[26:27], v[18:19]
	v_pk_mul_f32 v[20:21], v[28:29], v[20:21]
	v_accvgpr_read_b32 v23, a15
	v_perm_b32 v21, v21, v20, s37
	v_perm_b32 v20, v19, v18, s37
	ds_write2_b64 v102, v[32:33], v[20:21] offset1:16
	v_accvgpr_read_b32 v21, a13
	s_waitcnt vmcnt(15)
	v_lshlrev_b32_e32 v19, 16, v156
	s_waitcnt vmcnt(14)
	v_lshlrev_b32_e32 v18, 16, v157
	v_accvgpr_read_b32 v20, a12
	v_accvgpr_read_b32 v22, a14
	v_pk_add_f32 v[18:19], v[18:19], v[20:21] neg_lo:[0,1] neg_hi:[0,1]
	s_waitcnt vmcnt(13)
	v_lshlrev_b32_e32 v21, 16, v158
	s_waitcnt vmcnt(12)
	v_lshlrev_b32_e32 v20, 16, v159
	v_pk_add_f32 v[20:21], v[20:21], v[22:23] neg_lo:[0,1] neg_hi:[0,1]
	global_store_short_d16_hi v[30:31], v18, off offset:64
	global_store_short_d16_hi v[30:31], v19, off offset:320
	;; [unrolled: 1-line block ×4, first 2 shown]
	v_pk_mul_f32 v[18:19], v[26:27], v[18:19]
	v_pk_mul_f32 v[20:21], v[28:29], v[20:21]
	v_accvgpr_read_b32 v23, a1
	v_perm_b32 v18, v19, v18, s37
	v_perm_b32 v19, v21, v20, s37
	s_waitcnt vmcnt(15)
	v_lshlrev_b32_e32 v21, 16, v36
	s_waitcnt vmcnt(14)
	v_lshlrev_b32_e32 v20, 16, v37
	v_accvgpr_read_b32 v22, a0
	v_accvgpr_read_b32 v25, a3
	;; [unrolled: 1-line block ×3, first 2 shown]
	v_pk_add_f32 v[20:21], v[20:21], v[22:23] neg_lo:[0,1] neg_hi:[0,1]
	s_waitcnt vmcnt(13)
	v_lshlrev_b32_e32 v23, 16, v160
	s_waitcnt vmcnt(12)
	v_lshlrev_b32_e32 v22, 16, v161
	v_pk_add_f32 v[22:23], v[22:23], v[24:25] neg_lo:[0,1] neg_hi:[0,1]
	global_store_short_d16_hi v[30:31], v20, off offset:96
	global_store_short_d16_hi v[30:31], v21, off offset:352
	;; [unrolled: 1-line block ×4, first 2 shown]
	v_pk_mul_f32 v[20:21], v[26:27], v[20:21]
	v_pk_mul_f32 v[22:23], v[28:29], v[22:23]
	v_mov_b32_e32 v149, 0
	v_perm_b32 v23, v23, v22, s37
	v_perm_b32 v22, v21, v20, s37
	ds_write2_b64 v102, v[18:19], v[22:23] offset0:32 offset1:48
	v_mov_b32_e32 v18, 0
	v_mov_b32_e32 v19, 0
	;; [unrolled: 1-line block ×16, first 2 shown]
	s_cbranch_vccnz .LBB11_14
; %bb.13:                               ;   in Loop: Header=BB11_6 Depth=1
	s_and_b32 s25, s25, 0xffff
	s_mov_b32 s27, s23
	buffer_load_dwordx4 v[30:33], v135, s[24:27], 0 offen
	buffer_load_dwordx4 v[22:25], v135, s[24:27], s62 offen
	buffer_load_dwordx4 v[26:29], v136, s[24:27], 0 offen
	buffer_load_dwordx4 v[18:21], v136, s[24:27], s62 offen
	v_mov_b32_e32 v148, v96
	v_mov_b32_e32 v149, v95
.LBB11_14:                              ;   in Loop: Header=BB11_6 Depth=1
	s_waitcnt lgkmcnt(0)
	s_barrier
	ds_read_b64 v[42:43], v138
	ds_read2_b64 v[34:37], v131 offset1:16
	ds_read_b64 v[166:167], v139
	ds_read_b64 v[168:169], v140
	;; [unrolled: 1-line block ×3, first 2 shown]
	ds_read2_b64 v[38:41], v131 offset0:32 offset1:48
	ds_read2st64_b64 v[150:153], v131 offset0:4 offset1:8
	ds_read2st64_b64 v[154:157], v132 offset0:4 offset1:8
	;; [unrolled: 1-line block ×4, first 2 shown]
	s_waitcnt lgkmcnt(8)
	v_mfma_f32_16x16x16_bf16 a[0:3], v[42:43], v[34:35], 0
	s_add_i32 s3, s57, s70
	s_mul_hi_i32 s21, s3, s13
	s_mul_i32 s3, s3, s13
	v_mfma_f32_16x16x16_bf16 a[4:7], v[42:43], v[36:37], 0
	s_add_u32 s20, s3, s50
	s_addc_u32 s21, s21, s51
	s_add_i32 s3, s35, s64
	s_waitcnt lgkmcnt(4)
	v_mfma_f32_16x16x16_bf16 a[8:11], v[42:43], v[38:39], 0
	s_lshl_b64 s[20:21], s[20:21], 15
	s_mul_hi_i32 s25, s3, s13
	s_mul_i32 s3, s3, s13
	v_mfma_f32_16x16x16_bf16 a[12:15], v[42:43], v[40:41], 0
	ds_read_b64 v[42:43], v131 offset:6144
	ds_read_b64 v[178:179], v132 offset:6144
	;; [unrolled: 1-line block ×4, first 2 shown]
	s_add_u32 s24, s3, s50
	s_waitcnt lgkmcnt(7)
	v_mfma_f32_16x16x16_bf16 a[0:3], v[166:167], v[150:151], a[0:3]
	s_addc_u32 s25, s25, s51
	s_lshl_b64 s[24:25], s[24:25], 9
	s_add_u32 s24, s42, s24
	s_waitcnt lgkmcnt(6)
	v_mfma_f32_16x16x16_bf16 a[4:7], v[166:167], v[154:155], a[4:7]
	s_addc_u32 s25, s43, s25
	v_lshl_add_u64 v[188:189], v[86:87], 0, s[20:21]
	s_waitcnt lgkmcnt(5)
	v_mfma_f32_16x16x16_bf16 a[8:11], v[166:167], v[158:159], a[8:11]
	s_waitcnt lgkmcnt(4)
	v_mfma_f32_16x16x16_bf16 a[12:15], v[166:167], v[162:163], a[12:15]
	ds_read_b64 v[166:167], v143
	ds_read_b64 v[176:177], v144
	;; [unrolled: 1-line block ×3, first 2 shown]
	s_waitcnt lgkmcnt(2)
	v_mfma_f32_16x16x16_bf16 a[16:19], v[166:167], v[34:35], 0
	v_mfma_f32_16x16x16_bf16 a[20:23], v[166:167], v[36:37], 0
	global_load_dwordx4 v[34:37], v142, s[24:25]
	v_mfma_f32_16x16x16_bf16 a[24:27], v[166:167], v[38:39], 0
	v_mfma_f32_16x16x16_bf16 a[28:31], v[166:167], v[40:41], 0
	global_load_dwordx4 v[38:41], v47, s[24:25]
	v_mfma_f32_16x16x16_bf16 a[0:3], v[168:169], v[152:153], a[0:3]
	v_mfma_f32_16x16x16_bf16 a[4:7], v[168:169], v[156:157], a[4:7]
	;; [unrolled: 1-line block ×8, first 2 shown]
	ds_read2st64_b64 v[166:169], v129 offset1:8
	ds_read2st64_b64 v[170:173], v130 offset1:8
	ds_read_b64 v[186:187], v137 offset:40960
	s_waitcnt lgkmcnt(2)
	v_mov_b32_e32 v174, v166
	v_mfma_f32_16x16x16_bf16 a[16:19], v[176:177], v[150:151], a[16:19]
	v_mov_b32_e32 v175, v167
	v_mfma_f32_16x16x16_bf16 a[20:23], v[176:177], v[154:155], a[20:23]
	v_mfma_f32_16x16x16_bf16 a[24:27], v[176:177], v[158:159], a[24:27]
	;; [unrolled: 1-line block ×3, first 2 shown]
	v_add_co_u32_e32 v162, vcc, s39, v188
	s_waitcnt lgkmcnt(1)
	v_mov_b32_e32 v176, v170
	s_waitcnt lgkmcnt(0)
	v_mfma_f32_16x16x16_bf16 a[16:19], v[186:187], v[152:153], a[16:19]
	ds_read2st64_b64 v[150:153], v129 offset0:16 offset1:24
	v_addc_co_u32_e32 v163, vcc, 0, v189, vcc
	v_mfma_f32_16x16x16_bf16 a[20:23], v[186:187], v[156:157], a[20:23]
	ds_read2st64_b64 v[154:157], v130 offset0:16 offset1:24
	v_mov_b32_e32 v177, v171
	v_mov_b32_e32 v170, v168
	v_mfma_f32_16x16x16_bf16 a[32:35], v[186:187], v[160:161], a[24:27]
	v_mov_b32_e32 v171, v169
	s_waitcnt lgkmcnt(0)
	v_mov_b32_e32 v160, v154
	v_mov_b32_e32 v161, v155
	v_mfma_f32_16x16x16_bf16 a[36:39], v[186:187], v[164:165], a[28:31]
	v_mov_b32_e32 v154, v152
	v_mov_b32_e32 v155, v153
	;; [unrolled: 1-line block ×3, first 2 shown]
	v_mfma_f32_16x16x16_bf16 a[24:27], v[184:185], v[42:43], a[16:19]
	v_add_co_u32_e32 v42, vcc, s68, v188
	v_mov_b32_e32 v159, v151
	v_mfma_f32_16x16x16_bf16 a[28:31], v[184:185], v[178:179], a[20:23]
	v_addc_co_u32_e32 v43, vcc, 0, v189, vcc
	global_store_dwordx4 v[42:43], v[154:157], off
	v_mfma_f32_16x16x16_bf16 a[16:19], v[184:185], v[180:181], a[32:35]
	s_waitcnt vmcnt(2)
	v_mov_b32_e32 v44, v37
	v_mov_b32_e32 v43, v36
	;; [unrolled: 1-line block ×3, first 2 shown]
	v_mfma_f32_16x16x16_bf16 a[20:23], v[184:185], v[182:183], a[36:39]
	s_and_b64 vcc, exec, s[0:1]
	global_store_dwordx4 v[188:189], v[174:177], off
	global_store_dwordx4 v[162:163], v[170:173], off offset:-4096
	global_store_dwordx4 v[162:163], v[158:161], off
	s_cbranch_vccnz .LBB11_16
; %bb.15:                               ;   in Loop: Header=BB11_6 Depth=1
	v_lshrrev_b32_e32 v35, 3, v148
	v_and_b32_e32 v35, 6, v35
	v_xor_b32_e32 v36, v35, v149
	v_lshlrev_b32_e32 v36, 2, v36
	v_and_b32_e32 v37, 8, v148
	v_xor_b32_e32 v148, 0x440, v36
	v_cmp_eq_u32_e32 vcc, 0, v37
	v_perm_b32 v37, v22, v18, s65
	s_nop 0
	v_cndmask_b32_e32 v36, v148, v36, vcc
	v_lshl_or_b32 v35, v35, 10, v36
	v_perm_b32 v36, v30, v26, s65
	s_barrier
	ds_write2st64_b32 v35, v36, v37 offset0:128 offset1:160
	v_xor_b32_e32 v36, 8, v35
	v_perm_b32 v26, v30, v26, s66
	v_perm_b32 v18, v22, v18, s66
	v_add_u32_e32 v22, 0x80, v36
	ds_write2st64_b32 v22, v26, v18 offset0:128 offset1:160
	v_xor_b32_e32 v18, 16, v35
	v_perm_b32 v22, v31, v27, s65
	v_perm_b32 v26, v23, v19, s65
	ds_write2st64_b32 v18, v22, v26 offset0:129 offset1:161
	v_xor_b32_e32 v18, 24, v35
	v_perm_b32 v22, v31, v27, s66
	v_perm_b32 v19, v23, v19, s66
	v_add_u32_e32 v18, 0x80, v18
	ds_write2st64_b32 v18, v22, v19 offset0:129 offset1:161
	v_xor_b32_e32 v18, 32, v35
	v_perm_b32 v19, v32, v28, s65
	v_perm_b32 v22, v24, v20, s65
	;; [unrolled: 9-line block ×3, first 2 shown]
	ds_write2st64_b32 v18, v19, v20 offset0:131 offset1:163
	v_xor_b32_e32 v18, 56, v35
	v_perm_b32 v19, v33, v29, s66
	v_perm_b32 v20, v25, v21, s66
	v_add_u32_e32 v18, 0x80, v18
	ds_write2st64_b32 v18, v19, v20 offset0:131 offset1:163
	ds_write_b64 v147, v[14:15] offset:49152
	v_xor_b32_e32 v14, 8, v147
	ds_write_b64 v14, v[16:17] offset:49152
	ds_write_b64 v147, v[10:11] offset:57344
	ds_write_b64 v14, v[12:13] offset:57344
	ds_write_b64 v146, v[6:7] offset:49152
	v_xor_b32_e32 v6, 8, v146
	ds_write_b64 v6, v[8:9] offset:49152
	ds_write_b64 v146, v[2:3] offset:57344
	;; [unrolled: 1-line block ×3, first 2 shown]
.LBB11_16:                              ;   in Loop: Header=BB11_6 Depth=1
	v_exp_f32_e32 v36, s2
	s_waitcnt vmcnt(4)
	v_exp_f32_e32 v38, v38
	v_exp_f32_e32 v39, v39
	;; [unrolled: 1-line block ×4, first 2 shown]
	v_accvgpr_read_b32 v5, a3
	v_accvgpr_read_b32 v4, a2
	;; [unrolled: 1-line block ×4, first 2 shown]
	v_pk_mul_f32 v[38:39], v[36:37], v[38:39] op_sel_hi:[0,1]
	v_pk_mul_f32 v[40:41], v[36:37], v[40:41] op_sel_hi:[0,1]
	v_pk_fma_f32 v[74:75], v[74:75], v[38:39], v[2:3]
	v_pk_fma_f32 v[78:79], v[78:79], v[40:41], v[4:5]
	v_exp_f32_e32 v2, v34
	v_exp_f32_e32 v3, v42
	;; [unrolled: 1-line block ×4, first 2 shown]
	v_accvgpr_read_b32 v9, a7
	v_accvgpr_read_b32 v13, a11
	;; [unrolled: 1-line block ×28, first 2 shown]
	v_pk_mul_f32 v[2:3], v[36:37], v[2:3] op_sel_hi:[0,1]
	v_pk_mul_f32 v[4:5], v[36:37], v[4:5] op_sel_hi:[0,1]
	s_add_i32 s64, s64, 64
	v_pk_fma_f32 v[66:67], v[38:39], v[66:67], v[6:7]
	v_pk_fma_f32 v[70:71], v[40:41], v[70:71], v[8:9]
	v_pk_fma_f32 v[58:59], v[38:39], v[58:59], v[10:11]
	v_pk_fma_f32 v[62:63], v[40:41], v[62:63], v[12:13]
	v_pk_fma_f32 v[50:51], v[38:39], v[50:51], v[14:15]
	v_pk_fma_f32 v[54:55], v[40:41], v[54:55], v[16:17]
	v_pk_fma_f32 v[72:73], v[72:73], v[2:3], v[18:19]
	v_pk_fma_f32 v[76:77], v[76:77], v[4:5], v[20:21]
	v_pk_fma_f32 v[64:65], v[2:3], v[64:65], v[22:23]
	v_pk_fma_f32 v[68:69], v[4:5], v[68:69], v[24:25]
	v_pk_fma_f32 v[56:57], v[2:3], v[56:57], v[26:27]
	v_pk_fma_f32 v[60:61], v[4:5], v[60:61], v[28:29]
	v_pk_fma_f32 v[48:49], v[2:3], v[48:49], v[30:31]
	s_cmp_eq_u32 s54, s69
	v_pk_fma_f32 v[52:53], v[4:5], v[52:53], v[32:33]
	s_cbranch_scc1 .LBB11_18
; %bb.17:                               ;   in Loop: Header=BB11_6 Depth=1
	s_mov_b32 s70, s69
	s_branch .LBB11_6
.LBB11_18:
	s_lshl_b32 s26, s54, 6
	s_sub_i32 s27, s12, s26
	s_cmp_gt_i32 s27, 0
	s_cbranch_scc0 .LBB11_99
; %bb.19:
	s_ashr_i32 s2, s26, 31
	s_cmpk_lg_i32 s15, 0x80
	s_cselect_b64 s[22:23], -1, 0
	s_and_b64 vcc, exec, s[22:23]
	s_cbranch_vccz .LBB11_21
; %bb.20:
	s_mul_i32 s1, s53, s12
	s_mul_hi_i32 s0, s53, s12
	s_add_u32 s1, s1, s26
	s_addc_u32 s0, s0, s2
	s_mul_i32 s3, s1, s55
	s_mul_hi_u32 s17, s1, s14
	s_add_i32 s3, s17, s3
	s_mul_i32 s0, s0, s14
	s_add_i32 s3, s3, s0
	s_mul_i32 s1, s1, s14
	s_ashr_i32 s0, s56, 31
	s_add_u32 s24, s1, s56
	s_addc_u32 s25, s3, s0
	s_cbranch_execz .LBB11_22
	s_branch .LBB11_23
.LBB11_21:
                                        ; implicit-def: $sgpr24_sgpr25
.LBB11_22:
	s_mul_hi_i32 s0, s53, s14
	s_mul_i32 s53, s53, s14
	s_ashr_i32 s1, s56, 31
	s_add_u32 s3, s53, s56
	s_addc_u32 s0, s0, s1
	s_mul_i32 s1, s3, s52
	s_mul_hi_u32 s14, s3, s12
	s_add_i32 s1, s14, s1
	s_mul_i32 s0, s0, s12
	s_add_i32 s1, s1, s0
	s_mul_i32 s3, s3, s12
	s_add_u32 s24, s3, s26
	s_addc_u32 s25, s1, s2
.LBB11_23:
	s_mul_i32 s0, s40, s52
	s_add_i32 s0, s59, s0
	s_add_i32 s3, s57, s54
	;; [unrolled: 1-line block ×3, first 2 shown]
	s_add_u32 s0, s16, s26
	v_lshlrev_b32_e32 v6, 6, v93
	v_lshlrev_b32_e32 v24, 2, v90
	s_addc_u32 s1, s1, s2
	s_mov_b32 s2, 0x7060302
	v_or_b32_e32 v9, v6, v24
	v_xor_b32_e32 v7, v93, v24
	v_perm_b32 v3, v79, v78, s2
	v_perm_b32 v2, v75, v74, s2
	;; [unrolled: 1-line block ×4, first 2 shown]
	v_lshlrev_b32_e32 v9, 1, v9
	v_xor_b32_e32 v8, v94, v24
	ds_write2st64_b64 v9, v[2:3], v[4:5] offset0:32 offset1:48
	v_lshlrev_b32_e32 v7, 1, v7
	v_lshlrev_b32_e32 v9, 8, v90
	v_or_b32_e32 v10, v7, v9
	v_lshlrev_b32_e32 v8, 1, v8
	ds_write_b64 v10, v[2:3]
	v_or_b32_e32 v2, v8, v9
	v_or_b32_e32 v9, 16, v90
	v_lshlrev_b32_e32 v23, 2, v9
	v_or_b32_e32 v10, v6, v23
	ds_write_b64 v2, v[4:5]
	v_perm_b32 v3, v71, v70, s2
	v_perm_b32 v2, v67, v66, s2
	v_perm_b32 v5, v69, v68, s2
	v_perm_b32 v4, v65, v64, s2
	v_lshlrev_b32_e32 v10, 1, v10
	v_lshlrev_b32_e32 v9, 8, v9
	ds_write2st64_b64 v10, v[2:3], v[4:5] offset0:32 offset1:48
	v_or_b32_e32 v10, v7, v9
	ds_write_b64 v10, v[2:3]
	v_or_b32_e32 v2, v8, v9
	v_or_b32_e32 v9, 32, v90
	v_lshlrev_b32_e32 v22, 2, v9
	v_or_b32_e32 v10, v6, v22
	s_lshl_b64 s[20:21], s[0:1], 8
	ds_write_b64 v2, v[4:5]
	v_perm_b32 v3, v63, v62, s2
	v_perm_b32 v2, v59, v58, s2
	;; [unrolled: 1-line block ×4, first 2 shown]
	v_lshlrev_b32_e32 v10, 1, v10
	v_lshlrev_b32_e32 v9, 8, v9
	s_waitcnt lgkmcnt(0)
	s_add_u32 s0, s6, s20
	ds_write2st64_b64 v10, v[2:3], v[4:5] offset0:32 offset1:48
	v_or_b32_e32 v10, v7, v9
	s_addc_u32 s1, s7, s21
	ds_write_b64 v10, v[2:3]
	v_or_b32_e32 v2, v8, v9
	v_or_b32_e32 v9, 48, v90
	s_mul_hi_i32 s6, s3, s13
	s_mul_i32 s3, s3, s13
	ds_write_b64 v2, v[4:5]
	v_perm_b32 v3, v55, v54, s2
	v_perm_b32 v2, v51, v50, s2
	;; [unrolled: 1-line block ×4, first 2 shown]
	v_lshlrev_b32_e32 v19, 2, v9
	s_add_u32 s2, s3, s50
	v_or_b32_e32 v6, v6, v19
	s_addc_u32 s3, s6, s51
	v_lshlrev_b32_e32 v6, 1, v6
	s_ashr_i32 s39, s38, 31
	s_lshl_b64 s[2:3], s[2:3], 15
	ds_write2st64_b64 v6, v[2:3], v[4:5] offset0:32 offset1:48
	v_lshlrev_b32_e32 v6, 8, v9
	s_add_u32 s6, s18, s2
	v_or_b32_e32 v7, v7, v6
	s_addc_u32 s7, s19, s3
	s_lshl_b64 s[2:3], s[38:39], 8
	ds_write_b64 v7, v[2:3]
	v_or_b32_e32 v2, v8, v6
	s_add_u32 s2, s6, s2
	v_lshlrev_b32_e32 v3, 1, v90
	ds_write_b64 v2, v[4:5]
	v_lshrrev_b32_e32 v2, 4, v0
	s_addc_u32 s3, s7, s3
	v_or_b32_e32 v4, 1, v3
	v_lshlrev_b32_e32 v10, 4, v90
	v_mov_b32_e32 v11, 0
	v_xor_b32_e32 v3, v2, v3
	v_xor_b32_e32 v6, v4, v2
	v_lshl_add_u64 v[12:13], s[2:3], 0, v[10:11]
	v_lshlrev_b32_e32 v10, 8, v2
	v_lshl_or_b32 v16, v3, 3, v10
	v_lshl_or_b32 v17, v6, 3, v10
	s_waitcnt lgkmcnt(0)
	s_barrier
	ds_read2st64_b64 v[2:5], v16 offset1:8
	ds_read2st64_b64 v[6:9], v17 offset1:8
	v_lshl_add_u64 v[14:15], v[12:13], 0, v[10:11]
	s_movk_i32 s2, 0x2000
	s_cmp_lg_u32 s27, 64
	s_waitcnt lgkmcnt(1)
	v_mov_b32_e32 v10, v2
	v_mov_b32_e32 v11, v3
	s_waitcnt lgkmcnt(0)
	v_mov_b32_e32 v12, v6
	v_mov_b32_e32 v13, v7
	global_store_dwordx4 v[14:15], v[10:13], off
	v_mov_b32_e32 v6, v4
	v_mov_b32_e32 v7, v5
	ds_read2st64_b64 v[2:5], v16 offset0:16 offset1:24
	ds_read2st64_b64 v[10:13], v17 offset0:16 offset1:24
	v_add_co_u32_e32 v16, vcc, s2, v14
	s_cselect_b64 s[6:7], -1, 0
	s_nop 0
	v_addc_co_u32_e32 v17, vcc, 0, v15, vcc
	global_store_dwordx4 v[16:17], v[6:9], off offset:-4096
	v_lshl_or_b32 v25, v88, 3, v91
	s_mov_b32 s16, 0
	s_waitcnt lgkmcnt(1)
	v_mov_b32_e32 v6, v2
	v_add_co_u32_e32 v2, vcc, 0x3000, v14
	v_mov_b32_e32 v7, v3
	s_nop 0
	v_addc_co_u32_e32 v3, vcc, 0, v15, vcc
	s_waitcnt lgkmcnt(0)
	v_mov_b32_e32 v8, v10
	v_mov_b32_e32 v9, v11
	;; [unrolled: 1-line block ×4, first 2 shown]
	v_or_b32_e32 v20, 32, v25
	v_and_b32_e32 v18, 56, v92
	s_and_b64 vcc, exec, s[6:7]
	global_store_dwordx4 v[16:17], v[6:9], off
	global_store_dwordx4 v[2:3], v[10:13], off
	s_cbranch_vccz .LBB11_29
; %bb.24:
	s_mov_b32 s17, s16
	s_mov_b32 s18, s16
	;; [unrolled: 1-line block ×3, first 2 shown]
	v_mov_b64_e32 v[6:7], s[16:17]
	v_mov_b64_e32 v[8:9], s[18:19]
	;; [unrolled: 1-line block ×3, first 2 shown]
	v_cmp_gt_i32_e32 vcc, s27, v25
	v_mov_b64_e32 v[4:5], v[8:9]
	s_and_saveexec_b64 s[2:3], vcc
	s_cbranch_execz .LBB11_26
; %bb.25:
	v_lshlrev_b32_e32 v2, 8, v25
	v_mov_b32_e32 v3, 0
	v_lshl_add_u64 v[4:5], s[0:1], 0, v[2:3]
	v_lshlrev_b32_e32 v2, 1, v18
	v_lshl_add_u64 v[10:11], v[4:5], 0, v[2:3]
	global_load_dwordx4 v[6:9], v[10:11], off
	global_load_dwordx4 v[2:5], v[10:11], off offset:128
.LBB11_26:
	s_or_b64 exec, exec, s[2:3]
	s_mov_b32 s17, s16
	s_mov_b32 s18, s16
	;; [unrolled: 1-line block ×3, first 2 shown]
	v_mov_b64_e32 v[14:15], s[16:17]
	v_mov_b64_e32 v[16:17], s[18:19]
	;; [unrolled: 1-line block ×3, first 2 shown]
	v_cmp_gt_i32_e32 vcc, s27, v20
	v_lshlrev_b32_e32 v21, 7, v20
	v_mov_b64_e32 v[12:13], v[16:17]
	s_and_saveexec_b64 s[2:3], vcc
	s_cbranch_execz .LBB11_28
; %bb.27:
	v_lshlrev_b32_e32 v10, 1, v21
	v_mov_b32_e32 v11, 0
	v_lshl_add_u64 v[12:13], s[0:1], 0, v[10:11]
	v_lshlrev_b32_e32 v10, 1, v18
	v_lshl_add_u64 v[26:27], v[12:13], 0, v[10:11]
	global_load_dwordx4 v[14:17], v[26:27], off
	global_load_dwordx4 v[10:13], v[26:27], off offset:128
.LBB11_28:
	s_or_b64 exec, exec, s[2:3]
	v_lshrrev_b32_e32 v26, 3, v18
	v_lshlrev_b32_e32 v27, 3, v25
	v_or_b32_e32 v26, v27, v26
	v_lshlrev_b32_e32 v26, 4, v26
	v_and_b32_e32 v27, 0x78, v27
	v_xor_b32_e32 v26, v26, v27
	s_branch .LBB11_31
.LBB11_29:
                                        ; implicit-def: $vgpr26
                                        ; implicit-def: $vgpr21
                                        ; implicit-def: $vgpr6_vgpr7_vgpr8_vgpr9
                                        ; implicit-def: $vgpr2_vgpr3_vgpr4_vgpr5
                                        ; implicit-def: $vgpr14_vgpr15_vgpr16_vgpr17
                                        ; implicit-def: $vgpr10_vgpr11_vgpr12_vgpr13
	s_cbranch_execz .LBB11_31
; %bb.30:
	s_waitcnt vmcnt(0)
	v_lshlrev_b32_e32 v2, 1, v18
	v_lshl_or_b32 v21, v25, 8, v2
	s_and_b32 s1, s1, 0xffff
	s_mov_b32 s3, 0x20000
	s_movk_i32 s2, 0x4000
	v_lshl_or_b32 v26, v20, 8, v2
	s_movk_i32 s13, 0x80
	buffer_load_dwordx4 v[6:9], v21, s[0:3], 0 offen
	buffer_load_dwordx4 v[2:5], v21, s[0:3], s13 offen
	;; [unrolled: 1-line block ×4, first 2 shown]
	v_lshrrev_b32_e32 v21, 3, v18
	v_lshlrev_b32_e32 v26, 3, v25
	v_or_b32_e32 v21, v26, v21
	v_lshlrev_b32_e32 v21, 4, v21
	v_and_b32_e32 v26, 0x78, v26
	v_xor_b32_e32 v26, v21, v26
	v_lshlrev_b32_e32 v21, 7, v20
.LBB11_31:
	s_movk_i32 s0, 0x1000
	v_and_or_b32 v20, v21, s0, v26
	s_waitcnt vmcnt(1)
	ds_write_b64 v26, v[6:7] offset:49152
	v_xor_b32_e32 v6, 8, v26
	ds_write_b64 v6, v[8:9] offset:49152
	s_waitcnt vmcnt(0)
	ds_write_b64 v26, v[2:3] offset:57344
	ds_write_b64 v6, v[4:5] offset:57344
	;; [unrolled: 1-line block ×3, first 2 shown]
	v_xor_b32_e32 v2, 8, v20
	ds_write_b64 v2, v[16:17] offset:49152
	ds_write_b64 v20, v[10:11] offset:57344
	;; [unrolled: 1-line block ×3, first 2 shown]
	v_or_b32_e32 v2, v1, v90
	v_lshlrev_b32_e32 v3, 11, v88
	v_lshlrev_b32_e32 v2, 3, v2
	v_and_b32_e32 v6, 0x1000, v3
	v_lshrrev_b32_e32 v3, 5, v45
	s_movk_i32 s0, 0xf8
	v_and_or_b32 v3, v2, s0, v3
	v_lshlrev_b32_e32 v7, 4, v3
	v_and_b32_e32 v8, 0x78, v2
	v_or_b32_e32 v10, 32, v7
	v_lshrrev_b32_e32 v3, 1, v45
	v_xor_b32_e32 v10, v10, v8
	v_xor_b32_e32 v2, v7, v8
	v_and_b32_e32 v9, 8, v3
	v_or_b32_e32 v10, v10, v6
	v_or_b32_e32 v2, v2, v6
	v_xor_b32_e32 v28, v10, v9
	v_or_b32_e32 v10, 64, v7
	v_xor_b32_e32 v27, v2, v9
	v_xor_b32_e32 v10, v10, v8
	s_waitcnt lgkmcnt(0)
	s_barrier
	v_or_b32_e32 v13, v10, v6
	ds_read_b64 v[10:11], v27 offset:49152
	v_lshl_or_b32 v14, v89, 8, v24
	v_lshlrev_b32_e32 v26, 1, v14
	v_add_u32_e32 v12, 0x4000, v26
	ds_read2_b64 v[2:5], v12 offset1:16
	v_or_b32_e32 v7, 0x60, v7
	v_xor_b32_e32 v7, v7, v8
	v_or_b32_e32 v6, v7, v6
	v_xor_b32_e32 v29, v13, v9
	v_xor_b32_e32 v30, v6, v9
	ds_read_b64 v[20:21], v28 offset:49152
	ds_read_b64 v[34:35], v29 offset:49152
	;; [unrolled: 1-line block ×3, first 2 shown]
	s_waitcnt lgkmcnt(3)
	v_mfma_f32_16x16x16_bf16 a[0:3], v[10:11], v[2:3], 0
	ds_read2st64_b64 v[6:9], v26 offset0:36 offset1:40
	s_lshl_b64 s[0:1], s[24:25], 8
	s_add_u32 s4, s4, s0
	v_mfma_f32_16x16x16_bf16 a[4:7], v[10:11], v[4:5], 0
	ds_read2_b64 v[2:5], v12 offset0:32 offset1:48
	s_addc_u32 s5, s5, s1
	s_add_i32 s1, s46, s33
	s_waitcnt lgkmcnt(0)
	v_mfma_f32_16x16x16_bf16 a[8:11], v[10:11], v[2:3], 0
	v_or_b32_e32 v2, 64, v14
	v_lshlrev_b32_e32 v31, 1, v2
	s_add_i32 s0, s12, -1
	v_mfma_f32_16x16x16_bf16 a[12:15], v[10:11], v[4:5], 0
	ds_read2st64_b64 v[2:5], v31 offset0:36 offset1:40
	s_add_i32 s37, s1, s41
	s_add_i32 s1, s48, s47
	v_mfma_f32_16x16x16_bf16 a[0:3], v[20:21], v[6:7], a[0:3]
	v_or_b32_e32 v6, 0x80, v14
	v_lshlrev_b32_e32 v32, 1, v6
	ds_read2st64_b64 v[10:13], v32 offset0:36 offset1:40
	s_waitcnt lgkmcnt(1)
	v_mfma_f32_16x16x16_bf16 a[4:7], v[20:21], v[2:3], a[4:7]
	v_or_b32_e32 v2, 0xc0, v14
	v_lshlrev_b32_e32 v33, 1, v2
	ds_read2st64_b64 v[14:17], v33 offset0:36 offset1:40
	s_add_i32 s35, s1, s49
	s_ashr_i32 s1, s0, 31
	s_mul_i32 s2, s0, s31
	s_mul_hi_u32 s3, s0, s30
	s_add_i32 s2, s3, s2
	s_mul_i32 s1, s1, s30
	s_waitcnt lgkmcnt(1)
	v_mfma_f32_16x16x16_bf16 a[8:11], v[20:21], v[10:11], a[8:11]
	s_add_i32 s1, s2, s1
	s_lshl_b64 s[2:3], s[36:37], 2
	s_add_u32 s10, s10, s2
	s_waitcnt lgkmcnt(0)
	v_mfma_f32_16x16x16_bf16 a[12:15], v[20:21], v[14:15], a[12:15]
	s_addc_u32 s11, s11, s3
	s_lshl_b64 s[2:3], s[34:35], 2
	s_mul_i32 s0, s0, s30
	v_mfma_f32_16x16x16_bf16 a[0:3], v[34:35], v[8:9], a[0:3]
	ds_read_b64 v[2:3], v26 offset:22528
	s_add_u32 s10, s10, s2
	s_addc_u32 s11, s11, s3
	v_mfma_f32_16x16x16_bf16 a[4:7], v[34:35], v[4:5], a[4:7]
	ds_read_b64 v[4:5], v31 offset:22528
	ds_read_b64 v[6:7], v32 offset:22528
	;; [unrolled: 1-line block ×3, first 2 shown]
	s_lshl_b64 s[0:1], s[0:1], 2
	s_add_u32 s0, s10, s0
	v_mfma_f32_16x16x16_bf16 a[8:11], v[34:35], v[12:13], a[8:11]
	s_addc_u32 s1, s11, s1
	s_load_dword s12, s[0:1], 0x0
	s_and_b64 vcc, exec, s[22:23]
	v_mfma_f32_16x16x16_bf16 a[12:15], v[34:35], v[16:17], a[12:15]
	s_waitcnt lgkmcnt(0)
	v_mfma_f32_16x16x16_bf16 a[0:3], v[36:37], v[2:3], a[0:3]
	v_mfma_f32_16x16x16_bf16 a[4:7], v[36:37], v[4:5], a[4:7]
	;; [unrolled: 1-line block ×4, first 2 shown]
	s_cbranch_vccz .LBB11_42
; %bb.32:
	v_lshlrev_b32_e32 v20, 1, v25
	s_and_b64 vcc, exec, s[6:7]
	s_cbranch_vccz .LBB11_43
; %bb.33:
	v_cmp_gt_i32_e32 vcc, s27, v20
	v_mov_b32_e32 v6, 0
	v_mov_b32_e32 v2, 0
	;; [unrolled: 1-line block ×5, first 2 shown]
	s_and_saveexec_b64 s[0:1], vcc
	s_cbranch_execz .LBB11_35
; %bb.34:
	v_mad_i64_i32 v[2:3], s[2:3], s15, v20, 0
	v_lshl_add_u64 v[2:3], v[2:3], 1, s[4:5]
	v_lshlrev_b32_e32 v4, 1, v18
	v_mov_b32_e32 v5, 0
	v_lshl_add_u64 v[2:3], v[2:3], 0, v[4:5]
	global_load_dwordx4 v[2:5], v[2:3], off
.LBB11_35:
	s_or_b64 exec, exec, s[0:1]
	v_or_b32_e32 v21, 1, v20
	v_cmp_gt_i32_e64 s[0:1], s27, v21
	v_mov_b32_e32 v7, 0
	v_mov_b32_e32 v8, 0
	v_mov_b32_e32 v9, 0
	s_and_saveexec_b64 s[2:3], s[0:1]
	s_cbranch_execz .LBB11_37
; %bb.36:
	v_mad_i64_i32 v[6:7], s[16:17], s15, v21, 0
	v_lshl_add_u64 v[6:7], v[6:7], 1, s[4:5]
	v_lshlrev_b32_e32 v8, 1, v18
	v_mov_b32_e32 v9, 0
	v_lshl_add_u64 v[6:7], v[6:7], 0, v[8:9]
	global_load_dwordx4 v[6:9], v[6:7], off
.LBB11_37:
	s_or_b64 exec, exec, s[2:3]
	v_mov_b32_e32 v17, 0
	v_mov_b32_e32 v10, 0
	;; [unrolled: 1-line block ×5, first 2 shown]
	s_and_saveexec_b64 s[2:3], vcc
	s_cbranch_execz .LBB11_39
; %bb.38:
	v_mad_i64_i32 v[10:11], s[16:17], s15, v20, 0
	v_lshl_add_u64 v[10:11], v[10:11], 1, s[4:5]
	v_lshlrev_b32_e32 v12, 1, v18
	v_mov_b32_e32 v13, 0
	v_lshl_add_u64 v[10:11], v[10:11], 0, v[12:13]
	global_load_dwordx4 v[10:13], v[10:11], off offset:128
.LBB11_39:
	s_or_b64 exec, exec, s[2:3]
	v_mov_b32_e32 v16, 0
	v_mov_b32_e32 v15, 0
	;; [unrolled: 1-line block ×3, first 2 shown]
	s_and_saveexec_b64 s[2:3], s[0:1]
	s_cbranch_execz .LBB11_41
; %bb.40:
	v_mad_i64_i32 v[14:15], s[0:1], s15, v21, 0
	v_lshl_add_u64 v[14:15], v[14:15], 1, s[4:5]
	v_lshlrev_b32_e32 v16, 1, v18
	v_mov_b32_e32 v17, 0
	v_lshl_add_u64 v[14:15], v[14:15], 0, v[16:17]
	global_load_dwordx4 v[14:17], v[14:15], off offset:128
.LBB11_41:
	s_or_b64 exec, exec, s[2:3]
	s_branch .LBB11_45
.LBB11_42:
                                        ; implicit-def: $vgpr5
                                        ; implicit-def: $vgpr9
                                        ; implicit-def: $vgpr13
                                        ; implicit-def: $vgpr17
	v_lshrrev_b32_e32 v34, 2, v45
	s_branch .LBB11_46
.LBB11_43:
                                        ; implicit-def: $vgpr5
                                        ; implicit-def: $vgpr9
                                        ; implicit-def: $vgpr13
                                        ; implicit-def: $vgpr17
	s_cbranch_execz .LBB11_45
; %bb.44:
	s_waitcnt vmcnt(0)
	v_mad_u64_u32 v[2:3], s[0:1], v20, s15, v[18:19]
	v_lshlrev_b32_e32 v20, 1, v2
	s_lshl_b32 s2, s15, 7
	s_and_b32 s1, s5, 0xffff
	s_mov_b32 s3, 0x20000
	s_mov_b32 s0, s4
	v_add_lshl_u32 v21, v2, s15, 1
	s_movk_i32 s13, 0x80
	buffer_load_dwordx4 v[2:5], v20, s[0:3], 0 offen
	buffer_load_dwordx4 v[10:13], v20, s[0:3], s13 offen
	;; [unrolled: 1-line block ×4, first 2 shown]
.LBB11_45:
	v_lshrrev_b32_e32 v34, 2, v45
	s_cbranch_execnz .LBB11_58
.LBB11_46:
	s_and_b64 vcc, exec, s[6:7]
	s_cbranch_vccz .LBB11_56
; %bb.47:
	s_waitcnt vmcnt(0)
	v_lshlrev_b32_e32 v7, 1, v25
	v_cmp_gt_i32_e32 vcc, s27, v7
	v_mov_b32_e32 v6, 0
	v_lshlrev_b32_e32 v14, 9, v25
	v_mov_b32_e32 v2, 0
	v_mov_b32_e32 v3, 0
	;; [unrolled: 1-line block ×4, first 2 shown]
	s_and_saveexec_b64 s[0:1], vcc
	s_cbranch_execz .LBB11_49
; %bb.48:
	v_mov_b32_e32 v15, 0
	v_lshl_add_u64 v[2:3], s[4:5], 0, v[14:15]
	v_lshlrev_b32_e32 v4, 1, v18
	v_mov_b32_e32 v5, v15
	v_lshl_add_u64 v[2:3], v[2:3], 0, v[4:5]
	global_load_dwordx4 v[2:5], v[2:3], off
.LBB11_49:
	s_or_b64 exec, exec, s[0:1]
	v_or_b32_e32 v7, 1, v7
	v_cmp_gt_i32_e64 s[0:1], s27, v7
	v_lshlrev_b32_e32 v20, 8, v7
	v_mov_b32_e32 v7, 0
	v_mov_b32_e32 v8, 0
	;; [unrolled: 1-line block ×3, first 2 shown]
	s_and_saveexec_b64 s[2:3], s[0:1]
	s_cbranch_execz .LBB11_51
; %bb.50:
	v_mov_b32_e32 v21, 0
	v_lshl_add_u64 v[6:7], s[4:5], 0, v[20:21]
	v_lshlrev_b32_e32 v8, 1, v18
	v_mov_b32_e32 v9, v21
	v_lshl_add_u64 v[6:7], v[6:7], 0, v[8:9]
	global_load_dwordx4 v[6:9], v[6:7], off
.LBB11_51:
	s_or_b64 exec, exec, s[2:3]
	v_mov_b32_e32 v17, 0
	v_mov_b32_e32 v10, 0
	v_mov_b32_e32 v11, 0
	v_mov_b32_e32 v12, 0
	v_mov_b32_e32 v13, 0
	s_and_saveexec_b64 s[2:3], vcc
	s_cbranch_execz .LBB11_53
; %bb.52:
	v_mov_b32_e32 v15, 0
	v_lshl_add_u64 v[10:11], s[4:5], 0, v[14:15]
	v_lshlrev_b32_e32 v14, 1, v18
	v_lshl_add_u64 v[10:11], v[10:11], 0, v[14:15]
	global_load_dwordx4 v[10:13], v[10:11], off offset:128
.LBB11_53:
	s_or_b64 exec, exec, s[2:3]
	v_mov_b32_e32 v16, 0
	v_mov_b32_e32 v15, 0
	;; [unrolled: 1-line block ×3, first 2 shown]
	s_and_saveexec_b64 s[2:3], s[0:1]
	s_cbranch_execz .LBB11_55
; %bb.54:
	v_mov_b32_e32 v21, 0
	v_lshl_add_u64 v[14:15], s[4:5], 0, v[20:21]
	v_lshlrev_b32_e32 v20, 1, v18
	v_lshl_add_u64 v[14:15], v[14:15], 0, v[20:21]
	global_load_dwordx4 v[14:17], v[14:15], off offset:128
.LBB11_55:
	s_or_b64 exec, exec, s[2:3]
	s_branch .LBB11_58
.LBB11_56:
                                        ; implicit-def: $vgpr5
                                        ; implicit-def: $vgpr9
                                        ; implicit-def: $vgpr13
                                        ; implicit-def: $vgpr17
	s_cbranch_execz .LBB11_58
; %bb.57:
	s_waitcnt vmcnt(0)
	v_lshlrev_b32_e32 v2, 1, v18
	v_lshl_or_b32 v18, v25, 9, v2
	s_and_b32 s5, s5, 0xffff
	s_mov_b32 s7, 0x20000
	s_movk_i32 s6, 0x4000
	s_movk_i32 s0, 0x80
	buffer_load_dwordx4 v[2:5], v18, s[4:7], 0 offen
	buffer_load_dwordx4 v[6:9], v18, s[4:7], 0 offen offset:256
	buffer_load_dwordx4 v[10:13], v18, s[4:7], s0 offen
	buffer_load_dwordx4 v[14:17], v18, s[4:7], s0 offen offset:256
.LBB11_58:
	ds_read_b64 v[20:21], v27 offset:57344
	v_add_u32_e32 v18, 0x6000, v26
	ds_read2_b64 v[36:39], v18 offset1:16
	ds_read_b64 v[44:45], v28 offset:57344
	ds_read_b64 v[28:29], v29 offset:57344
	;; [unrolled: 1-line block ×3, first 2 shown]
	ds_read2st64_b64 v[40:43], v26 offset0:52 offset1:56
	s_mov_b32 s0, 0x1000504
	s_mov_b32 s1, 0x3020706
	s_waitcnt lgkmcnt(4)
	v_mfma_f32_16x16x16_bf16 a[0:3], v[20:21], v[36:37], a[0:3]
	v_mfma_f32_16x16x16_bf16 a[4:7], v[20:21], v[38:39], a[4:7]
	ds_read2_b64 v[36:39], v18 offset0:32 offset1:48
	v_and_b32_e32 v18, 6, v0
	v_xor_b32_e32 v25, v25, v18
	s_waitcnt lgkmcnt(0)
	v_mfma_f32_16x16x16_bf16 a[8:11], v[20:21], v[36:37], a[8:11]
	v_lshlrev_b32_e32 v25, 2, v25
	v_and_b32_e32 v0, 1, v0
	v_xor_b32_e32 v35, 0x440, v25
	v_mfma_f32_16x16x16_bf16 a[12:15], v[20:21], v[38:39], a[12:15]
	ds_read2st64_b64 v[36:39], v31 offset0:52 offset1:56
	ds_read2st64_b64 v[48:51], v32 offset0:52 offset1:56
	;; [unrolled: 1-line block ×3, first 2 shown]
	v_cmp_eq_u32_e32 vcc, 0, v0
	ds_read_b64 v[20:21], v26 offset:30720
	ds_read_b64 v[26:27], v31 offset:30720
	;; [unrolled: 1-line block ×4, first 2 shown]
	v_mfma_f32_16x16x16_bf16 a[0:3], v[44:45], v[40:41], a[0:3]
	v_cndmask_b32_e32 v0, v35, v25, vcc
	v_lshl_or_b32 v0, v18, 10, v0
	s_waitcnt vmcnt(0)
	v_perm_b32 v18, v2, v6, s0
	s_waitcnt lgkmcnt(6)
	v_mfma_f32_16x16x16_bf16 a[4:7], v[44:45], v[36:37], a[4:7]
	v_perm_b32 v25, v10, v14, s0
	ds_write2st64_b32 v0, v18, v25 offset0:128 offset1:160
	v_xor_b32_e32 v18, 8, v0
	s_waitcnt lgkmcnt(6)
	v_mfma_f32_16x16x16_bf16 a[8:11], v[44:45], v[48:49], a[8:11]
	v_perm_b32 v2, v2, v6, s1
	v_perm_b32 v6, v10, v14, s1
	v_add_u32_e32 v10, 0x80, v18
	s_waitcnt lgkmcnt(5)
	v_mfma_f32_16x16x16_bf16 a[12:15], v[44:45], v[52:53], a[12:15]
	ds_write2st64_b32 v10, v2, v6 offset0:128 offset1:160
	v_xor_b32_e32 v2, 16, v0
	v_perm_b32 v6, v3, v7, s0
	v_mfma_f32_16x16x16_bf16 a[0:3], v[28:29], v[42:43], a[0:3]
	v_perm_b32 v10, v11, v15, s0
	ds_write2st64_b32 v2, v6, v10 offset0:129 offset1:161
	v_xor_b32_e32 v2, 24, v0
	v_mfma_f32_16x16x16_bf16 a[4:7], v[28:29], v[38:39], a[4:7]
	v_perm_b32 v3, v3, v7, s1
	v_perm_b32 v6, v11, v15, s1
	v_add_u32_e32 v2, 0x80, v2
	v_mfma_f32_16x16x16_bf16 a[16:19], v[28:29], v[50:51], a[8:11]
	ds_write2st64_b32 v2, v3, v6 offset0:129 offset1:161
	v_xor_b32_e32 v2, 32, v0
	v_perm_b32 v3, v4, v8, s0
	v_mfma_f32_16x16x16_bf16 a[20:23], v[28:29], v[54:55], a[12:15]
	v_perm_b32 v6, v12, v16, s0
	ds_write2st64_b32 v2, v3, v6 offset0:130 offset1:162
	v_xor_b32_e32 v2, 40, v0
	s_waitcnt lgkmcnt(8)
	v_mfma_f32_16x16x16_bf16 a[12:15], v[56:57], v[20:21], a[0:3]
	v_perm_b32 v3, v4, v8, s1
	v_perm_b32 v4, v12, v16, s1
	v_add_u32_e32 v2, 0x80, v2
	s_waitcnt lgkmcnt(7)
	v_mfma_f32_16x16x16_bf16 a[8:11], v[56:57], v[26:27], a[4:7]
	ds_write2st64_b32 v2, v3, v4 offset0:130 offset1:162
	v_xor_b32_e32 v2, 48, v0
	v_perm_b32 v3, v5, v9, s0
	s_waitcnt lgkmcnt(7)
	v_mfma_f32_16x16x16_bf16 a[4:7], v[56:57], v[30:31], a[16:19]
	v_perm_b32 v4, v13, v17, s0
	v_xor_b32_e32 v0, 56, v0
	v_and_or_b32 v21, v34, 12, v1
	s_waitcnt lgkmcnt(6)
	v_mfma_f32_16x16x16_bf16 a[0:3], v[56:57], v[32:33], a[20:23]
	ds_write2st64_b32 v2, v3, v4 offset0:131 offset1:163
	v_perm_b32 v2, v5, v9, s1
	v_perm_b32 v3, v13, v17, s1
	v_add_u32_e32 v0, 0x80, v0
	v_cmp_gt_i32_e32 vcc, s27, v21
	v_mov_b32_e32 v16, 0
	v_mov_b32_e32 v18, 0
	ds_write2st64_b32 v0, v2, v3 offset0:131 offset1:163
	s_and_saveexec_b64 s[0:1], vcc
	s_cbranch_execz .LBB11_60
; %bb.59:
	v_add_u32_e32 v0, s26, v21
	v_ashrrev_i32_e32 v1, 31, v0
	v_mul_lo_u32 v2, v1, s30
	v_mul_lo_u32 v3, v0, s31
	v_mad_u64_u32 v[0:1], s[2:3], v0, s30, 0
	v_add3_u32 v1, v1, v3, v2
	v_lshl_add_u64 v[0:1], v[0:1], 2, s[10:11]
	global_load_dword v0, v[0:1], off
	s_waitcnt vmcnt(0)
	v_sub_f32_e32 v0, s12, v0
	v_exp_f32_e32 v18, v0
.LBB11_60:
	s_or_b64 exec, exec, s[0:1]
	v_or_b32_e32 v10, 1, v21
	v_cmp_gt_i32_e64 s[2:3], s27, v10
	s_and_saveexec_b64 s[0:1], s[2:3]
	s_cbranch_execz .LBB11_62
; %bb.61:
	v_add_u32_e32 v0, s26, v10
	v_ashrrev_i32_e32 v1, 31, v0
	v_mul_lo_u32 v2, v1, s30
	v_mul_lo_u32 v3, v0, s31
	v_mad_u64_u32 v[0:1], s[4:5], v0, s30, 0
	v_add3_u32 v1, v1, v3, v2
	v_lshl_add_u64 v[0:1], v[0:1], 2, s[10:11]
	global_load_dword v0, v[0:1], off
	s_waitcnt vmcnt(0)
	v_sub_f32_e32 v0, s12, v0
	v_exp_f32_e32 v16, v0
.LBB11_62:
	s_or_b64 exec, exec, s[0:1]
	v_or_b32_e32 v12, 2, v21
	v_cmp_gt_i32_e64 s[0:1], s27, v12
	v_mov_b32_e32 v17, 0
	v_mov_b32_e32 v20, 0
	s_and_saveexec_b64 s[4:5], s[0:1]
	s_cbranch_execz .LBB11_64
; %bb.63:
	v_add_u32_e32 v0, s26, v12
	v_ashrrev_i32_e32 v1, 31, v0
	v_mul_lo_u32 v2, v1, s30
	v_mul_lo_u32 v3, v0, s31
	v_mad_u64_u32 v[0:1], s[6:7], v0, s30, 0
	v_add3_u32 v1, v1, v3, v2
	v_lshl_add_u64 v[0:1], v[0:1], 2, s[10:11]
	global_load_dword v0, v[0:1], off
	s_waitcnt vmcnt(0)
	v_sub_f32_e32 v0, s12, v0
	v_exp_f32_e32 v20, v0
.LBB11_64:
	s_or_b64 exec, exec, s[4:5]
	v_or_b32_e32 v14, 3, v21
	v_cmp_gt_i32_e64 s[4:5], s27, v14
	s_and_saveexec_b64 s[6:7], s[4:5]
	s_cbranch_execz .LBB11_66
; %bb.65:
	v_add_u32_e32 v0, s26, v14
	v_ashrrev_i32_e32 v1, 31, v0
	v_mul_lo_u32 v2, v1, s30
	v_mul_lo_u32 v3, v0, s31
	v_mad_u64_u32 v[0:1], s[14:15], v0, s30, 0
	v_add3_u32 v1, v1, v3, v2
	v_lshl_add_u64 v[0:1], v[0:1], 2, s[10:11]
	global_load_dword v0, v[0:1], off
	s_waitcnt vmcnt(0)
	v_sub_f32_e32 v0, s12, v0
	v_exp_f32_e32 v17, v0
.LBB11_66:
	s_or_b64 exec, exec, s[6:7]
	s_add_u32 s6, s8, s20
	s_addc_u32 s7, s9, s21
	s_add_u32 s8, s28, s20
	v_ashrrev_i32_e32 v47, 31, v46
	v_accvgpr_read_b32 v0, a12
	s_addc_u32 s9, s29, s21
	v_lshlrev_b64 v[4:5], 1, v[46:47]
	v_accvgpr_read_b32 v1, a13
	v_accvgpr_read_b32 v2, a14
	v_accvgpr_read_b32 v3, a15
	v_lshl_add_u64 v[6:7], s[6:7], 0, v[4:5]
	v_lshl_add_u64 v[4:5], s[8:9], 0, v[4:5]
	v_mov_b32_e32 v11, 0
	v_lshlrev_b32_e32 v8, 8, v21
	v_mov_b32_e32 v9, 0
	s_and_saveexec_b64 s[6:7], vcc
	s_cbranch_execz .LBB11_68
; %bb.67:
	v_mov_b32_e32 v9, 0
	v_lshl_add_u64 v[26:27], v[6:7], 0, v[8:9]
	global_load_ushort v13, v[26:27], off
	v_lshl_add_u64 v[26:27], v[4:5], 0, v[8:9]
	s_waitcnt vmcnt(0)
	v_lshlrev_b32_e32 v9, 16, v13
	v_sub_f32_e32 v0, v9, v0
	global_store_short_d16_hi v[26:27], v0, off
	v_mul_f32_e32 v0, v18, v0
	v_lshrrev_b32_e32 v9, 16, v0
.LBB11_68:
	s_or_b64 exec, exec, s[6:7]
	v_lshlrev_b32_e32 v10, 8, v10
	s_and_saveexec_b64 s[6:7], s[2:3]
	s_cbranch_execz .LBB11_70
; %bb.69:
	v_mov_b32_e32 v11, 0
	v_lshl_add_u64 v[26:27], v[6:7], 0, v[10:11]
	global_load_ushort v0, v[26:27], off
	v_lshl_add_u64 v[26:27], v[4:5], 0, v[10:11]
	s_waitcnt vmcnt(0)
	v_lshlrev_b32_e32 v0, 16, v0
	v_sub_f32_e32 v0, v0, v1
	global_store_short_d16_hi v[26:27], v0, off
	v_mul_f32_e32 v0, v16, v0
	v_lshrrev_b32_e32 v11, 16, v0
.LBB11_70:
	s_or_b64 exec, exec, s[6:7]
	v_mov_b32_e32 v15, 0
	v_lshlrev_b32_e32 v12, 8, v12
	v_mov_b32_e32 v13, 0
	s_and_saveexec_b64 s[6:7], s[0:1]
	s_cbranch_execz .LBB11_72
; %bb.71:
	v_mov_b32_e32 v13, 0
	v_lshl_add_u64 v[0:1], v[6:7], 0, v[12:13]
	global_load_ushort v25, v[0:1], off
	v_lshl_add_u64 v[0:1], v[4:5], 0, v[12:13]
	s_waitcnt vmcnt(0)
	v_lshlrev_b32_e32 v13, 16, v25
	v_sub_f32_e32 v2, v13, v2
	global_store_short_d16_hi v[0:1], v2, off
	v_mul_f32_e32 v0, v20, v2
	v_lshrrev_b32_e32 v13, 16, v0
.LBB11_72:
	s_or_b64 exec, exec, s[6:7]
	v_lshlrev_b32_e32 v14, 8, v14
	s_and_saveexec_b64 s[6:7], s[4:5]
	s_cbranch_execz .LBB11_74
; %bb.73:
	v_mov_b32_e32 v15, 0
	v_lshl_add_u64 v[0:1], v[6:7], 0, v[14:15]
	global_load_ushort v2, v[0:1], off
	v_lshl_add_u64 v[0:1], v[4:5], 0, v[14:15]
	s_waitcnt vmcnt(0)
	v_lshlrev_b32_e32 v2, 16, v2
	v_sub_f32_e32 v2, v2, v3
	global_store_short_d16_hi v[0:1], v2, off
	v_mul_f32_e32 v0, v17, v2
	v_lshrrev_b32_e32 v15, 16, v0
.LBB11_74:
	s_or_b64 exec, exec, s[6:7]
	v_lshlrev_b32_e32 v21, 6, v21
	s_mov_b32 s6, 0x5040100
	v_perm_b32 v26, v11, v9, s6
	v_or_b32_e32 v9, v21, v24
	v_accvgpr_read_b32 v0, a8
	v_perm_b32 v27, v15, v13, s6
	v_lshlrev_b32_e32 v9, 1, v9
	v_accvgpr_read_b32 v1, a9
	v_accvgpr_read_b32 v2, a10
	v_accvgpr_read_b32 v3, a11
	ds_write_b64 v9, v[26:27] offset:24576
	v_mov_b32_e32 v11, 0
	v_mov_b32_e32 v9, 0
	s_and_saveexec_b64 s[6:7], vcc
	s_cbranch_execz .LBB11_76
; %bb.75:
	v_mov_b32_e32 v9, 0
	v_lshl_add_u64 v[24:25], v[6:7], 0, v[8:9]
	global_load_ushort v13, v[24:25], off offset:32
	v_lshl_add_u64 v[24:25], v[4:5], 0, v[8:9]
	s_waitcnt vmcnt(0)
	v_lshlrev_b32_e32 v9, 16, v13
	v_sub_f32_e32 v0, v9, v0
	global_store_short_d16_hi v[24:25], v0, off offset:32
	v_mul_f32_e32 v0, v18, v0
	v_lshrrev_b32_e32 v9, 16, v0
.LBB11_76:
	s_or_b64 exec, exec, s[6:7]
	s_and_saveexec_b64 s[6:7], s[2:3]
	s_cbranch_execz .LBB11_78
; %bb.77:
	v_mov_b32_e32 v11, 0
	v_lshl_add_u64 v[24:25], v[6:7], 0, v[10:11]
	global_load_ushort v0, v[24:25], off offset:32
	v_lshl_add_u64 v[24:25], v[4:5], 0, v[10:11]
	s_waitcnt vmcnt(0)
	v_lshlrev_b32_e32 v0, 16, v0
	v_sub_f32_e32 v0, v0, v1
	global_store_short_d16_hi v[24:25], v0, off offset:32
	v_mul_f32_e32 v0, v16, v0
	v_lshrrev_b32_e32 v11, 16, v0
.LBB11_78:
	s_or_b64 exec, exec, s[6:7]
	v_mov_b32_e32 v15, 0
	v_mov_b32_e32 v13, 0
	s_and_saveexec_b64 s[6:7], s[0:1]
	s_cbranch_execz .LBB11_80
; %bb.79:
	v_mov_b32_e32 v13, 0
	v_lshl_add_u64 v[0:1], v[6:7], 0, v[12:13]
	global_load_ushort v24, v[0:1], off offset:32
	v_lshl_add_u64 v[0:1], v[4:5], 0, v[12:13]
	s_waitcnt vmcnt(0)
	v_lshlrev_b32_e32 v13, 16, v24
	v_sub_f32_e32 v2, v13, v2
	global_store_short_d16_hi v[0:1], v2, off offset:32
	v_mul_f32_e32 v0, v20, v2
	v_lshrrev_b32_e32 v13, 16, v0
.LBB11_80:
	s_or_b64 exec, exec, s[6:7]
	s_and_saveexec_b64 s[6:7], s[4:5]
	s_cbranch_execz .LBB11_82
; %bb.81:
	v_mov_b32_e32 v15, 0
	v_lshl_add_u64 v[0:1], v[6:7], 0, v[14:15]
	global_load_ushort v2, v[0:1], off offset:32
	v_lshl_add_u64 v[0:1], v[4:5], 0, v[14:15]
	s_waitcnt vmcnt(0)
	v_lshlrev_b32_e32 v2, 16, v2
	v_sub_f32_e32 v2, v2, v3
	global_store_short_d16_hi v[0:1], v2, off offset:32
	v_mul_f32_e32 v0, v17, v2
	v_lshrrev_b32_e32 v15, 16, v0
.LBB11_82:
	s_or_b64 exec, exec, s[6:7]
	s_mov_b32 s6, 0x5040100
	v_perm_b32 v24, v11, v9, s6
	v_or_b32_e32 v9, v21, v23
	v_accvgpr_read_b32 v0, a4
	v_perm_b32 v25, v15, v13, s6
	v_lshlrev_b32_e32 v9, 1, v9
	v_accvgpr_read_b32 v1, a5
	v_accvgpr_read_b32 v2, a6
	;; [unrolled: 1-line block ×3, first 2 shown]
	ds_write_b64 v9, v[24:25] offset:24576
	v_mov_b32_e32 v11, 0
	v_mov_b32_e32 v9, 0
	s_and_saveexec_b64 s[6:7], vcc
	s_cbranch_execz .LBB11_84
; %bb.83:
	v_mov_b32_e32 v9, 0
	v_lshl_add_u64 v[24:25], v[6:7], 0, v[8:9]
	global_load_ushort v13, v[24:25], off offset:64
	v_lshl_add_u64 v[24:25], v[4:5], 0, v[8:9]
	s_waitcnt vmcnt(0)
	v_lshlrev_b32_e32 v9, 16, v13
	v_sub_f32_e32 v0, v9, v0
	global_store_short_d16_hi v[24:25], v0, off offset:64
	v_mul_f32_e32 v0, v18, v0
	v_lshrrev_b32_e32 v9, 16, v0
.LBB11_84:
	s_or_b64 exec, exec, s[6:7]
	s_and_saveexec_b64 s[6:7], s[2:3]
	s_cbranch_execz .LBB11_86
; %bb.85:
	v_mov_b32_e32 v11, 0
	v_lshl_add_u64 v[24:25], v[6:7], 0, v[10:11]
	global_load_ushort v0, v[24:25], off offset:64
	v_lshl_add_u64 v[24:25], v[4:5], 0, v[10:11]
	s_waitcnt vmcnt(0)
	v_lshlrev_b32_e32 v0, 16, v0
	v_sub_f32_e32 v0, v0, v1
	global_store_short_d16_hi v[24:25], v0, off offset:64
	v_mul_f32_e32 v0, v16, v0
	v_lshrrev_b32_e32 v11, 16, v0
.LBB11_86:
	s_or_b64 exec, exec, s[6:7]
	v_mov_b32_e32 v15, 0
	v_mov_b32_e32 v13, 0
	s_and_saveexec_b64 s[6:7], s[0:1]
	s_cbranch_execz .LBB11_88
; %bb.87:
	v_mov_b32_e32 v13, 0
	v_lshl_add_u64 v[0:1], v[6:7], 0, v[12:13]
	global_load_ushort v23, v[0:1], off offset:64
	v_lshl_add_u64 v[0:1], v[4:5], 0, v[12:13]
	s_waitcnt vmcnt(0)
	v_lshlrev_b32_e32 v13, 16, v23
	v_sub_f32_e32 v2, v13, v2
	global_store_short_d16_hi v[0:1], v2, off offset:64
	v_mul_f32_e32 v0, v20, v2
	v_lshrrev_b32_e32 v13, 16, v0
.LBB11_88:
	s_or_b64 exec, exec, s[6:7]
	s_and_saveexec_b64 s[6:7], s[4:5]
	s_cbranch_execz .LBB11_90
; %bb.89:
	v_mov_b32_e32 v15, 0
	v_lshl_add_u64 v[0:1], v[6:7], 0, v[14:15]
	global_load_ushort v2, v[0:1], off offset:64
	v_lshl_add_u64 v[0:1], v[4:5], 0, v[14:15]
	s_waitcnt vmcnt(0)
	v_lshlrev_b32_e32 v2, 16, v2
	v_sub_f32_e32 v2, v2, v3
	global_store_short_d16_hi v[0:1], v2, off offset:64
	v_mul_f32_e32 v0, v17, v2
	v_lshrrev_b32_e32 v15, 16, v0
.LBB11_90:
	s_or_b64 exec, exec, s[6:7]
	s_mov_b32 s6, 0x5040100
	v_perm_b32 v24, v11, v9, s6
	v_or_b32_e32 v9, v21, v22
	v_accvgpr_read_b32 v0, a0
	v_perm_b32 v25, v15, v13, s6
	v_lshlrev_b32_e32 v9, 1, v9
	v_accvgpr_read_b32 v1, a1
	v_accvgpr_read_b32 v2, a2
	;; [unrolled: 1-line block ×3, first 2 shown]
	ds_write_b64 v9, v[24:25] offset:24576
	v_mov_b32_e32 v11, 0
	v_mov_b32_e32 v9, 0
	s_and_saveexec_b64 s[6:7], vcc
	s_cbranch_execz .LBB11_92
; %bb.91:
	v_mov_b32_e32 v9, 0
	v_lshl_add_u64 v[22:23], v[6:7], 0, v[8:9]
	global_load_ushort v13, v[22:23], off offset:96
	v_lshl_add_u64 v[8:9], v[4:5], 0, v[8:9]
	s_waitcnt vmcnt(0)
	v_lshlrev_b32_e32 v13, 16, v13
	v_sub_f32_e32 v0, v13, v0
	global_store_short_d16_hi v[8:9], v0, off offset:96
	v_mul_f32_e32 v0, v18, v0
	v_lshrrev_b32_e32 v9, 16, v0
.LBB11_92:
	s_or_b64 exec, exec, s[6:7]
	s_and_saveexec_b64 s[6:7], s[2:3]
	s_cbranch_execz .LBB11_94
; %bb.93:
	v_mov_b32_e32 v11, 0
	v_lshl_add_u64 v[22:23], v[6:7], 0, v[10:11]
	global_load_ushort v0, v[22:23], off offset:96
	v_lshl_add_u64 v[10:11], v[4:5], 0, v[10:11]
	s_waitcnt vmcnt(0)
	v_lshlrev_b32_e32 v0, 16, v0
	v_sub_f32_e32 v0, v0, v1
	global_store_short_d16_hi v[10:11], v0, off offset:96
	v_mul_f32_e32 v0, v16, v0
	v_lshrrev_b32_e32 v11, 16, v0
.LBB11_94:
	s_or_b64 exec, exec, s[6:7]
	v_mov_b32_e32 v0, 0
	v_mov_b32_e32 v1, 0
	s_and_saveexec_b64 s[2:3], s[0:1]
	s_cbranch_execz .LBB11_96
; %bb.95:
	v_mov_b32_e32 v13, 0
	v_lshl_add_u64 v[22:23], v[6:7], 0, v[12:13]
	global_load_ushort v1, v[22:23], off offset:96
	v_lshl_add_u64 v[12:13], v[4:5], 0, v[12:13]
	s_waitcnt vmcnt(0)
	v_lshlrev_b32_e32 v1, 16, v1
	v_sub_f32_e32 v1, v1, v2
	global_store_short_d16_hi v[12:13], v1, off offset:96
	v_mul_f32_e32 v1, v20, v1
	v_lshrrev_b32_e32 v1, 16, v1
.LBB11_96:
	s_or_b64 exec, exec, s[2:3]
	s_and_saveexec_b64 s[0:1], s[4:5]
	s_cbranch_execz .LBB11_98
; %bb.97:
	v_mov_b32_e32 v15, 0
	v_lshl_add_u64 v[6:7], v[6:7], 0, v[14:15]
	global_load_ushort v0, v[6:7], off offset:96
	v_lshl_add_u64 v[4:5], v[4:5], 0, v[14:15]
	s_waitcnt vmcnt(0)
	v_lshlrev_b32_e32 v0, 16, v0
	v_sub_f32_e32 v0, v0, v3
	global_store_short_d16_hi v[4:5], v0, off offset:96
	v_mul_f32_e32 v0, v17, v0
	v_lshrrev_b32_e32 v0, 16, v0
.LBB11_98:
	s_or_b64 exec, exec, s[0:1]
	s_mov_b32 s0, 0x5040100
	v_or_b32_e32 v2, v21, v19
	v_perm_b32 v1, v0, v1, s0
	v_perm_b32 v0, v11, v9, s0
	v_lshlrev_b32_e32 v2, 1, v2
	ds_write_b64 v2, v[0:1] offset:24576
	s_waitcnt lgkmcnt(0)
	s_barrier
.LBB11_99:
	s_endpgm
	.section	.rodata,"a",@progbits
	.p2align	6, 0x0
	.amdhsa_kernel _ZN12_GLOBAL__N_139chunk_gated_delta_rule_fwd_h_hip_kernelILi64ELb1ELb0ELb1ELb0ELb1ELb1ELb1ELb1EEEvPK12hip_bfloat16S3_S3_PKfS5_PKvPS1_S8_PvPKiSB_iiiiilll
		.amdhsa_group_segment_fixed_size 65536
		.amdhsa_private_segment_fixed_size 0
		.amdhsa_kernarg_size 136
		.amdhsa_user_sgpr_count 2
		.amdhsa_user_sgpr_dispatch_ptr 0
		.amdhsa_user_sgpr_queue_ptr 0
		.amdhsa_user_sgpr_kernarg_segment_ptr 1
		.amdhsa_user_sgpr_dispatch_id 0
		.amdhsa_user_sgpr_kernarg_preload_length 0
		.amdhsa_user_sgpr_kernarg_preload_offset 0
		.amdhsa_user_sgpr_private_segment_size 0
		.amdhsa_uses_dynamic_stack 0
		.amdhsa_enable_private_segment 0
		.amdhsa_system_sgpr_workgroup_id_x 1
		.amdhsa_system_sgpr_workgroup_id_y 1
		.amdhsa_system_sgpr_workgroup_id_z 0
		.amdhsa_system_sgpr_workgroup_info 0
		.amdhsa_system_vgpr_workitem_id 0
		.amdhsa_next_free_vgpr 232
		.amdhsa_next_free_sgpr 71
		.amdhsa_accum_offset 192
		.amdhsa_reserve_vcc 1
		.amdhsa_float_round_mode_32 0
		.amdhsa_float_round_mode_16_64 0
		.amdhsa_float_denorm_mode_32 3
		.amdhsa_float_denorm_mode_16_64 3
		.amdhsa_dx10_clamp 1
		.amdhsa_ieee_mode 1
		.amdhsa_fp16_overflow 0
		.amdhsa_tg_split 0
		.amdhsa_exception_fp_ieee_invalid_op 0
		.amdhsa_exception_fp_denorm_src 0
		.amdhsa_exception_fp_ieee_div_zero 0
		.amdhsa_exception_fp_ieee_overflow 0
		.amdhsa_exception_fp_ieee_underflow 0
		.amdhsa_exception_fp_ieee_inexact 0
		.amdhsa_exception_int_div_zero 0
	.end_amdhsa_kernel
	.section	.text._ZN12_GLOBAL__N_139chunk_gated_delta_rule_fwd_h_hip_kernelILi64ELb1ELb0ELb1ELb0ELb1ELb1ELb1ELb1EEEvPK12hip_bfloat16S3_S3_PKfS5_PKvPS1_S8_PvPKiSB_iiiiilll,"axG",@progbits,_ZN12_GLOBAL__N_139chunk_gated_delta_rule_fwd_h_hip_kernelILi64ELb1ELb0ELb1ELb0ELb1ELb1ELb1ELb1EEEvPK12hip_bfloat16S3_S3_PKfS5_PKvPS1_S8_PvPKiSB_iiiiilll,comdat
.Lfunc_end11:
	.size	_ZN12_GLOBAL__N_139chunk_gated_delta_rule_fwd_h_hip_kernelILi64ELb1ELb0ELb1ELb0ELb1ELb1ELb1ELb1EEEvPK12hip_bfloat16S3_S3_PKfS5_PKvPS1_S8_PvPKiSB_iiiiilll, .Lfunc_end11-_ZN12_GLOBAL__N_139chunk_gated_delta_rule_fwd_h_hip_kernelILi64ELb1ELb0ELb1ELb0ELb1ELb1ELb1ELb1EEEvPK12hip_bfloat16S3_S3_PKfS5_PKvPS1_S8_PvPKiSB_iiiiilll
                                        ; -- End function
	.section	.AMDGPU.csdata,"",@progbits
; Kernel info:
; codeLenInByte = 11588
; NumSgprs: 77
; NumVgprs: 190
; NumAgprs: 40
; TotalNumVgprs: 232
; ScratchSize: 0
; MemoryBound: 0
; FloatMode: 240
; IeeeMode: 1
; LDSByteSize: 65536 bytes/workgroup (compile time only)
; SGPRBlocks: 9
; VGPRBlocks: 28
; NumSGPRsForWavesPerEU: 77
; NumVGPRsForWavesPerEU: 232
; AccumOffset: 192
; Occupancy: 1
; WaveLimiterHint : 1
; COMPUTE_PGM_RSRC2:SCRATCH_EN: 0
; COMPUTE_PGM_RSRC2:USER_SGPR: 2
; COMPUTE_PGM_RSRC2:TRAP_HANDLER: 0
; COMPUTE_PGM_RSRC2:TGID_X_EN: 1
; COMPUTE_PGM_RSRC2:TGID_Y_EN: 1
; COMPUTE_PGM_RSRC2:TGID_Z_EN: 0
; COMPUTE_PGM_RSRC2:TIDIG_COMP_CNT: 0
; COMPUTE_PGM_RSRC3_GFX90A:ACCUM_OFFSET: 47
; COMPUTE_PGM_RSRC3_GFX90A:TG_SPLIT: 0
	.section	.text._ZN12_GLOBAL__N_139chunk_gated_delta_rule_fwd_h_hip_kernelILi64ELb1ELb0ELb0ELb0ELb1ELb1ELb1ELb1EEEvPK12hip_bfloat16S3_S3_PKfS5_PKvPS1_S8_PvPKiSB_iiiiilll,"axG",@progbits,_ZN12_GLOBAL__N_139chunk_gated_delta_rule_fwd_h_hip_kernelILi64ELb1ELb0ELb0ELb0ELb1ELb1ELb1ELb1EEEvPK12hip_bfloat16S3_S3_PKfS5_PKvPS1_S8_PvPKiSB_iiiiilll,comdat
	.globl	_ZN12_GLOBAL__N_139chunk_gated_delta_rule_fwd_h_hip_kernelILi64ELb1ELb0ELb0ELb0ELb1ELb1ELb1ELb1EEEvPK12hip_bfloat16S3_S3_PKfS5_PKvPS1_S8_PvPKiSB_iiiiilll ; -- Begin function _ZN12_GLOBAL__N_139chunk_gated_delta_rule_fwd_h_hip_kernelILi64ELb1ELb0ELb0ELb0ELb1ELb1ELb1ELb1EEEvPK12hip_bfloat16S3_S3_PKfS5_PKvPS1_S8_PvPKiSB_iiiiilll
	.p2align	8
	.type	_ZN12_GLOBAL__N_139chunk_gated_delta_rule_fwd_h_hip_kernelILi64ELb1ELb0ELb0ELb0ELb1ELb1ELb1ELb1EEEvPK12hip_bfloat16S3_S3_PKfS5_PKvPS1_S8_PvPKiSB_iiiiilll,@function
_ZN12_GLOBAL__N_139chunk_gated_delta_rule_fwd_h_hip_kernelILi64ELb1ELb0ELb0ELb0ELb1ELb1ELb1ELb1EEEvPK12hip_bfloat16S3_S3_PKfS5_PKvPS1_S8_PvPKiSB_iiiiilll: ; @_ZN12_GLOBAL__N_139chunk_gated_delta_rule_fwd_h_hip_kernelILi64ELb1ELb0ELb0ELb0ELb1ELb1ELb1ELb1EEEvPK12hip_bfloat16S3_S3_PKfS5_PKvPS1_S8_PvPKiSB_iiiiilll
; %bb.0:
	s_load_dwordx4 s[12:15], s[0:1], 0x5c
	s_load_dwordx4 s[16:19], s[0:1], 0x28
	s_abs_i32 s6, s3
	s_ashr_i32 s5, s3, 31
	v_and_b32_e32 v88, 15, v0
	s_waitcnt lgkmcnt(0)
	s_abs_i32 s4, s13
	v_cvt_f32_u32_e32 v1, s4
	s_sub_i32 s8, 0, s4
	s_ashr_i32 s7, s13, 31
	s_xor_b32 s5, s5, s7
	v_rcp_iflag_f32_e32 v1, v1
	v_lshrrev_b32_e32 v86, 6, v0
	v_bfe_u32 v87, v0, 4, 2
	v_mov_b32_e32 v7, 0
	v_mul_f32_e32 v1, 0x4f7ffffe, v1
	v_cvt_u32_f32_e32 v1, v1
	v_and_b32_e32 v45, 63, v0
	v_lshlrev_b32_e32 v89, 3, v0
	v_lshrrev_b32_e32 v90, 3, v45
	v_readfirstlane_b32 s9, v1
	s_mul_i32 s8, s8, s9
	s_mul_hi_u32 s8, s9, s8
	s_add_i32 s9, s9, s8
	s_mul_hi_u32 s8, s6, s9
	s_mul_i32 s9, s8, s4
	s_sub_i32 s6, s6, s9
	s_add_i32 s10, s8, 1
	s_sub_i32 s9, s6, s4
	s_cmp_ge_u32 s6, s4
	s_cselect_b32 s8, s10, s8
	s_cselect_b32 s6, s9, s6
	s_add_i32 s9, s8, 1
	s_cmp_ge_u32 s6, s4
	s_cselect_b32 s6, s9, s8
	s_xor_b32 s6, s6, s5
	s_sub_i32 s51, s6, s5
	s_mul_i32 s6, s51, s13
	s_sub_i32 s48, s3, s6
	s_abs_i32 s3, s14
	v_cvt_f32_u32_e32 v1, s3
	s_add_i32 s8, s12, 63
	s_ashr_i32 s9, s8, 31
	s_lshr_b32 s5, s9, 26
	v_rcp_iflag_f32_e32 v1, v1
	s_ashr_i32 s50, s12, 31
	s_add_i32 s8, s8, s5
	s_lshr_b32 s5, s50, 26
	v_mul_f32_e32 v1, 0x4f7ffffe, v1
	v_cvt_u32_f32_e32 v1, v1
	s_add_i32 s5, s12, s5
	s_ashr_i32 s53, s14, 31
	s_ashr_i32 s52, s5, 6
	s_lshl_b32 s36, s2, 6
	s_xor_b32 s2, s7, s53
	s_sub_i32 s5, 0, s3
	v_readfirstlane_b32 s7, v1
	s_mul_i32 s5, s5, s7
	s_mul_hi_u32 s5, s7, s5
	s_add_i32 s7, s7, s5
	s_mul_hi_u32 s5, s4, s7
	s_mul_i32 s7, s5, s3
	s_sub_i32 s4, s4, s7
	s_ashr_i32 s25, s8, 6
	s_add_i32 s7, s5, 1
	s_sub_i32 s8, s4, s3
	s_cmp_ge_u32 s4, s3
	s_cselect_b32 s5, s7, s5
	s_cselect_b32 s4, s8, s4
	s_add_i32 s7, s5, 1
	s_cmp_ge_u32 s4, s3
	s_cselect_b32 s3, s7, s5
	s_xor_b32 s3, s3, s2
	s_sub_i32 s2, s3, s2
	s_abs_i32 s3, s2
	v_cvt_f32_u32_e32 v1, s3
	s_sub_i32 s5, 0, s3
	s_abs_i32 s4, s48
	s_xor_b32 s2, s48, s2
	v_rcp_iflag_f32_e32 v1, v1
	s_ashr_i32 s2, s2, 31
	v_or_b32_e32 v46, s36, v88
	v_lshlrev_b32_e32 v2, 7, v46
	v_mul_f32_e32 v1, 0x4f7ffffe, v1
	v_cvt_u32_f32_e32 v1, v1
	v_or_b32_e32 v10, 0x800, v2
	v_ashrrev_i32_e32 v3, 31, v2
	v_ashrrev_i32_e32 v11, 31, v10
	v_readfirstlane_b32 s7, v1
	s_mul_i32 s5, s5, s7
	s_mul_hi_u32 s5, s7, s5
	s_add_i32 s7, s7, s5
	s_mul_hi_u32 s5, s4, s7
	s_mul_i32 s7, s5, s3
	s_sub_i32 s4, s4, s7
	s_add_i32 s7, s5, 1
	s_sub_i32 s8, s4, s3
	s_cmp_ge_u32 s4, s3
	s_cselect_b32 s5, s7, s5
	s_cselect_b32 s4, s8, s4
	s_add_i32 s7, s5, 1
	s_cmp_ge_u32 s4, s3
	s_cselect_b32 s3, s7, s5
	s_xor_b32 s3, s3, s2
	s_sub_i32 s54, s3, s2
	s_ashr_i32 s24, s51, 31
	s_ashr_i32 s49, s48, 31
	s_mul_hi_i32 s2, s51, s13
	s_add_u32 s38, s6, s48
	s_addc_u32 s39, s2, s49
	s_lshl_b64 s[2:3], s[38:39], 15
	v_lshlrev_b32_e32 v1, 4, v86
	s_add_u32 s2, s16, s2
	v_lshl_or_b32 v91, v87, 2, v1
	s_addc_u32 s3, s17, s3
	v_lshl_add_u64 v[4:5], v[2:3], 1, s[2:3]
	v_lshlrev_b32_e32 v6, 1, v91
	v_lshl_add_u64 v[10:11], v[10:11], 1, s[2:3]
	v_lshl_add_u64 v[4:5], v[4:5], 0, v[6:7]
	;; [unrolled: 1-line block ×3, first 2 shown]
	global_load_dwordx2 v[8:9], v[4:5], off
	v_or_b32_e32 v92, 64, v91
	global_load_dwordx2 v[4:5], v[4:5], off offset:128
	s_nop 0
	global_load_dwordx2 v[12:13], v[10:11], off
	global_load_dwordx2 v[14:15], v[10:11], off offset:128
	v_or_b32_e32 v10, 0x1000, v2
	v_or_b32_e32 v2, 0x1800, v2
	v_ashrrev_i32_e32 v11, 31, v10
	v_ashrrev_i32_e32 v3, 31, v2
	v_lshl_add_u64 v[10:11], v[10:11], 1, s[2:3]
	v_lshl_add_u64 v[2:3], v[2:3], 1, s[2:3]
	;; [unrolled: 1-line block ×4, first 2 shown]
	global_load_dwordx2 v[16:17], v[10:11], off
	s_mul_i32 s55, s51, s25
	global_load_dwordx2 v[10:11], v[10:11], off offset:128
	s_nop 0
	global_load_dwordx2 v[6:7], v[2:3], off
	global_load_dwordx2 v[18:19], v[2:3], off offset:128
	s_load_dwordx8 s[4:11], s[0:1], 0x0
	s_load_dwordx2 s[28:29], s[0:1], 0x80
	s_load_dwordx4 s[20:23], s[0:1], 0x70
	s_cmp_lt_i32 s12, 64
	s_mul_i32 s56, s39, s12
	s_mul_hi_u32 s57, s38, s12
	s_mul_i32 s16, s38, s12
	s_waitcnt lgkmcnt(0)
	s_mul_i32 s33, s51, s21
	s_mul_hi_u32 s44, s51, s20
	s_mul_i32 s39, s24, s20
	s_mul_i32 s34, s51, s20
	;; [unrolled: 1-line block ×3, first 2 shown]
	s_mul_hi_u32 s46, s48, s22
	s_mul_i32 s47, s49, s22
	s_mul_i32 s30, s48, s22
	s_waitcnt vmcnt(7)
	v_and_b32_e32 v75, 0xffff0000, v8
	v_lshlrev_b32_e32 v74, 16, v8
	v_and_b32_e32 v79, 0xffff0000, v9
	v_lshlrev_b32_e32 v78, 16, v9
	s_waitcnt vmcnt(6)
	v_and_b32_e32 v73, 0xffff0000, v4
	v_lshlrev_b32_e32 v72, 16, v4
	v_and_b32_e32 v77, 0xffff0000, v5
	v_lshlrev_b32_e32 v76, 16, v5
	;; [unrolled: 5-line block ×8, first 2 shown]
	s_cbranch_scc1 .LBB12_18
; %bb.1:
	s_add_i32 s17, s57, s56
	s_lshl_b64 s[2:3], s[16:17], 8
	v_and_b32_e32 v94, 56, v89
	s_add_u32 s20, s6, s2
	v_lshl_or_b32 v93, v86, 3, v90
	v_lshlrev_b32_e32 v2, 1, v94
	s_addc_u32 s2, s7, s3
	v_lshl_or_b32 v95, v93, 8, v2
	s_and_b32 s21, s2, 0xffff
	s_mov_b32 s23, 0x20000
	s_movk_i32 s22, 0x4000
	s_movk_i32 s2, 0x80
	v_or_b32_e32 v96, 0x2000, v95
	buffer_load_dwordx4 v[4:7], v95, s[20:23], 0 offen
	buffer_load_dwordx4 v[8:11], v95, s[20:23], s2 offen
	;; [unrolled: 1-line block ×4, first 2 shown]
	v_lshlrev_b32_e32 v3, 3, v93
	v_and_or_b32 v21, v0, 7, v3
	v_and_b32_e32 v3, 0x78, v3
	v_lshlrev_b32_e32 v21, 4, v21
	v_xor_b32_e32 v97, v21, v3
	v_mul_lo_u32 v20, v93, s15
	v_or_b32_e32 v98, 0x1000, v97
	v_xor_b32_e32 v3, 8, v97
	s_cmpk_eq_i32 s15, 0x80
	s_mov_b32 s58, s14
	v_xor_b32_e32 v21, 8, v98
	s_cselect_b64 s[2:3], -1, 0
	s_cmpk_lg_i32 s15, 0x80
	s_waitcnt vmcnt(3)
	ds_write_b64 v97, v[4:5] offset:49152
	ds_write_b64 v3, v[6:7] offset:49152
	s_waitcnt vmcnt(2)
	ds_write_b64 v97, v[8:9] offset:57344
	ds_write_b64 v3, v[10:11] offset:57344
	;; [unrolled: 3-line block ×4, first 2 shown]
	v_lshl_add_u32 v3, v20, 1, v94
	s_cbranch_scc0 .LBB12_3
; %bb.2:
	v_lshlrev_b32_e32 v5, 1, v3
	v_add_lshl_u32 v4, v3, s15, 1
	s_lshl_b32 s22, s15, 7
	s_load_dwordx2 s[40:41], s[0:1], 0x20
	v_lshl_or_b32 v2, v93, 9, v2
	s_cbranch_execz .LBB12_4
	s_branch .LBB12_5
.LBB12_3:
                                        ; implicit-def: $vgpr4
                                        ; implicit-def: $vgpr5
                                        ; implicit-def: $sgpr22
	s_load_dwordx2 s[40:41], s[0:1], 0x20
	v_lshl_or_b32 v2, v93, 9, v2
.LBB12_4:
	v_or_b32_e32 v4, 0x100, v2
	s_movk_i32 s22, 0x4000
	v_mov_b32_e32 v5, v2
.LBB12_5:
	s_mul_hi_u32 s0, s14, s12
	s_mul_i32 s1, s53, s12
	s_add_i32 s0, s0, s1
	s_mul_i32 s1, s14, s12
	s_mul_i32 s20, s1, s24
	s_mul_hi_u32 s21, s1, s51
	s_add_i32 s20, s21, s20
	s_mul_i32 s0, s0, s51
	s_add_i32 s20, s20, s0
	s_mul_i32 s1, s1, s51
	s_ashr_i32 s59, s54, 31
	s_add_u32 s0, s1, s54
	s_addc_u32 s1, s20, s59
	s_lshl_b64 s[0:1], s[0:1], 8
	s_add_u32 s20, s4, s0
	s_addc_u32 s0, s5, s1
	s_and_b32 s21, s0, 0xffff
	s_movk_i32 s60, 0x80
	buffer_load_dwordx4 v[6:9], v5, s[20:23], 0 offen
	buffer_load_dwordx4 v[10:13], v5, s[20:23], s60 offen
	;; [unrolled: 1-line block ×4, first 2 shown]
	v_and_b32_e32 v5, 6, v0
	v_lshlrev_b32_e32 v4, 7, v91
	v_xor_b32_e32 v26, v93, v5
	v_and_b32_e32 v22, 1, v0
	v_lshl_or_b32 v29, v88, 3, v4
	v_lshlrev_b32_e32 v26, 2, v26
	v_or_b32_e32 v99, 0x4000, v29
	v_or_b32_e32 v100, 0x6000, v29
	v_xor_b32_e32 v29, 0x440, v26
	v_cmp_eq_u32_e32 vcc, 0, v22
	v_lshlrev_b32_e32 v23, 2, v88
	s_mov_b32 s63, 0x1000504
	v_cndmask_b32_e32 v22, v29, v26, vcc
	v_xor_b32_e32 v27, v91, v23
	v_xor_b32_e32 v28, v92, v23
	v_lshl_or_b32 v5, v5, 10, v22
	s_mov_b32 s64, 0x3020706
	v_lshlrev_b32_e32 v24, 8, v88
	v_or_b32_e32 v25, 16, v88
	v_lshlrev_b32_e32 v27, 1, v27
	v_lshlrev_b32_e32 v28, 1, v28
	v_xor_b32_e32 v22, 8, v5
	v_xor_b32_e32 v26, 24, v5
	;; [unrolled: 1-line block ×4, first 2 shown]
	s_mul_i32 s24, s24, s12
	s_mul_hi_u32 s0, s51, s12
	v_or_b32_e32 v102, v24, v27
	v_or_b32_e32 v103, v24, v28
	v_xor_b32_e32 v24, 16, v5
	v_xor_b32_e32 v29, 32, v5
	;; [unrolled: 1-line block ×3, first 2 shown]
	v_add_u32_e32 v22, 0x80, v22
	v_add_u32_e32 v26, 0x80, v26
	;; [unrolled: 1-line block ×4, first 2 shown]
	s_add_i32 s65, s0, s24
	s_add_i32 s0, s44, s33
	;; [unrolled: 1-line block ×5, first 2 shown]
	s_lshl_b64 s[0:1], s[34:35], 2
	s_add_u32 s20, s10, s0
	s_addc_u32 s21, s11, s1
	s_lshl_b64 s[0:1], s[30:31], 2
	s_add_u32 s42, s20, s0
	s_movk_i32 s0, 0xf8
	s_addc_u32 s43, s21, s1
	s_ashr_i32 s37, s36, 31
	s_lshl_b32 s26, s15, 7
	v_mov_b32_e32 v81, 0
	s_movk_i32 s20, 0x100
	v_lshlrev_b32_e32 v80, 4, v88
	s_mul_i32 s61, s51, s12
	v_lshl_or_b32 v30, v25, 3, v4
	v_ashrrev_i32_e32 v47, 31, v46
	s_mov_b32 s62, 0
	v_or_b32_e32 v101, 0x4000, v30
	s_movk_i32 s22, 0x4000
	v_or_b32_e32 v104, 0x6000, v30
	v_lshl_add_u64 v[82:83], v[46:47], 1, s[8:9]
	s_mov_b32 s35, 0x7060302
	s_movk_i32 s66, 0x3000
	s_mov_b32 s68, 0
	s_waitcnt vmcnt(1)
	v_perm_b32 v34, v6, v14, s63
	s_waitcnt vmcnt(0)
	v_perm_b32 v35, v10, v18, s63
	v_perm_b32 v6, v6, v14, s64
	;; [unrolled: 1-line block ×15, first 2 shown]
	ds_write2st64_b32 v5, v34, v35 offset0:128 offset1:160
	ds_write2st64_b32 v22, v6, v10 offset0:128 offset1:160
	;; [unrolled: 1-line block ×8, first 2 shown]
	v_lshlrev_b32_e32 v5, 8, v25
	v_or_b32_e32 v105, v5, v27
	v_or_b32_e32 v106, v5, v28
	;; [unrolled: 1-line block ×3, first 2 shown]
	v_lshl_or_b32 v6, v5, 3, v4
	v_lshlrev_b32_e32 v5, 8, v5
	v_or_b32_e32 v109, v5, v27
	v_or_b32_e32 v110, v5, v28
	;; [unrolled: 1-line block ×5, first 2 shown]
	v_lshl_or_b32 v6, v5, 3, v4
	v_lshlrev_b32_e32 v5, 8, v5
	v_or_b32_e32 v113, v5, v27
	v_or_b32_e32 v114, v5, v28
	;; [unrolled: 1-line block ×3, first 2 shown]
	v_lshlrev_b32_e32 v5, 3, v5
	v_lshrrev_b32_e32 v7, 5, v45
	v_and_or_b32 v7, v5, s0, v7
	v_lshlrev_b32_e32 v7, 4, v7
	v_or_b32_e32 v111, 0x4000, v6
	v_or_b32_e32 v112, 0x6000, v6
	v_lshrrev_b32_e32 v6, 2, v45
	v_lshlrev_b32_e32 v9, 11, v86
	v_and_b32_e32 v5, 0x78, v5
	v_or_b32_e32 v13, 32, v7
	v_and_b32_e32 v8, 12, v6
	v_and_b32_e32 v6, 0x1000, v9
	v_xor_b32_e32 v10, v7, v5
	v_lshrrev_b32_e32 v11, 1, v45
	v_xor_b32_e32 v13, v13, v5
	v_or_b32_e32 v10, v10, v6
	v_and_b32_e32 v11, 8, v11
	v_or_b32_e32 v13, v13, v6
	v_xor_b32_e32 v115, v10, v11
	v_lshlrev_b32_e32 v10, 8, v87
	v_xor_b32_e32 v117, v13, v11
	v_or_b32_e32 v13, 64, v7
	v_or_b32_e32 v7, 0x60, v7
	;; [unrolled: 1-line block ×3, first 2 shown]
	v_xor_b32_e32 v13, v13, v5
	v_xor_b32_e32 v5, v7, v5
	s_lshl_b64 s[0:1], s[36:37], 8
	v_lshlrev_b32_e32 v12, 1, v12
	v_or_b32_e32 v13, v13, v6
	v_or_b32_e32 v5, v5, v6
	s_add_u32 s0, s18, s0
	v_lshlrev_b32_e32 v6, 1, v88
	v_lshlrev_b32_e32 v15, 2, v0
	v_or_b32_e32 v116, 0x4000, v12
	v_or_b32_e32 v118, 0x4080, v12
	;; [unrolled: 1-line block ×4, first 2 shown]
	v_xor_b32_e32 v121, v13, v11
	v_xor_b32_e32 v122, v5, v11
	v_or_b32_e32 v123, 0x6000, v12
	v_or_b32_e32 v124, 0x6080, v12
	v_or_b32_e32 v125, 0x6100, v12
	v_or_b32_e32 v126, 0x6180, v12
	v_lshlrev_b32_e32 v5, 1, v3
	v_add_lshl_u32 v3, v3, s15, 1
	v_or_b32_e32 v11, 0x100, v2
	v_lshrrev_b32_e32 v12, 4, v0
	s_addc_u32 s1, s19, s1
	v_or_b32_e32 v7, 1, v6
	v_lshrrev_b32_e32 v16, 1, v0
	v_and_or_b32 v10, v15, 60, v10
	v_xor_b32_e32 v13, v12, v6
	v_xor_b32_e32 v14, v7, v12
	v_lshl_add_u64 v[6:7], s[0:1], 0, v[80:81]
	v_and_b32_e32 v16, 24, v16
	v_lshlrev_b32_e32 v10, 1, v10
	v_cndmask_b32_e64 v133, v5, v2, s[2:3]
	v_cndmask_b32_e64 v134, v3, v11, s[2:3]
	v_mov_b32_e32 v3, 0xa000
	v_mov_b32_e32 v5, 0x8000
	v_cmp_gt_u32_e64 s[0:1], s20, v0
	v_lshlrev_b32_e32 v80, 8, v12
	v_or_b32_e32 v129, 0x6000, v10
	v_or_b32_e32 v15, 32, v16
	;; [unrolled: 1-line block ×6, first 2 shown]
	v_cndmask_b32_e64 v3, v3, v5, s[0:1]
	v_lshlrev_b32_e32 v5, 3, v86
	v_lshl_or_b32 v127, v13, 3, v80
	v_and_b32_e32 v13, 8, v0
	v_xor_b32_e32 v11, v5, v16
	v_xor_b32_e32 v15, v5, v15
	;; [unrolled: 1-line block ×3, first 2 shown]
	v_mov_b32_e32 v17, 0x400
	v_cmp_eq_u32_e32 vcc, 0, v13
	v_or_b32_e32 v16, 0x440, v11
	v_or_b32_e32 v18, 0x440, v15
	v_xor_b32_e32 v10, 0x440, v5
	v_and_b32_e32 v12, 7, v0
	v_cndmask_b32_e64 v13, v17, 64, vcc
	v_cndmask_b32_e32 v16, v16, v11, vcc
	v_cndmask_b32_e32 v15, v18, v15, vcc
	v_cndmask_b32_e32 v5, v10, v5, vcc
	v_lshl_or_b32 v128, v14, 3, v80
	v_lshlrev_b32_e32 v14, 3, v12
	v_or_b32_e32 v16, v16, v9
	v_or_b32_e32 v15, v15, v9
	v_or3_b32 v11, v9, v13, v11
	v_or_b32_e32 v5, v5, v9
	v_lshlrev_b32_e32 v12, 7, v12
	v_xor_b32_e32 v16, v16, v14
	v_xor_b32_e32 v15, v15, v14
	;; [unrolled: 1-line block ×4, first 2 shown]
	v_or_b32_e32 v2, v1, v8
	v_add_u32_e32 v17, v3, v16
	v_add_u32_e32 v18, v3, v15
	v_or_b32_e32 v135, v11, v12
	v_add_u32_e32 v9, v3, v5
	v_or3_b32 v8, v1, v8, 64
	v_add_u32_e32 v10, 0xa000, v16
	v_add_u32_e32 v11, 0xa000, v15
	v_add_u32_e32 v5, 0xa000, v5
	v_lshl_add_u64 v[84:85], v[6:7], 0, v[80:81]
	s_add_i32 s31, s61, 63
	v_lshlrev_b32_e32 v80, 1, v4
	s_movk_i32 s37, 0x2000
	v_lshlrev_b32_e32 v47, 2, v2
	v_add_u32_e32 v136, v17, v12
	v_add_u32_e32 v137, v18, v12
	;; [unrolled: 1-line block ×4, first 2 shown]
	v_lshlrev_b32_e32 v140, 2, v8
	v_add_u32_e32 v141, v10, v12
	v_add_u32_e32 v142, v11, v12
	;; [unrolled: 1-line block ×3, first 2 shown]
	s_waitcnt lgkmcnt(0)
	s_barrier
.LBB12_6:                               ; =>This Inner Loop Header: Depth=1
	s_add_i32 s67, s68, 1
	s_cmp_lt_i32 s67, s52
	s_mov_b64 s[24:25], 0
	s_cselect_b64 s[2:3], -1, 0
	s_cmp_ge_i32 s67, s52
	s_mov_b64 s[20:21], 0
	s_cbranch_scc1 .LBB12_8
; %bb.7:                                ;   in Loop: Header=BB12_6 Depth=1
	s_add_i32 s0, s62, 64
	s_add_u32 s0, s16, s0
	s_addc_u32 s1, s17, 0
	s_lshl_b64 s[0:1], s[0:1], 8
	s_add_u32 s20, s6, s0
	s_addc_u32 s21, s7, s1
.LBB12_8:                               ;   in Loop: Header=BB12_6 Depth=1
	v_cndmask_b32_e64 v2, 0, 1, s[2:3]
	v_cmp_ne_u32_e64 s[0:1], 1, v2
	s_andn2_b64 vcc, exec, s[2:3]
	s_cbranch_vccnz .LBB12_10
; %bb.9:                                ;   in Loop: Header=BB12_6 Depth=1
	s_add_i32 s2, s62, 64
	s_add_u32 s2, s61, s2
	s_addc_u32 s3, s65, 0
	s_mul_i32 s24, s2, s53
	s_mul_hi_u32 s25, s2, s58
	s_add_i32 s24, s25, s24
	s_mul_i32 s3, s3, s58
	s_add_i32 s24, s24, s3
	s_mul_i32 s2, s2, s58
	s_add_u32 s2, s2, s54
	s_addc_u32 s3, s24, s59
	s_lshl_b64 s[2:3], s[2:3], 8
	s_add_u32 s24, s4, s2
	s_addc_u32 s25, s5, s3
.LBB12_10:                              ;   in Loop: Header=BB12_6 Depth=1
	v_perm_b32 v3, v79, v78, s35
	v_perm_b32 v2, v75, v74, s35
	v_perm_b32 v5, v77, v76, s35
	v_perm_b32 v4, v73, v72, s35
	ds_write_b64 v99, v[2:3]
	ds_write_b64 v100, v[4:5]
	ds_write_b64 v102, v[2:3]
	ds_write_b64 v103, v[4:5]
	v_perm_b32 v3, v71, v70, s35
	v_perm_b32 v2, v67, v66, s35
	v_perm_b32 v5, v69, v68, s35
	v_perm_b32 v4, v65, v64, s35
	ds_write_b64 v101, v[2:3]
	ds_write_b64 v104, v[4:5]
	ds_write_b64 v105, v[2:3]
	ds_write_b64 v106, v[4:5]
	;; [unrolled: 8-line block ×4, first 2 shown]
	s_waitcnt lgkmcnt(0)
	s_barrier
	ds_read_b64 v[6:7], v115 offset:49152
	ds_read2_b64 v[2:5], v116 offset1:16
	ds_read_b64 v[18:19], v118 offset:6144
	ds_read_b64 v[20:21], v116 offset:6144
	s_waitcnt lgkmcnt(2)
	v_mfma_f32_16x16x16_bf16 a[0:3], v[6:7], v[2:3], 0
	ds_read_b64 v[22:23], v117 offset:49152
	ds_read2st64_b64 v[10:13], v119 offset0:4 offset1:8
	ds_read2st64_b64 v[14:17], v120 offset0:4 offset1:8
	v_mfma_f32_16x16x16_bf16 a[4:7], v[6:7], v[4:5], 0
	ds_read2_b64 v[2:5], v116 offset0:32 offset1:48
	s_add_i32 s2, s62, 63
	s_mul_i32 s3, s2, s29
	s_waitcnt lgkmcnt(0)
	v_mfma_f32_16x16x16_bf16 a[8:11], v[6:7], v[2:3], 0
	s_mul_hi_u32 s27, s2, s28
	s_add_i32 s3, s27, s3
	s_mul_i32 s2, s2, s28
	v_mfma_f32_16x16x16_bf16 a[12:15], v[6:7], v[4:5], 0
	ds_read2st64_b64 v[2:5], v116 offset0:4 offset1:8
	ds_read2st64_b64 v[6:9], v118 offset0:4 offset1:8
	s_lshl_b64 s[2:3], s[2:3], 2
	s_waitcnt lgkmcnt(1)
	v_mfma_f32_16x16x16_bf16 a[0:3], v[22:23], v[2:3], a[0:3]
	s_add_u32 s2, s42, s2
	s_addc_u32 s3, s43, s3
	s_and_b64 vcc, exec, s[0:1]
	s_waitcnt lgkmcnt(0)
	v_mfma_f32_16x16x16_bf16 a[4:7], v[22:23], v[6:7], a[4:7]
	v_mov_b32_e32 v146, 0
	v_mov_b32_e32 v145, 0
	;; [unrolled: 1-line block ×3, first 2 shown]
	v_mfma_f32_16x16x16_bf16 a[8:11], v[22:23], v[10:11], a[8:11]
	ds_read_b64 v[2:3], v121 offset:49152
	ds_read_b64 v[6:7], v122 offset:49152
	;; [unrolled: 1-line block ×3, first 2 shown]
	v_mfma_f32_16x16x16_bf16 a[12:15], v[22:23], v[14:15], a[12:15]
	v_mov_b32_e32 v14, 0
	v_mov_b32_e32 v15, 0
	s_waitcnt lgkmcnt(2)
	v_mfma_f32_16x16x16_bf16 a[0:3], v[2:3], v[4:5], a[0:3]
	v_mov_b32_e32 v4, 0
	v_mov_b32_e32 v5, 0
	v_mfma_f32_16x16x16_bf16 a[16:19], v[2:3], v[8:9], a[4:7]
	v_mov_b32_e32 v8, 0
	v_mov_b32_e32 v9, 0
	;; [unrolled: 3-line block ×3, first 2 shown]
	v_mfma_f32_16x16x16_bf16 a[24:27], v[2:3], v[16:17], a[12:15]
	ds_read_b64 v[2:3], v119 offset:6144
	v_mov_b32_e32 v16, 0
	v_mov_b32_e32 v17, 0
	s_waitcnt lgkmcnt(2)
	v_mfma_f32_16x16x16_bf16 a[4:7], v[6:7], v[20:21], a[0:3]
	v_mfma_f32_16x16x16_bf16 a[8:11], v[6:7], v[18:19], a[16:19]
	s_waitcnt lgkmcnt(0)
	v_mfma_f32_16x16x16_bf16 a[12:15], v[6:7], v[2:3], a[20:23]
	v_mov_b32_e32 v2, 0
	v_mov_b32_e32 v3, 0
	v_mfma_f32_16x16x16_bf16 a[0:3], v[6:7], v[10:11], a[24:27]
	v_mov_b32_e32 v6, 0
	v_mov_b32_e32 v7, 0
	;; [unrolled: 1-line block ×4, first 2 shown]
	s_cbranch_vccnz .LBB12_12
; %bb.11:                               ;   in Loop: Header=BB12_6 Depth=1
	s_and_b32 s21, s21, 0xffff
	buffer_load_dwordx4 v[14:17], v95, s[20:23], 0 offen
	buffer_load_dwordx4 v[10:13], v95, s[20:23], s60 offen
	;; [unrolled: 1-line block ×4, first 2 shown]
	v_mov_b32_e32 v145, v97
	v_mov_b32_e32 v144, v98
.LBB12_12:                              ;   in Loop: Header=BB12_6 Depth=1
	ds_read_b64 v[34:35], v115 offset:57344
	ds_read2_b64 v[18:21], v123 offset1:16
	ds_read_b64 v[36:37], v117 offset:57344
	ds_read_b64 v[38:39], v121 offset:57344
	ds_read_b64 v[40:41], v122 offset:57344
	v_add_u32_e32 v42, s62, v91
	s_waitcnt lgkmcnt(3)
	v_mfma_f32_16x16x16_bf16 a[4:7], v[34:35], v[18:19], a[4:7]
	v_mfma_f32_16x16x16_bf16 a[8:11], v[34:35], v[20:21], a[8:11]
	ds_read2_b64 v[18:21], v123 offset0:32 offset1:48
	ds_read2st64_b64 v[22:25], v123 offset0:4 offset1:8
	ds_read2st64_b64 v[26:29], v124 offset0:4 offset1:8
	;; [unrolled: 1-line block ×3, first 2 shown]
	s_waitcnt lgkmcnt(3)
	v_mfma_f32_16x16x16_bf16 a[12:15], v[34:35], v[18:19], a[12:15]
	v_ashrrev_i32_e32 v18, 31, v42
	v_mfma_f32_16x16x16_bf16 a[0:3], v[34:35], v[20:21], a[0:3]
	v_mul_lo_u32 v20, v18, s28
	v_mul_lo_u32 v21, v42, s29
	v_mad_u64_u32 v[18:19], s[20:21], v42, s28, 0
	v_add3_u32 v19, v19, v21, v20
	v_add_u32_e32 v20, 1, v42
	v_ashrrev_i32_e32 v21, 31, v20
	s_waitcnt lgkmcnt(2)
	v_mfma_f32_16x16x16_bf16 a[4:7], v[36:37], v[22:23], a[4:7]
	v_mul_lo_u32 v22, v21, s28
	v_mul_lo_u32 v23, v20, s29
	v_mad_u64_u32 v[20:21], s[20:21], v20, s28, 0
	v_add3_u32 v21, v21, v23, v22
	v_add_u32_e32 v22, 2, v42
	v_ashrrev_i32_e32 v23, 31, v22
	s_waitcnt lgkmcnt(1)
	v_mfma_f32_16x16x16_bf16 a[8:11], v[36:37], v[26:27], a[8:11]
	v_mul_lo_u32 v26, v23, s28
	v_mul_lo_u32 v27, v22, s29
	v_mad_u64_u32 v[22:23], s[20:21], v22, s28, 0
	v_add3_u32 v23, v23, v27, v26
	v_add_u32_e32 v26, 3, v42
	v_ashrrev_i32_e32 v27, 31, v26
	v_mul_lo_u32 v34, v27, s28
	v_mul_lo_u32 v35, v26, s29
	v_mad_u64_u32 v[26:27], s[20:21], v26, s28, 0
	s_add_u32 s20, s16, s62
	s_addc_u32 s21, s17, 0
	v_lshl_add_u64 v[18:19], v[18:19], 2, s[42:43]
	v_add3_u32 v27, v27, v35, v34
	s_lshl_b64 s[20:21], s[20:21], 8
	v_lshl_add_u64 v[20:21], v[20:21], 2, s[42:43]
	v_lshl_add_u64 v[22:23], v[22:23], 2, s[42:43]
	;; [unrolled: 1-line block ×3, first 2 shown]
	global_load_dword v34, v[18:19], off
	global_load_dword v35, v[20:21], off
	global_load_dword v42, v[22:23], off
	global_load_dword v43, v[26:27], off
	v_lshl_add_u64 v[18:19], v[82:83], 0, s[20:21]
	v_lshl_add_u64 v[22:23], v[18:19], 0, v[80:81]
	global_load_ushort v44, v[22:23], off offset:256
	global_load_ushort v147, v[22:23], off
	ds_read2st64_b64 v[18:21], v126 offset0:4 offset1:8
	global_load_ushort v148, v[22:23], off offset:768
	global_load_ushort v149, v[22:23], off offset:512
	s_waitcnt lgkmcnt(1)
	v_mfma_f32_16x16x16_bf16 a[12:15], v[36:37], v[30:31], a[12:15]
	s_and_b64 vcc, exec, s[0:1]
	s_waitcnt vmcnt(3)
	v_lshlrev_b32_e32 v31, 16, v44
	s_waitcnt lgkmcnt(0)
	v_mfma_f32_16x16x16_bf16 a[0:3], v[36:37], v[18:19], a[0:3]
	global_load_ushort v36, v[22:23], off offset:288
	global_load_ushort v37, v[22:23], off offset:32
	;; [unrolled: 1-line block ×8, first 2 shown]
	v_mfma_f32_16x16x16_bf16 a[4:7], v[38:39], v[24:25], a[4:7]
	ds_read_b64 v[18:19], v123 offset:6144
	s_waitcnt vmcnt(10)
	v_lshlrev_b32_e32 v30, 16, v147
	v_mov_b32_e32 v147, 0
	v_mfma_f32_16x16x16_bf16 a[8:11], v[38:39], v[28:29], a[8:11]
	v_mfma_f32_16x16x16_bf16 a[12:15], v[38:39], v[32:33], a[12:15]
	;; [unrolled: 1-line block ×3, first 2 shown]
	global_load_ushort v38, v[22:23], off offset:352
	global_load_ushort v39, v[22:23], off offset:96
	ds_read_b64 v[20:21], v124 offset:6144
	ds_read_b64 v[24:25], v125 offset:6144
	ds_read_b64 v[26:27], v126 offset:6144
	global_load_ushort v156, v[22:23], off offset:864
	global_load_ushort v157, v[22:23], off offset:608
	s_load_dword s2, s[2:3], 0x0
	s_waitcnt lgkmcnt(0)
	v_mfma_f32_16x16x16_bf16 a[4:7], v[40:41], v[18:19], a[4:7]
	v_sub_f32_e32 v28, s2, v42
	v_mfma_f32_16x16x16_bf16 a[0:3], v[40:41], v[26:27], a[0:3]
	v_sub_f32_e32 v26, s2, v34
	v_sub_f32_e32 v27, s2, v35
	;; [unrolled: 1-line block ×3, first 2 shown]
	v_mfma_f32_16x16x16_bf16 a[8:11], v[40:41], v[20:21], a[8:11]
	v_exp_f32_e32 v26, v26
	v_exp_f32_e32 v27, v27
	v_exp_f32_e32 v28, v28
	v_exp_f32_e32 v29, v29
	v_accvgpr_read_b32 v33, a5
	v_accvgpr_read_b32 v32, a4
	;; [unrolled: 1-line block ×4, first 2 shown]
	v_pk_add_f32 v[30:31], v[30:31], v[32:33] neg_lo:[0,1] neg_hi:[0,1]
	s_waitcnt vmcnt(13)
	v_lshlrev_b32_e32 v33, 16, v148
	s_waitcnt vmcnt(12)
	v_lshlrev_b32_e32 v32, 16, v149
	v_pk_add_f32 v[18:19], v[32:33], v[18:19] neg_lo:[0,1] neg_hi:[0,1]
	v_pk_mul_f32 v[30:31], v[26:27], v[30:31]
	v_pk_mul_f32 v[18:19], v[28:29], v[18:19]
	v_accvgpr_read_b32 v33, a9
	v_perm_b32 v19, v19, v18, s35
	v_perm_b32 v18, v31, v30, s35
	v_accvgpr_read_b32 v32, a8
	v_accvgpr_read_b32 v21, a11
	v_mfma_f32_16x16x16_bf16 a[12:15], v[40:41], v[24:25], a[12:15]
	v_accvgpr_read_b32 v20, a10
	v_accvgpr_read_b32 v25, a3
	;; [unrolled: 1-line block ×3, first 2 shown]
	s_waitcnt vmcnt(11)
	v_lshlrev_b32_e32 v31, 16, v36
	s_waitcnt vmcnt(10)
	v_lshlrev_b32_e32 v30, 16, v37
	v_pk_add_f32 v[30:31], v[30:31], v[32:33] neg_lo:[0,1] neg_hi:[0,1]
	s_waitcnt vmcnt(9)
	v_lshlrev_b32_e32 v33, 16, v150
	s_waitcnt vmcnt(8)
	v_lshlrev_b32_e32 v32, 16, v151
	v_pk_add_f32 v[20:21], v[32:33], v[20:21] neg_lo:[0,1] neg_hi:[0,1]
	v_pk_mul_f32 v[30:31], v[26:27], v[30:31]
	v_pk_mul_f32 v[20:21], v[28:29], v[20:21]
	v_accvgpr_read_b32 v23, a15
	v_perm_b32 v21, v21, v20, s35
	v_perm_b32 v20, v31, v30, s35
	ds_write2_b64 v100, v[18:19], v[20:21] offset1:16
	v_accvgpr_read_b32 v21, a13
	s_waitcnt vmcnt(7)
	v_lshlrev_b32_e32 v19, 16, v152
	s_waitcnt vmcnt(6)
	v_lshlrev_b32_e32 v18, 16, v153
	v_accvgpr_read_b32 v20, a12
	v_accvgpr_read_b32 v22, a14
	v_pk_add_f32 v[18:19], v[18:19], v[20:21] neg_lo:[0,1] neg_hi:[0,1]
	s_waitcnt vmcnt(5)
	v_lshlrev_b32_e32 v21, 16, v154
	s_waitcnt vmcnt(4)
	v_lshlrev_b32_e32 v20, 16, v155
	v_pk_add_f32 v[20:21], v[20:21], v[22:23] neg_lo:[0,1] neg_hi:[0,1]
	v_pk_mul_f32 v[18:19], v[26:27], v[18:19]
	v_pk_mul_f32 v[20:21], v[28:29], v[20:21]
	v_accvgpr_read_b32 v23, a1
	v_perm_b32 v21, v21, v20, s35
	v_perm_b32 v20, v19, v18, s35
	s_waitcnt vmcnt(3)
	v_lshlrev_b32_e32 v19, 16, v38
	s_waitcnt vmcnt(2)
	v_lshlrev_b32_e32 v18, 16, v39
	v_accvgpr_read_b32 v22, a0
	v_pk_add_f32 v[18:19], v[18:19], v[22:23] neg_lo:[0,1] neg_hi:[0,1]
	s_waitcnt vmcnt(1)
	v_lshlrev_b32_e32 v23, 16, v156
	s_waitcnt vmcnt(0)
	v_lshlrev_b32_e32 v22, 16, v157
	v_pk_add_f32 v[22:23], v[22:23], v[24:25] neg_lo:[0,1] neg_hi:[0,1]
	v_pk_mul_f32 v[18:19], v[26:27], v[18:19]
	v_pk_mul_f32 v[22:23], v[28:29], v[22:23]
	v_mov_b32_e32 v24, 0
	v_perm_b32 v23, v23, v22, s35
	v_perm_b32 v22, v19, v18, s35
	ds_write2_b64 v100, v[20:21], v[22:23] offset0:32 offset1:48
	v_mov_b32_e32 v18, 0
	v_mov_b32_e32 v19, 0
	;; [unrolled: 1-line block ×15, first 2 shown]
	s_cbranch_vccnz .LBB12_14
; %bb.13:                               ;   in Loop: Header=BB12_6 Depth=1
	s_and_b32 s25, s25, 0xffff
	s_mov_b32 s27, s23
	buffer_load_dwordx4 v[30:33], v133, s[24:27], 0 offen
	buffer_load_dwordx4 v[22:25], v133, s[24:27], s60 offen
	;; [unrolled: 1-line block ×4, first 2 shown]
	v_mov_b32_e32 v146, v94
	v_mov_b32_e32 v147, v93
.LBB12_14:                              ;   in Loop: Header=BB12_6 Depth=1
	s_waitcnt lgkmcnt(0)
	s_barrier
	ds_read_b64 v[42:43], v136
	ds_read2_b64 v[34:37], v129 offset1:16
	ds_read_b64 v[164:165], v137
	ds_read_b64 v[166:167], v138
	;; [unrolled: 1-line block ×3, first 2 shown]
	ds_read2_b64 v[38:41], v129 offset0:32 offset1:48
	ds_read2st64_b64 v[148:151], v129 offset0:4 offset1:8
	ds_read2st64_b64 v[152:155], v130 offset0:4 offset1:8
	;; [unrolled: 1-line block ×4, first 2 shown]
	s_waitcnt lgkmcnt(8)
	v_mfma_f32_16x16x16_bf16 a[0:3], v[42:43], v[34:35], 0
	s_add_i32 s3, s55, s68
	s_mul_hi_i32 s21, s3, s13
	s_mul_i32 s3, s3, s13
	v_mfma_f32_16x16x16_bf16 a[4:7], v[42:43], v[36:37], 0
	s_add_u32 s20, s3, s48
	s_addc_u32 s21, s21, s49
	s_add_i32 s3, s31, s62
	s_waitcnt lgkmcnt(4)
	v_mfma_f32_16x16x16_bf16 a[8:11], v[42:43], v[38:39], 0
	s_lshl_b64 s[20:21], s[20:21], 15
	s_mul_hi_i32 s25, s3, s13
	s_mul_i32 s3, s3, s13
	v_mfma_f32_16x16x16_bf16 a[12:15], v[42:43], v[40:41], 0
	ds_read_b64 v[42:43], v129 offset:6144
	ds_read_b64 v[176:177], v130 offset:6144
	;; [unrolled: 1-line block ×4, first 2 shown]
	s_add_u32 s24, s3, s48
	s_waitcnt lgkmcnt(7)
	v_mfma_f32_16x16x16_bf16 a[0:3], v[164:165], v[148:149], a[0:3]
	s_addc_u32 s25, s25, s49
	s_lshl_b64 s[24:25], s[24:25], 9
	s_add_u32 s24, s40, s24
	s_waitcnt lgkmcnt(6)
	v_mfma_f32_16x16x16_bf16 a[4:7], v[164:165], v[152:153], a[4:7]
	s_addc_u32 s25, s41, s25
	v_lshl_add_u64 v[186:187], v[84:85], 0, s[20:21]
	s_waitcnt lgkmcnt(5)
	v_mfma_f32_16x16x16_bf16 a[8:11], v[164:165], v[156:157], a[8:11]
	s_waitcnt lgkmcnt(4)
	v_mfma_f32_16x16x16_bf16 a[12:15], v[164:165], v[160:161], a[12:15]
	ds_read_b64 v[164:165], v141
	ds_read_b64 v[174:175], v142
	;; [unrolled: 1-line block ×3, first 2 shown]
	s_waitcnt lgkmcnt(2)
	v_mfma_f32_16x16x16_bf16 a[16:19], v[164:165], v[34:35], 0
	v_mfma_f32_16x16x16_bf16 a[20:23], v[164:165], v[36:37], 0
	global_load_dwordx4 v[34:37], v140, s[24:25]
	v_mfma_f32_16x16x16_bf16 a[24:27], v[164:165], v[38:39], 0
	v_mfma_f32_16x16x16_bf16 a[28:31], v[164:165], v[40:41], 0
	global_load_dwordx4 v[38:41], v47, s[24:25]
	v_mfma_f32_16x16x16_bf16 a[0:3], v[166:167], v[150:151], a[0:3]
	v_mfma_f32_16x16x16_bf16 a[4:7], v[166:167], v[154:155], a[4:7]
	;; [unrolled: 1-line block ×8, first 2 shown]
	ds_read2st64_b64 v[164:167], v127 offset1:8
	ds_read2st64_b64 v[168:171], v128 offset1:8
	ds_read_b64 v[184:185], v135 offset:40960
	s_waitcnt lgkmcnt(2)
	v_mov_b32_e32 v172, v164
	v_mfma_f32_16x16x16_bf16 a[16:19], v[174:175], v[148:149], a[16:19]
	v_mov_b32_e32 v173, v165
	v_mfma_f32_16x16x16_bf16 a[20:23], v[174:175], v[152:153], a[20:23]
	v_mfma_f32_16x16x16_bf16 a[24:27], v[174:175], v[156:157], a[24:27]
	;; [unrolled: 1-line block ×3, first 2 shown]
	v_add_co_u32_e32 v160, vcc, s37, v186
	s_waitcnt lgkmcnt(1)
	v_mov_b32_e32 v174, v168
	s_waitcnt lgkmcnt(0)
	v_mfma_f32_16x16x16_bf16 a[16:19], v[184:185], v[150:151], a[16:19]
	ds_read2st64_b64 v[148:151], v127 offset0:16 offset1:24
	v_addc_co_u32_e32 v161, vcc, 0, v187, vcc
	v_mfma_f32_16x16x16_bf16 a[20:23], v[184:185], v[154:155], a[20:23]
	ds_read2st64_b64 v[152:155], v128 offset0:16 offset1:24
	v_mov_b32_e32 v175, v169
	v_mov_b32_e32 v168, v166
	v_mfma_f32_16x16x16_bf16 a[32:35], v[184:185], v[158:159], a[24:27]
	v_mov_b32_e32 v169, v167
	s_waitcnt lgkmcnt(0)
	v_mov_b32_e32 v158, v152
	v_mov_b32_e32 v159, v153
	v_mfma_f32_16x16x16_bf16 a[36:39], v[184:185], v[162:163], a[28:31]
	v_mov_b32_e32 v152, v150
	v_mov_b32_e32 v153, v151
	;; [unrolled: 1-line block ×3, first 2 shown]
	v_mfma_f32_16x16x16_bf16 a[24:27], v[182:183], v[42:43], a[16:19]
	v_add_co_u32_e32 v42, vcc, s66, v186
	v_mov_b32_e32 v157, v149
	v_mfma_f32_16x16x16_bf16 a[28:31], v[182:183], v[176:177], a[20:23]
	v_addc_co_u32_e32 v43, vcc, 0, v187, vcc
	global_store_dwordx4 v[42:43], v[152:155], off
	v_mfma_f32_16x16x16_bf16 a[16:19], v[182:183], v[178:179], a[32:35]
	s_waitcnt vmcnt(2)
	v_mov_b32_e32 v44, v37
	v_mov_b32_e32 v43, v36
	;; [unrolled: 1-line block ×3, first 2 shown]
	v_mfma_f32_16x16x16_bf16 a[20:23], v[182:183], v[180:181], a[36:39]
	s_and_b64 vcc, exec, s[0:1]
	global_store_dwordx4 v[186:187], v[172:175], off
	global_store_dwordx4 v[160:161], v[168:171], off offset:-4096
	global_store_dwordx4 v[160:161], v[156:159], off
	s_cbranch_vccnz .LBB12_16
; %bb.15:                               ;   in Loop: Header=BB12_6 Depth=1
	v_lshrrev_b32_e32 v35, 3, v146
	v_and_b32_e32 v35, 6, v35
	v_xor_b32_e32 v36, v35, v147
	v_lshlrev_b32_e32 v36, 2, v36
	v_and_b32_e32 v37, 8, v146
	v_xor_b32_e32 v146, 0x440, v36
	v_cmp_eq_u32_e32 vcc, 0, v37
	v_perm_b32 v37, v22, v18, s63
	s_nop 0
	v_cndmask_b32_e32 v36, v146, v36, vcc
	v_lshl_or_b32 v35, v35, 10, v36
	v_perm_b32 v36, v30, v26, s63
	s_barrier
	ds_write2st64_b32 v35, v36, v37 offset0:128 offset1:160
	v_xor_b32_e32 v36, 8, v35
	v_perm_b32 v26, v30, v26, s64
	v_perm_b32 v18, v22, v18, s64
	v_add_u32_e32 v22, 0x80, v36
	ds_write2st64_b32 v22, v26, v18 offset0:128 offset1:160
	v_xor_b32_e32 v18, 16, v35
	v_perm_b32 v22, v31, v27, s63
	v_perm_b32 v26, v23, v19, s63
	ds_write2st64_b32 v18, v22, v26 offset0:129 offset1:161
	v_xor_b32_e32 v18, 24, v35
	v_perm_b32 v22, v31, v27, s64
	v_perm_b32 v19, v23, v19, s64
	v_add_u32_e32 v18, 0x80, v18
	ds_write2st64_b32 v18, v22, v19 offset0:129 offset1:161
	v_xor_b32_e32 v18, 32, v35
	v_perm_b32 v19, v32, v28, s63
	v_perm_b32 v22, v24, v20, s63
	;; [unrolled: 9-line block ×3, first 2 shown]
	ds_write2st64_b32 v18, v19, v20 offset0:131 offset1:163
	v_xor_b32_e32 v18, 56, v35
	v_perm_b32 v19, v33, v29, s64
	v_perm_b32 v20, v25, v21, s64
	v_add_u32_e32 v18, 0x80, v18
	ds_write2st64_b32 v18, v19, v20 offset0:131 offset1:163
	ds_write_b64 v145, v[14:15] offset:49152
	v_xor_b32_e32 v14, 8, v145
	ds_write_b64 v14, v[16:17] offset:49152
	ds_write_b64 v145, v[10:11] offset:57344
	;; [unrolled: 1-line block ×4, first 2 shown]
	v_xor_b32_e32 v6, 8, v144
	ds_write_b64 v6, v[8:9] offset:49152
	ds_write_b64 v144, v[2:3] offset:57344
	;; [unrolled: 1-line block ×3, first 2 shown]
.LBB12_16:                              ;   in Loop: Header=BB12_6 Depth=1
	v_exp_f32_e32 v36, s2
	s_waitcnt vmcnt(4)
	v_exp_f32_e32 v38, v38
	v_exp_f32_e32 v39, v39
	;; [unrolled: 1-line block ×4, first 2 shown]
	v_accvgpr_read_b32 v5, a3
	v_accvgpr_read_b32 v4, a2
	;; [unrolled: 1-line block ×4, first 2 shown]
	v_pk_mul_f32 v[38:39], v[36:37], v[38:39] op_sel_hi:[0,1]
	v_pk_mul_f32 v[40:41], v[36:37], v[40:41] op_sel_hi:[0,1]
	v_pk_fma_f32 v[74:75], v[74:75], v[38:39], v[2:3]
	v_pk_fma_f32 v[78:79], v[78:79], v[40:41], v[4:5]
	v_exp_f32_e32 v2, v34
	v_exp_f32_e32 v3, v42
	;; [unrolled: 1-line block ×4, first 2 shown]
	v_accvgpr_read_b32 v9, a7
	v_accvgpr_read_b32 v13, a11
	;; [unrolled: 1-line block ×28, first 2 shown]
	v_pk_mul_f32 v[2:3], v[36:37], v[2:3] op_sel_hi:[0,1]
	v_pk_mul_f32 v[4:5], v[36:37], v[4:5] op_sel_hi:[0,1]
	s_add_i32 s62, s62, 64
	v_pk_fma_f32 v[66:67], v[38:39], v[66:67], v[6:7]
	v_pk_fma_f32 v[70:71], v[40:41], v[70:71], v[8:9]
	;; [unrolled: 1-line block ×13, first 2 shown]
	s_cmp_eq_u32 s52, s67
	v_pk_fma_f32 v[52:53], v[4:5], v[52:53], v[32:33]
	s_cbranch_scc1 .LBB12_18
; %bb.17:                               ;   in Loop: Header=BB12_6 Depth=1
	s_mov_b32 s68, s67
	s_branch .LBB12_6
.LBB12_18:
	s_lshl_b32 s26, s52, 6
	s_sub_i32 s27, s12, s26
	s_cmp_gt_i32 s27, 0
	s_cbranch_scc0 .LBB12_99
; %bb.19:
	s_ashr_i32 s2, s26, 31
	s_cmpk_lg_i32 s15, 0x80
	s_cselect_b64 s[22:23], -1, 0
	s_and_b64 vcc, exec, s[22:23]
	s_cbranch_vccz .LBB12_21
; %bb.20:
	s_mul_i32 s1, s51, s12
	s_mul_hi_i32 s0, s51, s12
	s_add_u32 s1, s1, s26
	s_addc_u32 s0, s0, s2
	s_mul_i32 s3, s1, s53
	s_mul_hi_u32 s17, s1, s14
	s_add_i32 s3, s17, s3
	s_mul_i32 s0, s0, s14
	s_add_i32 s3, s3, s0
	s_mul_i32 s1, s1, s14
	s_ashr_i32 s0, s54, 31
	s_add_u32 s24, s1, s54
	s_addc_u32 s25, s3, s0
	s_cbranch_execz .LBB12_22
	s_branch .LBB12_23
.LBB12_21:
                                        ; implicit-def: $sgpr24_sgpr25
.LBB12_22:
	s_mul_hi_i32 s0, s51, s14
	s_mul_i32 s51, s51, s14
	s_ashr_i32 s1, s54, 31
	s_add_u32 s3, s51, s54
	s_addc_u32 s0, s0, s1
	s_mul_i32 s1, s3, s50
	s_mul_hi_u32 s14, s3, s12
	s_add_i32 s1, s14, s1
	s_mul_i32 s0, s0, s12
	s_add_i32 s1, s1, s0
	s_mul_i32 s3, s3, s12
	s_add_u32 s24, s3, s26
	s_addc_u32 s25, s1, s2
.LBB12_23:
	s_mul_i32 s0, s38, s50
	s_add_i32 s0, s57, s0
	s_add_i32 s3, s55, s52
	;; [unrolled: 1-line block ×3, first 2 shown]
	s_add_u32 s0, s16, s26
	v_lshlrev_b32_e32 v6, 6, v91
	v_lshlrev_b32_e32 v24, 2, v88
	s_addc_u32 s1, s1, s2
	s_mov_b32 s2, 0x7060302
	v_or_b32_e32 v9, v6, v24
	v_xor_b32_e32 v7, v91, v24
	v_perm_b32 v3, v79, v78, s2
	v_perm_b32 v2, v75, v74, s2
	;; [unrolled: 1-line block ×4, first 2 shown]
	v_lshlrev_b32_e32 v9, 1, v9
	v_xor_b32_e32 v8, v92, v24
	ds_write2st64_b64 v9, v[2:3], v[4:5] offset0:32 offset1:48
	v_lshlrev_b32_e32 v7, 1, v7
	v_lshlrev_b32_e32 v9, 8, v88
	v_or_b32_e32 v10, v7, v9
	v_lshlrev_b32_e32 v8, 1, v8
	ds_write_b64 v10, v[2:3]
	v_or_b32_e32 v2, v8, v9
	v_or_b32_e32 v9, 16, v88
	v_lshlrev_b32_e32 v23, 2, v9
	v_or_b32_e32 v10, v6, v23
	ds_write_b64 v2, v[4:5]
	v_perm_b32 v3, v71, v70, s2
	v_perm_b32 v2, v67, v66, s2
	v_perm_b32 v5, v69, v68, s2
	v_perm_b32 v4, v65, v64, s2
	v_lshlrev_b32_e32 v10, 1, v10
	v_lshlrev_b32_e32 v9, 8, v9
	ds_write2st64_b64 v10, v[2:3], v[4:5] offset0:32 offset1:48
	v_or_b32_e32 v10, v7, v9
	ds_write_b64 v10, v[2:3]
	v_or_b32_e32 v2, v8, v9
	v_or_b32_e32 v9, 32, v88
	v_lshlrev_b32_e32 v22, 2, v9
	v_or_b32_e32 v10, v6, v22
	s_lshl_b64 s[20:21], s[0:1], 8
	ds_write_b64 v2, v[4:5]
	v_perm_b32 v3, v63, v62, s2
	v_perm_b32 v2, v59, v58, s2
	;; [unrolled: 1-line block ×4, first 2 shown]
	v_lshlrev_b32_e32 v10, 1, v10
	v_lshlrev_b32_e32 v9, 8, v9
	s_add_u32 s0, s6, s20
	ds_write2st64_b64 v10, v[2:3], v[4:5] offset0:32 offset1:48
	v_or_b32_e32 v10, v7, v9
	s_addc_u32 s1, s7, s21
	ds_write_b64 v10, v[2:3]
	v_or_b32_e32 v2, v8, v9
	v_or_b32_e32 v9, 48, v88
	s_mul_hi_i32 s6, s3, s13
	s_mul_i32 s3, s3, s13
	ds_write_b64 v2, v[4:5]
	v_perm_b32 v3, v55, v54, s2
	v_perm_b32 v2, v51, v50, s2
	;; [unrolled: 1-line block ×4, first 2 shown]
	v_lshlrev_b32_e32 v19, 2, v9
	s_add_u32 s2, s3, s48
	v_or_b32_e32 v6, v6, v19
	s_addc_u32 s3, s6, s49
	v_lshlrev_b32_e32 v6, 1, v6
	s_ashr_i32 s37, s36, 31
	s_lshl_b64 s[2:3], s[2:3], 15
	ds_write2st64_b64 v6, v[2:3], v[4:5] offset0:32 offset1:48
	v_lshlrev_b32_e32 v6, 8, v9
	s_add_u32 s6, s18, s2
	v_or_b32_e32 v7, v7, v6
	s_addc_u32 s7, s19, s3
	s_lshl_b64 s[2:3], s[36:37], 8
	ds_write_b64 v7, v[2:3]
	v_or_b32_e32 v2, v8, v6
	s_add_u32 s2, s6, s2
	v_lshlrev_b32_e32 v3, 1, v88
	ds_write_b64 v2, v[4:5]
	v_lshrrev_b32_e32 v2, 4, v0
	s_addc_u32 s3, s7, s3
	v_or_b32_e32 v4, 1, v3
	v_lshlrev_b32_e32 v10, 4, v88
	v_mov_b32_e32 v11, 0
	v_xor_b32_e32 v3, v2, v3
	v_xor_b32_e32 v6, v4, v2
	v_lshl_add_u64 v[12:13], s[2:3], 0, v[10:11]
	v_lshlrev_b32_e32 v10, 8, v2
	v_lshl_or_b32 v16, v3, 3, v10
	v_lshl_or_b32 v17, v6, 3, v10
	s_waitcnt lgkmcnt(0)
	s_barrier
	ds_read2st64_b64 v[2:5], v16 offset1:8
	ds_read2st64_b64 v[6:9], v17 offset1:8
	v_lshl_add_u64 v[14:15], v[12:13], 0, v[10:11]
	s_movk_i32 s2, 0x2000
	s_cmp_lg_u32 s27, 64
	s_waitcnt lgkmcnt(1)
	v_mov_b32_e32 v10, v2
	v_mov_b32_e32 v11, v3
	s_waitcnt lgkmcnt(0)
	v_mov_b32_e32 v12, v6
	v_mov_b32_e32 v13, v7
	global_store_dwordx4 v[14:15], v[10:13], off
	v_mov_b32_e32 v6, v4
	v_mov_b32_e32 v7, v5
	ds_read2st64_b64 v[2:5], v16 offset0:16 offset1:24
	ds_read2st64_b64 v[10:13], v17 offset0:16 offset1:24
	v_add_co_u32_e32 v16, vcc, s2, v14
	s_cselect_b64 s[6:7], -1, 0
	s_nop 0
	v_addc_co_u32_e32 v17, vcc, 0, v15, vcc
	global_store_dwordx4 v[16:17], v[6:9], off offset:-4096
	v_lshl_or_b32 v25, v86, 3, v90
	s_mov_b32 s16, 0
	s_waitcnt lgkmcnt(1)
	v_mov_b32_e32 v6, v2
	v_add_co_u32_e32 v2, vcc, 0x3000, v14
	v_mov_b32_e32 v7, v3
	s_nop 0
	v_addc_co_u32_e32 v3, vcc, 0, v15, vcc
	s_waitcnt lgkmcnt(0)
	v_mov_b32_e32 v8, v10
	v_mov_b32_e32 v9, v11
	;; [unrolled: 1-line block ×4, first 2 shown]
	v_or_b32_e32 v20, 32, v25
	v_and_b32_e32 v18, 56, v89
	s_and_b64 vcc, exec, s[6:7]
	global_store_dwordx4 v[16:17], v[6:9], off
	global_store_dwordx4 v[2:3], v[10:13], off
	s_cbranch_vccz .LBB12_29
; %bb.24:
	s_mov_b32 s17, s16
	s_mov_b32 s18, s16
	;; [unrolled: 1-line block ×3, first 2 shown]
	v_mov_b64_e32 v[6:7], s[16:17]
	v_mov_b64_e32 v[8:9], s[18:19]
	;; [unrolled: 1-line block ×3, first 2 shown]
	v_cmp_gt_i32_e32 vcc, s27, v25
	v_mov_b64_e32 v[4:5], v[8:9]
	s_and_saveexec_b64 s[2:3], vcc
	s_cbranch_execz .LBB12_26
; %bb.25:
	v_lshlrev_b32_e32 v2, 8, v25
	v_mov_b32_e32 v3, 0
	v_lshl_add_u64 v[4:5], s[0:1], 0, v[2:3]
	v_lshlrev_b32_e32 v2, 1, v18
	v_lshl_add_u64 v[10:11], v[4:5], 0, v[2:3]
	global_load_dwordx4 v[6:9], v[10:11], off
	global_load_dwordx4 v[2:5], v[10:11], off offset:128
.LBB12_26:
	s_or_b64 exec, exec, s[2:3]
	s_mov_b32 s17, s16
	s_mov_b32 s18, s16
	;; [unrolled: 1-line block ×3, first 2 shown]
	v_mov_b64_e32 v[14:15], s[16:17]
	v_mov_b64_e32 v[16:17], s[18:19]
	;; [unrolled: 1-line block ×3, first 2 shown]
	v_cmp_gt_i32_e32 vcc, s27, v20
	v_lshlrev_b32_e32 v21, 7, v20
	v_mov_b64_e32 v[12:13], v[16:17]
	s_and_saveexec_b64 s[2:3], vcc
	s_cbranch_execz .LBB12_28
; %bb.27:
	v_lshlrev_b32_e32 v10, 1, v21
	v_mov_b32_e32 v11, 0
	v_lshl_add_u64 v[12:13], s[0:1], 0, v[10:11]
	v_lshlrev_b32_e32 v10, 1, v18
	v_lshl_add_u64 v[26:27], v[12:13], 0, v[10:11]
	global_load_dwordx4 v[14:17], v[26:27], off
	global_load_dwordx4 v[10:13], v[26:27], off offset:128
.LBB12_28:
	s_or_b64 exec, exec, s[2:3]
	v_lshrrev_b32_e32 v26, 3, v18
	v_lshlrev_b32_e32 v27, 3, v25
	v_or_b32_e32 v26, v27, v26
	v_lshlrev_b32_e32 v26, 4, v26
	v_and_b32_e32 v27, 0x78, v27
	v_xor_b32_e32 v26, v26, v27
	s_branch .LBB12_31
.LBB12_29:
                                        ; implicit-def: $vgpr26
                                        ; implicit-def: $vgpr21
                                        ; implicit-def: $vgpr6_vgpr7_vgpr8_vgpr9
                                        ; implicit-def: $vgpr2_vgpr3_vgpr4_vgpr5
                                        ; implicit-def: $vgpr14_vgpr15_vgpr16_vgpr17
                                        ; implicit-def: $vgpr10_vgpr11_vgpr12_vgpr13
	s_cbranch_execz .LBB12_31
; %bb.30:
	s_waitcnt vmcnt(0)
	v_lshlrev_b32_e32 v2, 1, v18
	v_lshl_or_b32 v21, v25, 8, v2
	s_and_b32 s1, s1, 0xffff
	s_mov_b32 s3, 0x20000
	s_movk_i32 s2, 0x4000
	v_lshl_or_b32 v26, v20, 8, v2
	s_movk_i32 s13, 0x80
	buffer_load_dwordx4 v[6:9], v21, s[0:3], 0 offen
	buffer_load_dwordx4 v[2:5], v21, s[0:3], s13 offen
	;; [unrolled: 1-line block ×4, first 2 shown]
	v_lshrrev_b32_e32 v21, 3, v18
	v_lshlrev_b32_e32 v26, 3, v25
	v_or_b32_e32 v21, v26, v21
	v_lshlrev_b32_e32 v21, 4, v21
	v_and_b32_e32 v26, 0x78, v26
	v_xor_b32_e32 v26, v21, v26
	v_lshlrev_b32_e32 v21, 7, v20
.LBB12_31:
	s_movk_i32 s0, 0x1000
	v_and_or_b32 v20, v21, s0, v26
	s_waitcnt vmcnt(1)
	ds_write_b64 v26, v[6:7] offset:49152
	v_xor_b32_e32 v6, 8, v26
	ds_write_b64 v6, v[8:9] offset:49152
	s_waitcnt vmcnt(0)
	ds_write_b64 v26, v[2:3] offset:57344
	ds_write_b64 v6, v[4:5] offset:57344
	;; [unrolled: 1-line block ×3, first 2 shown]
	v_xor_b32_e32 v2, 8, v20
	ds_write_b64 v2, v[16:17] offset:49152
	ds_write_b64 v20, v[10:11] offset:57344
	;; [unrolled: 1-line block ×3, first 2 shown]
	v_or_b32_e32 v2, v1, v88
	v_lshlrev_b32_e32 v3, 11, v86
	v_lshlrev_b32_e32 v2, 3, v2
	v_and_b32_e32 v6, 0x1000, v3
	v_lshrrev_b32_e32 v3, 5, v45
	s_movk_i32 s0, 0xf8
	v_and_or_b32 v3, v2, s0, v3
	v_lshlrev_b32_e32 v7, 4, v3
	v_and_b32_e32 v8, 0x78, v2
	v_or_b32_e32 v10, 32, v7
	v_lshrrev_b32_e32 v3, 1, v45
	v_xor_b32_e32 v10, v10, v8
	v_xor_b32_e32 v2, v7, v8
	v_and_b32_e32 v9, 8, v3
	v_or_b32_e32 v10, v10, v6
	v_or_b32_e32 v2, v2, v6
	v_xor_b32_e32 v28, v10, v9
	v_or_b32_e32 v10, 64, v7
	v_xor_b32_e32 v27, v2, v9
	v_xor_b32_e32 v10, v10, v8
	s_waitcnt lgkmcnt(0)
	s_barrier
	v_or_b32_e32 v13, v10, v6
	ds_read_b64 v[10:11], v27 offset:49152
	v_lshl_or_b32 v14, v87, 8, v24
	v_lshlrev_b32_e32 v26, 1, v14
	v_add_u32_e32 v12, 0x4000, v26
	ds_read2_b64 v[2:5], v12 offset1:16
	v_or_b32_e32 v7, 0x60, v7
	v_xor_b32_e32 v7, v7, v8
	v_or_b32_e32 v6, v7, v6
	v_xor_b32_e32 v29, v13, v9
	v_xor_b32_e32 v30, v6, v9
	ds_read_b64 v[20:21], v28 offset:49152
	ds_read_b64 v[34:35], v29 offset:49152
	;; [unrolled: 1-line block ×3, first 2 shown]
	s_waitcnt lgkmcnt(3)
	v_mfma_f32_16x16x16_bf16 a[0:3], v[10:11], v[2:3], 0
	ds_read2st64_b64 v[6:9], v26 offset0:36 offset1:40
	s_lshl_b64 s[0:1], s[24:25], 8
	s_add_u32 s4, s4, s0
	v_mfma_f32_16x16x16_bf16 a[4:7], v[10:11], v[4:5], 0
	ds_read2_b64 v[2:5], v12 offset0:32 offset1:48
	s_addc_u32 s5, s5, s1
	s_add_i32 s1, s44, s33
	s_waitcnt lgkmcnt(0)
	v_mfma_f32_16x16x16_bf16 a[8:11], v[10:11], v[2:3], 0
	v_or_b32_e32 v2, 64, v14
	v_lshlrev_b32_e32 v31, 1, v2
	s_add_i32 s0, s12, -1
	v_mfma_f32_16x16x16_bf16 a[12:15], v[10:11], v[4:5], 0
	ds_read2st64_b64 v[2:5], v31 offset0:36 offset1:40
	s_add_i32 s35, s1, s39
	s_add_i32 s1, s46, s45
	v_mfma_f32_16x16x16_bf16 a[0:3], v[20:21], v[6:7], a[0:3]
	v_or_b32_e32 v6, 0x80, v14
	v_lshlrev_b32_e32 v32, 1, v6
	ds_read2st64_b64 v[10:13], v32 offset0:36 offset1:40
	s_waitcnt lgkmcnt(1)
	v_mfma_f32_16x16x16_bf16 a[4:7], v[20:21], v[2:3], a[4:7]
	v_or_b32_e32 v2, 0xc0, v14
	v_lshlrev_b32_e32 v33, 1, v2
	ds_read2st64_b64 v[14:17], v33 offset0:36 offset1:40
	s_add_i32 s31, s1, s47
	s_ashr_i32 s1, s0, 31
	s_mul_i32 s2, s0, s29
	s_mul_hi_u32 s3, s0, s28
	s_add_i32 s2, s3, s2
	s_mul_i32 s1, s1, s28
	s_waitcnt lgkmcnt(1)
	v_mfma_f32_16x16x16_bf16 a[8:11], v[20:21], v[10:11], a[8:11]
	s_add_i32 s1, s2, s1
	s_lshl_b64 s[2:3], s[34:35], 2
	s_add_u32 s10, s10, s2
	s_waitcnt lgkmcnt(0)
	v_mfma_f32_16x16x16_bf16 a[12:15], v[20:21], v[14:15], a[12:15]
	s_addc_u32 s11, s11, s3
	s_lshl_b64 s[2:3], s[30:31], 2
	s_mul_i32 s0, s0, s28
	v_mfma_f32_16x16x16_bf16 a[0:3], v[34:35], v[8:9], a[0:3]
	ds_read_b64 v[2:3], v26 offset:22528
	s_add_u32 s10, s10, s2
	s_addc_u32 s11, s11, s3
	v_mfma_f32_16x16x16_bf16 a[4:7], v[34:35], v[4:5], a[4:7]
	ds_read_b64 v[4:5], v31 offset:22528
	ds_read_b64 v[6:7], v32 offset:22528
	;; [unrolled: 1-line block ×3, first 2 shown]
	s_lshl_b64 s[0:1], s[0:1], 2
	s_add_u32 s0, s10, s0
	v_mfma_f32_16x16x16_bf16 a[8:11], v[34:35], v[12:13], a[8:11]
	s_addc_u32 s1, s11, s1
	s_load_dword s12, s[0:1], 0x0
	s_and_b64 vcc, exec, s[22:23]
	v_mfma_f32_16x16x16_bf16 a[12:15], v[34:35], v[16:17], a[12:15]
	s_waitcnt lgkmcnt(0)
	v_mfma_f32_16x16x16_bf16 a[0:3], v[36:37], v[2:3], a[0:3]
	v_mfma_f32_16x16x16_bf16 a[4:7], v[36:37], v[4:5], a[4:7]
	;; [unrolled: 1-line block ×4, first 2 shown]
	s_cbranch_vccz .LBB12_42
; %bb.32:
	v_lshlrev_b32_e32 v20, 1, v25
	s_and_b64 vcc, exec, s[6:7]
	s_cbranch_vccz .LBB12_43
; %bb.33:
	v_cmp_gt_i32_e32 vcc, s27, v20
	v_mov_b32_e32 v6, 0
	v_mov_b32_e32 v2, 0
	;; [unrolled: 1-line block ×5, first 2 shown]
	s_and_saveexec_b64 s[0:1], vcc
	s_cbranch_execz .LBB12_35
; %bb.34:
	v_mad_i64_i32 v[2:3], s[2:3], s15, v20, 0
	v_lshl_add_u64 v[2:3], v[2:3], 1, s[4:5]
	v_lshlrev_b32_e32 v4, 1, v18
	v_mov_b32_e32 v5, 0
	v_lshl_add_u64 v[2:3], v[2:3], 0, v[4:5]
	global_load_dwordx4 v[2:5], v[2:3], off
.LBB12_35:
	s_or_b64 exec, exec, s[0:1]
	v_or_b32_e32 v21, 1, v20
	v_cmp_gt_i32_e64 s[0:1], s27, v21
	v_mov_b32_e32 v7, 0
	v_mov_b32_e32 v8, 0
	;; [unrolled: 1-line block ×3, first 2 shown]
	s_and_saveexec_b64 s[2:3], s[0:1]
	s_cbranch_execz .LBB12_37
; %bb.36:
	v_mad_i64_i32 v[6:7], s[16:17], s15, v21, 0
	v_lshl_add_u64 v[6:7], v[6:7], 1, s[4:5]
	v_lshlrev_b32_e32 v8, 1, v18
	v_mov_b32_e32 v9, 0
	v_lshl_add_u64 v[6:7], v[6:7], 0, v[8:9]
	global_load_dwordx4 v[6:9], v[6:7], off
.LBB12_37:
	s_or_b64 exec, exec, s[2:3]
	v_mov_b32_e32 v17, 0
	v_mov_b32_e32 v10, 0
	;; [unrolled: 1-line block ×5, first 2 shown]
	s_and_saveexec_b64 s[2:3], vcc
	s_cbranch_execz .LBB12_39
; %bb.38:
	v_mad_i64_i32 v[10:11], s[16:17], s15, v20, 0
	v_lshl_add_u64 v[10:11], v[10:11], 1, s[4:5]
	v_lshlrev_b32_e32 v12, 1, v18
	v_mov_b32_e32 v13, 0
	v_lshl_add_u64 v[10:11], v[10:11], 0, v[12:13]
	global_load_dwordx4 v[10:13], v[10:11], off offset:128
.LBB12_39:
	s_or_b64 exec, exec, s[2:3]
	v_mov_b32_e32 v16, 0
	v_mov_b32_e32 v15, 0
	;; [unrolled: 1-line block ×3, first 2 shown]
	s_and_saveexec_b64 s[2:3], s[0:1]
	s_cbranch_execz .LBB12_41
; %bb.40:
	v_mad_i64_i32 v[14:15], s[0:1], s15, v21, 0
	v_lshl_add_u64 v[14:15], v[14:15], 1, s[4:5]
	v_lshlrev_b32_e32 v16, 1, v18
	v_mov_b32_e32 v17, 0
	v_lshl_add_u64 v[14:15], v[14:15], 0, v[16:17]
	global_load_dwordx4 v[14:17], v[14:15], off offset:128
.LBB12_41:
	s_or_b64 exec, exec, s[2:3]
	s_branch .LBB12_45
.LBB12_42:
                                        ; implicit-def: $vgpr5
                                        ; implicit-def: $vgpr9
                                        ; implicit-def: $vgpr13
                                        ; implicit-def: $vgpr17
	v_lshrrev_b32_e32 v34, 2, v45
	s_branch .LBB12_46
.LBB12_43:
                                        ; implicit-def: $vgpr5
                                        ; implicit-def: $vgpr9
                                        ; implicit-def: $vgpr13
                                        ; implicit-def: $vgpr17
	s_cbranch_execz .LBB12_45
; %bb.44:
	s_waitcnt vmcnt(0)
	v_mad_u64_u32 v[2:3], s[0:1], v20, s15, v[18:19]
	v_lshlrev_b32_e32 v20, 1, v2
	s_lshl_b32 s2, s15, 7
	s_and_b32 s1, s5, 0xffff
	s_mov_b32 s3, 0x20000
	s_mov_b32 s0, s4
	v_add_lshl_u32 v21, v2, s15, 1
	s_movk_i32 s13, 0x80
	buffer_load_dwordx4 v[2:5], v20, s[0:3], 0 offen
	buffer_load_dwordx4 v[10:13], v20, s[0:3], s13 offen
	;; [unrolled: 1-line block ×4, first 2 shown]
.LBB12_45:
	v_lshrrev_b32_e32 v34, 2, v45
	s_cbranch_execnz .LBB12_58
.LBB12_46:
	s_and_b64 vcc, exec, s[6:7]
	s_cbranch_vccz .LBB12_56
; %bb.47:
	s_waitcnt vmcnt(0)
	v_lshlrev_b32_e32 v7, 1, v25
	v_cmp_gt_i32_e32 vcc, s27, v7
	v_mov_b32_e32 v6, 0
	v_lshlrev_b32_e32 v14, 9, v25
	v_mov_b32_e32 v2, 0
	v_mov_b32_e32 v3, 0
	;; [unrolled: 1-line block ×4, first 2 shown]
	s_and_saveexec_b64 s[0:1], vcc
	s_cbranch_execz .LBB12_49
; %bb.48:
	v_mov_b32_e32 v15, 0
	v_lshl_add_u64 v[2:3], s[4:5], 0, v[14:15]
	v_lshlrev_b32_e32 v4, 1, v18
	v_mov_b32_e32 v5, v15
	v_lshl_add_u64 v[2:3], v[2:3], 0, v[4:5]
	global_load_dwordx4 v[2:5], v[2:3], off
.LBB12_49:
	s_or_b64 exec, exec, s[0:1]
	v_or_b32_e32 v7, 1, v7
	v_cmp_gt_i32_e64 s[0:1], s27, v7
	v_lshlrev_b32_e32 v20, 8, v7
	v_mov_b32_e32 v7, 0
	v_mov_b32_e32 v8, 0
	v_mov_b32_e32 v9, 0
	s_and_saveexec_b64 s[2:3], s[0:1]
	s_cbranch_execz .LBB12_51
; %bb.50:
	v_mov_b32_e32 v21, 0
	v_lshl_add_u64 v[6:7], s[4:5], 0, v[20:21]
	v_lshlrev_b32_e32 v8, 1, v18
	v_mov_b32_e32 v9, v21
	v_lshl_add_u64 v[6:7], v[6:7], 0, v[8:9]
	global_load_dwordx4 v[6:9], v[6:7], off
.LBB12_51:
	s_or_b64 exec, exec, s[2:3]
	v_mov_b32_e32 v17, 0
	v_mov_b32_e32 v10, 0
	;; [unrolled: 1-line block ×5, first 2 shown]
	s_and_saveexec_b64 s[2:3], vcc
	s_cbranch_execz .LBB12_53
; %bb.52:
	v_mov_b32_e32 v15, 0
	v_lshl_add_u64 v[10:11], s[4:5], 0, v[14:15]
	v_lshlrev_b32_e32 v14, 1, v18
	v_lshl_add_u64 v[10:11], v[10:11], 0, v[14:15]
	global_load_dwordx4 v[10:13], v[10:11], off offset:128
.LBB12_53:
	s_or_b64 exec, exec, s[2:3]
	v_mov_b32_e32 v16, 0
	v_mov_b32_e32 v15, 0
	;; [unrolled: 1-line block ×3, first 2 shown]
	s_and_saveexec_b64 s[2:3], s[0:1]
	s_cbranch_execz .LBB12_55
; %bb.54:
	v_mov_b32_e32 v21, 0
	v_lshl_add_u64 v[14:15], s[4:5], 0, v[20:21]
	v_lshlrev_b32_e32 v20, 1, v18
	v_lshl_add_u64 v[14:15], v[14:15], 0, v[20:21]
	global_load_dwordx4 v[14:17], v[14:15], off offset:128
.LBB12_55:
	s_or_b64 exec, exec, s[2:3]
	s_branch .LBB12_58
.LBB12_56:
                                        ; implicit-def: $vgpr5
                                        ; implicit-def: $vgpr9
                                        ; implicit-def: $vgpr13
                                        ; implicit-def: $vgpr17
	s_cbranch_execz .LBB12_58
; %bb.57:
	s_waitcnt vmcnt(0)
	v_lshlrev_b32_e32 v2, 1, v18
	v_lshl_or_b32 v18, v25, 9, v2
	s_and_b32 s5, s5, 0xffff
	s_mov_b32 s7, 0x20000
	s_movk_i32 s6, 0x4000
	s_movk_i32 s0, 0x80
	buffer_load_dwordx4 v[2:5], v18, s[4:7], 0 offen
	buffer_load_dwordx4 v[6:9], v18, s[4:7], 0 offen offset:256
	buffer_load_dwordx4 v[10:13], v18, s[4:7], s0 offen
	buffer_load_dwordx4 v[14:17], v18, s[4:7], s0 offen offset:256
.LBB12_58:
	ds_read_b64 v[20:21], v27 offset:57344
	v_add_u32_e32 v18, 0x6000, v26
	ds_read2_b64 v[36:39], v18 offset1:16
	ds_read_b64 v[44:45], v28 offset:57344
	ds_read_b64 v[28:29], v29 offset:57344
	;; [unrolled: 1-line block ×3, first 2 shown]
	ds_read2st64_b64 v[40:43], v26 offset0:52 offset1:56
	s_mov_b32 s0, 0x1000504
	s_mov_b32 s1, 0x3020706
	s_waitcnt lgkmcnt(4)
	v_mfma_f32_16x16x16_bf16 a[0:3], v[20:21], v[36:37], a[0:3]
	v_mfma_f32_16x16x16_bf16 a[4:7], v[20:21], v[38:39], a[4:7]
	ds_read2_b64 v[36:39], v18 offset0:32 offset1:48
	v_and_b32_e32 v18, 6, v0
	v_xor_b32_e32 v25, v25, v18
	s_waitcnt lgkmcnt(0)
	v_mfma_f32_16x16x16_bf16 a[8:11], v[20:21], v[36:37], a[8:11]
	v_lshlrev_b32_e32 v25, 2, v25
	v_and_b32_e32 v0, 1, v0
	v_xor_b32_e32 v35, 0x440, v25
	v_mfma_f32_16x16x16_bf16 a[12:15], v[20:21], v[38:39], a[12:15]
	ds_read2st64_b64 v[36:39], v31 offset0:52 offset1:56
	ds_read2st64_b64 v[48:51], v32 offset0:52 offset1:56
	ds_read2st64_b64 v[52:55], v33 offset0:52 offset1:56
	v_cmp_eq_u32_e32 vcc, 0, v0
	ds_read_b64 v[20:21], v26 offset:30720
	ds_read_b64 v[26:27], v31 offset:30720
	;; [unrolled: 1-line block ×4, first 2 shown]
	v_mfma_f32_16x16x16_bf16 a[0:3], v[44:45], v[40:41], a[0:3]
	v_cndmask_b32_e32 v0, v35, v25, vcc
	v_lshl_or_b32 v0, v18, 10, v0
	s_waitcnt vmcnt(0)
	v_perm_b32 v18, v2, v6, s0
	s_waitcnt lgkmcnt(6)
	v_mfma_f32_16x16x16_bf16 a[4:7], v[44:45], v[36:37], a[4:7]
	v_perm_b32 v25, v10, v14, s0
	ds_write2st64_b32 v0, v18, v25 offset0:128 offset1:160
	v_xor_b32_e32 v18, 8, v0
	s_waitcnt lgkmcnt(6)
	v_mfma_f32_16x16x16_bf16 a[8:11], v[44:45], v[48:49], a[8:11]
	v_perm_b32 v2, v2, v6, s1
	v_perm_b32 v6, v10, v14, s1
	v_add_u32_e32 v10, 0x80, v18
	s_waitcnt lgkmcnt(5)
	v_mfma_f32_16x16x16_bf16 a[12:15], v[44:45], v[52:53], a[12:15]
	ds_write2st64_b32 v10, v2, v6 offset0:128 offset1:160
	v_xor_b32_e32 v2, 16, v0
	v_perm_b32 v6, v3, v7, s0
	v_mfma_f32_16x16x16_bf16 a[0:3], v[28:29], v[42:43], a[0:3]
	v_perm_b32 v10, v11, v15, s0
	ds_write2st64_b32 v2, v6, v10 offset0:129 offset1:161
	v_xor_b32_e32 v2, 24, v0
	v_mfma_f32_16x16x16_bf16 a[4:7], v[28:29], v[38:39], a[4:7]
	v_perm_b32 v3, v3, v7, s1
	v_perm_b32 v6, v11, v15, s1
	v_add_u32_e32 v2, 0x80, v2
	v_mfma_f32_16x16x16_bf16 a[16:19], v[28:29], v[50:51], a[8:11]
	ds_write2st64_b32 v2, v3, v6 offset0:129 offset1:161
	v_xor_b32_e32 v2, 32, v0
	v_perm_b32 v3, v4, v8, s0
	v_mfma_f32_16x16x16_bf16 a[20:23], v[28:29], v[54:55], a[12:15]
	v_perm_b32 v6, v12, v16, s0
	ds_write2st64_b32 v2, v3, v6 offset0:130 offset1:162
	v_xor_b32_e32 v2, 40, v0
	s_waitcnt lgkmcnt(8)
	v_mfma_f32_16x16x16_bf16 a[12:15], v[56:57], v[20:21], a[0:3]
	v_perm_b32 v3, v4, v8, s1
	v_perm_b32 v4, v12, v16, s1
	v_add_u32_e32 v2, 0x80, v2
	s_waitcnt lgkmcnt(7)
	v_mfma_f32_16x16x16_bf16 a[8:11], v[56:57], v[26:27], a[4:7]
	ds_write2st64_b32 v2, v3, v4 offset0:130 offset1:162
	v_xor_b32_e32 v2, 48, v0
	v_perm_b32 v3, v5, v9, s0
	s_waitcnt lgkmcnt(7)
	v_mfma_f32_16x16x16_bf16 a[4:7], v[56:57], v[30:31], a[16:19]
	v_perm_b32 v4, v13, v17, s0
	v_xor_b32_e32 v0, 56, v0
	v_and_or_b32 v18, v34, 12, v1
	s_waitcnt lgkmcnt(6)
	v_mfma_f32_16x16x16_bf16 a[0:3], v[56:57], v[32:33], a[20:23]
	ds_write2st64_b32 v2, v3, v4 offset0:131 offset1:163
	v_perm_b32 v2, v5, v9, s1
	v_perm_b32 v3, v13, v17, s1
	v_add_u32_e32 v0, 0x80, v0
	v_cmp_gt_i32_e32 vcc, s27, v18
	v_mov_b32_e32 v14, 0
	v_mov_b32_e32 v16, 0
	ds_write2st64_b32 v0, v2, v3 offset0:131 offset1:163
	s_and_saveexec_b64 s[0:1], vcc
	s_cbranch_execz .LBB12_60
; %bb.59:
	v_add_u32_e32 v0, s26, v18
	v_ashrrev_i32_e32 v1, 31, v0
	v_mul_lo_u32 v2, v1, s28
	v_mul_lo_u32 v3, v0, s29
	v_mad_u64_u32 v[0:1], s[2:3], v0, s28, 0
	v_add3_u32 v1, v1, v3, v2
	v_lshl_add_u64 v[0:1], v[0:1], 2, s[10:11]
	global_load_dword v0, v[0:1], off
	s_waitcnt vmcnt(0)
	v_sub_f32_e32 v0, s12, v0
	v_exp_f32_e32 v16, v0
.LBB12_60:
	s_or_b64 exec, exec, s[0:1]
	v_or_b32_e32 v8, 1, v18
	v_cmp_gt_i32_e64 s[0:1], s27, v8
	s_and_saveexec_b64 s[2:3], s[0:1]
	s_cbranch_execz .LBB12_62
; %bb.61:
	v_add_u32_e32 v0, s26, v8
	v_ashrrev_i32_e32 v1, 31, v0
	v_mul_lo_u32 v2, v1, s28
	v_mul_lo_u32 v3, v0, s29
	v_mad_u64_u32 v[0:1], s[4:5], v0, s28, 0
	v_add3_u32 v1, v1, v3, v2
	v_lshl_add_u64 v[0:1], v[0:1], 2, s[10:11]
	global_load_dword v0, v[0:1], off
	s_waitcnt vmcnt(0)
	v_sub_f32_e32 v0, s12, v0
	v_exp_f32_e32 v14, v0
.LBB12_62:
	s_or_b64 exec, exec, s[2:3]
	v_or_b32_e32 v10, 2, v18
	v_cmp_gt_i32_e64 s[2:3], s27, v10
	v_mov_b32_e32 v15, 0
	v_mov_b32_e32 v17, 0
	s_and_saveexec_b64 s[4:5], s[2:3]
	s_cbranch_execz .LBB12_64
; %bb.63:
	v_add_u32_e32 v0, s26, v10
	v_ashrrev_i32_e32 v1, 31, v0
	v_mul_lo_u32 v2, v1, s28
	v_mul_lo_u32 v3, v0, s29
	v_mad_u64_u32 v[0:1], s[6:7], v0, s28, 0
	v_add3_u32 v1, v1, v3, v2
	v_lshl_add_u64 v[0:1], v[0:1], 2, s[10:11]
	global_load_dword v0, v[0:1], off
	s_waitcnt vmcnt(0)
	v_sub_f32_e32 v0, s12, v0
	v_exp_f32_e32 v17, v0
.LBB12_64:
	s_or_b64 exec, exec, s[4:5]
	v_or_b32_e32 v12, 3, v18
	v_cmp_gt_i32_e64 s[4:5], s27, v12
	s_and_saveexec_b64 s[6:7], s[4:5]
	s_cbranch_execz .LBB12_66
; %bb.65:
	v_add_u32_e32 v0, s26, v12
	v_ashrrev_i32_e32 v1, 31, v0
	v_mul_lo_u32 v2, v1, s28
	v_mul_lo_u32 v3, v0, s29
	v_mad_u64_u32 v[0:1], s[14:15], v0, s28, 0
	v_add3_u32 v1, v1, v3, v2
	v_lshl_add_u64 v[0:1], v[0:1], 2, s[10:11]
	global_load_dword v0, v[0:1], off
	s_waitcnt vmcnt(0)
	v_sub_f32_e32 v0, s12, v0
	v_exp_f32_e32 v15, v0
.LBB12_66:
	s_or_b64 exec, exec, s[6:7]
	s_add_u32 s6, s8, s20
	v_accvgpr_read_b32 v0, a12
	s_addc_u32 s7, s9, s21
	v_ashrrev_i32_e32 v47, 31, v46
	v_accvgpr_read_b32 v1, a13
	v_accvgpr_read_b32 v2, a14
	;; [unrolled: 1-line block ×3, first 2 shown]
	v_lshl_add_u64 v[4:5], v[46:47], 1, s[6:7]
	v_mov_b32_e32 v9, 0
	v_lshlrev_b32_e32 v6, 8, v18
	v_mov_b32_e32 v7, 0
	s_and_saveexec_b64 s[6:7], vcc
	s_cbranch_execz .LBB12_68
; %bb.67:
	v_mov_b32_e32 v7, 0
	v_lshl_add_u64 v[20:21], v[4:5], 0, v[6:7]
	global_load_ushort v7, v[20:21], off
	s_waitcnt vmcnt(0)
	v_lshlrev_b32_e32 v7, 16, v7
	v_sub_f32_e32 v0, v7, v0
	v_mul_f32_e32 v0, v16, v0
	v_lshrrev_b32_e32 v7, 16, v0
.LBB12_68:
	s_or_b64 exec, exec, s[6:7]
	v_lshlrev_b32_e32 v8, 8, v8
	s_and_saveexec_b64 s[6:7], s[0:1]
	s_cbranch_execz .LBB12_70
; %bb.69:
	v_mov_b32_e32 v9, 0
	v_lshl_add_u64 v[20:21], v[4:5], 0, v[8:9]
	global_load_ushort v0, v[20:21], off
	s_waitcnt vmcnt(0)
	v_lshlrev_b32_e32 v0, 16, v0
	v_sub_f32_e32 v0, v0, v1
	v_mul_f32_e32 v0, v14, v0
	v_lshrrev_b32_e32 v9, 16, v0
.LBB12_70:
	s_or_b64 exec, exec, s[6:7]
	v_mov_b32_e32 v13, 0
	v_lshlrev_b32_e32 v10, 8, v10
	v_mov_b32_e32 v11, 0
	s_and_saveexec_b64 s[6:7], s[2:3]
	s_cbranch_execz .LBB12_72
; %bb.71:
	v_mov_b32_e32 v11, 0
	v_lshl_add_u64 v[0:1], v[4:5], 0, v[10:11]
	global_load_ushort v0, v[0:1], off
	s_waitcnt vmcnt(0)
	v_lshlrev_b32_e32 v0, 16, v0
	v_sub_f32_e32 v0, v0, v2
	v_mul_f32_e32 v0, v17, v0
	v_lshrrev_b32_e32 v11, 16, v0
.LBB12_72:
	s_or_b64 exec, exec, s[6:7]
	v_lshlrev_b32_e32 v12, 8, v12
	s_and_saveexec_b64 s[6:7], s[4:5]
	s_cbranch_execz .LBB12_74
; %bb.73:
	v_mov_b32_e32 v13, 0
	v_lshl_add_u64 v[0:1], v[4:5], 0, v[12:13]
	global_load_ushort v0, v[0:1], off
	s_waitcnt vmcnt(0)
	v_lshlrev_b32_e32 v0, 16, v0
	v_sub_f32_e32 v0, v0, v3
	v_mul_f32_e32 v0, v15, v0
	v_lshrrev_b32_e32 v13, 16, v0
.LBB12_74:
	s_or_b64 exec, exec, s[6:7]
	v_lshlrev_b32_e32 v18, 6, v18
	s_mov_b32 s6, 0x5040100
	v_perm_b32 v20, v9, v7, s6
	v_or_b32_e32 v7, v18, v24
	v_accvgpr_read_b32 v0, a8
	v_perm_b32 v21, v13, v11, s6
	v_lshlrev_b32_e32 v7, 1, v7
	v_accvgpr_read_b32 v1, a9
	v_accvgpr_read_b32 v2, a10
	;; [unrolled: 1-line block ×3, first 2 shown]
	ds_write_b64 v7, v[20:21] offset:24576
	v_mov_b32_e32 v9, 0
	v_mov_b32_e32 v7, 0
	s_and_saveexec_b64 s[6:7], vcc
	s_cbranch_execz .LBB12_76
; %bb.75:
	v_mov_b32_e32 v7, 0
	v_lshl_add_u64 v[20:21], v[4:5], 0, v[6:7]
	global_load_ushort v7, v[20:21], off offset:32
	s_waitcnt vmcnt(0)
	v_lshlrev_b32_e32 v7, 16, v7
	v_sub_f32_e32 v0, v7, v0
	v_mul_f32_e32 v0, v16, v0
	v_lshrrev_b32_e32 v7, 16, v0
.LBB12_76:
	s_or_b64 exec, exec, s[6:7]
	s_and_saveexec_b64 s[6:7], s[0:1]
	s_cbranch_execz .LBB12_78
; %bb.77:
	v_mov_b32_e32 v9, 0
	v_lshl_add_u64 v[20:21], v[4:5], 0, v[8:9]
	global_load_ushort v0, v[20:21], off offset:32
	s_waitcnt vmcnt(0)
	v_lshlrev_b32_e32 v0, 16, v0
	v_sub_f32_e32 v0, v0, v1
	v_mul_f32_e32 v0, v14, v0
	v_lshrrev_b32_e32 v9, 16, v0
.LBB12_78:
	s_or_b64 exec, exec, s[6:7]
	v_mov_b32_e32 v13, 0
	v_mov_b32_e32 v11, 0
	s_and_saveexec_b64 s[6:7], s[2:3]
	s_cbranch_execz .LBB12_80
; %bb.79:
	v_mov_b32_e32 v11, 0
	v_lshl_add_u64 v[0:1], v[4:5], 0, v[10:11]
	global_load_ushort v0, v[0:1], off offset:32
	s_waitcnt vmcnt(0)
	v_lshlrev_b32_e32 v0, 16, v0
	v_sub_f32_e32 v0, v0, v2
	v_mul_f32_e32 v0, v17, v0
	v_lshrrev_b32_e32 v11, 16, v0
.LBB12_80:
	s_or_b64 exec, exec, s[6:7]
	s_and_saveexec_b64 s[6:7], s[4:5]
	s_cbranch_execz .LBB12_82
; %bb.81:
	v_mov_b32_e32 v13, 0
	v_lshl_add_u64 v[0:1], v[4:5], 0, v[12:13]
	global_load_ushort v0, v[0:1], off offset:32
	s_waitcnt vmcnt(0)
	v_lshlrev_b32_e32 v0, 16, v0
	v_sub_f32_e32 v0, v0, v3
	v_mul_f32_e32 v0, v15, v0
	v_lshrrev_b32_e32 v13, 16, v0
.LBB12_82:
	s_or_b64 exec, exec, s[6:7]
	s_mov_b32 s6, 0x5040100
	v_perm_b32 v20, v9, v7, s6
	v_or_b32_e32 v7, v18, v23
	v_accvgpr_read_b32 v0, a4
	v_perm_b32 v21, v13, v11, s6
	v_lshlrev_b32_e32 v7, 1, v7
	v_accvgpr_read_b32 v1, a5
	v_accvgpr_read_b32 v2, a6
	;; [unrolled: 1-line block ×3, first 2 shown]
	ds_write_b64 v7, v[20:21] offset:24576
	v_mov_b32_e32 v9, 0
	v_mov_b32_e32 v7, 0
	s_and_saveexec_b64 s[6:7], vcc
	s_cbranch_execz .LBB12_84
; %bb.83:
	v_mov_b32_e32 v7, 0
	v_lshl_add_u64 v[20:21], v[4:5], 0, v[6:7]
	global_load_ushort v7, v[20:21], off offset:64
	s_waitcnt vmcnt(0)
	v_lshlrev_b32_e32 v7, 16, v7
	v_sub_f32_e32 v0, v7, v0
	v_mul_f32_e32 v0, v16, v0
	v_lshrrev_b32_e32 v7, 16, v0
.LBB12_84:
	s_or_b64 exec, exec, s[6:7]
	s_and_saveexec_b64 s[6:7], s[0:1]
	s_cbranch_execz .LBB12_86
; %bb.85:
	v_mov_b32_e32 v9, 0
	v_lshl_add_u64 v[20:21], v[4:5], 0, v[8:9]
	global_load_ushort v0, v[20:21], off offset:64
	s_waitcnt vmcnt(0)
	v_lshlrev_b32_e32 v0, 16, v0
	v_sub_f32_e32 v0, v0, v1
	v_mul_f32_e32 v0, v14, v0
	v_lshrrev_b32_e32 v9, 16, v0
.LBB12_86:
	s_or_b64 exec, exec, s[6:7]
	v_mov_b32_e32 v13, 0
	v_mov_b32_e32 v11, 0
	s_and_saveexec_b64 s[6:7], s[2:3]
	s_cbranch_execz .LBB12_88
; %bb.87:
	v_mov_b32_e32 v11, 0
	v_lshl_add_u64 v[0:1], v[4:5], 0, v[10:11]
	global_load_ushort v0, v[0:1], off offset:64
	s_waitcnt vmcnt(0)
	v_lshlrev_b32_e32 v0, 16, v0
	v_sub_f32_e32 v0, v0, v2
	v_mul_f32_e32 v0, v17, v0
	v_lshrrev_b32_e32 v11, 16, v0
.LBB12_88:
	s_or_b64 exec, exec, s[6:7]
	s_and_saveexec_b64 s[6:7], s[4:5]
	s_cbranch_execz .LBB12_90
; %bb.89:
	v_mov_b32_e32 v13, 0
	v_lshl_add_u64 v[0:1], v[4:5], 0, v[12:13]
	global_load_ushort v0, v[0:1], off offset:64
	s_waitcnt vmcnt(0)
	v_lshlrev_b32_e32 v0, 16, v0
	v_sub_f32_e32 v0, v0, v3
	v_mul_f32_e32 v0, v15, v0
	v_lshrrev_b32_e32 v13, 16, v0
.LBB12_90:
	s_or_b64 exec, exec, s[6:7]
	s_mov_b32 s6, 0x5040100
	v_perm_b32 v20, v9, v7, s6
	v_or_b32_e32 v7, v18, v22
	v_accvgpr_read_b32 v0, a0
	v_perm_b32 v21, v13, v11, s6
	v_lshlrev_b32_e32 v7, 1, v7
	v_accvgpr_read_b32 v1, a1
	v_accvgpr_read_b32 v2, a2
	v_accvgpr_read_b32 v3, a3
	ds_write_b64 v7, v[20:21] offset:24576
	v_mov_b32_e32 v9, 0
	v_mov_b32_e32 v7, 0
	s_and_saveexec_b64 s[6:7], vcc
	s_cbranch_execz .LBB12_92
; %bb.91:
	v_mov_b32_e32 v7, 0
	v_lshl_add_u64 v[6:7], v[4:5], 0, v[6:7]
	global_load_ushort v6, v[6:7], off offset:96
	s_waitcnt vmcnt(0)
	v_lshlrev_b32_e32 v6, 16, v6
	v_sub_f32_e32 v0, v6, v0
	v_mul_f32_e32 v0, v16, v0
	v_lshrrev_b32_e32 v7, 16, v0
.LBB12_92:
	s_or_b64 exec, exec, s[6:7]
	s_and_saveexec_b64 s[6:7], s[0:1]
	s_cbranch_execz .LBB12_94
; %bb.93:
	v_mov_b32_e32 v9, 0
	v_lshl_add_u64 v[8:9], v[4:5], 0, v[8:9]
	global_load_ushort v0, v[8:9], off offset:96
	s_waitcnt vmcnt(0)
	v_lshlrev_b32_e32 v0, 16, v0
	v_sub_f32_e32 v0, v0, v1
	v_mul_f32_e32 v0, v14, v0
	v_lshrrev_b32_e32 v9, 16, v0
.LBB12_94:
	s_or_b64 exec, exec, s[6:7]
	v_mov_b32_e32 v0, 0
	v_mov_b32_e32 v1, 0
	s_and_saveexec_b64 s[0:1], s[2:3]
	s_cbranch_execz .LBB12_96
; %bb.95:
	v_mov_b32_e32 v11, 0
	v_lshl_add_u64 v[10:11], v[4:5], 0, v[10:11]
	global_load_ushort v1, v[10:11], off offset:96
	s_waitcnt vmcnt(0)
	v_lshlrev_b32_e32 v1, 16, v1
	v_sub_f32_e32 v1, v1, v2
	v_mul_f32_e32 v1, v17, v1
	v_lshrrev_b32_e32 v1, 16, v1
.LBB12_96:
	s_or_b64 exec, exec, s[0:1]
	s_and_saveexec_b64 s[0:1], s[4:5]
	s_cbranch_execz .LBB12_98
; %bb.97:
	v_mov_b32_e32 v13, 0
	v_lshl_add_u64 v[4:5], v[4:5], 0, v[12:13]
	global_load_ushort v0, v[4:5], off offset:96
	s_waitcnt vmcnt(0)
	v_lshlrev_b32_e32 v0, 16, v0
	v_sub_f32_e32 v0, v0, v3
	v_mul_f32_e32 v0, v15, v0
	v_lshrrev_b32_e32 v0, 16, v0
.LBB12_98:
	s_or_b64 exec, exec, s[0:1]
	s_mov_b32 s0, 0x5040100
	v_or_b32_e32 v2, v18, v19
	v_perm_b32 v1, v0, v1, s0
	v_perm_b32 v0, v9, v7, s0
	v_lshlrev_b32_e32 v2, 1, v2
	ds_write_b64 v2, v[0:1] offset:24576
	s_waitcnt lgkmcnt(0)
	s_barrier
.LBB12_99:
	s_endpgm
	.section	.rodata,"a",@progbits
	.p2align	6, 0x0
	.amdhsa_kernel _ZN12_GLOBAL__N_139chunk_gated_delta_rule_fwd_h_hip_kernelILi64ELb1ELb0ELb0ELb0ELb1ELb1ELb1ELb1EEEvPK12hip_bfloat16S3_S3_PKfS5_PKvPS1_S8_PvPKiSB_iiiiilll
		.amdhsa_group_segment_fixed_size 65536
		.amdhsa_private_segment_fixed_size 0
		.amdhsa_kernarg_size 136
		.amdhsa_user_sgpr_count 2
		.amdhsa_user_sgpr_dispatch_ptr 0
		.amdhsa_user_sgpr_queue_ptr 0
		.amdhsa_user_sgpr_kernarg_segment_ptr 1
		.amdhsa_user_sgpr_dispatch_id 0
		.amdhsa_user_sgpr_kernarg_preload_length 0
		.amdhsa_user_sgpr_kernarg_preload_offset 0
		.amdhsa_user_sgpr_private_segment_size 0
		.amdhsa_uses_dynamic_stack 0
		.amdhsa_enable_private_segment 0
		.amdhsa_system_sgpr_workgroup_id_x 1
		.amdhsa_system_sgpr_workgroup_id_y 1
		.amdhsa_system_sgpr_workgroup_id_z 0
		.amdhsa_system_sgpr_workgroup_info 0
		.amdhsa_system_vgpr_workitem_id 0
		.amdhsa_next_free_vgpr 228
		.amdhsa_next_free_sgpr 69
		.amdhsa_accum_offset 188
		.amdhsa_reserve_vcc 1
		.amdhsa_float_round_mode_32 0
		.amdhsa_float_round_mode_16_64 0
		.amdhsa_float_denorm_mode_32 3
		.amdhsa_float_denorm_mode_16_64 3
		.amdhsa_dx10_clamp 1
		.amdhsa_ieee_mode 1
		.amdhsa_fp16_overflow 0
		.amdhsa_tg_split 0
		.amdhsa_exception_fp_ieee_invalid_op 0
		.amdhsa_exception_fp_denorm_src 0
		.amdhsa_exception_fp_ieee_div_zero 0
		.amdhsa_exception_fp_ieee_overflow 0
		.amdhsa_exception_fp_ieee_underflow 0
		.amdhsa_exception_fp_ieee_inexact 0
		.amdhsa_exception_int_div_zero 0
	.end_amdhsa_kernel
	.section	.text._ZN12_GLOBAL__N_139chunk_gated_delta_rule_fwd_h_hip_kernelILi64ELb1ELb0ELb0ELb0ELb1ELb1ELb1ELb1EEEvPK12hip_bfloat16S3_S3_PKfS5_PKvPS1_S8_PvPKiSB_iiiiilll,"axG",@progbits,_ZN12_GLOBAL__N_139chunk_gated_delta_rule_fwd_h_hip_kernelILi64ELb1ELb0ELb0ELb0ELb1ELb1ELb1ELb1EEEvPK12hip_bfloat16S3_S3_PKfS5_PKvPS1_S8_PvPKiSB_iiiiilll,comdat
.Lfunc_end12:
	.size	_ZN12_GLOBAL__N_139chunk_gated_delta_rule_fwd_h_hip_kernelILi64ELb1ELb0ELb0ELb0ELb1ELb1ELb1ELb1EEEvPK12hip_bfloat16S3_S3_PKfS5_PKvPS1_S8_PvPKiSB_iiiiilll, .Lfunc_end12-_ZN12_GLOBAL__N_139chunk_gated_delta_rule_fwd_h_hip_kernelILi64ELb1ELb0ELb0ELb0ELb1ELb1ELb1ELb1EEEvPK12hip_bfloat16S3_S3_PKfS5_PKvPS1_S8_PvPKiSB_iiiiilll
                                        ; -- End function
	.section	.AMDGPU.csdata,"",@progbits
; Kernel info:
; codeLenInByte = 11128
; NumSgprs: 75
; NumVgprs: 188
; NumAgprs: 40
; TotalNumVgprs: 228
; ScratchSize: 0
; MemoryBound: 0
; FloatMode: 240
; IeeeMode: 1
; LDSByteSize: 65536 bytes/workgroup (compile time only)
; SGPRBlocks: 9
; VGPRBlocks: 28
; NumSGPRsForWavesPerEU: 75
; NumVGPRsForWavesPerEU: 228
; AccumOffset: 188
; Occupancy: 1
; WaveLimiterHint : 1
; COMPUTE_PGM_RSRC2:SCRATCH_EN: 0
; COMPUTE_PGM_RSRC2:USER_SGPR: 2
; COMPUTE_PGM_RSRC2:TRAP_HANDLER: 0
; COMPUTE_PGM_RSRC2:TGID_X_EN: 1
; COMPUTE_PGM_RSRC2:TGID_Y_EN: 1
; COMPUTE_PGM_RSRC2:TGID_Z_EN: 0
; COMPUTE_PGM_RSRC2:TIDIG_COMP_CNT: 0
; COMPUTE_PGM_RSRC3_GFX90A:ACCUM_OFFSET: 46
; COMPUTE_PGM_RSRC3_GFX90A:TG_SPLIT: 0
	.section	.text._ZN12_GLOBAL__N_139chunk_gated_delta_rule_fwd_h_hip_kernelILi64ELb0ELb1ELb1ELb0ELb1ELb1ELb1ELb1EEEvPK12hip_bfloat16S3_S3_PKfS5_PKvPS1_S8_PvPKiSB_iiiiilll,"axG",@progbits,_ZN12_GLOBAL__N_139chunk_gated_delta_rule_fwd_h_hip_kernelILi64ELb0ELb1ELb1ELb0ELb1ELb1ELb1ELb1EEEvPK12hip_bfloat16S3_S3_PKfS5_PKvPS1_S8_PvPKiSB_iiiiilll,comdat
	.globl	_ZN12_GLOBAL__N_139chunk_gated_delta_rule_fwd_h_hip_kernelILi64ELb0ELb1ELb1ELb0ELb1ELb1ELb1ELb1EEEvPK12hip_bfloat16S3_S3_PKfS5_PKvPS1_S8_PvPKiSB_iiiiilll ; -- Begin function _ZN12_GLOBAL__N_139chunk_gated_delta_rule_fwd_h_hip_kernelILi64ELb0ELb1ELb1ELb0ELb1ELb1ELb1ELb1EEEvPK12hip_bfloat16S3_S3_PKfS5_PKvPS1_S8_PvPKiSB_iiiiilll
	.p2align	8
	.type	_ZN12_GLOBAL__N_139chunk_gated_delta_rule_fwd_h_hip_kernelILi64ELb0ELb1ELb1ELb0ELb1ELb1ELb1ELb1EEEvPK12hip_bfloat16S3_S3_PKfS5_PKvPS1_S8_PvPKiSB_iiiiilll,@function
_ZN12_GLOBAL__N_139chunk_gated_delta_rule_fwd_h_hip_kernelILi64ELb0ELb1ELb1ELb0ELb1ELb1ELb1ELb1EEEvPK12hip_bfloat16S3_S3_PKfS5_PKvPS1_S8_PvPKiSB_iiiiilll: ; @_ZN12_GLOBAL__N_139chunk_gated_delta_rule_fwd_h_hip_kernelILi64ELb0ELb1ELb1ELb0ELb1ELb1ELb1ELb1EEEvPK12hip_bfloat16S3_S3_PKfS5_PKvPS1_S8_PvPKiSB_iiiiilll
; %bb.0:
	s_load_dwordx4 s[12:15], s[0:1], 0x5c
	s_load_dwordx2 s[34:35], s[0:1], 0x40
	s_abs_i32 s22, s3
	s_ashr_i32 s21, s3, 31
	s_load_dwordx8 s[4:11], s[0:1], 0x0
	s_load_dwordx2 s[36:37], s[0:1], 0x20
	s_load_dwordx4 s[16:19], s[0:1], 0x30
	s_waitcnt lgkmcnt(0)
	s_abs_i32 s20, s13
	v_cvt_f32_u32_e32 v1, s20
	s_sub_i32 s24, 0, s20
	s_ashr_i32 s23, s13, 31
	s_xor_b32 s21, s21, s23
	v_rcp_iflag_f32_e32 v1, v1
	v_lshrrev_b32_e32 v45, 6, v0
	v_bfe_u32 v88, v0, 4, 2
	v_lshlrev_b32_e32 v86, 4, v45
	v_mul_f32_e32 v1, 0x4f7ffffe, v1
	v_cvt_u32_f32_e32 v1, v1
	v_lshlrev_b32_e32 v2, 2, v88
	v_and_b32_e32 v87, 63, v0
	v_and_b32_e32 v89, 15, v0
	v_readfirstlane_b32 s25, v1
	s_mul_i32 s24, s24, s25
	s_mul_hi_u32 s24, s25, s24
	s_add_i32 s25, s25, s24
	s_mul_hi_u32 s24, s22, s25
	s_mul_i32 s25, s24, s20
	s_sub_i32 s22, s22, s25
	s_add_i32 s25, s24, 1
	s_sub_i32 s26, s22, s20
	s_cmp_ge_u32 s22, s20
	s_cselect_b32 s24, s25, s24
	s_cselect_b32 s22, s26, s22
	s_add_i32 s25, s24, 1
	s_cmp_ge_u32 s22, s20
	s_cselect_b32 s22, s25, s24
	s_xor_b32 s22, s22, s21
	s_sub_i32 s52, s22, s21
	s_abs_i32 s21, s14
	v_cvt_f32_u32_e32 v1, s21
	s_ashr_i32 s51, s12, 31
	s_lshr_b32 s22, s51, 26
	s_add_i32 s22, s12, s22
	v_rcp_iflag_f32_e32 v1, v1
	s_ashr_i32 s54, s14, 31
	s_ashr_i32 s53, s22, 6
	s_xor_b32 s22, s23, s54
	v_mul_f32_e32 v1, 0x4f7ffffe, v1
	v_cvt_u32_f32_e32 v1, v1
	s_sub_i32 s23, 0, s21
	s_mul_i32 s50, s52, s13
	s_sub_i32 s33, s3, s50
	v_readfirstlane_b32 s24, v1
	s_mul_i32 s23, s23, s24
	s_mul_hi_u32 s23, s24, s23
	s_add_i32 s24, s24, s23
	s_mul_hi_u32 s23, s20, s24
	s_mul_i32 s24, s23, s21
	s_sub_i32 s20, s20, s24
	s_add_i32 s3, s12, 63
	s_add_i32 s24, s23, 1
	s_sub_i32 s25, s20, s21
	s_cmp_ge_u32 s20, s21
	s_cselect_b32 s23, s24, s23
	s_cselect_b32 s20, s25, s20
	s_add_i32 s24, s23, 1
	s_cmp_ge_u32 s20, s21
	s_cselect_b32 s20, s24, s23
	s_xor_b32 s20, s20, s22
	s_sub_i32 s24, s20, s22
	s_abs_i32 s25, s24
	v_cvt_f32_u32_e32 v1, s25
	s_sub_i32 s26, 0, s25
	s_load_dwordx2 s[38:39], s[0:1], 0x80
	s_load_dwordx4 s[20:23], s[0:1], 0x70
	s_xor_b32 s1, s33, s24
	v_rcp_iflag_f32_e32 v1, v1
	s_abs_i32 s24, s33
	s_ashr_i32 s1, s1, 31
	s_mov_b32 s0, 0
	v_mul_f32_e32 v1, 0x4f7ffffe, v1
	v_cvt_u32_f32_e32 v1, v1
	s_mul_i32 s48, s52, s12
	s_mul_hi_i32 s56, s52, s13
	v_lshrrev_b32_e32 v91, 3, v87
	v_readfirstlane_b32 s27, v1
	s_mul_i32 s26, s26, s27
	s_mul_hi_u32 s26, s27, s26
	s_add_i32 s27, s27, s26
	s_mul_hi_u32 s26, s24, s27
	s_mul_i32 s27, s26, s25
	s_sub_i32 s24, s24, s27
	s_add_i32 s27, s26, 1
	s_sub_i32 s28, s24, s25
	s_cmp_ge_u32 s24, s25
	s_cselect_b32 s26, s27, s26
	s_cselect_b32 s24, s28, s24
	s_add_i32 s27, s26, 1
	s_cmp_ge_u32 s24, s25
	s_cselect_b32 s24, s27, s26
	s_xor_b32 s24, s24, s1
	s_sub_i32 s57, s24, s1
	s_ashr_i32 s1, s3, 31
	s_lshr_b32 s1, s1, 26
	s_add_i32 s3, s3, s1
	s_ashr_i32 s1, s3, 6
	v_or_b32_e32 v1, v2, v86
	s_mul_i32 s55, s52, s1
	s_lshl_b32 s2, s2, 6
	s_mov_b32 s1, s0
	v_or_b32_e32 v92, 64, v1
	s_cmp_lt_i32 s12, 64
	v_mov_b64_e32 v[54:55], s[0:1]
	v_lshlrev_b32_e32 v90, 3, v0
	s_waitcnt lgkmcnt(0)
	s_mul_i32 s21, s52, s21
	s_mul_hi_u32 s49, s52, s20
	s_mul_i32 s40, s52, s20
	v_mov_b64_e32 v[56:57], s[0:1]
	v_mov_b64_e32 v[60:61], s[0:1]
	;; [unrolled: 1-line block ×15, first 2 shown]
	s_cbranch_scc1 .LBB13_17
; %bb.1:
	s_ashr_i32 s3, s52, 31
	s_ashr_i32 s59, s33, 31
	s_add_u32 s0, s50, s33
	s_addc_u32 s1, s56, s59
	s_mul_i32 s1, s12, s1
	s_mul_hi_u32 s24, s12, s0
	s_add_i32 s43, s24, s1
	s_mul_i32 s42, s12, s0
	s_lshl_b64 s[0:1], s[42:43], 8
	v_and_b32_e32 v94, 56, v90
	s_add_u32 s24, s6, s0
	v_lshl_or_b32 v93, v45, 3, v91
	v_lshlrev_b32_e32 v3, 1, v94
	s_addc_u32 s0, s7, s1
	v_lshl_or_b32 v95, v93, 8, v3
	s_and_b32 s25, s0, 0xffff
	s_mov_b32 s27, 0x20000
	s_movk_i32 s26, 0x4000
	s_movk_i32 s0, 0x80
	v_or_b32_e32 v96, 0x2000, v95
	buffer_load_dwordx4 v[4:7], v95, s[24:27], 0 offen
	buffer_load_dwordx4 v[8:11], v95, s[24:27], s0 offen
	;; [unrolled: 1-line block ×4, first 2 shown]
	v_lshlrev_b32_e32 v20, 3, v93
	v_and_or_b32 v22, v0, 7, v20
	v_and_b32_e32 v20, 0x78, v20
	v_lshlrev_b32_e32 v22, 4, v22
	v_xor_b32_e32 v97, v22, v20
	v_mul_lo_u32 v21, v93, s15
	v_or_b32_e32 v98, 0x1000, v97
	s_cmpk_eq_i32 s15, 0x80
	s_mov_b32 s58, s14
	v_xor_b32_e32 v20, 8, v97
	v_xor_b32_e32 v22, 8, v98
	s_cselect_b64 s[0:1], -1, 0
	s_cmpk_lg_i32 s15, 0x80
	s_waitcnt vmcnt(3)
	ds_write_b64 v97, v[4:5] offset:49152
	ds_write_b64 v20, v[6:7] offset:49152
	s_waitcnt vmcnt(2)
	ds_write_b64 v97, v[8:9] offset:57344
	ds_write_b64 v20, v[10:11] offset:57344
	;; [unrolled: 3-line block ×4, first 2 shown]
	v_lshl_add_u32 v4, v21, 1, v94
	s_cbranch_scc0 .LBB13_3
; %bb.2:
	v_lshlrev_b32_e32 v6, 1, v4
	v_add_lshl_u32 v5, v4, s15, 1
	s_lshl_b32 s26, s15, 7
	v_lshl_or_b32 v3, v93, 9, v3
	s_cbranch_execz .LBB13_4
	s_branch .LBB13_5
.LBB13_3:
                                        ; implicit-def: $vgpr5
                                        ; implicit-def: $vgpr6
                                        ; implicit-def: $sgpr26
	v_lshl_or_b32 v3, v93, 9, v3
.LBB13_4:
	v_or_b32_e32 v5, 0x100, v3
	s_movk_i32 s26, 0x4000
	v_mov_b32_e32 v6, v3
.LBB13_5:
	s_mul_hi_u32 s24, s14, s12
	s_mul_i32 s25, s54, s12
	s_add_i32 s24, s24, s25
	s_mul_i32 s25, s14, s12
	s_mul_i32 s27, s25, s3
	s_mul_hi_u32 s28, s25, s52
	s_add_i32 s27, s28, s27
	s_mul_i32 s24, s24, s52
	s_add_i32 s27, s27, s24
	s_mul_i32 s25, s25, s52
	s_ashr_i32 s60, s57, 31
	s_add_u32 s24, s25, s57
	s_addc_u32 s25, s27, s60
	s_lshl_b64 s[24:25], s[24:25], 8
	s_add_u32 s24, s4, s24
	s_addc_u32 s25, s5, s25
	s_and_b32 s25, s25, 0xffff
	s_mov_b32 s27, 0x20000
	s_movk_i32 s61, 0x80
	buffer_load_dwordx4 v[8:11], v6, s[24:27], 0 offen
	buffer_load_dwordx4 v[12:15], v6, s[24:27], s61 offen
	buffer_load_dwordx4 v[16:19], v5, s[24:27], 0 offen
	buffer_load_dwordx4 v[20:23], v5, s[24:27], s61 offen
	v_and_b32_e32 v5, 6, v0
	v_lshlrev_b32_e32 v6, 7, v1
	v_xor_b32_e32 v27, v93, v5
	v_and_b32_e32 v7, 1, v0
	v_lshl_or_b32 v30, v89, 3, v6
	v_lshlrev_b32_e32 v27, 2, v27
	v_or_b32_e32 v99, 0x4000, v30
	v_or_b32_e32 v100, 0x6000, v30
	v_xor_b32_e32 v30, 0x440, v27
	v_cmp_eq_u32_e32 vcc, 0, v7
	v_lshlrev_b32_e32 v24, 2, v89
	v_or_b32_e32 v26, 16, v89
	v_cndmask_b32_e32 v7, v30, v27, vcc
	s_mov_b32 s63, 0x1000504
	v_xor_b32_e32 v28, v1, v24
	v_xor_b32_e32 v29, v92, v24
	v_lshl_or_b32 v31, v26, 3, v6
	v_lshl_or_b32 v5, v5, 10, v7
	s_mov_b32 s64, 0x3020706
	s_mul_i32 s24, s3, s12
	s_mul_hi_u32 s25, s52, s12
	v_lshlrev_b32_e32 v25, 8, v89
	v_lshlrev_b32_e32 v28, 1, v28
	;; [unrolled: 1-line block ×3, first 2 shown]
	v_or_b32_e32 v101, 0x4000, v31
	v_or_b32_e32 v102, 0x6000, v31
	v_xor_b32_e32 v7, 8, v5
	v_xor_b32_e32 v27, 24, v5
	;; [unrolled: 1-line block ×4, first 2 shown]
	v_or_b32_e32 v103, v25, v28
	v_or_b32_e32 v104, v25, v29
	v_xor_b32_e32 v25, 16, v5
	v_xor_b32_e32 v30, 32, v5
	;; [unrolled: 1-line block ×3, first 2 shown]
	v_add_u32_e32 v7, 0x80, v7
	v_add_u32_e32 v27, 0x80, v27
	;; [unrolled: 1-line block ×4, first 2 shown]
	s_add_i32 s65, s25, s24
	s_add_i32 s24, s49, s21
	s_mul_i32 s3, s3, s20
	s_add_i32 s41, s24, s3
	s_mul_i32 s3, s33, s23
	s_mul_hi_u32 s24, s33, s22
	s_add_i32 s3, s24, s3
	s_mul_i32 s24, s59, s22
	s_add_i32 s25, s3, s24
	s_lshl_b64 s[28:29], s[40:41], 2
	s_mul_i32 s24, s33, s22
	s_add_u32 s3, s10, s28
	s_addc_u32 s28, s11, s29
	s_lshl_b64 s[24:25], s[24:25], 2
	s_add_u32 s44, s3, s24
	s_movk_i32 s3, 0xf8
	s_addc_u32 s45, s28, s25
	s_lshl_b32 s30, s15, 7
	v_mov_b32_e32 v79, 0
	s_movk_i32 s28, 0x100
	v_lshlrev_b32_e32 v78, 4, v89
	s_mov_b32 s62, 0
	s_movk_i32 s26, 0x4000
	v_add_u32_e32 v136, v86, v2
	s_mov_b32 s41, 0x7060302
	s_movk_i32 s66, 0x2000
	s_movk_i32 s67, 0x3000
	s_mov_b32 s69, 0
	v_mov_b32_e32 v48, v79
	v_mov_b32_e32 v49, v79
	;; [unrolled: 1-line block ×11, first 2 shown]
	s_waitcnt vmcnt(1)
	v_perm_b32 v34, v8, v16, s63
	s_waitcnt vmcnt(0)
	v_perm_b32 v35, v12, v20, s63
	v_perm_b32 v8, v8, v16, s64
	;; [unrolled: 1-line block ×15, first 2 shown]
	ds_write2st64_b32 v5, v34, v35 offset0:128 offset1:160
	ds_write2st64_b32 v7, v8, v12 offset0:128 offset1:160
	;; [unrolled: 1-line block ×8, first 2 shown]
	v_lshlrev_b32_e32 v5, 8, v26
	v_or_b32_e32 v105, v5, v28
	v_or_b32_e32 v106, v5, v29
	;; [unrolled: 1-line block ×3, first 2 shown]
	v_lshl_or_b32 v7, v5, 3, v6
	v_lshlrev_b32_e32 v5, 8, v5
	v_or_b32_e32 v109, v5, v28
	v_or_b32_e32 v110, v5, v29
	;; [unrolled: 1-line block ×5, first 2 shown]
	v_lshl_or_b32 v7, v5, 3, v6
	v_lshlrev_b32_e32 v5, 8, v5
	v_or_b32_e32 v113, v5, v28
	v_or_b32_e32 v114, v5, v29
	;; [unrolled: 1-line block ×3, first 2 shown]
	v_lshlrev_b32_e32 v5, 3, v5
	v_lshrrev_b32_e32 v9, 5, v87
	v_and_or_b32 v9, v5, s3, v9
	v_lshlrev_b32_e32 v9, 4, v9
	v_lshlrev_b32_e32 v11, 11, v45
	v_and_b32_e32 v5, 0x78, v5
	v_or_b32_e32 v14, 32, v9
	v_and_b32_e32 v8, 0x1000, v11
	v_xor_b32_e32 v10, v9, v5
	v_lshrrev_b32_e32 v12, 1, v87
	v_xor_b32_e32 v14, v14, v5
	v_or_b32_e32 v10, v10, v8
	v_and_b32_e32 v12, 8, v12
	v_or_b32_e32 v14, v14, v8
	v_xor_b32_e32 v115, v10, v12
	v_lshlrev_b32_e32 v10, 8, v88
	v_xor_b32_e32 v117, v14, v12
	v_or_b32_e32 v14, 64, v9
	v_or_b32_e32 v9, 0x60, v9
	;; [unrolled: 1-line block ×3, first 2 shown]
	v_xor_b32_e32 v14, v14, v5
	v_xor_b32_e32 v5, v9, v5
	s_ashr_i32 s3, s2, 31
	v_lshlrev_b32_e32 v13, 1, v13
	v_or_b32_e32 v14, v14, v8
	v_or_b32_e32 v5, v5, v8
	s_lshl_b64 s[24:25], s[2:3], 8
	v_or_b32_e32 v116, 0x4000, v13
	v_or_b32_e32 v118, 0x4080, v13
	v_or_b32_e32 v119, 0x4100, v13
	v_or_b32_e32 v120, 0x4180, v13
	v_xor_b32_e32 v121, v14, v12
	v_xor_b32_e32 v122, v5, v12
	v_or_b32_e32 v123, 0x6000, v13
	v_or_b32_e32 v124, 0x6080, v13
	;; [unrolled: 1-line block ×4, first 2 shown]
	v_lshlrev_b32_e32 v12, 1, v4
	v_add_lshl_u32 v13, v4, s15, 1
	s_add_u32 s24, s16, s24
	v_lshlrev_b32_e32 v4, 1, v89
	v_or_b32_e32 v14, 0x100, v3
	v_lshrrev_b32_e32 v15, 4, v0
	s_addc_u32 s25, s17, s25
	v_or_b32_e32 v5, 1, v4
	v_lshlrev_b32_e32 v18, 2, v0
	v_xor_b32_e32 v16, v15, v4
	v_xor_b32_e32 v17, v5, v15
	v_lshl_add_u64 v[4:5], s[24:25], 0, v[78:79]
	v_lshlrev_b32_e32 v78, 8, v15
	v_lshrrev_b32_e32 v19, 1, v0
	v_and_or_b32 v10, v18, 60, v10
	v_cndmask_b32_e64 v133, v12, v3, s[0:1]
	v_cndmask_b32_e64 v134, v13, v14, s[0:1]
	v_mov_b32_e32 v3, 0xa000
	v_mov_b32_e32 v12, 0x8000
	v_cmp_gt_u32_e64 s[0:1], s28, v0
	v_lshl_or_b32 v127, v16, 3, v78
	v_and_b32_e32 v16, 8, v0
	v_and_b32_e32 v19, 24, v19
	v_lshlrev_b32_e32 v10, 1, v10
	v_cndmask_b32_e64 v3, v3, v12, s[0:1]
	v_lshlrev_b32_e32 v12, 3, v45
	v_or_b32_e32 v129, 0x6000, v10
	v_or_b32_e32 v130, 0x6080, v10
	;; [unrolled: 1-line block ×4, first 2 shown]
	v_mov_b32_e32 v10, 0x400
	v_cmp_eq_u32_e32 vcc, 0, v16
	v_xor_b32_e32 v13, v12, v19
	v_and_b32_e32 v15, 7, v0
	v_cndmask_b32_e64 v16, v10, 64, vcc
	v_or_b32_e32 v14, 0x440, v13
	v_lshl_or_b32 v128, v17, 3, v78
	v_lshlrev_b32_e32 v17, 3, v15
	v_or_b32_e32 v18, 32, v19
	v_or_b32_e32 v20, 0x60, v19
	v_cndmask_b32_e32 v14, v14, v13, vcc
	v_or3_b32 v13, v11, v16, v13
	v_lshlrev_b32_e32 v15, 7, v15
	v_xor_b32_e32 v18, v12, v18
	v_xor_b32_e32 v13, v13, v17
	;; [unrolled: 1-line block ×3, first 2 shown]
	v_or_b32_e32 v21, 0x440, v18
	v_or_b32_e32 v135, v13, v15
	v_xor_b32_e32 v13, 0x440, v12
	v_cndmask_b32_e32 v18, v21, v18, vcc
	v_cndmask_b32_e32 v12, v13, v12, vcc
	v_or_b32_e32 v111, 0x4000, v7
	v_or_b32_e32 v112, 0x6000, v7
	v_lshrrev_b32_e32 v7, 2, v87
	v_or_b32_e32 v8, s2, v89
	v_or_b32_e32 v14, v14, v11
	;; [unrolled: 1-line block ×4, first 2 shown]
	v_and_b32_e32 v7, 12, v7
	v_ashrrev_i32_e32 v9, 31, v8
	v_xor_b32_e32 v14, v14, v17
	v_xor_b32_e32 v18, v18, v17
	;; [unrolled: 1-line block ×3, first 2 shown]
	v_or_b32_e32 v10, v86, v7
	v_add_u32_e32 v19, v3, v14
	v_add_u32_e32 v21, v3, v18
	v_add_u32_e32 v13, v3, v11
	v_or3_b32 v12, v86, v7, 64
	v_add_u32_e32 v7, 0xa000, v14
	v_add_u32_e32 v14, 0xa000, v18
	;; [unrolled: 1-line block ×3, first 2 shown]
	v_lshlrev_b64 v[8:9], 1, v[8:9]
	v_lshl_add_u64 v[80:81], s[8:9], 0, v[8:9]
	v_lshl_add_u64 v[82:83], s[18:19], 0, v[8:9]
	;; [unrolled: 1-line block ×3, first 2 shown]
	s_add_i32 s3, s48, 63
	v_lshlrev_b32_e32 v78, 1, v6
	v_lshlrev_b32_e32 v137, 2, v10
	v_add_u32_e32 v138, v19, v15
	v_add_u32_e32 v139, v21, v15
	;; [unrolled: 1-line block ×4, first 2 shown]
	v_lshlrev_b32_e32 v142, 2, v12
	v_add_u32_e32 v143, v7, v15
	v_add_u32_e32 v144, v14, v15
	;; [unrolled: 1-line block ×3, first 2 shown]
	v_mov_b32_e32 v77, v79
	v_mov_b32_e32 v70, v79
	v_mov_b32_e32 v71, v79
	v_mov_b32_e32 v72, v79
	v_mov_b32_e32 v73, v79
	v_mov_b32_e32 v66, v79
	v_mov_b32_e32 v67, v79
	v_mov_b32_e32 v68, v79
	v_mov_b32_e32 v69, v79
	v_mov_b32_e32 v62, v79
	v_mov_b32_e32 v63, v79
	v_mov_b32_e32 v64, v79
	v_mov_b32_e32 v65, v79
	v_mov_b32_e32 v58, v79
	v_mov_b32_e32 v59, v79
	v_mov_b32_e32 v60, v79
	v_mov_b32_e32 v61, v79
	v_mov_b32_e32 v56, v79
	v_mov_b32_e32 v57, v79
	v_mov_b32_e32 v54, v79
	v_mov_b32_e32 v55, v79
	s_waitcnt lgkmcnt(0)
	s_barrier
	s_branch .LBB13_7
.LBB13_6:                               ;   in Loop: Header=BB13_7 Depth=1
	v_exp_f32_e32 v36, s46
	s_waitcnt vmcnt(4)
	v_exp_f32_e32 v38, v38
	v_exp_f32_e32 v39, v39
	;; [unrolled: 1-line block ×4, first 2 shown]
	v_accvgpr_read_b32 v5, a3
	v_accvgpr_read_b32 v4, a2
	;; [unrolled: 1-line block ×4, first 2 shown]
	v_pk_mul_f32 v[38:39], v[36:37], v[38:39] op_sel_hi:[0,1]
	v_pk_mul_f32 v[40:41], v[36:37], v[40:41] op_sel_hi:[0,1]
	v_pk_fma_f32 v[74:75], v[74:75], v[38:39], v[2:3]
	v_pk_fma_f32 v[76:77], v[76:77], v[40:41], v[4:5]
	v_exp_f32_e32 v2, v34
	v_exp_f32_e32 v3, v42
	;; [unrolled: 1-line block ×4, first 2 shown]
	v_accvgpr_read_b32 v9, a7
	v_accvgpr_read_b32 v13, a11
	;; [unrolled: 1-line block ×28, first 2 shown]
	v_pk_mul_f32 v[2:3], v[36:37], v[2:3] op_sel_hi:[0,1]
	v_pk_mul_f32 v[4:5], v[36:37], v[4:5] op_sel_hi:[0,1]
	s_add_i32 s62, s62, 64
	v_pk_fma_f32 v[66:67], v[38:39], v[66:67], v[6:7]
	v_pk_fma_f32 v[68:69], v[40:41], v[68:69], v[8:9]
	;; [unrolled: 1-line block ×14, first 2 shown]
	s_cmp_eq_u32 s53, s68
	s_mov_b32 s69, s68
	s_cbranch_scc1 .LBB13_17
.LBB13_7:                               ; =>This Inner Loop Header: Depth=1
	s_add_i32 s68, s69, 1
	s_cmp_lt_i32 s68, s53
	s_mov_b64 s[28:29], 0
	s_cselect_b64 s[46:47], -1, 0
	s_cmp_ge_i32 s68, s53
	s_mov_b64 s[24:25], 0
	s_cbranch_scc1 .LBB13_9
; %bb.8:                                ;   in Loop: Header=BB13_7 Depth=1
	s_add_i32 s0, s62, 64
	s_add_u32 s0, s42, s0
	s_addc_u32 s1, s43, 0
	s_lshl_b64 s[0:1], s[0:1], 8
	s_add_u32 s24, s6, s0
	s_addc_u32 s25, s7, s1
.LBB13_9:                               ;   in Loop: Header=BB13_7 Depth=1
	v_cndmask_b32_e64 v2, 0, 1, s[46:47]
	v_cmp_ne_u32_e64 s[0:1], 1, v2
	s_andn2_b64 vcc, exec, s[46:47]
	s_cbranch_vccnz .LBB13_11
; %bb.10:                               ;   in Loop: Header=BB13_7 Depth=1
	s_add_i32 s28, s62, 64
	s_add_u32 s28, s48, s28
	s_addc_u32 s29, s65, 0
	s_mul_i32 s31, s28, s54
	s_mul_hi_u32 s46, s28, s58
	s_add_i32 s31, s46, s31
	s_mul_i32 s29, s29, s58
	s_add_i32 s31, s31, s29
	s_mul_i32 s28, s28, s58
	s_add_u32 s28, s28, s57
	s_addc_u32 s29, s31, s60
	s_lshl_b64 s[28:29], s[28:29], 8
	s_add_u32 s28, s4, s28
	s_addc_u32 s29, s5, s29
.LBB13_11:                              ;   in Loop: Header=BB13_7 Depth=1
	v_perm_b32 v3, v77, v76, s41
	v_perm_b32 v2, v75, v74, s41
	v_perm_b32 v5, v73, v72, s41
	v_perm_b32 v4, v71, v70, s41
	ds_write_b64 v99, v[2:3]
	ds_write_b64 v100, v[4:5]
	ds_write_b64 v103, v[2:3]
	ds_write_b64 v104, v[4:5]
	v_perm_b32 v3, v69, v68, s41
	v_perm_b32 v2, v67, v66, s41
	v_perm_b32 v5, v65, v64, s41
	v_perm_b32 v4, v63, v62, s41
	ds_write_b64 v101, v[2:3]
	ds_write_b64 v102, v[4:5]
	ds_write_b64 v105, v[2:3]
	ds_write_b64 v106, v[4:5]
	;; [unrolled: 8-line block ×4, first 2 shown]
	s_waitcnt lgkmcnt(0)
	s_barrier
	ds_read_b64 v[6:7], v115 offset:49152
	ds_read2_b64 v[2:5], v116 offset1:16
	ds_read_b64 v[18:19], v118 offset:6144
	ds_read_b64 v[20:21], v116 offset:6144
	s_waitcnt lgkmcnt(2)
	v_mfma_f32_16x16x16_bf16 a[0:3], v[6:7], v[2:3], 0
	ds_read_b64 v[22:23], v117 offset:49152
	ds_read2st64_b64 v[10:13], v119 offset0:4 offset1:8
	ds_read2st64_b64 v[14:17], v120 offset0:4 offset1:8
	v_mfma_f32_16x16x16_bf16 a[4:7], v[6:7], v[4:5], 0
	ds_read2_b64 v[2:5], v116 offset0:32 offset1:48
	s_add_i32 s31, s62, 63
	s_mul_i32 s46, s31, s39
	s_waitcnt lgkmcnt(0)
	v_mfma_f32_16x16x16_bf16 a[8:11], v[6:7], v[2:3], 0
	s_mul_hi_u32 s47, s31, s38
	s_add_i32 s47, s47, s46
	s_mul_i32 s46, s31, s38
	v_mfma_f32_16x16x16_bf16 a[12:15], v[6:7], v[4:5], 0
	ds_read2st64_b64 v[2:5], v116 offset0:4 offset1:8
	ds_read2st64_b64 v[6:9], v118 offset0:4 offset1:8
	s_lshl_b64 s[46:47], s[46:47], 2
	s_waitcnt lgkmcnt(1)
	v_mfma_f32_16x16x16_bf16 a[0:3], v[22:23], v[2:3], a[0:3]
	s_add_u32 s46, s44, s46
	s_addc_u32 s47, s45, s47
	s_and_b64 vcc, exec, s[0:1]
	s_waitcnt lgkmcnt(0)
	v_mfma_f32_16x16x16_bf16 a[4:7], v[22:23], v[6:7], a[4:7]
	v_mov_b32_e32 v148, 0
	v_mov_b32_e32 v147, 0
	;; [unrolled: 1-line block ×3, first 2 shown]
	v_mfma_f32_16x16x16_bf16 a[8:11], v[22:23], v[10:11], a[8:11]
	ds_read_b64 v[2:3], v121 offset:49152
	ds_read_b64 v[6:7], v122 offset:49152
	;; [unrolled: 1-line block ×3, first 2 shown]
	v_mfma_f32_16x16x16_bf16 a[12:15], v[22:23], v[14:15], a[12:15]
	v_mov_b32_e32 v14, 0
	v_mov_b32_e32 v15, 0
	s_waitcnt lgkmcnt(2)
	v_mfma_f32_16x16x16_bf16 a[0:3], v[2:3], v[4:5], a[0:3]
	v_mov_b32_e32 v4, 0
	v_mov_b32_e32 v5, 0
	v_mfma_f32_16x16x16_bf16 a[16:19], v[2:3], v[8:9], a[4:7]
	v_mov_b32_e32 v8, 0
	v_mov_b32_e32 v9, 0
	;; [unrolled: 3-line block ×3, first 2 shown]
	v_mfma_f32_16x16x16_bf16 a[24:27], v[2:3], v[16:17], a[12:15]
	ds_read_b64 v[2:3], v119 offset:6144
	v_mov_b32_e32 v16, 0
	v_mov_b32_e32 v17, 0
	s_waitcnt lgkmcnt(2)
	v_mfma_f32_16x16x16_bf16 a[4:7], v[6:7], v[20:21], a[0:3]
	v_mfma_f32_16x16x16_bf16 a[8:11], v[6:7], v[18:19], a[16:19]
	s_waitcnt lgkmcnt(0)
	v_mfma_f32_16x16x16_bf16 a[12:15], v[6:7], v[2:3], a[20:23]
	v_mov_b32_e32 v2, 0
	v_mov_b32_e32 v3, 0
	v_mfma_f32_16x16x16_bf16 a[0:3], v[6:7], v[10:11], a[24:27]
	v_mov_b32_e32 v6, 0
	v_mov_b32_e32 v7, 0
	;; [unrolled: 1-line block ×4, first 2 shown]
	s_cbranch_vccnz .LBB13_13
; %bb.12:                               ;   in Loop: Header=BB13_7 Depth=1
	s_and_b32 s25, s25, 0xffff
	buffer_load_dwordx4 v[14:17], v95, s[24:27], 0 offen
	buffer_load_dwordx4 v[10:13], v95, s[24:27], s61 offen
	;; [unrolled: 1-line block ×4, first 2 shown]
	v_mov_b32_e32 v147, v97
	v_mov_b32_e32 v146, v98
.LBB13_13:                              ;   in Loop: Header=BB13_7 Depth=1
	ds_read_b64 v[30:31], v115 offset:57344
	ds_read2_b64 v[18:21], v123 offset1:16
	ds_read_b64 v[34:35], v117 offset:57344
	ds_read_b64 v[36:37], v121 offset:57344
	ds_read_b64 v[38:39], v122 offset:57344
	v_add_u32_e32 v32, s62, v136
	s_waitcnt lgkmcnt(3)
	v_mfma_f32_16x16x16_bf16 a[4:7], v[30:31], v[18:19], a[4:7]
	v_mfma_f32_16x16x16_bf16 a[8:11], v[30:31], v[20:21], a[8:11]
	ds_read2_b64 v[18:21], v123 offset0:32 offset1:48
	ds_read2st64_b64 v[22:25], v123 offset0:4 offset1:8
	ds_read2st64_b64 v[26:29], v124 offset0:4 offset1:8
	s_waitcnt lgkmcnt(2)
	v_mfma_f32_16x16x16_bf16 a[12:15], v[30:31], v[18:19], a[12:15]
	v_ashrrev_i32_e32 v18, 31, v32
	v_mul_lo_u32 v33, v18, s38
	v_mad_u64_u32 v[18:19], s[24:25], v32, s38, 0
	v_mfma_f32_16x16x16_bf16 a[0:3], v[30:31], v[20:21], a[0:3]
	v_mul_lo_u32 v20, v32, s39
	v_add3_u32 v19, v19, v20, v33
	v_add_u32_e32 v20, 1, v32
	v_ashrrev_i32_e32 v21, 31, v20
	s_waitcnt lgkmcnt(1)
	v_mfma_f32_16x16x16_bf16 a[4:7], v[34:35], v[22:23], a[4:7]
	v_mul_lo_u32 v22, v21, s38
	v_mul_lo_u32 v23, v20, s39
	v_mad_u64_u32 v[20:21], s[24:25], v20, s38, 0
	v_add3_u32 v21, v21, v23, v22
	v_add_u32_e32 v22, 2, v32
	v_ashrrev_i32_e32 v23, 31, v22
	v_mul_lo_u32 v30, v23, s38
	v_mul_lo_u32 v31, v22, s39
	v_mad_u64_u32 v[22:23], s[24:25], v22, s38, 0
	v_add3_u32 v23, v23, v31, v30
	v_add_u32_e32 v30, 3, v32
	v_ashrrev_i32_e32 v31, 31, v30
	v_mul_lo_u32 v32, v31, s38
	v_mul_lo_u32 v33, v30, s39
	v_mad_u64_u32 v[30:31], s[24:25], v30, s38, 0
	s_add_u32 s24, s42, s62
	v_lshl_add_u64 v[18:19], v[18:19], 2, s[44:45]
	v_add3_u32 v31, v31, v33, v32
	s_addc_u32 s25, s43, 0
	v_lshl_add_u64 v[20:21], v[20:21], 2, s[44:45]
	global_load_dword v40, v[18:19], off
	v_lshl_add_u64 v[18:19], v[30:31], 2, s[44:45]
	s_lshl_b64 s[24:25], s[24:25], 8
	v_lshl_add_u64 v[22:23], v[22:23], 2, s[44:45]
	global_load_dword v41, v[20:21], off
	global_load_dword v42, v[22:23], off
	;; [unrolled: 1-line block ×3, first 2 shown]
	v_lshl_add_u64 v[18:19], v[80:81], 0, s[24:25]
	v_lshl_add_u64 v[22:23], v[18:19], 0, v[78:79]
	global_load_ushort v44, v[22:23], off offset:256
	global_load_ushort v149, v[22:23], off
	ds_read2st64_b64 v[18:21], v125 offset0:4 offset1:8
	global_load_ushort v150, v[22:23], off offset:768
	global_load_ushort v151, v[22:23], off offset:512
	ds_read2st64_b64 v[30:33], v126 offset0:4 offset1:8
	global_load_ushort v152, v[22:23], off offset:288
	global_load_ushort v153, v[22:23], off offset:32
	;; [unrolled: 1-line block ×4, first 2 shown]
	s_waitcnt lgkmcnt(2)
	v_mfma_f32_16x16x16_bf16 a[8:11], v[34:35], v[26:27], a[8:11]
	global_load_ushort v156, v[22:23], off offset:320
	global_load_ushort v157, v[22:23], off offset:64
	;; [unrolled: 1-line block ×4, first 2 shown]
	s_and_b64 vcc, exec, s[0:1]
	s_waitcnt lgkmcnt(1)
	v_mfma_f32_16x16x16_bf16 a[12:15], v[34:35], v[18:19], a[12:15]
	ds_read_b64 v[18:19], v123 offset:6144
	s_waitcnt lgkmcnt(1)
	v_mfma_f32_16x16x16_bf16 a[0:3], v[34:35], v[30:31], a[0:3]
	v_lshl_add_u64 v[30:31], v[82:83], 0, s[24:25]
	v_lshl_add_u64 v[30:31], v[30:31], 0, v[78:79]
	v_mfma_f32_16x16x16_bf16 a[4:7], v[36:37], v[24:25], a[4:7]
	v_mfma_f32_16x16x16_bf16 a[8:11], v[36:37], v[28:29], a[8:11]
	;; [unrolled: 1-line block ×4, first 2 shown]
	global_load_ushort v36, v[22:23], off offset:352
	global_load_ushort v37, v[22:23], off offset:96
	ds_read_b64 v[20:21], v124 offset:6144
	ds_read_b64 v[24:25], v125 offset:6144
	;; [unrolled: 1-line block ×3, first 2 shown]
	s_load_dword s46, s[46:47], 0x0
	global_load_ushort v160, v[22:23], off offset:864
	global_load_ushort v161, v[22:23], off offset:608
	s_waitcnt lgkmcnt(0)
	v_mfma_f32_16x16x16_bf16 a[4:7], v[38:39], v[18:19], a[4:7]
	s_waitcnt vmcnt(17)
	v_sub_f32_e32 v28, s46, v42
	v_mfma_f32_16x16x16_bf16 a[0:3], v[38:39], v[26:27], a[0:3]
	v_sub_f32_e32 v26, s46, v40
	v_sub_f32_e32 v27, s46, v41
	s_waitcnt vmcnt(16)
	v_sub_f32_e32 v29, s46, v43
	v_mfma_f32_16x16x16_bf16 a[8:11], v[38:39], v[20:21], a[8:11]
	v_exp_f32_e32 v26, v26
	v_exp_f32_e32 v27, v27
	;; [unrolled: 1-line block ×4, first 2 shown]
	v_accvgpr_read_b32 v35, a5
	s_waitcnt vmcnt(15)
	v_lshlrev_b32_e32 v33, 16, v44
	s_waitcnt vmcnt(14)
	v_lshlrev_b32_e32 v32, 16, v149
	v_accvgpr_read_b32 v34, a4
	v_accvgpr_read_b32 v19, a7
	;; [unrolled: 1-line block ×3, first 2 shown]
	v_pk_add_f32 v[32:33], v[32:33], v[34:35] neg_lo:[0,1] neg_hi:[0,1]
	s_waitcnt vmcnt(13)
	v_lshlrev_b32_e32 v35, 16, v150
	s_waitcnt vmcnt(12)
	v_lshlrev_b32_e32 v34, 16, v151
	v_pk_add_f32 v[18:19], v[34:35], v[18:19] neg_lo:[0,1] neg_hi:[0,1]
	global_store_short_d16_hi v[30:31], v32, off
	global_store_short_d16_hi v[30:31], v33, off offset:256
	global_store_short_d16_hi v[30:31], v18, off offset:512
	;; [unrolled: 1-line block ×3, first 2 shown]
	v_pk_mul_f32 v[32:33], v[26:27], v[32:33]
	v_pk_mul_f32 v[18:19], v[28:29], v[18:19]
	v_accvgpr_read_b32 v35, a9
	v_perm_b32 v32, v33, v32, s41
	v_perm_b32 v33, v19, v18, s41
	s_waitcnt vmcnt(15)
	v_lshlrev_b32_e32 v19, 16, v152
	s_waitcnt vmcnt(14)
	v_lshlrev_b32_e32 v18, 16, v153
	v_accvgpr_read_b32 v34, a8
	v_accvgpr_read_b32 v21, a11
	v_mfma_f32_16x16x16_bf16 a[12:15], v[38:39], v[24:25], a[12:15]
	v_accvgpr_read_b32 v20, a10
	v_pk_add_f32 v[18:19], v[18:19], v[34:35] neg_lo:[0,1] neg_hi:[0,1]
	s_waitcnt vmcnt(13)
	v_lshlrev_b32_e32 v35, 16, v154
	s_waitcnt vmcnt(12)
	v_lshlrev_b32_e32 v34, 16, v155
	v_pk_add_f32 v[20:21], v[34:35], v[20:21] neg_lo:[0,1] neg_hi:[0,1]
	global_store_short_d16_hi v[30:31], v18, off offset:32
	global_store_short_d16_hi v[30:31], v19, off offset:288
	;; [unrolled: 1-line block ×4, first 2 shown]
	v_pk_mul_f32 v[18:19], v[26:27], v[18:19]
	v_pk_mul_f32 v[20:21], v[28:29], v[20:21]
	v_accvgpr_read_b32 v23, a15
	v_perm_b32 v21, v21, v20, s41
	v_perm_b32 v20, v19, v18, s41
	ds_write2_b64 v100, v[32:33], v[20:21] offset1:16
	v_accvgpr_read_b32 v21, a13
	s_waitcnt vmcnt(15)
	v_lshlrev_b32_e32 v19, 16, v156
	s_waitcnt vmcnt(14)
	v_lshlrev_b32_e32 v18, 16, v157
	v_accvgpr_read_b32 v20, a12
	v_accvgpr_read_b32 v22, a14
	v_pk_add_f32 v[18:19], v[18:19], v[20:21] neg_lo:[0,1] neg_hi:[0,1]
	s_waitcnt vmcnt(13)
	v_lshlrev_b32_e32 v21, 16, v158
	s_waitcnt vmcnt(12)
	v_lshlrev_b32_e32 v20, 16, v159
	v_pk_add_f32 v[20:21], v[20:21], v[22:23] neg_lo:[0,1] neg_hi:[0,1]
	global_store_short_d16_hi v[30:31], v18, off offset:64
	global_store_short_d16_hi v[30:31], v19, off offset:320
	;; [unrolled: 1-line block ×4, first 2 shown]
	v_pk_mul_f32 v[18:19], v[26:27], v[18:19]
	v_pk_mul_f32 v[20:21], v[28:29], v[20:21]
	v_accvgpr_read_b32 v23, a1
	v_perm_b32 v18, v19, v18, s41
	v_perm_b32 v19, v21, v20, s41
	s_waitcnt vmcnt(15)
	v_lshlrev_b32_e32 v21, 16, v36
	s_waitcnt vmcnt(14)
	v_lshlrev_b32_e32 v20, 16, v37
	v_accvgpr_read_b32 v22, a0
	v_accvgpr_read_b32 v25, a3
	;; [unrolled: 1-line block ×3, first 2 shown]
	v_pk_add_f32 v[20:21], v[20:21], v[22:23] neg_lo:[0,1] neg_hi:[0,1]
	s_waitcnt vmcnt(13)
	v_lshlrev_b32_e32 v23, 16, v160
	s_waitcnt vmcnt(12)
	v_lshlrev_b32_e32 v22, 16, v161
	v_pk_add_f32 v[22:23], v[22:23], v[24:25] neg_lo:[0,1] neg_hi:[0,1]
	global_store_short_d16_hi v[30:31], v20, off offset:96
	global_store_short_d16_hi v[30:31], v21, off offset:352
	;; [unrolled: 1-line block ×4, first 2 shown]
	v_pk_mul_f32 v[20:21], v[26:27], v[20:21]
	v_pk_mul_f32 v[22:23], v[28:29], v[22:23]
	v_mov_b32_e32 v149, 0
	v_perm_b32 v23, v23, v22, s41
	v_perm_b32 v22, v21, v20, s41
	ds_write2_b64 v100, v[18:19], v[22:23] offset0:32 offset1:48
	v_mov_b32_e32 v18, 0
	v_mov_b32_e32 v19, 0
	;; [unrolled: 1-line block ×16, first 2 shown]
	s_cbranch_vccnz .LBB13_15
; %bb.14:                               ;   in Loop: Header=BB13_7 Depth=1
	s_and_b32 s29, s29, 0xffff
	s_mov_b32 s31, s27
	buffer_load_dwordx4 v[30:33], v133, s[28:31], 0 offen
	buffer_load_dwordx4 v[22:25], v133, s[28:31], s61 offen
	;; [unrolled: 1-line block ×4, first 2 shown]
	v_mov_b32_e32 v148, v94
	v_mov_b32_e32 v149, v93
.LBB13_15:                              ;   in Loop: Header=BB13_7 Depth=1
	s_waitcnt lgkmcnt(0)
	s_barrier
	ds_read_b64 v[42:43], v138
	ds_read2_b64 v[34:37], v129 offset1:16
	ds_read_b64 v[166:167], v139
	ds_read_b64 v[168:169], v140
	;; [unrolled: 1-line block ×3, first 2 shown]
	ds_read2_b64 v[38:41], v129 offset0:32 offset1:48
	ds_read2st64_b64 v[150:153], v129 offset0:4 offset1:8
	ds_read2st64_b64 v[154:157], v130 offset0:4 offset1:8
	;; [unrolled: 1-line block ×4, first 2 shown]
	s_waitcnt lgkmcnt(8)
	v_mfma_f32_16x16x16_bf16 a[0:3], v[42:43], v[34:35], 0
	s_add_i32 s24, s55, s69
	s_mul_hi_i32 s25, s24, s13
	s_mul_i32 s24, s24, s13
	v_mfma_f32_16x16x16_bf16 a[4:7], v[42:43], v[36:37], 0
	s_add_u32 s24, s24, s33
	s_addc_u32 s25, s25, s59
	s_add_i32 s28, s3, s62
	s_waitcnt lgkmcnt(4)
	v_mfma_f32_16x16x16_bf16 a[8:11], v[42:43], v[38:39], 0
	s_lshl_b64 s[24:25], s[24:25], 15
	s_mul_hi_i32 s29, s28, s13
	s_mul_i32 s28, s28, s13
	v_mfma_f32_16x16x16_bf16 a[12:15], v[42:43], v[40:41], 0
	ds_read_b64 v[42:43], v129 offset:6144
	ds_read_b64 v[178:179], v130 offset:6144
	;; [unrolled: 1-line block ×4, first 2 shown]
	s_add_u32 s28, s28, s33
	s_waitcnt lgkmcnt(7)
	v_mfma_f32_16x16x16_bf16 a[0:3], v[166:167], v[150:151], a[0:3]
	s_addc_u32 s29, s29, s59
	s_lshl_b64 s[28:29], s[28:29], 9
	s_add_u32 s28, s36, s28
	s_waitcnt lgkmcnt(6)
	v_mfma_f32_16x16x16_bf16 a[4:7], v[166:167], v[154:155], a[4:7]
	s_addc_u32 s29, s37, s29
	v_lshl_add_u64 v[188:189], v[84:85], 0, s[24:25]
	s_waitcnt lgkmcnt(5)
	v_mfma_f32_16x16x16_bf16 a[8:11], v[166:167], v[158:159], a[8:11]
	s_waitcnt lgkmcnt(4)
	v_mfma_f32_16x16x16_bf16 a[12:15], v[166:167], v[162:163], a[12:15]
	ds_read_b64 v[166:167], v143
	ds_read_b64 v[176:177], v144
	;; [unrolled: 1-line block ×3, first 2 shown]
	s_waitcnt lgkmcnt(2)
	v_mfma_f32_16x16x16_bf16 a[16:19], v[166:167], v[34:35], 0
	v_mfma_f32_16x16x16_bf16 a[20:23], v[166:167], v[36:37], 0
	global_load_dwordx4 v[34:37], v142, s[28:29]
	v_mfma_f32_16x16x16_bf16 a[24:27], v[166:167], v[38:39], 0
	v_mfma_f32_16x16x16_bf16 a[28:31], v[166:167], v[40:41], 0
	global_load_dwordx4 v[38:41], v137, s[28:29]
	v_mfma_f32_16x16x16_bf16 a[0:3], v[168:169], v[152:153], a[0:3]
	v_mfma_f32_16x16x16_bf16 a[4:7], v[168:169], v[156:157], a[4:7]
	;; [unrolled: 1-line block ×8, first 2 shown]
	ds_read2st64_b64 v[166:169], v127 offset1:8
	ds_read2st64_b64 v[170:173], v128 offset1:8
	ds_read_b64 v[186:187], v135 offset:40960
	s_waitcnt lgkmcnt(2)
	v_mov_b32_e32 v174, v166
	v_mfma_f32_16x16x16_bf16 a[16:19], v[176:177], v[150:151], a[16:19]
	v_mov_b32_e32 v175, v167
	v_mfma_f32_16x16x16_bf16 a[20:23], v[176:177], v[154:155], a[20:23]
	v_mfma_f32_16x16x16_bf16 a[24:27], v[176:177], v[158:159], a[24:27]
	;; [unrolled: 1-line block ×3, first 2 shown]
	v_add_co_u32_e32 v162, vcc, s66, v188
	s_waitcnt lgkmcnt(1)
	v_mov_b32_e32 v176, v170
	s_waitcnt lgkmcnt(0)
	v_mfma_f32_16x16x16_bf16 a[16:19], v[186:187], v[152:153], a[16:19]
	ds_read2st64_b64 v[150:153], v127 offset0:16 offset1:24
	v_addc_co_u32_e32 v163, vcc, 0, v189, vcc
	v_mfma_f32_16x16x16_bf16 a[32:35], v[186:187], v[156:157], a[20:23]
	ds_read2st64_b64 v[154:157], v128 offset0:16 offset1:24
	v_mov_b32_e32 v177, v171
	v_mov_b32_e32 v170, v168
	v_mfma_f32_16x16x16_bf16 a[24:27], v[186:187], v[160:161], a[24:27]
	v_mov_b32_e32 v171, v169
	s_waitcnt lgkmcnt(0)
	v_mov_b32_e32 v160, v154
	v_mov_b32_e32 v161, v155
	v_mfma_f32_16x16x16_bf16 a[36:39], v[186:187], v[164:165], a[28:31]
	v_mov_b32_e32 v154, v152
	v_mov_b32_e32 v155, v153
	;; [unrolled: 1-line block ×3, first 2 shown]
	v_mfma_f32_16x16x16_bf16 a[20:23], v[184:185], v[42:43], a[16:19]
	v_add_co_u32_e32 v42, vcc, s67, v188
	v_mov_b32_e32 v159, v151
	v_mfma_f32_16x16x16_bf16 a[28:31], v[184:185], v[178:179], a[32:35]
	v_addc_co_u32_e32 v43, vcc, 0, v189, vcc
	global_store_dwordx4 v[42:43], v[154:157], off
	v_mfma_f32_16x16x16_bf16 a[16:19], v[184:185], v[180:181], a[24:27]
	s_waitcnt vmcnt(2)
	v_mov_b32_e32 v44, v37
	v_mov_b32_e32 v43, v36
	;; [unrolled: 1-line block ×3, first 2 shown]
	v_mfma_f32_16x16x16_bf16 a[24:27], v[184:185], v[182:183], a[36:39]
	s_and_b64 vcc, exec, s[0:1]
	global_store_dwordx4 v[188:189], v[174:177], off
	global_store_dwordx4 v[162:163], v[170:173], off offset:-4096
	global_store_dwordx4 v[162:163], v[158:161], off
	s_cbranch_vccnz .LBB13_6
; %bb.16:                               ;   in Loop: Header=BB13_7 Depth=1
	v_lshrrev_b32_e32 v35, 3, v148
	v_and_b32_e32 v35, 6, v35
	v_xor_b32_e32 v36, v35, v149
	v_lshlrev_b32_e32 v36, 2, v36
	v_and_b32_e32 v37, 8, v148
	v_xor_b32_e32 v148, 0x440, v36
	v_cmp_eq_u32_e32 vcc, 0, v37
	v_perm_b32 v37, v22, v18, s63
	s_nop 0
	v_cndmask_b32_e32 v36, v148, v36, vcc
	v_lshl_or_b32 v35, v35, 10, v36
	v_perm_b32 v36, v30, v26, s63
	s_barrier
	ds_write2st64_b32 v35, v36, v37 offset0:128 offset1:160
	v_xor_b32_e32 v36, 8, v35
	v_perm_b32 v26, v30, v26, s64
	v_perm_b32 v18, v22, v18, s64
	v_add_u32_e32 v22, 0x80, v36
	ds_write2st64_b32 v22, v26, v18 offset0:128 offset1:160
	v_xor_b32_e32 v18, 16, v35
	v_perm_b32 v22, v31, v27, s63
	v_perm_b32 v26, v23, v19, s63
	ds_write2st64_b32 v18, v22, v26 offset0:129 offset1:161
	v_xor_b32_e32 v18, 24, v35
	v_perm_b32 v22, v31, v27, s64
	v_perm_b32 v19, v23, v19, s64
	v_add_u32_e32 v18, 0x80, v18
	ds_write2st64_b32 v18, v22, v19 offset0:129 offset1:161
	v_xor_b32_e32 v18, 32, v35
	v_perm_b32 v19, v32, v28, s63
	v_perm_b32 v22, v24, v20, s63
	;; [unrolled: 9-line block ×3, first 2 shown]
	ds_write2st64_b32 v18, v19, v20 offset0:131 offset1:163
	v_xor_b32_e32 v18, 56, v35
	v_perm_b32 v19, v33, v29, s64
	v_perm_b32 v20, v25, v21, s64
	v_add_u32_e32 v18, 0x80, v18
	ds_write2st64_b32 v18, v19, v20 offset0:131 offset1:163
	ds_write_b64 v147, v[14:15] offset:49152
	v_xor_b32_e32 v14, 8, v147
	ds_write_b64 v14, v[16:17] offset:49152
	ds_write_b64 v147, v[10:11] offset:57344
	;; [unrolled: 1-line block ×4, first 2 shown]
	v_xor_b32_e32 v6, 8, v146
	ds_write_b64 v6, v[8:9] offset:49152
	ds_write_b64 v146, v[2:3] offset:57344
	;; [unrolled: 1-line block ×3, first 2 shown]
	s_branch .LBB13_6
.LBB13_17:
	s_lshl_b32 s46, s53, 6
	s_sub_i32 s47, s12, s46
	s_cmp_gt_i32 s47, 0
	v_or_b32_e32 v18, s2, v89
	s_cbranch_scc1 .LBB13_19
; %bb.18:
	s_ashr_i32 s0, s33, 31
	s_add_u32 s28, s50, s33
	s_addc_u32 s29, s56, s0
	v_or_b32_e32 v2, s2, v89
	s_cbranch_execz .LBB13_20
	s_branch .LBB13_100
.LBB13_19:
                                        ; implicit-def: $sgpr28_sgpr29
                                        ; implicit-def: $vgpr2
.LBB13_20:
	s_ashr_i32 s41, s52, 31
	s_ashr_i32 s3, s46, 31
	s_cmpk_lg_i32 s15, 0x80
	s_cselect_b64 s[42:43], -1, 0
	s_and_b64 vcc, exec, s[42:43]
	s_cbranch_vccz .LBB13_22
; %bb.21:
	s_mul_hi_i32 s0, s52, s12
	s_add_u32 s1, s48, s46
	s_addc_u32 s0, s0, s3
	s_mul_i32 s24, s1, s54
	s_mul_hi_u32 s25, s1, s14
	s_add_i32 s24, s25, s24
	s_mul_i32 s0, s0, s14
	s_add_i32 s24, s24, s0
	s_mul_i32 s1, s1, s14
	s_ashr_i32 s0, s57, 31
	s_add_u32 s44, s1, s57
	s_addc_u32 s45, s24, s0
	s_cbranch_execz .LBB13_23
	s_branch .LBB13_24
.LBB13_22:
                                        ; implicit-def: $sgpr44_sgpr45
.LBB13_23:
	s_mul_hi_i32 s0, s52, s14
	s_mul_i32 s52, s52, s14
	s_ashr_i32 s1, s57, 31
	s_add_u32 s14, s52, s57
	s_addc_u32 s0, s0, s1
	s_mul_i32 s1, s14, s51
	s_mul_hi_u32 s24, s14, s12
	s_add_i32 s1, s24, s1
	s_mul_i32 s0, s0, s12
	s_add_i32 s1, s1, s0
	s_mul_i32 s14, s14, s12
	s_add_u32 s44, s14, s46
	s_addc_u32 s45, s1, s3
.LBB13_24:
	s_add_i32 s24, s55, s53
	s_ashr_i32 s14, s33, 31
	s_add_u32 s28, s50, s33
	s_addc_u32 s29, s56, s14
	s_mul_i32 s0, s28, s51
	s_mul_hi_u32 s1, s28, s12
	s_add_i32 s0, s1, s0
	s_mul_i32 s1, s29, s12
	s_add_i32 s1, s0, s1
	s_mul_i32 s0, s28, s12
	s_add_u32 s0, s0, s46
	v_lshlrev_b32_e32 v6, 6, v1
	v_lshlrev_b32_e32 v27, 2, v89
	s_addc_u32 s1, s1, s3
	s_mov_b32 s3, 0x7060302
	v_or_b32_e32 v9, v6, v27
	v_xor_b32_e32 v7, v1, v27
	v_perm_b32 v3, v77, v76, s3
	v_perm_b32 v2, v75, v74, s3
	;; [unrolled: 1-line block ×4, first 2 shown]
	v_lshlrev_b32_e32 v9, 1, v9
	v_xor_b32_e32 v8, v92, v27
	ds_write2st64_b64 v9, v[2:3], v[4:5] offset0:32 offset1:48
	v_lshlrev_b32_e32 v7, 1, v7
	v_lshlrev_b32_e32 v9, 8, v89
	v_or_b32_e32 v10, v7, v9
	v_lshlrev_b32_e32 v8, 1, v8
	ds_write_b64 v10, v[2:3]
	v_or_b32_e32 v2, v8, v9
	v_or_b32_e32 v9, 16, v89
	v_lshlrev_b32_e32 v25, 2, v9
	v_or_b32_e32 v10, v6, v25
	ds_write_b64 v2, v[4:5]
	v_perm_b32 v3, v69, v68, s3
	v_perm_b32 v2, v67, v66, s3
	;; [unrolled: 1-line block ×4, first 2 shown]
	v_lshlrev_b32_e32 v10, 1, v10
	v_lshlrev_b32_e32 v9, 8, v9
	ds_write2st64_b64 v10, v[2:3], v[4:5] offset0:32 offset1:48
	v_or_b32_e32 v10, v7, v9
	ds_write_b64 v10, v[2:3]
	v_or_b32_e32 v2, v8, v9
	v_or_b32_e32 v9, 32, v89
	v_lshlrev_b32_e32 v24, 2, v9
	v_or_b32_e32 v10, v6, v24
	ds_write_b64 v2, v[4:5]
	v_perm_b32 v3, v61, v60, s3
	v_perm_b32 v2, v59, v58, s3
	;; [unrolled: 1-line block ×4, first 2 shown]
	v_lshlrev_b32_e32 v10, 1, v10
	v_lshlrev_b32_e32 v9, 8, v9
	s_lshl_b64 s[30:31], s[0:1], 8
	ds_write2st64_b64 v10, v[2:3], v[4:5] offset0:32 offset1:48
	v_or_b32_e32 v10, v7, v9
	s_add_u32 s0, s6, s30
	ds_write_b64 v10, v[2:3]
	v_or_b32_e32 v2, v8, v9
	s_addc_u32 s1, s7, s31
	ds_write_b64 v2, v[4:5]
	v_perm_b32 v3, v53, v52, s3
	v_perm_b32 v2, v51, v50, s3
	;; [unrolled: 1-line block ×4, first 2 shown]
	v_or_b32_e32 v9, 48, v89
	s_mul_hi_i32 s3, s24, s13
	s_mul_i32 s24, s24, s13
	v_lshlrev_b32_e32 v21, 2, v9
	s_add_u32 s6, s24, s33
	v_or_b32_e32 v6, v6, v21
	s_addc_u32 s7, s3, s14
	v_lshlrev_b32_e32 v6, 1, v6
	s_ashr_i32 s3, s2, 31
	s_lshl_b64 s[6:7], s[6:7], 15
	ds_write2st64_b64 v6, v[2:3], v[4:5] offset0:32 offset1:48
	v_lshlrev_b32_e32 v6, 8, v9
	s_add_u32 s6, s16, s6
	v_or_b32_e32 v7, v7, v6
	s_addc_u32 s7, s17, s7
	s_lshl_b64 s[2:3], s[2:3], 8
	ds_write_b64 v7, v[2:3]
	v_or_b32_e32 v2, v8, v6
	s_add_u32 s2, s6, s2
	v_lshlrev_b32_e32 v3, 1, v89
	ds_write_b64 v2, v[4:5]
	v_lshrrev_b32_e32 v2, 4, v0
	s_addc_u32 s3, s7, s3
	v_or_b32_e32 v4, 1, v3
	v_lshlrev_b32_e32 v10, 4, v89
	v_mov_b32_e32 v11, 0
	v_xor_b32_e32 v3, v2, v3
	v_xor_b32_e32 v6, v4, v2
	v_lshl_add_u64 v[12:13], s[2:3], 0, v[10:11]
	v_lshlrev_b32_e32 v10, 8, v2
	v_lshl_or_b32 v16, v3, 3, v10
	v_lshl_or_b32 v17, v6, 3, v10
	s_waitcnt lgkmcnt(0)
	s_barrier
	ds_read2st64_b64 v[2:5], v16 offset1:8
	ds_read2st64_b64 v[6:9], v17 offset1:8
	v_lshl_add_u64 v[14:15], v[12:13], 0, v[10:11]
	s_movk_i32 s2, 0x2000
	s_cmp_lg_u32 s47, 64
	s_waitcnt lgkmcnt(1)
	v_mov_b32_e32 v10, v2
	v_mov_b32_e32 v11, v3
	s_waitcnt lgkmcnt(0)
	v_mov_b32_e32 v12, v6
	v_mov_b32_e32 v13, v7
	global_store_dwordx4 v[14:15], v[10:13], off
	v_mov_b32_e32 v6, v4
	v_mov_b32_e32 v7, v5
	ds_read2st64_b64 v[2:5], v16 offset0:16 offset1:24
	ds_read2st64_b64 v[10:13], v17 offset0:16 offset1:24
	v_add_co_u32_e32 v16, vcc, s2, v14
	s_cselect_b64 s[6:7], -1, 0
	s_nop 0
	v_addc_co_u32_e32 v17, vcc, 0, v15, vcc
	global_store_dwordx4 v[16:17], v[6:9], off offset:-4096
	v_lshl_or_b32 v19, v45, 3, v91
	s_mov_b32 s24, 0
	s_waitcnt lgkmcnt(1)
	v_mov_b32_e32 v6, v2
	v_add_co_u32_e32 v2, vcc, 0x3000, v14
	v_mov_b32_e32 v7, v3
	s_nop 0
	v_addc_co_u32_e32 v3, vcc, 0, v15, vcc
	s_waitcnt lgkmcnt(0)
	v_mov_b32_e32 v8, v10
	v_mov_b32_e32 v9, v11
	;; [unrolled: 1-line block ×4, first 2 shown]
	v_or_b32_e32 v22, 32, v19
	v_and_b32_e32 v20, 56, v90
	s_and_b64 vcc, exec, s[6:7]
	global_store_dwordx4 v[16:17], v[6:9], off
	global_store_dwordx4 v[2:3], v[10:13], off
	s_cbranch_vccz .LBB13_30
; %bb.25:
	s_mov_b32 s25, s24
	s_mov_b32 s26, s24
	s_mov_b32 s27, s24
	v_mov_b64_e32 v[6:7], s[24:25]
	v_mov_b64_e32 v[8:9], s[26:27]
	;; [unrolled: 1-line block ×3, first 2 shown]
	v_cmp_gt_i32_e32 vcc, s47, v19
	v_mov_b64_e32 v[4:5], v[8:9]
	s_and_saveexec_b64 s[2:3], vcc
	s_cbranch_execz .LBB13_27
; %bb.26:
	v_lshlrev_b32_e32 v2, 8, v19
	v_mov_b32_e32 v3, 0
	v_lshl_add_u64 v[4:5], s[0:1], 0, v[2:3]
	v_lshlrev_b32_e32 v2, 1, v20
	v_lshl_add_u64 v[10:11], v[4:5], 0, v[2:3]
	global_load_dwordx4 v[6:9], v[10:11], off
	global_load_dwordx4 v[2:5], v[10:11], off offset:128
.LBB13_27:
	s_or_b64 exec, exec, s[2:3]
	s_mov_b32 s25, s24
	s_mov_b32 s26, s24
	;; [unrolled: 1-line block ×3, first 2 shown]
	v_mov_b64_e32 v[14:15], s[24:25]
	v_mov_b64_e32 v[16:17], s[26:27]
	;; [unrolled: 1-line block ×3, first 2 shown]
	v_cmp_gt_i32_e32 vcc, s47, v22
	v_lshlrev_b32_e32 v23, 7, v22
	v_mov_b64_e32 v[12:13], v[16:17]
	s_and_saveexec_b64 s[2:3], vcc
	s_cbranch_execz .LBB13_29
; %bb.28:
	v_lshlrev_b32_e32 v10, 1, v23
	v_mov_b32_e32 v11, 0
	v_lshl_add_u64 v[12:13], s[0:1], 0, v[10:11]
	v_lshlrev_b32_e32 v10, 1, v20
	v_lshl_add_u64 v[28:29], v[12:13], 0, v[10:11]
	global_load_dwordx4 v[14:17], v[28:29], off
	global_load_dwordx4 v[10:13], v[28:29], off offset:128
.LBB13_29:
	s_or_b64 exec, exec, s[2:3]
	v_lshrrev_b32_e32 v26, 3, v20
	v_lshlrev_b32_e32 v28, 3, v19
	v_or_b32_e32 v26, v28, v26
	v_lshlrev_b32_e32 v26, 4, v26
	v_and_b32_e32 v28, 0x78, v28
	v_xor_b32_e32 v26, v26, v28
	s_branch .LBB13_32
.LBB13_30:
                                        ; implicit-def: $vgpr26
                                        ; implicit-def: $vgpr23
                                        ; implicit-def: $vgpr6_vgpr7_vgpr8_vgpr9
                                        ; implicit-def: $vgpr2_vgpr3_vgpr4_vgpr5
                                        ; implicit-def: $vgpr14_vgpr15_vgpr16_vgpr17
                                        ; implicit-def: $vgpr10_vgpr11_vgpr12_vgpr13
	s_cbranch_execz .LBB13_32
; %bb.31:
	s_waitcnt vmcnt(0)
	v_lshlrev_b32_e32 v2, 1, v20
	v_lshl_or_b32 v23, v19, 8, v2
	s_and_b32 s1, s1, 0xffff
	s_mov_b32 s3, 0x20000
	s_movk_i32 s2, 0x4000
	v_lshl_or_b32 v26, v22, 8, v2
	s_movk_i32 s16, 0x80
	buffer_load_dwordx4 v[6:9], v23, s[0:3], 0 offen
	buffer_load_dwordx4 v[2:5], v23, s[0:3], s16 offen
	;; [unrolled: 1-line block ×4, first 2 shown]
	v_lshrrev_b32_e32 v23, 3, v20
	v_lshlrev_b32_e32 v26, 3, v19
	v_or_b32_e32 v23, v26, v23
	v_lshlrev_b32_e32 v23, 4, v23
	v_and_b32_e32 v26, 0x78, v26
	v_xor_b32_e32 v26, v23, v26
	v_lshlrev_b32_e32 v23, 7, v22
.LBB13_32:
	s_movk_i32 s0, 0x1000
	v_and_or_b32 v22, v23, s0, v26
	s_waitcnt vmcnt(1)
	ds_write_b64 v26, v[6:7] offset:49152
	v_xor_b32_e32 v6, 8, v26
	ds_write_b64 v6, v[8:9] offset:49152
	s_waitcnt vmcnt(0)
	ds_write_b64 v26, v[2:3] offset:57344
	ds_write_b64 v6, v[4:5] offset:57344
	;; [unrolled: 1-line block ×3, first 2 shown]
	v_xor_b32_e32 v2, 8, v22
	ds_write_b64 v2, v[16:17] offset:49152
	ds_write_b64 v22, v[10:11] offset:57344
	;; [unrolled: 1-line block ×3, first 2 shown]
	v_or_b32_e32 v2, v86, v89
	v_lshlrev_b32_e32 v2, 3, v2
	v_lshrrev_b32_e32 v3, 5, v87
	s_movk_i32 s0, 0xf8
	v_and_or_b32 v3, v2, s0, v3
	v_lshlrev_b32_e32 v7, 4, v3
	v_lshlrev_b32_e32 v26, 11, v45
	v_and_b32_e32 v8, 0x78, v2
	v_or_b32_e32 v10, 32, v7
	v_and_b32_e32 v6, 0x1000, v26
	v_lshrrev_b32_e32 v3, 1, v87
	v_xor_b32_e32 v10, v10, v8
	v_xor_b32_e32 v2, v7, v8
	v_and_b32_e32 v9, 8, v3
	v_or_b32_e32 v10, v10, v6
	v_or_b32_e32 v2, v2, v6
	v_xor_b32_e32 v33, v10, v9
	v_or_b32_e32 v10, 64, v7
	v_xor_b32_e32 v32, v2, v9
	v_xor_b32_e32 v10, v10, v8
	s_waitcnt lgkmcnt(0)
	s_barrier
	v_or_b32_e32 v13, v10, v6
	ds_read_b64 v[10:11], v32 offset:49152
	v_lshl_or_b32 v14, v88, 8, v27
	v_lshlrev_b32_e32 v28, 1, v14
	v_add_u32_e32 v12, 0x4000, v28
	ds_read2_b64 v[2:5], v12 offset1:16
	v_or_b32_e32 v7, 0x60, v7
	v_xor_b32_e32 v7, v7, v8
	v_or_b32_e32 v6, v7, v6
	v_xor_b32_e32 v34, v13, v9
	v_xor_b32_e32 v35, v6, v9
	ds_read_b64 v[22:23], v33 offset:49152
	ds_read_b64 v[36:37], v34 offset:49152
	;; [unrolled: 1-line block ×3, first 2 shown]
	s_waitcnt lgkmcnt(3)
	v_mfma_f32_16x16x16_bf16 a[0:3], v[10:11], v[2:3], 0
	ds_read2_b64 v[6:9], v12 offset0:32 offset1:48
	s_lshl_b64 s[0:1], s[44:45], 8
	s_add_u32 s4, s4, s0
	v_mfma_f32_16x16x16_bf16 a[4:7], v[10:11], v[4:5], 0
	ds_read2st64_b64 v[2:5], v28 offset0:36 offset1:40
	s_addc_u32 s5, s5, s1
	s_add_i32 s16, s12, -1
	s_waitcnt lgkmcnt(1)
	v_mfma_f32_16x16x16_bf16 a[8:11], v[10:11], v[6:7], 0
	v_or_b32_e32 v6, 64, v14
	v_lshlrev_b32_e32 v29, 1, v6
	s_add_i32 s0, s49, s21
	s_waitcnt lgkmcnt(0)
	v_mfma_f32_16x16x16_bf16 a[0:3], v[22:23], v[2:3], a[0:3]
	v_or_b32_e32 v2, 0x80, v14
	v_lshlrev_b32_e32 v30, 1, v2
	v_or_b32_e32 v2, 0xc0, v14
	v_mfma_f32_16x16x16_bf16 a[12:15], v[10:11], v[8:9], 0
	ds_read2st64_b64 v[6:9], v29 offset0:36 offset1:40
	v_lshlrev_b32_e32 v31, 1, v2
	ds_read2st64_b64 v[10:13], v30 offset0:36 offset1:40
	ds_read2st64_b64 v[14:17], v31 offset0:36 offset1:40
	s_mul_i32 s41, s41, s20
	s_add_i32 s41, s0, s41
	s_mul_i32 s0, s33, s23
	s_mul_hi_u32 s1, s33, s22
	s_ashr_i32 s2, s16, 31
	s_mul_i32 s3, s16, s39
	s_mul_hi_u32 s12, s16, s38
	s_waitcnt lgkmcnt(2)
	v_mfma_f32_16x16x16_bf16 a[4:7], v[22:23], v[6:7], a[4:7]
	s_add_i32 s0, s1, s0
	s_mul_i32 s1, s14, s22
	s_add_i32 s3, s12, s3
	s_mul_i32 s2, s2, s38
	s_waitcnt lgkmcnt(1)
	v_mfma_f32_16x16x16_bf16 a[8:11], v[22:23], v[10:11], a[8:11]
	s_add_i32 s1, s0, s1
	s_add_i32 s3, s3, s2
	s_lshl_b64 s[20:21], s[40:41], 2
	s_waitcnt lgkmcnt(0)
	v_mfma_f32_16x16x16_bf16 a[12:15], v[22:23], v[14:15], a[12:15]
	s_mul_i32 s0, s33, s22
	s_add_u32 s10, s10, s20
	s_addc_u32 s11, s11, s21
	s_lshl_b64 s[0:1], s[0:1], 2
	v_mfma_f32_16x16x16_bf16 a[0:3], v[36:37], v[4:5], a[0:3]
	s_mul_i32 s2, s16, s38
	ds_read_b64 v[2:3], v28 offset:22528
	s_add_u32 s10, s10, s0
	v_mfma_f32_16x16x16_bf16 a[4:7], v[36:37], v[8:9], a[4:7]
	ds_read_b64 v[4:5], v29 offset:22528
	ds_read_b64 v[6:7], v30 offset:22528
	;; [unrolled: 1-line block ×3, first 2 shown]
	s_addc_u32 s11, s11, s1
	s_lshl_b64 s[0:1], s[2:3], 2
	v_mfma_f32_16x16x16_bf16 a[8:11], v[36:37], v[12:13], a[8:11]
	s_add_u32 s0, s10, s0
	s_addc_u32 s1, s11, s1
	s_load_dword s12, s[0:1], 0x0
	v_mfma_f32_16x16x16_bf16 a[12:15], v[36:37], v[16:17], a[12:15]
	s_and_b64 vcc, exec, s[42:43]
	s_waitcnt lgkmcnt(0)
	v_mfma_f32_16x16x16_bf16 a[0:3], v[38:39], v[2:3], a[0:3]
	v_mfma_f32_16x16x16_bf16 a[4:7], v[38:39], v[4:5], a[4:7]
	;; [unrolled: 1-line block ×4, first 2 shown]
	s_cbranch_vccz .LBB13_43
; %bb.33:
	v_lshlrev_b32_e32 v22, 1, v19
	s_and_b64 vcc, exec, s[6:7]
	s_cbranch_vccz .LBB13_44
; %bb.34:
	v_cmp_gt_i32_e32 vcc, s47, v22
	v_mov_b32_e32 v6, 0
	v_mov_b32_e32 v2, 0
	;; [unrolled: 1-line block ×5, first 2 shown]
	s_and_saveexec_b64 s[0:1], vcc
	s_cbranch_execz .LBB13_36
; %bb.35:
	v_mad_i64_i32 v[2:3], s[2:3], s15, v22, 0
	v_lshl_add_u64 v[2:3], v[2:3], 1, s[4:5]
	v_lshlrev_b32_e32 v4, 1, v20
	v_mov_b32_e32 v5, 0
	v_lshl_add_u64 v[2:3], v[2:3], 0, v[4:5]
	global_load_dwordx4 v[2:5], v[2:3], off
.LBB13_36:
	s_or_b64 exec, exec, s[0:1]
	v_or_b32_e32 v23, 1, v22
	v_cmp_gt_i32_e64 s[0:1], s47, v23
	v_mov_b32_e32 v7, 0
	v_mov_b32_e32 v8, 0
	;; [unrolled: 1-line block ×3, first 2 shown]
	s_and_saveexec_b64 s[2:3], s[0:1]
	s_cbranch_execz .LBB13_38
; %bb.37:
	v_mad_i64_i32 v[6:7], s[20:21], s15, v23, 0
	v_lshl_add_u64 v[6:7], v[6:7], 1, s[4:5]
	v_lshlrev_b32_e32 v8, 1, v20
	v_mov_b32_e32 v9, 0
	v_lshl_add_u64 v[6:7], v[6:7], 0, v[8:9]
	global_load_dwordx4 v[6:9], v[6:7], off
.LBB13_38:
	s_or_b64 exec, exec, s[2:3]
	v_mov_b32_e32 v17, 0
	v_mov_b32_e32 v10, 0
	;; [unrolled: 1-line block ×5, first 2 shown]
	s_and_saveexec_b64 s[2:3], vcc
	s_cbranch_execz .LBB13_40
; %bb.39:
	v_mad_i64_i32 v[10:11], s[20:21], s15, v22, 0
	v_lshl_add_u64 v[10:11], v[10:11], 1, s[4:5]
	v_lshlrev_b32_e32 v12, 1, v20
	v_mov_b32_e32 v13, 0
	v_lshl_add_u64 v[10:11], v[10:11], 0, v[12:13]
	global_load_dwordx4 v[10:13], v[10:11], off offset:128
.LBB13_40:
	s_or_b64 exec, exec, s[2:3]
	v_mov_b32_e32 v16, 0
	v_mov_b32_e32 v15, 0
	;; [unrolled: 1-line block ×3, first 2 shown]
	s_and_saveexec_b64 s[2:3], s[0:1]
	s_cbranch_execz .LBB13_42
; %bb.41:
	v_mad_i64_i32 v[14:15], s[0:1], s15, v23, 0
	v_lshl_add_u64 v[14:15], v[14:15], 1, s[4:5]
	v_lshlrev_b32_e32 v16, 1, v20
	v_mov_b32_e32 v17, 0
	v_lshl_add_u64 v[14:15], v[14:15], 0, v[16:17]
	global_load_dwordx4 v[14:17], v[14:15], off offset:128
.LBB13_42:
	s_or_b64 exec, exec, s[2:3]
	s_branch .LBB13_46
.LBB13_43:
                                        ; implicit-def: $vgpr5
                                        ; implicit-def: $vgpr9
                                        ; implicit-def: $vgpr13
                                        ; implicit-def: $vgpr17
	v_lshrrev_b32_e32 v36, 2, v87
	s_branch .LBB13_47
.LBB13_44:
                                        ; implicit-def: $vgpr5
                                        ; implicit-def: $vgpr9
                                        ; implicit-def: $vgpr13
                                        ; implicit-def: $vgpr17
	s_cbranch_execz .LBB13_46
; %bb.45:
	s_waitcnt vmcnt(0)
	v_mad_u64_u32 v[2:3], s[0:1], v22, s15, v[20:21]
	v_lshlrev_b32_e32 v22, 1, v2
	s_lshl_b32 s2, s15, 7
	s_and_b32 s1, s5, 0xffff
	s_mov_b32 s3, 0x20000
	s_mov_b32 s0, s4
	v_add_lshl_u32 v23, v2, s15, 1
	s_movk_i32 s15, 0x80
	buffer_load_dwordx4 v[2:5], v22, s[0:3], 0 offen
	buffer_load_dwordx4 v[10:13], v22, s[0:3], s15 offen
	;; [unrolled: 1-line block ×4, first 2 shown]
.LBB13_46:
	v_lshrrev_b32_e32 v36, 2, v87
	s_cbranch_execnz .LBB13_59
.LBB13_47:
	s_and_b64 vcc, exec, s[6:7]
	s_cbranch_vccz .LBB13_57
; %bb.48:
	s_waitcnt vmcnt(0)
	v_lshlrev_b32_e32 v7, 1, v19
	v_cmp_gt_i32_e32 vcc, s47, v7
	v_mov_b32_e32 v6, 0
	v_lshlrev_b32_e32 v14, 9, v19
	v_mov_b32_e32 v2, 0
	v_mov_b32_e32 v3, 0
	;; [unrolled: 1-line block ×4, first 2 shown]
	s_and_saveexec_b64 s[0:1], vcc
	s_cbranch_execz .LBB13_50
; %bb.49:
	v_mov_b32_e32 v15, 0
	v_lshl_add_u64 v[2:3], s[4:5], 0, v[14:15]
	v_lshlrev_b32_e32 v4, 1, v20
	v_mov_b32_e32 v5, v15
	v_lshl_add_u64 v[2:3], v[2:3], 0, v[4:5]
	global_load_dwordx4 v[2:5], v[2:3], off
.LBB13_50:
	s_or_b64 exec, exec, s[0:1]
	v_or_b32_e32 v7, 1, v7
	v_cmp_gt_i32_e64 s[0:1], s47, v7
	v_lshlrev_b32_e32 v22, 8, v7
	v_mov_b32_e32 v7, 0
	v_mov_b32_e32 v8, 0
	;; [unrolled: 1-line block ×3, first 2 shown]
	s_and_saveexec_b64 s[2:3], s[0:1]
	s_cbranch_execz .LBB13_52
; %bb.51:
	v_mov_b32_e32 v23, 0
	v_lshl_add_u64 v[6:7], s[4:5], 0, v[22:23]
	v_lshlrev_b32_e32 v8, 1, v20
	v_mov_b32_e32 v9, v23
	v_lshl_add_u64 v[6:7], v[6:7], 0, v[8:9]
	global_load_dwordx4 v[6:9], v[6:7], off
.LBB13_52:
	s_or_b64 exec, exec, s[2:3]
	v_mov_b32_e32 v17, 0
	v_mov_b32_e32 v10, 0
	;; [unrolled: 1-line block ×5, first 2 shown]
	s_and_saveexec_b64 s[2:3], vcc
	s_cbranch_execz .LBB13_54
; %bb.53:
	v_mov_b32_e32 v15, 0
	v_lshl_add_u64 v[10:11], s[4:5], 0, v[14:15]
	v_lshlrev_b32_e32 v14, 1, v20
	v_lshl_add_u64 v[10:11], v[10:11], 0, v[14:15]
	global_load_dwordx4 v[10:13], v[10:11], off offset:128
.LBB13_54:
	s_or_b64 exec, exec, s[2:3]
	v_mov_b32_e32 v16, 0
	v_mov_b32_e32 v15, 0
	;; [unrolled: 1-line block ×3, first 2 shown]
	s_and_saveexec_b64 s[2:3], s[0:1]
	s_cbranch_execz .LBB13_56
; %bb.55:
	v_mov_b32_e32 v23, 0
	v_lshl_add_u64 v[14:15], s[4:5], 0, v[22:23]
	v_lshlrev_b32_e32 v22, 1, v20
	v_lshl_add_u64 v[14:15], v[14:15], 0, v[22:23]
	global_load_dwordx4 v[14:17], v[14:15], off offset:128
.LBB13_56:
	s_or_b64 exec, exec, s[2:3]
	s_branch .LBB13_59
.LBB13_57:
                                        ; implicit-def: $vgpr5
                                        ; implicit-def: $vgpr9
                                        ; implicit-def: $vgpr13
                                        ; implicit-def: $vgpr17
	s_cbranch_execz .LBB13_59
; %bb.58:
	s_waitcnt vmcnt(0)
	v_lshlrev_b32_e32 v2, 1, v20
	v_lshl_or_b32 v20, v19, 9, v2
	s_and_b32 s5, s5, 0xffff
	s_mov_b32 s7, 0x20000
	s_movk_i32 s6, 0x4000
	s_movk_i32 s0, 0x80
	buffer_load_dwordx4 v[2:5], v20, s[4:7], 0 offen
	buffer_load_dwordx4 v[6:9], v20, s[4:7], 0 offen offset:256
	buffer_load_dwordx4 v[10:13], v20, s[4:7], s0 offen
	buffer_load_dwordx4 v[14:17], v20, s[4:7], s0 offen offset:256
.LBB13_59:
	ds_read_b64 v[22:23], v32 offset:57344
	v_add_u32_e32 v20, 0x6000, v28
	ds_read2_b64 v[38:41], v20 offset1:16
	ds_read_b64 v[82:83], v33 offset:57344
	ds_read_b64 v[84:85], v34 offset:57344
	;; [unrolled: 1-line block ×3, first 2 shown]
	ds_read2_b64 v[32:35], v20 offset0:32 offset1:48
	v_and_b32_e32 v20, 12, v36
	v_and_b32_e32 v44, 6, v0
	v_xor_b32_e32 v19, v19, v44
	v_lshlrev_b32_e32 v19, 2, v19
	s_mov_b32 s0, 0x1000504
	s_waitcnt lgkmcnt(4)
	v_mfma_f32_16x16x16_bf16 a[4:7], v[22:23], v[40:41], a[4:7]
	s_mov_b32 s1, 0x3020706
	v_mfma_f32_16x16x16_bf16 a[0:3], v[22:23], v[38:39], a[0:3]
	ds_read2st64_b64 v[36:39], v28 offset0:52 offset1:56
	s_waitcnt lgkmcnt(1)
	v_mfma_f32_16x16x16_bf16 a[8:11], v[22:23], v[32:33], a[8:11]
	v_mfma_f32_16x16x16_bf16 a[12:15], v[22:23], v[34:35], a[12:15]
	ds_read2st64_b64 v[32:35], v29 offset0:52 offset1:56
	ds_read2st64_b64 v[40:43], v30 offset0:52 offset1:56
	;; [unrolled: 1-line block ×3, first 2 shown]
	s_waitcnt lgkmcnt(2)
	v_mfma_f32_16x16x16_bf16 a[4:7], v[82:83], v[32:33], a[4:7]
	v_and_b32_e32 v32, 1, v0
	v_xor_b32_e32 v33, 0x440, v19
	v_cmp_eq_u32_e32 vcc, 0, v32
	v_mfma_f32_16x16x16_bf16 a[0:3], v[82:83], v[36:37], a[0:3]
	s_waitcnt vmcnt(0)
	v_perm_b32 v32, v2, v6, s0
	v_cndmask_b32_e32 v19, v33, v19, vcc
	v_lshl_or_b32 v19, v44, 10, v19
	s_waitcnt lgkmcnt(1)
	v_mfma_f32_16x16x16_bf16 a[8:11], v[82:83], v[40:41], a[8:11]
	v_perm_b32 v33, v10, v14, s0
	ds_read_b64 v[22:23], v28 offset:30720
	ds_read_b64 v[36:37], v29 offset:30720
	;; [unrolled: 1-line block ×4, first 2 shown]
	ds_write2st64_b32 v19, v32, v33 offset0:128 offset1:160
	s_waitcnt lgkmcnt(5)
	v_mfma_f32_16x16x16_bf16 a[12:15], v[82:83], v[78:79], a[12:15]
	v_xor_b32_e32 v32, 8, v19
	v_perm_b32 v2, v2, v6, s1
	v_perm_b32 v6, v10, v14, s1
	v_add_u32_e32 v10, 0x80, v32
	ds_write2st64_b32 v10, v2, v6 offset0:128 offset1:160
	v_xor_b32_e32 v2, 16, v19
	v_perm_b32 v6, v3, v7, s0
	v_perm_b32 v10, v11, v15, s0
	v_mfma_f32_16x16x16_bf16 a[0:3], v[84:85], v[38:39], a[0:3]
	ds_write2st64_b32 v2, v6, v10 offset0:129 offset1:161
	v_xor_b32_e32 v2, 24, v19
	v_perm_b32 v3, v3, v7, s1
	v_mfma_f32_16x16x16_bf16 a[4:7], v[84:85], v[34:35], a[4:7]
	v_perm_b32 v6, v11, v15, s1
	v_add_u32_e32 v2, 0x80, v2
	ds_write2st64_b32 v2, v3, v6 offset0:129 offset1:161
	v_mfma_f32_16x16x16_bf16 a[16:19], v[84:85], v[42:43], a[8:11]
	v_xor_b32_e32 v2, 32, v19
	v_perm_b32 v3, v4, v8, s0
	v_perm_b32 v6, v12, v16, s0
	v_mfma_f32_16x16x16_bf16 a[20:23], v[84:85], v[80:81], a[12:15]
	ds_write2st64_b32 v2, v3, v6 offset0:130 offset1:162
	v_xor_b32_e32 v2, 40, v19
	v_perm_b32 v3, v4, v8, s1
	s_waitcnt lgkmcnt(8)
	v_mfma_f32_16x16x16_bf16 a[12:15], v[88:89], v[22:23], a[0:3]
	v_perm_b32 v4, v12, v16, s1
	v_add_u32_e32 v2, 0x80, v2
	ds_write2st64_b32 v2, v3, v4 offset0:130 offset1:162
	s_waitcnt lgkmcnt(8)
	v_mfma_f32_16x16x16_bf16 a[8:11], v[88:89], v[36:37], a[4:7]
	v_xor_b32_e32 v2, 48, v19
	v_perm_b32 v3, v5, v9, s0
	v_perm_b32 v4, v13, v17, s0
	s_waitcnt lgkmcnt(7)
	v_mfma_f32_16x16x16_bf16 a[4:7], v[88:89], v[90:91], a[16:19]
	ds_write2st64_b32 v2, v3, v4 offset0:131 offset1:163
	v_xor_b32_e32 v2, 56, v19
	v_or_b32_e32 v22, v20, v86
	s_waitcnt lgkmcnt(7)
	v_mfma_f32_16x16x16_bf16 a[0:3], v[88:89], v[92:93], a[20:23]
	v_perm_b32 v3, v5, v9, s1
	v_perm_b32 v4, v13, v17, s1
	v_add_u32_e32 v2, 0x80, v2
	v_cmp_gt_i32_e64 s[0:1], s47, v22
	v_mov_b32_e32 v32, 0
	v_mov_b32_e32 v33, 0
	ds_write2st64_b32 v2, v3, v4 offset0:131 offset1:163
	s_and_saveexec_b64 s[2:3], s[0:1]
	s_cbranch_execz .LBB13_61
; %bb.60:
	v_add_u32_e32 v2, s46, v22
	v_ashrrev_i32_e32 v3, 31, v2
	v_mul_lo_u32 v4, v3, s38
	v_mul_lo_u32 v5, v2, s39
	v_mad_u64_u32 v[2:3], s[4:5], v2, s38, 0
	v_add3_u32 v3, v3, v5, v4
	v_lshl_add_u64 v[2:3], v[2:3], 2, s[10:11]
	global_load_dword v2, v[2:3], off
	s_waitcnt vmcnt(0)
	v_sub_f32_e32 v2, s12, v2
	v_exp_f32_e32 v33, v2
.LBB13_61:
	s_or_b64 exec, exec, s[2:3]
	v_or_b32_e32 v14, 1, v22
	v_cmp_gt_i32_e64 s[4:5], s47, v14
	s_and_saveexec_b64 s[2:3], s[4:5]
	s_cbranch_execz .LBB13_63
; %bb.62:
	v_add_u32_e32 v2, s46, v14
	v_ashrrev_i32_e32 v3, 31, v2
	v_mul_lo_u32 v4, v3, s38
	v_mul_lo_u32 v5, v2, s39
	v_mad_u64_u32 v[2:3], s[6:7], v2, s38, 0
	v_add3_u32 v3, v3, v5, v4
	v_lshl_add_u64 v[2:3], v[2:3], 2, s[10:11]
	global_load_dword v2, v[2:3], off
	s_waitcnt vmcnt(0)
	v_sub_f32_e32 v2, s12, v2
	v_exp_f32_e32 v32, v2
.LBB13_63:
	s_or_b64 exec, exec, s[2:3]
	v_or_b32_e32 v10, 2, v22
	v_cmp_gt_i32_e64 s[2:3], s47, v10
	v_mov_b32_e32 v23, 0
	v_mov_b32_e32 v34, 0
	s_and_saveexec_b64 s[6:7], s[2:3]
	s_cbranch_execz .LBB13_65
; %bb.64:
	v_add_u32_e32 v2, s46, v10
	v_ashrrev_i32_e32 v3, 31, v2
	v_mul_lo_u32 v4, v3, s38
	v_mul_lo_u32 v5, v2, s39
	v_mad_u64_u32 v[2:3], s[20:21], v2, s38, 0
	v_add3_u32 v3, v3, v5, v4
	v_lshl_add_u64 v[2:3], v[2:3], 2, s[10:11]
	global_load_dword v2, v[2:3], off
	s_waitcnt vmcnt(0)
	v_sub_f32_e32 v2, s12, v2
	v_exp_f32_e32 v34, v2
.LBB13_65:
	s_or_b64 exec, exec, s[6:7]
	v_or_b32_e32 v11, 3, v22
	v_cmp_gt_i32_e32 vcc, s47, v11
	s_and_saveexec_b64 s[6:7], vcc
	s_cbranch_execz .LBB13_67
; %bb.66:
	v_add_u32_e32 v2, s46, v11
	v_ashrrev_i32_e32 v3, 31, v2
	v_mul_lo_u32 v4, v3, s38
	v_mul_lo_u32 v5, v2, s39
	v_mad_u64_u32 v[2:3], s[20:21], v2, s38, 0
	v_add3_u32 v3, v3, v5, v4
	v_lshl_add_u64 v[2:3], v[2:3], 2, s[10:11]
	global_load_dword v2, v[2:3], off
	s_waitcnt vmcnt(0)
	v_sub_f32_e32 v2, s12, v2
	v_exp_f32_e32 v23, v2
.LBB13_67:
	s_or_b64 exec, exec, s[6:7]
	s_add_u32 s6, s8, s30
	s_addc_u32 s7, s9, s31
	s_add_u32 s8, s18, s30
	v_ashrrev_i32_e32 v19, 31, v18
	v_accvgpr_read_b32 v2, a12
	s_addc_u32 s9, s19, s31
	v_lshlrev_b64 v[6:7], 1, v[18:19]
	v_accvgpr_read_b32 v3, a13
	v_accvgpr_read_b32 v4, a14
	;; [unrolled: 1-line block ×3, first 2 shown]
	v_lshl_add_u64 v[8:9], s[6:7], 0, v[6:7]
	v_lshl_add_u64 v[6:7], s[8:9], 0, v[6:7]
	v_mov_b32_e32 v15, 0
	v_lshlrev_b32_e32 v12, 8, v22
	v_mov_b32_e32 v13, 0
	s_and_saveexec_b64 s[6:7], s[0:1]
	s_cbranch_execz .LBB13_69
; %bb.68:
	v_mov_b32_e32 v13, 0
	v_lshl_add_u64 v[16:17], v[8:9], 0, v[12:13]
	global_load_ushort v19, v[16:17], off
	v_lshl_add_u64 v[16:17], v[6:7], 0, v[12:13]
	s_waitcnt vmcnt(0)
	v_lshlrev_b32_e32 v13, 16, v19
	v_sub_f32_e32 v2, v13, v2
	global_store_short_d16_hi v[16:17], v2, off
	v_mul_f32_e32 v2, v33, v2
	v_lshrrev_b32_e32 v13, 16, v2
.LBB13_69:
	s_or_b64 exec, exec, s[6:7]
	v_lshlrev_b32_e32 v14, 8, v14
	s_and_saveexec_b64 s[6:7], s[4:5]
	s_cbranch_execz .LBB13_71
; %bb.70:
	v_mov_b32_e32 v15, 0
	v_lshl_add_u64 v[16:17], v[8:9], 0, v[14:15]
	global_load_ushort v2, v[16:17], off
	v_lshl_add_u64 v[16:17], v[6:7], 0, v[14:15]
	s_waitcnt vmcnt(0)
	v_lshlrev_b32_e32 v2, 16, v2
	v_sub_f32_e32 v2, v2, v3
	global_store_short_d16_hi v[16:17], v2, off
	v_mul_f32_e32 v2, v32, v2
	v_lshrrev_b32_e32 v15, 16, v2
.LBB13_71:
	s_or_b64 exec, exec, s[6:7]
	v_mov_b32_e32 v35, 0
	v_lshlrev_b32_e32 v16, 8, v10
	v_mov_b32_e32 v17, 0
	s_and_saveexec_b64 s[6:7], s[2:3]
	s_cbranch_execz .LBB13_73
; %bb.72:
	v_mov_b32_e32 v17, 0
	v_lshl_add_u64 v[2:3], v[8:9], 0, v[16:17]
	global_load_ushort v10, v[2:3], off
	v_lshl_add_u64 v[2:3], v[6:7], 0, v[16:17]
	s_waitcnt vmcnt(0)
	v_lshlrev_b32_e32 v10, 16, v10
	v_sub_f32_e32 v4, v10, v4
	global_store_short_d16_hi v[2:3], v4, off
	v_mul_f32_e32 v2, v34, v4
	v_lshrrev_b32_e32 v17, 16, v2
.LBB13_73:
	s_or_b64 exec, exec, s[6:7]
	v_lshlrev_b32_e32 v10, 8, v11
	s_and_saveexec_b64 s[6:7], vcc
	s_cbranch_execz .LBB13_75
; %bb.74:
	v_mov_b32_e32 v11, 0
	v_lshl_add_u64 v[2:3], v[8:9], 0, v[10:11]
	global_load_ushort v4, v[2:3], off
	v_lshl_add_u64 v[2:3], v[6:7], 0, v[10:11]
	s_waitcnt vmcnt(0)
	v_lshlrev_b32_e32 v4, 16, v4
	v_sub_f32_e32 v4, v4, v5
	global_store_short_d16_hi v[2:3], v4, off
	v_mul_f32_e32 v2, v23, v4
	v_lshrrev_b32_e32 v35, 16, v2
.LBB13_75:
	s_or_b64 exec, exec, s[6:7]
	v_lshlrev_b32_e32 v19, 6, v22
	v_accvgpr_read_b32 v2, a8
	s_mov_b32 s6, 0x5040100
	v_or_b32_e32 v11, v19, v27
	v_accvgpr_read_b32 v3, a9
	v_accvgpr_read_b32 v4, a10
	;; [unrolled: 1-line block ×3, first 2 shown]
	v_perm_b32 v37, v35, v17, s6
	v_perm_b32 v36, v15, v13, s6
	v_lshlrev_b32_e32 v11, 1, v11
	v_mov_b32_e32 v15, 0
	v_mov_b32_e32 v13, 0
	ds_write_b64 v11, v[36:37] offset:24576
	s_and_saveexec_b64 s[6:7], s[0:1]
	s_cbranch_execz .LBB13_77
; %bb.76:
	v_mov_b32_e32 v13, 0
	v_lshl_add_u64 v[36:37], v[8:9], 0, v[12:13]
	global_load_ushort v11, v[36:37], off offset:32
	v_lshl_add_u64 v[36:37], v[6:7], 0, v[12:13]
	s_waitcnt vmcnt(0)
	v_lshlrev_b32_e32 v11, 16, v11
	v_sub_f32_e32 v2, v11, v2
	global_store_short_d16_hi v[36:37], v2, off offset:32
	v_mul_f32_e32 v2, v33, v2
	v_lshrrev_b32_e32 v13, 16, v2
.LBB13_77:
	s_or_b64 exec, exec, s[6:7]
	s_and_saveexec_b64 s[6:7], s[4:5]
	s_cbranch_execz .LBB13_79
; %bb.78:
	v_mov_b32_e32 v15, 0
	v_lshl_add_u64 v[36:37], v[8:9], 0, v[14:15]
	global_load_ushort v2, v[36:37], off offset:32
	v_lshl_add_u64 v[36:37], v[6:7], 0, v[14:15]
	s_waitcnt vmcnt(0)
	v_lshlrev_b32_e32 v2, 16, v2
	v_sub_f32_e32 v2, v2, v3
	global_store_short_d16_hi v[36:37], v2, off offset:32
	v_mul_f32_e32 v2, v32, v2
	v_lshrrev_b32_e32 v15, 16, v2
.LBB13_79:
	s_or_b64 exec, exec, s[6:7]
	v_mov_b32_e32 v11, 0
	v_mov_b32_e32 v17, 0
	s_and_saveexec_b64 s[6:7], s[2:3]
	s_cbranch_execz .LBB13_81
; %bb.80:
	v_mov_b32_e32 v17, 0
	v_lshl_add_u64 v[2:3], v[8:9], 0, v[16:17]
	global_load_ushort v27, v[2:3], off offset:32
	v_lshl_add_u64 v[2:3], v[6:7], 0, v[16:17]
	s_waitcnt vmcnt(0)
	v_lshlrev_b32_e32 v17, 16, v27
	v_sub_f32_e32 v4, v17, v4
	global_store_short_d16_hi v[2:3], v4, off offset:32
	v_mul_f32_e32 v2, v34, v4
	v_lshrrev_b32_e32 v17, 16, v2
.LBB13_81:
	s_or_b64 exec, exec, s[6:7]
	s_and_saveexec_b64 s[6:7], vcc
	s_cbranch_execz .LBB13_83
; %bb.82:
	v_mov_b32_e32 v11, 0
	v_lshl_add_u64 v[2:3], v[8:9], 0, v[10:11]
	global_load_ushort v4, v[2:3], off offset:32
	v_lshl_add_u64 v[2:3], v[6:7], 0, v[10:11]
	s_waitcnt vmcnt(0)
	v_lshlrev_b32_e32 v4, 16, v4
	v_sub_f32_e32 v4, v4, v5
	global_store_short_d16_hi v[2:3], v4, off offset:32
	v_mul_f32_e32 v2, v23, v4
	v_lshrrev_b32_e32 v11, 16, v2
.LBB13_83:
	s_or_b64 exec, exec, s[6:7]
	s_mov_b32 s6, 0x5040100
	v_accvgpr_read_b32 v2, a4
	v_perm_b32 v37, v11, v17, s6
	v_or_b32_e32 v11, v19, v25
	v_accvgpr_read_b32 v3, a5
	v_accvgpr_read_b32 v4, a6
	;; [unrolled: 1-line block ×3, first 2 shown]
	v_perm_b32 v36, v15, v13, s6
	v_lshlrev_b32_e32 v11, 1, v11
	v_mov_b32_e32 v15, 0
	v_mov_b32_e32 v13, 0
	ds_write_b64 v11, v[36:37] offset:24576
	s_and_saveexec_b64 s[6:7], s[0:1]
	s_cbranch_execz .LBB13_85
; %bb.84:
	v_mov_b32_e32 v13, 0
	v_lshl_add_u64 v[36:37], v[8:9], 0, v[12:13]
	global_load_ushort v11, v[36:37], off offset:64
	v_lshl_add_u64 v[36:37], v[6:7], 0, v[12:13]
	s_waitcnt vmcnt(0)
	v_lshlrev_b32_e32 v11, 16, v11
	v_sub_f32_e32 v2, v11, v2
	global_store_short_d16_hi v[36:37], v2, off offset:64
	v_mul_f32_e32 v2, v33, v2
	v_lshrrev_b32_e32 v13, 16, v2
.LBB13_85:
	s_or_b64 exec, exec, s[6:7]
	s_and_saveexec_b64 s[6:7], s[4:5]
	s_cbranch_execz .LBB13_87
; %bb.86:
	v_mov_b32_e32 v15, 0
	v_lshl_add_u64 v[36:37], v[8:9], 0, v[14:15]
	global_load_ushort v2, v[36:37], off offset:64
	v_lshl_add_u64 v[36:37], v[6:7], 0, v[14:15]
	s_waitcnt vmcnt(0)
	v_lshlrev_b32_e32 v2, 16, v2
	v_sub_f32_e32 v2, v2, v3
	global_store_short_d16_hi v[36:37], v2, off offset:64
	v_mul_f32_e32 v2, v32, v2
	v_lshrrev_b32_e32 v15, 16, v2
.LBB13_87:
	s_or_b64 exec, exec, s[6:7]
	v_mov_b32_e32 v11, 0
	v_mov_b32_e32 v17, 0
	s_and_saveexec_b64 s[6:7], s[2:3]
	s_cbranch_execz .LBB13_89
; %bb.88:
	v_mov_b32_e32 v17, 0
	v_lshl_add_u64 v[2:3], v[8:9], 0, v[16:17]
	global_load_ushort v25, v[2:3], off offset:64
	v_lshl_add_u64 v[2:3], v[6:7], 0, v[16:17]
	s_waitcnt vmcnt(0)
	v_lshlrev_b32_e32 v17, 16, v25
	v_sub_f32_e32 v4, v17, v4
	global_store_short_d16_hi v[2:3], v4, off offset:64
	v_mul_f32_e32 v2, v34, v4
	v_lshrrev_b32_e32 v17, 16, v2
.LBB13_89:
	s_or_b64 exec, exec, s[6:7]
	s_and_saveexec_b64 s[6:7], vcc
	s_cbranch_execz .LBB13_91
; %bb.90:
	v_mov_b32_e32 v11, 0
	v_lshl_add_u64 v[2:3], v[8:9], 0, v[10:11]
	global_load_ushort v4, v[2:3], off offset:64
	v_lshl_add_u64 v[2:3], v[6:7], 0, v[10:11]
	s_waitcnt vmcnt(0)
	v_lshlrev_b32_e32 v4, 16, v4
	v_sub_f32_e32 v4, v4, v5
	global_store_short_d16_hi v[2:3], v4, off offset:64
	v_mul_f32_e32 v2, v23, v4
	v_lshrrev_b32_e32 v11, 16, v2
.LBB13_91:
	s_or_b64 exec, exec, s[6:7]
	s_mov_b32 s6, 0x5040100
	v_accvgpr_read_b32 v5, a3
	v_perm_b32 v37, v11, v17, s6
	v_or_b32_e32 v11, v19, v24
	v_accvgpr_read_b32 v4, a2
	v_accvgpr_read_b32 v3, a1
	;; [unrolled: 1-line block ×3, first 2 shown]
	v_perm_b32 v36, v15, v13, s6
	v_lshlrev_b32_e32 v11, 1, v11
	v_mov_b32_e32 v15, 0
	v_mov_b32_e32 v13, 0
	ds_write_b64 v11, v[36:37] offset:24576
	s_and_saveexec_b64 s[6:7], s[0:1]
	s_cbranch_execz .LBB13_93
; %bb.92:
	v_mov_b32_e32 v13, 0
	v_lshl_add_u64 v[24:25], v[8:9], 0, v[12:13]
	global_load_ushort v11, v[24:25], off offset:96
	v_lshl_add_u64 v[12:13], v[6:7], 0, v[12:13]
	s_waitcnt vmcnt(0)
	v_lshlrev_b32_e32 v11, 16, v11
	v_sub_f32_e32 v2, v11, v2
	global_store_short_d16_hi v[12:13], v2, off offset:96
	v_mul_f32_e32 v2, v33, v2
	v_lshrrev_b32_e32 v13, 16, v2
.LBB13_93:
	s_or_b64 exec, exec, s[6:7]
	s_and_saveexec_b64 s[0:1], s[4:5]
	s_cbranch_execz .LBB13_95
; %bb.94:
	v_mov_b32_e32 v15, 0
	v_lshl_add_u64 v[24:25], v[8:9], 0, v[14:15]
	global_load_ushort v2, v[24:25], off offset:96
	v_lshl_add_u64 v[14:15], v[6:7], 0, v[14:15]
	s_waitcnt vmcnt(0)
	v_lshlrev_b32_e32 v2, 16, v2
	v_sub_f32_e32 v2, v2, v3
	global_store_short_d16_hi v[14:15], v2, off offset:96
	v_mul_f32_e32 v2, v32, v2
	v_lshrrev_b32_e32 v15, 16, v2
.LBB13_95:
	s_or_b64 exec, exec, s[0:1]
	v_mov_b32_e32 v11, 0
	v_mov_b32_e32 v14, 0
	s_and_saveexec_b64 s[0:1], s[2:3]
	s_cbranch_execz .LBB13_97
; %bb.96:
	v_mov_b32_e32 v17, 0
	v_lshl_add_u64 v[2:3], v[8:9], 0, v[16:17]
	global_load_ushort v12, v[2:3], off offset:96
	v_lshl_add_u64 v[2:3], v[6:7], 0, v[16:17]
	s_waitcnt vmcnt(0)
	v_lshlrev_b32_e32 v12, 16, v12
	v_sub_f32_e32 v4, v12, v4
	global_store_short_d16_hi v[2:3], v4, off offset:96
	v_mul_f32_e32 v2, v34, v4
	v_lshrrev_b32_e32 v14, 16, v2
.LBB13_97:
	s_or_b64 exec, exec, s[0:1]
	v_or_b32_e32 v12, 0x6000, v28
	v_or_b32_e32 v2, 0x6000, v29
	;; [unrolled: 1-line block ×4, first 2 shown]
	s_and_saveexec_b64 s[0:1], vcc
	s_cbranch_execz .LBB13_99
; %bb.98:
	v_mov_b32_e32 v11, 0
	v_lshl_add_u64 v[8:9], v[8:9], 0, v[10:11]
	global_load_ushort v8, v[8:9], off offset:96
	v_lshl_add_u64 v[6:7], v[6:7], 0, v[10:11]
	s_waitcnt vmcnt(0)
	v_lshlrev_b32_e32 v8, 16, v8
	v_sub_f32_e32 v5, v8, v5
	global_store_short_d16_hi v[6:7], v5, off offset:96
	v_mul_f32_e32 v5, v23, v5
	v_lshrrev_b32_e32 v11, 16, v5
.LBB13_99:
	s_or_b64 exec, exec, s[0:1]
	s_mov_b32 s0, 0x5040100
	v_or_b32_e32 v5, v19, v21
	v_perm_b32 v7, v11, v14, s0
	v_perm_b32 v6, v15, v13, s0
	v_lshlrev_b32_e32 v5, 1, v5
	ds_write_b64 v5, v[6:7] offset:24576
	v_and_b32_e32 v5, 7, v0
	v_and_b32_e32 v10, 8, v0
	v_lshlrev_b32_e32 v13, 3, v5
	v_lshlrev_b32_e32 v19, 7, v5
	v_lshrrev_b32_e32 v5, 1, v0
	v_and_b32_e32 v5, 24, v5
	v_mov_b32_e32 v11, 0x400
	v_cmp_eq_u32_e32 vcc, 0, v10
	s_movk_i32 s2, 0x100
	v_lshlrev_b32_e32 v23, 3, v45
	v_cndmask_b32_e64 v21, v11, 64, vcc
	v_mov_b32_e32 v10, 0xa000
	v_mov_b32_e32 v11, 0x8000
	v_cmp_gt_u32_e64 s[0:1], s2, v0
	v_xor_b32_e32 v27, v23, v5
	v_or_b32_e32 v14, 32, v5
	v_cndmask_b32_e64 v0, v10, v11, s[0:1]
	v_or_b32_e32 v10, 0x440, v27
	v_cndmask_b32_e32 v10, v10, v27, vcc
	v_or_b32_e32 v10, v10, v26
	v_xor_b32_e32 v44, v10, v13
	v_xor_b32_e32 v14, v23, v14
	v_add3_u32 v10, v0, v44, v19
	v_or_b32_e32 v15, 0x440, v14
	s_waitcnt lgkmcnt(0)
	s_barrier
	ds_read_b64 v[10:11], v10
	v_cndmask_b32_e32 v14, v15, v14, vcc
	v_or_b32_e32 v14, v14, v26
	v_xor_b32_e32 v84, v14, v13
	v_add3_u32 v14, v0, v84, v19
	ds_read_b64 v[24:25], v14
	ds_read2_b64 v[6:9], v12 offset1:16
	ds_read2_b64 v[14:17], v12 offset0:32 offset1:48
	v_or_b32_e32 v5, 0x60, v5
	v_xor_b32_e32 v5, v23, v5
	s_add_i32 s0, s16, s48
	s_waitcnt lgkmcnt(1)
	v_mfma_f32_16x16x16_bf16 a[0:3], v[10:11], v[6:7], 0
	ds_read2st64_b64 v[28:31], v12 offset0:4 offset1:8
	ds_read2st64_b64 v[32:35], v2 offset0:4 offset1:8
	;; [unrolled: 1-line block ×4, first 2 shown]
	v_mfma_f32_16x16x16_bf16 a[4:7], v[10:11], v[8:9], 0
	s_mul_hi_i32 s1, s0, s13
	s_mul_i32 s0, s0, s13
	s_add_u32 s0, s0, s33
	s_waitcnt lgkmcnt(4)
	v_mfma_f32_16x16x16_bf16 a[8:11], v[10:11], v[14:15], 0
	s_addc_u32 s1, s1, s14
	s_lshl_b64 s[0:1], s[0:1], 9
	s_add_u32 s0, s36, s0
	v_mfma_f32_16x16x16_bf16 a[12:15], v[10:11], v[16:17], 0
	v_or3_b32 v10, v26, v21, v27
	v_xor_b32_e32 v21, 0x440, v5
	v_xor_b32_e32 v10, v10, v13
	v_cndmask_b32_e32 v5, v21, v5, vcc
	v_or_b32_e32 v85, v10, v19
	v_or_b32_e32 v5, v5, v26
	v_or_b32_e32 v10, v0, v85
	v_xor_b32_e32 v13, v5, v13
	ds_read_b64 v[10:11], v10
	v_add3_u32 v0, v0, v13, v19
	s_waitcnt lgkmcnt(4)
	v_mfma_f32_16x16x16_bf16 a[0:3], v[24:25], v[28:29], a[0:3]
	s_addc_u32 s1, s37, s1
	ds_read_b64 v[26:27], v12 offset:6144
	s_waitcnt lgkmcnt(4)
	v_mfma_f32_16x16x16_bf16 a[4:7], v[24:25], v[32:33], a[4:7]
	s_waitcnt lgkmcnt(3)
	v_mfma_f32_16x16x16_bf16 a[8:11], v[24:25], v[36:37], a[8:11]
	;; [unrolled: 2-line block ×3, first 2 shown]
	ds_read_b64 v[24:25], v0
	v_lshlrev_b32_e32 v0, 2, v22
	ds_read_b64 v[78:79], v2 offset:6144
	ds_read_b64 v[80:81], v3 offset:6144
	;; [unrolled: 1-line block ×3, first 2 shown]
	global_load_dwordx4 v[2:5], v0, s[0:1]
	s_waitcnt lgkmcnt(5)
	v_mfma_f32_16x16x16_bf16 a[0:3], v[10:11], v[30:31], a[0:3]
	v_add_u32_e32 v0, v44, v19
	ds_read_b64 v[22:23], v0 offset:40960
	v_lshlrev_b32_e32 v0, 6, v45
	v_mfma_f32_16x16x16_bf16 a[4:7], v[10:11], v[34:35], a[4:7]
	s_waitcnt vmcnt(0)
	v_exp_f32_e32 v4, v4
	v_mfma_f32_16x16x16_bf16 a[8:11], v[10:11], v[38:39], a[8:11]
	v_exp_f32_e32 v5, v5
	v_exp_f32_e32 v2, v2
	;; [unrolled: 1-line block ×3, first 2 shown]
	v_mfma_f32_16x16x16_bf16 a[12:15], v[10:11], v[42:43], a[12:15]
	v_lshlrev_b32_e32 v10, 2, v20
	v_or3_b32 v0, v0, v10, s2
	v_add_u32_e32 v10, v84, v19
	v_add_u32_e32 v11, v13, v19
	s_waitcnt lgkmcnt(4)
	v_mfma_f32_16x16x16_bf16 a[0:3], v[24:25], v[26:27], a[0:3]
	s_waitcnt lgkmcnt(3)
	v_mfma_f32_16x16x16_bf16 a[4:7], v[24:25], v[78:79], a[4:7]
	;; [unrolled: 2-line block ×4, first 2 shown]
	ds_read_b64 v[20:21], v10 offset:40960
	ds_read_b64 v[24:25], v11 offset:40960
	global_load_dwordx4 v[10:13], v0, s[0:1]
	v_exp_f32_e32 v0, s12
	s_waitcnt lgkmcnt(2)
	v_mfma_f32_16x16x16_bf16 a[28:31], v[22:23], v[16:17], 0
	ds_read_b64 v[16:17], v85 offset:40960
	v_pk_mul_f32 v[2:3], v[0:1], v[2:3] op_sel_hi:[0,1]
	v_mfma_f32_16x16x16_bf16 a[16:19], v[22:23], v[6:7], 0
	v_pk_mul_f32 v[6:7], v[0:1], v[4:5] op_sel_hi:[0,1]
	v_accvgpr_read_b32 v5, a3
	v_accvgpr_read_b32 v4, a2
	v_mfma_f32_16x16x16_bf16 a[20:23], v[22:23], v[8:9], 0
	v_pk_fma_f32 v[76:77], v[76:77], v[6:7], v[4:5]
	v_accvgpr_read_b32 v4, a4
	v_accvgpr_read_b32 v5, a5
	v_mfma_f32_16x16x16_bf16 a[24:27], v[22:23], v[14:15], 0
	v_pk_fma_f32 v[66:67], v[2:3], v[66:67], v[4:5]
	v_accvgpr_read_b32 v4, a8
	v_accvgpr_read_b32 v5, a9
	s_waitcnt lgkmcnt(2)
	v_mfma_f32_16x16x16_bf16 a[16:19], v[20:21], v[28:29], a[16:19]
	v_accvgpr_read_b32 v9, a7
	v_accvgpr_read_b32 v8, a6
	v_accvgpr_read_b32 v29, a1
	v_mfma_f32_16x16x16_bf16 a[20:23], v[20:21], v[32:33], a[20:23]
	v_pk_fma_f32 v[58:59], v[2:3], v[58:59], v[4:5]
	v_accvgpr_read_b32 v4, a12
	v_accvgpr_read_b32 v15, a11
	v_mfma_f32_16x16x16_bf16 a[24:27], v[20:21], v[36:37], a[24:27]
	v_accvgpr_read_b32 v14, a10
	v_accvgpr_read_b32 v28, a0
	;; [unrolled: 1-line block ×3, first 2 shown]
	s_waitcnt lgkmcnt(0)
	v_mfma_f32_16x16x16_bf16 a[4:7], v[16:17], v[30:31], a[16:19]
	v_pk_fma_f32 v[74:75], v[74:75], v[2:3], v[28:29]
	v_pk_fma_f32 v[50:51], v[2:3], v[50:51], v[4:5]
	v_accvgpr_read_b32 v23, a15
	v_mfma_f32_16x16x16_bf16 a[0:3], v[20:21], v[40:41], a[28:31]
	v_accvgpr_read_b32 v22, a14
	v_pk_fma_f32 v[68:69], v[6:7], v[68:69], v[8:9]
	v_pk_fma_f32 v[60:61], v[6:7], v[60:61], v[14:15]
	v_mfma_f32_16x16x16_bf16 a[8:11], v[16:17], v[34:35], a[20:23]
	v_pk_fma_f32 v[52:53], v[6:7], v[52:53], v[22:23]
	s_waitcnt vmcnt(0)
	v_mov_b32_e32 v2, v11
	v_mfma_f32_16x16x16_bf16 a[12:15], v[16:17], v[38:39], a[24:27]
	v_mov_b32_e32 v3, v12
	v_mov_b32_e32 v4, v13
	v_exp_f32_e32 v9, v2
	v_exp_f32_e32 v2, v3
	;; [unrolled: 1-line block ×3, first 2 shown]
	v_mfma_f32_16x16x16_bf16 a[4:7], v[24:25], v[26:27], a[4:7]
	v_exp_f32_e32 v8, v10
	v_pk_mul_f32 v[2:3], v[0:1], v[2:3] op_sel_hi:[0,1]
	v_mfma_f32_16x16x16_bf16 a[0:3], v[16:17], v[42:43], a[0:3]
	v_pk_mul_f32 v[4:5], v[0:1], v[8:9] op_sel_hi:[0,1]
	v_mfma_f32_16x16x16_bf16 a[8:11], v[24:25], v[78:79], a[8:11]
	s_nop 1
	v_accvgpr_read_b32 v7, a7
	v_accvgpr_read_b32 v6, a6
	v_pk_fma_f32 v[72:73], v[72:73], v[2:3], v[6:7]
	v_mfma_f32_16x16x16_bf16 a[12:15], v[24:25], v[80:81], a[12:15]
	v_accvgpr_read_b32 v15, a5
	v_accvgpr_read_b32 v14, a4
	v_pk_fma_f32 v[70:71], v[70:71], v[4:5], v[14:15]
	v_mfma_f32_16x16x16_bf16 a[0:3], v[24:25], v[82:83], a[0:3]
	v_accvgpr_read_b32 v6, a8
	v_accvgpr_read_b32 v7, a9
	v_pk_fma_f32 v[62:63], v[4:5], v[62:63], v[6:7]
	v_accvgpr_read_b32 v6, a12
	v_accvgpr_read_b32 v7, a13
	v_pk_fma_f32 v[56:57], v[4:5], v[56:57], v[6:7]
	v_accvgpr_read_b32 v9, a11
	v_accvgpr_read_b32 v7, a1
	;; [unrolled: 1-line block ×8, first 2 shown]
	v_pk_fma_f32 v[64:65], v[2:3], v[64:65], v[8:9]
	v_pk_fma_f32 v[54:55], v[2:3], v[54:55], v[10:11]
	;; [unrolled: 1-line block ×4, first 2 shown]
	v_mov_b32_e32 v2, v18
.LBB13_100:
	s_lshl_b64 s[0:1], s[28:29], 15
	s_add_u32 s0, s34, s0
	v_lshlrev_b32_e32 v2, 7, v2
	s_addc_u32 s1, s35, s1
	v_ashrrev_i32_e32 v3, 31, v2
	v_lshl_add_u64 v[4:5], v[2:3], 1, s[0:1]
	v_lshlrev_b32_e32 v0, 1, v1
	v_mov_b32_e32 v1, 0
	s_mov_b32 s2, 0x7060302
	v_lshl_add_u64 v[4:5], v[4:5], 0, v[0:1]
	v_perm_b32 v7, v77, v76, s2
	v_perm_b32 v6, v75, v74, s2
	global_store_dwordx2 v[4:5], v[6:7], off
	v_perm_b32 v7, v73, v72, s2
	v_perm_b32 v6, v71, v70, s2
	global_store_dwordx2 v[4:5], v[6:7], off offset:128
	v_or_b32_e32 v4, 0x800, v2
	v_ashrrev_i32_e32 v5, 31, v4
	v_lshl_add_u64 v[4:5], v[4:5], 1, s[0:1]
	v_lshl_add_u64 v[4:5], v[4:5], 0, v[0:1]
	v_perm_b32 v7, v69, v68, s2
	v_perm_b32 v6, v67, v66, s2
	global_store_dwordx2 v[4:5], v[6:7], off
	v_perm_b32 v7, v65, v64, s2
	v_perm_b32 v6, v63, v62, s2
	global_store_dwordx2 v[4:5], v[6:7], off offset:128
	v_or_b32_e32 v4, 0x1000, v2
	v_or_b32_e32 v2, 0x1800, v2
	v_ashrrev_i32_e32 v5, 31, v4
	v_ashrrev_i32_e32 v3, 31, v2
	v_lshl_add_u64 v[4:5], v[4:5], 1, s[0:1]
	v_lshl_add_u64 v[2:3], v[2:3], 1, s[0:1]
	;; [unrolled: 1-line block ×3, first 2 shown]
	v_perm_b32 v7, v61, v60, s2
	v_perm_b32 v6, v59, v58, s2
	v_lshl_add_u64 v[0:1], v[2:3], 0, v[0:1]
	v_perm_b32 v3, v53, v52, s2
	v_perm_b32 v2, v51, v50, s2
	global_store_dwordx2 v[4:5], v[6:7], off
	v_perm_b32 v7, v55, v54, s2
	v_perm_b32 v6, v57, v56, s2
	global_store_dwordx2 v[0:1], v[2:3], off
	v_perm_b32 v3, v49, v48, s2
	v_perm_b32 v2, v47, v46, s2
	global_store_dwordx2 v[4:5], v[6:7], off offset:128
	global_store_dwordx2 v[0:1], v[2:3], off offset:128
	s_endpgm
	.section	.rodata,"a",@progbits
	.p2align	6, 0x0
	.amdhsa_kernel _ZN12_GLOBAL__N_139chunk_gated_delta_rule_fwd_h_hip_kernelILi64ELb0ELb1ELb1ELb0ELb1ELb1ELb1ELb1EEEvPK12hip_bfloat16S3_S3_PKfS5_PKvPS1_S8_PvPKiSB_iiiiilll
		.amdhsa_group_segment_fixed_size 65536
		.amdhsa_private_segment_fixed_size 0
		.amdhsa_kernarg_size 136
		.amdhsa_user_sgpr_count 2
		.amdhsa_user_sgpr_dispatch_ptr 0
		.amdhsa_user_sgpr_queue_ptr 0
		.amdhsa_user_sgpr_kernarg_segment_ptr 1
		.amdhsa_user_sgpr_dispatch_id 0
		.amdhsa_user_sgpr_kernarg_preload_length 0
		.amdhsa_user_sgpr_kernarg_preload_offset 0
		.amdhsa_user_sgpr_private_segment_size 0
		.amdhsa_uses_dynamic_stack 0
		.amdhsa_enable_private_segment 0
		.amdhsa_system_sgpr_workgroup_id_x 1
		.amdhsa_system_sgpr_workgroup_id_y 1
		.amdhsa_system_sgpr_workgroup_id_z 0
		.amdhsa_system_sgpr_workgroup_info 0
		.amdhsa_system_vgpr_workitem_id 0
		.amdhsa_next_free_vgpr 232
		.amdhsa_next_free_sgpr 70
		.amdhsa_accum_offset 192
		.amdhsa_reserve_vcc 1
		.amdhsa_float_round_mode_32 0
		.amdhsa_float_round_mode_16_64 0
		.amdhsa_float_denorm_mode_32 3
		.amdhsa_float_denorm_mode_16_64 3
		.amdhsa_dx10_clamp 1
		.amdhsa_ieee_mode 1
		.amdhsa_fp16_overflow 0
		.amdhsa_tg_split 0
		.amdhsa_exception_fp_ieee_invalid_op 0
		.amdhsa_exception_fp_denorm_src 0
		.amdhsa_exception_fp_ieee_div_zero 0
		.amdhsa_exception_fp_ieee_overflow 0
		.amdhsa_exception_fp_ieee_underflow 0
		.amdhsa_exception_fp_ieee_inexact 0
		.amdhsa_exception_int_div_zero 0
	.end_amdhsa_kernel
	.section	.text._ZN12_GLOBAL__N_139chunk_gated_delta_rule_fwd_h_hip_kernelILi64ELb0ELb1ELb1ELb0ELb1ELb1ELb1ELb1EEEvPK12hip_bfloat16S3_S3_PKfS5_PKvPS1_S8_PvPKiSB_iiiiilll,"axG",@progbits,_ZN12_GLOBAL__N_139chunk_gated_delta_rule_fwd_h_hip_kernelILi64ELb0ELb1ELb1ELb0ELb1ELb1ELb1ELb1EEEvPK12hip_bfloat16S3_S3_PKfS5_PKvPS1_S8_PvPKiSB_iiiiilll,comdat
.Lfunc_end13:
	.size	_ZN12_GLOBAL__N_139chunk_gated_delta_rule_fwd_h_hip_kernelILi64ELb0ELb1ELb1ELb0ELb1ELb1ELb1ELb1EEEvPK12hip_bfloat16S3_S3_PKfS5_PKvPS1_S8_PvPKiSB_iiiiilll, .Lfunc_end13-_ZN12_GLOBAL__N_139chunk_gated_delta_rule_fwd_h_hip_kernelILi64ELb0ELb1ELb1ELb0ELb1ELb1ELb1ELb1EEEvPK12hip_bfloat16S3_S3_PKfS5_PKvPS1_S8_PvPKiSB_iiiiilll
                                        ; -- End function
	.section	.AMDGPU.csdata,"",@progbits
; Kernel info:
; codeLenInByte = 13032
; NumSgprs: 76
; NumVgprs: 190
; NumAgprs: 40
; TotalNumVgprs: 232
; ScratchSize: 0
; MemoryBound: 0
; FloatMode: 240
; IeeeMode: 1
; LDSByteSize: 65536 bytes/workgroup (compile time only)
; SGPRBlocks: 9
; VGPRBlocks: 28
; NumSGPRsForWavesPerEU: 76
; NumVGPRsForWavesPerEU: 232
; AccumOffset: 192
; Occupancy: 1
; WaveLimiterHint : 1
; COMPUTE_PGM_RSRC2:SCRATCH_EN: 0
; COMPUTE_PGM_RSRC2:USER_SGPR: 2
; COMPUTE_PGM_RSRC2:TRAP_HANDLER: 0
; COMPUTE_PGM_RSRC2:TGID_X_EN: 1
; COMPUTE_PGM_RSRC2:TGID_Y_EN: 1
; COMPUTE_PGM_RSRC2:TGID_Z_EN: 0
; COMPUTE_PGM_RSRC2:TIDIG_COMP_CNT: 0
; COMPUTE_PGM_RSRC3_GFX90A:ACCUM_OFFSET: 47
; COMPUTE_PGM_RSRC3_GFX90A:TG_SPLIT: 0
	.section	.text._ZN12_GLOBAL__N_139chunk_gated_delta_rule_fwd_h_hip_kernelILi64ELb0ELb1ELb0ELb0ELb1ELb1ELb1ELb1EEEvPK12hip_bfloat16S3_S3_PKfS5_PKvPS1_S8_PvPKiSB_iiiiilll,"axG",@progbits,_ZN12_GLOBAL__N_139chunk_gated_delta_rule_fwd_h_hip_kernelILi64ELb0ELb1ELb0ELb0ELb1ELb1ELb1ELb1EEEvPK12hip_bfloat16S3_S3_PKfS5_PKvPS1_S8_PvPKiSB_iiiiilll,comdat
	.globl	_ZN12_GLOBAL__N_139chunk_gated_delta_rule_fwd_h_hip_kernelILi64ELb0ELb1ELb0ELb0ELb1ELb1ELb1ELb1EEEvPK12hip_bfloat16S3_S3_PKfS5_PKvPS1_S8_PvPKiSB_iiiiilll ; -- Begin function _ZN12_GLOBAL__N_139chunk_gated_delta_rule_fwd_h_hip_kernelILi64ELb0ELb1ELb0ELb0ELb1ELb1ELb1ELb1EEEvPK12hip_bfloat16S3_S3_PKfS5_PKvPS1_S8_PvPKiSB_iiiiilll
	.p2align	8
	.type	_ZN12_GLOBAL__N_139chunk_gated_delta_rule_fwd_h_hip_kernelILi64ELb0ELb1ELb0ELb0ELb1ELb1ELb1ELb1EEEvPK12hip_bfloat16S3_S3_PKfS5_PKvPS1_S8_PvPKiSB_iiiiilll,@function
_ZN12_GLOBAL__N_139chunk_gated_delta_rule_fwd_h_hip_kernelILi64ELb0ELb1ELb0ELb0ELb1ELb1ELb1ELb1EEEvPK12hip_bfloat16S3_S3_PKfS5_PKvPS1_S8_PvPKiSB_iiiiilll: ; @_ZN12_GLOBAL__N_139chunk_gated_delta_rule_fwd_h_hip_kernelILi64ELb0ELb1ELb0ELb0ELb1ELb1ELb1ELb1EEEvPK12hip_bfloat16S3_S3_PKfS5_PKvPS1_S8_PvPKiSB_iiiiilll
; %bb.0:
	s_load_dwordx4 s[12:15], s[0:1], 0x5c
	s_load_dwordx8 s[4:11], s[0:1], 0x0
	s_load_dwordx4 s[16:19], s[0:1], 0x70
	s_abs_i32 s23, s3
	s_ashr_i32 s21, s3, 31
	s_waitcnt lgkmcnt(0)
	s_abs_i32 s20, s13
	v_cvt_f32_u32_e32 v1, s20
	s_sub_i32 s24, 0, s20
	s_ashr_i32 s22, s13, 31
	s_xor_b32 s21, s21, s22
	v_rcp_iflag_f32_e32 v1, v1
	s_load_dwordx2 s[30:31], s[0:1], 0x20
	s_load_dwordx2 s[28:29], s[0:1], 0x40
	;; [unrolled: 1-line block ×4, first 2 shown]
	v_lshrrev_b32_e32 v45, 6, v0
	v_mul_f32_e32 v1, 0x4f7ffffe, v1
	v_cvt_u32_f32_e32 v1, v1
	v_bfe_u32 v86, v0, 4, 2
	s_mov_b32 s0, 0
	v_lshlrev_b32_e32 v84, 4, v45
	v_readfirstlane_b32 s25, v1
	s_mul_i32 s24, s24, s25
	s_mul_hi_u32 s24, s25, s24
	s_add_i32 s25, s25, s24
	s_mul_hi_u32 s24, s23, s25
	s_mul_i32 s25, s24, s20
	s_sub_i32 s23, s23, s25
	s_add_i32 s25, s24, 1
	s_sub_i32 s26, s23, s20
	s_cmp_ge_u32 s23, s20
	s_cselect_b32 s24, s25, s24
	s_cselect_b32 s23, s26, s23
	s_add_i32 s25, s24, 1
	s_cmp_ge_u32 s23, s20
	s_cselect_b32 s23, s25, s24
	s_xor_b32 s23, s23, s21
	s_sub_i32 s50, s23, s21
	s_abs_i32 s21, s14
	v_cvt_f32_u32_e32 v1, s21
	s_ashr_i32 s49, s12, 31
	s_lshr_b32 s23, s49, 26
	s_add_i32 s23, s12, s23
	v_rcp_iflag_f32_e32 v1, v1
	s_ashr_i32 s51, s23, 6
	s_sub_i32 s23, 0, s21
	s_mul_i32 s48, s50, s13
	v_mul_f32_e32 v1, 0x4f7ffffe, v1
	v_cvt_u32_f32_e32 v1, v1
	s_ashr_i32 s52, s14, 31
	s_sub_i32 s33, s3, s48
	s_add_i32 s3, s12, 63
	v_readfirstlane_b32 s24, v1
	s_mul_i32 s23, s23, s24
	s_mul_hi_u32 s23, s24, s23
	s_add_i32 s24, s24, s23
	s_mul_hi_u32 s23, s20, s24
	s_mul_i32 s24, s23, s21
	s_sub_i32 s20, s20, s24
	s_xor_b32 s22, s22, s52
	s_add_i32 s24, s23, 1
	s_sub_i32 s25, s20, s21
	s_cmp_ge_u32 s20, s21
	s_cselect_b32 s23, s24, s23
	s_cselect_b32 s20, s25, s20
	s_add_i32 s24, s23, 1
	s_cmp_ge_u32 s20, s21
	s_cselect_b32 s20, s24, s23
	s_xor_b32 s20, s20, s22
	s_sub_i32 s20, s20, s22
	s_abs_i32 s21, s20
	v_cvt_f32_u32_e32 v1, s21
	s_sub_i32 s22, 0, s21
	s_xor_b32 s1, s33, s20
	s_abs_i32 s20, s33
	v_rcp_iflag_f32_e32 v1, v1
	s_ashr_i32 s1, s1, 31
	v_lshlrev_b32_e32 v2, 2, v86
	v_and_b32_e32 v85, 63, v0
	v_mul_f32_e32 v1, 0x4f7ffffe, v1
	v_cvt_u32_f32_e32 v1, v1
	s_mul_i32 s46, s50, s12
	v_and_b32_e32 v87, 15, v0
	s_mul_hi_i32 s54, s50, s13
	v_readfirstlane_b32 s23, v1
	s_mul_i32 s22, s22, s23
	s_mul_hi_u32 s22, s23, s22
	s_add_i32 s23, s23, s22
	s_mul_hi_u32 s22, s20, s23
	s_mul_i32 s23, s22, s21
	s_sub_i32 s20, s20, s23
	s_add_i32 s23, s22, 1
	s_sub_i32 s24, s20, s21
	s_cmp_ge_u32 s20, s21
	s_cselect_b32 s22, s23, s22
	s_cselect_b32 s20, s24, s20
	s_add_i32 s23, s22, 1
	s_cmp_ge_u32 s20, s21
	s_cselect_b32 s20, s23, s22
	s_xor_b32 s20, s20, s1
	s_sub_i32 s55, s20, s1
	s_ashr_i32 s1, s3, 31
	s_lshr_b32 s1, s1, 26
	s_add_i32 s3, s3, s1
	s_ashr_i32 s1, s3, 6
	v_or_b32_e32 v1, v2, v84
	s_mul_i32 s53, s50, s1
	s_lshl_b32 s2, s2, 6
	s_mov_b32 s1, s0
	v_or_b32_e32 v90, 64, v1
	s_cmp_lt_i32 s12, 64
	v_mov_b64_e32 v[54:55], s[0:1]
	v_lshrrev_b32_e32 v89, 3, v85
	v_lshlrev_b32_e32 v88, 3, v0
	s_mul_i32 s17, s50, s17
	s_mul_hi_u32 s47, s50, s16
	s_mul_i32 s36, s50, s16
	v_mov_b64_e32 v[56:57], s[0:1]
	v_mov_b64_e32 v[60:61], s[0:1]
	;; [unrolled: 1-line block ×15, first 2 shown]
	s_cbranch_scc1 .LBB14_17
; %bb.1:
	s_ashr_i32 s3, s50, 31
	s_ashr_i32 s57, s33, 31
	s_add_u32 s0, s48, s33
	s_addc_u32 s1, s54, s57
	s_mul_i32 s1, s12, s1
	s_mul_hi_u32 s20, s12, s0
	s_add_i32 s41, s20, s1
	s_mul_i32 s40, s12, s0
	s_lshl_b64 s[0:1], s[40:41], 8
	v_and_b32_e32 v92, 56, v88
	s_add_u32 s20, s6, s0
	v_lshl_or_b32 v91, v45, 3, v89
	v_lshlrev_b32_e32 v3, 1, v92
	s_addc_u32 s0, s7, s1
	v_lshl_or_b32 v93, v91, 8, v3
	s_and_b32 s21, s0, 0xffff
	s_mov_b32 s23, 0x20000
	s_movk_i32 s22, 0x4000
	s_movk_i32 s0, 0x80
	v_or_b32_e32 v94, 0x2000, v93
	buffer_load_dwordx4 v[4:7], v93, s[20:23], 0 offen
	buffer_load_dwordx4 v[8:11], v93, s[20:23], s0 offen
	;; [unrolled: 1-line block ×4, first 2 shown]
	v_lshlrev_b32_e32 v20, 3, v91
	v_and_or_b32 v22, v0, 7, v20
	v_and_b32_e32 v20, 0x78, v20
	v_lshlrev_b32_e32 v22, 4, v22
	v_xor_b32_e32 v95, v22, v20
	v_mul_lo_u32 v21, v91, s15
	v_or_b32_e32 v96, 0x1000, v95
	s_cmpk_eq_i32 s15, 0x80
	s_mov_b32 s56, s14
	v_xor_b32_e32 v20, 8, v95
	v_xor_b32_e32 v22, 8, v96
	s_cselect_b64 s[0:1], -1, 0
	s_cmpk_lg_i32 s15, 0x80
	s_waitcnt vmcnt(3)
	ds_write_b64 v95, v[4:5] offset:49152
	ds_write_b64 v20, v[6:7] offset:49152
	s_waitcnt vmcnt(2)
	ds_write_b64 v95, v[8:9] offset:57344
	ds_write_b64 v20, v[10:11] offset:57344
	;; [unrolled: 3-line block ×4, first 2 shown]
	v_lshl_add_u32 v4, v21, 1, v92
	s_cbranch_scc0 .LBB14_3
; %bb.2:
	v_lshlrev_b32_e32 v6, 1, v4
	v_add_lshl_u32 v5, v4, s15, 1
	s_lshl_b32 s22, s15, 7
	v_lshl_or_b32 v3, v91, 9, v3
	s_cbranch_execz .LBB14_4
	s_branch .LBB14_5
.LBB14_3:
                                        ; implicit-def: $vgpr5
                                        ; implicit-def: $vgpr6
                                        ; implicit-def: $sgpr22
	v_lshl_or_b32 v3, v91, 9, v3
.LBB14_4:
	v_or_b32_e32 v5, 0x100, v3
	s_movk_i32 s22, 0x4000
	v_mov_b32_e32 v6, v3
.LBB14_5:
	s_mul_hi_u32 s20, s14, s12
	s_mul_i32 s21, s52, s12
	s_add_i32 s20, s20, s21
	s_mul_i32 s21, s14, s12
	s_mul_i32 s23, s21, s3
	s_mul_hi_u32 s24, s21, s50
	s_add_i32 s23, s24, s23
	s_mul_i32 s20, s20, s50
	s_add_i32 s23, s23, s20
	s_mul_i32 s21, s21, s50
	s_ashr_i32 s58, s55, 31
	s_add_u32 s20, s21, s55
	s_addc_u32 s21, s23, s58
	s_lshl_b64 s[20:21], s[20:21], 8
	s_add_u32 s20, s4, s20
	s_addc_u32 s21, s5, s21
	s_and_b32 s21, s21, 0xffff
	s_mov_b32 s23, 0x20000
	s_movk_i32 s59, 0x80
	buffer_load_dwordx4 v[8:11], v6, s[20:23], 0 offen
	buffer_load_dwordx4 v[12:15], v6, s[20:23], s59 offen
	;; [unrolled: 1-line block ×4, first 2 shown]
	v_and_b32_e32 v5, 6, v0
	v_lshlrev_b32_e32 v6, 7, v1
	v_xor_b32_e32 v27, v91, v5
	v_and_b32_e32 v7, 1, v0
	v_lshl_or_b32 v30, v87, 3, v6
	v_lshlrev_b32_e32 v27, 2, v27
	v_or_b32_e32 v97, 0x4000, v30
	v_or_b32_e32 v98, 0x6000, v30
	v_xor_b32_e32 v30, 0x440, v27
	v_cmp_eq_u32_e32 vcc, 0, v7
	v_lshlrev_b32_e32 v24, 2, v87
	v_or_b32_e32 v26, 16, v87
	v_cndmask_b32_e32 v7, v30, v27, vcc
	s_mov_b32 s61, 0x1000504
	v_xor_b32_e32 v28, v1, v24
	v_xor_b32_e32 v29, v90, v24
	v_lshl_or_b32 v31, v26, 3, v6
	v_lshl_or_b32 v5, v5, 10, v7
	s_mov_b32 s62, 0x3020706
	s_mul_i32 s20, s3, s12
	s_mul_hi_u32 s21, s50, s12
	v_lshlrev_b32_e32 v25, 8, v87
	v_lshlrev_b32_e32 v28, 1, v28
	;; [unrolled: 1-line block ×3, first 2 shown]
	v_or_b32_e32 v99, 0x4000, v31
	v_or_b32_e32 v100, 0x6000, v31
	v_xor_b32_e32 v7, 8, v5
	v_xor_b32_e32 v27, 24, v5
	;; [unrolled: 1-line block ×4, first 2 shown]
	v_or_b32_e32 v101, v25, v28
	v_or_b32_e32 v102, v25, v29
	v_xor_b32_e32 v25, 16, v5
	v_xor_b32_e32 v30, 32, v5
	;; [unrolled: 1-line block ×3, first 2 shown]
	v_add_u32_e32 v7, 0x80, v7
	v_add_u32_e32 v27, 0x80, v27
	v_add_u32_e32 v31, 0x80, v31
	v_add_u32_e32 v33, 0x80, v33
	s_add_i32 s63, s21, s20
	s_add_i32 s20, s47, s17
	s_mul_i32 s3, s3, s16
	s_add_i32 s37, s20, s3
	s_mul_i32 s3, s33, s19
	s_mul_hi_u32 s20, s33, s18
	s_add_i32 s3, s20, s3
	s_mul_i32 s20, s57, s18
	s_add_i32 s21, s3, s20
	s_lshl_b64 s[24:25], s[36:37], 2
	s_mul_i32 s20, s33, s18
	s_add_u32 s3, s10, s24
	s_addc_u32 s24, s11, s25
	s_lshl_b64 s[20:21], s[20:21], 2
	s_add_u32 s42, s3, s20
	s_movk_i32 s3, 0xf8
	s_addc_u32 s43, s24, s21
	s_lshl_b32 s26, s15, 7
	v_mov_b32_e32 v79, 0
	s_movk_i32 s24, 0x100
	v_lshlrev_b32_e32 v78, 4, v87
	s_mov_b32 s60, 0
	s_movk_i32 s22, 0x4000
	v_add_u32_e32 v134, v84, v2
	s_mov_b32 s37, 0x7060302
	s_movk_i32 s64, 0x2000
	s_movk_i32 s65, 0x3000
	s_mov_b32 s67, 0
	v_mov_b32_e32 v48, v79
	v_mov_b32_e32 v49, v79
	;; [unrolled: 1-line block ×11, first 2 shown]
	s_waitcnt vmcnt(1)
	v_perm_b32 v34, v8, v16, s61
	s_waitcnt vmcnt(0)
	v_perm_b32 v35, v12, v20, s61
	v_perm_b32 v8, v8, v16, s62
	v_perm_b32 v12, v12, v20, s62
	v_perm_b32 v16, v9, v17, s61
	v_perm_b32 v20, v13, v21, s61
	v_perm_b32 v9, v9, v17, s62
	v_perm_b32 v13, v13, v21, s62
	v_perm_b32 v17, v10, v18, s61
	v_perm_b32 v21, v14, v22, s61
	v_perm_b32 v10, v10, v18, s62
	v_perm_b32 v14, v14, v22, s62
	v_perm_b32 v18, v11, v19, s61
	v_perm_b32 v22, v15, v23, s61
	v_perm_b32 v11, v11, v19, s62
	v_perm_b32 v15, v15, v23, s62
	ds_write2st64_b32 v5, v34, v35 offset0:128 offset1:160
	ds_write2st64_b32 v7, v8, v12 offset0:128 offset1:160
	;; [unrolled: 1-line block ×8, first 2 shown]
	v_lshlrev_b32_e32 v5, 8, v26
	v_or_b32_e32 v103, v5, v28
	v_or_b32_e32 v104, v5, v29
	;; [unrolled: 1-line block ×3, first 2 shown]
	v_lshl_or_b32 v7, v5, 3, v6
	v_lshlrev_b32_e32 v5, 8, v5
	v_or_b32_e32 v107, v5, v28
	v_or_b32_e32 v108, v5, v29
	;; [unrolled: 1-line block ×5, first 2 shown]
	v_lshl_or_b32 v7, v5, 3, v6
	v_lshlrev_b32_e32 v5, 8, v5
	v_or_b32_e32 v111, v5, v28
	v_or_b32_e32 v112, v5, v29
	;; [unrolled: 1-line block ×3, first 2 shown]
	v_lshlrev_b32_e32 v5, 3, v5
	v_lshrrev_b32_e32 v9, 5, v85
	v_and_or_b32 v9, v5, s3, v9
	v_lshlrev_b32_e32 v9, 4, v9
	v_lshlrev_b32_e32 v11, 11, v45
	v_and_b32_e32 v5, 0x78, v5
	v_or_b32_e32 v14, 32, v9
	v_and_b32_e32 v8, 0x1000, v11
	v_xor_b32_e32 v10, v9, v5
	v_lshrrev_b32_e32 v12, 1, v85
	v_xor_b32_e32 v14, v14, v5
	v_or_b32_e32 v10, v10, v8
	v_and_b32_e32 v12, 8, v12
	v_or_b32_e32 v14, v14, v8
	v_xor_b32_e32 v113, v10, v12
	v_lshlrev_b32_e32 v10, 8, v86
	v_xor_b32_e32 v115, v14, v12
	v_or_b32_e32 v14, 64, v9
	v_or_b32_e32 v9, 0x60, v9
	;; [unrolled: 1-line block ×3, first 2 shown]
	v_xor_b32_e32 v14, v14, v5
	v_xor_b32_e32 v5, v9, v5
	s_ashr_i32 s3, s2, 31
	v_lshlrev_b32_e32 v13, 1, v13
	v_or_b32_e32 v14, v14, v8
	v_or_b32_e32 v5, v5, v8
	s_lshl_b64 s[20:21], s[2:3], 8
	v_or_b32_e32 v114, 0x4000, v13
	v_or_b32_e32 v116, 0x4080, v13
	;; [unrolled: 1-line block ×4, first 2 shown]
	v_xor_b32_e32 v119, v14, v12
	v_xor_b32_e32 v120, v5, v12
	v_or_b32_e32 v121, 0x6000, v13
	v_or_b32_e32 v122, 0x6080, v13
	;; [unrolled: 1-line block ×4, first 2 shown]
	v_lshlrev_b32_e32 v12, 1, v4
	v_add_lshl_u32 v13, v4, s15, 1
	s_waitcnt lgkmcnt(0)
	s_add_u32 s20, s38, s20
	v_lshlrev_b32_e32 v4, 1, v87
	v_or_b32_e32 v14, 0x100, v3
	v_lshrrev_b32_e32 v15, 4, v0
	s_addc_u32 s21, s39, s21
	v_or_b32_e32 v5, 1, v4
	v_lshlrev_b32_e32 v18, 2, v0
	v_xor_b32_e32 v16, v15, v4
	v_xor_b32_e32 v17, v5, v15
	v_lshl_add_u64 v[4:5], s[20:21], 0, v[78:79]
	v_lshlrev_b32_e32 v78, 8, v15
	v_lshrrev_b32_e32 v19, 1, v0
	v_and_or_b32 v10, v18, 60, v10
	v_cndmask_b32_e64 v131, v12, v3, s[0:1]
	v_cndmask_b32_e64 v132, v13, v14, s[0:1]
	v_mov_b32_e32 v3, 0xa000
	v_mov_b32_e32 v12, 0x8000
	v_cmp_gt_u32_e64 s[0:1], s24, v0
	v_lshl_or_b32 v125, v16, 3, v78
	v_and_b32_e32 v16, 8, v0
	v_and_b32_e32 v19, 24, v19
	v_lshlrev_b32_e32 v10, 1, v10
	v_cndmask_b32_e64 v3, v3, v12, s[0:1]
	v_lshlrev_b32_e32 v12, 3, v45
	v_or_b32_e32 v127, 0x6000, v10
	v_or_b32_e32 v128, 0x6080, v10
	;; [unrolled: 1-line block ×4, first 2 shown]
	v_mov_b32_e32 v10, 0x400
	v_cmp_eq_u32_e32 vcc, 0, v16
	v_xor_b32_e32 v13, v12, v19
	v_and_b32_e32 v15, 7, v0
	v_cndmask_b32_e64 v16, v10, 64, vcc
	v_or_b32_e32 v14, 0x440, v13
	v_lshl_or_b32 v126, v17, 3, v78
	v_lshlrev_b32_e32 v17, 3, v15
	v_or_b32_e32 v18, 32, v19
	v_or_b32_e32 v20, 0x60, v19
	v_cndmask_b32_e32 v14, v14, v13, vcc
	v_or3_b32 v13, v11, v16, v13
	v_lshlrev_b32_e32 v15, 7, v15
	v_xor_b32_e32 v18, v12, v18
	v_xor_b32_e32 v13, v13, v17
	;; [unrolled: 1-line block ×3, first 2 shown]
	v_or_b32_e32 v21, 0x440, v18
	v_or_b32_e32 v133, v13, v15
	v_xor_b32_e32 v13, 0x440, v12
	v_cndmask_b32_e32 v18, v21, v18, vcc
	v_cndmask_b32_e32 v12, v13, v12, vcc
	v_or_b32_e32 v109, 0x4000, v7
	v_or_b32_e32 v110, 0x6000, v7
	v_lshrrev_b32_e32 v7, 2, v85
	v_or_b32_e32 v14, v14, v11
	v_or_b32_e32 v18, v18, v11
	;; [unrolled: 1-line block ×3, first 2 shown]
	v_and_b32_e32 v7, 12, v7
	v_or_b32_e32 v8, s2, v87
	v_xor_b32_e32 v14, v14, v17
	v_xor_b32_e32 v18, v18, v17
	;; [unrolled: 1-line block ×3, first 2 shown]
	v_ashrrev_i32_e32 v9, 31, v8
	v_or_b32_e32 v10, v84, v7
	v_add_u32_e32 v19, v3, v14
	v_add_u32_e32 v21, v3, v18
	v_add_u32_e32 v13, v3, v11
	v_or3_b32 v12, v84, v7, 64
	v_add_u32_e32 v7, 0xa000, v14
	v_add_u32_e32 v14, 0xa000, v18
	;; [unrolled: 1-line block ×3, first 2 shown]
	v_lshl_add_u64 v[80:81], v[8:9], 1, s[8:9]
	v_lshl_add_u64 v[82:83], v[4:5], 0, v[78:79]
	s_add_i32 s3, s46, 63
	v_lshlrev_b32_e32 v78, 1, v6
	v_lshlrev_b32_e32 v135, 2, v10
	v_add_u32_e32 v136, v19, v15
	v_add_u32_e32 v137, v21, v15
	;; [unrolled: 1-line block ×4, first 2 shown]
	v_lshlrev_b32_e32 v140, 2, v12
	v_add_u32_e32 v141, v7, v15
	v_add_u32_e32 v142, v14, v15
	;; [unrolled: 1-line block ×3, first 2 shown]
	v_mov_b32_e32 v77, v79
	v_mov_b32_e32 v70, v79
	;; [unrolled: 1-line block ×21, first 2 shown]
	s_barrier
	s_branch .LBB14_7
.LBB14_6:                               ;   in Loop: Header=BB14_7 Depth=1
	v_exp_f32_e32 v36, s20
	s_waitcnt vmcnt(4)
	v_exp_f32_e32 v38, v38
	v_exp_f32_e32 v39, v39
	;; [unrolled: 1-line block ×4, first 2 shown]
	v_accvgpr_read_b32 v5, a3
	v_accvgpr_read_b32 v4, a2
	;; [unrolled: 1-line block ×4, first 2 shown]
	v_pk_mul_f32 v[38:39], v[36:37], v[38:39] op_sel_hi:[0,1]
	v_pk_mul_f32 v[40:41], v[36:37], v[40:41] op_sel_hi:[0,1]
	v_pk_fma_f32 v[74:75], v[74:75], v[38:39], v[2:3]
	v_pk_fma_f32 v[76:77], v[76:77], v[40:41], v[4:5]
	v_exp_f32_e32 v2, v34
	v_exp_f32_e32 v3, v42
	;; [unrolled: 1-line block ×4, first 2 shown]
	v_accvgpr_read_b32 v9, a7
	v_accvgpr_read_b32 v13, a11
	;; [unrolled: 1-line block ×28, first 2 shown]
	v_pk_mul_f32 v[2:3], v[36:37], v[2:3] op_sel_hi:[0,1]
	v_pk_mul_f32 v[4:5], v[36:37], v[4:5] op_sel_hi:[0,1]
	s_add_i32 s60, s60, 64
	v_pk_fma_f32 v[66:67], v[38:39], v[66:67], v[6:7]
	v_pk_fma_f32 v[68:69], v[40:41], v[68:69], v[8:9]
	;; [unrolled: 1-line block ×14, first 2 shown]
	s_cmp_eq_u32 s51, s66
	s_mov_b32 s67, s66
	s_cbranch_scc1 .LBB14_17
.LBB14_7:                               ; =>This Inner Loop Header: Depth=1
	s_add_i32 s66, s67, 1
	s_cmp_lt_i32 s66, s51
	s_mov_b64 s[24:25], 0
	s_cselect_b64 s[44:45], -1, 0
	s_cmp_ge_i32 s66, s51
	s_mov_b64 s[20:21], 0
	s_cbranch_scc1 .LBB14_9
; %bb.8:                                ;   in Loop: Header=BB14_7 Depth=1
	s_add_i32 s0, s60, 64
	s_add_u32 s0, s40, s0
	s_addc_u32 s1, s41, 0
	s_lshl_b64 s[0:1], s[0:1], 8
	s_add_u32 s20, s6, s0
	s_addc_u32 s21, s7, s1
.LBB14_9:                               ;   in Loop: Header=BB14_7 Depth=1
	v_cndmask_b32_e64 v2, 0, 1, s[44:45]
	v_cmp_ne_u32_e64 s[0:1], 1, v2
	s_andn2_b64 vcc, exec, s[44:45]
	s_cbranch_vccnz .LBB14_11
; %bb.10:                               ;   in Loop: Header=BB14_7 Depth=1
	s_add_i32 s24, s60, 64
	s_add_u32 s24, s46, s24
	s_addc_u32 s25, s63, 0
	s_mul_i32 s27, s24, s52
	s_mul_hi_u32 s44, s24, s56
	s_add_i32 s27, s44, s27
	s_mul_i32 s25, s25, s56
	s_add_i32 s27, s27, s25
	s_mul_i32 s24, s24, s56
	s_add_u32 s24, s24, s55
	s_addc_u32 s25, s27, s58
	s_lshl_b64 s[24:25], s[24:25], 8
	s_add_u32 s24, s4, s24
	s_addc_u32 s25, s5, s25
.LBB14_11:                              ;   in Loop: Header=BB14_7 Depth=1
	v_perm_b32 v3, v77, v76, s37
	v_perm_b32 v2, v75, v74, s37
	v_perm_b32 v5, v73, v72, s37
	v_perm_b32 v4, v71, v70, s37
	ds_write_b64 v97, v[2:3]
	ds_write_b64 v98, v[4:5]
	ds_write_b64 v101, v[2:3]
	ds_write_b64 v102, v[4:5]
	v_perm_b32 v3, v69, v68, s37
	v_perm_b32 v2, v67, v66, s37
	v_perm_b32 v5, v65, v64, s37
	v_perm_b32 v4, v63, v62, s37
	ds_write_b64 v99, v[2:3]
	ds_write_b64 v100, v[4:5]
	ds_write_b64 v103, v[2:3]
	ds_write_b64 v104, v[4:5]
	;; [unrolled: 8-line block ×4, first 2 shown]
	s_waitcnt lgkmcnt(0)
	s_barrier
	ds_read_b64 v[6:7], v113 offset:49152
	ds_read2_b64 v[2:5], v114 offset1:16
	ds_read_b64 v[18:19], v116 offset:6144
	ds_read_b64 v[20:21], v114 offset:6144
	s_waitcnt lgkmcnt(2)
	v_mfma_f32_16x16x16_bf16 a[0:3], v[6:7], v[2:3], 0
	ds_read_b64 v[22:23], v115 offset:49152
	ds_read2st64_b64 v[10:13], v117 offset0:4 offset1:8
	ds_read2st64_b64 v[14:17], v118 offset0:4 offset1:8
	v_mfma_f32_16x16x16_bf16 a[4:7], v[6:7], v[4:5], 0
	ds_read2_b64 v[2:5], v114 offset0:32 offset1:48
	s_add_i32 s27, s60, 63
	s_mul_i32 s44, s27, s35
	s_waitcnt lgkmcnt(0)
	v_mfma_f32_16x16x16_bf16 a[8:11], v[6:7], v[2:3], 0
	s_mul_hi_u32 s45, s27, s34
	s_add_i32 s45, s45, s44
	s_mul_i32 s44, s27, s34
	v_mfma_f32_16x16x16_bf16 a[12:15], v[6:7], v[4:5], 0
	ds_read2st64_b64 v[2:5], v114 offset0:4 offset1:8
	ds_read2st64_b64 v[6:9], v116 offset0:4 offset1:8
	s_lshl_b64 s[44:45], s[44:45], 2
	s_waitcnt lgkmcnt(1)
	v_mfma_f32_16x16x16_bf16 a[0:3], v[22:23], v[2:3], a[0:3]
	s_add_u32 s44, s42, s44
	s_addc_u32 s45, s43, s45
	s_and_b64 vcc, exec, s[0:1]
	s_waitcnt lgkmcnt(0)
	v_mfma_f32_16x16x16_bf16 a[4:7], v[22:23], v[6:7], a[4:7]
	v_mov_b32_e32 v146, 0
	v_mov_b32_e32 v145, 0
	;; [unrolled: 1-line block ×3, first 2 shown]
	v_mfma_f32_16x16x16_bf16 a[8:11], v[22:23], v[10:11], a[8:11]
	ds_read_b64 v[2:3], v119 offset:49152
	ds_read_b64 v[6:7], v120 offset:49152
	;; [unrolled: 1-line block ×3, first 2 shown]
	v_mfma_f32_16x16x16_bf16 a[12:15], v[22:23], v[14:15], a[12:15]
	v_mov_b32_e32 v14, 0
	v_mov_b32_e32 v15, 0
	s_waitcnt lgkmcnt(2)
	v_mfma_f32_16x16x16_bf16 a[0:3], v[2:3], v[4:5], a[0:3]
	v_mov_b32_e32 v4, 0
	v_mov_b32_e32 v5, 0
	v_mfma_f32_16x16x16_bf16 a[16:19], v[2:3], v[8:9], a[4:7]
	v_mov_b32_e32 v8, 0
	v_mov_b32_e32 v9, 0
	;; [unrolled: 3-line block ×3, first 2 shown]
	v_mfma_f32_16x16x16_bf16 a[24:27], v[2:3], v[16:17], a[12:15]
	ds_read_b64 v[2:3], v117 offset:6144
	v_mov_b32_e32 v16, 0
	v_mov_b32_e32 v17, 0
	s_waitcnt lgkmcnt(2)
	v_mfma_f32_16x16x16_bf16 a[4:7], v[6:7], v[20:21], a[0:3]
	v_mfma_f32_16x16x16_bf16 a[8:11], v[6:7], v[18:19], a[16:19]
	s_waitcnt lgkmcnt(0)
	v_mfma_f32_16x16x16_bf16 a[12:15], v[6:7], v[2:3], a[20:23]
	v_mov_b32_e32 v2, 0
	v_mov_b32_e32 v3, 0
	v_mfma_f32_16x16x16_bf16 a[0:3], v[6:7], v[10:11], a[24:27]
	v_mov_b32_e32 v6, 0
	v_mov_b32_e32 v7, 0
	;; [unrolled: 1-line block ×4, first 2 shown]
	s_cbranch_vccnz .LBB14_13
; %bb.12:                               ;   in Loop: Header=BB14_7 Depth=1
	s_and_b32 s21, s21, 0xffff
	buffer_load_dwordx4 v[14:17], v93, s[20:23], 0 offen
	buffer_load_dwordx4 v[10:13], v93, s[20:23], s59 offen
	;; [unrolled: 1-line block ×4, first 2 shown]
	v_mov_b32_e32 v145, v95
	v_mov_b32_e32 v144, v96
.LBB14_13:                              ;   in Loop: Header=BB14_7 Depth=1
	ds_read_b64 v[34:35], v113 offset:57344
	ds_read2_b64 v[18:21], v121 offset1:16
	ds_read_b64 v[36:37], v115 offset:57344
	ds_read_b64 v[38:39], v119 offset:57344
	;; [unrolled: 1-line block ×3, first 2 shown]
	v_add_u32_e32 v42, s60, v134
	s_waitcnt lgkmcnt(3)
	v_mfma_f32_16x16x16_bf16 a[4:7], v[34:35], v[18:19], a[4:7]
	v_mfma_f32_16x16x16_bf16 a[8:11], v[34:35], v[20:21], a[8:11]
	ds_read2_b64 v[18:21], v121 offset0:32 offset1:48
	ds_read2st64_b64 v[22:25], v121 offset0:4 offset1:8
	ds_read2st64_b64 v[26:29], v122 offset0:4 offset1:8
	;; [unrolled: 1-line block ×3, first 2 shown]
	s_waitcnt lgkmcnt(3)
	v_mfma_f32_16x16x16_bf16 a[12:15], v[34:35], v[18:19], a[12:15]
	v_ashrrev_i32_e32 v18, 31, v42
	v_mfma_f32_16x16x16_bf16 a[0:3], v[34:35], v[20:21], a[0:3]
	v_mul_lo_u32 v20, v18, s34
	v_mul_lo_u32 v21, v42, s35
	v_mad_u64_u32 v[18:19], s[20:21], v42, s34, 0
	v_add3_u32 v19, v19, v21, v20
	v_add_u32_e32 v20, 1, v42
	v_ashrrev_i32_e32 v21, 31, v20
	s_waitcnt lgkmcnt(2)
	v_mfma_f32_16x16x16_bf16 a[4:7], v[36:37], v[22:23], a[4:7]
	v_mul_lo_u32 v22, v21, s34
	v_mul_lo_u32 v23, v20, s35
	v_mad_u64_u32 v[20:21], s[20:21], v20, s34, 0
	v_add3_u32 v21, v21, v23, v22
	v_add_u32_e32 v22, 2, v42
	v_ashrrev_i32_e32 v23, 31, v22
	s_waitcnt lgkmcnt(1)
	v_mfma_f32_16x16x16_bf16 a[8:11], v[36:37], v[26:27], a[8:11]
	v_mul_lo_u32 v26, v23, s34
	v_mul_lo_u32 v27, v22, s35
	v_mad_u64_u32 v[22:23], s[20:21], v22, s34, 0
	v_add3_u32 v23, v23, v27, v26
	v_add_u32_e32 v26, 3, v42
	v_ashrrev_i32_e32 v27, 31, v26
	v_mul_lo_u32 v34, v27, s34
	v_mul_lo_u32 v35, v26, s35
	v_mad_u64_u32 v[26:27], s[20:21], v26, s34, 0
	s_add_u32 s20, s40, s60
	s_addc_u32 s21, s41, 0
	v_lshl_add_u64 v[18:19], v[18:19], 2, s[42:43]
	v_add3_u32 v27, v27, v35, v34
	s_lshl_b64 s[20:21], s[20:21], 8
	v_lshl_add_u64 v[20:21], v[20:21], 2, s[42:43]
	v_lshl_add_u64 v[22:23], v[22:23], 2, s[42:43]
	;; [unrolled: 1-line block ×3, first 2 shown]
	global_load_dword v34, v[18:19], off
	global_load_dword v35, v[20:21], off
	global_load_dword v42, v[22:23], off
	global_load_dword v43, v[26:27], off
	v_lshl_add_u64 v[18:19], v[80:81], 0, s[20:21]
	v_lshl_add_u64 v[22:23], v[18:19], 0, v[78:79]
	global_load_ushort v44, v[22:23], off offset:256
	global_load_ushort v147, v[22:23], off
	ds_read2st64_b64 v[18:21], v124 offset0:4 offset1:8
	global_load_ushort v148, v[22:23], off offset:768
	global_load_ushort v149, v[22:23], off offset:512
	s_waitcnt lgkmcnt(1)
	v_mfma_f32_16x16x16_bf16 a[12:15], v[36:37], v[30:31], a[12:15]
	s_and_b64 vcc, exec, s[0:1]
	s_waitcnt vmcnt(3)
	v_lshlrev_b32_e32 v31, 16, v44
	s_waitcnt lgkmcnt(0)
	v_mfma_f32_16x16x16_bf16 a[0:3], v[36:37], v[18:19], a[0:3]
	global_load_ushort v36, v[22:23], off offset:288
	global_load_ushort v37, v[22:23], off offset:32
	;; [unrolled: 1-line block ×8, first 2 shown]
	v_mfma_f32_16x16x16_bf16 a[4:7], v[38:39], v[24:25], a[4:7]
	ds_read_b64 v[18:19], v121 offset:6144
	s_waitcnt vmcnt(10)
	v_lshlrev_b32_e32 v30, 16, v147
	v_mov_b32_e32 v147, 0
	v_mfma_f32_16x16x16_bf16 a[8:11], v[38:39], v[28:29], a[8:11]
	v_mfma_f32_16x16x16_bf16 a[12:15], v[38:39], v[32:33], a[12:15]
	;; [unrolled: 1-line block ×3, first 2 shown]
	global_load_ushort v38, v[22:23], off offset:352
	global_load_ushort v39, v[22:23], off offset:96
	ds_read_b64 v[20:21], v122 offset:6144
	ds_read_b64 v[24:25], v123 offset:6144
	;; [unrolled: 1-line block ×3, first 2 shown]
	global_load_ushort v156, v[22:23], off offset:864
	global_load_ushort v157, v[22:23], off offset:608
	s_load_dword s20, s[44:45], 0x0
	s_waitcnt lgkmcnt(0)
	v_mfma_f32_16x16x16_bf16 a[4:7], v[40:41], v[18:19], a[4:7]
	v_sub_f32_e32 v28, s20, v42
	v_mfma_f32_16x16x16_bf16 a[0:3], v[40:41], v[26:27], a[0:3]
	v_sub_f32_e32 v26, s20, v34
	v_sub_f32_e32 v27, s20, v35
	;; [unrolled: 1-line block ×3, first 2 shown]
	v_mfma_f32_16x16x16_bf16 a[8:11], v[40:41], v[20:21], a[8:11]
	v_exp_f32_e32 v26, v26
	v_exp_f32_e32 v27, v27
	;; [unrolled: 1-line block ×4, first 2 shown]
	v_accvgpr_read_b32 v33, a5
	v_accvgpr_read_b32 v32, a4
	;; [unrolled: 1-line block ×4, first 2 shown]
	v_pk_add_f32 v[30:31], v[30:31], v[32:33] neg_lo:[0,1] neg_hi:[0,1]
	s_waitcnt vmcnt(13)
	v_lshlrev_b32_e32 v33, 16, v148
	s_waitcnt vmcnt(12)
	v_lshlrev_b32_e32 v32, 16, v149
	v_pk_add_f32 v[18:19], v[32:33], v[18:19] neg_lo:[0,1] neg_hi:[0,1]
	v_pk_mul_f32 v[30:31], v[26:27], v[30:31]
	v_pk_mul_f32 v[18:19], v[28:29], v[18:19]
	v_accvgpr_read_b32 v33, a9
	v_perm_b32 v19, v19, v18, s37
	v_perm_b32 v18, v31, v30, s37
	v_accvgpr_read_b32 v32, a8
	v_accvgpr_read_b32 v21, a11
	v_mfma_f32_16x16x16_bf16 a[12:15], v[40:41], v[24:25], a[12:15]
	v_accvgpr_read_b32 v20, a10
	v_accvgpr_read_b32 v25, a3
	;; [unrolled: 1-line block ×3, first 2 shown]
	s_waitcnt vmcnt(11)
	v_lshlrev_b32_e32 v31, 16, v36
	s_waitcnt vmcnt(10)
	v_lshlrev_b32_e32 v30, 16, v37
	v_pk_add_f32 v[30:31], v[30:31], v[32:33] neg_lo:[0,1] neg_hi:[0,1]
	s_waitcnt vmcnt(9)
	v_lshlrev_b32_e32 v33, 16, v150
	s_waitcnt vmcnt(8)
	v_lshlrev_b32_e32 v32, 16, v151
	v_pk_add_f32 v[20:21], v[32:33], v[20:21] neg_lo:[0,1] neg_hi:[0,1]
	v_pk_mul_f32 v[30:31], v[26:27], v[30:31]
	v_pk_mul_f32 v[20:21], v[28:29], v[20:21]
	v_accvgpr_read_b32 v23, a15
	v_perm_b32 v21, v21, v20, s37
	v_perm_b32 v20, v31, v30, s37
	ds_write2_b64 v98, v[18:19], v[20:21] offset1:16
	v_accvgpr_read_b32 v21, a13
	s_waitcnt vmcnt(7)
	v_lshlrev_b32_e32 v19, 16, v152
	s_waitcnt vmcnt(6)
	v_lshlrev_b32_e32 v18, 16, v153
	v_accvgpr_read_b32 v20, a12
	v_accvgpr_read_b32 v22, a14
	v_pk_add_f32 v[18:19], v[18:19], v[20:21] neg_lo:[0,1] neg_hi:[0,1]
	s_waitcnt vmcnt(5)
	v_lshlrev_b32_e32 v21, 16, v154
	s_waitcnt vmcnt(4)
	v_lshlrev_b32_e32 v20, 16, v155
	v_pk_add_f32 v[20:21], v[20:21], v[22:23] neg_lo:[0,1] neg_hi:[0,1]
	v_pk_mul_f32 v[18:19], v[26:27], v[18:19]
	v_pk_mul_f32 v[20:21], v[28:29], v[20:21]
	v_accvgpr_read_b32 v23, a1
	v_perm_b32 v21, v21, v20, s37
	v_perm_b32 v20, v19, v18, s37
	s_waitcnt vmcnt(3)
	v_lshlrev_b32_e32 v19, 16, v38
	s_waitcnt vmcnt(2)
	v_lshlrev_b32_e32 v18, 16, v39
	v_accvgpr_read_b32 v22, a0
	v_pk_add_f32 v[18:19], v[18:19], v[22:23] neg_lo:[0,1] neg_hi:[0,1]
	s_waitcnt vmcnt(1)
	v_lshlrev_b32_e32 v23, 16, v156
	s_waitcnt vmcnt(0)
	v_lshlrev_b32_e32 v22, 16, v157
	v_pk_add_f32 v[22:23], v[22:23], v[24:25] neg_lo:[0,1] neg_hi:[0,1]
	v_pk_mul_f32 v[18:19], v[26:27], v[18:19]
	v_pk_mul_f32 v[22:23], v[28:29], v[22:23]
	v_mov_b32_e32 v24, 0
	v_perm_b32 v23, v23, v22, s37
	v_perm_b32 v22, v19, v18, s37
	ds_write2_b64 v98, v[20:21], v[22:23] offset0:32 offset1:48
	v_mov_b32_e32 v18, 0
	v_mov_b32_e32 v19, 0
	v_mov_b32_e32 v20, 0
	v_mov_b32_e32 v21, 0
	v_mov_b32_e32 v22, 0
	v_mov_b32_e32 v23, 0
	v_mov_b32_e32 v25, 0
	v_mov_b32_e32 v26, 0
	v_mov_b32_e32 v27, 0
	v_mov_b32_e32 v28, 0
	v_mov_b32_e32 v29, 0
	v_mov_b32_e32 v30, 0
	v_mov_b32_e32 v31, 0
	v_mov_b32_e32 v32, 0
	v_mov_b32_e32 v33, 0
	s_cbranch_vccnz .LBB14_15
; %bb.14:                               ;   in Loop: Header=BB14_7 Depth=1
	s_and_b32 s25, s25, 0xffff
	s_mov_b32 s27, s23
	buffer_load_dwordx4 v[30:33], v131, s[24:27], 0 offen
	buffer_load_dwordx4 v[22:25], v131, s[24:27], s59 offen
	;; [unrolled: 1-line block ×4, first 2 shown]
	v_mov_b32_e32 v146, v92
	v_mov_b32_e32 v147, v91
.LBB14_15:                              ;   in Loop: Header=BB14_7 Depth=1
	s_waitcnt lgkmcnt(0)
	s_barrier
	ds_read_b64 v[42:43], v136
	ds_read2_b64 v[34:37], v127 offset1:16
	ds_read_b64 v[164:165], v137
	ds_read_b64 v[166:167], v138
	;; [unrolled: 1-line block ×3, first 2 shown]
	ds_read2_b64 v[38:41], v127 offset0:32 offset1:48
	ds_read2st64_b64 v[148:151], v127 offset0:4 offset1:8
	ds_read2st64_b64 v[152:155], v128 offset0:4 offset1:8
	;; [unrolled: 1-line block ×4, first 2 shown]
	s_waitcnt lgkmcnt(8)
	v_mfma_f32_16x16x16_bf16 a[0:3], v[42:43], v[34:35], 0
	s_add_i32 s21, s53, s67
	s_mul_hi_i32 s25, s21, s13
	s_mul_i32 s21, s21, s13
	v_mfma_f32_16x16x16_bf16 a[4:7], v[42:43], v[36:37], 0
	s_add_u32 s24, s21, s33
	s_addc_u32 s25, s25, s57
	s_add_i32 s21, s3, s60
	s_waitcnt lgkmcnt(4)
	v_mfma_f32_16x16x16_bf16 a[8:11], v[42:43], v[38:39], 0
	s_lshl_b64 s[24:25], s[24:25], 15
	s_mul_hi_i32 s27, s21, s13
	s_mul_i32 s21, s21, s13
	v_mfma_f32_16x16x16_bf16 a[12:15], v[42:43], v[40:41], 0
	ds_read_b64 v[42:43], v127 offset:6144
	ds_read_b64 v[176:177], v128 offset:6144
	;; [unrolled: 1-line block ×4, first 2 shown]
	s_add_u32 s44, s21, s33
	s_waitcnt lgkmcnt(7)
	v_mfma_f32_16x16x16_bf16 a[0:3], v[164:165], v[148:149], a[0:3]
	s_addc_u32 s45, s27, s57
	s_lshl_b64 s[44:45], s[44:45], 9
	s_add_u32 s44, s30, s44
	s_waitcnt lgkmcnt(6)
	v_mfma_f32_16x16x16_bf16 a[4:7], v[164:165], v[152:153], a[4:7]
	s_addc_u32 s45, s31, s45
	v_lshl_add_u64 v[186:187], v[82:83], 0, s[24:25]
	s_waitcnt lgkmcnt(5)
	v_mfma_f32_16x16x16_bf16 a[8:11], v[164:165], v[156:157], a[8:11]
	s_waitcnt lgkmcnt(4)
	v_mfma_f32_16x16x16_bf16 a[12:15], v[164:165], v[160:161], a[12:15]
	ds_read_b64 v[164:165], v141
	ds_read_b64 v[174:175], v142
	;; [unrolled: 1-line block ×3, first 2 shown]
	s_waitcnt lgkmcnt(2)
	v_mfma_f32_16x16x16_bf16 a[16:19], v[164:165], v[34:35], 0
	v_mfma_f32_16x16x16_bf16 a[20:23], v[164:165], v[36:37], 0
	global_load_dwordx4 v[34:37], v140, s[44:45]
	v_mfma_f32_16x16x16_bf16 a[24:27], v[164:165], v[38:39], 0
	v_mfma_f32_16x16x16_bf16 a[28:31], v[164:165], v[40:41], 0
	global_load_dwordx4 v[38:41], v135, s[44:45]
	v_mfma_f32_16x16x16_bf16 a[0:3], v[166:167], v[150:151], a[0:3]
	v_mfma_f32_16x16x16_bf16 a[4:7], v[166:167], v[154:155], a[4:7]
	;; [unrolled: 1-line block ×8, first 2 shown]
	ds_read2st64_b64 v[164:167], v125 offset1:8
	ds_read2st64_b64 v[168:171], v126 offset1:8
	ds_read_b64 v[184:185], v133 offset:40960
	s_waitcnt lgkmcnt(2)
	v_mov_b32_e32 v172, v164
	v_mfma_f32_16x16x16_bf16 a[16:19], v[174:175], v[148:149], a[16:19]
	v_mov_b32_e32 v173, v165
	v_mfma_f32_16x16x16_bf16 a[20:23], v[174:175], v[152:153], a[20:23]
	v_mfma_f32_16x16x16_bf16 a[24:27], v[174:175], v[156:157], a[24:27]
	;; [unrolled: 1-line block ×3, first 2 shown]
	v_add_co_u32_e32 v160, vcc, s64, v186
	s_waitcnt lgkmcnt(1)
	v_mov_b32_e32 v174, v168
	s_waitcnt lgkmcnt(0)
	v_mfma_f32_16x16x16_bf16 a[16:19], v[184:185], v[150:151], a[16:19]
	ds_read2st64_b64 v[148:151], v125 offset0:16 offset1:24
	v_addc_co_u32_e32 v161, vcc, 0, v187, vcc
	v_mfma_f32_16x16x16_bf16 a[32:35], v[184:185], v[154:155], a[20:23]
	ds_read2st64_b64 v[152:155], v126 offset0:16 offset1:24
	v_mov_b32_e32 v175, v169
	v_mov_b32_e32 v168, v166
	v_mfma_f32_16x16x16_bf16 a[24:27], v[184:185], v[158:159], a[24:27]
	v_mov_b32_e32 v169, v167
	s_waitcnt lgkmcnt(0)
	v_mov_b32_e32 v158, v152
	v_mov_b32_e32 v159, v153
	v_mfma_f32_16x16x16_bf16 a[36:39], v[184:185], v[162:163], a[28:31]
	v_mov_b32_e32 v152, v150
	v_mov_b32_e32 v153, v151
	;; [unrolled: 1-line block ×3, first 2 shown]
	v_mfma_f32_16x16x16_bf16 a[20:23], v[182:183], v[42:43], a[16:19]
	v_add_co_u32_e32 v42, vcc, s65, v186
	v_mov_b32_e32 v157, v149
	v_mfma_f32_16x16x16_bf16 a[28:31], v[182:183], v[176:177], a[32:35]
	v_addc_co_u32_e32 v43, vcc, 0, v187, vcc
	global_store_dwordx4 v[42:43], v[152:155], off
	v_mfma_f32_16x16x16_bf16 a[16:19], v[182:183], v[178:179], a[24:27]
	s_waitcnt vmcnt(2)
	v_mov_b32_e32 v44, v37
	v_mov_b32_e32 v43, v36
	;; [unrolled: 1-line block ×3, first 2 shown]
	v_mfma_f32_16x16x16_bf16 a[24:27], v[182:183], v[180:181], a[36:39]
	s_and_b64 vcc, exec, s[0:1]
	global_store_dwordx4 v[186:187], v[172:175], off
	global_store_dwordx4 v[160:161], v[168:171], off offset:-4096
	global_store_dwordx4 v[160:161], v[156:159], off
	s_cbranch_vccnz .LBB14_6
; %bb.16:                               ;   in Loop: Header=BB14_7 Depth=1
	v_lshrrev_b32_e32 v35, 3, v146
	v_and_b32_e32 v35, 6, v35
	v_xor_b32_e32 v36, v35, v147
	v_lshlrev_b32_e32 v36, 2, v36
	v_and_b32_e32 v37, 8, v146
	v_xor_b32_e32 v146, 0x440, v36
	v_cmp_eq_u32_e32 vcc, 0, v37
	v_perm_b32 v37, v22, v18, s61
	s_nop 0
	v_cndmask_b32_e32 v36, v146, v36, vcc
	v_lshl_or_b32 v35, v35, 10, v36
	v_perm_b32 v36, v30, v26, s61
	s_barrier
	ds_write2st64_b32 v35, v36, v37 offset0:128 offset1:160
	v_xor_b32_e32 v36, 8, v35
	v_perm_b32 v26, v30, v26, s62
	v_perm_b32 v18, v22, v18, s62
	v_add_u32_e32 v22, 0x80, v36
	ds_write2st64_b32 v22, v26, v18 offset0:128 offset1:160
	v_xor_b32_e32 v18, 16, v35
	v_perm_b32 v22, v31, v27, s61
	v_perm_b32 v26, v23, v19, s61
	ds_write2st64_b32 v18, v22, v26 offset0:129 offset1:161
	v_xor_b32_e32 v18, 24, v35
	v_perm_b32 v22, v31, v27, s62
	v_perm_b32 v19, v23, v19, s62
	v_add_u32_e32 v18, 0x80, v18
	ds_write2st64_b32 v18, v22, v19 offset0:129 offset1:161
	v_xor_b32_e32 v18, 32, v35
	v_perm_b32 v19, v32, v28, s61
	v_perm_b32 v22, v24, v20, s61
	ds_write2st64_b32 v18, v19, v22 offset0:130 offset1:162
	v_xor_b32_e32 v18, 40, v35
	v_perm_b32 v19, v32, v28, s62
	v_perm_b32 v20, v24, v20, s62
	v_add_u32_e32 v18, 0x80, v18
	ds_write2st64_b32 v18, v19, v20 offset0:130 offset1:162
	v_xor_b32_e32 v18, 48, v35
	v_perm_b32 v19, v33, v29, s61
	v_perm_b32 v20, v25, v21, s61
	ds_write2st64_b32 v18, v19, v20 offset0:131 offset1:163
	v_xor_b32_e32 v18, 56, v35
	v_perm_b32 v19, v33, v29, s62
	v_perm_b32 v20, v25, v21, s62
	v_add_u32_e32 v18, 0x80, v18
	ds_write2st64_b32 v18, v19, v20 offset0:131 offset1:163
	ds_write_b64 v145, v[14:15] offset:49152
	v_xor_b32_e32 v14, 8, v145
	ds_write_b64 v14, v[16:17] offset:49152
	ds_write_b64 v145, v[10:11] offset:57344
	;; [unrolled: 1-line block ×4, first 2 shown]
	v_xor_b32_e32 v6, 8, v144
	ds_write_b64 v6, v[8:9] offset:49152
	ds_write_b64 v144, v[2:3] offset:57344
	;; [unrolled: 1-line block ×3, first 2 shown]
	s_branch .LBB14_6
.LBB14_17:
	s_lshl_b32 s44, s51, 6
	s_sub_i32 s45, s12, s44
	s_cmp_gt_i32 s45, 0
	v_or_b32_e32 v18, s2, v87
	s_cbranch_scc1 .LBB14_19
; %bb.18:
	s_ashr_i32 s0, s33, 31
	s_add_u32 s24, s48, s33
	s_addc_u32 s25, s54, s0
	v_or_b32_e32 v2, s2, v87
	s_cbranch_execz .LBB14_20
	s_branch .LBB14_100
.LBB14_19:
                                        ; implicit-def: $sgpr24_sgpr25
                                        ; implicit-def: $vgpr2
.LBB14_20:
	s_ashr_i32 s37, s50, 31
	s_ashr_i32 s3, s44, 31
	s_cmpk_lg_i32 s15, 0x80
	s_cselect_b64 s[40:41], -1, 0
	s_and_b64 vcc, exec, s[40:41]
	s_cbranch_vccz .LBB14_22
; %bb.21:
	s_mul_hi_i32 s0, s50, s12
	s_add_u32 s1, s46, s44
	s_addc_u32 s0, s0, s3
	s_mul_i32 s20, s1, s52
	s_mul_hi_u32 s21, s1, s14
	s_add_i32 s20, s21, s20
	s_mul_i32 s0, s0, s14
	s_add_i32 s20, s20, s0
	s_mul_i32 s1, s1, s14
	s_ashr_i32 s0, s55, 31
	s_add_u32 s42, s1, s55
	s_addc_u32 s43, s20, s0
	s_cbranch_execz .LBB14_23
	s_branch .LBB14_24
.LBB14_22:
                                        ; implicit-def: $sgpr42_sgpr43
.LBB14_23:
	s_mul_hi_i32 s0, s50, s14
	s_mul_i32 s50, s50, s14
	s_ashr_i32 s1, s55, 31
	s_add_u32 s14, s50, s55
	s_addc_u32 s0, s0, s1
	s_mul_i32 s1, s14, s49
	s_mul_hi_u32 s20, s14, s12
	s_add_i32 s1, s20, s1
	s_mul_i32 s0, s0, s12
	s_add_i32 s1, s1, s0
	s_mul_i32 s14, s14, s12
	s_add_u32 s42, s14, s44
	s_addc_u32 s43, s1, s3
.LBB14_24:
	s_add_i32 s20, s53, s51
	s_ashr_i32 s14, s33, 31
	s_add_u32 s24, s48, s33
	s_addc_u32 s25, s54, s14
	s_mul_i32 s0, s24, s49
	s_mul_hi_u32 s1, s24, s12
	s_add_i32 s0, s1, s0
	s_mul_i32 s1, s25, s12
	s_add_i32 s1, s0, s1
	s_mul_i32 s0, s24, s12
	s_add_u32 s0, s0, s44
	v_lshlrev_b32_e32 v6, 6, v1
	v_lshlrev_b32_e32 v26, 2, v87
	s_addc_u32 s1, s1, s3
	s_mov_b32 s3, 0x7060302
	v_or_b32_e32 v9, v6, v26
	v_xor_b32_e32 v7, v1, v26
	v_perm_b32 v3, v77, v76, s3
	v_perm_b32 v2, v75, v74, s3
	;; [unrolled: 1-line block ×4, first 2 shown]
	v_lshlrev_b32_e32 v9, 1, v9
	v_xor_b32_e32 v8, v90, v26
	ds_write2st64_b64 v9, v[2:3], v[4:5] offset0:32 offset1:48
	v_lshlrev_b32_e32 v7, 1, v7
	v_lshlrev_b32_e32 v9, 8, v87
	v_or_b32_e32 v10, v7, v9
	v_lshlrev_b32_e32 v8, 1, v8
	ds_write_b64 v10, v[2:3]
	v_or_b32_e32 v2, v8, v9
	v_or_b32_e32 v9, 16, v87
	v_lshlrev_b32_e32 v25, 2, v9
	v_or_b32_e32 v10, v6, v25
	ds_write_b64 v2, v[4:5]
	v_perm_b32 v3, v69, v68, s3
	v_perm_b32 v2, v67, v66, s3
	;; [unrolled: 1-line block ×4, first 2 shown]
	v_lshlrev_b32_e32 v10, 1, v10
	v_lshlrev_b32_e32 v9, 8, v9
	ds_write2st64_b64 v10, v[2:3], v[4:5] offset0:32 offset1:48
	v_or_b32_e32 v10, v7, v9
	ds_write_b64 v10, v[2:3]
	v_or_b32_e32 v2, v8, v9
	v_or_b32_e32 v9, 32, v87
	v_lshlrev_b32_e32 v24, 2, v9
	v_or_b32_e32 v10, v6, v24
	ds_write_b64 v2, v[4:5]
	v_perm_b32 v3, v61, v60, s3
	v_perm_b32 v2, v59, v58, s3
	;; [unrolled: 1-line block ×4, first 2 shown]
	v_lshlrev_b32_e32 v10, 1, v10
	v_lshlrev_b32_e32 v9, 8, v9
	s_lshl_b64 s[26:27], s[0:1], 8
	ds_write2st64_b64 v10, v[2:3], v[4:5] offset0:32 offset1:48
	v_or_b32_e32 v10, v7, v9
	s_add_u32 s0, s6, s26
	ds_write_b64 v10, v[2:3]
	v_or_b32_e32 v2, v8, v9
	s_addc_u32 s1, s7, s27
	ds_write_b64 v2, v[4:5]
	v_perm_b32 v3, v53, v52, s3
	v_perm_b32 v2, v51, v50, s3
	;; [unrolled: 1-line block ×4, first 2 shown]
	v_or_b32_e32 v9, 48, v87
	s_mul_hi_i32 s3, s20, s13
	s_mul_i32 s20, s20, s13
	v_lshlrev_b32_e32 v21, 2, v9
	s_add_u32 s6, s20, s33
	v_or_b32_e32 v6, v6, v21
	s_addc_u32 s7, s3, s14
	v_lshlrev_b32_e32 v6, 1, v6
	s_ashr_i32 s3, s2, 31
	s_lshl_b64 s[6:7], s[6:7], 15
	ds_write2st64_b64 v6, v[2:3], v[4:5] offset0:32 offset1:48
	v_lshlrev_b32_e32 v6, 8, v9
	s_waitcnt lgkmcnt(0)
	s_add_u32 s6, s38, s6
	v_or_b32_e32 v7, v7, v6
	s_addc_u32 s7, s39, s7
	s_lshl_b64 s[2:3], s[2:3], 8
	ds_write_b64 v7, v[2:3]
	v_or_b32_e32 v2, v8, v6
	s_add_u32 s2, s6, s2
	v_lshlrev_b32_e32 v3, 1, v87
	ds_write_b64 v2, v[4:5]
	v_lshrrev_b32_e32 v2, 4, v0
	s_addc_u32 s3, s7, s3
	v_or_b32_e32 v4, 1, v3
	v_lshlrev_b32_e32 v10, 4, v87
	v_mov_b32_e32 v11, 0
	v_xor_b32_e32 v3, v2, v3
	v_xor_b32_e32 v6, v4, v2
	v_lshl_add_u64 v[12:13], s[2:3], 0, v[10:11]
	v_lshlrev_b32_e32 v10, 8, v2
	v_lshl_or_b32 v16, v3, 3, v10
	v_lshl_or_b32 v17, v6, 3, v10
	s_waitcnt lgkmcnt(0)
	s_barrier
	ds_read2st64_b64 v[2:5], v16 offset1:8
	ds_read2st64_b64 v[6:9], v17 offset1:8
	v_lshl_add_u64 v[14:15], v[12:13], 0, v[10:11]
	s_movk_i32 s2, 0x2000
	s_cmp_lg_u32 s45, 64
	s_waitcnt lgkmcnt(1)
	v_mov_b32_e32 v10, v2
	v_mov_b32_e32 v11, v3
	s_waitcnt lgkmcnt(0)
	v_mov_b32_e32 v12, v6
	v_mov_b32_e32 v13, v7
	global_store_dwordx4 v[14:15], v[10:13], off
	v_mov_b32_e32 v6, v4
	v_mov_b32_e32 v7, v5
	ds_read2st64_b64 v[2:5], v16 offset0:16 offset1:24
	ds_read2st64_b64 v[10:13], v17 offset0:16 offset1:24
	v_add_co_u32_e32 v16, vcc, s2, v14
	s_cselect_b64 s[6:7], -1, 0
	s_nop 0
	v_addc_co_u32_e32 v17, vcc, 0, v15, vcc
	global_store_dwordx4 v[16:17], v[6:9], off offset:-4096
	v_lshl_or_b32 v19, v45, 3, v89
	s_mov_b32 s20, 0
	s_waitcnt lgkmcnt(1)
	v_mov_b32_e32 v6, v2
	v_add_co_u32_e32 v2, vcc, 0x3000, v14
	v_mov_b32_e32 v7, v3
	s_nop 0
	v_addc_co_u32_e32 v3, vcc, 0, v15, vcc
	s_waitcnt lgkmcnt(0)
	v_mov_b32_e32 v8, v10
	v_mov_b32_e32 v9, v11
	;; [unrolled: 1-line block ×4, first 2 shown]
	v_or_b32_e32 v22, 32, v19
	v_and_b32_e32 v20, 56, v88
	s_and_b64 vcc, exec, s[6:7]
	global_store_dwordx4 v[16:17], v[6:9], off
	global_store_dwordx4 v[2:3], v[10:13], off
	s_cbranch_vccz .LBB14_30
; %bb.25:
	s_mov_b32 s21, s20
	s_mov_b32 s22, s20
	;; [unrolled: 1-line block ×3, first 2 shown]
	v_mov_b64_e32 v[6:7], s[20:21]
	v_mov_b64_e32 v[8:9], s[22:23]
	v_mov_b64_e32 v[2:3], v[6:7]
	v_cmp_gt_i32_e32 vcc, s45, v19
	v_mov_b64_e32 v[4:5], v[8:9]
	s_and_saveexec_b64 s[2:3], vcc
	s_cbranch_execz .LBB14_27
; %bb.26:
	v_lshlrev_b32_e32 v2, 8, v19
	v_mov_b32_e32 v3, 0
	v_lshl_add_u64 v[4:5], s[0:1], 0, v[2:3]
	v_lshlrev_b32_e32 v2, 1, v20
	v_lshl_add_u64 v[10:11], v[4:5], 0, v[2:3]
	global_load_dwordx4 v[6:9], v[10:11], off
	global_load_dwordx4 v[2:5], v[10:11], off offset:128
.LBB14_27:
	s_or_b64 exec, exec, s[2:3]
	s_mov_b32 s21, s20
	s_mov_b32 s22, s20
	;; [unrolled: 1-line block ×3, first 2 shown]
	v_mov_b64_e32 v[14:15], s[20:21]
	v_mov_b64_e32 v[16:17], s[22:23]
	;; [unrolled: 1-line block ×3, first 2 shown]
	v_cmp_gt_i32_e32 vcc, s45, v22
	v_lshlrev_b32_e32 v23, 7, v22
	v_mov_b64_e32 v[12:13], v[16:17]
	s_and_saveexec_b64 s[2:3], vcc
	s_cbranch_execz .LBB14_29
; %bb.28:
	v_lshlrev_b32_e32 v10, 1, v23
	v_mov_b32_e32 v11, 0
	v_lshl_add_u64 v[12:13], s[0:1], 0, v[10:11]
	v_lshlrev_b32_e32 v10, 1, v20
	v_lshl_add_u64 v[28:29], v[12:13], 0, v[10:11]
	global_load_dwordx4 v[14:17], v[28:29], off
	global_load_dwordx4 v[10:13], v[28:29], off offset:128
.LBB14_29:
	s_or_b64 exec, exec, s[2:3]
	v_lshrrev_b32_e32 v27, 3, v20
	v_lshlrev_b32_e32 v28, 3, v19
	v_or_b32_e32 v27, v28, v27
	v_lshlrev_b32_e32 v27, 4, v27
	v_and_b32_e32 v28, 0x78, v28
	v_xor_b32_e32 v27, v27, v28
	s_branch .LBB14_32
.LBB14_30:
                                        ; implicit-def: $vgpr27
                                        ; implicit-def: $vgpr23
                                        ; implicit-def: $vgpr6_vgpr7_vgpr8_vgpr9
                                        ; implicit-def: $vgpr2_vgpr3_vgpr4_vgpr5
                                        ; implicit-def: $vgpr14_vgpr15_vgpr16_vgpr17
                                        ; implicit-def: $vgpr10_vgpr11_vgpr12_vgpr13
	s_cbranch_execz .LBB14_32
; %bb.31:
	s_waitcnt vmcnt(0)
	v_lshlrev_b32_e32 v2, 1, v20
	v_lshl_or_b32 v23, v19, 8, v2
	s_and_b32 s1, s1, 0xffff
	s_mov_b32 s3, 0x20000
	s_movk_i32 s2, 0x4000
	v_lshl_or_b32 v27, v22, 8, v2
	s_movk_i32 s20, 0x80
	buffer_load_dwordx4 v[6:9], v23, s[0:3], 0 offen
	buffer_load_dwordx4 v[2:5], v23, s[0:3], s20 offen
	;; [unrolled: 1-line block ×4, first 2 shown]
	v_lshrrev_b32_e32 v23, 3, v20
	v_lshlrev_b32_e32 v27, 3, v19
	v_or_b32_e32 v23, v27, v23
	v_lshlrev_b32_e32 v23, 4, v23
	v_and_b32_e32 v27, 0x78, v27
	v_xor_b32_e32 v27, v23, v27
	v_lshlrev_b32_e32 v23, 7, v22
.LBB14_32:
	s_movk_i32 s0, 0x1000
	v_and_or_b32 v22, v23, s0, v27
	s_waitcnt vmcnt(1)
	ds_write_b64 v27, v[6:7] offset:49152
	v_xor_b32_e32 v6, 8, v27
	ds_write_b64 v6, v[8:9] offset:49152
	s_waitcnt vmcnt(0)
	ds_write_b64 v27, v[2:3] offset:57344
	ds_write_b64 v6, v[4:5] offset:57344
	;; [unrolled: 1-line block ×3, first 2 shown]
	v_xor_b32_e32 v2, 8, v22
	ds_write_b64 v2, v[16:17] offset:49152
	ds_write_b64 v22, v[10:11] offset:57344
	;; [unrolled: 1-line block ×3, first 2 shown]
	v_or_b32_e32 v2, v84, v87
	v_lshlrev_b32_e32 v2, 3, v2
	v_lshrrev_b32_e32 v3, 5, v85
	s_movk_i32 s0, 0xf8
	v_and_or_b32 v3, v2, s0, v3
	v_lshlrev_b32_e32 v7, 4, v3
	v_lshlrev_b32_e32 v27, 11, v45
	v_and_b32_e32 v8, 0x78, v2
	v_or_b32_e32 v10, 32, v7
	v_and_b32_e32 v6, 0x1000, v27
	v_lshrrev_b32_e32 v3, 1, v85
	v_xor_b32_e32 v10, v10, v8
	v_xor_b32_e32 v2, v7, v8
	v_and_b32_e32 v9, 8, v3
	v_or_b32_e32 v10, v10, v6
	v_or_b32_e32 v2, v2, v6
	v_xor_b32_e32 v33, v10, v9
	v_or_b32_e32 v10, 64, v7
	v_xor_b32_e32 v32, v2, v9
	v_xor_b32_e32 v10, v10, v8
	s_waitcnt lgkmcnt(0)
	s_barrier
	v_or_b32_e32 v13, v10, v6
	ds_read_b64 v[10:11], v32 offset:49152
	v_lshl_or_b32 v14, v86, 8, v26
	v_lshlrev_b32_e32 v28, 1, v14
	v_add_u32_e32 v12, 0x4000, v28
	ds_read2_b64 v[2:5], v12 offset1:16
	v_or_b32_e32 v7, 0x60, v7
	v_xor_b32_e32 v7, v7, v8
	v_or_b32_e32 v6, v7, v6
	v_xor_b32_e32 v34, v13, v9
	v_xor_b32_e32 v35, v6, v9
	ds_read_b64 v[22:23], v33 offset:49152
	ds_read_b64 v[36:37], v34 offset:49152
	ds_read_b64 v[38:39], v35 offset:49152
	s_waitcnt lgkmcnt(3)
	v_mfma_f32_16x16x16_bf16 a[0:3], v[10:11], v[2:3], 0
	ds_read2_b64 v[6:9], v12 offset0:32 offset1:48
	s_lshl_b64 s[0:1], s[42:43], 8
	s_add_u32 s4, s4, s0
	v_mfma_f32_16x16x16_bf16 a[4:7], v[10:11], v[4:5], 0
	ds_read2st64_b64 v[2:5], v28 offset0:36 offset1:40
	s_addc_u32 s5, s5, s1
	s_add_i32 s20, s12, -1
	s_waitcnt lgkmcnt(1)
	v_mfma_f32_16x16x16_bf16 a[8:11], v[10:11], v[6:7], 0
	v_or_b32_e32 v6, 64, v14
	v_lshlrev_b32_e32 v29, 1, v6
	s_add_i32 s0, s47, s17
	s_waitcnt lgkmcnt(0)
	v_mfma_f32_16x16x16_bf16 a[0:3], v[22:23], v[2:3], a[0:3]
	v_or_b32_e32 v2, 0x80, v14
	v_lshlrev_b32_e32 v30, 1, v2
	v_or_b32_e32 v2, 0xc0, v14
	v_mfma_f32_16x16x16_bf16 a[12:15], v[10:11], v[8:9], 0
	ds_read2st64_b64 v[6:9], v29 offset0:36 offset1:40
	v_lshlrev_b32_e32 v31, 1, v2
	ds_read2st64_b64 v[10:13], v30 offset0:36 offset1:40
	ds_read2st64_b64 v[14:17], v31 offset0:36 offset1:40
	s_mul_i32 s37, s37, s16
	s_add_i32 s37, s0, s37
	s_mul_i32 s0, s33, s19
	s_mul_hi_u32 s1, s33, s18
	s_ashr_i32 s2, s20, 31
	s_mul_i32 s3, s20, s35
	s_mul_hi_u32 s12, s20, s34
	s_waitcnt lgkmcnt(2)
	v_mfma_f32_16x16x16_bf16 a[4:7], v[22:23], v[6:7], a[4:7]
	s_add_i32 s0, s1, s0
	s_mul_i32 s1, s14, s18
	s_add_i32 s3, s12, s3
	s_mul_i32 s2, s2, s34
	s_waitcnt lgkmcnt(1)
	v_mfma_f32_16x16x16_bf16 a[8:11], v[22:23], v[10:11], a[8:11]
	s_add_i32 s1, s0, s1
	s_add_i32 s3, s3, s2
	s_lshl_b64 s[16:17], s[36:37], 2
	s_waitcnt lgkmcnt(0)
	v_mfma_f32_16x16x16_bf16 a[12:15], v[22:23], v[14:15], a[12:15]
	s_mul_i32 s0, s33, s18
	s_add_u32 s10, s10, s16
	s_addc_u32 s11, s11, s17
	s_lshl_b64 s[0:1], s[0:1], 2
	v_mfma_f32_16x16x16_bf16 a[0:3], v[36:37], v[4:5], a[0:3]
	s_mul_i32 s2, s20, s34
	ds_read_b64 v[2:3], v28 offset:22528
	s_add_u32 s10, s10, s0
	v_mfma_f32_16x16x16_bf16 a[4:7], v[36:37], v[8:9], a[4:7]
	ds_read_b64 v[4:5], v29 offset:22528
	ds_read_b64 v[6:7], v30 offset:22528
	;; [unrolled: 1-line block ×3, first 2 shown]
	s_addc_u32 s11, s11, s1
	s_lshl_b64 s[0:1], s[2:3], 2
	v_mfma_f32_16x16x16_bf16 a[8:11], v[36:37], v[12:13], a[8:11]
	s_add_u32 s0, s10, s0
	s_addc_u32 s1, s11, s1
	s_load_dword s12, s[0:1], 0x0
	v_mfma_f32_16x16x16_bf16 a[12:15], v[36:37], v[16:17], a[12:15]
	s_and_b64 vcc, exec, s[40:41]
	s_waitcnt lgkmcnt(0)
	v_mfma_f32_16x16x16_bf16 a[0:3], v[38:39], v[2:3], a[0:3]
	v_mfma_f32_16x16x16_bf16 a[4:7], v[38:39], v[4:5], a[4:7]
	;; [unrolled: 1-line block ×4, first 2 shown]
	s_cbranch_vccz .LBB14_43
; %bb.33:
	v_lshlrev_b32_e32 v22, 1, v19
	s_and_b64 vcc, exec, s[6:7]
	s_cbranch_vccz .LBB14_44
; %bb.34:
	v_cmp_gt_i32_e32 vcc, s45, v22
	v_mov_b32_e32 v6, 0
	v_mov_b32_e32 v2, 0
	;; [unrolled: 1-line block ×5, first 2 shown]
	s_and_saveexec_b64 s[0:1], vcc
	s_cbranch_execz .LBB14_36
; %bb.35:
	v_mad_i64_i32 v[2:3], s[2:3], s15, v22, 0
	v_lshl_add_u64 v[2:3], v[2:3], 1, s[4:5]
	v_lshlrev_b32_e32 v4, 1, v20
	v_mov_b32_e32 v5, 0
	v_lshl_add_u64 v[2:3], v[2:3], 0, v[4:5]
	global_load_dwordx4 v[2:5], v[2:3], off
.LBB14_36:
	s_or_b64 exec, exec, s[0:1]
	v_or_b32_e32 v23, 1, v22
	v_cmp_gt_i32_e64 s[0:1], s45, v23
	v_mov_b32_e32 v7, 0
	v_mov_b32_e32 v8, 0
	;; [unrolled: 1-line block ×3, first 2 shown]
	s_and_saveexec_b64 s[2:3], s[0:1]
	s_cbranch_execz .LBB14_38
; %bb.37:
	v_mad_i64_i32 v[6:7], s[16:17], s15, v23, 0
	v_lshl_add_u64 v[6:7], v[6:7], 1, s[4:5]
	v_lshlrev_b32_e32 v8, 1, v20
	v_mov_b32_e32 v9, 0
	v_lshl_add_u64 v[6:7], v[6:7], 0, v[8:9]
	global_load_dwordx4 v[6:9], v[6:7], off
.LBB14_38:
	s_or_b64 exec, exec, s[2:3]
	v_mov_b32_e32 v17, 0
	v_mov_b32_e32 v10, 0
	;; [unrolled: 1-line block ×5, first 2 shown]
	s_and_saveexec_b64 s[2:3], vcc
	s_cbranch_execz .LBB14_40
; %bb.39:
	v_mad_i64_i32 v[10:11], s[16:17], s15, v22, 0
	v_lshl_add_u64 v[10:11], v[10:11], 1, s[4:5]
	v_lshlrev_b32_e32 v12, 1, v20
	v_mov_b32_e32 v13, 0
	v_lshl_add_u64 v[10:11], v[10:11], 0, v[12:13]
	global_load_dwordx4 v[10:13], v[10:11], off offset:128
.LBB14_40:
	s_or_b64 exec, exec, s[2:3]
	v_mov_b32_e32 v16, 0
	v_mov_b32_e32 v15, 0
	;; [unrolled: 1-line block ×3, first 2 shown]
	s_and_saveexec_b64 s[2:3], s[0:1]
	s_cbranch_execz .LBB14_42
; %bb.41:
	v_mad_i64_i32 v[14:15], s[0:1], s15, v23, 0
	v_lshl_add_u64 v[14:15], v[14:15], 1, s[4:5]
	v_lshlrev_b32_e32 v16, 1, v20
	v_mov_b32_e32 v17, 0
	v_lshl_add_u64 v[14:15], v[14:15], 0, v[16:17]
	global_load_dwordx4 v[14:17], v[14:15], off offset:128
.LBB14_42:
	s_or_b64 exec, exec, s[2:3]
	s_branch .LBB14_46
.LBB14_43:
                                        ; implicit-def: $vgpr5
                                        ; implicit-def: $vgpr9
                                        ; implicit-def: $vgpr13
                                        ; implicit-def: $vgpr17
	v_lshrrev_b32_e32 v36, 2, v85
	s_branch .LBB14_47
.LBB14_44:
                                        ; implicit-def: $vgpr5
                                        ; implicit-def: $vgpr9
                                        ; implicit-def: $vgpr13
                                        ; implicit-def: $vgpr17
	s_cbranch_execz .LBB14_46
; %bb.45:
	s_waitcnt vmcnt(0)
	v_mad_u64_u32 v[2:3], s[0:1], v22, s15, v[20:21]
	v_lshlrev_b32_e32 v22, 1, v2
	s_lshl_b32 s2, s15, 7
	s_and_b32 s1, s5, 0xffff
	s_mov_b32 s3, 0x20000
	s_mov_b32 s0, s4
	v_add_lshl_u32 v23, v2, s15, 1
	s_movk_i32 s15, 0x80
	buffer_load_dwordx4 v[2:5], v22, s[0:3], 0 offen
	buffer_load_dwordx4 v[10:13], v22, s[0:3], s15 offen
	;; [unrolled: 1-line block ×4, first 2 shown]
.LBB14_46:
	v_lshrrev_b32_e32 v36, 2, v85
	s_cbranch_execnz .LBB14_59
.LBB14_47:
	s_and_b64 vcc, exec, s[6:7]
	s_cbranch_vccz .LBB14_57
; %bb.48:
	s_waitcnt vmcnt(0)
	v_lshlrev_b32_e32 v7, 1, v19
	v_cmp_gt_i32_e32 vcc, s45, v7
	v_mov_b32_e32 v6, 0
	v_lshlrev_b32_e32 v14, 9, v19
	v_mov_b32_e32 v2, 0
	v_mov_b32_e32 v3, 0
	;; [unrolled: 1-line block ×4, first 2 shown]
	s_and_saveexec_b64 s[0:1], vcc
	s_cbranch_execz .LBB14_50
; %bb.49:
	v_mov_b32_e32 v15, 0
	v_lshl_add_u64 v[2:3], s[4:5], 0, v[14:15]
	v_lshlrev_b32_e32 v4, 1, v20
	v_mov_b32_e32 v5, v15
	v_lshl_add_u64 v[2:3], v[2:3], 0, v[4:5]
	global_load_dwordx4 v[2:5], v[2:3], off
.LBB14_50:
	s_or_b64 exec, exec, s[0:1]
	v_or_b32_e32 v7, 1, v7
	v_cmp_gt_i32_e64 s[0:1], s45, v7
	v_lshlrev_b32_e32 v22, 8, v7
	v_mov_b32_e32 v7, 0
	v_mov_b32_e32 v8, 0
	;; [unrolled: 1-line block ×3, first 2 shown]
	s_and_saveexec_b64 s[2:3], s[0:1]
	s_cbranch_execz .LBB14_52
; %bb.51:
	v_mov_b32_e32 v23, 0
	v_lshl_add_u64 v[6:7], s[4:5], 0, v[22:23]
	v_lshlrev_b32_e32 v8, 1, v20
	v_mov_b32_e32 v9, v23
	v_lshl_add_u64 v[6:7], v[6:7], 0, v[8:9]
	global_load_dwordx4 v[6:9], v[6:7], off
.LBB14_52:
	s_or_b64 exec, exec, s[2:3]
	v_mov_b32_e32 v17, 0
	v_mov_b32_e32 v10, 0
	;; [unrolled: 1-line block ×5, first 2 shown]
	s_and_saveexec_b64 s[2:3], vcc
	s_cbranch_execz .LBB14_54
; %bb.53:
	v_mov_b32_e32 v15, 0
	v_lshl_add_u64 v[10:11], s[4:5], 0, v[14:15]
	v_lshlrev_b32_e32 v14, 1, v20
	v_lshl_add_u64 v[10:11], v[10:11], 0, v[14:15]
	global_load_dwordx4 v[10:13], v[10:11], off offset:128
.LBB14_54:
	s_or_b64 exec, exec, s[2:3]
	v_mov_b32_e32 v16, 0
	v_mov_b32_e32 v15, 0
	;; [unrolled: 1-line block ×3, first 2 shown]
	s_and_saveexec_b64 s[2:3], s[0:1]
	s_cbranch_execz .LBB14_56
; %bb.55:
	v_mov_b32_e32 v23, 0
	v_lshl_add_u64 v[14:15], s[4:5], 0, v[22:23]
	v_lshlrev_b32_e32 v22, 1, v20
	v_lshl_add_u64 v[14:15], v[14:15], 0, v[22:23]
	global_load_dwordx4 v[14:17], v[14:15], off offset:128
.LBB14_56:
	s_or_b64 exec, exec, s[2:3]
	s_branch .LBB14_59
.LBB14_57:
                                        ; implicit-def: $vgpr5
                                        ; implicit-def: $vgpr9
                                        ; implicit-def: $vgpr13
                                        ; implicit-def: $vgpr17
	s_cbranch_execz .LBB14_59
; %bb.58:
	s_waitcnt vmcnt(0)
	v_lshlrev_b32_e32 v2, 1, v20
	v_lshl_or_b32 v20, v19, 9, v2
	s_and_b32 s5, s5, 0xffff
	s_mov_b32 s7, 0x20000
	s_movk_i32 s6, 0x4000
	s_movk_i32 s0, 0x80
	buffer_load_dwordx4 v[2:5], v20, s[4:7], 0 offen
	buffer_load_dwordx4 v[6:9], v20, s[4:7], 0 offen offset:256
	buffer_load_dwordx4 v[10:13], v20, s[4:7], s0 offen
	buffer_load_dwordx4 v[14:17], v20, s[4:7], s0 offen offset:256
.LBB14_59:
	ds_read_b64 v[22:23], v32 offset:57344
	v_add_u32_e32 v20, 0x6000, v28
	ds_read2_b64 v[38:41], v20 offset1:16
	ds_read_b64 v[82:83], v33 offset:57344
	ds_read_b64 v[86:87], v34 offset:57344
	;; [unrolled: 1-line block ×3, first 2 shown]
	ds_read2_b64 v[32:35], v20 offset0:32 offset1:48
	v_and_b32_e32 v20, 12, v36
	v_and_b32_e32 v44, 6, v0
	v_xor_b32_e32 v19, v19, v44
	v_lshlrev_b32_e32 v19, 2, v19
	s_mov_b32 s0, 0x1000504
	s_waitcnt lgkmcnt(4)
	v_mfma_f32_16x16x16_bf16 a[4:7], v[22:23], v[40:41], a[4:7]
	s_mov_b32 s1, 0x3020706
	v_mfma_f32_16x16x16_bf16 a[0:3], v[22:23], v[38:39], a[0:3]
	ds_read2st64_b64 v[36:39], v28 offset0:52 offset1:56
	s_waitcnt lgkmcnt(1)
	v_mfma_f32_16x16x16_bf16 a[8:11], v[22:23], v[32:33], a[8:11]
	v_mfma_f32_16x16x16_bf16 a[12:15], v[22:23], v[34:35], a[12:15]
	ds_read2st64_b64 v[32:35], v29 offset0:52 offset1:56
	ds_read2st64_b64 v[40:43], v30 offset0:52 offset1:56
	;; [unrolled: 1-line block ×3, first 2 shown]
	s_waitcnt lgkmcnt(2)
	v_mfma_f32_16x16x16_bf16 a[4:7], v[82:83], v[32:33], a[4:7]
	v_and_b32_e32 v32, 1, v0
	v_xor_b32_e32 v33, 0x440, v19
	v_cmp_eq_u32_e32 vcc, 0, v32
	v_mfma_f32_16x16x16_bf16 a[0:3], v[82:83], v[36:37], a[0:3]
	s_waitcnt vmcnt(0)
	v_perm_b32 v32, v2, v6, s0
	v_cndmask_b32_e32 v19, v33, v19, vcc
	v_lshl_or_b32 v19, v44, 10, v19
	s_waitcnt lgkmcnt(1)
	v_mfma_f32_16x16x16_bf16 a[8:11], v[82:83], v[40:41], a[8:11]
	v_perm_b32 v33, v10, v14, s0
	ds_read_b64 v[22:23], v28 offset:30720
	ds_read_b64 v[36:37], v29 offset:30720
	;; [unrolled: 1-line block ×4, first 2 shown]
	ds_write2st64_b32 v19, v32, v33 offset0:128 offset1:160
	s_waitcnt lgkmcnt(5)
	v_mfma_f32_16x16x16_bf16 a[12:15], v[82:83], v[78:79], a[12:15]
	v_xor_b32_e32 v32, 8, v19
	v_perm_b32 v2, v2, v6, s1
	v_perm_b32 v6, v10, v14, s1
	v_add_u32_e32 v10, 0x80, v32
	ds_write2st64_b32 v10, v2, v6 offset0:128 offset1:160
	v_xor_b32_e32 v2, 16, v19
	v_perm_b32 v6, v3, v7, s0
	v_perm_b32 v10, v11, v15, s0
	v_mfma_f32_16x16x16_bf16 a[0:3], v[86:87], v[38:39], a[0:3]
	ds_write2st64_b32 v2, v6, v10 offset0:129 offset1:161
	v_xor_b32_e32 v2, 24, v19
	v_perm_b32 v3, v3, v7, s1
	v_mfma_f32_16x16x16_bf16 a[4:7], v[86:87], v[34:35], a[4:7]
	v_perm_b32 v6, v11, v15, s1
	v_add_u32_e32 v2, 0x80, v2
	ds_write2st64_b32 v2, v3, v6 offset0:129 offset1:161
	v_mfma_f32_16x16x16_bf16 a[16:19], v[86:87], v[42:43], a[8:11]
	v_xor_b32_e32 v2, 32, v19
	v_perm_b32 v3, v4, v8, s0
	v_perm_b32 v6, v12, v16, s0
	v_mfma_f32_16x16x16_bf16 a[20:23], v[86:87], v[80:81], a[12:15]
	ds_write2st64_b32 v2, v3, v6 offset0:130 offset1:162
	v_xor_b32_e32 v2, 40, v19
	v_perm_b32 v3, v4, v8, s1
	s_waitcnt lgkmcnt(8)
	v_mfma_f32_16x16x16_bf16 a[12:15], v[88:89], v[22:23], a[0:3]
	v_perm_b32 v4, v12, v16, s1
	v_add_u32_e32 v2, 0x80, v2
	ds_write2st64_b32 v2, v3, v4 offset0:130 offset1:162
	s_waitcnt lgkmcnt(8)
	v_mfma_f32_16x16x16_bf16 a[8:11], v[88:89], v[36:37], a[4:7]
	v_xor_b32_e32 v2, 48, v19
	v_perm_b32 v3, v5, v9, s0
	v_perm_b32 v4, v13, v17, s0
	s_waitcnt lgkmcnt(7)
	v_mfma_f32_16x16x16_bf16 a[4:7], v[88:89], v[90:91], a[16:19]
	ds_write2st64_b32 v2, v3, v4 offset0:131 offset1:163
	v_xor_b32_e32 v2, 56, v19
	v_or_b32_e32 v16, v20, v84
	s_waitcnt lgkmcnt(7)
	v_mfma_f32_16x16x16_bf16 a[0:3], v[88:89], v[92:93], a[20:23]
	v_perm_b32 v3, v5, v9, s1
	v_perm_b32 v4, v13, v17, s1
	v_add_u32_e32 v2, 0x80, v2
	v_cmp_gt_i32_e32 vcc, s45, v16
	v_mov_b32_e32 v17, 0
	v_mov_b32_e32 v23, 0
	ds_write2st64_b32 v2, v3, v4 offset0:131 offset1:163
	s_and_saveexec_b64 s[0:1], vcc
	s_cbranch_execz .LBB14_61
; %bb.60:
	v_add_u32_e32 v2, s44, v16
	v_ashrrev_i32_e32 v3, 31, v2
	v_mul_lo_u32 v4, v3, s34
	v_mul_lo_u32 v5, v2, s35
	v_mad_u64_u32 v[2:3], s[2:3], v2, s34, 0
	v_add3_u32 v3, v3, v5, v4
	v_lshl_add_u64 v[2:3], v[2:3], 2, s[10:11]
	global_load_dword v2, v[2:3], off
	s_waitcnt vmcnt(0)
	v_sub_f32_e32 v2, s12, v2
	v_exp_f32_e32 v23, v2
.LBB14_61:
	s_or_b64 exec, exec, s[0:1]
	v_or_b32_e32 v8, 1, v16
	v_cmp_gt_i32_e64 s[0:1], s45, v8
	s_and_saveexec_b64 s[2:3], s[0:1]
	s_cbranch_execz .LBB14_63
; %bb.62:
	v_add_u32_e32 v2, s44, v8
	v_ashrrev_i32_e32 v3, 31, v2
	v_mul_lo_u32 v4, v3, s34
	v_mul_lo_u32 v5, v2, s35
	v_mad_u64_u32 v[2:3], s[4:5], v2, s34, 0
	v_add3_u32 v3, v3, v5, v4
	v_lshl_add_u64 v[2:3], v[2:3], 2, s[10:11]
	global_load_dword v2, v[2:3], off
	s_waitcnt vmcnt(0)
	v_sub_f32_e32 v2, s12, v2
	v_exp_f32_e32 v17, v2
.LBB14_63:
	s_or_b64 exec, exec, s[2:3]
	v_or_b32_e32 v9, 2, v16
	v_cmp_gt_i32_e64 s[2:3], s45, v9
	v_mov_b32_e32 v22, 0
	v_mov_b32_e32 v32, 0
	s_and_saveexec_b64 s[4:5], s[2:3]
	s_cbranch_execz .LBB14_65
; %bb.64:
	v_add_u32_e32 v2, s44, v9
	v_ashrrev_i32_e32 v3, 31, v2
	v_mul_lo_u32 v4, v3, s34
	v_mul_lo_u32 v5, v2, s35
	v_mad_u64_u32 v[2:3], s[6:7], v2, s34, 0
	v_add3_u32 v3, v3, v5, v4
	v_lshl_add_u64 v[2:3], v[2:3], 2, s[10:11]
	global_load_dword v2, v[2:3], off
	s_waitcnt vmcnt(0)
	v_sub_f32_e32 v2, s12, v2
	v_exp_f32_e32 v32, v2
.LBB14_65:
	s_or_b64 exec, exec, s[4:5]
	v_or_b32_e32 v33, 3, v16
	v_cmp_gt_i32_e64 s[4:5], s45, v33
	s_and_saveexec_b64 s[6:7], s[4:5]
	s_cbranch_execz .LBB14_67
; %bb.66:
	v_add_u32_e32 v2, s44, v33
	v_ashrrev_i32_e32 v3, 31, v2
	v_mul_lo_u32 v4, v3, s34
	v_mul_lo_u32 v5, v2, s35
	v_mad_u64_u32 v[2:3], s[16:17], v2, s34, 0
	v_add3_u32 v3, v3, v5, v4
	v_lshl_add_u64 v[2:3], v[2:3], 2, s[10:11]
	global_load_dword v2, v[2:3], off
	s_waitcnt vmcnt(0)
	v_sub_f32_e32 v2, s12, v2
	v_exp_f32_e32 v22, v2
.LBB14_67:
	s_or_b64 exec, exec, s[6:7]
	s_add_u32 s6, s8, s26
	v_accvgpr_read_b32 v2, a12
	s_addc_u32 s7, s9, s27
	v_ashrrev_i32_e32 v19, 31, v18
	v_accvgpr_read_b32 v3, a13
	v_accvgpr_read_b32 v4, a14
	;; [unrolled: 1-line block ×3, first 2 shown]
	v_lshl_add_u64 v[6:7], v[18:19], 1, s[6:7]
	v_mov_b32_e32 v13, 0
	v_lshlrev_b32_e32 v10, 8, v16
	v_mov_b32_e32 v11, 0
	s_and_saveexec_b64 s[6:7], vcc
	s_cbranch_execz .LBB14_69
; %bb.68:
	v_mov_b32_e32 v11, 0
	v_lshl_add_u64 v[14:15], v[6:7], 0, v[10:11]
	global_load_ushort v11, v[14:15], off
	s_waitcnt vmcnt(0)
	v_lshlrev_b32_e32 v11, 16, v11
	v_sub_f32_e32 v2, v11, v2
	v_mul_f32_e32 v2, v23, v2
	v_lshrrev_b32_e32 v11, 16, v2
.LBB14_69:
	s_or_b64 exec, exec, s[6:7]
	v_lshlrev_b32_e32 v12, 8, v8
	s_and_saveexec_b64 s[6:7], s[0:1]
	s_cbranch_execz .LBB14_71
; %bb.70:
	v_mov_b32_e32 v13, 0
	v_lshl_add_u64 v[14:15], v[6:7], 0, v[12:13]
	global_load_ushort v2, v[14:15], off
	s_waitcnt vmcnt(0)
	v_lshlrev_b32_e32 v2, 16, v2
	v_sub_f32_e32 v2, v2, v3
	v_mul_f32_e32 v2, v17, v2
	v_lshrrev_b32_e32 v13, 16, v2
.LBB14_71:
	s_or_b64 exec, exec, s[6:7]
	v_mov_b32_e32 v34, 0
	v_lshlrev_b32_e32 v14, 8, v9
	v_mov_b32_e32 v15, 0
	s_and_saveexec_b64 s[6:7], s[2:3]
	s_cbranch_execz .LBB14_73
; %bb.72:
	v_mov_b32_e32 v15, 0
	v_lshl_add_u64 v[2:3], v[6:7], 0, v[14:15]
	global_load_ushort v2, v[2:3], off
	s_waitcnt vmcnt(0)
	v_lshlrev_b32_e32 v2, 16, v2
	v_sub_f32_e32 v2, v2, v4
	v_mul_f32_e32 v2, v32, v2
	v_lshrrev_b32_e32 v15, 16, v2
.LBB14_73:
	s_or_b64 exec, exec, s[6:7]
	v_lshlrev_b32_e32 v8, 8, v33
	s_and_saveexec_b64 s[6:7], s[4:5]
	s_cbranch_execz .LBB14_75
; %bb.74:
	v_mov_b32_e32 v9, 0
	v_lshl_add_u64 v[2:3], v[6:7], 0, v[8:9]
	global_load_ushort v2, v[2:3], off
	s_waitcnt vmcnt(0)
	v_lshlrev_b32_e32 v2, 16, v2
	v_sub_f32_e32 v2, v2, v5
	v_mul_f32_e32 v2, v22, v2
	v_lshrrev_b32_e32 v34, 16, v2
.LBB14_75:
	s_or_b64 exec, exec, s[6:7]
	v_lshlrev_b32_e32 v19, 6, v16
	v_accvgpr_read_b32 v2, a8
	s_mov_b32 s6, 0x5040100
	v_or_b32_e32 v9, v19, v26
	v_accvgpr_read_b32 v3, a9
	v_accvgpr_read_b32 v4, a10
	;; [unrolled: 1-line block ×3, first 2 shown]
	v_perm_b32 v35, v34, v15, s6
	v_perm_b32 v34, v13, v11, s6
	v_lshlrev_b32_e32 v9, 1, v9
	v_mov_b32_e32 v13, 0
	v_mov_b32_e32 v11, 0
	ds_write_b64 v9, v[34:35] offset:24576
	s_and_saveexec_b64 s[6:7], vcc
	s_cbranch_execz .LBB14_77
; %bb.76:
	v_mov_b32_e32 v11, 0
	v_lshl_add_u64 v[34:35], v[6:7], 0, v[10:11]
	global_load_ushort v9, v[34:35], off offset:32
	s_waitcnt vmcnt(0)
	v_lshlrev_b32_e32 v9, 16, v9
	v_sub_f32_e32 v2, v9, v2
	v_mul_f32_e32 v2, v23, v2
	v_lshrrev_b32_e32 v11, 16, v2
.LBB14_77:
	s_or_b64 exec, exec, s[6:7]
	s_and_saveexec_b64 s[6:7], s[0:1]
	s_cbranch_execz .LBB14_79
; %bb.78:
	v_mov_b32_e32 v13, 0
	v_lshl_add_u64 v[34:35], v[6:7], 0, v[12:13]
	global_load_ushort v2, v[34:35], off offset:32
	s_waitcnt vmcnt(0)
	v_lshlrev_b32_e32 v2, 16, v2
	v_sub_f32_e32 v2, v2, v3
	v_mul_f32_e32 v2, v17, v2
	v_lshrrev_b32_e32 v13, 16, v2
.LBB14_79:
	s_or_b64 exec, exec, s[6:7]
	v_mov_b32_e32 v9, 0
	v_mov_b32_e32 v15, 0
	s_and_saveexec_b64 s[6:7], s[2:3]
	s_cbranch_execz .LBB14_81
; %bb.80:
	v_mov_b32_e32 v15, 0
	v_lshl_add_u64 v[2:3], v[6:7], 0, v[14:15]
	global_load_ushort v2, v[2:3], off offset:32
	s_waitcnt vmcnt(0)
	v_lshlrev_b32_e32 v2, 16, v2
	v_sub_f32_e32 v2, v2, v4
	v_mul_f32_e32 v2, v32, v2
	v_lshrrev_b32_e32 v15, 16, v2
.LBB14_81:
	s_or_b64 exec, exec, s[6:7]
	s_and_saveexec_b64 s[6:7], s[4:5]
	s_cbranch_execz .LBB14_83
; %bb.82:
	v_mov_b32_e32 v9, 0
	v_lshl_add_u64 v[2:3], v[6:7], 0, v[8:9]
	global_load_ushort v2, v[2:3], off offset:32
	s_waitcnt vmcnt(0)
	v_lshlrev_b32_e32 v2, 16, v2
	v_sub_f32_e32 v2, v2, v5
	v_mul_f32_e32 v2, v22, v2
	v_lshrrev_b32_e32 v9, 16, v2
.LBB14_83:
	s_or_b64 exec, exec, s[6:7]
	s_mov_b32 s6, 0x5040100
	v_accvgpr_read_b32 v2, a4
	v_perm_b32 v35, v9, v15, s6
	v_or_b32_e32 v9, v19, v25
	v_accvgpr_read_b32 v3, a5
	v_accvgpr_read_b32 v4, a6
	;; [unrolled: 1-line block ×3, first 2 shown]
	v_perm_b32 v34, v13, v11, s6
	v_lshlrev_b32_e32 v9, 1, v9
	v_mov_b32_e32 v13, 0
	v_mov_b32_e32 v11, 0
	ds_write_b64 v9, v[34:35] offset:24576
	s_and_saveexec_b64 s[6:7], vcc
	s_cbranch_execz .LBB14_85
; %bb.84:
	v_mov_b32_e32 v11, 0
	v_lshl_add_u64 v[34:35], v[6:7], 0, v[10:11]
	global_load_ushort v9, v[34:35], off offset:64
	s_waitcnt vmcnt(0)
	v_lshlrev_b32_e32 v9, 16, v9
	v_sub_f32_e32 v2, v9, v2
	v_mul_f32_e32 v2, v23, v2
	v_lshrrev_b32_e32 v11, 16, v2
.LBB14_85:
	s_or_b64 exec, exec, s[6:7]
	s_and_saveexec_b64 s[6:7], s[0:1]
	s_cbranch_execz .LBB14_87
; %bb.86:
	v_mov_b32_e32 v13, 0
	v_lshl_add_u64 v[34:35], v[6:7], 0, v[12:13]
	global_load_ushort v2, v[34:35], off offset:64
	s_waitcnt vmcnt(0)
	v_lshlrev_b32_e32 v2, 16, v2
	v_sub_f32_e32 v2, v2, v3
	v_mul_f32_e32 v2, v17, v2
	v_lshrrev_b32_e32 v13, 16, v2
.LBB14_87:
	s_or_b64 exec, exec, s[6:7]
	v_mov_b32_e32 v9, 0
	v_mov_b32_e32 v15, 0
	s_and_saveexec_b64 s[6:7], s[2:3]
	s_cbranch_execz .LBB14_89
; %bb.88:
	v_mov_b32_e32 v15, 0
	v_lshl_add_u64 v[2:3], v[6:7], 0, v[14:15]
	global_load_ushort v2, v[2:3], off offset:64
	s_waitcnt vmcnt(0)
	v_lshlrev_b32_e32 v2, 16, v2
	v_sub_f32_e32 v2, v2, v4
	v_mul_f32_e32 v2, v32, v2
	v_lshrrev_b32_e32 v15, 16, v2
.LBB14_89:
	s_or_b64 exec, exec, s[6:7]
	s_and_saveexec_b64 s[6:7], s[4:5]
	s_cbranch_execz .LBB14_91
; %bb.90:
	v_mov_b32_e32 v9, 0
	v_lshl_add_u64 v[2:3], v[6:7], 0, v[8:9]
	global_load_ushort v2, v[2:3], off offset:64
	s_waitcnt vmcnt(0)
	v_lshlrev_b32_e32 v2, 16, v2
	v_sub_f32_e32 v2, v2, v5
	v_mul_f32_e32 v2, v22, v2
	v_lshrrev_b32_e32 v9, 16, v2
.LBB14_91:
	s_or_b64 exec, exec, s[6:7]
	s_mov_b32 s6, 0x5040100
	v_accvgpr_read_b32 v5, a3
	v_perm_b32 v35, v9, v15, s6
	v_or_b32_e32 v9, v19, v24
	v_accvgpr_read_b32 v4, a2
	v_accvgpr_read_b32 v3, a1
	;; [unrolled: 1-line block ×3, first 2 shown]
	v_perm_b32 v34, v13, v11, s6
	v_lshlrev_b32_e32 v9, 1, v9
	v_mov_b32_e32 v13, 0
	v_mov_b32_e32 v11, 0
	ds_write_b64 v9, v[34:35] offset:24576
	s_and_saveexec_b64 s[6:7], vcc
	s_cbranch_execz .LBB14_93
; %bb.92:
	v_mov_b32_e32 v11, 0
	v_lshl_add_u64 v[10:11], v[6:7], 0, v[10:11]
	global_load_ushort v9, v[10:11], off offset:96
	s_waitcnt vmcnt(0)
	v_lshlrev_b32_e32 v9, 16, v9
	v_sub_f32_e32 v2, v9, v2
	v_mul_f32_e32 v2, v23, v2
	v_lshrrev_b32_e32 v11, 16, v2
.LBB14_93:
	s_or_b64 exec, exec, s[6:7]
	s_and_saveexec_b64 s[6:7], s[0:1]
	s_cbranch_execz .LBB14_95
; %bb.94:
	v_mov_b32_e32 v13, 0
	v_lshl_add_u64 v[12:13], v[6:7], 0, v[12:13]
	global_load_ushort v2, v[12:13], off offset:96
	s_waitcnt vmcnt(0)
	v_lshlrev_b32_e32 v2, 16, v2
	v_sub_f32_e32 v2, v2, v3
	v_mul_f32_e32 v2, v17, v2
	v_lshrrev_b32_e32 v13, 16, v2
.LBB14_95:
	s_or_b64 exec, exec, s[6:7]
	v_mov_b32_e32 v9, 0
	v_mov_b32_e32 v12, 0
	s_and_saveexec_b64 s[0:1], s[2:3]
	s_cbranch_execz .LBB14_97
; %bb.96:
	v_mov_b32_e32 v15, 0
	v_lshl_add_u64 v[2:3], v[6:7], 0, v[14:15]
	global_load_ushort v2, v[2:3], off offset:96
	s_waitcnt vmcnt(0)
	v_lshlrev_b32_e32 v2, 16, v2
	v_sub_f32_e32 v2, v2, v4
	v_mul_f32_e32 v2, v32, v2
	v_lshrrev_b32_e32 v12, 16, v2
.LBB14_97:
	s_or_b64 exec, exec, s[0:1]
	v_or_b32_e32 v10, 0x6000, v28
	v_or_b32_e32 v2, 0x6000, v29
	;; [unrolled: 1-line block ×4, first 2 shown]
	s_and_saveexec_b64 s[0:1], s[4:5]
	s_cbranch_execz .LBB14_99
; %bb.98:
	v_mov_b32_e32 v9, 0
	v_lshl_add_u64 v[6:7], v[6:7], 0, v[8:9]
	global_load_ushort v6, v[6:7], off offset:96
	s_waitcnt vmcnt(0)
	v_lshlrev_b32_e32 v6, 16, v6
	v_sub_f32_e32 v5, v6, v5
	v_mul_f32_e32 v5, v22, v5
	v_lshrrev_b32_e32 v9, 16, v5
.LBB14_99:
	s_or_b64 exec, exec, s[0:1]
	s_mov_b32 s0, 0x5040100
	v_or_b32_e32 v5, v19, v21
	v_perm_b32 v7, v9, v12, s0
	v_perm_b32 v6, v13, v11, s0
	v_lshlrev_b32_e32 v5, 1, v5
	ds_write_b64 v5, v[6:7] offset:24576
	v_and_b32_e32 v5, 7, v0
	v_and_b32_e32 v11, 8, v0
	v_lshlrev_b32_e32 v17, 3, v5
	v_lshlrev_b32_e32 v19, 7, v5
	v_lshrrev_b32_e32 v5, 1, v0
	v_and_b32_e32 v5, 24, v5
	v_mov_b32_e32 v12, 0x400
	v_cmp_eq_u32_e32 vcc, 0, v11
	s_movk_i32 s2, 0x100
	v_lshlrev_b32_e32 v21, 3, v45
	v_cndmask_b32_e64 v11, v12, 64, vcc
	v_mov_b32_e32 v12, 0xa000
	v_mov_b32_e32 v13, 0x8000
	v_cmp_gt_u32_e64 s[0:1], s2, v0
	v_xor_b32_e32 v26, v21, v5
	s_waitcnt lgkmcnt(0)
	v_cndmask_b32_e64 v0, v12, v13, s[0:1]
	v_or_b32_e32 v12, 0x440, v26
	v_cndmask_b32_e32 v12, v12, v26, vcc
	v_or_b32_e32 v12, v12, v27
	v_xor_b32_e32 v44, v12, v17
	v_add3_u32 v12, v0, v44, v19
	s_barrier
	ds_read_b64 v[22:23], v12
	v_or_b32_e32 v12, 32, v5
	v_xor_b32_e32 v12, v21, v12
	v_or_b32_e32 v13, 0x440, v12
	v_cndmask_b32_e32 v12, v13, v12, vcc
	v_or_b32_e32 v12, v12, v27
	v_xor_b32_e32 v84, v12, v17
	v_add3_u32 v12, v0, v84, v19
	ds_read2_b64 v[6:9], v10 offset1:16
	ds_read_b64 v[40:41], v12
	ds_read2_b64 v[12:15], v10 offset0:32 offset1:48
	v_or3_b32 v11, v27, v11, v26
	v_xor_b32_e32 v11, v11, v17
	v_or_b32_e32 v5, 0x60, v5
	v_or_b32_e32 v85, v11, v19
	;; [unrolled: 1-line block ×3, first 2 shown]
	v_xor_b32_e32 v5, v21, v5
	s_add_i32 s0, s20, s46
	s_waitcnt lgkmcnt(2)
	v_mfma_f32_16x16x16_bf16 a[0:3], v[22:23], v[6:7], 0
	ds_read2st64_b64 v[28:31], v2 offset0:4 offset1:8
	s_mul_hi_i32 s1, s0, s13
	s_mul_i32 s0, s0, s13
	v_mfma_f32_16x16x16_bf16 a[4:7], v[22:23], v[8:9], 0
	s_add_u32 s0, s0, s33
	s_addc_u32 s1, s1, s14
	s_lshl_b64 s[0:1], s[0:1], 9
	s_waitcnt lgkmcnt(1)
	v_mfma_f32_16x16x16_bf16 a[8:11], v[22:23], v[12:13], 0
	s_add_u32 s0, s30, s0
	s_addc_u32 s1, s31, s1
	v_lshlrev_b32_e32 v20, 2, v20
	v_mfma_f32_16x16x16_bf16 a[12:15], v[22:23], v[14:15], 0
	ds_read2st64_b64 v[22:25], v10 offset0:4 offset1:8
	ds_read2st64_b64 v[32:35], v3 offset0:4 offset1:8
	;; [unrolled: 1-line block ×3, first 2 shown]
	ds_read_b64 v[42:43], v11
	v_xor_b32_e32 v11, 0x440, v5
	v_cndmask_b32_e32 v5, v11, v5, vcc
	v_or_b32_e32 v5, v5, v27
	v_xor_b32_e32 v21, v5, v17
	v_add3_u32 v0, v0, v21, v19
	ds_read_b64 v[26:27], v0
	v_lshlrev_b32_e32 v0, 2, v16
	ds_read_b64 v[10:11], v10 offset:6144
	ds_read_b64 v[78:79], v2 offset:6144
	;; [unrolled: 1-line block ×4, first 2 shown]
	global_load_dwordx4 v[2:5], v0, s[0:1]
	s_waitcnt lgkmcnt(8)
	v_mfma_f32_16x16x16_bf16 a[0:3], v[40:41], v[22:23], a[0:3]
	v_add_u32_e32 v0, v44, v19
	ds_read_b64 v[16:17], v0 offset:40960
	v_lshlrev_b32_e32 v0, 6, v45
	v_mfma_f32_16x16x16_bf16 a[4:7], v[40:41], v[28:29], a[4:7]
	v_or3_b32 v0, v0, v20, s2
	v_add_u32_e32 v20, v84, v19
	v_add_u32_e32 v19, v21, v19
	s_waitcnt lgkmcnt(8)
	v_mfma_f32_16x16x16_bf16 a[8:11], v[40:41], v[32:33], a[8:11]
	s_waitcnt vmcnt(0)
	v_exp_f32_e32 v4, v4
	s_waitcnt lgkmcnt(7)
	v_mfma_f32_16x16x16_bf16 a[12:15], v[40:41], v[36:37], a[12:15]
	v_exp_f32_e32 v5, v5
	v_exp_f32_e32 v2, v2
	;; [unrolled: 1-line block ×3, first 2 shown]
	s_waitcnt lgkmcnt(6)
	v_mfma_f32_16x16x16_bf16 a[0:3], v[42:43], v[24:25], a[0:3]
	v_mfma_f32_16x16x16_bf16 a[4:7], v[42:43], v[30:31], a[4:7]
	;; [unrolled: 1-line block ×4, first 2 shown]
	s_waitcnt lgkmcnt(4)
	v_mfma_f32_16x16x16_bf16 a[0:3], v[26:27], v[10:11], a[0:3]
	s_waitcnt lgkmcnt(3)
	v_mfma_f32_16x16x16_bf16 a[4:7], v[26:27], v[78:79], a[4:7]
	;; [unrolled: 2-line block ×4, first 2 shown]
	ds_read_b64 v[20:21], v20 offset:40960
	ds_read_b64 v[26:27], v19 offset:40960
	global_load_dwordx4 v[40:43], v0, s[0:1]
	v_exp_f32_e32 v0, s12
	s_waitcnt lgkmcnt(2)
	v_mfma_f32_16x16x16_bf16 a[28:31], v[16:17], v[14:15], 0
	ds_read_b64 v[14:15], v85 offset:40960
	v_pk_mul_f32 v[2:3], v[0:1], v[2:3] op_sel_hi:[0,1]
	v_mfma_f32_16x16x16_bf16 a[16:19], v[16:17], v[6:7], 0
	v_pk_mul_f32 v[6:7], v[0:1], v[4:5] op_sel_hi:[0,1]
	v_accvgpr_read_b32 v5, a3
	v_accvgpr_read_b32 v4, a2
	v_mfma_f32_16x16x16_bf16 a[20:23], v[16:17], v[8:9], 0
	v_pk_fma_f32 v[76:77], v[76:77], v[6:7], v[4:5]
	v_accvgpr_read_b32 v4, a4
	v_accvgpr_read_b32 v5, a5
	v_mfma_f32_16x16x16_bf16 a[24:27], v[16:17], v[12:13], 0
	v_pk_fma_f32 v[66:67], v[2:3], v[66:67], v[4:5]
	v_accvgpr_read_b32 v4, a8
	v_accvgpr_read_b32 v5, a9
	s_waitcnt lgkmcnt(2)
	v_mfma_f32_16x16x16_bf16 a[16:19], v[20:21], v[22:23], a[16:19]
	v_accvgpr_read_b32 v9, a7
	v_accvgpr_read_b32 v8, a6
	;; [unrolled: 1-line block ×3, first 2 shown]
	v_mfma_f32_16x16x16_bf16 a[20:23], v[20:21], v[28:29], a[20:23]
	v_pk_fma_f32 v[58:59], v[2:3], v[58:59], v[4:5]
	v_accvgpr_read_b32 v4, a12
	v_accvgpr_read_b32 v13, a11
	v_mfma_f32_16x16x16_bf16 a[24:27], v[20:21], v[32:33], a[24:27]
	v_accvgpr_read_b32 v12, a10
	v_accvgpr_read_b32 v22, a0
	;; [unrolled: 1-line block ×3, first 2 shown]
	s_waitcnt lgkmcnt(0)
	v_mfma_f32_16x16x16_bf16 a[4:7], v[14:15], v[24:25], a[16:19]
	v_pk_fma_f32 v[74:75], v[74:75], v[2:3], v[22:23]
	v_pk_fma_f32 v[50:51], v[2:3], v[50:51], v[4:5]
	v_accvgpr_read_b32 v17, a15
	v_mfma_f32_16x16x16_bf16 a[0:3], v[20:21], v[36:37], a[28:31]
	v_accvgpr_read_b32 v16, a14
	v_pk_fma_f32 v[68:69], v[6:7], v[68:69], v[8:9]
	v_pk_fma_f32 v[60:61], v[6:7], v[60:61], v[12:13]
	v_mfma_f32_16x16x16_bf16 a[8:11], v[14:15], v[30:31], a[20:23]
	v_pk_fma_f32 v[52:53], v[6:7], v[52:53], v[16:17]
	s_waitcnt vmcnt(0)
	v_mov_b32_e32 v2, v41
	v_mfma_f32_16x16x16_bf16 a[12:15], v[14:15], v[34:35], a[24:27]
	v_mov_b32_e32 v3, v42
	v_mov_b32_e32 v4, v43
	v_exp_f32_e32 v9, v2
	v_exp_f32_e32 v2, v3
	;; [unrolled: 1-line block ×3, first 2 shown]
	v_mfma_f32_16x16x16_bf16 a[4:7], v[26:27], v[10:11], a[4:7]
	v_exp_f32_e32 v8, v40
	v_pk_mul_f32 v[2:3], v[0:1], v[2:3] op_sel_hi:[0,1]
	v_mfma_f32_16x16x16_bf16 a[0:3], v[14:15], v[38:39], a[0:3]
	v_pk_mul_f32 v[4:5], v[0:1], v[8:9] op_sel_hi:[0,1]
	v_mfma_f32_16x16x16_bf16 a[8:11], v[26:27], v[78:79], a[8:11]
	s_nop 1
	v_accvgpr_read_b32 v7, a7
	v_accvgpr_read_b32 v6, a6
	v_pk_fma_f32 v[72:73], v[72:73], v[2:3], v[6:7]
	v_mfma_f32_16x16x16_bf16 a[12:15], v[26:27], v[80:81], a[12:15]
	v_accvgpr_read_b32 v15, a5
	v_accvgpr_read_b32 v14, a4
	v_pk_fma_f32 v[70:71], v[70:71], v[4:5], v[14:15]
	v_mfma_f32_16x16x16_bf16 a[0:3], v[26:27], v[82:83], a[0:3]
	v_accvgpr_read_b32 v6, a8
	v_accvgpr_read_b32 v7, a9
	v_pk_fma_f32 v[62:63], v[4:5], v[62:63], v[6:7]
	v_accvgpr_read_b32 v6, a12
	v_accvgpr_read_b32 v7, a13
	v_pk_fma_f32 v[56:57], v[4:5], v[56:57], v[6:7]
	v_accvgpr_read_b32 v9, a11
	v_accvgpr_read_b32 v7, a1
	;; [unrolled: 1-line block ×8, first 2 shown]
	v_pk_fma_f32 v[64:65], v[2:3], v[64:65], v[8:9]
	v_pk_fma_f32 v[54:55], v[2:3], v[54:55], v[10:11]
	;; [unrolled: 1-line block ×4, first 2 shown]
	v_mov_b32_e32 v2, v18
.LBB14_100:
	s_lshl_b64 s[0:1], s[24:25], 15
	s_waitcnt lgkmcnt(0)
	s_add_u32 s0, s28, s0
	v_lshlrev_b32_e32 v2, 7, v2
	s_addc_u32 s1, s29, s1
	v_ashrrev_i32_e32 v3, 31, v2
	v_lshl_add_u64 v[4:5], v[2:3], 1, s[0:1]
	v_lshlrev_b32_e32 v0, 1, v1
	v_mov_b32_e32 v1, 0
	s_mov_b32 s2, 0x7060302
	v_lshl_add_u64 v[4:5], v[4:5], 0, v[0:1]
	v_perm_b32 v7, v77, v76, s2
	v_perm_b32 v6, v75, v74, s2
	global_store_dwordx2 v[4:5], v[6:7], off
	v_perm_b32 v7, v73, v72, s2
	v_perm_b32 v6, v71, v70, s2
	global_store_dwordx2 v[4:5], v[6:7], off offset:128
	v_or_b32_e32 v4, 0x800, v2
	v_ashrrev_i32_e32 v5, 31, v4
	v_lshl_add_u64 v[4:5], v[4:5], 1, s[0:1]
	v_lshl_add_u64 v[4:5], v[4:5], 0, v[0:1]
	v_perm_b32 v7, v69, v68, s2
	v_perm_b32 v6, v67, v66, s2
	global_store_dwordx2 v[4:5], v[6:7], off
	v_perm_b32 v7, v65, v64, s2
	v_perm_b32 v6, v63, v62, s2
	global_store_dwordx2 v[4:5], v[6:7], off offset:128
	v_or_b32_e32 v4, 0x1000, v2
	v_or_b32_e32 v2, 0x1800, v2
	v_ashrrev_i32_e32 v5, 31, v4
	v_ashrrev_i32_e32 v3, 31, v2
	v_lshl_add_u64 v[4:5], v[4:5], 1, s[0:1]
	v_lshl_add_u64 v[2:3], v[2:3], 1, s[0:1]
	;; [unrolled: 1-line block ×3, first 2 shown]
	v_perm_b32 v7, v61, v60, s2
	v_perm_b32 v6, v59, v58, s2
	v_lshl_add_u64 v[0:1], v[2:3], 0, v[0:1]
	v_perm_b32 v3, v53, v52, s2
	v_perm_b32 v2, v51, v50, s2
	global_store_dwordx2 v[4:5], v[6:7], off
	v_perm_b32 v7, v55, v54, s2
	v_perm_b32 v6, v57, v56, s2
	global_store_dwordx2 v[0:1], v[2:3], off
	v_perm_b32 v3, v49, v48, s2
	v_perm_b32 v2, v47, v46, s2
	global_store_dwordx2 v[4:5], v[6:7], off offset:128
	global_store_dwordx2 v[0:1], v[2:3], off offset:128
	s_endpgm
	.section	.rodata,"a",@progbits
	.p2align	6, 0x0
	.amdhsa_kernel _ZN12_GLOBAL__N_139chunk_gated_delta_rule_fwd_h_hip_kernelILi64ELb0ELb1ELb0ELb0ELb1ELb1ELb1ELb1EEEvPK12hip_bfloat16S3_S3_PKfS5_PKvPS1_S8_PvPKiSB_iiiiilll
		.amdhsa_group_segment_fixed_size 65536
		.amdhsa_private_segment_fixed_size 0
		.amdhsa_kernarg_size 136
		.amdhsa_user_sgpr_count 2
		.amdhsa_user_sgpr_dispatch_ptr 0
		.amdhsa_user_sgpr_queue_ptr 0
		.amdhsa_user_sgpr_kernarg_segment_ptr 1
		.amdhsa_user_sgpr_dispatch_id 0
		.amdhsa_user_sgpr_kernarg_preload_length 0
		.amdhsa_user_sgpr_kernarg_preload_offset 0
		.amdhsa_user_sgpr_private_segment_size 0
		.amdhsa_uses_dynamic_stack 0
		.amdhsa_enable_private_segment 0
		.amdhsa_system_sgpr_workgroup_id_x 1
		.amdhsa_system_sgpr_workgroup_id_y 1
		.amdhsa_system_sgpr_workgroup_id_z 0
		.amdhsa_system_sgpr_workgroup_info 0
		.amdhsa_system_vgpr_workitem_id 0
		.amdhsa_next_free_vgpr 228
		.amdhsa_next_free_sgpr 68
		.amdhsa_accum_offset 188
		.amdhsa_reserve_vcc 1
		.amdhsa_float_round_mode_32 0
		.amdhsa_float_round_mode_16_64 0
		.amdhsa_float_denorm_mode_32 3
		.amdhsa_float_denorm_mode_16_64 3
		.amdhsa_dx10_clamp 1
		.amdhsa_ieee_mode 1
		.amdhsa_fp16_overflow 0
		.amdhsa_tg_split 0
		.amdhsa_exception_fp_ieee_invalid_op 0
		.amdhsa_exception_fp_denorm_src 0
		.amdhsa_exception_fp_ieee_div_zero 0
		.amdhsa_exception_fp_ieee_overflow 0
		.amdhsa_exception_fp_ieee_underflow 0
		.amdhsa_exception_fp_ieee_inexact 0
		.amdhsa_exception_int_div_zero 0
	.end_amdhsa_kernel
	.section	.text._ZN12_GLOBAL__N_139chunk_gated_delta_rule_fwd_h_hip_kernelILi64ELb0ELb1ELb0ELb0ELb1ELb1ELb1ELb1EEEvPK12hip_bfloat16S3_S3_PKfS5_PKvPS1_S8_PvPKiSB_iiiiilll,"axG",@progbits,_ZN12_GLOBAL__N_139chunk_gated_delta_rule_fwd_h_hip_kernelILi64ELb0ELb1ELb0ELb0ELb1ELb1ELb1ELb1EEEvPK12hip_bfloat16S3_S3_PKfS5_PKvPS1_S8_PvPKiSB_iiiiilll,comdat
.Lfunc_end14:
	.size	_ZN12_GLOBAL__N_139chunk_gated_delta_rule_fwd_h_hip_kernelILi64ELb0ELb1ELb0ELb0ELb1ELb1ELb1ELb1EEEvPK12hip_bfloat16S3_S3_PKfS5_PKvPS1_S8_PvPKiSB_iiiiilll, .Lfunc_end14-_ZN12_GLOBAL__N_139chunk_gated_delta_rule_fwd_h_hip_kernelILi64ELb0ELb1ELb0ELb0ELb1ELb1ELb1ELb1EEEvPK12hip_bfloat16S3_S3_PKfS5_PKvPS1_S8_PvPKiSB_iiiiilll
                                        ; -- End function
	.section	.AMDGPU.csdata,"",@progbits
; Kernel info:
; codeLenInByte = 12584
; NumSgprs: 74
; NumVgprs: 188
; NumAgprs: 40
; TotalNumVgprs: 228
; ScratchSize: 0
; MemoryBound: 0
; FloatMode: 240
; IeeeMode: 1
; LDSByteSize: 65536 bytes/workgroup (compile time only)
; SGPRBlocks: 9
; VGPRBlocks: 28
; NumSGPRsForWavesPerEU: 74
; NumVGPRsForWavesPerEU: 228
; AccumOffset: 188
; Occupancy: 1
; WaveLimiterHint : 1
; COMPUTE_PGM_RSRC2:SCRATCH_EN: 0
; COMPUTE_PGM_RSRC2:USER_SGPR: 2
; COMPUTE_PGM_RSRC2:TRAP_HANDLER: 0
; COMPUTE_PGM_RSRC2:TGID_X_EN: 1
; COMPUTE_PGM_RSRC2:TGID_Y_EN: 1
; COMPUTE_PGM_RSRC2:TGID_Z_EN: 0
; COMPUTE_PGM_RSRC2:TIDIG_COMP_CNT: 0
; COMPUTE_PGM_RSRC3_GFX90A:ACCUM_OFFSET: 46
; COMPUTE_PGM_RSRC3_GFX90A:TG_SPLIT: 0
	.section	.text._ZN12_GLOBAL__N_139chunk_gated_delta_rule_fwd_h_hip_kernelILi64ELb0ELb0ELb1ELb0ELb1ELb1ELb1ELb1EEEvPK12hip_bfloat16S3_S3_PKfS5_PKvPS1_S8_PvPKiSB_iiiiilll,"axG",@progbits,_ZN12_GLOBAL__N_139chunk_gated_delta_rule_fwd_h_hip_kernelILi64ELb0ELb0ELb1ELb0ELb1ELb1ELb1ELb1EEEvPK12hip_bfloat16S3_S3_PKfS5_PKvPS1_S8_PvPKiSB_iiiiilll,comdat
	.globl	_ZN12_GLOBAL__N_139chunk_gated_delta_rule_fwd_h_hip_kernelILi64ELb0ELb0ELb1ELb0ELb1ELb1ELb1ELb1EEEvPK12hip_bfloat16S3_S3_PKfS5_PKvPS1_S8_PvPKiSB_iiiiilll ; -- Begin function _ZN12_GLOBAL__N_139chunk_gated_delta_rule_fwd_h_hip_kernelILi64ELb0ELb0ELb1ELb0ELb1ELb1ELb1ELb1EEEvPK12hip_bfloat16S3_S3_PKfS5_PKvPS1_S8_PvPKiSB_iiiiilll
	.p2align	8
	.type	_ZN12_GLOBAL__N_139chunk_gated_delta_rule_fwd_h_hip_kernelILi64ELb0ELb0ELb1ELb0ELb1ELb1ELb1ELb1EEEvPK12hip_bfloat16S3_S3_PKfS5_PKvPS1_S8_PvPKiSB_iiiiilll,@function
_ZN12_GLOBAL__N_139chunk_gated_delta_rule_fwd_h_hip_kernelILi64ELb0ELb0ELb1ELb0ELb1ELb1ELb1ELb1EEEvPK12hip_bfloat16S3_S3_PKfS5_PKvPS1_S8_PvPKiSB_iiiiilll: ; @_ZN12_GLOBAL__N_139chunk_gated_delta_rule_fwd_h_hip_kernelILi64ELb0ELb0ELb1ELb0ELb1ELb1ELb1ELb1EEEvPK12hip_bfloat16S3_S3_PKfS5_PKvPS1_S8_PvPKiSB_iiiiilll
; %bb.0:
	s_load_dwordx4 s[16:19], s[0:1], 0x5c
	s_load_dwordx4 s[12:15], s[0:1], 0x30
	s_abs_i32 s22, s3
	s_ashr_i32 s21, s3, 31
	s_load_dwordx8 s[4:11], s[0:1], 0x0
	s_waitcnt lgkmcnt(0)
	s_abs_i32 s20, s17
	v_cvt_f32_u32_e32 v1, s20
	s_sub_i32 s24, 0, s20
	s_ashr_i32 s23, s17, 31
	s_xor_b32 s21, s21, s23
	v_rcp_iflag_f32_e32 v1, v1
	v_lshrrev_b32_e32 v87, 6, v0
	v_bfe_u32 v88, v0, 4, 2
	v_lshlrev_b32_e32 v2, 2, v88
	v_mul_f32_e32 v1, 0x4f7ffffe, v1
	v_cvt_u32_f32_e32 v1, v1
	v_and_b32_e32 v86, 63, v0
	v_mov_b32_e32 v47, 0
	v_and_b32_e32 v45, 15, v0
	v_readfirstlane_b32 s25, v1
	s_mul_i32 s24, s24, s25
	s_mul_hi_u32 s24, s25, s24
	s_add_i32 s25, s25, s24
	s_mul_hi_u32 s24, s22, s25
	s_mul_i32 s25, s24, s20
	s_sub_i32 s22, s22, s25
	s_add_i32 s26, s24, 1
	s_sub_i32 s25, s22, s20
	s_cmp_ge_u32 s22, s20
	s_cselect_b32 s24, s26, s24
	s_cselect_b32 s22, s25, s22
	s_add_i32 s25, s24, 1
	s_cmp_ge_u32 s22, s20
	s_cselect_b32 s22, s25, s24
	s_abs_i32 s24, s18
	v_cvt_f32_u32_e32 v1, s24
	s_xor_b32 s22, s22, s21
	s_ashr_i32 s48, s16, 31
	s_sub_i32 s50, s22, s21
	v_rcp_iflag_f32_e32 v1, v1
	s_lshr_b32 s21, s48, 26
	s_add_i32 s21, s16, s21
	s_ashr_i32 s51, s18, 31
	v_mul_f32_e32 v1, 0x4f7ffffe, v1
	v_cvt_u32_f32_e32 v1, v1
	s_ashr_i32 s49, s21, 6
	s_xor_b32 s21, s23, s51
	s_sub_i32 s22, 0, s24
	v_readfirstlane_b32 s23, v1
	s_mul_i32 s22, s22, s23
	s_mul_hi_u32 s22, s23, s22
	s_add_i32 s23, s23, s22
	s_mul_hi_u32 s22, s20, s23
	s_mul_i32 s23, s22, s24
	s_mul_i32 s47, s50, s17
	s_sub_i32 s20, s20, s23
	s_sub_i32 s33, s3, s47
	s_add_i32 s3, s16, 63
	s_add_i32 s23, s22, 1
	s_sub_i32 s25, s20, s24
	s_cmp_ge_u32 s20, s24
	s_cselect_b32 s22, s23, s22
	s_cselect_b32 s20, s25, s20
	s_add_i32 s23, s22, 1
	s_cmp_ge_u32 s20, s24
	s_cselect_b32 s20, s23, s22
	s_xor_b32 s20, s20, s21
	s_sub_i32 s24, s20, s21
	s_abs_i32 s25, s24
	v_cvt_f32_u32_e32 v1, s25
	s_sub_i32 s27, 0, s25
	s_abs_i32 s26, s33
	s_xor_b32 s24, s33, s24
	v_rcp_iflag_f32_e32 v1, v1
	s_ashr_i32 s24, s24, 31
	s_load_dwordx2 s[34:35], s[0:1], 0x80
	s_load_dwordx4 s[20:23], s[0:1], 0x70
	s_mul_hi_i32 s53, s50, s17
	v_mul_f32_e32 v1, 0x4f7ffffe, v1
	v_cvt_u32_f32_e32 v1, v1
	v_lshrrev_b32_e32 v90, 3, v86
	v_lshlrev_b32_e32 v89, 3, v0
	s_waitcnt lgkmcnt(0)
	s_mul_i32 s21, s50, s21
	v_readfirstlane_b32 s28, v1
	s_mul_i32 s27, s27, s28
	s_mul_hi_u32 s27, s28, s27
	s_add_i32 s28, s28, s27
	s_mul_hi_u32 s27, s26, s28
	s_mul_i32 s28, s27, s25
	s_sub_i32 s26, s26, s28
	s_add_i32 s28, s27, 1
	s_sub_i32 s29, s26, s25
	s_cmp_ge_u32 s26, s25
	s_cselect_b32 s27, s28, s27
	s_cselect_b32 s26, s29, s26
	s_add_i32 s28, s27, 1
	s_cmp_ge_u32 s26, s25
	s_cselect_b32 s25, s28, s27
	s_xor_b32 s25, s25, s24
	s_sub_i32 s54, s25, s24
	s_ashr_i32 s24, s3, 31
	s_lshr_b32 s24, s24, 26
	v_lshlrev_b32_e32 v1, 4, v87
	s_add_i32 s3, s3, s24
	v_or_b32_e32 v91, v2, v1
	s_ashr_i32 s3, s3, 6
	s_lshl_b32 s36, s2, 6
	s_mul_i32 s52, s50, s3
	v_or_b32_e32 v92, 64, v91
	s_cmp_lt_i32 s16, 64
	s_mul_hi_u32 s46, s50, s20
	s_mul_i32 s38, s50, s20
	v_mov_b32_e32 v46, v47
	v_mov_b32_e32 v53, v47
	;; [unrolled: 1-line block ×31, first 2 shown]
	s_cbranch_scc1 .LBB15_18
; %bb.1:
	s_ashr_i32 s28, s50, 31
	s_ashr_i32 s56, s33, 31
	s_add_u32 s2, s47, s33
	s_addc_u32 s3, s53, s56
	s_mul_i32 s3, s16, s3
	s_mul_hi_u32 s24, s16, s2
	s_add_i32 s41, s24, s3
	s_mul_i32 s40, s16, s2
	s_lshl_b64 s[2:3], s[40:41], 8
	v_and_b32_e32 v94, 56, v89
	s_add_u32 s24, s6, s2
	v_lshl_or_b32 v93, v87, 3, v90
	v_lshlrev_b32_e32 v3, 1, v94
	s_addc_u32 s2, s7, s3
	v_lshl_or_b32 v95, v93, 8, v3
	s_and_b32 s25, s2, 0xffff
	s_mov_b32 s27, 0x20000
	s_movk_i32 s26, 0x4000
	s_movk_i32 s2, 0x80
	v_or_b32_e32 v96, 0x2000, v95
	buffer_load_dwordx4 v[4:7], v95, s[24:27], 0 offen
	buffer_load_dwordx4 v[8:11], v95, s[24:27], s2 offen
	;; [unrolled: 1-line block ×4, first 2 shown]
	v_lshlrev_b32_e32 v20, 3, v93
	v_and_or_b32 v22, v0, 7, v20
	v_and_b32_e32 v20, 0x78, v20
	v_lshlrev_b32_e32 v22, 4, v22
	v_xor_b32_e32 v97, v22, v20
	v_mul_lo_u32 v21, v93, s19
	v_or_b32_e32 v98, 0x1000, v97
	s_cmpk_eq_i32 s19, 0x80
	s_mov_b32 s55, s18
	v_xor_b32_e32 v20, 8, v97
	v_xor_b32_e32 v22, 8, v98
	s_cselect_b64 s[2:3], -1, 0
	s_cmpk_lg_i32 s19, 0x80
	s_waitcnt vmcnt(3)
	ds_write_b64 v97, v[4:5] offset:49152
	ds_write_b64 v20, v[6:7] offset:49152
	s_waitcnt vmcnt(2)
	ds_write_b64 v97, v[8:9] offset:57344
	ds_write_b64 v20, v[10:11] offset:57344
	;; [unrolled: 3-line block ×4, first 2 shown]
	v_lshl_add_u32 v4, v21, 1, v94
	s_cbranch_scc0 .LBB15_3
; %bb.2:
	v_lshlrev_b32_e32 v6, 1, v4
	v_add_lshl_u32 v5, v4, s19, 1
	s_lshl_b32 s26, s19, 7
	s_load_dwordx2 s[42:43], s[0:1], 0x20
	v_lshl_or_b32 v3, v93, 9, v3
	s_cbranch_execz .LBB15_4
	s_branch .LBB15_5
.LBB15_3:
                                        ; implicit-def: $vgpr5
                                        ; implicit-def: $vgpr6
                                        ; implicit-def: $sgpr26
	s_load_dwordx2 s[42:43], s[0:1], 0x20
	v_lshl_or_b32 v3, v93, 9, v3
.LBB15_4:
	v_or_b32_e32 v5, 0x100, v3
	s_movk_i32 s26, 0x4000
	v_mov_b32_e32 v6, v3
.LBB15_5:
	s_mul_hi_u32 s0, s18, s16
	s_mul_i32 s1, s51, s16
	s_add_i32 s0, s0, s1
	s_mul_i32 s1, s18, s16
	s_mul_i32 s24, s1, s28
	s_mul_hi_u32 s25, s1, s50
	s_add_i32 s24, s25, s24
	s_mul_i32 s0, s0, s50
	s_add_i32 s24, s24, s0
	s_mul_i32 s1, s1, s50
	s_ashr_i32 s57, s54, 31
	s_add_u32 s0, s1, s54
	s_addc_u32 s1, s24, s57
	s_lshl_b64 s[0:1], s[0:1], 8
	s_add_u32 s24, s4, s0
	s_addc_u32 s0, s5, s1
	s_and_b32 s25, s0, 0xffff
	s_movk_i32 s58, 0x80
	buffer_load_dwordx4 v[8:11], v6, s[24:27], 0 offen
	buffer_load_dwordx4 v[12:15], v6, s[24:27], s58 offen
	;; [unrolled: 1-line block ×4, first 2 shown]
	v_and_b32_e32 v5, 6, v0
	v_lshlrev_b32_e32 v6, 7, v91
	v_xor_b32_e32 v27, v93, v5
	v_and_b32_e32 v7, 1, v0
	v_lshl_or_b32 v30, v45, 3, v6
	v_lshlrev_b32_e32 v27, 2, v27
	v_or_b32_e32 v99, 0x4000, v30
	v_or_b32_e32 v100, 0x6000, v30
	v_xor_b32_e32 v30, 0x440, v27
	v_cmp_eq_u32_e32 vcc, 0, v7
	v_lshlrev_b32_e32 v24, 2, v45
	s_mov_b32 s61, 0x1000504
	v_cndmask_b32_e32 v7, v30, v27, vcc
	v_xor_b32_e32 v28, v91, v24
	v_xor_b32_e32 v29, v92, v24
	v_lshl_or_b32 v5, v5, 10, v7
	s_mov_b32 s62, 0x3020706
	s_mul_i32 s0, s28, s16
	s_mul_hi_u32 s1, s50, s16
	v_lshlrev_b32_e32 v25, 8, v45
	v_or_b32_e32 v26, 16, v45
	v_lshlrev_b32_e32 v28, 1, v28
	v_lshlrev_b32_e32 v29, 1, v29
	v_xor_b32_e32 v7, 8, v5
	v_xor_b32_e32 v27, 24, v5
	;; [unrolled: 1-line block ×4, first 2 shown]
	v_or_b32_e32 v102, v25, v28
	v_or_b32_e32 v103, v25, v29
	v_xor_b32_e32 v25, 16, v5
	v_xor_b32_e32 v30, 32, v5
	;; [unrolled: 1-line block ×3, first 2 shown]
	v_add_u32_e32 v7, 0x80, v7
	v_add_u32_e32 v27, 0x80, v27
	;; [unrolled: 1-line block ×4, first 2 shown]
	s_add_i32 s63, s1, s0
	s_add_i32 s0, s46, s21
	s_mul_i32 s28, s28, s20
	s_add_i32 s39, s0, s28
	s_mul_i32 s0, s33, s23
	s_mul_hi_u32 s1, s33, s22
	s_add_i32 s0, s1, s0
	s_mul_i32 s1, s56, s22
	s_add_i32 s1, s0, s1
	s_lshl_b64 s[24:25], s[38:39], 2
	s_mul_i32 s0, s33, s22
	s_add_u32 s24, s10, s24
	s_addc_u32 s25, s11, s25
	s_lshl_b64 s[0:1], s[0:1], 2
	s_add_u32 s44, s24, s0
	s_movk_i32 s0, 0xf8
	s_addc_u32 s45, s25, s1
	s_ashr_i32 s37, s36, 31
	s_lshl_b32 s30, s19, 7
	v_mov_b32_e32 v79, 0
	s_movk_i32 s24, 0x100
	v_lshlrev_b32_e32 v78, 4, v45
	s_mul_i32 s59, s50, s16
	v_lshl_or_b32 v31, v26, 3, v6
	s_mov_b32 s60, 0
	v_or_b32_e32 v101, 0x4000, v31
	s_movk_i32 s26, 0x4000
	v_or_b32_e32 v104, 0x6000, v31
	v_add_u32_e32 v136, v1, v2
	s_mov_b32 s39, 0x7060302
	s_movk_i32 s64, 0x2000
	s_movk_i32 s65, 0x3000
	s_mov_b32 s67, 0
	v_mov_b32_e32 v70, v79
	v_mov_b32_e32 v71, v79
	;; [unrolled: 1-line block ×9, first 2 shown]
	s_waitcnt vmcnt(1)
	v_perm_b32 v35, v8, v16, s61
	s_waitcnt vmcnt(0)
	v_perm_b32 v36, v12, v20, s61
	v_perm_b32 v8, v8, v16, s62
	;; [unrolled: 1-line block ×15, first 2 shown]
	ds_write2st64_b32 v5, v35, v36 offset0:128 offset1:160
	ds_write2st64_b32 v7, v8, v12 offset0:128 offset1:160
	;; [unrolled: 1-line block ×8, first 2 shown]
	v_lshlrev_b32_e32 v5, 8, v26
	v_or_b32_e32 v105, v5, v28
	v_or_b32_e32 v106, v5, v29
	;; [unrolled: 1-line block ×3, first 2 shown]
	v_lshl_or_b32 v7, v5, 3, v6
	v_lshlrev_b32_e32 v5, 8, v5
	v_or_b32_e32 v109, v5, v28
	v_or_b32_e32 v110, v5, v29
	;; [unrolled: 1-line block ×5, first 2 shown]
	v_lshl_or_b32 v7, v5, 3, v6
	v_lshlrev_b32_e32 v5, 8, v5
	v_or_b32_e32 v113, v5, v28
	v_or_b32_e32 v114, v5, v29
	;; [unrolled: 1-line block ×3, first 2 shown]
	v_lshlrev_b32_e32 v5, 3, v5
	v_lshrrev_b32_e32 v9, 5, v86
	v_and_or_b32 v9, v5, s0, v9
	v_lshlrev_b32_e32 v9, 4, v9
	v_lshlrev_b32_e32 v11, 11, v87
	v_and_b32_e32 v5, 0x78, v5
	v_or_b32_e32 v14, 32, v9
	v_and_b32_e32 v8, 0x1000, v11
	v_xor_b32_e32 v10, v9, v5
	v_lshrrev_b32_e32 v12, 1, v86
	v_xor_b32_e32 v14, v14, v5
	v_or_b32_e32 v10, v10, v8
	v_and_b32_e32 v12, 8, v12
	v_or_b32_e32 v14, v14, v8
	v_xor_b32_e32 v115, v10, v12
	v_lshlrev_b32_e32 v10, 8, v88
	v_xor_b32_e32 v117, v14, v12
	v_or_b32_e32 v14, 64, v9
	v_or_b32_e32 v9, 0x60, v9
	;; [unrolled: 1-line block ×3, first 2 shown]
	v_xor_b32_e32 v14, v14, v5
	v_xor_b32_e32 v5, v9, v5
	v_lshlrev_b32_e32 v13, 1, v13
	v_or_b32_e32 v14, v14, v8
	v_or_b32_e32 v5, v5, v8
	s_lshl_b64 s[0:1], s[36:37], 8
	v_or_b32_e32 v116, 0x4000, v13
	v_or_b32_e32 v118, 0x4080, v13
	;; [unrolled: 1-line block ×4, first 2 shown]
	v_xor_b32_e32 v121, v14, v12
	v_xor_b32_e32 v122, v5, v12
	v_or_b32_e32 v123, 0x6000, v13
	v_or_b32_e32 v124, 0x6080, v13
	;; [unrolled: 1-line block ×4, first 2 shown]
	v_lshlrev_b32_e32 v12, 1, v4
	v_add_lshl_u32 v13, v4, s19, 1
	s_add_u32 s0, s12, s0
	v_lshlrev_b32_e32 v4, 1, v45
	v_lshrrev_b32_e32 v15, 4, v0
	s_addc_u32 s1, s13, s1
	v_or_b32_e32 v5, 1, v4
	v_lshlrev_b32_e32 v18, 2, v0
	v_or_b32_e32 v14, 0x100, v3
	v_xor_b32_e32 v16, v15, v4
	v_xor_b32_e32 v17, v5, v15
	v_lshl_add_u64 v[4:5], s[0:1], 0, v[78:79]
	v_lshlrev_b32_e32 v78, 8, v15
	v_lshrrev_b32_e32 v19, 1, v0
	v_and_or_b32 v10, v18, 60, v10
	v_cndmask_b32_e64 v133, v12, v3, s[2:3]
	v_mov_b32_e32 v3, 0xa000
	v_mov_b32_e32 v12, 0x8000
	v_cmp_gt_u32_e64 s[0:1], s24, v0
	v_lshl_or_b32 v127, v16, 3, v78
	v_and_b32_e32 v16, 8, v0
	v_and_b32_e32 v19, 24, v19
	v_lshlrev_b32_e32 v10, 1, v10
	v_cndmask_b32_e64 v3, v3, v12, s[0:1]
	v_lshlrev_b32_e32 v12, 3, v87
	v_or_b32_e32 v129, 0x6000, v10
	v_or_b32_e32 v130, 0x6080, v10
	;; [unrolled: 1-line block ×4, first 2 shown]
	v_mov_b32_e32 v10, 0x400
	v_cmp_eq_u32_e32 vcc, 0, v16
	v_cndmask_b32_e64 v134, v13, v14, s[2:3]
	v_xor_b32_e32 v13, v12, v19
	v_and_b32_e32 v15, 7, v0
	v_cndmask_b32_e64 v16, v10, 64, vcc
	v_or_b32_e32 v14, 0x440, v13
	v_lshl_or_b32 v128, v17, 3, v78
	v_lshlrev_b32_e32 v17, 3, v15
	v_or_b32_e32 v18, 32, v19
	v_or_b32_e32 v20, 0x60, v19
	v_cndmask_b32_e32 v14, v14, v13, vcc
	v_or3_b32 v13, v11, v16, v13
	v_lshlrev_b32_e32 v15, 7, v15
	v_xor_b32_e32 v18, v12, v18
	v_xor_b32_e32 v13, v13, v17
	;; [unrolled: 1-line block ×3, first 2 shown]
	v_or_b32_e32 v21, 0x440, v18
	v_or_b32_e32 v135, v13, v15
	v_xor_b32_e32 v13, 0x440, v12
	v_cndmask_b32_e32 v18, v21, v18, vcc
	v_cndmask_b32_e32 v12, v13, v12, vcc
	v_or_b32_e32 v111, 0x4000, v7
	v_or_b32_e32 v112, 0x6000, v7
	v_lshrrev_b32_e32 v7, 2, v86
	v_or_b32_e32 v8, s36, v45
	v_or_b32_e32 v14, v14, v11
	;; [unrolled: 1-line block ×4, first 2 shown]
	v_and_b32_e32 v7, 12, v7
	v_ashrrev_i32_e32 v9, 31, v8
	v_xor_b32_e32 v14, v14, v17
	v_xor_b32_e32 v18, v18, v17
	;; [unrolled: 1-line block ×3, first 2 shown]
	v_or_b32_e32 v10, v1, v7
	v_add_u32_e32 v19, v3, v14
	v_add_u32_e32 v21, v3, v18
	;; [unrolled: 1-line block ×3, first 2 shown]
	v_or3_b32 v12, v1, v7, 64
	v_add_u32_e32 v7, 0xa000, v14
	v_add_u32_e32 v14, 0xa000, v18
	;; [unrolled: 1-line block ×3, first 2 shown]
	v_lshlrev_b64 v[8:9], 1, v[8:9]
	v_lshl_add_u64 v[80:81], s[8:9], 0, v[8:9]
	v_lshl_add_u64 v[82:83], s[14:15], 0, v[8:9]
	;; [unrolled: 1-line block ×3, first 2 shown]
	s_add_i32 s37, s59, 63
	v_lshlrev_b32_e32 v78, 1, v6
	v_lshlrev_b32_e32 v137, 2, v10
	v_add_u32_e32 v138, v19, v15
	v_add_u32_e32 v139, v21, v15
	;; [unrolled: 1-line block ×4, first 2 shown]
	v_lshlrev_b32_e32 v142, 2, v12
	v_add_u32_e32 v143, v7, v15
	v_add_u32_e32 v144, v14, v15
	;; [unrolled: 1-line block ×3, first 2 shown]
	v_mov_b32_e32 v63, v79
	v_mov_b32_e32 v64, v79
	;; [unrolled: 1-line block ×23, first 2 shown]
	s_waitcnt lgkmcnt(0)
	s_barrier
.LBB15_6:                               ; =>This Inner Loop Header: Depth=1
	s_add_i32 s66, s67, 1
	s_cmp_lt_i32 s66, s49
	s_mov_b64 s[28:29], 0
	s_cselect_b64 s[2:3], -1, 0
	s_cmp_ge_i32 s66, s49
	s_mov_b64 s[24:25], 0
	s_cbranch_scc1 .LBB15_8
; %bb.7:                                ;   in Loop: Header=BB15_6 Depth=1
	s_add_i32 s0, s60, 64
	s_add_u32 s0, s40, s0
	s_addc_u32 s1, s41, 0
	s_lshl_b64 s[0:1], s[0:1], 8
	s_add_u32 s24, s6, s0
	s_addc_u32 s25, s7, s1
.LBB15_8:                               ;   in Loop: Header=BB15_6 Depth=1
	v_cndmask_b32_e64 v2, 0, 1, s[2:3]
	v_cmp_ne_u32_e64 s[0:1], 1, v2
	s_andn2_b64 vcc, exec, s[2:3]
	s_cbranch_vccnz .LBB15_10
; %bb.9:                                ;   in Loop: Header=BB15_6 Depth=1
	s_add_i32 s2, s60, 64
	s_add_u32 s2, s59, s2
	s_addc_u32 s3, s63, 0
	s_mul_i32 s28, s2, s51
	s_mul_hi_u32 s29, s2, s55
	s_add_i32 s28, s29, s28
	s_mul_i32 s3, s3, s55
	s_add_i32 s28, s28, s3
	s_mul_i32 s2, s2, s55
	s_add_u32 s2, s2, s54
	s_addc_u32 s3, s28, s57
	s_lshl_b64 s[2:3], s[2:3], 8
	s_add_u32 s28, s4, s2
	s_addc_u32 s29, s5, s3
.LBB15_10:                              ;   in Loop: Header=BB15_6 Depth=1
	v_perm_b32 v3, v77, v76, s39
	v_perm_b32 v2, v75, v74, s39
	v_perm_b32 v5, v73, v72, s39
	v_perm_b32 v4, v71, v70, s39
	ds_write_b64 v99, v[2:3]
	ds_write_b64 v100, v[4:5]
	ds_write_b64 v102, v[2:3]
	ds_write_b64 v103, v[4:5]
	v_perm_b32 v3, v69, v68, s39
	v_perm_b32 v2, v67, v66, s39
	v_perm_b32 v5, v65, v64, s39
	v_perm_b32 v4, v63, v62, s39
	ds_write_b64 v101, v[2:3]
	ds_write_b64 v104, v[4:5]
	ds_write_b64 v105, v[2:3]
	ds_write_b64 v106, v[4:5]
	;; [unrolled: 8-line block ×4, first 2 shown]
	s_waitcnt lgkmcnt(0)
	s_barrier
	ds_read_b64 v[6:7], v115 offset:49152
	ds_read2_b64 v[2:5], v116 offset1:16
	ds_read_b64 v[18:19], v118 offset:6144
	ds_read_b64 v[20:21], v116 offset:6144
	s_waitcnt lgkmcnt(2)
	v_mfma_f32_16x16x16_bf16 a[0:3], v[6:7], v[2:3], 0
	ds_read_b64 v[22:23], v117 offset:49152
	ds_read2st64_b64 v[10:13], v119 offset0:4 offset1:8
	ds_read2st64_b64 v[14:17], v120 offset0:4 offset1:8
	v_mfma_f32_16x16x16_bf16 a[4:7], v[6:7], v[4:5], 0
	ds_read2_b64 v[2:5], v116 offset0:32 offset1:48
	s_add_i32 s2, s60, 63
	s_mul_i32 s3, s2, s35
	s_waitcnt lgkmcnt(0)
	v_mfma_f32_16x16x16_bf16 a[8:11], v[6:7], v[2:3], 0
	s_mul_hi_u32 s31, s2, s34
	s_add_i32 s3, s31, s3
	s_mul_i32 s2, s2, s34
	v_mfma_f32_16x16x16_bf16 a[12:15], v[6:7], v[4:5], 0
	ds_read2st64_b64 v[2:5], v116 offset0:4 offset1:8
	ds_read2st64_b64 v[6:9], v118 offset0:4 offset1:8
	s_lshl_b64 s[2:3], s[2:3], 2
	s_waitcnt lgkmcnt(1)
	v_mfma_f32_16x16x16_bf16 a[0:3], v[22:23], v[2:3], a[0:3]
	s_add_u32 s2, s44, s2
	s_addc_u32 s3, s45, s3
	s_and_b64 vcc, exec, s[0:1]
	s_waitcnt lgkmcnt(0)
	v_mfma_f32_16x16x16_bf16 a[4:7], v[22:23], v[6:7], a[4:7]
	v_mov_b32_e32 v148, 0
	v_mov_b32_e32 v147, 0
	v_mov_b32_e32 v146, 0
	v_mfma_f32_16x16x16_bf16 a[8:11], v[22:23], v[10:11], a[8:11]
	ds_read_b64 v[2:3], v121 offset:49152
	ds_read_b64 v[6:7], v122 offset:49152
	ds_read_b64 v[10:11], v120 offset:6144
	v_mfma_f32_16x16x16_bf16 a[12:15], v[22:23], v[14:15], a[12:15]
	v_mov_b32_e32 v14, 0
	v_mov_b32_e32 v15, 0
	s_waitcnt lgkmcnt(2)
	v_mfma_f32_16x16x16_bf16 a[0:3], v[2:3], v[4:5], a[0:3]
	v_mov_b32_e32 v4, 0
	v_mov_b32_e32 v5, 0
	v_mfma_f32_16x16x16_bf16 a[16:19], v[2:3], v[8:9], a[4:7]
	v_mov_b32_e32 v8, 0
	v_mov_b32_e32 v9, 0
	;; [unrolled: 3-line block ×3, first 2 shown]
	v_mfma_f32_16x16x16_bf16 a[24:27], v[2:3], v[16:17], a[12:15]
	ds_read_b64 v[2:3], v119 offset:6144
	v_mov_b32_e32 v16, 0
	v_mov_b32_e32 v17, 0
	s_waitcnt lgkmcnt(2)
	v_mfma_f32_16x16x16_bf16 a[4:7], v[6:7], v[20:21], a[0:3]
	v_mfma_f32_16x16x16_bf16 a[8:11], v[6:7], v[18:19], a[16:19]
	s_waitcnt lgkmcnt(0)
	v_mfma_f32_16x16x16_bf16 a[12:15], v[6:7], v[2:3], a[20:23]
	v_mov_b32_e32 v2, 0
	v_mov_b32_e32 v3, 0
	v_mfma_f32_16x16x16_bf16 a[0:3], v[6:7], v[10:11], a[24:27]
	v_mov_b32_e32 v6, 0
	v_mov_b32_e32 v7, 0
	;; [unrolled: 1-line block ×4, first 2 shown]
	s_cbranch_vccnz .LBB15_12
; %bb.11:                               ;   in Loop: Header=BB15_6 Depth=1
	s_and_b32 s25, s25, 0xffff
	buffer_load_dwordx4 v[14:17], v95, s[24:27], 0 offen
	buffer_load_dwordx4 v[10:13], v95, s[24:27], s58 offen
	;; [unrolled: 1-line block ×4, first 2 shown]
	v_mov_b32_e32 v147, v97
	v_mov_b32_e32 v146, v98
.LBB15_12:                              ;   in Loop: Header=BB15_6 Depth=1
	ds_read_b64 v[30:31], v115 offset:57344
	ds_read2_b64 v[18:21], v123 offset1:16
	ds_read_b64 v[34:35], v117 offset:57344
	ds_read_b64 v[36:37], v121 offset:57344
	;; [unrolled: 1-line block ×3, first 2 shown]
	v_add_u32_e32 v32, s60, v136
	s_waitcnt lgkmcnt(3)
	v_mfma_f32_16x16x16_bf16 a[4:7], v[30:31], v[18:19], a[4:7]
	v_mfma_f32_16x16x16_bf16 a[8:11], v[30:31], v[20:21], a[8:11]
	ds_read2_b64 v[18:21], v123 offset0:32 offset1:48
	ds_read2st64_b64 v[22:25], v123 offset0:4 offset1:8
	ds_read2st64_b64 v[26:29], v124 offset0:4 offset1:8
	s_waitcnt lgkmcnt(2)
	v_mfma_f32_16x16x16_bf16 a[12:15], v[30:31], v[18:19], a[12:15]
	v_ashrrev_i32_e32 v18, 31, v32
	v_mul_lo_u32 v33, v18, s34
	v_mad_u64_u32 v[18:19], s[24:25], v32, s34, 0
	v_mfma_f32_16x16x16_bf16 a[0:3], v[30:31], v[20:21], a[0:3]
	v_mul_lo_u32 v20, v32, s35
	v_add3_u32 v19, v19, v20, v33
	v_add_u32_e32 v20, 1, v32
	v_ashrrev_i32_e32 v21, 31, v20
	s_waitcnt lgkmcnt(1)
	v_mfma_f32_16x16x16_bf16 a[4:7], v[34:35], v[22:23], a[4:7]
	v_mul_lo_u32 v22, v21, s34
	v_mul_lo_u32 v23, v20, s35
	v_mad_u64_u32 v[20:21], s[24:25], v20, s34, 0
	v_add3_u32 v21, v21, v23, v22
	v_add_u32_e32 v22, 2, v32
	v_ashrrev_i32_e32 v23, 31, v22
	v_mul_lo_u32 v30, v23, s34
	v_mul_lo_u32 v31, v22, s35
	v_mad_u64_u32 v[22:23], s[24:25], v22, s34, 0
	v_add3_u32 v23, v23, v31, v30
	v_add_u32_e32 v30, 3, v32
	v_ashrrev_i32_e32 v31, 31, v30
	v_mul_lo_u32 v32, v31, s34
	v_mul_lo_u32 v33, v30, s35
	v_mad_u64_u32 v[30:31], s[24:25], v30, s34, 0
	s_add_u32 s24, s40, s60
	v_lshl_add_u64 v[18:19], v[18:19], 2, s[44:45]
	v_add3_u32 v31, v31, v33, v32
	s_addc_u32 s25, s41, 0
	v_lshl_add_u64 v[20:21], v[20:21], 2, s[44:45]
	global_load_dword v40, v[18:19], off
	v_lshl_add_u64 v[18:19], v[30:31], 2, s[44:45]
	s_lshl_b64 s[24:25], s[24:25], 8
	v_lshl_add_u64 v[22:23], v[22:23], 2, s[44:45]
	global_load_dword v41, v[20:21], off
	global_load_dword v42, v[22:23], off
	;; [unrolled: 1-line block ×3, first 2 shown]
	v_lshl_add_u64 v[18:19], v[80:81], 0, s[24:25]
	v_lshl_add_u64 v[22:23], v[18:19], 0, v[78:79]
	global_load_ushort v44, v[22:23], off offset:256
	global_load_ushort v149, v[22:23], off
	ds_read2st64_b64 v[18:21], v125 offset0:4 offset1:8
	global_load_ushort v150, v[22:23], off offset:768
	global_load_ushort v151, v[22:23], off offset:512
	ds_read2st64_b64 v[30:33], v126 offset0:4 offset1:8
	global_load_ushort v152, v[22:23], off offset:288
	global_load_ushort v153, v[22:23], off offset:32
	global_load_ushort v154, v[22:23], off offset:800
	global_load_ushort v155, v[22:23], off offset:544
	s_waitcnt lgkmcnt(2)
	v_mfma_f32_16x16x16_bf16 a[8:11], v[34:35], v[26:27], a[8:11]
	global_load_ushort v156, v[22:23], off offset:320
	global_load_ushort v157, v[22:23], off offset:64
	;; [unrolled: 1-line block ×4, first 2 shown]
	s_and_b64 vcc, exec, s[0:1]
	s_waitcnt lgkmcnt(1)
	v_mfma_f32_16x16x16_bf16 a[12:15], v[34:35], v[18:19], a[12:15]
	ds_read_b64 v[18:19], v123 offset:6144
	s_waitcnt lgkmcnt(1)
	v_mfma_f32_16x16x16_bf16 a[0:3], v[34:35], v[30:31], a[0:3]
	v_lshl_add_u64 v[30:31], v[82:83], 0, s[24:25]
	v_lshl_add_u64 v[30:31], v[30:31], 0, v[78:79]
	v_mfma_f32_16x16x16_bf16 a[4:7], v[36:37], v[24:25], a[4:7]
	v_mfma_f32_16x16x16_bf16 a[8:11], v[36:37], v[28:29], a[8:11]
	;; [unrolled: 1-line block ×4, first 2 shown]
	global_load_ushort v36, v[22:23], off offset:352
	global_load_ushort v37, v[22:23], off offset:96
	ds_read_b64 v[20:21], v124 offset:6144
	ds_read_b64 v[24:25], v125 offset:6144
	;; [unrolled: 1-line block ×3, first 2 shown]
	s_load_dword s2, s[2:3], 0x0
	global_load_ushort v160, v[22:23], off offset:864
	global_load_ushort v161, v[22:23], off offset:608
	s_waitcnt lgkmcnt(0)
	v_mfma_f32_16x16x16_bf16 a[4:7], v[38:39], v[18:19], a[4:7]
	s_waitcnt vmcnt(17)
	v_sub_f32_e32 v28, s2, v42
	v_mfma_f32_16x16x16_bf16 a[0:3], v[38:39], v[26:27], a[0:3]
	v_sub_f32_e32 v26, s2, v40
	v_sub_f32_e32 v27, s2, v41
	s_waitcnt vmcnt(16)
	v_sub_f32_e32 v29, s2, v43
	v_mfma_f32_16x16x16_bf16 a[8:11], v[38:39], v[20:21], a[8:11]
	v_exp_f32_e32 v26, v26
	v_exp_f32_e32 v27, v27
	;; [unrolled: 1-line block ×4, first 2 shown]
	v_accvgpr_read_b32 v35, a5
	s_waitcnt vmcnt(15)
	v_lshlrev_b32_e32 v33, 16, v44
	s_waitcnt vmcnt(14)
	v_lshlrev_b32_e32 v32, 16, v149
	v_accvgpr_read_b32 v34, a4
	v_accvgpr_read_b32 v19, a7
	;; [unrolled: 1-line block ×3, first 2 shown]
	v_pk_add_f32 v[32:33], v[32:33], v[34:35] neg_lo:[0,1] neg_hi:[0,1]
	s_waitcnt vmcnt(13)
	v_lshlrev_b32_e32 v35, 16, v150
	s_waitcnt vmcnt(12)
	v_lshlrev_b32_e32 v34, 16, v151
	v_pk_add_f32 v[18:19], v[34:35], v[18:19] neg_lo:[0,1] neg_hi:[0,1]
	global_store_short_d16_hi v[30:31], v32, off
	global_store_short_d16_hi v[30:31], v33, off offset:256
	global_store_short_d16_hi v[30:31], v18, off offset:512
	;; [unrolled: 1-line block ×3, first 2 shown]
	v_pk_mul_f32 v[32:33], v[26:27], v[32:33]
	v_pk_mul_f32 v[18:19], v[28:29], v[18:19]
	v_accvgpr_read_b32 v35, a9
	v_perm_b32 v32, v33, v32, s39
	v_perm_b32 v33, v19, v18, s39
	s_waitcnt vmcnt(15)
	v_lshlrev_b32_e32 v19, 16, v152
	s_waitcnt vmcnt(14)
	v_lshlrev_b32_e32 v18, 16, v153
	v_accvgpr_read_b32 v34, a8
	v_accvgpr_read_b32 v21, a11
	v_mfma_f32_16x16x16_bf16 a[12:15], v[38:39], v[24:25], a[12:15]
	v_accvgpr_read_b32 v20, a10
	v_pk_add_f32 v[18:19], v[18:19], v[34:35] neg_lo:[0,1] neg_hi:[0,1]
	s_waitcnt vmcnt(13)
	v_lshlrev_b32_e32 v35, 16, v154
	s_waitcnt vmcnt(12)
	v_lshlrev_b32_e32 v34, 16, v155
	v_pk_add_f32 v[20:21], v[34:35], v[20:21] neg_lo:[0,1] neg_hi:[0,1]
	global_store_short_d16_hi v[30:31], v18, off offset:32
	global_store_short_d16_hi v[30:31], v19, off offset:288
	;; [unrolled: 1-line block ×4, first 2 shown]
	v_pk_mul_f32 v[18:19], v[26:27], v[18:19]
	v_pk_mul_f32 v[20:21], v[28:29], v[20:21]
	v_accvgpr_read_b32 v23, a15
	v_perm_b32 v21, v21, v20, s39
	v_perm_b32 v20, v19, v18, s39
	ds_write2_b64 v100, v[32:33], v[20:21] offset1:16
	v_accvgpr_read_b32 v21, a13
	s_waitcnt vmcnt(15)
	v_lshlrev_b32_e32 v19, 16, v156
	s_waitcnt vmcnt(14)
	v_lshlrev_b32_e32 v18, 16, v157
	v_accvgpr_read_b32 v20, a12
	v_accvgpr_read_b32 v22, a14
	v_pk_add_f32 v[18:19], v[18:19], v[20:21] neg_lo:[0,1] neg_hi:[0,1]
	s_waitcnt vmcnt(13)
	v_lshlrev_b32_e32 v21, 16, v158
	s_waitcnt vmcnt(12)
	v_lshlrev_b32_e32 v20, 16, v159
	v_pk_add_f32 v[20:21], v[20:21], v[22:23] neg_lo:[0,1] neg_hi:[0,1]
	global_store_short_d16_hi v[30:31], v18, off offset:64
	global_store_short_d16_hi v[30:31], v19, off offset:320
	;; [unrolled: 1-line block ×4, first 2 shown]
	v_pk_mul_f32 v[18:19], v[26:27], v[18:19]
	v_pk_mul_f32 v[20:21], v[28:29], v[20:21]
	v_accvgpr_read_b32 v23, a1
	v_perm_b32 v18, v19, v18, s39
	v_perm_b32 v19, v21, v20, s39
	s_waitcnt vmcnt(15)
	v_lshlrev_b32_e32 v21, 16, v36
	s_waitcnt vmcnt(14)
	v_lshlrev_b32_e32 v20, 16, v37
	v_accvgpr_read_b32 v22, a0
	v_accvgpr_read_b32 v25, a3
	;; [unrolled: 1-line block ×3, first 2 shown]
	v_pk_add_f32 v[20:21], v[20:21], v[22:23] neg_lo:[0,1] neg_hi:[0,1]
	s_waitcnt vmcnt(13)
	v_lshlrev_b32_e32 v23, 16, v160
	s_waitcnt vmcnt(12)
	v_lshlrev_b32_e32 v22, 16, v161
	v_pk_add_f32 v[22:23], v[22:23], v[24:25] neg_lo:[0,1] neg_hi:[0,1]
	global_store_short_d16_hi v[30:31], v20, off offset:96
	global_store_short_d16_hi v[30:31], v21, off offset:352
	;; [unrolled: 1-line block ×4, first 2 shown]
	v_pk_mul_f32 v[20:21], v[26:27], v[20:21]
	v_pk_mul_f32 v[22:23], v[28:29], v[22:23]
	v_mov_b32_e32 v149, 0
	v_perm_b32 v23, v23, v22, s39
	v_perm_b32 v22, v21, v20, s39
	ds_write2_b64 v100, v[18:19], v[22:23] offset0:32 offset1:48
	v_mov_b32_e32 v18, 0
	v_mov_b32_e32 v19, 0
	;; [unrolled: 1-line block ×16, first 2 shown]
	s_cbranch_vccnz .LBB15_14
; %bb.13:                               ;   in Loop: Header=BB15_6 Depth=1
	s_and_b32 s29, s29, 0xffff
	s_mov_b32 s31, s27
	buffer_load_dwordx4 v[30:33], v133, s[28:31], 0 offen
	buffer_load_dwordx4 v[22:25], v133, s[28:31], s58 offen
	;; [unrolled: 1-line block ×4, first 2 shown]
	v_mov_b32_e32 v148, v94
	v_mov_b32_e32 v149, v93
.LBB15_14:                              ;   in Loop: Header=BB15_6 Depth=1
	s_waitcnt lgkmcnt(0)
	s_barrier
	ds_read_b64 v[42:43], v138
	ds_read2_b64 v[34:37], v129 offset1:16
	ds_read_b64 v[166:167], v139
	ds_read_b64 v[168:169], v140
	;; [unrolled: 1-line block ×3, first 2 shown]
	ds_read2_b64 v[38:41], v129 offset0:32 offset1:48
	ds_read2st64_b64 v[150:153], v129 offset0:4 offset1:8
	ds_read2st64_b64 v[154:157], v130 offset0:4 offset1:8
	;; [unrolled: 1-line block ×4, first 2 shown]
	s_waitcnt lgkmcnt(8)
	v_mfma_f32_16x16x16_bf16 a[0:3], v[42:43], v[34:35], 0
	s_add_i32 s3, s52, s67
	s_mul_hi_i32 s25, s3, s17
	s_mul_i32 s3, s3, s17
	v_mfma_f32_16x16x16_bf16 a[4:7], v[42:43], v[36:37], 0
	s_add_u32 s24, s3, s33
	s_addc_u32 s25, s25, s56
	s_add_i32 s3, s37, s60
	s_waitcnt lgkmcnt(4)
	v_mfma_f32_16x16x16_bf16 a[8:11], v[42:43], v[38:39], 0
	s_lshl_b64 s[24:25], s[24:25], 15
	s_mul_hi_i32 s29, s3, s17
	s_mul_i32 s3, s3, s17
	v_mfma_f32_16x16x16_bf16 a[12:15], v[42:43], v[40:41], 0
	ds_read_b64 v[42:43], v129 offset:6144
	ds_read_b64 v[178:179], v130 offset:6144
	;; [unrolled: 1-line block ×4, first 2 shown]
	s_add_u32 s28, s3, s33
	s_waitcnt lgkmcnt(7)
	v_mfma_f32_16x16x16_bf16 a[0:3], v[166:167], v[150:151], a[0:3]
	s_addc_u32 s29, s29, s56
	s_lshl_b64 s[28:29], s[28:29], 9
	s_add_u32 s28, s42, s28
	s_waitcnt lgkmcnt(6)
	v_mfma_f32_16x16x16_bf16 a[4:7], v[166:167], v[154:155], a[4:7]
	s_addc_u32 s29, s43, s29
	v_lshl_add_u64 v[188:189], v[84:85], 0, s[24:25]
	s_waitcnt lgkmcnt(5)
	v_mfma_f32_16x16x16_bf16 a[8:11], v[166:167], v[158:159], a[8:11]
	s_waitcnt lgkmcnt(4)
	v_mfma_f32_16x16x16_bf16 a[12:15], v[166:167], v[162:163], a[12:15]
	ds_read_b64 v[166:167], v143
	ds_read_b64 v[176:177], v144
	;; [unrolled: 1-line block ×3, first 2 shown]
	s_waitcnt lgkmcnt(2)
	v_mfma_f32_16x16x16_bf16 a[16:19], v[166:167], v[34:35], 0
	v_mfma_f32_16x16x16_bf16 a[20:23], v[166:167], v[36:37], 0
	global_load_dwordx4 v[34:37], v142, s[28:29]
	v_mfma_f32_16x16x16_bf16 a[24:27], v[166:167], v[38:39], 0
	v_mfma_f32_16x16x16_bf16 a[28:31], v[166:167], v[40:41], 0
	global_load_dwordx4 v[38:41], v137, s[28:29]
	v_mfma_f32_16x16x16_bf16 a[0:3], v[168:169], v[152:153], a[0:3]
	v_mfma_f32_16x16x16_bf16 a[4:7], v[168:169], v[156:157], a[4:7]
	;; [unrolled: 1-line block ×8, first 2 shown]
	ds_read2st64_b64 v[166:169], v127 offset1:8
	ds_read2st64_b64 v[170:173], v128 offset1:8
	ds_read_b64 v[186:187], v135 offset:40960
	s_waitcnt lgkmcnt(2)
	v_mov_b32_e32 v174, v166
	v_mfma_f32_16x16x16_bf16 a[16:19], v[176:177], v[150:151], a[16:19]
	v_mov_b32_e32 v175, v167
	v_mfma_f32_16x16x16_bf16 a[20:23], v[176:177], v[154:155], a[20:23]
	v_mfma_f32_16x16x16_bf16 a[24:27], v[176:177], v[158:159], a[24:27]
	v_mfma_f32_16x16x16_bf16 a[28:31], v[176:177], v[162:163], a[28:31]
	v_add_co_u32_e32 v162, vcc, s64, v188
	s_waitcnt lgkmcnt(1)
	v_mov_b32_e32 v176, v170
	s_waitcnt lgkmcnt(0)
	v_mfma_f32_16x16x16_bf16 a[16:19], v[186:187], v[152:153], a[16:19]
	ds_read2st64_b64 v[150:153], v127 offset0:16 offset1:24
	v_addc_co_u32_e32 v163, vcc, 0, v189, vcc
	v_mfma_f32_16x16x16_bf16 a[20:23], v[186:187], v[156:157], a[20:23]
	ds_read2st64_b64 v[154:157], v128 offset0:16 offset1:24
	v_mov_b32_e32 v177, v171
	v_mov_b32_e32 v170, v168
	v_mfma_f32_16x16x16_bf16 a[32:35], v[186:187], v[160:161], a[24:27]
	v_mov_b32_e32 v171, v169
	s_waitcnt lgkmcnt(0)
	v_mov_b32_e32 v160, v154
	v_mov_b32_e32 v161, v155
	v_mfma_f32_16x16x16_bf16 a[36:39], v[186:187], v[164:165], a[28:31]
	v_mov_b32_e32 v154, v152
	v_mov_b32_e32 v155, v153
	;; [unrolled: 1-line block ×3, first 2 shown]
	v_mfma_f32_16x16x16_bf16 a[24:27], v[184:185], v[42:43], a[16:19]
	v_add_co_u32_e32 v42, vcc, s65, v188
	v_mov_b32_e32 v159, v151
	v_mfma_f32_16x16x16_bf16 a[28:31], v[184:185], v[178:179], a[20:23]
	v_addc_co_u32_e32 v43, vcc, 0, v189, vcc
	global_store_dwordx4 v[42:43], v[154:157], off
	v_mfma_f32_16x16x16_bf16 a[16:19], v[184:185], v[180:181], a[32:35]
	s_waitcnt vmcnt(2)
	v_mov_b32_e32 v44, v37
	v_mov_b32_e32 v43, v36
	;; [unrolled: 1-line block ×3, first 2 shown]
	v_mfma_f32_16x16x16_bf16 a[20:23], v[184:185], v[182:183], a[36:39]
	s_and_b64 vcc, exec, s[0:1]
	global_store_dwordx4 v[188:189], v[174:177], off
	global_store_dwordx4 v[162:163], v[170:173], off offset:-4096
	global_store_dwordx4 v[162:163], v[158:161], off
	s_cbranch_vccnz .LBB15_16
; %bb.15:                               ;   in Loop: Header=BB15_6 Depth=1
	v_lshrrev_b32_e32 v35, 3, v148
	v_and_b32_e32 v35, 6, v35
	v_xor_b32_e32 v36, v35, v149
	v_lshlrev_b32_e32 v36, 2, v36
	v_and_b32_e32 v37, 8, v148
	v_xor_b32_e32 v148, 0x440, v36
	v_cmp_eq_u32_e32 vcc, 0, v37
	v_perm_b32 v37, v22, v18, s61
	s_nop 0
	v_cndmask_b32_e32 v36, v148, v36, vcc
	v_lshl_or_b32 v35, v35, 10, v36
	v_perm_b32 v36, v30, v26, s61
	s_barrier
	ds_write2st64_b32 v35, v36, v37 offset0:128 offset1:160
	v_xor_b32_e32 v36, 8, v35
	v_perm_b32 v26, v30, v26, s62
	v_perm_b32 v18, v22, v18, s62
	v_add_u32_e32 v22, 0x80, v36
	ds_write2st64_b32 v22, v26, v18 offset0:128 offset1:160
	v_xor_b32_e32 v18, 16, v35
	v_perm_b32 v22, v31, v27, s61
	v_perm_b32 v26, v23, v19, s61
	ds_write2st64_b32 v18, v22, v26 offset0:129 offset1:161
	v_xor_b32_e32 v18, 24, v35
	v_perm_b32 v22, v31, v27, s62
	v_perm_b32 v19, v23, v19, s62
	v_add_u32_e32 v18, 0x80, v18
	ds_write2st64_b32 v18, v22, v19 offset0:129 offset1:161
	v_xor_b32_e32 v18, 32, v35
	v_perm_b32 v19, v32, v28, s61
	v_perm_b32 v22, v24, v20, s61
	;; [unrolled: 9-line block ×3, first 2 shown]
	ds_write2st64_b32 v18, v19, v20 offset0:131 offset1:163
	v_xor_b32_e32 v18, 56, v35
	v_perm_b32 v19, v33, v29, s62
	v_perm_b32 v20, v25, v21, s62
	v_add_u32_e32 v18, 0x80, v18
	ds_write2st64_b32 v18, v19, v20 offset0:131 offset1:163
	ds_write_b64 v147, v[14:15] offset:49152
	v_xor_b32_e32 v14, 8, v147
	ds_write_b64 v14, v[16:17] offset:49152
	ds_write_b64 v147, v[10:11] offset:57344
	ds_write_b64 v14, v[12:13] offset:57344
	ds_write_b64 v146, v[6:7] offset:49152
	v_xor_b32_e32 v6, 8, v146
	ds_write_b64 v6, v[8:9] offset:49152
	ds_write_b64 v146, v[2:3] offset:57344
	;; [unrolled: 1-line block ×3, first 2 shown]
.LBB15_16:                              ;   in Loop: Header=BB15_6 Depth=1
	v_exp_f32_e32 v36, s2
	s_waitcnt vmcnt(4)
	v_exp_f32_e32 v38, v38
	v_exp_f32_e32 v39, v39
	;; [unrolled: 1-line block ×4, first 2 shown]
	v_accvgpr_read_b32 v5, a3
	v_accvgpr_read_b32 v4, a2
	v_accvgpr_read_b32 v3, a1
	v_accvgpr_read_b32 v2, a0
	v_pk_mul_f32 v[38:39], v[36:37], v[38:39] op_sel_hi:[0,1]
	v_pk_mul_f32 v[40:41], v[36:37], v[40:41] op_sel_hi:[0,1]
	v_pk_fma_f32 v[74:75], v[74:75], v[38:39], v[2:3]
	v_pk_fma_f32 v[76:77], v[76:77], v[40:41], v[4:5]
	v_exp_f32_e32 v2, v34
	v_exp_f32_e32 v3, v42
	;; [unrolled: 1-line block ×4, first 2 shown]
	v_accvgpr_read_b32 v9, a7
	v_accvgpr_read_b32 v13, a11
	;; [unrolled: 1-line block ×28, first 2 shown]
	v_pk_mul_f32 v[2:3], v[36:37], v[2:3] op_sel_hi:[0,1]
	v_pk_mul_f32 v[4:5], v[36:37], v[4:5] op_sel_hi:[0,1]
	s_add_i32 s60, s60, 64
	v_pk_fma_f32 v[66:67], v[38:39], v[66:67], v[6:7]
	v_pk_fma_f32 v[68:69], v[40:41], v[68:69], v[8:9]
	;; [unrolled: 1-line block ×13, first 2 shown]
	s_cmp_eq_u32 s49, s66
	v_pk_fma_f32 v[50:51], v[4:5], v[50:51], v[32:33]
	s_cbranch_scc1 .LBB15_18
; %bb.17:                               ;   in Loop: Header=BB15_6 Depth=1
	s_mov_b32 s67, s66
	s_branch .LBB15_6
.LBB15_18:
	s_lshl_b32 s42, s49, 6
	s_sub_i32 s43, s16, s42
	s_cmp_gt_i32 s43, 0
	s_cbranch_scc0 .LBB15_99
; %bb.19:
	s_ashr_i32 s39, s50, 31
	s_ashr_i32 s2, s42, 31
	s_cmpk_lg_i32 s19, 0x80
	s_cselect_b64 s[30:31], -1, 0
	s_and_b64 vcc, exec, s[30:31]
	s_cbranch_vccz .LBB15_21
; %bb.20:
	s_mul_i32 s1, s50, s16
	s_mul_hi_i32 s0, s50, s16
	s_add_u32 s1, s1, s42
	s_addc_u32 s0, s0, s2
	s_mul_i32 s3, s1, s51
	s_mul_hi_u32 s24, s1, s18
	s_add_i32 s3, s24, s3
	s_mul_i32 s0, s0, s18
	s_add_i32 s3, s3, s0
	s_mul_i32 s1, s1, s18
	s_ashr_i32 s0, s54, 31
	s_add_u32 s40, s1, s54
	s_addc_u32 s41, s3, s0
	s_cbranch_execz .LBB15_22
	s_branch .LBB15_23
.LBB15_21:
                                        ; implicit-def: $sgpr40_sgpr41
.LBB15_22:
	s_mul_hi_i32 s0, s50, s18
	s_mul_i32 s50, s50, s18
	s_ashr_i32 s1, s54, 31
	s_add_u32 s3, s50, s54
	s_addc_u32 s0, s0, s1
	s_mul_i32 s1, s3, s48
	s_mul_hi_u32 s18, s3, s16
	s_add_i32 s1, s18, s1
	s_mul_i32 s0, s0, s16
	s_add_i32 s1, s1, s0
	s_mul_i32 s3, s3, s16
	s_add_u32 s40, s3, s42
	s_addc_u32 s41, s1, s2
.LBB15_23:
	s_add_i32 s3, s52, s49
	s_ashr_i32 s18, s33, 31
	s_add_u32 s0, s47, s33
	s_addc_u32 s1, s53, s18
	s_mul_i32 s24, s0, s48
	s_mul_hi_u32 s25, s0, s16
	s_add_i32 s24, s25, s24
	s_mul_i32 s1, s1, s16
	s_add_i32 s24, s24, s1
	s_mul_i32 s0, s0, s16
	s_add_u32 s0, s0, s42
	v_lshlrev_b32_e32 v6, 6, v91
	v_lshlrev_b32_e32 v24, 2, v45
	s_addc_u32 s1, s24, s2
	s_mov_b32 s2, 0x7060302
	v_or_b32_e32 v9, v6, v24
	v_xor_b32_e32 v7, v91, v24
	v_perm_b32 v3, v77, v76, s2
	v_perm_b32 v2, v75, v74, s2
	;; [unrolled: 1-line block ×4, first 2 shown]
	v_lshlrev_b32_e32 v9, 1, v9
	v_xor_b32_e32 v8, v92, v24
	ds_write2st64_b64 v9, v[2:3], v[4:5] offset0:32 offset1:48
	v_lshlrev_b32_e32 v7, 1, v7
	v_lshlrev_b32_e32 v9, 8, v45
	v_or_b32_e32 v10, v7, v9
	v_lshlrev_b32_e32 v8, 1, v8
	ds_write_b64 v10, v[2:3]
	v_or_b32_e32 v2, v8, v9
	v_or_b32_e32 v9, 16, v45
	v_lshlrev_b32_e32 v23, 2, v9
	v_or_b32_e32 v10, v6, v23
	ds_write_b64 v2, v[4:5]
	v_perm_b32 v3, v69, v68, s2
	v_perm_b32 v2, v67, v66, s2
	;; [unrolled: 1-line block ×4, first 2 shown]
	v_lshlrev_b32_e32 v10, 1, v10
	v_lshlrev_b32_e32 v9, 8, v9
	ds_write2st64_b64 v10, v[2:3], v[4:5] offset0:32 offset1:48
	v_or_b32_e32 v10, v7, v9
	ds_write_b64 v10, v[2:3]
	v_or_b32_e32 v2, v8, v9
	v_or_b32_e32 v9, 32, v45
	v_lshlrev_b32_e32 v22, 2, v9
	v_or_b32_e32 v10, v6, v22
	s_lshl_b64 s[28:29], s[0:1], 8
	ds_write_b64 v2, v[4:5]
	v_perm_b32 v3, v61, v60, s2
	v_perm_b32 v2, v59, v58, s2
	;; [unrolled: 1-line block ×4, first 2 shown]
	v_lshlrev_b32_e32 v10, 1, v10
	v_lshlrev_b32_e32 v9, 8, v9
	s_add_u32 s0, s6, s28
	ds_write2st64_b64 v10, v[2:3], v[4:5] offset0:32 offset1:48
	v_or_b32_e32 v10, v7, v9
	s_addc_u32 s1, s7, s29
	ds_write_b64 v10, v[2:3]
	v_or_b32_e32 v2, v8, v9
	v_or_b32_e32 v9, 48, v45
	s_mul_hi_i32 s6, s3, s17
	s_mul_i32 s3, s3, s17
	ds_write_b64 v2, v[4:5]
	v_perm_b32 v3, v47, v46, s2
	v_perm_b32 v2, v53, v52, s2
	v_perm_b32 v5, v51, v50, s2
	v_perm_b32 v4, v49, v48, s2
	v_lshlrev_b32_e32 v19, 2, v9
	s_add_u32 s2, s3, s33
	v_or_b32_e32 v6, v6, v19
	s_addc_u32 s3, s6, s18
	v_lshlrev_b32_e32 v6, 1, v6
	s_ashr_i32 s37, s36, 31
	s_lshl_b64 s[2:3], s[2:3], 15
	ds_write2st64_b64 v6, v[2:3], v[4:5] offset0:32 offset1:48
	v_lshlrev_b32_e32 v6, 8, v9
	s_add_u32 s6, s12, s2
	v_or_b32_e32 v7, v7, v6
	s_addc_u32 s7, s13, s3
	s_lshl_b64 s[2:3], s[36:37], 8
	ds_write_b64 v7, v[2:3]
	v_or_b32_e32 v2, v8, v6
	s_add_u32 s2, s6, s2
	v_lshlrev_b32_e32 v3, 1, v45
	ds_write_b64 v2, v[4:5]
	v_lshrrev_b32_e32 v2, 4, v0
	s_addc_u32 s3, s7, s3
	v_or_b32_e32 v4, 1, v3
	v_lshlrev_b32_e32 v10, 4, v45
	v_mov_b32_e32 v11, 0
	v_xor_b32_e32 v3, v2, v3
	v_xor_b32_e32 v6, v4, v2
	v_lshl_add_u64 v[12:13], s[2:3], 0, v[10:11]
	v_lshlrev_b32_e32 v10, 8, v2
	v_lshl_or_b32 v16, v3, 3, v10
	v_lshl_or_b32 v17, v6, 3, v10
	s_waitcnt lgkmcnt(0)
	s_barrier
	ds_read2st64_b64 v[2:5], v16 offset1:8
	ds_read2st64_b64 v[6:9], v17 offset1:8
	v_lshl_add_u64 v[14:15], v[12:13], 0, v[10:11]
	s_movk_i32 s2, 0x2000
	s_cmp_lg_u32 s43, 64
	s_waitcnt lgkmcnt(1)
	v_mov_b32_e32 v10, v2
	v_mov_b32_e32 v11, v3
	s_waitcnt lgkmcnt(0)
	v_mov_b32_e32 v12, v6
	v_mov_b32_e32 v13, v7
	global_store_dwordx4 v[14:15], v[10:13], off
	v_mov_b32_e32 v6, v4
	v_mov_b32_e32 v7, v5
	ds_read2st64_b64 v[2:5], v16 offset0:16 offset1:24
	ds_read2st64_b64 v[10:13], v17 offset0:16 offset1:24
	v_add_co_u32_e32 v16, vcc, s2, v14
	s_cselect_b64 s[6:7], -1, 0
	s_nop 0
	v_addc_co_u32_e32 v17, vcc, 0, v15, vcc
	global_store_dwordx4 v[16:17], v[6:9], off offset:-4096
	v_lshl_or_b32 v25, v87, 3, v90
	s_mov_b32 s24, 0
	s_waitcnt lgkmcnt(1)
	v_mov_b32_e32 v6, v2
	v_add_co_u32_e32 v2, vcc, 0x3000, v14
	v_mov_b32_e32 v7, v3
	s_nop 0
	v_addc_co_u32_e32 v3, vcc, 0, v15, vcc
	s_waitcnt lgkmcnt(0)
	v_mov_b32_e32 v8, v10
	v_mov_b32_e32 v9, v11
	;; [unrolled: 1-line block ×4, first 2 shown]
	v_or_b32_e32 v20, 32, v25
	v_and_b32_e32 v18, 56, v89
	s_and_b64 vcc, exec, s[6:7]
	global_store_dwordx4 v[16:17], v[6:9], off
	global_store_dwordx4 v[2:3], v[10:13], off
	s_cbranch_vccz .LBB15_29
; %bb.24:
	s_mov_b32 s25, s24
	s_mov_b32 s26, s24
	;; [unrolled: 1-line block ×3, first 2 shown]
	v_mov_b64_e32 v[6:7], s[24:25]
	v_mov_b64_e32 v[8:9], s[26:27]
	;; [unrolled: 1-line block ×3, first 2 shown]
	v_cmp_gt_i32_e32 vcc, s43, v25
	v_mov_b64_e32 v[4:5], v[8:9]
	s_and_saveexec_b64 s[2:3], vcc
	s_cbranch_execz .LBB15_26
; %bb.25:
	v_lshlrev_b32_e32 v2, 8, v25
	v_mov_b32_e32 v3, 0
	v_lshl_add_u64 v[4:5], s[0:1], 0, v[2:3]
	v_lshlrev_b32_e32 v2, 1, v18
	v_lshl_add_u64 v[10:11], v[4:5], 0, v[2:3]
	global_load_dwordx4 v[6:9], v[10:11], off
	global_load_dwordx4 v[2:5], v[10:11], off offset:128
.LBB15_26:
	s_or_b64 exec, exec, s[2:3]
	s_mov_b32 s25, s24
	s_mov_b32 s26, s24
	;; [unrolled: 1-line block ×3, first 2 shown]
	v_mov_b64_e32 v[14:15], s[24:25]
	v_mov_b64_e32 v[16:17], s[26:27]
	;; [unrolled: 1-line block ×3, first 2 shown]
	v_cmp_gt_i32_e32 vcc, s43, v20
	v_lshlrev_b32_e32 v21, 7, v20
	v_mov_b64_e32 v[12:13], v[16:17]
	s_and_saveexec_b64 s[2:3], vcc
	s_cbranch_execz .LBB15_28
; %bb.27:
	v_lshlrev_b32_e32 v10, 1, v21
	v_mov_b32_e32 v11, 0
	v_lshl_add_u64 v[12:13], s[0:1], 0, v[10:11]
	v_lshlrev_b32_e32 v10, 1, v18
	v_lshl_add_u64 v[26:27], v[12:13], 0, v[10:11]
	global_load_dwordx4 v[14:17], v[26:27], off
	global_load_dwordx4 v[10:13], v[26:27], off offset:128
.LBB15_28:
	s_or_b64 exec, exec, s[2:3]
	v_lshrrev_b32_e32 v26, 3, v18
	v_lshlrev_b32_e32 v27, 3, v25
	v_or_b32_e32 v26, v27, v26
	v_lshlrev_b32_e32 v26, 4, v26
	v_and_b32_e32 v27, 0x78, v27
	v_xor_b32_e32 v26, v26, v27
	s_branch .LBB15_31
.LBB15_29:
                                        ; implicit-def: $vgpr26
                                        ; implicit-def: $vgpr21
                                        ; implicit-def: $vgpr6_vgpr7_vgpr8_vgpr9
                                        ; implicit-def: $vgpr2_vgpr3_vgpr4_vgpr5
                                        ; implicit-def: $vgpr14_vgpr15_vgpr16_vgpr17
                                        ; implicit-def: $vgpr10_vgpr11_vgpr12_vgpr13
	s_cbranch_execz .LBB15_31
; %bb.30:
	s_waitcnt vmcnt(0)
	v_lshlrev_b32_e32 v2, 1, v18
	v_lshl_or_b32 v21, v25, 8, v2
	s_and_b32 s1, s1, 0xffff
	s_mov_b32 s3, 0x20000
	s_movk_i32 s2, 0x4000
	v_lshl_or_b32 v26, v20, 8, v2
	s_movk_i32 s12, 0x80
	buffer_load_dwordx4 v[6:9], v21, s[0:3], 0 offen
	buffer_load_dwordx4 v[2:5], v21, s[0:3], s12 offen
	;; [unrolled: 1-line block ×4, first 2 shown]
	v_lshrrev_b32_e32 v21, 3, v18
	v_lshlrev_b32_e32 v26, 3, v25
	v_or_b32_e32 v21, v26, v21
	v_lshlrev_b32_e32 v21, 4, v21
	v_and_b32_e32 v26, 0x78, v26
	v_xor_b32_e32 v26, v21, v26
	v_lshlrev_b32_e32 v21, 7, v20
.LBB15_31:
	s_movk_i32 s0, 0x1000
	v_and_or_b32 v20, v21, s0, v26
	s_waitcnt vmcnt(1)
	ds_write_b64 v26, v[6:7] offset:49152
	v_xor_b32_e32 v6, 8, v26
	ds_write_b64 v6, v[8:9] offset:49152
	s_waitcnt vmcnt(0)
	ds_write_b64 v26, v[2:3] offset:57344
	ds_write_b64 v6, v[4:5] offset:57344
	;; [unrolled: 1-line block ×3, first 2 shown]
	v_xor_b32_e32 v2, 8, v20
	ds_write_b64 v2, v[16:17] offset:49152
	ds_write_b64 v20, v[10:11] offset:57344
	;; [unrolled: 1-line block ×3, first 2 shown]
	v_or_b32_e32 v2, v1, v45
	v_lshlrev_b32_e32 v3, 11, v87
	v_lshlrev_b32_e32 v2, 3, v2
	v_and_b32_e32 v6, 0x1000, v3
	v_lshrrev_b32_e32 v3, 5, v86
	s_movk_i32 s0, 0xf8
	v_and_or_b32 v3, v2, s0, v3
	v_lshlrev_b32_e32 v7, 4, v3
	v_and_b32_e32 v8, 0x78, v2
	v_or_b32_e32 v10, 32, v7
	v_lshrrev_b32_e32 v3, 1, v86
	v_xor_b32_e32 v10, v10, v8
	v_xor_b32_e32 v2, v7, v8
	v_and_b32_e32 v9, 8, v3
	v_or_b32_e32 v10, v10, v6
	v_or_b32_e32 v2, v2, v6
	v_xor_b32_e32 v28, v10, v9
	v_or_b32_e32 v10, 64, v7
	v_xor_b32_e32 v27, v2, v9
	v_xor_b32_e32 v10, v10, v8
	s_waitcnt lgkmcnt(0)
	s_barrier
	v_or_b32_e32 v13, v10, v6
	ds_read_b64 v[10:11], v27 offset:49152
	v_lshl_or_b32 v14, v88, 8, v24
	v_lshlrev_b32_e32 v26, 1, v14
	v_add_u32_e32 v12, 0x4000, v26
	ds_read2_b64 v[2:5], v12 offset1:16
	v_or_b32_e32 v7, 0x60, v7
	v_xor_b32_e32 v7, v7, v8
	v_or_b32_e32 v6, v7, v6
	v_xor_b32_e32 v29, v13, v9
	v_xor_b32_e32 v30, v6, v9
	ds_read_b64 v[20:21], v28 offset:49152
	ds_read_b64 v[34:35], v29 offset:49152
	;; [unrolled: 1-line block ×3, first 2 shown]
	s_waitcnt lgkmcnt(3)
	v_mfma_f32_16x16x16_bf16 a[0:3], v[10:11], v[2:3], 0
	ds_read2_b64 v[6:9], v12 offset0:32 offset1:48
	s_lshl_b64 s[0:1], s[40:41], 8
	s_add_u32 s4, s4, s0
	v_mfma_f32_16x16x16_bf16 a[4:7], v[10:11], v[4:5], 0
	ds_read2st64_b64 v[2:5], v26 offset0:36 offset1:40
	s_addc_u32 s5, s5, s1
	s_add_i32 s2, s16, -1
	s_waitcnt lgkmcnt(1)
	v_mfma_f32_16x16x16_bf16 a[8:11], v[10:11], v[6:7], 0
	v_or_b32_e32 v6, 64, v14
	v_lshlrev_b32_e32 v31, 1, v6
	s_add_i32 s0, s46, s21
	s_waitcnt lgkmcnt(0)
	v_mfma_f32_16x16x16_bf16 a[0:3], v[20:21], v[2:3], a[0:3]
	v_or_b32_e32 v2, 0x80, v14
	v_lshlrev_b32_e32 v32, 1, v2
	v_or_b32_e32 v2, 0xc0, v14
	v_mfma_f32_16x16x16_bf16 a[12:15], v[10:11], v[8:9], 0
	ds_read2st64_b64 v[6:9], v31 offset0:36 offset1:40
	v_lshlrev_b32_e32 v33, 1, v2
	ds_read2st64_b64 v[10:13], v32 offset0:36 offset1:40
	ds_read2st64_b64 v[14:17], v33 offset0:36 offset1:40
	s_mul_i32 s39, s39, s20
	s_add_i32 s39, s0, s39
	s_mul_i32 s0, s33, s23
	s_mul_hi_u32 s1, s33, s22
	s_ashr_i32 s3, s2, 31
	s_mul_i32 s12, s2, s35
	s_mul_hi_u32 s13, s2, s34
	s_waitcnt lgkmcnt(2)
	v_mfma_f32_16x16x16_bf16 a[4:7], v[20:21], v[6:7], a[4:7]
	s_add_i32 s0, s1, s0
	s_mul_i32 s1, s18, s22
	s_add_i32 s12, s13, s12
	s_mul_i32 s3, s3, s34
	s_waitcnt lgkmcnt(1)
	v_mfma_f32_16x16x16_bf16 a[8:11], v[20:21], v[10:11], a[8:11]
	s_add_i32 s1, s0, s1
	s_add_i32 s3, s12, s3
	s_lshl_b64 s[12:13], s[38:39], 2
	s_waitcnt lgkmcnt(0)
	v_mfma_f32_16x16x16_bf16 a[12:15], v[20:21], v[14:15], a[12:15]
	s_mul_i32 s0, s33, s22
	s_add_u32 s10, s10, s12
	s_addc_u32 s11, s11, s13
	s_lshl_b64 s[0:1], s[0:1], 2
	v_mfma_f32_16x16x16_bf16 a[0:3], v[34:35], v[4:5], a[0:3]
	s_mul_i32 s2, s2, s34
	ds_read_b64 v[2:3], v26 offset:22528
	s_add_u32 s10, s10, s0
	v_mfma_f32_16x16x16_bf16 a[4:7], v[34:35], v[8:9], a[4:7]
	ds_read_b64 v[4:5], v31 offset:22528
	ds_read_b64 v[6:7], v32 offset:22528
	;; [unrolled: 1-line block ×3, first 2 shown]
	s_addc_u32 s11, s11, s1
	s_lshl_b64 s[0:1], s[2:3], 2
	v_mfma_f32_16x16x16_bf16 a[8:11], v[34:35], v[12:13], a[8:11]
	s_add_u32 s0, s10, s0
	s_addc_u32 s1, s11, s1
	s_load_dword s12, s[0:1], 0x0
	v_mfma_f32_16x16x16_bf16 a[12:15], v[34:35], v[16:17], a[12:15]
	s_and_b64 vcc, exec, s[30:31]
	s_waitcnt lgkmcnt(0)
	v_mfma_f32_16x16x16_bf16 a[0:3], v[36:37], v[2:3], a[0:3]
	v_mfma_f32_16x16x16_bf16 a[4:7], v[36:37], v[4:5], a[4:7]
	;; [unrolled: 1-line block ×4, first 2 shown]
	s_cbranch_vccz .LBB15_42
; %bb.32:
	v_lshlrev_b32_e32 v20, 1, v25
	s_and_b64 vcc, exec, s[6:7]
	s_cbranch_vccz .LBB15_43
; %bb.33:
	v_cmp_gt_i32_e32 vcc, s43, v20
	v_mov_b32_e32 v6, 0
	v_mov_b32_e32 v2, 0
	;; [unrolled: 1-line block ×5, first 2 shown]
	s_and_saveexec_b64 s[0:1], vcc
	s_cbranch_execz .LBB15_35
; %bb.34:
	v_mad_i64_i32 v[2:3], s[2:3], s19, v20, 0
	v_lshl_add_u64 v[2:3], v[2:3], 1, s[4:5]
	v_lshlrev_b32_e32 v4, 1, v18
	v_mov_b32_e32 v5, 0
	v_lshl_add_u64 v[2:3], v[2:3], 0, v[4:5]
	global_load_dwordx4 v[2:5], v[2:3], off
.LBB15_35:
	s_or_b64 exec, exec, s[0:1]
	v_or_b32_e32 v21, 1, v20
	v_cmp_gt_i32_e64 s[0:1], s43, v21
	v_mov_b32_e32 v7, 0
	v_mov_b32_e32 v8, 0
	;; [unrolled: 1-line block ×3, first 2 shown]
	s_and_saveexec_b64 s[2:3], s[0:1]
	s_cbranch_execz .LBB15_37
; %bb.36:
	v_mad_i64_i32 v[6:7], s[16:17], s19, v21, 0
	v_lshl_add_u64 v[6:7], v[6:7], 1, s[4:5]
	v_lshlrev_b32_e32 v8, 1, v18
	v_mov_b32_e32 v9, 0
	v_lshl_add_u64 v[6:7], v[6:7], 0, v[8:9]
	global_load_dwordx4 v[6:9], v[6:7], off
.LBB15_37:
	s_or_b64 exec, exec, s[2:3]
	v_mov_b32_e32 v17, 0
	v_mov_b32_e32 v10, 0
	;; [unrolled: 1-line block ×5, first 2 shown]
	s_and_saveexec_b64 s[2:3], vcc
	s_cbranch_execz .LBB15_39
; %bb.38:
	v_mad_i64_i32 v[10:11], s[16:17], s19, v20, 0
	v_lshl_add_u64 v[10:11], v[10:11], 1, s[4:5]
	v_lshlrev_b32_e32 v12, 1, v18
	v_mov_b32_e32 v13, 0
	v_lshl_add_u64 v[10:11], v[10:11], 0, v[12:13]
	global_load_dwordx4 v[10:13], v[10:11], off offset:128
.LBB15_39:
	s_or_b64 exec, exec, s[2:3]
	v_mov_b32_e32 v16, 0
	v_mov_b32_e32 v15, 0
	;; [unrolled: 1-line block ×3, first 2 shown]
	s_and_saveexec_b64 s[2:3], s[0:1]
	s_cbranch_execz .LBB15_41
; %bb.40:
	v_mad_i64_i32 v[14:15], s[0:1], s19, v21, 0
	v_lshl_add_u64 v[14:15], v[14:15], 1, s[4:5]
	v_lshlrev_b32_e32 v16, 1, v18
	v_mov_b32_e32 v17, 0
	v_lshl_add_u64 v[14:15], v[14:15], 0, v[16:17]
	global_load_dwordx4 v[14:17], v[14:15], off offset:128
.LBB15_41:
	s_or_b64 exec, exec, s[2:3]
	s_branch .LBB15_45
.LBB15_42:
                                        ; implicit-def: $vgpr5
                                        ; implicit-def: $vgpr9
                                        ; implicit-def: $vgpr13
                                        ; implicit-def: $vgpr17
	v_lshrrev_b32_e32 v34, 2, v86
	s_branch .LBB15_46
.LBB15_43:
                                        ; implicit-def: $vgpr5
                                        ; implicit-def: $vgpr9
                                        ; implicit-def: $vgpr13
                                        ; implicit-def: $vgpr17
	s_cbranch_execz .LBB15_45
; %bb.44:
	s_waitcnt vmcnt(0)
	v_mad_u64_u32 v[2:3], s[0:1], v20, s19, v[18:19]
	v_lshlrev_b32_e32 v20, 1, v2
	s_lshl_b32 s2, s19, 7
	s_and_b32 s1, s5, 0xffff
	s_mov_b32 s3, 0x20000
	s_mov_b32 s0, s4
	v_add_lshl_u32 v21, v2, s19, 1
	s_movk_i32 s13, 0x80
	buffer_load_dwordx4 v[2:5], v20, s[0:3], 0 offen
	buffer_load_dwordx4 v[10:13], v20, s[0:3], s13 offen
	;; [unrolled: 1-line block ×4, first 2 shown]
.LBB15_45:
	v_lshrrev_b32_e32 v34, 2, v86
	s_cbranch_execnz .LBB15_58
.LBB15_46:
	s_and_b64 vcc, exec, s[6:7]
	s_cbranch_vccz .LBB15_56
; %bb.47:
	s_waitcnt vmcnt(0)
	v_lshlrev_b32_e32 v7, 1, v25
	v_cmp_gt_i32_e32 vcc, s43, v7
	v_mov_b32_e32 v6, 0
	v_lshlrev_b32_e32 v14, 9, v25
	v_mov_b32_e32 v2, 0
	v_mov_b32_e32 v3, 0
	;; [unrolled: 1-line block ×4, first 2 shown]
	s_and_saveexec_b64 s[0:1], vcc
	s_cbranch_execz .LBB15_49
; %bb.48:
	v_mov_b32_e32 v15, 0
	v_lshl_add_u64 v[2:3], s[4:5], 0, v[14:15]
	v_lshlrev_b32_e32 v4, 1, v18
	v_mov_b32_e32 v5, v15
	v_lshl_add_u64 v[2:3], v[2:3], 0, v[4:5]
	global_load_dwordx4 v[2:5], v[2:3], off
.LBB15_49:
	s_or_b64 exec, exec, s[0:1]
	v_or_b32_e32 v7, 1, v7
	v_cmp_gt_i32_e64 s[0:1], s43, v7
	v_lshlrev_b32_e32 v20, 8, v7
	v_mov_b32_e32 v7, 0
	v_mov_b32_e32 v8, 0
	;; [unrolled: 1-line block ×3, first 2 shown]
	s_and_saveexec_b64 s[2:3], s[0:1]
	s_cbranch_execz .LBB15_51
; %bb.50:
	v_mov_b32_e32 v21, 0
	v_lshl_add_u64 v[6:7], s[4:5], 0, v[20:21]
	v_lshlrev_b32_e32 v8, 1, v18
	v_mov_b32_e32 v9, v21
	v_lshl_add_u64 v[6:7], v[6:7], 0, v[8:9]
	global_load_dwordx4 v[6:9], v[6:7], off
.LBB15_51:
	s_or_b64 exec, exec, s[2:3]
	v_mov_b32_e32 v17, 0
	v_mov_b32_e32 v10, 0
	;; [unrolled: 1-line block ×5, first 2 shown]
	s_and_saveexec_b64 s[2:3], vcc
	s_cbranch_execz .LBB15_53
; %bb.52:
	v_mov_b32_e32 v15, 0
	v_lshl_add_u64 v[10:11], s[4:5], 0, v[14:15]
	v_lshlrev_b32_e32 v14, 1, v18
	v_lshl_add_u64 v[10:11], v[10:11], 0, v[14:15]
	global_load_dwordx4 v[10:13], v[10:11], off offset:128
.LBB15_53:
	s_or_b64 exec, exec, s[2:3]
	v_mov_b32_e32 v16, 0
	v_mov_b32_e32 v15, 0
	;; [unrolled: 1-line block ×3, first 2 shown]
	s_and_saveexec_b64 s[2:3], s[0:1]
	s_cbranch_execz .LBB15_55
; %bb.54:
	v_mov_b32_e32 v21, 0
	v_lshl_add_u64 v[14:15], s[4:5], 0, v[20:21]
	v_lshlrev_b32_e32 v20, 1, v18
	v_lshl_add_u64 v[14:15], v[14:15], 0, v[20:21]
	global_load_dwordx4 v[14:17], v[14:15], off offset:128
.LBB15_55:
	s_or_b64 exec, exec, s[2:3]
	s_branch .LBB15_58
.LBB15_56:
                                        ; implicit-def: $vgpr5
                                        ; implicit-def: $vgpr9
                                        ; implicit-def: $vgpr13
                                        ; implicit-def: $vgpr17
	s_cbranch_execz .LBB15_58
; %bb.57:
	s_waitcnt vmcnt(0)
	v_lshlrev_b32_e32 v2, 1, v18
	v_lshl_or_b32 v18, v25, 9, v2
	s_and_b32 s5, s5, 0xffff
	s_mov_b32 s7, 0x20000
	s_movk_i32 s6, 0x4000
	s_movk_i32 s0, 0x80
	buffer_load_dwordx4 v[2:5], v18, s[4:7], 0 offen
	buffer_load_dwordx4 v[6:9], v18, s[4:7], 0 offen offset:256
	buffer_load_dwordx4 v[10:13], v18, s[4:7], s0 offen
	buffer_load_dwordx4 v[14:17], v18, s[4:7], s0 offen offset:256
.LBB15_58:
	ds_read_b64 v[20:21], v27 offset:57344
	v_add_u32_e32 v18, 0x6000, v26
	ds_read2_b64 v[36:39], v18 offset1:16
	ds_read_b64 v[54:55], v28 offset:57344
	ds_read_b64 v[28:29], v29 offset:57344
	;; [unrolled: 1-line block ×3, first 2 shown]
	ds_read2st64_b64 v[40:43], v26 offset0:52 offset1:56
	s_mov_b32 s0, 0x1000504
	s_mov_b32 s1, 0x3020706
	s_waitcnt lgkmcnt(4)
	v_mfma_f32_16x16x16_bf16 a[0:3], v[20:21], v[36:37], a[0:3]
	v_mfma_f32_16x16x16_bf16 a[4:7], v[20:21], v[38:39], a[4:7]
	ds_read2_b64 v[36:39], v18 offset0:32 offset1:48
	v_and_b32_e32 v18, 6, v0
	v_xor_b32_e32 v25, v25, v18
	s_waitcnt lgkmcnt(0)
	v_mfma_f32_16x16x16_bf16 a[8:11], v[20:21], v[36:37], a[8:11]
	v_lshlrev_b32_e32 v25, 2, v25
	v_and_b32_e32 v0, 1, v0
	v_xor_b32_e32 v35, 0x440, v25
	v_mfma_f32_16x16x16_bf16 a[12:15], v[20:21], v[38:39], a[12:15]
	ds_read2st64_b64 v[36:39], v31 offset0:52 offset1:56
	ds_read2st64_b64 v[46:49], v32 offset0:52 offset1:56
	;; [unrolled: 1-line block ×3, first 2 shown]
	v_cmp_eq_u32_e32 vcc, 0, v0
	ds_read_b64 v[20:21], v26 offset:30720
	ds_read_b64 v[26:27], v31 offset:30720
	;; [unrolled: 1-line block ×4, first 2 shown]
	v_mfma_f32_16x16x16_bf16 a[0:3], v[54:55], v[40:41], a[0:3]
	v_cndmask_b32_e32 v0, v35, v25, vcc
	v_lshl_or_b32 v0, v18, 10, v0
	s_waitcnt vmcnt(0)
	v_perm_b32 v18, v2, v6, s0
	s_waitcnt lgkmcnt(6)
	v_mfma_f32_16x16x16_bf16 a[4:7], v[54:55], v[36:37], a[4:7]
	v_perm_b32 v25, v10, v14, s0
	ds_write2st64_b32 v0, v18, v25 offset0:128 offset1:160
	v_xor_b32_e32 v18, 8, v0
	s_waitcnt lgkmcnt(6)
	v_mfma_f32_16x16x16_bf16 a[8:11], v[54:55], v[46:47], a[8:11]
	v_perm_b32 v2, v2, v6, s1
	v_perm_b32 v6, v10, v14, s1
	v_add_u32_e32 v10, 0x80, v18
	s_waitcnt lgkmcnt(5)
	v_mfma_f32_16x16x16_bf16 a[12:15], v[54:55], v[50:51], a[12:15]
	ds_write2st64_b32 v10, v2, v6 offset0:128 offset1:160
	v_xor_b32_e32 v2, 16, v0
	v_perm_b32 v6, v3, v7, s0
	v_mfma_f32_16x16x16_bf16 a[0:3], v[28:29], v[42:43], a[0:3]
	v_perm_b32 v10, v11, v15, s0
	ds_write2st64_b32 v2, v6, v10 offset0:129 offset1:161
	v_xor_b32_e32 v2, 24, v0
	v_mfma_f32_16x16x16_bf16 a[4:7], v[28:29], v[38:39], a[4:7]
	v_perm_b32 v3, v3, v7, s1
	v_perm_b32 v6, v11, v15, s1
	v_add_u32_e32 v2, 0x80, v2
	v_mfma_f32_16x16x16_bf16 a[16:19], v[28:29], v[48:49], a[8:11]
	ds_write2st64_b32 v2, v3, v6 offset0:129 offset1:161
	v_xor_b32_e32 v2, 32, v0
	v_perm_b32 v3, v4, v8, s0
	v_mfma_f32_16x16x16_bf16 a[20:23], v[28:29], v[52:53], a[12:15]
	v_perm_b32 v6, v12, v16, s0
	ds_write2st64_b32 v2, v3, v6 offset0:130 offset1:162
	v_xor_b32_e32 v2, 40, v0
	s_waitcnt lgkmcnt(8)
	v_mfma_f32_16x16x16_bf16 a[12:15], v[56:57], v[20:21], a[0:3]
	v_perm_b32 v3, v4, v8, s1
	v_perm_b32 v4, v12, v16, s1
	v_add_u32_e32 v2, 0x80, v2
	s_waitcnt lgkmcnt(7)
	v_mfma_f32_16x16x16_bf16 a[8:11], v[56:57], v[26:27], a[4:7]
	ds_write2st64_b32 v2, v3, v4 offset0:130 offset1:162
	v_xor_b32_e32 v2, 48, v0
	v_perm_b32 v3, v5, v9, s0
	s_waitcnt lgkmcnt(7)
	v_mfma_f32_16x16x16_bf16 a[4:7], v[56:57], v[30:31], a[16:19]
	v_perm_b32 v4, v13, v17, s0
	v_xor_b32_e32 v0, 56, v0
	v_and_or_b32 v21, v34, 12, v1
	s_waitcnt lgkmcnt(6)
	v_mfma_f32_16x16x16_bf16 a[0:3], v[56:57], v[32:33], a[20:23]
	ds_write2st64_b32 v2, v3, v4 offset0:131 offset1:163
	v_perm_b32 v2, v5, v9, s1
	v_perm_b32 v3, v13, v17, s1
	v_add_u32_e32 v0, 0x80, v0
	v_cmp_gt_i32_e32 vcc, s43, v21
	v_mov_b32_e32 v16, 0
	v_mov_b32_e32 v18, 0
	ds_write2st64_b32 v0, v2, v3 offset0:131 offset1:163
	s_and_saveexec_b64 s[0:1], vcc
	s_cbranch_execz .LBB15_60
; %bb.59:
	v_add_u32_e32 v0, s42, v21
	v_ashrrev_i32_e32 v1, 31, v0
	v_mul_lo_u32 v2, v1, s34
	v_mul_lo_u32 v3, v0, s35
	v_mad_u64_u32 v[0:1], s[2:3], v0, s34, 0
	v_add3_u32 v1, v1, v3, v2
	v_lshl_add_u64 v[0:1], v[0:1], 2, s[10:11]
	global_load_dword v0, v[0:1], off
	s_waitcnt vmcnt(0)
	v_sub_f32_e32 v0, s12, v0
	v_exp_f32_e32 v18, v0
.LBB15_60:
	s_or_b64 exec, exec, s[0:1]
	v_or_b32_e32 v10, 1, v21
	v_cmp_gt_i32_e64 s[2:3], s43, v10
	s_and_saveexec_b64 s[0:1], s[2:3]
	s_cbranch_execz .LBB15_62
; %bb.61:
	v_add_u32_e32 v0, s42, v10
	v_ashrrev_i32_e32 v1, 31, v0
	v_mul_lo_u32 v2, v1, s34
	v_mul_lo_u32 v3, v0, s35
	v_mad_u64_u32 v[0:1], s[4:5], v0, s34, 0
	v_add3_u32 v1, v1, v3, v2
	v_lshl_add_u64 v[0:1], v[0:1], 2, s[10:11]
	global_load_dword v0, v[0:1], off
	s_waitcnt vmcnt(0)
	v_sub_f32_e32 v0, s12, v0
	v_exp_f32_e32 v16, v0
.LBB15_62:
	s_or_b64 exec, exec, s[0:1]
	v_or_b32_e32 v12, 2, v21
	v_cmp_gt_i32_e64 s[0:1], s43, v12
	v_mov_b32_e32 v17, 0
	v_mov_b32_e32 v20, 0
	s_and_saveexec_b64 s[4:5], s[0:1]
	s_cbranch_execz .LBB15_64
; %bb.63:
	v_add_u32_e32 v0, s42, v12
	v_ashrrev_i32_e32 v1, 31, v0
	v_mul_lo_u32 v2, v1, s34
	v_mul_lo_u32 v3, v0, s35
	v_mad_u64_u32 v[0:1], s[6:7], v0, s34, 0
	v_add3_u32 v1, v1, v3, v2
	v_lshl_add_u64 v[0:1], v[0:1], 2, s[10:11]
	global_load_dword v0, v[0:1], off
	s_waitcnt vmcnt(0)
	v_sub_f32_e32 v0, s12, v0
	v_exp_f32_e32 v20, v0
.LBB15_64:
	s_or_b64 exec, exec, s[4:5]
	v_or_b32_e32 v14, 3, v21
	v_cmp_gt_i32_e64 s[4:5], s43, v14
	s_and_saveexec_b64 s[6:7], s[4:5]
	s_cbranch_execz .LBB15_66
; %bb.65:
	v_add_u32_e32 v0, s42, v14
	v_ashrrev_i32_e32 v1, 31, v0
	v_mul_lo_u32 v2, v1, s34
	v_mul_lo_u32 v3, v0, s35
	v_mad_u64_u32 v[0:1], s[16:17], v0, s34, 0
	v_add3_u32 v1, v1, v3, v2
	v_lshl_add_u64 v[0:1], v[0:1], 2, s[10:11]
	global_load_dword v0, v[0:1], off
	s_waitcnt vmcnt(0)
	v_sub_f32_e32 v0, s12, v0
	v_exp_f32_e32 v17, v0
.LBB15_66:
	s_or_b64 exec, exec, s[6:7]
	s_add_u32 s6, s8, s28
	v_or_b32_e32 v4, s36, v45
	s_addc_u32 s7, s9, s29
	s_add_u32 s8, s14, s28
	v_ashrrev_i32_e32 v5, 31, v4
	v_accvgpr_read_b32 v0, a12
	s_addc_u32 s9, s15, s29
	v_lshlrev_b64 v[4:5], 1, v[4:5]
	v_accvgpr_read_b32 v1, a13
	v_accvgpr_read_b32 v2, a14
	;; [unrolled: 1-line block ×3, first 2 shown]
	v_lshl_add_u64 v[6:7], s[6:7], 0, v[4:5]
	v_lshl_add_u64 v[4:5], s[8:9], 0, v[4:5]
	v_mov_b32_e32 v11, 0
	v_lshlrev_b32_e32 v8, 8, v21
	v_mov_b32_e32 v9, 0
	s_and_saveexec_b64 s[6:7], vcc
	s_cbranch_execz .LBB15_68
; %bb.67:
	v_mov_b32_e32 v9, 0
	v_lshl_add_u64 v[26:27], v[6:7], 0, v[8:9]
	global_load_ushort v13, v[26:27], off
	v_lshl_add_u64 v[26:27], v[4:5], 0, v[8:9]
	s_waitcnt vmcnt(0)
	v_lshlrev_b32_e32 v9, 16, v13
	v_sub_f32_e32 v0, v9, v0
	global_store_short_d16_hi v[26:27], v0, off
	v_mul_f32_e32 v0, v18, v0
	v_lshrrev_b32_e32 v9, 16, v0
.LBB15_68:
	s_or_b64 exec, exec, s[6:7]
	v_lshlrev_b32_e32 v10, 8, v10
	s_and_saveexec_b64 s[6:7], s[2:3]
	s_cbranch_execz .LBB15_70
; %bb.69:
	v_mov_b32_e32 v11, 0
	v_lshl_add_u64 v[26:27], v[6:7], 0, v[10:11]
	global_load_ushort v0, v[26:27], off
	v_lshl_add_u64 v[26:27], v[4:5], 0, v[10:11]
	s_waitcnt vmcnt(0)
	v_lshlrev_b32_e32 v0, 16, v0
	v_sub_f32_e32 v0, v0, v1
	global_store_short_d16_hi v[26:27], v0, off
	v_mul_f32_e32 v0, v16, v0
	v_lshrrev_b32_e32 v11, 16, v0
.LBB15_70:
	s_or_b64 exec, exec, s[6:7]
	v_mov_b32_e32 v15, 0
	v_lshlrev_b32_e32 v12, 8, v12
	v_mov_b32_e32 v13, 0
	s_and_saveexec_b64 s[6:7], s[0:1]
	s_cbranch_execz .LBB15_72
; %bb.71:
	v_mov_b32_e32 v13, 0
	v_lshl_add_u64 v[0:1], v[6:7], 0, v[12:13]
	global_load_ushort v25, v[0:1], off
	v_lshl_add_u64 v[0:1], v[4:5], 0, v[12:13]
	s_waitcnt vmcnt(0)
	v_lshlrev_b32_e32 v13, 16, v25
	v_sub_f32_e32 v2, v13, v2
	global_store_short_d16_hi v[0:1], v2, off
	v_mul_f32_e32 v0, v20, v2
	v_lshrrev_b32_e32 v13, 16, v0
.LBB15_72:
	s_or_b64 exec, exec, s[6:7]
	v_lshlrev_b32_e32 v14, 8, v14
	s_and_saveexec_b64 s[6:7], s[4:5]
	s_cbranch_execz .LBB15_74
; %bb.73:
	v_mov_b32_e32 v15, 0
	v_lshl_add_u64 v[0:1], v[6:7], 0, v[14:15]
	global_load_ushort v2, v[0:1], off
	v_lshl_add_u64 v[0:1], v[4:5], 0, v[14:15]
	s_waitcnt vmcnt(0)
	v_lshlrev_b32_e32 v2, 16, v2
	v_sub_f32_e32 v2, v2, v3
	global_store_short_d16_hi v[0:1], v2, off
	v_mul_f32_e32 v0, v17, v2
	v_lshrrev_b32_e32 v15, 16, v0
.LBB15_74:
	s_or_b64 exec, exec, s[6:7]
	v_lshlrev_b32_e32 v21, 6, v21
	s_mov_b32 s6, 0x5040100
	v_perm_b32 v26, v11, v9, s6
	v_or_b32_e32 v9, v21, v24
	v_accvgpr_read_b32 v0, a8
	v_perm_b32 v27, v15, v13, s6
	v_lshlrev_b32_e32 v9, 1, v9
	v_accvgpr_read_b32 v1, a9
	v_accvgpr_read_b32 v2, a10
	;; [unrolled: 1-line block ×3, first 2 shown]
	ds_write_b64 v9, v[26:27] offset:24576
	v_mov_b32_e32 v11, 0
	v_mov_b32_e32 v9, 0
	s_and_saveexec_b64 s[6:7], vcc
	s_cbranch_execz .LBB15_76
; %bb.75:
	v_mov_b32_e32 v9, 0
	v_lshl_add_u64 v[24:25], v[6:7], 0, v[8:9]
	global_load_ushort v13, v[24:25], off offset:32
	v_lshl_add_u64 v[24:25], v[4:5], 0, v[8:9]
	s_waitcnt vmcnt(0)
	v_lshlrev_b32_e32 v9, 16, v13
	v_sub_f32_e32 v0, v9, v0
	global_store_short_d16_hi v[24:25], v0, off offset:32
	v_mul_f32_e32 v0, v18, v0
	v_lshrrev_b32_e32 v9, 16, v0
.LBB15_76:
	s_or_b64 exec, exec, s[6:7]
	s_and_saveexec_b64 s[6:7], s[2:3]
	s_cbranch_execz .LBB15_78
; %bb.77:
	v_mov_b32_e32 v11, 0
	v_lshl_add_u64 v[24:25], v[6:7], 0, v[10:11]
	global_load_ushort v0, v[24:25], off offset:32
	v_lshl_add_u64 v[24:25], v[4:5], 0, v[10:11]
	s_waitcnt vmcnt(0)
	v_lshlrev_b32_e32 v0, 16, v0
	v_sub_f32_e32 v0, v0, v1
	global_store_short_d16_hi v[24:25], v0, off offset:32
	v_mul_f32_e32 v0, v16, v0
	v_lshrrev_b32_e32 v11, 16, v0
.LBB15_78:
	s_or_b64 exec, exec, s[6:7]
	v_mov_b32_e32 v15, 0
	v_mov_b32_e32 v13, 0
	s_and_saveexec_b64 s[6:7], s[0:1]
	s_cbranch_execz .LBB15_80
; %bb.79:
	v_mov_b32_e32 v13, 0
	v_lshl_add_u64 v[0:1], v[6:7], 0, v[12:13]
	global_load_ushort v24, v[0:1], off offset:32
	v_lshl_add_u64 v[0:1], v[4:5], 0, v[12:13]
	s_waitcnt vmcnt(0)
	v_lshlrev_b32_e32 v13, 16, v24
	v_sub_f32_e32 v2, v13, v2
	global_store_short_d16_hi v[0:1], v2, off offset:32
	v_mul_f32_e32 v0, v20, v2
	v_lshrrev_b32_e32 v13, 16, v0
.LBB15_80:
	s_or_b64 exec, exec, s[6:7]
	s_and_saveexec_b64 s[6:7], s[4:5]
	s_cbranch_execz .LBB15_82
; %bb.81:
	v_mov_b32_e32 v15, 0
	v_lshl_add_u64 v[0:1], v[6:7], 0, v[14:15]
	global_load_ushort v2, v[0:1], off offset:32
	v_lshl_add_u64 v[0:1], v[4:5], 0, v[14:15]
	s_waitcnt vmcnt(0)
	v_lshlrev_b32_e32 v2, 16, v2
	v_sub_f32_e32 v2, v2, v3
	global_store_short_d16_hi v[0:1], v2, off offset:32
	v_mul_f32_e32 v0, v17, v2
	v_lshrrev_b32_e32 v15, 16, v0
.LBB15_82:
	s_or_b64 exec, exec, s[6:7]
	s_mov_b32 s6, 0x5040100
	v_perm_b32 v24, v11, v9, s6
	v_or_b32_e32 v9, v21, v23
	v_accvgpr_read_b32 v0, a4
	v_perm_b32 v25, v15, v13, s6
	v_lshlrev_b32_e32 v9, 1, v9
	v_accvgpr_read_b32 v1, a5
	v_accvgpr_read_b32 v2, a6
	;; [unrolled: 1-line block ×3, first 2 shown]
	ds_write_b64 v9, v[24:25] offset:24576
	v_mov_b32_e32 v11, 0
	v_mov_b32_e32 v9, 0
	s_and_saveexec_b64 s[6:7], vcc
	s_cbranch_execz .LBB15_84
; %bb.83:
	v_mov_b32_e32 v9, 0
	v_lshl_add_u64 v[24:25], v[6:7], 0, v[8:9]
	global_load_ushort v13, v[24:25], off offset:64
	v_lshl_add_u64 v[24:25], v[4:5], 0, v[8:9]
	s_waitcnt vmcnt(0)
	v_lshlrev_b32_e32 v9, 16, v13
	v_sub_f32_e32 v0, v9, v0
	global_store_short_d16_hi v[24:25], v0, off offset:64
	v_mul_f32_e32 v0, v18, v0
	v_lshrrev_b32_e32 v9, 16, v0
.LBB15_84:
	s_or_b64 exec, exec, s[6:7]
	s_and_saveexec_b64 s[6:7], s[2:3]
	s_cbranch_execz .LBB15_86
; %bb.85:
	v_mov_b32_e32 v11, 0
	v_lshl_add_u64 v[24:25], v[6:7], 0, v[10:11]
	global_load_ushort v0, v[24:25], off offset:64
	v_lshl_add_u64 v[24:25], v[4:5], 0, v[10:11]
	s_waitcnt vmcnt(0)
	v_lshlrev_b32_e32 v0, 16, v0
	v_sub_f32_e32 v0, v0, v1
	global_store_short_d16_hi v[24:25], v0, off offset:64
	v_mul_f32_e32 v0, v16, v0
	v_lshrrev_b32_e32 v11, 16, v0
.LBB15_86:
	s_or_b64 exec, exec, s[6:7]
	v_mov_b32_e32 v15, 0
	v_mov_b32_e32 v13, 0
	s_and_saveexec_b64 s[6:7], s[0:1]
	s_cbranch_execz .LBB15_88
; %bb.87:
	v_mov_b32_e32 v13, 0
	v_lshl_add_u64 v[0:1], v[6:7], 0, v[12:13]
	global_load_ushort v23, v[0:1], off offset:64
	v_lshl_add_u64 v[0:1], v[4:5], 0, v[12:13]
	s_waitcnt vmcnt(0)
	v_lshlrev_b32_e32 v13, 16, v23
	v_sub_f32_e32 v2, v13, v2
	global_store_short_d16_hi v[0:1], v2, off offset:64
	v_mul_f32_e32 v0, v20, v2
	v_lshrrev_b32_e32 v13, 16, v0
.LBB15_88:
	s_or_b64 exec, exec, s[6:7]
	s_and_saveexec_b64 s[6:7], s[4:5]
	s_cbranch_execz .LBB15_90
; %bb.89:
	v_mov_b32_e32 v15, 0
	v_lshl_add_u64 v[0:1], v[6:7], 0, v[14:15]
	global_load_ushort v2, v[0:1], off offset:64
	v_lshl_add_u64 v[0:1], v[4:5], 0, v[14:15]
	s_waitcnt vmcnt(0)
	v_lshlrev_b32_e32 v2, 16, v2
	v_sub_f32_e32 v2, v2, v3
	global_store_short_d16_hi v[0:1], v2, off offset:64
	v_mul_f32_e32 v0, v17, v2
	v_lshrrev_b32_e32 v15, 16, v0
.LBB15_90:
	s_or_b64 exec, exec, s[6:7]
	s_mov_b32 s6, 0x5040100
	v_perm_b32 v24, v11, v9, s6
	v_or_b32_e32 v9, v21, v22
	v_accvgpr_read_b32 v0, a0
	v_perm_b32 v25, v15, v13, s6
	v_lshlrev_b32_e32 v9, 1, v9
	v_accvgpr_read_b32 v1, a1
	v_accvgpr_read_b32 v2, a2
	;; [unrolled: 1-line block ×3, first 2 shown]
	ds_write_b64 v9, v[24:25] offset:24576
	v_mov_b32_e32 v11, 0
	v_mov_b32_e32 v9, 0
	s_and_saveexec_b64 s[6:7], vcc
	s_cbranch_execz .LBB15_92
; %bb.91:
	v_mov_b32_e32 v9, 0
	v_lshl_add_u64 v[22:23], v[6:7], 0, v[8:9]
	global_load_ushort v13, v[22:23], off offset:96
	v_lshl_add_u64 v[8:9], v[4:5], 0, v[8:9]
	s_waitcnt vmcnt(0)
	v_lshlrev_b32_e32 v13, 16, v13
	v_sub_f32_e32 v0, v13, v0
	global_store_short_d16_hi v[8:9], v0, off offset:96
	v_mul_f32_e32 v0, v18, v0
	v_lshrrev_b32_e32 v9, 16, v0
.LBB15_92:
	s_or_b64 exec, exec, s[6:7]
	s_and_saveexec_b64 s[6:7], s[2:3]
	s_cbranch_execz .LBB15_94
; %bb.93:
	v_mov_b32_e32 v11, 0
	v_lshl_add_u64 v[22:23], v[6:7], 0, v[10:11]
	global_load_ushort v0, v[22:23], off offset:96
	v_lshl_add_u64 v[10:11], v[4:5], 0, v[10:11]
	s_waitcnt vmcnt(0)
	v_lshlrev_b32_e32 v0, 16, v0
	v_sub_f32_e32 v0, v0, v1
	global_store_short_d16_hi v[10:11], v0, off offset:96
	v_mul_f32_e32 v0, v16, v0
	v_lshrrev_b32_e32 v11, 16, v0
.LBB15_94:
	s_or_b64 exec, exec, s[6:7]
	v_mov_b32_e32 v0, 0
	v_mov_b32_e32 v1, 0
	s_and_saveexec_b64 s[2:3], s[0:1]
	s_cbranch_execz .LBB15_96
; %bb.95:
	v_mov_b32_e32 v13, 0
	v_lshl_add_u64 v[22:23], v[6:7], 0, v[12:13]
	global_load_ushort v1, v[22:23], off offset:96
	v_lshl_add_u64 v[12:13], v[4:5], 0, v[12:13]
	s_waitcnt vmcnt(0)
	v_lshlrev_b32_e32 v1, 16, v1
	v_sub_f32_e32 v1, v1, v2
	global_store_short_d16_hi v[12:13], v1, off offset:96
	v_mul_f32_e32 v1, v20, v1
	v_lshrrev_b32_e32 v1, 16, v1
.LBB15_96:
	s_or_b64 exec, exec, s[2:3]
	s_and_saveexec_b64 s[0:1], s[4:5]
	s_cbranch_execz .LBB15_98
; %bb.97:
	v_mov_b32_e32 v15, 0
	v_lshl_add_u64 v[6:7], v[6:7], 0, v[14:15]
	global_load_ushort v0, v[6:7], off offset:96
	v_lshl_add_u64 v[4:5], v[4:5], 0, v[14:15]
	s_waitcnt vmcnt(0)
	v_lshlrev_b32_e32 v0, 16, v0
	v_sub_f32_e32 v0, v0, v3
	global_store_short_d16_hi v[4:5], v0, off offset:96
	v_mul_f32_e32 v0, v17, v0
	v_lshrrev_b32_e32 v0, 16, v0
.LBB15_98:
	s_or_b64 exec, exec, s[0:1]
	s_mov_b32 s0, 0x5040100
	v_or_b32_e32 v2, v21, v19
	v_perm_b32 v1, v0, v1, s0
	v_perm_b32 v0, v11, v9, s0
	v_lshlrev_b32_e32 v2, 1, v2
	ds_write_b64 v2, v[0:1] offset:24576
	s_waitcnt lgkmcnt(0)
	s_barrier
.LBB15_99:
	s_endpgm
	.section	.rodata,"a",@progbits
	.p2align	6, 0x0
	.amdhsa_kernel _ZN12_GLOBAL__N_139chunk_gated_delta_rule_fwd_h_hip_kernelILi64ELb0ELb0ELb1ELb0ELb1ELb1ELb1ELb1EEEvPK12hip_bfloat16S3_S3_PKfS5_PKvPS1_S8_PvPKiSB_iiiiilll
		.amdhsa_group_segment_fixed_size 65536
		.amdhsa_private_segment_fixed_size 0
		.amdhsa_kernarg_size 136
		.amdhsa_user_sgpr_count 2
		.amdhsa_user_sgpr_dispatch_ptr 0
		.amdhsa_user_sgpr_queue_ptr 0
		.amdhsa_user_sgpr_kernarg_segment_ptr 1
		.amdhsa_user_sgpr_dispatch_id 0
		.amdhsa_user_sgpr_kernarg_preload_length 0
		.amdhsa_user_sgpr_kernarg_preload_offset 0
		.amdhsa_user_sgpr_private_segment_size 0
		.amdhsa_uses_dynamic_stack 0
		.amdhsa_enable_private_segment 0
		.amdhsa_system_sgpr_workgroup_id_x 1
		.amdhsa_system_sgpr_workgroup_id_y 1
		.amdhsa_system_sgpr_workgroup_id_z 0
		.amdhsa_system_sgpr_workgroup_info 0
		.amdhsa_system_vgpr_workitem_id 0
		.amdhsa_next_free_vgpr 232
		.amdhsa_next_free_sgpr 68
		.amdhsa_accum_offset 192
		.amdhsa_reserve_vcc 1
		.amdhsa_float_round_mode_32 0
		.amdhsa_float_round_mode_16_64 0
		.amdhsa_float_denorm_mode_32 3
		.amdhsa_float_denorm_mode_16_64 3
		.amdhsa_dx10_clamp 1
		.amdhsa_ieee_mode 1
		.amdhsa_fp16_overflow 0
		.amdhsa_tg_split 0
		.amdhsa_exception_fp_ieee_invalid_op 0
		.amdhsa_exception_fp_denorm_src 0
		.amdhsa_exception_fp_ieee_div_zero 0
		.amdhsa_exception_fp_ieee_overflow 0
		.amdhsa_exception_fp_ieee_underflow 0
		.amdhsa_exception_fp_ieee_inexact 0
		.amdhsa_exception_int_div_zero 0
	.end_amdhsa_kernel
	.section	.text._ZN12_GLOBAL__N_139chunk_gated_delta_rule_fwd_h_hip_kernelILi64ELb0ELb0ELb1ELb0ELb1ELb1ELb1ELb1EEEvPK12hip_bfloat16S3_S3_PKfS5_PKvPS1_S8_PvPKiSB_iiiiilll,"axG",@progbits,_ZN12_GLOBAL__N_139chunk_gated_delta_rule_fwd_h_hip_kernelILi64ELb0ELb0ELb1ELb0ELb1ELb1ELb1ELb1EEEvPK12hip_bfloat16S3_S3_PKfS5_PKvPS1_S8_PvPKiSB_iiiiilll,comdat
.Lfunc_end15:
	.size	_ZN12_GLOBAL__N_139chunk_gated_delta_rule_fwd_h_hip_kernelILi64ELb0ELb0ELb1ELb0ELb1ELb1ELb1ELb1EEEvPK12hip_bfloat16S3_S3_PKfS5_PKvPS1_S8_PvPKiSB_iiiiilll, .Lfunc_end15-_ZN12_GLOBAL__N_139chunk_gated_delta_rule_fwd_h_hip_kernelILi64ELb0ELb0ELb1ELb0ELb1ELb1ELb1ELb1EEEvPK12hip_bfloat16S3_S3_PKfS5_PKvPS1_S8_PvPKiSB_iiiiilll
                                        ; -- End function
	.section	.AMDGPU.csdata,"",@progbits
; Kernel info:
; codeLenInByte = 11468
; NumSgprs: 74
; NumVgprs: 190
; NumAgprs: 40
; TotalNumVgprs: 232
; ScratchSize: 0
; MemoryBound: 0
; FloatMode: 240
; IeeeMode: 1
; LDSByteSize: 65536 bytes/workgroup (compile time only)
; SGPRBlocks: 9
; VGPRBlocks: 28
; NumSGPRsForWavesPerEU: 74
; NumVGPRsForWavesPerEU: 232
; AccumOffset: 192
; Occupancy: 1
; WaveLimiterHint : 1
; COMPUTE_PGM_RSRC2:SCRATCH_EN: 0
; COMPUTE_PGM_RSRC2:USER_SGPR: 2
; COMPUTE_PGM_RSRC2:TRAP_HANDLER: 0
; COMPUTE_PGM_RSRC2:TGID_X_EN: 1
; COMPUTE_PGM_RSRC2:TGID_Y_EN: 1
; COMPUTE_PGM_RSRC2:TGID_Z_EN: 0
; COMPUTE_PGM_RSRC2:TIDIG_COMP_CNT: 0
; COMPUTE_PGM_RSRC3_GFX90A:ACCUM_OFFSET: 47
; COMPUTE_PGM_RSRC3_GFX90A:TG_SPLIT: 0
	.section	.text._ZN12_GLOBAL__N_139chunk_gated_delta_rule_fwd_h_hip_kernelILi64ELb0ELb0ELb0ELb0ELb1ELb1ELb1ELb1EEEvPK12hip_bfloat16S3_S3_PKfS5_PKvPS1_S8_PvPKiSB_iiiiilll,"axG",@progbits,_ZN12_GLOBAL__N_139chunk_gated_delta_rule_fwd_h_hip_kernelILi64ELb0ELb0ELb0ELb0ELb1ELb1ELb1ELb1EEEvPK12hip_bfloat16S3_S3_PKfS5_PKvPS1_S8_PvPKiSB_iiiiilll,comdat
	.globl	_ZN12_GLOBAL__N_139chunk_gated_delta_rule_fwd_h_hip_kernelILi64ELb0ELb0ELb0ELb0ELb1ELb1ELb1ELb1EEEvPK12hip_bfloat16S3_S3_PKfS5_PKvPS1_S8_PvPKiSB_iiiiilll ; -- Begin function _ZN12_GLOBAL__N_139chunk_gated_delta_rule_fwd_h_hip_kernelILi64ELb0ELb0ELb0ELb0ELb1ELb1ELb1ELb1EEEvPK12hip_bfloat16S3_S3_PKfS5_PKvPS1_S8_PvPKiSB_iiiiilll
	.p2align	8
	.type	_ZN12_GLOBAL__N_139chunk_gated_delta_rule_fwd_h_hip_kernelILi64ELb0ELb0ELb0ELb0ELb1ELb1ELb1ELb1EEEvPK12hip_bfloat16S3_S3_PKfS5_PKvPS1_S8_PvPKiSB_iiiiilll,@function
_ZN12_GLOBAL__N_139chunk_gated_delta_rule_fwd_h_hip_kernelILi64ELb0ELb0ELb0ELb0ELb1ELb1ELb1ELb1EEEvPK12hip_bfloat16S3_S3_PKfS5_PKvPS1_S8_PvPKiSB_iiiiilll: ; @_ZN12_GLOBAL__N_139chunk_gated_delta_rule_fwd_h_hip_kernelILi64ELb0ELb0ELb0ELb0ELb1ELb1ELb1ELb1EEEvPK12hip_bfloat16S3_S3_PKfS5_PKvPS1_S8_PvPKiSB_iiiiilll
; %bb.0:
	s_load_dwordx4 s[12:15], s[0:1], 0x5c
	s_load_dwordx2 s[36:37], s[0:1], 0x30
	s_abs_i32 s18, s3
	s_ashr_i32 s17, s3, 31
	s_load_dwordx8 s[4:11], s[0:1], 0x0
	s_waitcnt lgkmcnt(0)
	s_abs_i32 s16, s13
	v_cvt_f32_u32_e32 v1, s16
	s_sub_i32 s20, 0, s16
	s_ashr_i32 s19, s13, 31
	s_xor_b32 s17, s17, s19
	v_rcp_iflag_f32_e32 v1, v1
	v_lshrrev_b32_e32 v85, 6, v0
	v_bfe_u32 v86, v0, 4, 2
	v_lshlrev_b32_e32 v2, 2, v86
	v_mul_f32_e32 v1, 0x4f7ffffe, v1
	v_cvt_u32_f32_e32 v1, v1
	v_and_b32_e32 v84, 63, v0
	v_mov_b32_e32 v47, 0
	v_and_b32_e32 v45, 15, v0
	v_readfirstlane_b32 s21, v1
	s_mul_i32 s20, s20, s21
	s_mul_hi_u32 s20, s21, s20
	s_add_i32 s21, s21, s20
	s_mul_hi_u32 s20, s18, s21
	s_mul_i32 s21, s20, s16
	s_sub_i32 s18, s18, s21
	s_add_i32 s22, s20, 1
	s_sub_i32 s21, s18, s16
	s_cmp_ge_u32 s18, s16
	s_cselect_b32 s20, s22, s20
	s_cselect_b32 s18, s21, s18
	s_add_i32 s21, s20, 1
	s_cmp_ge_u32 s18, s16
	s_cselect_b32 s18, s21, s20
	s_abs_i32 s20, s14
	v_cvt_f32_u32_e32 v1, s20
	s_xor_b32 s18, s18, s17
	s_ashr_i32 s46, s12, 31
	s_sub_i32 s48, s18, s17
	v_rcp_iflag_f32_e32 v1, v1
	s_lshr_b32 s17, s46, 26
	s_add_i32 s17, s12, s17
	s_ashr_i32 s49, s14, 31
	v_mul_f32_e32 v1, 0x4f7ffffe, v1
	v_cvt_u32_f32_e32 v1, v1
	s_ashr_i32 s47, s17, 6
	s_xor_b32 s17, s19, s49
	s_sub_i32 s18, 0, s20
	v_readfirstlane_b32 s19, v1
	s_mul_i32 s18, s18, s19
	s_mul_hi_u32 s18, s19, s18
	s_add_i32 s19, s19, s18
	s_mul_hi_u32 s18, s16, s19
	s_mul_i32 s19, s18, s20
	s_mul_i32 s45, s48, s13
	s_sub_i32 s16, s16, s19
	s_sub_i32 s33, s3, s45
	s_add_i32 s3, s12, 63
	s_add_i32 s19, s18, 1
	s_sub_i32 s21, s16, s20
	s_cmp_ge_u32 s16, s20
	s_cselect_b32 s18, s19, s18
	s_cselect_b32 s16, s21, s16
	s_add_i32 s19, s18, 1
	s_cmp_ge_u32 s16, s20
	s_cselect_b32 s16, s19, s18
	s_xor_b32 s16, s16, s17
	s_sub_i32 s20, s16, s17
	s_abs_i32 s21, s20
	v_cvt_f32_u32_e32 v1, s21
	s_sub_i32 s23, 0, s21
	s_abs_i32 s22, s33
	s_xor_b32 s20, s33, s20
	v_rcp_iflag_f32_e32 v1, v1
	s_ashr_i32 s20, s20, 31
	s_load_dwordx2 s[28:29], s[0:1], 0x80
	s_load_dwordx4 s[16:19], s[0:1], 0x70
	s_mul_hi_i32 s51, s48, s13
	v_mul_f32_e32 v1, 0x4f7ffffe, v1
	v_cvt_u32_f32_e32 v1, v1
	v_lshrrev_b32_e32 v88, 3, v84
	v_lshlrev_b32_e32 v87, 3, v0
	s_waitcnt lgkmcnt(0)
	s_mul_i32 s17, s48, s17
	v_readfirstlane_b32 s24, v1
	s_mul_i32 s23, s23, s24
	s_mul_hi_u32 s23, s24, s23
	s_add_i32 s24, s24, s23
	s_mul_hi_u32 s23, s22, s24
	s_mul_i32 s24, s23, s21
	s_sub_i32 s22, s22, s24
	s_add_i32 s24, s23, 1
	s_sub_i32 s25, s22, s21
	s_cmp_ge_u32 s22, s21
	s_cselect_b32 s23, s24, s23
	s_cselect_b32 s22, s25, s22
	s_add_i32 s24, s23, 1
	s_cmp_ge_u32 s22, s21
	s_cselect_b32 s21, s24, s23
	s_xor_b32 s21, s21, s20
	s_sub_i32 s52, s21, s20
	s_ashr_i32 s20, s3, 31
	s_lshr_b32 s20, s20, 26
	v_lshlrev_b32_e32 v1, 4, v85
	s_add_i32 s3, s3, s20
	v_or_b32_e32 v89, v2, v1
	s_ashr_i32 s3, s3, 6
	s_lshl_b32 s30, s2, 6
	s_mul_i32 s50, s48, s3
	v_or_b32_e32 v90, 64, v89
	s_cmp_lt_i32 s12, 64
	s_mul_hi_u32 s44, s48, s16
	s_mul_i32 s34, s48, s16
	v_mov_b32_e32 v46, v47
	v_mov_b32_e32 v53, v47
	;; [unrolled: 1-line block ×31, first 2 shown]
	s_cbranch_scc1 .LBB16_18
; %bb.1:
	s_ashr_i32 s24, s48, 31
	s_ashr_i32 s54, s33, 31
	s_add_u32 s2, s45, s33
	s_addc_u32 s3, s51, s54
	s_mul_i32 s3, s12, s3
	s_mul_hi_u32 s20, s12, s2
	s_add_i32 s39, s20, s3
	s_mul_i32 s38, s12, s2
	s_lshl_b64 s[2:3], s[38:39], 8
	v_and_b32_e32 v92, 56, v87
	s_add_u32 s20, s6, s2
	v_lshl_or_b32 v91, v85, 3, v88
	v_lshlrev_b32_e32 v3, 1, v92
	s_addc_u32 s2, s7, s3
	v_lshl_or_b32 v93, v91, 8, v3
	s_and_b32 s21, s2, 0xffff
	s_mov_b32 s23, 0x20000
	s_movk_i32 s22, 0x4000
	s_movk_i32 s2, 0x80
	v_or_b32_e32 v94, 0x2000, v93
	buffer_load_dwordx4 v[4:7], v93, s[20:23], 0 offen
	buffer_load_dwordx4 v[8:11], v93, s[20:23], s2 offen
	;; [unrolled: 1-line block ×4, first 2 shown]
	v_lshlrev_b32_e32 v20, 3, v91
	v_and_or_b32 v22, v0, 7, v20
	v_and_b32_e32 v20, 0x78, v20
	v_lshlrev_b32_e32 v22, 4, v22
	v_xor_b32_e32 v95, v22, v20
	v_mul_lo_u32 v21, v91, s15
	v_or_b32_e32 v96, 0x1000, v95
	s_cmpk_eq_i32 s15, 0x80
	s_mov_b32 s53, s14
	v_xor_b32_e32 v20, 8, v95
	v_xor_b32_e32 v22, 8, v96
	s_cselect_b64 s[2:3], -1, 0
	s_cmpk_lg_i32 s15, 0x80
	s_waitcnt vmcnt(3)
	ds_write_b64 v95, v[4:5] offset:49152
	ds_write_b64 v20, v[6:7] offset:49152
	s_waitcnt vmcnt(2)
	ds_write_b64 v95, v[8:9] offset:57344
	ds_write_b64 v20, v[10:11] offset:57344
	s_waitcnt vmcnt(1)
	ds_write_b64 v95, v[12:13] offset:53248
	ds_write_b64 v22, v[14:15] offset:49152
	s_waitcnt vmcnt(0)
	ds_write_b64 v95, v[16:17] offset:61440
	ds_write_b64 v22, v[18:19] offset:57344
	v_lshl_add_u32 v4, v21, 1, v92
	s_cbranch_scc0 .LBB16_3
; %bb.2:
	v_lshlrev_b32_e32 v6, 1, v4
	v_add_lshl_u32 v5, v4, s15, 1
	s_lshl_b32 s22, s15, 7
	s_load_dwordx2 s[40:41], s[0:1], 0x20
	v_lshl_or_b32 v3, v91, 9, v3
	s_cbranch_execz .LBB16_4
	s_branch .LBB16_5
.LBB16_3:
                                        ; implicit-def: $vgpr5
                                        ; implicit-def: $vgpr6
                                        ; implicit-def: $sgpr22
	s_load_dwordx2 s[40:41], s[0:1], 0x20
	v_lshl_or_b32 v3, v91, 9, v3
.LBB16_4:
	v_or_b32_e32 v5, 0x100, v3
	s_movk_i32 s22, 0x4000
	v_mov_b32_e32 v6, v3
.LBB16_5:
	s_mul_hi_u32 s0, s14, s12
	s_mul_i32 s1, s49, s12
	s_add_i32 s0, s0, s1
	s_mul_i32 s1, s14, s12
	s_mul_i32 s20, s1, s24
	s_mul_hi_u32 s21, s1, s48
	s_add_i32 s20, s21, s20
	s_mul_i32 s0, s0, s48
	s_add_i32 s20, s20, s0
	s_mul_i32 s1, s1, s48
	s_ashr_i32 s55, s52, 31
	s_add_u32 s0, s1, s52
	s_addc_u32 s1, s20, s55
	s_lshl_b64 s[0:1], s[0:1], 8
	s_add_u32 s20, s4, s0
	s_addc_u32 s0, s5, s1
	s_and_b32 s21, s0, 0xffff
	s_movk_i32 s56, 0x80
	buffer_load_dwordx4 v[8:11], v6, s[20:23], 0 offen
	buffer_load_dwordx4 v[12:15], v6, s[20:23], s56 offen
	;; [unrolled: 1-line block ×4, first 2 shown]
	v_and_b32_e32 v5, 6, v0
	v_lshlrev_b32_e32 v6, 7, v89
	v_xor_b32_e32 v27, v91, v5
	v_and_b32_e32 v7, 1, v0
	v_lshl_or_b32 v30, v45, 3, v6
	v_lshlrev_b32_e32 v27, 2, v27
	v_or_b32_e32 v97, 0x4000, v30
	v_or_b32_e32 v98, 0x6000, v30
	v_xor_b32_e32 v30, 0x440, v27
	v_cmp_eq_u32_e32 vcc, 0, v7
	v_lshlrev_b32_e32 v24, 2, v45
	s_mov_b32 s59, 0x1000504
	v_cndmask_b32_e32 v7, v30, v27, vcc
	v_xor_b32_e32 v28, v89, v24
	v_xor_b32_e32 v29, v90, v24
	v_lshl_or_b32 v5, v5, 10, v7
	s_mov_b32 s60, 0x3020706
	s_mul_i32 s0, s24, s12
	s_mul_hi_u32 s1, s48, s12
	v_lshlrev_b32_e32 v25, 8, v45
	v_or_b32_e32 v26, 16, v45
	v_lshlrev_b32_e32 v28, 1, v28
	v_lshlrev_b32_e32 v29, 1, v29
	v_xor_b32_e32 v7, 8, v5
	v_xor_b32_e32 v27, 24, v5
	;; [unrolled: 1-line block ×4, first 2 shown]
	v_or_b32_e32 v100, v25, v28
	v_or_b32_e32 v101, v25, v29
	v_xor_b32_e32 v25, 16, v5
	v_xor_b32_e32 v30, 32, v5
	;; [unrolled: 1-line block ×3, first 2 shown]
	v_add_u32_e32 v7, 0x80, v7
	v_add_u32_e32 v27, 0x80, v27
	;; [unrolled: 1-line block ×4, first 2 shown]
	s_add_i32 s61, s1, s0
	s_add_i32 s0, s44, s17
	s_mul_i32 s24, s24, s16
	s_add_i32 s35, s0, s24
	s_mul_i32 s0, s33, s19
	s_mul_hi_u32 s1, s33, s18
	s_add_i32 s0, s1, s0
	s_mul_i32 s1, s54, s18
	s_add_i32 s1, s0, s1
	s_lshl_b64 s[20:21], s[34:35], 2
	s_mul_i32 s0, s33, s18
	s_add_u32 s20, s10, s20
	s_addc_u32 s21, s11, s21
	s_lshl_b64 s[0:1], s[0:1], 2
	s_add_u32 s42, s20, s0
	s_movk_i32 s0, 0xf8
	s_addc_u32 s43, s21, s1
	s_ashr_i32 s31, s30, 31
	s_lshl_b32 s26, s15, 7
	v_mov_b32_e32 v79, 0
	s_movk_i32 s20, 0x100
	v_lshlrev_b32_e32 v78, 4, v45
	s_mul_i32 s57, s48, s12
	v_lshl_or_b32 v31, v26, 3, v6
	s_mov_b32 s58, 0
	v_or_b32_e32 v99, 0x4000, v31
	s_movk_i32 s22, 0x4000
	v_or_b32_e32 v102, 0x6000, v31
	v_add_u32_e32 v134, v1, v2
	s_mov_b32 s35, 0x7060302
	s_movk_i32 s62, 0x2000
	s_movk_i32 s63, 0x3000
	s_mov_b32 s65, 0
	v_mov_b32_e32 v70, v79
	v_mov_b32_e32 v71, v79
	;; [unrolled: 1-line block ×9, first 2 shown]
	s_waitcnt vmcnt(1)
	v_perm_b32 v35, v8, v16, s59
	s_waitcnt vmcnt(0)
	v_perm_b32 v36, v12, v20, s59
	v_perm_b32 v8, v8, v16, s60
	;; [unrolled: 1-line block ×15, first 2 shown]
	ds_write2st64_b32 v5, v35, v36 offset0:128 offset1:160
	ds_write2st64_b32 v7, v8, v12 offset0:128 offset1:160
	;; [unrolled: 1-line block ×8, first 2 shown]
	v_lshlrev_b32_e32 v5, 8, v26
	v_or_b32_e32 v103, v5, v28
	v_or_b32_e32 v104, v5, v29
	;; [unrolled: 1-line block ×3, first 2 shown]
	v_lshl_or_b32 v7, v5, 3, v6
	v_lshlrev_b32_e32 v5, 8, v5
	v_or_b32_e32 v107, v5, v28
	v_or_b32_e32 v108, v5, v29
	;; [unrolled: 1-line block ×5, first 2 shown]
	v_lshl_or_b32 v7, v5, 3, v6
	v_lshlrev_b32_e32 v5, 8, v5
	v_or_b32_e32 v111, v5, v28
	v_or_b32_e32 v112, v5, v29
	v_or_b32_e32 v5, v1, v45
	v_lshlrev_b32_e32 v5, 3, v5
	v_lshrrev_b32_e32 v9, 5, v84
	v_and_or_b32 v9, v5, s0, v9
	v_lshlrev_b32_e32 v9, 4, v9
	v_lshlrev_b32_e32 v11, 11, v85
	v_and_b32_e32 v5, 0x78, v5
	v_or_b32_e32 v14, 32, v9
	v_and_b32_e32 v8, 0x1000, v11
	v_xor_b32_e32 v10, v9, v5
	v_lshrrev_b32_e32 v12, 1, v84
	v_xor_b32_e32 v14, v14, v5
	v_or_b32_e32 v10, v10, v8
	v_and_b32_e32 v12, 8, v12
	v_or_b32_e32 v14, v14, v8
	v_xor_b32_e32 v113, v10, v12
	v_lshlrev_b32_e32 v10, 8, v86
	v_xor_b32_e32 v115, v14, v12
	v_or_b32_e32 v14, 64, v9
	v_or_b32_e32 v9, 0x60, v9
	;; [unrolled: 1-line block ×3, first 2 shown]
	v_xor_b32_e32 v14, v14, v5
	v_xor_b32_e32 v5, v9, v5
	v_lshlrev_b32_e32 v13, 1, v13
	v_or_b32_e32 v14, v14, v8
	v_or_b32_e32 v5, v5, v8
	s_lshl_b64 s[0:1], s[30:31], 8
	v_or_b32_e32 v114, 0x4000, v13
	v_or_b32_e32 v116, 0x4080, v13
	;; [unrolled: 1-line block ×4, first 2 shown]
	v_xor_b32_e32 v119, v14, v12
	v_xor_b32_e32 v120, v5, v12
	v_or_b32_e32 v121, 0x6000, v13
	v_or_b32_e32 v122, 0x6080, v13
	;; [unrolled: 1-line block ×4, first 2 shown]
	v_lshlrev_b32_e32 v12, 1, v4
	v_add_lshl_u32 v13, v4, s15, 1
	s_add_u32 s0, s36, s0
	v_lshlrev_b32_e32 v4, 1, v45
	v_lshrrev_b32_e32 v15, 4, v0
	s_addc_u32 s1, s37, s1
	v_or_b32_e32 v5, 1, v4
	v_lshlrev_b32_e32 v18, 2, v0
	v_or_b32_e32 v14, 0x100, v3
	v_xor_b32_e32 v16, v15, v4
	v_xor_b32_e32 v17, v5, v15
	v_lshl_add_u64 v[4:5], s[0:1], 0, v[78:79]
	v_lshlrev_b32_e32 v78, 8, v15
	v_lshrrev_b32_e32 v19, 1, v0
	v_and_or_b32 v10, v18, 60, v10
	v_cndmask_b32_e64 v131, v12, v3, s[2:3]
	v_mov_b32_e32 v3, 0xa000
	v_mov_b32_e32 v12, 0x8000
	v_cmp_gt_u32_e64 s[0:1], s20, v0
	v_lshl_or_b32 v125, v16, 3, v78
	v_and_b32_e32 v16, 8, v0
	v_and_b32_e32 v19, 24, v19
	v_lshlrev_b32_e32 v10, 1, v10
	v_cndmask_b32_e64 v3, v3, v12, s[0:1]
	v_lshlrev_b32_e32 v12, 3, v85
	v_or_b32_e32 v127, 0x6000, v10
	v_or_b32_e32 v128, 0x6080, v10
	;; [unrolled: 1-line block ×4, first 2 shown]
	v_mov_b32_e32 v10, 0x400
	v_cmp_eq_u32_e32 vcc, 0, v16
	v_cndmask_b32_e64 v132, v13, v14, s[2:3]
	v_xor_b32_e32 v13, v12, v19
	v_and_b32_e32 v15, 7, v0
	v_cndmask_b32_e64 v16, v10, 64, vcc
	v_or_b32_e32 v14, 0x440, v13
	v_lshl_or_b32 v126, v17, 3, v78
	v_lshlrev_b32_e32 v17, 3, v15
	v_or_b32_e32 v18, 32, v19
	v_or_b32_e32 v20, 0x60, v19
	v_cndmask_b32_e32 v14, v14, v13, vcc
	v_or3_b32 v13, v11, v16, v13
	v_lshlrev_b32_e32 v15, 7, v15
	v_xor_b32_e32 v18, v12, v18
	v_xor_b32_e32 v13, v13, v17
	;; [unrolled: 1-line block ×3, first 2 shown]
	v_or_b32_e32 v21, 0x440, v18
	v_or_b32_e32 v133, v13, v15
	v_xor_b32_e32 v13, 0x440, v12
	v_cndmask_b32_e32 v18, v21, v18, vcc
	v_cndmask_b32_e32 v12, v13, v12, vcc
	v_or_b32_e32 v109, 0x4000, v7
	v_or_b32_e32 v110, 0x6000, v7
	v_lshrrev_b32_e32 v7, 2, v84
	v_or_b32_e32 v14, v14, v11
	v_or_b32_e32 v18, v18, v11
	;; [unrolled: 1-line block ×3, first 2 shown]
	v_and_b32_e32 v7, 12, v7
	v_or_b32_e32 v8, s30, v45
	v_xor_b32_e32 v14, v14, v17
	v_xor_b32_e32 v18, v18, v17
	;; [unrolled: 1-line block ×3, first 2 shown]
	v_ashrrev_i32_e32 v9, 31, v8
	v_or_b32_e32 v10, v1, v7
	v_add_u32_e32 v19, v3, v14
	v_add_u32_e32 v21, v3, v18
	;; [unrolled: 1-line block ×3, first 2 shown]
	v_or3_b32 v12, v1, v7, 64
	v_add_u32_e32 v7, 0xa000, v14
	v_add_u32_e32 v14, 0xa000, v18
	;; [unrolled: 1-line block ×3, first 2 shown]
	v_lshl_add_u64 v[80:81], v[8:9], 1, s[8:9]
	v_lshl_add_u64 v[82:83], v[4:5], 0, v[78:79]
	s_add_i32 s31, s57, 63
	v_lshlrev_b32_e32 v78, 1, v6
	v_lshlrev_b32_e32 v135, 2, v10
	v_add_u32_e32 v136, v19, v15
	v_add_u32_e32 v137, v21, v15
	v_add_u32_e32 v138, v3, v133
	v_add_u32_e32 v139, v13, v15
	v_lshlrev_b32_e32 v140, 2, v12
	v_add_u32_e32 v141, v7, v15
	v_add_u32_e32 v142, v14, v15
	;; [unrolled: 1-line block ×3, first 2 shown]
	v_mov_b32_e32 v63, v79
	v_mov_b32_e32 v64, v79
	;; [unrolled: 1-line block ×23, first 2 shown]
	s_waitcnt lgkmcnt(0)
	s_barrier
.LBB16_6:                               ; =>This Inner Loop Header: Depth=1
	s_add_i32 s64, s65, 1
	s_cmp_lt_i32 s64, s47
	s_mov_b64 s[24:25], 0
	s_cselect_b64 s[2:3], -1, 0
	s_cmp_ge_i32 s64, s47
	s_mov_b64 s[20:21], 0
	s_cbranch_scc1 .LBB16_8
; %bb.7:                                ;   in Loop: Header=BB16_6 Depth=1
	s_add_i32 s0, s58, 64
	s_add_u32 s0, s38, s0
	s_addc_u32 s1, s39, 0
	s_lshl_b64 s[0:1], s[0:1], 8
	s_add_u32 s20, s6, s0
	s_addc_u32 s21, s7, s1
.LBB16_8:                               ;   in Loop: Header=BB16_6 Depth=1
	v_cndmask_b32_e64 v2, 0, 1, s[2:3]
	v_cmp_ne_u32_e64 s[0:1], 1, v2
	s_andn2_b64 vcc, exec, s[2:3]
	s_cbranch_vccnz .LBB16_10
; %bb.9:                                ;   in Loop: Header=BB16_6 Depth=1
	s_add_i32 s2, s58, 64
	s_add_u32 s2, s57, s2
	s_addc_u32 s3, s61, 0
	s_mul_i32 s24, s2, s49
	s_mul_hi_u32 s25, s2, s53
	s_add_i32 s24, s25, s24
	s_mul_i32 s3, s3, s53
	s_add_i32 s24, s24, s3
	s_mul_i32 s2, s2, s53
	s_add_u32 s2, s2, s52
	s_addc_u32 s3, s24, s55
	s_lshl_b64 s[2:3], s[2:3], 8
	s_add_u32 s24, s4, s2
	s_addc_u32 s25, s5, s3
.LBB16_10:                              ;   in Loop: Header=BB16_6 Depth=1
	v_perm_b32 v3, v77, v76, s35
	v_perm_b32 v2, v75, v74, s35
	v_perm_b32 v5, v73, v72, s35
	v_perm_b32 v4, v71, v70, s35
	ds_write_b64 v97, v[2:3]
	ds_write_b64 v98, v[4:5]
	ds_write_b64 v100, v[2:3]
	ds_write_b64 v101, v[4:5]
	v_perm_b32 v3, v69, v68, s35
	v_perm_b32 v2, v67, v66, s35
	v_perm_b32 v5, v65, v64, s35
	v_perm_b32 v4, v63, v62, s35
	ds_write_b64 v99, v[2:3]
	ds_write_b64 v102, v[4:5]
	ds_write_b64 v103, v[2:3]
	ds_write_b64 v104, v[4:5]
	;; [unrolled: 8-line block ×4, first 2 shown]
	s_waitcnt lgkmcnt(0)
	s_barrier
	ds_read_b64 v[6:7], v113 offset:49152
	ds_read2_b64 v[2:5], v114 offset1:16
	ds_read_b64 v[18:19], v116 offset:6144
	ds_read_b64 v[20:21], v114 offset:6144
	s_waitcnt lgkmcnt(2)
	v_mfma_f32_16x16x16_bf16 a[0:3], v[6:7], v[2:3], 0
	ds_read_b64 v[22:23], v115 offset:49152
	ds_read2st64_b64 v[10:13], v117 offset0:4 offset1:8
	ds_read2st64_b64 v[14:17], v118 offset0:4 offset1:8
	v_mfma_f32_16x16x16_bf16 a[4:7], v[6:7], v[4:5], 0
	ds_read2_b64 v[2:5], v114 offset0:32 offset1:48
	s_add_i32 s2, s58, 63
	s_mul_i32 s3, s2, s29
	s_waitcnt lgkmcnt(0)
	v_mfma_f32_16x16x16_bf16 a[8:11], v[6:7], v[2:3], 0
	s_mul_hi_u32 s27, s2, s28
	s_add_i32 s3, s27, s3
	s_mul_i32 s2, s2, s28
	v_mfma_f32_16x16x16_bf16 a[12:15], v[6:7], v[4:5], 0
	ds_read2st64_b64 v[2:5], v114 offset0:4 offset1:8
	ds_read2st64_b64 v[6:9], v116 offset0:4 offset1:8
	s_lshl_b64 s[2:3], s[2:3], 2
	s_waitcnt lgkmcnt(1)
	v_mfma_f32_16x16x16_bf16 a[0:3], v[22:23], v[2:3], a[0:3]
	s_add_u32 s2, s42, s2
	s_addc_u32 s3, s43, s3
	s_and_b64 vcc, exec, s[0:1]
	s_waitcnt lgkmcnt(0)
	v_mfma_f32_16x16x16_bf16 a[4:7], v[22:23], v[6:7], a[4:7]
	v_mov_b32_e32 v146, 0
	v_mov_b32_e32 v145, 0
	v_mov_b32_e32 v144, 0
	v_mfma_f32_16x16x16_bf16 a[8:11], v[22:23], v[10:11], a[8:11]
	ds_read_b64 v[2:3], v119 offset:49152
	ds_read_b64 v[6:7], v120 offset:49152
	;; [unrolled: 1-line block ×3, first 2 shown]
	v_mfma_f32_16x16x16_bf16 a[12:15], v[22:23], v[14:15], a[12:15]
	v_mov_b32_e32 v14, 0
	v_mov_b32_e32 v15, 0
	s_waitcnt lgkmcnt(2)
	v_mfma_f32_16x16x16_bf16 a[0:3], v[2:3], v[4:5], a[0:3]
	v_mov_b32_e32 v4, 0
	v_mov_b32_e32 v5, 0
	v_mfma_f32_16x16x16_bf16 a[16:19], v[2:3], v[8:9], a[4:7]
	v_mov_b32_e32 v8, 0
	v_mov_b32_e32 v9, 0
	;; [unrolled: 3-line block ×3, first 2 shown]
	v_mfma_f32_16x16x16_bf16 a[24:27], v[2:3], v[16:17], a[12:15]
	ds_read_b64 v[2:3], v117 offset:6144
	v_mov_b32_e32 v16, 0
	v_mov_b32_e32 v17, 0
	s_waitcnt lgkmcnt(2)
	v_mfma_f32_16x16x16_bf16 a[4:7], v[6:7], v[20:21], a[0:3]
	v_mfma_f32_16x16x16_bf16 a[8:11], v[6:7], v[18:19], a[16:19]
	s_waitcnt lgkmcnt(0)
	v_mfma_f32_16x16x16_bf16 a[12:15], v[6:7], v[2:3], a[20:23]
	v_mov_b32_e32 v2, 0
	v_mov_b32_e32 v3, 0
	v_mfma_f32_16x16x16_bf16 a[0:3], v[6:7], v[10:11], a[24:27]
	v_mov_b32_e32 v6, 0
	v_mov_b32_e32 v7, 0
	;; [unrolled: 1-line block ×4, first 2 shown]
	s_cbranch_vccnz .LBB16_12
; %bb.11:                               ;   in Loop: Header=BB16_6 Depth=1
	s_and_b32 s21, s21, 0xffff
	buffer_load_dwordx4 v[14:17], v93, s[20:23], 0 offen
	buffer_load_dwordx4 v[10:13], v93, s[20:23], s56 offen
	;; [unrolled: 1-line block ×4, first 2 shown]
	v_mov_b32_e32 v145, v95
	v_mov_b32_e32 v144, v96
.LBB16_12:                              ;   in Loop: Header=BB16_6 Depth=1
	ds_read_b64 v[34:35], v113 offset:57344
	ds_read2_b64 v[18:21], v121 offset1:16
	ds_read_b64 v[36:37], v115 offset:57344
	ds_read_b64 v[38:39], v119 offset:57344
	;; [unrolled: 1-line block ×3, first 2 shown]
	v_add_u32_e32 v42, s58, v134
	s_waitcnt lgkmcnt(3)
	v_mfma_f32_16x16x16_bf16 a[4:7], v[34:35], v[18:19], a[4:7]
	v_mfma_f32_16x16x16_bf16 a[8:11], v[34:35], v[20:21], a[8:11]
	ds_read2_b64 v[18:21], v121 offset0:32 offset1:48
	ds_read2st64_b64 v[22:25], v121 offset0:4 offset1:8
	ds_read2st64_b64 v[26:29], v122 offset0:4 offset1:8
	;; [unrolled: 1-line block ×3, first 2 shown]
	s_waitcnt lgkmcnt(3)
	v_mfma_f32_16x16x16_bf16 a[12:15], v[34:35], v[18:19], a[12:15]
	v_ashrrev_i32_e32 v18, 31, v42
	v_mfma_f32_16x16x16_bf16 a[0:3], v[34:35], v[20:21], a[0:3]
	v_mul_lo_u32 v20, v18, s28
	v_mul_lo_u32 v21, v42, s29
	v_mad_u64_u32 v[18:19], s[20:21], v42, s28, 0
	v_add3_u32 v19, v19, v21, v20
	v_add_u32_e32 v20, 1, v42
	v_ashrrev_i32_e32 v21, 31, v20
	s_waitcnt lgkmcnt(2)
	v_mfma_f32_16x16x16_bf16 a[4:7], v[36:37], v[22:23], a[4:7]
	v_mul_lo_u32 v22, v21, s28
	v_mul_lo_u32 v23, v20, s29
	v_mad_u64_u32 v[20:21], s[20:21], v20, s28, 0
	v_add3_u32 v21, v21, v23, v22
	v_add_u32_e32 v22, 2, v42
	v_ashrrev_i32_e32 v23, 31, v22
	s_waitcnt lgkmcnt(1)
	v_mfma_f32_16x16x16_bf16 a[8:11], v[36:37], v[26:27], a[8:11]
	v_mul_lo_u32 v26, v23, s28
	v_mul_lo_u32 v27, v22, s29
	v_mad_u64_u32 v[22:23], s[20:21], v22, s28, 0
	v_add3_u32 v23, v23, v27, v26
	v_add_u32_e32 v26, 3, v42
	v_ashrrev_i32_e32 v27, 31, v26
	v_mul_lo_u32 v34, v27, s28
	v_mul_lo_u32 v35, v26, s29
	v_mad_u64_u32 v[26:27], s[20:21], v26, s28, 0
	s_add_u32 s20, s38, s58
	s_addc_u32 s21, s39, 0
	v_lshl_add_u64 v[18:19], v[18:19], 2, s[42:43]
	v_add3_u32 v27, v27, v35, v34
	s_lshl_b64 s[20:21], s[20:21], 8
	v_lshl_add_u64 v[20:21], v[20:21], 2, s[42:43]
	v_lshl_add_u64 v[22:23], v[22:23], 2, s[42:43]
	v_lshl_add_u64 v[26:27], v[26:27], 2, s[42:43]
	global_load_dword v34, v[18:19], off
	global_load_dword v35, v[20:21], off
	;; [unrolled: 1-line block ×4, first 2 shown]
	v_lshl_add_u64 v[18:19], v[80:81], 0, s[20:21]
	v_lshl_add_u64 v[22:23], v[18:19], 0, v[78:79]
	global_load_ushort v44, v[22:23], off offset:256
	global_load_ushort v147, v[22:23], off
	ds_read2st64_b64 v[18:21], v124 offset0:4 offset1:8
	global_load_ushort v148, v[22:23], off offset:768
	global_load_ushort v149, v[22:23], off offset:512
	s_waitcnt lgkmcnt(1)
	v_mfma_f32_16x16x16_bf16 a[12:15], v[36:37], v[30:31], a[12:15]
	s_and_b64 vcc, exec, s[0:1]
	s_waitcnt vmcnt(3)
	v_lshlrev_b32_e32 v31, 16, v44
	s_waitcnt lgkmcnt(0)
	v_mfma_f32_16x16x16_bf16 a[0:3], v[36:37], v[18:19], a[0:3]
	global_load_ushort v36, v[22:23], off offset:288
	global_load_ushort v37, v[22:23], off offset:32
	;; [unrolled: 1-line block ×8, first 2 shown]
	v_mfma_f32_16x16x16_bf16 a[4:7], v[38:39], v[24:25], a[4:7]
	ds_read_b64 v[18:19], v121 offset:6144
	s_waitcnt vmcnt(10)
	v_lshlrev_b32_e32 v30, 16, v147
	v_mov_b32_e32 v147, 0
	v_mfma_f32_16x16x16_bf16 a[8:11], v[38:39], v[28:29], a[8:11]
	v_mfma_f32_16x16x16_bf16 a[12:15], v[38:39], v[32:33], a[12:15]
	;; [unrolled: 1-line block ×3, first 2 shown]
	global_load_ushort v38, v[22:23], off offset:352
	global_load_ushort v39, v[22:23], off offset:96
	ds_read_b64 v[20:21], v122 offset:6144
	ds_read_b64 v[24:25], v123 offset:6144
	;; [unrolled: 1-line block ×3, first 2 shown]
	global_load_ushort v156, v[22:23], off offset:864
	global_load_ushort v157, v[22:23], off offset:608
	s_load_dword s2, s[2:3], 0x0
	s_waitcnt lgkmcnt(0)
	v_mfma_f32_16x16x16_bf16 a[4:7], v[40:41], v[18:19], a[4:7]
	v_sub_f32_e32 v28, s2, v42
	v_mfma_f32_16x16x16_bf16 a[0:3], v[40:41], v[26:27], a[0:3]
	v_sub_f32_e32 v26, s2, v34
	v_sub_f32_e32 v27, s2, v35
	;; [unrolled: 1-line block ×3, first 2 shown]
	v_mfma_f32_16x16x16_bf16 a[8:11], v[40:41], v[20:21], a[8:11]
	v_exp_f32_e32 v26, v26
	v_exp_f32_e32 v27, v27
	;; [unrolled: 1-line block ×4, first 2 shown]
	v_accvgpr_read_b32 v33, a5
	v_accvgpr_read_b32 v32, a4
	;; [unrolled: 1-line block ×4, first 2 shown]
	v_pk_add_f32 v[30:31], v[30:31], v[32:33] neg_lo:[0,1] neg_hi:[0,1]
	s_waitcnt vmcnt(13)
	v_lshlrev_b32_e32 v33, 16, v148
	s_waitcnt vmcnt(12)
	v_lshlrev_b32_e32 v32, 16, v149
	v_pk_add_f32 v[18:19], v[32:33], v[18:19] neg_lo:[0,1] neg_hi:[0,1]
	v_pk_mul_f32 v[30:31], v[26:27], v[30:31]
	v_pk_mul_f32 v[18:19], v[28:29], v[18:19]
	v_accvgpr_read_b32 v33, a9
	v_perm_b32 v19, v19, v18, s35
	v_perm_b32 v18, v31, v30, s35
	v_accvgpr_read_b32 v32, a8
	v_accvgpr_read_b32 v21, a11
	v_mfma_f32_16x16x16_bf16 a[12:15], v[40:41], v[24:25], a[12:15]
	v_accvgpr_read_b32 v20, a10
	v_accvgpr_read_b32 v25, a3
	;; [unrolled: 1-line block ×3, first 2 shown]
	s_waitcnt vmcnt(11)
	v_lshlrev_b32_e32 v31, 16, v36
	s_waitcnt vmcnt(10)
	v_lshlrev_b32_e32 v30, 16, v37
	v_pk_add_f32 v[30:31], v[30:31], v[32:33] neg_lo:[0,1] neg_hi:[0,1]
	s_waitcnt vmcnt(9)
	v_lshlrev_b32_e32 v33, 16, v150
	s_waitcnt vmcnt(8)
	v_lshlrev_b32_e32 v32, 16, v151
	v_pk_add_f32 v[20:21], v[32:33], v[20:21] neg_lo:[0,1] neg_hi:[0,1]
	v_pk_mul_f32 v[30:31], v[26:27], v[30:31]
	v_pk_mul_f32 v[20:21], v[28:29], v[20:21]
	v_accvgpr_read_b32 v23, a15
	v_perm_b32 v21, v21, v20, s35
	v_perm_b32 v20, v31, v30, s35
	ds_write2_b64 v98, v[18:19], v[20:21] offset1:16
	v_accvgpr_read_b32 v21, a13
	s_waitcnt vmcnt(7)
	v_lshlrev_b32_e32 v19, 16, v152
	s_waitcnt vmcnt(6)
	v_lshlrev_b32_e32 v18, 16, v153
	v_accvgpr_read_b32 v20, a12
	v_accvgpr_read_b32 v22, a14
	v_pk_add_f32 v[18:19], v[18:19], v[20:21] neg_lo:[0,1] neg_hi:[0,1]
	s_waitcnt vmcnt(5)
	v_lshlrev_b32_e32 v21, 16, v154
	s_waitcnt vmcnt(4)
	v_lshlrev_b32_e32 v20, 16, v155
	v_pk_add_f32 v[20:21], v[20:21], v[22:23] neg_lo:[0,1] neg_hi:[0,1]
	v_pk_mul_f32 v[18:19], v[26:27], v[18:19]
	v_pk_mul_f32 v[20:21], v[28:29], v[20:21]
	v_accvgpr_read_b32 v23, a1
	v_perm_b32 v21, v21, v20, s35
	v_perm_b32 v20, v19, v18, s35
	s_waitcnt vmcnt(3)
	v_lshlrev_b32_e32 v19, 16, v38
	s_waitcnt vmcnt(2)
	v_lshlrev_b32_e32 v18, 16, v39
	v_accvgpr_read_b32 v22, a0
	v_pk_add_f32 v[18:19], v[18:19], v[22:23] neg_lo:[0,1] neg_hi:[0,1]
	s_waitcnt vmcnt(1)
	v_lshlrev_b32_e32 v23, 16, v156
	s_waitcnt vmcnt(0)
	v_lshlrev_b32_e32 v22, 16, v157
	v_pk_add_f32 v[22:23], v[22:23], v[24:25] neg_lo:[0,1] neg_hi:[0,1]
	v_pk_mul_f32 v[18:19], v[26:27], v[18:19]
	v_pk_mul_f32 v[22:23], v[28:29], v[22:23]
	v_mov_b32_e32 v24, 0
	v_perm_b32 v23, v23, v22, s35
	v_perm_b32 v22, v19, v18, s35
	ds_write2_b64 v98, v[20:21], v[22:23] offset0:32 offset1:48
	v_mov_b32_e32 v18, 0
	v_mov_b32_e32 v19, 0
	;; [unrolled: 1-line block ×15, first 2 shown]
	s_cbranch_vccnz .LBB16_14
; %bb.13:                               ;   in Loop: Header=BB16_6 Depth=1
	s_and_b32 s25, s25, 0xffff
	s_mov_b32 s27, s23
	buffer_load_dwordx4 v[30:33], v131, s[24:27], 0 offen
	buffer_load_dwordx4 v[22:25], v131, s[24:27], s56 offen
	;; [unrolled: 1-line block ×4, first 2 shown]
	v_mov_b32_e32 v146, v92
	v_mov_b32_e32 v147, v91
.LBB16_14:                              ;   in Loop: Header=BB16_6 Depth=1
	s_waitcnt lgkmcnt(0)
	s_barrier
	ds_read_b64 v[42:43], v136
	ds_read2_b64 v[34:37], v127 offset1:16
	ds_read_b64 v[164:165], v137
	ds_read_b64 v[166:167], v138
	;; [unrolled: 1-line block ×3, first 2 shown]
	ds_read2_b64 v[38:41], v127 offset0:32 offset1:48
	ds_read2st64_b64 v[148:151], v127 offset0:4 offset1:8
	ds_read2st64_b64 v[152:155], v128 offset0:4 offset1:8
	;; [unrolled: 1-line block ×4, first 2 shown]
	s_waitcnt lgkmcnt(8)
	v_mfma_f32_16x16x16_bf16 a[0:3], v[42:43], v[34:35], 0
	s_add_i32 s3, s50, s65
	s_mul_hi_i32 s21, s3, s13
	s_mul_i32 s3, s3, s13
	v_mfma_f32_16x16x16_bf16 a[4:7], v[42:43], v[36:37], 0
	s_add_u32 s20, s3, s33
	s_addc_u32 s21, s21, s54
	s_add_i32 s3, s31, s58
	s_waitcnt lgkmcnt(4)
	v_mfma_f32_16x16x16_bf16 a[8:11], v[42:43], v[38:39], 0
	s_lshl_b64 s[20:21], s[20:21], 15
	s_mul_hi_i32 s25, s3, s13
	s_mul_i32 s3, s3, s13
	v_mfma_f32_16x16x16_bf16 a[12:15], v[42:43], v[40:41], 0
	ds_read_b64 v[42:43], v127 offset:6144
	ds_read_b64 v[176:177], v128 offset:6144
	;; [unrolled: 1-line block ×4, first 2 shown]
	s_add_u32 s24, s3, s33
	s_waitcnt lgkmcnt(7)
	v_mfma_f32_16x16x16_bf16 a[0:3], v[164:165], v[148:149], a[0:3]
	s_addc_u32 s25, s25, s54
	s_lshl_b64 s[24:25], s[24:25], 9
	s_add_u32 s24, s40, s24
	s_waitcnt lgkmcnt(6)
	v_mfma_f32_16x16x16_bf16 a[4:7], v[164:165], v[152:153], a[4:7]
	s_addc_u32 s25, s41, s25
	v_lshl_add_u64 v[186:187], v[82:83], 0, s[20:21]
	s_waitcnt lgkmcnt(5)
	v_mfma_f32_16x16x16_bf16 a[8:11], v[164:165], v[156:157], a[8:11]
	s_waitcnt lgkmcnt(4)
	v_mfma_f32_16x16x16_bf16 a[12:15], v[164:165], v[160:161], a[12:15]
	ds_read_b64 v[164:165], v141
	ds_read_b64 v[174:175], v142
	;; [unrolled: 1-line block ×3, first 2 shown]
	s_waitcnt lgkmcnt(2)
	v_mfma_f32_16x16x16_bf16 a[16:19], v[164:165], v[34:35], 0
	v_mfma_f32_16x16x16_bf16 a[20:23], v[164:165], v[36:37], 0
	global_load_dwordx4 v[34:37], v140, s[24:25]
	v_mfma_f32_16x16x16_bf16 a[24:27], v[164:165], v[38:39], 0
	v_mfma_f32_16x16x16_bf16 a[28:31], v[164:165], v[40:41], 0
	global_load_dwordx4 v[38:41], v135, s[24:25]
	v_mfma_f32_16x16x16_bf16 a[0:3], v[166:167], v[150:151], a[0:3]
	v_mfma_f32_16x16x16_bf16 a[4:7], v[166:167], v[154:155], a[4:7]
	;; [unrolled: 1-line block ×8, first 2 shown]
	ds_read2st64_b64 v[164:167], v125 offset1:8
	ds_read2st64_b64 v[168:171], v126 offset1:8
	ds_read_b64 v[184:185], v133 offset:40960
	s_waitcnt lgkmcnt(2)
	v_mov_b32_e32 v172, v164
	v_mfma_f32_16x16x16_bf16 a[16:19], v[174:175], v[148:149], a[16:19]
	v_mov_b32_e32 v173, v165
	v_mfma_f32_16x16x16_bf16 a[20:23], v[174:175], v[152:153], a[20:23]
	v_mfma_f32_16x16x16_bf16 a[24:27], v[174:175], v[156:157], a[24:27]
	;; [unrolled: 1-line block ×3, first 2 shown]
	v_add_co_u32_e32 v160, vcc, s62, v186
	s_waitcnt lgkmcnt(1)
	v_mov_b32_e32 v174, v168
	s_waitcnt lgkmcnt(0)
	v_mfma_f32_16x16x16_bf16 a[16:19], v[184:185], v[150:151], a[16:19]
	ds_read2st64_b64 v[148:151], v125 offset0:16 offset1:24
	v_addc_co_u32_e32 v161, vcc, 0, v187, vcc
	v_mfma_f32_16x16x16_bf16 a[20:23], v[184:185], v[154:155], a[20:23]
	ds_read2st64_b64 v[152:155], v126 offset0:16 offset1:24
	v_mov_b32_e32 v175, v169
	v_mov_b32_e32 v168, v166
	v_mfma_f32_16x16x16_bf16 a[32:35], v[184:185], v[158:159], a[24:27]
	v_mov_b32_e32 v169, v167
	s_waitcnt lgkmcnt(0)
	v_mov_b32_e32 v158, v152
	v_mov_b32_e32 v159, v153
	v_mfma_f32_16x16x16_bf16 a[36:39], v[184:185], v[162:163], a[28:31]
	v_mov_b32_e32 v152, v150
	v_mov_b32_e32 v153, v151
	;; [unrolled: 1-line block ×3, first 2 shown]
	v_mfma_f32_16x16x16_bf16 a[24:27], v[182:183], v[42:43], a[16:19]
	v_add_co_u32_e32 v42, vcc, s63, v186
	v_mov_b32_e32 v157, v149
	v_mfma_f32_16x16x16_bf16 a[28:31], v[182:183], v[176:177], a[20:23]
	v_addc_co_u32_e32 v43, vcc, 0, v187, vcc
	global_store_dwordx4 v[42:43], v[152:155], off
	v_mfma_f32_16x16x16_bf16 a[16:19], v[182:183], v[178:179], a[32:35]
	s_waitcnt vmcnt(2)
	v_mov_b32_e32 v44, v37
	v_mov_b32_e32 v43, v36
	v_mov_b32_e32 v42, v35
	v_mfma_f32_16x16x16_bf16 a[20:23], v[182:183], v[180:181], a[36:39]
	s_and_b64 vcc, exec, s[0:1]
	global_store_dwordx4 v[186:187], v[172:175], off
	global_store_dwordx4 v[160:161], v[168:171], off offset:-4096
	global_store_dwordx4 v[160:161], v[156:159], off
	s_cbranch_vccnz .LBB16_16
; %bb.15:                               ;   in Loop: Header=BB16_6 Depth=1
	v_lshrrev_b32_e32 v35, 3, v146
	v_and_b32_e32 v35, 6, v35
	v_xor_b32_e32 v36, v35, v147
	v_lshlrev_b32_e32 v36, 2, v36
	v_and_b32_e32 v37, 8, v146
	v_xor_b32_e32 v146, 0x440, v36
	v_cmp_eq_u32_e32 vcc, 0, v37
	v_perm_b32 v37, v22, v18, s59
	s_nop 0
	v_cndmask_b32_e32 v36, v146, v36, vcc
	v_lshl_or_b32 v35, v35, 10, v36
	v_perm_b32 v36, v30, v26, s59
	s_barrier
	ds_write2st64_b32 v35, v36, v37 offset0:128 offset1:160
	v_xor_b32_e32 v36, 8, v35
	v_perm_b32 v26, v30, v26, s60
	v_perm_b32 v18, v22, v18, s60
	v_add_u32_e32 v22, 0x80, v36
	ds_write2st64_b32 v22, v26, v18 offset0:128 offset1:160
	v_xor_b32_e32 v18, 16, v35
	v_perm_b32 v22, v31, v27, s59
	v_perm_b32 v26, v23, v19, s59
	ds_write2st64_b32 v18, v22, v26 offset0:129 offset1:161
	v_xor_b32_e32 v18, 24, v35
	v_perm_b32 v22, v31, v27, s60
	v_perm_b32 v19, v23, v19, s60
	v_add_u32_e32 v18, 0x80, v18
	ds_write2st64_b32 v18, v22, v19 offset0:129 offset1:161
	v_xor_b32_e32 v18, 32, v35
	v_perm_b32 v19, v32, v28, s59
	v_perm_b32 v22, v24, v20, s59
	;; [unrolled: 9-line block ×3, first 2 shown]
	ds_write2st64_b32 v18, v19, v20 offset0:131 offset1:163
	v_xor_b32_e32 v18, 56, v35
	v_perm_b32 v19, v33, v29, s60
	v_perm_b32 v20, v25, v21, s60
	v_add_u32_e32 v18, 0x80, v18
	ds_write2st64_b32 v18, v19, v20 offset0:131 offset1:163
	ds_write_b64 v145, v[14:15] offset:49152
	v_xor_b32_e32 v14, 8, v145
	ds_write_b64 v14, v[16:17] offset:49152
	ds_write_b64 v145, v[10:11] offset:57344
	;; [unrolled: 1-line block ×4, first 2 shown]
	v_xor_b32_e32 v6, 8, v144
	ds_write_b64 v6, v[8:9] offset:49152
	ds_write_b64 v144, v[2:3] offset:57344
	;; [unrolled: 1-line block ×3, first 2 shown]
.LBB16_16:                              ;   in Loop: Header=BB16_6 Depth=1
	v_exp_f32_e32 v36, s2
	s_waitcnt vmcnt(4)
	v_exp_f32_e32 v38, v38
	v_exp_f32_e32 v39, v39
	;; [unrolled: 1-line block ×4, first 2 shown]
	v_accvgpr_read_b32 v5, a3
	v_accvgpr_read_b32 v4, a2
	;; [unrolled: 1-line block ×4, first 2 shown]
	v_pk_mul_f32 v[38:39], v[36:37], v[38:39] op_sel_hi:[0,1]
	v_pk_mul_f32 v[40:41], v[36:37], v[40:41] op_sel_hi:[0,1]
	v_pk_fma_f32 v[74:75], v[74:75], v[38:39], v[2:3]
	v_pk_fma_f32 v[76:77], v[76:77], v[40:41], v[4:5]
	v_exp_f32_e32 v2, v34
	v_exp_f32_e32 v3, v42
	;; [unrolled: 1-line block ×4, first 2 shown]
	v_accvgpr_read_b32 v9, a7
	v_accvgpr_read_b32 v13, a11
	;; [unrolled: 1-line block ×28, first 2 shown]
	v_pk_mul_f32 v[2:3], v[36:37], v[2:3] op_sel_hi:[0,1]
	v_pk_mul_f32 v[4:5], v[36:37], v[4:5] op_sel_hi:[0,1]
	s_add_i32 s58, s58, 64
	v_pk_fma_f32 v[66:67], v[38:39], v[66:67], v[6:7]
	v_pk_fma_f32 v[68:69], v[40:41], v[68:69], v[8:9]
	;; [unrolled: 1-line block ×13, first 2 shown]
	s_cmp_eq_u32 s47, s64
	v_pk_fma_f32 v[50:51], v[4:5], v[50:51], v[32:33]
	s_cbranch_scc1 .LBB16_18
; %bb.17:                               ;   in Loop: Header=BB16_6 Depth=1
	s_mov_b32 s65, s64
	s_branch .LBB16_6
.LBB16_18:
	s_lshl_b32 s40, s47, 6
	s_sub_i32 s41, s12, s40
	s_cmp_gt_i32 s41, 0
	s_cbranch_scc0 .LBB16_99
; %bb.19:
	s_ashr_i32 s35, s48, 31
	s_ashr_i32 s2, s40, 31
	s_cmpk_lg_i32 s15, 0x80
	s_cselect_b64 s[26:27], -1, 0
	s_and_b64 vcc, exec, s[26:27]
	s_cbranch_vccz .LBB16_21
; %bb.20:
	s_mul_i32 s1, s48, s12
	s_mul_hi_i32 s0, s48, s12
	s_add_u32 s1, s1, s40
	s_addc_u32 s0, s0, s2
	s_mul_i32 s3, s1, s49
	s_mul_hi_u32 s20, s1, s14
	s_add_i32 s3, s20, s3
	s_mul_i32 s0, s0, s14
	s_add_i32 s3, s3, s0
	s_mul_i32 s1, s1, s14
	s_ashr_i32 s0, s52, 31
	s_add_u32 s38, s1, s52
	s_addc_u32 s39, s3, s0
	s_cbranch_execz .LBB16_22
	s_branch .LBB16_23
.LBB16_21:
                                        ; implicit-def: $sgpr38_sgpr39
.LBB16_22:
	s_mul_hi_i32 s0, s48, s14
	s_mul_i32 s48, s48, s14
	s_ashr_i32 s1, s52, 31
	s_add_u32 s3, s48, s52
	s_addc_u32 s0, s0, s1
	s_mul_i32 s1, s3, s46
	s_mul_hi_u32 s14, s3, s12
	s_add_i32 s1, s14, s1
	s_mul_i32 s0, s0, s12
	s_add_i32 s1, s1, s0
	s_mul_i32 s3, s3, s12
	s_add_u32 s38, s3, s40
	s_addc_u32 s39, s1, s2
.LBB16_23:
	s_add_i32 s3, s50, s47
	s_ashr_i32 s14, s33, 31
	s_add_u32 s0, s45, s33
	s_addc_u32 s1, s51, s14
	s_mul_i32 s20, s0, s46
	s_mul_hi_u32 s21, s0, s12
	s_add_i32 s20, s21, s20
	s_mul_i32 s1, s1, s12
	s_add_i32 s20, s20, s1
	s_mul_i32 s0, s0, s12
	s_add_u32 s0, s0, s40
	v_lshlrev_b32_e32 v6, 6, v89
	v_lshlrev_b32_e32 v24, 2, v45
	s_addc_u32 s1, s20, s2
	s_mov_b32 s2, 0x7060302
	v_or_b32_e32 v9, v6, v24
	v_xor_b32_e32 v7, v89, v24
	v_perm_b32 v3, v77, v76, s2
	v_perm_b32 v2, v75, v74, s2
	;; [unrolled: 1-line block ×4, first 2 shown]
	v_lshlrev_b32_e32 v9, 1, v9
	v_xor_b32_e32 v8, v90, v24
	ds_write2st64_b64 v9, v[2:3], v[4:5] offset0:32 offset1:48
	v_lshlrev_b32_e32 v7, 1, v7
	v_lshlrev_b32_e32 v9, 8, v45
	v_or_b32_e32 v10, v7, v9
	v_lshlrev_b32_e32 v8, 1, v8
	ds_write_b64 v10, v[2:3]
	v_or_b32_e32 v2, v8, v9
	v_or_b32_e32 v9, 16, v45
	v_lshlrev_b32_e32 v23, 2, v9
	v_or_b32_e32 v10, v6, v23
	ds_write_b64 v2, v[4:5]
	v_perm_b32 v3, v69, v68, s2
	v_perm_b32 v2, v67, v66, s2
	;; [unrolled: 1-line block ×4, first 2 shown]
	v_lshlrev_b32_e32 v10, 1, v10
	v_lshlrev_b32_e32 v9, 8, v9
	ds_write2st64_b64 v10, v[2:3], v[4:5] offset0:32 offset1:48
	v_or_b32_e32 v10, v7, v9
	ds_write_b64 v10, v[2:3]
	v_or_b32_e32 v2, v8, v9
	v_or_b32_e32 v9, 32, v45
	v_lshlrev_b32_e32 v22, 2, v9
	v_or_b32_e32 v10, v6, v22
	s_lshl_b64 s[24:25], s[0:1], 8
	ds_write_b64 v2, v[4:5]
	v_perm_b32 v3, v61, v60, s2
	v_perm_b32 v2, v59, v58, s2
	;; [unrolled: 1-line block ×4, first 2 shown]
	v_lshlrev_b32_e32 v10, 1, v10
	v_lshlrev_b32_e32 v9, 8, v9
	s_add_u32 s0, s6, s24
	ds_write2st64_b64 v10, v[2:3], v[4:5] offset0:32 offset1:48
	v_or_b32_e32 v10, v7, v9
	s_addc_u32 s1, s7, s25
	ds_write_b64 v10, v[2:3]
	v_or_b32_e32 v2, v8, v9
	v_or_b32_e32 v9, 48, v45
	s_mul_hi_i32 s6, s3, s13
	s_mul_i32 s3, s3, s13
	ds_write_b64 v2, v[4:5]
	v_perm_b32 v3, v47, v46, s2
	v_perm_b32 v2, v53, v52, s2
	;; [unrolled: 1-line block ×4, first 2 shown]
	v_lshlrev_b32_e32 v19, 2, v9
	s_add_u32 s2, s3, s33
	v_or_b32_e32 v6, v6, v19
	s_addc_u32 s3, s6, s14
	v_lshlrev_b32_e32 v6, 1, v6
	s_ashr_i32 s31, s30, 31
	s_lshl_b64 s[2:3], s[2:3], 15
	ds_write2st64_b64 v6, v[2:3], v[4:5] offset0:32 offset1:48
	v_lshlrev_b32_e32 v6, 8, v9
	s_add_u32 s6, s36, s2
	v_or_b32_e32 v7, v7, v6
	s_addc_u32 s7, s37, s3
	s_lshl_b64 s[2:3], s[30:31], 8
	ds_write_b64 v7, v[2:3]
	v_or_b32_e32 v2, v8, v6
	s_add_u32 s2, s6, s2
	v_lshlrev_b32_e32 v3, 1, v45
	ds_write_b64 v2, v[4:5]
	v_lshrrev_b32_e32 v2, 4, v0
	s_addc_u32 s3, s7, s3
	v_or_b32_e32 v4, 1, v3
	v_lshlrev_b32_e32 v10, 4, v45
	v_mov_b32_e32 v11, 0
	v_xor_b32_e32 v3, v2, v3
	v_xor_b32_e32 v6, v4, v2
	v_lshl_add_u64 v[12:13], s[2:3], 0, v[10:11]
	v_lshlrev_b32_e32 v10, 8, v2
	v_lshl_or_b32 v16, v3, 3, v10
	v_lshl_or_b32 v17, v6, 3, v10
	s_waitcnt lgkmcnt(0)
	s_barrier
	ds_read2st64_b64 v[2:5], v16 offset1:8
	ds_read2st64_b64 v[6:9], v17 offset1:8
	v_lshl_add_u64 v[14:15], v[12:13], 0, v[10:11]
	s_movk_i32 s2, 0x2000
	s_cmp_lg_u32 s41, 64
	s_waitcnt lgkmcnt(1)
	v_mov_b32_e32 v10, v2
	v_mov_b32_e32 v11, v3
	s_waitcnt lgkmcnt(0)
	v_mov_b32_e32 v12, v6
	v_mov_b32_e32 v13, v7
	global_store_dwordx4 v[14:15], v[10:13], off
	v_mov_b32_e32 v6, v4
	v_mov_b32_e32 v7, v5
	ds_read2st64_b64 v[2:5], v16 offset0:16 offset1:24
	ds_read2st64_b64 v[10:13], v17 offset0:16 offset1:24
	v_add_co_u32_e32 v16, vcc, s2, v14
	s_cselect_b64 s[6:7], -1, 0
	s_nop 0
	v_addc_co_u32_e32 v17, vcc, 0, v15, vcc
	global_store_dwordx4 v[16:17], v[6:9], off offset:-4096
	v_lshl_or_b32 v25, v85, 3, v88
	s_mov_b32 s20, 0
	s_waitcnt lgkmcnt(1)
	v_mov_b32_e32 v6, v2
	v_add_co_u32_e32 v2, vcc, 0x3000, v14
	v_mov_b32_e32 v7, v3
	s_nop 0
	v_addc_co_u32_e32 v3, vcc, 0, v15, vcc
	s_waitcnt lgkmcnt(0)
	v_mov_b32_e32 v8, v10
	v_mov_b32_e32 v9, v11
	;; [unrolled: 1-line block ×4, first 2 shown]
	v_or_b32_e32 v20, 32, v25
	v_and_b32_e32 v18, 56, v87
	s_and_b64 vcc, exec, s[6:7]
	global_store_dwordx4 v[16:17], v[6:9], off
	global_store_dwordx4 v[2:3], v[10:13], off
	s_cbranch_vccz .LBB16_29
; %bb.24:
	s_mov_b32 s21, s20
	s_mov_b32 s22, s20
	s_mov_b32 s23, s20
	v_mov_b64_e32 v[6:7], s[20:21]
	v_mov_b64_e32 v[8:9], s[22:23]
	;; [unrolled: 1-line block ×3, first 2 shown]
	v_cmp_gt_i32_e32 vcc, s41, v25
	v_mov_b64_e32 v[4:5], v[8:9]
	s_and_saveexec_b64 s[2:3], vcc
	s_cbranch_execz .LBB16_26
; %bb.25:
	v_lshlrev_b32_e32 v2, 8, v25
	v_mov_b32_e32 v3, 0
	v_lshl_add_u64 v[4:5], s[0:1], 0, v[2:3]
	v_lshlrev_b32_e32 v2, 1, v18
	v_lshl_add_u64 v[10:11], v[4:5], 0, v[2:3]
	global_load_dwordx4 v[6:9], v[10:11], off
	global_load_dwordx4 v[2:5], v[10:11], off offset:128
.LBB16_26:
	s_or_b64 exec, exec, s[2:3]
	s_mov_b32 s21, s20
	s_mov_b32 s22, s20
	;; [unrolled: 1-line block ×3, first 2 shown]
	v_mov_b64_e32 v[14:15], s[20:21]
	v_mov_b64_e32 v[16:17], s[22:23]
	;; [unrolled: 1-line block ×3, first 2 shown]
	v_cmp_gt_i32_e32 vcc, s41, v20
	v_lshlrev_b32_e32 v21, 7, v20
	v_mov_b64_e32 v[12:13], v[16:17]
	s_and_saveexec_b64 s[2:3], vcc
	s_cbranch_execz .LBB16_28
; %bb.27:
	v_lshlrev_b32_e32 v10, 1, v21
	v_mov_b32_e32 v11, 0
	v_lshl_add_u64 v[12:13], s[0:1], 0, v[10:11]
	v_lshlrev_b32_e32 v10, 1, v18
	v_lshl_add_u64 v[26:27], v[12:13], 0, v[10:11]
	global_load_dwordx4 v[14:17], v[26:27], off
	global_load_dwordx4 v[10:13], v[26:27], off offset:128
.LBB16_28:
	s_or_b64 exec, exec, s[2:3]
	v_lshrrev_b32_e32 v26, 3, v18
	v_lshlrev_b32_e32 v27, 3, v25
	v_or_b32_e32 v26, v27, v26
	v_lshlrev_b32_e32 v26, 4, v26
	v_and_b32_e32 v27, 0x78, v27
	v_xor_b32_e32 v26, v26, v27
	s_branch .LBB16_31
.LBB16_29:
                                        ; implicit-def: $vgpr26
                                        ; implicit-def: $vgpr21
                                        ; implicit-def: $vgpr6_vgpr7_vgpr8_vgpr9
                                        ; implicit-def: $vgpr2_vgpr3_vgpr4_vgpr5
                                        ; implicit-def: $vgpr14_vgpr15_vgpr16_vgpr17
                                        ; implicit-def: $vgpr10_vgpr11_vgpr12_vgpr13
	s_cbranch_execz .LBB16_31
; %bb.30:
	s_waitcnt vmcnt(0)
	v_lshlrev_b32_e32 v2, 1, v18
	v_lshl_or_b32 v21, v25, 8, v2
	s_and_b32 s1, s1, 0xffff
	s_mov_b32 s3, 0x20000
	s_movk_i32 s2, 0x4000
	v_lshl_or_b32 v26, v20, 8, v2
	s_movk_i32 s13, 0x80
	buffer_load_dwordx4 v[6:9], v21, s[0:3], 0 offen
	buffer_load_dwordx4 v[2:5], v21, s[0:3], s13 offen
	;; [unrolled: 1-line block ×4, first 2 shown]
	v_lshrrev_b32_e32 v21, 3, v18
	v_lshlrev_b32_e32 v26, 3, v25
	v_or_b32_e32 v21, v26, v21
	v_lshlrev_b32_e32 v21, 4, v21
	v_and_b32_e32 v26, 0x78, v26
	v_xor_b32_e32 v26, v21, v26
	v_lshlrev_b32_e32 v21, 7, v20
.LBB16_31:
	s_movk_i32 s0, 0x1000
	v_and_or_b32 v20, v21, s0, v26
	s_waitcnt vmcnt(1)
	ds_write_b64 v26, v[6:7] offset:49152
	v_xor_b32_e32 v6, 8, v26
	ds_write_b64 v6, v[8:9] offset:49152
	s_waitcnt vmcnt(0)
	ds_write_b64 v26, v[2:3] offset:57344
	ds_write_b64 v6, v[4:5] offset:57344
	;; [unrolled: 1-line block ×3, first 2 shown]
	v_xor_b32_e32 v2, 8, v20
	ds_write_b64 v2, v[16:17] offset:49152
	ds_write_b64 v20, v[10:11] offset:57344
	;; [unrolled: 1-line block ×3, first 2 shown]
	v_or_b32_e32 v2, v1, v45
	v_lshlrev_b32_e32 v3, 11, v85
	v_lshlrev_b32_e32 v2, 3, v2
	v_and_b32_e32 v6, 0x1000, v3
	v_lshrrev_b32_e32 v3, 5, v84
	s_movk_i32 s0, 0xf8
	v_and_or_b32 v3, v2, s0, v3
	v_lshlrev_b32_e32 v7, 4, v3
	v_and_b32_e32 v8, 0x78, v2
	v_or_b32_e32 v10, 32, v7
	v_lshrrev_b32_e32 v3, 1, v84
	v_xor_b32_e32 v10, v10, v8
	v_xor_b32_e32 v2, v7, v8
	v_and_b32_e32 v9, 8, v3
	v_or_b32_e32 v10, v10, v6
	v_or_b32_e32 v2, v2, v6
	v_xor_b32_e32 v28, v10, v9
	v_or_b32_e32 v10, 64, v7
	v_xor_b32_e32 v27, v2, v9
	v_xor_b32_e32 v10, v10, v8
	s_waitcnt lgkmcnt(0)
	s_barrier
	v_or_b32_e32 v13, v10, v6
	ds_read_b64 v[10:11], v27 offset:49152
	v_lshl_or_b32 v14, v86, 8, v24
	v_lshlrev_b32_e32 v26, 1, v14
	v_add_u32_e32 v12, 0x4000, v26
	ds_read2_b64 v[2:5], v12 offset1:16
	v_or_b32_e32 v7, 0x60, v7
	v_xor_b32_e32 v7, v7, v8
	v_or_b32_e32 v6, v7, v6
	v_xor_b32_e32 v29, v13, v9
	v_xor_b32_e32 v30, v6, v9
	ds_read_b64 v[20:21], v28 offset:49152
	ds_read_b64 v[34:35], v29 offset:49152
	;; [unrolled: 1-line block ×3, first 2 shown]
	s_waitcnt lgkmcnt(3)
	v_mfma_f32_16x16x16_bf16 a[0:3], v[10:11], v[2:3], 0
	ds_read2_b64 v[6:9], v12 offset0:32 offset1:48
	s_lshl_b64 s[0:1], s[38:39], 8
	s_add_u32 s4, s4, s0
	v_mfma_f32_16x16x16_bf16 a[4:7], v[10:11], v[4:5], 0
	ds_read2st64_b64 v[2:5], v26 offset0:36 offset1:40
	s_addc_u32 s5, s5, s1
	s_add_i32 s2, s12, -1
	s_waitcnt lgkmcnt(1)
	v_mfma_f32_16x16x16_bf16 a[8:11], v[10:11], v[6:7], 0
	v_or_b32_e32 v6, 64, v14
	v_lshlrev_b32_e32 v31, 1, v6
	s_add_i32 s0, s44, s17
	s_waitcnt lgkmcnt(0)
	v_mfma_f32_16x16x16_bf16 a[0:3], v[20:21], v[2:3], a[0:3]
	v_or_b32_e32 v2, 0x80, v14
	v_lshlrev_b32_e32 v32, 1, v2
	v_or_b32_e32 v2, 0xc0, v14
	v_mfma_f32_16x16x16_bf16 a[12:15], v[10:11], v[8:9], 0
	ds_read2st64_b64 v[6:9], v31 offset0:36 offset1:40
	v_lshlrev_b32_e32 v33, 1, v2
	ds_read2st64_b64 v[10:13], v32 offset0:36 offset1:40
	ds_read2st64_b64 v[14:17], v33 offset0:36 offset1:40
	s_mul_i32 s35, s35, s16
	s_add_i32 s35, s0, s35
	s_mul_i32 s0, s33, s19
	s_mul_hi_u32 s1, s33, s18
	s_ashr_i32 s3, s2, 31
	s_mul_i32 s12, s2, s29
	s_mul_hi_u32 s13, s2, s28
	s_waitcnt lgkmcnt(2)
	v_mfma_f32_16x16x16_bf16 a[4:7], v[20:21], v[6:7], a[4:7]
	s_add_i32 s0, s1, s0
	s_mul_i32 s1, s14, s18
	s_add_i32 s12, s13, s12
	s_mul_i32 s3, s3, s28
	s_waitcnt lgkmcnt(1)
	v_mfma_f32_16x16x16_bf16 a[8:11], v[20:21], v[10:11], a[8:11]
	s_add_i32 s1, s0, s1
	s_add_i32 s3, s12, s3
	s_lshl_b64 s[12:13], s[34:35], 2
	s_waitcnt lgkmcnt(0)
	v_mfma_f32_16x16x16_bf16 a[12:15], v[20:21], v[14:15], a[12:15]
	s_mul_i32 s0, s33, s18
	s_add_u32 s10, s10, s12
	s_addc_u32 s11, s11, s13
	s_lshl_b64 s[0:1], s[0:1], 2
	v_mfma_f32_16x16x16_bf16 a[0:3], v[34:35], v[4:5], a[0:3]
	s_mul_i32 s2, s2, s28
	ds_read_b64 v[2:3], v26 offset:22528
	s_add_u32 s10, s10, s0
	v_mfma_f32_16x16x16_bf16 a[4:7], v[34:35], v[8:9], a[4:7]
	ds_read_b64 v[4:5], v31 offset:22528
	ds_read_b64 v[6:7], v32 offset:22528
	;; [unrolled: 1-line block ×3, first 2 shown]
	s_addc_u32 s11, s11, s1
	s_lshl_b64 s[0:1], s[2:3], 2
	v_mfma_f32_16x16x16_bf16 a[8:11], v[34:35], v[12:13], a[8:11]
	s_add_u32 s0, s10, s0
	s_addc_u32 s1, s11, s1
	s_load_dword s12, s[0:1], 0x0
	v_mfma_f32_16x16x16_bf16 a[12:15], v[34:35], v[16:17], a[12:15]
	s_and_b64 vcc, exec, s[26:27]
	s_waitcnt lgkmcnt(0)
	v_mfma_f32_16x16x16_bf16 a[0:3], v[36:37], v[2:3], a[0:3]
	v_mfma_f32_16x16x16_bf16 a[4:7], v[36:37], v[4:5], a[4:7]
	;; [unrolled: 1-line block ×4, first 2 shown]
	s_cbranch_vccz .LBB16_42
; %bb.32:
	v_lshlrev_b32_e32 v20, 1, v25
	s_and_b64 vcc, exec, s[6:7]
	s_cbranch_vccz .LBB16_43
; %bb.33:
	v_cmp_gt_i32_e32 vcc, s41, v20
	v_mov_b32_e32 v6, 0
	v_mov_b32_e32 v2, 0
	;; [unrolled: 1-line block ×5, first 2 shown]
	s_and_saveexec_b64 s[0:1], vcc
	s_cbranch_execz .LBB16_35
; %bb.34:
	v_mad_i64_i32 v[2:3], s[2:3], s15, v20, 0
	v_lshl_add_u64 v[2:3], v[2:3], 1, s[4:5]
	v_lshlrev_b32_e32 v4, 1, v18
	v_mov_b32_e32 v5, 0
	v_lshl_add_u64 v[2:3], v[2:3], 0, v[4:5]
	global_load_dwordx4 v[2:5], v[2:3], off
.LBB16_35:
	s_or_b64 exec, exec, s[0:1]
	v_or_b32_e32 v21, 1, v20
	v_cmp_gt_i32_e64 s[0:1], s41, v21
	v_mov_b32_e32 v7, 0
	v_mov_b32_e32 v8, 0
	;; [unrolled: 1-line block ×3, first 2 shown]
	s_and_saveexec_b64 s[2:3], s[0:1]
	s_cbranch_execz .LBB16_37
; %bb.36:
	v_mad_i64_i32 v[6:7], s[16:17], s15, v21, 0
	v_lshl_add_u64 v[6:7], v[6:7], 1, s[4:5]
	v_lshlrev_b32_e32 v8, 1, v18
	v_mov_b32_e32 v9, 0
	v_lshl_add_u64 v[6:7], v[6:7], 0, v[8:9]
	global_load_dwordx4 v[6:9], v[6:7], off
.LBB16_37:
	s_or_b64 exec, exec, s[2:3]
	v_mov_b32_e32 v17, 0
	v_mov_b32_e32 v10, 0
	;; [unrolled: 1-line block ×5, first 2 shown]
	s_and_saveexec_b64 s[2:3], vcc
	s_cbranch_execz .LBB16_39
; %bb.38:
	v_mad_i64_i32 v[10:11], s[16:17], s15, v20, 0
	v_lshl_add_u64 v[10:11], v[10:11], 1, s[4:5]
	v_lshlrev_b32_e32 v12, 1, v18
	v_mov_b32_e32 v13, 0
	v_lshl_add_u64 v[10:11], v[10:11], 0, v[12:13]
	global_load_dwordx4 v[10:13], v[10:11], off offset:128
.LBB16_39:
	s_or_b64 exec, exec, s[2:3]
	v_mov_b32_e32 v16, 0
	v_mov_b32_e32 v15, 0
	;; [unrolled: 1-line block ×3, first 2 shown]
	s_and_saveexec_b64 s[2:3], s[0:1]
	s_cbranch_execz .LBB16_41
; %bb.40:
	v_mad_i64_i32 v[14:15], s[0:1], s15, v21, 0
	v_lshl_add_u64 v[14:15], v[14:15], 1, s[4:5]
	v_lshlrev_b32_e32 v16, 1, v18
	v_mov_b32_e32 v17, 0
	v_lshl_add_u64 v[14:15], v[14:15], 0, v[16:17]
	global_load_dwordx4 v[14:17], v[14:15], off offset:128
.LBB16_41:
	s_or_b64 exec, exec, s[2:3]
	s_branch .LBB16_45
.LBB16_42:
                                        ; implicit-def: $vgpr5
                                        ; implicit-def: $vgpr9
                                        ; implicit-def: $vgpr13
                                        ; implicit-def: $vgpr17
	v_lshrrev_b32_e32 v34, 2, v84
	s_branch .LBB16_46
.LBB16_43:
                                        ; implicit-def: $vgpr5
                                        ; implicit-def: $vgpr9
                                        ; implicit-def: $vgpr13
                                        ; implicit-def: $vgpr17
	s_cbranch_execz .LBB16_45
; %bb.44:
	s_waitcnt vmcnt(0)
	v_mad_u64_u32 v[2:3], s[0:1], v20, s15, v[18:19]
	v_lshlrev_b32_e32 v20, 1, v2
	s_lshl_b32 s2, s15, 7
	s_and_b32 s1, s5, 0xffff
	s_mov_b32 s3, 0x20000
	s_mov_b32 s0, s4
	v_add_lshl_u32 v21, v2, s15, 1
	s_movk_i32 s13, 0x80
	buffer_load_dwordx4 v[2:5], v20, s[0:3], 0 offen
	buffer_load_dwordx4 v[10:13], v20, s[0:3], s13 offen
	buffer_load_dwordx4 v[6:9], v21, s[0:3], 0 offen
	buffer_load_dwordx4 v[14:17], v21, s[0:3], s13 offen
.LBB16_45:
	v_lshrrev_b32_e32 v34, 2, v84
	s_cbranch_execnz .LBB16_58
.LBB16_46:
	s_and_b64 vcc, exec, s[6:7]
	s_cbranch_vccz .LBB16_56
; %bb.47:
	s_waitcnt vmcnt(0)
	v_lshlrev_b32_e32 v7, 1, v25
	v_cmp_gt_i32_e32 vcc, s41, v7
	v_mov_b32_e32 v6, 0
	v_lshlrev_b32_e32 v14, 9, v25
	v_mov_b32_e32 v2, 0
	v_mov_b32_e32 v3, 0
	;; [unrolled: 1-line block ×4, first 2 shown]
	s_and_saveexec_b64 s[0:1], vcc
	s_cbranch_execz .LBB16_49
; %bb.48:
	v_mov_b32_e32 v15, 0
	v_lshl_add_u64 v[2:3], s[4:5], 0, v[14:15]
	v_lshlrev_b32_e32 v4, 1, v18
	v_mov_b32_e32 v5, v15
	v_lshl_add_u64 v[2:3], v[2:3], 0, v[4:5]
	global_load_dwordx4 v[2:5], v[2:3], off
.LBB16_49:
	s_or_b64 exec, exec, s[0:1]
	v_or_b32_e32 v7, 1, v7
	v_cmp_gt_i32_e64 s[0:1], s41, v7
	v_lshlrev_b32_e32 v20, 8, v7
	v_mov_b32_e32 v7, 0
	v_mov_b32_e32 v8, 0
	;; [unrolled: 1-line block ×3, first 2 shown]
	s_and_saveexec_b64 s[2:3], s[0:1]
	s_cbranch_execz .LBB16_51
; %bb.50:
	v_mov_b32_e32 v21, 0
	v_lshl_add_u64 v[6:7], s[4:5], 0, v[20:21]
	v_lshlrev_b32_e32 v8, 1, v18
	v_mov_b32_e32 v9, v21
	v_lshl_add_u64 v[6:7], v[6:7], 0, v[8:9]
	global_load_dwordx4 v[6:9], v[6:7], off
.LBB16_51:
	s_or_b64 exec, exec, s[2:3]
	v_mov_b32_e32 v17, 0
	v_mov_b32_e32 v10, 0
	v_mov_b32_e32 v11, 0
	v_mov_b32_e32 v12, 0
	v_mov_b32_e32 v13, 0
	s_and_saveexec_b64 s[2:3], vcc
	s_cbranch_execz .LBB16_53
; %bb.52:
	v_mov_b32_e32 v15, 0
	v_lshl_add_u64 v[10:11], s[4:5], 0, v[14:15]
	v_lshlrev_b32_e32 v14, 1, v18
	v_lshl_add_u64 v[10:11], v[10:11], 0, v[14:15]
	global_load_dwordx4 v[10:13], v[10:11], off offset:128
.LBB16_53:
	s_or_b64 exec, exec, s[2:3]
	v_mov_b32_e32 v16, 0
	v_mov_b32_e32 v15, 0
	;; [unrolled: 1-line block ×3, first 2 shown]
	s_and_saveexec_b64 s[2:3], s[0:1]
	s_cbranch_execz .LBB16_55
; %bb.54:
	v_mov_b32_e32 v21, 0
	v_lshl_add_u64 v[14:15], s[4:5], 0, v[20:21]
	v_lshlrev_b32_e32 v20, 1, v18
	v_lshl_add_u64 v[14:15], v[14:15], 0, v[20:21]
	global_load_dwordx4 v[14:17], v[14:15], off offset:128
.LBB16_55:
	s_or_b64 exec, exec, s[2:3]
	s_branch .LBB16_58
.LBB16_56:
                                        ; implicit-def: $vgpr5
                                        ; implicit-def: $vgpr9
                                        ; implicit-def: $vgpr13
                                        ; implicit-def: $vgpr17
	s_cbranch_execz .LBB16_58
; %bb.57:
	s_waitcnt vmcnt(0)
	v_lshlrev_b32_e32 v2, 1, v18
	v_lshl_or_b32 v18, v25, 9, v2
	s_and_b32 s5, s5, 0xffff
	s_mov_b32 s7, 0x20000
	s_movk_i32 s6, 0x4000
	s_movk_i32 s0, 0x80
	buffer_load_dwordx4 v[2:5], v18, s[4:7], 0 offen
	buffer_load_dwordx4 v[6:9], v18, s[4:7], 0 offen offset:256
	buffer_load_dwordx4 v[10:13], v18, s[4:7], s0 offen
	buffer_load_dwordx4 v[14:17], v18, s[4:7], s0 offen offset:256
.LBB16_58:
	ds_read_b64 v[20:21], v27 offset:57344
	v_add_u32_e32 v18, 0x6000, v26
	ds_read2_b64 v[36:39], v18 offset1:16
	ds_read_b64 v[54:55], v28 offset:57344
	ds_read_b64 v[28:29], v29 offset:57344
	;; [unrolled: 1-line block ×3, first 2 shown]
	ds_read2st64_b64 v[40:43], v26 offset0:52 offset1:56
	s_mov_b32 s0, 0x1000504
	s_mov_b32 s1, 0x3020706
	s_waitcnt lgkmcnt(4)
	v_mfma_f32_16x16x16_bf16 a[0:3], v[20:21], v[36:37], a[0:3]
	v_mfma_f32_16x16x16_bf16 a[4:7], v[20:21], v[38:39], a[4:7]
	ds_read2_b64 v[36:39], v18 offset0:32 offset1:48
	v_and_b32_e32 v18, 6, v0
	v_xor_b32_e32 v25, v25, v18
	s_waitcnt lgkmcnt(0)
	v_mfma_f32_16x16x16_bf16 a[8:11], v[20:21], v[36:37], a[8:11]
	v_lshlrev_b32_e32 v25, 2, v25
	v_and_b32_e32 v0, 1, v0
	v_xor_b32_e32 v35, 0x440, v25
	v_mfma_f32_16x16x16_bf16 a[12:15], v[20:21], v[38:39], a[12:15]
	ds_read2st64_b64 v[36:39], v31 offset0:52 offset1:56
	ds_read2st64_b64 v[46:49], v32 offset0:52 offset1:56
	;; [unrolled: 1-line block ×3, first 2 shown]
	v_cmp_eq_u32_e32 vcc, 0, v0
	ds_read_b64 v[20:21], v26 offset:30720
	ds_read_b64 v[26:27], v31 offset:30720
	;; [unrolled: 1-line block ×4, first 2 shown]
	v_mfma_f32_16x16x16_bf16 a[0:3], v[54:55], v[40:41], a[0:3]
	v_cndmask_b32_e32 v0, v35, v25, vcc
	v_lshl_or_b32 v0, v18, 10, v0
	s_waitcnt vmcnt(0)
	v_perm_b32 v18, v2, v6, s0
	s_waitcnt lgkmcnt(6)
	v_mfma_f32_16x16x16_bf16 a[4:7], v[54:55], v[36:37], a[4:7]
	v_perm_b32 v25, v10, v14, s0
	ds_write2st64_b32 v0, v18, v25 offset0:128 offset1:160
	v_xor_b32_e32 v18, 8, v0
	s_waitcnt lgkmcnt(6)
	v_mfma_f32_16x16x16_bf16 a[8:11], v[54:55], v[46:47], a[8:11]
	v_perm_b32 v2, v2, v6, s1
	v_perm_b32 v6, v10, v14, s1
	v_add_u32_e32 v10, 0x80, v18
	s_waitcnt lgkmcnt(5)
	v_mfma_f32_16x16x16_bf16 a[12:15], v[54:55], v[50:51], a[12:15]
	ds_write2st64_b32 v10, v2, v6 offset0:128 offset1:160
	v_xor_b32_e32 v2, 16, v0
	v_perm_b32 v6, v3, v7, s0
	v_mfma_f32_16x16x16_bf16 a[0:3], v[28:29], v[42:43], a[0:3]
	v_perm_b32 v10, v11, v15, s0
	ds_write2st64_b32 v2, v6, v10 offset0:129 offset1:161
	v_xor_b32_e32 v2, 24, v0
	v_mfma_f32_16x16x16_bf16 a[4:7], v[28:29], v[38:39], a[4:7]
	v_perm_b32 v3, v3, v7, s1
	v_perm_b32 v6, v11, v15, s1
	v_add_u32_e32 v2, 0x80, v2
	v_mfma_f32_16x16x16_bf16 a[16:19], v[28:29], v[48:49], a[8:11]
	ds_write2st64_b32 v2, v3, v6 offset0:129 offset1:161
	v_xor_b32_e32 v2, 32, v0
	v_perm_b32 v3, v4, v8, s0
	v_mfma_f32_16x16x16_bf16 a[20:23], v[28:29], v[52:53], a[12:15]
	v_perm_b32 v6, v12, v16, s0
	ds_write2st64_b32 v2, v3, v6 offset0:130 offset1:162
	v_xor_b32_e32 v2, 40, v0
	s_waitcnt lgkmcnt(8)
	v_mfma_f32_16x16x16_bf16 a[12:15], v[56:57], v[20:21], a[0:3]
	v_perm_b32 v3, v4, v8, s1
	v_perm_b32 v4, v12, v16, s1
	v_add_u32_e32 v2, 0x80, v2
	s_waitcnt lgkmcnt(7)
	v_mfma_f32_16x16x16_bf16 a[8:11], v[56:57], v[26:27], a[4:7]
	ds_write2st64_b32 v2, v3, v4 offset0:130 offset1:162
	v_xor_b32_e32 v2, 48, v0
	v_perm_b32 v3, v5, v9, s0
	s_waitcnt lgkmcnt(7)
	v_mfma_f32_16x16x16_bf16 a[4:7], v[56:57], v[30:31], a[16:19]
	v_perm_b32 v4, v13, v17, s0
	v_xor_b32_e32 v0, 56, v0
	v_and_or_b32 v18, v34, 12, v1
	s_waitcnt lgkmcnt(6)
	v_mfma_f32_16x16x16_bf16 a[0:3], v[56:57], v[32:33], a[20:23]
	ds_write2st64_b32 v2, v3, v4 offset0:131 offset1:163
	v_perm_b32 v2, v5, v9, s1
	v_perm_b32 v3, v13, v17, s1
	v_add_u32_e32 v0, 0x80, v0
	v_cmp_gt_i32_e32 vcc, s41, v18
	v_mov_b32_e32 v14, 0
	v_mov_b32_e32 v16, 0
	ds_write2st64_b32 v0, v2, v3 offset0:131 offset1:163
	s_and_saveexec_b64 s[0:1], vcc
	s_cbranch_execz .LBB16_60
; %bb.59:
	v_add_u32_e32 v0, s40, v18
	v_ashrrev_i32_e32 v1, 31, v0
	v_mul_lo_u32 v2, v1, s28
	v_mul_lo_u32 v3, v0, s29
	v_mad_u64_u32 v[0:1], s[2:3], v0, s28, 0
	v_add3_u32 v1, v1, v3, v2
	v_lshl_add_u64 v[0:1], v[0:1], 2, s[10:11]
	global_load_dword v0, v[0:1], off
	s_waitcnt vmcnt(0)
	v_sub_f32_e32 v0, s12, v0
	v_exp_f32_e32 v16, v0
.LBB16_60:
	s_or_b64 exec, exec, s[0:1]
	v_or_b32_e32 v8, 1, v18
	v_cmp_gt_i32_e64 s[0:1], s41, v8
	s_and_saveexec_b64 s[2:3], s[0:1]
	s_cbranch_execz .LBB16_62
; %bb.61:
	v_add_u32_e32 v0, s40, v8
	v_ashrrev_i32_e32 v1, 31, v0
	v_mul_lo_u32 v2, v1, s28
	v_mul_lo_u32 v3, v0, s29
	v_mad_u64_u32 v[0:1], s[4:5], v0, s28, 0
	v_add3_u32 v1, v1, v3, v2
	v_lshl_add_u64 v[0:1], v[0:1], 2, s[10:11]
	global_load_dword v0, v[0:1], off
	s_waitcnt vmcnt(0)
	v_sub_f32_e32 v0, s12, v0
	v_exp_f32_e32 v14, v0
.LBB16_62:
	s_or_b64 exec, exec, s[2:3]
	v_or_b32_e32 v10, 2, v18
	v_cmp_gt_i32_e64 s[2:3], s41, v10
	v_mov_b32_e32 v15, 0
	v_mov_b32_e32 v17, 0
	s_and_saveexec_b64 s[4:5], s[2:3]
	s_cbranch_execz .LBB16_64
; %bb.63:
	v_add_u32_e32 v0, s40, v10
	v_ashrrev_i32_e32 v1, 31, v0
	v_mul_lo_u32 v2, v1, s28
	v_mul_lo_u32 v3, v0, s29
	v_mad_u64_u32 v[0:1], s[6:7], v0, s28, 0
	v_add3_u32 v1, v1, v3, v2
	v_lshl_add_u64 v[0:1], v[0:1], 2, s[10:11]
	global_load_dword v0, v[0:1], off
	s_waitcnt vmcnt(0)
	v_sub_f32_e32 v0, s12, v0
	v_exp_f32_e32 v17, v0
.LBB16_64:
	s_or_b64 exec, exec, s[4:5]
	v_or_b32_e32 v12, 3, v18
	v_cmp_gt_i32_e64 s[4:5], s41, v12
	s_and_saveexec_b64 s[6:7], s[4:5]
	s_cbranch_execz .LBB16_66
; %bb.65:
	v_add_u32_e32 v0, s40, v12
	v_ashrrev_i32_e32 v1, 31, v0
	v_mul_lo_u32 v2, v1, s28
	v_mul_lo_u32 v3, v0, s29
	v_mad_u64_u32 v[0:1], s[14:15], v0, s28, 0
	v_add3_u32 v1, v1, v3, v2
	v_lshl_add_u64 v[0:1], v[0:1], 2, s[10:11]
	global_load_dword v0, v[0:1], off
	s_waitcnt vmcnt(0)
	v_sub_f32_e32 v0, s12, v0
	v_exp_f32_e32 v15, v0
.LBB16_66:
	s_or_b64 exec, exec, s[6:7]
	v_or_b32_e32 v4, s30, v45
	s_add_u32 s6, s8, s24
	v_accvgpr_read_b32 v0, a12
	s_addc_u32 s7, s9, s25
	v_ashrrev_i32_e32 v5, 31, v4
	v_accvgpr_read_b32 v1, a13
	v_accvgpr_read_b32 v2, a14
	;; [unrolled: 1-line block ×3, first 2 shown]
	v_lshl_add_u64 v[4:5], v[4:5], 1, s[6:7]
	v_mov_b32_e32 v9, 0
	v_lshlrev_b32_e32 v6, 8, v18
	v_mov_b32_e32 v7, 0
	s_and_saveexec_b64 s[6:7], vcc
	s_cbranch_execz .LBB16_68
; %bb.67:
	v_mov_b32_e32 v7, 0
	v_lshl_add_u64 v[20:21], v[4:5], 0, v[6:7]
	global_load_ushort v7, v[20:21], off
	s_waitcnt vmcnt(0)
	v_lshlrev_b32_e32 v7, 16, v7
	v_sub_f32_e32 v0, v7, v0
	v_mul_f32_e32 v0, v16, v0
	v_lshrrev_b32_e32 v7, 16, v0
.LBB16_68:
	s_or_b64 exec, exec, s[6:7]
	v_lshlrev_b32_e32 v8, 8, v8
	s_and_saveexec_b64 s[6:7], s[0:1]
	s_cbranch_execz .LBB16_70
; %bb.69:
	v_mov_b32_e32 v9, 0
	v_lshl_add_u64 v[20:21], v[4:5], 0, v[8:9]
	global_load_ushort v0, v[20:21], off
	s_waitcnt vmcnt(0)
	v_lshlrev_b32_e32 v0, 16, v0
	v_sub_f32_e32 v0, v0, v1
	v_mul_f32_e32 v0, v14, v0
	v_lshrrev_b32_e32 v9, 16, v0
.LBB16_70:
	s_or_b64 exec, exec, s[6:7]
	v_mov_b32_e32 v13, 0
	v_lshlrev_b32_e32 v10, 8, v10
	v_mov_b32_e32 v11, 0
	s_and_saveexec_b64 s[6:7], s[2:3]
	s_cbranch_execz .LBB16_72
; %bb.71:
	v_mov_b32_e32 v11, 0
	v_lshl_add_u64 v[0:1], v[4:5], 0, v[10:11]
	global_load_ushort v0, v[0:1], off
	s_waitcnt vmcnt(0)
	v_lshlrev_b32_e32 v0, 16, v0
	v_sub_f32_e32 v0, v0, v2
	v_mul_f32_e32 v0, v17, v0
	v_lshrrev_b32_e32 v11, 16, v0
.LBB16_72:
	s_or_b64 exec, exec, s[6:7]
	v_lshlrev_b32_e32 v12, 8, v12
	s_and_saveexec_b64 s[6:7], s[4:5]
	s_cbranch_execz .LBB16_74
; %bb.73:
	v_mov_b32_e32 v13, 0
	v_lshl_add_u64 v[0:1], v[4:5], 0, v[12:13]
	global_load_ushort v0, v[0:1], off
	s_waitcnt vmcnt(0)
	v_lshlrev_b32_e32 v0, 16, v0
	v_sub_f32_e32 v0, v0, v3
	v_mul_f32_e32 v0, v15, v0
	v_lshrrev_b32_e32 v13, 16, v0
.LBB16_74:
	s_or_b64 exec, exec, s[6:7]
	v_lshlrev_b32_e32 v18, 6, v18
	s_mov_b32 s6, 0x5040100
	v_perm_b32 v20, v9, v7, s6
	v_or_b32_e32 v7, v18, v24
	v_accvgpr_read_b32 v0, a8
	v_perm_b32 v21, v13, v11, s6
	v_lshlrev_b32_e32 v7, 1, v7
	v_accvgpr_read_b32 v1, a9
	v_accvgpr_read_b32 v2, a10
	;; [unrolled: 1-line block ×3, first 2 shown]
	ds_write_b64 v7, v[20:21] offset:24576
	v_mov_b32_e32 v9, 0
	v_mov_b32_e32 v7, 0
	s_and_saveexec_b64 s[6:7], vcc
	s_cbranch_execz .LBB16_76
; %bb.75:
	v_mov_b32_e32 v7, 0
	v_lshl_add_u64 v[20:21], v[4:5], 0, v[6:7]
	global_load_ushort v7, v[20:21], off offset:32
	s_waitcnt vmcnt(0)
	v_lshlrev_b32_e32 v7, 16, v7
	v_sub_f32_e32 v0, v7, v0
	v_mul_f32_e32 v0, v16, v0
	v_lshrrev_b32_e32 v7, 16, v0
.LBB16_76:
	s_or_b64 exec, exec, s[6:7]
	s_and_saveexec_b64 s[6:7], s[0:1]
	s_cbranch_execz .LBB16_78
; %bb.77:
	v_mov_b32_e32 v9, 0
	v_lshl_add_u64 v[20:21], v[4:5], 0, v[8:9]
	global_load_ushort v0, v[20:21], off offset:32
	s_waitcnt vmcnt(0)
	v_lshlrev_b32_e32 v0, 16, v0
	v_sub_f32_e32 v0, v0, v1
	v_mul_f32_e32 v0, v14, v0
	v_lshrrev_b32_e32 v9, 16, v0
.LBB16_78:
	s_or_b64 exec, exec, s[6:7]
	v_mov_b32_e32 v13, 0
	v_mov_b32_e32 v11, 0
	s_and_saveexec_b64 s[6:7], s[2:3]
	s_cbranch_execz .LBB16_80
; %bb.79:
	v_mov_b32_e32 v11, 0
	v_lshl_add_u64 v[0:1], v[4:5], 0, v[10:11]
	global_load_ushort v0, v[0:1], off offset:32
	s_waitcnt vmcnt(0)
	v_lshlrev_b32_e32 v0, 16, v0
	v_sub_f32_e32 v0, v0, v2
	v_mul_f32_e32 v0, v17, v0
	v_lshrrev_b32_e32 v11, 16, v0
.LBB16_80:
	s_or_b64 exec, exec, s[6:7]
	s_and_saveexec_b64 s[6:7], s[4:5]
	s_cbranch_execz .LBB16_82
; %bb.81:
	v_mov_b32_e32 v13, 0
	v_lshl_add_u64 v[0:1], v[4:5], 0, v[12:13]
	global_load_ushort v0, v[0:1], off offset:32
	s_waitcnt vmcnt(0)
	v_lshlrev_b32_e32 v0, 16, v0
	v_sub_f32_e32 v0, v0, v3
	v_mul_f32_e32 v0, v15, v0
	v_lshrrev_b32_e32 v13, 16, v0
.LBB16_82:
	s_or_b64 exec, exec, s[6:7]
	s_mov_b32 s6, 0x5040100
	v_perm_b32 v20, v9, v7, s6
	v_or_b32_e32 v7, v18, v23
	v_accvgpr_read_b32 v0, a4
	v_perm_b32 v21, v13, v11, s6
	v_lshlrev_b32_e32 v7, 1, v7
	v_accvgpr_read_b32 v1, a5
	v_accvgpr_read_b32 v2, a6
	;; [unrolled: 1-line block ×3, first 2 shown]
	ds_write_b64 v7, v[20:21] offset:24576
	v_mov_b32_e32 v9, 0
	v_mov_b32_e32 v7, 0
	s_and_saveexec_b64 s[6:7], vcc
	s_cbranch_execz .LBB16_84
; %bb.83:
	v_mov_b32_e32 v7, 0
	v_lshl_add_u64 v[20:21], v[4:5], 0, v[6:7]
	global_load_ushort v7, v[20:21], off offset:64
	s_waitcnt vmcnt(0)
	v_lshlrev_b32_e32 v7, 16, v7
	v_sub_f32_e32 v0, v7, v0
	v_mul_f32_e32 v0, v16, v0
	v_lshrrev_b32_e32 v7, 16, v0
.LBB16_84:
	s_or_b64 exec, exec, s[6:7]
	s_and_saveexec_b64 s[6:7], s[0:1]
	s_cbranch_execz .LBB16_86
; %bb.85:
	v_mov_b32_e32 v9, 0
	v_lshl_add_u64 v[20:21], v[4:5], 0, v[8:9]
	global_load_ushort v0, v[20:21], off offset:64
	s_waitcnt vmcnt(0)
	v_lshlrev_b32_e32 v0, 16, v0
	v_sub_f32_e32 v0, v0, v1
	v_mul_f32_e32 v0, v14, v0
	v_lshrrev_b32_e32 v9, 16, v0
.LBB16_86:
	s_or_b64 exec, exec, s[6:7]
	v_mov_b32_e32 v13, 0
	v_mov_b32_e32 v11, 0
	s_and_saveexec_b64 s[6:7], s[2:3]
	s_cbranch_execz .LBB16_88
; %bb.87:
	v_mov_b32_e32 v11, 0
	v_lshl_add_u64 v[0:1], v[4:5], 0, v[10:11]
	global_load_ushort v0, v[0:1], off offset:64
	s_waitcnt vmcnt(0)
	v_lshlrev_b32_e32 v0, 16, v0
	v_sub_f32_e32 v0, v0, v2
	v_mul_f32_e32 v0, v17, v0
	v_lshrrev_b32_e32 v11, 16, v0
.LBB16_88:
	s_or_b64 exec, exec, s[6:7]
	s_and_saveexec_b64 s[6:7], s[4:5]
	s_cbranch_execz .LBB16_90
; %bb.89:
	v_mov_b32_e32 v13, 0
	v_lshl_add_u64 v[0:1], v[4:5], 0, v[12:13]
	global_load_ushort v0, v[0:1], off offset:64
	s_waitcnt vmcnt(0)
	v_lshlrev_b32_e32 v0, 16, v0
	v_sub_f32_e32 v0, v0, v3
	v_mul_f32_e32 v0, v15, v0
	v_lshrrev_b32_e32 v13, 16, v0
.LBB16_90:
	s_or_b64 exec, exec, s[6:7]
	s_mov_b32 s6, 0x5040100
	v_perm_b32 v20, v9, v7, s6
	v_or_b32_e32 v7, v18, v22
	v_accvgpr_read_b32 v0, a0
	v_perm_b32 v21, v13, v11, s6
	v_lshlrev_b32_e32 v7, 1, v7
	v_accvgpr_read_b32 v1, a1
	v_accvgpr_read_b32 v2, a2
	;; [unrolled: 1-line block ×3, first 2 shown]
	ds_write_b64 v7, v[20:21] offset:24576
	v_mov_b32_e32 v9, 0
	v_mov_b32_e32 v7, 0
	s_and_saveexec_b64 s[6:7], vcc
	s_cbranch_execz .LBB16_92
; %bb.91:
	v_mov_b32_e32 v7, 0
	v_lshl_add_u64 v[6:7], v[4:5], 0, v[6:7]
	global_load_ushort v6, v[6:7], off offset:96
	s_waitcnt vmcnt(0)
	v_lshlrev_b32_e32 v6, 16, v6
	v_sub_f32_e32 v0, v6, v0
	v_mul_f32_e32 v0, v16, v0
	v_lshrrev_b32_e32 v7, 16, v0
.LBB16_92:
	s_or_b64 exec, exec, s[6:7]
	s_and_saveexec_b64 s[6:7], s[0:1]
	s_cbranch_execz .LBB16_94
; %bb.93:
	v_mov_b32_e32 v9, 0
	v_lshl_add_u64 v[8:9], v[4:5], 0, v[8:9]
	global_load_ushort v0, v[8:9], off offset:96
	s_waitcnt vmcnt(0)
	v_lshlrev_b32_e32 v0, 16, v0
	v_sub_f32_e32 v0, v0, v1
	v_mul_f32_e32 v0, v14, v0
	v_lshrrev_b32_e32 v9, 16, v0
.LBB16_94:
	s_or_b64 exec, exec, s[6:7]
	v_mov_b32_e32 v0, 0
	v_mov_b32_e32 v1, 0
	s_and_saveexec_b64 s[0:1], s[2:3]
	s_cbranch_execz .LBB16_96
; %bb.95:
	v_mov_b32_e32 v11, 0
	v_lshl_add_u64 v[10:11], v[4:5], 0, v[10:11]
	global_load_ushort v1, v[10:11], off offset:96
	s_waitcnt vmcnt(0)
	v_lshlrev_b32_e32 v1, 16, v1
	v_sub_f32_e32 v1, v1, v2
	v_mul_f32_e32 v1, v17, v1
	v_lshrrev_b32_e32 v1, 16, v1
.LBB16_96:
	s_or_b64 exec, exec, s[0:1]
	s_and_saveexec_b64 s[0:1], s[4:5]
	s_cbranch_execz .LBB16_98
; %bb.97:
	v_mov_b32_e32 v13, 0
	v_lshl_add_u64 v[4:5], v[4:5], 0, v[12:13]
	global_load_ushort v0, v[4:5], off offset:96
	s_waitcnt vmcnt(0)
	v_lshlrev_b32_e32 v0, 16, v0
	v_sub_f32_e32 v0, v0, v3
	v_mul_f32_e32 v0, v15, v0
	v_lshrrev_b32_e32 v0, 16, v0
.LBB16_98:
	s_or_b64 exec, exec, s[0:1]
	s_mov_b32 s0, 0x5040100
	v_or_b32_e32 v2, v18, v19
	v_perm_b32 v1, v0, v1, s0
	v_perm_b32 v0, v9, v7, s0
	v_lshlrev_b32_e32 v2, 1, v2
	ds_write_b64 v2, v[0:1] offset:24576
	s_waitcnt lgkmcnt(0)
	s_barrier
.LBB16_99:
	s_endpgm
	.section	.rodata,"a",@progbits
	.p2align	6, 0x0
	.amdhsa_kernel _ZN12_GLOBAL__N_139chunk_gated_delta_rule_fwd_h_hip_kernelILi64ELb0ELb0ELb0ELb0ELb1ELb1ELb1ELb1EEEvPK12hip_bfloat16S3_S3_PKfS5_PKvPS1_S8_PvPKiSB_iiiiilll
		.amdhsa_group_segment_fixed_size 65536
		.amdhsa_private_segment_fixed_size 0
		.amdhsa_kernarg_size 136
		.amdhsa_user_sgpr_count 2
		.amdhsa_user_sgpr_dispatch_ptr 0
		.amdhsa_user_sgpr_queue_ptr 0
		.amdhsa_user_sgpr_kernarg_segment_ptr 1
		.amdhsa_user_sgpr_dispatch_id 0
		.amdhsa_user_sgpr_kernarg_preload_length 0
		.amdhsa_user_sgpr_kernarg_preload_offset 0
		.amdhsa_user_sgpr_private_segment_size 0
		.amdhsa_uses_dynamic_stack 0
		.amdhsa_enable_private_segment 0
		.amdhsa_system_sgpr_workgroup_id_x 1
		.amdhsa_system_sgpr_workgroup_id_y 1
		.amdhsa_system_sgpr_workgroup_id_z 0
		.amdhsa_system_sgpr_workgroup_info 0
		.amdhsa_system_vgpr_workitem_id 0
		.amdhsa_next_free_vgpr 228
		.amdhsa_next_free_sgpr 66
		.amdhsa_accum_offset 188
		.amdhsa_reserve_vcc 1
		.amdhsa_float_round_mode_32 0
		.amdhsa_float_round_mode_16_64 0
		.amdhsa_float_denorm_mode_32 3
		.amdhsa_float_denorm_mode_16_64 3
		.amdhsa_dx10_clamp 1
		.amdhsa_ieee_mode 1
		.amdhsa_fp16_overflow 0
		.amdhsa_tg_split 0
		.amdhsa_exception_fp_ieee_invalid_op 0
		.amdhsa_exception_fp_denorm_src 0
		.amdhsa_exception_fp_ieee_div_zero 0
		.amdhsa_exception_fp_ieee_overflow 0
		.amdhsa_exception_fp_ieee_underflow 0
		.amdhsa_exception_fp_ieee_inexact 0
		.amdhsa_exception_int_div_zero 0
	.end_amdhsa_kernel
	.section	.text._ZN12_GLOBAL__N_139chunk_gated_delta_rule_fwd_h_hip_kernelILi64ELb0ELb0ELb0ELb0ELb1ELb1ELb1ELb1EEEvPK12hip_bfloat16S3_S3_PKfS5_PKvPS1_S8_PvPKiSB_iiiiilll,"axG",@progbits,_ZN12_GLOBAL__N_139chunk_gated_delta_rule_fwd_h_hip_kernelILi64ELb0ELb0ELb0ELb0ELb1ELb1ELb1ELb1EEEvPK12hip_bfloat16S3_S3_PKfS5_PKvPS1_S8_PvPKiSB_iiiiilll,comdat
.Lfunc_end16:
	.size	_ZN12_GLOBAL__N_139chunk_gated_delta_rule_fwd_h_hip_kernelILi64ELb0ELb0ELb0ELb0ELb1ELb1ELb1ELb1EEEvPK12hip_bfloat16S3_S3_PKfS5_PKvPS1_S8_PvPKiSB_iiiiilll, .Lfunc_end16-_ZN12_GLOBAL__N_139chunk_gated_delta_rule_fwd_h_hip_kernelILi64ELb0ELb0ELb0ELb0ELb1ELb1ELb1ELb1EEEvPK12hip_bfloat16S3_S3_PKfS5_PKvPS1_S8_PvPKiSB_iiiiilll
                                        ; -- End function
	.section	.AMDGPU.csdata,"",@progbits
; Kernel info:
; codeLenInByte = 11020
; NumSgprs: 72
; NumVgprs: 188
; NumAgprs: 40
; TotalNumVgprs: 228
; ScratchSize: 0
; MemoryBound: 0
; FloatMode: 240
; IeeeMode: 1
; LDSByteSize: 65536 bytes/workgroup (compile time only)
; SGPRBlocks: 8
; VGPRBlocks: 28
; NumSGPRsForWavesPerEU: 72
; NumVGPRsForWavesPerEU: 228
; AccumOffset: 188
; Occupancy: 1
; WaveLimiterHint : 1
; COMPUTE_PGM_RSRC2:SCRATCH_EN: 0
; COMPUTE_PGM_RSRC2:USER_SGPR: 2
; COMPUTE_PGM_RSRC2:TRAP_HANDLER: 0
; COMPUTE_PGM_RSRC2:TGID_X_EN: 1
; COMPUTE_PGM_RSRC2:TGID_Y_EN: 1
; COMPUTE_PGM_RSRC2:TGID_Z_EN: 0
; COMPUTE_PGM_RSRC2:TIDIG_COMP_CNT: 0
; COMPUTE_PGM_RSRC3_GFX90A:ACCUM_OFFSET: 46
; COMPUTE_PGM_RSRC3_GFX90A:TG_SPLIT: 0
	.section	.text._ZN12_GLOBAL__N_139chunk_gated_delta_rule_fwd_h_hip_kernelILi64ELb1ELb1ELb1ELb1ELb1ELb1ELb0ELb1EEEvPK12hip_bfloat16S3_S3_PKfS5_PKvPS1_S8_PvPKiSB_iiiiilll,"axG",@progbits,_ZN12_GLOBAL__N_139chunk_gated_delta_rule_fwd_h_hip_kernelILi64ELb1ELb1ELb1ELb1ELb1ELb1ELb0ELb1EEEvPK12hip_bfloat16S3_S3_PKfS5_PKvPS1_S8_PvPKiSB_iiiiilll,comdat
	.globl	_ZN12_GLOBAL__N_139chunk_gated_delta_rule_fwd_h_hip_kernelILi64ELb1ELb1ELb1ELb1ELb1ELb1ELb0ELb1EEEvPK12hip_bfloat16S3_S3_PKfS5_PKvPS1_S8_PvPKiSB_iiiiilll ; -- Begin function _ZN12_GLOBAL__N_139chunk_gated_delta_rule_fwd_h_hip_kernelILi64ELb1ELb1ELb1ELb1ELb1ELb1ELb0ELb1EEEvPK12hip_bfloat16S3_S3_PKfS5_PKvPS1_S8_PvPKiSB_iiiiilll
	.p2align	8
	.type	_ZN12_GLOBAL__N_139chunk_gated_delta_rule_fwd_h_hip_kernelILi64ELb1ELb1ELb1ELb1ELb1ELb1ELb0ELb1EEEvPK12hip_bfloat16S3_S3_PKfS5_PKvPS1_S8_PvPKiSB_iiiiilll,@function
_ZN12_GLOBAL__N_139chunk_gated_delta_rule_fwd_h_hip_kernelILi64ELb1ELb1ELb1ELb1ELb1ELb1ELb0ELb1EEEvPK12hip_bfloat16S3_S3_PKfS5_PKvPS1_S8_PvPKiSB_iiiiilll: ; @_ZN12_GLOBAL__N_139chunk_gated_delta_rule_fwd_h_hip_kernelILi64ELb1ELb1ELb1ELb1ELb1ELb1ELb0ELb1EEEvPK12hip_bfloat16S3_S3_PKfS5_PKvPS1_S8_PvPKiSB_iiiiilll
; %bb.0:
	s_load_dwordx4 s[28:31], s[0:1], 0x5c
	s_load_dwordx4 s[4:7], s[0:1], 0x70
	s_abs_i32 s11, s3
	s_ashr_i32 s10, s3, 31
	s_load_dwordx4 s[24:27], s[0:1], 0x40
	s_load_dwordx2 s[8:9], s[0:1], 0x50
	s_waitcnt lgkmcnt(0)
	s_abs_i32 s14, s29
	v_cvt_f32_u32_e32 v1, s14
	s_sub_i32 s12, 0, s14
	s_ashr_i32 s15, s29, 31
	s_xor_b32 s10, s10, s15
	v_rcp_iflag_f32_e32 v1, v1
	v_and_b32_e32 v99, 15, v0
	v_bfe_u32 v98, v0, 4, 2
	v_mov_b32_e32 v47, 0
	v_mul_f32_e32 v1, 0x4f7ffffe, v1
	v_cvt_u32_f32_e32 v1, v1
	v_lshlrev_b32_e32 v100, 3, v0
	v_readfirstlane_b32 s13, v1
	s_mul_i32 s12, s12, s13
	s_mul_hi_u32 s12, s13, s12
	s_add_i32 s13, s13, s12
	s_mul_hi_u32 s12, s11, s13
	s_mul_i32 s13, s12, s14
	s_sub_i32 s11, s11, s13
	s_add_i32 s16, s12, 1
	s_sub_i32 s13, s11, s14
	s_cmp_ge_u32 s11, s14
	s_cselect_b32 s12, s16, s12
	s_cselect_b32 s11, s13, s11
	s_add_i32 s13, s12, 1
	s_cmp_ge_u32 s11, s14
	s_cselect_b32 s11, s13, s12
	s_xor_b32 s11, s11, s10
	s_sub_i32 s36, s11, s10
	s_mul_i32 s16, s36, s29
	s_ashr_i32 s37, s36, 31
	s_sub_i32 s33, s3, s16
	s_lshl_b64 s[10:11], s[36:37], 2
	s_add_u32 s12, s26, s10
	s_addc_u32 s13, s27, s11
	s_add_u32 s38, s8, s10
	s_addc_u32 s39, s9, s11
	s_abs_i32 s3, s30
	v_cvt_f32_u32_e32 v1, s3
	s_load_dwordx2 s[34:35], s[12:13], 0x0
	s_sub_i32 s9, 0, s3
	s_lshl_b32 s2, s2, 6
	v_rcp_iflag_f32_e32 v1, v1
	v_or_b32_e32 v88, s2, v99
	s_waitcnt lgkmcnt(0)
	s_sub_i32 s56, s35, s34
	s_ashr_i32 s8, s56, 31
	v_mul_f32_e32 v1, 0x4f7ffffe, v1
	v_cvt_u32_f32_e32 v1, v1
	s_lshr_b32 s8, s8, 26
	s_add_i32 s8, s56, s8
	s_ashr_i32 s55, s8, 6
	v_readfirstlane_b32 s10, v1
	s_mul_i32 s9, s9, s10
	s_mul_hi_u32 s9, s10, s9
	s_add_i32 s10, s10, s9
	s_mul_hi_u32 s9, s14, s10
	s_mul_i32 s10, s9, s3
	s_ashr_i32 s8, s30, 31
	s_sub_i32 s10, s14, s10
	s_xor_b32 s8, s15, s8
	s_add_i32 s11, s9, 1
	s_sub_i32 s12, s10, s3
	s_cmp_ge_u32 s10, s3
	s_cselect_b32 s9, s11, s9
	s_cselect_b32 s10, s12, s10
	s_add_i32 s11, s9, 1
	s_cmp_ge_u32 s10, s3
	s_cselect_b32 s3, s11, s9
	s_xor_b32 s3, s3, s8
	s_sub_i32 s3, s3, s8
	s_abs_i32 s17, s3
	v_cvt_f32_u32_e32 v1, s17
	s_sub_i32 s19, 0, s17
	s_abs_i32 s18, s33
	s_xor_b32 s3, s33, s3
	v_rcp_iflag_f32_e32 v2, v1
	s_ashr_i32 s3, s3, 31
	s_load_dwordx8 s[8:15], s[0:1], 0x20
	v_lshrrev_b32_e32 v1, 6, v0
	v_mul_f32_e32 v2, 0x4f7ffffe, v2
	v_cvt_u32_f32_e32 v2, v2
	v_lshlrev_b32_e32 v48, 7, v88
	v_lshlrev_b32_e32 v45, 4, v1
	v_or_b32_e32 v50, 0x800, v48
	v_readfirstlane_b32 s20, v2
	s_mul_i32 s19, s19, s20
	s_mul_hi_u32 s19, s20, s19
	s_add_i32 s20, s20, s19
	s_mul_hi_u32 s19, s18, s20
	s_mul_i32 s20, s19, s17
	s_sub_i32 s18, s18, s20
	s_add_i32 s20, s19, 1
	s_sub_i32 s21, s18, s17
	s_cmp_ge_u32 s18, s17
	s_cselect_b32 s19, s20, s19
	s_cselect_b32 s18, s21, s18
	s_add_i32 s20, s19, 1
	s_cmp_ge_u32 s18, s17
	s_cselect_b32 s17, s20, s19
	s_xor_b32 s17, s17, s3
	s_sub_i32 s57, s17, s3
	s_ashr_i32 s48, s33, 31
	s_mul_hi_i32 s3, s36, s29
	s_add_u32 s16, s16, s33
	s_addc_u32 s17, s3, s48
	s_lshl_b64 s[26:27], s[16:17], 15
	s_waitcnt lgkmcnt(0)
	s_add_u32 s10, s10, s26
	v_lshl_or_b32 v102, v98, 2, v45
	s_addc_u32 s11, s11, s27
	v_ashrrev_i32_e32 v49, 31, v48
	v_ashrrev_i32_e32 v51, 31, v50
	v_lshl_add_u64 v[2:3], v[48:49], 1, s[10:11]
	v_lshlrev_b32_e32 v46, 1, v102
	v_lshl_add_u64 v[6:7], v[50:51], 1, s[10:11]
	v_or_b32_e32 v52, 0x1000, v48
	v_or_b32_e32 v54, 0x1800, v48
	v_lshl_add_u64 v[2:3], v[2:3], 0, v[46:47]
	v_lshl_add_u64 v[6:7], v[6:7], 0, v[46:47]
	v_ashrrev_i32_e32 v53, 31, v52
	v_ashrrev_i32_e32 v55, 31, v54
	global_load_dwordx2 v[4:5], v[2:3], off
	v_lshl_add_u64 v[14:15], v[54:55], 1, s[10:11]
	global_load_dwordx2 v[2:3], v[2:3], off offset:128
	s_nop 0
	global_load_dwordx2 v[8:9], v[6:7], off
	global_load_dwordx2 v[10:11], v[6:7], off offset:128
	v_lshl_add_u64 v[6:7], v[52:53], 1, s[10:11]
	v_lshl_add_u64 v[6:7], v[6:7], 0, v[46:47]
	;; [unrolled: 1-line block ×3, first 2 shown]
	global_load_dwordx2 v[12:13], v[6:7], off
	v_and_b32_e32 v47, 63, v0
	global_load_dwordx2 v[6:7], v[6:7], off offset:128
	s_nop 0
	global_load_dwordx2 v[16:17], v[14:15], off
	global_load_dwordx2 v[18:19], v[14:15], off offset:128
	s_load_dwordx8 s[16:23], s[0:1], 0x0
	s_load_dwordx2 s[10:11], s[0:1], 0x80
	s_load_dword s60, s[38:39], 0x0
	v_lshrrev_b32_e32 v101, 3, v47
	v_or_b32_e32 v103, 64, v102
	s_mul_i32 s49, s36, s5
	s_mul_hi_u32 s50, s36, s4
	s_mul_hi_i32 s58, s33, s28
	s_mul_i32 s59, s33, s28
	s_cmp_lt_i32 s56, 64
	s_mul_i32 s51, s37, s4
	s_mul_i32 s42, s36, s4
	;; [unrolled: 1-line block ×3, first 2 shown]
	s_mul_hi_u32 s53, s33, s6
	s_mul_i32 s54, s48, s6
	s_mul_i32 s40, s33, s6
	s_waitcnt vmcnt(7)
	v_and_b32_e32 v83, 0xffff0000, v4
	v_lshlrev_b32_e32 v82, 16, v4
	v_and_b32_e32 v87, 0xffff0000, v5
	v_lshlrev_b32_e32 v86, 16, v5
	s_waitcnt vmcnt(6)
	v_and_b32_e32 v81, 0xffff0000, v2
	v_lshlrev_b32_e32 v80, 16, v2
	v_and_b32_e32 v85, 0xffff0000, v3
	v_lshlrev_b32_e32 v84, 16, v3
	;; [unrolled: 5-line block ×8, first 2 shown]
	s_cbranch_scc1 .LBB17_18
; %bb.1:
	s_ashr_i32 s1, s34, 31
	s_add_u32 s0, s59, s34
	s_addc_u32 s1, s58, s1
	s_lshl_b64 s[0:1], s[0:1], 8
	v_and_b32_e32 v105, 56, v100
	s_waitcnt lgkmcnt(0)
	s_add_u32 s4, s18, s0
	v_lshl_or_b32 v104, v1, 3, v101
	v_lshlrev_b32_e32 v2, 1, v105
	s_addc_u32 s0, s19, s1
	v_lshl_or_b32 v106, v104, 8, v2
	s_and_b32 s5, s0, 0xffff
	s_mov_b32 s7, 0x20000
	s_movk_i32 s6, 0x4000
	s_movk_i32 s0, 0x80
	v_or_b32_e32 v107, 0x2000, v106
	buffer_load_dwordx4 v[4:7], v106, s[4:7], 0 offen
	buffer_load_dwordx4 v[8:11], v106, s[4:7], s0 offen
	buffer_load_dwordx4 v[12:15], v107, s[4:7], 0 offen
	buffer_load_dwordx4 v[16:19], v107, s[4:7], s0 offen
	v_lshlrev_b32_e32 v3, 3, v104
	v_and_or_b32 v21, v0, 7, v3
	v_and_b32_e32 v3, 0x78, v3
	v_lshlrev_b32_e32 v21, 4, v21
	v_xor_b32_e32 v108, v21, v3
	v_mul_lo_u32 v20, v104, s31
	v_or_b32_e32 v109, 0x1000, v108
	v_xor_b32_e32 v3, 8, v108
	s_cmpk_eq_i32 s31, 0x80
	s_mov_b32 s61, s34
	v_xor_b32_e32 v21, 8, v109
	s_cselect_b64 s[0:1], -1, 0
	s_cmpk_lg_i32 s31, 0x80
	s_waitcnt vmcnt(3)
	ds_write_b64 v108, v[4:5] offset:49152
	ds_write_b64 v3, v[6:7] offset:49152
	s_waitcnt vmcnt(2)
	ds_write_b64 v108, v[8:9] offset:57344
	ds_write_b64 v3, v[10:11] offset:57344
	;; [unrolled: 3-line block ×4, first 2 shown]
	v_lshl_add_u32 v3, v20, 1, v105
	s_cbranch_scc0 .LBB17_3
; %bb.2:
	v_lshlrev_b32_e32 v5, 1, v3
	v_add_lshl_u32 v4, v3, s31, 1
	s_lshl_b32 s6, s31, 7
	v_lshl_or_b32 v2, v104, 9, v2
	s_cbranch_execz .LBB17_4
	s_branch .LBB17_5
.LBB17_3:
                                        ; implicit-def: $vgpr4
                                        ; implicit-def: $vgpr5
                                        ; implicit-def: $sgpr6
	v_lshl_or_b32 v2, v104, 9, v2
.LBB17_4:
	v_or_b32_e32 v4, 0x100, v2
	s_movk_i32 s6, 0x4000
	v_mov_b32_e32 v5, v2
.LBB17_5:
	s_mul_i32 s4, s34, s30
	s_ashr_i32 s62, s57, 31
	s_mul_hi_i32 s3, s34, s30
	s_add_u32 s4, s4, s57
	s_addc_u32 s5, s3, s62
	s_lshl_b64 s[4:5], s[4:5], 8
	s_add_u32 s4, s16, s4
	s_addc_u32 s3, s17, s5
	s_and_b32 s5, s3, 0xffff
	s_movk_i32 s63, 0x80
	buffer_load_dwordx4 v[6:9], v5, s[4:7], 0 offen
	buffer_load_dwordx4 v[10:13], v5, s[4:7], s63 offen
	;; [unrolled: 1-line block ×4, first 2 shown]
	v_and_b32_e32 v5, 6, v0
	v_lshlrev_b32_e32 v4, 7, v102
	v_xor_b32_e32 v27, v104, v5
	v_and_b32_e32 v22, 1, v0
	v_lshl_or_b32 v30, v99, 3, v4
	v_lshlrev_b32_e32 v27, 2, v27
	v_lshlrev_b32_e32 v23, 2, v99
	v_or_b32_e32 v110, 0x4000, v30
	v_or_b32_e32 v111, 0x6000, v30
	v_xor_b32_e32 v30, 0x440, v27
	v_cmp_eq_u32_e32 vcc, 0, v22
	v_or_b32_e32 v25, 16, v99
	v_or_b32_e32 v26, 32, v99
	v_xor_b32_e32 v28, v102, v23
	v_xor_b32_e32 v29, v103, v23
	v_cndmask_b32_e32 v22, v30, v27, vcc
	s_mov_b32 s64, 0x1000504
	v_lshl_or_b32 v31, v25, 3, v4
	v_lshlrev_b32_e32 v25, 8, v25
	v_lshl_or_b32 v32, v26, 3, v4
	v_lshlrev_b32_e32 v28, 1, v28
	v_lshlrev_b32_e32 v29, 1, v29
	v_lshl_or_b32 v5, v5, 10, v22
	s_add_i32 s3, s50, s49
	s_mov_b32 s65, 0x3020706
	v_lshlrev_b32_e32 v24, 8, v99
	v_or_b32_e32 v114, 0x4000, v32
	v_or_b32_e32 v115, 0x6000, v32
	v_or_b32_e32 v118, v25, v28
	v_or_b32_e32 v119, v25, v29
	v_xor_b32_e32 v22, 8, v5
	v_xor_b32_e32 v25, 24, v5
	;; [unrolled: 1-line block ×4, first 2 shown]
	s_add_i32 s43, s3, s51
	s_add_i32 s3, s53, s52
	v_or_b32_e32 v112, 0x4000, v31
	v_or_b32_e32 v113, 0x6000, v31
	;; [unrolled: 1-line block ×4, first 2 shown]
	v_xor_b32_e32 v24, 16, v5
	v_xor_b32_e32 v27, 32, v5
	;; [unrolled: 1-line block ×3, first 2 shown]
	v_add_u32_e32 v22, 0x80, v22
	v_add_u32_e32 v25, 0x80, v25
	;; [unrolled: 1-line block ×4, first 2 shown]
	s_add_i32 s41, s3, s54
	s_lshl_b64 s[4:5], s[42:43], 2
	s_add_u32 s3, s22, s4
	s_addc_u32 s36, s23, s5
	s_lshl_b64 s[4:5], s[40:41], 2
	s_add_u32 s44, s3, s4
	s_movk_i32 s3, 0xf8
	s_addc_u32 s45, s36, s5
	s_lshl_b32 s38, s31, 7
	s_movk_i32 s36, 0x100
	v_mov_b32_e32 v91, 0
	v_lshlrev_b32_e32 v90, 4, v99
	v_ashrrev_i32_e32 v89, 31, v88
	v_lshlrev_b32_e32 v26, 8, v26
	s_mov_b32 s66, 0
	s_movk_i32 s6, 0x4000
	v_or_b32_e32 v120, v26, v28
	v_or_b32_e32 v121, v26, v29
	s_movk_i32 s41, 0x2000
	s_movk_i32 s43, 0x3000
	s_waitcnt vmcnt(1)
	v_perm_b32 v33, v6, v14, s64
	s_waitcnt vmcnt(0)
	v_perm_b32 v34, v10, v18, s64
	v_perm_b32 v6, v6, v14, s65
	;; [unrolled: 1-line block ×15, first 2 shown]
	ds_write2st64_b32 v5, v33, v34 offset0:128 offset1:160
	ds_write2st64_b32 v22, v6, v10 offset0:128 offset1:160
	;; [unrolled: 1-line block ×8, first 2 shown]
	v_or_b32_e32 v5, 48, v99
	v_lshl_or_b32 v6, v5, 3, v4
	v_lshlrev_b32_e32 v5, 8, v5
	v_or_b32_e32 v124, v5, v28
	v_or_b32_e32 v125, v5, v29
	v_or_b32_e32 v5, v45, v99
	v_lshlrev_b32_e32 v5, 3, v5
	v_lshrrev_b32_e32 v7, 5, v47
	v_and_or_b32 v7, v5, s3, v7
	v_lshlrev_b32_e32 v7, 4, v7
	v_or_b32_e32 v122, 0x4000, v6
	v_or_b32_e32 v123, 0x6000, v6
	v_lshrrev_b32_e32 v6, 2, v47
	v_lshlrev_b32_e32 v9, 11, v1
	v_and_b32_e32 v5, 0x78, v5
	v_or_b32_e32 v13, 32, v7
	v_and_b32_e32 v8, 12, v6
	v_and_b32_e32 v6, 0x1000, v9
	v_lshrrev_b32_e32 v11, 1, v47
	v_xor_b32_e32 v13, v13, v5
	v_xor_b32_e32 v10, v7, v5
	v_and_b32_e32 v11, 8, v11
	v_or_b32_e32 v13, v13, v6
	v_or_b32_e32 v10, v10, v6
	v_xor_b32_e32 v128, v13, v11
	v_or_b32_e32 v13, 64, v7
	v_or_b32_e32 v7, 0x60, v7
	v_xor_b32_e32 v126, v10, v11
	v_lshlrev_b32_e32 v10, 8, v98
	v_xor_b32_e32 v13, v13, v5
	v_xor_b32_e32 v5, v7, v5
	s_ashr_i32 s3, s2, 31
	v_or_b32_e32 v12, v10, v23
	v_or_b32_e32 v13, v13, v6
	;; [unrolled: 1-line block ×3, first 2 shown]
	s_lshl_b64 s[4:5], s[2:3], 8
	v_lshlrev_b32_e32 v15, 2, v0
	v_lshlrev_b32_e32 v12, 1, v12
	v_xor_b32_e32 v132, v13, v11
	v_xor_b32_e32 v133, v5, v11
	v_lshlrev_b32_e32 v5, 1, v3
	v_add_lshl_u32 v3, v3, s31, 1
	v_or_b32_e32 v11, 0x100, v2
	s_add_u32 s4, s12, s4
	v_lshlrev_b32_e32 v6, 1, v99
	v_lshrrev_b32_e32 v16, 1, v0
	v_and_or_b32 v10, v15, 60, v10
	v_or_b32_e32 v127, 0x4000, v12
	v_or_b32_e32 v129, 0x4080, v12
	;; [unrolled: 1-line block ×8, first 2 shown]
	v_lshrrev_b32_e32 v12, 4, v0
	s_addc_u32 s5, s13, s5
	v_or_b32_e32 v7, 1, v6
	v_and_b32_e32 v16, 24, v16
	v_lshlrev_b32_e32 v10, 1, v10
	v_cndmask_b32_e64 v144, v5, v2, s[0:1]
	v_cndmask_b32_e64 v145, v3, v11, s[0:1]
	v_mov_b32_e32 v3, 0xa000
	v_mov_b32_e32 v5, 0x8000
	v_cmp_gt_u32_e64 s[0:1], s36, v0
	v_xor_b32_e32 v13, v12, v6
	v_xor_b32_e32 v14, v7, v12
	v_lshl_add_u64 v[6:7], s[4:5], 0, v[90:91]
	v_lshlrev_b32_e32 v90, 8, v12
	v_or_b32_e32 v140, 0x6000, v10
	v_or_b32_e32 v15, 32, v16
	;; [unrolled: 1-line block ×6, first 2 shown]
	v_cndmask_b32_e64 v3, v3, v5, s[0:1]
	v_lshlrev_b32_e32 v5, 3, v1
	v_lshl_or_b32 v138, v13, 3, v90
	v_and_b32_e32 v13, 8, v0
	v_xor_b32_e32 v11, v5, v16
	v_xor_b32_e32 v15, v5, v15
	;; [unrolled: 1-line block ×3, first 2 shown]
	v_mov_b32_e32 v17, 0x400
	v_cmp_eq_u32_e32 vcc, 0, v13
	v_or_b32_e32 v16, 0x440, v11
	v_or_b32_e32 v18, 0x440, v15
	v_xor_b32_e32 v10, 0x440, v5
	v_and_b32_e32 v12, 7, v0
	v_cndmask_b32_e64 v13, v17, 64, vcc
	v_cndmask_b32_e32 v16, v16, v11, vcc
	v_cndmask_b32_e32 v15, v18, v15, vcc
	v_cndmask_b32_e32 v5, v10, v5, vcc
	v_lshl_or_b32 v139, v14, 3, v90
	v_lshlrev_b32_e32 v14, 3, v12
	v_or_b32_e32 v16, v16, v9
	v_or_b32_e32 v15, v15, v9
	v_or3_b32 v11, v9, v13, v11
	v_or_b32_e32 v5, v5, v9
	v_lshlrev_b32_e32 v12, 7, v12
	v_xor_b32_e32 v16, v16, v14
	v_xor_b32_e32 v15, v15, v14
	;; [unrolled: 1-line block ×4, first 2 shown]
	v_or_b32_e32 v2, v45, v8
	v_add_u32_e32 v17, v3, v16
	v_add_u32_e32 v18, v3, v15
	v_or_b32_e32 v146, v11, v12
	v_add_u32_e32 v9, v3, v5
	v_or3_b32 v8, v45, v8, 64
	v_add_u32_e32 v13, 0xa000, v16
	v_add_u32_e32 v14, 0xa000, v15
	;; [unrolled: 1-line block ×3, first 2 shown]
	v_lshlrev_b64 v[10:11], 1, v[88:89]
	v_lshl_add_u64 v[92:93], s[20:21], 0, v[10:11]
	v_lshl_add_u64 v[94:95], s[14:15], 0, v[10:11]
	v_lshl_add_u64 v[96:97], v[6:7], 0, v[90:91]
	s_mov_b32 s3, 0x7060302
	v_lshlrev_b32_e32 v90, 1, v4
	v_lshlrev_b32_e32 v89, 2, v2
	v_add_u32_e32 v147, v17, v12
	v_add_u32_e32 v148, v18, v12
	;; [unrolled: 1-line block ×4, first 2 shown]
	v_lshlrev_b32_e32 v151, 2, v8
	v_add_u32_e32 v152, v13, v12
	v_add_u32_e32 v153, v14, v12
	;; [unrolled: 1-line block ×3, first 2 shown]
	s_waitcnt lgkmcnt(0)
	s_barrier
.LBB17_6:                               ; =>This Inner Loop Header: Depth=1
	s_add_i32 s67, s66, 1
	s_cmp_lt_i32 s67, s55
	s_mov_b64 s[36:37], 0
	s_cselect_b64 s[46:47], -1, 0
	s_cmp_ge_i32 s67, s55
	s_mov_b64 s[4:5], 0
	s_cbranch_scc1 .LBB17_8
; %bb.7:                                ;   in Loop: Header=BB17_6 Depth=1
	s_add_i32 s0, s61, 64
	s_ashr_i32 s1, s0, 31
	s_add_u32 s0, s59, s0
	s_addc_u32 s1, s58, s1
	s_lshl_b64 s[0:1], s[0:1], 8
	s_add_u32 s4, s18, s0
	s_addc_u32 s5, s19, s1
.LBB17_8:                               ;   in Loop: Header=BB17_6 Depth=1
	v_cndmask_b32_e64 v2, 0, 1, s[46:47]
	v_cmp_ne_u32_e64 s[0:1], 1, v2
	s_andn2_b64 vcc, exec, s[46:47]
	s_cbranch_vccnz .LBB17_10
; %bb.9:                                ;   in Loop: Header=BB17_6 Depth=1
	s_add_i32 s36, s61, 64
	s_mul_hi_i32 s37, s36, s30
	s_mul_i32 s36, s36, s30
	s_add_u32 s36, s36, s57
	s_addc_u32 s37, s37, s62
	s_lshl_b64 s[36:37], s[36:37], 8
	s_add_u32 s36, s16, s36
	s_addc_u32 s37, s17, s37
.LBB17_10:                              ;   in Loop: Header=BB17_6 Depth=1
	v_perm_b32 v3, v87, v86, s3
	v_perm_b32 v2, v83, v82, s3
	v_perm_b32 v5, v85, v84, s3
	v_perm_b32 v4, v81, v80, s3
	ds_write_b64 v110, v[2:3]
	ds_write_b64 v111, v[4:5]
	ds_write_b64 v116, v[2:3]
	ds_write_b64 v117, v[4:5]
	v_perm_b32 v3, v79, v78, s3
	v_perm_b32 v2, v75, v74, s3
	v_perm_b32 v5, v77, v76, s3
	v_perm_b32 v4, v73, v72, s3
	ds_write_b64 v112, v[2:3]
	ds_write_b64 v113, v[4:5]
	ds_write_b64 v118, v[2:3]
	ds_write_b64 v119, v[4:5]
	;; [unrolled: 8-line block ×4, first 2 shown]
	s_waitcnt lgkmcnt(0)
	s_barrier
	ds_read_b64 v[6:7], v126 offset:49152
	ds_read2_b64 v[2:5], v127 offset1:16
	ds_read_b64 v[18:19], v129 offset:6144
	ds_read_b64 v[20:21], v127 offset:6144
	s_waitcnt lgkmcnt(2)
	v_mfma_f32_16x16x16_bf16 a[0:3], v[6:7], v[2:3], 0
	ds_read_b64 v[22:23], v128 offset:49152
	ds_read2st64_b64 v[10:13], v130 offset0:4 offset1:8
	ds_read2st64_b64 v[14:17], v131 offset0:4 offset1:8
	v_mfma_f32_16x16x16_bf16 a[4:7], v[6:7], v[4:5], 0
	ds_read2_b64 v[2:5], v127 offset0:32 offset1:48
	s_add_i32 s68, s61, 63
	s_ashr_i32 s39, s68, 31
	s_waitcnt lgkmcnt(0)
	v_mfma_f32_16x16x16_bf16 a[8:11], v[6:7], v[2:3], 0
	s_mul_i32 s46, s68, s11
	s_mul_hi_u32 s47, s68, s10
	s_add_i32 s46, s47, s46
	v_mfma_f32_16x16x16_bf16 a[12:15], v[6:7], v[4:5], 0
	ds_read2st64_b64 v[2:5], v127 offset0:4 offset1:8
	ds_read2st64_b64 v[6:9], v129 offset0:4 offset1:8
	s_mul_i32 s39, s39, s10
	s_waitcnt lgkmcnt(1)
	v_mfma_f32_16x16x16_bf16 a[0:3], v[22:23], v[2:3], a[0:3]
	s_add_i32 s47, s46, s39
	s_mul_i32 s46, s68, s10
	s_lshl_b64 s[46:47], s[46:47], 2
	s_waitcnt lgkmcnt(0)
	v_mfma_f32_16x16x16_bf16 a[4:7], v[22:23], v[6:7], a[4:7]
	s_add_u32 s46, s44, s46
	s_addc_u32 s47, s45, s47
	s_and_b64 vcc, exec, s[0:1]
	v_mfma_f32_16x16x16_bf16 a[8:11], v[22:23], v[10:11], a[8:11]
	ds_read_b64 v[2:3], v132 offset:49152
	ds_read_b64 v[6:7], v133 offset:49152
	;; [unrolled: 1-line block ×3, first 2 shown]
	v_mov_b32_e32 v157, 0
	v_mov_b32_e32 v156, 0
	v_mfma_f32_16x16x16_bf16 a[12:15], v[22:23], v[14:15], a[12:15]
	v_mov_b32_e32 v155, 0
	v_mov_b32_e32 v14, 0
	;; [unrolled: 1-line block ×3, first 2 shown]
	s_waitcnt lgkmcnt(2)
	v_mfma_f32_16x16x16_bf16 a[0:3], v[2:3], v[4:5], a[0:3]
	v_mov_b32_e32 v4, 0
	v_mov_b32_e32 v5, 0
	v_mfma_f32_16x16x16_bf16 a[16:19], v[2:3], v[8:9], a[4:7]
	v_mov_b32_e32 v8, 0
	v_mov_b32_e32 v9, 0
	;; [unrolled: 3-line block ×3, first 2 shown]
	v_mfma_f32_16x16x16_bf16 a[24:27], v[2:3], v[16:17], a[12:15]
	ds_read_b64 v[2:3], v130 offset:6144
	v_mov_b32_e32 v16, 0
	v_mov_b32_e32 v17, 0
	s_waitcnt lgkmcnt(2)
	v_mfma_f32_16x16x16_bf16 a[4:7], v[6:7], v[20:21], a[0:3]
	v_mfma_f32_16x16x16_bf16 a[8:11], v[6:7], v[18:19], a[16:19]
	s_waitcnt lgkmcnt(0)
	v_mfma_f32_16x16x16_bf16 a[12:15], v[6:7], v[2:3], a[20:23]
	v_mov_b32_e32 v2, 0
	v_mov_b32_e32 v3, 0
	v_mfma_f32_16x16x16_bf16 a[0:3], v[6:7], v[10:11], a[24:27]
	v_mov_b32_e32 v6, 0
	v_mov_b32_e32 v7, 0
	;; [unrolled: 1-line block ×4, first 2 shown]
	s_cbranch_vccnz .LBB17_12
; %bb.11:                               ;   in Loop: Header=BB17_6 Depth=1
	s_and_b32 s5, s5, 0xffff
	buffer_load_dwordx4 v[14:17], v106, s[4:7], 0 offen
	buffer_load_dwordx4 v[10:13], v106, s[4:7], s63 offen
	;; [unrolled: 1-line block ×4, first 2 shown]
	v_mov_b32_e32 v156, v108
	v_mov_b32_e32 v155, v109
.LBB17_12:                              ;   in Loop: Header=BB17_6 Depth=1
	ds_read_b64 v[30:31], v126 offset:57344
	ds_read2_b64 v[18:21], v134 offset1:16
	ds_read_b64 v[34:35], v128 offset:57344
	ds_read_b64 v[36:37], v132 offset:57344
	;; [unrolled: 1-line block ×3, first 2 shown]
	v_add_u32_e32 v32, s61, v102
	s_waitcnt lgkmcnt(3)
	v_mfma_f32_16x16x16_bf16 a[4:7], v[30:31], v[18:19], a[4:7]
	v_mfma_f32_16x16x16_bf16 a[8:11], v[30:31], v[20:21], a[8:11]
	ds_read2_b64 v[18:21], v134 offset0:32 offset1:48
	ds_read2st64_b64 v[22:25], v134 offset0:4 offset1:8
	ds_read2st64_b64 v[26:29], v135 offset0:4 offset1:8
	s_waitcnt lgkmcnt(2)
	v_mfma_f32_16x16x16_bf16 a[12:15], v[30:31], v[18:19], a[12:15]
	v_ashrrev_i32_e32 v18, 31, v32
	v_mul_lo_u32 v33, v18, s10
	v_mad_u64_u32 v[18:19], s[4:5], v32, s10, 0
	v_mfma_f32_16x16x16_bf16 a[0:3], v[30:31], v[20:21], a[0:3]
	v_mul_lo_u32 v20, v32, s11
	v_add3_u32 v19, v19, v20, v33
	v_add_u32_e32 v20, 1, v32
	v_ashrrev_i32_e32 v21, 31, v20
	s_waitcnt lgkmcnt(1)
	v_mfma_f32_16x16x16_bf16 a[4:7], v[34:35], v[22:23], a[4:7]
	v_mul_lo_u32 v22, v21, s10
	v_mul_lo_u32 v23, v20, s11
	v_mad_u64_u32 v[20:21], s[4:5], v20, s10, 0
	v_add3_u32 v21, v21, v23, v22
	v_add_u32_e32 v22, 2, v32
	v_ashrrev_i32_e32 v23, 31, v22
	v_mul_lo_u32 v30, v23, s10
	v_mul_lo_u32 v31, v22, s11
	v_mad_u64_u32 v[22:23], s[4:5], v22, s10, 0
	v_add3_u32 v23, v23, v31, v30
	v_add_u32_e32 v30, 3, v32
	v_ashrrev_i32_e32 v31, 31, v30
	v_mul_lo_u32 v32, v31, s10
	v_mul_lo_u32 v33, v30, s11
	v_mad_u64_u32 v[30:31], s[4:5], v30, s10, 0
	s_ashr_i32 s5, s61, 31
	s_add_u32 s4, s59, s61
	s_addc_u32 s5, s58, s5
	v_lshl_add_u64 v[18:19], v[18:19], 2, s[44:45]
	v_add3_u32 v31, v31, v33, v32
	s_lshl_b64 s[4:5], s[4:5], 8
	v_lshl_add_u64 v[20:21], v[20:21], 2, s[44:45]
	v_lshl_add_u64 v[22:23], v[22:23], 2, s[44:45]
	;; [unrolled: 1-line block ×3, first 2 shown]
	global_load_dword v40, v[18:19], off
	global_load_dword v41, v[20:21], off
	;; [unrolled: 1-line block ×4, first 2 shown]
	v_lshl_add_u64 v[18:19], v[92:93], 0, s[4:5]
	v_lshl_add_u64 v[22:23], v[18:19], 0, v[90:91]
	global_load_ushort v44, v[22:23], off offset:256
	global_load_ushort v158, v[22:23], off
	ds_read2st64_b64 v[18:21], v136 offset0:4 offset1:8
	global_load_ushort v159, v[22:23], off offset:768
	global_load_ushort v160, v[22:23], off offset:512
	ds_read2st64_b64 v[30:33], v137 offset0:4 offset1:8
	global_load_ushort v161, v[22:23], off offset:288
	global_load_ushort v162, v[22:23], off offset:32
	;; [unrolled: 1-line block ×4, first 2 shown]
	s_waitcnt lgkmcnt(2)
	v_mfma_f32_16x16x16_bf16 a[8:11], v[34:35], v[26:27], a[8:11]
	global_load_ushort v165, v[22:23], off offset:320
	global_load_ushort v166, v[22:23], off offset:64
	;; [unrolled: 1-line block ×4, first 2 shown]
	s_and_b64 vcc, exec, s[0:1]
	s_waitcnt lgkmcnt(1)
	v_mfma_f32_16x16x16_bf16 a[12:15], v[34:35], v[18:19], a[12:15]
	ds_read_b64 v[18:19], v134 offset:6144
	s_waitcnt lgkmcnt(1)
	v_mfma_f32_16x16x16_bf16 a[0:3], v[34:35], v[30:31], a[0:3]
	v_lshl_add_u64 v[30:31], v[94:95], 0, s[4:5]
	v_lshl_add_u64 v[30:31], v[30:31], 0, v[90:91]
	v_mfma_f32_16x16x16_bf16 a[4:7], v[36:37], v[24:25], a[4:7]
	v_mfma_f32_16x16x16_bf16 a[8:11], v[36:37], v[28:29], a[8:11]
	;; [unrolled: 1-line block ×4, first 2 shown]
	global_load_ushort v36, v[22:23], off offset:352
	global_load_ushort v37, v[22:23], off offset:96
	ds_read_b64 v[20:21], v135 offset:6144
	ds_read_b64 v[24:25], v136 offset:6144
	;; [unrolled: 1-line block ×3, first 2 shown]
	s_load_dword s46, s[46:47], 0x0
	global_load_ushort v169, v[22:23], off offset:864
	global_load_ushort v170, v[22:23], off offset:608
	s_waitcnt lgkmcnt(0)
	v_mfma_f32_16x16x16_bf16 a[4:7], v[38:39], v[18:19], a[4:7]
	s_waitcnt vmcnt(17)
	v_sub_f32_e32 v28, s46, v42
	v_mfma_f32_16x16x16_bf16 a[0:3], v[38:39], v[26:27], a[0:3]
	v_sub_f32_e32 v26, s46, v40
	v_sub_f32_e32 v27, s46, v41
	s_waitcnt vmcnt(16)
	v_sub_f32_e32 v29, s46, v43
	v_mfma_f32_16x16x16_bf16 a[8:11], v[38:39], v[20:21], a[8:11]
	v_exp_f32_e32 v26, v26
	v_exp_f32_e32 v27, v27
	;; [unrolled: 1-line block ×4, first 2 shown]
	v_accvgpr_read_b32 v35, a5
	s_waitcnt vmcnt(15)
	v_lshlrev_b32_e32 v33, 16, v44
	s_waitcnt vmcnt(14)
	v_lshlrev_b32_e32 v32, 16, v158
	v_accvgpr_read_b32 v34, a4
	v_accvgpr_read_b32 v19, a7
	;; [unrolled: 1-line block ×3, first 2 shown]
	v_pk_add_f32 v[32:33], v[32:33], v[34:35] neg_lo:[0,1] neg_hi:[0,1]
	s_waitcnt vmcnt(13)
	v_lshlrev_b32_e32 v35, 16, v159
	s_waitcnt vmcnt(12)
	v_lshlrev_b32_e32 v34, 16, v160
	v_pk_add_f32 v[18:19], v[34:35], v[18:19] neg_lo:[0,1] neg_hi:[0,1]
	global_store_short_d16_hi v[30:31], v32, off
	global_store_short_d16_hi v[30:31], v33, off offset:256
	global_store_short_d16_hi v[30:31], v18, off offset:512
	;; [unrolled: 1-line block ×3, first 2 shown]
	v_pk_mul_f32 v[32:33], v[26:27], v[32:33]
	v_pk_mul_f32 v[18:19], v[28:29], v[18:19]
	v_accvgpr_read_b32 v35, a9
	v_perm_b32 v32, v33, v32, s3
	v_perm_b32 v33, v19, v18, s3
	s_waitcnt vmcnt(15)
	v_lshlrev_b32_e32 v19, 16, v161
	s_waitcnt vmcnt(14)
	v_lshlrev_b32_e32 v18, 16, v162
	v_accvgpr_read_b32 v34, a8
	v_accvgpr_read_b32 v21, a11
	v_mfma_f32_16x16x16_bf16 a[12:15], v[38:39], v[24:25], a[12:15]
	v_accvgpr_read_b32 v20, a10
	v_pk_add_f32 v[18:19], v[18:19], v[34:35] neg_lo:[0,1] neg_hi:[0,1]
	s_waitcnt vmcnt(13)
	v_lshlrev_b32_e32 v35, 16, v163
	s_waitcnt vmcnt(12)
	v_lshlrev_b32_e32 v34, 16, v164
	v_pk_add_f32 v[20:21], v[34:35], v[20:21] neg_lo:[0,1] neg_hi:[0,1]
	global_store_short_d16_hi v[30:31], v18, off offset:32
	global_store_short_d16_hi v[30:31], v19, off offset:288
	;; [unrolled: 1-line block ×4, first 2 shown]
	v_pk_mul_f32 v[18:19], v[26:27], v[18:19]
	v_pk_mul_f32 v[20:21], v[28:29], v[20:21]
	v_accvgpr_read_b32 v23, a15
	v_perm_b32 v21, v21, v20, s3
	v_perm_b32 v20, v19, v18, s3
	ds_write2_b64 v111, v[32:33], v[20:21] offset1:16
	v_accvgpr_read_b32 v21, a13
	s_waitcnt vmcnt(15)
	v_lshlrev_b32_e32 v19, 16, v165
	s_waitcnt vmcnt(14)
	v_lshlrev_b32_e32 v18, 16, v166
	v_accvgpr_read_b32 v20, a12
	v_accvgpr_read_b32 v22, a14
	v_pk_add_f32 v[18:19], v[18:19], v[20:21] neg_lo:[0,1] neg_hi:[0,1]
	s_waitcnt vmcnt(13)
	v_lshlrev_b32_e32 v21, 16, v167
	s_waitcnt vmcnt(12)
	v_lshlrev_b32_e32 v20, 16, v168
	v_pk_add_f32 v[20:21], v[20:21], v[22:23] neg_lo:[0,1] neg_hi:[0,1]
	global_store_short_d16_hi v[30:31], v18, off offset:64
	global_store_short_d16_hi v[30:31], v19, off offset:320
	;; [unrolled: 1-line block ×4, first 2 shown]
	v_pk_mul_f32 v[18:19], v[26:27], v[18:19]
	v_pk_mul_f32 v[20:21], v[28:29], v[20:21]
	v_accvgpr_read_b32 v23, a1
	v_perm_b32 v18, v19, v18, s3
	v_perm_b32 v19, v21, v20, s3
	s_waitcnt vmcnt(15)
	v_lshlrev_b32_e32 v21, 16, v36
	s_waitcnt vmcnt(14)
	v_lshlrev_b32_e32 v20, 16, v37
	v_accvgpr_read_b32 v22, a0
	v_accvgpr_read_b32 v25, a3
	;; [unrolled: 1-line block ×3, first 2 shown]
	v_pk_add_f32 v[20:21], v[20:21], v[22:23] neg_lo:[0,1] neg_hi:[0,1]
	s_waitcnt vmcnt(13)
	v_lshlrev_b32_e32 v23, 16, v169
	s_waitcnt vmcnt(12)
	v_lshlrev_b32_e32 v22, 16, v170
	v_pk_add_f32 v[22:23], v[22:23], v[24:25] neg_lo:[0,1] neg_hi:[0,1]
	global_store_short_d16_hi v[30:31], v20, off offset:96
	global_store_short_d16_hi v[30:31], v21, off offset:352
	;; [unrolled: 1-line block ×4, first 2 shown]
	v_pk_mul_f32 v[20:21], v[26:27], v[20:21]
	v_pk_mul_f32 v[22:23], v[28:29], v[22:23]
	v_mov_b32_e32 v158, 0
	v_perm_b32 v23, v23, v22, s3
	v_perm_b32 v22, v21, v20, s3
	ds_write2_b64 v111, v[18:19], v[22:23] offset0:32 offset1:48
	v_mov_b32_e32 v18, 0
	v_mov_b32_e32 v19, 0
	;; [unrolled: 1-line block ×16, first 2 shown]
	s_cbranch_vccnz .LBB17_14
; %bb.13:                               ;   in Loop: Header=BB17_6 Depth=1
	s_and_b32 s37, s37, 0xffff
	s_mov_b32 s39, s7
	buffer_load_dwordx4 v[30:33], v144, s[36:39], 0 offen
	buffer_load_dwordx4 v[22:25], v144, s[36:39], s63 offen
	;; [unrolled: 1-line block ×4, first 2 shown]
	v_mov_b32_e32 v157, v105
	v_mov_b32_e32 v158, v104
.LBB17_14:                              ;   in Loop: Header=BB17_6 Depth=1
	s_waitcnt lgkmcnt(0)
	s_barrier
	ds_read_b64 v[42:43], v147
	ds_read2_b64 v[34:37], v140 offset1:16
	ds_read_b64 v[176:177], v148
	ds_read_b64 v[178:179], v149
	;; [unrolled: 1-line block ×3, first 2 shown]
	ds_read2_b64 v[38:41], v140 offset0:32 offset1:48
	ds_read2st64_b64 v[160:163], v140 offset0:4 offset1:8
	ds_read2st64_b64 v[164:167], v141 offset0:4 offset1:8
	;; [unrolled: 1-line block ×4, first 2 shown]
	s_waitcnt lgkmcnt(8)
	v_mfma_f32_16x16x16_bf16 a[0:3], v[42:43], v[34:35], 0
	s_add_i32 s4, s60, s66
	s_mul_hi_i32 s5, s4, s29
	s_mul_i32 s4, s4, s29
	v_mfma_f32_16x16x16_bf16 a[4:7], v[42:43], v[36:37], 0
	s_add_u32 s4, s4, s33
	s_addc_u32 s5, s5, s48
	s_lshl_b64 s[4:5], s[4:5], 15
	s_waitcnt lgkmcnt(4)
	v_mfma_f32_16x16x16_bf16 a[8:11], v[42:43], v[38:39], 0
	s_mul_i32 s36, s68, s29
	s_mul_hi_i32 s37, s68, s29
	s_add_u32 s36, s36, s33
	v_mfma_f32_16x16x16_bf16 a[12:15], v[42:43], v[40:41], 0
	ds_read_b64 v[42:43], v140 offset:6144
	ds_read_b64 v[188:189], v141 offset:6144
	;; [unrolled: 1-line block ×4, first 2 shown]
	s_addc_u32 s37, s37, s48
	s_waitcnt lgkmcnt(7)
	v_mfma_f32_16x16x16_bf16 a[0:3], v[176:177], v[160:161], a[0:3]
	s_lshl_b64 s[36:37], s[36:37], 9
	s_add_u32 s36, s8, s36
	s_addc_u32 s37, s9, s37
	s_waitcnt lgkmcnt(6)
	v_mfma_f32_16x16x16_bf16 a[4:7], v[176:177], v[164:165], a[4:7]
	v_lshl_add_u64 v[198:199], v[96:97], 0, s[4:5]
	s_waitcnt lgkmcnt(5)
	v_mfma_f32_16x16x16_bf16 a[8:11], v[176:177], v[168:169], a[8:11]
	s_waitcnt lgkmcnt(4)
	v_mfma_f32_16x16x16_bf16 a[12:15], v[176:177], v[172:173], a[12:15]
	ds_read_b64 v[176:177], v152
	ds_read_b64 v[186:187], v153
	;; [unrolled: 1-line block ×3, first 2 shown]
	s_waitcnt lgkmcnt(2)
	v_mfma_f32_16x16x16_bf16 a[16:19], v[176:177], v[34:35], 0
	v_mfma_f32_16x16x16_bf16 a[20:23], v[176:177], v[36:37], 0
	global_load_dwordx4 v[34:37], v151, s[36:37]
	v_mfma_f32_16x16x16_bf16 a[24:27], v[176:177], v[38:39], 0
	v_mfma_f32_16x16x16_bf16 a[28:31], v[176:177], v[40:41], 0
	global_load_dwordx4 v[38:41], v89, s[36:37]
	v_mfma_f32_16x16x16_bf16 a[0:3], v[178:179], v[162:163], a[0:3]
	v_mfma_f32_16x16x16_bf16 a[4:7], v[178:179], v[166:167], a[4:7]
	;; [unrolled: 1-line block ×8, first 2 shown]
	ds_read2st64_b64 v[176:179], v138 offset1:8
	ds_read2st64_b64 v[180:183], v139 offset1:8
	ds_read_b64 v[196:197], v146 offset:40960
	s_waitcnt lgkmcnt(2)
	v_mov_b32_e32 v184, v176
	v_mfma_f32_16x16x16_bf16 a[16:19], v[186:187], v[160:161], a[16:19]
	v_mov_b32_e32 v185, v177
	v_mfma_f32_16x16x16_bf16 a[20:23], v[186:187], v[164:165], a[20:23]
	v_mfma_f32_16x16x16_bf16 a[24:27], v[186:187], v[168:169], a[24:27]
	;; [unrolled: 1-line block ×3, first 2 shown]
	v_add_co_u32_e32 v172, vcc, s41, v198
	s_waitcnt lgkmcnt(1)
	v_mov_b32_e32 v186, v180
	s_waitcnt lgkmcnt(0)
	v_mfma_f32_16x16x16_bf16 a[16:19], v[196:197], v[162:163], a[16:19]
	ds_read2st64_b64 v[160:163], v138 offset0:16 offset1:24
	v_addc_co_u32_e32 v173, vcc, 0, v199, vcc
	v_mfma_f32_16x16x16_bf16 a[32:35], v[196:197], v[166:167], a[20:23]
	ds_read2st64_b64 v[164:167], v139 offset0:16 offset1:24
	v_mov_b32_e32 v187, v181
	v_mov_b32_e32 v180, v178
	v_mfma_f32_16x16x16_bf16 a[24:27], v[196:197], v[170:171], a[24:27]
	v_mov_b32_e32 v181, v179
	s_waitcnt lgkmcnt(0)
	v_mov_b32_e32 v170, v164
	v_mov_b32_e32 v171, v165
	v_mfma_f32_16x16x16_bf16 a[36:39], v[196:197], v[174:175], a[28:31]
	v_mov_b32_e32 v164, v162
	v_mov_b32_e32 v165, v163
	;; [unrolled: 1-line block ×3, first 2 shown]
	v_mfma_f32_16x16x16_bf16 a[20:23], v[194:195], v[42:43], a[16:19]
	v_add_co_u32_e32 v42, vcc, s43, v198
	v_mov_b32_e32 v169, v161
	v_mfma_f32_16x16x16_bf16 a[28:31], v[194:195], v[188:189], a[32:35]
	v_addc_co_u32_e32 v43, vcc, 0, v199, vcc
	global_store_dwordx4 v[42:43], v[164:167], off
	v_mfma_f32_16x16x16_bf16 a[16:19], v[194:195], v[190:191], a[24:27]
	s_waitcnt vmcnt(2)
	v_mov_b32_e32 v44, v37
	v_mov_b32_e32 v43, v36
	;; [unrolled: 1-line block ×3, first 2 shown]
	v_mfma_f32_16x16x16_bf16 a[24:27], v[194:195], v[192:193], a[36:39]
	s_and_b64 vcc, exec, s[0:1]
	global_store_dwordx4 v[198:199], v[184:187], off
	global_store_dwordx4 v[172:173], v[180:183], off offset:-4096
	global_store_dwordx4 v[172:173], v[168:171], off
	s_cbranch_vccnz .LBB17_16
; %bb.15:                               ;   in Loop: Header=BB17_6 Depth=1
	v_lshrrev_b32_e32 v35, 3, v157
	v_and_b32_e32 v35, 6, v35
	v_xor_b32_e32 v36, v35, v158
	v_lshlrev_b32_e32 v36, 2, v36
	v_and_b32_e32 v37, 8, v157
	v_xor_b32_e32 v157, 0x440, v36
	v_cmp_eq_u32_e32 vcc, 0, v37
	v_perm_b32 v37, v22, v18, s64
	s_nop 0
	v_cndmask_b32_e32 v36, v157, v36, vcc
	v_lshl_or_b32 v35, v35, 10, v36
	v_perm_b32 v36, v30, v26, s64
	s_barrier
	ds_write2st64_b32 v35, v36, v37 offset0:128 offset1:160
	v_xor_b32_e32 v36, 8, v35
	v_perm_b32 v26, v30, v26, s65
	v_perm_b32 v18, v22, v18, s65
	v_add_u32_e32 v22, 0x80, v36
	ds_write2st64_b32 v22, v26, v18 offset0:128 offset1:160
	v_xor_b32_e32 v18, 16, v35
	v_perm_b32 v22, v31, v27, s64
	v_perm_b32 v26, v23, v19, s64
	ds_write2st64_b32 v18, v22, v26 offset0:129 offset1:161
	v_xor_b32_e32 v18, 24, v35
	v_perm_b32 v22, v31, v27, s65
	v_perm_b32 v19, v23, v19, s65
	v_add_u32_e32 v18, 0x80, v18
	ds_write2st64_b32 v18, v22, v19 offset0:129 offset1:161
	v_xor_b32_e32 v18, 32, v35
	v_perm_b32 v19, v32, v28, s64
	v_perm_b32 v22, v24, v20, s64
	;; [unrolled: 9-line block ×3, first 2 shown]
	ds_write2st64_b32 v18, v19, v20 offset0:131 offset1:163
	v_xor_b32_e32 v18, 56, v35
	v_perm_b32 v19, v33, v29, s65
	v_perm_b32 v20, v25, v21, s65
	v_add_u32_e32 v18, 0x80, v18
	ds_write2st64_b32 v18, v19, v20 offset0:131 offset1:163
	ds_write_b64 v156, v[14:15] offset:49152
	v_xor_b32_e32 v14, 8, v156
	ds_write_b64 v14, v[16:17] offset:49152
	ds_write_b64 v156, v[10:11] offset:57344
	;; [unrolled: 1-line block ×4, first 2 shown]
	v_xor_b32_e32 v6, 8, v155
	ds_write_b64 v6, v[8:9] offset:49152
	ds_write_b64 v155, v[2:3] offset:57344
	;; [unrolled: 1-line block ×3, first 2 shown]
.LBB17_16:                              ;   in Loop: Header=BB17_6 Depth=1
	v_exp_f32_e32 v36, s46
	s_waitcnt vmcnt(4)
	v_exp_f32_e32 v38, v38
	v_exp_f32_e32 v39, v39
	;; [unrolled: 1-line block ×4, first 2 shown]
	v_accvgpr_read_b32 v5, a3
	v_accvgpr_read_b32 v4, a2
	v_accvgpr_read_b32 v3, a1
	v_accvgpr_read_b32 v2, a0
	v_pk_mul_f32 v[38:39], v[36:37], v[38:39] op_sel_hi:[0,1]
	v_pk_mul_f32 v[40:41], v[36:37], v[40:41] op_sel_hi:[0,1]
	v_pk_fma_f32 v[82:83], v[82:83], v[38:39], v[2:3]
	v_pk_fma_f32 v[86:87], v[86:87], v[40:41], v[4:5]
	v_exp_f32_e32 v2, v34
	v_exp_f32_e32 v3, v42
	;; [unrolled: 1-line block ×4, first 2 shown]
	v_accvgpr_read_b32 v9, a7
	v_accvgpr_read_b32 v13, a11
	v_accvgpr_read_b32 v17, a15
	v_accvgpr_read_b32 v18, a20
	v_accvgpr_read_b32 v22, a28
	v_accvgpr_read_b32 v29, a19
	v_accvgpr_read_b32 v33, a27
	v_accvgpr_read_b32 v8, a6
	v_accvgpr_read_b32 v7, a5
	v_accvgpr_read_b32 v6, a4
	v_accvgpr_read_b32 v12, a10
	v_accvgpr_read_b32 v11, a9
	v_accvgpr_read_b32 v10, a8
	v_accvgpr_read_b32 v16, a14
	v_accvgpr_read_b32 v15, a13
	v_accvgpr_read_b32 v14, a12
	v_accvgpr_read_b32 v19, a21
	v_accvgpr_read_b32 v20, a22
	v_accvgpr_read_b32 v21, a23
	v_accvgpr_read_b32 v23, a29
	v_accvgpr_read_b32 v24, a30
	v_accvgpr_read_b32 v25, a31
	v_accvgpr_read_b32 v28, a18
	v_accvgpr_read_b32 v27, a17
	v_accvgpr_read_b32 v26, a16
	v_accvgpr_read_b32 v32, a26
	v_accvgpr_read_b32 v31, a25
	v_accvgpr_read_b32 v30, a24
	v_pk_mul_f32 v[2:3], v[36:37], v[2:3] op_sel_hi:[0,1]
	v_pk_mul_f32 v[4:5], v[36:37], v[4:5] op_sel_hi:[0,1]
	s_add_i32 s61, s61, 64
	v_pk_fma_f32 v[74:75], v[38:39], v[74:75], v[6:7]
	v_pk_fma_f32 v[78:79], v[40:41], v[78:79], v[8:9]
	;; [unrolled: 1-line block ×13, first 2 shown]
	s_cmp_eq_u32 s55, s67
	v_pk_fma_f32 v[60:61], v[4:5], v[60:61], v[32:33]
	s_cbranch_scc1 .LBB17_18
; %bb.17:                               ;   in Loop: Header=BB17_6 Depth=1
	s_mov_b32 s66, s67
	s_branch .LBB17_6
.LBB17_18:
	s_lshl_b32 s0, s55, 6
	s_sub_i32 s46, s56, s0
	s_cmp_gt_i32 s46, 0
	s_cbranch_scc0 .LBB17_99
; %bb.19:
	s_add_i32 s34, s0, s34
	s_ashr_i32 s3, s34, 31
	s_cmpk_lg_i32 s31, 0x80
	s_cselect_b64 s[38:39], -1, 0
	s_and_b64 vcc, exec, s[38:39]
	s_cbranch_vccz .LBB17_21
; %bb.20:
	s_mul_i32 s1, s34, s30
	s_ashr_i32 s4, s57, 31
	s_mul_hi_i32 s0, s34, s30
	s_add_u32 s44, s1, s57
	s_addc_u32 s45, s0, s4
	s_cbranch_execz .LBB17_22
	s_branch .LBB17_23
.LBB17_21:
                                        ; implicit-def: $sgpr44_sgpr45
.LBB17_22:
	s_mul_i32 s1, s57, s28
	s_mul_hi_i32 s0, s57, s28
	s_add_u32 s44, s1, s34
	s_addc_u32 s45, s0, s3
.LBB17_23:
	s_waitcnt lgkmcnt(0)
	s_add_i32 s4, s55, s60
	s_add_u32 s0, s59, s34
	v_lshlrev_b32_e32 v6, 6, v102
	v_lshlrev_b32_e32 v25, 2, v99
	s_addc_u32 s1, s58, s3
	s_mov_b32 s3, 0x7060302
	v_or_b32_e32 v9, v6, v25
	v_xor_b32_e32 v7, v102, v25
	v_perm_b32 v3, v87, v86, s3
	v_perm_b32 v2, v83, v82, s3
	;; [unrolled: 1-line block ×4, first 2 shown]
	v_lshlrev_b32_e32 v9, 1, v9
	v_xor_b32_e32 v8, v103, v25
	ds_write2st64_b64 v9, v[2:3], v[4:5] offset0:32 offset1:48
	v_lshlrev_b32_e32 v7, 1, v7
	v_lshlrev_b32_e32 v9, 8, v99
	v_or_b32_e32 v10, v7, v9
	v_lshlrev_b32_e32 v8, 1, v8
	ds_write_b64 v10, v[2:3]
	v_or_b32_e32 v2, v8, v9
	v_or_b32_e32 v9, 16, v99
	v_lshlrev_b32_e32 v23, 2, v9
	v_or_b32_e32 v10, v6, v23
	ds_write_b64 v2, v[4:5]
	v_perm_b32 v3, v79, v78, s3
	v_perm_b32 v2, v75, v74, s3
	;; [unrolled: 1-line block ×4, first 2 shown]
	v_lshlrev_b32_e32 v10, 1, v10
	v_lshlrev_b32_e32 v9, 8, v9
	ds_write2st64_b64 v10, v[2:3], v[4:5] offset0:32 offset1:48
	v_or_b32_e32 v10, v7, v9
	ds_write_b64 v10, v[2:3]
	v_or_b32_e32 v2, v8, v9
	v_or_b32_e32 v9, 32, v99
	v_lshlrev_b32_e32 v22, 2, v9
	v_or_b32_e32 v10, v6, v22
	ds_write_b64 v2, v[4:5]
	v_perm_b32 v3, v71, v70, s3
	v_perm_b32 v2, v67, v66, s3
	;; [unrolled: 1-line block ×4, first 2 shown]
	v_lshlrev_b32_e32 v10, 1, v10
	v_lshlrev_b32_e32 v9, 8, v9
	s_lshl_b64 s[36:37], s[0:1], 8
	ds_write2st64_b64 v10, v[2:3], v[4:5] offset0:32 offset1:48
	v_or_b32_e32 v10, v7, v9
	s_add_u32 s0, s18, s36
	ds_write_b64 v10, v[2:3]
	v_or_b32_e32 v2, v8, v9
	s_addc_u32 s1, s19, s37
	ds_write_b64 v2, v[4:5]
	v_perm_b32 v3, v63, v62, s3
	v_perm_b32 v2, v59, v58, s3
	;; [unrolled: 1-line block ×4, first 2 shown]
	v_or_b32_e32 v9, 48, v99
	s_mul_hi_i32 s3, s4, s29
	s_mul_i32 s4, s4, s29
	v_lshlrev_b32_e32 v19, 2, v9
	s_add_u32 s4, s4, s33
	v_or_b32_e32 v6, v6, v19
	s_addc_u32 s5, s3, s48
	v_lshlrev_b32_e32 v6, 1, v6
	s_ashr_i32 s3, s2, 31
	s_lshl_b64 s[4:5], s[4:5], 15
	ds_write2st64_b64 v6, v[2:3], v[4:5] offset0:32 offset1:48
	v_lshlrev_b32_e32 v6, 8, v9
	s_add_u32 s4, s12, s4
	v_or_b32_e32 v7, v7, v6
	s_addc_u32 s5, s13, s5
	s_lshl_b64 s[2:3], s[2:3], 8
	ds_write_b64 v7, v[2:3]
	v_or_b32_e32 v2, v8, v6
	s_add_u32 s2, s4, s2
	v_lshlrev_b32_e32 v3, 1, v99
	ds_write_b64 v2, v[4:5]
	v_lshrrev_b32_e32 v2, 4, v0
	s_addc_u32 s3, s5, s3
	v_or_b32_e32 v4, 1, v3
	v_lshlrev_b32_e32 v10, 4, v99
	v_mov_b32_e32 v11, 0
	v_xor_b32_e32 v3, v2, v3
	v_xor_b32_e32 v6, v4, v2
	v_lshl_add_u64 v[12:13], s[2:3], 0, v[10:11]
	v_lshlrev_b32_e32 v10, 8, v2
	v_lshl_or_b32 v16, v3, 3, v10
	v_lshl_or_b32 v17, v6, 3, v10
	s_waitcnt lgkmcnt(0)
	s_barrier
	ds_read2st64_b64 v[2:5], v16 offset1:8
	ds_read2st64_b64 v[6:9], v17 offset1:8
	v_lshl_add_u64 v[14:15], v[12:13], 0, v[10:11]
	s_movk_i32 s2, 0x2000
	s_cmp_lg_u32 s46, 64
	s_waitcnt lgkmcnt(1)
	v_mov_b32_e32 v10, v2
	v_mov_b32_e32 v11, v3
	s_waitcnt lgkmcnt(0)
	v_mov_b32_e32 v12, v6
	v_mov_b32_e32 v13, v7
	global_store_dwordx4 v[14:15], v[10:13], off
	v_mov_b32_e32 v6, v4
	v_mov_b32_e32 v7, v5
	ds_read2st64_b64 v[2:5], v16 offset0:16 offset1:24
	ds_read2st64_b64 v[10:13], v17 offset0:16 offset1:24
	v_add_co_u32_e32 v16, vcc, s2, v14
	s_cselect_b64 s[18:19], -1, 0
	s_nop 0
	v_addc_co_u32_e32 v17, vcc, 0, v15, vcc
	global_store_dwordx4 v[16:17], v[6:9], off offset:-4096
	v_lshl_or_b32 v30, v1, 3, v101
	s_mov_b32 s4, 0
	s_waitcnt lgkmcnt(1)
	v_mov_b32_e32 v6, v2
	v_add_co_u32_e32 v2, vcc, 0x3000, v14
	v_mov_b32_e32 v7, v3
	s_nop 0
	v_addc_co_u32_e32 v3, vcc, 0, v15, vcc
	s_waitcnt lgkmcnt(0)
	v_mov_b32_e32 v8, v10
	v_mov_b32_e32 v9, v11
	;; [unrolled: 1-line block ×4, first 2 shown]
	v_or_b32_e32 v20, 32, v30
	v_and_b32_e32 v18, 56, v100
	s_and_b64 vcc, exec, s[18:19]
	global_store_dwordx4 v[16:17], v[6:9], off
	global_store_dwordx4 v[2:3], v[10:13], off
	s_cbranch_vccz .LBB17_29
; %bb.24:
	s_mov_b32 s6, s4
	s_mov_b32 s7, s4
	;; [unrolled: 1-line block ×3, first 2 shown]
	v_mov_b64_e32 v[8:9], s[6:7]
	v_mov_b64_e32 v[6:7], s[4:5]
	;; [unrolled: 1-line block ×3, first 2 shown]
	v_cmp_gt_i32_e32 vcc, s46, v30
	v_mov_b64_e32 v[4:5], v[8:9]
	s_and_saveexec_b64 s[2:3], vcc
	s_cbranch_execz .LBB17_26
; %bb.25:
	v_lshlrev_b32_e32 v2, 8, v30
	v_mov_b32_e32 v3, 0
	v_lshl_add_u64 v[4:5], s[0:1], 0, v[2:3]
	v_lshlrev_b32_e32 v2, 1, v18
	v_lshl_add_u64 v[10:11], v[4:5], 0, v[2:3]
	global_load_dwordx4 v[6:9], v[10:11], off
	global_load_dwordx4 v[2:5], v[10:11], off offset:128
.LBB17_26:
	s_or_b64 exec, exec, s[2:3]
	s_mov_b32 s6, s4
	s_mov_b32 s7, s4
	;; [unrolled: 1-line block ×3, first 2 shown]
	v_mov_b64_e32 v[16:17], s[6:7]
	v_mov_b64_e32 v[14:15], s[4:5]
	;; [unrolled: 1-line block ×3, first 2 shown]
	v_cmp_gt_i32_e32 vcc, s46, v20
	v_lshlrev_b32_e32 v21, 7, v20
	v_mov_b64_e32 v[12:13], v[16:17]
	s_and_saveexec_b64 s[2:3], vcc
	s_cbranch_execz .LBB17_28
; %bb.27:
	v_lshlrev_b32_e32 v10, 1, v21
	v_mov_b32_e32 v11, 0
	v_lshl_add_u64 v[12:13], s[0:1], 0, v[10:11]
	v_lshlrev_b32_e32 v10, 1, v18
	v_lshl_add_u64 v[26:27], v[12:13], 0, v[10:11]
	global_load_dwordx4 v[14:17], v[26:27], off
	global_load_dwordx4 v[10:13], v[26:27], off offset:128
.LBB17_28:
	s_or_b64 exec, exec, s[2:3]
	v_lshrrev_b32_e32 v24, 3, v18
	v_lshlrev_b32_e32 v26, 3, v30
	v_or_b32_e32 v24, v26, v24
	v_lshlrev_b32_e32 v24, 4, v24
	v_and_b32_e32 v26, 0x78, v26
	v_xor_b32_e32 v24, v24, v26
	s_branch .LBB17_31
.LBB17_29:
                                        ; implicit-def: $vgpr24
                                        ; implicit-def: $vgpr21
                                        ; implicit-def: $vgpr6_vgpr7_vgpr8_vgpr9
                                        ; implicit-def: $vgpr2_vgpr3_vgpr4_vgpr5
                                        ; implicit-def: $vgpr14_vgpr15_vgpr16_vgpr17
                                        ; implicit-def: $vgpr10_vgpr11_vgpr12_vgpr13
	s_cbranch_execz .LBB17_31
; %bb.30:
	s_waitcnt vmcnt(0)
	v_lshlrev_b32_e32 v2, 1, v18
	v_lshl_or_b32 v21, v30, 8, v2
	s_and_b32 s1, s1, 0xffff
	s_mov_b32 s3, 0x20000
	s_movk_i32 s2, 0x4000
	v_lshl_or_b32 v24, v20, 8, v2
	s_movk_i32 s4, 0x80
	buffer_load_dwordx4 v[6:9], v21, s[0:3], 0 offen
	buffer_load_dwordx4 v[2:5], v21, s[0:3], s4 offen
	;; [unrolled: 1-line block ×4, first 2 shown]
	v_lshrrev_b32_e32 v21, 3, v18
	v_lshlrev_b32_e32 v24, 3, v30
	v_or_b32_e32 v21, v24, v21
	v_lshlrev_b32_e32 v21, 4, v21
	v_and_b32_e32 v24, 0x78, v24
	v_xor_b32_e32 v24, v21, v24
	v_lshlrev_b32_e32 v21, 7, v20
.LBB17_31:
	s_movk_i32 s0, 0x1000
	v_and_or_b32 v20, v21, s0, v24
	s_waitcnt vmcnt(1)
	ds_write_b64 v24, v[6:7] offset:49152
	v_xor_b32_e32 v6, 8, v24
	ds_write_b64 v6, v[8:9] offset:49152
	s_waitcnt vmcnt(0)
	ds_write_b64 v24, v[2:3] offset:57344
	ds_write_b64 v6, v[4:5] offset:57344
	;; [unrolled: 1-line block ×3, first 2 shown]
	v_xor_b32_e32 v2, 8, v20
	ds_write_b64 v2, v[16:17] offset:49152
	ds_write_b64 v20, v[10:11] offset:57344
	;; [unrolled: 1-line block ×3, first 2 shown]
	v_or_b32_e32 v2, v45, v99
	v_lshlrev_b32_e32 v2, 3, v2
	v_lshrrev_b32_e32 v3, 5, v47
	s_movk_i32 s0, 0xf8
	v_and_or_b32 v3, v2, s0, v3
	v_lshlrev_b32_e32 v7, 4, v3
	v_lshlrev_b32_e32 v24, 11, v1
	v_and_b32_e32 v8, 0x78, v2
	v_or_b32_e32 v10, 32, v7
	v_and_b32_e32 v6, 0x1000, v24
	v_lshrrev_b32_e32 v3, 1, v47
	v_xor_b32_e32 v10, v10, v8
	v_xor_b32_e32 v2, v7, v8
	v_and_b32_e32 v9, 8, v3
	v_or_b32_e32 v10, v10, v6
	v_or_b32_e32 v2, v2, v6
	v_xor_b32_e32 v32, v10, v9
	v_or_b32_e32 v10, 64, v7
	v_xor_b32_e32 v31, v2, v9
	v_xor_b32_e32 v10, v10, v8
	s_waitcnt lgkmcnt(0)
	s_barrier
	v_or_b32_e32 v13, v10, v6
	ds_read_b64 v[10:11], v31 offset:49152
	v_lshl_or_b32 v14, v98, 8, v25
	v_lshlrev_b32_e32 v26, 1, v14
	v_add_u32_e32 v12, 0x4000, v26
	ds_read2_b64 v[2:5], v12 offset1:16
	v_or_b32_e32 v7, 0x60, v7
	v_xor_b32_e32 v7, v7, v8
	v_or_b32_e32 v6, v7, v6
	v_xor_b32_e32 v33, v13, v9
	v_xor_b32_e32 v34, v6, v9
	ds_read_b64 v[20:21], v32 offset:49152
	ds_read_b64 v[36:37], v33 offset:49152
	;; [unrolled: 1-line block ×3, first 2 shown]
	s_waitcnt lgkmcnt(3)
	v_mfma_f32_16x16x16_bf16 a[0:3], v[10:11], v[2:3], 0
	ds_read2st64_b64 v[6:9], v26 offset0:36 offset1:40
	s_lshl_b64 s[0:1], s[44:45], 8
	s_add_u32 s4, s16, s0
	v_mfma_f32_16x16x16_bf16 a[4:7], v[10:11], v[4:5], 0
	ds_read2_b64 v[2:5], v12 offset0:32 offset1:48
	s_addc_u32 s5, s17, s1
	s_add_i32 s0, s50, s49
	s_waitcnt lgkmcnt(0)
	v_mfma_f32_16x16x16_bf16 a[8:11], v[10:11], v[2:3], 0
	v_or_b32_e32 v2, 64, v14
	v_lshlrev_b32_e32 v27, 1, v2
	s_add_i32 s17, s35, -1
	v_mfma_f32_16x16x16_bf16 a[12:15], v[10:11], v[4:5], 0
	ds_read2st64_b64 v[2:5], v27 offset0:36 offset1:40
	s_add_i32 s43, s0, s51
	s_add_i32 s0, s53, s52
	v_mfma_f32_16x16x16_bf16 a[0:3], v[20:21], v[6:7], a[0:3]
	v_or_b32_e32 v6, 0x80, v14
	v_lshlrev_b32_e32 v28, 1, v6
	ds_read2st64_b64 v[10:13], v28 offset0:36 offset1:40
	s_waitcnt lgkmcnt(1)
	v_mfma_f32_16x16x16_bf16 a[4:7], v[20:21], v[2:3], a[4:7]
	v_or_b32_e32 v2, 0xc0, v14
	v_lshlrev_b32_e32 v29, 1, v2
	ds_read2st64_b64 v[14:17], v29 offset0:36 offset1:40
	s_add_i32 s41, s0, s54
	s_ashr_i32 s0, s17, 31
	s_mul_i32 s1, s17, s11
	s_mul_hi_u32 s2, s17, s10
	s_add_i32 s1, s2, s1
	s_mul_i32 s0, s0, s10
	s_waitcnt lgkmcnt(1)
	v_mfma_f32_16x16x16_bf16 a[8:11], v[20:21], v[10:11], a[8:11]
	s_add_i32 s1, s1, s0
	s_lshl_b64 s[2:3], s[42:43], 2
	s_add_u32 s6, s22, s2
	s_waitcnt lgkmcnt(0)
	v_mfma_f32_16x16x16_bf16 a[12:15], v[20:21], v[14:15], a[12:15]
	s_addc_u32 s7, s23, s3
	s_lshl_b64 s[2:3], s[40:41], 2
	s_mul_i32 s0, s17, s10
	v_mfma_f32_16x16x16_bf16 a[0:3], v[36:37], v[8:9], a[0:3]
	ds_read_b64 v[2:3], v26 offset:22528
	s_add_u32 s12, s6, s2
	s_addc_u32 s13, s7, s3
	v_mfma_f32_16x16x16_bf16 a[4:7], v[36:37], v[4:5], a[4:7]
	ds_read_b64 v[4:5], v27 offset:22528
	ds_read_b64 v[6:7], v28 offset:22528
	;; [unrolled: 1-line block ×3, first 2 shown]
	s_lshl_b64 s[0:1], s[0:1], 2
	s_add_u32 s0, s12, s0
	v_mfma_f32_16x16x16_bf16 a[8:11], v[36:37], v[12:13], a[8:11]
	s_addc_u32 s1, s13, s1
	s_load_dword s16, s[0:1], 0x0
	s_and_b64 vcc, exec, s[38:39]
	v_mfma_f32_16x16x16_bf16 a[12:15], v[36:37], v[16:17], a[12:15]
	s_waitcnt lgkmcnt(0)
	v_mfma_f32_16x16x16_bf16 a[0:3], v[38:39], v[2:3], a[0:3]
	v_mfma_f32_16x16x16_bf16 a[4:7], v[38:39], v[4:5], a[4:7]
	;; [unrolled: 1-line block ×4, first 2 shown]
	s_cbranch_vccz .LBB17_42
; %bb.32:
	v_lshlrev_b32_e32 v20, 1, v30
	s_and_b64 vcc, exec, s[18:19]
	s_cbranch_vccz .LBB17_43
; %bb.33:
	v_cmp_gt_i32_e32 vcc, s46, v20
	v_mov_b32_e32 v6, 0
	v_mov_b32_e32 v2, 0
	;; [unrolled: 1-line block ×5, first 2 shown]
	s_and_saveexec_b64 s[0:1], vcc
	s_cbranch_execz .LBB17_35
; %bb.34:
	v_mad_i64_i32 v[2:3], s[2:3], s31, v20, 0
	v_lshl_add_u64 v[2:3], v[2:3], 1, s[4:5]
	v_lshlrev_b32_e32 v4, 1, v18
	v_mov_b32_e32 v5, 0
	v_lshl_add_u64 v[2:3], v[2:3], 0, v[4:5]
	global_load_dwordx4 v[2:5], v[2:3], off
.LBB17_35:
	s_or_b64 exec, exec, s[0:1]
	v_or_b32_e32 v21, 1, v20
	v_cmp_gt_i32_e64 s[0:1], s46, v21
	v_mov_b32_e32 v7, 0
	v_mov_b32_e32 v8, 0
	;; [unrolled: 1-line block ×3, first 2 shown]
	s_and_saveexec_b64 s[2:3], s[0:1]
	s_cbranch_execz .LBB17_37
; %bb.36:
	v_mad_i64_i32 v[6:7], s[6:7], s31, v21, 0
	v_lshl_add_u64 v[6:7], v[6:7], 1, s[4:5]
	v_lshlrev_b32_e32 v8, 1, v18
	v_mov_b32_e32 v9, 0
	v_lshl_add_u64 v[6:7], v[6:7], 0, v[8:9]
	global_load_dwordx4 v[6:9], v[6:7], off
.LBB17_37:
	s_or_b64 exec, exec, s[2:3]
	v_mov_b32_e32 v17, 0
	v_mov_b32_e32 v10, 0
	;; [unrolled: 1-line block ×5, first 2 shown]
	s_and_saveexec_b64 s[2:3], vcc
	s_cbranch_execz .LBB17_39
; %bb.38:
	v_mad_i64_i32 v[10:11], s[6:7], s31, v20, 0
	v_lshl_add_u64 v[10:11], v[10:11], 1, s[4:5]
	v_lshlrev_b32_e32 v12, 1, v18
	v_mov_b32_e32 v13, 0
	v_lshl_add_u64 v[10:11], v[10:11], 0, v[12:13]
	global_load_dwordx4 v[10:13], v[10:11], off offset:128
.LBB17_39:
	s_or_b64 exec, exec, s[2:3]
	v_mov_b32_e32 v16, 0
	v_mov_b32_e32 v15, 0
	;; [unrolled: 1-line block ×3, first 2 shown]
	s_and_saveexec_b64 s[2:3], s[0:1]
	s_cbranch_execz .LBB17_41
; %bb.40:
	v_mad_i64_i32 v[14:15], s[0:1], s31, v21, 0
	v_lshl_add_u64 v[14:15], v[14:15], 1, s[4:5]
	v_lshlrev_b32_e32 v16, 1, v18
	v_mov_b32_e32 v17, 0
	v_lshl_add_u64 v[14:15], v[14:15], 0, v[16:17]
	global_load_dwordx4 v[14:17], v[14:15], off offset:128
.LBB17_41:
	s_or_b64 exec, exec, s[2:3]
	s_branch .LBB17_45
.LBB17_42:
                                        ; implicit-def: $vgpr5
                                        ; implicit-def: $vgpr9
                                        ; implicit-def: $vgpr13
                                        ; implicit-def: $vgpr17
	v_lshrrev_b32_e32 v35, 2, v47
	s_branch .LBB17_46
.LBB17_43:
                                        ; implicit-def: $vgpr5
                                        ; implicit-def: $vgpr9
                                        ; implicit-def: $vgpr13
                                        ; implicit-def: $vgpr17
	s_cbranch_execz .LBB17_45
; %bb.44:
	s_waitcnt vmcnt(0)
	v_mad_u64_u32 v[2:3], s[0:1], v20, s31, v[18:19]
	v_lshlrev_b32_e32 v20, 1, v2
	s_lshl_b32 s2, s31, 7
	s_and_b32 s1, s5, 0xffff
	s_mov_b32 s3, 0x20000
	s_mov_b32 s0, s4
	v_add_lshl_u32 v21, v2, s31, 1
	s_movk_i32 s6, 0x80
	buffer_load_dwordx4 v[2:5], v20, s[0:3], 0 offen
	buffer_load_dwordx4 v[10:13], v20, s[0:3], s6 offen
	;; [unrolled: 1-line block ×4, first 2 shown]
.LBB17_45:
	v_lshrrev_b32_e32 v35, 2, v47
	s_cbranch_execnz .LBB17_58
.LBB17_46:
	s_and_b64 vcc, exec, s[18:19]
	s_cbranch_vccz .LBB17_56
; %bb.47:
	s_waitcnt vmcnt(0)
	v_lshlrev_b32_e32 v7, 1, v30
	v_cmp_gt_i32_e32 vcc, s46, v7
	v_mov_b32_e32 v6, 0
	v_lshlrev_b32_e32 v14, 9, v30
	v_mov_b32_e32 v2, 0
	v_mov_b32_e32 v3, 0
	;; [unrolled: 1-line block ×4, first 2 shown]
	s_and_saveexec_b64 s[0:1], vcc
	s_cbranch_execz .LBB17_49
; %bb.48:
	v_mov_b32_e32 v15, 0
	v_lshl_add_u64 v[2:3], s[4:5], 0, v[14:15]
	v_lshlrev_b32_e32 v4, 1, v18
	v_mov_b32_e32 v5, v15
	v_lshl_add_u64 v[2:3], v[2:3], 0, v[4:5]
	global_load_dwordx4 v[2:5], v[2:3], off
.LBB17_49:
	s_or_b64 exec, exec, s[0:1]
	v_or_b32_e32 v7, 1, v7
	v_cmp_gt_i32_e64 s[0:1], s46, v7
	v_lshlrev_b32_e32 v20, 8, v7
	v_mov_b32_e32 v7, 0
	v_mov_b32_e32 v8, 0
	;; [unrolled: 1-line block ×3, first 2 shown]
	s_and_saveexec_b64 s[2:3], s[0:1]
	s_cbranch_execz .LBB17_51
; %bb.50:
	v_mov_b32_e32 v21, 0
	v_lshl_add_u64 v[6:7], s[4:5], 0, v[20:21]
	v_lshlrev_b32_e32 v8, 1, v18
	v_mov_b32_e32 v9, v21
	v_lshl_add_u64 v[6:7], v[6:7], 0, v[8:9]
	global_load_dwordx4 v[6:9], v[6:7], off
.LBB17_51:
	s_or_b64 exec, exec, s[2:3]
	v_mov_b32_e32 v17, 0
	v_mov_b32_e32 v10, 0
	;; [unrolled: 1-line block ×5, first 2 shown]
	s_and_saveexec_b64 s[2:3], vcc
	s_cbranch_execz .LBB17_53
; %bb.52:
	v_mov_b32_e32 v15, 0
	v_lshl_add_u64 v[10:11], s[4:5], 0, v[14:15]
	v_lshlrev_b32_e32 v14, 1, v18
	v_lshl_add_u64 v[10:11], v[10:11], 0, v[14:15]
	global_load_dwordx4 v[10:13], v[10:11], off offset:128
.LBB17_53:
	s_or_b64 exec, exec, s[2:3]
	v_mov_b32_e32 v16, 0
	v_mov_b32_e32 v15, 0
	;; [unrolled: 1-line block ×3, first 2 shown]
	s_and_saveexec_b64 s[2:3], s[0:1]
	s_cbranch_execz .LBB17_55
; %bb.54:
	v_mov_b32_e32 v21, 0
	v_lshl_add_u64 v[14:15], s[4:5], 0, v[20:21]
	v_lshlrev_b32_e32 v20, 1, v18
	v_lshl_add_u64 v[14:15], v[14:15], 0, v[20:21]
	global_load_dwordx4 v[14:17], v[14:15], off offset:128
.LBB17_55:
	s_or_b64 exec, exec, s[2:3]
	s_branch .LBB17_58
.LBB17_56:
                                        ; implicit-def: $vgpr5
                                        ; implicit-def: $vgpr9
                                        ; implicit-def: $vgpr13
                                        ; implicit-def: $vgpr17
	s_cbranch_execz .LBB17_58
; %bb.57:
	s_waitcnt vmcnt(0)
	v_lshlrev_b32_e32 v2, 1, v18
	v_lshl_or_b32 v18, v30, 9, v2
	s_and_b32 s5, s5, 0xffff
	s_mov_b32 s7, 0x20000
	s_movk_i32 s6, 0x4000
	s_movk_i32 s0, 0x80
	buffer_load_dwordx4 v[2:5], v18, s[4:7], 0 offen
	buffer_load_dwordx4 v[6:9], v18, s[4:7], 0 offen offset:256
	buffer_load_dwordx4 v[10:13], v18, s[4:7], s0 offen
	buffer_load_dwordx4 v[14:17], v18, s[4:7], s0 offen offset:256
.LBB17_58:
	ds_read_b64 v[20:21], v31 offset:57344
	v_add_u32_e32 v18, 0x6000, v26
	ds_read2_b64 v[36:39], v18 offset1:16
	ds_read_b64 v[94:95], v32 offset:57344
	ds_read_b64 v[96:97], v33 offset:57344
	;; [unrolled: 1-line block ×3, first 2 shown]
	v_and_b32_e32 v31, 6, v0
	v_xor_b32_e32 v30, v30, v31
	v_lshlrev_b32_e32 v30, 2, v30
	s_mov_b32 s0, 0x1000504
	s_mov_b32 s1, 0x3020706
	s_waitcnt lgkmcnt(3)
	v_mfma_f32_16x16x16_bf16 a[0:3], v[20:21], v[36:37], a[0:3]
	v_mfma_f32_16x16x16_bf16 a[4:7], v[20:21], v[38:39], a[4:7]
	ds_read2_b64 v[36:39], v18 offset0:32 offset1:48
	v_and_b32_e32 v18, 12, v35
	ds_read2st64_b64 v[32:35], v26 offset0:52 offset1:56
	s_waitcnt lgkmcnt(1)
	v_mfma_f32_16x16x16_bf16 a[8:11], v[20:21], v[36:37], a[8:11]
	v_mfma_f32_16x16x16_bf16 a[12:15], v[20:21], v[38:39], a[12:15]
	ds_read2st64_b64 v[36:39], v27 offset0:52 offset1:56
	ds_read2st64_b64 v[40:43], v28 offset0:52 offset1:56
	;; [unrolled: 1-line block ×3, first 2 shown]
	s_waitcnt lgkmcnt(3)
	v_mfma_f32_16x16x16_bf16 a[0:3], v[94:95], v[32:33], a[0:3]
	ds_read_b64 v[20:21], v26 offset:30720
	ds_read_b64 v[32:33], v27 offset:30720
	ds_read_b64 v[100:101], v28 offset:30720
	ds_read_b64 v[102:103], v29 offset:30720
	s_waitcnt lgkmcnt(6)
	v_mfma_f32_16x16x16_bf16 a[4:7], v[94:95], v[36:37], a[4:7]
	v_and_b32_e32 v36, 1, v0
	v_xor_b32_e32 v37, 0x440, v30
	v_cmp_eq_u32_e32 vcc, 0, v36
	s_waitcnt lgkmcnt(5)
	v_mfma_f32_16x16x16_bf16 a[8:11], v[94:95], v[40:41], a[8:11]
	v_cndmask_b32_e32 v30, v37, v30, vcc
	v_lshl_or_b32 v30, v31, 10, v30
	s_waitcnt lgkmcnt(4)
	v_mfma_f32_16x16x16_bf16 a[12:15], v[94:95], v[90:91], a[12:15]
	s_waitcnt vmcnt(0)
	v_perm_b32 v31, v2, v6, s0
	v_perm_b32 v2, v2, v6, s1
	;; [unrolled: 1-line block ×3, first 2 shown]
	v_mfma_f32_16x16x16_bf16 a[0:3], v[96:97], v[34:35], a[0:3]
	v_perm_b32 v34, v10, v14, s0
	ds_write2st64_b32 v30, v31, v34 offset0:128 offset1:160
	v_xor_b32_e32 v31, 8, v30
	v_add_u32_e32 v10, 0x80, v31
	ds_write2st64_b32 v10, v2, v6 offset0:128 offset1:160
	v_xor_b32_e32 v2, 16, v30
	v_perm_b32 v6, v3, v7, s0
	v_perm_b32 v10, v11, v15, s0
	v_mfma_f32_16x16x16_bf16 a[4:7], v[96:97], v[38:39], a[4:7]
	ds_write2st64_b32 v2, v6, v10 offset0:129 offset1:161
	v_xor_b32_e32 v2, 24, v30
	v_perm_b32 v3, v3, v7, s1
	v_mfma_f32_16x16x16_bf16 a[16:19], v[96:97], v[42:43], a[8:11]
	v_perm_b32 v6, v11, v15, s1
	v_add_u32_e32 v2, 0x80, v2
	ds_write2st64_b32 v2, v3, v6 offset0:129 offset1:161
	v_mfma_f32_16x16x16_bf16 a[20:23], v[96:97], v[92:93], a[12:15]
	v_xor_b32_e32 v2, 32, v30
	v_perm_b32 v3, v4, v8, s0
	v_perm_b32 v6, v12, v16, s0
	ds_write2st64_b32 v2, v3, v6 offset0:130 offset1:162
	v_xor_b32_e32 v2, 40, v30
	s_waitcnt lgkmcnt(8)
	v_mfma_f32_16x16x16_bf16 a[12:15], v[98:99], v[20:21], a[0:3]
	v_perm_b32 v3, v4, v8, s1
	v_perm_b32 v4, v12, v16, s1
	v_add_u32_e32 v2, 0x80, v2
	s_waitcnt lgkmcnt(7)
	v_mfma_f32_16x16x16_bf16 a[8:11], v[98:99], v[32:33], a[4:7]
	ds_write2st64_b32 v2, v3, v4 offset0:130 offset1:162
	v_xor_b32_e32 v2, 48, v30
	v_perm_b32 v3, v5, v9, s0
	s_waitcnt lgkmcnt(7)
	v_mfma_f32_16x16x16_bf16 a[4:7], v[98:99], v[100:101], a[16:19]
	v_perm_b32 v4, v13, v17, s0
	ds_write2st64_b32 v2, v3, v4 offset0:131 offset1:163
	v_xor_b32_e32 v2, 56, v30
	s_waitcnt lgkmcnt(7)
	v_mfma_f32_16x16x16_bf16 a[0:3], v[98:99], v[102:103], a[20:23]
	v_or_b32_e32 v20, v18, v45
	v_perm_b32 v3, v5, v9, s1
	v_perm_b32 v4, v13, v17, s1
	v_add_u32_e32 v2, 0x80, v2
	v_cmp_gt_i32_e64 s[0:1], s46, v20
	v_mov_b32_e32 v30, 0
	v_mov_b32_e32 v31, 0
	ds_write2st64_b32 v2, v3, v4 offset0:131 offset1:163
	s_and_saveexec_b64 s[2:3], s[0:1]
	s_cbranch_execz .LBB17_60
; %bb.59:
	v_add_u32_e32 v2, s34, v20
	v_ashrrev_i32_e32 v3, 31, v2
	v_mul_lo_u32 v4, v3, s10
	v_mul_lo_u32 v5, v2, s11
	v_mad_u64_u32 v[2:3], s[4:5], v2, s10, 0
	v_add3_u32 v3, v3, v5, v4
	v_lshl_add_u64 v[2:3], v[2:3], 2, s[12:13]
	global_load_dword v2, v[2:3], off
	s_waitcnt vmcnt(0)
	v_sub_f32_e32 v2, s16, v2
	v_exp_f32_e32 v31, v2
.LBB17_60:
	s_or_b64 exec, exec, s[2:3]
	v_or_b32_e32 v14, 1, v20
	v_cmp_gt_i32_e64 s[4:5], s46, v14
	s_and_saveexec_b64 s[2:3], s[4:5]
	s_cbranch_execz .LBB17_62
; %bb.61:
	v_add_u32_e32 v2, s34, v14
	v_ashrrev_i32_e32 v3, 31, v2
	v_mul_lo_u32 v4, v3, s10
	v_mul_lo_u32 v5, v2, s11
	v_mad_u64_u32 v[2:3], s[6:7], v2, s10, 0
	v_add3_u32 v3, v3, v5, v4
	v_lshl_add_u64 v[2:3], v[2:3], 2, s[12:13]
	global_load_dword v2, v[2:3], off
	s_waitcnt vmcnt(0)
	v_sub_f32_e32 v2, s16, v2
	v_exp_f32_e32 v30, v2
.LBB17_62:
	s_or_b64 exec, exec, s[2:3]
	v_or_b32_e32 v10, 2, v20
	v_cmp_gt_i32_e64 s[2:3], s46, v10
	v_mov_b32_e32 v21, 0
	v_mov_b32_e32 v32, 0
	s_and_saveexec_b64 s[6:7], s[2:3]
	s_cbranch_execz .LBB17_64
; %bb.63:
	v_add_u32_e32 v2, s34, v10
	v_ashrrev_i32_e32 v3, 31, v2
	v_mul_lo_u32 v4, v3, s10
	v_mul_lo_u32 v5, v2, s11
	v_mad_u64_u32 v[2:3], s[18:19], v2, s10, 0
	v_add3_u32 v3, v3, v5, v4
	v_lshl_add_u64 v[2:3], v[2:3], 2, s[12:13]
	global_load_dword v2, v[2:3], off
	s_waitcnt vmcnt(0)
	v_sub_f32_e32 v2, s16, v2
	v_exp_f32_e32 v32, v2
.LBB17_64:
	s_or_b64 exec, exec, s[6:7]
	v_or_b32_e32 v11, 3, v20
	v_cmp_gt_i32_e32 vcc, s46, v11
	s_and_saveexec_b64 s[6:7], vcc
	s_cbranch_execz .LBB17_66
; %bb.65:
	v_add_u32_e32 v2, s34, v11
	v_ashrrev_i32_e32 v3, 31, v2
	v_mul_lo_u32 v4, v3, s10
	v_mul_lo_u32 v5, v2, s11
	v_mad_u64_u32 v[2:3], s[10:11], v2, s10, 0
	v_add3_u32 v3, v3, v5, v4
	v_lshl_add_u64 v[2:3], v[2:3], 2, s[12:13]
	global_load_dword v2, v[2:3], off
	s_waitcnt vmcnt(0)
	v_sub_f32_e32 v2, s16, v2
	v_exp_f32_e32 v21, v2
.LBB17_66:
	s_or_b64 exec, exec, s[6:7]
	s_add_u32 s6, s20, s36
	s_addc_u32 s7, s21, s37
	s_add_u32 s10, s14, s36
	v_ashrrev_i32_e32 v89, 31, v88
	v_accvgpr_read_b32 v2, a12
	s_addc_u32 s11, s15, s37
	v_lshlrev_b64 v[6:7], 1, v[88:89]
	v_accvgpr_read_b32 v3, a13
	v_accvgpr_read_b32 v4, a14
	;; [unrolled: 1-line block ×3, first 2 shown]
	v_lshl_add_u64 v[8:9], s[6:7], 0, v[6:7]
	v_lshl_add_u64 v[6:7], s[10:11], 0, v[6:7]
	v_mov_b32_e32 v15, 0
	v_lshlrev_b32_e32 v12, 8, v20
	v_mov_b32_e32 v13, 0
	s_and_saveexec_b64 s[6:7], s[0:1]
	s_cbranch_execz .LBB17_68
; %bb.67:
	v_mov_b32_e32 v13, 0
	v_lshl_add_u64 v[16:17], v[8:9], 0, v[12:13]
	global_load_ushort v33, v[16:17], off
	v_lshl_add_u64 v[16:17], v[6:7], 0, v[12:13]
	s_waitcnt vmcnt(0)
	v_lshlrev_b32_e32 v13, 16, v33
	v_sub_f32_e32 v2, v13, v2
	global_store_short_d16_hi v[16:17], v2, off
	v_mul_f32_e32 v2, v31, v2
	v_lshrrev_b32_e32 v13, 16, v2
.LBB17_68:
	s_or_b64 exec, exec, s[6:7]
	v_lshlrev_b32_e32 v14, 8, v14
	s_and_saveexec_b64 s[6:7], s[4:5]
	s_cbranch_execz .LBB17_70
; %bb.69:
	v_mov_b32_e32 v15, 0
	v_lshl_add_u64 v[16:17], v[8:9], 0, v[14:15]
	global_load_ushort v2, v[16:17], off
	v_lshl_add_u64 v[16:17], v[6:7], 0, v[14:15]
	s_waitcnt vmcnt(0)
	v_lshlrev_b32_e32 v2, 16, v2
	v_sub_f32_e32 v2, v2, v3
	global_store_short_d16_hi v[16:17], v2, off
	v_mul_f32_e32 v2, v30, v2
	v_lshrrev_b32_e32 v15, 16, v2
.LBB17_70:
	s_or_b64 exec, exec, s[6:7]
	v_mov_b32_e32 v34, 0
	v_lshlrev_b32_e32 v16, 8, v10
	v_mov_b32_e32 v17, 0
	s_and_saveexec_b64 s[6:7], s[2:3]
	s_cbranch_execz .LBB17_72
; %bb.71:
	v_mov_b32_e32 v17, 0
	v_lshl_add_u64 v[2:3], v[8:9], 0, v[16:17]
	global_load_ushort v10, v[2:3], off
	v_lshl_add_u64 v[2:3], v[6:7], 0, v[16:17]
	s_waitcnt vmcnt(0)
	v_lshlrev_b32_e32 v10, 16, v10
	v_sub_f32_e32 v4, v10, v4
	global_store_short_d16_hi v[2:3], v4, off
	v_mul_f32_e32 v2, v32, v4
	v_lshrrev_b32_e32 v17, 16, v2
.LBB17_72:
	s_or_b64 exec, exec, s[6:7]
	v_lshlrev_b32_e32 v10, 8, v11
	s_and_saveexec_b64 s[6:7], vcc
	s_cbranch_execz .LBB17_74
; %bb.73:
	v_mov_b32_e32 v11, 0
	v_lshl_add_u64 v[2:3], v[8:9], 0, v[10:11]
	global_load_ushort v4, v[2:3], off
	v_lshl_add_u64 v[2:3], v[6:7], 0, v[10:11]
	s_waitcnt vmcnt(0)
	v_lshlrev_b32_e32 v4, 16, v4
	v_sub_f32_e32 v4, v4, v5
	global_store_short_d16_hi v[2:3], v4, off
	v_mul_f32_e32 v2, v21, v4
	v_lshrrev_b32_e32 v34, 16, v2
.LBB17_74:
	s_or_b64 exec, exec, s[6:7]
	v_lshlrev_b32_e32 v33, 6, v20
	v_accvgpr_read_b32 v2, a8
	s_mov_b32 s6, 0x5040100
	v_or_b32_e32 v11, v33, v25
	v_accvgpr_read_b32 v3, a9
	v_accvgpr_read_b32 v4, a10
	;; [unrolled: 1-line block ×3, first 2 shown]
	v_perm_b32 v35, v34, v17, s6
	v_perm_b32 v34, v15, v13, s6
	v_lshlrev_b32_e32 v11, 1, v11
	v_mov_b32_e32 v15, 0
	v_mov_b32_e32 v13, 0
	ds_write_b64 v11, v[34:35] offset:24576
	s_and_saveexec_b64 s[6:7], s[0:1]
	s_cbranch_execz .LBB17_76
; %bb.75:
	v_mov_b32_e32 v13, 0
	v_lshl_add_u64 v[34:35], v[8:9], 0, v[12:13]
	global_load_ushort v11, v[34:35], off offset:32
	v_lshl_add_u64 v[34:35], v[6:7], 0, v[12:13]
	s_waitcnt vmcnt(0)
	v_lshlrev_b32_e32 v11, 16, v11
	v_sub_f32_e32 v2, v11, v2
	global_store_short_d16_hi v[34:35], v2, off offset:32
	v_mul_f32_e32 v2, v31, v2
	v_lshrrev_b32_e32 v13, 16, v2
.LBB17_76:
	s_or_b64 exec, exec, s[6:7]
	s_and_saveexec_b64 s[6:7], s[4:5]
	s_cbranch_execz .LBB17_78
; %bb.77:
	v_mov_b32_e32 v15, 0
	v_lshl_add_u64 v[34:35], v[8:9], 0, v[14:15]
	global_load_ushort v2, v[34:35], off offset:32
	v_lshl_add_u64 v[34:35], v[6:7], 0, v[14:15]
	s_waitcnt vmcnt(0)
	v_lshlrev_b32_e32 v2, 16, v2
	v_sub_f32_e32 v2, v2, v3
	global_store_short_d16_hi v[34:35], v2, off offset:32
	v_mul_f32_e32 v2, v30, v2
	v_lshrrev_b32_e32 v15, 16, v2
.LBB17_78:
	s_or_b64 exec, exec, s[6:7]
	v_mov_b32_e32 v11, 0
	v_mov_b32_e32 v17, 0
	s_and_saveexec_b64 s[6:7], s[2:3]
	s_cbranch_execz .LBB17_80
; %bb.79:
	v_mov_b32_e32 v17, 0
	v_lshl_add_u64 v[2:3], v[8:9], 0, v[16:17]
	global_load_ushort v25, v[2:3], off offset:32
	v_lshl_add_u64 v[2:3], v[6:7], 0, v[16:17]
	s_waitcnt vmcnt(0)
	v_lshlrev_b32_e32 v17, 16, v25
	v_sub_f32_e32 v4, v17, v4
	global_store_short_d16_hi v[2:3], v4, off offset:32
	v_mul_f32_e32 v2, v32, v4
	v_lshrrev_b32_e32 v17, 16, v2
.LBB17_80:
	s_or_b64 exec, exec, s[6:7]
	s_and_saveexec_b64 s[6:7], vcc
	s_cbranch_execz .LBB17_82
; %bb.81:
	v_mov_b32_e32 v11, 0
	v_lshl_add_u64 v[2:3], v[8:9], 0, v[10:11]
	global_load_ushort v4, v[2:3], off offset:32
	v_lshl_add_u64 v[2:3], v[6:7], 0, v[10:11]
	s_waitcnt vmcnt(0)
	v_lshlrev_b32_e32 v4, 16, v4
	v_sub_f32_e32 v4, v4, v5
	global_store_short_d16_hi v[2:3], v4, off offset:32
	v_mul_f32_e32 v2, v21, v4
	v_lshrrev_b32_e32 v11, 16, v2
.LBB17_82:
	s_or_b64 exec, exec, s[6:7]
	s_mov_b32 s6, 0x5040100
	v_accvgpr_read_b32 v2, a4
	v_perm_b32 v35, v11, v17, s6
	v_or_b32_e32 v11, v33, v23
	v_accvgpr_read_b32 v3, a5
	v_accvgpr_read_b32 v4, a6
	;; [unrolled: 1-line block ×3, first 2 shown]
	v_perm_b32 v34, v15, v13, s6
	v_lshlrev_b32_e32 v11, 1, v11
	v_mov_b32_e32 v15, 0
	v_mov_b32_e32 v13, 0
	ds_write_b64 v11, v[34:35] offset:24576
	s_and_saveexec_b64 s[6:7], s[0:1]
	s_cbranch_execz .LBB17_84
; %bb.83:
	v_mov_b32_e32 v13, 0
	v_lshl_add_u64 v[34:35], v[8:9], 0, v[12:13]
	global_load_ushort v11, v[34:35], off offset:64
	v_lshl_add_u64 v[34:35], v[6:7], 0, v[12:13]
	s_waitcnt vmcnt(0)
	v_lshlrev_b32_e32 v11, 16, v11
	v_sub_f32_e32 v2, v11, v2
	global_store_short_d16_hi v[34:35], v2, off offset:64
	v_mul_f32_e32 v2, v31, v2
	v_lshrrev_b32_e32 v13, 16, v2
.LBB17_84:
	s_or_b64 exec, exec, s[6:7]
	s_and_saveexec_b64 s[6:7], s[4:5]
	s_cbranch_execz .LBB17_86
; %bb.85:
	v_mov_b32_e32 v15, 0
	v_lshl_add_u64 v[34:35], v[8:9], 0, v[14:15]
	global_load_ushort v2, v[34:35], off offset:64
	v_lshl_add_u64 v[34:35], v[6:7], 0, v[14:15]
	s_waitcnt vmcnt(0)
	v_lshlrev_b32_e32 v2, 16, v2
	v_sub_f32_e32 v2, v2, v3
	global_store_short_d16_hi v[34:35], v2, off offset:64
	v_mul_f32_e32 v2, v30, v2
	v_lshrrev_b32_e32 v15, 16, v2
.LBB17_86:
	s_or_b64 exec, exec, s[6:7]
	v_mov_b32_e32 v11, 0
	v_mov_b32_e32 v17, 0
	s_and_saveexec_b64 s[6:7], s[2:3]
	s_cbranch_execz .LBB17_88
; %bb.87:
	v_mov_b32_e32 v17, 0
	v_lshl_add_u64 v[2:3], v[8:9], 0, v[16:17]
	global_load_ushort v23, v[2:3], off offset:64
	v_lshl_add_u64 v[2:3], v[6:7], 0, v[16:17]
	s_waitcnt vmcnt(0)
	v_lshlrev_b32_e32 v17, 16, v23
	v_sub_f32_e32 v4, v17, v4
	global_store_short_d16_hi v[2:3], v4, off offset:64
	v_mul_f32_e32 v2, v32, v4
	v_lshrrev_b32_e32 v17, 16, v2
.LBB17_88:
	s_or_b64 exec, exec, s[6:7]
	s_and_saveexec_b64 s[6:7], vcc
	s_cbranch_execz .LBB17_90
; %bb.89:
	v_mov_b32_e32 v11, 0
	v_lshl_add_u64 v[2:3], v[8:9], 0, v[10:11]
	global_load_ushort v4, v[2:3], off offset:64
	v_lshl_add_u64 v[2:3], v[6:7], 0, v[10:11]
	s_waitcnt vmcnt(0)
	v_lshlrev_b32_e32 v4, 16, v4
	v_sub_f32_e32 v4, v4, v5
	global_store_short_d16_hi v[2:3], v4, off offset:64
	v_mul_f32_e32 v2, v21, v4
	v_lshrrev_b32_e32 v11, 16, v2
.LBB17_90:
	s_or_b64 exec, exec, s[6:7]
	s_mov_b32 s6, 0x5040100
	v_accvgpr_read_b32 v5, a3
	v_perm_b32 v35, v11, v17, s6
	v_or_b32_e32 v11, v33, v22
	v_accvgpr_read_b32 v4, a2
	v_accvgpr_read_b32 v3, a1
	v_accvgpr_read_b32 v2, a0
	v_perm_b32 v34, v15, v13, s6
	v_lshlrev_b32_e32 v11, 1, v11
	v_mov_b32_e32 v15, 0
	v_mov_b32_e32 v13, 0
	ds_write_b64 v11, v[34:35] offset:24576
	s_and_saveexec_b64 s[6:7], s[0:1]
	s_cbranch_execz .LBB17_92
; %bb.91:
	v_mov_b32_e32 v13, 0
	v_lshl_add_u64 v[22:23], v[8:9], 0, v[12:13]
	global_load_ushort v11, v[22:23], off offset:96
	v_lshl_add_u64 v[12:13], v[6:7], 0, v[12:13]
	s_waitcnt vmcnt(0)
	v_lshlrev_b32_e32 v11, 16, v11
	v_sub_f32_e32 v2, v11, v2
	global_store_short_d16_hi v[12:13], v2, off offset:96
	v_mul_f32_e32 v2, v31, v2
	v_lshrrev_b32_e32 v13, 16, v2
.LBB17_92:
	s_or_b64 exec, exec, s[6:7]
	s_and_saveexec_b64 s[0:1], s[4:5]
	s_cbranch_execz .LBB17_94
; %bb.93:
	v_mov_b32_e32 v15, 0
	v_lshl_add_u64 v[22:23], v[8:9], 0, v[14:15]
	global_load_ushort v2, v[22:23], off offset:96
	v_lshl_add_u64 v[14:15], v[6:7], 0, v[14:15]
	s_waitcnt vmcnt(0)
	v_lshlrev_b32_e32 v2, 16, v2
	v_sub_f32_e32 v2, v2, v3
	global_store_short_d16_hi v[14:15], v2, off offset:96
	v_mul_f32_e32 v2, v30, v2
	v_lshrrev_b32_e32 v15, 16, v2
.LBB17_94:
	s_or_b64 exec, exec, s[0:1]
	v_mov_b32_e32 v11, 0
	v_mov_b32_e32 v14, 0
	s_and_saveexec_b64 s[0:1], s[2:3]
	s_cbranch_execz .LBB17_96
; %bb.95:
	v_mov_b32_e32 v17, 0
	v_lshl_add_u64 v[2:3], v[8:9], 0, v[16:17]
	global_load_ushort v12, v[2:3], off offset:96
	v_lshl_add_u64 v[2:3], v[6:7], 0, v[16:17]
	s_waitcnt vmcnt(0)
	v_lshlrev_b32_e32 v12, 16, v12
	v_sub_f32_e32 v4, v12, v4
	global_store_short_d16_hi v[2:3], v4, off offset:96
	v_mul_f32_e32 v2, v32, v4
	v_lshrrev_b32_e32 v14, 16, v2
.LBB17_96:
	s_or_b64 exec, exec, s[0:1]
	v_or_b32_e32 v12, 0x6000, v26
	v_or_b32_e32 v2, 0x6000, v27
	;; [unrolled: 1-line block ×4, first 2 shown]
	s_and_saveexec_b64 s[0:1], vcc
	s_cbranch_execz .LBB17_98
; %bb.97:
	v_mov_b32_e32 v11, 0
	v_lshl_add_u64 v[8:9], v[8:9], 0, v[10:11]
	global_load_ushort v8, v[8:9], off offset:96
	v_lshl_add_u64 v[6:7], v[6:7], 0, v[10:11]
	s_waitcnt vmcnt(0)
	v_lshlrev_b32_e32 v8, 16, v8
	v_sub_f32_e32 v5, v8, v5
	global_store_short_d16_hi v[6:7], v5, off offset:96
	v_mul_f32_e32 v5, v21, v5
	v_lshrrev_b32_e32 v11, 16, v5
.LBB17_98:
	s_or_b64 exec, exec, s[0:1]
	s_mov_b32 s0, 0x5040100
	v_or_b32_e32 v5, v33, v19
	v_perm_b32 v7, v11, v14, s0
	v_perm_b32 v6, v15, v13, s0
	v_lshlrev_b32_e32 v5, 1, v5
	ds_write_b64 v5, v[6:7] offset:24576
	v_and_b32_e32 v5, 7, v0
	v_and_b32_e32 v10, 8, v0
	v_lshlrev_b32_e32 v13, 3, v5
	v_lshlrev_b32_e32 v19, 7, v5
	v_lshrrev_b32_e32 v5, 1, v0
	v_and_b32_e32 v5, 24, v5
	v_mov_b32_e32 v11, 0x400
	v_cmp_eq_u32_e32 vcc, 0, v10
	s_movk_i32 s2, 0x100
	v_lshlrev_b32_e32 v25, 3, v1
	v_cndmask_b32_e64 v21, v11, 64, vcc
	v_mov_b32_e32 v10, 0xa000
	v_mov_b32_e32 v11, 0x8000
	v_cmp_gt_u32_e64 s[0:1], s2, v0
	v_xor_b32_e32 v42, v25, v5
	v_or_b32_e32 v14, 32, v5
	v_cndmask_b32_e64 v0, v10, v11, s[0:1]
	v_or_b32_e32 v10, 0x440, v42
	v_cndmask_b32_e32 v10, v10, v42, vcc
	v_or_b32_e32 v10, v10, v24
	v_xor_b32_e32 v47, v10, v13
	v_xor_b32_e32 v14, v25, v14
	v_add3_u32 v10, v0, v47, v19
	v_or_b32_e32 v15, 0x440, v14
	s_waitcnt lgkmcnt(0)
	s_barrier
	ds_read_b64 v[10:11], v10
	v_cndmask_b32_e32 v14, v15, v14, vcc
	v_or_b32_e32 v14, v14, v24
	v_xor_b32_e32 v90, v14, v13
	v_add3_u32 v14, v0, v90, v19
	ds_read_b64 v[22:23], v14
	ds_read2_b64 v[6:9], v12 offset1:16
	ds_read2_b64 v[14:17], v12 offset0:32 offset1:48
	v_or_b32_e32 v5, 0x60, v5
	v_xor_b32_e32 v5, v25, v5
	s_waitcnt lgkmcnt(1)
	v_mfma_f32_16x16x16_bf16 a[0:3], v[10:11], v[6:7], 0
	ds_read2st64_b64 v[26:29], v12 offset0:4 offset1:8
	ds_read2st64_b64 v[30:33], v2 offset0:4 offset1:8
	;; [unrolled: 1-line block ×4, first 2 shown]
	v_mfma_f32_16x16x16_bf16 a[4:7], v[10:11], v[8:9], 0
	s_mul_i32 s0, s17, s29
	s_mul_hi_i32 s1, s17, s29
	s_add_u32 s0, s0, s33
	s_waitcnt lgkmcnt(4)
	v_mfma_f32_16x16x16_bf16 a[8:11], v[10:11], v[14:15], 0
	s_addc_u32 s1, s1, s48
	s_lshl_b64 s[0:1], s[0:1], 9
	s_add_u32 s0, s8, s0
	v_mfma_f32_16x16x16_bf16 a[12:15], v[10:11], v[16:17], 0
	v_or3_b32 v10, v24, v21, v42
	v_xor_b32_e32 v21, 0x440, v5
	v_cndmask_b32_e32 v5, v21, v5, vcc
	v_xor_b32_e32 v10, v10, v13
	v_or_b32_e32 v5, v5, v24
	v_or_b32_e32 v91, v10, v19
	v_xor_b32_e32 v13, v5, v13
	v_or_b32_e32 v10, v0, v91
	v_add3_u32 v0, v0, v13, v19
	s_waitcnt lgkmcnt(3)
	v_mfma_f32_16x16x16_bf16 a[0:3], v[22:23], v[26:27], a[0:3]
	ds_read_b64 v[10:11], v10
	s_addc_u32 s1, s9, s1
	ds_read_b64 v[24:25], v12 offset:6144
	s_waitcnt lgkmcnt(4)
	v_mfma_f32_16x16x16_bf16 a[4:7], v[22:23], v[30:31], a[4:7]
	s_waitcnt lgkmcnt(3)
	v_mfma_f32_16x16x16_bf16 a[8:11], v[22:23], v[34:35], a[8:11]
	;; [unrolled: 2-line block ×3, first 2 shown]
	ds_read_b64 v[22:23], v0
	v_lshlrev_b32_e32 v0, 2, v20
	ds_read_b64 v[42:43], v2 offset:6144
	ds_read_b64 v[44:45], v3 offset:6144
	;; [unrolled: 1-line block ×3, first 2 shown]
	global_load_dwordx4 v[2:5], v0, s[0:1]
	v_add_u32_e32 v0, v47, v19
	ds_read_b64 v[20:21], v0 offset:40960
	v_lshlrev_b32_e32 v0, 6, v1
	v_lshlrev_b32_e32 v1, 2, v18
	s_waitcnt lgkmcnt(6)
	v_mfma_f32_16x16x16_bf16 a[0:3], v[10:11], v[28:29], a[0:3]
	s_waitcnt vmcnt(0)
	v_exp_f32_e32 v2, v2
	v_mfma_f32_16x16x16_bf16 a[4:7], v[10:11], v[32:33], a[4:7]
	v_exp_f32_e32 v3, v3
	v_exp_f32_e32 v4, v4
	;; [unrolled: 1-line block ×3, first 2 shown]
	v_mfma_f32_16x16x16_bf16 a[8:11], v[10:11], v[36:37], a[8:11]
	v_mfma_f32_16x16x16_bf16 a[12:15], v[10:11], v[40:41], a[12:15]
	v_or3_b32 v10, v0, v1, s2
	v_add_u32_e32 v0, v90, v19
	v_add_u32_e32 v11, v13, v19
	ds_read_b64 v[0:1], v0 offset:40960
	ds_read_b64 v[18:19], v11 offset:40960
	global_load_dwordx4 v[10:13], v10, s[0:1]
	s_waitcnt lgkmcnt(6)
	v_mfma_f32_16x16x16_bf16 a[0:3], v[22:23], v[24:25], a[0:3]
	s_waitcnt lgkmcnt(2)
	v_mfma_f32_16x16x16_bf16 a[16:19], v[20:21], v[6:7], 0
	v_exp_f32_e32 v6, s16
	s_nop 0
	v_pk_mul_f32 v[2:3], v[6:7], v[2:3] op_sel_hi:[0,1]
	v_mfma_f32_16x16x16_bf16 a[20:23], v[20:21], v[8:9], 0
	s_nop 0
	v_accvgpr_read_b32 v9, a3
	v_accvgpr_read_b32 v8, a2
	v_pk_mul_f32 v[4:5], v[6:7], v[4:5] op_sel_hi:[0,1]
	v_mfma_f32_16x16x16_bf16 a[24:27], v[20:21], v[14:15], 0
	v_pk_fma_f32 v[86:87], v[86:87], v[4:5], v[8:9]
	s_waitcnt vmcnt(0)
	v_exp_f32_e32 v8, v10
	v_mfma_f32_16x16x16_bf16 a[28:31], v[20:21], v[16:17], 0
	ds_read_b64 v[20:21], v91 offset:40960
	v_mfma_f32_16x16x16_bf16 a[4:7], v[22:23], v[42:43], a[4:7]
	v_mfma_f32_16x16x16_bf16 a[8:11], v[22:23], v[44:45], a[8:11]
	s_waitcnt lgkmcnt(2)
	v_mfma_f32_16x16x16_bf16 a[16:19], v[0:1], v[26:27], a[16:19]
	v_accvgpr_read_b32 v27, a1
	v_accvgpr_read_b32 v26, a0
	s_nop 1
	v_accvgpr_read_b32 v15, a7
	v_mfma_f32_16x16x16_bf16 a[12:15], v[22:23], v[88:89], a[12:15]
	v_accvgpr_read_b32 v14, a6
	v_accvgpr_read_b32 v17, a11
	;; [unrolled: 1-line block ×3, first 2 shown]
	v_mfma_f32_16x16x16_bf16 a[20:23], v[0:1], v[30:31], a[20:23]
	v_pk_fma_f32 v[82:83], v[82:83], v[2:3], v[26:27]
	v_pk_fma_f32 v[78:79], v[4:5], v[78:79], v[14:15]
	;; [unrolled: 1-line block ×3, first 2 shown]
	v_mfma_f32_16x16x16_bf16 a[24:27], v[0:1], v[34:35], a[24:27]
	v_accvgpr_read_b32 v23, a15
	v_accvgpr_read_b32 v22, a14
	v_pk_fma_f32 v[62:63], v[4:5], v[62:63], v[22:23]
	v_mfma_f32_16x16x16_bf16 a[0:3], v[0:1], v[38:39], a[28:31]
	v_accvgpr_read_b32 v0, a4
	v_accvgpr_read_b32 v1, a5
	v_pk_fma_f32 v[74:75], v[2:3], v[74:75], v[0:1]
	v_accvgpr_read_b32 v0, a8
	v_accvgpr_read_b32 v1, a9
	s_waitcnt lgkmcnt(0)
	v_mfma_f32_16x16x16_bf16 a[4:7], v[20:21], v[28:29], a[16:19]
	v_pk_fma_f32 v[66:67], v[2:3], v[66:67], v[0:1]
	v_accvgpr_read_b32 v0, a12
	v_accvgpr_read_b32 v1, a13
	v_mfma_f32_16x16x16_bf16 a[8:11], v[20:21], v[32:33], a[20:23]
	v_pk_fma_f32 v[58:59], v[2:3], v[58:59], v[0:1]
	v_mov_b32_e32 v0, v11
	v_mov_b32_e32 v1, v12
	v_mfma_f32_16x16x16_bf16 a[12:15], v[20:21], v[36:37], a[24:27]
	v_mov_b32_e32 v2, v13
	v_exp_f32_e32 v9, v0
	v_exp_f32_e32 v0, v1
	;; [unrolled: 1-line block ×3, first 2 shown]
	v_mfma_f32_16x16x16_bf16 a[4:7], v[18:19], v[24:25], a[4:7]
	v_pk_mul_f32 v[2:3], v[6:7], v[8:9] op_sel_hi:[0,1]
	v_pk_mul_f32 v[0:1], v[6:7], v[0:1] op_sel_hi:[0,1]
	v_mfma_f32_16x16x16_bf16 a[0:3], v[20:21], v[40:41], a[0:3]
	v_mfma_f32_16x16x16_bf16 a[8:11], v[18:19], v[42:43], a[8:11]
	s_nop 2
	v_accvgpr_read_b32 v5, a7
	v_accvgpr_read_b32 v4, a6
	v_pk_fma_f32 v[84:85], v[84:85], v[0:1], v[4:5]
	v_mfma_f32_16x16x16_bf16 a[12:15], v[18:19], v[44:45], a[12:15]
	v_accvgpr_read_b32 v13, a5
	v_accvgpr_read_b32 v12, a4
	v_pk_fma_f32 v[80:81], v[80:81], v[2:3], v[12:13]
	v_mfma_f32_16x16x16_bf16 a[0:3], v[18:19], v[88:89], a[0:3]
	v_accvgpr_read_b32 v4, a8
	v_accvgpr_read_b32 v5, a9
	v_pk_fma_f32 v[72:73], v[2:3], v[72:73], v[4:5]
	v_accvgpr_read_b32 v4, a12
	v_accvgpr_read_b32 v5, a13
	v_pk_fma_f32 v[64:65], v[2:3], v[64:65], v[4:5]
	v_accvgpr_read_b32 v7, a11
	v_accvgpr_read_b32 v5, a1
	;; [unrolled: 1-line block ×8, first 2 shown]
	v_pk_fma_f32 v[76:77], v[0:1], v[76:77], v[6:7]
	v_pk_fma_f32 v[68:69], v[0:1], v[68:69], v[8:9]
	;; [unrolled: 1-line block ×4, first 2 shown]
.LBB17_99:
	s_add_u32 s0, s24, s26
	s_addc_u32 s1, s25, s27
	v_lshl_add_u64 v[0:1], v[48:49], 1, s[0:1]
	v_mov_b32_e32 v47, 0
	s_mov_b32 s2, 0x7060302
	v_lshl_add_u64 v[0:1], v[0:1], 0, v[46:47]
	v_perm_b32 v3, v87, v86, s2
	v_perm_b32 v2, v83, v82, s2
	global_store_dwordx2 v[0:1], v[2:3], off
	v_perm_b32 v3, v85, v84, s2
	v_perm_b32 v2, v81, v80, s2
	global_store_dwordx2 v[0:1], v[2:3], off offset:128
	v_lshl_add_u64 v[0:1], v[50:51], 1, s[0:1]
	v_lshl_add_u64 v[0:1], v[0:1], 0, v[46:47]
	v_perm_b32 v3, v79, v78, s2
	v_perm_b32 v2, v75, v74, s2
	global_store_dwordx2 v[0:1], v[2:3], off
	v_perm_b32 v3, v77, v76, s2
	v_perm_b32 v2, v73, v72, s2
	global_store_dwordx2 v[0:1], v[2:3], off offset:128
	v_lshl_add_u64 v[0:1], v[52:53], 1, s[0:1]
	;; [unrolled: 8-line block ×3, first 2 shown]
	v_lshl_add_u64 v[0:1], v[0:1], 0, v[46:47]
	v_perm_b32 v3, v63, v62, s2
	v_perm_b32 v2, v59, v58, s2
	global_store_dwordx2 v[0:1], v[2:3], off
	v_perm_b32 v3, v61, v60, s2
	v_perm_b32 v2, v57, v56, s2
	global_store_dwordx2 v[0:1], v[2:3], off offset:128
	s_endpgm
	.section	.rodata,"a",@progbits
	.p2align	6, 0x0
	.amdhsa_kernel _ZN12_GLOBAL__N_139chunk_gated_delta_rule_fwd_h_hip_kernelILi64ELb1ELb1ELb1ELb1ELb1ELb1ELb0ELb1EEEvPK12hip_bfloat16S3_S3_PKfS5_PKvPS1_S8_PvPKiSB_iiiiilll
		.amdhsa_group_segment_fixed_size 65536
		.amdhsa_private_segment_fixed_size 0
		.amdhsa_kernarg_size 136
		.amdhsa_user_sgpr_count 2
		.amdhsa_user_sgpr_dispatch_ptr 0
		.amdhsa_user_sgpr_queue_ptr 0
		.amdhsa_user_sgpr_kernarg_segment_ptr 1
		.amdhsa_user_sgpr_dispatch_id 0
		.amdhsa_user_sgpr_kernarg_preload_length 0
		.amdhsa_user_sgpr_kernarg_preload_offset 0
		.amdhsa_user_sgpr_private_segment_size 0
		.amdhsa_uses_dynamic_stack 0
		.amdhsa_enable_private_segment 0
		.amdhsa_system_sgpr_workgroup_id_x 1
		.amdhsa_system_sgpr_workgroup_id_y 1
		.amdhsa_system_sgpr_workgroup_id_z 0
		.amdhsa_system_sgpr_workgroup_info 0
		.amdhsa_system_vgpr_workitem_id 0
		.amdhsa_next_free_vgpr 240
		.amdhsa_next_free_sgpr 69
		.amdhsa_accum_offset 200
		.amdhsa_reserve_vcc 1
		.amdhsa_float_round_mode_32 0
		.amdhsa_float_round_mode_16_64 0
		.amdhsa_float_denorm_mode_32 3
		.amdhsa_float_denorm_mode_16_64 3
		.amdhsa_dx10_clamp 1
		.amdhsa_ieee_mode 1
		.amdhsa_fp16_overflow 0
		.amdhsa_tg_split 0
		.amdhsa_exception_fp_ieee_invalid_op 0
		.amdhsa_exception_fp_denorm_src 0
		.amdhsa_exception_fp_ieee_div_zero 0
		.amdhsa_exception_fp_ieee_overflow 0
		.amdhsa_exception_fp_ieee_underflow 0
		.amdhsa_exception_fp_ieee_inexact 0
		.amdhsa_exception_int_div_zero 0
	.end_amdhsa_kernel
	.section	.text._ZN12_GLOBAL__N_139chunk_gated_delta_rule_fwd_h_hip_kernelILi64ELb1ELb1ELb1ELb1ELb1ELb1ELb0ELb1EEEvPK12hip_bfloat16S3_S3_PKfS5_PKvPS1_S8_PvPKiSB_iiiiilll,"axG",@progbits,_ZN12_GLOBAL__N_139chunk_gated_delta_rule_fwd_h_hip_kernelILi64ELb1ELb1ELb1ELb1ELb1ELb1ELb0ELb1EEEvPK12hip_bfloat16S3_S3_PKfS5_PKvPS1_S8_PvPKiSB_iiiiilll,comdat
.Lfunc_end17:
	.size	_ZN12_GLOBAL__N_139chunk_gated_delta_rule_fwd_h_hip_kernelILi64ELb1ELb1ELb1ELb1ELb1ELb1ELb0ELb1EEEvPK12hip_bfloat16S3_S3_PKfS5_PKvPS1_S8_PvPKiSB_iiiiilll, .Lfunc_end17-_ZN12_GLOBAL__N_139chunk_gated_delta_rule_fwd_h_hip_kernelILi64ELb1ELb1ELb1ELb1ELb1ELb1ELb0ELb1EEEvPK12hip_bfloat16S3_S3_PKfS5_PKvPS1_S8_PvPKiSB_iiiiilll
                                        ; -- End function
	.section	.AMDGPU.csdata,"",@progbits
; Kernel info:
; codeLenInByte = 13000
; NumSgprs: 75
; NumVgprs: 200
; NumAgprs: 40
; TotalNumVgprs: 240
; ScratchSize: 0
; MemoryBound: 0
; FloatMode: 240
; IeeeMode: 1
; LDSByteSize: 65536 bytes/workgroup (compile time only)
; SGPRBlocks: 9
; VGPRBlocks: 29
; NumSGPRsForWavesPerEU: 75
; NumVGPRsForWavesPerEU: 240
; AccumOffset: 200
; Occupancy: 1
; WaveLimiterHint : 1
; COMPUTE_PGM_RSRC2:SCRATCH_EN: 0
; COMPUTE_PGM_RSRC2:USER_SGPR: 2
; COMPUTE_PGM_RSRC2:TRAP_HANDLER: 0
; COMPUTE_PGM_RSRC2:TGID_X_EN: 1
; COMPUTE_PGM_RSRC2:TGID_Y_EN: 1
; COMPUTE_PGM_RSRC2:TGID_Z_EN: 0
; COMPUTE_PGM_RSRC2:TIDIG_COMP_CNT: 0
; COMPUTE_PGM_RSRC3_GFX90A:ACCUM_OFFSET: 49
; COMPUTE_PGM_RSRC3_GFX90A:TG_SPLIT: 0
	.section	.text._ZN12_GLOBAL__N_139chunk_gated_delta_rule_fwd_h_hip_kernelILi64ELb1ELb1ELb0ELb1ELb1ELb1ELb0ELb1EEEvPK12hip_bfloat16S3_S3_PKfS5_PKvPS1_S8_PvPKiSB_iiiiilll,"axG",@progbits,_ZN12_GLOBAL__N_139chunk_gated_delta_rule_fwd_h_hip_kernelILi64ELb1ELb1ELb0ELb1ELb1ELb1ELb0ELb1EEEvPK12hip_bfloat16S3_S3_PKfS5_PKvPS1_S8_PvPKiSB_iiiiilll,comdat
	.globl	_ZN12_GLOBAL__N_139chunk_gated_delta_rule_fwd_h_hip_kernelILi64ELb1ELb1ELb0ELb1ELb1ELb1ELb0ELb1EEEvPK12hip_bfloat16S3_S3_PKfS5_PKvPS1_S8_PvPKiSB_iiiiilll ; -- Begin function _ZN12_GLOBAL__N_139chunk_gated_delta_rule_fwd_h_hip_kernelILi64ELb1ELb1ELb0ELb1ELb1ELb1ELb0ELb1EEEvPK12hip_bfloat16S3_S3_PKfS5_PKvPS1_S8_PvPKiSB_iiiiilll
	.p2align	8
	.type	_ZN12_GLOBAL__N_139chunk_gated_delta_rule_fwd_h_hip_kernelILi64ELb1ELb1ELb0ELb1ELb1ELb1ELb0ELb1EEEvPK12hip_bfloat16S3_S3_PKfS5_PKvPS1_S8_PvPKiSB_iiiiilll,@function
_ZN12_GLOBAL__N_139chunk_gated_delta_rule_fwd_h_hip_kernelILi64ELb1ELb1ELb0ELb1ELb1ELb1ELb0ELb1EEEvPK12hip_bfloat16S3_S3_PKfS5_PKvPS1_S8_PvPKiSB_iiiiilll: ; @_ZN12_GLOBAL__N_139chunk_gated_delta_rule_fwd_h_hip_kernelILi64ELb1ELb1ELb0ELb1ELb1ELb1ELb0ELb1EEEvPK12hip_bfloat16S3_S3_PKfS5_PKvPS1_S8_PvPKiSB_iiiiilll
; %bb.0:
	s_load_dwordx4 s[16:19], s[0:1], 0x5c
	s_load_dwordx4 s[24:27], s[0:1], 0x70
	s_abs_i32 s7, s3
	s_ashr_i32 s6, s3, 31
	s_load_dwordx4 s[12:15], s[0:1], 0x40
	s_load_dwordx2 s[4:5], s[0:1], 0x50
	s_waitcnt lgkmcnt(0)
	s_abs_i32 s10, s17
	v_cvt_f32_u32_e32 v1, s10
	s_sub_i32 s8, 0, s10
	s_ashr_i32 s11, s17, 31
	s_xor_b32 s6, s6, s11
	v_rcp_iflag_f32_e32 v1, v1
	v_and_b32_e32 v97, 15, v0
	v_bfe_u32 v96, v0, 4, 2
	v_mov_b32_e32 v47, 0
	v_mul_f32_e32 v1, 0x4f7ffffe, v1
	v_cvt_u32_f32_e32 v1, v1
	v_lshlrev_b32_e32 v98, 3, v0
	v_readfirstlane_b32 s9, v1
	s_mul_i32 s8, s8, s9
	s_mul_hi_u32 s8, s9, s8
	s_add_i32 s9, s9, s8
	s_mul_hi_u32 s8, s7, s9
	s_mul_i32 s9, s8, s10
	s_sub_i32 s7, s7, s9
	s_add_i32 s20, s8, 1
	s_sub_i32 s9, s7, s10
	s_cmp_ge_u32 s7, s10
	s_cselect_b32 s8, s20, s8
	s_cselect_b32 s7, s9, s7
	s_add_i32 s9, s8, 1
	s_cmp_ge_u32 s7, s10
	s_cselect_b32 s7, s9, s8
	s_xor_b32 s7, s7, s6
	s_sub_i32 s28, s7, s6
	s_mul_i32 s36, s28, s17
	s_ashr_i32 s29, s28, 31
	s_sub_i32 s33, s3, s36
	s_lshl_b64 s[6:7], s[28:29], 2
	s_add_u32 s8, s14, s6
	s_addc_u32 s9, s15, s7
	s_add_u32 s30, s4, s6
	s_addc_u32 s31, s5, s7
	s_abs_i32 s3, s18
	v_cvt_f32_u32_e32 v1, s3
	s_load_dwordx2 s[34:35], s[8:9], 0x0
	s_sub_i32 s5, 0, s3
	s_lshl_b32 s2, s2, 6
	v_rcp_iflag_f32_e32 v1, v1
	s_load_dwordx4 s[20:23], s[0:1], 0x20
	s_load_dwordx2 s[40:41], s[0:1], 0x30
	s_waitcnt lgkmcnt(0)
	s_sub_i32 s54, s35, s34
	s_ashr_i32 s4, s54, 31
	v_mul_f32_e32 v1, 0x4f7ffffe, v1
	v_cvt_u32_f32_e32 v1, v1
	s_lshr_b32 s4, s4, 26
	s_add_i32 s4, s54, s4
	s_ashr_i32 s53, s4, 6
	v_readfirstlane_b32 s6, v1
	s_mul_i32 s5, s5, s6
	s_mul_hi_u32 s5, s6, s5
	s_add_i32 s6, s6, s5
	s_mul_hi_u32 s5, s10, s6
	s_mul_i32 s6, s5, s3
	s_ashr_i32 s4, s18, 31
	s_sub_i32 s6, s10, s6
	s_xor_b32 s4, s11, s4
	s_add_i32 s7, s5, 1
	s_sub_i32 s8, s6, s3
	s_cmp_ge_u32 s6, s3
	s_cselect_b32 s5, s7, s5
	s_cselect_b32 s6, s8, s6
	s_add_i32 s7, s5, 1
	s_cmp_ge_u32 s6, s3
	s_cselect_b32 s3, s7, s5
	s_xor_b32 s3, s3, s4
	s_sub_i32 s3, s3, s4
	s_abs_i32 s4, s3
	v_cvt_f32_u32_e32 v1, s4
	s_sub_i32 s6, 0, s4
	s_abs_i32 s5, s33
	s_xor_b32 s3, s33, s3
	v_rcp_iflag_f32_e32 v2, v1
	s_ashr_i32 s3, s3, 31
	v_or_b32_e32 v88, s2, v97
	v_lshrrev_b32_e32 v1, 6, v0
	v_mul_f32_e32 v2, 0x4f7ffffe, v2
	v_cvt_u32_f32_e32 v2, v2
	v_lshlrev_b32_e32 v48, 7, v88
	v_lshlrev_b32_e32 v45, 4, v1
	v_or_b32_e32 v50, 0x800, v48
	v_readfirstlane_b32 s7, v2
	s_mul_i32 s6, s6, s7
	s_mul_hi_u32 s6, s7, s6
	s_add_i32 s7, s7, s6
	s_mul_hi_u32 s6, s5, s7
	s_mul_i32 s7, s6, s4
	s_sub_i32 s5, s5, s7
	s_add_i32 s7, s6, 1
	s_sub_i32 s8, s5, s4
	s_cmp_ge_u32 s5, s4
	s_cselect_b32 s6, s7, s6
	s_cselect_b32 s5, s8, s5
	s_add_i32 s7, s6, 1
	s_cmp_ge_u32 s5, s4
	s_cselect_b32 s4, s7, s6
	s_xor_b32 s4, s4, s3
	s_sub_i32 s55, s4, s3
	s_ashr_i32 s46, s33, 31
	s_mul_hi_i32 s3, s28, s17
	s_add_u32 s4, s36, s33
	s_addc_u32 s5, s3, s46
	s_lshl_b64 s[14:15], s[4:5], 15
	s_add_u32 s4, s22, s14
	v_lshl_or_b32 v100, v96, 2, v45
	s_addc_u32 s5, s23, s15
	v_ashrrev_i32_e32 v49, 31, v48
	v_ashrrev_i32_e32 v51, 31, v50
	v_lshl_add_u64 v[2:3], v[48:49], 1, s[4:5]
	v_lshlrev_b32_e32 v46, 1, v100
	v_lshl_add_u64 v[6:7], v[50:51], 1, s[4:5]
	v_or_b32_e32 v52, 0x1000, v48
	v_or_b32_e32 v54, 0x1800, v48
	v_lshl_add_u64 v[2:3], v[2:3], 0, v[46:47]
	v_lshl_add_u64 v[6:7], v[6:7], 0, v[46:47]
	v_ashrrev_i32_e32 v53, 31, v52
	v_ashrrev_i32_e32 v55, 31, v54
	global_load_dwordx2 v[4:5], v[2:3], off
	v_lshl_add_u64 v[14:15], v[54:55], 1, s[4:5]
	global_load_dwordx2 v[2:3], v[2:3], off offset:128
	s_nop 0
	global_load_dwordx2 v[8:9], v[6:7], off
	global_load_dwordx2 v[10:11], v[6:7], off offset:128
	v_lshl_add_u64 v[6:7], v[52:53], 1, s[4:5]
	v_lshl_add_u64 v[6:7], v[6:7], 0, v[46:47]
	v_lshl_add_u64 v[14:15], v[14:15], 0, v[46:47]
	global_load_dwordx2 v[12:13], v[6:7], off
	v_and_b32_e32 v47, 63, v0
	global_load_dwordx2 v[6:7], v[6:7], off offset:128
	s_nop 0
	global_load_dwordx2 v[16:17], v[14:15], off
	global_load_dwordx2 v[18:19], v[14:15], off offset:128
	s_load_dwordx8 s[4:11], s[0:1], 0x0
	s_load_dwordx2 s[22:23], s[0:1], 0x80
	s_load_dword s58, s[30:31], 0x0
	v_lshrrev_b32_e32 v99, 3, v47
	v_or_b32_e32 v101, 64, v100
	s_mul_i32 s47, s28, s25
	s_mul_hi_i32 s56, s33, s16
	s_mul_i32 s57, s33, s16
	s_cmp_lt_i32 s54, 64
	s_mul_hi_u32 s49, s28, s24
	s_mul_i32 s48, s29, s24
	s_mul_i32 s38, s28, s24
	;; [unrolled: 1-line block ×3, first 2 shown]
	s_mul_hi_u32 s51, s33, s26
	s_mul_i32 s52, s46, s26
	s_mul_i32 s36, s33, s26
	s_waitcnt vmcnt(7)
	v_and_b32_e32 v83, 0xffff0000, v4
	v_lshlrev_b32_e32 v82, 16, v4
	v_and_b32_e32 v87, 0xffff0000, v5
	v_lshlrev_b32_e32 v86, 16, v5
	s_waitcnt vmcnt(6)
	v_and_b32_e32 v81, 0xffff0000, v2
	v_lshlrev_b32_e32 v80, 16, v2
	v_and_b32_e32 v85, 0xffff0000, v3
	v_lshlrev_b32_e32 v84, 16, v3
	;; [unrolled: 5-line block ×8, first 2 shown]
	s_cbranch_scc1 .LBB18_18
; %bb.1:
	s_ashr_i32 s1, s34, 31
	s_add_u32 s0, s57, s34
	s_addc_u32 s1, s56, s1
	s_lshl_b64 s[0:1], s[0:1], 8
	v_and_b32_e32 v103, 56, v98
	s_waitcnt lgkmcnt(0)
	s_add_u32 s24, s6, s0
	v_lshl_or_b32 v102, v1, 3, v99
	v_lshlrev_b32_e32 v2, 1, v103
	s_addc_u32 s0, s7, s1
	v_lshl_or_b32 v104, v102, 8, v2
	s_and_b32 s25, s0, 0xffff
	s_mov_b32 s27, 0x20000
	s_movk_i32 s26, 0x4000
	s_movk_i32 s0, 0x80
	v_or_b32_e32 v105, 0x2000, v104
	buffer_load_dwordx4 v[4:7], v104, s[24:27], 0 offen
	buffer_load_dwordx4 v[8:11], v104, s[24:27], s0 offen
	;; [unrolled: 1-line block ×4, first 2 shown]
	v_lshlrev_b32_e32 v3, 3, v102
	v_and_or_b32 v21, v0, 7, v3
	v_and_b32_e32 v3, 0x78, v3
	v_lshlrev_b32_e32 v21, 4, v21
	v_xor_b32_e32 v106, v21, v3
	v_mul_lo_u32 v20, v102, s19
	v_or_b32_e32 v107, 0x1000, v106
	v_xor_b32_e32 v3, 8, v106
	s_cmpk_eq_i32 s19, 0x80
	s_mov_b32 s59, s34
	v_xor_b32_e32 v21, 8, v107
	s_cselect_b64 s[0:1], -1, 0
	s_cmpk_lg_i32 s19, 0x80
	s_waitcnt vmcnt(3)
	ds_write_b64 v106, v[4:5] offset:49152
	ds_write_b64 v3, v[6:7] offset:49152
	s_waitcnt vmcnt(2)
	ds_write_b64 v106, v[8:9] offset:57344
	ds_write_b64 v3, v[10:11] offset:57344
	;; [unrolled: 3-line block ×4, first 2 shown]
	v_lshl_add_u32 v3, v20, 1, v103
	s_cbranch_scc0 .LBB18_3
; %bb.2:
	v_lshlrev_b32_e32 v5, 1, v3
	v_add_lshl_u32 v4, v3, s19, 1
	s_lshl_b32 s26, s19, 7
	v_lshl_or_b32 v2, v102, 9, v2
	s_cbranch_execz .LBB18_4
	s_branch .LBB18_5
.LBB18_3:
                                        ; implicit-def: $vgpr4
                                        ; implicit-def: $vgpr5
                                        ; implicit-def: $sgpr26
	v_lshl_or_b32 v2, v102, 9, v2
.LBB18_4:
	v_or_b32_e32 v4, 0x100, v2
	s_movk_i32 s26, 0x4000
	v_mov_b32_e32 v5, v2
.LBB18_5:
	s_mul_i32 s24, s34, s18
	s_ashr_i32 s60, s55, 31
	s_mul_hi_i32 s3, s34, s18
	s_add_u32 s24, s24, s55
	s_addc_u32 s25, s3, s60
	s_lshl_b64 s[24:25], s[24:25], 8
	s_add_u32 s24, s4, s24
	s_addc_u32 s3, s5, s25
	s_and_b32 s25, s3, 0xffff
	s_movk_i32 s61, 0x80
	buffer_load_dwordx4 v[6:9], v5, s[24:27], 0 offen
	buffer_load_dwordx4 v[10:13], v5, s[24:27], s61 offen
	;; [unrolled: 1-line block ×4, first 2 shown]
	v_and_b32_e32 v5, 6, v0
	v_lshlrev_b32_e32 v4, 7, v100
	v_xor_b32_e32 v27, v102, v5
	v_and_b32_e32 v22, 1, v0
	v_lshl_or_b32 v30, v97, 3, v4
	v_lshlrev_b32_e32 v27, 2, v27
	v_lshlrev_b32_e32 v23, 2, v97
	v_or_b32_e32 v108, 0x4000, v30
	v_or_b32_e32 v109, 0x6000, v30
	v_xor_b32_e32 v30, 0x440, v27
	v_cmp_eq_u32_e32 vcc, 0, v22
	v_or_b32_e32 v25, 16, v97
	v_or_b32_e32 v26, 32, v97
	v_xor_b32_e32 v28, v100, v23
	v_xor_b32_e32 v29, v101, v23
	v_cndmask_b32_e32 v22, v30, v27, vcc
	s_mov_b32 s62, 0x1000504
	v_lshl_or_b32 v31, v25, 3, v4
	v_lshlrev_b32_e32 v25, 8, v25
	v_lshl_or_b32 v32, v26, 3, v4
	v_lshlrev_b32_e32 v28, 1, v28
	v_lshlrev_b32_e32 v29, 1, v29
	v_lshl_or_b32 v5, v5, 10, v22
	s_add_i32 s3, s49, s47
	s_mov_b32 s63, 0x3020706
	v_lshlrev_b32_e32 v24, 8, v97
	v_or_b32_e32 v112, 0x4000, v32
	v_or_b32_e32 v113, 0x6000, v32
	;; [unrolled: 1-line block ×4, first 2 shown]
	v_xor_b32_e32 v22, 8, v5
	v_xor_b32_e32 v25, 24, v5
	;; [unrolled: 1-line block ×4, first 2 shown]
	s_add_i32 s39, s3, s48
	s_add_i32 s3, s51, s50
	v_or_b32_e32 v110, 0x4000, v31
	v_or_b32_e32 v111, 0x6000, v31
	;; [unrolled: 1-line block ×4, first 2 shown]
	v_xor_b32_e32 v24, 16, v5
	v_xor_b32_e32 v27, 32, v5
	;; [unrolled: 1-line block ×3, first 2 shown]
	v_add_u32_e32 v22, 0x80, v22
	v_add_u32_e32 v25, 0x80, v25
	;; [unrolled: 1-line block ×4, first 2 shown]
	s_add_i32 s37, s3, s52
	s_lshl_b64 s[24:25], s[38:39], 2
	s_add_u32 s3, s10, s24
	s_addc_u32 s28, s11, s25
	s_lshl_b64 s[24:25], s[36:37], 2
	s_add_u32 s42, s3, s24
	s_movk_i32 s3, 0xf8
	s_addc_u32 s43, s28, s25
	s_lshl_b32 s30, s19, 7
	s_movk_i32 s28, 0x100
	v_mov_b32_e32 v91, 0
	v_lshlrev_b32_e32 v90, 4, v97
	v_lshlrev_b32_e32 v26, 8, v26
	v_ashrrev_i32_e32 v89, 31, v88
	s_mov_b32 s64, 0
	s_movk_i32 s26, 0x4000
	v_or_b32_e32 v118, v26, v28
	v_or_b32_e32 v119, v26, v29
	v_lshl_add_u64 v[92:93], v[88:89], 1, s[8:9]
	s_movk_i32 s37, 0x2000
	s_movk_i32 s39, 0x3000
	s_waitcnt vmcnt(1)
	v_perm_b32 v33, v6, v14, s62
	s_waitcnt vmcnt(0)
	v_perm_b32 v34, v10, v18, s62
	v_perm_b32 v6, v6, v14, s63
	;; [unrolled: 1-line block ×15, first 2 shown]
	ds_write2st64_b32 v5, v33, v34 offset0:128 offset1:160
	ds_write2st64_b32 v22, v6, v10 offset0:128 offset1:160
	ds_write2st64_b32 v24, v14, v18 offset0:129 offset1:161
	ds_write2st64_b32 v25, v7, v11 offset0:129 offset1:161
	ds_write2st64_b32 v27, v15, v19 offset0:130 offset1:162
	ds_write2st64_b32 v30, v8, v12 offset0:130 offset1:162
	ds_write2st64_b32 v31, v16, v20 offset0:131 offset1:163
	ds_write2st64_b32 v32, v9, v13 offset0:131 offset1:163
	v_or_b32_e32 v5, 48, v97
	v_lshl_or_b32 v6, v5, 3, v4
	v_lshlrev_b32_e32 v5, 8, v5
	v_or_b32_e32 v122, v5, v28
	v_or_b32_e32 v123, v5, v29
	;; [unrolled: 1-line block ×3, first 2 shown]
	v_lshlrev_b32_e32 v5, 3, v5
	v_lshrrev_b32_e32 v7, 5, v47
	v_and_or_b32 v7, v5, s3, v7
	v_lshlrev_b32_e32 v7, 4, v7
	v_or_b32_e32 v120, 0x4000, v6
	v_or_b32_e32 v121, 0x6000, v6
	v_lshrrev_b32_e32 v6, 2, v47
	v_lshlrev_b32_e32 v9, 11, v1
	v_and_b32_e32 v5, 0x78, v5
	v_or_b32_e32 v13, 32, v7
	v_and_b32_e32 v8, 12, v6
	v_and_b32_e32 v6, 0x1000, v9
	v_lshrrev_b32_e32 v11, 1, v47
	v_xor_b32_e32 v13, v13, v5
	v_xor_b32_e32 v10, v7, v5
	v_and_b32_e32 v11, 8, v11
	v_or_b32_e32 v13, v13, v6
	v_or_b32_e32 v10, v10, v6
	v_xor_b32_e32 v126, v13, v11
	v_or_b32_e32 v13, 64, v7
	v_or_b32_e32 v7, 0x60, v7
	v_xor_b32_e32 v124, v10, v11
	v_lshlrev_b32_e32 v10, 8, v96
	v_xor_b32_e32 v13, v13, v5
	v_xor_b32_e32 v5, v7, v5
	s_ashr_i32 s3, s2, 31
	v_or_b32_e32 v12, v10, v23
	v_or_b32_e32 v13, v13, v6
	;; [unrolled: 1-line block ×3, first 2 shown]
	s_lshl_b64 s[24:25], s[2:3], 8
	v_lshlrev_b32_e32 v15, 2, v0
	v_lshlrev_b32_e32 v12, 1, v12
	v_xor_b32_e32 v130, v13, v11
	v_xor_b32_e32 v131, v5, v11
	v_lshlrev_b32_e32 v5, 1, v3
	v_add_lshl_u32 v3, v3, s19, 1
	v_or_b32_e32 v11, 0x100, v2
	s_add_u32 s24, s40, s24
	v_lshlrev_b32_e32 v6, 1, v97
	v_lshrrev_b32_e32 v16, 1, v0
	v_and_or_b32 v10, v15, 60, v10
	v_or_b32_e32 v125, 0x4000, v12
	v_or_b32_e32 v127, 0x4080, v12
	;; [unrolled: 1-line block ×8, first 2 shown]
	v_lshrrev_b32_e32 v12, 4, v0
	s_addc_u32 s25, s41, s25
	v_or_b32_e32 v7, 1, v6
	v_and_b32_e32 v16, 24, v16
	v_lshlrev_b32_e32 v10, 1, v10
	v_cndmask_b32_e64 v142, v5, v2, s[0:1]
	v_cndmask_b32_e64 v143, v3, v11, s[0:1]
	v_mov_b32_e32 v3, 0xa000
	v_mov_b32_e32 v5, 0x8000
	v_cmp_gt_u32_e64 s[0:1], s28, v0
	v_xor_b32_e32 v13, v12, v6
	v_xor_b32_e32 v14, v7, v12
	v_lshl_add_u64 v[6:7], s[24:25], 0, v[90:91]
	v_lshlrev_b32_e32 v90, 8, v12
	v_or_b32_e32 v138, 0x6000, v10
	v_or_b32_e32 v15, 32, v16
	;; [unrolled: 1-line block ×6, first 2 shown]
	v_cndmask_b32_e64 v3, v3, v5, s[0:1]
	v_lshlrev_b32_e32 v5, 3, v1
	v_lshl_or_b32 v136, v13, 3, v90
	v_and_b32_e32 v13, 8, v0
	v_xor_b32_e32 v11, v5, v16
	v_xor_b32_e32 v15, v5, v15
	;; [unrolled: 1-line block ×3, first 2 shown]
	v_mov_b32_e32 v17, 0x400
	v_cmp_eq_u32_e32 vcc, 0, v13
	v_or_b32_e32 v16, 0x440, v11
	v_or_b32_e32 v18, 0x440, v15
	v_xor_b32_e32 v10, 0x440, v5
	v_and_b32_e32 v12, 7, v0
	v_cndmask_b32_e64 v13, v17, 64, vcc
	v_cndmask_b32_e32 v16, v16, v11, vcc
	v_cndmask_b32_e32 v15, v18, v15, vcc
	;; [unrolled: 1-line block ×3, first 2 shown]
	v_lshl_or_b32 v137, v14, 3, v90
	v_lshlrev_b32_e32 v14, 3, v12
	v_or_b32_e32 v16, v16, v9
	v_or_b32_e32 v15, v15, v9
	v_or3_b32 v11, v9, v13, v11
	v_or_b32_e32 v5, v5, v9
	v_lshlrev_b32_e32 v12, 7, v12
	v_xor_b32_e32 v16, v16, v14
	v_xor_b32_e32 v15, v15, v14
	;; [unrolled: 1-line block ×4, first 2 shown]
	v_or_b32_e32 v2, v45, v8
	v_add_u32_e32 v17, v3, v16
	v_add_u32_e32 v18, v3, v15
	v_or_b32_e32 v144, v11, v12
	v_add_u32_e32 v9, v3, v5
	v_or3_b32 v8, v45, v8, 64
	v_add_u32_e32 v10, 0xa000, v16
	v_add_u32_e32 v11, 0xa000, v15
	;; [unrolled: 1-line block ×3, first 2 shown]
	v_lshl_add_u64 v[94:95], v[6:7], 0, v[90:91]
	s_mov_b32 s3, 0x7060302
	v_lshlrev_b32_e32 v90, 1, v4
	v_lshlrev_b32_e32 v89, 2, v2
	v_add_u32_e32 v145, v17, v12
	v_add_u32_e32 v146, v18, v12
	v_add_u32_e32 v147, v3, v144
	v_add_u32_e32 v148, v9, v12
	v_lshlrev_b32_e32 v149, 2, v8
	v_add_u32_e32 v150, v10, v12
	v_add_u32_e32 v151, v11, v12
	;; [unrolled: 1-line block ×3, first 2 shown]
	s_waitcnt lgkmcnt(0)
	s_barrier
.LBB18_6:                               ; =>This Inner Loop Header: Depth=1
	s_add_i32 s65, s64, 1
	s_cmp_lt_i32 s65, s53
	s_mov_b64 s[28:29], 0
	s_cselect_b64 s[44:45], -1, 0
	s_cmp_ge_i32 s65, s53
	s_mov_b64 s[24:25], 0
	s_cbranch_scc1 .LBB18_8
; %bb.7:                                ;   in Loop: Header=BB18_6 Depth=1
	s_add_i32 s0, s59, 64
	s_ashr_i32 s1, s0, 31
	s_add_u32 s0, s57, s0
	s_addc_u32 s1, s56, s1
	s_lshl_b64 s[0:1], s[0:1], 8
	s_add_u32 s24, s6, s0
	s_addc_u32 s25, s7, s1
.LBB18_8:                               ;   in Loop: Header=BB18_6 Depth=1
	v_cndmask_b32_e64 v2, 0, 1, s[44:45]
	v_cmp_ne_u32_e64 s[0:1], 1, v2
	s_andn2_b64 vcc, exec, s[44:45]
	s_cbranch_vccnz .LBB18_10
; %bb.9:                                ;   in Loop: Header=BB18_6 Depth=1
	s_add_i32 s28, s59, 64
	s_mul_hi_i32 s29, s28, s18
	s_mul_i32 s28, s28, s18
	s_add_u32 s28, s28, s55
	s_addc_u32 s29, s29, s60
	s_lshl_b64 s[28:29], s[28:29], 8
	s_add_u32 s28, s4, s28
	s_addc_u32 s29, s5, s29
.LBB18_10:                              ;   in Loop: Header=BB18_6 Depth=1
	v_perm_b32 v3, v87, v86, s3
	v_perm_b32 v2, v83, v82, s3
	v_perm_b32 v5, v85, v84, s3
	v_perm_b32 v4, v81, v80, s3
	ds_write_b64 v108, v[2:3]
	ds_write_b64 v109, v[4:5]
	ds_write_b64 v114, v[2:3]
	ds_write_b64 v115, v[4:5]
	v_perm_b32 v3, v79, v78, s3
	v_perm_b32 v2, v75, v74, s3
	v_perm_b32 v5, v77, v76, s3
	v_perm_b32 v4, v73, v72, s3
	ds_write_b64 v110, v[2:3]
	ds_write_b64 v111, v[4:5]
	ds_write_b64 v116, v[2:3]
	ds_write_b64 v117, v[4:5]
	;; [unrolled: 8-line block ×4, first 2 shown]
	s_waitcnt lgkmcnt(0)
	s_barrier
	ds_read_b64 v[6:7], v124 offset:49152
	ds_read2_b64 v[2:5], v125 offset1:16
	ds_read_b64 v[18:19], v127 offset:6144
	ds_read_b64 v[20:21], v125 offset:6144
	s_waitcnt lgkmcnt(2)
	v_mfma_f32_16x16x16_bf16 a[0:3], v[6:7], v[2:3], 0
	ds_read_b64 v[22:23], v126 offset:49152
	ds_read2st64_b64 v[10:13], v128 offset0:4 offset1:8
	ds_read2st64_b64 v[14:17], v129 offset0:4 offset1:8
	v_mfma_f32_16x16x16_bf16 a[4:7], v[6:7], v[4:5], 0
	ds_read2_b64 v[2:5], v125 offset0:32 offset1:48
	s_add_i32 s66, s59, 63
	s_ashr_i32 s31, s66, 31
	s_waitcnt lgkmcnt(0)
	v_mfma_f32_16x16x16_bf16 a[8:11], v[6:7], v[2:3], 0
	s_mul_i32 s44, s66, s23
	s_mul_hi_u32 s45, s66, s22
	s_add_i32 s44, s45, s44
	v_mfma_f32_16x16x16_bf16 a[12:15], v[6:7], v[4:5], 0
	ds_read2st64_b64 v[2:5], v125 offset0:4 offset1:8
	ds_read2st64_b64 v[6:9], v127 offset0:4 offset1:8
	s_mul_i32 s31, s31, s22
	s_waitcnt lgkmcnt(1)
	v_mfma_f32_16x16x16_bf16 a[0:3], v[22:23], v[2:3], a[0:3]
	s_add_i32 s45, s44, s31
	s_mul_i32 s44, s66, s22
	s_lshl_b64 s[44:45], s[44:45], 2
	s_waitcnt lgkmcnt(0)
	v_mfma_f32_16x16x16_bf16 a[4:7], v[22:23], v[6:7], a[4:7]
	s_add_u32 s44, s42, s44
	s_addc_u32 s45, s43, s45
	s_and_b64 vcc, exec, s[0:1]
	v_mfma_f32_16x16x16_bf16 a[8:11], v[22:23], v[10:11], a[8:11]
	ds_read_b64 v[2:3], v130 offset:49152
	ds_read_b64 v[6:7], v131 offset:49152
	;; [unrolled: 1-line block ×3, first 2 shown]
	v_mov_b32_e32 v155, 0
	v_mov_b32_e32 v154, 0
	v_mfma_f32_16x16x16_bf16 a[12:15], v[22:23], v[14:15], a[12:15]
	v_mov_b32_e32 v153, 0
	v_mov_b32_e32 v14, 0
	;; [unrolled: 1-line block ×3, first 2 shown]
	s_waitcnt lgkmcnt(2)
	v_mfma_f32_16x16x16_bf16 a[0:3], v[2:3], v[4:5], a[0:3]
	v_mov_b32_e32 v4, 0
	v_mov_b32_e32 v5, 0
	v_mfma_f32_16x16x16_bf16 a[16:19], v[2:3], v[8:9], a[4:7]
	v_mov_b32_e32 v8, 0
	v_mov_b32_e32 v9, 0
	;; [unrolled: 3-line block ×3, first 2 shown]
	v_mfma_f32_16x16x16_bf16 a[24:27], v[2:3], v[16:17], a[12:15]
	ds_read_b64 v[2:3], v128 offset:6144
	v_mov_b32_e32 v16, 0
	v_mov_b32_e32 v17, 0
	s_waitcnt lgkmcnt(2)
	v_mfma_f32_16x16x16_bf16 a[4:7], v[6:7], v[20:21], a[0:3]
	v_mfma_f32_16x16x16_bf16 a[8:11], v[6:7], v[18:19], a[16:19]
	s_waitcnt lgkmcnt(0)
	v_mfma_f32_16x16x16_bf16 a[12:15], v[6:7], v[2:3], a[20:23]
	v_mov_b32_e32 v2, 0
	v_mov_b32_e32 v3, 0
	v_mfma_f32_16x16x16_bf16 a[0:3], v[6:7], v[10:11], a[24:27]
	v_mov_b32_e32 v6, 0
	v_mov_b32_e32 v7, 0
	;; [unrolled: 1-line block ×4, first 2 shown]
	s_cbranch_vccnz .LBB18_12
; %bb.11:                               ;   in Loop: Header=BB18_6 Depth=1
	s_and_b32 s25, s25, 0xffff
	buffer_load_dwordx4 v[14:17], v104, s[24:27], 0 offen
	buffer_load_dwordx4 v[10:13], v104, s[24:27], s61 offen
	;; [unrolled: 1-line block ×4, first 2 shown]
	v_mov_b32_e32 v154, v106
	v_mov_b32_e32 v153, v107
.LBB18_12:                              ;   in Loop: Header=BB18_6 Depth=1
	ds_read_b64 v[34:35], v124 offset:57344
	ds_read2_b64 v[18:21], v132 offset1:16
	ds_read_b64 v[36:37], v126 offset:57344
	ds_read_b64 v[38:39], v130 offset:57344
	;; [unrolled: 1-line block ×3, first 2 shown]
	v_add_u32_e32 v42, s59, v100
	s_waitcnt lgkmcnt(3)
	v_mfma_f32_16x16x16_bf16 a[4:7], v[34:35], v[18:19], a[4:7]
	v_mfma_f32_16x16x16_bf16 a[8:11], v[34:35], v[20:21], a[8:11]
	ds_read2_b64 v[18:21], v132 offset0:32 offset1:48
	ds_read2st64_b64 v[22:25], v132 offset0:4 offset1:8
	ds_read2st64_b64 v[26:29], v133 offset0:4 offset1:8
	;; [unrolled: 1-line block ×3, first 2 shown]
	s_waitcnt lgkmcnt(3)
	v_mfma_f32_16x16x16_bf16 a[12:15], v[34:35], v[18:19], a[12:15]
	v_ashrrev_i32_e32 v18, 31, v42
	v_mfma_f32_16x16x16_bf16 a[0:3], v[34:35], v[20:21], a[0:3]
	v_mul_lo_u32 v20, v18, s22
	v_mul_lo_u32 v21, v42, s23
	v_mad_u64_u32 v[18:19], s[24:25], v42, s22, 0
	v_add3_u32 v19, v19, v21, v20
	v_add_u32_e32 v20, 1, v42
	v_ashrrev_i32_e32 v21, 31, v20
	s_waitcnt lgkmcnt(2)
	v_mfma_f32_16x16x16_bf16 a[4:7], v[36:37], v[22:23], a[4:7]
	v_mul_lo_u32 v22, v21, s22
	v_mul_lo_u32 v23, v20, s23
	v_mad_u64_u32 v[20:21], s[24:25], v20, s22, 0
	v_add3_u32 v21, v21, v23, v22
	v_add_u32_e32 v22, 2, v42
	v_ashrrev_i32_e32 v23, 31, v22
	s_waitcnt lgkmcnt(1)
	v_mfma_f32_16x16x16_bf16 a[8:11], v[36:37], v[26:27], a[8:11]
	v_mul_lo_u32 v26, v23, s22
	v_mul_lo_u32 v27, v22, s23
	v_mad_u64_u32 v[22:23], s[24:25], v22, s22, 0
	v_add3_u32 v23, v23, v27, v26
	v_add_u32_e32 v26, 3, v42
	v_ashrrev_i32_e32 v27, 31, v26
	v_mul_lo_u32 v34, v27, s22
	v_mul_lo_u32 v35, v26, s23
	v_mad_u64_u32 v[26:27], s[24:25], v26, s22, 0
	s_ashr_i32 s25, s59, 31
	s_add_u32 s24, s57, s59
	s_addc_u32 s25, s56, s25
	v_lshl_add_u64 v[18:19], v[18:19], 2, s[42:43]
	v_add3_u32 v27, v27, v35, v34
	s_lshl_b64 s[24:25], s[24:25], 8
	v_lshl_add_u64 v[20:21], v[20:21], 2, s[42:43]
	v_lshl_add_u64 v[22:23], v[22:23], 2, s[42:43]
	;; [unrolled: 1-line block ×3, first 2 shown]
	global_load_dword v34, v[18:19], off
	global_load_dword v35, v[20:21], off
	;; [unrolled: 1-line block ×4, first 2 shown]
	v_lshl_add_u64 v[18:19], v[92:93], 0, s[24:25]
	v_lshl_add_u64 v[22:23], v[18:19], 0, v[90:91]
	global_load_ushort v44, v[22:23], off offset:256
	global_load_ushort v156, v[22:23], off
	ds_read2st64_b64 v[18:21], v135 offset0:4 offset1:8
	global_load_ushort v157, v[22:23], off offset:768
	global_load_ushort v158, v[22:23], off offset:512
	s_waitcnt lgkmcnt(1)
	v_mfma_f32_16x16x16_bf16 a[12:15], v[36:37], v[30:31], a[12:15]
	s_and_b64 vcc, exec, s[0:1]
	s_waitcnt vmcnt(3)
	v_lshlrev_b32_e32 v31, 16, v44
	s_waitcnt lgkmcnt(0)
	v_mfma_f32_16x16x16_bf16 a[0:3], v[36:37], v[18:19], a[0:3]
	global_load_ushort v36, v[22:23], off offset:288
	global_load_ushort v37, v[22:23], off offset:32
	;; [unrolled: 1-line block ×8, first 2 shown]
	v_mfma_f32_16x16x16_bf16 a[4:7], v[38:39], v[24:25], a[4:7]
	ds_read_b64 v[18:19], v132 offset:6144
	s_waitcnt vmcnt(10)
	v_lshlrev_b32_e32 v30, 16, v156
	v_mov_b32_e32 v156, 0
	v_mfma_f32_16x16x16_bf16 a[8:11], v[38:39], v[28:29], a[8:11]
	v_mfma_f32_16x16x16_bf16 a[12:15], v[38:39], v[32:33], a[12:15]
	;; [unrolled: 1-line block ×3, first 2 shown]
	global_load_ushort v38, v[22:23], off offset:352
	global_load_ushort v39, v[22:23], off offset:96
	ds_read_b64 v[20:21], v133 offset:6144
	ds_read_b64 v[24:25], v134 offset:6144
	;; [unrolled: 1-line block ×3, first 2 shown]
	global_load_ushort v165, v[22:23], off offset:864
	global_load_ushort v166, v[22:23], off offset:608
	s_load_dword s24, s[44:45], 0x0
	s_waitcnt lgkmcnt(0)
	v_mfma_f32_16x16x16_bf16 a[4:7], v[40:41], v[18:19], a[4:7]
	v_sub_f32_e32 v28, s24, v42
	v_mfma_f32_16x16x16_bf16 a[0:3], v[40:41], v[26:27], a[0:3]
	v_sub_f32_e32 v26, s24, v34
	v_sub_f32_e32 v27, s24, v35
	;; [unrolled: 1-line block ×3, first 2 shown]
	v_mfma_f32_16x16x16_bf16 a[8:11], v[40:41], v[20:21], a[8:11]
	v_exp_f32_e32 v26, v26
	v_exp_f32_e32 v27, v27
	;; [unrolled: 1-line block ×4, first 2 shown]
	v_accvgpr_read_b32 v33, a5
	v_accvgpr_read_b32 v32, a4
	;; [unrolled: 1-line block ×4, first 2 shown]
	v_pk_add_f32 v[30:31], v[30:31], v[32:33] neg_lo:[0,1] neg_hi:[0,1]
	s_waitcnt vmcnt(13)
	v_lshlrev_b32_e32 v33, 16, v157
	s_waitcnt vmcnt(12)
	v_lshlrev_b32_e32 v32, 16, v158
	v_pk_add_f32 v[18:19], v[32:33], v[18:19] neg_lo:[0,1] neg_hi:[0,1]
	v_pk_mul_f32 v[30:31], v[26:27], v[30:31]
	v_pk_mul_f32 v[18:19], v[28:29], v[18:19]
	v_accvgpr_read_b32 v33, a9
	v_perm_b32 v19, v19, v18, s3
	v_perm_b32 v18, v31, v30, s3
	v_accvgpr_read_b32 v32, a8
	v_accvgpr_read_b32 v21, a11
	v_mfma_f32_16x16x16_bf16 a[12:15], v[40:41], v[24:25], a[12:15]
	v_accvgpr_read_b32 v20, a10
	v_accvgpr_read_b32 v25, a3
	;; [unrolled: 1-line block ×3, first 2 shown]
	s_waitcnt vmcnt(11)
	v_lshlrev_b32_e32 v31, 16, v36
	s_waitcnt vmcnt(10)
	v_lshlrev_b32_e32 v30, 16, v37
	v_pk_add_f32 v[30:31], v[30:31], v[32:33] neg_lo:[0,1] neg_hi:[0,1]
	s_waitcnt vmcnt(9)
	v_lshlrev_b32_e32 v33, 16, v159
	s_waitcnt vmcnt(8)
	v_lshlrev_b32_e32 v32, 16, v160
	v_pk_add_f32 v[20:21], v[32:33], v[20:21] neg_lo:[0,1] neg_hi:[0,1]
	v_pk_mul_f32 v[30:31], v[26:27], v[30:31]
	v_pk_mul_f32 v[20:21], v[28:29], v[20:21]
	v_accvgpr_read_b32 v23, a15
	v_perm_b32 v21, v21, v20, s3
	v_perm_b32 v20, v31, v30, s3
	ds_write2_b64 v109, v[18:19], v[20:21] offset1:16
	v_accvgpr_read_b32 v21, a13
	s_waitcnt vmcnt(7)
	v_lshlrev_b32_e32 v19, 16, v161
	s_waitcnt vmcnt(6)
	v_lshlrev_b32_e32 v18, 16, v162
	v_accvgpr_read_b32 v20, a12
	v_accvgpr_read_b32 v22, a14
	v_pk_add_f32 v[18:19], v[18:19], v[20:21] neg_lo:[0,1] neg_hi:[0,1]
	s_waitcnt vmcnt(5)
	v_lshlrev_b32_e32 v21, 16, v163
	s_waitcnt vmcnt(4)
	v_lshlrev_b32_e32 v20, 16, v164
	v_pk_add_f32 v[20:21], v[20:21], v[22:23] neg_lo:[0,1] neg_hi:[0,1]
	v_pk_mul_f32 v[18:19], v[26:27], v[18:19]
	v_pk_mul_f32 v[20:21], v[28:29], v[20:21]
	v_accvgpr_read_b32 v23, a1
	v_perm_b32 v21, v21, v20, s3
	v_perm_b32 v20, v19, v18, s3
	s_waitcnt vmcnt(3)
	v_lshlrev_b32_e32 v19, 16, v38
	s_waitcnt vmcnt(2)
	v_lshlrev_b32_e32 v18, 16, v39
	v_accvgpr_read_b32 v22, a0
	v_pk_add_f32 v[18:19], v[18:19], v[22:23] neg_lo:[0,1] neg_hi:[0,1]
	s_waitcnt vmcnt(1)
	v_lshlrev_b32_e32 v23, 16, v165
	s_waitcnt vmcnt(0)
	v_lshlrev_b32_e32 v22, 16, v166
	v_pk_add_f32 v[22:23], v[22:23], v[24:25] neg_lo:[0,1] neg_hi:[0,1]
	v_pk_mul_f32 v[18:19], v[26:27], v[18:19]
	v_pk_mul_f32 v[22:23], v[28:29], v[22:23]
	v_mov_b32_e32 v24, 0
	v_perm_b32 v23, v23, v22, s3
	v_perm_b32 v22, v19, v18, s3
	ds_write2_b64 v109, v[20:21], v[22:23] offset0:32 offset1:48
	v_mov_b32_e32 v18, 0
	v_mov_b32_e32 v19, 0
	;; [unrolled: 1-line block ×15, first 2 shown]
	s_cbranch_vccnz .LBB18_14
; %bb.13:                               ;   in Loop: Header=BB18_6 Depth=1
	s_and_b32 s29, s29, 0xffff
	s_mov_b32 s31, s27
	buffer_load_dwordx4 v[30:33], v142, s[28:31], 0 offen
	buffer_load_dwordx4 v[22:25], v142, s[28:31], s61 offen
	;; [unrolled: 1-line block ×4, first 2 shown]
	v_mov_b32_e32 v155, v103
	v_mov_b32_e32 v156, v102
.LBB18_14:                              ;   in Loop: Header=BB18_6 Depth=1
	s_waitcnt lgkmcnt(0)
	s_barrier
	ds_read_b64 v[42:43], v145
	ds_read2_b64 v[34:37], v138 offset1:16
	ds_read_b64 v[174:175], v146
	ds_read_b64 v[176:177], v147
	;; [unrolled: 1-line block ×3, first 2 shown]
	ds_read2_b64 v[38:41], v138 offset0:32 offset1:48
	ds_read2st64_b64 v[158:161], v138 offset0:4 offset1:8
	ds_read2st64_b64 v[162:165], v139 offset0:4 offset1:8
	;; [unrolled: 1-line block ×4, first 2 shown]
	s_waitcnt lgkmcnt(8)
	v_mfma_f32_16x16x16_bf16 a[0:3], v[42:43], v[34:35], 0
	s_add_i32 s25, s58, s64
	s_mul_hi_i32 s29, s25, s17
	s_mul_i32 s25, s25, s17
	v_mfma_f32_16x16x16_bf16 a[4:7], v[42:43], v[36:37], 0
	s_add_u32 s28, s25, s33
	s_addc_u32 s29, s29, s46
	s_lshl_b64 s[28:29], s[28:29], 15
	s_waitcnt lgkmcnt(4)
	v_mfma_f32_16x16x16_bf16 a[8:11], v[42:43], v[38:39], 0
	s_mul_i32 s31, s66, s17
	s_mul_hi_i32 s25, s66, s17
	s_add_u32 s44, s31, s33
	v_mfma_f32_16x16x16_bf16 a[12:15], v[42:43], v[40:41], 0
	ds_read_b64 v[42:43], v138 offset:6144
	ds_read_b64 v[186:187], v139 offset:6144
	;; [unrolled: 1-line block ×4, first 2 shown]
	s_addc_u32 s45, s25, s46
	s_waitcnt lgkmcnt(7)
	v_mfma_f32_16x16x16_bf16 a[0:3], v[174:175], v[158:159], a[0:3]
	s_lshl_b64 s[44:45], s[44:45], 9
	s_add_u32 s44, s20, s44
	s_addc_u32 s45, s21, s45
	s_waitcnt lgkmcnt(6)
	v_mfma_f32_16x16x16_bf16 a[4:7], v[174:175], v[162:163], a[4:7]
	v_lshl_add_u64 v[196:197], v[94:95], 0, s[28:29]
	s_waitcnt lgkmcnt(5)
	v_mfma_f32_16x16x16_bf16 a[8:11], v[174:175], v[166:167], a[8:11]
	s_waitcnt lgkmcnt(4)
	v_mfma_f32_16x16x16_bf16 a[12:15], v[174:175], v[170:171], a[12:15]
	ds_read_b64 v[174:175], v150
	ds_read_b64 v[184:185], v151
	;; [unrolled: 1-line block ×3, first 2 shown]
	s_waitcnt lgkmcnt(2)
	v_mfma_f32_16x16x16_bf16 a[16:19], v[174:175], v[34:35], 0
	v_mfma_f32_16x16x16_bf16 a[20:23], v[174:175], v[36:37], 0
	global_load_dwordx4 v[34:37], v149, s[44:45]
	v_mfma_f32_16x16x16_bf16 a[24:27], v[174:175], v[38:39], 0
	v_mfma_f32_16x16x16_bf16 a[28:31], v[174:175], v[40:41], 0
	global_load_dwordx4 v[38:41], v89, s[44:45]
	v_mfma_f32_16x16x16_bf16 a[0:3], v[176:177], v[160:161], a[0:3]
	v_mfma_f32_16x16x16_bf16 a[4:7], v[176:177], v[164:165], a[4:7]
	;; [unrolled: 1-line block ×8, first 2 shown]
	ds_read2st64_b64 v[174:177], v136 offset1:8
	ds_read2st64_b64 v[178:181], v137 offset1:8
	ds_read_b64 v[194:195], v144 offset:40960
	s_waitcnt lgkmcnt(2)
	v_mov_b32_e32 v182, v174
	v_mfma_f32_16x16x16_bf16 a[16:19], v[184:185], v[158:159], a[16:19]
	v_mov_b32_e32 v183, v175
	v_mfma_f32_16x16x16_bf16 a[20:23], v[184:185], v[162:163], a[20:23]
	v_mfma_f32_16x16x16_bf16 a[24:27], v[184:185], v[166:167], a[24:27]
	;; [unrolled: 1-line block ×3, first 2 shown]
	v_add_co_u32_e32 v170, vcc, s37, v196
	s_waitcnt lgkmcnt(1)
	v_mov_b32_e32 v184, v178
	s_waitcnt lgkmcnt(0)
	v_mfma_f32_16x16x16_bf16 a[16:19], v[194:195], v[160:161], a[16:19]
	ds_read2st64_b64 v[158:161], v136 offset0:16 offset1:24
	v_addc_co_u32_e32 v171, vcc, 0, v197, vcc
	v_mfma_f32_16x16x16_bf16 a[32:35], v[194:195], v[164:165], a[20:23]
	ds_read2st64_b64 v[162:165], v137 offset0:16 offset1:24
	v_mov_b32_e32 v185, v179
	v_mov_b32_e32 v178, v176
	v_mfma_f32_16x16x16_bf16 a[24:27], v[194:195], v[168:169], a[24:27]
	v_mov_b32_e32 v179, v177
	s_waitcnt lgkmcnt(0)
	v_mov_b32_e32 v168, v162
	v_mov_b32_e32 v169, v163
	v_mfma_f32_16x16x16_bf16 a[36:39], v[194:195], v[172:173], a[28:31]
	v_mov_b32_e32 v162, v160
	v_mov_b32_e32 v163, v161
	;; [unrolled: 1-line block ×3, first 2 shown]
	v_mfma_f32_16x16x16_bf16 a[20:23], v[192:193], v[42:43], a[16:19]
	v_add_co_u32_e32 v42, vcc, s39, v196
	v_mov_b32_e32 v167, v159
	v_mfma_f32_16x16x16_bf16 a[28:31], v[192:193], v[186:187], a[32:35]
	v_addc_co_u32_e32 v43, vcc, 0, v197, vcc
	global_store_dwordx4 v[42:43], v[162:165], off
	v_mfma_f32_16x16x16_bf16 a[16:19], v[192:193], v[188:189], a[24:27]
	s_waitcnt vmcnt(2)
	v_mov_b32_e32 v44, v37
	v_mov_b32_e32 v43, v36
	;; [unrolled: 1-line block ×3, first 2 shown]
	v_mfma_f32_16x16x16_bf16 a[24:27], v[192:193], v[190:191], a[36:39]
	s_and_b64 vcc, exec, s[0:1]
	global_store_dwordx4 v[196:197], v[182:185], off
	global_store_dwordx4 v[170:171], v[178:181], off offset:-4096
	global_store_dwordx4 v[170:171], v[166:169], off
	s_cbranch_vccnz .LBB18_16
; %bb.15:                               ;   in Loop: Header=BB18_6 Depth=1
	v_lshrrev_b32_e32 v35, 3, v155
	v_and_b32_e32 v35, 6, v35
	v_xor_b32_e32 v36, v35, v156
	v_lshlrev_b32_e32 v36, 2, v36
	v_and_b32_e32 v37, 8, v155
	v_xor_b32_e32 v155, 0x440, v36
	v_cmp_eq_u32_e32 vcc, 0, v37
	v_perm_b32 v37, v22, v18, s62
	s_nop 0
	v_cndmask_b32_e32 v36, v155, v36, vcc
	v_lshl_or_b32 v35, v35, 10, v36
	v_perm_b32 v36, v30, v26, s62
	s_barrier
	ds_write2st64_b32 v35, v36, v37 offset0:128 offset1:160
	v_xor_b32_e32 v36, 8, v35
	v_perm_b32 v26, v30, v26, s63
	v_perm_b32 v18, v22, v18, s63
	v_add_u32_e32 v22, 0x80, v36
	ds_write2st64_b32 v22, v26, v18 offset0:128 offset1:160
	v_xor_b32_e32 v18, 16, v35
	v_perm_b32 v22, v31, v27, s62
	v_perm_b32 v26, v23, v19, s62
	ds_write2st64_b32 v18, v22, v26 offset0:129 offset1:161
	v_xor_b32_e32 v18, 24, v35
	v_perm_b32 v22, v31, v27, s63
	v_perm_b32 v19, v23, v19, s63
	v_add_u32_e32 v18, 0x80, v18
	ds_write2st64_b32 v18, v22, v19 offset0:129 offset1:161
	v_xor_b32_e32 v18, 32, v35
	v_perm_b32 v19, v32, v28, s62
	v_perm_b32 v22, v24, v20, s62
	;; [unrolled: 9-line block ×3, first 2 shown]
	ds_write2st64_b32 v18, v19, v20 offset0:131 offset1:163
	v_xor_b32_e32 v18, 56, v35
	v_perm_b32 v19, v33, v29, s63
	v_perm_b32 v20, v25, v21, s63
	v_add_u32_e32 v18, 0x80, v18
	ds_write2st64_b32 v18, v19, v20 offset0:131 offset1:163
	ds_write_b64 v154, v[14:15] offset:49152
	v_xor_b32_e32 v14, 8, v154
	ds_write_b64 v14, v[16:17] offset:49152
	ds_write_b64 v154, v[10:11] offset:57344
	;; [unrolled: 1-line block ×4, first 2 shown]
	v_xor_b32_e32 v6, 8, v153
	ds_write_b64 v6, v[8:9] offset:49152
	ds_write_b64 v153, v[2:3] offset:57344
	;; [unrolled: 1-line block ×3, first 2 shown]
.LBB18_16:                              ;   in Loop: Header=BB18_6 Depth=1
	v_exp_f32_e32 v36, s24
	s_waitcnt vmcnt(4)
	v_exp_f32_e32 v38, v38
	v_exp_f32_e32 v39, v39
	v_exp_f32_e32 v40, v40
	v_exp_f32_e32 v41, v41
	v_accvgpr_read_b32 v5, a3
	v_accvgpr_read_b32 v4, a2
	;; [unrolled: 1-line block ×4, first 2 shown]
	v_pk_mul_f32 v[38:39], v[36:37], v[38:39] op_sel_hi:[0,1]
	v_pk_mul_f32 v[40:41], v[36:37], v[40:41] op_sel_hi:[0,1]
	v_pk_fma_f32 v[82:83], v[82:83], v[38:39], v[2:3]
	v_pk_fma_f32 v[86:87], v[86:87], v[40:41], v[4:5]
	v_exp_f32_e32 v2, v34
	v_exp_f32_e32 v3, v42
	v_exp_f32_e32 v4, v43
	v_exp_f32_e32 v5, v44
	v_accvgpr_read_b32 v9, a7
	v_accvgpr_read_b32 v13, a11
	;; [unrolled: 1-line block ×28, first 2 shown]
	v_pk_mul_f32 v[2:3], v[36:37], v[2:3] op_sel_hi:[0,1]
	v_pk_mul_f32 v[4:5], v[36:37], v[4:5] op_sel_hi:[0,1]
	s_add_i32 s59, s59, 64
	v_pk_fma_f32 v[74:75], v[38:39], v[74:75], v[6:7]
	v_pk_fma_f32 v[78:79], v[40:41], v[78:79], v[8:9]
	;; [unrolled: 1-line block ×13, first 2 shown]
	s_cmp_eq_u32 s53, s65
	v_pk_fma_f32 v[60:61], v[4:5], v[60:61], v[32:33]
	s_cbranch_scc1 .LBB18_18
; %bb.17:                               ;   in Loop: Header=BB18_6 Depth=1
	s_mov_b32 s64, s65
	s_branch .LBB18_6
.LBB18_18:
	s_lshl_b32 s0, s53, 6
	s_sub_i32 s44, s54, s0
	s_cmp_gt_i32 s44, 0
	s_cbranch_scc0 .LBB18_99
; %bb.19:
	s_add_i32 s34, s0, s34
	s_ashr_i32 s3, s34, 31
	s_cmpk_lg_i32 s19, 0x80
	s_cselect_b64 s[30:31], -1, 0
	s_and_b64 vcc, exec, s[30:31]
	s_cbranch_vccz .LBB18_21
; %bb.20:
	s_mul_hi_i32 s0, s34, s18
	s_mul_i32 s1, s34, s18
	s_ashr_i32 s18, s55, 31
	s_add_u32 s42, s1, s55
	s_addc_u32 s43, s0, s18
	s_cbranch_execz .LBB18_22
	s_branch .LBB18_23
.LBB18_21:
                                        ; implicit-def: $sgpr42_sgpr43
.LBB18_22:
	s_mul_i32 s1, s55, s16
	s_mul_hi_i32 s0, s55, s16
	s_add_u32 s42, s1, s34
	s_addc_u32 s43, s0, s3
.LBB18_23:
	s_waitcnt lgkmcnt(0)
	s_add_i32 s16, s53, s58
	s_add_u32 s0, s57, s34
	v_lshlrev_b32_e32 v6, 6, v100
	v_lshlrev_b32_e32 v24, 2, v97
	s_addc_u32 s1, s56, s3
	s_mov_b32 s3, 0x7060302
	v_or_b32_e32 v9, v6, v24
	v_xor_b32_e32 v7, v100, v24
	v_perm_b32 v3, v87, v86, s3
	v_perm_b32 v2, v83, v82, s3
	;; [unrolled: 1-line block ×4, first 2 shown]
	v_lshlrev_b32_e32 v9, 1, v9
	v_xor_b32_e32 v8, v101, v24
	ds_write2st64_b64 v9, v[2:3], v[4:5] offset0:32 offset1:48
	v_lshlrev_b32_e32 v7, 1, v7
	v_lshlrev_b32_e32 v9, 8, v97
	v_or_b32_e32 v10, v7, v9
	v_lshlrev_b32_e32 v8, 1, v8
	ds_write_b64 v10, v[2:3]
	v_or_b32_e32 v2, v8, v9
	v_or_b32_e32 v9, 16, v97
	v_lshlrev_b32_e32 v23, 2, v9
	v_or_b32_e32 v10, v6, v23
	ds_write_b64 v2, v[4:5]
	v_perm_b32 v3, v79, v78, s3
	v_perm_b32 v2, v75, v74, s3
	;; [unrolled: 1-line block ×4, first 2 shown]
	v_lshlrev_b32_e32 v10, 1, v10
	v_lshlrev_b32_e32 v9, 8, v9
	ds_write2st64_b64 v10, v[2:3], v[4:5] offset0:32 offset1:48
	v_or_b32_e32 v10, v7, v9
	ds_write_b64 v10, v[2:3]
	v_or_b32_e32 v2, v8, v9
	v_or_b32_e32 v9, 32, v97
	v_lshlrev_b32_e32 v22, 2, v9
	v_or_b32_e32 v10, v6, v22
	ds_write_b64 v2, v[4:5]
	v_perm_b32 v3, v71, v70, s3
	v_perm_b32 v2, v67, v66, s3
	v_perm_b32 v5, v69, v68, s3
	v_perm_b32 v4, v65, v64, s3
	v_lshlrev_b32_e32 v10, 1, v10
	v_lshlrev_b32_e32 v9, 8, v9
	s_lshl_b64 s[28:29], s[0:1], 8
	ds_write2st64_b64 v10, v[2:3], v[4:5] offset0:32 offset1:48
	v_or_b32_e32 v10, v7, v9
	s_add_u32 s0, s6, s28
	ds_write_b64 v10, v[2:3]
	v_or_b32_e32 v2, v8, v9
	s_addc_u32 s1, s7, s29
	ds_write_b64 v2, v[4:5]
	v_perm_b32 v3, v63, v62, s3
	v_perm_b32 v2, v59, v58, s3
	;; [unrolled: 1-line block ×4, first 2 shown]
	v_or_b32_e32 v9, 48, v97
	s_mul_hi_i32 s3, s16, s17
	s_mul_i32 s16, s16, s17
	v_lshlrev_b32_e32 v19, 2, v9
	s_add_u32 s6, s16, s33
	v_or_b32_e32 v6, v6, v19
	s_addc_u32 s7, s3, s46
	v_lshlrev_b32_e32 v6, 1, v6
	s_ashr_i32 s3, s2, 31
	s_lshl_b64 s[6:7], s[6:7], 15
	ds_write2st64_b64 v6, v[2:3], v[4:5] offset0:32 offset1:48
	v_lshlrev_b32_e32 v6, 8, v9
	s_add_u32 s6, s40, s6
	v_or_b32_e32 v7, v7, v6
	s_addc_u32 s7, s41, s7
	s_lshl_b64 s[2:3], s[2:3], 8
	ds_write_b64 v7, v[2:3]
	v_or_b32_e32 v2, v8, v6
	s_add_u32 s2, s6, s2
	v_lshlrev_b32_e32 v3, 1, v97
	ds_write_b64 v2, v[4:5]
	v_lshrrev_b32_e32 v2, 4, v0
	s_addc_u32 s3, s7, s3
	v_or_b32_e32 v4, 1, v3
	v_lshlrev_b32_e32 v10, 4, v97
	v_mov_b32_e32 v11, 0
	v_xor_b32_e32 v3, v2, v3
	v_xor_b32_e32 v6, v4, v2
	v_lshl_add_u64 v[12:13], s[2:3], 0, v[10:11]
	v_lshlrev_b32_e32 v10, 8, v2
	v_lshl_or_b32 v16, v3, 3, v10
	v_lshl_or_b32 v17, v6, 3, v10
	s_waitcnt lgkmcnt(0)
	s_barrier
	ds_read2st64_b64 v[2:5], v16 offset1:8
	ds_read2st64_b64 v[6:9], v17 offset1:8
	v_lshl_add_u64 v[14:15], v[12:13], 0, v[10:11]
	s_movk_i32 s2, 0x2000
	s_cmp_lg_u32 s44, 64
	s_waitcnt lgkmcnt(1)
	v_mov_b32_e32 v10, v2
	v_mov_b32_e32 v11, v3
	s_waitcnt lgkmcnt(0)
	v_mov_b32_e32 v12, v6
	v_mov_b32_e32 v13, v7
	global_store_dwordx4 v[14:15], v[10:13], off
	v_mov_b32_e32 v6, v4
	v_mov_b32_e32 v7, v5
	ds_read2st64_b64 v[2:5], v16 offset0:16 offset1:24
	ds_read2st64_b64 v[10:13], v17 offset0:16 offset1:24
	v_add_co_u32_e32 v16, vcc, s2, v14
	s_cselect_b64 s[6:7], -1, 0
	s_nop 0
	v_addc_co_u32_e32 v17, vcc, 0, v15, vcc
	global_store_dwordx4 v[16:17], v[6:9], off offset:-4096
	v_lshl_or_b32 v30, v1, 3, v99
	s_mov_b32 s24, 0
	s_waitcnt lgkmcnt(1)
	v_mov_b32_e32 v6, v2
	v_add_co_u32_e32 v2, vcc, 0x3000, v14
	v_mov_b32_e32 v7, v3
	s_nop 0
	v_addc_co_u32_e32 v3, vcc, 0, v15, vcc
	s_waitcnt lgkmcnt(0)
	v_mov_b32_e32 v8, v10
	v_mov_b32_e32 v9, v11
	;; [unrolled: 1-line block ×4, first 2 shown]
	v_or_b32_e32 v20, 32, v30
	v_and_b32_e32 v18, 56, v98
	s_and_b64 vcc, exec, s[6:7]
	global_store_dwordx4 v[16:17], v[6:9], off
	global_store_dwordx4 v[2:3], v[10:13], off
	s_cbranch_vccz .LBB18_29
; %bb.24:
	s_mov_b32 s25, s24
	s_mov_b32 s26, s24
	;; [unrolled: 1-line block ×3, first 2 shown]
	v_mov_b64_e32 v[6:7], s[24:25]
	v_mov_b64_e32 v[8:9], s[26:27]
	;; [unrolled: 1-line block ×3, first 2 shown]
	v_cmp_gt_i32_e32 vcc, s44, v30
	v_mov_b64_e32 v[4:5], v[8:9]
	s_and_saveexec_b64 s[2:3], vcc
	s_cbranch_execz .LBB18_26
; %bb.25:
	v_lshlrev_b32_e32 v2, 8, v30
	v_mov_b32_e32 v3, 0
	v_lshl_add_u64 v[4:5], s[0:1], 0, v[2:3]
	v_lshlrev_b32_e32 v2, 1, v18
	v_lshl_add_u64 v[10:11], v[4:5], 0, v[2:3]
	global_load_dwordx4 v[6:9], v[10:11], off
	global_load_dwordx4 v[2:5], v[10:11], off offset:128
.LBB18_26:
	s_or_b64 exec, exec, s[2:3]
	s_mov_b32 s25, s24
	s_mov_b32 s26, s24
	;; [unrolled: 1-line block ×3, first 2 shown]
	v_mov_b64_e32 v[14:15], s[24:25]
	v_mov_b64_e32 v[16:17], s[26:27]
	;; [unrolled: 1-line block ×3, first 2 shown]
	v_cmp_gt_i32_e32 vcc, s44, v20
	v_lshlrev_b32_e32 v21, 7, v20
	v_mov_b64_e32 v[12:13], v[16:17]
	s_and_saveexec_b64 s[2:3], vcc
	s_cbranch_execz .LBB18_28
; %bb.27:
	v_lshlrev_b32_e32 v10, 1, v21
	v_mov_b32_e32 v11, 0
	v_lshl_add_u64 v[12:13], s[0:1], 0, v[10:11]
	v_lshlrev_b32_e32 v10, 1, v18
	v_lshl_add_u64 v[26:27], v[12:13], 0, v[10:11]
	global_load_dwordx4 v[14:17], v[26:27], off
	global_load_dwordx4 v[10:13], v[26:27], off offset:128
.LBB18_28:
	s_or_b64 exec, exec, s[2:3]
	v_lshrrev_b32_e32 v25, 3, v18
	v_lshlrev_b32_e32 v26, 3, v30
	v_or_b32_e32 v25, v26, v25
	v_lshlrev_b32_e32 v25, 4, v25
	v_and_b32_e32 v26, 0x78, v26
	v_xor_b32_e32 v25, v25, v26
	s_branch .LBB18_31
.LBB18_29:
                                        ; implicit-def: $vgpr25
                                        ; implicit-def: $vgpr21
                                        ; implicit-def: $vgpr6_vgpr7_vgpr8_vgpr9
                                        ; implicit-def: $vgpr2_vgpr3_vgpr4_vgpr5
                                        ; implicit-def: $vgpr14_vgpr15_vgpr16_vgpr17
                                        ; implicit-def: $vgpr10_vgpr11_vgpr12_vgpr13
	s_cbranch_execz .LBB18_31
; %bb.30:
	s_waitcnt vmcnt(0)
	v_lshlrev_b32_e32 v2, 1, v18
	v_lshl_or_b32 v21, v30, 8, v2
	s_and_b32 s1, s1, 0xffff
	s_mov_b32 s3, 0x20000
	s_movk_i32 s2, 0x4000
	v_lshl_or_b32 v25, v20, 8, v2
	s_movk_i32 s16, 0x80
	buffer_load_dwordx4 v[6:9], v21, s[0:3], 0 offen
	buffer_load_dwordx4 v[2:5], v21, s[0:3], s16 offen
	;; [unrolled: 1-line block ×4, first 2 shown]
	v_lshrrev_b32_e32 v21, 3, v18
	v_lshlrev_b32_e32 v25, 3, v30
	v_or_b32_e32 v21, v25, v21
	v_lshlrev_b32_e32 v21, 4, v21
	v_and_b32_e32 v25, 0x78, v25
	v_xor_b32_e32 v25, v21, v25
	v_lshlrev_b32_e32 v21, 7, v20
.LBB18_31:
	s_movk_i32 s0, 0x1000
	v_and_or_b32 v20, v21, s0, v25
	s_waitcnt vmcnt(1)
	ds_write_b64 v25, v[6:7] offset:49152
	v_xor_b32_e32 v6, 8, v25
	ds_write_b64 v6, v[8:9] offset:49152
	s_waitcnt vmcnt(0)
	ds_write_b64 v25, v[2:3] offset:57344
	ds_write_b64 v6, v[4:5] offset:57344
	ds_write_b64 v20, v[14:15] offset:49152
	v_xor_b32_e32 v2, 8, v20
	ds_write_b64 v2, v[16:17] offset:49152
	ds_write_b64 v20, v[10:11] offset:57344
	;; [unrolled: 1-line block ×3, first 2 shown]
	v_or_b32_e32 v2, v45, v97
	v_lshlrev_b32_e32 v2, 3, v2
	v_lshrrev_b32_e32 v3, 5, v47
	s_movk_i32 s0, 0xf8
	v_and_or_b32 v3, v2, s0, v3
	v_lshlrev_b32_e32 v7, 4, v3
	v_lshlrev_b32_e32 v25, 11, v1
	v_and_b32_e32 v8, 0x78, v2
	v_or_b32_e32 v10, 32, v7
	v_and_b32_e32 v6, 0x1000, v25
	v_lshrrev_b32_e32 v3, 1, v47
	v_xor_b32_e32 v10, v10, v8
	v_xor_b32_e32 v2, v7, v8
	v_and_b32_e32 v9, 8, v3
	v_or_b32_e32 v10, v10, v6
	v_or_b32_e32 v2, v2, v6
	v_xor_b32_e32 v32, v10, v9
	v_or_b32_e32 v10, 64, v7
	v_xor_b32_e32 v31, v2, v9
	v_xor_b32_e32 v10, v10, v8
	s_waitcnt lgkmcnt(0)
	s_barrier
	v_or_b32_e32 v13, v10, v6
	ds_read_b64 v[10:11], v31 offset:49152
	v_lshl_or_b32 v14, v96, 8, v24
	v_lshlrev_b32_e32 v26, 1, v14
	v_add_u32_e32 v12, 0x4000, v26
	ds_read2_b64 v[2:5], v12 offset1:16
	v_or_b32_e32 v7, 0x60, v7
	v_xor_b32_e32 v7, v7, v8
	v_or_b32_e32 v6, v7, v6
	v_xor_b32_e32 v33, v13, v9
	v_xor_b32_e32 v34, v6, v9
	ds_read_b64 v[20:21], v32 offset:49152
	ds_read_b64 v[36:37], v33 offset:49152
	;; [unrolled: 1-line block ×3, first 2 shown]
	s_waitcnt lgkmcnt(3)
	v_mfma_f32_16x16x16_bf16 a[0:3], v[10:11], v[2:3], 0
	ds_read2st64_b64 v[6:9], v26 offset0:36 offset1:40
	s_lshl_b64 s[0:1], s[42:43], 8
	s_add_u32 s4, s4, s0
	v_mfma_f32_16x16x16_bf16 a[4:7], v[10:11], v[4:5], 0
	ds_read2_b64 v[2:5], v12 offset0:32 offset1:48
	s_addc_u32 s5, s5, s1
	s_add_i32 s0, s49, s47
	s_waitcnt lgkmcnt(0)
	v_mfma_f32_16x16x16_bf16 a[8:11], v[10:11], v[2:3], 0
	v_or_b32_e32 v2, 64, v14
	v_lshlrev_b32_e32 v27, 1, v2
	s_add_i32 s18, s35, -1
	v_mfma_f32_16x16x16_bf16 a[12:15], v[10:11], v[4:5], 0
	ds_read2st64_b64 v[2:5], v27 offset0:36 offset1:40
	s_add_i32 s39, s0, s48
	s_add_i32 s0, s51, s50
	v_mfma_f32_16x16x16_bf16 a[0:3], v[20:21], v[6:7], a[0:3]
	v_or_b32_e32 v6, 0x80, v14
	v_lshlrev_b32_e32 v28, 1, v6
	ds_read2st64_b64 v[10:13], v28 offset0:36 offset1:40
	s_waitcnt lgkmcnt(1)
	v_mfma_f32_16x16x16_bf16 a[4:7], v[20:21], v[2:3], a[4:7]
	v_or_b32_e32 v2, 0xc0, v14
	v_lshlrev_b32_e32 v29, 1, v2
	ds_read2st64_b64 v[14:17], v29 offset0:36 offset1:40
	s_add_i32 s37, s0, s52
	s_ashr_i32 s0, s18, 31
	s_mul_i32 s1, s18, s23
	s_mul_hi_u32 s2, s18, s22
	s_add_i32 s1, s2, s1
	s_mul_i32 s0, s0, s22
	s_waitcnt lgkmcnt(1)
	v_mfma_f32_16x16x16_bf16 a[8:11], v[20:21], v[10:11], a[8:11]
	s_add_i32 s1, s1, s0
	s_lshl_b64 s[2:3], s[38:39], 2
	s_add_u32 s10, s10, s2
	s_waitcnt lgkmcnt(0)
	v_mfma_f32_16x16x16_bf16 a[12:15], v[20:21], v[14:15], a[12:15]
	s_addc_u32 s11, s11, s3
	s_lshl_b64 s[2:3], s[36:37], 2
	s_mul_i32 s0, s18, s22
	v_mfma_f32_16x16x16_bf16 a[0:3], v[36:37], v[8:9], a[0:3]
	ds_read_b64 v[2:3], v26 offset:22528
	s_add_u32 s10, s10, s2
	s_addc_u32 s11, s11, s3
	v_mfma_f32_16x16x16_bf16 a[4:7], v[36:37], v[4:5], a[4:7]
	ds_read_b64 v[4:5], v27 offset:22528
	ds_read_b64 v[6:7], v28 offset:22528
	;; [unrolled: 1-line block ×3, first 2 shown]
	s_lshl_b64 s[0:1], s[0:1], 2
	s_add_u32 s0, s10, s0
	v_mfma_f32_16x16x16_bf16 a[8:11], v[36:37], v[12:13], a[8:11]
	s_addc_u32 s1, s11, s1
	s_load_dword s16, s[0:1], 0x0
	s_and_b64 vcc, exec, s[30:31]
	v_mfma_f32_16x16x16_bf16 a[12:15], v[36:37], v[16:17], a[12:15]
	s_waitcnt lgkmcnt(0)
	v_mfma_f32_16x16x16_bf16 a[0:3], v[38:39], v[2:3], a[0:3]
	v_mfma_f32_16x16x16_bf16 a[4:7], v[38:39], v[4:5], a[4:7]
	;; [unrolled: 1-line block ×4, first 2 shown]
	s_cbranch_vccz .LBB18_42
; %bb.32:
	v_lshlrev_b32_e32 v20, 1, v30
	s_and_b64 vcc, exec, s[6:7]
	s_cbranch_vccz .LBB18_43
; %bb.33:
	v_cmp_gt_i32_e32 vcc, s44, v20
	v_mov_b32_e32 v6, 0
	v_mov_b32_e32 v2, 0
	;; [unrolled: 1-line block ×5, first 2 shown]
	s_and_saveexec_b64 s[0:1], vcc
	s_cbranch_execz .LBB18_35
; %bb.34:
	v_mad_i64_i32 v[2:3], s[2:3], s19, v20, 0
	v_lshl_add_u64 v[2:3], v[2:3], 1, s[4:5]
	v_lshlrev_b32_e32 v4, 1, v18
	v_mov_b32_e32 v5, 0
	v_lshl_add_u64 v[2:3], v[2:3], 0, v[4:5]
	global_load_dwordx4 v[2:5], v[2:3], off
.LBB18_35:
	s_or_b64 exec, exec, s[0:1]
	v_or_b32_e32 v21, 1, v20
	v_cmp_gt_i32_e64 s[0:1], s44, v21
	v_mov_b32_e32 v7, 0
	v_mov_b32_e32 v8, 0
	;; [unrolled: 1-line block ×3, first 2 shown]
	s_and_saveexec_b64 s[2:3], s[0:1]
	s_cbranch_execz .LBB18_37
; %bb.36:
	v_mad_i64_i32 v[6:7], s[24:25], s19, v21, 0
	v_lshl_add_u64 v[6:7], v[6:7], 1, s[4:5]
	v_lshlrev_b32_e32 v8, 1, v18
	v_mov_b32_e32 v9, 0
	v_lshl_add_u64 v[6:7], v[6:7], 0, v[8:9]
	global_load_dwordx4 v[6:9], v[6:7], off
.LBB18_37:
	s_or_b64 exec, exec, s[2:3]
	v_mov_b32_e32 v17, 0
	v_mov_b32_e32 v10, 0
	;; [unrolled: 1-line block ×5, first 2 shown]
	s_and_saveexec_b64 s[2:3], vcc
	s_cbranch_execz .LBB18_39
; %bb.38:
	v_mad_i64_i32 v[10:11], s[24:25], s19, v20, 0
	v_lshl_add_u64 v[10:11], v[10:11], 1, s[4:5]
	v_lshlrev_b32_e32 v12, 1, v18
	v_mov_b32_e32 v13, 0
	v_lshl_add_u64 v[10:11], v[10:11], 0, v[12:13]
	global_load_dwordx4 v[10:13], v[10:11], off offset:128
.LBB18_39:
	s_or_b64 exec, exec, s[2:3]
	v_mov_b32_e32 v16, 0
	v_mov_b32_e32 v15, 0
	;; [unrolled: 1-line block ×3, first 2 shown]
	s_and_saveexec_b64 s[2:3], s[0:1]
	s_cbranch_execz .LBB18_41
; %bb.40:
	v_mad_i64_i32 v[14:15], s[0:1], s19, v21, 0
	v_lshl_add_u64 v[14:15], v[14:15], 1, s[4:5]
	v_lshlrev_b32_e32 v16, 1, v18
	v_mov_b32_e32 v17, 0
	v_lshl_add_u64 v[14:15], v[14:15], 0, v[16:17]
	global_load_dwordx4 v[14:17], v[14:15], off offset:128
.LBB18_41:
	s_or_b64 exec, exec, s[2:3]
	s_branch .LBB18_45
.LBB18_42:
                                        ; implicit-def: $vgpr5
                                        ; implicit-def: $vgpr9
                                        ; implicit-def: $vgpr13
                                        ; implicit-def: $vgpr17
	v_lshrrev_b32_e32 v35, 2, v47
	s_branch .LBB18_46
.LBB18_43:
                                        ; implicit-def: $vgpr5
                                        ; implicit-def: $vgpr9
                                        ; implicit-def: $vgpr13
                                        ; implicit-def: $vgpr17
	s_cbranch_execz .LBB18_45
; %bb.44:
	s_waitcnt vmcnt(0)
	v_mad_u64_u32 v[2:3], s[0:1], v20, s19, v[18:19]
	v_lshlrev_b32_e32 v20, 1, v2
	s_lshl_b32 s2, s19, 7
	s_and_b32 s1, s5, 0xffff
	s_mov_b32 s3, 0x20000
	s_mov_b32 s0, s4
	v_add_lshl_u32 v21, v2, s19, 1
	s_movk_i32 s19, 0x80
	buffer_load_dwordx4 v[2:5], v20, s[0:3], 0 offen
	buffer_load_dwordx4 v[10:13], v20, s[0:3], s19 offen
	;; [unrolled: 1-line block ×4, first 2 shown]
.LBB18_45:
	v_lshrrev_b32_e32 v35, 2, v47
	s_cbranch_execnz .LBB18_58
.LBB18_46:
	s_and_b64 vcc, exec, s[6:7]
	s_cbranch_vccz .LBB18_56
; %bb.47:
	s_waitcnt vmcnt(0)
	v_lshlrev_b32_e32 v7, 1, v30
	v_cmp_gt_i32_e32 vcc, s44, v7
	v_mov_b32_e32 v6, 0
	v_lshlrev_b32_e32 v14, 9, v30
	v_mov_b32_e32 v2, 0
	v_mov_b32_e32 v3, 0
	;; [unrolled: 1-line block ×4, first 2 shown]
	s_and_saveexec_b64 s[0:1], vcc
	s_cbranch_execz .LBB18_49
; %bb.48:
	v_mov_b32_e32 v15, 0
	v_lshl_add_u64 v[2:3], s[4:5], 0, v[14:15]
	v_lshlrev_b32_e32 v4, 1, v18
	v_mov_b32_e32 v5, v15
	v_lshl_add_u64 v[2:3], v[2:3], 0, v[4:5]
	global_load_dwordx4 v[2:5], v[2:3], off
.LBB18_49:
	s_or_b64 exec, exec, s[0:1]
	v_or_b32_e32 v7, 1, v7
	v_cmp_gt_i32_e64 s[0:1], s44, v7
	v_lshlrev_b32_e32 v20, 8, v7
	v_mov_b32_e32 v7, 0
	v_mov_b32_e32 v8, 0
	v_mov_b32_e32 v9, 0
	s_and_saveexec_b64 s[2:3], s[0:1]
	s_cbranch_execz .LBB18_51
; %bb.50:
	v_mov_b32_e32 v21, 0
	v_lshl_add_u64 v[6:7], s[4:5], 0, v[20:21]
	v_lshlrev_b32_e32 v8, 1, v18
	v_mov_b32_e32 v9, v21
	v_lshl_add_u64 v[6:7], v[6:7], 0, v[8:9]
	global_load_dwordx4 v[6:9], v[6:7], off
.LBB18_51:
	s_or_b64 exec, exec, s[2:3]
	v_mov_b32_e32 v17, 0
	v_mov_b32_e32 v10, 0
	;; [unrolled: 1-line block ×5, first 2 shown]
	s_and_saveexec_b64 s[2:3], vcc
	s_cbranch_execz .LBB18_53
; %bb.52:
	v_mov_b32_e32 v15, 0
	v_lshl_add_u64 v[10:11], s[4:5], 0, v[14:15]
	v_lshlrev_b32_e32 v14, 1, v18
	v_lshl_add_u64 v[10:11], v[10:11], 0, v[14:15]
	global_load_dwordx4 v[10:13], v[10:11], off offset:128
.LBB18_53:
	s_or_b64 exec, exec, s[2:3]
	v_mov_b32_e32 v16, 0
	v_mov_b32_e32 v15, 0
	;; [unrolled: 1-line block ×3, first 2 shown]
	s_and_saveexec_b64 s[2:3], s[0:1]
	s_cbranch_execz .LBB18_55
; %bb.54:
	v_mov_b32_e32 v21, 0
	v_lshl_add_u64 v[14:15], s[4:5], 0, v[20:21]
	v_lshlrev_b32_e32 v20, 1, v18
	v_lshl_add_u64 v[14:15], v[14:15], 0, v[20:21]
	global_load_dwordx4 v[14:17], v[14:15], off offset:128
.LBB18_55:
	s_or_b64 exec, exec, s[2:3]
	s_branch .LBB18_58
.LBB18_56:
                                        ; implicit-def: $vgpr5
                                        ; implicit-def: $vgpr9
                                        ; implicit-def: $vgpr13
                                        ; implicit-def: $vgpr17
	s_cbranch_execz .LBB18_58
; %bb.57:
	s_waitcnt vmcnt(0)
	v_lshlrev_b32_e32 v2, 1, v18
	v_lshl_or_b32 v18, v30, 9, v2
	s_and_b32 s5, s5, 0xffff
	s_mov_b32 s7, 0x20000
	s_movk_i32 s6, 0x4000
	s_movk_i32 s0, 0x80
	buffer_load_dwordx4 v[2:5], v18, s[4:7], 0 offen
	buffer_load_dwordx4 v[6:9], v18, s[4:7], 0 offen offset:256
	buffer_load_dwordx4 v[10:13], v18, s[4:7], s0 offen
	buffer_load_dwordx4 v[14:17], v18, s[4:7], s0 offen offset:256
.LBB18_58:
	ds_read_b64 v[20:21], v31 offset:57344
	v_add_u32_e32 v18, 0x6000, v26
	ds_read2_b64 v[36:39], v18 offset1:16
	ds_read_b64 v[94:95], v32 offset:57344
	ds_read_b64 v[96:97], v33 offset:57344
	ds_read_b64 v[98:99], v34 offset:57344
	v_and_b32_e32 v31, 6, v0
	v_xor_b32_e32 v30, v30, v31
	v_lshlrev_b32_e32 v30, 2, v30
	s_mov_b32 s0, 0x1000504
	s_mov_b32 s1, 0x3020706
	s_waitcnt lgkmcnt(3)
	v_mfma_f32_16x16x16_bf16 a[0:3], v[20:21], v[36:37], a[0:3]
	v_mfma_f32_16x16x16_bf16 a[4:7], v[20:21], v[38:39], a[4:7]
	ds_read2_b64 v[36:39], v18 offset0:32 offset1:48
	v_and_b32_e32 v18, 12, v35
	ds_read2st64_b64 v[32:35], v26 offset0:52 offset1:56
	s_waitcnt lgkmcnt(1)
	v_mfma_f32_16x16x16_bf16 a[8:11], v[20:21], v[36:37], a[8:11]
	v_mfma_f32_16x16x16_bf16 a[12:15], v[20:21], v[38:39], a[12:15]
	ds_read2st64_b64 v[36:39], v27 offset0:52 offset1:56
	ds_read2st64_b64 v[40:43], v28 offset0:52 offset1:56
	ds_read2st64_b64 v[90:93], v29 offset0:52 offset1:56
	s_waitcnt lgkmcnt(3)
	v_mfma_f32_16x16x16_bf16 a[0:3], v[94:95], v[32:33], a[0:3]
	ds_read_b64 v[20:21], v26 offset:30720
	ds_read_b64 v[32:33], v27 offset:30720
	;; [unrolled: 1-line block ×4, first 2 shown]
	s_waitcnt lgkmcnt(6)
	v_mfma_f32_16x16x16_bf16 a[4:7], v[94:95], v[36:37], a[4:7]
	v_and_b32_e32 v36, 1, v0
	v_xor_b32_e32 v37, 0x440, v30
	v_cmp_eq_u32_e32 vcc, 0, v36
	s_waitcnt lgkmcnt(5)
	v_mfma_f32_16x16x16_bf16 a[8:11], v[94:95], v[40:41], a[8:11]
	v_cndmask_b32_e32 v30, v37, v30, vcc
	v_lshl_or_b32 v30, v31, 10, v30
	s_waitcnt lgkmcnt(4)
	v_mfma_f32_16x16x16_bf16 a[12:15], v[94:95], v[90:91], a[12:15]
	s_waitcnt vmcnt(0)
	v_perm_b32 v31, v2, v6, s0
	v_perm_b32 v2, v2, v6, s1
	;; [unrolled: 1-line block ×3, first 2 shown]
	v_mfma_f32_16x16x16_bf16 a[0:3], v[96:97], v[34:35], a[0:3]
	v_perm_b32 v34, v10, v14, s0
	ds_write2st64_b32 v30, v31, v34 offset0:128 offset1:160
	v_xor_b32_e32 v31, 8, v30
	v_add_u32_e32 v10, 0x80, v31
	ds_write2st64_b32 v10, v2, v6 offset0:128 offset1:160
	v_xor_b32_e32 v2, 16, v30
	v_perm_b32 v6, v3, v7, s0
	v_perm_b32 v10, v11, v15, s0
	v_mfma_f32_16x16x16_bf16 a[4:7], v[96:97], v[38:39], a[4:7]
	ds_write2st64_b32 v2, v6, v10 offset0:129 offset1:161
	v_xor_b32_e32 v2, 24, v30
	v_perm_b32 v3, v3, v7, s1
	v_mfma_f32_16x16x16_bf16 a[16:19], v[96:97], v[42:43], a[8:11]
	v_perm_b32 v6, v11, v15, s1
	v_add_u32_e32 v2, 0x80, v2
	ds_write2st64_b32 v2, v3, v6 offset0:129 offset1:161
	v_mfma_f32_16x16x16_bf16 a[20:23], v[96:97], v[92:93], a[12:15]
	v_xor_b32_e32 v2, 32, v30
	v_perm_b32 v3, v4, v8, s0
	v_perm_b32 v6, v12, v16, s0
	ds_write2st64_b32 v2, v3, v6 offset0:130 offset1:162
	v_xor_b32_e32 v2, 40, v30
	s_waitcnt lgkmcnt(8)
	v_mfma_f32_16x16x16_bf16 a[12:15], v[98:99], v[20:21], a[0:3]
	v_perm_b32 v3, v4, v8, s1
	v_perm_b32 v4, v12, v16, s1
	v_add_u32_e32 v2, 0x80, v2
	s_waitcnt lgkmcnt(7)
	v_mfma_f32_16x16x16_bf16 a[8:11], v[98:99], v[32:33], a[4:7]
	ds_write2st64_b32 v2, v3, v4 offset0:130 offset1:162
	v_xor_b32_e32 v2, 48, v30
	v_perm_b32 v3, v5, v9, s0
	s_waitcnt lgkmcnt(7)
	v_mfma_f32_16x16x16_bf16 a[4:7], v[98:99], v[100:101], a[16:19]
	v_perm_b32 v4, v13, v17, s0
	ds_write2st64_b32 v2, v3, v4 offset0:131 offset1:163
	v_xor_b32_e32 v2, 56, v30
	s_waitcnt lgkmcnt(7)
	v_mfma_f32_16x16x16_bf16 a[0:3], v[98:99], v[102:103], a[20:23]
	v_or_b32_e32 v16, v18, v45
	v_perm_b32 v3, v5, v9, s1
	v_perm_b32 v4, v13, v17, s1
	v_add_u32_e32 v2, 0x80, v2
	v_cmp_gt_i32_e32 vcc, s44, v16
	v_mov_b32_e32 v17, 0
	v_mov_b32_e32 v21, 0
	ds_write2st64_b32 v2, v3, v4 offset0:131 offset1:163
	s_and_saveexec_b64 s[0:1], vcc
	s_cbranch_execz .LBB18_60
; %bb.59:
	v_add_u32_e32 v2, s34, v16
	v_ashrrev_i32_e32 v3, 31, v2
	v_mul_lo_u32 v4, v3, s22
	v_mul_lo_u32 v5, v2, s23
	v_mad_u64_u32 v[2:3], s[2:3], v2, s22, 0
	v_add3_u32 v3, v3, v5, v4
	v_lshl_add_u64 v[2:3], v[2:3], 2, s[10:11]
	global_load_dword v2, v[2:3], off
	s_waitcnt vmcnt(0)
	v_sub_f32_e32 v2, s16, v2
	v_exp_f32_e32 v21, v2
.LBB18_60:
	s_or_b64 exec, exec, s[0:1]
	v_or_b32_e32 v8, 1, v16
	v_cmp_gt_i32_e64 s[0:1], s44, v8
	s_and_saveexec_b64 s[2:3], s[0:1]
	s_cbranch_execz .LBB18_62
; %bb.61:
	v_add_u32_e32 v2, s34, v8
	v_ashrrev_i32_e32 v3, 31, v2
	v_mul_lo_u32 v4, v3, s22
	v_mul_lo_u32 v5, v2, s23
	v_mad_u64_u32 v[2:3], s[4:5], v2, s22, 0
	v_add3_u32 v3, v3, v5, v4
	v_lshl_add_u64 v[2:3], v[2:3], 2, s[10:11]
	global_load_dword v2, v[2:3], off
	s_waitcnt vmcnt(0)
	v_sub_f32_e32 v2, s16, v2
	v_exp_f32_e32 v17, v2
.LBB18_62:
	s_or_b64 exec, exec, s[2:3]
	v_or_b32_e32 v9, 2, v16
	v_cmp_gt_i32_e64 s[2:3], s44, v9
	v_mov_b32_e32 v20, 0
	v_mov_b32_e32 v30, 0
	s_and_saveexec_b64 s[4:5], s[2:3]
	s_cbranch_execz .LBB18_64
; %bb.63:
	v_add_u32_e32 v2, s34, v9
	v_ashrrev_i32_e32 v3, 31, v2
	v_mul_lo_u32 v4, v3, s22
	v_mul_lo_u32 v5, v2, s23
	v_mad_u64_u32 v[2:3], s[6:7], v2, s22, 0
	v_add3_u32 v3, v3, v5, v4
	v_lshl_add_u64 v[2:3], v[2:3], 2, s[10:11]
	global_load_dword v2, v[2:3], off
	s_waitcnt vmcnt(0)
	v_sub_f32_e32 v2, s16, v2
	v_exp_f32_e32 v30, v2
.LBB18_64:
	s_or_b64 exec, exec, s[4:5]
	v_or_b32_e32 v31, 3, v16
	v_cmp_gt_i32_e64 s[4:5], s44, v31
	s_and_saveexec_b64 s[6:7], s[4:5]
	s_cbranch_execz .LBB18_66
; %bb.65:
	v_add_u32_e32 v2, s34, v31
	v_ashrrev_i32_e32 v3, 31, v2
	v_mul_lo_u32 v4, v3, s22
	v_mul_lo_u32 v5, v2, s23
	v_mad_u64_u32 v[2:3], s[22:23], v2, s22, 0
	v_add3_u32 v3, v3, v5, v4
	v_lshl_add_u64 v[2:3], v[2:3], 2, s[10:11]
	global_load_dword v2, v[2:3], off
	s_waitcnt vmcnt(0)
	v_sub_f32_e32 v2, s16, v2
	v_exp_f32_e32 v20, v2
.LBB18_66:
	s_or_b64 exec, exec, s[6:7]
	s_add_u32 s6, s8, s28
	v_accvgpr_read_b32 v2, a12
	s_addc_u32 s7, s9, s29
	v_ashrrev_i32_e32 v89, 31, v88
	v_accvgpr_read_b32 v3, a13
	v_accvgpr_read_b32 v4, a14
	;; [unrolled: 1-line block ×3, first 2 shown]
	v_lshl_add_u64 v[6:7], v[88:89], 1, s[6:7]
	v_mov_b32_e32 v13, 0
	v_lshlrev_b32_e32 v10, 8, v16
	v_mov_b32_e32 v11, 0
	s_and_saveexec_b64 s[6:7], vcc
	s_cbranch_execz .LBB18_68
; %bb.67:
	v_mov_b32_e32 v11, 0
	v_lshl_add_u64 v[14:15], v[6:7], 0, v[10:11]
	global_load_ushort v11, v[14:15], off
	s_waitcnt vmcnt(0)
	v_lshlrev_b32_e32 v11, 16, v11
	v_sub_f32_e32 v2, v11, v2
	v_mul_f32_e32 v2, v21, v2
	v_lshrrev_b32_e32 v11, 16, v2
.LBB18_68:
	s_or_b64 exec, exec, s[6:7]
	v_lshlrev_b32_e32 v12, 8, v8
	s_and_saveexec_b64 s[6:7], s[0:1]
	s_cbranch_execz .LBB18_70
; %bb.69:
	v_mov_b32_e32 v13, 0
	v_lshl_add_u64 v[14:15], v[6:7], 0, v[12:13]
	global_load_ushort v2, v[14:15], off
	s_waitcnt vmcnt(0)
	v_lshlrev_b32_e32 v2, 16, v2
	v_sub_f32_e32 v2, v2, v3
	v_mul_f32_e32 v2, v17, v2
	v_lshrrev_b32_e32 v13, 16, v2
.LBB18_70:
	s_or_b64 exec, exec, s[6:7]
	v_mov_b32_e32 v32, 0
	v_lshlrev_b32_e32 v14, 8, v9
	v_mov_b32_e32 v15, 0
	s_and_saveexec_b64 s[6:7], s[2:3]
	s_cbranch_execz .LBB18_72
; %bb.71:
	v_mov_b32_e32 v15, 0
	v_lshl_add_u64 v[2:3], v[6:7], 0, v[14:15]
	global_load_ushort v2, v[2:3], off
	s_waitcnt vmcnt(0)
	v_lshlrev_b32_e32 v2, 16, v2
	v_sub_f32_e32 v2, v2, v4
	v_mul_f32_e32 v2, v30, v2
	v_lshrrev_b32_e32 v15, 16, v2
.LBB18_72:
	s_or_b64 exec, exec, s[6:7]
	v_lshlrev_b32_e32 v8, 8, v31
	s_and_saveexec_b64 s[6:7], s[4:5]
	s_cbranch_execz .LBB18_74
; %bb.73:
	v_mov_b32_e32 v9, 0
	v_lshl_add_u64 v[2:3], v[6:7], 0, v[8:9]
	global_load_ushort v2, v[2:3], off
	s_waitcnt vmcnt(0)
	v_lshlrev_b32_e32 v2, 16, v2
	v_sub_f32_e32 v2, v2, v5
	v_mul_f32_e32 v2, v20, v2
	v_lshrrev_b32_e32 v32, 16, v2
.LBB18_74:
	s_or_b64 exec, exec, s[6:7]
	v_lshlrev_b32_e32 v31, 6, v16
	v_accvgpr_read_b32 v2, a8
	s_mov_b32 s6, 0x5040100
	v_or_b32_e32 v9, v31, v24
	v_accvgpr_read_b32 v3, a9
	v_accvgpr_read_b32 v4, a10
	;; [unrolled: 1-line block ×3, first 2 shown]
	v_perm_b32 v33, v32, v15, s6
	v_perm_b32 v32, v13, v11, s6
	v_lshlrev_b32_e32 v9, 1, v9
	v_mov_b32_e32 v13, 0
	v_mov_b32_e32 v11, 0
	ds_write_b64 v9, v[32:33] offset:24576
	s_and_saveexec_b64 s[6:7], vcc
	s_cbranch_execz .LBB18_76
; %bb.75:
	v_mov_b32_e32 v11, 0
	v_lshl_add_u64 v[32:33], v[6:7], 0, v[10:11]
	global_load_ushort v9, v[32:33], off offset:32
	s_waitcnt vmcnt(0)
	v_lshlrev_b32_e32 v9, 16, v9
	v_sub_f32_e32 v2, v9, v2
	v_mul_f32_e32 v2, v21, v2
	v_lshrrev_b32_e32 v11, 16, v2
.LBB18_76:
	s_or_b64 exec, exec, s[6:7]
	s_and_saveexec_b64 s[6:7], s[0:1]
	s_cbranch_execz .LBB18_78
; %bb.77:
	v_mov_b32_e32 v13, 0
	v_lshl_add_u64 v[32:33], v[6:7], 0, v[12:13]
	global_load_ushort v2, v[32:33], off offset:32
	s_waitcnt vmcnt(0)
	v_lshlrev_b32_e32 v2, 16, v2
	v_sub_f32_e32 v2, v2, v3
	v_mul_f32_e32 v2, v17, v2
	v_lshrrev_b32_e32 v13, 16, v2
.LBB18_78:
	s_or_b64 exec, exec, s[6:7]
	v_mov_b32_e32 v9, 0
	v_mov_b32_e32 v15, 0
	s_and_saveexec_b64 s[6:7], s[2:3]
	s_cbranch_execz .LBB18_80
; %bb.79:
	v_mov_b32_e32 v15, 0
	v_lshl_add_u64 v[2:3], v[6:7], 0, v[14:15]
	global_load_ushort v2, v[2:3], off offset:32
	s_waitcnt vmcnt(0)
	v_lshlrev_b32_e32 v2, 16, v2
	v_sub_f32_e32 v2, v2, v4
	v_mul_f32_e32 v2, v30, v2
	v_lshrrev_b32_e32 v15, 16, v2
.LBB18_80:
	s_or_b64 exec, exec, s[6:7]
	s_and_saveexec_b64 s[6:7], s[4:5]
	s_cbranch_execz .LBB18_82
; %bb.81:
	v_mov_b32_e32 v9, 0
	v_lshl_add_u64 v[2:3], v[6:7], 0, v[8:9]
	global_load_ushort v2, v[2:3], off offset:32
	s_waitcnt vmcnt(0)
	v_lshlrev_b32_e32 v2, 16, v2
	v_sub_f32_e32 v2, v2, v5
	v_mul_f32_e32 v2, v20, v2
	v_lshrrev_b32_e32 v9, 16, v2
.LBB18_82:
	s_or_b64 exec, exec, s[6:7]
	s_mov_b32 s6, 0x5040100
	v_accvgpr_read_b32 v2, a4
	v_perm_b32 v33, v9, v15, s6
	v_or_b32_e32 v9, v31, v23
	v_accvgpr_read_b32 v3, a5
	v_accvgpr_read_b32 v4, a6
	;; [unrolled: 1-line block ×3, first 2 shown]
	v_perm_b32 v32, v13, v11, s6
	v_lshlrev_b32_e32 v9, 1, v9
	v_mov_b32_e32 v13, 0
	v_mov_b32_e32 v11, 0
	ds_write_b64 v9, v[32:33] offset:24576
	s_and_saveexec_b64 s[6:7], vcc
	s_cbranch_execz .LBB18_84
; %bb.83:
	v_mov_b32_e32 v11, 0
	v_lshl_add_u64 v[32:33], v[6:7], 0, v[10:11]
	global_load_ushort v9, v[32:33], off offset:64
	s_waitcnt vmcnt(0)
	v_lshlrev_b32_e32 v9, 16, v9
	v_sub_f32_e32 v2, v9, v2
	v_mul_f32_e32 v2, v21, v2
	v_lshrrev_b32_e32 v11, 16, v2
.LBB18_84:
	s_or_b64 exec, exec, s[6:7]
	s_and_saveexec_b64 s[6:7], s[0:1]
	s_cbranch_execz .LBB18_86
; %bb.85:
	v_mov_b32_e32 v13, 0
	v_lshl_add_u64 v[32:33], v[6:7], 0, v[12:13]
	global_load_ushort v2, v[32:33], off offset:64
	s_waitcnt vmcnt(0)
	v_lshlrev_b32_e32 v2, 16, v2
	v_sub_f32_e32 v2, v2, v3
	v_mul_f32_e32 v2, v17, v2
	v_lshrrev_b32_e32 v13, 16, v2
.LBB18_86:
	s_or_b64 exec, exec, s[6:7]
	v_mov_b32_e32 v9, 0
	v_mov_b32_e32 v15, 0
	s_and_saveexec_b64 s[6:7], s[2:3]
	s_cbranch_execz .LBB18_88
; %bb.87:
	v_mov_b32_e32 v15, 0
	v_lshl_add_u64 v[2:3], v[6:7], 0, v[14:15]
	global_load_ushort v2, v[2:3], off offset:64
	s_waitcnt vmcnt(0)
	v_lshlrev_b32_e32 v2, 16, v2
	v_sub_f32_e32 v2, v2, v4
	v_mul_f32_e32 v2, v30, v2
	v_lshrrev_b32_e32 v15, 16, v2
.LBB18_88:
	s_or_b64 exec, exec, s[6:7]
	s_and_saveexec_b64 s[6:7], s[4:5]
	s_cbranch_execz .LBB18_90
; %bb.89:
	v_mov_b32_e32 v9, 0
	v_lshl_add_u64 v[2:3], v[6:7], 0, v[8:9]
	global_load_ushort v2, v[2:3], off offset:64
	s_waitcnt vmcnt(0)
	v_lshlrev_b32_e32 v2, 16, v2
	v_sub_f32_e32 v2, v2, v5
	v_mul_f32_e32 v2, v20, v2
	v_lshrrev_b32_e32 v9, 16, v2
.LBB18_90:
	s_or_b64 exec, exec, s[6:7]
	s_mov_b32 s6, 0x5040100
	v_accvgpr_read_b32 v5, a3
	v_perm_b32 v33, v9, v15, s6
	v_or_b32_e32 v9, v31, v22
	v_accvgpr_read_b32 v4, a2
	v_accvgpr_read_b32 v3, a1
	;; [unrolled: 1-line block ×3, first 2 shown]
	v_perm_b32 v32, v13, v11, s6
	v_lshlrev_b32_e32 v9, 1, v9
	v_mov_b32_e32 v13, 0
	v_mov_b32_e32 v11, 0
	ds_write_b64 v9, v[32:33] offset:24576
	s_and_saveexec_b64 s[6:7], vcc
	s_cbranch_execz .LBB18_92
; %bb.91:
	v_mov_b32_e32 v11, 0
	v_lshl_add_u64 v[10:11], v[6:7], 0, v[10:11]
	global_load_ushort v9, v[10:11], off offset:96
	s_waitcnt vmcnt(0)
	v_lshlrev_b32_e32 v9, 16, v9
	v_sub_f32_e32 v2, v9, v2
	v_mul_f32_e32 v2, v21, v2
	v_lshrrev_b32_e32 v11, 16, v2
.LBB18_92:
	s_or_b64 exec, exec, s[6:7]
	s_and_saveexec_b64 s[6:7], s[0:1]
	s_cbranch_execz .LBB18_94
; %bb.93:
	v_mov_b32_e32 v13, 0
	v_lshl_add_u64 v[12:13], v[6:7], 0, v[12:13]
	global_load_ushort v2, v[12:13], off offset:96
	s_waitcnt vmcnt(0)
	v_lshlrev_b32_e32 v2, 16, v2
	v_sub_f32_e32 v2, v2, v3
	v_mul_f32_e32 v2, v17, v2
	v_lshrrev_b32_e32 v13, 16, v2
.LBB18_94:
	s_or_b64 exec, exec, s[6:7]
	v_mov_b32_e32 v9, 0
	v_mov_b32_e32 v12, 0
	s_and_saveexec_b64 s[0:1], s[2:3]
	s_cbranch_execz .LBB18_96
; %bb.95:
	v_mov_b32_e32 v15, 0
	v_lshl_add_u64 v[2:3], v[6:7], 0, v[14:15]
	global_load_ushort v2, v[2:3], off offset:96
	s_waitcnt vmcnt(0)
	v_lshlrev_b32_e32 v2, 16, v2
	v_sub_f32_e32 v2, v2, v4
	v_mul_f32_e32 v2, v30, v2
	v_lshrrev_b32_e32 v12, 16, v2
.LBB18_96:
	s_or_b64 exec, exec, s[0:1]
	v_or_b32_e32 v10, 0x6000, v26
	v_or_b32_e32 v2, 0x6000, v27
	;; [unrolled: 1-line block ×4, first 2 shown]
	s_and_saveexec_b64 s[0:1], s[4:5]
	s_cbranch_execz .LBB18_98
; %bb.97:
	v_mov_b32_e32 v9, 0
	v_lshl_add_u64 v[6:7], v[6:7], 0, v[8:9]
	global_load_ushort v6, v[6:7], off offset:96
	s_waitcnt vmcnt(0)
	v_lshlrev_b32_e32 v6, 16, v6
	v_sub_f32_e32 v5, v6, v5
	v_mul_f32_e32 v5, v20, v5
	v_lshrrev_b32_e32 v9, 16, v5
.LBB18_98:
	s_or_b64 exec, exec, s[0:1]
	s_mov_b32 s0, 0x5040100
	v_or_b32_e32 v5, v31, v19
	v_perm_b32 v7, v9, v12, s0
	v_perm_b32 v6, v13, v11, s0
	v_lshlrev_b32_e32 v5, 1, v5
	ds_write_b64 v5, v[6:7] offset:24576
	v_and_b32_e32 v5, 7, v0
	v_and_b32_e32 v11, 8, v0
	v_lshlrev_b32_e32 v17, 3, v5
	v_lshlrev_b32_e32 v19, 7, v5
	v_lshrrev_b32_e32 v5, 1, v0
	v_and_b32_e32 v5, 24, v5
	v_mov_b32_e32 v12, 0x400
	v_cmp_eq_u32_e32 vcc, 0, v11
	s_movk_i32 s2, 0x100
	v_lshlrev_b32_e32 v24, 3, v1
	v_cndmask_b32_e64 v11, v12, 64, vcc
	v_mov_b32_e32 v12, 0xa000
	v_mov_b32_e32 v13, 0x8000
	v_cmp_gt_u32_e64 s[0:1], s2, v0
	v_xor_b32_e32 v40, v24, v5
	s_waitcnt lgkmcnt(0)
	v_cndmask_b32_e64 v0, v12, v13, s[0:1]
	v_or_b32_e32 v12, 0x440, v40
	v_cndmask_b32_e32 v12, v12, v40, vcc
	v_or_b32_e32 v12, v12, v25
	v_xor_b32_e32 v44, v12, v17
	v_add3_u32 v12, v0, v44, v19
	s_barrier
	ds_read_b64 v[20:21], v12
	v_or_b32_e32 v12, 32, v5
	v_xor_b32_e32 v12, v24, v12
	v_or_b32_e32 v13, 0x440, v12
	v_cndmask_b32_e32 v12, v13, v12, vcc
	v_or_b32_e32 v12, v12, v25
	v_xor_b32_e32 v47, v12, v17
	v_add3_u32 v12, v0, v47, v19
	ds_read2_b64 v[6:9], v10 offset1:16
	ds_read_b64 v[38:39], v12
	ds_read2_b64 v[12:15], v10 offset0:32 offset1:48
	v_or3_b32 v11, v25, v11, v40
	v_xor_b32_e32 v11, v11, v17
	v_or_b32_e32 v88, v11, v19
	v_or_b32_e32 v11, v0, v88
	s_waitcnt lgkmcnt(2)
	v_mfma_f32_16x16x16_bf16 a[0:3], v[20:21], v[6:7], 0
	ds_read2st64_b64 v[26:29], v2 offset0:4 offset1:8
	v_or_b32_e32 v5, 0x60, v5
	v_xor_b32_e32 v5, v24, v5
	v_mfma_f32_16x16x16_bf16 a[4:7], v[20:21], v[8:9], 0
	s_mul_i32 s0, s18, s17
	s_mul_hi_i32 s1, s18, s17
	s_add_u32 s0, s0, s33
	s_waitcnt lgkmcnt(1)
	v_mfma_f32_16x16x16_bf16 a[8:11], v[20:21], v[12:13], 0
	s_addc_u32 s1, s1, s46
	s_lshl_b64 s[0:1], s[0:1], 9
	s_add_u32 s0, s20, s0
	v_mfma_f32_16x16x16_bf16 a[12:15], v[20:21], v[14:15], 0
	ds_read2st64_b64 v[20:23], v10 offset0:4 offset1:8
	ds_read2st64_b64 v[30:33], v3 offset0:4 offset1:8
	;; [unrolled: 1-line block ×3, first 2 shown]
	ds_read_b64 v[40:41], v11
	v_xor_b32_e32 v11, 0x440, v5
	v_cndmask_b32_e32 v5, v11, v5, vcc
	s_waitcnt lgkmcnt(3)
	v_mfma_f32_16x16x16_bf16 a[0:3], v[38:39], v[20:21], a[0:3]
	v_or_b32_e32 v5, v5, v25
	v_xor_b32_e32 v17, v5, v17
	v_add3_u32 v0, v0, v17, v19
	v_mfma_f32_16x16x16_bf16 a[4:7], v[38:39], v[26:27], a[4:7]
	ds_read_b64 v[24:25], v0
	s_addc_u32 s1, s21, s1
	v_lshlrev_b32_e32 v0, 2, v16
	s_waitcnt lgkmcnt(3)
	v_mfma_f32_16x16x16_bf16 a[8:11], v[38:39], v[30:31], a[8:11]
	ds_read_b64 v[10:11], v10 offset:6144
	v_add_u32_e32 v17, v17, v19
	s_waitcnt lgkmcnt(3)
	v_mfma_f32_16x16x16_bf16 a[12:15], v[38:39], v[34:35], a[12:15]
	s_waitcnt lgkmcnt(2)
	v_mfma_f32_16x16x16_bf16 a[0:3], v[40:41], v[22:23], a[0:3]
	v_mfma_f32_16x16x16_bf16 a[4:7], v[40:41], v[28:29], a[4:7]
	;; [unrolled: 1-line block ×4, first 2 shown]
	ds_read_b64 v[38:39], v2 offset:6144
	ds_read_b64 v[40:41], v3 offset:6144
	;; [unrolled: 1-line block ×3, first 2 shown]
	global_load_dwordx4 v[2:5], v0, s[0:1]
	v_add_u32_e32 v0, v44, v19
	ds_read_b64 v[44:45], v0 offset:40960
	v_lshlrev_b32_e32 v0, 6, v1
	v_lshlrev_b32_e32 v1, 2, v18
	v_or3_b32 v16, v0, v1, s2
	v_add_u32_e32 v0, v47, v19
	s_waitcnt lgkmcnt(4)
	v_mfma_f32_16x16x16_bf16 a[0:3], v[24:25], v[10:11], a[0:3]
	s_waitcnt vmcnt(0)
	v_exp_f32_e32 v2, v2
	s_waitcnt lgkmcnt(3)
	v_mfma_f32_16x16x16_bf16 a[4:7], v[24:25], v[38:39], a[4:7]
	v_exp_f32_e32 v3, v3
	v_exp_f32_e32 v4, v4
	v_exp_f32_e32 v5, v5
	s_waitcnt lgkmcnt(2)
	v_mfma_f32_16x16x16_bf16 a[8:11], v[24:25], v[40:41], a[8:11]
	s_waitcnt lgkmcnt(1)
	v_mfma_f32_16x16x16_bf16 a[12:15], v[24:25], v[42:43], a[12:15]
	ds_read_b64 v[0:1], v0 offset:40960
	ds_read_b64 v[24:25], v17 offset:40960
	global_load_dwordx4 v[16:19], v16, s[0:1]
	s_waitcnt lgkmcnt(2)
	v_mfma_f32_16x16x16_bf16 a[16:19], v[44:45], v[6:7], 0
	v_exp_f32_e32 v6, s16
	s_nop 0
	v_pk_mul_f32 v[2:3], v[6:7], v[2:3] op_sel_hi:[0,1]
	v_mfma_f32_16x16x16_bf16 a[24:27], v[44:45], v[12:13], 0
	v_accvgpr_read_b32 v13, a7
	v_accvgpr_read_b32 v12, a6
	v_pk_mul_f32 v[4:5], v[6:7], v[4:5] op_sel_hi:[0,1]
	s_waitcnt lgkmcnt(1)
	v_mfma_f32_16x16x16_bf16 a[16:19], v[0:1], v[20:21], a[16:19]
	ds_read_b64 v[20:21], v88 offset:40960
	v_pk_fma_f32 v[78:79], v[4:5], v[78:79], v[12:13]
	v_mfma_f32_16x16x16_bf16 a[20:23], v[44:45], v[8:9], 0
	v_accvgpr_read_b32 v9, a3
	v_accvgpr_read_b32 v8, a2
	v_pk_fma_f32 v[86:87], v[86:87], v[4:5], v[8:9]
	v_mfma_f32_16x16x16_bf16 a[28:31], v[44:45], v[14:15], 0
	v_accvgpr_read_b32 v15, a11
	v_accvgpr_read_b32 v14, a10
	;; [unrolled: 4-line block ×5, first 2 shown]
	v_pk_fma_f32 v[74:75], v[2:3], v[74:75], v[0:1]
	v_accvgpr_read_b32 v0, a8
	v_accvgpr_read_b32 v1, a9
	s_waitcnt lgkmcnt(0)
	v_mfma_f32_16x16x16_bf16 a[4:7], v[20:21], v[22:23], a[16:19]
	v_pk_fma_f32 v[66:67], v[2:3], v[66:67], v[0:1]
	v_accvgpr_read_b32 v0, a12
	v_accvgpr_read_b32 v1, a13
	v_mfma_f32_16x16x16_bf16 a[8:11], v[20:21], v[28:29], a[20:23]
	v_pk_fma_f32 v[58:59], v[2:3], v[58:59], v[0:1]
	s_waitcnt vmcnt(0)
	v_mov_b32_e32 v0, v17
	v_mfma_f32_16x16x16_bf16 a[12:15], v[20:21], v[32:33], a[24:27]
	v_mov_b32_e32 v1, v18
	v_mov_b32_e32 v2, v19
	v_exp_f32_e32 v9, v0
	v_exp_f32_e32 v0, v1
	;; [unrolled: 1-line block ×3, first 2 shown]
	v_mfma_f32_16x16x16_bf16 a[4:7], v[24:25], v[10:11], a[4:7]
	v_exp_f32_e32 v8, v16
	v_pk_mul_f32 v[0:1], v[6:7], v[0:1] op_sel_hi:[0,1]
	v_mfma_f32_16x16x16_bf16 a[0:3], v[20:21], v[36:37], a[0:3]
	v_pk_mul_f32 v[2:3], v[6:7], v[8:9] op_sel_hi:[0,1]
	v_mfma_f32_16x16x16_bf16 a[8:11], v[24:25], v[38:39], a[8:11]
	s_nop 1
	v_accvgpr_read_b32 v5, a7
	v_accvgpr_read_b32 v4, a6
	v_pk_fma_f32 v[84:85], v[84:85], v[0:1], v[4:5]
	v_mfma_f32_16x16x16_bf16 a[12:15], v[24:25], v[40:41], a[12:15]
	v_accvgpr_read_b32 v13, a5
	v_accvgpr_read_b32 v12, a4
	v_pk_fma_f32 v[80:81], v[80:81], v[2:3], v[12:13]
	v_mfma_f32_16x16x16_bf16 a[0:3], v[24:25], v[42:43], a[0:3]
	v_accvgpr_read_b32 v4, a8
	v_accvgpr_read_b32 v5, a9
	v_pk_fma_f32 v[72:73], v[2:3], v[72:73], v[4:5]
	v_accvgpr_read_b32 v4, a12
	v_accvgpr_read_b32 v5, a13
	v_pk_fma_f32 v[64:65], v[2:3], v[64:65], v[4:5]
	v_accvgpr_read_b32 v7, a11
	v_accvgpr_read_b32 v5, a1
	;; [unrolled: 1-line block ×8, first 2 shown]
	v_pk_fma_f32 v[76:77], v[0:1], v[76:77], v[6:7]
	v_pk_fma_f32 v[68:69], v[0:1], v[68:69], v[8:9]
	;; [unrolled: 1-line block ×4, first 2 shown]
.LBB18_99:
	s_add_u32 s0, s12, s14
	s_addc_u32 s1, s13, s15
	v_lshl_add_u64 v[0:1], v[48:49], 1, s[0:1]
	v_mov_b32_e32 v47, 0
	s_mov_b32 s2, 0x7060302
	v_lshl_add_u64 v[0:1], v[0:1], 0, v[46:47]
	v_perm_b32 v3, v87, v86, s2
	v_perm_b32 v2, v83, v82, s2
	global_store_dwordx2 v[0:1], v[2:3], off
	v_perm_b32 v3, v85, v84, s2
	v_perm_b32 v2, v81, v80, s2
	global_store_dwordx2 v[0:1], v[2:3], off offset:128
	v_lshl_add_u64 v[0:1], v[50:51], 1, s[0:1]
	v_lshl_add_u64 v[0:1], v[0:1], 0, v[46:47]
	v_perm_b32 v3, v79, v78, s2
	v_perm_b32 v2, v75, v74, s2
	global_store_dwordx2 v[0:1], v[2:3], off
	v_perm_b32 v3, v77, v76, s2
	v_perm_b32 v2, v73, v72, s2
	global_store_dwordx2 v[0:1], v[2:3], off offset:128
	v_lshl_add_u64 v[0:1], v[52:53], 1, s[0:1]
	;; [unrolled: 8-line block ×3, first 2 shown]
	v_lshl_add_u64 v[0:1], v[0:1], 0, v[46:47]
	v_perm_b32 v3, v63, v62, s2
	v_perm_b32 v2, v59, v58, s2
	global_store_dwordx2 v[0:1], v[2:3], off
	v_perm_b32 v3, v61, v60, s2
	v_perm_b32 v2, v57, v56, s2
	global_store_dwordx2 v[0:1], v[2:3], off offset:128
	s_endpgm
	.section	.rodata,"a",@progbits
	.p2align	6, 0x0
	.amdhsa_kernel _ZN12_GLOBAL__N_139chunk_gated_delta_rule_fwd_h_hip_kernelILi64ELb1ELb1ELb0ELb1ELb1ELb1ELb0ELb1EEEvPK12hip_bfloat16S3_S3_PKfS5_PKvPS1_S8_PvPKiSB_iiiiilll
		.amdhsa_group_segment_fixed_size 65536
		.amdhsa_private_segment_fixed_size 0
		.amdhsa_kernarg_size 136
		.amdhsa_user_sgpr_count 2
		.amdhsa_user_sgpr_dispatch_ptr 0
		.amdhsa_user_sgpr_queue_ptr 0
		.amdhsa_user_sgpr_kernarg_segment_ptr 1
		.amdhsa_user_sgpr_dispatch_id 0
		.amdhsa_user_sgpr_kernarg_preload_length 0
		.amdhsa_user_sgpr_kernarg_preload_offset 0
		.amdhsa_user_sgpr_private_segment_size 0
		.amdhsa_uses_dynamic_stack 0
		.amdhsa_enable_private_segment 0
		.amdhsa_system_sgpr_workgroup_id_x 1
		.amdhsa_system_sgpr_workgroup_id_y 1
		.amdhsa_system_sgpr_workgroup_id_z 0
		.amdhsa_system_sgpr_workgroup_info 0
		.amdhsa_system_vgpr_workitem_id 0
		.amdhsa_next_free_vgpr 240
		.amdhsa_next_free_sgpr 67
		.amdhsa_accum_offset 200
		.amdhsa_reserve_vcc 1
		.amdhsa_float_round_mode_32 0
		.amdhsa_float_round_mode_16_64 0
		.amdhsa_float_denorm_mode_32 3
		.amdhsa_float_denorm_mode_16_64 3
		.amdhsa_dx10_clamp 1
		.amdhsa_ieee_mode 1
		.amdhsa_fp16_overflow 0
		.amdhsa_tg_split 0
		.amdhsa_exception_fp_ieee_invalid_op 0
		.amdhsa_exception_fp_denorm_src 0
		.amdhsa_exception_fp_ieee_div_zero 0
		.amdhsa_exception_fp_ieee_overflow 0
		.amdhsa_exception_fp_ieee_underflow 0
		.amdhsa_exception_fp_ieee_inexact 0
		.amdhsa_exception_int_div_zero 0
	.end_amdhsa_kernel
	.section	.text._ZN12_GLOBAL__N_139chunk_gated_delta_rule_fwd_h_hip_kernelILi64ELb1ELb1ELb0ELb1ELb1ELb1ELb0ELb1EEEvPK12hip_bfloat16S3_S3_PKfS5_PKvPS1_S8_PvPKiSB_iiiiilll,"axG",@progbits,_ZN12_GLOBAL__N_139chunk_gated_delta_rule_fwd_h_hip_kernelILi64ELb1ELb1ELb0ELb1ELb1ELb1ELb0ELb1EEEvPK12hip_bfloat16S3_S3_PKfS5_PKvPS1_S8_PvPKiSB_iiiiilll,comdat
.Lfunc_end18:
	.size	_ZN12_GLOBAL__N_139chunk_gated_delta_rule_fwd_h_hip_kernelILi64ELb1ELb1ELb0ELb1ELb1ELb1ELb0ELb1EEEvPK12hip_bfloat16S3_S3_PKfS5_PKvPS1_S8_PvPKiSB_iiiiilll, .Lfunc_end18-_ZN12_GLOBAL__N_139chunk_gated_delta_rule_fwd_h_hip_kernelILi64ELb1ELb1ELb0ELb1ELb1ELb1ELb0ELb1EEEvPK12hip_bfloat16S3_S3_PKfS5_PKvPS1_S8_PvPKiSB_iiiiilll
                                        ; -- End function
	.section	.AMDGPU.csdata,"",@progbits
; Kernel info:
; codeLenInByte = 12556
; NumSgprs: 73
; NumVgprs: 198
; NumAgprs: 40
; TotalNumVgprs: 240
; ScratchSize: 0
; MemoryBound: 0
; FloatMode: 240
; IeeeMode: 1
; LDSByteSize: 65536 bytes/workgroup (compile time only)
; SGPRBlocks: 9
; VGPRBlocks: 29
; NumSGPRsForWavesPerEU: 73
; NumVGPRsForWavesPerEU: 240
; AccumOffset: 200
; Occupancy: 1
; WaveLimiterHint : 1
; COMPUTE_PGM_RSRC2:SCRATCH_EN: 0
; COMPUTE_PGM_RSRC2:USER_SGPR: 2
; COMPUTE_PGM_RSRC2:TRAP_HANDLER: 0
; COMPUTE_PGM_RSRC2:TGID_X_EN: 1
; COMPUTE_PGM_RSRC2:TGID_Y_EN: 1
; COMPUTE_PGM_RSRC2:TGID_Z_EN: 0
; COMPUTE_PGM_RSRC2:TIDIG_COMP_CNT: 0
; COMPUTE_PGM_RSRC3_GFX90A:ACCUM_OFFSET: 49
; COMPUTE_PGM_RSRC3_GFX90A:TG_SPLIT: 0
	.section	.text._ZN12_GLOBAL__N_139chunk_gated_delta_rule_fwd_h_hip_kernelILi64ELb1ELb0ELb1ELb1ELb1ELb1ELb0ELb1EEEvPK12hip_bfloat16S3_S3_PKfS5_PKvPS1_S8_PvPKiSB_iiiiilll,"axG",@progbits,_ZN12_GLOBAL__N_139chunk_gated_delta_rule_fwd_h_hip_kernelILi64ELb1ELb0ELb1ELb1ELb1ELb1ELb0ELb1EEEvPK12hip_bfloat16S3_S3_PKfS5_PKvPS1_S8_PvPKiSB_iiiiilll,comdat
	.globl	_ZN12_GLOBAL__N_139chunk_gated_delta_rule_fwd_h_hip_kernelILi64ELb1ELb0ELb1ELb1ELb1ELb1ELb0ELb1EEEvPK12hip_bfloat16S3_S3_PKfS5_PKvPS1_S8_PvPKiSB_iiiiilll ; -- Begin function _ZN12_GLOBAL__N_139chunk_gated_delta_rule_fwd_h_hip_kernelILi64ELb1ELb0ELb1ELb1ELb1ELb1ELb0ELb1EEEvPK12hip_bfloat16S3_S3_PKfS5_PKvPS1_S8_PvPKiSB_iiiiilll
	.p2align	8
	.type	_ZN12_GLOBAL__N_139chunk_gated_delta_rule_fwd_h_hip_kernelILi64ELb1ELb0ELb1ELb1ELb1ELb1ELb0ELb1EEEvPK12hip_bfloat16S3_S3_PKfS5_PKvPS1_S8_PvPKiSB_iiiiilll,@function
_ZN12_GLOBAL__N_139chunk_gated_delta_rule_fwd_h_hip_kernelILi64ELb1ELb0ELb1ELb1ELb1ELb1ELb0ELb1EEEvPK12hip_bfloat16S3_S3_PKfS5_PKvPS1_S8_PvPKiSB_iiiiilll: ; @_ZN12_GLOBAL__N_139chunk_gated_delta_rule_fwd_h_hip_kernelILi64ELb1ELb0ELb1ELb1ELb1ELb1ELb0ELb1EEEvPK12hip_bfloat16S3_S3_PKfS5_PKvPS1_S8_PvPKiSB_iiiiilll
; %bb.0:
	s_load_dwordx4 s[12:15], s[0:1], 0x5c
	s_load_dwordx4 s[4:7], s[0:1], 0x48
	s_abs_i32 s9, s3
	s_ashr_i32 s8, s3, 31
	v_and_b32_e32 v90, 15, v0
	s_waitcnt lgkmcnt(0)
	s_abs_i32 s10, s13
	v_cvt_f32_u32_e32 v1, s10
	s_sub_i32 s16, 0, s10
	s_ashr_i32 s11, s13, 31
	s_xor_b32 s8, s8, s11
	v_rcp_iflag_f32_e32 v1, v1
	v_lshrrev_b32_e32 v88, 6, v0
	v_bfe_u32 v89, v0, 4, 2
	v_mov_b32_e32 v7, 0
	v_mul_f32_e32 v1, 0x4f7ffffe, v1
	v_cvt_u32_f32_e32 v1, v1
	v_and_b32_e32 v45, 63, v0
	v_lshlrev_b32_e32 v91, 3, v0
	v_lshrrev_b32_e32 v92, 3, v45
	v_readfirstlane_b32 s17, v1
	s_mul_i32 s16, s16, s17
	s_mul_hi_u32 s16, s17, s16
	s_add_i32 s17, s17, s16
	s_mul_hi_u32 s16, s9, s17
	s_mul_i32 s17, s16, s10
	s_sub_i32 s9, s9, s17
	s_add_i32 s18, s16, 1
	s_sub_i32 s17, s9, s10
	s_cmp_ge_u32 s9, s10
	s_cselect_b32 s16, s18, s16
	s_cselect_b32 s9, s17, s9
	s_add_i32 s17, s16, 1
	s_cmp_ge_u32 s9, s10
	s_cselect_b32 s9, s17, s16
	s_xor_b32 s9, s9, s8
	s_sub_i32 s24, s9, s8
	s_mul_i32 s20, s24, s13
	s_ashr_i32 s25, s24, 31
	s_sub_i32 s49, s3, s20
	s_lshl_b64 s[8:9], s[24:25], 2
	s_add_u32 s4, s4, s8
	s_addc_u32 s5, s5, s9
	s_add_u32 s26, s6, s8
	s_addc_u32 s27, s7, s9
	s_abs_i32 s3, s14
	v_cvt_f32_u32_e32 v1, s3
	s_load_dwordx2 s[34:35], s[4:5], 0x0
	s_lshl_b32 s40, s2, 6
	s_ashr_i32 s2, s14, 31
	v_rcp_iflag_f32_e32 v1, v1
	s_xor_b32 s2, s11, s2
	s_waitcnt lgkmcnt(0)
	s_sub_i32 s52, s35, s34
	s_ashr_i32 s4, s52, 31
	v_mul_f32_e32 v1, 0x4f7ffffe, v1
	v_cvt_u32_f32_e32 v1, v1
	s_lshr_b32 s4, s4, 26
	s_add_i32 s4, s52, s4
	s_ashr_i32 s51, s4, 6
	s_sub_i32 s4, 0, s3
	v_readfirstlane_b32 s5, v1
	s_mul_i32 s4, s4, s5
	s_mul_hi_u32 s4, s5, s4
	s_add_i32 s5, s5, s4
	s_mul_hi_u32 s4, s10, s5
	s_mul_i32 s5, s4, s3
	s_sub_i32 s5, s10, s5
	s_add_i32 s6, s4, 1
	s_sub_i32 s7, s5, s3
	s_cmp_ge_u32 s5, s3
	s_cselect_b32 s4, s6, s4
	s_cselect_b32 s5, s7, s5
	s_add_i32 s6, s4, 1
	s_cmp_ge_u32 s5, s3
	s_cselect_b32 s3, s6, s4
	s_xor_b32 s3, s3, s2
	s_sub_i32 s2, s3, s2
	s_abs_i32 s3, s2
	v_cvt_f32_u32_e32 v1, s3
	s_sub_i32 s5, 0, s3
	s_abs_i32 s4, s49
	s_xor_b32 s2, s49, s2
	v_rcp_iflag_f32_e32 v1, v1
	s_ashr_i32 s2, s2, 31
	s_load_dwordx4 s[16:19], s[0:1], 0x28
	s_load_dwordx2 s[28:29], s[0:1], 0x38
	v_or_b32_e32 v46, s40, v90
	v_mul_f32_e32 v1, 0x4f7ffffe, v1
	v_cvt_u32_f32_e32 v1, v1
	v_lshlrev_b32_e32 v2, 7, v46
	v_or_b32_e32 v10, 0x800, v2
	v_ashrrev_i32_e32 v3, 31, v2
	v_readfirstlane_b32 s6, v1
	s_mul_i32 s5, s5, s6
	s_mul_hi_u32 s5, s6, s5
	s_add_i32 s6, s6, s5
	s_mul_hi_u32 s5, s4, s6
	s_mul_i32 s6, s5, s3
	s_sub_i32 s4, s4, s6
	s_add_i32 s6, s5, 1
	s_sub_i32 s7, s4, s3
	s_cmp_ge_u32 s4, s3
	s_cselect_b32 s5, s6, s5
	s_cselect_b32 s4, s7, s4
	s_add_i32 s6, s5, 1
	s_cmp_ge_u32 s4, s3
	s_cselect_b32 s3, s6, s5
	s_xor_b32 s3, s3, s2
	s_sub_i32 s53, s3, s2
	s_ashr_i32 s50, s49, 31
	s_mul_hi_i32 s3, s24, s13
	s_add_u32 s2, s20, s49
	s_addc_u32 s3, s3, s50
	s_lshl_b64 s[2:3], s[2:3], 15
	v_lshlrev_b32_e32 v1, 4, v88
	s_waitcnt lgkmcnt(0)
	s_add_u32 s2, s16, s2
	v_lshl_or_b32 v93, v89, 2, v1
	s_addc_u32 s3, s17, s3
	v_ashrrev_i32_e32 v11, 31, v10
	v_lshl_add_u64 v[4:5], v[2:3], 1, s[2:3]
	v_lshlrev_b32_e32 v6, 1, v93
	v_lshl_add_u64 v[10:11], v[10:11], 1, s[2:3]
	v_lshl_add_u64 v[4:5], v[4:5], 0, v[6:7]
	;; [unrolled: 1-line block ×3, first 2 shown]
	global_load_dwordx2 v[8:9], v[4:5], off
	v_or_b32_e32 v94, 64, v93
	global_load_dwordx2 v[4:5], v[4:5], off offset:128
	s_nop 0
	global_load_dwordx2 v[12:13], v[10:11], off
	global_load_dwordx2 v[14:15], v[10:11], off offset:128
	v_or_b32_e32 v10, 0x1000, v2
	v_or_b32_e32 v2, 0x1800, v2
	v_ashrrev_i32_e32 v11, 31, v10
	v_ashrrev_i32_e32 v3, 31, v2
	v_lshl_add_u64 v[10:11], v[10:11], 1, s[2:3]
	v_lshl_add_u64 v[2:3], v[2:3], 1, s[2:3]
	;; [unrolled: 1-line block ×4, first 2 shown]
	global_load_dwordx2 v[16:17], v[10:11], off
	s_mul_hi_i32 s54, s49, s12
	global_load_dwordx2 v[10:11], v[10:11], off offset:128
	s_nop 0
	global_load_dwordx2 v[6:7], v[2:3], off
	global_load_dwordx2 v[18:19], v[2:3], off offset:128
	s_load_dwordx8 s[4:11], s[0:1], 0x0
	s_load_dwordx2 s[30:31], s[0:1], 0x80
	s_load_dwordx4 s[20:23], s[0:1], 0x70
	s_load_dword s56, s[26:27], 0x0
	s_mul_i32 s55, s49, s12
	s_cmp_lt_i32 s52, 64
	s_waitcnt lgkmcnt(0)
	s_mul_i32 s33, s24, s21
	s_mul_hi_u32 s44, s24, s20
	s_mul_i32 s45, s25, s20
	s_mul_i32 s38, s24, s20
	;; [unrolled: 1-line block ×3, first 2 shown]
	s_mul_hi_u32 s47, s49, s22
	s_mul_i32 s48, s50, s22
	s_mul_i32 s36, s49, s22
	s_waitcnt vmcnt(7)
	v_and_b32_e32 v75, 0xffff0000, v8
	v_lshlrev_b32_e32 v74, 16, v8
	v_and_b32_e32 v79, 0xffff0000, v9
	v_lshlrev_b32_e32 v78, 16, v9
	s_waitcnt vmcnt(6)
	v_and_b32_e32 v73, 0xffff0000, v4
	v_lshlrev_b32_e32 v72, 16, v4
	v_and_b32_e32 v77, 0xffff0000, v5
	v_lshlrev_b32_e32 v76, 16, v5
	s_waitcnt vmcnt(5)
	v_and_b32_e32 v67, 0xffff0000, v12
	v_lshlrev_b32_e32 v66, 16, v12
	v_and_b32_e32 v71, 0xffff0000, v13
	v_lshlrev_b32_e32 v70, 16, v13
	s_waitcnt vmcnt(4)
	v_and_b32_e32 v65, 0xffff0000, v14
	v_lshlrev_b32_e32 v64, 16, v14
	v_and_b32_e32 v69, 0xffff0000, v15
	v_lshlrev_b32_e32 v68, 16, v15
	s_waitcnt vmcnt(3)
	v_and_b32_e32 v59, 0xffff0000, v16
	v_lshlrev_b32_e32 v58, 16, v16
	v_and_b32_e32 v63, 0xffff0000, v17
	v_lshlrev_b32_e32 v62, 16, v17
	s_waitcnt vmcnt(2)
	v_and_b32_e32 v57, 0xffff0000, v10
	v_lshlrev_b32_e32 v56, 16, v10
	v_and_b32_e32 v61, 0xffff0000, v11
	v_lshlrev_b32_e32 v60, 16, v11
	s_waitcnt vmcnt(1)
	v_and_b32_e32 v51, 0xffff0000, v6
	v_lshlrev_b32_e32 v50, 16, v6
	v_and_b32_e32 v55, 0xffff0000, v7
	v_lshlrev_b32_e32 v54, 16, v7
	s_waitcnt vmcnt(0)
	v_and_b32_e32 v49, 0xffff0000, v18
	v_lshlrev_b32_e32 v48, 16, v18
	v_and_b32_e32 v53, 0xffff0000, v19
	v_lshlrev_b32_e32 v52, 16, v19
	s_cbranch_scc1 .LBB19_18
; %bb.1:
	s_ashr_i32 s3, s34, 31
	s_add_u32 s2, s55, s34
	s_addc_u32 s3, s54, s3
	s_lshl_b64 s[2:3], s[2:3], 8
	v_and_b32_e32 v96, 56, v91
	s_add_u32 s20, s6, s2
	v_lshl_or_b32 v95, v88, 3, v92
	v_lshlrev_b32_e32 v2, 1, v96
	s_addc_u32 s2, s7, s3
	v_lshl_or_b32 v97, v95, 8, v2
	s_and_b32 s21, s2, 0xffff
	s_mov_b32 s23, 0x20000
	s_movk_i32 s22, 0x4000
	s_movk_i32 s2, 0x80
	v_or_b32_e32 v98, 0x2000, v97
	buffer_load_dwordx4 v[4:7], v97, s[20:23], 0 offen
	buffer_load_dwordx4 v[8:11], v97, s[20:23], s2 offen
	;; [unrolled: 1-line block ×4, first 2 shown]
	v_lshlrev_b32_e32 v3, 3, v95
	v_and_or_b32 v21, v0, 7, v3
	v_and_b32_e32 v3, 0x78, v3
	v_lshlrev_b32_e32 v21, 4, v21
	v_xor_b32_e32 v99, v21, v3
	v_mul_lo_u32 v20, v95, s15
	v_or_b32_e32 v100, 0x1000, v99
	v_xor_b32_e32 v3, 8, v99
	s_cmpk_eq_i32 s15, 0x80
	s_mov_b32 s57, s34
	v_xor_b32_e32 v21, 8, v100
	s_cselect_b64 s[2:3], -1, 0
	s_cmpk_lg_i32 s15, 0x80
	s_waitcnt vmcnt(3)
	ds_write_b64 v99, v[4:5] offset:49152
	ds_write_b64 v3, v[6:7] offset:49152
	s_waitcnt vmcnt(2)
	ds_write_b64 v99, v[8:9] offset:57344
	ds_write_b64 v3, v[10:11] offset:57344
	;; [unrolled: 3-line block ×4, first 2 shown]
	v_lshl_add_u32 v3, v20, 1, v96
	s_cbranch_scc0 .LBB19_3
; %bb.2:
	v_lshlrev_b32_e32 v5, 1, v3
	v_add_lshl_u32 v4, v3, s15, 1
	s_lshl_b32 s22, s15, 7
	s_load_dwordx2 s[16:17], s[0:1], 0x20
	v_lshl_or_b32 v2, v95, 9, v2
	s_cbranch_execz .LBB19_4
	s_branch .LBB19_5
.LBB19_3:
                                        ; implicit-def: $vgpr4
                                        ; implicit-def: $vgpr5
                                        ; implicit-def: $sgpr22
	s_load_dwordx2 s[16:17], s[0:1], 0x20
	v_lshl_or_b32 v2, v95, 9, v2
.LBB19_4:
	v_or_b32_e32 v4, 0x100, v2
	s_movk_i32 s22, 0x4000
	v_mov_b32_e32 v5, v2
.LBB19_5:
	s_mul_i32 s0, s34, s14
	s_ashr_i32 s58, s53, 31
	s_mul_hi_i32 s1, s34, s14
	s_add_u32 s0, s0, s53
	s_addc_u32 s1, s1, s58
	s_lshl_b64 s[0:1], s[0:1], 8
	s_add_u32 s20, s4, s0
	s_addc_u32 s0, s5, s1
	s_and_b32 s21, s0, 0xffff
	s_movk_i32 s59, 0x80
	buffer_load_dwordx4 v[6:9], v5, s[20:23], 0 offen
	buffer_load_dwordx4 v[10:13], v5, s[20:23], s59 offen
	;; [unrolled: 1-line block ×4, first 2 shown]
	v_and_b32_e32 v5, 6, v0
	v_lshlrev_b32_e32 v4, 7, v93
	v_xor_b32_e32 v27, v95, v5
	v_and_b32_e32 v22, 1, v0
	v_lshl_or_b32 v30, v90, 3, v4
	v_lshlrev_b32_e32 v27, 2, v27
	v_lshlrev_b32_e32 v23, 2, v90
	v_or_b32_e32 v101, 0x4000, v30
	v_or_b32_e32 v102, 0x6000, v30
	v_xor_b32_e32 v30, 0x440, v27
	v_cmp_eq_u32_e32 vcc, 0, v22
	v_or_b32_e32 v25, 16, v90
	v_or_b32_e32 v26, 32, v90
	v_xor_b32_e32 v28, v93, v23
	v_xor_b32_e32 v29, v94, v23
	v_cndmask_b32_e32 v22, v30, v27, vcc
	s_mov_b32 s60, 0x1000504
	v_lshl_or_b32 v31, v25, 3, v4
	v_lshlrev_b32_e32 v25, 8, v25
	v_lshl_or_b32 v32, v26, 3, v4
	v_lshlrev_b32_e32 v28, 1, v28
	v_lshlrev_b32_e32 v29, 1, v29
	v_lshl_or_b32 v5, v5, 10, v22
	s_add_i32 s0, s44, s33
	s_mov_b32 s61, 0x3020706
	v_lshlrev_b32_e32 v24, 8, v90
	v_or_b32_e32 v105, 0x4000, v32
	v_or_b32_e32 v106, 0x6000, v32
	;; [unrolled: 1-line block ×4, first 2 shown]
	v_xor_b32_e32 v22, 8, v5
	v_xor_b32_e32 v25, 24, v5
	;; [unrolled: 1-line block ×4, first 2 shown]
	s_add_i32 s39, s0, s45
	s_add_i32 s0, s47, s46
	v_or_b32_e32 v103, 0x4000, v31
	v_or_b32_e32 v104, 0x6000, v31
	;; [unrolled: 1-line block ×4, first 2 shown]
	v_xor_b32_e32 v24, 16, v5
	v_xor_b32_e32 v27, 32, v5
	;; [unrolled: 1-line block ×3, first 2 shown]
	v_add_u32_e32 v22, 0x80, v22
	v_add_u32_e32 v25, 0x80, v25
	;; [unrolled: 1-line block ×4, first 2 shown]
	s_add_i32 s37, s0, s48
	s_lshl_b64 s[0:1], s[38:39], 2
	s_add_u32 s20, s10, s0
	s_addc_u32 s21, s11, s1
	s_lshl_b64 s[0:1], s[36:37], 2
	s_add_u32 s42, s20, s0
	s_movk_i32 s0, 0xf8
	s_addc_u32 s43, s21, s1
	s_ashr_i32 s41, s40, 31
	s_lshl_b32 s26, s15, 7
	v_mov_b32_e32 v81, 0
	s_movk_i32 s20, 0x100
	v_lshlrev_b32_e32 v80, 4, v90
	v_ashrrev_i32_e32 v47, 31, v46
	v_lshlrev_b32_e32 v26, 8, v26
	s_mov_b32 s62, 0
	s_movk_i32 s22, 0x4000
	v_or_b32_e32 v111, v26, v28
	v_or_b32_e32 v112, v26, v29
	s_mov_b32 s37, 0x7060302
	s_movk_i32 s39, 0x2000
	s_waitcnt vmcnt(1)
	v_perm_b32 v33, v6, v14, s60
	s_waitcnt vmcnt(0)
	v_perm_b32 v34, v10, v18, s60
	v_perm_b32 v6, v6, v14, s61
	;; [unrolled: 1-line block ×15, first 2 shown]
	ds_write2st64_b32 v5, v33, v34 offset0:128 offset1:160
	ds_write2st64_b32 v22, v6, v10 offset0:128 offset1:160
	;; [unrolled: 1-line block ×8, first 2 shown]
	v_or_b32_e32 v5, 48, v90
	v_lshl_or_b32 v6, v5, 3, v4
	v_lshlrev_b32_e32 v5, 8, v5
	v_or_b32_e32 v115, v5, v28
	v_or_b32_e32 v116, v5, v29
	;; [unrolled: 1-line block ×3, first 2 shown]
	v_lshlrev_b32_e32 v5, 3, v5
	v_lshrrev_b32_e32 v7, 5, v45
	v_and_or_b32 v7, v5, s0, v7
	v_lshlrev_b32_e32 v7, 4, v7
	v_or_b32_e32 v113, 0x4000, v6
	v_or_b32_e32 v114, 0x6000, v6
	v_lshrrev_b32_e32 v6, 2, v45
	v_lshlrev_b32_e32 v9, 11, v88
	v_and_b32_e32 v5, 0x78, v5
	v_or_b32_e32 v13, 32, v7
	v_and_b32_e32 v8, 12, v6
	v_and_b32_e32 v6, 0x1000, v9
	v_xor_b32_e32 v10, v7, v5
	v_lshrrev_b32_e32 v11, 1, v45
	v_xor_b32_e32 v13, v13, v5
	v_or_b32_e32 v10, v10, v6
	v_and_b32_e32 v11, 8, v11
	v_or_b32_e32 v13, v13, v6
	v_xor_b32_e32 v117, v10, v11
	v_lshlrev_b32_e32 v10, 8, v89
	v_xor_b32_e32 v119, v13, v11
	v_or_b32_e32 v13, 64, v7
	v_or_b32_e32 v7, 0x60, v7
	;; [unrolled: 1-line block ×3, first 2 shown]
	v_xor_b32_e32 v13, v13, v5
	v_xor_b32_e32 v5, v7, v5
	s_lshl_b64 s[0:1], s[40:41], 8
	v_lshlrev_b32_e32 v12, 1, v12
	v_or_b32_e32 v13, v13, v6
	v_or_b32_e32 v5, v5, v6
	s_add_u32 s0, s18, s0
	v_lshlrev_b32_e32 v6, 1, v90
	v_lshlrev_b32_e32 v15, 2, v0
	v_or_b32_e32 v118, 0x4000, v12
	v_or_b32_e32 v120, 0x4080, v12
	;; [unrolled: 1-line block ×4, first 2 shown]
	v_xor_b32_e32 v123, v13, v11
	v_xor_b32_e32 v124, v5, v11
	v_or_b32_e32 v125, 0x6000, v12
	v_or_b32_e32 v126, 0x6080, v12
	;; [unrolled: 1-line block ×4, first 2 shown]
	v_lshlrev_b32_e32 v5, 1, v3
	v_add_lshl_u32 v3, v3, s15, 1
	v_or_b32_e32 v11, 0x100, v2
	v_lshrrev_b32_e32 v12, 4, v0
	s_addc_u32 s1, s19, s1
	v_or_b32_e32 v7, 1, v6
	v_lshrrev_b32_e32 v16, 1, v0
	v_and_or_b32 v10, v15, 60, v10
	v_xor_b32_e32 v13, v12, v6
	v_xor_b32_e32 v14, v7, v12
	v_lshl_add_u64 v[6:7], s[0:1], 0, v[80:81]
	v_and_b32_e32 v16, 24, v16
	v_lshlrev_b32_e32 v10, 1, v10
	v_cndmask_b32_e64 v135, v5, v2, s[2:3]
	v_cndmask_b32_e64 v136, v3, v11, s[2:3]
	v_mov_b32_e32 v3, 0xa000
	v_mov_b32_e32 v5, 0x8000
	v_cmp_gt_u32_e64 s[0:1], s20, v0
	v_lshlrev_b32_e32 v80, 8, v12
	v_or_b32_e32 v131, 0x6000, v10
	v_or_b32_e32 v15, 32, v16
	;; [unrolled: 1-line block ×6, first 2 shown]
	v_cndmask_b32_e64 v3, v3, v5, s[0:1]
	v_lshlrev_b32_e32 v5, 3, v88
	v_lshl_or_b32 v129, v13, 3, v80
	v_and_b32_e32 v13, 8, v0
	v_xor_b32_e32 v11, v5, v16
	v_xor_b32_e32 v15, v5, v15
	;; [unrolled: 1-line block ×3, first 2 shown]
	v_mov_b32_e32 v17, 0x400
	v_cmp_eq_u32_e32 vcc, 0, v13
	v_or_b32_e32 v16, 0x440, v11
	v_or_b32_e32 v18, 0x440, v15
	v_xor_b32_e32 v10, 0x440, v5
	v_and_b32_e32 v12, 7, v0
	v_cndmask_b32_e64 v13, v17, 64, vcc
	v_cndmask_b32_e32 v16, v16, v11, vcc
	v_cndmask_b32_e32 v15, v18, v15, vcc
	;; [unrolled: 1-line block ×3, first 2 shown]
	v_lshl_or_b32 v130, v14, 3, v80
	v_lshlrev_b32_e32 v14, 3, v12
	v_or_b32_e32 v16, v16, v9
	v_or_b32_e32 v15, v15, v9
	v_or3_b32 v11, v9, v13, v11
	v_or_b32_e32 v5, v5, v9
	v_lshlrev_b32_e32 v12, 7, v12
	v_xor_b32_e32 v16, v16, v14
	v_xor_b32_e32 v15, v15, v14
	;; [unrolled: 1-line block ×4, first 2 shown]
	v_or_b32_e32 v2, v1, v8
	v_add_u32_e32 v17, v3, v16
	v_add_u32_e32 v18, v3, v15
	v_or_b32_e32 v137, v11, v12
	v_add_u32_e32 v9, v3, v5
	v_or3_b32 v8, v1, v8, 64
	v_add_u32_e32 v13, 0xa000, v16
	v_add_u32_e32 v14, 0xa000, v15
	;; [unrolled: 1-line block ×3, first 2 shown]
	v_lshlrev_b64 v[10:11], 1, v[46:47]
	v_lshl_add_u64 v[82:83], s[8:9], 0, v[10:11]
	v_lshl_add_u64 v[84:85], s[28:29], 0, v[10:11]
	v_lshl_add_u64 v[86:87], v[6:7], 0, v[80:81]
	v_lshlrev_b32_e32 v80, 1, v4
	s_movk_i32 s41, 0x3000
	v_lshlrev_b32_e32 v47, 2, v2
	v_add_u32_e32 v138, v17, v12
	v_add_u32_e32 v139, v18, v12
	;; [unrolled: 1-line block ×4, first 2 shown]
	v_lshlrev_b32_e32 v142, 2, v8
	v_add_u32_e32 v143, v13, v12
	v_add_u32_e32 v144, v14, v12
	;; [unrolled: 1-line block ×3, first 2 shown]
	s_waitcnt lgkmcnt(0)
	s_barrier
.LBB19_6:                               ; =>This Inner Loop Header: Depth=1
	s_add_i32 s63, s62, 1
	s_cmp_lt_i32 s63, s51
	s_mov_b64 s[24:25], 0
	s_cselect_b64 s[2:3], -1, 0
	s_cmp_ge_i32 s63, s51
	s_mov_b64 s[20:21], 0
	s_cbranch_scc1 .LBB19_8
; %bb.7:                                ;   in Loop: Header=BB19_6 Depth=1
	s_add_i32 s0, s57, 64
	s_ashr_i32 s1, s0, 31
	s_add_u32 s0, s55, s0
	s_addc_u32 s1, s54, s1
	s_lshl_b64 s[0:1], s[0:1], 8
	s_add_u32 s20, s6, s0
	s_addc_u32 s21, s7, s1
.LBB19_8:                               ;   in Loop: Header=BB19_6 Depth=1
	v_cndmask_b32_e64 v2, 0, 1, s[2:3]
	v_cmp_ne_u32_e64 s[0:1], 1, v2
	s_andn2_b64 vcc, exec, s[2:3]
	s_cbranch_vccnz .LBB19_10
; %bb.9:                                ;   in Loop: Header=BB19_6 Depth=1
	s_add_i32 s2, s57, 64
	s_mul_hi_i32 s3, s2, s14
	s_mul_i32 s2, s2, s14
	s_add_u32 s2, s2, s53
	s_addc_u32 s3, s3, s58
	s_lshl_b64 s[2:3], s[2:3], 8
	s_add_u32 s24, s4, s2
	s_addc_u32 s25, s5, s3
.LBB19_10:                              ;   in Loop: Header=BB19_6 Depth=1
	v_perm_b32 v3, v79, v78, s37
	v_perm_b32 v2, v75, v74, s37
	v_perm_b32 v5, v77, v76, s37
	v_perm_b32 v4, v73, v72, s37
	ds_write_b64 v101, v[2:3]
	ds_write_b64 v102, v[4:5]
	ds_write_b64 v107, v[2:3]
	ds_write_b64 v108, v[4:5]
	v_perm_b32 v3, v71, v70, s37
	v_perm_b32 v2, v67, v66, s37
	v_perm_b32 v5, v69, v68, s37
	v_perm_b32 v4, v65, v64, s37
	ds_write_b64 v103, v[2:3]
	ds_write_b64 v104, v[4:5]
	ds_write_b64 v109, v[2:3]
	ds_write_b64 v110, v[4:5]
	;; [unrolled: 8-line block ×4, first 2 shown]
	s_waitcnt lgkmcnt(0)
	s_barrier
	ds_read_b64 v[6:7], v117 offset:49152
	ds_read2_b64 v[2:5], v118 offset1:16
	ds_read_b64 v[18:19], v120 offset:6144
	ds_read_b64 v[20:21], v118 offset:6144
	s_waitcnt lgkmcnt(2)
	v_mfma_f32_16x16x16_bf16 a[0:3], v[6:7], v[2:3], 0
	ds_read_b64 v[22:23], v119 offset:49152
	ds_read2st64_b64 v[10:13], v121 offset0:4 offset1:8
	ds_read2st64_b64 v[14:17], v122 offset0:4 offset1:8
	v_mfma_f32_16x16x16_bf16 a[4:7], v[6:7], v[4:5], 0
	ds_read2_b64 v[2:5], v118 offset0:32 offset1:48
	s_add_i32 s64, s57, 63
	s_ashr_i32 s2, s64, 31
	s_waitcnt lgkmcnt(0)
	v_mfma_f32_16x16x16_bf16 a[8:11], v[6:7], v[2:3], 0
	s_mul_i32 s3, s64, s31
	s_mul_hi_u32 s27, s64, s30
	s_add_i32 s3, s27, s3
	v_mfma_f32_16x16x16_bf16 a[12:15], v[6:7], v[4:5], 0
	ds_read2st64_b64 v[2:5], v118 offset0:4 offset1:8
	ds_read2st64_b64 v[6:9], v120 offset0:4 offset1:8
	s_mul_i32 s2, s2, s30
	s_waitcnt lgkmcnt(1)
	v_mfma_f32_16x16x16_bf16 a[0:3], v[22:23], v[2:3], a[0:3]
	s_add_i32 s3, s3, s2
	s_mul_i32 s2, s64, s30
	s_lshl_b64 s[2:3], s[2:3], 2
	s_waitcnt lgkmcnt(0)
	v_mfma_f32_16x16x16_bf16 a[4:7], v[22:23], v[6:7], a[4:7]
	s_add_u32 s2, s42, s2
	s_addc_u32 s3, s43, s3
	s_and_b64 vcc, exec, s[0:1]
	v_mfma_f32_16x16x16_bf16 a[8:11], v[22:23], v[10:11], a[8:11]
	ds_read_b64 v[2:3], v123 offset:49152
	ds_read_b64 v[6:7], v124 offset:49152
	;; [unrolled: 1-line block ×3, first 2 shown]
	v_mov_b32_e32 v148, 0
	v_mov_b32_e32 v147, 0
	v_mfma_f32_16x16x16_bf16 a[12:15], v[22:23], v[14:15], a[12:15]
	v_mov_b32_e32 v146, 0
	v_mov_b32_e32 v14, 0
	;; [unrolled: 1-line block ×3, first 2 shown]
	s_waitcnt lgkmcnt(2)
	v_mfma_f32_16x16x16_bf16 a[0:3], v[2:3], v[4:5], a[0:3]
	v_mov_b32_e32 v4, 0
	v_mov_b32_e32 v5, 0
	v_mfma_f32_16x16x16_bf16 a[16:19], v[2:3], v[8:9], a[4:7]
	v_mov_b32_e32 v8, 0
	v_mov_b32_e32 v9, 0
	;; [unrolled: 3-line block ×3, first 2 shown]
	v_mfma_f32_16x16x16_bf16 a[24:27], v[2:3], v[16:17], a[12:15]
	ds_read_b64 v[2:3], v121 offset:6144
	v_mov_b32_e32 v16, 0
	v_mov_b32_e32 v17, 0
	s_waitcnt lgkmcnt(2)
	v_mfma_f32_16x16x16_bf16 a[4:7], v[6:7], v[20:21], a[0:3]
	v_mfma_f32_16x16x16_bf16 a[8:11], v[6:7], v[18:19], a[16:19]
	s_waitcnt lgkmcnt(0)
	v_mfma_f32_16x16x16_bf16 a[12:15], v[6:7], v[2:3], a[20:23]
	v_mov_b32_e32 v2, 0
	v_mov_b32_e32 v3, 0
	v_mfma_f32_16x16x16_bf16 a[0:3], v[6:7], v[10:11], a[24:27]
	v_mov_b32_e32 v6, 0
	v_mov_b32_e32 v7, 0
	;; [unrolled: 1-line block ×4, first 2 shown]
	s_cbranch_vccnz .LBB19_12
; %bb.11:                               ;   in Loop: Header=BB19_6 Depth=1
	s_and_b32 s21, s21, 0xffff
	buffer_load_dwordx4 v[14:17], v97, s[20:23], 0 offen
	buffer_load_dwordx4 v[10:13], v97, s[20:23], s59 offen
	;; [unrolled: 1-line block ×4, first 2 shown]
	v_mov_b32_e32 v147, v99
	v_mov_b32_e32 v146, v100
.LBB19_12:                              ;   in Loop: Header=BB19_6 Depth=1
	ds_read_b64 v[30:31], v117 offset:57344
	ds_read2_b64 v[18:21], v125 offset1:16
	ds_read_b64 v[34:35], v119 offset:57344
	ds_read_b64 v[36:37], v123 offset:57344
	;; [unrolled: 1-line block ×3, first 2 shown]
	v_add_u32_e32 v32, s57, v93
	s_waitcnt lgkmcnt(3)
	v_mfma_f32_16x16x16_bf16 a[4:7], v[30:31], v[18:19], a[4:7]
	v_mfma_f32_16x16x16_bf16 a[8:11], v[30:31], v[20:21], a[8:11]
	ds_read2_b64 v[18:21], v125 offset0:32 offset1:48
	ds_read2st64_b64 v[22:25], v125 offset0:4 offset1:8
	ds_read2st64_b64 v[26:29], v126 offset0:4 offset1:8
	s_waitcnt lgkmcnt(2)
	v_mfma_f32_16x16x16_bf16 a[12:15], v[30:31], v[18:19], a[12:15]
	v_ashrrev_i32_e32 v18, 31, v32
	v_mul_lo_u32 v33, v18, s30
	v_mad_u64_u32 v[18:19], s[20:21], v32, s30, 0
	v_mfma_f32_16x16x16_bf16 a[0:3], v[30:31], v[20:21], a[0:3]
	v_mul_lo_u32 v20, v32, s31
	v_add3_u32 v19, v19, v20, v33
	v_add_u32_e32 v20, 1, v32
	v_ashrrev_i32_e32 v21, 31, v20
	s_waitcnt lgkmcnt(1)
	v_mfma_f32_16x16x16_bf16 a[4:7], v[34:35], v[22:23], a[4:7]
	v_mul_lo_u32 v22, v21, s30
	v_mul_lo_u32 v23, v20, s31
	v_mad_u64_u32 v[20:21], s[20:21], v20, s30, 0
	v_add3_u32 v21, v21, v23, v22
	v_add_u32_e32 v22, 2, v32
	v_ashrrev_i32_e32 v23, 31, v22
	v_mul_lo_u32 v30, v23, s30
	v_mul_lo_u32 v31, v22, s31
	v_mad_u64_u32 v[22:23], s[20:21], v22, s30, 0
	v_add3_u32 v23, v23, v31, v30
	v_add_u32_e32 v30, 3, v32
	v_ashrrev_i32_e32 v31, 31, v30
	v_mul_lo_u32 v32, v31, s30
	v_mul_lo_u32 v33, v30, s31
	v_mad_u64_u32 v[30:31], s[20:21], v30, s30, 0
	s_ashr_i32 s21, s57, 31
	s_add_u32 s20, s55, s57
	s_addc_u32 s21, s54, s21
	v_lshl_add_u64 v[18:19], v[18:19], 2, s[42:43]
	v_add3_u32 v31, v31, v33, v32
	s_lshl_b64 s[20:21], s[20:21], 8
	v_lshl_add_u64 v[20:21], v[20:21], 2, s[42:43]
	v_lshl_add_u64 v[22:23], v[22:23], 2, s[42:43]
	;; [unrolled: 1-line block ×3, first 2 shown]
	global_load_dword v40, v[18:19], off
	global_load_dword v41, v[20:21], off
	;; [unrolled: 1-line block ×4, first 2 shown]
	v_lshl_add_u64 v[18:19], v[82:83], 0, s[20:21]
	v_lshl_add_u64 v[22:23], v[18:19], 0, v[80:81]
	global_load_ushort v44, v[22:23], off offset:256
	global_load_ushort v149, v[22:23], off
	ds_read2st64_b64 v[18:21], v127 offset0:4 offset1:8
	global_load_ushort v150, v[22:23], off offset:768
	global_load_ushort v151, v[22:23], off offset:512
	ds_read2st64_b64 v[30:33], v128 offset0:4 offset1:8
	global_load_ushort v152, v[22:23], off offset:288
	global_load_ushort v153, v[22:23], off offset:32
	;; [unrolled: 1-line block ×4, first 2 shown]
	s_waitcnt lgkmcnt(2)
	v_mfma_f32_16x16x16_bf16 a[8:11], v[34:35], v[26:27], a[8:11]
	global_load_ushort v156, v[22:23], off offset:320
	global_load_ushort v157, v[22:23], off offset:64
	;; [unrolled: 1-line block ×4, first 2 shown]
	s_and_b64 vcc, exec, s[0:1]
	s_waitcnt lgkmcnt(1)
	v_mfma_f32_16x16x16_bf16 a[12:15], v[34:35], v[18:19], a[12:15]
	ds_read_b64 v[18:19], v125 offset:6144
	s_waitcnt lgkmcnt(1)
	v_mfma_f32_16x16x16_bf16 a[0:3], v[34:35], v[30:31], a[0:3]
	v_lshl_add_u64 v[30:31], v[84:85], 0, s[20:21]
	v_lshl_add_u64 v[30:31], v[30:31], 0, v[80:81]
	v_mfma_f32_16x16x16_bf16 a[4:7], v[36:37], v[24:25], a[4:7]
	v_mfma_f32_16x16x16_bf16 a[8:11], v[36:37], v[28:29], a[8:11]
	;; [unrolled: 1-line block ×4, first 2 shown]
	global_load_ushort v36, v[22:23], off offset:352
	global_load_ushort v37, v[22:23], off offset:96
	ds_read_b64 v[20:21], v126 offset:6144
	ds_read_b64 v[24:25], v127 offset:6144
	;; [unrolled: 1-line block ×3, first 2 shown]
	s_load_dword s2, s[2:3], 0x0
	global_load_ushort v160, v[22:23], off offset:864
	global_load_ushort v161, v[22:23], off offset:608
	s_waitcnt lgkmcnt(0)
	v_mfma_f32_16x16x16_bf16 a[4:7], v[38:39], v[18:19], a[4:7]
	s_waitcnt vmcnt(17)
	v_sub_f32_e32 v28, s2, v42
	v_mfma_f32_16x16x16_bf16 a[0:3], v[38:39], v[26:27], a[0:3]
	v_sub_f32_e32 v26, s2, v40
	v_sub_f32_e32 v27, s2, v41
	s_waitcnt vmcnt(16)
	v_sub_f32_e32 v29, s2, v43
	v_mfma_f32_16x16x16_bf16 a[8:11], v[38:39], v[20:21], a[8:11]
	v_exp_f32_e32 v26, v26
	v_exp_f32_e32 v27, v27
	;; [unrolled: 1-line block ×4, first 2 shown]
	v_accvgpr_read_b32 v35, a5
	s_waitcnt vmcnt(15)
	v_lshlrev_b32_e32 v33, 16, v44
	s_waitcnt vmcnt(14)
	v_lshlrev_b32_e32 v32, 16, v149
	v_accvgpr_read_b32 v34, a4
	v_accvgpr_read_b32 v19, a7
	v_accvgpr_read_b32 v18, a6
	v_pk_add_f32 v[32:33], v[32:33], v[34:35] neg_lo:[0,1] neg_hi:[0,1]
	s_waitcnt vmcnt(13)
	v_lshlrev_b32_e32 v35, 16, v150
	s_waitcnt vmcnt(12)
	v_lshlrev_b32_e32 v34, 16, v151
	v_pk_add_f32 v[18:19], v[34:35], v[18:19] neg_lo:[0,1] neg_hi:[0,1]
	global_store_short_d16_hi v[30:31], v32, off
	global_store_short_d16_hi v[30:31], v33, off offset:256
	global_store_short_d16_hi v[30:31], v18, off offset:512
	;; [unrolled: 1-line block ×3, first 2 shown]
	v_pk_mul_f32 v[32:33], v[26:27], v[32:33]
	v_pk_mul_f32 v[18:19], v[28:29], v[18:19]
	v_accvgpr_read_b32 v35, a9
	v_perm_b32 v32, v33, v32, s37
	v_perm_b32 v33, v19, v18, s37
	s_waitcnt vmcnt(15)
	v_lshlrev_b32_e32 v19, 16, v152
	s_waitcnt vmcnt(14)
	v_lshlrev_b32_e32 v18, 16, v153
	v_accvgpr_read_b32 v34, a8
	v_accvgpr_read_b32 v21, a11
	v_mfma_f32_16x16x16_bf16 a[12:15], v[38:39], v[24:25], a[12:15]
	v_accvgpr_read_b32 v20, a10
	v_pk_add_f32 v[18:19], v[18:19], v[34:35] neg_lo:[0,1] neg_hi:[0,1]
	s_waitcnt vmcnt(13)
	v_lshlrev_b32_e32 v35, 16, v154
	s_waitcnt vmcnt(12)
	v_lshlrev_b32_e32 v34, 16, v155
	v_pk_add_f32 v[20:21], v[34:35], v[20:21] neg_lo:[0,1] neg_hi:[0,1]
	global_store_short_d16_hi v[30:31], v18, off offset:32
	global_store_short_d16_hi v[30:31], v19, off offset:288
	;; [unrolled: 1-line block ×4, first 2 shown]
	v_pk_mul_f32 v[18:19], v[26:27], v[18:19]
	v_pk_mul_f32 v[20:21], v[28:29], v[20:21]
	v_accvgpr_read_b32 v23, a15
	v_perm_b32 v21, v21, v20, s37
	v_perm_b32 v20, v19, v18, s37
	ds_write2_b64 v102, v[32:33], v[20:21] offset1:16
	v_accvgpr_read_b32 v21, a13
	s_waitcnt vmcnt(15)
	v_lshlrev_b32_e32 v19, 16, v156
	s_waitcnt vmcnt(14)
	v_lshlrev_b32_e32 v18, 16, v157
	v_accvgpr_read_b32 v20, a12
	v_accvgpr_read_b32 v22, a14
	v_pk_add_f32 v[18:19], v[18:19], v[20:21] neg_lo:[0,1] neg_hi:[0,1]
	s_waitcnt vmcnt(13)
	v_lshlrev_b32_e32 v21, 16, v158
	s_waitcnt vmcnt(12)
	v_lshlrev_b32_e32 v20, 16, v159
	v_pk_add_f32 v[20:21], v[20:21], v[22:23] neg_lo:[0,1] neg_hi:[0,1]
	global_store_short_d16_hi v[30:31], v18, off offset:64
	global_store_short_d16_hi v[30:31], v19, off offset:320
	;; [unrolled: 1-line block ×4, first 2 shown]
	v_pk_mul_f32 v[18:19], v[26:27], v[18:19]
	v_pk_mul_f32 v[20:21], v[28:29], v[20:21]
	v_accvgpr_read_b32 v23, a1
	v_perm_b32 v18, v19, v18, s37
	v_perm_b32 v19, v21, v20, s37
	s_waitcnt vmcnt(15)
	v_lshlrev_b32_e32 v21, 16, v36
	s_waitcnt vmcnt(14)
	v_lshlrev_b32_e32 v20, 16, v37
	v_accvgpr_read_b32 v22, a0
	v_accvgpr_read_b32 v25, a3
	;; [unrolled: 1-line block ×3, first 2 shown]
	v_pk_add_f32 v[20:21], v[20:21], v[22:23] neg_lo:[0,1] neg_hi:[0,1]
	s_waitcnt vmcnt(13)
	v_lshlrev_b32_e32 v23, 16, v160
	s_waitcnt vmcnt(12)
	v_lshlrev_b32_e32 v22, 16, v161
	v_pk_add_f32 v[22:23], v[22:23], v[24:25] neg_lo:[0,1] neg_hi:[0,1]
	global_store_short_d16_hi v[30:31], v20, off offset:96
	global_store_short_d16_hi v[30:31], v21, off offset:352
	;; [unrolled: 1-line block ×4, first 2 shown]
	v_pk_mul_f32 v[20:21], v[26:27], v[20:21]
	v_pk_mul_f32 v[22:23], v[28:29], v[22:23]
	v_mov_b32_e32 v149, 0
	v_perm_b32 v23, v23, v22, s37
	v_perm_b32 v22, v21, v20, s37
	ds_write2_b64 v102, v[18:19], v[22:23] offset0:32 offset1:48
	v_mov_b32_e32 v18, 0
	v_mov_b32_e32 v19, 0
	;; [unrolled: 1-line block ×16, first 2 shown]
	s_cbranch_vccnz .LBB19_14
; %bb.13:                               ;   in Loop: Header=BB19_6 Depth=1
	s_and_b32 s25, s25, 0xffff
	s_mov_b32 s27, s23
	buffer_load_dwordx4 v[30:33], v135, s[24:27], 0 offen
	buffer_load_dwordx4 v[22:25], v135, s[24:27], s59 offen
	;; [unrolled: 1-line block ×4, first 2 shown]
	v_mov_b32_e32 v148, v96
	v_mov_b32_e32 v149, v95
.LBB19_14:                              ;   in Loop: Header=BB19_6 Depth=1
	s_waitcnt lgkmcnt(0)
	s_barrier
	ds_read_b64 v[42:43], v138
	ds_read2_b64 v[34:37], v131 offset1:16
	ds_read_b64 v[166:167], v139
	ds_read_b64 v[168:169], v140
	;; [unrolled: 1-line block ×3, first 2 shown]
	ds_read2_b64 v[38:41], v131 offset0:32 offset1:48
	ds_read2st64_b64 v[150:153], v131 offset0:4 offset1:8
	ds_read2st64_b64 v[154:157], v132 offset0:4 offset1:8
	;; [unrolled: 1-line block ×4, first 2 shown]
	s_waitcnt lgkmcnt(8)
	v_mfma_f32_16x16x16_bf16 a[0:3], v[42:43], v[34:35], 0
	s_add_i32 s3, s56, s62
	s_mul_hi_i32 s21, s3, s13
	s_mul_i32 s3, s3, s13
	v_mfma_f32_16x16x16_bf16 a[4:7], v[42:43], v[36:37], 0
	s_add_u32 s20, s3, s49
	s_addc_u32 s21, s21, s50
	s_lshl_b64 s[20:21], s[20:21], 15
	s_waitcnt lgkmcnt(4)
	v_mfma_f32_16x16x16_bf16 a[8:11], v[42:43], v[38:39], 0
	s_mul_i32 s24, s64, s13
	s_mul_hi_i32 s3, s64, s13
	s_add_u32 s24, s24, s49
	v_mfma_f32_16x16x16_bf16 a[12:15], v[42:43], v[40:41], 0
	ds_read_b64 v[42:43], v131 offset:6144
	ds_read_b64 v[178:179], v132 offset:6144
	ds_read_b64 v[180:181], v133 offset:6144
	ds_read_b64 v[182:183], v134 offset:6144
	s_addc_u32 s25, s3, s50
	s_waitcnt lgkmcnt(7)
	v_mfma_f32_16x16x16_bf16 a[0:3], v[166:167], v[150:151], a[0:3]
	s_lshl_b64 s[24:25], s[24:25], 9
	s_add_u32 s24, s16, s24
	s_addc_u32 s25, s17, s25
	s_waitcnt lgkmcnt(6)
	v_mfma_f32_16x16x16_bf16 a[4:7], v[166:167], v[154:155], a[4:7]
	v_lshl_add_u64 v[188:189], v[86:87], 0, s[20:21]
	s_waitcnt lgkmcnt(5)
	v_mfma_f32_16x16x16_bf16 a[8:11], v[166:167], v[158:159], a[8:11]
	s_waitcnt lgkmcnt(4)
	v_mfma_f32_16x16x16_bf16 a[12:15], v[166:167], v[162:163], a[12:15]
	ds_read_b64 v[166:167], v143
	ds_read_b64 v[176:177], v144
	;; [unrolled: 1-line block ×3, first 2 shown]
	s_waitcnt lgkmcnt(2)
	v_mfma_f32_16x16x16_bf16 a[16:19], v[166:167], v[34:35], 0
	v_mfma_f32_16x16x16_bf16 a[20:23], v[166:167], v[36:37], 0
	global_load_dwordx4 v[34:37], v142, s[24:25]
	v_mfma_f32_16x16x16_bf16 a[24:27], v[166:167], v[38:39], 0
	v_mfma_f32_16x16x16_bf16 a[28:31], v[166:167], v[40:41], 0
	global_load_dwordx4 v[38:41], v47, s[24:25]
	v_mfma_f32_16x16x16_bf16 a[0:3], v[168:169], v[152:153], a[0:3]
	v_mfma_f32_16x16x16_bf16 a[4:7], v[168:169], v[156:157], a[4:7]
	;; [unrolled: 1-line block ×8, first 2 shown]
	ds_read2st64_b64 v[166:169], v129 offset1:8
	ds_read2st64_b64 v[170:173], v130 offset1:8
	ds_read_b64 v[186:187], v137 offset:40960
	s_waitcnt lgkmcnt(2)
	v_mov_b32_e32 v174, v166
	v_mfma_f32_16x16x16_bf16 a[16:19], v[176:177], v[150:151], a[16:19]
	v_mov_b32_e32 v175, v167
	v_mfma_f32_16x16x16_bf16 a[20:23], v[176:177], v[154:155], a[20:23]
	v_mfma_f32_16x16x16_bf16 a[24:27], v[176:177], v[158:159], a[24:27]
	;; [unrolled: 1-line block ×3, first 2 shown]
	v_add_co_u32_e32 v162, vcc, s39, v188
	s_waitcnt lgkmcnt(1)
	v_mov_b32_e32 v176, v170
	s_waitcnt lgkmcnt(0)
	v_mfma_f32_16x16x16_bf16 a[16:19], v[186:187], v[152:153], a[16:19]
	ds_read2st64_b64 v[150:153], v129 offset0:16 offset1:24
	v_addc_co_u32_e32 v163, vcc, 0, v189, vcc
	v_mfma_f32_16x16x16_bf16 a[20:23], v[186:187], v[156:157], a[20:23]
	ds_read2st64_b64 v[154:157], v130 offset0:16 offset1:24
	v_mov_b32_e32 v177, v171
	v_mov_b32_e32 v170, v168
	v_mfma_f32_16x16x16_bf16 a[32:35], v[186:187], v[160:161], a[24:27]
	v_mov_b32_e32 v171, v169
	s_waitcnt lgkmcnt(0)
	v_mov_b32_e32 v160, v154
	v_mov_b32_e32 v161, v155
	v_mfma_f32_16x16x16_bf16 a[36:39], v[186:187], v[164:165], a[28:31]
	v_mov_b32_e32 v154, v152
	v_mov_b32_e32 v155, v153
	;; [unrolled: 1-line block ×3, first 2 shown]
	v_mfma_f32_16x16x16_bf16 a[24:27], v[184:185], v[42:43], a[16:19]
	v_add_co_u32_e32 v42, vcc, s41, v188
	v_mov_b32_e32 v159, v151
	v_mfma_f32_16x16x16_bf16 a[28:31], v[184:185], v[178:179], a[20:23]
	v_addc_co_u32_e32 v43, vcc, 0, v189, vcc
	global_store_dwordx4 v[42:43], v[154:157], off
	v_mfma_f32_16x16x16_bf16 a[16:19], v[184:185], v[180:181], a[32:35]
	s_waitcnt vmcnt(2)
	v_mov_b32_e32 v44, v37
	v_mov_b32_e32 v43, v36
	;; [unrolled: 1-line block ×3, first 2 shown]
	v_mfma_f32_16x16x16_bf16 a[20:23], v[184:185], v[182:183], a[36:39]
	s_and_b64 vcc, exec, s[0:1]
	global_store_dwordx4 v[188:189], v[174:177], off
	global_store_dwordx4 v[162:163], v[170:173], off offset:-4096
	global_store_dwordx4 v[162:163], v[158:161], off
	s_cbranch_vccnz .LBB19_16
; %bb.15:                               ;   in Loop: Header=BB19_6 Depth=1
	v_lshrrev_b32_e32 v35, 3, v148
	v_and_b32_e32 v35, 6, v35
	v_xor_b32_e32 v36, v35, v149
	v_lshlrev_b32_e32 v36, 2, v36
	v_and_b32_e32 v37, 8, v148
	v_xor_b32_e32 v148, 0x440, v36
	v_cmp_eq_u32_e32 vcc, 0, v37
	v_perm_b32 v37, v22, v18, s60
	s_nop 0
	v_cndmask_b32_e32 v36, v148, v36, vcc
	v_lshl_or_b32 v35, v35, 10, v36
	v_perm_b32 v36, v30, v26, s60
	s_barrier
	ds_write2st64_b32 v35, v36, v37 offset0:128 offset1:160
	v_xor_b32_e32 v36, 8, v35
	v_perm_b32 v26, v30, v26, s61
	v_perm_b32 v18, v22, v18, s61
	v_add_u32_e32 v22, 0x80, v36
	ds_write2st64_b32 v22, v26, v18 offset0:128 offset1:160
	v_xor_b32_e32 v18, 16, v35
	v_perm_b32 v22, v31, v27, s60
	v_perm_b32 v26, v23, v19, s60
	ds_write2st64_b32 v18, v22, v26 offset0:129 offset1:161
	v_xor_b32_e32 v18, 24, v35
	v_perm_b32 v22, v31, v27, s61
	v_perm_b32 v19, v23, v19, s61
	v_add_u32_e32 v18, 0x80, v18
	ds_write2st64_b32 v18, v22, v19 offset0:129 offset1:161
	v_xor_b32_e32 v18, 32, v35
	v_perm_b32 v19, v32, v28, s60
	v_perm_b32 v22, v24, v20, s60
	;; [unrolled: 9-line block ×3, first 2 shown]
	ds_write2st64_b32 v18, v19, v20 offset0:131 offset1:163
	v_xor_b32_e32 v18, 56, v35
	v_perm_b32 v19, v33, v29, s61
	v_perm_b32 v20, v25, v21, s61
	v_add_u32_e32 v18, 0x80, v18
	ds_write2st64_b32 v18, v19, v20 offset0:131 offset1:163
	ds_write_b64 v147, v[14:15] offset:49152
	v_xor_b32_e32 v14, 8, v147
	ds_write_b64 v14, v[16:17] offset:49152
	ds_write_b64 v147, v[10:11] offset:57344
	;; [unrolled: 1-line block ×4, first 2 shown]
	v_xor_b32_e32 v6, 8, v146
	ds_write_b64 v6, v[8:9] offset:49152
	ds_write_b64 v146, v[2:3] offset:57344
	;; [unrolled: 1-line block ×3, first 2 shown]
.LBB19_16:                              ;   in Loop: Header=BB19_6 Depth=1
	v_exp_f32_e32 v36, s2
	s_waitcnt vmcnt(4)
	v_exp_f32_e32 v38, v38
	v_exp_f32_e32 v39, v39
	;; [unrolled: 1-line block ×4, first 2 shown]
	v_accvgpr_read_b32 v5, a3
	v_accvgpr_read_b32 v4, a2
	;; [unrolled: 1-line block ×4, first 2 shown]
	v_pk_mul_f32 v[38:39], v[36:37], v[38:39] op_sel_hi:[0,1]
	v_pk_mul_f32 v[40:41], v[36:37], v[40:41] op_sel_hi:[0,1]
	v_pk_fma_f32 v[74:75], v[74:75], v[38:39], v[2:3]
	v_pk_fma_f32 v[78:79], v[78:79], v[40:41], v[4:5]
	v_exp_f32_e32 v2, v34
	v_exp_f32_e32 v3, v42
	;; [unrolled: 1-line block ×4, first 2 shown]
	v_accvgpr_read_b32 v9, a7
	v_accvgpr_read_b32 v13, a11
	;; [unrolled: 1-line block ×28, first 2 shown]
	v_pk_mul_f32 v[2:3], v[36:37], v[2:3] op_sel_hi:[0,1]
	v_pk_mul_f32 v[4:5], v[36:37], v[4:5] op_sel_hi:[0,1]
	s_add_i32 s57, s57, 64
	v_pk_fma_f32 v[66:67], v[38:39], v[66:67], v[6:7]
	v_pk_fma_f32 v[70:71], v[40:41], v[70:71], v[8:9]
	;; [unrolled: 1-line block ×13, first 2 shown]
	s_cmp_eq_u32 s51, s63
	v_pk_fma_f32 v[52:53], v[4:5], v[52:53], v[32:33]
	s_cbranch_scc1 .LBB19_18
; %bb.17:                               ;   in Loop: Header=BB19_6 Depth=1
	s_mov_b32 s62, s63
	s_branch .LBB19_6
.LBB19_18:
	s_lshl_b32 s26, s51, 6
	s_sub_i32 s27, s52, s26
	s_cmp_gt_i32 s27, 0
	s_cbranch_scc0 .LBB19_99
; %bb.19:
	s_add_i32 s26, s26, s34
	s_ashr_i32 s2, s26, 31
	s_cmpk_lg_i32 s15, 0x80
	s_cselect_b64 s[22:23], -1, 0
	s_and_b64 vcc, exec, s[22:23]
	s_cbranch_vccz .LBB19_21
; %bb.20:
	s_mul_i32 s1, s26, s14
	s_ashr_i32 s3, s53, 31
	s_mul_hi_i32 s0, s26, s14
	s_add_u32 s24, s1, s53
	s_addc_u32 s25, s0, s3
	s_cbranch_execz .LBB19_22
	s_branch .LBB19_23
.LBB19_21:
                                        ; implicit-def: $sgpr24_sgpr25
.LBB19_22:
	s_mul_i32 s1, s53, s12
	s_mul_hi_i32 s0, s53, s12
	s_add_u32 s24, s1, s26
	s_addc_u32 s25, s0, s2
.LBB19_23:
	s_add_i32 s3, s51, s56
	s_add_u32 s0, s55, s26
	v_lshlrev_b32_e32 v6, 6, v93
	v_lshlrev_b32_e32 v24, 2, v90
	s_addc_u32 s1, s54, s2
	s_mov_b32 s2, 0x7060302
	v_or_b32_e32 v9, v6, v24
	v_xor_b32_e32 v7, v93, v24
	v_perm_b32 v3, v79, v78, s2
	v_perm_b32 v2, v75, v74, s2
	;; [unrolled: 1-line block ×4, first 2 shown]
	v_lshlrev_b32_e32 v9, 1, v9
	v_xor_b32_e32 v8, v94, v24
	ds_write2st64_b64 v9, v[2:3], v[4:5] offset0:32 offset1:48
	v_lshlrev_b32_e32 v7, 1, v7
	v_lshlrev_b32_e32 v9, 8, v90
	v_or_b32_e32 v10, v7, v9
	v_lshlrev_b32_e32 v8, 1, v8
	ds_write_b64 v10, v[2:3]
	v_or_b32_e32 v2, v8, v9
	v_or_b32_e32 v9, 16, v90
	v_lshlrev_b32_e32 v23, 2, v9
	v_or_b32_e32 v10, v6, v23
	ds_write_b64 v2, v[4:5]
	v_perm_b32 v3, v71, v70, s2
	v_perm_b32 v2, v67, v66, s2
	;; [unrolled: 1-line block ×4, first 2 shown]
	v_lshlrev_b32_e32 v10, 1, v10
	v_lshlrev_b32_e32 v9, 8, v9
	ds_write2st64_b64 v10, v[2:3], v[4:5] offset0:32 offset1:48
	v_or_b32_e32 v10, v7, v9
	ds_write_b64 v10, v[2:3]
	v_or_b32_e32 v2, v8, v9
	v_or_b32_e32 v9, 32, v90
	v_lshlrev_b32_e32 v22, 2, v9
	v_or_b32_e32 v10, v6, v22
	s_lshl_b64 s[20:21], s[0:1], 8
	ds_write_b64 v2, v[4:5]
	v_perm_b32 v3, v63, v62, s2
	v_perm_b32 v2, v59, v58, s2
	;; [unrolled: 1-line block ×4, first 2 shown]
	v_lshlrev_b32_e32 v10, 1, v10
	v_lshlrev_b32_e32 v9, 8, v9
	s_add_u32 s0, s6, s20
	ds_write2st64_b64 v10, v[2:3], v[4:5] offset0:32 offset1:48
	v_or_b32_e32 v10, v7, v9
	s_addc_u32 s1, s7, s21
	ds_write_b64 v10, v[2:3]
	v_or_b32_e32 v2, v8, v9
	v_or_b32_e32 v9, 48, v90
	s_mul_hi_i32 s6, s3, s13
	s_mul_i32 s3, s3, s13
	ds_write_b64 v2, v[4:5]
	v_perm_b32 v3, v55, v54, s2
	v_perm_b32 v2, v51, v50, s2
	;; [unrolled: 1-line block ×4, first 2 shown]
	v_lshlrev_b32_e32 v19, 2, v9
	s_add_u32 s2, s3, s49
	v_or_b32_e32 v6, v6, v19
	s_addc_u32 s3, s6, s50
	v_lshlrev_b32_e32 v6, 1, v6
	s_ashr_i32 s41, s40, 31
	s_lshl_b64 s[2:3], s[2:3], 15
	ds_write2st64_b64 v6, v[2:3], v[4:5] offset0:32 offset1:48
	v_lshlrev_b32_e32 v6, 8, v9
	s_add_u32 s6, s18, s2
	v_or_b32_e32 v7, v7, v6
	s_addc_u32 s7, s19, s3
	s_lshl_b64 s[2:3], s[40:41], 8
	ds_write_b64 v7, v[2:3]
	v_or_b32_e32 v2, v8, v6
	s_add_u32 s2, s6, s2
	v_lshlrev_b32_e32 v3, 1, v90
	ds_write_b64 v2, v[4:5]
	v_lshrrev_b32_e32 v2, 4, v0
	s_addc_u32 s3, s7, s3
	v_or_b32_e32 v4, 1, v3
	v_lshlrev_b32_e32 v10, 4, v90
	v_mov_b32_e32 v11, 0
	v_xor_b32_e32 v3, v2, v3
	v_xor_b32_e32 v6, v4, v2
	v_lshl_add_u64 v[12:13], s[2:3], 0, v[10:11]
	v_lshlrev_b32_e32 v10, 8, v2
	v_lshl_or_b32 v16, v3, 3, v10
	v_lshl_or_b32 v17, v6, 3, v10
	s_waitcnt lgkmcnt(0)
	s_barrier
	ds_read2st64_b64 v[2:5], v16 offset1:8
	ds_read2st64_b64 v[6:9], v17 offset1:8
	v_lshl_add_u64 v[14:15], v[12:13], 0, v[10:11]
	s_movk_i32 s2, 0x2000
	s_cmp_lg_u32 s27, 64
	s_waitcnt lgkmcnt(1)
	v_mov_b32_e32 v10, v2
	v_mov_b32_e32 v11, v3
	s_waitcnt lgkmcnt(0)
	v_mov_b32_e32 v12, v6
	v_mov_b32_e32 v13, v7
	global_store_dwordx4 v[14:15], v[10:13], off
	v_mov_b32_e32 v6, v4
	v_mov_b32_e32 v7, v5
	ds_read2st64_b64 v[2:5], v16 offset0:16 offset1:24
	ds_read2st64_b64 v[10:13], v17 offset0:16 offset1:24
	v_add_co_u32_e32 v16, vcc, s2, v14
	s_cselect_b64 s[6:7], -1, 0
	s_nop 0
	v_addc_co_u32_e32 v17, vcc, 0, v15, vcc
	global_store_dwordx4 v[16:17], v[6:9], off offset:-4096
	v_lshl_or_b32 v25, v88, 3, v92
	s_mov_b32 s16, 0
	s_waitcnt lgkmcnt(1)
	v_mov_b32_e32 v6, v2
	v_add_co_u32_e32 v2, vcc, 0x3000, v14
	v_mov_b32_e32 v7, v3
	s_nop 0
	v_addc_co_u32_e32 v3, vcc, 0, v15, vcc
	s_waitcnt lgkmcnt(0)
	v_mov_b32_e32 v8, v10
	v_mov_b32_e32 v9, v11
	;; [unrolled: 1-line block ×4, first 2 shown]
	v_or_b32_e32 v20, 32, v25
	v_and_b32_e32 v18, 56, v91
	s_and_b64 vcc, exec, s[6:7]
	global_store_dwordx4 v[16:17], v[6:9], off
	global_store_dwordx4 v[2:3], v[10:13], off
	s_cbranch_vccz .LBB19_29
; %bb.24:
	s_mov_b32 s17, s16
	s_mov_b32 s18, s16
	;; [unrolled: 1-line block ×3, first 2 shown]
	v_mov_b64_e32 v[6:7], s[16:17]
	v_mov_b64_e32 v[8:9], s[18:19]
	;; [unrolled: 1-line block ×3, first 2 shown]
	v_cmp_gt_i32_e32 vcc, s27, v25
	v_mov_b64_e32 v[4:5], v[8:9]
	s_and_saveexec_b64 s[2:3], vcc
	s_cbranch_execz .LBB19_26
; %bb.25:
	v_lshlrev_b32_e32 v2, 8, v25
	v_mov_b32_e32 v3, 0
	v_lshl_add_u64 v[4:5], s[0:1], 0, v[2:3]
	v_lshlrev_b32_e32 v2, 1, v18
	v_lshl_add_u64 v[10:11], v[4:5], 0, v[2:3]
	global_load_dwordx4 v[6:9], v[10:11], off
	global_load_dwordx4 v[2:5], v[10:11], off offset:128
.LBB19_26:
	s_or_b64 exec, exec, s[2:3]
	s_mov_b32 s17, s16
	s_mov_b32 s18, s16
	s_mov_b32 s19, s16
	v_mov_b64_e32 v[14:15], s[16:17]
	v_mov_b64_e32 v[16:17], s[18:19]
	;; [unrolled: 1-line block ×3, first 2 shown]
	v_cmp_gt_i32_e32 vcc, s27, v20
	v_lshlrev_b32_e32 v21, 7, v20
	v_mov_b64_e32 v[12:13], v[16:17]
	s_and_saveexec_b64 s[2:3], vcc
	s_cbranch_execz .LBB19_28
; %bb.27:
	v_lshlrev_b32_e32 v10, 1, v21
	v_mov_b32_e32 v11, 0
	v_lshl_add_u64 v[12:13], s[0:1], 0, v[10:11]
	v_lshlrev_b32_e32 v10, 1, v18
	v_lshl_add_u64 v[26:27], v[12:13], 0, v[10:11]
	global_load_dwordx4 v[14:17], v[26:27], off
	global_load_dwordx4 v[10:13], v[26:27], off offset:128
.LBB19_28:
	s_or_b64 exec, exec, s[2:3]
	v_lshrrev_b32_e32 v26, 3, v18
	v_lshlrev_b32_e32 v27, 3, v25
	v_or_b32_e32 v26, v27, v26
	v_lshlrev_b32_e32 v26, 4, v26
	v_and_b32_e32 v27, 0x78, v27
	v_xor_b32_e32 v26, v26, v27
	s_branch .LBB19_31
.LBB19_29:
                                        ; implicit-def: $vgpr26
                                        ; implicit-def: $vgpr21
                                        ; implicit-def: $vgpr6_vgpr7_vgpr8_vgpr9
                                        ; implicit-def: $vgpr2_vgpr3_vgpr4_vgpr5
                                        ; implicit-def: $vgpr14_vgpr15_vgpr16_vgpr17
                                        ; implicit-def: $vgpr10_vgpr11_vgpr12_vgpr13
	s_cbranch_execz .LBB19_31
; %bb.30:
	s_waitcnt vmcnt(0)
	v_lshlrev_b32_e32 v2, 1, v18
	v_lshl_or_b32 v21, v25, 8, v2
	s_and_b32 s1, s1, 0xffff
	s_mov_b32 s3, 0x20000
	s_movk_i32 s2, 0x4000
	v_lshl_or_b32 v26, v20, 8, v2
	s_movk_i32 s12, 0x80
	buffer_load_dwordx4 v[6:9], v21, s[0:3], 0 offen
	buffer_load_dwordx4 v[2:5], v21, s[0:3], s12 offen
	;; [unrolled: 1-line block ×4, first 2 shown]
	v_lshrrev_b32_e32 v21, 3, v18
	v_lshlrev_b32_e32 v26, 3, v25
	v_or_b32_e32 v21, v26, v21
	v_lshlrev_b32_e32 v21, 4, v21
	v_and_b32_e32 v26, 0x78, v26
	v_xor_b32_e32 v26, v21, v26
	v_lshlrev_b32_e32 v21, 7, v20
.LBB19_31:
	s_movk_i32 s0, 0x1000
	v_and_or_b32 v20, v21, s0, v26
	s_waitcnt vmcnt(1)
	ds_write_b64 v26, v[6:7] offset:49152
	v_xor_b32_e32 v6, 8, v26
	ds_write_b64 v6, v[8:9] offset:49152
	s_waitcnt vmcnt(0)
	ds_write_b64 v26, v[2:3] offset:57344
	ds_write_b64 v6, v[4:5] offset:57344
	;; [unrolled: 1-line block ×3, first 2 shown]
	v_xor_b32_e32 v2, 8, v20
	ds_write_b64 v2, v[16:17] offset:49152
	ds_write_b64 v20, v[10:11] offset:57344
	;; [unrolled: 1-line block ×3, first 2 shown]
	v_or_b32_e32 v2, v1, v90
	v_lshlrev_b32_e32 v3, 11, v88
	v_lshlrev_b32_e32 v2, 3, v2
	v_and_b32_e32 v6, 0x1000, v3
	v_lshrrev_b32_e32 v3, 5, v45
	s_movk_i32 s0, 0xf8
	v_and_or_b32 v3, v2, s0, v3
	v_lshlrev_b32_e32 v7, 4, v3
	v_and_b32_e32 v8, 0x78, v2
	v_or_b32_e32 v10, 32, v7
	v_lshrrev_b32_e32 v3, 1, v45
	v_xor_b32_e32 v10, v10, v8
	v_xor_b32_e32 v2, v7, v8
	v_and_b32_e32 v9, 8, v3
	v_or_b32_e32 v10, v10, v6
	v_or_b32_e32 v2, v2, v6
	v_xor_b32_e32 v28, v10, v9
	v_or_b32_e32 v10, 64, v7
	v_xor_b32_e32 v27, v2, v9
	v_xor_b32_e32 v10, v10, v8
	s_waitcnt lgkmcnt(0)
	s_barrier
	v_or_b32_e32 v13, v10, v6
	ds_read_b64 v[10:11], v27 offset:49152
	v_lshl_or_b32 v14, v89, 8, v24
	v_lshlrev_b32_e32 v26, 1, v14
	v_add_u32_e32 v12, 0x4000, v26
	ds_read2_b64 v[2:5], v12 offset1:16
	v_or_b32_e32 v7, 0x60, v7
	v_xor_b32_e32 v7, v7, v8
	v_or_b32_e32 v6, v7, v6
	v_xor_b32_e32 v29, v13, v9
	v_xor_b32_e32 v30, v6, v9
	ds_read_b64 v[20:21], v28 offset:49152
	ds_read_b64 v[34:35], v29 offset:49152
	;; [unrolled: 1-line block ×3, first 2 shown]
	s_waitcnt lgkmcnt(3)
	v_mfma_f32_16x16x16_bf16 a[0:3], v[10:11], v[2:3], 0
	ds_read2st64_b64 v[6:9], v26 offset0:36 offset1:40
	s_lshl_b64 s[0:1], s[24:25], 8
	s_add_u32 s4, s4, s0
	v_mfma_f32_16x16x16_bf16 a[4:7], v[10:11], v[4:5], 0
	ds_read2_b64 v[2:5], v12 offset0:32 offset1:48
	s_addc_u32 s5, s5, s1
	s_add_i32 s1, s44, s33
	s_waitcnt lgkmcnt(0)
	v_mfma_f32_16x16x16_bf16 a[8:11], v[10:11], v[2:3], 0
	v_or_b32_e32 v2, 64, v14
	v_lshlrev_b32_e32 v31, 1, v2
	s_add_i32 s0, s35, -1
	v_mfma_f32_16x16x16_bf16 a[12:15], v[10:11], v[4:5], 0
	ds_read2st64_b64 v[2:5], v31 offset0:36 offset1:40
	s_add_i32 s39, s1, s45
	s_add_i32 s1, s47, s46
	v_mfma_f32_16x16x16_bf16 a[0:3], v[20:21], v[6:7], a[0:3]
	v_or_b32_e32 v6, 0x80, v14
	v_lshlrev_b32_e32 v32, 1, v6
	ds_read2st64_b64 v[10:13], v32 offset0:36 offset1:40
	s_waitcnt lgkmcnt(1)
	v_mfma_f32_16x16x16_bf16 a[4:7], v[20:21], v[2:3], a[4:7]
	v_or_b32_e32 v2, 0xc0, v14
	v_lshlrev_b32_e32 v33, 1, v2
	ds_read2st64_b64 v[14:17], v33 offset0:36 offset1:40
	s_add_i32 s37, s1, s48
	s_ashr_i32 s1, s0, 31
	s_mul_i32 s2, s0, s31
	s_mul_hi_u32 s3, s0, s30
	s_add_i32 s2, s3, s2
	s_mul_i32 s1, s1, s30
	s_waitcnt lgkmcnt(1)
	v_mfma_f32_16x16x16_bf16 a[8:11], v[20:21], v[10:11], a[8:11]
	s_add_i32 s1, s2, s1
	s_lshl_b64 s[2:3], s[38:39], 2
	s_add_u32 s10, s10, s2
	s_waitcnt lgkmcnt(0)
	v_mfma_f32_16x16x16_bf16 a[12:15], v[20:21], v[14:15], a[12:15]
	s_addc_u32 s11, s11, s3
	s_lshl_b64 s[2:3], s[36:37], 2
	s_mul_i32 s0, s0, s30
	v_mfma_f32_16x16x16_bf16 a[0:3], v[34:35], v[8:9], a[0:3]
	ds_read_b64 v[2:3], v26 offset:22528
	s_add_u32 s10, s10, s2
	s_addc_u32 s11, s11, s3
	v_mfma_f32_16x16x16_bf16 a[4:7], v[34:35], v[4:5], a[4:7]
	ds_read_b64 v[4:5], v31 offset:22528
	ds_read_b64 v[6:7], v32 offset:22528
	;; [unrolled: 1-line block ×3, first 2 shown]
	s_lshl_b64 s[0:1], s[0:1], 2
	s_add_u32 s0, s10, s0
	v_mfma_f32_16x16x16_bf16 a[8:11], v[34:35], v[12:13], a[8:11]
	s_addc_u32 s1, s11, s1
	s_load_dword s12, s[0:1], 0x0
	s_and_b64 vcc, exec, s[22:23]
	v_mfma_f32_16x16x16_bf16 a[12:15], v[34:35], v[16:17], a[12:15]
	s_waitcnt lgkmcnt(0)
	v_mfma_f32_16x16x16_bf16 a[0:3], v[36:37], v[2:3], a[0:3]
	v_mfma_f32_16x16x16_bf16 a[4:7], v[36:37], v[4:5], a[4:7]
	;; [unrolled: 1-line block ×4, first 2 shown]
	s_cbranch_vccz .LBB19_42
; %bb.32:
	v_lshlrev_b32_e32 v20, 1, v25
	s_and_b64 vcc, exec, s[6:7]
	s_cbranch_vccz .LBB19_43
; %bb.33:
	v_cmp_gt_i32_e32 vcc, s27, v20
	v_mov_b32_e32 v6, 0
	v_mov_b32_e32 v2, 0
	;; [unrolled: 1-line block ×5, first 2 shown]
	s_and_saveexec_b64 s[0:1], vcc
	s_cbranch_execz .LBB19_35
; %bb.34:
	v_mad_i64_i32 v[2:3], s[2:3], s15, v20, 0
	v_lshl_add_u64 v[2:3], v[2:3], 1, s[4:5]
	v_lshlrev_b32_e32 v4, 1, v18
	v_mov_b32_e32 v5, 0
	v_lshl_add_u64 v[2:3], v[2:3], 0, v[4:5]
	global_load_dwordx4 v[2:5], v[2:3], off
.LBB19_35:
	s_or_b64 exec, exec, s[0:1]
	v_or_b32_e32 v21, 1, v20
	v_cmp_gt_i32_e64 s[0:1], s27, v21
	v_mov_b32_e32 v7, 0
	v_mov_b32_e32 v8, 0
	;; [unrolled: 1-line block ×3, first 2 shown]
	s_and_saveexec_b64 s[2:3], s[0:1]
	s_cbranch_execz .LBB19_37
; %bb.36:
	v_mad_i64_i32 v[6:7], s[16:17], s15, v21, 0
	v_lshl_add_u64 v[6:7], v[6:7], 1, s[4:5]
	v_lshlrev_b32_e32 v8, 1, v18
	v_mov_b32_e32 v9, 0
	v_lshl_add_u64 v[6:7], v[6:7], 0, v[8:9]
	global_load_dwordx4 v[6:9], v[6:7], off
.LBB19_37:
	s_or_b64 exec, exec, s[2:3]
	v_mov_b32_e32 v17, 0
	v_mov_b32_e32 v10, 0
	;; [unrolled: 1-line block ×5, first 2 shown]
	s_and_saveexec_b64 s[2:3], vcc
	s_cbranch_execz .LBB19_39
; %bb.38:
	v_mad_i64_i32 v[10:11], s[16:17], s15, v20, 0
	v_lshl_add_u64 v[10:11], v[10:11], 1, s[4:5]
	v_lshlrev_b32_e32 v12, 1, v18
	v_mov_b32_e32 v13, 0
	v_lshl_add_u64 v[10:11], v[10:11], 0, v[12:13]
	global_load_dwordx4 v[10:13], v[10:11], off offset:128
.LBB19_39:
	s_or_b64 exec, exec, s[2:3]
	v_mov_b32_e32 v16, 0
	v_mov_b32_e32 v15, 0
	v_mov_b32_e32 v14, 0
	s_and_saveexec_b64 s[2:3], s[0:1]
	s_cbranch_execz .LBB19_41
; %bb.40:
	v_mad_i64_i32 v[14:15], s[0:1], s15, v21, 0
	v_lshl_add_u64 v[14:15], v[14:15], 1, s[4:5]
	v_lshlrev_b32_e32 v16, 1, v18
	v_mov_b32_e32 v17, 0
	v_lshl_add_u64 v[14:15], v[14:15], 0, v[16:17]
	global_load_dwordx4 v[14:17], v[14:15], off offset:128
.LBB19_41:
	s_or_b64 exec, exec, s[2:3]
	s_branch .LBB19_45
.LBB19_42:
                                        ; implicit-def: $vgpr5
                                        ; implicit-def: $vgpr9
                                        ; implicit-def: $vgpr13
                                        ; implicit-def: $vgpr17
	v_lshrrev_b32_e32 v34, 2, v45
	s_branch .LBB19_46
.LBB19_43:
                                        ; implicit-def: $vgpr5
                                        ; implicit-def: $vgpr9
                                        ; implicit-def: $vgpr13
                                        ; implicit-def: $vgpr17
	s_cbranch_execz .LBB19_45
; %bb.44:
	s_waitcnt vmcnt(0)
	v_mad_u64_u32 v[2:3], s[0:1], v20, s15, v[18:19]
	v_lshlrev_b32_e32 v20, 1, v2
	s_lshl_b32 s2, s15, 7
	s_and_b32 s1, s5, 0xffff
	s_mov_b32 s3, 0x20000
	s_mov_b32 s0, s4
	v_add_lshl_u32 v21, v2, s15, 1
	s_movk_i32 s13, 0x80
	buffer_load_dwordx4 v[2:5], v20, s[0:3], 0 offen
	buffer_load_dwordx4 v[10:13], v20, s[0:3], s13 offen
	;; [unrolled: 1-line block ×4, first 2 shown]
.LBB19_45:
	v_lshrrev_b32_e32 v34, 2, v45
	s_cbranch_execnz .LBB19_58
.LBB19_46:
	s_and_b64 vcc, exec, s[6:7]
	s_cbranch_vccz .LBB19_56
; %bb.47:
	s_waitcnt vmcnt(0)
	v_lshlrev_b32_e32 v7, 1, v25
	v_cmp_gt_i32_e32 vcc, s27, v7
	v_mov_b32_e32 v6, 0
	v_lshlrev_b32_e32 v14, 9, v25
	v_mov_b32_e32 v2, 0
	v_mov_b32_e32 v3, 0
	;; [unrolled: 1-line block ×4, first 2 shown]
	s_and_saveexec_b64 s[0:1], vcc
	s_cbranch_execz .LBB19_49
; %bb.48:
	v_mov_b32_e32 v15, 0
	v_lshl_add_u64 v[2:3], s[4:5], 0, v[14:15]
	v_lshlrev_b32_e32 v4, 1, v18
	v_mov_b32_e32 v5, v15
	v_lshl_add_u64 v[2:3], v[2:3], 0, v[4:5]
	global_load_dwordx4 v[2:5], v[2:3], off
.LBB19_49:
	s_or_b64 exec, exec, s[0:1]
	v_or_b32_e32 v7, 1, v7
	v_cmp_gt_i32_e64 s[0:1], s27, v7
	v_lshlrev_b32_e32 v20, 8, v7
	v_mov_b32_e32 v7, 0
	v_mov_b32_e32 v8, 0
	;; [unrolled: 1-line block ×3, first 2 shown]
	s_and_saveexec_b64 s[2:3], s[0:1]
	s_cbranch_execz .LBB19_51
; %bb.50:
	v_mov_b32_e32 v21, 0
	v_lshl_add_u64 v[6:7], s[4:5], 0, v[20:21]
	v_lshlrev_b32_e32 v8, 1, v18
	v_mov_b32_e32 v9, v21
	v_lshl_add_u64 v[6:7], v[6:7], 0, v[8:9]
	global_load_dwordx4 v[6:9], v[6:7], off
.LBB19_51:
	s_or_b64 exec, exec, s[2:3]
	v_mov_b32_e32 v17, 0
	v_mov_b32_e32 v10, 0
	;; [unrolled: 1-line block ×5, first 2 shown]
	s_and_saveexec_b64 s[2:3], vcc
	s_cbranch_execz .LBB19_53
; %bb.52:
	v_mov_b32_e32 v15, 0
	v_lshl_add_u64 v[10:11], s[4:5], 0, v[14:15]
	v_lshlrev_b32_e32 v14, 1, v18
	v_lshl_add_u64 v[10:11], v[10:11], 0, v[14:15]
	global_load_dwordx4 v[10:13], v[10:11], off offset:128
.LBB19_53:
	s_or_b64 exec, exec, s[2:3]
	v_mov_b32_e32 v16, 0
	v_mov_b32_e32 v15, 0
	;; [unrolled: 1-line block ×3, first 2 shown]
	s_and_saveexec_b64 s[2:3], s[0:1]
	s_cbranch_execz .LBB19_55
; %bb.54:
	v_mov_b32_e32 v21, 0
	v_lshl_add_u64 v[14:15], s[4:5], 0, v[20:21]
	v_lshlrev_b32_e32 v20, 1, v18
	v_lshl_add_u64 v[14:15], v[14:15], 0, v[20:21]
	global_load_dwordx4 v[14:17], v[14:15], off offset:128
.LBB19_55:
	s_or_b64 exec, exec, s[2:3]
	s_branch .LBB19_58
.LBB19_56:
                                        ; implicit-def: $vgpr5
                                        ; implicit-def: $vgpr9
                                        ; implicit-def: $vgpr13
                                        ; implicit-def: $vgpr17
	s_cbranch_execz .LBB19_58
; %bb.57:
	s_waitcnt vmcnt(0)
	v_lshlrev_b32_e32 v2, 1, v18
	v_lshl_or_b32 v18, v25, 9, v2
	s_and_b32 s5, s5, 0xffff
	s_mov_b32 s7, 0x20000
	s_movk_i32 s6, 0x4000
	s_movk_i32 s0, 0x80
	buffer_load_dwordx4 v[2:5], v18, s[4:7], 0 offen
	buffer_load_dwordx4 v[6:9], v18, s[4:7], 0 offen offset:256
	buffer_load_dwordx4 v[10:13], v18, s[4:7], s0 offen
	buffer_load_dwordx4 v[14:17], v18, s[4:7], s0 offen offset:256
.LBB19_58:
	ds_read_b64 v[20:21], v27 offset:57344
	v_add_u32_e32 v18, 0x6000, v26
	ds_read2_b64 v[36:39], v18 offset1:16
	ds_read_b64 v[44:45], v28 offset:57344
	ds_read_b64 v[28:29], v29 offset:57344
	;; [unrolled: 1-line block ×3, first 2 shown]
	ds_read2st64_b64 v[40:43], v26 offset0:52 offset1:56
	s_mov_b32 s0, 0x1000504
	s_mov_b32 s1, 0x3020706
	s_waitcnt lgkmcnt(4)
	v_mfma_f32_16x16x16_bf16 a[0:3], v[20:21], v[36:37], a[0:3]
	v_mfma_f32_16x16x16_bf16 a[4:7], v[20:21], v[38:39], a[4:7]
	ds_read2_b64 v[36:39], v18 offset0:32 offset1:48
	v_and_b32_e32 v18, 6, v0
	v_xor_b32_e32 v25, v25, v18
	s_waitcnt lgkmcnt(0)
	v_mfma_f32_16x16x16_bf16 a[8:11], v[20:21], v[36:37], a[8:11]
	v_lshlrev_b32_e32 v25, 2, v25
	v_and_b32_e32 v0, 1, v0
	v_xor_b32_e32 v35, 0x440, v25
	v_mfma_f32_16x16x16_bf16 a[12:15], v[20:21], v[38:39], a[12:15]
	ds_read2st64_b64 v[36:39], v31 offset0:52 offset1:56
	ds_read2st64_b64 v[48:51], v32 offset0:52 offset1:56
	;; [unrolled: 1-line block ×3, first 2 shown]
	v_cmp_eq_u32_e32 vcc, 0, v0
	ds_read_b64 v[20:21], v26 offset:30720
	ds_read_b64 v[26:27], v31 offset:30720
	;; [unrolled: 1-line block ×4, first 2 shown]
	v_mfma_f32_16x16x16_bf16 a[0:3], v[44:45], v[40:41], a[0:3]
	v_cndmask_b32_e32 v0, v35, v25, vcc
	v_lshl_or_b32 v0, v18, 10, v0
	s_waitcnt vmcnt(0)
	v_perm_b32 v18, v2, v6, s0
	s_waitcnt lgkmcnt(6)
	v_mfma_f32_16x16x16_bf16 a[4:7], v[44:45], v[36:37], a[4:7]
	v_perm_b32 v25, v10, v14, s0
	ds_write2st64_b32 v0, v18, v25 offset0:128 offset1:160
	v_xor_b32_e32 v18, 8, v0
	s_waitcnt lgkmcnt(6)
	v_mfma_f32_16x16x16_bf16 a[8:11], v[44:45], v[48:49], a[8:11]
	v_perm_b32 v2, v2, v6, s1
	v_perm_b32 v6, v10, v14, s1
	v_add_u32_e32 v10, 0x80, v18
	s_waitcnt lgkmcnt(5)
	v_mfma_f32_16x16x16_bf16 a[12:15], v[44:45], v[52:53], a[12:15]
	ds_write2st64_b32 v10, v2, v6 offset0:128 offset1:160
	v_xor_b32_e32 v2, 16, v0
	v_perm_b32 v6, v3, v7, s0
	v_mfma_f32_16x16x16_bf16 a[0:3], v[28:29], v[42:43], a[0:3]
	v_perm_b32 v10, v11, v15, s0
	ds_write2st64_b32 v2, v6, v10 offset0:129 offset1:161
	v_xor_b32_e32 v2, 24, v0
	v_mfma_f32_16x16x16_bf16 a[4:7], v[28:29], v[38:39], a[4:7]
	v_perm_b32 v3, v3, v7, s1
	v_perm_b32 v6, v11, v15, s1
	v_add_u32_e32 v2, 0x80, v2
	v_mfma_f32_16x16x16_bf16 a[16:19], v[28:29], v[50:51], a[8:11]
	ds_write2st64_b32 v2, v3, v6 offset0:129 offset1:161
	v_xor_b32_e32 v2, 32, v0
	v_perm_b32 v3, v4, v8, s0
	v_mfma_f32_16x16x16_bf16 a[20:23], v[28:29], v[54:55], a[12:15]
	v_perm_b32 v6, v12, v16, s0
	ds_write2st64_b32 v2, v3, v6 offset0:130 offset1:162
	v_xor_b32_e32 v2, 40, v0
	s_waitcnt lgkmcnt(8)
	v_mfma_f32_16x16x16_bf16 a[12:15], v[56:57], v[20:21], a[0:3]
	v_perm_b32 v3, v4, v8, s1
	v_perm_b32 v4, v12, v16, s1
	v_add_u32_e32 v2, 0x80, v2
	s_waitcnt lgkmcnt(7)
	v_mfma_f32_16x16x16_bf16 a[8:11], v[56:57], v[26:27], a[4:7]
	ds_write2st64_b32 v2, v3, v4 offset0:130 offset1:162
	v_xor_b32_e32 v2, 48, v0
	v_perm_b32 v3, v5, v9, s0
	s_waitcnt lgkmcnt(7)
	v_mfma_f32_16x16x16_bf16 a[4:7], v[56:57], v[30:31], a[16:19]
	v_perm_b32 v4, v13, v17, s0
	v_xor_b32_e32 v0, 56, v0
	v_and_or_b32 v21, v34, 12, v1
	s_waitcnt lgkmcnt(6)
	v_mfma_f32_16x16x16_bf16 a[0:3], v[56:57], v[32:33], a[20:23]
	ds_write2st64_b32 v2, v3, v4 offset0:131 offset1:163
	v_perm_b32 v2, v5, v9, s1
	v_perm_b32 v3, v13, v17, s1
	v_add_u32_e32 v0, 0x80, v0
	v_cmp_gt_i32_e32 vcc, s27, v21
	v_mov_b32_e32 v16, 0
	v_mov_b32_e32 v18, 0
	ds_write2st64_b32 v0, v2, v3 offset0:131 offset1:163
	s_and_saveexec_b64 s[0:1], vcc
	s_cbranch_execz .LBB19_60
; %bb.59:
	v_add_u32_e32 v0, s26, v21
	v_ashrrev_i32_e32 v1, 31, v0
	v_mul_lo_u32 v2, v1, s30
	v_mul_lo_u32 v3, v0, s31
	v_mad_u64_u32 v[0:1], s[2:3], v0, s30, 0
	v_add3_u32 v1, v1, v3, v2
	v_lshl_add_u64 v[0:1], v[0:1], 2, s[10:11]
	global_load_dword v0, v[0:1], off
	s_waitcnt vmcnt(0)
	v_sub_f32_e32 v0, s12, v0
	v_exp_f32_e32 v18, v0
.LBB19_60:
	s_or_b64 exec, exec, s[0:1]
	v_or_b32_e32 v10, 1, v21
	v_cmp_gt_i32_e64 s[2:3], s27, v10
	s_and_saveexec_b64 s[0:1], s[2:3]
	s_cbranch_execz .LBB19_62
; %bb.61:
	v_add_u32_e32 v0, s26, v10
	v_ashrrev_i32_e32 v1, 31, v0
	v_mul_lo_u32 v2, v1, s30
	v_mul_lo_u32 v3, v0, s31
	v_mad_u64_u32 v[0:1], s[4:5], v0, s30, 0
	v_add3_u32 v1, v1, v3, v2
	v_lshl_add_u64 v[0:1], v[0:1], 2, s[10:11]
	global_load_dword v0, v[0:1], off
	s_waitcnt vmcnt(0)
	v_sub_f32_e32 v0, s12, v0
	v_exp_f32_e32 v16, v0
.LBB19_62:
	s_or_b64 exec, exec, s[0:1]
	v_or_b32_e32 v12, 2, v21
	v_cmp_gt_i32_e64 s[0:1], s27, v12
	v_mov_b32_e32 v17, 0
	v_mov_b32_e32 v20, 0
	s_and_saveexec_b64 s[4:5], s[0:1]
	s_cbranch_execz .LBB19_64
; %bb.63:
	v_add_u32_e32 v0, s26, v12
	v_ashrrev_i32_e32 v1, 31, v0
	v_mul_lo_u32 v2, v1, s30
	v_mul_lo_u32 v3, v0, s31
	v_mad_u64_u32 v[0:1], s[6:7], v0, s30, 0
	v_add3_u32 v1, v1, v3, v2
	v_lshl_add_u64 v[0:1], v[0:1], 2, s[10:11]
	global_load_dword v0, v[0:1], off
	s_waitcnt vmcnt(0)
	v_sub_f32_e32 v0, s12, v0
	v_exp_f32_e32 v20, v0
.LBB19_64:
	s_or_b64 exec, exec, s[4:5]
	v_or_b32_e32 v14, 3, v21
	v_cmp_gt_i32_e64 s[4:5], s27, v14
	s_and_saveexec_b64 s[6:7], s[4:5]
	s_cbranch_execz .LBB19_66
; %bb.65:
	v_add_u32_e32 v0, s26, v14
	v_ashrrev_i32_e32 v1, 31, v0
	v_mul_lo_u32 v2, v1, s30
	v_mul_lo_u32 v3, v0, s31
	v_mad_u64_u32 v[0:1], s[14:15], v0, s30, 0
	v_add3_u32 v1, v1, v3, v2
	v_lshl_add_u64 v[0:1], v[0:1], 2, s[10:11]
	global_load_dword v0, v[0:1], off
	s_waitcnt vmcnt(0)
	v_sub_f32_e32 v0, s12, v0
	v_exp_f32_e32 v17, v0
.LBB19_66:
	s_or_b64 exec, exec, s[6:7]
	s_add_u32 s6, s8, s20
	s_addc_u32 s7, s9, s21
	s_add_u32 s8, s28, s20
	v_ashrrev_i32_e32 v47, 31, v46
	v_accvgpr_read_b32 v0, a12
	s_addc_u32 s9, s29, s21
	v_lshlrev_b64 v[4:5], 1, v[46:47]
	v_accvgpr_read_b32 v1, a13
	v_accvgpr_read_b32 v2, a14
	;; [unrolled: 1-line block ×3, first 2 shown]
	v_lshl_add_u64 v[6:7], s[6:7], 0, v[4:5]
	v_lshl_add_u64 v[4:5], s[8:9], 0, v[4:5]
	v_mov_b32_e32 v11, 0
	v_lshlrev_b32_e32 v8, 8, v21
	v_mov_b32_e32 v9, 0
	s_and_saveexec_b64 s[6:7], vcc
	s_cbranch_execz .LBB19_68
; %bb.67:
	v_mov_b32_e32 v9, 0
	v_lshl_add_u64 v[26:27], v[6:7], 0, v[8:9]
	global_load_ushort v13, v[26:27], off
	v_lshl_add_u64 v[26:27], v[4:5], 0, v[8:9]
	s_waitcnt vmcnt(0)
	v_lshlrev_b32_e32 v9, 16, v13
	v_sub_f32_e32 v0, v9, v0
	global_store_short_d16_hi v[26:27], v0, off
	v_mul_f32_e32 v0, v18, v0
	v_lshrrev_b32_e32 v9, 16, v0
.LBB19_68:
	s_or_b64 exec, exec, s[6:7]
	v_lshlrev_b32_e32 v10, 8, v10
	s_and_saveexec_b64 s[6:7], s[2:3]
	s_cbranch_execz .LBB19_70
; %bb.69:
	v_mov_b32_e32 v11, 0
	v_lshl_add_u64 v[26:27], v[6:7], 0, v[10:11]
	global_load_ushort v0, v[26:27], off
	v_lshl_add_u64 v[26:27], v[4:5], 0, v[10:11]
	s_waitcnt vmcnt(0)
	v_lshlrev_b32_e32 v0, 16, v0
	v_sub_f32_e32 v0, v0, v1
	global_store_short_d16_hi v[26:27], v0, off
	v_mul_f32_e32 v0, v16, v0
	v_lshrrev_b32_e32 v11, 16, v0
.LBB19_70:
	s_or_b64 exec, exec, s[6:7]
	v_mov_b32_e32 v15, 0
	v_lshlrev_b32_e32 v12, 8, v12
	v_mov_b32_e32 v13, 0
	s_and_saveexec_b64 s[6:7], s[0:1]
	s_cbranch_execz .LBB19_72
; %bb.71:
	v_mov_b32_e32 v13, 0
	v_lshl_add_u64 v[0:1], v[6:7], 0, v[12:13]
	global_load_ushort v25, v[0:1], off
	v_lshl_add_u64 v[0:1], v[4:5], 0, v[12:13]
	s_waitcnt vmcnt(0)
	v_lshlrev_b32_e32 v13, 16, v25
	v_sub_f32_e32 v2, v13, v2
	global_store_short_d16_hi v[0:1], v2, off
	v_mul_f32_e32 v0, v20, v2
	v_lshrrev_b32_e32 v13, 16, v0
.LBB19_72:
	s_or_b64 exec, exec, s[6:7]
	v_lshlrev_b32_e32 v14, 8, v14
	s_and_saveexec_b64 s[6:7], s[4:5]
	s_cbranch_execz .LBB19_74
; %bb.73:
	v_mov_b32_e32 v15, 0
	v_lshl_add_u64 v[0:1], v[6:7], 0, v[14:15]
	global_load_ushort v2, v[0:1], off
	v_lshl_add_u64 v[0:1], v[4:5], 0, v[14:15]
	s_waitcnt vmcnt(0)
	v_lshlrev_b32_e32 v2, 16, v2
	v_sub_f32_e32 v2, v2, v3
	global_store_short_d16_hi v[0:1], v2, off
	v_mul_f32_e32 v0, v17, v2
	v_lshrrev_b32_e32 v15, 16, v0
.LBB19_74:
	s_or_b64 exec, exec, s[6:7]
	v_lshlrev_b32_e32 v21, 6, v21
	s_mov_b32 s6, 0x5040100
	v_perm_b32 v26, v11, v9, s6
	v_or_b32_e32 v9, v21, v24
	v_accvgpr_read_b32 v0, a8
	v_perm_b32 v27, v15, v13, s6
	v_lshlrev_b32_e32 v9, 1, v9
	v_accvgpr_read_b32 v1, a9
	v_accvgpr_read_b32 v2, a10
	;; [unrolled: 1-line block ×3, first 2 shown]
	ds_write_b64 v9, v[26:27] offset:24576
	v_mov_b32_e32 v11, 0
	v_mov_b32_e32 v9, 0
	s_and_saveexec_b64 s[6:7], vcc
	s_cbranch_execz .LBB19_76
; %bb.75:
	v_mov_b32_e32 v9, 0
	v_lshl_add_u64 v[24:25], v[6:7], 0, v[8:9]
	global_load_ushort v13, v[24:25], off offset:32
	v_lshl_add_u64 v[24:25], v[4:5], 0, v[8:9]
	s_waitcnt vmcnt(0)
	v_lshlrev_b32_e32 v9, 16, v13
	v_sub_f32_e32 v0, v9, v0
	global_store_short_d16_hi v[24:25], v0, off offset:32
	v_mul_f32_e32 v0, v18, v0
	v_lshrrev_b32_e32 v9, 16, v0
.LBB19_76:
	s_or_b64 exec, exec, s[6:7]
	s_and_saveexec_b64 s[6:7], s[2:3]
	s_cbranch_execz .LBB19_78
; %bb.77:
	v_mov_b32_e32 v11, 0
	v_lshl_add_u64 v[24:25], v[6:7], 0, v[10:11]
	global_load_ushort v0, v[24:25], off offset:32
	v_lshl_add_u64 v[24:25], v[4:5], 0, v[10:11]
	s_waitcnt vmcnt(0)
	v_lshlrev_b32_e32 v0, 16, v0
	v_sub_f32_e32 v0, v0, v1
	global_store_short_d16_hi v[24:25], v0, off offset:32
	v_mul_f32_e32 v0, v16, v0
	v_lshrrev_b32_e32 v11, 16, v0
.LBB19_78:
	s_or_b64 exec, exec, s[6:7]
	v_mov_b32_e32 v15, 0
	v_mov_b32_e32 v13, 0
	s_and_saveexec_b64 s[6:7], s[0:1]
	s_cbranch_execz .LBB19_80
; %bb.79:
	v_mov_b32_e32 v13, 0
	v_lshl_add_u64 v[0:1], v[6:7], 0, v[12:13]
	global_load_ushort v24, v[0:1], off offset:32
	v_lshl_add_u64 v[0:1], v[4:5], 0, v[12:13]
	s_waitcnt vmcnt(0)
	v_lshlrev_b32_e32 v13, 16, v24
	v_sub_f32_e32 v2, v13, v2
	global_store_short_d16_hi v[0:1], v2, off offset:32
	v_mul_f32_e32 v0, v20, v2
	v_lshrrev_b32_e32 v13, 16, v0
.LBB19_80:
	s_or_b64 exec, exec, s[6:7]
	s_and_saveexec_b64 s[6:7], s[4:5]
	s_cbranch_execz .LBB19_82
; %bb.81:
	v_mov_b32_e32 v15, 0
	v_lshl_add_u64 v[0:1], v[6:7], 0, v[14:15]
	global_load_ushort v2, v[0:1], off offset:32
	v_lshl_add_u64 v[0:1], v[4:5], 0, v[14:15]
	s_waitcnt vmcnt(0)
	v_lshlrev_b32_e32 v2, 16, v2
	v_sub_f32_e32 v2, v2, v3
	global_store_short_d16_hi v[0:1], v2, off offset:32
	v_mul_f32_e32 v0, v17, v2
	v_lshrrev_b32_e32 v15, 16, v0
.LBB19_82:
	s_or_b64 exec, exec, s[6:7]
	s_mov_b32 s6, 0x5040100
	v_perm_b32 v24, v11, v9, s6
	v_or_b32_e32 v9, v21, v23
	v_accvgpr_read_b32 v0, a4
	v_perm_b32 v25, v15, v13, s6
	v_lshlrev_b32_e32 v9, 1, v9
	v_accvgpr_read_b32 v1, a5
	v_accvgpr_read_b32 v2, a6
	;; [unrolled: 1-line block ×3, first 2 shown]
	ds_write_b64 v9, v[24:25] offset:24576
	v_mov_b32_e32 v11, 0
	v_mov_b32_e32 v9, 0
	s_and_saveexec_b64 s[6:7], vcc
	s_cbranch_execz .LBB19_84
; %bb.83:
	v_mov_b32_e32 v9, 0
	v_lshl_add_u64 v[24:25], v[6:7], 0, v[8:9]
	global_load_ushort v13, v[24:25], off offset:64
	v_lshl_add_u64 v[24:25], v[4:5], 0, v[8:9]
	s_waitcnt vmcnt(0)
	v_lshlrev_b32_e32 v9, 16, v13
	v_sub_f32_e32 v0, v9, v0
	global_store_short_d16_hi v[24:25], v0, off offset:64
	v_mul_f32_e32 v0, v18, v0
	v_lshrrev_b32_e32 v9, 16, v0
.LBB19_84:
	s_or_b64 exec, exec, s[6:7]
	s_and_saveexec_b64 s[6:7], s[2:3]
	s_cbranch_execz .LBB19_86
; %bb.85:
	v_mov_b32_e32 v11, 0
	v_lshl_add_u64 v[24:25], v[6:7], 0, v[10:11]
	global_load_ushort v0, v[24:25], off offset:64
	v_lshl_add_u64 v[24:25], v[4:5], 0, v[10:11]
	s_waitcnt vmcnt(0)
	v_lshlrev_b32_e32 v0, 16, v0
	v_sub_f32_e32 v0, v0, v1
	global_store_short_d16_hi v[24:25], v0, off offset:64
	v_mul_f32_e32 v0, v16, v0
	v_lshrrev_b32_e32 v11, 16, v0
.LBB19_86:
	s_or_b64 exec, exec, s[6:7]
	v_mov_b32_e32 v15, 0
	v_mov_b32_e32 v13, 0
	s_and_saveexec_b64 s[6:7], s[0:1]
	s_cbranch_execz .LBB19_88
; %bb.87:
	v_mov_b32_e32 v13, 0
	v_lshl_add_u64 v[0:1], v[6:7], 0, v[12:13]
	global_load_ushort v23, v[0:1], off offset:64
	v_lshl_add_u64 v[0:1], v[4:5], 0, v[12:13]
	s_waitcnt vmcnt(0)
	v_lshlrev_b32_e32 v13, 16, v23
	v_sub_f32_e32 v2, v13, v2
	global_store_short_d16_hi v[0:1], v2, off offset:64
	v_mul_f32_e32 v0, v20, v2
	v_lshrrev_b32_e32 v13, 16, v0
.LBB19_88:
	s_or_b64 exec, exec, s[6:7]
	s_and_saveexec_b64 s[6:7], s[4:5]
	s_cbranch_execz .LBB19_90
; %bb.89:
	v_mov_b32_e32 v15, 0
	v_lshl_add_u64 v[0:1], v[6:7], 0, v[14:15]
	global_load_ushort v2, v[0:1], off offset:64
	v_lshl_add_u64 v[0:1], v[4:5], 0, v[14:15]
	s_waitcnt vmcnt(0)
	v_lshlrev_b32_e32 v2, 16, v2
	v_sub_f32_e32 v2, v2, v3
	global_store_short_d16_hi v[0:1], v2, off offset:64
	v_mul_f32_e32 v0, v17, v2
	v_lshrrev_b32_e32 v15, 16, v0
.LBB19_90:
	s_or_b64 exec, exec, s[6:7]
	s_mov_b32 s6, 0x5040100
	v_perm_b32 v24, v11, v9, s6
	v_or_b32_e32 v9, v21, v22
	v_accvgpr_read_b32 v0, a0
	v_perm_b32 v25, v15, v13, s6
	v_lshlrev_b32_e32 v9, 1, v9
	v_accvgpr_read_b32 v1, a1
	v_accvgpr_read_b32 v2, a2
	;; [unrolled: 1-line block ×3, first 2 shown]
	ds_write_b64 v9, v[24:25] offset:24576
	v_mov_b32_e32 v11, 0
	v_mov_b32_e32 v9, 0
	s_and_saveexec_b64 s[6:7], vcc
	s_cbranch_execz .LBB19_92
; %bb.91:
	v_mov_b32_e32 v9, 0
	v_lshl_add_u64 v[22:23], v[6:7], 0, v[8:9]
	global_load_ushort v13, v[22:23], off offset:96
	v_lshl_add_u64 v[8:9], v[4:5], 0, v[8:9]
	s_waitcnt vmcnt(0)
	v_lshlrev_b32_e32 v13, 16, v13
	v_sub_f32_e32 v0, v13, v0
	global_store_short_d16_hi v[8:9], v0, off offset:96
	v_mul_f32_e32 v0, v18, v0
	v_lshrrev_b32_e32 v9, 16, v0
.LBB19_92:
	s_or_b64 exec, exec, s[6:7]
	s_and_saveexec_b64 s[6:7], s[2:3]
	s_cbranch_execz .LBB19_94
; %bb.93:
	v_mov_b32_e32 v11, 0
	v_lshl_add_u64 v[22:23], v[6:7], 0, v[10:11]
	global_load_ushort v0, v[22:23], off offset:96
	v_lshl_add_u64 v[10:11], v[4:5], 0, v[10:11]
	s_waitcnt vmcnt(0)
	v_lshlrev_b32_e32 v0, 16, v0
	v_sub_f32_e32 v0, v0, v1
	global_store_short_d16_hi v[10:11], v0, off offset:96
	v_mul_f32_e32 v0, v16, v0
	v_lshrrev_b32_e32 v11, 16, v0
.LBB19_94:
	s_or_b64 exec, exec, s[6:7]
	v_mov_b32_e32 v0, 0
	v_mov_b32_e32 v1, 0
	s_and_saveexec_b64 s[2:3], s[0:1]
	s_cbranch_execz .LBB19_96
; %bb.95:
	v_mov_b32_e32 v13, 0
	v_lshl_add_u64 v[22:23], v[6:7], 0, v[12:13]
	global_load_ushort v1, v[22:23], off offset:96
	v_lshl_add_u64 v[12:13], v[4:5], 0, v[12:13]
	s_waitcnt vmcnt(0)
	v_lshlrev_b32_e32 v1, 16, v1
	v_sub_f32_e32 v1, v1, v2
	global_store_short_d16_hi v[12:13], v1, off offset:96
	v_mul_f32_e32 v1, v20, v1
	v_lshrrev_b32_e32 v1, 16, v1
.LBB19_96:
	s_or_b64 exec, exec, s[2:3]
	s_and_saveexec_b64 s[0:1], s[4:5]
	s_cbranch_execz .LBB19_98
; %bb.97:
	v_mov_b32_e32 v15, 0
	v_lshl_add_u64 v[6:7], v[6:7], 0, v[14:15]
	global_load_ushort v0, v[6:7], off offset:96
	v_lshl_add_u64 v[4:5], v[4:5], 0, v[14:15]
	s_waitcnt vmcnt(0)
	v_lshlrev_b32_e32 v0, 16, v0
	v_sub_f32_e32 v0, v0, v3
	global_store_short_d16_hi v[4:5], v0, off offset:96
	v_mul_f32_e32 v0, v17, v0
	v_lshrrev_b32_e32 v0, 16, v0
.LBB19_98:
	s_or_b64 exec, exec, s[0:1]
	s_mov_b32 s0, 0x5040100
	v_or_b32_e32 v2, v21, v19
	v_perm_b32 v1, v0, v1, s0
	v_perm_b32 v0, v11, v9, s0
	v_lshlrev_b32_e32 v2, 1, v2
	ds_write_b64 v2, v[0:1] offset:24576
	s_waitcnt lgkmcnt(0)
	s_barrier
.LBB19_99:
	s_endpgm
	.section	.rodata,"a",@progbits
	.p2align	6, 0x0
	.amdhsa_kernel _ZN12_GLOBAL__N_139chunk_gated_delta_rule_fwd_h_hip_kernelILi64ELb1ELb0ELb1ELb1ELb1ELb1ELb0ELb1EEEvPK12hip_bfloat16S3_S3_PKfS5_PKvPS1_S8_PvPKiSB_iiiiilll
		.amdhsa_group_segment_fixed_size 65536
		.amdhsa_private_segment_fixed_size 0
		.amdhsa_kernarg_size 136
		.amdhsa_user_sgpr_count 2
		.amdhsa_user_sgpr_dispatch_ptr 0
		.amdhsa_user_sgpr_queue_ptr 0
		.amdhsa_user_sgpr_kernarg_segment_ptr 1
		.amdhsa_user_sgpr_dispatch_id 0
		.amdhsa_user_sgpr_kernarg_preload_length 0
		.amdhsa_user_sgpr_kernarg_preload_offset 0
		.amdhsa_user_sgpr_private_segment_size 0
		.amdhsa_uses_dynamic_stack 0
		.amdhsa_enable_private_segment 0
		.amdhsa_system_sgpr_workgroup_id_x 1
		.amdhsa_system_sgpr_workgroup_id_y 1
		.amdhsa_system_sgpr_workgroup_id_z 0
		.amdhsa_system_sgpr_workgroup_info 0
		.amdhsa_system_vgpr_workitem_id 0
		.amdhsa_next_free_vgpr 232
		.amdhsa_next_free_sgpr 65
		.amdhsa_accum_offset 192
		.amdhsa_reserve_vcc 1
		.amdhsa_float_round_mode_32 0
		.amdhsa_float_round_mode_16_64 0
		.amdhsa_float_denorm_mode_32 3
		.amdhsa_float_denorm_mode_16_64 3
		.amdhsa_dx10_clamp 1
		.amdhsa_ieee_mode 1
		.amdhsa_fp16_overflow 0
		.amdhsa_tg_split 0
		.amdhsa_exception_fp_ieee_invalid_op 0
		.amdhsa_exception_fp_denorm_src 0
		.amdhsa_exception_fp_ieee_div_zero 0
		.amdhsa_exception_fp_ieee_overflow 0
		.amdhsa_exception_fp_ieee_underflow 0
		.amdhsa_exception_fp_ieee_inexact 0
		.amdhsa_exception_int_div_zero 0
	.end_amdhsa_kernel
	.section	.text._ZN12_GLOBAL__N_139chunk_gated_delta_rule_fwd_h_hip_kernelILi64ELb1ELb0ELb1ELb1ELb1ELb1ELb0ELb1EEEvPK12hip_bfloat16S3_S3_PKfS5_PKvPS1_S8_PvPKiSB_iiiiilll,"axG",@progbits,_ZN12_GLOBAL__N_139chunk_gated_delta_rule_fwd_h_hip_kernelILi64ELb1ELb0ELb1ELb1ELb1ELb1ELb0ELb1EEEvPK12hip_bfloat16S3_S3_PKfS5_PKvPS1_S8_PvPKiSB_iiiiilll,comdat
.Lfunc_end19:
	.size	_ZN12_GLOBAL__N_139chunk_gated_delta_rule_fwd_h_hip_kernelILi64ELb1ELb0ELb1ELb1ELb1ELb1ELb0ELb1EEEvPK12hip_bfloat16S3_S3_PKfS5_PKvPS1_S8_PvPKiSB_iiiiilll, .Lfunc_end19-_ZN12_GLOBAL__N_139chunk_gated_delta_rule_fwd_h_hip_kernelILi64ELb1ELb0ELb1ELb1ELb1ELb1ELb0ELb1EEEvPK12hip_bfloat16S3_S3_PKfS5_PKvPS1_S8_PvPKiSB_iiiiilll
                                        ; -- End function
	.section	.AMDGPU.csdata,"",@progbits
; Kernel info:
; codeLenInByte = 11480
; NumSgprs: 71
; NumVgprs: 190
; NumAgprs: 40
; TotalNumVgprs: 232
; ScratchSize: 0
; MemoryBound: 0
; FloatMode: 240
; IeeeMode: 1
; LDSByteSize: 65536 bytes/workgroup (compile time only)
; SGPRBlocks: 8
; VGPRBlocks: 28
; NumSGPRsForWavesPerEU: 71
; NumVGPRsForWavesPerEU: 232
; AccumOffset: 192
; Occupancy: 1
; WaveLimiterHint : 1
; COMPUTE_PGM_RSRC2:SCRATCH_EN: 0
; COMPUTE_PGM_RSRC2:USER_SGPR: 2
; COMPUTE_PGM_RSRC2:TRAP_HANDLER: 0
; COMPUTE_PGM_RSRC2:TGID_X_EN: 1
; COMPUTE_PGM_RSRC2:TGID_Y_EN: 1
; COMPUTE_PGM_RSRC2:TGID_Z_EN: 0
; COMPUTE_PGM_RSRC2:TIDIG_COMP_CNT: 0
; COMPUTE_PGM_RSRC3_GFX90A:ACCUM_OFFSET: 47
; COMPUTE_PGM_RSRC3_GFX90A:TG_SPLIT: 0
	.section	.text._ZN12_GLOBAL__N_139chunk_gated_delta_rule_fwd_h_hip_kernelILi64ELb1ELb0ELb0ELb1ELb1ELb1ELb0ELb1EEEvPK12hip_bfloat16S3_S3_PKfS5_PKvPS1_S8_PvPKiSB_iiiiilll,"axG",@progbits,_ZN12_GLOBAL__N_139chunk_gated_delta_rule_fwd_h_hip_kernelILi64ELb1ELb0ELb0ELb1ELb1ELb1ELb0ELb1EEEvPK12hip_bfloat16S3_S3_PKfS5_PKvPS1_S8_PvPKiSB_iiiiilll,comdat
	.globl	_ZN12_GLOBAL__N_139chunk_gated_delta_rule_fwd_h_hip_kernelILi64ELb1ELb0ELb0ELb1ELb1ELb1ELb0ELb1EEEvPK12hip_bfloat16S3_S3_PKfS5_PKvPS1_S8_PvPKiSB_iiiiilll ; -- Begin function _ZN12_GLOBAL__N_139chunk_gated_delta_rule_fwd_h_hip_kernelILi64ELb1ELb0ELb0ELb1ELb1ELb1ELb0ELb1EEEvPK12hip_bfloat16S3_S3_PKfS5_PKvPS1_S8_PvPKiSB_iiiiilll
	.p2align	8
	.type	_ZN12_GLOBAL__N_139chunk_gated_delta_rule_fwd_h_hip_kernelILi64ELb1ELb0ELb0ELb1ELb1ELb1ELb0ELb1EEEvPK12hip_bfloat16S3_S3_PKfS5_PKvPS1_S8_PvPKiSB_iiiiilll,@function
_ZN12_GLOBAL__N_139chunk_gated_delta_rule_fwd_h_hip_kernelILi64ELb1ELb0ELb0ELb1ELb1ELb1ELb0ELb1EEEvPK12hip_bfloat16S3_S3_PKfS5_PKvPS1_S8_PvPKiSB_iiiiilll: ; @_ZN12_GLOBAL__N_139chunk_gated_delta_rule_fwd_h_hip_kernelILi64ELb1ELb0ELb0ELb1ELb1ELb1ELb0ELb1EEEvPK12hip_bfloat16S3_S3_PKfS5_PKvPS1_S8_PvPKiSB_iiiiilll
; %bb.0:
	s_load_dwordx4 s[12:15], s[0:1], 0x5c
	s_load_dwordx4 s[20:23], s[0:1], 0x70
	s_abs_i32 s9, s3
	s_ashr_i32 s8, s3, 31
	s_load_dwordx4 s[4:7], s[0:1], 0x48
	s_waitcnt lgkmcnt(0)
	s_abs_i32 s10, s13
	v_cvt_f32_u32_e32 v1, s10
	s_sub_i32 s16, 0, s10
	s_ashr_i32 s11, s13, 31
	s_xor_b32 s8, s8, s11
	v_rcp_iflag_f32_e32 v1, v1
	v_and_b32_e32 v88, 15, v0
	v_lshrrev_b32_e32 v86, 6, v0
	v_bfe_u32 v87, v0, 4, 2
	v_mul_f32_e32 v1, 0x4f7ffffe, v1
	v_cvt_u32_f32_e32 v1, v1
	v_mov_b32_e32 v7, 0
	v_and_b32_e32 v45, 63, v0
	v_lshlrev_b32_e32 v89, 3, v0
	v_readfirstlane_b32 s17, v1
	s_mul_i32 s16, s16, s17
	s_mul_hi_u32 s16, s17, s16
	s_add_i32 s17, s17, s16
	s_mul_hi_u32 s16, s9, s17
	s_mul_i32 s17, s16, s10
	s_sub_i32 s9, s9, s17
	s_add_i32 s18, s16, 1
	s_sub_i32 s17, s9, s10
	s_cmp_ge_u32 s9, s10
	s_cselect_b32 s16, s18, s16
	s_cselect_b32 s9, s17, s9
	s_add_i32 s17, s16, 1
	s_cmp_ge_u32 s9, s10
	s_cselect_b32 s9, s17, s16
	s_load_dwordx4 s[16:19], s[0:1], 0x28
	s_xor_b32 s9, s9, s8
	s_sub_i32 s24, s9, s8
	s_mul_i32 s28, s24, s13
	s_ashr_i32 s25, s24, 31
	s_sub_i32 s47, s3, s28
	s_lshl_b64 s[8:9], s[24:25], 2
	s_add_u32 s4, s4, s8
	s_addc_u32 s5, s5, s9
	s_add_u32 s26, s6, s8
	s_addc_u32 s27, s7, s9
	s_abs_i32 s3, s14
	v_cvt_f32_u32_e32 v1, s3
	s_load_dwordx2 s[30:31], s[4:5], 0x0
	s_lshl_b32 s38, s2, 6
	s_ashr_i32 s2, s14, 31
	v_rcp_iflag_f32_e32 v1, v1
	s_xor_b32 s2, s11, s2
	s_waitcnt lgkmcnt(0)
	s_sub_i32 s50, s31, s30
	s_ashr_i32 s4, s50, 31
	v_mul_f32_e32 v1, 0x4f7ffffe, v1
	v_cvt_u32_f32_e32 v1, v1
	s_lshr_b32 s4, s4, 26
	s_add_i32 s4, s50, s4
	s_ashr_i32 s49, s4, 6
	s_sub_i32 s4, 0, s3
	v_readfirstlane_b32 s5, v1
	s_mul_i32 s4, s4, s5
	s_mul_hi_u32 s4, s5, s4
	s_add_i32 s5, s5, s4
	s_mul_hi_u32 s4, s10, s5
	s_mul_i32 s5, s4, s3
	s_sub_i32 s5, s10, s5
	s_add_i32 s6, s4, 1
	s_sub_i32 s7, s5, s3
	s_cmp_ge_u32 s5, s3
	s_cselect_b32 s4, s6, s4
	s_cselect_b32 s5, s7, s5
	s_add_i32 s6, s4, 1
	s_cmp_ge_u32 s5, s3
	s_cselect_b32 s3, s6, s4
	s_xor_b32 s3, s3, s2
	s_sub_i32 s2, s3, s2
	s_abs_i32 s3, s2
	v_cvt_f32_u32_e32 v1, s3
	s_sub_i32 s5, 0, s3
	s_abs_i32 s4, s47
	s_xor_b32 s2, s47, s2
	v_rcp_iflag_f32_e32 v1, v1
	s_ashr_i32 s2, s2, 31
	v_or_b32_e32 v46, s38, v88
	v_lshlrev_b32_e32 v2, 7, v46
	v_mul_f32_e32 v1, 0x4f7ffffe, v1
	v_cvt_u32_f32_e32 v1, v1
	v_or_b32_e32 v10, 0x800, v2
	v_ashrrev_i32_e32 v3, 31, v2
	v_ashrrev_i32_e32 v11, 31, v10
	v_readfirstlane_b32 s6, v1
	s_mul_i32 s5, s5, s6
	s_mul_hi_u32 s5, s6, s5
	s_add_i32 s6, s6, s5
	s_mul_hi_u32 s5, s4, s6
	s_mul_i32 s6, s5, s3
	s_sub_i32 s4, s4, s6
	s_add_i32 s6, s5, 1
	s_sub_i32 s7, s4, s3
	s_cmp_ge_u32 s4, s3
	s_cselect_b32 s5, s6, s5
	s_cselect_b32 s4, s7, s4
	s_add_i32 s6, s5, 1
	s_cmp_ge_u32 s4, s3
	s_cselect_b32 s3, s6, s5
	s_xor_b32 s3, s3, s2
	s_sub_i32 s51, s3, s2
	s_ashr_i32 s48, s47, 31
	s_mul_hi_i32 s3, s24, s13
	s_add_u32 s2, s28, s47
	s_addc_u32 s3, s3, s48
	s_lshl_b64 s[2:3], s[2:3], 15
	v_lshlrev_b32_e32 v1, 4, v86
	s_add_u32 s2, s16, s2
	v_lshl_or_b32 v91, v87, 2, v1
	s_addc_u32 s3, s17, s3
	v_lshl_add_u64 v[4:5], v[2:3], 1, s[2:3]
	v_lshlrev_b32_e32 v6, 1, v91
	v_lshl_add_u64 v[10:11], v[10:11], 1, s[2:3]
	v_lshl_add_u64 v[4:5], v[4:5], 0, v[6:7]
	;; [unrolled: 1-line block ×3, first 2 shown]
	global_load_dwordx2 v[8:9], v[4:5], off
	v_lshrrev_b32_e32 v90, 3, v45
	global_load_dwordx2 v[4:5], v[4:5], off offset:128
	s_nop 0
	global_load_dwordx2 v[12:13], v[10:11], off
	global_load_dwordx2 v[14:15], v[10:11], off offset:128
	v_or_b32_e32 v10, 0x1000, v2
	v_or_b32_e32 v2, 0x1800, v2
	v_ashrrev_i32_e32 v11, 31, v10
	v_ashrrev_i32_e32 v3, 31, v2
	v_lshl_add_u64 v[10:11], v[10:11], 1, s[2:3]
	v_lshl_add_u64 v[2:3], v[2:3], 1, s[2:3]
	;; [unrolled: 1-line block ×4, first 2 shown]
	global_load_dwordx2 v[16:17], v[10:11], off
	v_or_b32_e32 v92, 64, v91
	global_load_dwordx2 v[10:11], v[10:11], off offset:128
	s_nop 0
	global_load_dwordx2 v[6:7], v[2:3], off
	global_load_dwordx2 v[18:19], v[2:3], off offset:128
	s_load_dwordx8 s[4:11], s[0:1], 0x0
	s_load_dwordx2 s[28:29], s[0:1], 0x80
	s_load_dword s54, s[26:27], 0x0
	s_mul_i32 s33, s24, s21
	s_mul_hi_u32 s43, s24, s20
	s_mul_i32 s42, s25, s20
	s_mul_hi_i32 s52, s47, s12
	s_mul_i32 s53, s47, s12
	s_cmp_lt_i32 s50, 64
	s_mul_i32 s36, s24, s20
	s_mul_i32 s44, s47, s23
	s_mul_hi_u32 s45, s47, s22
	s_mul_i32 s46, s48, s22
	s_mul_i32 s34, s47, s22
	s_waitcnt vmcnt(7)
	v_and_b32_e32 v75, 0xffff0000, v8
	v_lshlrev_b32_e32 v74, 16, v8
	v_and_b32_e32 v79, 0xffff0000, v9
	v_lshlrev_b32_e32 v78, 16, v9
	s_waitcnt vmcnt(6)
	v_and_b32_e32 v73, 0xffff0000, v4
	v_lshlrev_b32_e32 v72, 16, v4
	v_and_b32_e32 v77, 0xffff0000, v5
	v_lshlrev_b32_e32 v76, 16, v5
	;; [unrolled: 5-line block ×8, first 2 shown]
	s_cbranch_scc1 .LBB20_18
; %bb.1:
	s_ashr_i32 s3, s30, 31
	s_add_u32 s2, s53, s30
	s_addc_u32 s3, s52, s3
	s_lshl_b64 s[2:3], s[2:3], 8
	v_and_b32_e32 v94, 56, v89
	s_waitcnt lgkmcnt(0)
	s_add_u32 s20, s6, s2
	v_lshl_or_b32 v93, v86, 3, v90
	v_lshlrev_b32_e32 v2, 1, v94
	s_addc_u32 s2, s7, s3
	v_lshl_or_b32 v95, v93, 8, v2
	s_and_b32 s21, s2, 0xffff
	s_mov_b32 s23, 0x20000
	s_movk_i32 s22, 0x4000
	s_movk_i32 s2, 0x80
	v_or_b32_e32 v96, 0x2000, v95
	buffer_load_dwordx4 v[4:7], v95, s[20:23], 0 offen
	buffer_load_dwordx4 v[8:11], v95, s[20:23], s2 offen
	;; [unrolled: 1-line block ×4, first 2 shown]
	v_lshlrev_b32_e32 v3, 3, v93
	v_and_or_b32 v21, v0, 7, v3
	v_and_b32_e32 v3, 0x78, v3
	v_lshlrev_b32_e32 v21, 4, v21
	v_xor_b32_e32 v97, v21, v3
	v_mul_lo_u32 v20, v93, s15
	v_or_b32_e32 v98, 0x1000, v97
	v_xor_b32_e32 v3, 8, v97
	s_cmpk_eq_i32 s15, 0x80
	s_mov_b32 s55, s30
	v_xor_b32_e32 v21, 8, v98
	s_cselect_b64 s[2:3], -1, 0
	s_cmpk_lg_i32 s15, 0x80
	s_waitcnt vmcnt(3)
	ds_write_b64 v97, v[4:5] offset:49152
	ds_write_b64 v3, v[6:7] offset:49152
	s_waitcnt vmcnt(2)
	ds_write_b64 v97, v[8:9] offset:57344
	ds_write_b64 v3, v[10:11] offset:57344
	;; [unrolled: 3-line block ×4, first 2 shown]
	v_lshl_add_u32 v3, v20, 1, v94
	s_cbranch_scc0 .LBB20_3
; %bb.2:
	v_lshlrev_b32_e32 v5, 1, v3
	v_add_lshl_u32 v4, v3, s15, 1
	s_lshl_b32 s22, s15, 7
	s_load_dwordx2 s[16:17], s[0:1], 0x20
	v_lshl_or_b32 v2, v93, 9, v2
	s_cbranch_execz .LBB20_4
	s_branch .LBB20_5
.LBB20_3:
                                        ; implicit-def: $vgpr4
                                        ; implicit-def: $vgpr5
                                        ; implicit-def: $sgpr22
	s_load_dwordx2 s[16:17], s[0:1], 0x20
	v_lshl_or_b32 v2, v93, 9, v2
.LBB20_4:
	v_or_b32_e32 v4, 0x100, v2
	s_movk_i32 s22, 0x4000
	v_mov_b32_e32 v5, v2
.LBB20_5:
	s_mul_i32 s0, s30, s14
	s_ashr_i32 s56, s51, 31
	s_mul_hi_i32 s1, s30, s14
	s_add_u32 s0, s0, s51
	s_addc_u32 s1, s1, s56
	s_lshl_b64 s[0:1], s[0:1], 8
	s_add_u32 s20, s4, s0
	s_addc_u32 s0, s5, s1
	s_and_b32 s21, s0, 0xffff
	s_movk_i32 s57, 0x80
	buffer_load_dwordx4 v[6:9], v5, s[20:23], 0 offen
	buffer_load_dwordx4 v[10:13], v5, s[20:23], s57 offen
	buffer_load_dwordx4 v[14:17], v4, s[20:23], 0 offen
	buffer_load_dwordx4 v[18:21], v4, s[20:23], s57 offen
	v_and_b32_e32 v5, 6, v0
	v_lshlrev_b32_e32 v4, 7, v91
	v_xor_b32_e32 v27, v93, v5
	v_and_b32_e32 v22, 1, v0
	v_lshl_or_b32 v30, v88, 3, v4
	v_lshlrev_b32_e32 v27, 2, v27
	v_lshlrev_b32_e32 v23, 2, v88
	v_or_b32_e32 v99, 0x4000, v30
	v_or_b32_e32 v100, 0x6000, v30
	v_xor_b32_e32 v30, 0x440, v27
	v_cmp_eq_u32_e32 vcc, 0, v22
	v_or_b32_e32 v25, 16, v88
	v_or_b32_e32 v26, 32, v88
	v_xor_b32_e32 v28, v91, v23
	v_xor_b32_e32 v29, v92, v23
	v_cndmask_b32_e32 v22, v30, v27, vcc
	s_mov_b32 s58, 0x1000504
	v_lshl_or_b32 v31, v25, 3, v4
	v_lshlrev_b32_e32 v25, 8, v25
	v_lshl_or_b32 v32, v26, 3, v4
	v_lshlrev_b32_e32 v28, 1, v28
	v_lshlrev_b32_e32 v29, 1, v29
	v_lshl_or_b32 v5, v5, 10, v22
	s_add_i32 s0, s43, s33
	s_mov_b32 s59, 0x3020706
	v_lshlrev_b32_e32 v24, 8, v88
	v_or_b32_e32 v103, 0x4000, v32
	v_or_b32_e32 v104, 0x6000, v32
	;; [unrolled: 1-line block ×4, first 2 shown]
	v_xor_b32_e32 v22, 8, v5
	v_xor_b32_e32 v25, 24, v5
	;; [unrolled: 1-line block ×4, first 2 shown]
	s_add_i32 s37, s0, s42
	s_add_i32 s0, s45, s44
	v_or_b32_e32 v101, 0x4000, v31
	v_or_b32_e32 v102, 0x6000, v31
	;; [unrolled: 1-line block ×4, first 2 shown]
	v_xor_b32_e32 v24, 16, v5
	v_xor_b32_e32 v27, 32, v5
	;; [unrolled: 1-line block ×3, first 2 shown]
	v_add_u32_e32 v22, 0x80, v22
	v_add_u32_e32 v25, 0x80, v25
	;; [unrolled: 1-line block ×4, first 2 shown]
	s_add_i32 s35, s0, s46
	s_lshl_b64 s[0:1], s[36:37], 2
	s_add_u32 s20, s10, s0
	s_addc_u32 s21, s11, s1
	s_lshl_b64 s[0:1], s[34:35], 2
	s_add_u32 s40, s20, s0
	s_movk_i32 s0, 0xf8
	s_addc_u32 s41, s21, s1
	s_ashr_i32 s39, s38, 31
	s_lshl_b32 s26, s15, 7
	v_mov_b32_e32 v81, 0
	s_movk_i32 s20, 0x100
	v_lshlrev_b32_e32 v80, 4, v88
	v_lshlrev_b32_e32 v26, 8, v26
	v_ashrrev_i32_e32 v47, 31, v46
	s_mov_b32 s60, 0
	s_movk_i32 s22, 0x4000
	v_or_b32_e32 v109, v26, v28
	v_or_b32_e32 v110, v26, v29
	v_lshl_add_u64 v[82:83], v[46:47], 1, s[8:9]
	s_mov_b32 s35, 0x7060302
	s_movk_i32 s37, 0x2000
	s_waitcnt vmcnt(1)
	v_perm_b32 v33, v6, v14, s58
	s_waitcnt vmcnt(0)
	v_perm_b32 v34, v10, v18, s58
	v_perm_b32 v6, v6, v14, s59
	;; [unrolled: 1-line block ×15, first 2 shown]
	ds_write2st64_b32 v5, v33, v34 offset0:128 offset1:160
	ds_write2st64_b32 v22, v6, v10 offset0:128 offset1:160
	;; [unrolled: 1-line block ×8, first 2 shown]
	v_or_b32_e32 v5, 48, v88
	v_lshl_or_b32 v6, v5, 3, v4
	v_lshlrev_b32_e32 v5, 8, v5
	v_or_b32_e32 v113, v5, v28
	v_or_b32_e32 v114, v5, v29
	;; [unrolled: 1-line block ×3, first 2 shown]
	v_lshlrev_b32_e32 v5, 3, v5
	v_lshrrev_b32_e32 v7, 5, v45
	v_and_or_b32 v7, v5, s0, v7
	v_lshlrev_b32_e32 v7, 4, v7
	v_or_b32_e32 v111, 0x4000, v6
	v_or_b32_e32 v112, 0x6000, v6
	v_lshrrev_b32_e32 v6, 2, v45
	v_lshlrev_b32_e32 v9, 11, v86
	v_and_b32_e32 v5, 0x78, v5
	v_or_b32_e32 v13, 32, v7
	v_and_b32_e32 v8, 12, v6
	v_and_b32_e32 v6, 0x1000, v9
	v_xor_b32_e32 v10, v7, v5
	v_lshrrev_b32_e32 v11, 1, v45
	v_xor_b32_e32 v13, v13, v5
	v_or_b32_e32 v10, v10, v6
	v_and_b32_e32 v11, 8, v11
	v_or_b32_e32 v13, v13, v6
	v_xor_b32_e32 v115, v10, v11
	v_lshlrev_b32_e32 v10, 8, v87
	v_xor_b32_e32 v117, v13, v11
	v_or_b32_e32 v13, 64, v7
	v_or_b32_e32 v7, 0x60, v7
	;; [unrolled: 1-line block ×3, first 2 shown]
	v_xor_b32_e32 v13, v13, v5
	v_xor_b32_e32 v5, v7, v5
	s_lshl_b64 s[0:1], s[38:39], 8
	v_lshlrev_b32_e32 v12, 1, v12
	v_or_b32_e32 v13, v13, v6
	v_or_b32_e32 v5, v5, v6
	s_add_u32 s0, s18, s0
	v_lshlrev_b32_e32 v6, 1, v88
	v_lshlrev_b32_e32 v15, 2, v0
	v_or_b32_e32 v116, 0x4000, v12
	v_or_b32_e32 v118, 0x4080, v12
	v_or_b32_e32 v119, 0x4100, v12
	v_or_b32_e32 v120, 0x4180, v12
	v_xor_b32_e32 v121, v13, v11
	v_xor_b32_e32 v122, v5, v11
	v_or_b32_e32 v123, 0x6000, v12
	v_or_b32_e32 v124, 0x6080, v12
	;; [unrolled: 1-line block ×4, first 2 shown]
	v_lshlrev_b32_e32 v5, 1, v3
	v_add_lshl_u32 v3, v3, s15, 1
	v_or_b32_e32 v11, 0x100, v2
	v_lshrrev_b32_e32 v12, 4, v0
	s_addc_u32 s1, s19, s1
	v_or_b32_e32 v7, 1, v6
	v_lshrrev_b32_e32 v16, 1, v0
	v_and_or_b32 v10, v15, 60, v10
	v_xor_b32_e32 v13, v12, v6
	v_xor_b32_e32 v14, v7, v12
	v_lshl_add_u64 v[6:7], s[0:1], 0, v[80:81]
	v_and_b32_e32 v16, 24, v16
	v_lshlrev_b32_e32 v10, 1, v10
	v_cndmask_b32_e64 v133, v5, v2, s[2:3]
	v_cndmask_b32_e64 v134, v3, v11, s[2:3]
	v_mov_b32_e32 v3, 0xa000
	v_mov_b32_e32 v5, 0x8000
	v_cmp_gt_u32_e64 s[0:1], s20, v0
	v_lshlrev_b32_e32 v80, 8, v12
	v_or_b32_e32 v129, 0x6000, v10
	v_or_b32_e32 v15, 32, v16
	;; [unrolled: 1-line block ×6, first 2 shown]
	v_cndmask_b32_e64 v3, v3, v5, s[0:1]
	v_lshlrev_b32_e32 v5, 3, v86
	v_lshl_or_b32 v127, v13, 3, v80
	v_and_b32_e32 v13, 8, v0
	v_xor_b32_e32 v11, v5, v16
	v_xor_b32_e32 v15, v5, v15
	;; [unrolled: 1-line block ×3, first 2 shown]
	v_mov_b32_e32 v17, 0x400
	v_cmp_eq_u32_e32 vcc, 0, v13
	v_or_b32_e32 v16, 0x440, v11
	v_or_b32_e32 v18, 0x440, v15
	v_xor_b32_e32 v10, 0x440, v5
	v_and_b32_e32 v12, 7, v0
	v_cndmask_b32_e64 v13, v17, 64, vcc
	v_cndmask_b32_e32 v16, v16, v11, vcc
	v_cndmask_b32_e32 v15, v18, v15, vcc
	;; [unrolled: 1-line block ×3, first 2 shown]
	v_lshl_or_b32 v128, v14, 3, v80
	v_lshlrev_b32_e32 v14, 3, v12
	v_or_b32_e32 v16, v16, v9
	v_or_b32_e32 v15, v15, v9
	v_or3_b32 v11, v9, v13, v11
	v_or_b32_e32 v5, v5, v9
	v_lshlrev_b32_e32 v12, 7, v12
	v_xor_b32_e32 v16, v16, v14
	v_xor_b32_e32 v15, v15, v14
	;; [unrolled: 1-line block ×4, first 2 shown]
	v_or_b32_e32 v2, v1, v8
	v_add_u32_e32 v17, v3, v16
	v_add_u32_e32 v18, v3, v15
	v_or_b32_e32 v135, v11, v12
	v_add_u32_e32 v9, v3, v5
	v_or3_b32 v8, v1, v8, 64
	v_add_u32_e32 v10, 0xa000, v16
	v_add_u32_e32 v11, 0xa000, v15
	;; [unrolled: 1-line block ×3, first 2 shown]
	v_lshl_add_u64 v[84:85], v[6:7], 0, v[80:81]
	v_lshlrev_b32_e32 v80, 1, v4
	s_movk_i32 s39, 0x3000
	v_lshlrev_b32_e32 v47, 2, v2
	v_add_u32_e32 v136, v17, v12
	v_add_u32_e32 v137, v18, v12
	;; [unrolled: 1-line block ×4, first 2 shown]
	v_lshlrev_b32_e32 v140, 2, v8
	v_add_u32_e32 v141, v10, v12
	v_add_u32_e32 v142, v11, v12
	;; [unrolled: 1-line block ×3, first 2 shown]
	s_waitcnt lgkmcnt(0)
	s_barrier
.LBB20_6:                               ; =>This Inner Loop Header: Depth=1
	s_add_i32 s61, s60, 1
	s_cmp_lt_i32 s61, s49
	s_mov_b64 s[24:25], 0
	s_cselect_b64 s[2:3], -1, 0
	s_cmp_ge_i32 s61, s49
	s_mov_b64 s[20:21], 0
	s_cbranch_scc1 .LBB20_8
; %bb.7:                                ;   in Loop: Header=BB20_6 Depth=1
	s_add_i32 s0, s55, 64
	s_ashr_i32 s1, s0, 31
	s_add_u32 s0, s53, s0
	s_addc_u32 s1, s52, s1
	s_lshl_b64 s[0:1], s[0:1], 8
	s_add_u32 s20, s6, s0
	s_addc_u32 s21, s7, s1
.LBB20_8:                               ;   in Loop: Header=BB20_6 Depth=1
	v_cndmask_b32_e64 v2, 0, 1, s[2:3]
	v_cmp_ne_u32_e64 s[0:1], 1, v2
	s_andn2_b64 vcc, exec, s[2:3]
	s_cbranch_vccnz .LBB20_10
; %bb.9:                                ;   in Loop: Header=BB20_6 Depth=1
	s_add_i32 s2, s55, 64
	s_mul_hi_i32 s3, s2, s14
	s_mul_i32 s2, s2, s14
	s_add_u32 s2, s2, s51
	s_addc_u32 s3, s3, s56
	s_lshl_b64 s[2:3], s[2:3], 8
	s_add_u32 s24, s4, s2
	s_addc_u32 s25, s5, s3
.LBB20_10:                              ;   in Loop: Header=BB20_6 Depth=1
	v_perm_b32 v3, v79, v78, s35
	v_perm_b32 v2, v75, v74, s35
	v_perm_b32 v5, v77, v76, s35
	v_perm_b32 v4, v73, v72, s35
	ds_write_b64 v99, v[2:3]
	ds_write_b64 v100, v[4:5]
	ds_write_b64 v105, v[2:3]
	ds_write_b64 v106, v[4:5]
	v_perm_b32 v3, v71, v70, s35
	v_perm_b32 v2, v67, v66, s35
	v_perm_b32 v5, v69, v68, s35
	v_perm_b32 v4, v65, v64, s35
	ds_write_b64 v101, v[2:3]
	ds_write_b64 v102, v[4:5]
	ds_write_b64 v107, v[2:3]
	ds_write_b64 v108, v[4:5]
	;; [unrolled: 8-line block ×4, first 2 shown]
	s_waitcnt lgkmcnt(0)
	s_barrier
	ds_read_b64 v[6:7], v115 offset:49152
	ds_read2_b64 v[2:5], v116 offset1:16
	ds_read_b64 v[18:19], v118 offset:6144
	ds_read_b64 v[20:21], v116 offset:6144
	s_waitcnt lgkmcnt(2)
	v_mfma_f32_16x16x16_bf16 a[0:3], v[6:7], v[2:3], 0
	ds_read_b64 v[22:23], v117 offset:49152
	ds_read2st64_b64 v[10:13], v119 offset0:4 offset1:8
	ds_read2st64_b64 v[14:17], v120 offset0:4 offset1:8
	v_mfma_f32_16x16x16_bf16 a[4:7], v[6:7], v[4:5], 0
	ds_read2_b64 v[2:5], v116 offset0:32 offset1:48
	s_add_i32 s62, s55, 63
	s_ashr_i32 s2, s62, 31
	s_waitcnt lgkmcnt(0)
	v_mfma_f32_16x16x16_bf16 a[8:11], v[6:7], v[2:3], 0
	s_mul_i32 s3, s62, s29
	s_mul_hi_u32 s27, s62, s28
	s_add_i32 s3, s27, s3
	v_mfma_f32_16x16x16_bf16 a[12:15], v[6:7], v[4:5], 0
	ds_read2st64_b64 v[2:5], v116 offset0:4 offset1:8
	ds_read2st64_b64 v[6:9], v118 offset0:4 offset1:8
	s_mul_i32 s2, s2, s28
	s_waitcnt lgkmcnt(1)
	v_mfma_f32_16x16x16_bf16 a[0:3], v[22:23], v[2:3], a[0:3]
	s_add_i32 s3, s3, s2
	s_mul_i32 s2, s62, s28
	s_lshl_b64 s[2:3], s[2:3], 2
	s_waitcnt lgkmcnt(0)
	v_mfma_f32_16x16x16_bf16 a[4:7], v[22:23], v[6:7], a[4:7]
	s_add_u32 s2, s40, s2
	s_addc_u32 s3, s41, s3
	s_and_b64 vcc, exec, s[0:1]
	v_mfma_f32_16x16x16_bf16 a[8:11], v[22:23], v[10:11], a[8:11]
	ds_read_b64 v[2:3], v121 offset:49152
	ds_read_b64 v[6:7], v122 offset:49152
	;; [unrolled: 1-line block ×3, first 2 shown]
	v_mov_b32_e32 v146, 0
	v_mov_b32_e32 v145, 0
	v_mfma_f32_16x16x16_bf16 a[12:15], v[22:23], v[14:15], a[12:15]
	v_mov_b32_e32 v144, 0
	v_mov_b32_e32 v14, 0
	;; [unrolled: 1-line block ×3, first 2 shown]
	s_waitcnt lgkmcnt(2)
	v_mfma_f32_16x16x16_bf16 a[0:3], v[2:3], v[4:5], a[0:3]
	v_mov_b32_e32 v4, 0
	v_mov_b32_e32 v5, 0
	v_mfma_f32_16x16x16_bf16 a[16:19], v[2:3], v[8:9], a[4:7]
	v_mov_b32_e32 v8, 0
	v_mov_b32_e32 v9, 0
	;; [unrolled: 3-line block ×3, first 2 shown]
	v_mfma_f32_16x16x16_bf16 a[24:27], v[2:3], v[16:17], a[12:15]
	ds_read_b64 v[2:3], v119 offset:6144
	v_mov_b32_e32 v16, 0
	v_mov_b32_e32 v17, 0
	s_waitcnt lgkmcnt(2)
	v_mfma_f32_16x16x16_bf16 a[4:7], v[6:7], v[20:21], a[0:3]
	v_mfma_f32_16x16x16_bf16 a[8:11], v[6:7], v[18:19], a[16:19]
	s_waitcnt lgkmcnt(0)
	v_mfma_f32_16x16x16_bf16 a[12:15], v[6:7], v[2:3], a[20:23]
	v_mov_b32_e32 v2, 0
	v_mov_b32_e32 v3, 0
	v_mfma_f32_16x16x16_bf16 a[0:3], v[6:7], v[10:11], a[24:27]
	v_mov_b32_e32 v6, 0
	v_mov_b32_e32 v7, 0
	;; [unrolled: 1-line block ×4, first 2 shown]
	s_cbranch_vccnz .LBB20_12
; %bb.11:                               ;   in Loop: Header=BB20_6 Depth=1
	s_and_b32 s21, s21, 0xffff
	buffer_load_dwordx4 v[14:17], v95, s[20:23], 0 offen
	buffer_load_dwordx4 v[10:13], v95, s[20:23], s57 offen
	;; [unrolled: 1-line block ×4, first 2 shown]
	v_mov_b32_e32 v145, v97
	v_mov_b32_e32 v144, v98
.LBB20_12:                              ;   in Loop: Header=BB20_6 Depth=1
	ds_read_b64 v[34:35], v115 offset:57344
	ds_read2_b64 v[18:21], v123 offset1:16
	ds_read_b64 v[36:37], v117 offset:57344
	ds_read_b64 v[38:39], v121 offset:57344
	;; [unrolled: 1-line block ×3, first 2 shown]
	v_add_u32_e32 v42, s55, v91
	s_waitcnt lgkmcnt(3)
	v_mfma_f32_16x16x16_bf16 a[4:7], v[34:35], v[18:19], a[4:7]
	v_mfma_f32_16x16x16_bf16 a[8:11], v[34:35], v[20:21], a[8:11]
	ds_read2_b64 v[18:21], v123 offset0:32 offset1:48
	ds_read2st64_b64 v[22:25], v123 offset0:4 offset1:8
	ds_read2st64_b64 v[26:29], v124 offset0:4 offset1:8
	;; [unrolled: 1-line block ×3, first 2 shown]
	s_waitcnt lgkmcnt(3)
	v_mfma_f32_16x16x16_bf16 a[12:15], v[34:35], v[18:19], a[12:15]
	v_ashrrev_i32_e32 v18, 31, v42
	v_mfma_f32_16x16x16_bf16 a[0:3], v[34:35], v[20:21], a[0:3]
	v_mul_lo_u32 v20, v18, s28
	v_mul_lo_u32 v21, v42, s29
	v_mad_u64_u32 v[18:19], s[20:21], v42, s28, 0
	v_add3_u32 v19, v19, v21, v20
	v_add_u32_e32 v20, 1, v42
	v_ashrrev_i32_e32 v21, 31, v20
	s_waitcnt lgkmcnt(2)
	v_mfma_f32_16x16x16_bf16 a[4:7], v[36:37], v[22:23], a[4:7]
	v_mul_lo_u32 v22, v21, s28
	v_mul_lo_u32 v23, v20, s29
	v_mad_u64_u32 v[20:21], s[20:21], v20, s28, 0
	v_add3_u32 v21, v21, v23, v22
	v_add_u32_e32 v22, 2, v42
	v_ashrrev_i32_e32 v23, 31, v22
	s_waitcnt lgkmcnt(1)
	v_mfma_f32_16x16x16_bf16 a[8:11], v[36:37], v[26:27], a[8:11]
	v_mul_lo_u32 v26, v23, s28
	v_mul_lo_u32 v27, v22, s29
	v_mad_u64_u32 v[22:23], s[20:21], v22, s28, 0
	v_add3_u32 v23, v23, v27, v26
	v_add_u32_e32 v26, 3, v42
	v_ashrrev_i32_e32 v27, 31, v26
	v_mul_lo_u32 v34, v27, s28
	v_mul_lo_u32 v35, v26, s29
	v_mad_u64_u32 v[26:27], s[20:21], v26, s28, 0
	s_ashr_i32 s21, s55, 31
	s_add_u32 s20, s53, s55
	s_addc_u32 s21, s52, s21
	v_lshl_add_u64 v[18:19], v[18:19], 2, s[40:41]
	v_add3_u32 v27, v27, v35, v34
	s_lshl_b64 s[20:21], s[20:21], 8
	v_lshl_add_u64 v[20:21], v[20:21], 2, s[40:41]
	v_lshl_add_u64 v[22:23], v[22:23], 2, s[40:41]
	;; [unrolled: 1-line block ×3, first 2 shown]
	global_load_dword v34, v[18:19], off
	global_load_dword v35, v[20:21], off
	;; [unrolled: 1-line block ×4, first 2 shown]
	v_lshl_add_u64 v[18:19], v[82:83], 0, s[20:21]
	v_lshl_add_u64 v[22:23], v[18:19], 0, v[80:81]
	global_load_ushort v44, v[22:23], off offset:256
	global_load_ushort v147, v[22:23], off
	ds_read2st64_b64 v[18:21], v126 offset0:4 offset1:8
	global_load_ushort v148, v[22:23], off offset:768
	global_load_ushort v149, v[22:23], off offset:512
	s_waitcnt lgkmcnt(1)
	v_mfma_f32_16x16x16_bf16 a[12:15], v[36:37], v[30:31], a[12:15]
	s_and_b64 vcc, exec, s[0:1]
	s_waitcnt vmcnt(3)
	v_lshlrev_b32_e32 v31, 16, v44
	s_waitcnt lgkmcnt(0)
	v_mfma_f32_16x16x16_bf16 a[0:3], v[36:37], v[18:19], a[0:3]
	global_load_ushort v36, v[22:23], off offset:288
	global_load_ushort v37, v[22:23], off offset:32
	;; [unrolled: 1-line block ×8, first 2 shown]
	v_mfma_f32_16x16x16_bf16 a[4:7], v[38:39], v[24:25], a[4:7]
	ds_read_b64 v[18:19], v123 offset:6144
	s_waitcnt vmcnt(10)
	v_lshlrev_b32_e32 v30, 16, v147
	v_mov_b32_e32 v147, 0
	v_mfma_f32_16x16x16_bf16 a[8:11], v[38:39], v[28:29], a[8:11]
	v_mfma_f32_16x16x16_bf16 a[12:15], v[38:39], v[32:33], a[12:15]
	;; [unrolled: 1-line block ×3, first 2 shown]
	global_load_ushort v38, v[22:23], off offset:352
	global_load_ushort v39, v[22:23], off offset:96
	ds_read_b64 v[20:21], v124 offset:6144
	ds_read_b64 v[24:25], v125 offset:6144
	;; [unrolled: 1-line block ×3, first 2 shown]
	global_load_ushort v156, v[22:23], off offset:864
	global_load_ushort v157, v[22:23], off offset:608
	s_load_dword s2, s[2:3], 0x0
	s_waitcnt lgkmcnt(0)
	v_mfma_f32_16x16x16_bf16 a[4:7], v[40:41], v[18:19], a[4:7]
	v_sub_f32_e32 v28, s2, v42
	v_mfma_f32_16x16x16_bf16 a[0:3], v[40:41], v[26:27], a[0:3]
	v_sub_f32_e32 v26, s2, v34
	v_sub_f32_e32 v27, s2, v35
	v_sub_f32_e32 v29, s2, v43
	v_mfma_f32_16x16x16_bf16 a[8:11], v[40:41], v[20:21], a[8:11]
	v_exp_f32_e32 v26, v26
	v_exp_f32_e32 v27, v27
	;; [unrolled: 1-line block ×4, first 2 shown]
	v_accvgpr_read_b32 v33, a5
	v_accvgpr_read_b32 v32, a4
	;; [unrolled: 1-line block ×4, first 2 shown]
	v_pk_add_f32 v[30:31], v[30:31], v[32:33] neg_lo:[0,1] neg_hi:[0,1]
	s_waitcnt vmcnt(13)
	v_lshlrev_b32_e32 v33, 16, v148
	s_waitcnt vmcnt(12)
	v_lshlrev_b32_e32 v32, 16, v149
	v_pk_add_f32 v[18:19], v[32:33], v[18:19] neg_lo:[0,1] neg_hi:[0,1]
	v_pk_mul_f32 v[30:31], v[26:27], v[30:31]
	v_pk_mul_f32 v[18:19], v[28:29], v[18:19]
	v_accvgpr_read_b32 v33, a9
	v_perm_b32 v19, v19, v18, s35
	v_perm_b32 v18, v31, v30, s35
	v_accvgpr_read_b32 v32, a8
	v_accvgpr_read_b32 v21, a11
	v_mfma_f32_16x16x16_bf16 a[12:15], v[40:41], v[24:25], a[12:15]
	v_accvgpr_read_b32 v20, a10
	v_accvgpr_read_b32 v25, a3
	;; [unrolled: 1-line block ×3, first 2 shown]
	s_waitcnt vmcnt(11)
	v_lshlrev_b32_e32 v31, 16, v36
	s_waitcnt vmcnt(10)
	v_lshlrev_b32_e32 v30, 16, v37
	v_pk_add_f32 v[30:31], v[30:31], v[32:33] neg_lo:[0,1] neg_hi:[0,1]
	s_waitcnt vmcnt(9)
	v_lshlrev_b32_e32 v33, 16, v150
	s_waitcnt vmcnt(8)
	v_lshlrev_b32_e32 v32, 16, v151
	v_pk_add_f32 v[20:21], v[32:33], v[20:21] neg_lo:[0,1] neg_hi:[0,1]
	v_pk_mul_f32 v[30:31], v[26:27], v[30:31]
	v_pk_mul_f32 v[20:21], v[28:29], v[20:21]
	v_accvgpr_read_b32 v23, a15
	v_perm_b32 v21, v21, v20, s35
	v_perm_b32 v20, v31, v30, s35
	ds_write2_b64 v100, v[18:19], v[20:21] offset1:16
	v_accvgpr_read_b32 v21, a13
	s_waitcnt vmcnt(7)
	v_lshlrev_b32_e32 v19, 16, v152
	s_waitcnt vmcnt(6)
	v_lshlrev_b32_e32 v18, 16, v153
	v_accvgpr_read_b32 v20, a12
	v_accvgpr_read_b32 v22, a14
	v_pk_add_f32 v[18:19], v[18:19], v[20:21] neg_lo:[0,1] neg_hi:[0,1]
	s_waitcnt vmcnt(5)
	v_lshlrev_b32_e32 v21, 16, v154
	s_waitcnt vmcnt(4)
	v_lshlrev_b32_e32 v20, 16, v155
	v_pk_add_f32 v[20:21], v[20:21], v[22:23] neg_lo:[0,1] neg_hi:[0,1]
	v_pk_mul_f32 v[18:19], v[26:27], v[18:19]
	v_pk_mul_f32 v[20:21], v[28:29], v[20:21]
	v_accvgpr_read_b32 v23, a1
	v_perm_b32 v21, v21, v20, s35
	v_perm_b32 v20, v19, v18, s35
	s_waitcnt vmcnt(3)
	v_lshlrev_b32_e32 v19, 16, v38
	s_waitcnt vmcnt(2)
	v_lshlrev_b32_e32 v18, 16, v39
	v_accvgpr_read_b32 v22, a0
	v_pk_add_f32 v[18:19], v[18:19], v[22:23] neg_lo:[0,1] neg_hi:[0,1]
	s_waitcnt vmcnt(1)
	v_lshlrev_b32_e32 v23, 16, v156
	s_waitcnt vmcnt(0)
	v_lshlrev_b32_e32 v22, 16, v157
	v_pk_add_f32 v[22:23], v[22:23], v[24:25] neg_lo:[0,1] neg_hi:[0,1]
	v_pk_mul_f32 v[18:19], v[26:27], v[18:19]
	v_pk_mul_f32 v[22:23], v[28:29], v[22:23]
	v_mov_b32_e32 v24, 0
	v_perm_b32 v23, v23, v22, s35
	v_perm_b32 v22, v19, v18, s35
	ds_write2_b64 v100, v[20:21], v[22:23] offset0:32 offset1:48
	v_mov_b32_e32 v18, 0
	v_mov_b32_e32 v19, 0
	v_mov_b32_e32 v20, 0
	v_mov_b32_e32 v21, 0
	v_mov_b32_e32 v22, 0
	v_mov_b32_e32 v23, 0
	v_mov_b32_e32 v25, 0
	v_mov_b32_e32 v26, 0
	v_mov_b32_e32 v27, 0
	v_mov_b32_e32 v28, 0
	v_mov_b32_e32 v29, 0
	v_mov_b32_e32 v30, 0
	v_mov_b32_e32 v31, 0
	v_mov_b32_e32 v32, 0
	v_mov_b32_e32 v33, 0
	s_cbranch_vccnz .LBB20_14
; %bb.13:                               ;   in Loop: Header=BB20_6 Depth=1
	s_and_b32 s25, s25, 0xffff
	s_mov_b32 s27, s23
	buffer_load_dwordx4 v[30:33], v133, s[24:27], 0 offen
	buffer_load_dwordx4 v[22:25], v133, s[24:27], s57 offen
	;; [unrolled: 1-line block ×4, first 2 shown]
	v_mov_b32_e32 v146, v94
	v_mov_b32_e32 v147, v93
.LBB20_14:                              ;   in Loop: Header=BB20_6 Depth=1
	s_waitcnt lgkmcnt(0)
	s_barrier
	ds_read_b64 v[42:43], v136
	ds_read2_b64 v[34:37], v129 offset1:16
	ds_read_b64 v[164:165], v137
	ds_read_b64 v[166:167], v138
	;; [unrolled: 1-line block ×3, first 2 shown]
	ds_read2_b64 v[38:41], v129 offset0:32 offset1:48
	ds_read2st64_b64 v[148:151], v129 offset0:4 offset1:8
	ds_read2st64_b64 v[152:155], v130 offset0:4 offset1:8
	;; [unrolled: 1-line block ×4, first 2 shown]
	s_waitcnt lgkmcnt(8)
	v_mfma_f32_16x16x16_bf16 a[0:3], v[42:43], v[34:35], 0
	s_add_i32 s3, s54, s60
	s_mul_hi_i32 s21, s3, s13
	s_mul_i32 s3, s3, s13
	v_mfma_f32_16x16x16_bf16 a[4:7], v[42:43], v[36:37], 0
	s_add_u32 s20, s3, s47
	s_addc_u32 s21, s21, s48
	s_lshl_b64 s[20:21], s[20:21], 15
	s_waitcnt lgkmcnt(4)
	v_mfma_f32_16x16x16_bf16 a[8:11], v[42:43], v[38:39], 0
	s_mul_i32 s24, s62, s13
	s_mul_hi_i32 s3, s62, s13
	s_add_u32 s24, s24, s47
	v_mfma_f32_16x16x16_bf16 a[12:15], v[42:43], v[40:41], 0
	ds_read_b64 v[42:43], v129 offset:6144
	ds_read_b64 v[176:177], v130 offset:6144
	;; [unrolled: 1-line block ×4, first 2 shown]
	s_addc_u32 s25, s3, s48
	s_waitcnt lgkmcnt(7)
	v_mfma_f32_16x16x16_bf16 a[0:3], v[164:165], v[148:149], a[0:3]
	s_lshl_b64 s[24:25], s[24:25], 9
	s_add_u32 s24, s16, s24
	s_addc_u32 s25, s17, s25
	s_waitcnt lgkmcnt(6)
	v_mfma_f32_16x16x16_bf16 a[4:7], v[164:165], v[152:153], a[4:7]
	v_lshl_add_u64 v[186:187], v[84:85], 0, s[20:21]
	s_waitcnt lgkmcnt(5)
	v_mfma_f32_16x16x16_bf16 a[8:11], v[164:165], v[156:157], a[8:11]
	s_waitcnt lgkmcnt(4)
	v_mfma_f32_16x16x16_bf16 a[12:15], v[164:165], v[160:161], a[12:15]
	ds_read_b64 v[164:165], v141
	ds_read_b64 v[174:175], v142
	;; [unrolled: 1-line block ×3, first 2 shown]
	s_waitcnt lgkmcnt(2)
	v_mfma_f32_16x16x16_bf16 a[16:19], v[164:165], v[34:35], 0
	v_mfma_f32_16x16x16_bf16 a[20:23], v[164:165], v[36:37], 0
	global_load_dwordx4 v[34:37], v140, s[24:25]
	v_mfma_f32_16x16x16_bf16 a[24:27], v[164:165], v[38:39], 0
	v_mfma_f32_16x16x16_bf16 a[28:31], v[164:165], v[40:41], 0
	global_load_dwordx4 v[38:41], v47, s[24:25]
	v_mfma_f32_16x16x16_bf16 a[0:3], v[166:167], v[150:151], a[0:3]
	v_mfma_f32_16x16x16_bf16 a[4:7], v[166:167], v[154:155], a[4:7]
	;; [unrolled: 1-line block ×8, first 2 shown]
	ds_read2st64_b64 v[164:167], v127 offset1:8
	ds_read2st64_b64 v[168:171], v128 offset1:8
	ds_read_b64 v[184:185], v135 offset:40960
	s_waitcnt lgkmcnt(2)
	v_mov_b32_e32 v172, v164
	v_mfma_f32_16x16x16_bf16 a[16:19], v[174:175], v[148:149], a[16:19]
	v_mov_b32_e32 v173, v165
	v_mfma_f32_16x16x16_bf16 a[20:23], v[174:175], v[152:153], a[20:23]
	v_mfma_f32_16x16x16_bf16 a[24:27], v[174:175], v[156:157], a[24:27]
	;; [unrolled: 1-line block ×3, first 2 shown]
	v_add_co_u32_e32 v160, vcc, s37, v186
	s_waitcnt lgkmcnt(1)
	v_mov_b32_e32 v174, v168
	s_waitcnt lgkmcnt(0)
	v_mfma_f32_16x16x16_bf16 a[16:19], v[184:185], v[150:151], a[16:19]
	ds_read2st64_b64 v[148:151], v127 offset0:16 offset1:24
	v_addc_co_u32_e32 v161, vcc, 0, v187, vcc
	v_mfma_f32_16x16x16_bf16 a[20:23], v[184:185], v[154:155], a[20:23]
	ds_read2st64_b64 v[152:155], v128 offset0:16 offset1:24
	v_mov_b32_e32 v175, v169
	v_mov_b32_e32 v168, v166
	v_mfma_f32_16x16x16_bf16 a[32:35], v[184:185], v[158:159], a[24:27]
	v_mov_b32_e32 v169, v167
	s_waitcnt lgkmcnt(0)
	v_mov_b32_e32 v158, v152
	v_mov_b32_e32 v159, v153
	v_mfma_f32_16x16x16_bf16 a[36:39], v[184:185], v[162:163], a[28:31]
	v_mov_b32_e32 v152, v150
	v_mov_b32_e32 v153, v151
	;; [unrolled: 1-line block ×3, first 2 shown]
	v_mfma_f32_16x16x16_bf16 a[24:27], v[182:183], v[42:43], a[16:19]
	v_add_co_u32_e32 v42, vcc, s39, v186
	v_mov_b32_e32 v157, v149
	v_mfma_f32_16x16x16_bf16 a[28:31], v[182:183], v[176:177], a[20:23]
	v_addc_co_u32_e32 v43, vcc, 0, v187, vcc
	global_store_dwordx4 v[42:43], v[152:155], off
	v_mfma_f32_16x16x16_bf16 a[16:19], v[182:183], v[178:179], a[32:35]
	s_waitcnt vmcnt(2)
	v_mov_b32_e32 v44, v37
	v_mov_b32_e32 v43, v36
	;; [unrolled: 1-line block ×3, first 2 shown]
	v_mfma_f32_16x16x16_bf16 a[20:23], v[182:183], v[180:181], a[36:39]
	s_and_b64 vcc, exec, s[0:1]
	global_store_dwordx4 v[186:187], v[172:175], off
	global_store_dwordx4 v[160:161], v[168:171], off offset:-4096
	global_store_dwordx4 v[160:161], v[156:159], off
	s_cbranch_vccnz .LBB20_16
; %bb.15:                               ;   in Loop: Header=BB20_6 Depth=1
	v_lshrrev_b32_e32 v35, 3, v146
	v_and_b32_e32 v35, 6, v35
	v_xor_b32_e32 v36, v35, v147
	v_lshlrev_b32_e32 v36, 2, v36
	v_and_b32_e32 v37, 8, v146
	v_xor_b32_e32 v146, 0x440, v36
	v_cmp_eq_u32_e32 vcc, 0, v37
	v_perm_b32 v37, v22, v18, s58
	s_nop 0
	v_cndmask_b32_e32 v36, v146, v36, vcc
	v_lshl_or_b32 v35, v35, 10, v36
	v_perm_b32 v36, v30, v26, s58
	s_barrier
	ds_write2st64_b32 v35, v36, v37 offset0:128 offset1:160
	v_xor_b32_e32 v36, 8, v35
	v_perm_b32 v26, v30, v26, s59
	v_perm_b32 v18, v22, v18, s59
	v_add_u32_e32 v22, 0x80, v36
	ds_write2st64_b32 v22, v26, v18 offset0:128 offset1:160
	v_xor_b32_e32 v18, 16, v35
	v_perm_b32 v22, v31, v27, s58
	v_perm_b32 v26, v23, v19, s58
	ds_write2st64_b32 v18, v22, v26 offset0:129 offset1:161
	v_xor_b32_e32 v18, 24, v35
	v_perm_b32 v22, v31, v27, s59
	v_perm_b32 v19, v23, v19, s59
	v_add_u32_e32 v18, 0x80, v18
	ds_write2st64_b32 v18, v22, v19 offset0:129 offset1:161
	v_xor_b32_e32 v18, 32, v35
	v_perm_b32 v19, v32, v28, s58
	v_perm_b32 v22, v24, v20, s58
	;; [unrolled: 9-line block ×3, first 2 shown]
	ds_write2st64_b32 v18, v19, v20 offset0:131 offset1:163
	v_xor_b32_e32 v18, 56, v35
	v_perm_b32 v19, v33, v29, s59
	v_perm_b32 v20, v25, v21, s59
	v_add_u32_e32 v18, 0x80, v18
	ds_write2st64_b32 v18, v19, v20 offset0:131 offset1:163
	ds_write_b64 v145, v[14:15] offset:49152
	v_xor_b32_e32 v14, 8, v145
	ds_write_b64 v14, v[16:17] offset:49152
	ds_write_b64 v145, v[10:11] offset:57344
	;; [unrolled: 1-line block ×4, first 2 shown]
	v_xor_b32_e32 v6, 8, v144
	ds_write_b64 v6, v[8:9] offset:49152
	ds_write_b64 v144, v[2:3] offset:57344
	;; [unrolled: 1-line block ×3, first 2 shown]
.LBB20_16:                              ;   in Loop: Header=BB20_6 Depth=1
	v_exp_f32_e32 v36, s2
	s_waitcnt vmcnt(4)
	v_exp_f32_e32 v38, v38
	v_exp_f32_e32 v39, v39
	;; [unrolled: 1-line block ×4, first 2 shown]
	v_accvgpr_read_b32 v5, a3
	v_accvgpr_read_b32 v4, a2
	;; [unrolled: 1-line block ×4, first 2 shown]
	v_pk_mul_f32 v[38:39], v[36:37], v[38:39] op_sel_hi:[0,1]
	v_pk_mul_f32 v[40:41], v[36:37], v[40:41] op_sel_hi:[0,1]
	v_pk_fma_f32 v[74:75], v[74:75], v[38:39], v[2:3]
	v_pk_fma_f32 v[78:79], v[78:79], v[40:41], v[4:5]
	v_exp_f32_e32 v2, v34
	v_exp_f32_e32 v3, v42
	;; [unrolled: 1-line block ×4, first 2 shown]
	v_accvgpr_read_b32 v9, a7
	v_accvgpr_read_b32 v13, a11
	;; [unrolled: 1-line block ×28, first 2 shown]
	v_pk_mul_f32 v[2:3], v[36:37], v[2:3] op_sel_hi:[0,1]
	v_pk_mul_f32 v[4:5], v[36:37], v[4:5] op_sel_hi:[0,1]
	s_add_i32 s55, s55, 64
	v_pk_fma_f32 v[66:67], v[38:39], v[66:67], v[6:7]
	v_pk_fma_f32 v[70:71], v[40:41], v[70:71], v[8:9]
	;; [unrolled: 1-line block ×13, first 2 shown]
	s_cmp_eq_u32 s49, s61
	v_pk_fma_f32 v[52:53], v[4:5], v[52:53], v[32:33]
	s_cbranch_scc1 .LBB20_18
; %bb.17:                               ;   in Loop: Header=BB20_6 Depth=1
	s_mov_b32 s60, s61
	s_branch .LBB20_6
.LBB20_18:
	s_lshl_b32 s26, s49, 6
	s_sub_i32 s27, s50, s26
	s_cmp_gt_i32 s27, 0
	s_cbranch_scc0 .LBB20_99
; %bb.19:
	s_add_i32 s26, s26, s30
	s_ashr_i32 s2, s26, 31
	s_cmpk_lg_i32 s15, 0x80
	s_cselect_b64 s[22:23], -1, 0
	s_and_b64 vcc, exec, s[22:23]
	s_cbranch_vccz .LBB20_21
; %bb.20:
	s_mul_i32 s1, s26, s14
	s_ashr_i32 s3, s51, 31
	s_mul_hi_i32 s0, s26, s14
	s_add_u32 s24, s1, s51
	s_addc_u32 s25, s0, s3
	s_cbranch_execz .LBB20_22
	s_branch .LBB20_23
.LBB20_21:
                                        ; implicit-def: $sgpr24_sgpr25
.LBB20_22:
	s_mul_i32 s1, s51, s12
	s_mul_hi_i32 s0, s51, s12
	s_add_u32 s24, s1, s26
	s_addc_u32 s25, s0, s2
.LBB20_23:
	s_waitcnt lgkmcnt(0)
	s_add_i32 s3, s49, s54
	s_add_u32 s0, s53, s26
	v_lshlrev_b32_e32 v6, 6, v91
	v_lshlrev_b32_e32 v24, 2, v88
	s_addc_u32 s1, s52, s2
	s_mov_b32 s2, 0x7060302
	v_or_b32_e32 v9, v6, v24
	v_xor_b32_e32 v7, v91, v24
	v_perm_b32 v3, v79, v78, s2
	v_perm_b32 v2, v75, v74, s2
	;; [unrolled: 1-line block ×4, first 2 shown]
	v_lshlrev_b32_e32 v9, 1, v9
	v_xor_b32_e32 v8, v92, v24
	ds_write2st64_b64 v9, v[2:3], v[4:5] offset0:32 offset1:48
	v_lshlrev_b32_e32 v7, 1, v7
	v_lshlrev_b32_e32 v9, 8, v88
	v_or_b32_e32 v10, v7, v9
	v_lshlrev_b32_e32 v8, 1, v8
	ds_write_b64 v10, v[2:3]
	v_or_b32_e32 v2, v8, v9
	v_or_b32_e32 v9, 16, v88
	v_lshlrev_b32_e32 v23, 2, v9
	v_or_b32_e32 v10, v6, v23
	ds_write_b64 v2, v[4:5]
	v_perm_b32 v3, v71, v70, s2
	v_perm_b32 v2, v67, v66, s2
	;; [unrolled: 1-line block ×4, first 2 shown]
	v_lshlrev_b32_e32 v10, 1, v10
	v_lshlrev_b32_e32 v9, 8, v9
	ds_write2st64_b64 v10, v[2:3], v[4:5] offset0:32 offset1:48
	v_or_b32_e32 v10, v7, v9
	ds_write_b64 v10, v[2:3]
	v_or_b32_e32 v2, v8, v9
	v_or_b32_e32 v9, 32, v88
	v_lshlrev_b32_e32 v22, 2, v9
	v_or_b32_e32 v10, v6, v22
	s_lshl_b64 s[20:21], s[0:1], 8
	ds_write_b64 v2, v[4:5]
	v_perm_b32 v3, v63, v62, s2
	v_perm_b32 v2, v59, v58, s2
	;; [unrolled: 1-line block ×4, first 2 shown]
	v_lshlrev_b32_e32 v10, 1, v10
	v_lshlrev_b32_e32 v9, 8, v9
	s_add_u32 s0, s6, s20
	ds_write2st64_b64 v10, v[2:3], v[4:5] offset0:32 offset1:48
	v_or_b32_e32 v10, v7, v9
	s_addc_u32 s1, s7, s21
	ds_write_b64 v10, v[2:3]
	v_or_b32_e32 v2, v8, v9
	v_or_b32_e32 v9, 48, v88
	s_mul_hi_i32 s6, s3, s13
	s_mul_i32 s3, s3, s13
	ds_write_b64 v2, v[4:5]
	v_perm_b32 v3, v55, v54, s2
	v_perm_b32 v2, v51, v50, s2
	;; [unrolled: 1-line block ×4, first 2 shown]
	v_lshlrev_b32_e32 v19, 2, v9
	s_add_u32 s2, s3, s47
	v_or_b32_e32 v6, v6, v19
	s_addc_u32 s3, s6, s48
	v_lshlrev_b32_e32 v6, 1, v6
	s_ashr_i32 s39, s38, 31
	s_lshl_b64 s[2:3], s[2:3], 15
	ds_write2st64_b64 v6, v[2:3], v[4:5] offset0:32 offset1:48
	v_lshlrev_b32_e32 v6, 8, v9
	s_add_u32 s6, s18, s2
	v_or_b32_e32 v7, v7, v6
	s_addc_u32 s7, s19, s3
	s_lshl_b64 s[2:3], s[38:39], 8
	ds_write_b64 v7, v[2:3]
	v_or_b32_e32 v2, v8, v6
	s_add_u32 s2, s6, s2
	v_lshlrev_b32_e32 v3, 1, v88
	ds_write_b64 v2, v[4:5]
	v_lshrrev_b32_e32 v2, 4, v0
	s_addc_u32 s3, s7, s3
	v_or_b32_e32 v4, 1, v3
	v_lshlrev_b32_e32 v10, 4, v88
	v_mov_b32_e32 v11, 0
	v_xor_b32_e32 v3, v2, v3
	v_xor_b32_e32 v6, v4, v2
	v_lshl_add_u64 v[12:13], s[2:3], 0, v[10:11]
	v_lshlrev_b32_e32 v10, 8, v2
	v_lshl_or_b32 v16, v3, 3, v10
	v_lshl_or_b32 v17, v6, 3, v10
	s_waitcnt lgkmcnt(0)
	s_barrier
	ds_read2st64_b64 v[2:5], v16 offset1:8
	ds_read2st64_b64 v[6:9], v17 offset1:8
	v_lshl_add_u64 v[14:15], v[12:13], 0, v[10:11]
	s_movk_i32 s2, 0x2000
	s_cmp_lg_u32 s27, 64
	s_waitcnt lgkmcnt(1)
	v_mov_b32_e32 v10, v2
	v_mov_b32_e32 v11, v3
	s_waitcnt lgkmcnt(0)
	v_mov_b32_e32 v12, v6
	v_mov_b32_e32 v13, v7
	global_store_dwordx4 v[14:15], v[10:13], off
	v_mov_b32_e32 v6, v4
	v_mov_b32_e32 v7, v5
	ds_read2st64_b64 v[2:5], v16 offset0:16 offset1:24
	ds_read2st64_b64 v[10:13], v17 offset0:16 offset1:24
	v_add_co_u32_e32 v16, vcc, s2, v14
	s_cselect_b64 s[6:7], -1, 0
	s_nop 0
	v_addc_co_u32_e32 v17, vcc, 0, v15, vcc
	global_store_dwordx4 v[16:17], v[6:9], off offset:-4096
	v_lshl_or_b32 v25, v86, 3, v90
	s_mov_b32 s16, 0
	s_waitcnt lgkmcnt(1)
	v_mov_b32_e32 v6, v2
	v_add_co_u32_e32 v2, vcc, 0x3000, v14
	v_mov_b32_e32 v7, v3
	s_nop 0
	v_addc_co_u32_e32 v3, vcc, 0, v15, vcc
	s_waitcnt lgkmcnt(0)
	v_mov_b32_e32 v8, v10
	v_mov_b32_e32 v9, v11
	;; [unrolled: 1-line block ×4, first 2 shown]
	v_or_b32_e32 v20, 32, v25
	v_and_b32_e32 v18, 56, v89
	s_and_b64 vcc, exec, s[6:7]
	global_store_dwordx4 v[16:17], v[6:9], off
	global_store_dwordx4 v[2:3], v[10:13], off
	s_cbranch_vccz .LBB20_29
; %bb.24:
	s_mov_b32 s17, s16
	s_mov_b32 s18, s16
	;; [unrolled: 1-line block ×3, first 2 shown]
	v_mov_b64_e32 v[6:7], s[16:17]
	v_mov_b64_e32 v[8:9], s[18:19]
	;; [unrolled: 1-line block ×3, first 2 shown]
	v_cmp_gt_i32_e32 vcc, s27, v25
	v_mov_b64_e32 v[4:5], v[8:9]
	s_and_saveexec_b64 s[2:3], vcc
	s_cbranch_execz .LBB20_26
; %bb.25:
	v_lshlrev_b32_e32 v2, 8, v25
	v_mov_b32_e32 v3, 0
	v_lshl_add_u64 v[4:5], s[0:1], 0, v[2:3]
	v_lshlrev_b32_e32 v2, 1, v18
	v_lshl_add_u64 v[10:11], v[4:5], 0, v[2:3]
	global_load_dwordx4 v[6:9], v[10:11], off
	global_load_dwordx4 v[2:5], v[10:11], off offset:128
.LBB20_26:
	s_or_b64 exec, exec, s[2:3]
	s_mov_b32 s17, s16
	s_mov_b32 s18, s16
	;; [unrolled: 1-line block ×3, first 2 shown]
	v_mov_b64_e32 v[14:15], s[16:17]
	v_mov_b64_e32 v[16:17], s[18:19]
	v_mov_b64_e32 v[10:11], v[14:15]
	v_cmp_gt_i32_e32 vcc, s27, v20
	v_lshlrev_b32_e32 v21, 7, v20
	v_mov_b64_e32 v[12:13], v[16:17]
	s_and_saveexec_b64 s[2:3], vcc
	s_cbranch_execz .LBB20_28
; %bb.27:
	v_lshlrev_b32_e32 v10, 1, v21
	v_mov_b32_e32 v11, 0
	v_lshl_add_u64 v[12:13], s[0:1], 0, v[10:11]
	v_lshlrev_b32_e32 v10, 1, v18
	v_lshl_add_u64 v[26:27], v[12:13], 0, v[10:11]
	global_load_dwordx4 v[14:17], v[26:27], off
	global_load_dwordx4 v[10:13], v[26:27], off offset:128
.LBB20_28:
	s_or_b64 exec, exec, s[2:3]
	v_lshrrev_b32_e32 v26, 3, v18
	v_lshlrev_b32_e32 v27, 3, v25
	v_or_b32_e32 v26, v27, v26
	v_lshlrev_b32_e32 v26, 4, v26
	v_and_b32_e32 v27, 0x78, v27
	v_xor_b32_e32 v26, v26, v27
	s_branch .LBB20_31
.LBB20_29:
                                        ; implicit-def: $vgpr26
                                        ; implicit-def: $vgpr21
                                        ; implicit-def: $vgpr6_vgpr7_vgpr8_vgpr9
                                        ; implicit-def: $vgpr2_vgpr3_vgpr4_vgpr5
                                        ; implicit-def: $vgpr14_vgpr15_vgpr16_vgpr17
                                        ; implicit-def: $vgpr10_vgpr11_vgpr12_vgpr13
	s_cbranch_execz .LBB20_31
; %bb.30:
	s_waitcnt vmcnt(0)
	v_lshlrev_b32_e32 v2, 1, v18
	v_lshl_or_b32 v21, v25, 8, v2
	s_and_b32 s1, s1, 0xffff
	s_mov_b32 s3, 0x20000
	s_movk_i32 s2, 0x4000
	v_lshl_or_b32 v26, v20, 8, v2
	s_movk_i32 s12, 0x80
	buffer_load_dwordx4 v[6:9], v21, s[0:3], 0 offen
	buffer_load_dwordx4 v[2:5], v21, s[0:3], s12 offen
	;; [unrolled: 1-line block ×4, first 2 shown]
	v_lshrrev_b32_e32 v21, 3, v18
	v_lshlrev_b32_e32 v26, 3, v25
	v_or_b32_e32 v21, v26, v21
	v_lshlrev_b32_e32 v21, 4, v21
	v_and_b32_e32 v26, 0x78, v26
	v_xor_b32_e32 v26, v21, v26
	v_lshlrev_b32_e32 v21, 7, v20
.LBB20_31:
	s_movk_i32 s0, 0x1000
	v_and_or_b32 v20, v21, s0, v26
	s_waitcnt vmcnt(1)
	ds_write_b64 v26, v[6:7] offset:49152
	v_xor_b32_e32 v6, 8, v26
	ds_write_b64 v6, v[8:9] offset:49152
	s_waitcnt vmcnt(0)
	ds_write_b64 v26, v[2:3] offset:57344
	ds_write_b64 v6, v[4:5] offset:57344
	;; [unrolled: 1-line block ×3, first 2 shown]
	v_xor_b32_e32 v2, 8, v20
	ds_write_b64 v2, v[16:17] offset:49152
	ds_write_b64 v20, v[10:11] offset:57344
	ds_write_b64 v2, v[12:13] offset:57344
	v_or_b32_e32 v2, v1, v88
	v_lshlrev_b32_e32 v3, 11, v86
	v_lshlrev_b32_e32 v2, 3, v2
	v_and_b32_e32 v6, 0x1000, v3
	v_lshrrev_b32_e32 v3, 5, v45
	s_movk_i32 s0, 0xf8
	v_and_or_b32 v3, v2, s0, v3
	v_lshlrev_b32_e32 v7, 4, v3
	v_and_b32_e32 v8, 0x78, v2
	v_or_b32_e32 v10, 32, v7
	v_lshrrev_b32_e32 v3, 1, v45
	v_xor_b32_e32 v10, v10, v8
	v_xor_b32_e32 v2, v7, v8
	v_and_b32_e32 v9, 8, v3
	v_or_b32_e32 v10, v10, v6
	v_or_b32_e32 v2, v2, v6
	v_xor_b32_e32 v28, v10, v9
	v_or_b32_e32 v10, 64, v7
	v_xor_b32_e32 v27, v2, v9
	v_xor_b32_e32 v10, v10, v8
	s_waitcnt lgkmcnt(0)
	s_barrier
	v_or_b32_e32 v13, v10, v6
	ds_read_b64 v[10:11], v27 offset:49152
	v_lshl_or_b32 v14, v87, 8, v24
	v_lshlrev_b32_e32 v26, 1, v14
	v_add_u32_e32 v12, 0x4000, v26
	ds_read2_b64 v[2:5], v12 offset1:16
	v_or_b32_e32 v7, 0x60, v7
	v_xor_b32_e32 v7, v7, v8
	v_or_b32_e32 v6, v7, v6
	v_xor_b32_e32 v29, v13, v9
	v_xor_b32_e32 v30, v6, v9
	ds_read_b64 v[20:21], v28 offset:49152
	ds_read_b64 v[34:35], v29 offset:49152
	;; [unrolled: 1-line block ×3, first 2 shown]
	s_waitcnt lgkmcnt(3)
	v_mfma_f32_16x16x16_bf16 a[0:3], v[10:11], v[2:3], 0
	ds_read2st64_b64 v[6:9], v26 offset0:36 offset1:40
	s_lshl_b64 s[0:1], s[24:25], 8
	s_add_u32 s4, s4, s0
	v_mfma_f32_16x16x16_bf16 a[4:7], v[10:11], v[4:5], 0
	ds_read2_b64 v[2:5], v12 offset0:32 offset1:48
	s_addc_u32 s5, s5, s1
	s_add_i32 s1, s43, s33
	s_waitcnt lgkmcnt(0)
	v_mfma_f32_16x16x16_bf16 a[8:11], v[10:11], v[2:3], 0
	v_or_b32_e32 v2, 64, v14
	v_lshlrev_b32_e32 v31, 1, v2
	s_add_i32 s0, s31, -1
	v_mfma_f32_16x16x16_bf16 a[12:15], v[10:11], v[4:5], 0
	ds_read2st64_b64 v[2:5], v31 offset0:36 offset1:40
	s_add_i32 s37, s1, s42
	s_add_i32 s1, s45, s44
	v_mfma_f32_16x16x16_bf16 a[0:3], v[20:21], v[6:7], a[0:3]
	v_or_b32_e32 v6, 0x80, v14
	v_lshlrev_b32_e32 v32, 1, v6
	ds_read2st64_b64 v[10:13], v32 offset0:36 offset1:40
	s_waitcnt lgkmcnt(1)
	v_mfma_f32_16x16x16_bf16 a[4:7], v[20:21], v[2:3], a[4:7]
	v_or_b32_e32 v2, 0xc0, v14
	v_lshlrev_b32_e32 v33, 1, v2
	ds_read2st64_b64 v[14:17], v33 offset0:36 offset1:40
	s_add_i32 s35, s1, s46
	s_ashr_i32 s1, s0, 31
	s_mul_i32 s2, s0, s29
	s_mul_hi_u32 s3, s0, s28
	s_add_i32 s2, s3, s2
	s_mul_i32 s1, s1, s28
	s_waitcnt lgkmcnt(1)
	v_mfma_f32_16x16x16_bf16 a[8:11], v[20:21], v[10:11], a[8:11]
	s_add_i32 s1, s2, s1
	s_lshl_b64 s[2:3], s[36:37], 2
	s_add_u32 s10, s10, s2
	s_waitcnt lgkmcnt(0)
	v_mfma_f32_16x16x16_bf16 a[12:15], v[20:21], v[14:15], a[12:15]
	s_addc_u32 s11, s11, s3
	s_lshl_b64 s[2:3], s[34:35], 2
	s_mul_i32 s0, s0, s28
	v_mfma_f32_16x16x16_bf16 a[0:3], v[34:35], v[8:9], a[0:3]
	ds_read_b64 v[2:3], v26 offset:22528
	s_add_u32 s10, s10, s2
	s_addc_u32 s11, s11, s3
	v_mfma_f32_16x16x16_bf16 a[4:7], v[34:35], v[4:5], a[4:7]
	ds_read_b64 v[4:5], v31 offset:22528
	ds_read_b64 v[6:7], v32 offset:22528
	ds_read_b64 v[8:9], v33 offset:22528
	s_lshl_b64 s[0:1], s[0:1], 2
	s_add_u32 s0, s10, s0
	v_mfma_f32_16x16x16_bf16 a[8:11], v[34:35], v[12:13], a[8:11]
	s_addc_u32 s1, s11, s1
	s_load_dword s12, s[0:1], 0x0
	s_and_b64 vcc, exec, s[22:23]
	v_mfma_f32_16x16x16_bf16 a[12:15], v[34:35], v[16:17], a[12:15]
	s_waitcnt lgkmcnt(0)
	v_mfma_f32_16x16x16_bf16 a[0:3], v[36:37], v[2:3], a[0:3]
	v_mfma_f32_16x16x16_bf16 a[4:7], v[36:37], v[4:5], a[4:7]
	;; [unrolled: 1-line block ×4, first 2 shown]
	s_cbranch_vccz .LBB20_42
; %bb.32:
	v_lshlrev_b32_e32 v20, 1, v25
	s_and_b64 vcc, exec, s[6:7]
	s_cbranch_vccz .LBB20_43
; %bb.33:
	v_cmp_gt_i32_e32 vcc, s27, v20
	v_mov_b32_e32 v6, 0
	v_mov_b32_e32 v2, 0
	;; [unrolled: 1-line block ×5, first 2 shown]
	s_and_saveexec_b64 s[0:1], vcc
	s_cbranch_execz .LBB20_35
; %bb.34:
	v_mad_i64_i32 v[2:3], s[2:3], s15, v20, 0
	v_lshl_add_u64 v[2:3], v[2:3], 1, s[4:5]
	v_lshlrev_b32_e32 v4, 1, v18
	v_mov_b32_e32 v5, 0
	v_lshl_add_u64 v[2:3], v[2:3], 0, v[4:5]
	global_load_dwordx4 v[2:5], v[2:3], off
.LBB20_35:
	s_or_b64 exec, exec, s[0:1]
	v_or_b32_e32 v21, 1, v20
	v_cmp_gt_i32_e64 s[0:1], s27, v21
	v_mov_b32_e32 v7, 0
	v_mov_b32_e32 v8, 0
	v_mov_b32_e32 v9, 0
	s_and_saveexec_b64 s[2:3], s[0:1]
	s_cbranch_execz .LBB20_37
; %bb.36:
	v_mad_i64_i32 v[6:7], s[16:17], s15, v21, 0
	v_lshl_add_u64 v[6:7], v[6:7], 1, s[4:5]
	v_lshlrev_b32_e32 v8, 1, v18
	v_mov_b32_e32 v9, 0
	v_lshl_add_u64 v[6:7], v[6:7], 0, v[8:9]
	global_load_dwordx4 v[6:9], v[6:7], off
.LBB20_37:
	s_or_b64 exec, exec, s[2:3]
	v_mov_b32_e32 v17, 0
	v_mov_b32_e32 v10, 0
	;; [unrolled: 1-line block ×5, first 2 shown]
	s_and_saveexec_b64 s[2:3], vcc
	s_cbranch_execz .LBB20_39
; %bb.38:
	v_mad_i64_i32 v[10:11], s[16:17], s15, v20, 0
	v_lshl_add_u64 v[10:11], v[10:11], 1, s[4:5]
	v_lshlrev_b32_e32 v12, 1, v18
	v_mov_b32_e32 v13, 0
	v_lshl_add_u64 v[10:11], v[10:11], 0, v[12:13]
	global_load_dwordx4 v[10:13], v[10:11], off offset:128
.LBB20_39:
	s_or_b64 exec, exec, s[2:3]
	v_mov_b32_e32 v16, 0
	v_mov_b32_e32 v15, 0
	;; [unrolled: 1-line block ×3, first 2 shown]
	s_and_saveexec_b64 s[2:3], s[0:1]
	s_cbranch_execz .LBB20_41
; %bb.40:
	v_mad_i64_i32 v[14:15], s[0:1], s15, v21, 0
	v_lshl_add_u64 v[14:15], v[14:15], 1, s[4:5]
	v_lshlrev_b32_e32 v16, 1, v18
	v_mov_b32_e32 v17, 0
	v_lshl_add_u64 v[14:15], v[14:15], 0, v[16:17]
	global_load_dwordx4 v[14:17], v[14:15], off offset:128
.LBB20_41:
	s_or_b64 exec, exec, s[2:3]
	s_branch .LBB20_45
.LBB20_42:
                                        ; implicit-def: $vgpr5
                                        ; implicit-def: $vgpr9
                                        ; implicit-def: $vgpr13
                                        ; implicit-def: $vgpr17
	v_lshrrev_b32_e32 v34, 2, v45
	s_branch .LBB20_46
.LBB20_43:
                                        ; implicit-def: $vgpr5
                                        ; implicit-def: $vgpr9
                                        ; implicit-def: $vgpr13
                                        ; implicit-def: $vgpr17
	s_cbranch_execz .LBB20_45
; %bb.44:
	s_waitcnt vmcnt(0)
	v_mad_u64_u32 v[2:3], s[0:1], v20, s15, v[18:19]
	v_lshlrev_b32_e32 v20, 1, v2
	s_lshl_b32 s2, s15, 7
	s_and_b32 s1, s5, 0xffff
	s_mov_b32 s3, 0x20000
	s_mov_b32 s0, s4
	v_add_lshl_u32 v21, v2, s15, 1
	s_movk_i32 s13, 0x80
	buffer_load_dwordx4 v[2:5], v20, s[0:3], 0 offen
	buffer_load_dwordx4 v[10:13], v20, s[0:3], s13 offen
	;; [unrolled: 1-line block ×4, first 2 shown]
.LBB20_45:
	v_lshrrev_b32_e32 v34, 2, v45
	s_cbranch_execnz .LBB20_58
.LBB20_46:
	s_and_b64 vcc, exec, s[6:7]
	s_cbranch_vccz .LBB20_56
; %bb.47:
	s_waitcnt vmcnt(0)
	v_lshlrev_b32_e32 v7, 1, v25
	v_cmp_gt_i32_e32 vcc, s27, v7
	v_mov_b32_e32 v6, 0
	v_lshlrev_b32_e32 v14, 9, v25
	v_mov_b32_e32 v2, 0
	v_mov_b32_e32 v3, 0
	;; [unrolled: 1-line block ×4, first 2 shown]
	s_and_saveexec_b64 s[0:1], vcc
	s_cbranch_execz .LBB20_49
; %bb.48:
	v_mov_b32_e32 v15, 0
	v_lshl_add_u64 v[2:3], s[4:5], 0, v[14:15]
	v_lshlrev_b32_e32 v4, 1, v18
	v_mov_b32_e32 v5, v15
	v_lshl_add_u64 v[2:3], v[2:3], 0, v[4:5]
	global_load_dwordx4 v[2:5], v[2:3], off
.LBB20_49:
	s_or_b64 exec, exec, s[0:1]
	v_or_b32_e32 v7, 1, v7
	v_cmp_gt_i32_e64 s[0:1], s27, v7
	v_lshlrev_b32_e32 v20, 8, v7
	v_mov_b32_e32 v7, 0
	v_mov_b32_e32 v8, 0
	;; [unrolled: 1-line block ×3, first 2 shown]
	s_and_saveexec_b64 s[2:3], s[0:1]
	s_cbranch_execz .LBB20_51
; %bb.50:
	v_mov_b32_e32 v21, 0
	v_lshl_add_u64 v[6:7], s[4:5], 0, v[20:21]
	v_lshlrev_b32_e32 v8, 1, v18
	v_mov_b32_e32 v9, v21
	v_lshl_add_u64 v[6:7], v[6:7], 0, v[8:9]
	global_load_dwordx4 v[6:9], v[6:7], off
.LBB20_51:
	s_or_b64 exec, exec, s[2:3]
	v_mov_b32_e32 v17, 0
	v_mov_b32_e32 v10, 0
	;; [unrolled: 1-line block ×5, first 2 shown]
	s_and_saveexec_b64 s[2:3], vcc
	s_cbranch_execz .LBB20_53
; %bb.52:
	v_mov_b32_e32 v15, 0
	v_lshl_add_u64 v[10:11], s[4:5], 0, v[14:15]
	v_lshlrev_b32_e32 v14, 1, v18
	v_lshl_add_u64 v[10:11], v[10:11], 0, v[14:15]
	global_load_dwordx4 v[10:13], v[10:11], off offset:128
.LBB20_53:
	s_or_b64 exec, exec, s[2:3]
	v_mov_b32_e32 v16, 0
	v_mov_b32_e32 v15, 0
	;; [unrolled: 1-line block ×3, first 2 shown]
	s_and_saveexec_b64 s[2:3], s[0:1]
	s_cbranch_execz .LBB20_55
; %bb.54:
	v_mov_b32_e32 v21, 0
	v_lshl_add_u64 v[14:15], s[4:5], 0, v[20:21]
	v_lshlrev_b32_e32 v20, 1, v18
	v_lshl_add_u64 v[14:15], v[14:15], 0, v[20:21]
	global_load_dwordx4 v[14:17], v[14:15], off offset:128
.LBB20_55:
	s_or_b64 exec, exec, s[2:3]
	s_branch .LBB20_58
.LBB20_56:
                                        ; implicit-def: $vgpr5
                                        ; implicit-def: $vgpr9
                                        ; implicit-def: $vgpr13
                                        ; implicit-def: $vgpr17
	s_cbranch_execz .LBB20_58
; %bb.57:
	s_waitcnt vmcnt(0)
	v_lshlrev_b32_e32 v2, 1, v18
	v_lshl_or_b32 v18, v25, 9, v2
	s_and_b32 s5, s5, 0xffff
	s_mov_b32 s7, 0x20000
	s_movk_i32 s6, 0x4000
	s_movk_i32 s0, 0x80
	buffer_load_dwordx4 v[2:5], v18, s[4:7], 0 offen
	buffer_load_dwordx4 v[6:9], v18, s[4:7], 0 offen offset:256
	buffer_load_dwordx4 v[10:13], v18, s[4:7], s0 offen
	buffer_load_dwordx4 v[14:17], v18, s[4:7], s0 offen offset:256
.LBB20_58:
	ds_read_b64 v[20:21], v27 offset:57344
	v_add_u32_e32 v18, 0x6000, v26
	ds_read2_b64 v[36:39], v18 offset1:16
	ds_read_b64 v[44:45], v28 offset:57344
	ds_read_b64 v[28:29], v29 offset:57344
	;; [unrolled: 1-line block ×3, first 2 shown]
	ds_read2st64_b64 v[40:43], v26 offset0:52 offset1:56
	s_mov_b32 s0, 0x1000504
	s_mov_b32 s1, 0x3020706
	s_waitcnt lgkmcnt(4)
	v_mfma_f32_16x16x16_bf16 a[0:3], v[20:21], v[36:37], a[0:3]
	v_mfma_f32_16x16x16_bf16 a[4:7], v[20:21], v[38:39], a[4:7]
	ds_read2_b64 v[36:39], v18 offset0:32 offset1:48
	v_and_b32_e32 v18, 6, v0
	v_xor_b32_e32 v25, v25, v18
	s_waitcnt lgkmcnt(0)
	v_mfma_f32_16x16x16_bf16 a[8:11], v[20:21], v[36:37], a[8:11]
	v_lshlrev_b32_e32 v25, 2, v25
	v_and_b32_e32 v0, 1, v0
	v_xor_b32_e32 v35, 0x440, v25
	v_mfma_f32_16x16x16_bf16 a[12:15], v[20:21], v[38:39], a[12:15]
	ds_read2st64_b64 v[36:39], v31 offset0:52 offset1:56
	ds_read2st64_b64 v[48:51], v32 offset0:52 offset1:56
	;; [unrolled: 1-line block ×3, first 2 shown]
	v_cmp_eq_u32_e32 vcc, 0, v0
	ds_read_b64 v[20:21], v26 offset:30720
	ds_read_b64 v[26:27], v31 offset:30720
	;; [unrolled: 1-line block ×4, first 2 shown]
	v_mfma_f32_16x16x16_bf16 a[0:3], v[44:45], v[40:41], a[0:3]
	v_cndmask_b32_e32 v0, v35, v25, vcc
	v_lshl_or_b32 v0, v18, 10, v0
	s_waitcnt vmcnt(0)
	v_perm_b32 v18, v2, v6, s0
	s_waitcnt lgkmcnt(6)
	v_mfma_f32_16x16x16_bf16 a[4:7], v[44:45], v[36:37], a[4:7]
	v_perm_b32 v25, v10, v14, s0
	ds_write2st64_b32 v0, v18, v25 offset0:128 offset1:160
	v_xor_b32_e32 v18, 8, v0
	s_waitcnt lgkmcnt(6)
	v_mfma_f32_16x16x16_bf16 a[8:11], v[44:45], v[48:49], a[8:11]
	v_perm_b32 v2, v2, v6, s1
	v_perm_b32 v6, v10, v14, s1
	v_add_u32_e32 v10, 0x80, v18
	s_waitcnt lgkmcnt(5)
	v_mfma_f32_16x16x16_bf16 a[12:15], v[44:45], v[52:53], a[12:15]
	ds_write2st64_b32 v10, v2, v6 offset0:128 offset1:160
	v_xor_b32_e32 v2, 16, v0
	v_perm_b32 v6, v3, v7, s0
	v_mfma_f32_16x16x16_bf16 a[0:3], v[28:29], v[42:43], a[0:3]
	v_perm_b32 v10, v11, v15, s0
	ds_write2st64_b32 v2, v6, v10 offset0:129 offset1:161
	v_xor_b32_e32 v2, 24, v0
	v_mfma_f32_16x16x16_bf16 a[4:7], v[28:29], v[38:39], a[4:7]
	v_perm_b32 v3, v3, v7, s1
	v_perm_b32 v6, v11, v15, s1
	v_add_u32_e32 v2, 0x80, v2
	v_mfma_f32_16x16x16_bf16 a[16:19], v[28:29], v[50:51], a[8:11]
	ds_write2st64_b32 v2, v3, v6 offset0:129 offset1:161
	v_xor_b32_e32 v2, 32, v0
	v_perm_b32 v3, v4, v8, s0
	v_mfma_f32_16x16x16_bf16 a[20:23], v[28:29], v[54:55], a[12:15]
	v_perm_b32 v6, v12, v16, s0
	ds_write2st64_b32 v2, v3, v6 offset0:130 offset1:162
	v_xor_b32_e32 v2, 40, v0
	s_waitcnt lgkmcnt(8)
	v_mfma_f32_16x16x16_bf16 a[12:15], v[56:57], v[20:21], a[0:3]
	v_perm_b32 v3, v4, v8, s1
	v_perm_b32 v4, v12, v16, s1
	v_add_u32_e32 v2, 0x80, v2
	s_waitcnt lgkmcnt(7)
	v_mfma_f32_16x16x16_bf16 a[8:11], v[56:57], v[26:27], a[4:7]
	ds_write2st64_b32 v2, v3, v4 offset0:130 offset1:162
	v_xor_b32_e32 v2, 48, v0
	v_perm_b32 v3, v5, v9, s0
	s_waitcnt lgkmcnt(7)
	v_mfma_f32_16x16x16_bf16 a[4:7], v[56:57], v[30:31], a[16:19]
	v_perm_b32 v4, v13, v17, s0
	v_xor_b32_e32 v0, 56, v0
	v_and_or_b32 v18, v34, 12, v1
	s_waitcnt lgkmcnt(6)
	v_mfma_f32_16x16x16_bf16 a[0:3], v[56:57], v[32:33], a[20:23]
	ds_write2st64_b32 v2, v3, v4 offset0:131 offset1:163
	v_perm_b32 v2, v5, v9, s1
	v_perm_b32 v3, v13, v17, s1
	v_add_u32_e32 v0, 0x80, v0
	v_cmp_gt_i32_e32 vcc, s27, v18
	v_mov_b32_e32 v14, 0
	v_mov_b32_e32 v16, 0
	ds_write2st64_b32 v0, v2, v3 offset0:131 offset1:163
	s_and_saveexec_b64 s[0:1], vcc
	s_cbranch_execz .LBB20_60
; %bb.59:
	v_add_u32_e32 v0, s26, v18
	v_ashrrev_i32_e32 v1, 31, v0
	v_mul_lo_u32 v2, v1, s28
	v_mul_lo_u32 v3, v0, s29
	v_mad_u64_u32 v[0:1], s[2:3], v0, s28, 0
	v_add3_u32 v1, v1, v3, v2
	v_lshl_add_u64 v[0:1], v[0:1], 2, s[10:11]
	global_load_dword v0, v[0:1], off
	s_waitcnt vmcnt(0)
	v_sub_f32_e32 v0, s12, v0
	v_exp_f32_e32 v16, v0
.LBB20_60:
	s_or_b64 exec, exec, s[0:1]
	v_or_b32_e32 v8, 1, v18
	v_cmp_gt_i32_e64 s[0:1], s27, v8
	s_and_saveexec_b64 s[2:3], s[0:1]
	s_cbranch_execz .LBB20_62
; %bb.61:
	v_add_u32_e32 v0, s26, v8
	v_ashrrev_i32_e32 v1, 31, v0
	v_mul_lo_u32 v2, v1, s28
	v_mul_lo_u32 v3, v0, s29
	v_mad_u64_u32 v[0:1], s[4:5], v0, s28, 0
	v_add3_u32 v1, v1, v3, v2
	v_lshl_add_u64 v[0:1], v[0:1], 2, s[10:11]
	global_load_dword v0, v[0:1], off
	s_waitcnt vmcnt(0)
	v_sub_f32_e32 v0, s12, v0
	v_exp_f32_e32 v14, v0
.LBB20_62:
	s_or_b64 exec, exec, s[2:3]
	v_or_b32_e32 v10, 2, v18
	v_cmp_gt_i32_e64 s[2:3], s27, v10
	v_mov_b32_e32 v15, 0
	v_mov_b32_e32 v17, 0
	s_and_saveexec_b64 s[4:5], s[2:3]
	s_cbranch_execz .LBB20_64
; %bb.63:
	v_add_u32_e32 v0, s26, v10
	v_ashrrev_i32_e32 v1, 31, v0
	v_mul_lo_u32 v2, v1, s28
	v_mul_lo_u32 v3, v0, s29
	v_mad_u64_u32 v[0:1], s[6:7], v0, s28, 0
	v_add3_u32 v1, v1, v3, v2
	v_lshl_add_u64 v[0:1], v[0:1], 2, s[10:11]
	global_load_dword v0, v[0:1], off
	s_waitcnt vmcnt(0)
	v_sub_f32_e32 v0, s12, v0
	v_exp_f32_e32 v17, v0
.LBB20_64:
	s_or_b64 exec, exec, s[4:5]
	v_or_b32_e32 v12, 3, v18
	v_cmp_gt_i32_e64 s[4:5], s27, v12
	s_and_saveexec_b64 s[6:7], s[4:5]
	s_cbranch_execz .LBB20_66
; %bb.65:
	v_add_u32_e32 v0, s26, v12
	v_ashrrev_i32_e32 v1, 31, v0
	v_mul_lo_u32 v2, v1, s28
	v_mul_lo_u32 v3, v0, s29
	v_mad_u64_u32 v[0:1], s[14:15], v0, s28, 0
	v_add3_u32 v1, v1, v3, v2
	v_lshl_add_u64 v[0:1], v[0:1], 2, s[10:11]
	global_load_dword v0, v[0:1], off
	s_waitcnt vmcnt(0)
	v_sub_f32_e32 v0, s12, v0
	v_exp_f32_e32 v15, v0
.LBB20_66:
	s_or_b64 exec, exec, s[6:7]
	s_add_u32 s6, s8, s20
	v_accvgpr_read_b32 v0, a12
	s_addc_u32 s7, s9, s21
	v_ashrrev_i32_e32 v47, 31, v46
	v_accvgpr_read_b32 v1, a13
	v_accvgpr_read_b32 v2, a14
	;; [unrolled: 1-line block ×3, first 2 shown]
	v_lshl_add_u64 v[4:5], v[46:47], 1, s[6:7]
	v_mov_b32_e32 v9, 0
	v_lshlrev_b32_e32 v6, 8, v18
	v_mov_b32_e32 v7, 0
	s_and_saveexec_b64 s[6:7], vcc
	s_cbranch_execz .LBB20_68
; %bb.67:
	v_mov_b32_e32 v7, 0
	v_lshl_add_u64 v[20:21], v[4:5], 0, v[6:7]
	global_load_ushort v7, v[20:21], off
	s_waitcnt vmcnt(0)
	v_lshlrev_b32_e32 v7, 16, v7
	v_sub_f32_e32 v0, v7, v0
	v_mul_f32_e32 v0, v16, v0
	v_lshrrev_b32_e32 v7, 16, v0
.LBB20_68:
	s_or_b64 exec, exec, s[6:7]
	v_lshlrev_b32_e32 v8, 8, v8
	s_and_saveexec_b64 s[6:7], s[0:1]
	s_cbranch_execz .LBB20_70
; %bb.69:
	v_mov_b32_e32 v9, 0
	v_lshl_add_u64 v[20:21], v[4:5], 0, v[8:9]
	global_load_ushort v0, v[20:21], off
	s_waitcnt vmcnt(0)
	v_lshlrev_b32_e32 v0, 16, v0
	v_sub_f32_e32 v0, v0, v1
	v_mul_f32_e32 v0, v14, v0
	v_lshrrev_b32_e32 v9, 16, v0
.LBB20_70:
	s_or_b64 exec, exec, s[6:7]
	v_mov_b32_e32 v13, 0
	v_lshlrev_b32_e32 v10, 8, v10
	v_mov_b32_e32 v11, 0
	s_and_saveexec_b64 s[6:7], s[2:3]
	s_cbranch_execz .LBB20_72
; %bb.71:
	v_mov_b32_e32 v11, 0
	v_lshl_add_u64 v[0:1], v[4:5], 0, v[10:11]
	global_load_ushort v0, v[0:1], off
	s_waitcnt vmcnt(0)
	v_lshlrev_b32_e32 v0, 16, v0
	v_sub_f32_e32 v0, v0, v2
	v_mul_f32_e32 v0, v17, v0
	v_lshrrev_b32_e32 v11, 16, v0
.LBB20_72:
	s_or_b64 exec, exec, s[6:7]
	v_lshlrev_b32_e32 v12, 8, v12
	s_and_saveexec_b64 s[6:7], s[4:5]
	s_cbranch_execz .LBB20_74
; %bb.73:
	v_mov_b32_e32 v13, 0
	v_lshl_add_u64 v[0:1], v[4:5], 0, v[12:13]
	global_load_ushort v0, v[0:1], off
	s_waitcnt vmcnt(0)
	v_lshlrev_b32_e32 v0, 16, v0
	v_sub_f32_e32 v0, v0, v3
	v_mul_f32_e32 v0, v15, v0
	v_lshrrev_b32_e32 v13, 16, v0
.LBB20_74:
	s_or_b64 exec, exec, s[6:7]
	v_lshlrev_b32_e32 v18, 6, v18
	s_mov_b32 s6, 0x5040100
	v_perm_b32 v20, v9, v7, s6
	v_or_b32_e32 v7, v18, v24
	v_accvgpr_read_b32 v0, a8
	v_perm_b32 v21, v13, v11, s6
	v_lshlrev_b32_e32 v7, 1, v7
	v_accvgpr_read_b32 v1, a9
	v_accvgpr_read_b32 v2, a10
	;; [unrolled: 1-line block ×3, first 2 shown]
	ds_write_b64 v7, v[20:21] offset:24576
	v_mov_b32_e32 v9, 0
	v_mov_b32_e32 v7, 0
	s_and_saveexec_b64 s[6:7], vcc
	s_cbranch_execz .LBB20_76
; %bb.75:
	v_mov_b32_e32 v7, 0
	v_lshl_add_u64 v[20:21], v[4:5], 0, v[6:7]
	global_load_ushort v7, v[20:21], off offset:32
	s_waitcnt vmcnt(0)
	v_lshlrev_b32_e32 v7, 16, v7
	v_sub_f32_e32 v0, v7, v0
	v_mul_f32_e32 v0, v16, v0
	v_lshrrev_b32_e32 v7, 16, v0
.LBB20_76:
	s_or_b64 exec, exec, s[6:7]
	s_and_saveexec_b64 s[6:7], s[0:1]
	s_cbranch_execz .LBB20_78
; %bb.77:
	v_mov_b32_e32 v9, 0
	v_lshl_add_u64 v[20:21], v[4:5], 0, v[8:9]
	global_load_ushort v0, v[20:21], off offset:32
	s_waitcnt vmcnt(0)
	v_lshlrev_b32_e32 v0, 16, v0
	v_sub_f32_e32 v0, v0, v1
	v_mul_f32_e32 v0, v14, v0
	v_lshrrev_b32_e32 v9, 16, v0
.LBB20_78:
	s_or_b64 exec, exec, s[6:7]
	v_mov_b32_e32 v13, 0
	v_mov_b32_e32 v11, 0
	s_and_saveexec_b64 s[6:7], s[2:3]
	s_cbranch_execz .LBB20_80
; %bb.79:
	v_mov_b32_e32 v11, 0
	v_lshl_add_u64 v[0:1], v[4:5], 0, v[10:11]
	global_load_ushort v0, v[0:1], off offset:32
	s_waitcnt vmcnt(0)
	v_lshlrev_b32_e32 v0, 16, v0
	v_sub_f32_e32 v0, v0, v2
	v_mul_f32_e32 v0, v17, v0
	v_lshrrev_b32_e32 v11, 16, v0
.LBB20_80:
	s_or_b64 exec, exec, s[6:7]
	s_and_saveexec_b64 s[6:7], s[4:5]
	s_cbranch_execz .LBB20_82
; %bb.81:
	v_mov_b32_e32 v13, 0
	v_lshl_add_u64 v[0:1], v[4:5], 0, v[12:13]
	global_load_ushort v0, v[0:1], off offset:32
	s_waitcnt vmcnt(0)
	v_lshlrev_b32_e32 v0, 16, v0
	v_sub_f32_e32 v0, v0, v3
	v_mul_f32_e32 v0, v15, v0
	v_lshrrev_b32_e32 v13, 16, v0
.LBB20_82:
	s_or_b64 exec, exec, s[6:7]
	s_mov_b32 s6, 0x5040100
	v_perm_b32 v20, v9, v7, s6
	v_or_b32_e32 v7, v18, v23
	v_accvgpr_read_b32 v0, a4
	v_perm_b32 v21, v13, v11, s6
	v_lshlrev_b32_e32 v7, 1, v7
	v_accvgpr_read_b32 v1, a5
	v_accvgpr_read_b32 v2, a6
	;; [unrolled: 1-line block ×3, first 2 shown]
	ds_write_b64 v7, v[20:21] offset:24576
	v_mov_b32_e32 v9, 0
	v_mov_b32_e32 v7, 0
	s_and_saveexec_b64 s[6:7], vcc
	s_cbranch_execz .LBB20_84
; %bb.83:
	v_mov_b32_e32 v7, 0
	v_lshl_add_u64 v[20:21], v[4:5], 0, v[6:7]
	global_load_ushort v7, v[20:21], off offset:64
	s_waitcnt vmcnt(0)
	v_lshlrev_b32_e32 v7, 16, v7
	v_sub_f32_e32 v0, v7, v0
	v_mul_f32_e32 v0, v16, v0
	v_lshrrev_b32_e32 v7, 16, v0
.LBB20_84:
	s_or_b64 exec, exec, s[6:7]
	s_and_saveexec_b64 s[6:7], s[0:1]
	s_cbranch_execz .LBB20_86
; %bb.85:
	v_mov_b32_e32 v9, 0
	v_lshl_add_u64 v[20:21], v[4:5], 0, v[8:9]
	global_load_ushort v0, v[20:21], off offset:64
	s_waitcnt vmcnt(0)
	v_lshlrev_b32_e32 v0, 16, v0
	v_sub_f32_e32 v0, v0, v1
	v_mul_f32_e32 v0, v14, v0
	v_lshrrev_b32_e32 v9, 16, v0
.LBB20_86:
	s_or_b64 exec, exec, s[6:7]
	v_mov_b32_e32 v13, 0
	v_mov_b32_e32 v11, 0
	s_and_saveexec_b64 s[6:7], s[2:3]
	s_cbranch_execz .LBB20_88
; %bb.87:
	v_mov_b32_e32 v11, 0
	v_lshl_add_u64 v[0:1], v[4:5], 0, v[10:11]
	global_load_ushort v0, v[0:1], off offset:64
	s_waitcnt vmcnt(0)
	v_lshlrev_b32_e32 v0, 16, v0
	v_sub_f32_e32 v0, v0, v2
	v_mul_f32_e32 v0, v17, v0
	v_lshrrev_b32_e32 v11, 16, v0
.LBB20_88:
	s_or_b64 exec, exec, s[6:7]
	s_and_saveexec_b64 s[6:7], s[4:5]
	s_cbranch_execz .LBB20_90
; %bb.89:
	v_mov_b32_e32 v13, 0
	v_lshl_add_u64 v[0:1], v[4:5], 0, v[12:13]
	global_load_ushort v0, v[0:1], off offset:64
	s_waitcnt vmcnt(0)
	v_lshlrev_b32_e32 v0, 16, v0
	v_sub_f32_e32 v0, v0, v3
	v_mul_f32_e32 v0, v15, v0
	v_lshrrev_b32_e32 v13, 16, v0
.LBB20_90:
	s_or_b64 exec, exec, s[6:7]
	s_mov_b32 s6, 0x5040100
	v_perm_b32 v20, v9, v7, s6
	v_or_b32_e32 v7, v18, v22
	v_accvgpr_read_b32 v0, a0
	v_perm_b32 v21, v13, v11, s6
	v_lshlrev_b32_e32 v7, 1, v7
	v_accvgpr_read_b32 v1, a1
	v_accvgpr_read_b32 v2, a2
	;; [unrolled: 1-line block ×3, first 2 shown]
	ds_write_b64 v7, v[20:21] offset:24576
	v_mov_b32_e32 v9, 0
	v_mov_b32_e32 v7, 0
	s_and_saveexec_b64 s[6:7], vcc
	s_cbranch_execz .LBB20_92
; %bb.91:
	v_mov_b32_e32 v7, 0
	v_lshl_add_u64 v[6:7], v[4:5], 0, v[6:7]
	global_load_ushort v6, v[6:7], off offset:96
	s_waitcnt vmcnt(0)
	v_lshlrev_b32_e32 v6, 16, v6
	v_sub_f32_e32 v0, v6, v0
	v_mul_f32_e32 v0, v16, v0
	v_lshrrev_b32_e32 v7, 16, v0
.LBB20_92:
	s_or_b64 exec, exec, s[6:7]
	s_and_saveexec_b64 s[6:7], s[0:1]
	s_cbranch_execz .LBB20_94
; %bb.93:
	v_mov_b32_e32 v9, 0
	v_lshl_add_u64 v[8:9], v[4:5], 0, v[8:9]
	global_load_ushort v0, v[8:9], off offset:96
	s_waitcnt vmcnt(0)
	v_lshlrev_b32_e32 v0, 16, v0
	v_sub_f32_e32 v0, v0, v1
	v_mul_f32_e32 v0, v14, v0
	v_lshrrev_b32_e32 v9, 16, v0
.LBB20_94:
	s_or_b64 exec, exec, s[6:7]
	v_mov_b32_e32 v0, 0
	v_mov_b32_e32 v1, 0
	s_and_saveexec_b64 s[0:1], s[2:3]
	s_cbranch_execz .LBB20_96
; %bb.95:
	v_mov_b32_e32 v11, 0
	v_lshl_add_u64 v[10:11], v[4:5], 0, v[10:11]
	global_load_ushort v1, v[10:11], off offset:96
	s_waitcnt vmcnt(0)
	v_lshlrev_b32_e32 v1, 16, v1
	v_sub_f32_e32 v1, v1, v2
	v_mul_f32_e32 v1, v17, v1
	v_lshrrev_b32_e32 v1, 16, v1
.LBB20_96:
	s_or_b64 exec, exec, s[0:1]
	s_and_saveexec_b64 s[0:1], s[4:5]
	s_cbranch_execz .LBB20_98
; %bb.97:
	v_mov_b32_e32 v13, 0
	v_lshl_add_u64 v[4:5], v[4:5], 0, v[12:13]
	global_load_ushort v0, v[4:5], off offset:96
	s_waitcnt vmcnt(0)
	v_lshlrev_b32_e32 v0, 16, v0
	v_sub_f32_e32 v0, v0, v3
	v_mul_f32_e32 v0, v15, v0
	v_lshrrev_b32_e32 v0, 16, v0
.LBB20_98:
	s_or_b64 exec, exec, s[0:1]
	s_mov_b32 s0, 0x5040100
	v_or_b32_e32 v2, v18, v19
	v_perm_b32 v1, v0, v1, s0
	v_perm_b32 v0, v9, v7, s0
	v_lshlrev_b32_e32 v2, 1, v2
	ds_write_b64 v2, v[0:1] offset:24576
	s_waitcnt lgkmcnt(0)
	s_barrier
.LBB20_99:
	s_endpgm
	.section	.rodata,"a",@progbits
	.p2align	6, 0x0
	.amdhsa_kernel _ZN12_GLOBAL__N_139chunk_gated_delta_rule_fwd_h_hip_kernelILi64ELb1ELb0ELb0ELb1ELb1ELb1ELb0ELb1EEEvPK12hip_bfloat16S3_S3_PKfS5_PKvPS1_S8_PvPKiSB_iiiiilll
		.amdhsa_group_segment_fixed_size 65536
		.amdhsa_private_segment_fixed_size 0
		.amdhsa_kernarg_size 136
		.amdhsa_user_sgpr_count 2
		.amdhsa_user_sgpr_dispatch_ptr 0
		.amdhsa_user_sgpr_queue_ptr 0
		.amdhsa_user_sgpr_kernarg_segment_ptr 1
		.amdhsa_user_sgpr_dispatch_id 0
		.amdhsa_user_sgpr_kernarg_preload_length 0
		.amdhsa_user_sgpr_kernarg_preload_offset 0
		.amdhsa_user_sgpr_private_segment_size 0
		.amdhsa_uses_dynamic_stack 0
		.amdhsa_enable_private_segment 0
		.amdhsa_system_sgpr_workgroup_id_x 1
		.amdhsa_system_sgpr_workgroup_id_y 1
		.amdhsa_system_sgpr_workgroup_id_z 0
		.amdhsa_system_sgpr_workgroup_info 0
		.amdhsa_system_vgpr_workitem_id 0
		.amdhsa_next_free_vgpr 228
		.amdhsa_next_free_sgpr 63
		.amdhsa_accum_offset 188
		.amdhsa_reserve_vcc 1
		.amdhsa_float_round_mode_32 0
		.amdhsa_float_round_mode_16_64 0
		.amdhsa_float_denorm_mode_32 3
		.amdhsa_float_denorm_mode_16_64 3
		.amdhsa_dx10_clamp 1
		.amdhsa_ieee_mode 1
		.amdhsa_fp16_overflow 0
		.amdhsa_tg_split 0
		.amdhsa_exception_fp_ieee_invalid_op 0
		.amdhsa_exception_fp_denorm_src 0
		.amdhsa_exception_fp_ieee_div_zero 0
		.amdhsa_exception_fp_ieee_overflow 0
		.amdhsa_exception_fp_ieee_underflow 0
		.amdhsa_exception_fp_ieee_inexact 0
		.amdhsa_exception_int_div_zero 0
	.end_amdhsa_kernel
	.section	.text._ZN12_GLOBAL__N_139chunk_gated_delta_rule_fwd_h_hip_kernelILi64ELb1ELb0ELb0ELb1ELb1ELb1ELb0ELb1EEEvPK12hip_bfloat16S3_S3_PKfS5_PKvPS1_S8_PvPKiSB_iiiiilll,"axG",@progbits,_ZN12_GLOBAL__N_139chunk_gated_delta_rule_fwd_h_hip_kernelILi64ELb1ELb0ELb0ELb1ELb1ELb1ELb0ELb1EEEvPK12hip_bfloat16S3_S3_PKfS5_PKvPS1_S8_PvPKiSB_iiiiilll,comdat
.Lfunc_end20:
	.size	_ZN12_GLOBAL__N_139chunk_gated_delta_rule_fwd_h_hip_kernelILi64ELb1ELb0ELb0ELb1ELb1ELb1ELb0ELb1EEEvPK12hip_bfloat16S3_S3_PKfS5_PKvPS1_S8_PvPKiSB_iiiiilll, .Lfunc_end20-_ZN12_GLOBAL__N_139chunk_gated_delta_rule_fwd_h_hip_kernelILi64ELb1ELb0ELb0ELb1ELb1ELb1ELb0ELb1EEEvPK12hip_bfloat16S3_S3_PKfS5_PKvPS1_S8_PvPKiSB_iiiiilll
                                        ; -- End function
	.section	.AMDGPU.csdata,"",@progbits
; Kernel info:
; codeLenInByte = 11024
; NumSgprs: 69
; NumVgprs: 188
; NumAgprs: 40
; TotalNumVgprs: 228
; ScratchSize: 0
; MemoryBound: 0
; FloatMode: 240
; IeeeMode: 1
; LDSByteSize: 65536 bytes/workgroup (compile time only)
; SGPRBlocks: 8
; VGPRBlocks: 28
; NumSGPRsForWavesPerEU: 69
; NumVGPRsForWavesPerEU: 228
; AccumOffset: 188
; Occupancy: 1
; WaveLimiterHint : 1
; COMPUTE_PGM_RSRC2:SCRATCH_EN: 0
; COMPUTE_PGM_RSRC2:USER_SGPR: 2
; COMPUTE_PGM_RSRC2:TRAP_HANDLER: 0
; COMPUTE_PGM_RSRC2:TGID_X_EN: 1
; COMPUTE_PGM_RSRC2:TGID_Y_EN: 1
; COMPUTE_PGM_RSRC2:TGID_Z_EN: 0
; COMPUTE_PGM_RSRC2:TIDIG_COMP_CNT: 0
; COMPUTE_PGM_RSRC3_GFX90A:ACCUM_OFFSET: 46
; COMPUTE_PGM_RSRC3_GFX90A:TG_SPLIT: 0
	.section	.text._ZN12_GLOBAL__N_139chunk_gated_delta_rule_fwd_h_hip_kernelILi64ELb0ELb1ELb1ELb1ELb1ELb1ELb0ELb1EEEvPK12hip_bfloat16S3_S3_PKfS5_PKvPS1_S8_PvPKiSB_iiiiilll,"axG",@progbits,_ZN12_GLOBAL__N_139chunk_gated_delta_rule_fwd_h_hip_kernelILi64ELb0ELb1ELb1ELb1ELb1ELb1ELb0ELb1EEEvPK12hip_bfloat16S3_S3_PKfS5_PKvPS1_S8_PvPKiSB_iiiiilll,comdat
	.globl	_ZN12_GLOBAL__N_139chunk_gated_delta_rule_fwd_h_hip_kernelILi64ELb0ELb1ELb1ELb1ELb1ELb1ELb0ELb1EEEvPK12hip_bfloat16S3_S3_PKfS5_PKvPS1_S8_PvPKiSB_iiiiilll ; -- Begin function _ZN12_GLOBAL__N_139chunk_gated_delta_rule_fwd_h_hip_kernelILi64ELb0ELb1ELb1ELb1ELb1ELb1ELb0ELb1EEEvPK12hip_bfloat16S3_S3_PKfS5_PKvPS1_S8_PvPKiSB_iiiiilll
	.p2align	8
	.type	_ZN12_GLOBAL__N_139chunk_gated_delta_rule_fwd_h_hip_kernelILi64ELb0ELb1ELb1ELb1ELb1ELb1ELb0ELb1EEEvPK12hip_bfloat16S3_S3_PKfS5_PKvPS1_S8_PvPKiSB_iiiiilll,@function
_ZN12_GLOBAL__N_139chunk_gated_delta_rule_fwd_h_hip_kernelILi64ELb0ELb1ELb1ELb1ELb1ELb1ELb0ELb1EEEvPK12hip_bfloat16S3_S3_PKfS5_PKvPS1_S8_PvPKiSB_iiiiilll: ; @_ZN12_GLOBAL__N_139chunk_gated_delta_rule_fwd_h_hip_kernelILi64ELb0ELb1ELb1ELb1ELb1ELb1ELb0ELb1EEEvPK12hip_bfloat16S3_S3_PKfS5_PKvPS1_S8_PvPKiSB_iiiiilll
; %bb.0:
	s_load_dwordx4 s[20:23], s[0:1], 0x5c
	s_load_dwordx2 s[24:25], s[0:1], 0x50
	s_abs_i32 s27, s3
	s_ashr_i32 s26, s3, 31
	s_load_dwordx8 s[4:11], s[0:1], 0x30
	s_load_dwordx8 s[12:19], s[0:1], 0x0
	s_load_dwordx2 s[40:41], s[0:1], 0x20
	s_waitcnt lgkmcnt(0)
	s_abs_i32 s30, s21
	v_cvt_f32_u32_e32 v1, s30
	s_sub_i32 s28, 0, s30
	s_ashr_i32 s48, s21, 31
	s_xor_b32 s26, s26, s48
	v_rcp_iflag_f32_e32 v1, v1
	v_lshrrev_b32_e32 v45, 6, v0
	v_bfe_u32 v88, v0, 4, 2
	v_lshlrev_b32_e32 v86, 4, v45
	v_mul_f32_e32 v1, 0x4f7ffffe, v1
	v_cvt_u32_f32_e32 v1, v1
	v_lshlrev_b32_e32 v2, 2, v88
	v_and_b32_e32 v87, 63, v0
	s_mov_b32 s33, s21
	v_readfirstlane_b32 s29, v1
	s_mul_i32 s28, s28, s29
	s_mul_hi_u32 s28, s29, s28
	s_add_i32 s29, s29, s28
	s_mul_hi_u32 s28, s27, s29
	s_mul_i32 s29, s28, s30
	s_sub_i32 s27, s27, s29
	s_add_i32 s29, s28, 1
	s_sub_i32 s31, s27, s30
	s_cmp_ge_u32 s27, s30
	s_cselect_b32 s28, s29, s28
	s_cselect_b32 s27, s31, s27
	s_add_i32 s29, s28, 1
	s_cmp_ge_u32 s27, s30
	s_cselect_b32 s27, s29, s28
	s_xor_b32 s27, s27, s26
	s_sub_i32 s34, s27, s26
	s_mul_i32 s26, s34, s21
	s_ashr_i32 s35, s34, 31
	s_sub_i32 s49, s3, s26
	s_lshl_b64 s[26:27], s[34:35], 2
	s_add_u32 s10, s10, s26
	s_addc_u32 s11, s11, s27
	s_add_u32 s28, s24, s26
	s_addc_u32 s29, s25, s27
	s_abs_i32 s3, s22
	v_cvt_f32_u32_e32 v1, s3
	s_load_dwordx2 s[42:43], s[10:11], 0x0
	s_nop 0
	s_load_dwordx2 s[10:11], s[0:1], 0x80
	s_load_dwordx4 s[24:27], s[0:1], 0x70
	s_sub_i32 s1, 0, s3
	v_rcp_iflag_f32_e32 v1, v1
	s_load_dword s54, s[28:29], 0x0
	s_waitcnt lgkmcnt(0)
	s_sub_i32 s58, s43, s42
	s_ashr_i32 s0, s58, 31
	v_mul_f32_e32 v1, 0x4f7ffffe, v1
	v_cvt_u32_f32_e32 v1, v1
	s_lshr_b32 s0, s0, 26
	s_add_i32 s0, s58, s0
	s_ashr_i32 s53, s0, 6
	v_readfirstlane_b32 s31, v1
	s_mul_i32 s1, s1, s31
	s_mul_hi_u32 s1, s31, s1
	s_add_i32 s31, s31, s1
	s_mul_hi_u32 s1, s30, s31
	s_mul_i32 s31, s1, s3
	s_ashr_i32 s0, s22, 31
	s_sub_i32 s30, s30, s31
	s_xor_b32 s0, s48, s0
	s_add_i32 s31, s1, 1
	s_sub_i32 s36, s30, s3
	s_cmp_ge_u32 s30, s3
	s_cselect_b32 s1, s31, s1
	s_cselect_b32 s30, s36, s30
	s_add_i32 s31, s1, 1
	s_cmp_ge_u32 s30, s3
	s_cselect_b32 s1, s31, s1
	s_xor_b32 s1, s1, s0
	s_sub_i32 s1, s1, s0
	s_abs_i32 s3, s1
	v_cvt_f32_u32_e32 v1, s3
	s_sub_i32 s29, 0, s3
	s_abs_i32 s28, s49
	s_xor_b32 s1, s49, s1
	v_rcp_iflag_f32_e32 v1, v1
	s_ashr_i32 s1, s1, 31
	s_mov_b32 s0, 0
	v_and_b32_e32 v89, 15, v0
	v_mul_f32_e32 v1, 0x4f7ffffe, v1
	v_cvt_u32_f32_e32 v1, v1
	s_mul_hi_i32 s55, s49, s20
	s_mul_i32 s56, s49, s20
	v_lshrrev_b32_e32 v91, 3, v87
	v_readfirstlane_b32 s30, v1
	s_mul_i32 s29, s29, s30
	s_mul_hi_u32 s29, s30, s29
	s_add_i32 s30, s30, s29
	s_mul_hi_u32 s29, s28, s30
	s_mul_i32 s30, s29, s3
	s_sub_i32 s28, s28, s30
	s_add_i32 s30, s29, 1
	s_sub_i32 s31, s28, s3
	s_cmp_ge_u32 s28, s3
	s_cselect_b32 s29, s30, s29
	s_cselect_b32 s28, s31, s28
	s_add_i32 s30, s29, 1
	s_cmp_ge_u32 s28, s3
	s_cselect_b32 s3, s30, s29
	s_xor_b32 s3, s3, s1
	s_sub_i32 s57, s3, s1
	v_or_b32_e32 v1, v2, v86
	s_lshl_b32 s2, s2, 6
	s_mov_b32 s1, s0
	v_or_b32_e32 v92, 64, v1
	s_cmp_lt_i32 s58, 64
	v_mov_b64_e32 v[54:55], s[0:1]
	v_lshlrev_b32_e32 v90, 3, v0
	s_mul_i32 s50, s34, s25
	s_mul_hi_u32 s51, s34, s24
	s_mul_i32 s52, s35, s24
	s_mul_i32 s24, s34, s24
	v_mov_b64_e32 v[56:57], s[0:1]
	v_mov_b64_e32 v[60:61], s[0:1]
	v_mov_b64_e32 v[58:59], s[0:1]
	v_mov_b64_e32 v[64:65], s[0:1]
	v_mov_b64_e32 v[62:63], s[0:1]
	v_mov_b64_e32 v[68:69], s[0:1]
	v_mov_b64_e32 v[66:67], s[0:1]
	v_mov_b64_e32 v[72:73], s[0:1]
	v_mov_b64_e32 v[70:71], s[0:1]
	v_mov_b64_e32 v[76:77], s[0:1]
	v_mov_b64_e32 v[74:75], s[0:1]
	v_mov_b64_e32 v[50:51], s[0:1]
	v_mov_b64_e32 v[52:53], s[0:1]
	v_mov_b64_e32 v[46:47], s[0:1]
	v_mov_b64_e32 v[48:49], s[0:1]
	s_cbranch_scc1 .LBB21_17
; %bb.1:
	s_ashr_i32 s60, s49, 31
	s_ashr_i32 s1, s42, 31
	s_add_u32 s0, s56, s42
	s_addc_u32 s1, s55, s1
	s_lshl_b64 s[0:1], s[0:1], 8
	v_and_b32_e32 v94, 56, v90
	s_add_u32 s28, s14, s0
	v_lshl_or_b32 v93, v45, 3, v91
	v_lshlrev_b32_e32 v3, 1, v94
	s_addc_u32 s0, s15, s1
	v_lshl_or_b32 v95, v93, 8, v3
	s_and_b32 s29, s0, 0xffff
	s_mov_b32 s31, 0x20000
	s_movk_i32 s30, 0x4000
	s_movk_i32 s0, 0x80
	v_or_b32_e32 v96, 0x2000, v95
	buffer_load_dwordx4 v[4:7], v95, s[28:31], 0 offen
	buffer_load_dwordx4 v[8:11], v95, s[28:31], s0 offen
	;; [unrolled: 1-line block ×4, first 2 shown]
	v_lshlrev_b32_e32 v20, 3, v93
	v_and_or_b32 v22, v0, 7, v20
	v_and_b32_e32 v20, 0x78, v20
	v_lshlrev_b32_e32 v22, 4, v22
	v_xor_b32_e32 v97, v22, v20
	v_mul_lo_u32 v21, v93, s23
	v_or_b32_e32 v98, 0x1000, v97
	s_cmpk_eq_i32 s23, 0x80
	s_mov_b32 s59, s42
	v_xor_b32_e32 v20, 8, v97
	v_xor_b32_e32 v22, 8, v98
	s_cselect_b64 s[0:1], -1, 0
	s_cmpk_lg_i32 s23, 0x80
	s_waitcnt vmcnt(3)
	ds_write_b64 v97, v[4:5] offset:49152
	ds_write_b64 v20, v[6:7] offset:49152
	s_waitcnt vmcnt(2)
	ds_write_b64 v97, v[8:9] offset:57344
	ds_write_b64 v20, v[10:11] offset:57344
	;; [unrolled: 3-line block ×4, first 2 shown]
	v_lshl_add_u32 v4, v21, 1, v94
	s_cbranch_scc0 .LBB21_3
; %bb.2:
	v_lshlrev_b32_e32 v6, 1, v4
	v_add_lshl_u32 v5, v4, s23, 1
	s_lshl_b32 s30, s23, 7
	v_lshl_or_b32 v3, v93, 9, v3
	s_cbranch_execz .LBB21_4
	s_branch .LBB21_5
.LBB21_3:
                                        ; implicit-def: $vgpr5
                                        ; implicit-def: $vgpr6
                                        ; implicit-def: $sgpr30
	v_lshl_or_b32 v3, v93, 9, v3
.LBB21_4:
	v_or_b32_e32 v5, 0x100, v3
	s_movk_i32 s30, 0x4000
	v_mov_b32_e32 v6, v3
.LBB21_5:
	s_mul_i32 s25, s42, s22
	s_ashr_i32 s61, s57, 31
	s_mul_hi_i32 s3, s42, s22
	s_add_u32 s28, s25, s57
	s_addc_u32 s29, s3, s61
	s_lshl_b64 s[28:29], s[28:29], 8
	s_add_u32 s28, s12, s28
	s_addc_u32 s3, s13, s29
	s_and_b32 s29, s3, 0xffff
	s_movk_i32 s62, 0x80
	buffer_load_dwordx4 v[8:11], v6, s[28:31], 0 offen
	buffer_load_dwordx4 v[12:15], v6, s[28:31], s62 offen
	buffer_load_dwordx4 v[16:19], v5, s[28:31], 0 offen
	buffer_load_dwordx4 v[20:23], v5, s[28:31], s62 offen
	v_and_b32_e32 v5, 6, v0
	v_lshlrev_b32_e32 v6, 7, v1
	v_xor_b32_e32 v28, v93, v5
	v_and_b32_e32 v7, 1, v0
	v_lshl_or_b32 v31, v89, 3, v6
	v_lshlrev_b32_e32 v28, 2, v28
	v_lshlrev_b32_e32 v24, 2, v89
	v_or_b32_e32 v99, 0x4000, v31
	v_or_b32_e32 v100, 0x6000, v31
	v_xor_b32_e32 v31, 0x440, v28
	v_cmp_eq_u32_e32 vcc, 0, v7
	v_or_b32_e32 v26, 16, v89
	v_or_b32_e32 v27, 32, v89
	v_xor_b32_e32 v29, v1, v24
	v_xor_b32_e32 v30, v92, v24
	v_cndmask_b32_e32 v7, v31, v28, vcc
	s_add_i32 s3, s51, s50
	s_mov_b32 s63, 0x1000504
	v_lshl_or_b32 v32, v26, 3, v6
	v_lshlrev_b32_e32 v26, 8, v26
	v_lshl_or_b32 v33, v27, 3, v6
	v_lshlrev_b32_e32 v29, 1, v29
	v_lshlrev_b32_e32 v30, 1, v30
	v_lshl_or_b32 v5, v5, 10, v7
	s_add_i32 s25, s3, s52
	s_mul_i32 s3, s49, s27
	s_mul_hi_u32 s28, s49, s26
	s_mov_b32 s64, 0x3020706
	v_lshlrev_b32_e32 v25, 8, v89
	v_or_b32_e32 v103, 0x4000, v33
	v_or_b32_e32 v104, 0x6000, v33
	;; [unrolled: 1-line block ×4, first 2 shown]
	v_xor_b32_e32 v7, 8, v5
	v_xor_b32_e32 v26, 24, v5
	;; [unrolled: 1-line block ×4, first 2 shown]
	s_add_i32 s3, s28, s3
	s_mul_i32 s28, s60, s26
	v_or_b32_e32 v101, 0x4000, v32
	v_or_b32_e32 v102, 0x6000, v32
	;; [unrolled: 1-line block ×4, first 2 shown]
	v_xor_b32_e32 v25, 16, v5
	v_xor_b32_e32 v28, 32, v5
	;; [unrolled: 1-line block ×3, first 2 shown]
	v_add_u32_e32 v7, 0x80, v7
	v_add_u32_e32 v26, 0x80, v26
	;; [unrolled: 1-line block ×4, first 2 shown]
	s_add_i32 s29, s3, s28
	s_lshl_b64 s[36:37], s[24:25], 2
	s_mul_i32 s28, s49, s26
	s_add_u32 s3, s18, s36
	s_addc_u32 s25, s19, s37
	s_lshl_b64 s[28:29], s[28:29], 2
	s_add_u32 s44, s3, s28
	s_movk_i32 s3, 0xf8
	s_addc_u32 s45, s25, s29
	s_lshl_b32 s38, s23, 7
	v_mov_b32_e32 v79, 0
	s_movk_i32 s25, 0x100
	v_lshlrev_b32_e32 v78, 4, v89
	v_lshlrev_b32_e32 v27, 8, v27
	s_mov_b32 s66, 0
	s_movk_i32 s30, 0x4000
	v_or_b32_e32 v109, v27, v29
	v_or_b32_e32 v110, v27, v30
	v_add_u32_e32 v136, v86, v2
	s_movk_i32 s65, 0x3000
	v_mov_b32_e32 v48, v79
	v_mov_b32_e32 v49, v79
	;; [unrolled: 1-line block ×8, first 2 shown]
	s_waitcnt vmcnt(1)
	v_perm_b32 v34, v8, v16, s63
	s_waitcnt vmcnt(0)
	v_perm_b32 v35, v12, v20, s63
	v_perm_b32 v8, v8, v16, s64
	;; [unrolled: 1-line block ×15, first 2 shown]
	ds_write2st64_b32 v5, v34, v35 offset0:128 offset1:160
	ds_write2st64_b32 v7, v8, v12 offset0:128 offset1:160
	;; [unrolled: 1-line block ×8, first 2 shown]
	v_or_b32_e32 v5, 48, v89
	v_lshl_or_b32 v7, v5, 3, v6
	v_lshlrev_b32_e32 v5, 8, v5
	v_or_b32_e32 v113, v5, v29
	v_or_b32_e32 v114, v5, v30
	;; [unrolled: 1-line block ×3, first 2 shown]
	v_lshlrev_b32_e32 v5, 3, v5
	v_lshrrev_b32_e32 v9, 5, v87
	v_and_or_b32 v9, v5, s3, v9
	v_lshlrev_b32_e32 v9, 4, v9
	v_lshlrev_b32_e32 v11, 11, v45
	v_and_b32_e32 v5, 0x78, v5
	v_or_b32_e32 v14, 32, v9
	v_and_b32_e32 v8, 0x1000, v11
	v_xor_b32_e32 v10, v9, v5
	v_lshrrev_b32_e32 v12, 1, v87
	v_xor_b32_e32 v14, v14, v5
	v_or_b32_e32 v10, v10, v8
	v_and_b32_e32 v12, 8, v12
	v_or_b32_e32 v14, v14, v8
	v_xor_b32_e32 v115, v10, v12
	v_lshlrev_b32_e32 v10, 8, v88
	v_xor_b32_e32 v117, v14, v12
	v_or_b32_e32 v14, 64, v9
	v_or_b32_e32 v9, 0x60, v9
	;; [unrolled: 1-line block ×3, first 2 shown]
	v_xor_b32_e32 v14, v14, v5
	v_xor_b32_e32 v5, v9, v5
	s_ashr_i32 s3, s2, 31
	v_lshlrev_b32_e32 v13, 1, v13
	v_or_b32_e32 v14, v14, v8
	v_or_b32_e32 v5, v5, v8
	s_lshl_b64 s[28:29], s[2:3], 8
	v_or_b32_e32 v116, 0x4000, v13
	v_or_b32_e32 v118, 0x4080, v13
	;; [unrolled: 1-line block ×4, first 2 shown]
	v_xor_b32_e32 v121, v14, v12
	v_xor_b32_e32 v122, v5, v12
	v_or_b32_e32 v123, 0x6000, v13
	v_or_b32_e32 v124, 0x6080, v13
	;; [unrolled: 1-line block ×4, first 2 shown]
	v_lshlrev_b32_e32 v12, 1, v4
	v_add_lshl_u32 v13, v4, s23, 1
	s_add_u32 s28, s4, s28
	v_lshlrev_b32_e32 v4, 1, v89
	v_or_b32_e32 v14, 0x100, v3
	v_lshrrev_b32_e32 v15, 4, v0
	s_addc_u32 s29, s5, s29
	v_or_b32_e32 v5, 1, v4
	v_lshlrev_b32_e32 v18, 2, v0
	v_xor_b32_e32 v16, v15, v4
	v_xor_b32_e32 v17, v5, v15
	v_lshl_add_u64 v[4:5], s[28:29], 0, v[78:79]
	v_lshlrev_b32_e32 v78, 8, v15
	v_lshrrev_b32_e32 v19, 1, v0
	v_and_or_b32 v10, v18, 60, v10
	v_cndmask_b32_e64 v133, v12, v3, s[0:1]
	v_cndmask_b32_e64 v134, v13, v14, s[0:1]
	v_mov_b32_e32 v3, 0xa000
	v_mov_b32_e32 v12, 0x8000
	v_cmp_gt_u32_e64 s[0:1], s25, v0
	v_lshl_or_b32 v127, v16, 3, v78
	v_and_b32_e32 v16, 8, v0
	v_and_b32_e32 v19, 24, v19
	v_lshlrev_b32_e32 v10, 1, v10
	v_cndmask_b32_e64 v3, v3, v12, s[0:1]
	v_lshlrev_b32_e32 v12, 3, v45
	v_or_b32_e32 v129, 0x6000, v10
	v_or_b32_e32 v130, 0x6080, v10
	v_or_b32_e32 v131, 0x6100, v10
	v_or_b32_e32 v132, 0x6180, v10
	v_mov_b32_e32 v10, 0x400
	v_cmp_eq_u32_e32 vcc, 0, v16
	v_xor_b32_e32 v13, v12, v19
	v_and_b32_e32 v15, 7, v0
	v_cndmask_b32_e64 v16, v10, 64, vcc
	v_or_b32_e32 v14, 0x440, v13
	v_lshl_or_b32 v128, v17, 3, v78
	v_lshlrev_b32_e32 v17, 3, v15
	v_or_b32_e32 v18, 32, v19
	v_or_b32_e32 v20, 0x60, v19
	v_cndmask_b32_e32 v14, v14, v13, vcc
	v_or3_b32 v13, v11, v16, v13
	v_lshlrev_b32_e32 v15, 7, v15
	v_xor_b32_e32 v18, v12, v18
	v_xor_b32_e32 v13, v13, v17
	;; [unrolled: 1-line block ×3, first 2 shown]
	v_or_b32_e32 v21, 0x440, v18
	v_or_b32_e32 v135, v13, v15
	v_xor_b32_e32 v13, 0x440, v12
	v_cndmask_b32_e32 v18, v21, v18, vcc
	v_cndmask_b32_e32 v12, v13, v12, vcc
	v_or_b32_e32 v111, 0x4000, v7
	v_or_b32_e32 v112, 0x6000, v7
	v_lshrrev_b32_e32 v7, 2, v87
	v_or_b32_e32 v8, s2, v89
	v_or_b32_e32 v14, v14, v11
	;; [unrolled: 1-line block ×4, first 2 shown]
	v_and_b32_e32 v7, 12, v7
	v_ashrrev_i32_e32 v9, 31, v8
	v_xor_b32_e32 v14, v14, v17
	v_xor_b32_e32 v18, v18, v17
	;; [unrolled: 1-line block ×3, first 2 shown]
	v_or_b32_e32 v10, v86, v7
	v_add_u32_e32 v19, v3, v14
	v_add_u32_e32 v21, v3, v18
	;; [unrolled: 1-line block ×3, first 2 shown]
	v_or3_b32 v12, v86, v7, 64
	v_add_u32_e32 v7, 0xa000, v14
	v_add_u32_e32 v14, 0xa000, v18
	;; [unrolled: 1-line block ×3, first 2 shown]
	v_lshlrev_b64 v[8:9], 1, v[8:9]
	v_lshl_add_u64 v[80:81], s[16:17], 0, v[8:9]
	v_lshl_add_u64 v[82:83], s[6:7], 0, v[8:9]
	;; [unrolled: 1-line block ×3, first 2 shown]
	s_mov_b32 s3, 0x7060302
	v_lshlrev_b32_e32 v78, 1, v6
	s_movk_i32 s25, 0x2000
	v_lshlrev_b32_e32 v137, 2, v10
	v_add_u32_e32 v138, v19, v15
	v_add_u32_e32 v139, v21, v15
	;; [unrolled: 1-line block ×4, first 2 shown]
	v_lshlrev_b32_e32 v142, 2, v12
	v_add_u32_e32 v143, v7, v15
	v_add_u32_e32 v144, v14, v15
	;; [unrolled: 1-line block ×3, first 2 shown]
	v_mov_b32_e32 v74, v79
	v_mov_b32_e32 v75, v79
	;; [unrolled: 1-line block ×24, first 2 shown]
	s_waitcnt lgkmcnt(0)
	s_barrier
	s_branch .LBB21_7
.LBB21_6:                               ;   in Loop: Header=BB21_7 Depth=1
	v_exp_f32_e32 v36, s46
	s_waitcnt vmcnt(4)
	v_exp_f32_e32 v38, v38
	v_exp_f32_e32 v39, v39
	;; [unrolled: 1-line block ×4, first 2 shown]
	v_accvgpr_read_b32 v5, a3
	v_accvgpr_read_b32 v4, a2
	;; [unrolled: 1-line block ×4, first 2 shown]
	v_pk_mul_f32 v[38:39], v[36:37], v[38:39] op_sel_hi:[0,1]
	v_pk_mul_f32 v[40:41], v[36:37], v[40:41] op_sel_hi:[0,1]
	v_pk_fma_f32 v[74:75], v[74:75], v[38:39], v[2:3]
	v_pk_fma_f32 v[76:77], v[76:77], v[40:41], v[4:5]
	v_exp_f32_e32 v2, v34
	v_exp_f32_e32 v3, v42
	;; [unrolled: 1-line block ×4, first 2 shown]
	v_accvgpr_read_b32 v9, a7
	v_accvgpr_read_b32 v13, a11
	;; [unrolled: 1-line block ×28, first 2 shown]
	v_pk_mul_f32 v[2:3], v[36:37], v[2:3] op_sel_hi:[0,1]
	v_pk_mul_f32 v[4:5], v[36:37], v[4:5] op_sel_hi:[0,1]
	s_add_i32 s59, s59, 64
	v_pk_fma_f32 v[66:67], v[38:39], v[66:67], v[6:7]
	v_pk_fma_f32 v[68:69], v[40:41], v[68:69], v[8:9]
	;; [unrolled: 1-line block ×14, first 2 shown]
	s_cmp_eq_u32 s53, s67
	s_mov_b32 s66, s67
	s_cbranch_scc1 .LBB21_17
.LBB21_7:                               ; =>This Inner Loop Header: Depth=1
	s_add_i32 s67, s66, 1
	s_cmp_lt_i32 s67, s53
	s_mov_b64 s[36:37], 0
	s_cselect_b64 s[46:47], -1, 0
	s_cmp_ge_i32 s67, s53
	s_mov_b64 s[28:29], 0
	s_cbranch_scc1 .LBB21_9
; %bb.8:                                ;   in Loop: Header=BB21_7 Depth=1
	s_add_i32 s0, s59, 64
	s_ashr_i32 s1, s0, 31
	s_add_u32 s0, s56, s0
	s_addc_u32 s1, s55, s1
	s_lshl_b64 s[0:1], s[0:1], 8
	s_add_u32 s28, s14, s0
	s_addc_u32 s29, s15, s1
.LBB21_9:                               ;   in Loop: Header=BB21_7 Depth=1
	v_cndmask_b32_e64 v2, 0, 1, s[46:47]
	v_cmp_ne_u32_e64 s[0:1], 1, v2
	s_andn2_b64 vcc, exec, s[46:47]
	s_cbranch_vccnz .LBB21_11
; %bb.10:                               ;   in Loop: Header=BB21_7 Depth=1
	s_add_i32 s36, s59, 64
	s_mul_hi_i32 s37, s36, s22
	s_mul_i32 s36, s36, s22
	s_add_u32 s36, s36, s57
	s_addc_u32 s37, s37, s61
	s_lshl_b64 s[36:37], s[36:37], 8
	s_add_u32 s36, s12, s36
	s_addc_u32 s37, s13, s37
.LBB21_11:                              ;   in Loop: Header=BB21_7 Depth=1
	v_perm_b32 v3, v77, v76, s3
	v_perm_b32 v2, v75, v74, s3
	v_perm_b32 v5, v73, v72, s3
	v_perm_b32 v4, v71, v70, s3
	ds_write_b64 v99, v[2:3]
	ds_write_b64 v100, v[4:5]
	ds_write_b64 v105, v[2:3]
	ds_write_b64 v106, v[4:5]
	v_perm_b32 v3, v69, v68, s3
	v_perm_b32 v2, v67, v66, s3
	v_perm_b32 v5, v65, v64, s3
	v_perm_b32 v4, v63, v62, s3
	ds_write_b64 v101, v[2:3]
	ds_write_b64 v102, v[4:5]
	ds_write_b64 v107, v[2:3]
	ds_write_b64 v108, v[4:5]
	;; [unrolled: 8-line block ×4, first 2 shown]
	s_waitcnt lgkmcnt(0)
	s_barrier
	ds_read_b64 v[6:7], v115 offset:49152
	ds_read2_b64 v[2:5], v116 offset1:16
	ds_read_b64 v[18:19], v118 offset:6144
	ds_read_b64 v[20:21], v116 offset:6144
	s_waitcnt lgkmcnt(2)
	v_mfma_f32_16x16x16_bf16 a[0:3], v[6:7], v[2:3], 0
	ds_read_b64 v[22:23], v117 offset:49152
	ds_read2st64_b64 v[10:13], v119 offset0:4 offset1:8
	ds_read2st64_b64 v[14:17], v120 offset0:4 offset1:8
	v_mfma_f32_16x16x16_bf16 a[4:7], v[6:7], v[4:5], 0
	ds_read2_b64 v[2:5], v116 offset0:32 offset1:48
	s_add_i32 s68, s59, 63
	s_ashr_i32 s39, s68, 31
	s_waitcnt lgkmcnt(0)
	v_mfma_f32_16x16x16_bf16 a[8:11], v[6:7], v[2:3], 0
	s_mul_i32 s46, s68, s11
	s_mul_hi_u32 s47, s68, s10
	s_add_i32 s46, s47, s46
	v_mfma_f32_16x16x16_bf16 a[12:15], v[6:7], v[4:5], 0
	ds_read2st64_b64 v[2:5], v116 offset0:4 offset1:8
	ds_read2st64_b64 v[6:9], v118 offset0:4 offset1:8
	s_mul_i32 s39, s39, s10
	s_waitcnt lgkmcnt(1)
	v_mfma_f32_16x16x16_bf16 a[0:3], v[22:23], v[2:3], a[0:3]
	s_add_i32 s47, s46, s39
	s_mul_i32 s46, s68, s10
	s_lshl_b64 s[46:47], s[46:47], 2
	s_waitcnt lgkmcnt(0)
	v_mfma_f32_16x16x16_bf16 a[4:7], v[22:23], v[6:7], a[4:7]
	s_add_u32 s46, s44, s46
	s_addc_u32 s47, s45, s47
	s_and_b64 vcc, exec, s[0:1]
	v_mfma_f32_16x16x16_bf16 a[8:11], v[22:23], v[10:11], a[8:11]
	ds_read_b64 v[2:3], v121 offset:49152
	ds_read_b64 v[6:7], v122 offset:49152
	;; [unrolled: 1-line block ×3, first 2 shown]
	v_mov_b32_e32 v148, 0
	v_mov_b32_e32 v147, 0
	v_mfma_f32_16x16x16_bf16 a[12:15], v[22:23], v[14:15], a[12:15]
	v_mov_b32_e32 v146, 0
	v_mov_b32_e32 v14, 0
	;; [unrolled: 1-line block ×3, first 2 shown]
	s_waitcnt lgkmcnt(2)
	v_mfma_f32_16x16x16_bf16 a[0:3], v[2:3], v[4:5], a[0:3]
	v_mov_b32_e32 v4, 0
	v_mov_b32_e32 v5, 0
	v_mfma_f32_16x16x16_bf16 a[16:19], v[2:3], v[8:9], a[4:7]
	v_mov_b32_e32 v8, 0
	v_mov_b32_e32 v9, 0
	;; [unrolled: 3-line block ×3, first 2 shown]
	v_mfma_f32_16x16x16_bf16 a[24:27], v[2:3], v[16:17], a[12:15]
	ds_read_b64 v[2:3], v119 offset:6144
	v_mov_b32_e32 v16, 0
	v_mov_b32_e32 v17, 0
	s_waitcnt lgkmcnt(2)
	v_mfma_f32_16x16x16_bf16 a[4:7], v[6:7], v[20:21], a[0:3]
	v_mfma_f32_16x16x16_bf16 a[8:11], v[6:7], v[18:19], a[16:19]
	s_waitcnt lgkmcnt(0)
	v_mfma_f32_16x16x16_bf16 a[12:15], v[6:7], v[2:3], a[20:23]
	v_mov_b32_e32 v2, 0
	v_mov_b32_e32 v3, 0
	v_mfma_f32_16x16x16_bf16 a[0:3], v[6:7], v[10:11], a[24:27]
	v_mov_b32_e32 v6, 0
	v_mov_b32_e32 v7, 0
	;; [unrolled: 1-line block ×4, first 2 shown]
	s_cbranch_vccnz .LBB21_13
; %bb.12:                               ;   in Loop: Header=BB21_7 Depth=1
	s_and_b32 s29, s29, 0xffff
	buffer_load_dwordx4 v[14:17], v95, s[28:31], 0 offen
	buffer_load_dwordx4 v[10:13], v95, s[28:31], s62 offen
	;; [unrolled: 1-line block ×4, first 2 shown]
	v_mov_b32_e32 v147, v97
	v_mov_b32_e32 v146, v98
.LBB21_13:                              ;   in Loop: Header=BB21_7 Depth=1
	ds_read_b64 v[30:31], v115 offset:57344
	ds_read2_b64 v[18:21], v123 offset1:16
	ds_read_b64 v[34:35], v117 offset:57344
	ds_read_b64 v[36:37], v121 offset:57344
	;; [unrolled: 1-line block ×3, first 2 shown]
	v_add_u32_e32 v32, s59, v136
	s_waitcnt lgkmcnt(3)
	v_mfma_f32_16x16x16_bf16 a[4:7], v[30:31], v[18:19], a[4:7]
	v_mfma_f32_16x16x16_bf16 a[8:11], v[30:31], v[20:21], a[8:11]
	ds_read2_b64 v[18:21], v123 offset0:32 offset1:48
	ds_read2st64_b64 v[22:25], v123 offset0:4 offset1:8
	ds_read2st64_b64 v[26:29], v124 offset0:4 offset1:8
	s_waitcnt lgkmcnt(2)
	v_mfma_f32_16x16x16_bf16 a[12:15], v[30:31], v[18:19], a[12:15]
	v_ashrrev_i32_e32 v18, 31, v32
	v_mul_lo_u32 v33, v18, s10
	v_mad_u64_u32 v[18:19], s[28:29], v32, s10, 0
	v_mfma_f32_16x16x16_bf16 a[0:3], v[30:31], v[20:21], a[0:3]
	v_mul_lo_u32 v20, v32, s11
	v_add3_u32 v19, v19, v20, v33
	v_add_u32_e32 v20, 1, v32
	v_ashrrev_i32_e32 v21, 31, v20
	s_waitcnt lgkmcnt(1)
	v_mfma_f32_16x16x16_bf16 a[4:7], v[34:35], v[22:23], a[4:7]
	v_mul_lo_u32 v22, v21, s10
	v_mul_lo_u32 v23, v20, s11
	v_mad_u64_u32 v[20:21], s[28:29], v20, s10, 0
	v_add3_u32 v21, v21, v23, v22
	v_add_u32_e32 v22, 2, v32
	v_ashrrev_i32_e32 v23, 31, v22
	v_mul_lo_u32 v30, v23, s10
	v_mul_lo_u32 v31, v22, s11
	v_mad_u64_u32 v[22:23], s[28:29], v22, s10, 0
	v_add3_u32 v23, v23, v31, v30
	v_add_u32_e32 v30, 3, v32
	v_ashrrev_i32_e32 v31, 31, v30
	v_mul_lo_u32 v32, v31, s10
	v_mul_lo_u32 v33, v30, s11
	v_mad_u64_u32 v[30:31], s[28:29], v30, s10, 0
	s_ashr_i32 s29, s59, 31
	s_add_u32 s28, s56, s59
	s_addc_u32 s29, s55, s29
	v_lshl_add_u64 v[18:19], v[18:19], 2, s[44:45]
	v_add3_u32 v31, v31, v33, v32
	s_lshl_b64 s[28:29], s[28:29], 8
	v_lshl_add_u64 v[20:21], v[20:21], 2, s[44:45]
	v_lshl_add_u64 v[22:23], v[22:23], 2, s[44:45]
	;; [unrolled: 1-line block ×3, first 2 shown]
	global_load_dword v40, v[18:19], off
	global_load_dword v41, v[20:21], off
	;; [unrolled: 1-line block ×4, first 2 shown]
	v_lshl_add_u64 v[18:19], v[80:81], 0, s[28:29]
	v_lshl_add_u64 v[22:23], v[18:19], 0, v[78:79]
	global_load_ushort v44, v[22:23], off offset:256
	global_load_ushort v149, v[22:23], off
	ds_read2st64_b64 v[18:21], v125 offset0:4 offset1:8
	global_load_ushort v150, v[22:23], off offset:768
	global_load_ushort v151, v[22:23], off offset:512
	ds_read2st64_b64 v[30:33], v126 offset0:4 offset1:8
	global_load_ushort v152, v[22:23], off offset:288
	global_load_ushort v153, v[22:23], off offset:32
	;; [unrolled: 1-line block ×4, first 2 shown]
	s_waitcnt lgkmcnt(2)
	v_mfma_f32_16x16x16_bf16 a[8:11], v[34:35], v[26:27], a[8:11]
	global_load_ushort v156, v[22:23], off offset:320
	global_load_ushort v157, v[22:23], off offset:64
	;; [unrolled: 1-line block ×4, first 2 shown]
	s_and_b64 vcc, exec, s[0:1]
	s_waitcnt lgkmcnt(1)
	v_mfma_f32_16x16x16_bf16 a[12:15], v[34:35], v[18:19], a[12:15]
	ds_read_b64 v[18:19], v123 offset:6144
	s_waitcnt lgkmcnt(1)
	v_mfma_f32_16x16x16_bf16 a[0:3], v[34:35], v[30:31], a[0:3]
	v_lshl_add_u64 v[30:31], v[82:83], 0, s[28:29]
	v_lshl_add_u64 v[30:31], v[30:31], 0, v[78:79]
	v_mfma_f32_16x16x16_bf16 a[4:7], v[36:37], v[24:25], a[4:7]
	v_mfma_f32_16x16x16_bf16 a[8:11], v[36:37], v[28:29], a[8:11]
	;; [unrolled: 1-line block ×4, first 2 shown]
	global_load_ushort v36, v[22:23], off offset:352
	global_load_ushort v37, v[22:23], off offset:96
	ds_read_b64 v[20:21], v124 offset:6144
	ds_read_b64 v[24:25], v125 offset:6144
	;; [unrolled: 1-line block ×3, first 2 shown]
	s_load_dword s46, s[46:47], 0x0
	global_load_ushort v160, v[22:23], off offset:864
	global_load_ushort v161, v[22:23], off offset:608
	s_waitcnt lgkmcnt(0)
	v_mfma_f32_16x16x16_bf16 a[4:7], v[38:39], v[18:19], a[4:7]
	s_waitcnt vmcnt(17)
	v_sub_f32_e32 v28, s46, v42
	v_mfma_f32_16x16x16_bf16 a[0:3], v[38:39], v[26:27], a[0:3]
	v_sub_f32_e32 v26, s46, v40
	v_sub_f32_e32 v27, s46, v41
	s_waitcnt vmcnt(16)
	v_sub_f32_e32 v29, s46, v43
	v_mfma_f32_16x16x16_bf16 a[8:11], v[38:39], v[20:21], a[8:11]
	v_exp_f32_e32 v26, v26
	v_exp_f32_e32 v27, v27
	;; [unrolled: 1-line block ×4, first 2 shown]
	v_accvgpr_read_b32 v35, a5
	s_waitcnt vmcnt(15)
	v_lshlrev_b32_e32 v33, 16, v44
	s_waitcnt vmcnt(14)
	v_lshlrev_b32_e32 v32, 16, v149
	v_accvgpr_read_b32 v34, a4
	v_accvgpr_read_b32 v19, a7
	;; [unrolled: 1-line block ×3, first 2 shown]
	v_pk_add_f32 v[32:33], v[32:33], v[34:35] neg_lo:[0,1] neg_hi:[0,1]
	s_waitcnt vmcnt(13)
	v_lshlrev_b32_e32 v35, 16, v150
	s_waitcnt vmcnt(12)
	v_lshlrev_b32_e32 v34, 16, v151
	v_pk_add_f32 v[18:19], v[34:35], v[18:19] neg_lo:[0,1] neg_hi:[0,1]
	global_store_short_d16_hi v[30:31], v32, off
	global_store_short_d16_hi v[30:31], v33, off offset:256
	global_store_short_d16_hi v[30:31], v18, off offset:512
	;; [unrolled: 1-line block ×3, first 2 shown]
	v_pk_mul_f32 v[32:33], v[26:27], v[32:33]
	v_pk_mul_f32 v[18:19], v[28:29], v[18:19]
	v_accvgpr_read_b32 v35, a9
	v_perm_b32 v32, v33, v32, s3
	v_perm_b32 v33, v19, v18, s3
	s_waitcnt vmcnt(15)
	v_lshlrev_b32_e32 v19, 16, v152
	s_waitcnt vmcnt(14)
	v_lshlrev_b32_e32 v18, 16, v153
	v_accvgpr_read_b32 v34, a8
	v_accvgpr_read_b32 v21, a11
	v_mfma_f32_16x16x16_bf16 a[12:15], v[38:39], v[24:25], a[12:15]
	v_accvgpr_read_b32 v20, a10
	v_pk_add_f32 v[18:19], v[18:19], v[34:35] neg_lo:[0,1] neg_hi:[0,1]
	s_waitcnt vmcnt(13)
	v_lshlrev_b32_e32 v35, 16, v154
	s_waitcnt vmcnt(12)
	v_lshlrev_b32_e32 v34, 16, v155
	v_pk_add_f32 v[20:21], v[34:35], v[20:21] neg_lo:[0,1] neg_hi:[0,1]
	global_store_short_d16_hi v[30:31], v18, off offset:32
	global_store_short_d16_hi v[30:31], v19, off offset:288
	;; [unrolled: 1-line block ×4, first 2 shown]
	v_pk_mul_f32 v[18:19], v[26:27], v[18:19]
	v_pk_mul_f32 v[20:21], v[28:29], v[20:21]
	v_accvgpr_read_b32 v23, a15
	v_perm_b32 v21, v21, v20, s3
	v_perm_b32 v20, v19, v18, s3
	ds_write2_b64 v100, v[32:33], v[20:21] offset1:16
	v_accvgpr_read_b32 v21, a13
	s_waitcnt vmcnt(15)
	v_lshlrev_b32_e32 v19, 16, v156
	s_waitcnt vmcnt(14)
	v_lshlrev_b32_e32 v18, 16, v157
	v_accvgpr_read_b32 v20, a12
	v_accvgpr_read_b32 v22, a14
	v_pk_add_f32 v[18:19], v[18:19], v[20:21] neg_lo:[0,1] neg_hi:[0,1]
	s_waitcnt vmcnt(13)
	v_lshlrev_b32_e32 v21, 16, v158
	s_waitcnt vmcnt(12)
	v_lshlrev_b32_e32 v20, 16, v159
	v_pk_add_f32 v[20:21], v[20:21], v[22:23] neg_lo:[0,1] neg_hi:[0,1]
	global_store_short_d16_hi v[30:31], v18, off offset:64
	global_store_short_d16_hi v[30:31], v19, off offset:320
	;; [unrolled: 1-line block ×4, first 2 shown]
	v_pk_mul_f32 v[18:19], v[26:27], v[18:19]
	v_pk_mul_f32 v[20:21], v[28:29], v[20:21]
	v_accvgpr_read_b32 v23, a1
	v_perm_b32 v18, v19, v18, s3
	v_perm_b32 v19, v21, v20, s3
	s_waitcnt vmcnt(15)
	v_lshlrev_b32_e32 v21, 16, v36
	s_waitcnt vmcnt(14)
	v_lshlrev_b32_e32 v20, 16, v37
	v_accvgpr_read_b32 v22, a0
	v_accvgpr_read_b32 v25, a3
	;; [unrolled: 1-line block ×3, first 2 shown]
	v_pk_add_f32 v[20:21], v[20:21], v[22:23] neg_lo:[0,1] neg_hi:[0,1]
	s_waitcnt vmcnt(13)
	v_lshlrev_b32_e32 v23, 16, v160
	s_waitcnt vmcnt(12)
	v_lshlrev_b32_e32 v22, 16, v161
	v_pk_add_f32 v[22:23], v[22:23], v[24:25] neg_lo:[0,1] neg_hi:[0,1]
	global_store_short_d16_hi v[30:31], v20, off offset:96
	global_store_short_d16_hi v[30:31], v21, off offset:352
	;; [unrolled: 1-line block ×4, first 2 shown]
	v_pk_mul_f32 v[20:21], v[26:27], v[20:21]
	v_pk_mul_f32 v[22:23], v[28:29], v[22:23]
	v_mov_b32_e32 v149, 0
	v_perm_b32 v23, v23, v22, s3
	v_perm_b32 v22, v21, v20, s3
	ds_write2_b64 v100, v[18:19], v[22:23] offset0:32 offset1:48
	v_mov_b32_e32 v18, 0
	v_mov_b32_e32 v19, 0
	;; [unrolled: 1-line block ×16, first 2 shown]
	s_cbranch_vccnz .LBB21_15
; %bb.14:                               ;   in Loop: Header=BB21_7 Depth=1
	s_and_b32 s37, s37, 0xffff
	s_mov_b32 s39, s31
	buffer_load_dwordx4 v[30:33], v133, s[36:39], 0 offen
	buffer_load_dwordx4 v[22:25], v133, s[36:39], s62 offen
	;; [unrolled: 1-line block ×4, first 2 shown]
	v_mov_b32_e32 v148, v94
	v_mov_b32_e32 v149, v93
.LBB21_15:                              ;   in Loop: Header=BB21_7 Depth=1
	s_waitcnt lgkmcnt(0)
	s_barrier
	ds_read_b64 v[42:43], v138
	ds_read2_b64 v[34:37], v129 offset1:16
	ds_read_b64 v[166:167], v139
	ds_read_b64 v[168:169], v140
	;; [unrolled: 1-line block ×3, first 2 shown]
	ds_read2_b64 v[38:41], v129 offset0:32 offset1:48
	ds_read2st64_b64 v[150:153], v129 offset0:4 offset1:8
	ds_read2st64_b64 v[154:157], v130 offset0:4 offset1:8
	;; [unrolled: 1-line block ×4, first 2 shown]
	s_waitcnt lgkmcnt(8)
	v_mfma_f32_16x16x16_bf16 a[0:3], v[42:43], v[34:35], 0
	s_add_i32 s28, s54, s66
	s_mul_hi_i32 s29, s28, s33
	s_mul_i32 s28, s28, s33
	v_mfma_f32_16x16x16_bf16 a[4:7], v[42:43], v[36:37], 0
	s_add_u32 s28, s28, s49
	s_addc_u32 s29, s29, s60
	s_lshl_b64 s[28:29], s[28:29], 15
	s_waitcnt lgkmcnt(4)
	v_mfma_f32_16x16x16_bf16 a[8:11], v[42:43], v[38:39], 0
	s_mul_i32 s36, s68, s33
	s_mul_hi_i32 s37, s68, s33
	s_add_u32 s36, s36, s49
	v_mfma_f32_16x16x16_bf16 a[12:15], v[42:43], v[40:41], 0
	ds_read_b64 v[42:43], v129 offset:6144
	ds_read_b64 v[178:179], v130 offset:6144
	;; [unrolled: 1-line block ×4, first 2 shown]
	s_addc_u32 s37, s37, s60
	s_waitcnt lgkmcnt(7)
	v_mfma_f32_16x16x16_bf16 a[0:3], v[166:167], v[150:151], a[0:3]
	s_lshl_b64 s[36:37], s[36:37], 9
	s_add_u32 s36, s40, s36
	s_addc_u32 s37, s41, s37
	s_waitcnt lgkmcnt(6)
	v_mfma_f32_16x16x16_bf16 a[4:7], v[166:167], v[154:155], a[4:7]
	v_lshl_add_u64 v[188:189], v[84:85], 0, s[28:29]
	s_waitcnt lgkmcnt(5)
	v_mfma_f32_16x16x16_bf16 a[8:11], v[166:167], v[158:159], a[8:11]
	s_waitcnt lgkmcnt(4)
	v_mfma_f32_16x16x16_bf16 a[12:15], v[166:167], v[162:163], a[12:15]
	ds_read_b64 v[166:167], v143
	ds_read_b64 v[176:177], v144
	;; [unrolled: 1-line block ×3, first 2 shown]
	s_waitcnt lgkmcnt(2)
	v_mfma_f32_16x16x16_bf16 a[16:19], v[166:167], v[34:35], 0
	v_mfma_f32_16x16x16_bf16 a[20:23], v[166:167], v[36:37], 0
	global_load_dwordx4 v[34:37], v142, s[36:37]
	v_mfma_f32_16x16x16_bf16 a[24:27], v[166:167], v[38:39], 0
	v_mfma_f32_16x16x16_bf16 a[28:31], v[166:167], v[40:41], 0
	global_load_dwordx4 v[38:41], v137, s[36:37]
	v_mfma_f32_16x16x16_bf16 a[0:3], v[168:169], v[152:153], a[0:3]
	v_mfma_f32_16x16x16_bf16 a[4:7], v[168:169], v[156:157], a[4:7]
	v_mfma_f32_16x16x16_bf16 a[8:11], v[168:169], v[160:161], a[8:11]
	v_mfma_f32_16x16x16_bf16 a[12:15], v[168:169], v[164:165], a[12:15]
	v_mfma_f32_16x16x16_bf16 a[0:3], v[170:171], v[42:43], a[0:3]
	v_mfma_f32_16x16x16_bf16 a[4:7], v[170:171], v[178:179], a[4:7]
	v_mfma_f32_16x16x16_bf16 a[8:11], v[170:171], v[180:181], a[8:11]
	v_mfma_f32_16x16x16_bf16 a[12:15], v[170:171], v[182:183], a[12:15]
	ds_read2st64_b64 v[166:169], v127 offset1:8
	ds_read2st64_b64 v[170:173], v128 offset1:8
	ds_read_b64 v[186:187], v135 offset:40960
	s_waitcnt lgkmcnt(2)
	v_mov_b32_e32 v174, v166
	v_mfma_f32_16x16x16_bf16 a[16:19], v[176:177], v[150:151], a[16:19]
	v_mov_b32_e32 v175, v167
	v_mfma_f32_16x16x16_bf16 a[20:23], v[176:177], v[154:155], a[20:23]
	v_mfma_f32_16x16x16_bf16 a[24:27], v[176:177], v[158:159], a[24:27]
	;; [unrolled: 1-line block ×3, first 2 shown]
	v_add_co_u32_e32 v162, vcc, s25, v188
	s_waitcnt lgkmcnt(1)
	v_mov_b32_e32 v176, v170
	s_waitcnt lgkmcnt(0)
	v_mfma_f32_16x16x16_bf16 a[16:19], v[186:187], v[152:153], a[16:19]
	ds_read2st64_b64 v[150:153], v127 offset0:16 offset1:24
	v_addc_co_u32_e32 v163, vcc, 0, v189, vcc
	v_mfma_f32_16x16x16_bf16 a[32:35], v[186:187], v[156:157], a[20:23]
	ds_read2st64_b64 v[154:157], v128 offset0:16 offset1:24
	v_mov_b32_e32 v177, v171
	v_mov_b32_e32 v170, v168
	v_mfma_f32_16x16x16_bf16 a[24:27], v[186:187], v[160:161], a[24:27]
	v_mov_b32_e32 v171, v169
	s_waitcnt lgkmcnt(0)
	v_mov_b32_e32 v160, v154
	v_mov_b32_e32 v161, v155
	v_mfma_f32_16x16x16_bf16 a[36:39], v[186:187], v[164:165], a[28:31]
	v_mov_b32_e32 v154, v152
	v_mov_b32_e32 v155, v153
	;; [unrolled: 1-line block ×3, first 2 shown]
	v_mfma_f32_16x16x16_bf16 a[20:23], v[184:185], v[42:43], a[16:19]
	v_add_co_u32_e32 v42, vcc, s65, v188
	v_mov_b32_e32 v159, v151
	v_mfma_f32_16x16x16_bf16 a[28:31], v[184:185], v[178:179], a[32:35]
	v_addc_co_u32_e32 v43, vcc, 0, v189, vcc
	global_store_dwordx4 v[42:43], v[154:157], off
	v_mfma_f32_16x16x16_bf16 a[16:19], v[184:185], v[180:181], a[24:27]
	s_waitcnt vmcnt(2)
	v_mov_b32_e32 v44, v37
	v_mov_b32_e32 v43, v36
	;; [unrolled: 1-line block ×3, first 2 shown]
	v_mfma_f32_16x16x16_bf16 a[24:27], v[184:185], v[182:183], a[36:39]
	s_and_b64 vcc, exec, s[0:1]
	global_store_dwordx4 v[188:189], v[174:177], off
	global_store_dwordx4 v[162:163], v[170:173], off offset:-4096
	global_store_dwordx4 v[162:163], v[158:161], off
	s_cbranch_vccnz .LBB21_6
; %bb.16:                               ;   in Loop: Header=BB21_7 Depth=1
	v_lshrrev_b32_e32 v35, 3, v148
	v_and_b32_e32 v35, 6, v35
	v_xor_b32_e32 v36, v35, v149
	v_lshlrev_b32_e32 v36, 2, v36
	v_and_b32_e32 v37, 8, v148
	v_xor_b32_e32 v148, 0x440, v36
	v_cmp_eq_u32_e32 vcc, 0, v37
	v_perm_b32 v37, v22, v18, s63
	s_nop 0
	v_cndmask_b32_e32 v36, v148, v36, vcc
	v_lshl_or_b32 v35, v35, 10, v36
	v_perm_b32 v36, v30, v26, s63
	s_barrier
	ds_write2st64_b32 v35, v36, v37 offset0:128 offset1:160
	v_xor_b32_e32 v36, 8, v35
	v_perm_b32 v26, v30, v26, s64
	v_perm_b32 v18, v22, v18, s64
	v_add_u32_e32 v22, 0x80, v36
	ds_write2st64_b32 v22, v26, v18 offset0:128 offset1:160
	v_xor_b32_e32 v18, 16, v35
	v_perm_b32 v22, v31, v27, s63
	v_perm_b32 v26, v23, v19, s63
	ds_write2st64_b32 v18, v22, v26 offset0:129 offset1:161
	v_xor_b32_e32 v18, 24, v35
	v_perm_b32 v22, v31, v27, s64
	v_perm_b32 v19, v23, v19, s64
	v_add_u32_e32 v18, 0x80, v18
	ds_write2st64_b32 v18, v22, v19 offset0:129 offset1:161
	v_xor_b32_e32 v18, 32, v35
	v_perm_b32 v19, v32, v28, s63
	v_perm_b32 v22, v24, v20, s63
	;; [unrolled: 9-line block ×3, first 2 shown]
	ds_write2st64_b32 v18, v19, v20 offset0:131 offset1:163
	v_xor_b32_e32 v18, 56, v35
	v_perm_b32 v19, v33, v29, s64
	v_perm_b32 v20, v25, v21, s64
	v_add_u32_e32 v18, 0x80, v18
	ds_write2st64_b32 v18, v19, v20 offset0:131 offset1:163
	ds_write_b64 v147, v[14:15] offset:49152
	v_xor_b32_e32 v14, 8, v147
	ds_write_b64 v14, v[16:17] offset:49152
	ds_write_b64 v147, v[10:11] offset:57344
	;; [unrolled: 1-line block ×4, first 2 shown]
	v_xor_b32_e32 v6, 8, v146
	ds_write_b64 v6, v[8:9] offset:49152
	ds_write_b64 v146, v[2:3] offset:57344
	;; [unrolled: 1-line block ×3, first 2 shown]
	s_branch .LBB21_6
.LBB21_17:
	s_lshl_b32 s3, s53, 6
	s_sub_i32 s58, s58, s3
	s_cmp_gt_i32 s58, 0
	v_or_b32_e32 v18, s2, v89
	s_cbranch_scc1 .LBB21_19
; %bb.18:
	s_ashr_i32 s37, s49, 31
	v_or_b32_e32 v2, s2, v89
	s_cbranch_execz .LBB21_20
	s_branch .LBB21_100
.LBB21_19:
                                        ; implicit-def: $vgpr2
                                        ; implicit-def: $sgpr36_sgpr37
.LBB21_20:
	s_add_i32 s36, s3, s42
	s_ashr_i32 s3, s36, 31
	s_cmpk_lg_i32 s23, 0x80
	s_cselect_b64 s[44:45], -1, 0
	s_and_b64 vcc, exec, s[44:45]
	s_cbranch_vccz .LBB21_22
; %bb.21:
	s_mul_hi_i32 s0, s36, s22
	s_mul_i32 s1, s36, s22
	s_ashr_i32 s22, s57, 31
	s_add_u32 s46, s1, s57
	s_addc_u32 s47, s0, s22
	s_cbranch_execz .LBB21_23
	s_branch .LBB21_24
.LBB21_22:
                                        ; implicit-def: $sgpr46_sgpr47
.LBB21_23:
	s_mul_i32 s1, s57, s20
	s_mul_hi_i32 s0, s57, s20
	s_add_u32 s46, s1, s36
	s_addc_u32 s47, s0, s3
.LBB21_24:
	s_add_i32 s20, s53, s54
	s_ashr_i32 s37, s49, 31
	s_add_u32 s0, s56, s36
	v_lshlrev_b32_e32 v6, 6, v1
	v_lshlrev_b32_e32 v27, 2, v89
	s_addc_u32 s1, s55, s3
	s_mov_b32 s3, 0x7060302
	v_or_b32_e32 v9, v6, v27
	v_xor_b32_e32 v7, v1, v27
	v_perm_b32 v3, v77, v76, s3
	v_perm_b32 v2, v75, v74, s3
	;; [unrolled: 1-line block ×4, first 2 shown]
	v_lshlrev_b32_e32 v9, 1, v9
	v_xor_b32_e32 v8, v92, v27
	ds_write2st64_b64 v9, v[2:3], v[4:5] offset0:32 offset1:48
	v_lshlrev_b32_e32 v7, 1, v7
	v_lshlrev_b32_e32 v9, 8, v89
	v_or_b32_e32 v10, v7, v9
	v_lshlrev_b32_e32 v8, 1, v8
	ds_write_b64 v10, v[2:3]
	v_or_b32_e32 v2, v8, v9
	v_or_b32_e32 v9, 16, v89
	v_lshlrev_b32_e32 v25, 2, v9
	v_or_b32_e32 v10, v6, v25
	ds_write_b64 v2, v[4:5]
	v_perm_b32 v3, v69, v68, s3
	v_perm_b32 v2, v67, v66, s3
	;; [unrolled: 1-line block ×4, first 2 shown]
	v_lshlrev_b32_e32 v10, 1, v10
	v_lshlrev_b32_e32 v9, 8, v9
	ds_write2st64_b64 v10, v[2:3], v[4:5] offset0:32 offset1:48
	v_or_b32_e32 v10, v7, v9
	ds_write_b64 v10, v[2:3]
	v_or_b32_e32 v2, v8, v9
	v_or_b32_e32 v9, 32, v89
	v_lshlrev_b32_e32 v24, 2, v9
	v_or_b32_e32 v10, v6, v24
	ds_write_b64 v2, v[4:5]
	v_perm_b32 v3, v61, v60, s3
	v_perm_b32 v2, v59, v58, s3
	v_perm_b32 v5, v55, v54, s3
	v_perm_b32 v4, v57, v56, s3
	v_lshlrev_b32_e32 v10, 1, v10
	v_lshlrev_b32_e32 v9, 8, v9
	s_lshl_b64 s[38:39], s[0:1], 8
	ds_write2st64_b64 v10, v[2:3], v[4:5] offset0:32 offset1:48
	v_or_b32_e32 v10, v7, v9
	s_add_u32 s0, s14, s38
	ds_write_b64 v10, v[2:3]
	v_or_b32_e32 v2, v8, v9
	s_addc_u32 s1, s15, s39
	ds_write_b64 v2, v[4:5]
	v_perm_b32 v3, v53, v52, s3
	v_perm_b32 v2, v51, v50, s3
	;; [unrolled: 1-line block ×4, first 2 shown]
	v_or_b32_e32 v9, 48, v89
	s_mul_hi_i32 s3, s20, s21
	s_mul_i32 s20, s20, s21
	v_lshlrev_b32_e32 v21, 2, v9
	s_add_u32 s14, s20, s49
	v_or_b32_e32 v6, v6, v21
	s_addc_u32 s15, s3, s37
	v_lshlrev_b32_e32 v6, 1, v6
	s_ashr_i32 s3, s2, 31
	s_lshl_b64 s[14:15], s[14:15], 15
	ds_write2st64_b64 v6, v[2:3], v[4:5] offset0:32 offset1:48
	v_lshlrev_b32_e32 v6, 8, v9
	s_add_u32 s4, s4, s14
	v_or_b32_e32 v7, v7, v6
	s_addc_u32 s5, s5, s15
	s_lshl_b64 s[2:3], s[2:3], 8
	ds_write_b64 v7, v[2:3]
	v_or_b32_e32 v2, v8, v6
	s_add_u32 s2, s4, s2
	v_lshlrev_b32_e32 v3, 1, v89
	ds_write_b64 v2, v[4:5]
	v_lshrrev_b32_e32 v2, 4, v0
	s_addc_u32 s3, s5, s3
	v_or_b32_e32 v4, 1, v3
	v_lshlrev_b32_e32 v10, 4, v89
	v_mov_b32_e32 v11, 0
	v_xor_b32_e32 v3, v2, v3
	v_xor_b32_e32 v6, v4, v2
	v_lshl_add_u64 v[12:13], s[2:3], 0, v[10:11]
	v_lshlrev_b32_e32 v10, 8, v2
	v_lshl_or_b32 v16, v3, 3, v10
	v_lshl_or_b32 v17, v6, 3, v10
	s_waitcnt lgkmcnt(0)
	s_barrier
	ds_read2st64_b64 v[2:5], v16 offset1:8
	ds_read2st64_b64 v[6:9], v17 offset1:8
	v_lshl_add_u64 v[14:15], v[12:13], 0, v[10:11]
	s_movk_i32 s2, 0x2000
	s_cmp_lg_u32 s58, 64
	s_waitcnt lgkmcnt(1)
	v_mov_b32_e32 v10, v2
	v_mov_b32_e32 v11, v3
	s_waitcnt lgkmcnt(0)
	v_mov_b32_e32 v12, v6
	v_mov_b32_e32 v13, v7
	global_store_dwordx4 v[14:15], v[10:13], off
	v_mov_b32_e32 v6, v4
	v_mov_b32_e32 v7, v5
	ds_read2st64_b64 v[2:5], v16 offset0:16 offset1:24
	ds_read2st64_b64 v[10:13], v17 offset0:16 offset1:24
	v_add_co_u32_e32 v16, vcc, s2, v14
	s_cselect_b64 s[4:5], -1, 0
	s_nop 0
	v_addc_co_u32_e32 v17, vcc, 0, v15, vcc
	global_store_dwordx4 v[16:17], v[6:9], off offset:-4096
	v_lshl_or_b32 v19, v45, 3, v91
	s_mov_b32 s28, 0
	s_waitcnt lgkmcnt(1)
	v_mov_b32_e32 v6, v2
	v_add_co_u32_e32 v2, vcc, 0x3000, v14
	v_mov_b32_e32 v7, v3
	s_nop 0
	v_addc_co_u32_e32 v3, vcc, 0, v15, vcc
	s_waitcnt lgkmcnt(0)
	v_mov_b32_e32 v8, v10
	v_mov_b32_e32 v9, v11
	;; [unrolled: 1-line block ×4, first 2 shown]
	v_or_b32_e32 v22, 32, v19
	v_and_b32_e32 v20, 56, v90
	s_and_b64 vcc, exec, s[4:5]
	global_store_dwordx4 v[16:17], v[6:9], off
	global_store_dwordx4 v[2:3], v[10:13], off
	s_cbranch_vccz .LBB21_30
; %bb.25:
	s_mov_b32 s29, s28
	s_mov_b32 s30, s28
	;; [unrolled: 1-line block ×3, first 2 shown]
	v_mov_b64_e32 v[6:7], s[28:29]
	v_mov_b64_e32 v[8:9], s[30:31]
	;; [unrolled: 1-line block ×3, first 2 shown]
	v_cmp_gt_i32_e32 vcc, s58, v19
	v_mov_b64_e32 v[4:5], v[8:9]
	s_and_saveexec_b64 s[2:3], vcc
	s_cbranch_execz .LBB21_27
; %bb.26:
	v_lshlrev_b32_e32 v2, 8, v19
	v_mov_b32_e32 v3, 0
	v_lshl_add_u64 v[4:5], s[0:1], 0, v[2:3]
	v_lshlrev_b32_e32 v2, 1, v20
	v_lshl_add_u64 v[10:11], v[4:5], 0, v[2:3]
	global_load_dwordx4 v[6:9], v[10:11], off
	global_load_dwordx4 v[2:5], v[10:11], off offset:128
.LBB21_27:
	s_or_b64 exec, exec, s[2:3]
	s_mov_b32 s29, s28
	s_mov_b32 s30, s28
	;; [unrolled: 1-line block ×3, first 2 shown]
	v_mov_b64_e32 v[14:15], s[28:29]
	v_mov_b64_e32 v[16:17], s[30:31]
	;; [unrolled: 1-line block ×3, first 2 shown]
	v_cmp_gt_i32_e32 vcc, s58, v22
	v_lshlrev_b32_e32 v23, 7, v22
	v_mov_b64_e32 v[12:13], v[16:17]
	s_and_saveexec_b64 s[2:3], vcc
	s_cbranch_execz .LBB21_29
; %bb.28:
	v_lshlrev_b32_e32 v10, 1, v23
	v_mov_b32_e32 v11, 0
	v_lshl_add_u64 v[12:13], s[0:1], 0, v[10:11]
	v_lshlrev_b32_e32 v10, 1, v20
	v_lshl_add_u64 v[28:29], v[12:13], 0, v[10:11]
	global_load_dwordx4 v[14:17], v[28:29], off
	global_load_dwordx4 v[10:13], v[28:29], off offset:128
.LBB21_29:
	s_or_b64 exec, exec, s[2:3]
	v_lshrrev_b32_e32 v26, 3, v20
	v_lshlrev_b32_e32 v28, 3, v19
	v_or_b32_e32 v26, v28, v26
	v_lshlrev_b32_e32 v26, 4, v26
	v_and_b32_e32 v28, 0x78, v28
	v_xor_b32_e32 v26, v26, v28
	s_branch .LBB21_32
.LBB21_30:
                                        ; implicit-def: $vgpr26
                                        ; implicit-def: $vgpr23
                                        ; implicit-def: $vgpr6_vgpr7_vgpr8_vgpr9
                                        ; implicit-def: $vgpr2_vgpr3_vgpr4_vgpr5
                                        ; implicit-def: $vgpr14_vgpr15_vgpr16_vgpr17
                                        ; implicit-def: $vgpr10_vgpr11_vgpr12_vgpr13
	s_cbranch_execz .LBB21_32
; %bb.31:
	s_waitcnt vmcnt(0)
	v_lshlrev_b32_e32 v2, 1, v20
	v_lshl_or_b32 v23, v19, 8, v2
	s_and_b32 s1, s1, 0xffff
	s_mov_b32 s3, 0x20000
	s_movk_i32 s2, 0x4000
	v_lshl_or_b32 v26, v22, 8, v2
	s_movk_i32 s14, 0x80
	buffer_load_dwordx4 v[6:9], v23, s[0:3], 0 offen
	buffer_load_dwordx4 v[2:5], v23, s[0:3], s14 offen
	buffer_load_dwordx4 v[14:17], v26, s[0:3], 0 offen
	buffer_load_dwordx4 v[10:13], v26, s[0:3], s14 offen
	v_lshrrev_b32_e32 v23, 3, v20
	v_lshlrev_b32_e32 v26, 3, v19
	v_or_b32_e32 v23, v26, v23
	v_lshlrev_b32_e32 v23, 4, v23
	v_and_b32_e32 v26, 0x78, v26
	v_xor_b32_e32 v26, v23, v26
	v_lshlrev_b32_e32 v23, 7, v22
.LBB21_32:
	s_movk_i32 s0, 0x1000
	v_and_or_b32 v22, v23, s0, v26
	s_waitcnt vmcnt(1)
	ds_write_b64 v26, v[6:7] offset:49152
	v_xor_b32_e32 v6, 8, v26
	ds_write_b64 v6, v[8:9] offset:49152
	s_waitcnt vmcnt(0)
	ds_write_b64 v26, v[2:3] offset:57344
	ds_write_b64 v6, v[4:5] offset:57344
	;; [unrolled: 1-line block ×3, first 2 shown]
	v_xor_b32_e32 v2, 8, v22
	ds_write_b64 v2, v[16:17] offset:49152
	ds_write_b64 v22, v[10:11] offset:57344
	;; [unrolled: 1-line block ×3, first 2 shown]
	v_or_b32_e32 v2, v86, v89
	v_lshlrev_b32_e32 v2, 3, v2
	v_lshrrev_b32_e32 v3, 5, v87
	s_movk_i32 s0, 0xf8
	v_and_or_b32 v3, v2, s0, v3
	v_lshlrev_b32_e32 v7, 4, v3
	v_lshlrev_b32_e32 v26, 11, v45
	v_and_b32_e32 v8, 0x78, v2
	v_or_b32_e32 v10, 32, v7
	v_and_b32_e32 v6, 0x1000, v26
	v_lshrrev_b32_e32 v3, 1, v87
	v_xor_b32_e32 v10, v10, v8
	v_xor_b32_e32 v2, v7, v8
	v_and_b32_e32 v9, 8, v3
	v_or_b32_e32 v10, v10, v6
	v_or_b32_e32 v2, v2, v6
	v_xor_b32_e32 v33, v10, v9
	v_or_b32_e32 v10, 64, v7
	v_xor_b32_e32 v32, v2, v9
	v_xor_b32_e32 v10, v10, v8
	s_waitcnt lgkmcnt(0)
	s_barrier
	v_or_b32_e32 v13, v10, v6
	ds_read_b64 v[10:11], v32 offset:49152
	v_lshl_or_b32 v14, v88, 8, v27
	v_lshlrev_b32_e32 v28, 1, v14
	v_add_u32_e32 v12, 0x4000, v28
	ds_read2_b64 v[2:5], v12 offset1:16
	v_or_b32_e32 v7, 0x60, v7
	v_xor_b32_e32 v7, v7, v8
	v_or_b32_e32 v6, v7, v6
	v_xor_b32_e32 v34, v13, v9
	v_xor_b32_e32 v35, v6, v9
	ds_read_b64 v[22:23], v33 offset:49152
	ds_read_b64 v[36:37], v34 offset:49152
	ds_read_b64 v[38:39], v35 offset:49152
	s_waitcnt lgkmcnt(3)
	v_mfma_f32_16x16x16_bf16 a[0:3], v[10:11], v[2:3], 0
	ds_read2_b64 v[6:9], v12 offset0:32 offset1:48
	s_lshl_b64 s[0:1], s[46:47], 8
	s_add_u32 s12, s12, s0
	v_mfma_f32_16x16x16_bf16 a[4:7], v[10:11], v[4:5], 0
	ds_read2st64_b64 v[2:5], v28 offset0:36 offset1:40
	s_addc_u32 s13, s13, s1
	s_add_i32 s22, s43, -1
	s_waitcnt lgkmcnt(1)
	v_mfma_f32_16x16x16_bf16 a[8:11], v[10:11], v[6:7], 0
	v_or_b32_e32 v6, 64, v14
	v_lshlrev_b32_e32 v29, 1, v6
	s_add_i32 s0, s51, s50
	s_waitcnt lgkmcnt(0)
	v_mfma_f32_16x16x16_bf16 a[0:3], v[22:23], v[2:3], a[0:3]
	v_or_b32_e32 v2, 0x80, v14
	v_lshlrev_b32_e32 v30, 1, v2
	v_or_b32_e32 v2, 0xc0, v14
	v_mfma_f32_16x16x16_bf16 a[12:15], v[10:11], v[8:9], 0
	ds_read2st64_b64 v[6:9], v29 offset0:36 offset1:40
	v_lshlrev_b32_e32 v31, 1, v2
	ds_read2st64_b64 v[10:13], v30 offset0:36 offset1:40
	ds_read2st64_b64 v[14:17], v31 offset0:36 offset1:40
	s_add_i32 s25, s0, s52
	s_mul_i32 s0, s49, s27
	s_mul_hi_u32 s1, s49, s26
	s_ashr_i32 s2, s22, 31
	s_mul_i32 s3, s22, s11
	s_mul_hi_u32 s14, s22, s10
	s_waitcnt lgkmcnt(2)
	v_mfma_f32_16x16x16_bf16 a[4:7], v[22:23], v[6:7], a[4:7]
	s_add_i32 s0, s1, s0
	s_mul_i32 s1, s37, s26
	s_add_i32 s3, s14, s3
	s_mul_i32 s2, s2, s10
	s_waitcnt lgkmcnt(1)
	v_mfma_f32_16x16x16_bf16 a[8:11], v[22:23], v[10:11], a[8:11]
	s_add_i32 s1, s0, s1
	s_add_i32 s3, s3, s2
	s_lshl_b64 s[14:15], s[24:25], 2
	s_waitcnt lgkmcnt(0)
	v_mfma_f32_16x16x16_bf16 a[12:15], v[22:23], v[14:15], a[12:15]
	s_mul_i32 s0, s49, s26
	s_add_u32 s14, s18, s14
	s_addc_u32 s15, s19, s15
	s_lshl_b64 s[0:1], s[0:1], 2
	v_mfma_f32_16x16x16_bf16 a[0:3], v[36:37], v[4:5], a[0:3]
	s_mul_i32 s2, s22, s10
	ds_read_b64 v[2:3], v28 offset:22528
	s_add_u32 s18, s14, s0
	v_mfma_f32_16x16x16_bf16 a[4:7], v[36:37], v[8:9], a[4:7]
	ds_read_b64 v[4:5], v29 offset:22528
	ds_read_b64 v[6:7], v30 offset:22528
	;; [unrolled: 1-line block ×3, first 2 shown]
	s_addc_u32 s19, s15, s1
	s_lshl_b64 s[0:1], s[2:3], 2
	v_mfma_f32_16x16x16_bf16 a[8:11], v[36:37], v[12:13], a[8:11]
	s_add_u32 s0, s18, s0
	s_addc_u32 s1, s19, s1
	s_load_dword s20, s[0:1], 0x0
	v_mfma_f32_16x16x16_bf16 a[12:15], v[36:37], v[16:17], a[12:15]
	s_and_b64 vcc, exec, s[44:45]
	s_waitcnt lgkmcnt(0)
	v_mfma_f32_16x16x16_bf16 a[0:3], v[38:39], v[2:3], a[0:3]
	v_mfma_f32_16x16x16_bf16 a[4:7], v[38:39], v[4:5], a[4:7]
	;; [unrolled: 1-line block ×4, first 2 shown]
	s_cbranch_vccz .LBB21_43
; %bb.33:
	v_lshlrev_b32_e32 v22, 1, v19
	s_and_b64 vcc, exec, s[4:5]
	s_cbranch_vccz .LBB21_44
; %bb.34:
	v_cmp_gt_i32_e32 vcc, s58, v22
	v_mov_b32_e32 v6, 0
	v_mov_b32_e32 v2, 0
	;; [unrolled: 1-line block ×5, first 2 shown]
	s_and_saveexec_b64 s[0:1], vcc
	s_cbranch_execz .LBB21_36
; %bb.35:
	v_mad_i64_i32 v[2:3], s[2:3], s23, v22, 0
	v_lshl_add_u64 v[2:3], v[2:3], 1, s[12:13]
	v_lshlrev_b32_e32 v4, 1, v20
	v_mov_b32_e32 v5, 0
	v_lshl_add_u64 v[2:3], v[2:3], 0, v[4:5]
	global_load_dwordx4 v[2:5], v[2:3], off
.LBB21_36:
	s_or_b64 exec, exec, s[0:1]
	v_or_b32_e32 v23, 1, v22
	v_cmp_gt_i32_e64 s[0:1], s58, v23
	v_mov_b32_e32 v7, 0
	v_mov_b32_e32 v8, 0
	;; [unrolled: 1-line block ×3, first 2 shown]
	s_and_saveexec_b64 s[2:3], s[0:1]
	s_cbranch_execz .LBB21_38
; %bb.37:
	v_mad_i64_i32 v[6:7], s[14:15], s23, v23, 0
	v_lshl_add_u64 v[6:7], v[6:7], 1, s[12:13]
	v_lshlrev_b32_e32 v8, 1, v20
	v_mov_b32_e32 v9, 0
	v_lshl_add_u64 v[6:7], v[6:7], 0, v[8:9]
	global_load_dwordx4 v[6:9], v[6:7], off
.LBB21_38:
	s_or_b64 exec, exec, s[2:3]
	v_mov_b32_e32 v17, 0
	v_mov_b32_e32 v10, 0
	v_mov_b32_e32 v11, 0
	v_mov_b32_e32 v12, 0
	v_mov_b32_e32 v13, 0
	s_and_saveexec_b64 s[2:3], vcc
	s_cbranch_execz .LBB21_40
; %bb.39:
	v_mad_i64_i32 v[10:11], s[14:15], s23, v22, 0
	v_lshl_add_u64 v[10:11], v[10:11], 1, s[12:13]
	v_lshlrev_b32_e32 v12, 1, v20
	v_mov_b32_e32 v13, 0
	v_lshl_add_u64 v[10:11], v[10:11], 0, v[12:13]
	global_load_dwordx4 v[10:13], v[10:11], off offset:128
.LBB21_40:
	s_or_b64 exec, exec, s[2:3]
	v_mov_b32_e32 v16, 0
	v_mov_b32_e32 v15, 0
	;; [unrolled: 1-line block ×3, first 2 shown]
	s_and_saveexec_b64 s[2:3], s[0:1]
	s_cbranch_execz .LBB21_42
; %bb.41:
	v_mad_i64_i32 v[14:15], s[0:1], s23, v23, 0
	v_lshl_add_u64 v[14:15], v[14:15], 1, s[12:13]
	v_lshlrev_b32_e32 v16, 1, v20
	v_mov_b32_e32 v17, 0
	v_lshl_add_u64 v[14:15], v[14:15], 0, v[16:17]
	global_load_dwordx4 v[14:17], v[14:15], off offset:128
.LBB21_42:
	s_or_b64 exec, exec, s[2:3]
	s_branch .LBB21_46
.LBB21_43:
                                        ; implicit-def: $vgpr5
                                        ; implicit-def: $vgpr9
                                        ; implicit-def: $vgpr13
                                        ; implicit-def: $vgpr17
	v_lshrrev_b32_e32 v36, 2, v87
	s_branch .LBB21_47
.LBB21_44:
                                        ; implicit-def: $vgpr5
                                        ; implicit-def: $vgpr9
                                        ; implicit-def: $vgpr13
                                        ; implicit-def: $vgpr17
	s_cbranch_execz .LBB21_46
; %bb.45:
	s_waitcnt vmcnt(0)
	v_mad_u64_u32 v[2:3], s[0:1], v22, s23, v[20:21]
	v_lshlrev_b32_e32 v22, 1, v2
	s_lshl_b32 s2, s23, 7
	s_and_b32 s1, s13, 0xffff
	s_mov_b32 s3, 0x20000
	s_mov_b32 s0, s12
	v_add_lshl_u32 v23, v2, s23, 1
	s_movk_i32 s14, 0x80
	buffer_load_dwordx4 v[2:5], v22, s[0:3], 0 offen
	buffer_load_dwordx4 v[10:13], v22, s[0:3], s14 offen
	;; [unrolled: 1-line block ×4, first 2 shown]
.LBB21_46:
	v_lshrrev_b32_e32 v36, 2, v87
	s_cbranch_execnz .LBB21_59
.LBB21_47:
	s_and_b64 vcc, exec, s[4:5]
	s_cbranch_vccz .LBB21_57
; %bb.48:
	s_waitcnt vmcnt(0)
	v_lshlrev_b32_e32 v7, 1, v19
	v_cmp_gt_i32_e32 vcc, s58, v7
	v_mov_b32_e32 v6, 0
	v_lshlrev_b32_e32 v14, 9, v19
	v_mov_b32_e32 v2, 0
	v_mov_b32_e32 v3, 0
	;; [unrolled: 1-line block ×4, first 2 shown]
	s_and_saveexec_b64 s[0:1], vcc
	s_cbranch_execz .LBB21_50
; %bb.49:
	v_mov_b32_e32 v15, 0
	v_lshl_add_u64 v[2:3], s[12:13], 0, v[14:15]
	v_lshlrev_b32_e32 v4, 1, v20
	v_mov_b32_e32 v5, v15
	v_lshl_add_u64 v[2:3], v[2:3], 0, v[4:5]
	global_load_dwordx4 v[2:5], v[2:3], off
.LBB21_50:
	s_or_b64 exec, exec, s[0:1]
	v_or_b32_e32 v7, 1, v7
	v_cmp_gt_i32_e64 s[0:1], s58, v7
	v_lshlrev_b32_e32 v22, 8, v7
	v_mov_b32_e32 v7, 0
	v_mov_b32_e32 v8, 0
	;; [unrolled: 1-line block ×3, first 2 shown]
	s_and_saveexec_b64 s[2:3], s[0:1]
	s_cbranch_execz .LBB21_52
; %bb.51:
	v_mov_b32_e32 v23, 0
	v_lshl_add_u64 v[6:7], s[12:13], 0, v[22:23]
	v_lshlrev_b32_e32 v8, 1, v20
	v_mov_b32_e32 v9, v23
	v_lshl_add_u64 v[6:7], v[6:7], 0, v[8:9]
	global_load_dwordx4 v[6:9], v[6:7], off
.LBB21_52:
	s_or_b64 exec, exec, s[2:3]
	v_mov_b32_e32 v17, 0
	v_mov_b32_e32 v10, 0
	;; [unrolled: 1-line block ×5, first 2 shown]
	s_and_saveexec_b64 s[2:3], vcc
	s_cbranch_execz .LBB21_54
; %bb.53:
	v_mov_b32_e32 v15, 0
	v_lshl_add_u64 v[10:11], s[12:13], 0, v[14:15]
	v_lshlrev_b32_e32 v14, 1, v20
	v_lshl_add_u64 v[10:11], v[10:11], 0, v[14:15]
	global_load_dwordx4 v[10:13], v[10:11], off offset:128
.LBB21_54:
	s_or_b64 exec, exec, s[2:3]
	v_mov_b32_e32 v16, 0
	v_mov_b32_e32 v15, 0
	;; [unrolled: 1-line block ×3, first 2 shown]
	s_and_saveexec_b64 s[2:3], s[0:1]
	s_cbranch_execz .LBB21_56
; %bb.55:
	v_mov_b32_e32 v23, 0
	v_lshl_add_u64 v[14:15], s[12:13], 0, v[22:23]
	v_lshlrev_b32_e32 v22, 1, v20
	v_lshl_add_u64 v[14:15], v[14:15], 0, v[22:23]
	global_load_dwordx4 v[14:17], v[14:15], off offset:128
.LBB21_56:
	s_or_b64 exec, exec, s[2:3]
	s_branch .LBB21_59
.LBB21_57:
                                        ; implicit-def: $vgpr5
                                        ; implicit-def: $vgpr9
                                        ; implicit-def: $vgpr13
                                        ; implicit-def: $vgpr17
	s_cbranch_execz .LBB21_59
; %bb.58:
	s_waitcnt vmcnt(0)
	v_lshlrev_b32_e32 v2, 1, v20
	v_lshl_or_b32 v20, v19, 9, v2
	s_and_b32 s13, s13, 0xffff
	s_mov_b32 s15, 0x20000
	s_movk_i32 s14, 0x4000
	s_movk_i32 s0, 0x80
	buffer_load_dwordx4 v[2:5], v20, s[12:15], 0 offen
	buffer_load_dwordx4 v[6:9], v20, s[12:15], 0 offen offset:256
	buffer_load_dwordx4 v[10:13], v20, s[12:15], s0 offen
	buffer_load_dwordx4 v[14:17], v20, s[12:15], s0 offen offset:256
.LBB21_59:
	ds_read_b64 v[22:23], v32 offset:57344
	v_add_u32_e32 v20, 0x6000, v28
	ds_read2_b64 v[38:41], v20 offset1:16
	ds_read_b64 v[82:83], v33 offset:57344
	ds_read_b64 v[84:85], v34 offset:57344
	;; [unrolled: 1-line block ×3, first 2 shown]
	ds_read2_b64 v[32:35], v20 offset0:32 offset1:48
	v_and_b32_e32 v20, 12, v36
	v_and_b32_e32 v44, 6, v0
	v_xor_b32_e32 v19, v19, v44
	v_lshlrev_b32_e32 v19, 2, v19
	s_mov_b32 s0, 0x1000504
	s_waitcnt lgkmcnt(4)
	v_mfma_f32_16x16x16_bf16 a[4:7], v[22:23], v[40:41], a[4:7]
	s_mov_b32 s1, 0x3020706
	v_mfma_f32_16x16x16_bf16 a[0:3], v[22:23], v[38:39], a[0:3]
	ds_read2st64_b64 v[36:39], v28 offset0:52 offset1:56
	s_waitcnt lgkmcnt(1)
	v_mfma_f32_16x16x16_bf16 a[8:11], v[22:23], v[32:33], a[8:11]
	v_mfma_f32_16x16x16_bf16 a[12:15], v[22:23], v[34:35], a[12:15]
	ds_read2st64_b64 v[32:35], v29 offset0:52 offset1:56
	ds_read2st64_b64 v[40:43], v30 offset0:52 offset1:56
	;; [unrolled: 1-line block ×3, first 2 shown]
	s_waitcnt lgkmcnt(2)
	v_mfma_f32_16x16x16_bf16 a[4:7], v[82:83], v[32:33], a[4:7]
	v_and_b32_e32 v32, 1, v0
	v_xor_b32_e32 v33, 0x440, v19
	v_cmp_eq_u32_e32 vcc, 0, v32
	v_mfma_f32_16x16x16_bf16 a[0:3], v[82:83], v[36:37], a[0:3]
	s_waitcnt vmcnt(0)
	v_perm_b32 v32, v2, v6, s0
	v_cndmask_b32_e32 v19, v33, v19, vcc
	v_lshl_or_b32 v19, v44, 10, v19
	s_waitcnt lgkmcnt(1)
	v_mfma_f32_16x16x16_bf16 a[8:11], v[82:83], v[40:41], a[8:11]
	v_perm_b32 v33, v10, v14, s0
	ds_read_b64 v[22:23], v28 offset:30720
	ds_read_b64 v[36:37], v29 offset:30720
	;; [unrolled: 1-line block ×4, first 2 shown]
	ds_write2st64_b32 v19, v32, v33 offset0:128 offset1:160
	s_waitcnt lgkmcnt(5)
	v_mfma_f32_16x16x16_bf16 a[12:15], v[82:83], v[78:79], a[12:15]
	v_xor_b32_e32 v32, 8, v19
	v_perm_b32 v2, v2, v6, s1
	v_perm_b32 v6, v10, v14, s1
	v_add_u32_e32 v10, 0x80, v32
	ds_write2st64_b32 v10, v2, v6 offset0:128 offset1:160
	v_xor_b32_e32 v2, 16, v19
	v_perm_b32 v6, v3, v7, s0
	v_perm_b32 v10, v11, v15, s0
	v_mfma_f32_16x16x16_bf16 a[0:3], v[84:85], v[38:39], a[0:3]
	ds_write2st64_b32 v2, v6, v10 offset0:129 offset1:161
	v_xor_b32_e32 v2, 24, v19
	v_perm_b32 v3, v3, v7, s1
	v_mfma_f32_16x16x16_bf16 a[4:7], v[84:85], v[34:35], a[4:7]
	v_perm_b32 v6, v11, v15, s1
	v_add_u32_e32 v2, 0x80, v2
	ds_write2st64_b32 v2, v3, v6 offset0:129 offset1:161
	v_mfma_f32_16x16x16_bf16 a[16:19], v[84:85], v[42:43], a[8:11]
	v_xor_b32_e32 v2, 32, v19
	v_perm_b32 v3, v4, v8, s0
	v_perm_b32 v6, v12, v16, s0
	v_mfma_f32_16x16x16_bf16 a[20:23], v[84:85], v[80:81], a[12:15]
	ds_write2st64_b32 v2, v3, v6 offset0:130 offset1:162
	v_xor_b32_e32 v2, 40, v19
	v_perm_b32 v3, v4, v8, s1
	s_waitcnt lgkmcnt(8)
	v_mfma_f32_16x16x16_bf16 a[12:15], v[88:89], v[22:23], a[0:3]
	v_perm_b32 v4, v12, v16, s1
	v_add_u32_e32 v2, 0x80, v2
	ds_write2st64_b32 v2, v3, v4 offset0:130 offset1:162
	s_waitcnt lgkmcnt(8)
	v_mfma_f32_16x16x16_bf16 a[8:11], v[88:89], v[36:37], a[4:7]
	v_xor_b32_e32 v2, 48, v19
	v_perm_b32 v3, v5, v9, s0
	v_perm_b32 v4, v13, v17, s0
	s_waitcnt lgkmcnt(7)
	v_mfma_f32_16x16x16_bf16 a[4:7], v[88:89], v[90:91], a[16:19]
	ds_write2st64_b32 v2, v3, v4 offset0:131 offset1:163
	v_xor_b32_e32 v2, 56, v19
	v_or_b32_e32 v22, v20, v86
	s_waitcnt lgkmcnt(7)
	v_mfma_f32_16x16x16_bf16 a[0:3], v[88:89], v[92:93], a[20:23]
	v_perm_b32 v3, v5, v9, s1
	v_perm_b32 v4, v13, v17, s1
	v_add_u32_e32 v2, 0x80, v2
	v_cmp_gt_i32_e64 s[0:1], s58, v22
	v_mov_b32_e32 v32, 0
	v_mov_b32_e32 v33, 0
	ds_write2st64_b32 v2, v3, v4 offset0:131 offset1:163
	s_and_saveexec_b64 s[2:3], s[0:1]
	s_cbranch_execz .LBB21_61
; %bb.60:
	v_add_u32_e32 v2, s36, v22
	v_ashrrev_i32_e32 v3, 31, v2
	v_mul_lo_u32 v4, v3, s10
	v_mul_lo_u32 v5, v2, s11
	v_mad_u64_u32 v[2:3], s[4:5], v2, s10, 0
	v_add3_u32 v3, v3, v5, v4
	v_lshl_add_u64 v[2:3], v[2:3], 2, s[18:19]
	global_load_dword v2, v[2:3], off
	s_waitcnt vmcnt(0)
	v_sub_f32_e32 v2, s20, v2
	v_exp_f32_e32 v33, v2
.LBB21_61:
	s_or_b64 exec, exec, s[2:3]
	v_or_b32_e32 v14, 1, v22
	v_cmp_gt_i32_e64 s[4:5], s58, v14
	s_and_saveexec_b64 s[2:3], s[4:5]
	s_cbranch_execz .LBB21_63
; %bb.62:
	v_add_u32_e32 v2, s36, v14
	v_ashrrev_i32_e32 v3, 31, v2
	v_mul_lo_u32 v4, v3, s10
	v_mul_lo_u32 v5, v2, s11
	v_mad_u64_u32 v[2:3], s[12:13], v2, s10, 0
	v_add3_u32 v3, v3, v5, v4
	v_lshl_add_u64 v[2:3], v[2:3], 2, s[18:19]
	global_load_dword v2, v[2:3], off
	s_waitcnt vmcnt(0)
	v_sub_f32_e32 v2, s20, v2
	v_exp_f32_e32 v32, v2
.LBB21_63:
	s_or_b64 exec, exec, s[2:3]
	v_or_b32_e32 v10, 2, v22
	v_cmp_gt_i32_e64 s[2:3], s58, v10
	v_mov_b32_e32 v23, 0
	v_mov_b32_e32 v34, 0
	s_and_saveexec_b64 s[12:13], s[2:3]
	s_cbranch_execz .LBB21_65
; %bb.64:
	v_add_u32_e32 v2, s36, v10
	v_ashrrev_i32_e32 v3, 31, v2
	v_mul_lo_u32 v4, v3, s10
	v_mul_lo_u32 v5, v2, s11
	v_mad_u64_u32 v[2:3], s[14:15], v2, s10, 0
	v_add3_u32 v3, v3, v5, v4
	v_lshl_add_u64 v[2:3], v[2:3], 2, s[18:19]
	global_load_dword v2, v[2:3], off
	s_waitcnt vmcnt(0)
	v_sub_f32_e32 v2, s20, v2
	v_exp_f32_e32 v34, v2
.LBB21_65:
	s_or_b64 exec, exec, s[12:13]
	v_or_b32_e32 v11, 3, v22
	v_cmp_gt_i32_e32 vcc, s58, v11
	s_and_saveexec_b64 s[12:13], vcc
	s_cbranch_execz .LBB21_67
; %bb.66:
	v_add_u32_e32 v2, s36, v11
	v_ashrrev_i32_e32 v3, 31, v2
	v_mul_lo_u32 v4, v3, s10
	v_mul_lo_u32 v5, v2, s11
	v_mad_u64_u32 v[2:3], s[10:11], v2, s10, 0
	v_add3_u32 v3, v3, v5, v4
	v_lshl_add_u64 v[2:3], v[2:3], 2, s[18:19]
	global_load_dword v2, v[2:3], off
	s_waitcnt vmcnt(0)
	v_sub_f32_e32 v2, s20, v2
	v_exp_f32_e32 v23, v2
.LBB21_67:
	s_or_b64 exec, exec, s[12:13]
	s_add_u32 s10, s16, s38
	s_addc_u32 s11, s17, s39
	s_add_u32 s6, s6, s38
	v_ashrrev_i32_e32 v19, 31, v18
	v_accvgpr_read_b32 v2, a12
	s_addc_u32 s7, s7, s39
	v_lshlrev_b64 v[6:7], 1, v[18:19]
	v_accvgpr_read_b32 v3, a13
	v_accvgpr_read_b32 v4, a14
	;; [unrolled: 1-line block ×3, first 2 shown]
	v_lshl_add_u64 v[8:9], s[10:11], 0, v[6:7]
	v_lshl_add_u64 v[6:7], s[6:7], 0, v[6:7]
	v_mov_b32_e32 v15, 0
	v_lshlrev_b32_e32 v12, 8, v22
	v_mov_b32_e32 v13, 0
	s_and_saveexec_b64 s[6:7], s[0:1]
	s_cbranch_execz .LBB21_69
; %bb.68:
	v_mov_b32_e32 v13, 0
	v_lshl_add_u64 v[16:17], v[8:9], 0, v[12:13]
	global_load_ushort v19, v[16:17], off
	v_lshl_add_u64 v[16:17], v[6:7], 0, v[12:13]
	s_waitcnt vmcnt(0)
	v_lshlrev_b32_e32 v13, 16, v19
	v_sub_f32_e32 v2, v13, v2
	global_store_short_d16_hi v[16:17], v2, off
	v_mul_f32_e32 v2, v33, v2
	v_lshrrev_b32_e32 v13, 16, v2
.LBB21_69:
	s_or_b64 exec, exec, s[6:7]
	v_lshlrev_b32_e32 v14, 8, v14
	s_and_saveexec_b64 s[6:7], s[4:5]
	s_cbranch_execz .LBB21_71
; %bb.70:
	v_mov_b32_e32 v15, 0
	v_lshl_add_u64 v[16:17], v[8:9], 0, v[14:15]
	global_load_ushort v2, v[16:17], off
	v_lshl_add_u64 v[16:17], v[6:7], 0, v[14:15]
	s_waitcnt vmcnt(0)
	v_lshlrev_b32_e32 v2, 16, v2
	v_sub_f32_e32 v2, v2, v3
	global_store_short_d16_hi v[16:17], v2, off
	v_mul_f32_e32 v2, v32, v2
	v_lshrrev_b32_e32 v15, 16, v2
.LBB21_71:
	s_or_b64 exec, exec, s[6:7]
	v_mov_b32_e32 v35, 0
	v_lshlrev_b32_e32 v16, 8, v10
	v_mov_b32_e32 v17, 0
	s_and_saveexec_b64 s[6:7], s[2:3]
	s_cbranch_execz .LBB21_73
; %bb.72:
	v_mov_b32_e32 v17, 0
	v_lshl_add_u64 v[2:3], v[8:9], 0, v[16:17]
	global_load_ushort v10, v[2:3], off
	v_lshl_add_u64 v[2:3], v[6:7], 0, v[16:17]
	s_waitcnt vmcnt(0)
	v_lshlrev_b32_e32 v10, 16, v10
	v_sub_f32_e32 v4, v10, v4
	global_store_short_d16_hi v[2:3], v4, off
	v_mul_f32_e32 v2, v34, v4
	v_lshrrev_b32_e32 v17, 16, v2
.LBB21_73:
	s_or_b64 exec, exec, s[6:7]
	v_lshlrev_b32_e32 v10, 8, v11
	s_and_saveexec_b64 s[6:7], vcc
	s_cbranch_execz .LBB21_75
; %bb.74:
	v_mov_b32_e32 v11, 0
	v_lshl_add_u64 v[2:3], v[8:9], 0, v[10:11]
	global_load_ushort v4, v[2:3], off
	v_lshl_add_u64 v[2:3], v[6:7], 0, v[10:11]
	s_waitcnt vmcnt(0)
	v_lshlrev_b32_e32 v4, 16, v4
	v_sub_f32_e32 v4, v4, v5
	global_store_short_d16_hi v[2:3], v4, off
	v_mul_f32_e32 v2, v23, v4
	v_lshrrev_b32_e32 v35, 16, v2
.LBB21_75:
	s_or_b64 exec, exec, s[6:7]
	v_lshlrev_b32_e32 v19, 6, v22
	v_accvgpr_read_b32 v2, a8
	s_mov_b32 s6, 0x5040100
	v_or_b32_e32 v11, v19, v27
	v_accvgpr_read_b32 v3, a9
	v_accvgpr_read_b32 v4, a10
	;; [unrolled: 1-line block ×3, first 2 shown]
	v_perm_b32 v37, v35, v17, s6
	v_perm_b32 v36, v15, v13, s6
	v_lshlrev_b32_e32 v11, 1, v11
	v_mov_b32_e32 v15, 0
	v_mov_b32_e32 v13, 0
	ds_write_b64 v11, v[36:37] offset:24576
	s_and_saveexec_b64 s[6:7], s[0:1]
	s_cbranch_execz .LBB21_77
; %bb.76:
	v_mov_b32_e32 v13, 0
	v_lshl_add_u64 v[36:37], v[8:9], 0, v[12:13]
	global_load_ushort v11, v[36:37], off offset:32
	v_lshl_add_u64 v[36:37], v[6:7], 0, v[12:13]
	s_waitcnt vmcnt(0)
	v_lshlrev_b32_e32 v11, 16, v11
	v_sub_f32_e32 v2, v11, v2
	global_store_short_d16_hi v[36:37], v2, off offset:32
	v_mul_f32_e32 v2, v33, v2
	v_lshrrev_b32_e32 v13, 16, v2
.LBB21_77:
	s_or_b64 exec, exec, s[6:7]
	s_and_saveexec_b64 s[6:7], s[4:5]
	s_cbranch_execz .LBB21_79
; %bb.78:
	v_mov_b32_e32 v15, 0
	v_lshl_add_u64 v[36:37], v[8:9], 0, v[14:15]
	global_load_ushort v2, v[36:37], off offset:32
	v_lshl_add_u64 v[36:37], v[6:7], 0, v[14:15]
	s_waitcnt vmcnt(0)
	v_lshlrev_b32_e32 v2, 16, v2
	v_sub_f32_e32 v2, v2, v3
	global_store_short_d16_hi v[36:37], v2, off offset:32
	v_mul_f32_e32 v2, v32, v2
	v_lshrrev_b32_e32 v15, 16, v2
.LBB21_79:
	s_or_b64 exec, exec, s[6:7]
	v_mov_b32_e32 v11, 0
	v_mov_b32_e32 v17, 0
	s_and_saveexec_b64 s[6:7], s[2:3]
	s_cbranch_execz .LBB21_81
; %bb.80:
	v_mov_b32_e32 v17, 0
	v_lshl_add_u64 v[2:3], v[8:9], 0, v[16:17]
	global_load_ushort v27, v[2:3], off offset:32
	v_lshl_add_u64 v[2:3], v[6:7], 0, v[16:17]
	s_waitcnt vmcnt(0)
	v_lshlrev_b32_e32 v17, 16, v27
	v_sub_f32_e32 v4, v17, v4
	global_store_short_d16_hi v[2:3], v4, off offset:32
	v_mul_f32_e32 v2, v34, v4
	v_lshrrev_b32_e32 v17, 16, v2
.LBB21_81:
	s_or_b64 exec, exec, s[6:7]
	s_and_saveexec_b64 s[6:7], vcc
	s_cbranch_execz .LBB21_83
; %bb.82:
	v_mov_b32_e32 v11, 0
	v_lshl_add_u64 v[2:3], v[8:9], 0, v[10:11]
	global_load_ushort v4, v[2:3], off offset:32
	v_lshl_add_u64 v[2:3], v[6:7], 0, v[10:11]
	s_waitcnt vmcnt(0)
	v_lshlrev_b32_e32 v4, 16, v4
	v_sub_f32_e32 v4, v4, v5
	global_store_short_d16_hi v[2:3], v4, off offset:32
	v_mul_f32_e32 v2, v23, v4
	v_lshrrev_b32_e32 v11, 16, v2
.LBB21_83:
	s_or_b64 exec, exec, s[6:7]
	s_mov_b32 s6, 0x5040100
	v_accvgpr_read_b32 v2, a4
	v_perm_b32 v37, v11, v17, s6
	v_or_b32_e32 v11, v19, v25
	v_accvgpr_read_b32 v3, a5
	v_accvgpr_read_b32 v4, a6
	;; [unrolled: 1-line block ×3, first 2 shown]
	v_perm_b32 v36, v15, v13, s6
	v_lshlrev_b32_e32 v11, 1, v11
	v_mov_b32_e32 v15, 0
	v_mov_b32_e32 v13, 0
	ds_write_b64 v11, v[36:37] offset:24576
	s_and_saveexec_b64 s[6:7], s[0:1]
	s_cbranch_execz .LBB21_85
; %bb.84:
	v_mov_b32_e32 v13, 0
	v_lshl_add_u64 v[36:37], v[8:9], 0, v[12:13]
	global_load_ushort v11, v[36:37], off offset:64
	v_lshl_add_u64 v[36:37], v[6:7], 0, v[12:13]
	s_waitcnt vmcnt(0)
	v_lshlrev_b32_e32 v11, 16, v11
	v_sub_f32_e32 v2, v11, v2
	global_store_short_d16_hi v[36:37], v2, off offset:64
	v_mul_f32_e32 v2, v33, v2
	v_lshrrev_b32_e32 v13, 16, v2
.LBB21_85:
	s_or_b64 exec, exec, s[6:7]
	s_and_saveexec_b64 s[6:7], s[4:5]
	s_cbranch_execz .LBB21_87
; %bb.86:
	v_mov_b32_e32 v15, 0
	v_lshl_add_u64 v[36:37], v[8:9], 0, v[14:15]
	global_load_ushort v2, v[36:37], off offset:64
	v_lshl_add_u64 v[36:37], v[6:7], 0, v[14:15]
	s_waitcnt vmcnt(0)
	v_lshlrev_b32_e32 v2, 16, v2
	v_sub_f32_e32 v2, v2, v3
	global_store_short_d16_hi v[36:37], v2, off offset:64
	v_mul_f32_e32 v2, v32, v2
	v_lshrrev_b32_e32 v15, 16, v2
.LBB21_87:
	s_or_b64 exec, exec, s[6:7]
	v_mov_b32_e32 v11, 0
	v_mov_b32_e32 v17, 0
	s_and_saveexec_b64 s[6:7], s[2:3]
	s_cbranch_execz .LBB21_89
; %bb.88:
	v_mov_b32_e32 v17, 0
	v_lshl_add_u64 v[2:3], v[8:9], 0, v[16:17]
	global_load_ushort v25, v[2:3], off offset:64
	v_lshl_add_u64 v[2:3], v[6:7], 0, v[16:17]
	s_waitcnt vmcnt(0)
	v_lshlrev_b32_e32 v17, 16, v25
	v_sub_f32_e32 v4, v17, v4
	global_store_short_d16_hi v[2:3], v4, off offset:64
	v_mul_f32_e32 v2, v34, v4
	v_lshrrev_b32_e32 v17, 16, v2
.LBB21_89:
	s_or_b64 exec, exec, s[6:7]
	s_and_saveexec_b64 s[6:7], vcc
	s_cbranch_execz .LBB21_91
; %bb.90:
	v_mov_b32_e32 v11, 0
	v_lshl_add_u64 v[2:3], v[8:9], 0, v[10:11]
	global_load_ushort v4, v[2:3], off offset:64
	v_lshl_add_u64 v[2:3], v[6:7], 0, v[10:11]
	s_waitcnt vmcnt(0)
	v_lshlrev_b32_e32 v4, 16, v4
	v_sub_f32_e32 v4, v4, v5
	global_store_short_d16_hi v[2:3], v4, off offset:64
	v_mul_f32_e32 v2, v23, v4
	v_lshrrev_b32_e32 v11, 16, v2
.LBB21_91:
	s_or_b64 exec, exec, s[6:7]
	s_mov_b32 s6, 0x5040100
	v_accvgpr_read_b32 v5, a3
	v_perm_b32 v37, v11, v17, s6
	v_or_b32_e32 v11, v19, v24
	v_accvgpr_read_b32 v4, a2
	v_accvgpr_read_b32 v3, a1
	;; [unrolled: 1-line block ×3, first 2 shown]
	v_perm_b32 v36, v15, v13, s6
	v_lshlrev_b32_e32 v11, 1, v11
	v_mov_b32_e32 v15, 0
	v_mov_b32_e32 v13, 0
	ds_write_b64 v11, v[36:37] offset:24576
	s_and_saveexec_b64 s[6:7], s[0:1]
	s_cbranch_execz .LBB21_93
; %bb.92:
	v_mov_b32_e32 v13, 0
	v_lshl_add_u64 v[24:25], v[8:9], 0, v[12:13]
	global_load_ushort v11, v[24:25], off offset:96
	v_lshl_add_u64 v[12:13], v[6:7], 0, v[12:13]
	s_waitcnt vmcnt(0)
	v_lshlrev_b32_e32 v11, 16, v11
	v_sub_f32_e32 v2, v11, v2
	global_store_short_d16_hi v[12:13], v2, off offset:96
	v_mul_f32_e32 v2, v33, v2
	v_lshrrev_b32_e32 v13, 16, v2
.LBB21_93:
	s_or_b64 exec, exec, s[6:7]
	s_and_saveexec_b64 s[0:1], s[4:5]
	s_cbranch_execz .LBB21_95
; %bb.94:
	v_mov_b32_e32 v15, 0
	v_lshl_add_u64 v[24:25], v[8:9], 0, v[14:15]
	global_load_ushort v2, v[24:25], off offset:96
	v_lshl_add_u64 v[14:15], v[6:7], 0, v[14:15]
	s_waitcnt vmcnt(0)
	v_lshlrev_b32_e32 v2, 16, v2
	v_sub_f32_e32 v2, v2, v3
	global_store_short_d16_hi v[14:15], v2, off offset:96
	v_mul_f32_e32 v2, v32, v2
	v_lshrrev_b32_e32 v15, 16, v2
.LBB21_95:
	s_or_b64 exec, exec, s[0:1]
	v_mov_b32_e32 v11, 0
	v_mov_b32_e32 v14, 0
	s_and_saveexec_b64 s[0:1], s[2:3]
	s_cbranch_execz .LBB21_97
; %bb.96:
	v_mov_b32_e32 v17, 0
	v_lshl_add_u64 v[2:3], v[8:9], 0, v[16:17]
	global_load_ushort v12, v[2:3], off offset:96
	v_lshl_add_u64 v[2:3], v[6:7], 0, v[16:17]
	s_waitcnt vmcnt(0)
	v_lshlrev_b32_e32 v12, 16, v12
	v_sub_f32_e32 v4, v12, v4
	global_store_short_d16_hi v[2:3], v4, off offset:96
	v_mul_f32_e32 v2, v34, v4
	v_lshrrev_b32_e32 v14, 16, v2
.LBB21_97:
	s_or_b64 exec, exec, s[0:1]
	v_or_b32_e32 v12, 0x6000, v28
	v_or_b32_e32 v2, 0x6000, v29
	;; [unrolled: 1-line block ×4, first 2 shown]
	s_and_saveexec_b64 s[0:1], vcc
	s_cbranch_execz .LBB21_99
; %bb.98:
	v_mov_b32_e32 v11, 0
	v_lshl_add_u64 v[8:9], v[8:9], 0, v[10:11]
	global_load_ushort v8, v[8:9], off offset:96
	v_lshl_add_u64 v[6:7], v[6:7], 0, v[10:11]
	s_waitcnt vmcnt(0)
	v_lshlrev_b32_e32 v8, 16, v8
	v_sub_f32_e32 v5, v8, v5
	global_store_short_d16_hi v[6:7], v5, off offset:96
	v_mul_f32_e32 v5, v23, v5
	v_lshrrev_b32_e32 v11, 16, v5
.LBB21_99:
	s_or_b64 exec, exec, s[0:1]
	s_mov_b32 s0, 0x5040100
	v_or_b32_e32 v5, v19, v21
	v_perm_b32 v7, v11, v14, s0
	v_perm_b32 v6, v15, v13, s0
	v_lshlrev_b32_e32 v5, 1, v5
	ds_write_b64 v5, v[6:7] offset:24576
	v_and_b32_e32 v5, 7, v0
	v_and_b32_e32 v10, 8, v0
	v_lshlrev_b32_e32 v13, 3, v5
	v_lshlrev_b32_e32 v19, 7, v5
	v_lshrrev_b32_e32 v5, 1, v0
	v_and_b32_e32 v5, 24, v5
	v_mov_b32_e32 v11, 0x400
	v_cmp_eq_u32_e32 vcc, 0, v10
	s_movk_i32 s2, 0x100
	v_lshlrev_b32_e32 v23, 3, v45
	v_cndmask_b32_e64 v21, v11, 64, vcc
	v_mov_b32_e32 v10, 0xa000
	v_mov_b32_e32 v11, 0x8000
	v_cmp_gt_u32_e64 s[0:1], s2, v0
	v_xor_b32_e32 v27, v23, v5
	v_or_b32_e32 v14, 32, v5
	v_cndmask_b32_e64 v0, v10, v11, s[0:1]
	v_or_b32_e32 v10, 0x440, v27
	v_cndmask_b32_e32 v10, v10, v27, vcc
	v_or_b32_e32 v10, v10, v26
	v_xor_b32_e32 v44, v10, v13
	v_xor_b32_e32 v14, v23, v14
	v_add3_u32 v10, v0, v44, v19
	v_or_b32_e32 v15, 0x440, v14
	s_waitcnt lgkmcnt(0)
	s_barrier
	ds_read_b64 v[10:11], v10
	v_cndmask_b32_e32 v14, v15, v14, vcc
	v_or_b32_e32 v14, v14, v26
	v_xor_b32_e32 v84, v14, v13
	v_add3_u32 v14, v0, v84, v19
	ds_read_b64 v[24:25], v14
	ds_read2_b64 v[6:9], v12 offset1:16
	ds_read2_b64 v[14:17], v12 offset0:32 offset1:48
	v_or_b32_e32 v5, 0x60, v5
	v_xor_b32_e32 v5, v23, v5
	s_waitcnt lgkmcnt(1)
	v_mfma_f32_16x16x16_bf16 a[0:3], v[10:11], v[6:7], 0
	ds_read2st64_b64 v[28:31], v12 offset0:4 offset1:8
	ds_read2st64_b64 v[32:35], v2 offset0:4 offset1:8
	;; [unrolled: 1-line block ×4, first 2 shown]
	v_mfma_f32_16x16x16_bf16 a[4:7], v[10:11], v[8:9], 0
	s_mul_i32 s0, s22, s21
	s_mul_hi_i32 s1, s22, s21
	s_add_u32 s0, s0, s49
	s_waitcnt lgkmcnt(4)
	v_mfma_f32_16x16x16_bf16 a[8:11], v[10:11], v[14:15], 0
	s_addc_u32 s1, s1, s37
	s_lshl_b64 s[0:1], s[0:1], 9
	s_add_u32 s0, s40, s0
	v_mfma_f32_16x16x16_bf16 a[12:15], v[10:11], v[16:17], 0
	v_or3_b32 v10, v26, v21, v27
	v_xor_b32_e32 v21, 0x440, v5
	v_xor_b32_e32 v10, v10, v13
	v_cndmask_b32_e32 v5, v21, v5, vcc
	v_or_b32_e32 v85, v10, v19
	v_or_b32_e32 v5, v5, v26
	;; [unrolled: 1-line block ×3, first 2 shown]
	v_xor_b32_e32 v13, v5, v13
	ds_read_b64 v[10:11], v10
	v_add3_u32 v0, v0, v13, v19
	s_waitcnt lgkmcnt(4)
	v_mfma_f32_16x16x16_bf16 a[0:3], v[24:25], v[28:29], a[0:3]
	s_addc_u32 s1, s41, s1
	ds_read_b64 v[26:27], v12 offset:6144
	s_waitcnt lgkmcnt(4)
	v_mfma_f32_16x16x16_bf16 a[4:7], v[24:25], v[32:33], a[4:7]
	s_waitcnt lgkmcnt(3)
	v_mfma_f32_16x16x16_bf16 a[8:11], v[24:25], v[36:37], a[8:11]
	;; [unrolled: 2-line block ×3, first 2 shown]
	ds_read_b64 v[24:25], v0
	v_lshlrev_b32_e32 v0, 2, v22
	ds_read_b64 v[78:79], v2 offset:6144
	ds_read_b64 v[80:81], v3 offset:6144
	;; [unrolled: 1-line block ×3, first 2 shown]
	global_load_dwordx4 v[2:5], v0, s[0:1]
	s_waitcnt lgkmcnt(5)
	v_mfma_f32_16x16x16_bf16 a[0:3], v[10:11], v[30:31], a[0:3]
	v_add_u32_e32 v0, v44, v19
	ds_read_b64 v[22:23], v0 offset:40960
	v_lshlrev_b32_e32 v0, 6, v45
	v_mfma_f32_16x16x16_bf16 a[4:7], v[10:11], v[34:35], a[4:7]
	s_waitcnt vmcnt(0)
	v_exp_f32_e32 v4, v4
	v_mfma_f32_16x16x16_bf16 a[8:11], v[10:11], v[38:39], a[8:11]
	v_exp_f32_e32 v5, v5
	v_exp_f32_e32 v2, v2
	;; [unrolled: 1-line block ×3, first 2 shown]
	v_mfma_f32_16x16x16_bf16 a[12:15], v[10:11], v[42:43], a[12:15]
	v_lshlrev_b32_e32 v10, 2, v20
	v_or3_b32 v0, v0, v10, s2
	v_add_u32_e32 v10, v84, v19
	v_add_u32_e32 v11, v13, v19
	s_waitcnt lgkmcnt(4)
	v_mfma_f32_16x16x16_bf16 a[0:3], v[24:25], v[26:27], a[0:3]
	s_waitcnt lgkmcnt(3)
	v_mfma_f32_16x16x16_bf16 a[4:7], v[24:25], v[78:79], a[4:7]
	;; [unrolled: 2-line block ×4, first 2 shown]
	ds_read_b64 v[20:21], v10 offset:40960
	ds_read_b64 v[24:25], v11 offset:40960
	global_load_dwordx4 v[10:13], v0, s[0:1]
	v_exp_f32_e32 v0, s20
	s_waitcnt lgkmcnt(2)
	v_mfma_f32_16x16x16_bf16 a[28:31], v[22:23], v[16:17], 0
	ds_read_b64 v[16:17], v85 offset:40960
	v_pk_mul_f32 v[2:3], v[0:1], v[2:3] op_sel_hi:[0,1]
	v_mfma_f32_16x16x16_bf16 a[16:19], v[22:23], v[6:7], 0
	v_pk_mul_f32 v[6:7], v[0:1], v[4:5] op_sel_hi:[0,1]
	v_accvgpr_read_b32 v5, a3
	v_accvgpr_read_b32 v4, a2
	v_mfma_f32_16x16x16_bf16 a[20:23], v[22:23], v[8:9], 0
	v_pk_fma_f32 v[76:77], v[76:77], v[6:7], v[4:5]
	v_accvgpr_read_b32 v4, a4
	v_accvgpr_read_b32 v5, a5
	v_mfma_f32_16x16x16_bf16 a[24:27], v[22:23], v[14:15], 0
	v_pk_fma_f32 v[66:67], v[2:3], v[66:67], v[4:5]
	v_accvgpr_read_b32 v4, a8
	v_accvgpr_read_b32 v5, a9
	s_waitcnt lgkmcnt(2)
	v_mfma_f32_16x16x16_bf16 a[16:19], v[20:21], v[28:29], a[16:19]
	v_accvgpr_read_b32 v9, a7
	v_accvgpr_read_b32 v8, a6
	;; [unrolled: 1-line block ×3, first 2 shown]
	v_mfma_f32_16x16x16_bf16 a[20:23], v[20:21], v[32:33], a[20:23]
	v_pk_fma_f32 v[58:59], v[2:3], v[58:59], v[4:5]
	v_accvgpr_read_b32 v4, a12
	v_accvgpr_read_b32 v15, a11
	v_mfma_f32_16x16x16_bf16 a[24:27], v[20:21], v[36:37], a[24:27]
	v_accvgpr_read_b32 v14, a10
	v_accvgpr_read_b32 v28, a0
	;; [unrolled: 1-line block ×3, first 2 shown]
	s_waitcnt lgkmcnt(0)
	v_mfma_f32_16x16x16_bf16 a[4:7], v[16:17], v[30:31], a[16:19]
	v_pk_fma_f32 v[74:75], v[74:75], v[2:3], v[28:29]
	v_pk_fma_f32 v[50:51], v[2:3], v[50:51], v[4:5]
	v_accvgpr_read_b32 v23, a15
	v_mfma_f32_16x16x16_bf16 a[0:3], v[20:21], v[40:41], a[28:31]
	v_accvgpr_read_b32 v22, a14
	v_pk_fma_f32 v[68:69], v[6:7], v[68:69], v[8:9]
	v_pk_fma_f32 v[60:61], v[6:7], v[60:61], v[14:15]
	v_mfma_f32_16x16x16_bf16 a[8:11], v[16:17], v[34:35], a[20:23]
	v_pk_fma_f32 v[52:53], v[6:7], v[52:53], v[22:23]
	s_waitcnt vmcnt(0)
	v_mov_b32_e32 v2, v11
	v_mfma_f32_16x16x16_bf16 a[12:15], v[16:17], v[38:39], a[24:27]
	v_mov_b32_e32 v3, v12
	v_mov_b32_e32 v4, v13
	v_exp_f32_e32 v9, v2
	v_exp_f32_e32 v2, v3
	;; [unrolled: 1-line block ×3, first 2 shown]
	v_mfma_f32_16x16x16_bf16 a[4:7], v[24:25], v[26:27], a[4:7]
	v_exp_f32_e32 v8, v10
	v_pk_mul_f32 v[2:3], v[0:1], v[2:3] op_sel_hi:[0,1]
	v_mfma_f32_16x16x16_bf16 a[0:3], v[16:17], v[42:43], a[0:3]
	v_pk_mul_f32 v[4:5], v[0:1], v[8:9] op_sel_hi:[0,1]
	v_mfma_f32_16x16x16_bf16 a[8:11], v[24:25], v[78:79], a[8:11]
	s_nop 1
	v_accvgpr_read_b32 v7, a7
	v_accvgpr_read_b32 v6, a6
	v_pk_fma_f32 v[72:73], v[72:73], v[2:3], v[6:7]
	v_mfma_f32_16x16x16_bf16 a[12:15], v[24:25], v[80:81], a[12:15]
	v_accvgpr_read_b32 v15, a5
	v_accvgpr_read_b32 v14, a4
	v_pk_fma_f32 v[70:71], v[70:71], v[4:5], v[14:15]
	v_mfma_f32_16x16x16_bf16 a[0:3], v[24:25], v[82:83], a[0:3]
	v_accvgpr_read_b32 v6, a8
	v_accvgpr_read_b32 v7, a9
	v_pk_fma_f32 v[62:63], v[4:5], v[62:63], v[6:7]
	v_accvgpr_read_b32 v6, a12
	v_accvgpr_read_b32 v7, a13
	v_pk_fma_f32 v[56:57], v[4:5], v[56:57], v[6:7]
	v_accvgpr_read_b32 v9, a11
	v_accvgpr_read_b32 v7, a1
	;; [unrolled: 1-line block ×8, first 2 shown]
	v_pk_fma_f32 v[64:65], v[2:3], v[64:65], v[8:9]
	v_pk_fma_f32 v[54:55], v[2:3], v[54:55], v[10:11]
	;; [unrolled: 1-line block ×4, first 2 shown]
	v_mov_b32_e32 v2, v18
.LBB21_100:
	s_mul_i32 s0, s33, s35
	s_mul_hi_u32 s1, s33, s34
	s_add_i32 s0, s1, s0
	s_mul_i32 s1, s48, s34
	s_add_i32 s1, s0, s1
	s_mul_i32 s0, s33, s34
	s_add_u32 s0, s0, s49
	s_addc_u32 s1, s1, s37
	s_lshl_b64 s[0:1], s[0:1], 15
	s_add_u32 s0, s8, s0
	v_lshlrev_b32_e32 v2, 7, v2
	s_addc_u32 s1, s9, s1
	v_ashrrev_i32_e32 v3, 31, v2
	v_lshl_add_u64 v[4:5], v[2:3], 1, s[0:1]
	v_lshlrev_b32_e32 v0, 1, v1
	v_mov_b32_e32 v1, 0
	s_mov_b32 s2, 0x7060302
	v_lshl_add_u64 v[4:5], v[4:5], 0, v[0:1]
	v_perm_b32 v7, v77, v76, s2
	v_perm_b32 v6, v75, v74, s2
	global_store_dwordx2 v[4:5], v[6:7], off
	v_perm_b32 v7, v73, v72, s2
	v_perm_b32 v6, v71, v70, s2
	global_store_dwordx2 v[4:5], v[6:7], off offset:128
	v_or_b32_e32 v4, 0x800, v2
	v_ashrrev_i32_e32 v5, 31, v4
	v_lshl_add_u64 v[4:5], v[4:5], 1, s[0:1]
	v_lshl_add_u64 v[4:5], v[4:5], 0, v[0:1]
	v_perm_b32 v7, v69, v68, s2
	v_perm_b32 v6, v67, v66, s2
	global_store_dwordx2 v[4:5], v[6:7], off
	v_perm_b32 v7, v65, v64, s2
	v_perm_b32 v6, v63, v62, s2
	global_store_dwordx2 v[4:5], v[6:7], off offset:128
	v_or_b32_e32 v4, 0x1000, v2
	v_or_b32_e32 v2, 0x1800, v2
	v_ashrrev_i32_e32 v5, 31, v4
	v_ashrrev_i32_e32 v3, 31, v2
	v_lshl_add_u64 v[4:5], v[4:5], 1, s[0:1]
	v_lshl_add_u64 v[2:3], v[2:3], 1, s[0:1]
	;; [unrolled: 1-line block ×3, first 2 shown]
	v_perm_b32 v7, v61, v60, s2
	v_perm_b32 v6, v59, v58, s2
	v_lshl_add_u64 v[0:1], v[2:3], 0, v[0:1]
	v_perm_b32 v3, v53, v52, s2
	v_perm_b32 v2, v51, v50, s2
	global_store_dwordx2 v[4:5], v[6:7], off
	v_perm_b32 v7, v55, v54, s2
	v_perm_b32 v6, v57, v56, s2
	global_store_dwordx2 v[0:1], v[2:3], off
	v_perm_b32 v3, v49, v48, s2
	v_perm_b32 v2, v47, v46, s2
	global_store_dwordx2 v[4:5], v[6:7], off offset:128
	global_store_dwordx2 v[0:1], v[2:3], off offset:128
	s_endpgm
	.section	.rodata,"a",@progbits
	.p2align	6, 0x0
	.amdhsa_kernel _ZN12_GLOBAL__N_139chunk_gated_delta_rule_fwd_h_hip_kernelILi64ELb0ELb1ELb1ELb1ELb1ELb1ELb0ELb1EEEvPK12hip_bfloat16S3_S3_PKfS5_PKvPS1_S8_PvPKiSB_iiiiilll
		.amdhsa_group_segment_fixed_size 65536
		.amdhsa_private_segment_fixed_size 0
		.amdhsa_kernarg_size 136
		.amdhsa_user_sgpr_count 2
		.amdhsa_user_sgpr_dispatch_ptr 0
		.amdhsa_user_sgpr_queue_ptr 0
		.amdhsa_user_sgpr_kernarg_segment_ptr 1
		.amdhsa_user_sgpr_dispatch_id 0
		.amdhsa_user_sgpr_kernarg_preload_length 0
		.amdhsa_user_sgpr_kernarg_preload_offset 0
		.amdhsa_user_sgpr_private_segment_size 0
		.amdhsa_uses_dynamic_stack 0
		.amdhsa_enable_private_segment 0
		.amdhsa_system_sgpr_workgroup_id_x 1
		.amdhsa_system_sgpr_workgroup_id_y 1
		.amdhsa_system_sgpr_workgroup_id_z 0
		.amdhsa_system_sgpr_workgroup_info 0
		.amdhsa_system_vgpr_workitem_id 0
		.amdhsa_next_free_vgpr 232
		.amdhsa_next_free_sgpr 69
		.amdhsa_accum_offset 192
		.amdhsa_reserve_vcc 1
		.amdhsa_float_round_mode_32 0
		.amdhsa_float_round_mode_16_64 0
		.amdhsa_float_denorm_mode_32 3
		.amdhsa_float_denorm_mode_16_64 3
		.amdhsa_dx10_clamp 1
		.amdhsa_ieee_mode 1
		.amdhsa_fp16_overflow 0
		.amdhsa_tg_split 0
		.amdhsa_exception_fp_ieee_invalid_op 0
		.amdhsa_exception_fp_denorm_src 0
		.amdhsa_exception_fp_ieee_div_zero 0
		.amdhsa_exception_fp_ieee_overflow 0
		.amdhsa_exception_fp_ieee_underflow 0
		.amdhsa_exception_fp_ieee_inexact 0
		.amdhsa_exception_int_div_zero 0
	.end_amdhsa_kernel
	.section	.text._ZN12_GLOBAL__N_139chunk_gated_delta_rule_fwd_h_hip_kernelILi64ELb0ELb1ELb1ELb1ELb1ELb1ELb0ELb1EEEvPK12hip_bfloat16S3_S3_PKfS5_PKvPS1_S8_PvPKiSB_iiiiilll,"axG",@progbits,_ZN12_GLOBAL__N_139chunk_gated_delta_rule_fwd_h_hip_kernelILi64ELb0ELb1ELb1ELb1ELb1ELb1ELb0ELb1EEEvPK12hip_bfloat16S3_S3_PKfS5_PKvPS1_S8_PvPKiSB_iiiiilll,comdat
.Lfunc_end21:
	.size	_ZN12_GLOBAL__N_139chunk_gated_delta_rule_fwd_h_hip_kernelILi64ELb0ELb1ELb1ELb1ELb1ELb1ELb0ELb1EEEvPK12hip_bfloat16S3_S3_PKfS5_PKvPS1_S8_PvPKiSB_iiiiilll, .Lfunc_end21-_ZN12_GLOBAL__N_139chunk_gated_delta_rule_fwd_h_hip_kernelILi64ELb0ELb1ELb1ELb1ELb1ELb1ELb0ELb1EEEvPK12hip_bfloat16S3_S3_PKfS5_PKvPS1_S8_PvPKiSB_iiiiilll
                                        ; -- End function
	.section	.AMDGPU.csdata,"",@progbits
; Kernel info:
; codeLenInByte = 12896
; NumSgprs: 75
; NumVgprs: 190
; NumAgprs: 40
; TotalNumVgprs: 232
; ScratchSize: 0
; MemoryBound: 0
; FloatMode: 240
; IeeeMode: 1
; LDSByteSize: 65536 bytes/workgroup (compile time only)
; SGPRBlocks: 9
; VGPRBlocks: 28
; NumSGPRsForWavesPerEU: 75
; NumVGPRsForWavesPerEU: 232
; AccumOffset: 192
; Occupancy: 1
; WaveLimiterHint : 1
; COMPUTE_PGM_RSRC2:SCRATCH_EN: 0
; COMPUTE_PGM_RSRC2:USER_SGPR: 2
; COMPUTE_PGM_RSRC2:TRAP_HANDLER: 0
; COMPUTE_PGM_RSRC2:TGID_X_EN: 1
; COMPUTE_PGM_RSRC2:TGID_Y_EN: 1
; COMPUTE_PGM_RSRC2:TGID_Z_EN: 0
; COMPUTE_PGM_RSRC2:TIDIG_COMP_CNT: 0
; COMPUTE_PGM_RSRC3_GFX90A:ACCUM_OFFSET: 47
; COMPUTE_PGM_RSRC3_GFX90A:TG_SPLIT: 0
	.section	.text._ZN12_GLOBAL__N_139chunk_gated_delta_rule_fwd_h_hip_kernelILi64ELb0ELb1ELb0ELb1ELb1ELb1ELb0ELb1EEEvPK12hip_bfloat16S3_S3_PKfS5_PKvPS1_S8_PvPKiSB_iiiiilll,"axG",@progbits,_ZN12_GLOBAL__N_139chunk_gated_delta_rule_fwd_h_hip_kernelILi64ELb0ELb1ELb0ELb1ELb1ELb1ELb0ELb1EEEvPK12hip_bfloat16S3_S3_PKfS5_PKvPS1_S8_PvPKiSB_iiiiilll,comdat
	.globl	_ZN12_GLOBAL__N_139chunk_gated_delta_rule_fwd_h_hip_kernelILi64ELb0ELb1ELb0ELb1ELb1ELb1ELb0ELb1EEEvPK12hip_bfloat16S3_S3_PKfS5_PKvPS1_S8_PvPKiSB_iiiiilll ; -- Begin function _ZN12_GLOBAL__N_139chunk_gated_delta_rule_fwd_h_hip_kernelILi64ELb0ELb1ELb0ELb1ELb1ELb1ELb0ELb1EEEvPK12hip_bfloat16S3_S3_PKfS5_PKvPS1_S8_PvPKiSB_iiiiilll
	.p2align	8
	.type	_ZN12_GLOBAL__N_139chunk_gated_delta_rule_fwd_h_hip_kernelILi64ELb0ELb1ELb0ELb1ELb1ELb1ELb0ELb1EEEvPK12hip_bfloat16S3_S3_PKfS5_PKvPS1_S8_PvPKiSB_iiiiilll,@function
_ZN12_GLOBAL__N_139chunk_gated_delta_rule_fwd_h_hip_kernelILi64ELb0ELb1ELb0ELb1ELb1ELb1ELb0ELb1EEEvPK12hip_bfloat16S3_S3_PKfS5_PKvPS1_S8_PvPKiSB_iiiiilll: ; @_ZN12_GLOBAL__N_139chunk_gated_delta_rule_fwd_h_hip_kernelILi64ELb0ELb1ELb0ELb1ELb1ELb1ELb0ELb1EEEvPK12hip_bfloat16S3_S3_PKfS5_PKvPS1_S8_PvPKiSB_iiiiilll
; %bb.0:
	s_load_dwordx4 s[16:19], s[0:1], 0x5c
	s_load_dwordx8 s[4:11], s[0:1], 0x0
	s_load_dwordx4 s[20:23], s[0:1], 0x70
	s_abs_i32 s27, s3
	s_ashr_i32 s26, s3, 31
	s_waitcnt lgkmcnt(0)
	s_abs_i32 s28, s17
	v_cvt_f32_u32_e32 v1, s28
	s_sub_i32 s29, 0, s28
	s_ashr_i32 s46, s17, 31
	s_xor_b32 s26, s26, s46
	v_rcp_iflag_f32_e32 v1, v1
	s_load_dwordx2 s[36:37], s[0:1], 0x20
	s_load_dwordx2 s[40:41], s[0:1], 0x30
	s_load_dwordx4 s[12:15], s[0:1], 0x40
	s_load_dwordx2 s[24:25], s[0:1], 0x50
	v_lshrrev_b32_e32 v45, 6, v0
	v_bfe_u32 v86, v0, 4, 2
	v_mul_f32_e32 v1, 0x4f7ffffe, v1
	v_cvt_u32_f32_e32 v1, v1
	v_lshlrev_b32_e32 v84, 4, v45
	v_lshlrev_b32_e32 v2, 2, v86
	v_and_b32_e32 v85, 63, v0
	v_readfirstlane_b32 s30, v1
	s_mul_i32 s29, s29, s30
	s_mul_hi_u32 s29, s30, s29
	s_add_i32 s30, s30, s29
	s_mul_hi_u32 s29, s27, s30
	s_mul_i32 s30, s29, s28
	s_sub_i32 s27, s27, s30
	s_add_i32 s30, s29, 1
	s_sub_i32 s31, s27, s28
	s_cmp_ge_u32 s27, s28
	s_cselect_b32 s29, s30, s29
	s_cselect_b32 s27, s31, s27
	s_add_i32 s30, s29, 1
	s_cmp_ge_u32 s27, s28
	s_cselect_b32 s27, s30, s29
	s_xor_b32 s27, s27, s26
	s_sub_i32 s34, s27, s26
	s_mul_i32 s26, s34, s17
	s_ashr_i32 s35, s34, 31
	s_sub_i32 s47, s3, s26
	s_lshl_b64 s[26:27], s[34:35], 2
	s_waitcnt lgkmcnt(0)
	s_add_u32 s14, s14, s26
	s_addc_u32 s15, s15, s27
	s_add_u32 s24, s24, s26
	s_addc_u32 s25, s25, s27
	s_abs_i32 s3, s18
	v_cvt_f32_u32_e32 v1, s3
	s_load_dwordx2 s[38:39], s[14:15], 0x0
	s_load_dword s52, s[24:25], 0x0
	s_mov_b32 s33, s17
	v_rcp_iflag_f32_e32 v1, v1
	s_load_dwordx2 s[14:15], s[0:1], 0x80
	s_sub_i32 s1, 0, s3
	s_waitcnt lgkmcnt(0)
	s_sub_i32 s56, s39, s38
	v_mul_f32_e32 v1, 0x4f7ffffe, v1
	v_cvt_u32_f32_e32 v1, v1
	s_ashr_i32 s0, s56, 31
	s_lshr_b32 s0, s0, 26
	s_add_i32 s0, s56, s0
	v_readfirstlane_b32 s26, v1
	s_mul_i32 s1, s1, s26
	s_mul_hi_u32 s1, s26, s1
	s_add_i32 s26, s26, s1
	s_mul_hi_u32 s1, s28, s26
	s_mul_i32 s26, s1, s3
	s_ashr_i32 s51, s0, 6
	s_ashr_i32 s0, s18, 31
	s_sub_i32 s26, s28, s26
	s_xor_b32 s0, s46, s0
	s_add_i32 s27, s1, 1
	s_sub_i32 s28, s26, s3
	s_cmp_ge_u32 s26, s3
	s_cselect_b32 s1, s27, s1
	s_cselect_b32 s26, s28, s26
	s_add_i32 s27, s1, 1
	s_cmp_ge_u32 s26, s3
	s_cselect_b32 s1, s27, s1
	s_xor_b32 s1, s1, s0
	s_sub_i32 s1, s1, s0
	s_abs_i32 s3, s1
	v_cvt_f32_u32_e32 v1, s3
	s_sub_i32 s25, 0, s3
	s_abs_i32 s24, s47
	s_xor_b32 s1, s47, s1
	v_rcp_iflag_f32_e32 v1, v1
	s_ashr_i32 s1, s1, 31
	s_mov_b32 s0, 0
	v_and_b32_e32 v87, 15, v0
	v_mul_f32_e32 v1, 0x4f7ffffe, v1
	v_cvt_u32_f32_e32 v1, v1
	s_mul_hi_i32 s53, s47, s16
	s_mul_i32 s54, s47, s16
	v_lshrrev_b32_e32 v89, 3, v85
	v_readfirstlane_b32 s26, v1
	s_mul_i32 s25, s25, s26
	s_mul_hi_u32 s25, s26, s25
	s_add_i32 s26, s26, s25
	s_mul_hi_u32 s25, s24, s26
	s_mul_i32 s26, s25, s3
	s_sub_i32 s24, s24, s26
	s_add_i32 s26, s25, 1
	s_sub_i32 s27, s24, s3
	s_cmp_ge_u32 s24, s3
	s_cselect_b32 s25, s26, s25
	s_cselect_b32 s24, s27, s24
	s_add_i32 s26, s25, 1
	s_cmp_ge_u32 s24, s3
	s_cselect_b32 s3, s26, s25
	s_xor_b32 s3, s3, s1
	s_sub_i32 s55, s3, s1
	v_or_b32_e32 v1, v2, v84
	s_lshl_b32 s2, s2, 6
	s_mov_b32 s1, s0
	v_or_b32_e32 v90, 64, v1
	s_cmp_lt_i32 s56, 64
	v_mov_b64_e32 v[54:55], s[0:1]
	v_lshlrev_b32_e32 v88, 3, v0
	s_mul_i32 s48, s34, s21
	s_mul_hi_u32 s49, s34, s20
	s_mul_i32 s50, s35, s20
	s_mul_i32 s20, s34, s20
	v_mov_b64_e32 v[56:57], s[0:1]
	v_mov_b64_e32 v[60:61], s[0:1]
	;; [unrolled: 1-line block ×15, first 2 shown]
	s_cbranch_scc1 .LBB22_17
; %bb.1:
	s_ashr_i32 s58, s47, 31
	s_ashr_i32 s1, s38, 31
	s_add_u32 s0, s54, s38
	s_addc_u32 s1, s53, s1
	s_lshl_b64 s[0:1], s[0:1], 8
	v_and_b32_e32 v92, 56, v88
	s_add_u32 s24, s6, s0
	v_lshl_or_b32 v91, v45, 3, v89
	v_lshlrev_b32_e32 v3, 1, v92
	s_addc_u32 s0, s7, s1
	v_lshl_or_b32 v93, v91, 8, v3
	s_and_b32 s25, s0, 0xffff
	s_mov_b32 s27, 0x20000
	s_movk_i32 s26, 0x4000
	s_movk_i32 s0, 0x80
	v_or_b32_e32 v94, 0x2000, v93
	buffer_load_dwordx4 v[4:7], v93, s[24:27], 0 offen
	buffer_load_dwordx4 v[8:11], v93, s[24:27], s0 offen
	;; [unrolled: 1-line block ×4, first 2 shown]
	v_lshlrev_b32_e32 v20, 3, v91
	v_and_or_b32 v22, v0, 7, v20
	v_and_b32_e32 v20, 0x78, v20
	v_lshlrev_b32_e32 v22, 4, v22
	v_xor_b32_e32 v95, v22, v20
	v_mul_lo_u32 v21, v91, s19
	v_or_b32_e32 v96, 0x1000, v95
	s_cmpk_eq_i32 s19, 0x80
	s_mov_b32 s57, s38
	v_xor_b32_e32 v20, 8, v95
	v_xor_b32_e32 v22, 8, v96
	s_cselect_b64 s[0:1], -1, 0
	s_cmpk_lg_i32 s19, 0x80
	s_waitcnt vmcnt(3)
	ds_write_b64 v95, v[4:5] offset:49152
	ds_write_b64 v20, v[6:7] offset:49152
	s_waitcnt vmcnt(2)
	ds_write_b64 v95, v[8:9] offset:57344
	ds_write_b64 v20, v[10:11] offset:57344
	;; [unrolled: 3-line block ×4, first 2 shown]
	v_lshl_add_u32 v4, v21, 1, v92
	s_cbranch_scc0 .LBB22_3
; %bb.2:
	v_lshlrev_b32_e32 v6, 1, v4
	v_add_lshl_u32 v5, v4, s19, 1
	s_lshl_b32 s26, s19, 7
	v_lshl_or_b32 v3, v91, 9, v3
	s_cbranch_execz .LBB22_4
	s_branch .LBB22_5
.LBB22_3:
                                        ; implicit-def: $vgpr5
                                        ; implicit-def: $vgpr6
                                        ; implicit-def: $sgpr26
	v_lshl_or_b32 v3, v91, 9, v3
.LBB22_4:
	v_or_b32_e32 v5, 0x100, v3
	s_movk_i32 s26, 0x4000
	v_mov_b32_e32 v6, v3
.LBB22_5:
	s_mul_i32 s21, s38, s18
	s_ashr_i32 s59, s55, 31
	s_mul_hi_i32 s3, s38, s18
	s_add_u32 s24, s21, s55
	s_addc_u32 s25, s3, s59
	s_lshl_b64 s[24:25], s[24:25], 8
	s_add_u32 s24, s4, s24
	s_addc_u32 s3, s5, s25
	s_and_b32 s25, s3, 0xffff
	s_movk_i32 s60, 0x80
	buffer_load_dwordx4 v[8:11], v6, s[24:27], 0 offen
	buffer_load_dwordx4 v[12:15], v6, s[24:27], s60 offen
	buffer_load_dwordx4 v[16:19], v5, s[24:27], 0 offen
	buffer_load_dwordx4 v[20:23], v5, s[24:27], s60 offen
	v_and_b32_e32 v5, 6, v0
	v_lshlrev_b32_e32 v6, 7, v1
	v_xor_b32_e32 v28, v91, v5
	v_and_b32_e32 v7, 1, v0
	v_lshl_or_b32 v31, v87, 3, v6
	v_lshlrev_b32_e32 v28, 2, v28
	v_lshlrev_b32_e32 v24, 2, v87
	v_or_b32_e32 v97, 0x4000, v31
	v_or_b32_e32 v98, 0x6000, v31
	v_xor_b32_e32 v31, 0x440, v28
	v_cmp_eq_u32_e32 vcc, 0, v7
	v_or_b32_e32 v26, 16, v87
	v_or_b32_e32 v27, 32, v87
	v_xor_b32_e32 v29, v1, v24
	v_xor_b32_e32 v30, v90, v24
	v_cndmask_b32_e32 v7, v31, v28, vcc
	s_add_i32 s3, s49, s48
	s_mov_b32 s61, 0x1000504
	v_lshl_or_b32 v32, v26, 3, v6
	v_lshlrev_b32_e32 v26, 8, v26
	v_lshl_or_b32 v33, v27, 3, v6
	v_lshlrev_b32_e32 v29, 1, v29
	v_lshlrev_b32_e32 v30, 1, v30
	v_lshl_or_b32 v5, v5, 10, v7
	s_add_i32 s21, s3, s50
	s_mul_i32 s3, s47, s23
	s_mul_hi_u32 s24, s47, s22
	s_mov_b32 s62, 0x3020706
	v_lshlrev_b32_e32 v25, 8, v87
	v_or_b32_e32 v101, 0x4000, v33
	v_or_b32_e32 v102, 0x6000, v33
	;; [unrolled: 1-line block ×4, first 2 shown]
	v_xor_b32_e32 v7, 8, v5
	v_xor_b32_e32 v26, 24, v5
	;; [unrolled: 1-line block ×4, first 2 shown]
	s_add_i32 s3, s24, s3
	s_mul_i32 s24, s58, s22
	v_or_b32_e32 v99, 0x4000, v32
	v_or_b32_e32 v100, 0x6000, v32
	;; [unrolled: 1-line block ×4, first 2 shown]
	v_xor_b32_e32 v25, 16, v5
	v_xor_b32_e32 v28, 32, v5
	;; [unrolled: 1-line block ×3, first 2 shown]
	v_add_u32_e32 v7, 0x80, v7
	v_add_u32_e32 v26, 0x80, v26
	v_add_u32_e32 v31, 0x80, v31
	v_add_u32_e32 v33, 0x80, v33
	s_add_i32 s25, s3, s24
	s_lshl_b64 s[28:29], s[20:21], 2
	s_mul_i32 s24, s47, s22
	s_add_u32 s3, s10, s28
	s_addc_u32 s21, s11, s29
	s_lshl_b64 s[24:25], s[24:25], 2
	s_add_u32 s42, s3, s24
	s_movk_i32 s3, 0xf8
	s_addc_u32 s43, s21, s25
	s_lshl_b32 s30, s19, 7
	v_mov_b32_e32 v79, 0
	s_movk_i32 s21, 0x100
	v_lshlrev_b32_e32 v78, 4, v87
	v_lshlrev_b32_e32 v27, 8, v27
	s_mov_b32 s64, 0
	s_movk_i32 s26, 0x4000
	v_or_b32_e32 v107, v27, v29
	v_or_b32_e32 v108, v27, v30
	v_add_u32_e32 v134, v84, v2
	s_movk_i32 s63, 0x3000
	v_mov_b32_e32 v48, v79
	v_mov_b32_e32 v49, v79
	;; [unrolled: 1-line block ×8, first 2 shown]
	s_waitcnt vmcnt(1)
	v_perm_b32 v34, v8, v16, s61
	s_waitcnt vmcnt(0)
	v_perm_b32 v35, v12, v20, s61
	v_perm_b32 v8, v8, v16, s62
	;; [unrolled: 1-line block ×15, first 2 shown]
	ds_write2st64_b32 v5, v34, v35 offset0:128 offset1:160
	ds_write2st64_b32 v7, v8, v12 offset0:128 offset1:160
	;; [unrolled: 1-line block ×8, first 2 shown]
	v_or_b32_e32 v5, 48, v87
	v_lshl_or_b32 v7, v5, 3, v6
	v_lshlrev_b32_e32 v5, 8, v5
	v_or_b32_e32 v111, v5, v29
	v_or_b32_e32 v112, v5, v30
	;; [unrolled: 1-line block ×3, first 2 shown]
	v_lshlrev_b32_e32 v5, 3, v5
	v_lshrrev_b32_e32 v9, 5, v85
	v_and_or_b32 v9, v5, s3, v9
	v_lshlrev_b32_e32 v9, 4, v9
	v_lshlrev_b32_e32 v11, 11, v45
	v_and_b32_e32 v5, 0x78, v5
	v_or_b32_e32 v14, 32, v9
	v_and_b32_e32 v8, 0x1000, v11
	v_xor_b32_e32 v10, v9, v5
	v_lshrrev_b32_e32 v12, 1, v85
	v_xor_b32_e32 v14, v14, v5
	v_or_b32_e32 v10, v10, v8
	v_and_b32_e32 v12, 8, v12
	v_or_b32_e32 v14, v14, v8
	v_xor_b32_e32 v113, v10, v12
	v_lshlrev_b32_e32 v10, 8, v86
	v_xor_b32_e32 v115, v14, v12
	v_or_b32_e32 v14, 64, v9
	v_or_b32_e32 v9, 0x60, v9
	;; [unrolled: 1-line block ×3, first 2 shown]
	v_xor_b32_e32 v14, v14, v5
	v_xor_b32_e32 v5, v9, v5
	s_ashr_i32 s3, s2, 31
	v_lshlrev_b32_e32 v13, 1, v13
	v_or_b32_e32 v14, v14, v8
	v_or_b32_e32 v5, v5, v8
	s_lshl_b64 s[24:25], s[2:3], 8
	v_or_b32_e32 v114, 0x4000, v13
	v_or_b32_e32 v116, 0x4080, v13
	;; [unrolled: 1-line block ×4, first 2 shown]
	v_xor_b32_e32 v119, v14, v12
	v_xor_b32_e32 v120, v5, v12
	v_or_b32_e32 v121, 0x6000, v13
	v_or_b32_e32 v122, 0x6080, v13
	;; [unrolled: 1-line block ×4, first 2 shown]
	v_lshlrev_b32_e32 v12, 1, v4
	v_add_lshl_u32 v13, v4, s19, 1
	s_add_u32 s24, s40, s24
	v_lshlrev_b32_e32 v4, 1, v87
	v_or_b32_e32 v14, 0x100, v3
	v_lshrrev_b32_e32 v15, 4, v0
	s_addc_u32 s25, s41, s25
	v_or_b32_e32 v5, 1, v4
	v_lshlrev_b32_e32 v18, 2, v0
	v_xor_b32_e32 v16, v15, v4
	v_xor_b32_e32 v17, v5, v15
	v_lshl_add_u64 v[4:5], s[24:25], 0, v[78:79]
	v_lshlrev_b32_e32 v78, 8, v15
	v_lshrrev_b32_e32 v19, 1, v0
	v_and_or_b32 v10, v18, 60, v10
	v_cndmask_b32_e64 v131, v12, v3, s[0:1]
	v_cndmask_b32_e64 v132, v13, v14, s[0:1]
	v_mov_b32_e32 v3, 0xa000
	v_mov_b32_e32 v12, 0x8000
	v_cmp_gt_u32_e64 s[0:1], s21, v0
	v_lshl_or_b32 v125, v16, 3, v78
	v_and_b32_e32 v16, 8, v0
	v_and_b32_e32 v19, 24, v19
	v_lshlrev_b32_e32 v10, 1, v10
	v_cndmask_b32_e64 v3, v3, v12, s[0:1]
	v_lshlrev_b32_e32 v12, 3, v45
	v_or_b32_e32 v127, 0x6000, v10
	v_or_b32_e32 v128, 0x6080, v10
	;; [unrolled: 1-line block ×4, first 2 shown]
	v_mov_b32_e32 v10, 0x400
	v_cmp_eq_u32_e32 vcc, 0, v16
	v_xor_b32_e32 v13, v12, v19
	v_and_b32_e32 v15, 7, v0
	v_cndmask_b32_e64 v16, v10, 64, vcc
	v_or_b32_e32 v14, 0x440, v13
	v_lshl_or_b32 v126, v17, 3, v78
	v_lshlrev_b32_e32 v17, 3, v15
	v_or_b32_e32 v18, 32, v19
	v_or_b32_e32 v20, 0x60, v19
	v_cndmask_b32_e32 v14, v14, v13, vcc
	v_or3_b32 v13, v11, v16, v13
	v_lshlrev_b32_e32 v15, 7, v15
	v_xor_b32_e32 v18, v12, v18
	v_xor_b32_e32 v13, v13, v17
	;; [unrolled: 1-line block ×3, first 2 shown]
	v_or_b32_e32 v21, 0x440, v18
	v_or_b32_e32 v133, v13, v15
	v_xor_b32_e32 v13, 0x440, v12
	v_cndmask_b32_e32 v18, v21, v18, vcc
	v_cndmask_b32_e32 v12, v13, v12, vcc
	v_or_b32_e32 v109, 0x4000, v7
	v_or_b32_e32 v110, 0x6000, v7
	v_lshrrev_b32_e32 v7, 2, v85
	v_or_b32_e32 v14, v14, v11
	v_or_b32_e32 v18, v18, v11
	;; [unrolled: 1-line block ×3, first 2 shown]
	v_and_b32_e32 v7, 12, v7
	v_or_b32_e32 v8, s2, v87
	v_xor_b32_e32 v14, v14, v17
	v_xor_b32_e32 v18, v18, v17
	;; [unrolled: 1-line block ×3, first 2 shown]
	v_ashrrev_i32_e32 v9, 31, v8
	v_or_b32_e32 v10, v84, v7
	v_add_u32_e32 v19, v3, v14
	v_add_u32_e32 v21, v3, v18
	;; [unrolled: 1-line block ×3, first 2 shown]
	v_or3_b32 v12, v84, v7, 64
	v_add_u32_e32 v7, 0xa000, v14
	v_add_u32_e32 v14, 0xa000, v18
	;; [unrolled: 1-line block ×3, first 2 shown]
	v_lshl_add_u64 v[80:81], v[8:9], 1, s[8:9]
	v_lshl_add_u64 v[82:83], v[4:5], 0, v[78:79]
	s_mov_b32 s3, 0x7060302
	v_lshlrev_b32_e32 v78, 1, v6
	s_movk_i32 s21, 0x2000
	v_lshlrev_b32_e32 v135, 2, v10
	v_add_u32_e32 v136, v19, v15
	v_add_u32_e32 v137, v21, v15
	;; [unrolled: 1-line block ×4, first 2 shown]
	v_lshlrev_b32_e32 v140, 2, v12
	v_add_u32_e32 v141, v7, v15
	v_add_u32_e32 v142, v14, v15
	;; [unrolled: 1-line block ×3, first 2 shown]
	v_mov_b32_e32 v74, v79
	v_mov_b32_e32 v75, v79
	;; [unrolled: 1-line block ×24, first 2 shown]
	s_waitcnt lgkmcnt(0)
	s_barrier
	s_branch .LBB22_7
.LBB22_6:                               ;   in Loop: Header=BB22_7 Depth=1
	v_exp_f32_e32 v36, s24
	s_waitcnt vmcnt(4)
	v_exp_f32_e32 v38, v38
	v_exp_f32_e32 v39, v39
	;; [unrolled: 1-line block ×4, first 2 shown]
	v_accvgpr_read_b32 v5, a3
	v_accvgpr_read_b32 v4, a2
	;; [unrolled: 1-line block ×4, first 2 shown]
	v_pk_mul_f32 v[38:39], v[36:37], v[38:39] op_sel_hi:[0,1]
	v_pk_mul_f32 v[40:41], v[36:37], v[40:41] op_sel_hi:[0,1]
	v_pk_fma_f32 v[74:75], v[74:75], v[38:39], v[2:3]
	v_pk_fma_f32 v[76:77], v[76:77], v[40:41], v[4:5]
	v_exp_f32_e32 v2, v34
	v_exp_f32_e32 v3, v42
	;; [unrolled: 1-line block ×4, first 2 shown]
	v_accvgpr_read_b32 v9, a7
	v_accvgpr_read_b32 v13, a11
	;; [unrolled: 1-line block ×28, first 2 shown]
	v_pk_mul_f32 v[2:3], v[36:37], v[2:3] op_sel_hi:[0,1]
	v_pk_mul_f32 v[4:5], v[36:37], v[4:5] op_sel_hi:[0,1]
	s_add_i32 s57, s57, 64
	v_pk_fma_f32 v[66:67], v[38:39], v[66:67], v[6:7]
	v_pk_fma_f32 v[68:69], v[40:41], v[68:69], v[8:9]
	;; [unrolled: 1-line block ×14, first 2 shown]
	s_cmp_eq_u32 s51, s65
	s_mov_b32 s64, s65
	s_cbranch_scc1 .LBB22_17
.LBB22_7:                               ; =>This Inner Loop Header: Depth=1
	s_add_i32 s65, s64, 1
	s_cmp_lt_i32 s65, s51
	s_mov_b64 s[28:29], 0
	s_cselect_b64 s[44:45], -1, 0
	s_cmp_ge_i32 s65, s51
	s_mov_b64 s[24:25], 0
	s_cbranch_scc1 .LBB22_9
; %bb.8:                                ;   in Loop: Header=BB22_7 Depth=1
	s_add_i32 s0, s57, 64
	s_ashr_i32 s1, s0, 31
	s_add_u32 s0, s54, s0
	s_addc_u32 s1, s53, s1
	s_lshl_b64 s[0:1], s[0:1], 8
	s_add_u32 s24, s6, s0
	s_addc_u32 s25, s7, s1
.LBB22_9:                               ;   in Loop: Header=BB22_7 Depth=1
	v_cndmask_b32_e64 v2, 0, 1, s[44:45]
	v_cmp_ne_u32_e64 s[0:1], 1, v2
	s_andn2_b64 vcc, exec, s[44:45]
	s_cbranch_vccnz .LBB22_11
; %bb.10:                               ;   in Loop: Header=BB22_7 Depth=1
	s_add_i32 s28, s57, 64
	s_mul_hi_i32 s29, s28, s18
	s_mul_i32 s28, s28, s18
	s_add_u32 s28, s28, s55
	s_addc_u32 s29, s29, s59
	s_lshl_b64 s[28:29], s[28:29], 8
	s_add_u32 s28, s4, s28
	s_addc_u32 s29, s5, s29
.LBB22_11:                              ;   in Loop: Header=BB22_7 Depth=1
	v_perm_b32 v3, v77, v76, s3
	v_perm_b32 v2, v75, v74, s3
	v_perm_b32 v5, v73, v72, s3
	v_perm_b32 v4, v71, v70, s3
	ds_write_b64 v97, v[2:3]
	ds_write_b64 v98, v[4:5]
	ds_write_b64 v103, v[2:3]
	ds_write_b64 v104, v[4:5]
	v_perm_b32 v3, v69, v68, s3
	v_perm_b32 v2, v67, v66, s3
	v_perm_b32 v5, v65, v64, s3
	v_perm_b32 v4, v63, v62, s3
	ds_write_b64 v99, v[2:3]
	ds_write_b64 v100, v[4:5]
	ds_write_b64 v105, v[2:3]
	ds_write_b64 v106, v[4:5]
	;; [unrolled: 8-line block ×4, first 2 shown]
	s_waitcnt lgkmcnt(0)
	s_barrier
	ds_read_b64 v[6:7], v113 offset:49152
	ds_read2_b64 v[2:5], v114 offset1:16
	ds_read_b64 v[18:19], v116 offset:6144
	ds_read_b64 v[20:21], v114 offset:6144
	s_waitcnt lgkmcnt(2)
	v_mfma_f32_16x16x16_bf16 a[0:3], v[6:7], v[2:3], 0
	ds_read_b64 v[22:23], v115 offset:49152
	ds_read2st64_b64 v[10:13], v117 offset0:4 offset1:8
	ds_read2st64_b64 v[14:17], v118 offset0:4 offset1:8
	v_mfma_f32_16x16x16_bf16 a[4:7], v[6:7], v[4:5], 0
	ds_read2_b64 v[2:5], v114 offset0:32 offset1:48
	s_add_i32 s66, s57, 63
	s_ashr_i32 s31, s66, 31
	s_waitcnt lgkmcnt(0)
	v_mfma_f32_16x16x16_bf16 a[8:11], v[6:7], v[2:3], 0
	s_mul_i32 s44, s66, s15
	s_mul_hi_u32 s45, s66, s14
	s_add_i32 s44, s45, s44
	v_mfma_f32_16x16x16_bf16 a[12:15], v[6:7], v[4:5], 0
	ds_read2st64_b64 v[2:5], v114 offset0:4 offset1:8
	ds_read2st64_b64 v[6:9], v116 offset0:4 offset1:8
	s_mul_i32 s31, s31, s14
	s_waitcnt lgkmcnt(1)
	v_mfma_f32_16x16x16_bf16 a[0:3], v[22:23], v[2:3], a[0:3]
	s_add_i32 s45, s44, s31
	s_mul_i32 s44, s66, s14
	s_lshl_b64 s[44:45], s[44:45], 2
	s_waitcnt lgkmcnt(0)
	v_mfma_f32_16x16x16_bf16 a[4:7], v[22:23], v[6:7], a[4:7]
	s_add_u32 s44, s42, s44
	s_addc_u32 s45, s43, s45
	s_and_b64 vcc, exec, s[0:1]
	v_mfma_f32_16x16x16_bf16 a[8:11], v[22:23], v[10:11], a[8:11]
	ds_read_b64 v[2:3], v119 offset:49152
	ds_read_b64 v[6:7], v120 offset:49152
	;; [unrolled: 1-line block ×3, first 2 shown]
	v_mov_b32_e32 v146, 0
	v_mov_b32_e32 v145, 0
	v_mfma_f32_16x16x16_bf16 a[12:15], v[22:23], v[14:15], a[12:15]
	v_mov_b32_e32 v144, 0
	v_mov_b32_e32 v14, 0
	;; [unrolled: 1-line block ×3, first 2 shown]
	s_waitcnt lgkmcnt(2)
	v_mfma_f32_16x16x16_bf16 a[0:3], v[2:3], v[4:5], a[0:3]
	v_mov_b32_e32 v4, 0
	v_mov_b32_e32 v5, 0
	v_mfma_f32_16x16x16_bf16 a[16:19], v[2:3], v[8:9], a[4:7]
	v_mov_b32_e32 v8, 0
	v_mov_b32_e32 v9, 0
	;; [unrolled: 3-line block ×3, first 2 shown]
	v_mfma_f32_16x16x16_bf16 a[24:27], v[2:3], v[16:17], a[12:15]
	ds_read_b64 v[2:3], v117 offset:6144
	v_mov_b32_e32 v16, 0
	v_mov_b32_e32 v17, 0
	s_waitcnt lgkmcnt(2)
	v_mfma_f32_16x16x16_bf16 a[4:7], v[6:7], v[20:21], a[0:3]
	v_mfma_f32_16x16x16_bf16 a[8:11], v[6:7], v[18:19], a[16:19]
	s_waitcnt lgkmcnt(0)
	v_mfma_f32_16x16x16_bf16 a[12:15], v[6:7], v[2:3], a[20:23]
	v_mov_b32_e32 v2, 0
	v_mov_b32_e32 v3, 0
	v_mfma_f32_16x16x16_bf16 a[0:3], v[6:7], v[10:11], a[24:27]
	v_mov_b32_e32 v6, 0
	v_mov_b32_e32 v7, 0
	;; [unrolled: 1-line block ×4, first 2 shown]
	s_cbranch_vccnz .LBB22_13
; %bb.12:                               ;   in Loop: Header=BB22_7 Depth=1
	s_and_b32 s25, s25, 0xffff
	buffer_load_dwordx4 v[14:17], v93, s[24:27], 0 offen
	buffer_load_dwordx4 v[10:13], v93, s[24:27], s60 offen
	;; [unrolled: 1-line block ×4, first 2 shown]
	v_mov_b32_e32 v145, v95
	v_mov_b32_e32 v144, v96
.LBB22_13:                              ;   in Loop: Header=BB22_7 Depth=1
	ds_read_b64 v[34:35], v113 offset:57344
	ds_read2_b64 v[18:21], v121 offset1:16
	ds_read_b64 v[36:37], v115 offset:57344
	ds_read_b64 v[38:39], v119 offset:57344
	;; [unrolled: 1-line block ×3, first 2 shown]
	v_add_u32_e32 v42, s57, v134
	s_waitcnt lgkmcnt(3)
	v_mfma_f32_16x16x16_bf16 a[4:7], v[34:35], v[18:19], a[4:7]
	v_mfma_f32_16x16x16_bf16 a[8:11], v[34:35], v[20:21], a[8:11]
	ds_read2_b64 v[18:21], v121 offset0:32 offset1:48
	ds_read2st64_b64 v[22:25], v121 offset0:4 offset1:8
	ds_read2st64_b64 v[26:29], v122 offset0:4 offset1:8
	;; [unrolled: 1-line block ×3, first 2 shown]
	s_waitcnt lgkmcnt(3)
	v_mfma_f32_16x16x16_bf16 a[12:15], v[34:35], v[18:19], a[12:15]
	v_ashrrev_i32_e32 v18, 31, v42
	v_mfma_f32_16x16x16_bf16 a[0:3], v[34:35], v[20:21], a[0:3]
	v_mul_lo_u32 v20, v18, s14
	v_mul_lo_u32 v21, v42, s15
	v_mad_u64_u32 v[18:19], s[24:25], v42, s14, 0
	v_add3_u32 v19, v19, v21, v20
	v_add_u32_e32 v20, 1, v42
	v_ashrrev_i32_e32 v21, 31, v20
	s_waitcnt lgkmcnt(2)
	v_mfma_f32_16x16x16_bf16 a[4:7], v[36:37], v[22:23], a[4:7]
	v_mul_lo_u32 v22, v21, s14
	v_mul_lo_u32 v23, v20, s15
	v_mad_u64_u32 v[20:21], s[24:25], v20, s14, 0
	v_add3_u32 v21, v21, v23, v22
	v_add_u32_e32 v22, 2, v42
	v_ashrrev_i32_e32 v23, 31, v22
	s_waitcnt lgkmcnt(1)
	v_mfma_f32_16x16x16_bf16 a[8:11], v[36:37], v[26:27], a[8:11]
	v_mul_lo_u32 v26, v23, s14
	v_mul_lo_u32 v27, v22, s15
	v_mad_u64_u32 v[22:23], s[24:25], v22, s14, 0
	v_add3_u32 v23, v23, v27, v26
	v_add_u32_e32 v26, 3, v42
	v_ashrrev_i32_e32 v27, 31, v26
	v_mul_lo_u32 v34, v27, s14
	v_mul_lo_u32 v35, v26, s15
	v_mad_u64_u32 v[26:27], s[24:25], v26, s14, 0
	s_ashr_i32 s25, s57, 31
	s_add_u32 s24, s54, s57
	s_addc_u32 s25, s53, s25
	v_lshl_add_u64 v[18:19], v[18:19], 2, s[42:43]
	v_add3_u32 v27, v27, v35, v34
	s_lshl_b64 s[24:25], s[24:25], 8
	v_lshl_add_u64 v[20:21], v[20:21], 2, s[42:43]
	v_lshl_add_u64 v[22:23], v[22:23], 2, s[42:43]
	;; [unrolled: 1-line block ×3, first 2 shown]
	global_load_dword v34, v[18:19], off
	global_load_dword v35, v[20:21], off
	;; [unrolled: 1-line block ×4, first 2 shown]
	v_lshl_add_u64 v[18:19], v[80:81], 0, s[24:25]
	v_lshl_add_u64 v[22:23], v[18:19], 0, v[78:79]
	global_load_ushort v44, v[22:23], off offset:256
	global_load_ushort v147, v[22:23], off
	ds_read2st64_b64 v[18:21], v124 offset0:4 offset1:8
	global_load_ushort v148, v[22:23], off offset:768
	global_load_ushort v149, v[22:23], off offset:512
	s_waitcnt lgkmcnt(1)
	v_mfma_f32_16x16x16_bf16 a[12:15], v[36:37], v[30:31], a[12:15]
	s_and_b64 vcc, exec, s[0:1]
	s_waitcnt vmcnt(3)
	v_lshlrev_b32_e32 v31, 16, v44
	s_waitcnt lgkmcnt(0)
	v_mfma_f32_16x16x16_bf16 a[0:3], v[36:37], v[18:19], a[0:3]
	global_load_ushort v36, v[22:23], off offset:288
	global_load_ushort v37, v[22:23], off offset:32
	;; [unrolled: 1-line block ×8, first 2 shown]
	v_mfma_f32_16x16x16_bf16 a[4:7], v[38:39], v[24:25], a[4:7]
	ds_read_b64 v[18:19], v121 offset:6144
	s_waitcnt vmcnt(10)
	v_lshlrev_b32_e32 v30, 16, v147
	v_mov_b32_e32 v147, 0
	v_mfma_f32_16x16x16_bf16 a[8:11], v[38:39], v[28:29], a[8:11]
	v_mfma_f32_16x16x16_bf16 a[12:15], v[38:39], v[32:33], a[12:15]
	;; [unrolled: 1-line block ×3, first 2 shown]
	global_load_ushort v38, v[22:23], off offset:352
	global_load_ushort v39, v[22:23], off offset:96
	ds_read_b64 v[20:21], v122 offset:6144
	ds_read_b64 v[24:25], v123 offset:6144
	;; [unrolled: 1-line block ×3, first 2 shown]
	global_load_ushort v156, v[22:23], off offset:864
	global_load_ushort v157, v[22:23], off offset:608
	s_load_dword s24, s[44:45], 0x0
	s_waitcnt lgkmcnt(0)
	v_mfma_f32_16x16x16_bf16 a[4:7], v[40:41], v[18:19], a[4:7]
	v_sub_f32_e32 v28, s24, v42
	v_mfma_f32_16x16x16_bf16 a[0:3], v[40:41], v[26:27], a[0:3]
	v_sub_f32_e32 v26, s24, v34
	v_sub_f32_e32 v27, s24, v35
	;; [unrolled: 1-line block ×3, first 2 shown]
	v_mfma_f32_16x16x16_bf16 a[8:11], v[40:41], v[20:21], a[8:11]
	v_exp_f32_e32 v26, v26
	v_exp_f32_e32 v27, v27
	;; [unrolled: 1-line block ×4, first 2 shown]
	v_accvgpr_read_b32 v33, a5
	v_accvgpr_read_b32 v32, a4
	v_accvgpr_read_b32 v19, a7
	v_accvgpr_read_b32 v18, a6
	v_pk_add_f32 v[30:31], v[30:31], v[32:33] neg_lo:[0,1] neg_hi:[0,1]
	s_waitcnt vmcnt(13)
	v_lshlrev_b32_e32 v33, 16, v148
	s_waitcnt vmcnt(12)
	v_lshlrev_b32_e32 v32, 16, v149
	v_pk_add_f32 v[18:19], v[32:33], v[18:19] neg_lo:[0,1] neg_hi:[0,1]
	v_pk_mul_f32 v[30:31], v[26:27], v[30:31]
	v_pk_mul_f32 v[18:19], v[28:29], v[18:19]
	v_accvgpr_read_b32 v33, a9
	v_perm_b32 v19, v19, v18, s3
	v_perm_b32 v18, v31, v30, s3
	v_accvgpr_read_b32 v32, a8
	v_accvgpr_read_b32 v21, a11
	v_mfma_f32_16x16x16_bf16 a[12:15], v[40:41], v[24:25], a[12:15]
	v_accvgpr_read_b32 v20, a10
	v_accvgpr_read_b32 v25, a3
	;; [unrolled: 1-line block ×3, first 2 shown]
	s_waitcnt vmcnt(11)
	v_lshlrev_b32_e32 v31, 16, v36
	s_waitcnt vmcnt(10)
	v_lshlrev_b32_e32 v30, 16, v37
	v_pk_add_f32 v[30:31], v[30:31], v[32:33] neg_lo:[0,1] neg_hi:[0,1]
	s_waitcnt vmcnt(9)
	v_lshlrev_b32_e32 v33, 16, v150
	s_waitcnt vmcnt(8)
	v_lshlrev_b32_e32 v32, 16, v151
	v_pk_add_f32 v[20:21], v[32:33], v[20:21] neg_lo:[0,1] neg_hi:[0,1]
	v_pk_mul_f32 v[30:31], v[26:27], v[30:31]
	v_pk_mul_f32 v[20:21], v[28:29], v[20:21]
	v_accvgpr_read_b32 v23, a15
	v_perm_b32 v21, v21, v20, s3
	v_perm_b32 v20, v31, v30, s3
	ds_write2_b64 v98, v[18:19], v[20:21] offset1:16
	v_accvgpr_read_b32 v21, a13
	s_waitcnt vmcnt(7)
	v_lshlrev_b32_e32 v19, 16, v152
	s_waitcnt vmcnt(6)
	v_lshlrev_b32_e32 v18, 16, v153
	v_accvgpr_read_b32 v20, a12
	v_accvgpr_read_b32 v22, a14
	v_pk_add_f32 v[18:19], v[18:19], v[20:21] neg_lo:[0,1] neg_hi:[0,1]
	s_waitcnt vmcnt(5)
	v_lshlrev_b32_e32 v21, 16, v154
	s_waitcnt vmcnt(4)
	v_lshlrev_b32_e32 v20, 16, v155
	v_pk_add_f32 v[20:21], v[20:21], v[22:23] neg_lo:[0,1] neg_hi:[0,1]
	v_pk_mul_f32 v[18:19], v[26:27], v[18:19]
	v_pk_mul_f32 v[20:21], v[28:29], v[20:21]
	v_accvgpr_read_b32 v23, a1
	v_perm_b32 v21, v21, v20, s3
	v_perm_b32 v20, v19, v18, s3
	s_waitcnt vmcnt(3)
	v_lshlrev_b32_e32 v19, 16, v38
	s_waitcnt vmcnt(2)
	v_lshlrev_b32_e32 v18, 16, v39
	v_accvgpr_read_b32 v22, a0
	v_pk_add_f32 v[18:19], v[18:19], v[22:23] neg_lo:[0,1] neg_hi:[0,1]
	s_waitcnt vmcnt(1)
	v_lshlrev_b32_e32 v23, 16, v156
	s_waitcnt vmcnt(0)
	v_lshlrev_b32_e32 v22, 16, v157
	v_pk_add_f32 v[22:23], v[22:23], v[24:25] neg_lo:[0,1] neg_hi:[0,1]
	v_pk_mul_f32 v[18:19], v[26:27], v[18:19]
	v_pk_mul_f32 v[22:23], v[28:29], v[22:23]
	v_mov_b32_e32 v24, 0
	v_perm_b32 v23, v23, v22, s3
	v_perm_b32 v22, v19, v18, s3
	ds_write2_b64 v98, v[20:21], v[22:23] offset0:32 offset1:48
	v_mov_b32_e32 v18, 0
	v_mov_b32_e32 v19, 0
	;; [unrolled: 1-line block ×15, first 2 shown]
	s_cbranch_vccnz .LBB22_15
; %bb.14:                               ;   in Loop: Header=BB22_7 Depth=1
	s_and_b32 s29, s29, 0xffff
	s_mov_b32 s31, s27
	buffer_load_dwordx4 v[30:33], v131, s[28:31], 0 offen
	buffer_load_dwordx4 v[22:25], v131, s[28:31], s60 offen
	;; [unrolled: 1-line block ×4, first 2 shown]
	v_mov_b32_e32 v146, v92
	v_mov_b32_e32 v147, v91
.LBB22_15:                              ;   in Loop: Header=BB22_7 Depth=1
	s_waitcnt lgkmcnt(0)
	s_barrier
	ds_read_b64 v[42:43], v136
	ds_read2_b64 v[34:37], v127 offset1:16
	ds_read_b64 v[164:165], v137
	ds_read_b64 v[166:167], v138
	;; [unrolled: 1-line block ×3, first 2 shown]
	ds_read2_b64 v[38:41], v127 offset0:32 offset1:48
	ds_read2st64_b64 v[148:151], v127 offset0:4 offset1:8
	ds_read2st64_b64 v[152:155], v128 offset0:4 offset1:8
	;; [unrolled: 1-line block ×4, first 2 shown]
	s_waitcnt lgkmcnt(8)
	v_mfma_f32_16x16x16_bf16 a[0:3], v[42:43], v[34:35], 0
	s_add_i32 s25, s52, s64
	s_mul_hi_i32 s29, s25, s33
	s_mul_i32 s25, s25, s33
	v_mfma_f32_16x16x16_bf16 a[4:7], v[42:43], v[36:37], 0
	s_add_u32 s28, s25, s47
	s_addc_u32 s29, s29, s58
	s_lshl_b64 s[28:29], s[28:29], 15
	s_waitcnt lgkmcnt(4)
	v_mfma_f32_16x16x16_bf16 a[8:11], v[42:43], v[38:39], 0
	s_mul_i32 s31, s66, s33
	s_mul_hi_i32 s25, s66, s33
	s_add_u32 s44, s31, s47
	v_mfma_f32_16x16x16_bf16 a[12:15], v[42:43], v[40:41], 0
	ds_read_b64 v[42:43], v127 offset:6144
	ds_read_b64 v[176:177], v128 offset:6144
	;; [unrolled: 1-line block ×4, first 2 shown]
	s_addc_u32 s45, s25, s58
	s_waitcnt lgkmcnt(7)
	v_mfma_f32_16x16x16_bf16 a[0:3], v[164:165], v[148:149], a[0:3]
	s_lshl_b64 s[44:45], s[44:45], 9
	s_add_u32 s44, s36, s44
	s_addc_u32 s45, s37, s45
	s_waitcnt lgkmcnt(6)
	v_mfma_f32_16x16x16_bf16 a[4:7], v[164:165], v[152:153], a[4:7]
	v_lshl_add_u64 v[186:187], v[82:83], 0, s[28:29]
	s_waitcnt lgkmcnt(5)
	v_mfma_f32_16x16x16_bf16 a[8:11], v[164:165], v[156:157], a[8:11]
	s_waitcnt lgkmcnt(4)
	v_mfma_f32_16x16x16_bf16 a[12:15], v[164:165], v[160:161], a[12:15]
	ds_read_b64 v[164:165], v141
	ds_read_b64 v[174:175], v142
	;; [unrolled: 1-line block ×3, first 2 shown]
	s_waitcnt lgkmcnt(2)
	v_mfma_f32_16x16x16_bf16 a[16:19], v[164:165], v[34:35], 0
	v_mfma_f32_16x16x16_bf16 a[20:23], v[164:165], v[36:37], 0
	global_load_dwordx4 v[34:37], v140, s[44:45]
	v_mfma_f32_16x16x16_bf16 a[24:27], v[164:165], v[38:39], 0
	v_mfma_f32_16x16x16_bf16 a[28:31], v[164:165], v[40:41], 0
	global_load_dwordx4 v[38:41], v135, s[44:45]
	v_mfma_f32_16x16x16_bf16 a[0:3], v[166:167], v[150:151], a[0:3]
	v_mfma_f32_16x16x16_bf16 a[4:7], v[166:167], v[154:155], a[4:7]
	;; [unrolled: 1-line block ×8, first 2 shown]
	ds_read2st64_b64 v[164:167], v125 offset1:8
	ds_read2st64_b64 v[168:171], v126 offset1:8
	ds_read_b64 v[184:185], v133 offset:40960
	s_waitcnt lgkmcnt(2)
	v_mov_b32_e32 v172, v164
	v_mfma_f32_16x16x16_bf16 a[16:19], v[174:175], v[148:149], a[16:19]
	v_mov_b32_e32 v173, v165
	v_mfma_f32_16x16x16_bf16 a[20:23], v[174:175], v[152:153], a[20:23]
	v_mfma_f32_16x16x16_bf16 a[24:27], v[174:175], v[156:157], a[24:27]
	;; [unrolled: 1-line block ×3, first 2 shown]
	v_add_co_u32_e32 v160, vcc, s21, v186
	s_waitcnt lgkmcnt(1)
	v_mov_b32_e32 v174, v168
	s_waitcnt lgkmcnt(0)
	v_mfma_f32_16x16x16_bf16 a[16:19], v[184:185], v[150:151], a[16:19]
	ds_read2st64_b64 v[148:151], v125 offset0:16 offset1:24
	v_addc_co_u32_e32 v161, vcc, 0, v187, vcc
	v_mfma_f32_16x16x16_bf16 a[32:35], v[184:185], v[154:155], a[20:23]
	ds_read2st64_b64 v[152:155], v126 offset0:16 offset1:24
	v_mov_b32_e32 v175, v169
	v_mov_b32_e32 v168, v166
	v_mfma_f32_16x16x16_bf16 a[24:27], v[184:185], v[158:159], a[24:27]
	v_mov_b32_e32 v169, v167
	s_waitcnt lgkmcnt(0)
	v_mov_b32_e32 v158, v152
	v_mov_b32_e32 v159, v153
	v_mfma_f32_16x16x16_bf16 a[36:39], v[184:185], v[162:163], a[28:31]
	v_mov_b32_e32 v152, v150
	v_mov_b32_e32 v153, v151
	;; [unrolled: 1-line block ×3, first 2 shown]
	v_mfma_f32_16x16x16_bf16 a[20:23], v[182:183], v[42:43], a[16:19]
	v_add_co_u32_e32 v42, vcc, s63, v186
	v_mov_b32_e32 v157, v149
	v_mfma_f32_16x16x16_bf16 a[28:31], v[182:183], v[176:177], a[32:35]
	v_addc_co_u32_e32 v43, vcc, 0, v187, vcc
	global_store_dwordx4 v[42:43], v[152:155], off
	v_mfma_f32_16x16x16_bf16 a[16:19], v[182:183], v[178:179], a[24:27]
	s_waitcnt vmcnt(2)
	v_mov_b32_e32 v44, v37
	v_mov_b32_e32 v43, v36
	;; [unrolled: 1-line block ×3, first 2 shown]
	v_mfma_f32_16x16x16_bf16 a[24:27], v[182:183], v[180:181], a[36:39]
	s_and_b64 vcc, exec, s[0:1]
	global_store_dwordx4 v[186:187], v[172:175], off
	global_store_dwordx4 v[160:161], v[168:171], off offset:-4096
	global_store_dwordx4 v[160:161], v[156:159], off
	s_cbranch_vccnz .LBB22_6
; %bb.16:                               ;   in Loop: Header=BB22_7 Depth=1
	v_lshrrev_b32_e32 v35, 3, v146
	v_and_b32_e32 v35, 6, v35
	v_xor_b32_e32 v36, v35, v147
	v_lshlrev_b32_e32 v36, 2, v36
	v_and_b32_e32 v37, 8, v146
	v_xor_b32_e32 v146, 0x440, v36
	v_cmp_eq_u32_e32 vcc, 0, v37
	v_perm_b32 v37, v22, v18, s61
	s_nop 0
	v_cndmask_b32_e32 v36, v146, v36, vcc
	v_lshl_or_b32 v35, v35, 10, v36
	v_perm_b32 v36, v30, v26, s61
	s_barrier
	ds_write2st64_b32 v35, v36, v37 offset0:128 offset1:160
	v_xor_b32_e32 v36, 8, v35
	v_perm_b32 v26, v30, v26, s62
	v_perm_b32 v18, v22, v18, s62
	v_add_u32_e32 v22, 0x80, v36
	ds_write2st64_b32 v22, v26, v18 offset0:128 offset1:160
	v_xor_b32_e32 v18, 16, v35
	v_perm_b32 v22, v31, v27, s61
	v_perm_b32 v26, v23, v19, s61
	ds_write2st64_b32 v18, v22, v26 offset0:129 offset1:161
	v_xor_b32_e32 v18, 24, v35
	v_perm_b32 v22, v31, v27, s62
	v_perm_b32 v19, v23, v19, s62
	v_add_u32_e32 v18, 0x80, v18
	ds_write2st64_b32 v18, v22, v19 offset0:129 offset1:161
	v_xor_b32_e32 v18, 32, v35
	v_perm_b32 v19, v32, v28, s61
	v_perm_b32 v22, v24, v20, s61
	ds_write2st64_b32 v18, v19, v22 offset0:130 offset1:162
	v_xor_b32_e32 v18, 40, v35
	v_perm_b32 v19, v32, v28, s62
	v_perm_b32 v20, v24, v20, s62
	v_add_u32_e32 v18, 0x80, v18
	ds_write2st64_b32 v18, v19, v20 offset0:130 offset1:162
	v_xor_b32_e32 v18, 48, v35
	v_perm_b32 v19, v33, v29, s61
	v_perm_b32 v20, v25, v21, s61
	ds_write2st64_b32 v18, v19, v20 offset0:131 offset1:163
	v_xor_b32_e32 v18, 56, v35
	v_perm_b32 v19, v33, v29, s62
	v_perm_b32 v20, v25, v21, s62
	v_add_u32_e32 v18, 0x80, v18
	ds_write2st64_b32 v18, v19, v20 offset0:131 offset1:163
	ds_write_b64 v145, v[14:15] offset:49152
	v_xor_b32_e32 v14, 8, v145
	ds_write_b64 v14, v[16:17] offset:49152
	ds_write_b64 v145, v[10:11] offset:57344
	ds_write_b64 v14, v[12:13] offset:57344
	ds_write_b64 v144, v[6:7] offset:49152
	v_xor_b32_e32 v6, 8, v144
	ds_write_b64 v6, v[8:9] offset:49152
	ds_write_b64 v144, v[2:3] offset:57344
	;; [unrolled: 1-line block ×3, first 2 shown]
	s_branch .LBB22_6
.LBB22_17:
	s_lshl_b32 s3, s51, 6
	s_sub_i32 s56, s56, s3
	s_cmp_gt_i32 s56, 0
	v_or_b32_e32 v18, s2, v87
	s_cbranch_scc1 .LBB22_19
; %bb.18:
	s_ashr_i32 s29, s47, 31
	v_or_b32_e32 v2, s2, v87
	s_cbranch_execz .LBB22_20
	s_branch .LBB22_100
.LBB22_19:
                                        ; implicit-def: $vgpr2
                                        ; implicit-def: $sgpr28_sgpr29
.LBB22_20:
	s_add_i32 s28, s3, s38
	s_ashr_i32 s3, s28, 31
	s_cmpk_lg_i32 s19, 0x80
	s_cselect_b64 s[42:43], -1, 0
	s_and_b64 vcc, exec, s[42:43]
	s_cbranch_vccz .LBB22_22
; %bb.21:
	s_mul_hi_i32 s0, s28, s18
	s_mul_i32 s1, s28, s18
	s_ashr_i32 s18, s55, 31
	s_add_u32 s44, s1, s55
	s_addc_u32 s45, s0, s18
	s_cbranch_execz .LBB22_23
	s_branch .LBB22_24
.LBB22_22:
                                        ; implicit-def: $sgpr44_sgpr45
.LBB22_23:
	s_mul_i32 s1, s55, s16
	s_mul_hi_i32 s0, s55, s16
	s_add_u32 s44, s1, s28
	s_addc_u32 s45, s0, s3
.LBB22_24:
	s_add_i32 s16, s51, s52
	s_ashr_i32 s29, s47, 31
	s_add_u32 s0, s54, s28
	v_lshlrev_b32_e32 v6, 6, v1
	v_lshlrev_b32_e32 v26, 2, v87
	s_addc_u32 s1, s53, s3
	s_mov_b32 s3, 0x7060302
	v_or_b32_e32 v9, v6, v26
	v_xor_b32_e32 v7, v1, v26
	v_perm_b32 v3, v77, v76, s3
	v_perm_b32 v2, v75, v74, s3
	;; [unrolled: 1-line block ×4, first 2 shown]
	v_lshlrev_b32_e32 v9, 1, v9
	v_xor_b32_e32 v8, v90, v26
	ds_write2st64_b64 v9, v[2:3], v[4:5] offset0:32 offset1:48
	v_lshlrev_b32_e32 v7, 1, v7
	v_lshlrev_b32_e32 v9, 8, v87
	v_or_b32_e32 v10, v7, v9
	v_lshlrev_b32_e32 v8, 1, v8
	ds_write_b64 v10, v[2:3]
	v_or_b32_e32 v2, v8, v9
	v_or_b32_e32 v9, 16, v87
	v_lshlrev_b32_e32 v25, 2, v9
	v_or_b32_e32 v10, v6, v25
	ds_write_b64 v2, v[4:5]
	v_perm_b32 v3, v69, v68, s3
	v_perm_b32 v2, v67, v66, s3
	;; [unrolled: 1-line block ×4, first 2 shown]
	v_lshlrev_b32_e32 v10, 1, v10
	v_lshlrev_b32_e32 v9, 8, v9
	ds_write2st64_b64 v10, v[2:3], v[4:5] offset0:32 offset1:48
	v_or_b32_e32 v10, v7, v9
	ds_write_b64 v10, v[2:3]
	v_or_b32_e32 v2, v8, v9
	v_or_b32_e32 v9, 32, v87
	v_lshlrev_b32_e32 v24, 2, v9
	v_or_b32_e32 v10, v6, v24
	ds_write_b64 v2, v[4:5]
	v_perm_b32 v3, v61, v60, s3
	v_perm_b32 v2, v59, v58, s3
	;; [unrolled: 1-line block ×4, first 2 shown]
	v_lshlrev_b32_e32 v10, 1, v10
	v_lshlrev_b32_e32 v9, 8, v9
	s_lshl_b64 s[30:31], s[0:1], 8
	ds_write2st64_b64 v10, v[2:3], v[4:5] offset0:32 offset1:48
	v_or_b32_e32 v10, v7, v9
	s_add_u32 s0, s6, s30
	ds_write_b64 v10, v[2:3]
	v_or_b32_e32 v2, v8, v9
	s_addc_u32 s1, s7, s31
	ds_write_b64 v2, v[4:5]
	v_perm_b32 v3, v53, v52, s3
	v_perm_b32 v2, v51, v50, s3
	;; [unrolled: 1-line block ×4, first 2 shown]
	v_or_b32_e32 v9, 48, v87
	s_mul_hi_i32 s3, s16, s17
	s_mul_i32 s16, s16, s17
	v_lshlrev_b32_e32 v21, 2, v9
	s_add_u32 s6, s16, s47
	v_or_b32_e32 v6, v6, v21
	s_addc_u32 s7, s3, s29
	v_lshlrev_b32_e32 v6, 1, v6
	s_ashr_i32 s3, s2, 31
	s_lshl_b64 s[6:7], s[6:7], 15
	ds_write2st64_b64 v6, v[2:3], v[4:5] offset0:32 offset1:48
	v_lshlrev_b32_e32 v6, 8, v9
	s_add_u32 s6, s40, s6
	v_or_b32_e32 v7, v7, v6
	s_addc_u32 s7, s41, s7
	s_lshl_b64 s[2:3], s[2:3], 8
	ds_write_b64 v7, v[2:3]
	v_or_b32_e32 v2, v8, v6
	s_add_u32 s2, s6, s2
	v_lshlrev_b32_e32 v3, 1, v87
	ds_write_b64 v2, v[4:5]
	v_lshrrev_b32_e32 v2, 4, v0
	s_addc_u32 s3, s7, s3
	v_or_b32_e32 v4, 1, v3
	v_lshlrev_b32_e32 v10, 4, v87
	v_mov_b32_e32 v11, 0
	v_xor_b32_e32 v3, v2, v3
	v_xor_b32_e32 v6, v4, v2
	v_lshl_add_u64 v[12:13], s[2:3], 0, v[10:11]
	v_lshlrev_b32_e32 v10, 8, v2
	v_lshl_or_b32 v16, v3, 3, v10
	v_lshl_or_b32 v17, v6, 3, v10
	s_waitcnt lgkmcnt(0)
	s_barrier
	ds_read2st64_b64 v[2:5], v16 offset1:8
	ds_read2st64_b64 v[6:9], v17 offset1:8
	v_lshl_add_u64 v[14:15], v[12:13], 0, v[10:11]
	s_movk_i32 s2, 0x2000
	s_cmp_lg_u32 s56, 64
	s_waitcnt lgkmcnt(1)
	v_mov_b32_e32 v10, v2
	v_mov_b32_e32 v11, v3
	s_waitcnt lgkmcnt(0)
	v_mov_b32_e32 v12, v6
	v_mov_b32_e32 v13, v7
	global_store_dwordx4 v[14:15], v[10:13], off
	v_mov_b32_e32 v6, v4
	v_mov_b32_e32 v7, v5
	ds_read2st64_b64 v[2:5], v16 offset0:16 offset1:24
	ds_read2st64_b64 v[10:13], v17 offset0:16 offset1:24
	v_add_co_u32_e32 v16, vcc, s2, v14
	s_cselect_b64 s[6:7], -1, 0
	s_nop 0
	v_addc_co_u32_e32 v17, vcc, 0, v15, vcc
	global_store_dwordx4 v[16:17], v[6:9], off offset:-4096
	v_lshl_or_b32 v19, v45, 3, v89
	s_mov_b32 s24, 0
	s_waitcnt lgkmcnt(1)
	v_mov_b32_e32 v6, v2
	v_add_co_u32_e32 v2, vcc, 0x3000, v14
	v_mov_b32_e32 v7, v3
	s_nop 0
	v_addc_co_u32_e32 v3, vcc, 0, v15, vcc
	s_waitcnt lgkmcnt(0)
	v_mov_b32_e32 v8, v10
	v_mov_b32_e32 v9, v11
	;; [unrolled: 1-line block ×4, first 2 shown]
	v_or_b32_e32 v22, 32, v19
	v_and_b32_e32 v20, 56, v88
	s_and_b64 vcc, exec, s[6:7]
	global_store_dwordx4 v[16:17], v[6:9], off
	global_store_dwordx4 v[2:3], v[10:13], off
	s_cbranch_vccz .LBB22_30
; %bb.25:
	s_mov_b32 s25, s24
	s_mov_b32 s26, s24
	s_mov_b32 s27, s24
	v_mov_b64_e32 v[6:7], s[24:25]
	v_mov_b64_e32 v[8:9], s[26:27]
	;; [unrolled: 1-line block ×3, first 2 shown]
	v_cmp_gt_i32_e32 vcc, s56, v19
	v_mov_b64_e32 v[4:5], v[8:9]
	s_and_saveexec_b64 s[2:3], vcc
	s_cbranch_execz .LBB22_27
; %bb.26:
	v_lshlrev_b32_e32 v2, 8, v19
	v_mov_b32_e32 v3, 0
	v_lshl_add_u64 v[4:5], s[0:1], 0, v[2:3]
	v_lshlrev_b32_e32 v2, 1, v20
	v_lshl_add_u64 v[10:11], v[4:5], 0, v[2:3]
	global_load_dwordx4 v[6:9], v[10:11], off
	global_load_dwordx4 v[2:5], v[10:11], off offset:128
.LBB22_27:
	s_or_b64 exec, exec, s[2:3]
	s_mov_b32 s25, s24
	s_mov_b32 s26, s24
	;; [unrolled: 1-line block ×3, first 2 shown]
	v_mov_b64_e32 v[14:15], s[24:25]
	v_mov_b64_e32 v[16:17], s[26:27]
	;; [unrolled: 1-line block ×3, first 2 shown]
	v_cmp_gt_i32_e32 vcc, s56, v22
	v_lshlrev_b32_e32 v23, 7, v22
	v_mov_b64_e32 v[12:13], v[16:17]
	s_and_saveexec_b64 s[2:3], vcc
	s_cbranch_execz .LBB22_29
; %bb.28:
	v_lshlrev_b32_e32 v10, 1, v23
	v_mov_b32_e32 v11, 0
	v_lshl_add_u64 v[12:13], s[0:1], 0, v[10:11]
	v_lshlrev_b32_e32 v10, 1, v20
	v_lshl_add_u64 v[28:29], v[12:13], 0, v[10:11]
	global_load_dwordx4 v[14:17], v[28:29], off
	global_load_dwordx4 v[10:13], v[28:29], off offset:128
.LBB22_29:
	s_or_b64 exec, exec, s[2:3]
	v_lshrrev_b32_e32 v27, 3, v20
	v_lshlrev_b32_e32 v28, 3, v19
	v_or_b32_e32 v27, v28, v27
	v_lshlrev_b32_e32 v27, 4, v27
	v_and_b32_e32 v28, 0x78, v28
	v_xor_b32_e32 v27, v27, v28
	s_branch .LBB22_32
.LBB22_30:
                                        ; implicit-def: $vgpr27
                                        ; implicit-def: $vgpr23
                                        ; implicit-def: $vgpr6_vgpr7_vgpr8_vgpr9
                                        ; implicit-def: $vgpr2_vgpr3_vgpr4_vgpr5
                                        ; implicit-def: $vgpr14_vgpr15_vgpr16_vgpr17
                                        ; implicit-def: $vgpr10_vgpr11_vgpr12_vgpr13
	s_cbranch_execz .LBB22_32
; %bb.31:
	s_waitcnt vmcnt(0)
	v_lshlrev_b32_e32 v2, 1, v20
	v_lshl_or_b32 v23, v19, 8, v2
	s_and_b32 s1, s1, 0xffff
	s_mov_b32 s3, 0x20000
	s_movk_i32 s2, 0x4000
	v_lshl_or_b32 v27, v22, 8, v2
	s_movk_i32 s16, 0x80
	buffer_load_dwordx4 v[6:9], v23, s[0:3], 0 offen
	buffer_load_dwordx4 v[2:5], v23, s[0:3], s16 offen
	;; [unrolled: 1-line block ×4, first 2 shown]
	v_lshrrev_b32_e32 v23, 3, v20
	v_lshlrev_b32_e32 v27, 3, v19
	v_or_b32_e32 v23, v27, v23
	v_lshlrev_b32_e32 v23, 4, v23
	v_and_b32_e32 v27, 0x78, v27
	v_xor_b32_e32 v27, v23, v27
	v_lshlrev_b32_e32 v23, 7, v22
.LBB22_32:
	s_movk_i32 s0, 0x1000
	v_and_or_b32 v22, v23, s0, v27
	s_waitcnt vmcnt(1)
	ds_write_b64 v27, v[6:7] offset:49152
	v_xor_b32_e32 v6, 8, v27
	ds_write_b64 v6, v[8:9] offset:49152
	s_waitcnt vmcnt(0)
	ds_write_b64 v27, v[2:3] offset:57344
	ds_write_b64 v6, v[4:5] offset:57344
	;; [unrolled: 1-line block ×3, first 2 shown]
	v_xor_b32_e32 v2, 8, v22
	ds_write_b64 v2, v[16:17] offset:49152
	ds_write_b64 v22, v[10:11] offset:57344
	;; [unrolled: 1-line block ×3, first 2 shown]
	v_or_b32_e32 v2, v84, v87
	v_lshlrev_b32_e32 v2, 3, v2
	v_lshrrev_b32_e32 v3, 5, v85
	s_movk_i32 s0, 0xf8
	v_and_or_b32 v3, v2, s0, v3
	v_lshlrev_b32_e32 v7, 4, v3
	v_lshlrev_b32_e32 v27, 11, v45
	v_and_b32_e32 v8, 0x78, v2
	v_or_b32_e32 v10, 32, v7
	v_and_b32_e32 v6, 0x1000, v27
	v_lshrrev_b32_e32 v3, 1, v85
	v_xor_b32_e32 v10, v10, v8
	v_xor_b32_e32 v2, v7, v8
	v_and_b32_e32 v9, 8, v3
	v_or_b32_e32 v10, v10, v6
	v_or_b32_e32 v2, v2, v6
	v_xor_b32_e32 v33, v10, v9
	v_or_b32_e32 v10, 64, v7
	v_xor_b32_e32 v32, v2, v9
	v_xor_b32_e32 v10, v10, v8
	s_waitcnt lgkmcnt(0)
	s_barrier
	v_or_b32_e32 v13, v10, v6
	ds_read_b64 v[10:11], v32 offset:49152
	v_lshl_or_b32 v14, v86, 8, v26
	v_lshlrev_b32_e32 v28, 1, v14
	v_add_u32_e32 v12, 0x4000, v28
	ds_read2_b64 v[2:5], v12 offset1:16
	v_or_b32_e32 v7, 0x60, v7
	v_xor_b32_e32 v7, v7, v8
	v_or_b32_e32 v6, v7, v6
	v_xor_b32_e32 v34, v13, v9
	v_xor_b32_e32 v35, v6, v9
	ds_read_b64 v[22:23], v33 offset:49152
	ds_read_b64 v[36:37], v34 offset:49152
	;; [unrolled: 1-line block ×3, first 2 shown]
	s_waitcnt lgkmcnt(3)
	v_mfma_f32_16x16x16_bf16 a[0:3], v[10:11], v[2:3], 0
	ds_read2_b64 v[6:9], v12 offset0:32 offset1:48
	s_lshl_b64 s[0:1], s[44:45], 8
	s_add_u32 s4, s4, s0
	v_mfma_f32_16x16x16_bf16 a[4:7], v[10:11], v[4:5], 0
	ds_read2st64_b64 v[2:5], v28 offset0:36 offset1:40
	s_addc_u32 s5, s5, s1
	s_add_i32 s18, s39, -1
	s_waitcnt lgkmcnt(1)
	v_mfma_f32_16x16x16_bf16 a[8:11], v[10:11], v[6:7], 0
	v_or_b32_e32 v6, 64, v14
	v_lshlrev_b32_e32 v29, 1, v6
	s_add_i32 s0, s49, s48
	s_waitcnt lgkmcnt(0)
	v_mfma_f32_16x16x16_bf16 a[0:3], v[22:23], v[2:3], a[0:3]
	v_or_b32_e32 v2, 0x80, v14
	v_lshlrev_b32_e32 v30, 1, v2
	v_or_b32_e32 v2, 0xc0, v14
	v_mfma_f32_16x16x16_bf16 a[12:15], v[10:11], v[8:9], 0
	ds_read2st64_b64 v[6:9], v29 offset0:36 offset1:40
	v_lshlrev_b32_e32 v31, 1, v2
	ds_read2st64_b64 v[10:13], v30 offset0:36 offset1:40
	ds_read2st64_b64 v[14:17], v31 offset0:36 offset1:40
	s_add_i32 s21, s0, s50
	s_mul_i32 s0, s47, s23
	s_mul_hi_u32 s1, s47, s22
	s_ashr_i32 s2, s18, 31
	s_mul_i32 s3, s18, s15
	s_mul_hi_u32 s16, s18, s14
	s_waitcnt lgkmcnt(2)
	v_mfma_f32_16x16x16_bf16 a[4:7], v[22:23], v[6:7], a[4:7]
	s_add_i32 s0, s1, s0
	s_mul_i32 s1, s29, s22
	s_add_i32 s3, s16, s3
	s_mul_i32 s2, s2, s14
	s_waitcnt lgkmcnt(1)
	v_mfma_f32_16x16x16_bf16 a[8:11], v[22:23], v[10:11], a[8:11]
	s_add_i32 s1, s0, s1
	s_add_i32 s3, s3, s2
	s_lshl_b64 s[20:21], s[20:21], 2
	s_waitcnt lgkmcnt(0)
	v_mfma_f32_16x16x16_bf16 a[12:15], v[22:23], v[14:15], a[12:15]
	s_mul_i32 s0, s47, s22
	s_add_u32 s10, s10, s20
	s_addc_u32 s11, s11, s21
	s_lshl_b64 s[0:1], s[0:1], 2
	v_mfma_f32_16x16x16_bf16 a[0:3], v[36:37], v[4:5], a[0:3]
	s_mul_i32 s2, s18, s14
	ds_read_b64 v[2:3], v28 offset:22528
	s_add_u32 s10, s10, s0
	v_mfma_f32_16x16x16_bf16 a[4:7], v[36:37], v[8:9], a[4:7]
	ds_read_b64 v[4:5], v29 offset:22528
	ds_read_b64 v[6:7], v30 offset:22528
	ds_read_b64 v[8:9], v31 offset:22528
	s_addc_u32 s11, s11, s1
	s_lshl_b64 s[0:1], s[2:3], 2
	v_mfma_f32_16x16x16_bf16 a[8:11], v[36:37], v[12:13], a[8:11]
	s_add_u32 s0, s10, s0
	s_addc_u32 s1, s11, s1
	s_load_dword s16, s[0:1], 0x0
	v_mfma_f32_16x16x16_bf16 a[12:15], v[36:37], v[16:17], a[12:15]
	s_and_b64 vcc, exec, s[42:43]
	s_waitcnt lgkmcnt(0)
	v_mfma_f32_16x16x16_bf16 a[0:3], v[38:39], v[2:3], a[0:3]
	v_mfma_f32_16x16x16_bf16 a[4:7], v[38:39], v[4:5], a[4:7]
	;; [unrolled: 1-line block ×4, first 2 shown]
	s_cbranch_vccz .LBB22_43
; %bb.33:
	v_lshlrev_b32_e32 v22, 1, v19
	s_and_b64 vcc, exec, s[6:7]
	s_cbranch_vccz .LBB22_44
; %bb.34:
	v_cmp_gt_i32_e32 vcc, s56, v22
	v_mov_b32_e32 v6, 0
	v_mov_b32_e32 v2, 0
	;; [unrolled: 1-line block ×5, first 2 shown]
	s_and_saveexec_b64 s[0:1], vcc
	s_cbranch_execz .LBB22_36
; %bb.35:
	v_mad_i64_i32 v[2:3], s[2:3], s19, v22, 0
	v_lshl_add_u64 v[2:3], v[2:3], 1, s[4:5]
	v_lshlrev_b32_e32 v4, 1, v20
	v_mov_b32_e32 v5, 0
	v_lshl_add_u64 v[2:3], v[2:3], 0, v[4:5]
	global_load_dwordx4 v[2:5], v[2:3], off
.LBB22_36:
	s_or_b64 exec, exec, s[0:1]
	v_or_b32_e32 v23, 1, v22
	v_cmp_gt_i32_e64 s[0:1], s56, v23
	v_mov_b32_e32 v7, 0
	v_mov_b32_e32 v8, 0
	;; [unrolled: 1-line block ×3, first 2 shown]
	s_and_saveexec_b64 s[2:3], s[0:1]
	s_cbranch_execz .LBB22_38
; %bb.37:
	v_mad_i64_i32 v[6:7], s[20:21], s19, v23, 0
	v_lshl_add_u64 v[6:7], v[6:7], 1, s[4:5]
	v_lshlrev_b32_e32 v8, 1, v20
	v_mov_b32_e32 v9, 0
	v_lshl_add_u64 v[6:7], v[6:7], 0, v[8:9]
	global_load_dwordx4 v[6:9], v[6:7], off
.LBB22_38:
	s_or_b64 exec, exec, s[2:3]
	v_mov_b32_e32 v17, 0
	v_mov_b32_e32 v10, 0
	;; [unrolled: 1-line block ×5, first 2 shown]
	s_and_saveexec_b64 s[2:3], vcc
	s_cbranch_execz .LBB22_40
; %bb.39:
	v_mad_i64_i32 v[10:11], s[20:21], s19, v22, 0
	v_lshl_add_u64 v[10:11], v[10:11], 1, s[4:5]
	v_lshlrev_b32_e32 v12, 1, v20
	v_mov_b32_e32 v13, 0
	v_lshl_add_u64 v[10:11], v[10:11], 0, v[12:13]
	global_load_dwordx4 v[10:13], v[10:11], off offset:128
.LBB22_40:
	s_or_b64 exec, exec, s[2:3]
	v_mov_b32_e32 v16, 0
	v_mov_b32_e32 v15, 0
	;; [unrolled: 1-line block ×3, first 2 shown]
	s_and_saveexec_b64 s[2:3], s[0:1]
	s_cbranch_execz .LBB22_42
; %bb.41:
	v_mad_i64_i32 v[14:15], s[0:1], s19, v23, 0
	v_lshl_add_u64 v[14:15], v[14:15], 1, s[4:5]
	v_lshlrev_b32_e32 v16, 1, v20
	v_mov_b32_e32 v17, 0
	v_lshl_add_u64 v[14:15], v[14:15], 0, v[16:17]
	global_load_dwordx4 v[14:17], v[14:15], off offset:128
.LBB22_42:
	s_or_b64 exec, exec, s[2:3]
	s_branch .LBB22_46
.LBB22_43:
                                        ; implicit-def: $vgpr5
                                        ; implicit-def: $vgpr9
                                        ; implicit-def: $vgpr13
                                        ; implicit-def: $vgpr17
	v_lshrrev_b32_e32 v36, 2, v85
	s_branch .LBB22_47
.LBB22_44:
                                        ; implicit-def: $vgpr5
                                        ; implicit-def: $vgpr9
                                        ; implicit-def: $vgpr13
                                        ; implicit-def: $vgpr17
	s_cbranch_execz .LBB22_46
; %bb.45:
	s_waitcnt vmcnt(0)
	v_mad_u64_u32 v[2:3], s[0:1], v22, s19, v[20:21]
	v_lshlrev_b32_e32 v22, 1, v2
	s_lshl_b32 s2, s19, 7
	s_and_b32 s1, s5, 0xffff
	s_mov_b32 s3, 0x20000
	s_mov_b32 s0, s4
	v_add_lshl_u32 v23, v2, s19, 1
	s_movk_i32 s19, 0x80
	buffer_load_dwordx4 v[2:5], v22, s[0:3], 0 offen
	buffer_load_dwordx4 v[10:13], v22, s[0:3], s19 offen
	;; [unrolled: 1-line block ×4, first 2 shown]
.LBB22_46:
	v_lshrrev_b32_e32 v36, 2, v85
	s_cbranch_execnz .LBB22_59
.LBB22_47:
	s_and_b64 vcc, exec, s[6:7]
	s_cbranch_vccz .LBB22_57
; %bb.48:
	s_waitcnt vmcnt(0)
	v_lshlrev_b32_e32 v7, 1, v19
	v_cmp_gt_i32_e32 vcc, s56, v7
	v_mov_b32_e32 v6, 0
	v_lshlrev_b32_e32 v14, 9, v19
	v_mov_b32_e32 v2, 0
	v_mov_b32_e32 v3, 0
	;; [unrolled: 1-line block ×4, first 2 shown]
	s_and_saveexec_b64 s[0:1], vcc
	s_cbranch_execz .LBB22_50
; %bb.49:
	v_mov_b32_e32 v15, 0
	v_lshl_add_u64 v[2:3], s[4:5], 0, v[14:15]
	v_lshlrev_b32_e32 v4, 1, v20
	v_mov_b32_e32 v5, v15
	v_lshl_add_u64 v[2:3], v[2:3], 0, v[4:5]
	global_load_dwordx4 v[2:5], v[2:3], off
.LBB22_50:
	s_or_b64 exec, exec, s[0:1]
	v_or_b32_e32 v7, 1, v7
	v_cmp_gt_i32_e64 s[0:1], s56, v7
	v_lshlrev_b32_e32 v22, 8, v7
	v_mov_b32_e32 v7, 0
	v_mov_b32_e32 v8, 0
	;; [unrolled: 1-line block ×3, first 2 shown]
	s_and_saveexec_b64 s[2:3], s[0:1]
	s_cbranch_execz .LBB22_52
; %bb.51:
	v_mov_b32_e32 v23, 0
	v_lshl_add_u64 v[6:7], s[4:5], 0, v[22:23]
	v_lshlrev_b32_e32 v8, 1, v20
	v_mov_b32_e32 v9, v23
	v_lshl_add_u64 v[6:7], v[6:7], 0, v[8:9]
	global_load_dwordx4 v[6:9], v[6:7], off
.LBB22_52:
	s_or_b64 exec, exec, s[2:3]
	v_mov_b32_e32 v17, 0
	v_mov_b32_e32 v10, 0
	;; [unrolled: 1-line block ×5, first 2 shown]
	s_and_saveexec_b64 s[2:3], vcc
	s_cbranch_execz .LBB22_54
; %bb.53:
	v_mov_b32_e32 v15, 0
	v_lshl_add_u64 v[10:11], s[4:5], 0, v[14:15]
	v_lshlrev_b32_e32 v14, 1, v20
	v_lshl_add_u64 v[10:11], v[10:11], 0, v[14:15]
	global_load_dwordx4 v[10:13], v[10:11], off offset:128
.LBB22_54:
	s_or_b64 exec, exec, s[2:3]
	v_mov_b32_e32 v16, 0
	v_mov_b32_e32 v15, 0
	;; [unrolled: 1-line block ×3, first 2 shown]
	s_and_saveexec_b64 s[2:3], s[0:1]
	s_cbranch_execz .LBB22_56
; %bb.55:
	v_mov_b32_e32 v23, 0
	v_lshl_add_u64 v[14:15], s[4:5], 0, v[22:23]
	v_lshlrev_b32_e32 v22, 1, v20
	v_lshl_add_u64 v[14:15], v[14:15], 0, v[22:23]
	global_load_dwordx4 v[14:17], v[14:15], off offset:128
.LBB22_56:
	s_or_b64 exec, exec, s[2:3]
	s_branch .LBB22_59
.LBB22_57:
                                        ; implicit-def: $vgpr5
                                        ; implicit-def: $vgpr9
                                        ; implicit-def: $vgpr13
                                        ; implicit-def: $vgpr17
	s_cbranch_execz .LBB22_59
; %bb.58:
	s_waitcnt vmcnt(0)
	v_lshlrev_b32_e32 v2, 1, v20
	v_lshl_or_b32 v20, v19, 9, v2
	s_and_b32 s5, s5, 0xffff
	s_mov_b32 s7, 0x20000
	s_movk_i32 s6, 0x4000
	s_movk_i32 s0, 0x80
	buffer_load_dwordx4 v[2:5], v20, s[4:7], 0 offen
	buffer_load_dwordx4 v[6:9], v20, s[4:7], 0 offen offset:256
	buffer_load_dwordx4 v[10:13], v20, s[4:7], s0 offen
	buffer_load_dwordx4 v[14:17], v20, s[4:7], s0 offen offset:256
.LBB22_59:
	ds_read_b64 v[22:23], v32 offset:57344
	v_add_u32_e32 v20, 0x6000, v28
	ds_read2_b64 v[38:41], v20 offset1:16
	ds_read_b64 v[82:83], v33 offset:57344
	ds_read_b64 v[86:87], v34 offset:57344
	;; [unrolled: 1-line block ×3, first 2 shown]
	ds_read2_b64 v[32:35], v20 offset0:32 offset1:48
	v_and_b32_e32 v20, 12, v36
	v_and_b32_e32 v44, 6, v0
	v_xor_b32_e32 v19, v19, v44
	v_lshlrev_b32_e32 v19, 2, v19
	s_mov_b32 s0, 0x1000504
	s_waitcnt lgkmcnt(4)
	v_mfma_f32_16x16x16_bf16 a[4:7], v[22:23], v[40:41], a[4:7]
	s_mov_b32 s1, 0x3020706
	v_mfma_f32_16x16x16_bf16 a[0:3], v[22:23], v[38:39], a[0:3]
	ds_read2st64_b64 v[36:39], v28 offset0:52 offset1:56
	s_waitcnt lgkmcnt(1)
	v_mfma_f32_16x16x16_bf16 a[8:11], v[22:23], v[32:33], a[8:11]
	v_mfma_f32_16x16x16_bf16 a[12:15], v[22:23], v[34:35], a[12:15]
	ds_read2st64_b64 v[32:35], v29 offset0:52 offset1:56
	ds_read2st64_b64 v[40:43], v30 offset0:52 offset1:56
	;; [unrolled: 1-line block ×3, first 2 shown]
	s_waitcnt lgkmcnt(2)
	v_mfma_f32_16x16x16_bf16 a[4:7], v[82:83], v[32:33], a[4:7]
	v_and_b32_e32 v32, 1, v0
	v_xor_b32_e32 v33, 0x440, v19
	v_cmp_eq_u32_e32 vcc, 0, v32
	v_mfma_f32_16x16x16_bf16 a[0:3], v[82:83], v[36:37], a[0:3]
	s_waitcnt vmcnt(0)
	v_perm_b32 v32, v2, v6, s0
	v_cndmask_b32_e32 v19, v33, v19, vcc
	v_lshl_or_b32 v19, v44, 10, v19
	s_waitcnt lgkmcnt(1)
	v_mfma_f32_16x16x16_bf16 a[8:11], v[82:83], v[40:41], a[8:11]
	v_perm_b32 v33, v10, v14, s0
	ds_read_b64 v[22:23], v28 offset:30720
	ds_read_b64 v[36:37], v29 offset:30720
	;; [unrolled: 1-line block ×4, first 2 shown]
	ds_write2st64_b32 v19, v32, v33 offset0:128 offset1:160
	s_waitcnt lgkmcnt(5)
	v_mfma_f32_16x16x16_bf16 a[12:15], v[82:83], v[78:79], a[12:15]
	v_xor_b32_e32 v32, 8, v19
	v_perm_b32 v2, v2, v6, s1
	v_perm_b32 v6, v10, v14, s1
	v_add_u32_e32 v10, 0x80, v32
	ds_write2st64_b32 v10, v2, v6 offset0:128 offset1:160
	v_xor_b32_e32 v2, 16, v19
	v_perm_b32 v6, v3, v7, s0
	v_perm_b32 v10, v11, v15, s0
	v_mfma_f32_16x16x16_bf16 a[0:3], v[86:87], v[38:39], a[0:3]
	ds_write2st64_b32 v2, v6, v10 offset0:129 offset1:161
	v_xor_b32_e32 v2, 24, v19
	v_perm_b32 v3, v3, v7, s1
	v_mfma_f32_16x16x16_bf16 a[4:7], v[86:87], v[34:35], a[4:7]
	v_perm_b32 v6, v11, v15, s1
	v_add_u32_e32 v2, 0x80, v2
	ds_write2st64_b32 v2, v3, v6 offset0:129 offset1:161
	v_mfma_f32_16x16x16_bf16 a[16:19], v[86:87], v[42:43], a[8:11]
	v_xor_b32_e32 v2, 32, v19
	v_perm_b32 v3, v4, v8, s0
	v_perm_b32 v6, v12, v16, s0
	v_mfma_f32_16x16x16_bf16 a[20:23], v[86:87], v[80:81], a[12:15]
	ds_write2st64_b32 v2, v3, v6 offset0:130 offset1:162
	v_xor_b32_e32 v2, 40, v19
	v_perm_b32 v3, v4, v8, s1
	s_waitcnt lgkmcnt(8)
	v_mfma_f32_16x16x16_bf16 a[12:15], v[88:89], v[22:23], a[0:3]
	v_perm_b32 v4, v12, v16, s1
	v_add_u32_e32 v2, 0x80, v2
	ds_write2st64_b32 v2, v3, v4 offset0:130 offset1:162
	s_waitcnt lgkmcnt(8)
	v_mfma_f32_16x16x16_bf16 a[8:11], v[88:89], v[36:37], a[4:7]
	v_xor_b32_e32 v2, 48, v19
	v_perm_b32 v3, v5, v9, s0
	v_perm_b32 v4, v13, v17, s0
	s_waitcnt lgkmcnt(7)
	v_mfma_f32_16x16x16_bf16 a[4:7], v[88:89], v[90:91], a[16:19]
	ds_write2st64_b32 v2, v3, v4 offset0:131 offset1:163
	v_xor_b32_e32 v2, 56, v19
	v_or_b32_e32 v16, v20, v84
	s_waitcnt lgkmcnt(7)
	v_mfma_f32_16x16x16_bf16 a[0:3], v[88:89], v[92:93], a[20:23]
	v_perm_b32 v3, v5, v9, s1
	v_perm_b32 v4, v13, v17, s1
	v_add_u32_e32 v2, 0x80, v2
	v_cmp_gt_i32_e32 vcc, s56, v16
	v_mov_b32_e32 v17, 0
	v_mov_b32_e32 v23, 0
	ds_write2st64_b32 v2, v3, v4 offset0:131 offset1:163
	s_and_saveexec_b64 s[0:1], vcc
	s_cbranch_execz .LBB22_61
; %bb.60:
	v_add_u32_e32 v2, s28, v16
	v_ashrrev_i32_e32 v3, 31, v2
	v_mul_lo_u32 v4, v3, s14
	v_mul_lo_u32 v5, v2, s15
	v_mad_u64_u32 v[2:3], s[2:3], v2, s14, 0
	v_add3_u32 v3, v3, v5, v4
	v_lshl_add_u64 v[2:3], v[2:3], 2, s[10:11]
	global_load_dword v2, v[2:3], off
	s_waitcnt vmcnt(0)
	v_sub_f32_e32 v2, s16, v2
	v_exp_f32_e32 v23, v2
.LBB22_61:
	s_or_b64 exec, exec, s[0:1]
	v_or_b32_e32 v8, 1, v16
	v_cmp_gt_i32_e64 s[0:1], s56, v8
	s_and_saveexec_b64 s[2:3], s[0:1]
	s_cbranch_execz .LBB22_63
; %bb.62:
	v_add_u32_e32 v2, s28, v8
	v_ashrrev_i32_e32 v3, 31, v2
	v_mul_lo_u32 v4, v3, s14
	v_mul_lo_u32 v5, v2, s15
	v_mad_u64_u32 v[2:3], s[4:5], v2, s14, 0
	v_add3_u32 v3, v3, v5, v4
	v_lshl_add_u64 v[2:3], v[2:3], 2, s[10:11]
	global_load_dword v2, v[2:3], off
	s_waitcnt vmcnt(0)
	v_sub_f32_e32 v2, s16, v2
	v_exp_f32_e32 v17, v2
.LBB22_63:
	s_or_b64 exec, exec, s[2:3]
	v_or_b32_e32 v9, 2, v16
	v_cmp_gt_i32_e64 s[4:5], s56, v9
	v_mov_b32_e32 v22, 0
	v_mov_b32_e32 v32, 0
	s_and_saveexec_b64 s[2:3], s[4:5]
	s_cbranch_execz .LBB22_65
; %bb.64:
	v_add_u32_e32 v2, s28, v9
	v_ashrrev_i32_e32 v3, 31, v2
	v_mul_lo_u32 v4, v3, s14
	v_mul_lo_u32 v5, v2, s15
	v_mad_u64_u32 v[2:3], s[6:7], v2, s14, 0
	v_add3_u32 v3, v3, v5, v4
	v_lshl_add_u64 v[2:3], v[2:3], 2, s[10:11]
	global_load_dword v2, v[2:3], off
	s_waitcnt vmcnt(0)
	v_sub_f32_e32 v2, s16, v2
	v_exp_f32_e32 v32, v2
.LBB22_65:
	s_or_b64 exec, exec, s[2:3]
	v_or_b32_e32 v33, 3, v16
	v_cmp_gt_i32_e64 s[2:3], s56, v33
	s_and_saveexec_b64 s[6:7], s[2:3]
	s_cbranch_execz .LBB22_67
; %bb.66:
	v_add_u32_e32 v2, s28, v33
	v_ashrrev_i32_e32 v3, 31, v2
	v_mul_lo_u32 v4, v3, s14
	v_mul_lo_u32 v5, v2, s15
	v_mad_u64_u32 v[2:3], s[14:15], v2, s14, 0
	v_add3_u32 v3, v3, v5, v4
	v_lshl_add_u64 v[2:3], v[2:3], 2, s[10:11]
	global_load_dword v2, v[2:3], off
	s_waitcnt vmcnt(0)
	v_sub_f32_e32 v2, s16, v2
	v_exp_f32_e32 v22, v2
.LBB22_67:
	s_or_b64 exec, exec, s[6:7]
	s_add_u32 s6, s8, s30
	v_accvgpr_read_b32 v2, a12
	s_addc_u32 s7, s9, s31
	v_ashrrev_i32_e32 v19, 31, v18
	v_accvgpr_read_b32 v3, a13
	v_accvgpr_read_b32 v4, a14
	v_accvgpr_read_b32 v5, a15
	v_lshl_add_u64 v[6:7], v[18:19], 1, s[6:7]
	v_mov_b32_e32 v13, 0
	v_lshlrev_b32_e32 v10, 8, v16
	v_mov_b32_e32 v11, 0
	s_and_saveexec_b64 s[6:7], vcc
	s_cbranch_execz .LBB22_69
; %bb.68:
	v_mov_b32_e32 v11, 0
	v_lshl_add_u64 v[14:15], v[6:7], 0, v[10:11]
	global_load_ushort v11, v[14:15], off
	s_waitcnt vmcnt(0)
	v_lshlrev_b32_e32 v11, 16, v11
	v_sub_f32_e32 v2, v11, v2
	v_mul_f32_e32 v2, v23, v2
	v_lshrrev_b32_e32 v11, 16, v2
.LBB22_69:
	s_or_b64 exec, exec, s[6:7]
	v_lshlrev_b32_e32 v12, 8, v8
	s_and_saveexec_b64 s[6:7], s[0:1]
	s_cbranch_execz .LBB22_71
; %bb.70:
	v_mov_b32_e32 v13, 0
	v_lshl_add_u64 v[14:15], v[6:7], 0, v[12:13]
	global_load_ushort v2, v[14:15], off
	s_waitcnt vmcnt(0)
	v_lshlrev_b32_e32 v2, 16, v2
	v_sub_f32_e32 v2, v2, v3
	v_mul_f32_e32 v2, v17, v2
	v_lshrrev_b32_e32 v13, 16, v2
.LBB22_71:
	s_or_b64 exec, exec, s[6:7]
	v_mov_b32_e32 v34, 0
	v_lshlrev_b32_e32 v14, 8, v9
	v_mov_b32_e32 v15, 0
	s_and_saveexec_b64 s[6:7], s[4:5]
	s_cbranch_execz .LBB22_73
; %bb.72:
	v_mov_b32_e32 v15, 0
	v_lshl_add_u64 v[2:3], v[6:7], 0, v[14:15]
	global_load_ushort v2, v[2:3], off
	s_waitcnt vmcnt(0)
	v_lshlrev_b32_e32 v2, 16, v2
	v_sub_f32_e32 v2, v2, v4
	v_mul_f32_e32 v2, v32, v2
	v_lshrrev_b32_e32 v15, 16, v2
.LBB22_73:
	s_or_b64 exec, exec, s[6:7]
	v_lshlrev_b32_e32 v8, 8, v33
	s_and_saveexec_b64 s[6:7], s[2:3]
	s_cbranch_execz .LBB22_75
; %bb.74:
	v_mov_b32_e32 v9, 0
	v_lshl_add_u64 v[2:3], v[6:7], 0, v[8:9]
	global_load_ushort v2, v[2:3], off
	s_waitcnt vmcnt(0)
	v_lshlrev_b32_e32 v2, 16, v2
	v_sub_f32_e32 v2, v2, v5
	v_mul_f32_e32 v2, v22, v2
	v_lshrrev_b32_e32 v34, 16, v2
.LBB22_75:
	s_or_b64 exec, exec, s[6:7]
	v_lshlrev_b32_e32 v19, 6, v16
	v_accvgpr_read_b32 v2, a8
	s_mov_b32 s6, 0x5040100
	v_or_b32_e32 v9, v19, v26
	v_accvgpr_read_b32 v3, a9
	v_accvgpr_read_b32 v4, a10
	;; [unrolled: 1-line block ×3, first 2 shown]
	v_perm_b32 v35, v34, v15, s6
	v_perm_b32 v34, v13, v11, s6
	v_lshlrev_b32_e32 v9, 1, v9
	v_mov_b32_e32 v13, 0
	v_mov_b32_e32 v11, 0
	ds_write_b64 v9, v[34:35] offset:24576
	s_and_saveexec_b64 s[6:7], vcc
	s_cbranch_execz .LBB22_77
; %bb.76:
	v_mov_b32_e32 v11, 0
	v_lshl_add_u64 v[34:35], v[6:7], 0, v[10:11]
	global_load_ushort v9, v[34:35], off offset:32
	s_waitcnt vmcnt(0)
	v_lshlrev_b32_e32 v9, 16, v9
	v_sub_f32_e32 v2, v9, v2
	v_mul_f32_e32 v2, v23, v2
	v_lshrrev_b32_e32 v11, 16, v2
.LBB22_77:
	s_or_b64 exec, exec, s[6:7]
	s_and_saveexec_b64 s[6:7], s[0:1]
	s_cbranch_execz .LBB22_79
; %bb.78:
	v_mov_b32_e32 v13, 0
	v_lshl_add_u64 v[34:35], v[6:7], 0, v[12:13]
	global_load_ushort v2, v[34:35], off offset:32
	s_waitcnt vmcnt(0)
	v_lshlrev_b32_e32 v2, 16, v2
	v_sub_f32_e32 v2, v2, v3
	v_mul_f32_e32 v2, v17, v2
	v_lshrrev_b32_e32 v13, 16, v2
.LBB22_79:
	s_or_b64 exec, exec, s[6:7]
	v_mov_b32_e32 v9, 0
	v_mov_b32_e32 v15, 0
	s_and_saveexec_b64 s[6:7], s[4:5]
	s_cbranch_execz .LBB22_81
; %bb.80:
	v_mov_b32_e32 v15, 0
	v_lshl_add_u64 v[2:3], v[6:7], 0, v[14:15]
	global_load_ushort v2, v[2:3], off offset:32
	s_waitcnt vmcnt(0)
	v_lshlrev_b32_e32 v2, 16, v2
	v_sub_f32_e32 v2, v2, v4
	v_mul_f32_e32 v2, v32, v2
	v_lshrrev_b32_e32 v15, 16, v2
.LBB22_81:
	s_or_b64 exec, exec, s[6:7]
	s_and_saveexec_b64 s[6:7], s[2:3]
	s_cbranch_execz .LBB22_83
; %bb.82:
	v_mov_b32_e32 v9, 0
	v_lshl_add_u64 v[2:3], v[6:7], 0, v[8:9]
	global_load_ushort v2, v[2:3], off offset:32
	s_waitcnt vmcnt(0)
	v_lshlrev_b32_e32 v2, 16, v2
	v_sub_f32_e32 v2, v2, v5
	v_mul_f32_e32 v2, v22, v2
	v_lshrrev_b32_e32 v9, 16, v2
.LBB22_83:
	s_or_b64 exec, exec, s[6:7]
	s_mov_b32 s6, 0x5040100
	v_accvgpr_read_b32 v2, a4
	v_perm_b32 v35, v9, v15, s6
	v_or_b32_e32 v9, v19, v25
	v_accvgpr_read_b32 v3, a5
	v_accvgpr_read_b32 v4, a6
	;; [unrolled: 1-line block ×3, first 2 shown]
	v_perm_b32 v34, v13, v11, s6
	v_lshlrev_b32_e32 v9, 1, v9
	v_mov_b32_e32 v13, 0
	v_mov_b32_e32 v11, 0
	ds_write_b64 v9, v[34:35] offset:24576
	s_and_saveexec_b64 s[6:7], vcc
	s_cbranch_execz .LBB22_85
; %bb.84:
	v_mov_b32_e32 v11, 0
	v_lshl_add_u64 v[34:35], v[6:7], 0, v[10:11]
	global_load_ushort v9, v[34:35], off offset:64
	s_waitcnt vmcnt(0)
	v_lshlrev_b32_e32 v9, 16, v9
	v_sub_f32_e32 v2, v9, v2
	v_mul_f32_e32 v2, v23, v2
	v_lshrrev_b32_e32 v11, 16, v2
.LBB22_85:
	s_or_b64 exec, exec, s[6:7]
	s_and_saveexec_b64 s[6:7], s[0:1]
	s_cbranch_execz .LBB22_87
; %bb.86:
	v_mov_b32_e32 v13, 0
	v_lshl_add_u64 v[34:35], v[6:7], 0, v[12:13]
	global_load_ushort v2, v[34:35], off offset:64
	s_waitcnt vmcnt(0)
	v_lshlrev_b32_e32 v2, 16, v2
	v_sub_f32_e32 v2, v2, v3
	v_mul_f32_e32 v2, v17, v2
	v_lshrrev_b32_e32 v13, 16, v2
.LBB22_87:
	s_or_b64 exec, exec, s[6:7]
	v_mov_b32_e32 v9, 0
	v_mov_b32_e32 v15, 0
	s_and_saveexec_b64 s[6:7], s[4:5]
	s_cbranch_execz .LBB22_89
; %bb.88:
	v_mov_b32_e32 v15, 0
	v_lshl_add_u64 v[2:3], v[6:7], 0, v[14:15]
	global_load_ushort v2, v[2:3], off offset:64
	s_waitcnt vmcnt(0)
	v_lshlrev_b32_e32 v2, 16, v2
	v_sub_f32_e32 v2, v2, v4
	v_mul_f32_e32 v2, v32, v2
	v_lshrrev_b32_e32 v15, 16, v2
.LBB22_89:
	s_or_b64 exec, exec, s[6:7]
	s_and_saveexec_b64 s[6:7], s[2:3]
	s_cbranch_execz .LBB22_91
; %bb.90:
	v_mov_b32_e32 v9, 0
	v_lshl_add_u64 v[2:3], v[6:7], 0, v[8:9]
	global_load_ushort v2, v[2:3], off offset:64
	s_waitcnt vmcnt(0)
	v_lshlrev_b32_e32 v2, 16, v2
	v_sub_f32_e32 v2, v2, v5
	v_mul_f32_e32 v2, v22, v2
	v_lshrrev_b32_e32 v9, 16, v2
.LBB22_91:
	s_or_b64 exec, exec, s[6:7]
	s_mov_b32 s6, 0x5040100
	v_accvgpr_read_b32 v5, a3
	v_perm_b32 v35, v9, v15, s6
	v_or_b32_e32 v9, v19, v24
	v_accvgpr_read_b32 v4, a2
	v_accvgpr_read_b32 v3, a1
	v_accvgpr_read_b32 v2, a0
	v_perm_b32 v34, v13, v11, s6
	v_lshlrev_b32_e32 v9, 1, v9
	v_mov_b32_e32 v13, 0
	v_mov_b32_e32 v11, 0
	ds_write_b64 v9, v[34:35] offset:24576
	s_and_saveexec_b64 s[6:7], vcc
	s_cbranch_execz .LBB22_93
; %bb.92:
	v_mov_b32_e32 v11, 0
	v_lshl_add_u64 v[10:11], v[6:7], 0, v[10:11]
	global_load_ushort v9, v[10:11], off offset:96
	s_waitcnt vmcnt(0)
	v_lshlrev_b32_e32 v9, 16, v9
	v_sub_f32_e32 v2, v9, v2
	v_mul_f32_e32 v2, v23, v2
	v_lshrrev_b32_e32 v11, 16, v2
.LBB22_93:
	s_or_b64 exec, exec, s[6:7]
	s_and_saveexec_b64 s[6:7], s[0:1]
	s_cbranch_execz .LBB22_95
; %bb.94:
	v_mov_b32_e32 v13, 0
	v_lshl_add_u64 v[12:13], v[6:7], 0, v[12:13]
	global_load_ushort v2, v[12:13], off offset:96
	s_waitcnt vmcnt(0)
	v_lshlrev_b32_e32 v2, 16, v2
	v_sub_f32_e32 v2, v2, v3
	v_mul_f32_e32 v2, v17, v2
	v_lshrrev_b32_e32 v13, 16, v2
.LBB22_95:
	s_or_b64 exec, exec, s[6:7]
	v_mov_b32_e32 v9, 0
	v_mov_b32_e32 v12, 0
	s_and_saveexec_b64 s[0:1], s[4:5]
	s_cbranch_execz .LBB22_97
; %bb.96:
	v_mov_b32_e32 v15, 0
	v_lshl_add_u64 v[2:3], v[6:7], 0, v[14:15]
	global_load_ushort v2, v[2:3], off offset:96
	s_waitcnt vmcnt(0)
	v_lshlrev_b32_e32 v2, 16, v2
	v_sub_f32_e32 v2, v2, v4
	v_mul_f32_e32 v2, v32, v2
	v_lshrrev_b32_e32 v12, 16, v2
.LBB22_97:
	s_or_b64 exec, exec, s[0:1]
	v_or_b32_e32 v10, 0x6000, v28
	v_or_b32_e32 v2, 0x6000, v29
	;; [unrolled: 1-line block ×4, first 2 shown]
	s_and_saveexec_b64 s[0:1], s[2:3]
	s_cbranch_execz .LBB22_99
; %bb.98:
	v_mov_b32_e32 v9, 0
	v_lshl_add_u64 v[6:7], v[6:7], 0, v[8:9]
	global_load_ushort v6, v[6:7], off offset:96
	s_waitcnt vmcnt(0)
	v_lshlrev_b32_e32 v6, 16, v6
	v_sub_f32_e32 v5, v6, v5
	v_mul_f32_e32 v5, v22, v5
	v_lshrrev_b32_e32 v9, 16, v5
.LBB22_99:
	s_or_b64 exec, exec, s[0:1]
	s_mov_b32 s0, 0x5040100
	v_or_b32_e32 v5, v19, v21
	v_perm_b32 v7, v9, v12, s0
	v_perm_b32 v6, v13, v11, s0
	v_lshlrev_b32_e32 v5, 1, v5
	ds_write_b64 v5, v[6:7] offset:24576
	v_and_b32_e32 v5, 7, v0
	v_and_b32_e32 v11, 8, v0
	v_lshlrev_b32_e32 v17, 3, v5
	v_lshlrev_b32_e32 v19, 7, v5
	v_lshrrev_b32_e32 v5, 1, v0
	v_and_b32_e32 v5, 24, v5
	v_mov_b32_e32 v12, 0x400
	v_cmp_eq_u32_e32 vcc, 0, v11
	s_movk_i32 s2, 0x100
	v_lshlrev_b32_e32 v21, 3, v45
	v_cndmask_b32_e64 v11, v12, 64, vcc
	v_mov_b32_e32 v12, 0xa000
	v_mov_b32_e32 v13, 0x8000
	v_cmp_gt_u32_e64 s[0:1], s2, v0
	v_xor_b32_e32 v26, v21, v5
	s_waitcnt lgkmcnt(0)
	v_cndmask_b32_e64 v0, v12, v13, s[0:1]
	v_or_b32_e32 v12, 0x440, v26
	v_cndmask_b32_e32 v12, v12, v26, vcc
	v_or_b32_e32 v12, v12, v27
	v_xor_b32_e32 v44, v12, v17
	v_add3_u32 v12, v0, v44, v19
	s_barrier
	ds_read_b64 v[22:23], v12
	v_or_b32_e32 v12, 32, v5
	v_xor_b32_e32 v12, v21, v12
	v_or_b32_e32 v13, 0x440, v12
	v_cndmask_b32_e32 v12, v13, v12, vcc
	v_or_b32_e32 v12, v12, v27
	v_xor_b32_e32 v84, v12, v17
	v_add3_u32 v12, v0, v84, v19
	ds_read2_b64 v[6:9], v10 offset1:16
	ds_read_b64 v[40:41], v12
	ds_read2_b64 v[12:15], v10 offset0:32 offset1:48
	v_or3_b32 v11, v27, v11, v26
	v_xor_b32_e32 v11, v11, v17
	v_or_b32_e32 v5, 0x60, v5
	v_or_b32_e32 v85, v11, v19
	v_or_b32_e32 v11, v0, v85
	v_xor_b32_e32 v5, v21, v5
	s_waitcnt lgkmcnt(2)
	v_mfma_f32_16x16x16_bf16 a[0:3], v[22:23], v[6:7], 0
	ds_read2st64_b64 v[28:31], v2 offset0:4 offset1:8
	s_mul_i32 s0, s18, s17
	s_mul_hi_i32 s1, s18, s17
	v_mfma_f32_16x16x16_bf16 a[4:7], v[22:23], v[8:9], 0
	s_add_u32 s0, s0, s47
	s_addc_u32 s1, s1, s29
	s_lshl_b64 s[0:1], s[0:1], 9
	s_waitcnt lgkmcnt(1)
	v_mfma_f32_16x16x16_bf16 a[8:11], v[22:23], v[12:13], 0
	s_add_u32 s0, s36, s0
	s_addc_u32 s1, s37, s1
	v_lshlrev_b32_e32 v20, 2, v20
	v_mfma_f32_16x16x16_bf16 a[12:15], v[22:23], v[14:15], 0
	ds_read2st64_b64 v[22:25], v10 offset0:4 offset1:8
	ds_read2st64_b64 v[32:35], v3 offset0:4 offset1:8
	;; [unrolled: 1-line block ×3, first 2 shown]
	ds_read_b64 v[42:43], v11
	v_xor_b32_e32 v11, 0x440, v5
	v_cndmask_b32_e32 v5, v11, v5, vcc
	v_or_b32_e32 v5, v5, v27
	v_xor_b32_e32 v21, v5, v17
	v_add3_u32 v0, v0, v21, v19
	ds_read_b64 v[26:27], v0
	v_lshlrev_b32_e32 v0, 2, v16
	ds_read_b64 v[10:11], v10 offset:6144
	ds_read_b64 v[78:79], v2 offset:6144
	;; [unrolled: 1-line block ×4, first 2 shown]
	global_load_dwordx4 v[2:5], v0, s[0:1]
	s_waitcnt lgkmcnt(8)
	v_mfma_f32_16x16x16_bf16 a[0:3], v[40:41], v[22:23], a[0:3]
	v_add_u32_e32 v0, v44, v19
	ds_read_b64 v[16:17], v0 offset:40960
	v_lshlrev_b32_e32 v0, 6, v45
	v_mfma_f32_16x16x16_bf16 a[4:7], v[40:41], v[28:29], a[4:7]
	v_or3_b32 v0, v0, v20, s2
	v_add_u32_e32 v20, v84, v19
	v_add_u32_e32 v19, v21, v19
	s_waitcnt lgkmcnt(8)
	v_mfma_f32_16x16x16_bf16 a[8:11], v[40:41], v[32:33], a[8:11]
	s_waitcnt vmcnt(0)
	v_exp_f32_e32 v4, v4
	s_waitcnt lgkmcnt(7)
	v_mfma_f32_16x16x16_bf16 a[12:15], v[40:41], v[36:37], a[12:15]
	v_exp_f32_e32 v5, v5
	v_exp_f32_e32 v2, v2
	v_exp_f32_e32 v3, v3
	s_waitcnt lgkmcnt(6)
	v_mfma_f32_16x16x16_bf16 a[0:3], v[42:43], v[24:25], a[0:3]
	v_mfma_f32_16x16x16_bf16 a[4:7], v[42:43], v[30:31], a[4:7]
	;; [unrolled: 1-line block ×4, first 2 shown]
	s_waitcnt lgkmcnt(4)
	v_mfma_f32_16x16x16_bf16 a[0:3], v[26:27], v[10:11], a[0:3]
	s_waitcnt lgkmcnt(3)
	v_mfma_f32_16x16x16_bf16 a[4:7], v[26:27], v[78:79], a[4:7]
	;; [unrolled: 2-line block ×4, first 2 shown]
	ds_read_b64 v[20:21], v20 offset:40960
	ds_read_b64 v[26:27], v19 offset:40960
	global_load_dwordx4 v[40:43], v0, s[0:1]
	v_exp_f32_e32 v0, s16
	s_waitcnt lgkmcnt(2)
	v_mfma_f32_16x16x16_bf16 a[28:31], v[16:17], v[14:15], 0
	ds_read_b64 v[14:15], v85 offset:40960
	v_pk_mul_f32 v[2:3], v[0:1], v[2:3] op_sel_hi:[0,1]
	v_mfma_f32_16x16x16_bf16 a[16:19], v[16:17], v[6:7], 0
	v_pk_mul_f32 v[6:7], v[0:1], v[4:5] op_sel_hi:[0,1]
	v_accvgpr_read_b32 v5, a3
	v_accvgpr_read_b32 v4, a2
	v_mfma_f32_16x16x16_bf16 a[20:23], v[16:17], v[8:9], 0
	v_pk_fma_f32 v[76:77], v[76:77], v[6:7], v[4:5]
	v_accvgpr_read_b32 v4, a4
	v_accvgpr_read_b32 v5, a5
	v_mfma_f32_16x16x16_bf16 a[24:27], v[16:17], v[12:13], 0
	v_pk_fma_f32 v[66:67], v[2:3], v[66:67], v[4:5]
	v_accvgpr_read_b32 v4, a8
	v_accvgpr_read_b32 v5, a9
	s_waitcnt lgkmcnt(2)
	v_mfma_f32_16x16x16_bf16 a[16:19], v[20:21], v[22:23], a[16:19]
	v_accvgpr_read_b32 v9, a7
	v_accvgpr_read_b32 v8, a6
	;; [unrolled: 1-line block ×3, first 2 shown]
	v_mfma_f32_16x16x16_bf16 a[20:23], v[20:21], v[28:29], a[20:23]
	v_pk_fma_f32 v[58:59], v[2:3], v[58:59], v[4:5]
	v_accvgpr_read_b32 v4, a12
	v_accvgpr_read_b32 v13, a11
	v_mfma_f32_16x16x16_bf16 a[24:27], v[20:21], v[32:33], a[24:27]
	v_accvgpr_read_b32 v12, a10
	v_accvgpr_read_b32 v22, a0
	;; [unrolled: 1-line block ×3, first 2 shown]
	s_waitcnt lgkmcnt(0)
	v_mfma_f32_16x16x16_bf16 a[4:7], v[14:15], v[24:25], a[16:19]
	v_pk_fma_f32 v[74:75], v[74:75], v[2:3], v[22:23]
	v_pk_fma_f32 v[50:51], v[2:3], v[50:51], v[4:5]
	v_accvgpr_read_b32 v17, a15
	v_mfma_f32_16x16x16_bf16 a[0:3], v[20:21], v[36:37], a[28:31]
	v_accvgpr_read_b32 v16, a14
	v_pk_fma_f32 v[68:69], v[6:7], v[68:69], v[8:9]
	v_pk_fma_f32 v[60:61], v[6:7], v[60:61], v[12:13]
	v_mfma_f32_16x16x16_bf16 a[8:11], v[14:15], v[30:31], a[20:23]
	v_pk_fma_f32 v[52:53], v[6:7], v[52:53], v[16:17]
	s_waitcnt vmcnt(0)
	v_mov_b32_e32 v2, v41
	v_mfma_f32_16x16x16_bf16 a[12:15], v[14:15], v[34:35], a[24:27]
	v_mov_b32_e32 v3, v42
	v_mov_b32_e32 v4, v43
	v_exp_f32_e32 v9, v2
	v_exp_f32_e32 v2, v3
	;; [unrolled: 1-line block ×3, first 2 shown]
	v_mfma_f32_16x16x16_bf16 a[4:7], v[26:27], v[10:11], a[4:7]
	v_exp_f32_e32 v8, v40
	v_pk_mul_f32 v[2:3], v[0:1], v[2:3] op_sel_hi:[0,1]
	v_mfma_f32_16x16x16_bf16 a[0:3], v[14:15], v[38:39], a[0:3]
	v_pk_mul_f32 v[4:5], v[0:1], v[8:9] op_sel_hi:[0,1]
	v_mfma_f32_16x16x16_bf16 a[8:11], v[26:27], v[78:79], a[8:11]
	s_nop 1
	v_accvgpr_read_b32 v7, a7
	v_accvgpr_read_b32 v6, a6
	v_pk_fma_f32 v[72:73], v[72:73], v[2:3], v[6:7]
	v_mfma_f32_16x16x16_bf16 a[12:15], v[26:27], v[80:81], a[12:15]
	v_accvgpr_read_b32 v15, a5
	v_accvgpr_read_b32 v14, a4
	v_pk_fma_f32 v[70:71], v[70:71], v[4:5], v[14:15]
	v_mfma_f32_16x16x16_bf16 a[0:3], v[26:27], v[82:83], a[0:3]
	v_accvgpr_read_b32 v6, a8
	v_accvgpr_read_b32 v7, a9
	v_pk_fma_f32 v[62:63], v[4:5], v[62:63], v[6:7]
	v_accvgpr_read_b32 v6, a12
	v_accvgpr_read_b32 v7, a13
	v_pk_fma_f32 v[56:57], v[4:5], v[56:57], v[6:7]
	v_accvgpr_read_b32 v9, a11
	v_accvgpr_read_b32 v7, a1
	;; [unrolled: 1-line block ×8, first 2 shown]
	v_pk_fma_f32 v[64:65], v[2:3], v[64:65], v[8:9]
	v_pk_fma_f32 v[54:55], v[2:3], v[54:55], v[10:11]
	;; [unrolled: 1-line block ×4, first 2 shown]
	v_mov_b32_e32 v2, v18
.LBB22_100:
	s_mul_i32 s0, s33, s35
	s_mul_hi_u32 s1, s33, s34
	s_add_i32 s0, s1, s0
	s_mul_i32 s1, s46, s34
	s_add_i32 s1, s0, s1
	s_mul_i32 s0, s33, s34
	s_add_u32 s0, s0, s47
	s_addc_u32 s1, s1, s29
	s_lshl_b64 s[0:1], s[0:1], 15
	s_add_u32 s0, s12, s0
	v_lshlrev_b32_e32 v2, 7, v2
	s_addc_u32 s1, s13, s1
	v_ashrrev_i32_e32 v3, 31, v2
	v_lshl_add_u64 v[4:5], v[2:3], 1, s[0:1]
	v_lshlrev_b32_e32 v0, 1, v1
	v_mov_b32_e32 v1, 0
	s_mov_b32 s2, 0x7060302
	v_lshl_add_u64 v[4:5], v[4:5], 0, v[0:1]
	v_perm_b32 v7, v77, v76, s2
	v_perm_b32 v6, v75, v74, s2
	global_store_dwordx2 v[4:5], v[6:7], off
	v_perm_b32 v7, v73, v72, s2
	v_perm_b32 v6, v71, v70, s2
	global_store_dwordx2 v[4:5], v[6:7], off offset:128
	v_or_b32_e32 v4, 0x800, v2
	v_ashrrev_i32_e32 v5, 31, v4
	v_lshl_add_u64 v[4:5], v[4:5], 1, s[0:1]
	v_lshl_add_u64 v[4:5], v[4:5], 0, v[0:1]
	v_perm_b32 v7, v69, v68, s2
	v_perm_b32 v6, v67, v66, s2
	global_store_dwordx2 v[4:5], v[6:7], off
	v_perm_b32 v7, v65, v64, s2
	v_perm_b32 v6, v63, v62, s2
	global_store_dwordx2 v[4:5], v[6:7], off offset:128
	v_or_b32_e32 v4, 0x1000, v2
	v_or_b32_e32 v2, 0x1800, v2
	v_ashrrev_i32_e32 v5, 31, v4
	v_ashrrev_i32_e32 v3, 31, v2
	v_lshl_add_u64 v[4:5], v[4:5], 1, s[0:1]
	v_lshl_add_u64 v[2:3], v[2:3], 1, s[0:1]
	;; [unrolled: 1-line block ×3, first 2 shown]
	v_perm_b32 v7, v61, v60, s2
	v_perm_b32 v6, v59, v58, s2
	v_lshl_add_u64 v[0:1], v[2:3], 0, v[0:1]
	v_perm_b32 v3, v53, v52, s2
	v_perm_b32 v2, v51, v50, s2
	global_store_dwordx2 v[4:5], v[6:7], off
	v_perm_b32 v7, v55, v54, s2
	v_perm_b32 v6, v57, v56, s2
	global_store_dwordx2 v[0:1], v[2:3], off
	v_perm_b32 v3, v49, v48, s2
	v_perm_b32 v2, v47, v46, s2
	global_store_dwordx2 v[4:5], v[6:7], off offset:128
	global_store_dwordx2 v[0:1], v[2:3], off offset:128
	s_endpgm
	.section	.rodata,"a",@progbits
	.p2align	6, 0x0
	.amdhsa_kernel _ZN12_GLOBAL__N_139chunk_gated_delta_rule_fwd_h_hip_kernelILi64ELb0ELb1ELb0ELb1ELb1ELb1ELb0ELb1EEEvPK12hip_bfloat16S3_S3_PKfS5_PKvPS1_S8_PvPKiSB_iiiiilll
		.amdhsa_group_segment_fixed_size 65536
		.amdhsa_private_segment_fixed_size 0
		.amdhsa_kernarg_size 136
		.amdhsa_user_sgpr_count 2
		.amdhsa_user_sgpr_dispatch_ptr 0
		.amdhsa_user_sgpr_queue_ptr 0
		.amdhsa_user_sgpr_kernarg_segment_ptr 1
		.amdhsa_user_sgpr_dispatch_id 0
		.amdhsa_user_sgpr_kernarg_preload_length 0
		.amdhsa_user_sgpr_kernarg_preload_offset 0
		.amdhsa_user_sgpr_private_segment_size 0
		.amdhsa_uses_dynamic_stack 0
		.amdhsa_enable_private_segment 0
		.amdhsa_system_sgpr_workgroup_id_x 1
		.amdhsa_system_sgpr_workgroup_id_y 1
		.amdhsa_system_sgpr_workgroup_id_z 0
		.amdhsa_system_sgpr_workgroup_info 0
		.amdhsa_system_vgpr_workitem_id 0
		.amdhsa_next_free_vgpr 228
		.amdhsa_next_free_sgpr 67
		.amdhsa_accum_offset 188
		.amdhsa_reserve_vcc 1
		.amdhsa_float_round_mode_32 0
		.amdhsa_float_round_mode_16_64 0
		.amdhsa_float_denorm_mode_32 3
		.amdhsa_float_denorm_mode_16_64 3
		.amdhsa_dx10_clamp 1
		.amdhsa_ieee_mode 1
		.amdhsa_fp16_overflow 0
		.amdhsa_tg_split 0
		.amdhsa_exception_fp_ieee_invalid_op 0
		.amdhsa_exception_fp_denorm_src 0
		.amdhsa_exception_fp_ieee_div_zero 0
		.amdhsa_exception_fp_ieee_overflow 0
		.amdhsa_exception_fp_ieee_underflow 0
		.amdhsa_exception_fp_ieee_inexact 0
		.amdhsa_exception_int_div_zero 0
	.end_amdhsa_kernel
	.section	.text._ZN12_GLOBAL__N_139chunk_gated_delta_rule_fwd_h_hip_kernelILi64ELb0ELb1ELb0ELb1ELb1ELb1ELb0ELb1EEEvPK12hip_bfloat16S3_S3_PKfS5_PKvPS1_S8_PvPKiSB_iiiiilll,"axG",@progbits,_ZN12_GLOBAL__N_139chunk_gated_delta_rule_fwd_h_hip_kernelILi64ELb0ELb1ELb0ELb1ELb1ELb1ELb0ELb1EEEvPK12hip_bfloat16S3_S3_PKfS5_PKvPS1_S8_PvPKiSB_iiiiilll,comdat
.Lfunc_end22:
	.size	_ZN12_GLOBAL__N_139chunk_gated_delta_rule_fwd_h_hip_kernelILi64ELb0ELb1ELb0ELb1ELb1ELb1ELb0ELb1EEEvPK12hip_bfloat16S3_S3_PKfS5_PKvPS1_S8_PvPKiSB_iiiiilll, .Lfunc_end22-_ZN12_GLOBAL__N_139chunk_gated_delta_rule_fwd_h_hip_kernelILi64ELb0ELb1ELb0ELb1ELb1ELb1ELb0ELb1EEEvPK12hip_bfloat16S3_S3_PKfS5_PKvPS1_S8_PvPKiSB_iiiiilll
                                        ; -- End function
	.section	.AMDGPU.csdata,"",@progbits
; Kernel info:
; codeLenInByte = 12452
; NumSgprs: 73
; NumVgprs: 188
; NumAgprs: 40
; TotalNumVgprs: 228
; ScratchSize: 0
; MemoryBound: 0
; FloatMode: 240
; IeeeMode: 1
; LDSByteSize: 65536 bytes/workgroup (compile time only)
; SGPRBlocks: 9
; VGPRBlocks: 28
; NumSGPRsForWavesPerEU: 73
; NumVGPRsForWavesPerEU: 228
; AccumOffset: 188
; Occupancy: 1
; WaveLimiterHint : 1
; COMPUTE_PGM_RSRC2:SCRATCH_EN: 0
; COMPUTE_PGM_RSRC2:USER_SGPR: 2
; COMPUTE_PGM_RSRC2:TRAP_HANDLER: 0
; COMPUTE_PGM_RSRC2:TGID_X_EN: 1
; COMPUTE_PGM_RSRC2:TGID_Y_EN: 1
; COMPUTE_PGM_RSRC2:TGID_Z_EN: 0
; COMPUTE_PGM_RSRC2:TIDIG_COMP_CNT: 0
; COMPUTE_PGM_RSRC3_GFX90A:ACCUM_OFFSET: 46
; COMPUTE_PGM_RSRC3_GFX90A:TG_SPLIT: 0
	.section	.text._ZN12_GLOBAL__N_139chunk_gated_delta_rule_fwd_h_hip_kernelILi64ELb0ELb0ELb1ELb1ELb1ELb1ELb0ELb1EEEvPK12hip_bfloat16S3_S3_PKfS5_PKvPS1_S8_PvPKiSB_iiiiilll,"axG",@progbits,_ZN12_GLOBAL__N_139chunk_gated_delta_rule_fwd_h_hip_kernelILi64ELb0ELb0ELb1ELb1ELb1ELb1ELb0ELb1EEEvPK12hip_bfloat16S3_S3_PKfS5_PKvPS1_S8_PvPKiSB_iiiiilll,comdat
	.globl	_ZN12_GLOBAL__N_139chunk_gated_delta_rule_fwd_h_hip_kernelILi64ELb0ELb0ELb1ELb1ELb1ELb1ELb0ELb1EEEvPK12hip_bfloat16S3_S3_PKfS5_PKvPS1_S8_PvPKiSB_iiiiilll ; -- Begin function _ZN12_GLOBAL__N_139chunk_gated_delta_rule_fwd_h_hip_kernelILi64ELb0ELb0ELb1ELb1ELb1ELb1ELb0ELb1EEEvPK12hip_bfloat16S3_S3_PKfS5_PKvPS1_S8_PvPKiSB_iiiiilll
	.p2align	8
	.type	_ZN12_GLOBAL__N_139chunk_gated_delta_rule_fwd_h_hip_kernelILi64ELb0ELb0ELb1ELb1ELb1ELb1ELb0ELb1EEEvPK12hip_bfloat16S3_S3_PKfS5_PKvPS1_S8_PvPKiSB_iiiiilll,@function
_ZN12_GLOBAL__N_139chunk_gated_delta_rule_fwd_h_hip_kernelILi64ELb0ELb0ELb1ELb1ELb1ELb1ELb0ELb1EEEvPK12hip_bfloat16S3_S3_PKfS5_PKvPS1_S8_PvPKiSB_iiiiilll: ; @_ZN12_GLOBAL__N_139chunk_gated_delta_rule_fwd_h_hip_kernelILi64ELb0ELb0ELb1ELb1ELb1ELb1ELb0ELb1EEEvPK12hip_bfloat16S3_S3_PKfS5_PKvPS1_S8_PvPKiSB_iiiiilll
; %bb.0:
	s_load_dwordx4 s[16:19], s[0:1], 0x5c
	s_load_dwordx4 s[20:23], s[0:1], 0x70
	s_abs_i32 s25, s3
	s_ashr_i32 s24, s3, 31
	s_load_dwordx4 s[12:15], s[0:1], 0x30
	s_load_dwordx4 s[28:31], s[0:1], 0x48
	s_waitcnt lgkmcnt(0)
	s_abs_i32 s34, s17
	v_cvt_f32_u32_e32 v1, s34
	s_sub_i32 s26, 0, s34
	s_ashr_i32 s35, s17, 31
	s_xor_b32 s24, s24, s35
	v_rcp_iflag_f32_e32 v1, v1
	s_load_dwordx8 s[4:11], s[0:1], 0x0
	v_lshrrev_b32_e32 v87, 6, v0
	v_bfe_u32 v88, v0, 4, 2
	v_mul_f32_e32 v1, 0x4f7ffffe, v1
	v_cvt_u32_f32_e32 v1, v1
	v_lshlrev_b32_e32 v2, 2, v88
	v_and_b32_e32 v86, 63, v0
	v_mov_b32_e32 v47, 0
	v_readfirstlane_b32 s27, v1
	s_mul_i32 s26, s26, s27
	s_mul_hi_u32 s26, s27, s26
	s_add_i32 s27, s27, s26
	s_mul_hi_u32 s26, s25, s27
	s_mul_i32 s27, s26, s34
	s_sub_i32 s25, s25, s27
	s_add_i32 s33, s26, 1
	s_sub_i32 s27, s25, s34
	s_cmp_ge_u32 s25, s34
	s_cselect_b32 s26, s33, s26
	s_cselect_b32 s25, s27, s25
	s_add_i32 s27, s26, 1
	s_cmp_ge_u32 s25, s34
	s_cselect_b32 s25, s27, s26
	s_xor_b32 s25, s25, s24
	s_sub_i32 s24, s25, s24
	s_mul_i32 s25, s24, s17
	s_sub_i32 s33, s3, s25
	s_ashr_i32 s25, s24, 31
	s_lshl_b64 s[26:27], s[24:25], 2
	s_add_u32 s28, s28, s26
	s_addc_u32 s29, s29, s27
	s_add_u32 s26, s30, s26
	s_addc_u32 s27, s31, s27
	s_abs_i32 s3, s18
	v_cvt_f32_u32_e32 v1, s3
	s_load_dwordx2 s[38:39], s[28:29], 0x0
	s_sub_i32 s29, 0, s3
	s_load_dword s48, s[26:27], 0x0
	v_rcp_iflag_f32_e32 v1, v1
	v_and_b32_e32 v45, 15, v0
	s_waitcnt lgkmcnt(0)
	s_sub_i32 s49, s39, s38
	s_ashr_i32 s28, s49, 31
	v_mul_f32_e32 v1, 0x4f7ffffe, v1
	v_cvt_u32_f32_e32 v1, v1
	s_lshr_b32 s28, s28, 26
	s_add_i32 s28, s49, s28
	s_ashr_i32 s47, s28, 6
	v_readfirstlane_b32 s30, v1
	s_mul_i32 s29, s29, s30
	s_mul_hi_u32 s29, s30, s29
	s_add_i32 s30, s30, s29
	s_mul_hi_u32 s29, s34, s30
	s_mul_i32 s30, s29, s3
	s_ashr_i32 s28, s18, 31
	s_sub_i32 s30, s34, s30
	s_xor_b32 s28, s35, s28
	s_add_i32 s31, s29, 1
	s_sub_i32 s34, s30, s3
	s_cmp_ge_u32 s30, s3
	s_cselect_b32 s29, s31, s29
	s_cselect_b32 s30, s34, s30
	s_add_i32 s31, s29, 1
	s_cmp_ge_u32 s30, s3
	s_cselect_b32 s3, s31, s29
	s_xor_b32 s3, s3, s28
	s_sub_i32 s3, s3, s28
	s_abs_i32 s28, s3
	v_cvt_f32_u32_e32 v1, s28
	s_sub_i32 s27, 0, s28
	s_abs_i32 s26, s33
	s_xor_b32 s3, s33, s3
	v_rcp_iflag_f32_e32 v1, v1
	s_ashr_i32 s3, s3, 31
	s_load_dwordx2 s[34:35], s[0:1], 0x80
	s_mul_hi_i32 s50, s33, s16
	v_mul_f32_e32 v1, 0x4f7ffffe, v1
	v_cvt_u32_f32_e32 v1, v1
	s_mul_i32 s51, s33, s16
	v_lshrrev_b32_e32 v90, 3, v86
	v_lshlrev_b32_e32 v89, 3, v0
	v_readfirstlane_b32 s29, v1
	s_mul_i32 s27, s27, s29
	s_mul_hi_u32 s27, s29, s27
	s_add_i32 s29, s29, s27
	s_mul_hi_u32 s27, s26, s29
	s_mul_i32 s29, s27, s28
	s_sub_i32 s26, s26, s29
	s_add_i32 s29, s27, 1
	s_sub_i32 s30, s26, s28
	s_cmp_ge_u32 s26, s28
	s_cselect_b32 s27, s29, s27
	s_cselect_b32 s26, s30, s26
	s_add_i32 s29, s27, 1
	s_cmp_ge_u32 s26, s28
	s_cselect_b32 s26, s29, s27
	s_xor_b32 s26, s26, s3
	v_lshlrev_b32_e32 v1, 4, v87
	s_sub_i32 s52, s26, s3
	v_or_b32_e32 v91, v2, v1
	s_lshl_b32 s36, s2, 6
	v_or_b32_e32 v92, 64, v91
	s_cmp_lt_i32 s49, 64
	s_mul_i32 s44, s24, s21
	s_mul_hi_u32 s45, s24, s20
	s_mul_i32 s46, s25, s20
	s_mul_i32 s20, s24, s20
	v_mov_b32_e32 v46, v47
	v_mov_b32_e32 v53, v47
	v_mov_b32_e32 v52, v47
	v_mov_b32_e32 v51, v47
	v_mov_b32_e32 v50, v47
	v_mov_b32_e32 v49, v47
	v_mov_b32_e32 v48, v47
	v_mov_b32_e32 v61, v47
	v_mov_b32_e32 v60, v47
	v_mov_b32_e32 v59, v47
	v_mov_b32_e32 v58, v47
	v_mov_b32_e32 v57, v47
	v_mov_b32_e32 v56, v47
	v_mov_b32_e32 v55, v47
	v_mov_b32_e32 v54, v47
	v_mov_b32_e32 v69, v47
	v_mov_b32_e32 v68, v47
	v_mov_b32_e32 v67, v47
	v_mov_b32_e32 v66, v47
	v_mov_b32_e32 v65, v47
	v_mov_b32_e32 v64, v47
	v_mov_b32_e32 v63, v47
	v_mov_b32_e32 v62, v47
	v_mov_b32_e32 v77, v47
	v_mov_b32_e32 v76, v47
	v_mov_b32_e32 v75, v47
	v_mov_b32_e32 v74, v47
	v_mov_b32_e32 v73, v47
	v_mov_b32_e32 v72, v47
	v_mov_b32_e32 v71, v47
	v_mov_b32_e32 v70, v47
	s_cbranch_scc1 .LBB23_18
; %bb.1:
	s_ashr_i32 s55, s33, 31
	s_ashr_i32 s3, s38, 31
	s_add_u32 s2, s51, s38
	s_addc_u32 s3, s50, s3
	s_lshl_b64 s[2:3], s[2:3], 8
	v_and_b32_e32 v94, 56, v89
	s_add_u32 s24, s6, s2
	v_lshl_or_b32 v93, v87, 3, v90
	v_lshlrev_b32_e32 v3, 1, v94
	s_addc_u32 s2, s7, s3
	v_lshl_or_b32 v95, v93, 8, v3
	s_and_b32 s25, s2, 0xffff
	s_mov_b32 s27, 0x20000
	s_movk_i32 s26, 0x4000
	s_movk_i32 s2, 0x80
	v_or_b32_e32 v96, 0x2000, v95
	buffer_load_dwordx4 v[4:7], v95, s[24:27], 0 offen
	buffer_load_dwordx4 v[8:11], v95, s[24:27], s2 offen
	;; [unrolled: 1-line block ×4, first 2 shown]
	v_lshlrev_b32_e32 v20, 3, v93
	v_and_or_b32 v22, v0, 7, v20
	v_and_b32_e32 v20, 0x78, v20
	v_lshlrev_b32_e32 v22, 4, v22
	v_xor_b32_e32 v97, v22, v20
	v_mul_lo_u32 v21, v93, s19
	v_or_b32_e32 v98, 0x1000, v97
	s_cmpk_eq_i32 s19, 0x80
	s_mov_b32 s53, s17
	s_mov_b32 s54, s38
	v_xor_b32_e32 v20, 8, v97
	v_xor_b32_e32 v22, 8, v98
	s_cselect_b64 s[2:3], -1, 0
	s_cmpk_lg_i32 s19, 0x80
	s_waitcnt vmcnt(3)
	ds_write_b64 v97, v[4:5] offset:49152
	ds_write_b64 v20, v[6:7] offset:49152
	s_waitcnt vmcnt(2)
	ds_write_b64 v97, v[8:9] offset:57344
	ds_write_b64 v20, v[10:11] offset:57344
	;; [unrolled: 3-line block ×4, first 2 shown]
	v_lshl_add_u32 v4, v21, 1, v94
	s_cbranch_scc0 .LBB23_3
; %bb.2:
	v_lshlrev_b32_e32 v6, 1, v4
	v_add_lshl_u32 v5, v4, s19, 1
	s_lshl_b32 s26, s19, 7
	s_load_dwordx2 s[40:41], s[0:1], 0x20
	v_lshl_or_b32 v3, v93, 9, v3
	s_cbranch_execz .LBB23_4
	s_branch .LBB23_5
.LBB23_3:
                                        ; implicit-def: $vgpr5
                                        ; implicit-def: $vgpr6
                                        ; implicit-def: $sgpr26
	s_load_dwordx2 s[40:41], s[0:1], 0x20
	v_lshl_or_b32 v3, v93, 9, v3
.LBB23_4:
	v_or_b32_e32 v5, 0x100, v3
	s_movk_i32 s26, 0x4000
	v_mov_b32_e32 v6, v3
.LBB23_5:
	s_mul_i32 s0, s38, s18
	s_ashr_i32 s56, s52, 31
	s_mul_hi_i32 s1, s38, s18
	s_add_u32 s0, s0, s52
	s_addc_u32 s1, s1, s56
	s_lshl_b64 s[0:1], s[0:1], 8
	s_add_u32 s24, s4, s0
	s_addc_u32 s0, s5, s1
	s_and_b32 s25, s0, 0xffff
	s_movk_i32 s57, 0x80
	buffer_load_dwordx4 v[8:11], v6, s[24:27], 0 offen
	buffer_load_dwordx4 v[12:15], v6, s[24:27], s57 offen
	;; [unrolled: 1-line block ×4, first 2 shown]
	v_and_b32_e32 v5, 6, v0
	v_lshlrev_b32_e32 v6, 7, v91
	v_xor_b32_e32 v28, v93, v5
	v_and_b32_e32 v7, 1, v0
	v_lshl_or_b32 v31, v45, 3, v6
	v_lshlrev_b32_e32 v28, 2, v28
	v_lshlrev_b32_e32 v24, 2, v45
	v_or_b32_e32 v99, 0x4000, v31
	v_or_b32_e32 v100, 0x6000, v31
	v_xor_b32_e32 v31, 0x440, v28
	v_cmp_eq_u32_e32 vcc, 0, v7
	v_or_b32_e32 v26, 16, v45
	v_or_b32_e32 v27, 32, v45
	v_xor_b32_e32 v29, v91, v24
	v_xor_b32_e32 v30, v92, v24
	v_cndmask_b32_e32 v7, v31, v28, vcc
	s_add_i32 s0, s45, s44
	s_mov_b32 s58, 0x1000504
	v_lshl_or_b32 v32, v26, 3, v6
	v_lshlrev_b32_e32 v26, 8, v26
	v_lshl_or_b32 v33, v27, 3, v6
	v_lshlrev_b32_e32 v29, 1, v29
	v_lshlrev_b32_e32 v30, 1, v30
	v_lshl_or_b32 v5, v5, 10, v7
	s_add_i32 s21, s0, s46
	s_mul_i32 s0, s33, s23
	s_mul_hi_u32 s1, s33, s22
	s_mov_b32 s59, 0x3020706
	v_lshlrev_b32_e32 v25, 8, v45
	v_or_b32_e32 v103, 0x4000, v33
	v_or_b32_e32 v104, 0x6000, v33
	;; [unrolled: 1-line block ×4, first 2 shown]
	v_xor_b32_e32 v7, 8, v5
	v_xor_b32_e32 v26, 24, v5
	;; [unrolled: 1-line block ×4, first 2 shown]
	s_add_i32 s0, s1, s0
	s_mul_i32 s1, s55, s22
	v_or_b32_e32 v101, 0x4000, v32
	v_or_b32_e32 v102, 0x6000, v32
	;; [unrolled: 1-line block ×4, first 2 shown]
	v_xor_b32_e32 v25, 16, v5
	v_xor_b32_e32 v28, 32, v5
	;; [unrolled: 1-line block ×3, first 2 shown]
	v_add_u32_e32 v7, 0x80, v7
	v_add_u32_e32 v26, 0x80, v26
	;; [unrolled: 1-line block ×4, first 2 shown]
	s_add_i32 s1, s0, s1
	s_lshl_b64 s[24:25], s[20:21], 2
	s_mul_i32 s0, s33, s22
	s_add_u32 s21, s10, s24
	s_addc_u32 s24, s11, s25
	s_lshl_b64 s[0:1], s[0:1], 2
	s_add_u32 s42, s21, s0
	s_movk_i32 s0, 0xf8
	s_addc_u32 s43, s24, s1
	s_ashr_i32 s37, s36, 31
	s_lshl_b32 s30, s19, 7
	v_mov_b32_e32 v79, 0
	s_movk_i32 s21, 0x100
	v_lshlrev_b32_e32 v78, 4, v45
	v_lshlrev_b32_e32 v27, 8, v27
	s_mov_b32 s61, 0
	s_movk_i32 s26, 0x4000
	v_or_b32_e32 v109, v27, v29
	v_or_b32_e32 v110, v27, v30
	v_add_u32_e32 v136, v1, v2
	s_movk_i32 s60, 0x3000
	v_mov_b32_e32 v70, v79
	v_mov_b32_e32 v71, v79
	;; [unrolled: 1-line block ×7, first 2 shown]
	s_waitcnt vmcnt(1)
	v_perm_b32 v34, v8, v16, s58
	s_waitcnt vmcnt(0)
	v_perm_b32 v35, v12, v20, s58
	v_perm_b32 v8, v8, v16, s59
	;; [unrolled: 1-line block ×15, first 2 shown]
	ds_write2st64_b32 v5, v34, v35 offset0:128 offset1:160
	ds_write2st64_b32 v7, v8, v12 offset0:128 offset1:160
	;; [unrolled: 1-line block ×8, first 2 shown]
	v_or_b32_e32 v5, 48, v45
	v_lshl_or_b32 v7, v5, 3, v6
	v_lshlrev_b32_e32 v5, 8, v5
	v_or_b32_e32 v113, v5, v29
	v_or_b32_e32 v114, v5, v30
	v_or_b32_e32 v5, v1, v45
	v_lshlrev_b32_e32 v5, 3, v5
	v_lshrrev_b32_e32 v9, 5, v86
	v_and_or_b32 v9, v5, s0, v9
	v_lshlrev_b32_e32 v9, 4, v9
	v_lshlrev_b32_e32 v11, 11, v87
	v_and_b32_e32 v5, 0x78, v5
	v_or_b32_e32 v14, 32, v9
	v_and_b32_e32 v8, 0x1000, v11
	v_xor_b32_e32 v10, v9, v5
	v_lshrrev_b32_e32 v12, 1, v86
	v_xor_b32_e32 v14, v14, v5
	v_or_b32_e32 v10, v10, v8
	v_and_b32_e32 v12, 8, v12
	v_or_b32_e32 v14, v14, v8
	v_xor_b32_e32 v115, v10, v12
	v_lshlrev_b32_e32 v10, 8, v88
	v_xor_b32_e32 v117, v14, v12
	v_or_b32_e32 v14, 64, v9
	v_or_b32_e32 v9, 0x60, v9
	;; [unrolled: 1-line block ×3, first 2 shown]
	v_xor_b32_e32 v14, v14, v5
	v_xor_b32_e32 v5, v9, v5
	v_lshlrev_b32_e32 v13, 1, v13
	v_or_b32_e32 v14, v14, v8
	v_or_b32_e32 v5, v5, v8
	s_lshl_b64 s[0:1], s[36:37], 8
	v_or_b32_e32 v116, 0x4000, v13
	v_or_b32_e32 v118, 0x4080, v13
	;; [unrolled: 1-line block ×4, first 2 shown]
	v_xor_b32_e32 v121, v14, v12
	v_xor_b32_e32 v122, v5, v12
	v_or_b32_e32 v123, 0x6000, v13
	v_or_b32_e32 v124, 0x6080, v13
	v_or_b32_e32 v125, 0x6100, v13
	v_or_b32_e32 v126, 0x6180, v13
	v_lshlrev_b32_e32 v12, 1, v4
	v_add_lshl_u32 v13, v4, s19, 1
	s_add_u32 s0, s12, s0
	v_lshlrev_b32_e32 v4, 1, v45
	v_lshrrev_b32_e32 v15, 4, v0
	s_addc_u32 s1, s13, s1
	v_or_b32_e32 v5, 1, v4
	v_lshlrev_b32_e32 v18, 2, v0
	v_or_b32_e32 v14, 0x100, v3
	v_xor_b32_e32 v16, v15, v4
	v_xor_b32_e32 v17, v5, v15
	v_lshl_add_u64 v[4:5], s[0:1], 0, v[78:79]
	v_lshlrev_b32_e32 v78, 8, v15
	v_lshrrev_b32_e32 v19, 1, v0
	v_and_or_b32 v10, v18, 60, v10
	v_cndmask_b32_e64 v133, v12, v3, s[2:3]
	v_mov_b32_e32 v3, 0xa000
	v_mov_b32_e32 v12, 0x8000
	v_cmp_gt_u32_e64 s[0:1], s21, v0
	v_lshl_or_b32 v127, v16, 3, v78
	v_and_b32_e32 v16, 8, v0
	v_and_b32_e32 v19, 24, v19
	v_lshlrev_b32_e32 v10, 1, v10
	v_cndmask_b32_e64 v3, v3, v12, s[0:1]
	v_lshlrev_b32_e32 v12, 3, v87
	v_or_b32_e32 v129, 0x6000, v10
	v_or_b32_e32 v130, 0x6080, v10
	;; [unrolled: 1-line block ×4, first 2 shown]
	v_mov_b32_e32 v10, 0x400
	v_cmp_eq_u32_e32 vcc, 0, v16
	v_cndmask_b32_e64 v134, v13, v14, s[2:3]
	v_xor_b32_e32 v13, v12, v19
	v_and_b32_e32 v15, 7, v0
	v_cndmask_b32_e64 v16, v10, 64, vcc
	v_or_b32_e32 v14, 0x440, v13
	v_lshl_or_b32 v128, v17, 3, v78
	v_lshlrev_b32_e32 v17, 3, v15
	v_or_b32_e32 v18, 32, v19
	v_or_b32_e32 v20, 0x60, v19
	v_cndmask_b32_e32 v14, v14, v13, vcc
	v_or3_b32 v13, v11, v16, v13
	v_lshlrev_b32_e32 v15, 7, v15
	v_xor_b32_e32 v18, v12, v18
	v_xor_b32_e32 v13, v13, v17
	;; [unrolled: 1-line block ×3, first 2 shown]
	v_or_b32_e32 v21, 0x440, v18
	v_or_b32_e32 v135, v13, v15
	v_xor_b32_e32 v13, 0x440, v12
	v_cndmask_b32_e32 v18, v21, v18, vcc
	v_cndmask_b32_e32 v12, v13, v12, vcc
	v_or_b32_e32 v111, 0x4000, v7
	v_or_b32_e32 v112, 0x6000, v7
	v_lshrrev_b32_e32 v7, 2, v86
	v_or_b32_e32 v8, s36, v45
	v_or_b32_e32 v14, v14, v11
	;; [unrolled: 1-line block ×4, first 2 shown]
	v_and_b32_e32 v7, 12, v7
	v_ashrrev_i32_e32 v9, 31, v8
	v_xor_b32_e32 v14, v14, v17
	v_xor_b32_e32 v18, v18, v17
	;; [unrolled: 1-line block ×3, first 2 shown]
	v_or_b32_e32 v10, v1, v7
	v_add_u32_e32 v19, v3, v14
	v_add_u32_e32 v21, v3, v18
	;; [unrolled: 1-line block ×3, first 2 shown]
	v_or3_b32 v12, v1, v7, 64
	v_add_u32_e32 v7, 0xa000, v14
	v_add_u32_e32 v14, 0xa000, v18
	;; [unrolled: 1-line block ×3, first 2 shown]
	v_lshlrev_b64 v[8:9], 1, v[8:9]
	v_lshl_add_u64 v[80:81], s[8:9], 0, v[8:9]
	v_lshl_add_u64 v[82:83], s[14:15], 0, v[8:9]
	;; [unrolled: 1-line block ×3, first 2 shown]
	s_mov_b32 s21, 0x7060302
	v_lshlrev_b32_e32 v78, 1, v6
	s_movk_i32 s37, 0x2000
	v_lshlrev_b32_e32 v137, 2, v10
	v_add_u32_e32 v138, v19, v15
	v_add_u32_e32 v139, v21, v15
	;; [unrolled: 1-line block ×4, first 2 shown]
	v_lshlrev_b32_e32 v142, 2, v12
	v_add_u32_e32 v143, v7, v15
	v_add_u32_e32 v144, v14, v15
	;; [unrolled: 1-line block ×3, first 2 shown]
	v_mov_b32_e32 v77, v79
	v_mov_b32_e32 v62, v79
	;; [unrolled: 1-line block ×25, first 2 shown]
	s_waitcnt lgkmcnt(0)
	s_barrier
.LBB23_6:                               ; =>This Inner Loop Header: Depth=1
	s_add_i32 s62, s61, 1
	s_cmp_lt_i32 s62, s47
	s_mov_b64 s[28:29], 0
	s_cselect_b64 s[2:3], -1, 0
	s_cmp_ge_i32 s62, s47
	s_mov_b64 s[24:25], 0
	s_cbranch_scc1 .LBB23_8
; %bb.7:                                ;   in Loop: Header=BB23_6 Depth=1
	s_add_i32 s0, s54, 64
	s_ashr_i32 s1, s0, 31
	s_add_u32 s0, s51, s0
	s_addc_u32 s1, s50, s1
	s_lshl_b64 s[0:1], s[0:1], 8
	s_add_u32 s24, s6, s0
	s_addc_u32 s25, s7, s1
.LBB23_8:                               ;   in Loop: Header=BB23_6 Depth=1
	v_cndmask_b32_e64 v2, 0, 1, s[2:3]
	v_cmp_ne_u32_e64 s[0:1], 1, v2
	s_andn2_b64 vcc, exec, s[2:3]
	s_cbranch_vccnz .LBB23_10
; %bb.9:                                ;   in Loop: Header=BB23_6 Depth=1
	s_add_i32 s2, s54, 64
	s_mul_hi_i32 s3, s2, s18
	s_mul_i32 s2, s2, s18
	s_add_u32 s2, s2, s52
	s_addc_u32 s3, s3, s56
	s_lshl_b64 s[2:3], s[2:3], 8
	s_add_u32 s28, s4, s2
	s_addc_u32 s29, s5, s3
.LBB23_10:                              ;   in Loop: Header=BB23_6 Depth=1
	v_perm_b32 v3, v77, v76, s21
	v_perm_b32 v2, v75, v74, s21
	v_perm_b32 v5, v73, v72, s21
	v_perm_b32 v4, v71, v70, s21
	ds_write_b64 v99, v[2:3]
	ds_write_b64 v100, v[4:5]
	ds_write_b64 v105, v[2:3]
	ds_write_b64 v106, v[4:5]
	v_perm_b32 v3, v69, v68, s21
	v_perm_b32 v2, v67, v66, s21
	v_perm_b32 v5, v65, v64, s21
	v_perm_b32 v4, v63, v62, s21
	ds_write_b64 v101, v[2:3]
	ds_write_b64 v102, v[4:5]
	ds_write_b64 v107, v[2:3]
	ds_write_b64 v108, v[4:5]
	;; [unrolled: 8-line block ×4, first 2 shown]
	s_waitcnt lgkmcnt(0)
	s_barrier
	ds_read_b64 v[6:7], v115 offset:49152
	ds_read2_b64 v[2:5], v116 offset1:16
	ds_read_b64 v[18:19], v118 offset:6144
	ds_read_b64 v[20:21], v116 offset:6144
	s_waitcnt lgkmcnt(2)
	v_mfma_f32_16x16x16_bf16 a[0:3], v[6:7], v[2:3], 0
	ds_read_b64 v[22:23], v117 offset:49152
	ds_read2st64_b64 v[10:13], v119 offset0:4 offset1:8
	ds_read2st64_b64 v[14:17], v120 offset0:4 offset1:8
	v_mfma_f32_16x16x16_bf16 a[4:7], v[6:7], v[4:5], 0
	ds_read2_b64 v[2:5], v116 offset0:32 offset1:48
	s_add_i32 s63, s54, 63
	s_ashr_i32 s2, s63, 31
	s_waitcnt lgkmcnt(0)
	v_mfma_f32_16x16x16_bf16 a[8:11], v[6:7], v[2:3], 0
	s_mul_i32 s3, s63, s35
	s_mul_hi_u32 s31, s63, s34
	s_add_i32 s3, s31, s3
	v_mfma_f32_16x16x16_bf16 a[12:15], v[6:7], v[4:5], 0
	ds_read2st64_b64 v[2:5], v116 offset0:4 offset1:8
	ds_read2st64_b64 v[6:9], v118 offset0:4 offset1:8
	s_mul_i32 s2, s2, s34
	s_waitcnt lgkmcnt(1)
	v_mfma_f32_16x16x16_bf16 a[0:3], v[22:23], v[2:3], a[0:3]
	s_add_i32 s3, s3, s2
	s_mul_i32 s2, s63, s34
	s_lshl_b64 s[2:3], s[2:3], 2
	s_waitcnt lgkmcnt(0)
	v_mfma_f32_16x16x16_bf16 a[4:7], v[22:23], v[6:7], a[4:7]
	s_add_u32 s2, s42, s2
	s_addc_u32 s3, s43, s3
	s_and_b64 vcc, exec, s[0:1]
	v_mfma_f32_16x16x16_bf16 a[8:11], v[22:23], v[10:11], a[8:11]
	ds_read_b64 v[2:3], v121 offset:49152
	ds_read_b64 v[6:7], v122 offset:49152
	;; [unrolled: 1-line block ×3, first 2 shown]
	v_mov_b32_e32 v148, 0
	v_mov_b32_e32 v147, 0
	v_mfma_f32_16x16x16_bf16 a[12:15], v[22:23], v[14:15], a[12:15]
	v_mov_b32_e32 v146, 0
	v_mov_b32_e32 v14, 0
	;; [unrolled: 1-line block ×3, first 2 shown]
	s_waitcnt lgkmcnt(2)
	v_mfma_f32_16x16x16_bf16 a[0:3], v[2:3], v[4:5], a[0:3]
	v_mov_b32_e32 v4, 0
	v_mov_b32_e32 v5, 0
	v_mfma_f32_16x16x16_bf16 a[16:19], v[2:3], v[8:9], a[4:7]
	v_mov_b32_e32 v8, 0
	v_mov_b32_e32 v9, 0
	;; [unrolled: 3-line block ×3, first 2 shown]
	v_mfma_f32_16x16x16_bf16 a[24:27], v[2:3], v[16:17], a[12:15]
	ds_read_b64 v[2:3], v119 offset:6144
	v_mov_b32_e32 v16, 0
	v_mov_b32_e32 v17, 0
	s_waitcnt lgkmcnt(2)
	v_mfma_f32_16x16x16_bf16 a[4:7], v[6:7], v[20:21], a[0:3]
	v_mfma_f32_16x16x16_bf16 a[8:11], v[6:7], v[18:19], a[16:19]
	s_waitcnt lgkmcnt(0)
	v_mfma_f32_16x16x16_bf16 a[12:15], v[6:7], v[2:3], a[20:23]
	v_mov_b32_e32 v2, 0
	v_mov_b32_e32 v3, 0
	v_mfma_f32_16x16x16_bf16 a[0:3], v[6:7], v[10:11], a[24:27]
	v_mov_b32_e32 v6, 0
	v_mov_b32_e32 v7, 0
	;; [unrolled: 1-line block ×4, first 2 shown]
	s_cbranch_vccnz .LBB23_12
; %bb.11:                               ;   in Loop: Header=BB23_6 Depth=1
	s_and_b32 s25, s25, 0xffff
	buffer_load_dwordx4 v[14:17], v95, s[24:27], 0 offen
	buffer_load_dwordx4 v[10:13], v95, s[24:27], s57 offen
	;; [unrolled: 1-line block ×4, first 2 shown]
	v_mov_b32_e32 v147, v97
	v_mov_b32_e32 v146, v98
.LBB23_12:                              ;   in Loop: Header=BB23_6 Depth=1
	ds_read_b64 v[30:31], v115 offset:57344
	ds_read2_b64 v[18:21], v123 offset1:16
	ds_read_b64 v[34:35], v117 offset:57344
	ds_read_b64 v[36:37], v121 offset:57344
	ds_read_b64 v[38:39], v122 offset:57344
	v_add_u32_e32 v32, s54, v136
	s_waitcnt lgkmcnt(3)
	v_mfma_f32_16x16x16_bf16 a[4:7], v[30:31], v[18:19], a[4:7]
	v_mfma_f32_16x16x16_bf16 a[8:11], v[30:31], v[20:21], a[8:11]
	ds_read2_b64 v[18:21], v123 offset0:32 offset1:48
	ds_read2st64_b64 v[22:25], v123 offset0:4 offset1:8
	ds_read2st64_b64 v[26:29], v124 offset0:4 offset1:8
	s_waitcnt lgkmcnt(2)
	v_mfma_f32_16x16x16_bf16 a[12:15], v[30:31], v[18:19], a[12:15]
	v_ashrrev_i32_e32 v18, 31, v32
	v_mul_lo_u32 v33, v18, s34
	v_mad_u64_u32 v[18:19], s[24:25], v32, s34, 0
	v_mfma_f32_16x16x16_bf16 a[0:3], v[30:31], v[20:21], a[0:3]
	v_mul_lo_u32 v20, v32, s35
	v_add3_u32 v19, v19, v20, v33
	v_add_u32_e32 v20, 1, v32
	v_ashrrev_i32_e32 v21, 31, v20
	s_waitcnt lgkmcnt(1)
	v_mfma_f32_16x16x16_bf16 a[4:7], v[34:35], v[22:23], a[4:7]
	v_mul_lo_u32 v22, v21, s34
	v_mul_lo_u32 v23, v20, s35
	v_mad_u64_u32 v[20:21], s[24:25], v20, s34, 0
	v_add3_u32 v21, v21, v23, v22
	v_add_u32_e32 v22, 2, v32
	v_ashrrev_i32_e32 v23, 31, v22
	v_mul_lo_u32 v30, v23, s34
	v_mul_lo_u32 v31, v22, s35
	v_mad_u64_u32 v[22:23], s[24:25], v22, s34, 0
	v_add3_u32 v23, v23, v31, v30
	v_add_u32_e32 v30, 3, v32
	v_ashrrev_i32_e32 v31, 31, v30
	v_mul_lo_u32 v32, v31, s34
	v_mul_lo_u32 v33, v30, s35
	v_mad_u64_u32 v[30:31], s[24:25], v30, s34, 0
	s_ashr_i32 s25, s54, 31
	s_add_u32 s24, s51, s54
	s_addc_u32 s25, s50, s25
	v_lshl_add_u64 v[18:19], v[18:19], 2, s[42:43]
	v_add3_u32 v31, v31, v33, v32
	s_lshl_b64 s[24:25], s[24:25], 8
	v_lshl_add_u64 v[20:21], v[20:21], 2, s[42:43]
	v_lshl_add_u64 v[22:23], v[22:23], 2, s[42:43]
	;; [unrolled: 1-line block ×3, first 2 shown]
	global_load_dword v40, v[18:19], off
	global_load_dword v41, v[20:21], off
	;; [unrolled: 1-line block ×4, first 2 shown]
	v_lshl_add_u64 v[18:19], v[80:81], 0, s[24:25]
	v_lshl_add_u64 v[22:23], v[18:19], 0, v[78:79]
	global_load_ushort v44, v[22:23], off offset:256
	global_load_ushort v149, v[22:23], off
	ds_read2st64_b64 v[18:21], v125 offset0:4 offset1:8
	global_load_ushort v150, v[22:23], off offset:768
	global_load_ushort v151, v[22:23], off offset:512
	ds_read2st64_b64 v[30:33], v126 offset0:4 offset1:8
	global_load_ushort v152, v[22:23], off offset:288
	global_load_ushort v153, v[22:23], off offset:32
	;; [unrolled: 1-line block ×4, first 2 shown]
	s_waitcnt lgkmcnt(2)
	v_mfma_f32_16x16x16_bf16 a[8:11], v[34:35], v[26:27], a[8:11]
	global_load_ushort v156, v[22:23], off offset:320
	global_load_ushort v157, v[22:23], off offset:64
	;; [unrolled: 1-line block ×4, first 2 shown]
	s_and_b64 vcc, exec, s[0:1]
	s_waitcnt lgkmcnt(1)
	v_mfma_f32_16x16x16_bf16 a[12:15], v[34:35], v[18:19], a[12:15]
	ds_read_b64 v[18:19], v123 offset:6144
	s_waitcnt lgkmcnt(1)
	v_mfma_f32_16x16x16_bf16 a[0:3], v[34:35], v[30:31], a[0:3]
	v_lshl_add_u64 v[30:31], v[82:83], 0, s[24:25]
	v_lshl_add_u64 v[30:31], v[30:31], 0, v[78:79]
	v_mfma_f32_16x16x16_bf16 a[4:7], v[36:37], v[24:25], a[4:7]
	v_mfma_f32_16x16x16_bf16 a[8:11], v[36:37], v[28:29], a[8:11]
	;; [unrolled: 1-line block ×4, first 2 shown]
	global_load_ushort v36, v[22:23], off offset:352
	global_load_ushort v37, v[22:23], off offset:96
	ds_read_b64 v[20:21], v124 offset:6144
	ds_read_b64 v[24:25], v125 offset:6144
	;; [unrolled: 1-line block ×3, first 2 shown]
	s_load_dword s2, s[2:3], 0x0
	global_load_ushort v160, v[22:23], off offset:864
	global_load_ushort v161, v[22:23], off offset:608
	s_waitcnt lgkmcnt(0)
	v_mfma_f32_16x16x16_bf16 a[4:7], v[38:39], v[18:19], a[4:7]
	s_waitcnt vmcnt(17)
	v_sub_f32_e32 v28, s2, v42
	v_mfma_f32_16x16x16_bf16 a[0:3], v[38:39], v[26:27], a[0:3]
	v_sub_f32_e32 v26, s2, v40
	v_sub_f32_e32 v27, s2, v41
	s_waitcnt vmcnt(16)
	v_sub_f32_e32 v29, s2, v43
	v_mfma_f32_16x16x16_bf16 a[8:11], v[38:39], v[20:21], a[8:11]
	v_exp_f32_e32 v26, v26
	v_exp_f32_e32 v27, v27
	;; [unrolled: 1-line block ×4, first 2 shown]
	v_accvgpr_read_b32 v35, a5
	s_waitcnt vmcnt(15)
	v_lshlrev_b32_e32 v33, 16, v44
	s_waitcnt vmcnt(14)
	v_lshlrev_b32_e32 v32, 16, v149
	v_accvgpr_read_b32 v34, a4
	v_accvgpr_read_b32 v19, a7
	;; [unrolled: 1-line block ×3, first 2 shown]
	v_pk_add_f32 v[32:33], v[32:33], v[34:35] neg_lo:[0,1] neg_hi:[0,1]
	s_waitcnt vmcnt(13)
	v_lshlrev_b32_e32 v35, 16, v150
	s_waitcnt vmcnt(12)
	v_lshlrev_b32_e32 v34, 16, v151
	v_pk_add_f32 v[18:19], v[34:35], v[18:19] neg_lo:[0,1] neg_hi:[0,1]
	global_store_short_d16_hi v[30:31], v32, off
	global_store_short_d16_hi v[30:31], v33, off offset:256
	global_store_short_d16_hi v[30:31], v18, off offset:512
	;; [unrolled: 1-line block ×3, first 2 shown]
	v_pk_mul_f32 v[32:33], v[26:27], v[32:33]
	v_pk_mul_f32 v[18:19], v[28:29], v[18:19]
	v_accvgpr_read_b32 v35, a9
	v_perm_b32 v32, v33, v32, s21
	v_perm_b32 v33, v19, v18, s21
	s_waitcnt vmcnt(15)
	v_lshlrev_b32_e32 v19, 16, v152
	s_waitcnt vmcnt(14)
	v_lshlrev_b32_e32 v18, 16, v153
	v_accvgpr_read_b32 v34, a8
	v_accvgpr_read_b32 v21, a11
	v_mfma_f32_16x16x16_bf16 a[12:15], v[38:39], v[24:25], a[12:15]
	v_accvgpr_read_b32 v20, a10
	v_pk_add_f32 v[18:19], v[18:19], v[34:35] neg_lo:[0,1] neg_hi:[0,1]
	s_waitcnt vmcnt(13)
	v_lshlrev_b32_e32 v35, 16, v154
	s_waitcnt vmcnt(12)
	v_lshlrev_b32_e32 v34, 16, v155
	v_pk_add_f32 v[20:21], v[34:35], v[20:21] neg_lo:[0,1] neg_hi:[0,1]
	global_store_short_d16_hi v[30:31], v18, off offset:32
	global_store_short_d16_hi v[30:31], v19, off offset:288
	;; [unrolled: 1-line block ×4, first 2 shown]
	v_pk_mul_f32 v[18:19], v[26:27], v[18:19]
	v_pk_mul_f32 v[20:21], v[28:29], v[20:21]
	v_accvgpr_read_b32 v23, a15
	v_perm_b32 v21, v21, v20, s21
	v_perm_b32 v20, v19, v18, s21
	ds_write2_b64 v100, v[32:33], v[20:21] offset1:16
	v_accvgpr_read_b32 v21, a13
	s_waitcnt vmcnt(15)
	v_lshlrev_b32_e32 v19, 16, v156
	s_waitcnt vmcnt(14)
	v_lshlrev_b32_e32 v18, 16, v157
	v_accvgpr_read_b32 v20, a12
	v_accvgpr_read_b32 v22, a14
	v_pk_add_f32 v[18:19], v[18:19], v[20:21] neg_lo:[0,1] neg_hi:[0,1]
	s_waitcnt vmcnt(13)
	v_lshlrev_b32_e32 v21, 16, v158
	s_waitcnt vmcnt(12)
	v_lshlrev_b32_e32 v20, 16, v159
	v_pk_add_f32 v[20:21], v[20:21], v[22:23] neg_lo:[0,1] neg_hi:[0,1]
	global_store_short_d16_hi v[30:31], v18, off offset:64
	global_store_short_d16_hi v[30:31], v19, off offset:320
	;; [unrolled: 1-line block ×4, first 2 shown]
	v_pk_mul_f32 v[18:19], v[26:27], v[18:19]
	v_pk_mul_f32 v[20:21], v[28:29], v[20:21]
	v_accvgpr_read_b32 v23, a1
	v_perm_b32 v18, v19, v18, s21
	v_perm_b32 v19, v21, v20, s21
	s_waitcnt vmcnt(15)
	v_lshlrev_b32_e32 v21, 16, v36
	s_waitcnt vmcnt(14)
	v_lshlrev_b32_e32 v20, 16, v37
	v_accvgpr_read_b32 v22, a0
	v_accvgpr_read_b32 v25, a3
	;; [unrolled: 1-line block ×3, first 2 shown]
	v_pk_add_f32 v[20:21], v[20:21], v[22:23] neg_lo:[0,1] neg_hi:[0,1]
	s_waitcnt vmcnt(13)
	v_lshlrev_b32_e32 v23, 16, v160
	s_waitcnt vmcnt(12)
	v_lshlrev_b32_e32 v22, 16, v161
	v_pk_add_f32 v[22:23], v[22:23], v[24:25] neg_lo:[0,1] neg_hi:[0,1]
	global_store_short_d16_hi v[30:31], v20, off offset:96
	global_store_short_d16_hi v[30:31], v21, off offset:352
	;; [unrolled: 1-line block ×4, first 2 shown]
	v_pk_mul_f32 v[20:21], v[26:27], v[20:21]
	v_pk_mul_f32 v[22:23], v[28:29], v[22:23]
	v_mov_b32_e32 v149, 0
	v_perm_b32 v23, v23, v22, s21
	v_perm_b32 v22, v21, v20, s21
	ds_write2_b64 v100, v[18:19], v[22:23] offset0:32 offset1:48
	v_mov_b32_e32 v18, 0
	v_mov_b32_e32 v19, 0
	;; [unrolled: 1-line block ×16, first 2 shown]
	s_cbranch_vccnz .LBB23_14
; %bb.13:                               ;   in Loop: Header=BB23_6 Depth=1
	s_and_b32 s29, s29, 0xffff
	s_mov_b32 s31, s27
	buffer_load_dwordx4 v[30:33], v133, s[28:31], 0 offen
	buffer_load_dwordx4 v[22:25], v133, s[28:31], s57 offen
	;; [unrolled: 1-line block ×4, first 2 shown]
	v_mov_b32_e32 v148, v94
	v_mov_b32_e32 v149, v93
.LBB23_14:                              ;   in Loop: Header=BB23_6 Depth=1
	s_waitcnt lgkmcnt(0)
	s_barrier
	ds_read_b64 v[42:43], v138
	ds_read2_b64 v[34:37], v129 offset1:16
	ds_read_b64 v[166:167], v139
	ds_read_b64 v[168:169], v140
	ds_read_b64 v[170:171], v141
	ds_read2_b64 v[38:41], v129 offset0:32 offset1:48
	ds_read2st64_b64 v[150:153], v129 offset0:4 offset1:8
	ds_read2st64_b64 v[154:157], v130 offset0:4 offset1:8
	;; [unrolled: 1-line block ×4, first 2 shown]
	s_waitcnt lgkmcnt(8)
	v_mfma_f32_16x16x16_bf16 a[0:3], v[42:43], v[34:35], 0
	s_add_i32 s3, s48, s61
	s_mul_hi_i32 s25, s3, s53
	s_mul_i32 s3, s3, s53
	v_mfma_f32_16x16x16_bf16 a[4:7], v[42:43], v[36:37], 0
	s_add_u32 s24, s3, s33
	s_addc_u32 s25, s25, s55
	s_lshl_b64 s[24:25], s[24:25], 15
	s_waitcnt lgkmcnt(4)
	v_mfma_f32_16x16x16_bf16 a[8:11], v[42:43], v[38:39], 0
	s_mul_i32 s28, s63, s53
	s_mul_hi_i32 s3, s63, s53
	s_add_u32 s28, s28, s33
	v_mfma_f32_16x16x16_bf16 a[12:15], v[42:43], v[40:41], 0
	ds_read_b64 v[42:43], v129 offset:6144
	ds_read_b64 v[178:179], v130 offset:6144
	;; [unrolled: 1-line block ×4, first 2 shown]
	s_addc_u32 s29, s3, s55
	s_waitcnt lgkmcnt(7)
	v_mfma_f32_16x16x16_bf16 a[0:3], v[166:167], v[150:151], a[0:3]
	s_lshl_b64 s[28:29], s[28:29], 9
	s_add_u32 s28, s40, s28
	s_addc_u32 s29, s41, s29
	s_waitcnt lgkmcnt(6)
	v_mfma_f32_16x16x16_bf16 a[4:7], v[166:167], v[154:155], a[4:7]
	v_lshl_add_u64 v[188:189], v[84:85], 0, s[24:25]
	s_waitcnt lgkmcnt(5)
	v_mfma_f32_16x16x16_bf16 a[8:11], v[166:167], v[158:159], a[8:11]
	s_waitcnt lgkmcnt(4)
	v_mfma_f32_16x16x16_bf16 a[12:15], v[166:167], v[162:163], a[12:15]
	ds_read_b64 v[166:167], v143
	ds_read_b64 v[176:177], v144
	;; [unrolled: 1-line block ×3, first 2 shown]
	s_waitcnt lgkmcnt(2)
	v_mfma_f32_16x16x16_bf16 a[16:19], v[166:167], v[34:35], 0
	v_mfma_f32_16x16x16_bf16 a[20:23], v[166:167], v[36:37], 0
	global_load_dwordx4 v[34:37], v142, s[28:29]
	v_mfma_f32_16x16x16_bf16 a[24:27], v[166:167], v[38:39], 0
	v_mfma_f32_16x16x16_bf16 a[28:31], v[166:167], v[40:41], 0
	global_load_dwordx4 v[38:41], v137, s[28:29]
	v_mfma_f32_16x16x16_bf16 a[0:3], v[168:169], v[152:153], a[0:3]
	v_mfma_f32_16x16x16_bf16 a[4:7], v[168:169], v[156:157], a[4:7]
	;; [unrolled: 1-line block ×8, first 2 shown]
	ds_read2st64_b64 v[166:169], v127 offset1:8
	ds_read2st64_b64 v[170:173], v128 offset1:8
	ds_read_b64 v[186:187], v135 offset:40960
	s_waitcnt lgkmcnt(2)
	v_mov_b32_e32 v174, v166
	v_mfma_f32_16x16x16_bf16 a[16:19], v[176:177], v[150:151], a[16:19]
	v_mov_b32_e32 v175, v167
	v_mfma_f32_16x16x16_bf16 a[20:23], v[176:177], v[154:155], a[20:23]
	v_mfma_f32_16x16x16_bf16 a[24:27], v[176:177], v[158:159], a[24:27]
	;; [unrolled: 1-line block ×3, first 2 shown]
	v_add_co_u32_e32 v162, vcc, s37, v188
	s_waitcnt lgkmcnt(1)
	v_mov_b32_e32 v176, v170
	s_waitcnt lgkmcnt(0)
	v_mfma_f32_16x16x16_bf16 a[16:19], v[186:187], v[152:153], a[16:19]
	ds_read2st64_b64 v[150:153], v127 offset0:16 offset1:24
	v_addc_co_u32_e32 v163, vcc, 0, v189, vcc
	v_mfma_f32_16x16x16_bf16 a[20:23], v[186:187], v[156:157], a[20:23]
	ds_read2st64_b64 v[154:157], v128 offset0:16 offset1:24
	v_mov_b32_e32 v177, v171
	v_mov_b32_e32 v170, v168
	v_mfma_f32_16x16x16_bf16 a[32:35], v[186:187], v[160:161], a[24:27]
	v_mov_b32_e32 v171, v169
	s_waitcnt lgkmcnt(0)
	v_mov_b32_e32 v160, v154
	v_mov_b32_e32 v161, v155
	v_mfma_f32_16x16x16_bf16 a[36:39], v[186:187], v[164:165], a[28:31]
	v_mov_b32_e32 v154, v152
	v_mov_b32_e32 v155, v153
	;; [unrolled: 1-line block ×3, first 2 shown]
	v_mfma_f32_16x16x16_bf16 a[24:27], v[184:185], v[42:43], a[16:19]
	v_add_co_u32_e32 v42, vcc, s60, v188
	v_mov_b32_e32 v159, v151
	v_mfma_f32_16x16x16_bf16 a[28:31], v[184:185], v[178:179], a[20:23]
	v_addc_co_u32_e32 v43, vcc, 0, v189, vcc
	global_store_dwordx4 v[42:43], v[154:157], off
	v_mfma_f32_16x16x16_bf16 a[16:19], v[184:185], v[180:181], a[32:35]
	s_waitcnt vmcnt(2)
	v_mov_b32_e32 v44, v37
	v_mov_b32_e32 v43, v36
	;; [unrolled: 1-line block ×3, first 2 shown]
	v_mfma_f32_16x16x16_bf16 a[20:23], v[184:185], v[182:183], a[36:39]
	s_and_b64 vcc, exec, s[0:1]
	global_store_dwordx4 v[188:189], v[174:177], off
	global_store_dwordx4 v[162:163], v[170:173], off offset:-4096
	global_store_dwordx4 v[162:163], v[158:161], off
	s_cbranch_vccnz .LBB23_16
; %bb.15:                               ;   in Loop: Header=BB23_6 Depth=1
	v_lshrrev_b32_e32 v35, 3, v148
	v_and_b32_e32 v35, 6, v35
	v_xor_b32_e32 v36, v35, v149
	v_lshlrev_b32_e32 v36, 2, v36
	v_and_b32_e32 v37, 8, v148
	v_xor_b32_e32 v148, 0x440, v36
	v_cmp_eq_u32_e32 vcc, 0, v37
	v_perm_b32 v37, v22, v18, s58
	s_nop 0
	v_cndmask_b32_e32 v36, v148, v36, vcc
	v_lshl_or_b32 v35, v35, 10, v36
	v_perm_b32 v36, v30, v26, s58
	s_barrier
	ds_write2st64_b32 v35, v36, v37 offset0:128 offset1:160
	v_xor_b32_e32 v36, 8, v35
	v_perm_b32 v26, v30, v26, s59
	v_perm_b32 v18, v22, v18, s59
	v_add_u32_e32 v22, 0x80, v36
	ds_write2st64_b32 v22, v26, v18 offset0:128 offset1:160
	v_xor_b32_e32 v18, 16, v35
	v_perm_b32 v22, v31, v27, s58
	v_perm_b32 v26, v23, v19, s58
	ds_write2st64_b32 v18, v22, v26 offset0:129 offset1:161
	v_xor_b32_e32 v18, 24, v35
	v_perm_b32 v22, v31, v27, s59
	v_perm_b32 v19, v23, v19, s59
	v_add_u32_e32 v18, 0x80, v18
	ds_write2st64_b32 v18, v22, v19 offset0:129 offset1:161
	v_xor_b32_e32 v18, 32, v35
	v_perm_b32 v19, v32, v28, s58
	v_perm_b32 v22, v24, v20, s58
	;; [unrolled: 9-line block ×3, first 2 shown]
	ds_write2st64_b32 v18, v19, v20 offset0:131 offset1:163
	v_xor_b32_e32 v18, 56, v35
	v_perm_b32 v19, v33, v29, s59
	v_perm_b32 v20, v25, v21, s59
	v_add_u32_e32 v18, 0x80, v18
	ds_write2st64_b32 v18, v19, v20 offset0:131 offset1:163
	ds_write_b64 v147, v[14:15] offset:49152
	v_xor_b32_e32 v14, 8, v147
	ds_write_b64 v14, v[16:17] offset:49152
	ds_write_b64 v147, v[10:11] offset:57344
	;; [unrolled: 1-line block ×4, first 2 shown]
	v_xor_b32_e32 v6, 8, v146
	ds_write_b64 v6, v[8:9] offset:49152
	ds_write_b64 v146, v[2:3] offset:57344
	;; [unrolled: 1-line block ×3, first 2 shown]
.LBB23_16:                              ;   in Loop: Header=BB23_6 Depth=1
	v_exp_f32_e32 v36, s2
	s_waitcnt vmcnt(4)
	v_exp_f32_e32 v38, v38
	v_exp_f32_e32 v39, v39
	;; [unrolled: 1-line block ×4, first 2 shown]
	v_accvgpr_read_b32 v5, a3
	v_accvgpr_read_b32 v4, a2
	;; [unrolled: 1-line block ×4, first 2 shown]
	v_pk_mul_f32 v[38:39], v[36:37], v[38:39] op_sel_hi:[0,1]
	v_pk_mul_f32 v[40:41], v[36:37], v[40:41] op_sel_hi:[0,1]
	v_pk_fma_f32 v[74:75], v[74:75], v[38:39], v[2:3]
	v_pk_fma_f32 v[76:77], v[76:77], v[40:41], v[4:5]
	v_exp_f32_e32 v2, v34
	v_exp_f32_e32 v3, v42
	v_exp_f32_e32 v4, v43
	v_exp_f32_e32 v5, v44
	v_accvgpr_read_b32 v9, a7
	v_accvgpr_read_b32 v13, a11
	;; [unrolled: 1-line block ×28, first 2 shown]
	v_pk_mul_f32 v[2:3], v[36:37], v[2:3] op_sel_hi:[0,1]
	v_pk_mul_f32 v[4:5], v[36:37], v[4:5] op_sel_hi:[0,1]
	s_add_i32 s54, s54, 64
	v_pk_fma_f32 v[66:67], v[38:39], v[66:67], v[6:7]
	v_pk_fma_f32 v[68:69], v[40:41], v[68:69], v[8:9]
	;; [unrolled: 1-line block ×13, first 2 shown]
	s_cmp_eq_u32 s47, s62
	v_pk_fma_f32 v[50:51], v[4:5], v[50:51], v[32:33]
	s_cbranch_scc1 .LBB23_18
; %bb.17:                               ;   in Loop: Header=BB23_6 Depth=1
	s_mov_b32 s61, s62
	s_branch .LBB23_6
.LBB23_18:
	s_lshl_b32 s0, s47, 6
	s_sub_i32 s42, s49, s0
	s_cmp_gt_i32 s42, 0
	s_cbranch_scc0 .LBB23_99
; %bb.19:
	s_add_i32 s38, s0, s38
	s_ashr_i32 s2, s38, 31
	s_cmpk_lg_i32 s19, 0x80
	s_cselect_b64 s[30:31], -1, 0
	s_and_b64 vcc, exec, s[30:31]
	s_cbranch_vccz .LBB23_21
; %bb.20:
	s_mul_i32 s1, s38, s18
	s_ashr_i32 s3, s52, 31
	s_mul_hi_i32 s0, s38, s18
	s_add_u32 s40, s1, s52
	s_addc_u32 s41, s0, s3
	s_cbranch_execz .LBB23_22
	s_branch .LBB23_23
.LBB23_21:
                                        ; implicit-def: $sgpr40_sgpr41
.LBB23_22:
	s_mul_i32 s1, s52, s16
	s_mul_hi_i32 s0, s52, s16
	s_add_u32 s40, s1, s38
	s_addc_u32 s41, s0, s2
.LBB23_23:
	s_add_i32 s3, s47, s48
	s_ashr_i32 s16, s33, 31
	s_add_u32 s0, s51, s38
	v_lshlrev_b32_e32 v6, 6, v91
	v_lshlrev_b32_e32 v24, 2, v45
	s_addc_u32 s1, s50, s2
	s_mov_b32 s2, 0x7060302
	v_or_b32_e32 v9, v6, v24
	v_xor_b32_e32 v7, v91, v24
	v_perm_b32 v3, v77, v76, s2
	v_perm_b32 v2, v75, v74, s2
	;; [unrolled: 1-line block ×4, first 2 shown]
	v_lshlrev_b32_e32 v9, 1, v9
	v_xor_b32_e32 v8, v92, v24
	ds_write2st64_b64 v9, v[2:3], v[4:5] offset0:32 offset1:48
	v_lshlrev_b32_e32 v7, 1, v7
	v_lshlrev_b32_e32 v9, 8, v45
	v_or_b32_e32 v10, v7, v9
	v_lshlrev_b32_e32 v8, 1, v8
	ds_write_b64 v10, v[2:3]
	v_or_b32_e32 v2, v8, v9
	v_or_b32_e32 v9, 16, v45
	v_lshlrev_b32_e32 v23, 2, v9
	v_or_b32_e32 v10, v6, v23
	ds_write_b64 v2, v[4:5]
	v_perm_b32 v3, v69, v68, s2
	v_perm_b32 v2, v67, v66, s2
	v_perm_b32 v5, v65, v64, s2
	v_perm_b32 v4, v63, v62, s2
	v_lshlrev_b32_e32 v10, 1, v10
	v_lshlrev_b32_e32 v9, 8, v9
	ds_write2st64_b64 v10, v[2:3], v[4:5] offset0:32 offset1:48
	v_or_b32_e32 v10, v7, v9
	ds_write_b64 v10, v[2:3]
	v_or_b32_e32 v2, v8, v9
	v_or_b32_e32 v9, 32, v45
	v_lshlrev_b32_e32 v22, 2, v9
	v_or_b32_e32 v10, v6, v22
	s_lshl_b64 s[28:29], s[0:1], 8
	ds_write_b64 v2, v[4:5]
	v_perm_b32 v3, v61, v60, s2
	v_perm_b32 v2, v59, v58, s2
	v_perm_b32 v5, v57, v56, s2
	v_perm_b32 v4, v55, v54, s2
	v_lshlrev_b32_e32 v10, 1, v10
	v_lshlrev_b32_e32 v9, 8, v9
	s_add_u32 s0, s6, s28
	ds_write2st64_b64 v10, v[2:3], v[4:5] offset0:32 offset1:48
	v_or_b32_e32 v10, v7, v9
	s_addc_u32 s1, s7, s29
	ds_write_b64 v10, v[2:3]
	v_or_b32_e32 v2, v8, v9
	v_or_b32_e32 v9, 48, v45
	s_mul_hi_i32 s6, s3, s17
	s_mul_i32 s3, s3, s17
	ds_write_b64 v2, v[4:5]
	v_perm_b32 v3, v47, v46, s2
	v_perm_b32 v2, v53, v52, s2
	;; [unrolled: 1-line block ×4, first 2 shown]
	v_lshlrev_b32_e32 v19, 2, v9
	s_add_u32 s2, s3, s33
	v_or_b32_e32 v6, v6, v19
	s_addc_u32 s3, s6, s16
	v_lshlrev_b32_e32 v6, 1, v6
	s_ashr_i32 s37, s36, 31
	s_lshl_b64 s[2:3], s[2:3], 15
	ds_write2st64_b64 v6, v[2:3], v[4:5] offset0:32 offset1:48
	v_lshlrev_b32_e32 v6, 8, v9
	s_add_u32 s6, s12, s2
	v_or_b32_e32 v7, v7, v6
	s_addc_u32 s7, s13, s3
	s_lshl_b64 s[2:3], s[36:37], 8
	ds_write_b64 v7, v[2:3]
	v_or_b32_e32 v2, v8, v6
	s_add_u32 s2, s6, s2
	v_lshlrev_b32_e32 v3, 1, v45
	ds_write_b64 v2, v[4:5]
	v_lshrrev_b32_e32 v2, 4, v0
	s_addc_u32 s3, s7, s3
	v_or_b32_e32 v4, 1, v3
	v_lshlrev_b32_e32 v10, 4, v45
	v_mov_b32_e32 v11, 0
	v_xor_b32_e32 v3, v2, v3
	v_xor_b32_e32 v6, v4, v2
	v_lshl_add_u64 v[12:13], s[2:3], 0, v[10:11]
	v_lshlrev_b32_e32 v10, 8, v2
	v_lshl_or_b32 v16, v3, 3, v10
	v_lshl_or_b32 v17, v6, 3, v10
	s_waitcnt lgkmcnt(0)
	s_barrier
	ds_read2st64_b64 v[2:5], v16 offset1:8
	ds_read2st64_b64 v[6:9], v17 offset1:8
	v_lshl_add_u64 v[14:15], v[12:13], 0, v[10:11]
	s_movk_i32 s2, 0x2000
	s_cmp_lg_u32 s42, 64
	s_waitcnt lgkmcnt(1)
	v_mov_b32_e32 v10, v2
	v_mov_b32_e32 v11, v3
	s_waitcnt lgkmcnt(0)
	v_mov_b32_e32 v12, v6
	v_mov_b32_e32 v13, v7
	global_store_dwordx4 v[14:15], v[10:13], off
	v_mov_b32_e32 v6, v4
	v_mov_b32_e32 v7, v5
	ds_read2st64_b64 v[2:5], v16 offset0:16 offset1:24
	ds_read2st64_b64 v[10:13], v17 offset0:16 offset1:24
	v_add_co_u32_e32 v16, vcc, s2, v14
	s_cselect_b64 s[6:7], -1, 0
	s_nop 0
	v_addc_co_u32_e32 v17, vcc, 0, v15, vcc
	global_store_dwordx4 v[16:17], v[6:9], off offset:-4096
	v_lshl_or_b32 v25, v87, 3, v90
	s_mov_b32 s24, 0
	s_waitcnt lgkmcnt(1)
	v_mov_b32_e32 v6, v2
	v_add_co_u32_e32 v2, vcc, 0x3000, v14
	v_mov_b32_e32 v7, v3
	s_nop 0
	v_addc_co_u32_e32 v3, vcc, 0, v15, vcc
	s_waitcnt lgkmcnt(0)
	v_mov_b32_e32 v8, v10
	v_mov_b32_e32 v9, v11
	;; [unrolled: 1-line block ×4, first 2 shown]
	v_or_b32_e32 v20, 32, v25
	v_and_b32_e32 v18, 56, v89
	s_and_b64 vcc, exec, s[6:7]
	global_store_dwordx4 v[16:17], v[6:9], off
	global_store_dwordx4 v[2:3], v[10:13], off
	s_cbranch_vccz .LBB23_29
; %bb.24:
	s_mov_b32 s25, s24
	s_mov_b32 s26, s24
	;; [unrolled: 1-line block ×3, first 2 shown]
	v_mov_b64_e32 v[6:7], s[24:25]
	v_mov_b64_e32 v[8:9], s[26:27]
	;; [unrolled: 1-line block ×3, first 2 shown]
	v_cmp_gt_i32_e32 vcc, s42, v25
	v_mov_b64_e32 v[4:5], v[8:9]
	s_and_saveexec_b64 s[2:3], vcc
	s_cbranch_execz .LBB23_26
; %bb.25:
	v_lshlrev_b32_e32 v2, 8, v25
	v_mov_b32_e32 v3, 0
	v_lshl_add_u64 v[4:5], s[0:1], 0, v[2:3]
	v_lshlrev_b32_e32 v2, 1, v18
	v_lshl_add_u64 v[10:11], v[4:5], 0, v[2:3]
	global_load_dwordx4 v[6:9], v[10:11], off
	global_load_dwordx4 v[2:5], v[10:11], off offset:128
.LBB23_26:
	s_or_b64 exec, exec, s[2:3]
	s_mov_b32 s25, s24
	s_mov_b32 s26, s24
	;; [unrolled: 1-line block ×3, first 2 shown]
	v_mov_b64_e32 v[14:15], s[24:25]
	v_mov_b64_e32 v[16:17], s[26:27]
	;; [unrolled: 1-line block ×3, first 2 shown]
	v_cmp_gt_i32_e32 vcc, s42, v20
	v_lshlrev_b32_e32 v21, 7, v20
	v_mov_b64_e32 v[12:13], v[16:17]
	s_and_saveexec_b64 s[2:3], vcc
	s_cbranch_execz .LBB23_28
; %bb.27:
	v_lshlrev_b32_e32 v10, 1, v21
	v_mov_b32_e32 v11, 0
	v_lshl_add_u64 v[12:13], s[0:1], 0, v[10:11]
	v_lshlrev_b32_e32 v10, 1, v18
	v_lshl_add_u64 v[26:27], v[12:13], 0, v[10:11]
	global_load_dwordx4 v[14:17], v[26:27], off
	global_load_dwordx4 v[10:13], v[26:27], off offset:128
.LBB23_28:
	s_or_b64 exec, exec, s[2:3]
	v_lshrrev_b32_e32 v26, 3, v18
	v_lshlrev_b32_e32 v27, 3, v25
	v_or_b32_e32 v26, v27, v26
	v_lshlrev_b32_e32 v26, 4, v26
	v_and_b32_e32 v27, 0x78, v27
	v_xor_b32_e32 v26, v26, v27
	s_branch .LBB23_31
.LBB23_29:
                                        ; implicit-def: $vgpr26
                                        ; implicit-def: $vgpr21
                                        ; implicit-def: $vgpr6_vgpr7_vgpr8_vgpr9
                                        ; implicit-def: $vgpr2_vgpr3_vgpr4_vgpr5
                                        ; implicit-def: $vgpr14_vgpr15_vgpr16_vgpr17
                                        ; implicit-def: $vgpr10_vgpr11_vgpr12_vgpr13
	s_cbranch_execz .LBB23_31
; %bb.30:
	s_waitcnt vmcnt(0)
	v_lshlrev_b32_e32 v2, 1, v18
	v_lshl_or_b32 v21, v25, 8, v2
	s_and_b32 s1, s1, 0xffff
	s_mov_b32 s3, 0x20000
	s_movk_i32 s2, 0x4000
	v_lshl_or_b32 v26, v20, 8, v2
	s_movk_i32 s12, 0x80
	buffer_load_dwordx4 v[6:9], v21, s[0:3], 0 offen
	buffer_load_dwordx4 v[2:5], v21, s[0:3], s12 offen
	;; [unrolled: 1-line block ×4, first 2 shown]
	v_lshrrev_b32_e32 v21, 3, v18
	v_lshlrev_b32_e32 v26, 3, v25
	v_or_b32_e32 v21, v26, v21
	v_lshlrev_b32_e32 v21, 4, v21
	v_and_b32_e32 v26, 0x78, v26
	v_xor_b32_e32 v26, v21, v26
	v_lshlrev_b32_e32 v21, 7, v20
.LBB23_31:
	s_movk_i32 s0, 0x1000
	v_and_or_b32 v20, v21, s0, v26
	s_waitcnt vmcnt(1)
	ds_write_b64 v26, v[6:7] offset:49152
	v_xor_b32_e32 v6, 8, v26
	ds_write_b64 v6, v[8:9] offset:49152
	s_waitcnt vmcnt(0)
	ds_write_b64 v26, v[2:3] offset:57344
	ds_write_b64 v6, v[4:5] offset:57344
	;; [unrolled: 1-line block ×3, first 2 shown]
	v_xor_b32_e32 v2, 8, v20
	ds_write_b64 v2, v[16:17] offset:49152
	ds_write_b64 v20, v[10:11] offset:57344
	;; [unrolled: 1-line block ×3, first 2 shown]
	v_or_b32_e32 v2, v1, v45
	v_lshlrev_b32_e32 v3, 11, v87
	v_lshlrev_b32_e32 v2, 3, v2
	v_and_b32_e32 v6, 0x1000, v3
	v_lshrrev_b32_e32 v3, 5, v86
	s_movk_i32 s0, 0xf8
	v_and_or_b32 v3, v2, s0, v3
	v_lshlrev_b32_e32 v7, 4, v3
	v_and_b32_e32 v8, 0x78, v2
	v_or_b32_e32 v10, 32, v7
	v_lshrrev_b32_e32 v3, 1, v86
	v_xor_b32_e32 v10, v10, v8
	v_xor_b32_e32 v2, v7, v8
	v_and_b32_e32 v9, 8, v3
	v_or_b32_e32 v10, v10, v6
	v_or_b32_e32 v2, v2, v6
	v_xor_b32_e32 v28, v10, v9
	v_or_b32_e32 v10, 64, v7
	v_xor_b32_e32 v27, v2, v9
	v_xor_b32_e32 v10, v10, v8
	s_waitcnt lgkmcnt(0)
	s_barrier
	v_or_b32_e32 v13, v10, v6
	ds_read_b64 v[10:11], v27 offset:49152
	v_lshl_or_b32 v14, v88, 8, v24
	v_lshlrev_b32_e32 v26, 1, v14
	v_add_u32_e32 v12, 0x4000, v26
	ds_read2_b64 v[2:5], v12 offset1:16
	v_or_b32_e32 v7, 0x60, v7
	v_xor_b32_e32 v7, v7, v8
	v_or_b32_e32 v6, v7, v6
	v_xor_b32_e32 v29, v13, v9
	v_xor_b32_e32 v30, v6, v9
	ds_read_b64 v[20:21], v28 offset:49152
	ds_read_b64 v[34:35], v29 offset:49152
	;; [unrolled: 1-line block ×3, first 2 shown]
	s_waitcnt lgkmcnt(3)
	v_mfma_f32_16x16x16_bf16 a[0:3], v[10:11], v[2:3], 0
	ds_read2_b64 v[6:9], v12 offset0:32 offset1:48
	s_lshl_b64 s[0:1], s[40:41], 8
	s_add_u32 s4, s4, s0
	v_mfma_f32_16x16x16_bf16 a[4:7], v[10:11], v[4:5], 0
	ds_read2st64_b64 v[2:5], v26 offset0:36 offset1:40
	s_addc_u32 s5, s5, s1
	s_add_i32 s2, s39, -1
	s_waitcnt lgkmcnt(1)
	v_mfma_f32_16x16x16_bf16 a[8:11], v[10:11], v[6:7], 0
	v_or_b32_e32 v6, 64, v14
	v_lshlrev_b32_e32 v31, 1, v6
	s_add_i32 s0, s45, s44
	s_waitcnt lgkmcnt(0)
	v_mfma_f32_16x16x16_bf16 a[0:3], v[20:21], v[2:3], a[0:3]
	v_or_b32_e32 v2, 0x80, v14
	v_lshlrev_b32_e32 v32, 1, v2
	v_or_b32_e32 v2, 0xc0, v14
	v_mfma_f32_16x16x16_bf16 a[12:15], v[10:11], v[8:9], 0
	ds_read2st64_b64 v[6:9], v31 offset0:36 offset1:40
	v_lshlrev_b32_e32 v33, 1, v2
	ds_read2st64_b64 v[10:13], v32 offset0:36 offset1:40
	ds_read2st64_b64 v[14:17], v33 offset0:36 offset1:40
	s_add_i32 s21, s0, s46
	s_mul_i32 s0, s33, s23
	s_mul_hi_u32 s1, s33, s22
	s_ashr_i32 s3, s2, 31
	s_mul_i32 s12, s2, s35
	s_mul_hi_u32 s13, s2, s34
	s_waitcnt lgkmcnt(2)
	v_mfma_f32_16x16x16_bf16 a[4:7], v[20:21], v[6:7], a[4:7]
	s_add_i32 s0, s1, s0
	s_mul_i32 s1, s16, s22
	s_add_i32 s12, s13, s12
	s_mul_i32 s3, s3, s34
	s_waitcnt lgkmcnt(1)
	v_mfma_f32_16x16x16_bf16 a[8:11], v[20:21], v[10:11], a[8:11]
	s_add_i32 s1, s0, s1
	s_add_i32 s3, s12, s3
	s_lshl_b64 s[12:13], s[20:21], 2
	s_waitcnt lgkmcnt(0)
	v_mfma_f32_16x16x16_bf16 a[12:15], v[20:21], v[14:15], a[12:15]
	s_mul_i32 s0, s33, s22
	s_add_u32 s10, s10, s12
	s_addc_u32 s11, s11, s13
	s_lshl_b64 s[0:1], s[0:1], 2
	v_mfma_f32_16x16x16_bf16 a[0:3], v[34:35], v[4:5], a[0:3]
	s_mul_i32 s2, s2, s34
	ds_read_b64 v[2:3], v26 offset:22528
	s_add_u32 s10, s10, s0
	v_mfma_f32_16x16x16_bf16 a[4:7], v[34:35], v[8:9], a[4:7]
	ds_read_b64 v[4:5], v31 offset:22528
	ds_read_b64 v[6:7], v32 offset:22528
	;; [unrolled: 1-line block ×3, first 2 shown]
	s_addc_u32 s11, s11, s1
	s_lshl_b64 s[0:1], s[2:3], 2
	v_mfma_f32_16x16x16_bf16 a[8:11], v[34:35], v[12:13], a[8:11]
	s_add_u32 s0, s10, s0
	s_addc_u32 s1, s11, s1
	s_load_dword s12, s[0:1], 0x0
	v_mfma_f32_16x16x16_bf16 a[12:15], v[34:35], v[16:17], a[12:15]
	s_and_b64 vcc, exec, s[30:31]
	s_waitcnt lgkmcnt(0)
	v_mfma_f32_16x16x16_bf16 a[0:3], v[36:37], v[2:3], a[0:3]
	v_mfma_f32_16x16x16_bf16 a[4:7], v[36:37], v[4:5], a[4:7]
	;; [unrolled: 1-line block ×4, first 2 shown]
	s_cbranch_vccz .LBB23_42
; %bb.32:
	v_lshlrev_b32_e32 v20, 1, v25
	s_and_b64 vcc, exec, s[6:7]
	s_cbranch_vccz .LBB23_43
; %bb.33:
	v_cmp_gt_i32_e32 vcc, s42, v20
	v_mov_b32_e32 v6, 0
	v_mov_b32_e32 v2, 0
	;; [unrolled: 1-line block ×5, first 2 shown]
	s_and_saveexec_b64 s[0:1], vcc
	s_cbranch_execz .LBB23_35
; %bb.34:
	v_mad_i64_i32 v[2:3], s[2:3], s19, v20, 0
	v_lshl_add_u64 v[2:3], v[2:3], 1, s[4:5]
	v_lshlrev_b32_e32 v4, 1, v18
	v_mov_b32_e32 v5, 0
	v_lshl_add_u64 v[2:3], v[2:3], 0, v[4:5]
	global_load_dwordx4 v[2:5], v[2:3], off
.LBB23_35:
	s_or_b64 exec, exec, s[0:1]
	v_or_b32_e32 v21, 1, v20
	v_cmp_gt_i32_e64 s[0:1], s42, v21
	v_mov_b32_e32 v7, 0
	v_mov_b32_e32 v8, 0
	;; [unrolled: 1-line block ×3, first 2 shown]
	s_and_saveexec_b64 s[2:3], s[0:1]
	s_cbranch_execz .LBB23_37
; %bb.36:
	v_mad_i64_i32 v[6:7], s[16:17], s19, v21, 0
	v_lshl_add_u64 v[6:7], v[6:7], 1, s[4:5]
	v_lshlrev_b32_e32 v8, 1, v18
	v_mov_b32_e32 v9, 0
	v_lshl_add_u64 v[6:7], v[6:7], 0, v[8:9]
	global_load_dwordx4 v[6:9], v[6:7], off
.LBB23_37:
	s_or_b64 exec, exec, s[2:3]
	v_mov_b32_e32 v17, 0
	v_mov_b32_e32 v10, 0
	;; [unrolled: 1-line block ×5, first 2 shown]
	s_and_saveexec_b64 s[2:3], vcc
	s_cbranch_execz .LBB23_39
; %bb.38:
	v_mad_i64_i32 v[10:11], s[16:17], s19, v20, 0
	v_lshl_add_u64 v[10:11], v[10:11], 1, s[4:5]
	v_lshlrev_b32_e32 v12, 1, v18
	v_mov_b32_e32 v13, 0
	v_lshl_add_u64 v[10:11], v[10:11], 0, v[12:13]
	global_load_dwordx4 v[10:13], v[10:11], off offset:128
.LBB23_39:
	s_or_b64 exec, exec, s[2:3]
	v_mov_b32_e32 v16, 0
	v_mov_b32_e32 v15, 0
	;; [unrolled: 1-line block ×3, first 2 shown]
	s_and_saveexec_b64 s[2:3], s[0:1]
	s_cbranch_execz .LBB23_41
; %bb.40:
	v_mad_i64_i32 v[14:15], s[0:1], s19, v21, 0
	v_lshl_add_u64 v[14:15], v[14:15], 1, s[4:5]
	v_lshlrev_b32_e32 v16, 1, v18
	v_mov_b32_e32 v17, 0
	v_lshl_add_u64 v[14:15], v[14:15], 0, v[16:17]
	global_load_dwordx4 v[14:17], v[14:15], off offset:128
.LBB23_41:
	s_or_b64 exec, exec, s[2:3]
	s_branch .LBB23_45
.LBB23_42:
                                        ; implicit-def: $vgpr5
                                        ; implicit-def: $vgpr9
                                        ; implicit-def: $vgpr13
                                        ; implicit-def: $vgpr17
	v_lshrrev_b32_e32 v34, 2, v86
	s_branch .LBB23_46
.LBB23_43:
                                        ; implicit-def: $vgpr5
                                        ; implicit-def: $vgpr9
                                        ; implicit-def: $vgpr13
                                        ; implicit-def: $vgpr17
	s_cbranch_execz .LBB23_45
; %bb.44:
	s_waitcnt vmcnt(0)
	v_mad_u64_u32 v[2:3], s[0:1], v20, s19, v[18:19]
	v_lshlrev_b32_e32 v20, 1, v2
	s_lshl_b32 s2, s19, 7
	s_and_b32 s1, s5, 0xffff
	s_mov_b32 s3, 0x20000
	s_mov_b32 s0, s4
	v_add_lshl_u32 v21, v2, s19, 1
	s_movk_i32 s13, 0x80
	buffer_load_dwordx4 v[2:5], v20, s[0:3], 0 offen
	buffer_load_dwordx4 v[10:13], v20, s[0:3], s13 offen
	;; [unrolled: 1-line block ×4, first 2 shown]
.LBB23_45:
	v_lshrrev_b32_e32 v34, 2, v86
	s_cbranch_execnz .LBB23_58
.LBB23_46:
	s_and_b64 vcc, exec, s[6:7]
	s_cbranch_vccz .LBB23_56
; %bb.47:
	s_waitcnt vmcnt(0)
	v_lshlrev_b32_e32 v7, 1, v25
	v_cmp_gt_i32_e32 vcc, s42, v7
	v_mov_b32_e32 v6, 0
	v_lshlrev_b32_e32 v14, 9, v25
	v_mov_b32_e32 v2, 0
	v_mov_b32_e32 v3, 0
	;; [unrolled: 1-line block ×4, first 2 shown]
	s_and_saveexec_b64 s[0:1], vcc
	s_cbranch_execz .LBB23_49
; %bb.48:
	v_mov_b32_e32 v15, 0
	v_lshl_add_u64 v[2:3], s[4:5], 0, v[14:15]
	v_lshlrev_b32_e32 v4, 1, v18
	v_mov_b32_e32 v5, v15
	v_lshl_add_u64 v[2:3], v[2:3], 0, v[4:5]
	global_load_dwordx4 v[2:5], v[2:3], off
.LBB23_49:
	s_or_b64 exec, exec, s[0:1]
	v_or_b32_e32 v7, 1, v7
	v_cmp_gt_i32_e64 s[0:1], s42, v7
	v_lshlrev_b32_e32 v20, 8, v7
	v_mov_b32_e32 v7, 0
	v_mov_b32_e32 v8, 0
	v_mov_b32_e32 v9, 0
	s_and_saveexec_b64 s[2:3], s[0:1]
	s_cbranch_execz .LBB23_51
; %bb.50:
	v_mov_b32_e32 v21, 0
	v_lshl_add_u64 v[6:7], s[4:5], 0, v[20:21]
	v_lshlrev_b32_e32 v8, 1, v18
	v_mov_b32_e32 v9, v21
	v_lshl_add_u64 v[6:7], v[6:7], 0, v[8:9]
	global_load_dwordx4 v[6:9], v[6:7], off
.LBB23_51:
	s_or_b64 exec, exec, s[2:3]
	v_mov_b32_e32 v17, 0
	v_mov_b32_e32 v10, 0
	v_mov_b32_e32 v11, 0
	v_mov_b32_e32 v12, 0
	v_mov_b32_e32 v13, 0
	s_and_saveexec_b64 s[2:3], vcc
	s_cbranch_execz .LBB23_53
; %bb.52:
	v_mov_b32_e32 v15, 0
	v_lshl_add_u64 v[10:11], s[4:5], 0, v[14:15]
	v_lshlrev_b32_e32 v14, 1, v18
	v_lshl_add_u64 v[10:11], v[10:11], 0, v[14:15]
	global_load_dwordx4 v[10:13], v[10:11], off offset:128
.LBB23_53:
	s_or_b64 exec, exec, s[2:3]
	v_mov_b32_e32 v16, 0
	v_mov_b32_e32 v15, 0
	;; [unrolled: 1-line block ×3, first 2 shown]
	s_and_saveexec_b64 s[2:3], s[0:1]
	s_cbranch_execz .LBB23_55
; %bb.54:
	v_mov_b32_e32 v21, 0
	v_lshl_add_u64 v[14:15], s[4:5], 0, v[20:21]
	v_lshlrev_b32_e32 v20, 1, v18
	v_lshl_add_u64 v[14:15], v[14:15], 0, v[20:21]
	global_load_dwordx4 v[14:17], v[14:15], off offset:128
.LBB23_55:
	s_or_b64 exec, exec, s[2:3]
	s_branch .LBB23_58
.LBB23_56:
                                        ; implicit-def: $vgpr5
                                        ; implicit-def: $vgpr9
                                        ; implicit-def: $vgpr13
                                        ; implicit-def: $vgpr17
	s_cbranch_execz .LBB23_58
; %bb.57:
	s_waitcnt vmcnt(0)
	v_lshlrev_b32_e32 v2, 1, v18
	v_lshl_or_b32 v18, v25, 9, v2
	s_and_b32 s5, s5, 0xffff
	s_mov_b32 s7, 0x20000
	s_movk_i32 s6, 0x4000
	s_movk_i32 s0, 0x80
	buffer_load_dwordx4 v[2:5], v18, s[4:7], 0 offen
	buffer_load_dwordx4 v[6:9], v18, s[4:7], 0 offen offset:256
	buffer_load_dwordx4 v[10:13], v18, s[4:7], s0 offen
	buffer_load_dwordx4 v[14:17], v18, s[4:7], s0 offen offset:256
.LBB23_58:
	ds_read_b64 v[20:21], v27 offset:57344
	v_add_u32_e32 v18, 0x6000, v26
	ds_read2_b64 v[36:39], v18 offset1:16
	ds_read_b64 v[54:55], v28 offset:57344
	ds_read_b64 v[28:29], v29 offset:57344
	;; [unrolled: 1-line block ×3, first 2 shown]
	ds_read2st64_b64 v[40:43], v26 offset0:52 offset1:56
	s_mov_b32 s0, 0x1000504
	s_mov_b32 s1, 0x3020706
	s_waitcnt lgkmcnt(4)
	v_mfma_f32_16x16x16_bf16 a[0:3], v[20:21], v[36:37], a[0:3]
	v_mfma_f32_16x16x16_bf16 a[4:7], v[20:21], v[38:39], a[4:7]
	ds_read2_b64 v[36:39], v18 offset0:32 offset1:48
	v_and_b32_e32 v18, 6, v0
	v_xor_b32_e32 v25, v25, v18
	s_waitcnt lgkmcnt(0)
	v_mfma_f32_16x16x16_bf16 a[8:11], v[20:21], v[36:37], a[8:11]
	v_lshlrev_b32_e32 v25, 2, v25
	v_and_b32_e32 v0, 1, v0
	v_xor_b32_e32 v35, 0x440, v25
	v_mfma_f32_16x16x16_bf16 a[12:15], v[20:21], v[38:39], a[12:15]
	ds_read2st64_b64 v[36:39], v31 offset0:52 offset1:56
	ds_read2st64_b64 v[46:49], v32 offset0:52 offset1:56
	;; [unrolled: 1-line block ×3, first 2 shown]
	v_cmp_eq_u32_e32 vcc, 0, v0
	ds_read_b64 v[20:21], v26 offset:30720
	ds_read_b64 v[26:27], v31 offset:30720
	;; [unrolled: 1-line block ×4, first 2 shown]
	v_mfma_f32_16x16x16_bf16 a[0:3], v[54:55], v[40:41], a[0:3]
	v_cndmask_b32_e32 v0, v35, v25, vcc
	v_lshl_or_b32 v0, v18, 10, v0
	s_waitcnt vmcnt(0)
	v_perm_b32 v18, v2, v6, s0
	s_waitcnt lgkmcnt(6)
	v_mfma_f32_16x16x16_bf16 a[4:7], v[54:55], v[36:37], a[4:7]
	v_perm_b32 v25, v10, v14, s0
	ds_write2st64_b32 v0, v18, v25 offset0:128 offset1:160
	v_xor_b32_e32 v18, 8, v0
	s_waitcnt lgkmcnt(6)
	v_mfma_f32_16x16x16_bf16 a[8:11], v[54:55], v[46:47], a[8:11]
	v_perm_b32 v2, v2, v6, s1
	v_perm_b32 v6, v10, v14, s1
	v_add_u32_e32 v10, 0x80, v18
	s_waitcnt lgkmcnt(5)
	v_mfma_f32_16x16x16_bf16 a[12:15], v[54:55], v[50:51], a[12:15]
	ds_write2st64_b32 v10, v2, v6 offset0:128 offset1:160
	v_xor_b32_e32 v2, 16, v0
	v_perm_b32 v6, v3, v7, s0
	v_mfma_f32_16x16x16_bf16 a[0:3], v[28:29], v[42:43], a[0:3]
	v_perm_b32 v10, v11, v15, s0
	ds_write2st64_b32 v2, v6, v10 offset0:129 offset1:161
	v_xor_b32_e32 v2, 24, v0
	v_mfma_f32_16x16x16_bf16 a[4:7], v[28:29], v[38:39], a[4:7]
	v_perm_b32 v3, v3, v7, s1
	v_perm_b32 v6, v11, v15, s1
	v_add_u32_e32 v2, 0x80, v2
	v_mfma_f32_16x16x16_bf16 a[16:19], v[28:29], v[48:49], a[8:11]
	ds_write2st64_b32 v2, v3, v6 offset0:129 offset1:161
	v_xor_b32_e32 v2, 32, v0
	v_perm_b32 v3, v4, v8, s0
	v_mfma_f32_16x16x16_bf16 a[20:23], v[28:29], v[52:53], a[12:15]
	v_perm_b32 v6, v12, v16, s0
	ds_write2st64_b32 v2, v3, v6 offset0:130 offset1:162
	v_xor_b32_e32 v2, 40, v0
	s_waitcnt lgkmcnt(8)
	v_mfma_f32_16x16x16_bf16 a[12:15], v[56:57], v[20:21], a[0:3]
	v_perm_b32 v3, v4, v8, s1
	v_perm_b32 v4, v12, v16, s1
	v_add_u32_e32 v2, 0x80, v2
	s_waitcnt lgkmcnt(7)
	v_mfma_f32_16x16x16_bf16 a[8:11], v[56:57], v[26:27], a[4:7]
	ds_write2st64_b32 v2, v3, v4 offset0:130 offset1:162
	v_xor_b32_e32 v2, 48, v0
	v_perm_b32 v3, v5, v9, s0
	s_waitcnt lgkmcnt(7)
	v_mfma_f32_16x16x16_bf16 a[4:7], v[56:57], v[30:31], a[16:19]
	v_perm_b32 v4, v13, v17, s0
	v_xor_b32_e32 v0, 56, v0
	v_and_or_b32 v21, v34, 12, v1
	s_waitcnt lgkmcnt(6)
	v_mfma_f32_16x16x16_bf16 a[0:3], v[56:57], v[32:33], a[20:23]
	ds_write2st64_b32 v2, v3, v4 offset0:131 offset1:163
	v_perm_b32 v2, v5, v9, s1
	v_perm_b32 v3, v13, v17, s1
	v_add_u32_e32 v0, 0x80, v0
	v_cmp_gt_i32_e32 vcc, s42, v21
	v_mov_b32_e32 v16, 0
	v_mov_b32_e32 v18, 0
	ds_write2st64_b32 v0, v2, v3 offset0:131 offset1:163
	s_and_saveexec_b64 s[0:1], vcc
	s_cbranch_execz .LBB23_60
; %bb.59:
	v_add_u32_e32 v0, s38, v21
	v_ashrrev_i32_e32 v1, 31, v0
	v_mul_lo_u32 v2, v1, s34
	v_mul_lo_u32 v3, v0, s35
	v_mad_u64_u32 v[0:1], s[2:3], v0, s34, 0
	v_add3_u32 v1, v1, v3, v2
	v_lshl_add_u64 v[0:1], v[0:1], 2, s[10:11]
	global_load_dword v0, v[0:1], off
	s_waitcnt vmcnt(0)
	v_sub_f32_e32 v0, s12, v0
	v_exp_f32_e32 v18, v0
.LBB23_60:
	s_or_b64 exec, exec, s[0:1]
	v_or_b32_e32 v10, 1, v21
	v_cmp_gt_i32_e64 s[2:3], s42, v10
	s_and_saveexec_b64 s[0:1], s[2:3]
	s_cbranch_execz .LBB23_62
; %bb.61:
	v_add_u32_e32 v0, s38, v10
	v_ashrrev_i32_e32 v1, 31, v0
	v_mul_lo_u32 v2, v1, s34
	v_mul_lo_u32 v3, v0, s35
	v_mad_u64_u32 v[0:1], s[4:5], v0, s34, 0
	v_add3_u32 v1, v1, v3, v2
	v_lshl_add_u64 v[0:1], v[0:1], 2, s[10:11]
	global_load_dword v0, v[0:1], off
	s_waitcnt vmcnt(0)
	v_sub_f32_e32 v0, s12, v0
	v_exp_f32_e32 v16, v0
.LBB23_62:
	s_or_b64 exec, exec, s[0:1]
	v_or_b32_e32 v12, 2, v21
	v_cmp_gt_i32_e64 s[0:1], s42, v12
	v_mov_b32_e32 v17, 0
	v_mov_b32_e32 v20, 0
	s_and_saveexec_b64 s[4:5], s[0:1]
	s_cbranch_execz .LBB23_64
; %bb.63:
	v_add_u32_e32 v0, s38, v12
	v_ashrrev_i32_e32 v1, 31, v0
	v_mul_lo_u32 v2, v1, s34
	v_mul_lo_u32 v3, v0, s35
	v_mad_u64_u32 v[0:1], s[6:7], v0, s34, 0
	v_add3_u32 v1, v1, v3, v2
	v_lshl_add_u64 v[0:1], v[0:1], 2, s[10:11]
	global_load_dword v0, v[0:1], off
	s_waitcnt vmcnt(0)
	v_sub_f32_e32 v0, s12, v0
	v_exp_f32_e32 v20, v0
.LBB23_64:
	s_or_b64 exec, exec, s[4:5]
	v_or_b32_e32 v14, 3, v21
	v_cmp_gt_i32_e64 s[4:5], s42, v14
	s_and_saveexec_b64 s[6:7], s[4:5]
	s_cbranch_execz .LBB23_66
; %bb.65:
	v_add_u32_e32 v0, s38, v14
	v_ashrrev_i32_e32 v1, 31, v0
	v_mul_lo_u32 v2, v1, s34
	v_mul_lo_u32 v3, v0, s35
	v_mad_u64_u32 v[0:1], s[16:17], v0, s34, 0
	v_add3_u32 v1, v1, v3, v2
	v_lshl_add_u64 v[0:1], v[0:1], 2, s[10:11]
	global_load_dword v0, v[0:1], off
	s_waitcnt vmcnt(0)
	v_sub_f32_e32 v0, s12, v0
	v_exp_f32_e32 v17, v0
.LBB23_66:
	s_or_b64 exec, exec, s[6:7]
	s_add_u32 s6, s8, s28
	v_or_b32_e32 v4, s36, v45
	s_addc_u32 s7, s9, s29
	s_add_u32 s8, s14, s28
	v_ashrrev_i32_e32 v5, 31, v4
	v_accvgpr_read_b32 v0, a12
	s_addc_u32 s9, s15, s29
	v_lshlrev_b64 v[4:5], 1, v[4:5]
	v_accvgpr_read_b32 v1, a13
	v_accvgpr_read_b32 v2, a14
	;; [unrolled: 1-line block ×3, first 2 shown]
	v_lshl_add_u64 v[6:7], s[6:7], 0, v[4:5]
	v_lshl_add_u64 v[4:5], s[8:9], 0, v[4:5]
	v_mov_b32_e32 v11, 0
	v_lshlrev_b32_e32 v8, 8, v21
	v_mov_b32_e32 v9, 0
	s_and_saveexec_b64 s[6:7], vcc
	s_cbranch_execz .LBB23_68
; %bb.67:
	v_mov_b32_e32 v9, 0
	v_lshl_add_u64 v[26:27], v[6:7], 0, v[8:9]
	global_load_ushort v13, v[26:27], off
	v_lshl_add_u64 v[26:27], v[4:5], 0, v[8:9]
	s_waitcnt vmcnt(0)
	v_lshlrev_b32_e32 v9, 16, v13
	v_sub_f32_e32 v0, v9, v0
	global_store_short_d16_hi v[26:27], v0, off
	v_mul_f32_e32 v0, v18, v0
	v_lshrrev_b32_e32 v9, 16, v0
.LBB23_68:
	s_or_b64 exec, exec, s[6:7]
	v_lshlrev_b32_e32 v10, 8, v10
	s_and_saveexec_b64 s[6:7], s[2:3]
	s_cbranch_execz .LBB23_70
; %bb.69:
	v_mov_b32_e32 v11, 0
	v_lshl_add_u64 v[26:27], v[6:7], 0, v[10:11]
	global_load_ushort v0, v[26:27], off
	v_lshl_add_u64 v[26:27], v[4:5], 0, v[10:11]
	s_waitcnt vmcnt(0)
	v_lshlrev_b32_e32 v0, 16, v0
	v_sub_f32_e32 v0, v0, v1
	global_store_short_d16_hi v[26:27], v0, off
	v_mul_f32_e32 v0, v16, v0
	v_lshrrev_b32_e32 v11, 16, v0
.LBB23_70:
	s_or_b64 exec, exec, s[6:7]
	v_mov_b32_e32 v15, 0
	v_lshlrev_b32_e32 v12, 8, v12
	v_mov_b32_e32 v13, 0
	s_and_saveexec_b64 s[6:7], s[0:1]
	s_cbranch_execz .LBB23_72
; %bb.71:
	v_mov_b32_e32 v13, 0
	v_lshl_add_u64 v[0:1], v[6:7], 0, v[12:13]
	global_load_ushort v25, v[0:1], off
	v_lshl_add_u64 v[0:1], v[4:5], 0, v[12:13]
	s_waitcnt vmcnt(0)
	v_lshlrev_b32_e32 v13, 16, v25
	v_sub_f32_e32 v2, v13, v2
	global_store_short_d16_hi v[0:1], v2, off
	v_mul_f32_e32 v0, v20, v2
	v_lshrrev_b32_e32 v13, 16, v0
.LBB23_72:
	s_or_b64 exec, exec, s[6:7]
	v_lshlrev_b32_e32 v14, 8, v14
	s_and_saveexec_b64 s[6:7], s[4:5]
	s_cbranch_execz .LBB23_74
; %bb.73:
	v_mov_b32_e32 v15, 0
	v_lshl_add_u64 v[0:1], v[6:7], 0, v[14:15]
	global_load_ushort v2, v[0:1], off
	v_lshl_add_u64 v[0:1], v[4:5], 0, v[14:15]
	s_waitcnt vmcnt(0)
	v_lshlrev_b32_e32 v2, 16, v2
	v_sub_f32_e32 v2, v2, v3
	global_store_short_d16_hi v[0:1], v2, off
	v_mul_f32_e32 v0, v17, v2
	v_lshrrev_b32_e32 v15, 16, v0
.LBB23_74:
	s_or_b64 exec, exec, s[6:7]
	v_lshlrev_b32_e32 v21, 6, v21
	s_mov_b32 s6, 0x5040100
	v_perm_b32 v26, v11, v9, s6
	v_or_b32_e32 v9, v21, v24
	v_accvgpr_read_b32 v0, a8
	v_perm_b32 v27, v15, v13, s6
	v_lshlrev_b32_e32 v9, 1, v9
	v_accvgpr_read_b32 v1, a9
	v_accvgpr_read_b32 v2, a10
	;; [unrolled: 1-line block ×3, first 2 shown]
	ds_write_b64 v9, v[26:27] offset:24576
	v_mov_b32_e32 v11, 0
	v_mov_b32_e32 v9, 0
	s_and_saveexec_b64 s[6:7], vcc
	s_cbranch_execz .LBB23_76
; %bb.75:
	v_mov_b32_e32 v9, 0
	v_lshl_add_u64 v[24:25], v[6:7], 0, v[8:9]
	global_load_ushort v13, v[24:25], off offset:32
	v_lshl_add_u64 v[24:25], v[4:5], 0, v[8:9]
	s_waitcnt vmcnt(0)
	v_lshlrev_b32_e32 v9, 16, v13
	v_sub_f32_e32 v0, v9, v0
	global_store_short_d16_hi v[24:25], v0, off offset:32
	v_mul_f32_e32 v0, v18, v0
	v_lshrrev_b32_e32 v9, 16, v0
.LBB23_76:
	s_or_b64 exec, exec, s[6:7]
	s_and_saveexec_b64 s[6:7], s[2:3]
	s_cbranch_execz .LBB23_78
; %bb.77:
	v_mov_b32_e32 v11, 0
	v_lshl_add_u64 v[24:25], v[6:7], 0, v[10:11]
	global_load_ushort v0, v[24:25], off offset:32
	v_lshl_add_u64 v[24:25], v[4:5], 0, v[10:11]
	s_waitcnt vmcnt(0)
	v_lshlrev_b32_e32 v0, 16, v0
	v_sub_f32_e32 v0, v0, v1
	global_store_short_d16_hi v[24:25], v0, off offset:32
	v_mul_f32_e32 v0, v16, v0
	v_lshrrev_b32_e32 v11, 16, v0
.LBB23_78:
	s_or_b64 exec, exec, s[6:7]
	v_mov_b32_e32 v15, 0
	v_mov_b32_e32 v13, 0
	s_and_saveexec_b64 s[6:7], s[0:1]
	s_cbranch_execz .LBB23_80
; %bb.79:
	v_mov_b32_e32 v13, 0
	v_lshl_add_u64 v[0:1], v[6:7], 0, v[12:13]
	global_load_ushort v24, v[0:1], off offset:32
	v_lshl_add_u64 v[0:1], v[4:5], 0, v[12:13]
	s_waitcnt vmcnt(0)
	v_lshlrev_b32_e32 v13, 16, v24
	v_sub_f32_e32 v2, v13, v2
	global_store_short_d16_hi v[0:1], v2, off offset:32
	v_mul_f32_e32 v0, v20, v2
	v_lshrrev_b32_e32 v13, 16, v0
.LBB23_80:
	s_or_b64 exec, exec, s[6:7]
	s_and_saveexec_b64 s[6:7], s[4:5]
	s_cbranch_execz .LBB23_82
; %bb.81:
	v_mov_b32_e32 v15, 0
	v_lshl_add_u64 v[0:1], v[6:7], 0, v[14:15]
	global_load_ushort v2, v[0:1], off offset:32
	v_lshl_add_u64 v[0:1], v[4:5], 0, v[14:15]
	s_waitcnt vmcnt(0)
	v_lshlrev_b32_e32 v2, 16, v2
	v_sub_f32_e32 v2, v2, v3
	global_store_short_d16_hi v[0:1], v2, off offset:32
	v_mul_f32_e32 v0, v17, v2
	v_lshrrev_b32_e32 v15, 16, v0
.LBB23_82:
	s_or_b64 exec, exec, s[6:7]
	s_mov_b32 s6, 0x5040100
	v_perm_b32 v24, v11, v9, s6
	v_or_b32_e32 v9, v21, v23
	v_accvgpr_read_b32 v0, a4
	v_perm_b32 v25, v15, v13, s6
	v_lshlrev_b32_e32 v9, 1, v9
	v_accvgpr_read_b32 v1, a5
	v_accvgpr_read_b32 v2, a6
	;; [unrolled: 1-line block ×3, first 2 shown]
	ds_write_b64 v9, v[24:25] offset:24576
	v_mov_b32_e32 v11, 0
	v_mov_b32_e32 v9, 0
	s_and_saveexec_b64 s[6:7], vcc
	s_cbranch_execz .LBB23_84
; %bb.83:
	v_mov_b32_e32 v9, 0
	v_lshl_add_u64 v[24:25], v[6:7], 0, v[8:9]
	global_load_ushort v13, v[24:25], off offset:64
	v_lshl_add_u64 v[24:25], v[4:5], 0, v[8:9]
	s_waitcnt vmcnt(0)
	v_lshlrev_b32_e32 v9, 16, v13
	v_sub_f32_e32 v0, v9, v0
	global_store_short_d16_hi v[24:25], v0, off offset:64
	v_mul_f32_e32 v0, v18, v0
	v_lshrrev_b32_e32 v9, 16, v0
.LBB23_84:
	s_or_b64 exec, exec, s[6:7]
	s_and_saveexec_b64 s[6:7], s[2:3]
	s_cbranch_execz .LBB23_86
; %bb.85:
	v_mov_b32_e32 v11, 0
	v_lshl_add_u64 v[24:25], v[6:7], 0, v[10:11]
	global_load_ushort v0, v[24:25], off offset:64
	v_lshl_add_u64 v[24:25], v[4:5], 0, v[10:11]
	s_waitcnt vmcnt(0)
	v_lshlrev_b32_e32 v0, 16, v0
	v_sub_f32_e32 v0, v0, v1
	global_store_short_d16_hi v[24:25], v0, off offset:64
	v_mul_f32_e32 v0, v16, v0
	v_lshrrev_b32_e32 v11, 16, v0
.LBB23_86:
	s_or_b64 exec, exec, s[6:7]
	v_mov_b32_e32 v15, 0
	v_mov_b32_e32 v13, 0
	s_and_saveexec_b64 s[6:7], s[0:1]
	s_cbranch_execz .LBB23_88
; %bb.87:
	v_mov_b32_e32 v13, 0
	v_lshl_add_u64 v[0:1], v[6:7], 0, v[12:13]
	global_load_ushort v23, v[0:1], off offset:64
	v_lshl_add_u64 v[0:1], v[4:5], 0, v[12:13]
	s_waitcnt vmcnt(0)
	v_lshlrev_b32_e32 v13, 16, v23
	v_sub_f32_e32 v2, v13, v2
	global_store_short_d16_hi v[0:1], v2, off offset:64
	v_mul_f32_e32 v0, v20, v2
	v_lshrrev_b32_e32 v13, 16, v0
.LBB23_88:
	s_or_b64 exec, exec, s[6:7]
	s_and_saveexec_b64 s[6:7], s[4:5]
	s_cbranch_execz .LBB23_90
; %bb.89:
	v_mov_b32_e32 v15, 0
	v_lshl_add_u64 v[0:1], v[6:7], 0, v[14:15]
	global_load_ushort v2, v[0:1], off offset:64
	v_lshl_add_u64 v[0:1], v[4:5], 0, v[14:15]
	s_waitcnt vmcnt(0)
	v_lshlrev_b32_e32 v2, 16, v2
	v_sub_f32_e32 v2, v2, v3
	global_store_short_d16_hi v[0:1], v2, off offset:64
	v_mul_f32_e32 v0, v17, v2
	v_lshrrev_b32_e32 v15, 16, v0
.LBB23_90:
	s_or_b64 exec, exec, s[6:7]
	s_mov_b32 s6, 0x5040100
	v_perm_b32 v24, v11, v9, s6
	v_or_b32_e32 v9, v21, v22
	v_accvgpr_read_b32 v0, a0
	v_perm_b32 v25, v15, v13, s6
	v_lshlrev_b32_e32 v9, 1, v9
	v_accvgpr_read_b32 v1, a1
	v_accvgpr_read_b32 v2, a2
	v_accvgpr_read_b32 v3, a3
	ds_write_b64 v9, v[24:25] offset:24576
	v_mov_b32_e32 v11, 0
	v_mov_b32_e32 v9, 0
	s_and_saveexec_b64 s[6:7], vcc
	s_cbranch_execz .LBB23_92
; %bb.91:
	v_mov_b32_e32 v9, 0
	v_lshl_add_u64 v[22:23], v[6:7], 0, v[8:9]
	global_load_ushort v13, v[22:23], off offset:96
	v_lshl_add_u64 v[8:9], v[4:5], 0, v[8:9]
	s_waitcnt vmcnt(0)
	v_lshlrev_b32_e32 v13, 16, v13
	v_sub_f32_e32 v0, v13, v0
	global_store_short_d16_hi v[8:9], v0, off offset:96
	v_mul_f32_e32 v0, v18, v0
	v_lshrrev_b32_e32 v9, 16, v0
.LBB23_92:
	s_or_b64 exec, exec, s[6:7]
	s_and_saveexec_b64 s[6:7], s[2:3]
	s_cbranch_execz .LBB23_94
; %bb.93:
	v_mov_b32_e32 v11, 0
	v_lshl_add_u64 v[22:23], v[6:7], 0, v[10:11]
	global_load_ushort v0, v[22:23], off offset:96
	v_lshl_add_u64 v[10:11], v[4:5], 0, v[10:11]
	s_waitcnt vmcnt(0)
	v_lshlrev_b32_e32 v0, 16, v0
	v_sub_f32_e32 v0, v0, v1
	global_store_short_d16_hi v[10:11], v0, off offset:96
	v_mul_f32_e32 v0, v16, v0
	v_lshrrev_b32_e32 v11, 16, v0
.LBB23_94:
	s_or_b64 exec, exec, s[6:7]
	v_mov_b32_e32 v0, 0
	v_mov_b32_e32 v1, 0
	s_and_saveexec_b64 s[2:3], s[0:1]
	s_cbranch_execz .LBB23_96
; %bb.95:
	v_mov_b32_e32 v13, 0
	v_lshl_add_u64 v[22:23], v[6:7], 0, v[12:13]
	global_load_ushort v1, v[22:23], off offset:96
	v_lshl_add_u64 v[12:13], v[4:5], 0, v[12:13]
	s_waitcnt vmcnt(0)
	v_lshlrev_b32_e32 v1, 16, v1
	v_sub_f32_e32 v1, v1, v2
	global_store_short_d16_hi v[12:13], v1, off offset:96
	v_mul_f32_e32 v1, v20, v1
	v_lshrrev_b32_e32 v1, 16, v1
.LBB23_96:
	s_or_b64 exec, exec, s[2:3]
	s_and_saveexec_b64 s[0:1], s[4:5]
	s_cbranch_execz .LBB23_98
; %bb.97:
	v_mov_b32_e32 v15, 0
	v_lshl_add_u64 v[6:7], v[6:7], 0, v[14:15]
	global_load_ushort v0, v[6:7], off offset:96
	v_lshl_add_u64 v[4:5], v[4:5], 0, v[14:15]
	s_waitcnt vmcnt(0)
	v_lshlrev_b32_e32 v0, 16, v0
	v_sub_f32_e32 v0, v0, v3
	global_store_short_d16_hi v[4:5], v0, off offset:96
	v_mul_f32_e32 v0, v17, v0
	v_lshrrev_b32_e32 v0, 16, v0
.LBB23_98:
	s_or_b64 exec, exec, s[0:1]
	s_mov_b32 s0, 0x5040100
	v_or_b32_e32 v2, v21, v19
	v_perm_b32 v1, v0, v1, s0
	v_perm_b32 v0, v11, v9, s0
	v_lshlrev_b32_e32 v2, 1, v2
	ds_write_b64 v2, v[0:1] offset:24576
	s_waitcnt lgkmcnt(0)
	s_barrier
.LBB23_99:
	s_endpgm
	.section	.rodata,"a",@progbits
	.p2align	6, 0x0
	.amdhsa_kernel _ZN12_GLOBAL__N_139chunk_gated_delta_rule_fwd_h_hip_kernelILi64ELb0ELb0ELb1ELb1ELb1ELb1ELb0ELb1EEEvPK12hip_bfloat16S3_S3_PKfS5_PKvPS1_S8_PvPKiSB_iiiiilll
		.amdhsa_group_segment_fixed_size 65536
		.amdhsa_private_segment_fixed_size 0
		.amdhsa_kernarg_size 136
		.amdhsa_user_sgpr_count 2
		.amdhsa_user_sgpr_dispatch_ptr 0
		.amdhsa_user_sgpr_queue_ptr 0
		.amdhsa_user_sgpr_kernarg_segment_ptr 1
		.amdhsa_user_sgpr_dispatch_id 0
		.amdhsa_user_sgpr_kernarg_preload_length 0
		.amdhsa_user_sgpr_kernarg_preload_offset 0
		.amdhsa_user_sgpr_private_segment_size 0
		.amdhsa_uses_dynamic_stack 0
		.amdhsa_enable_private_segment 0
		.amdhsa_system_sgpr_workgroup_id_x 1
		.amdhsa_system_sgpr_workgroup_id_y 1
		.amdhsa_system_sgpr_workgroup_id_z 0
		.amdhsa_system_sgpr_workgroup_info 0
		.amdhsa_system_vgpr_workitem_id 0
		.amdhsa_next_free_vgpr 232
		.amdhsa_next_free_sgpr 64
		.amdhsa_accum_offset 192
		.amdhsa_reserve_vcc 1
		.amdhsa_float_round_mode_32 0
		.amdhsa_float_round_mode_16_64 0
		.amdhsa_float_denorm_mode_32 3
		.amdhsa_float_denorm_mode_16_64 3
		.amdhsa_dx10_clamp 1
		.amdhsa_ieee_mode 1
		.amdhsa_fp16_overflow 0
		.amdhsa_tg_split 0
		.amdhsa_exception_fp_ieee_invalid_op 0
		.amdhsa_exception_fp_denorm_src 0
		.amdhsa_exception_fp_ieee_div_zero 0
		.amdhsa_exception_fp_ieee_overflow 0
		.amdhsa_exception_fp_ieee_underflow 0
		.amdhsa_exception_fp_ieee_inexact 0
		.amdhsa_exception_int_div_zero 0
	.end_amdhsa_kernel
	.section	.text._ZN12_GLOBAL__N_139chunk_gated_delta_rule_fwd_h_hip_kernelILi64ELb0ELb0ELb1ELb1ELb1ELb1ELb0ELb1EEEvPK12hip_bfloat16S3_S3_PKfS5_PKvPS1_S8_PvPKiSB_iiiiilll,"axG",@progbits,_ZN12_GLOBAL__N_139chunk_gated_delta_rule_fwd_h_hip_kernelILi64ELb0ELb0ELb1ELb1ELb1ELb1ELb0ELb1EEEvPK12hip_bfloat16S3_S3_PKfS5_PKvPS1_S8_PvPKiSB_iiiiilll,comdat
.Lfunc_end23:
	.size	_ZN12_GLOBAL__N_139chunk_gated_delta_rule_fwd_h_hip_kernelILi64ELb0ELb0ELb1ELb1ELb1ELb1ELb0ELb1EEEvPK12hip_bfloat16S3_S3_PKfS5_PKvPS1_S8_PvPKiSB_iiiiilll, .Lfunc_end23-_ZN12_GLOBAL__N_139chunk_gated_delta_rule_fwd_h_hip_kernelILi64ELb0ELb0ELb1ELb1ELb1ELb1ELb0ELb1EEEvPK12hip_bfloat16S3_S3_PKfS5_PKvPS1_S8_PvPKiSB_iiiiilll
                                        ; -- End function
	.section	.AMDGPU.csdata,"",@progbits
; Kernel info:
; codeLenInByte = 11320
; NumSgprs: 70
; NumVgprs: 190
; NumAgprs: 40
; TotalNumVgprs: 232
; ScratchSize: 0
; MemoryBound: 0
; FloatMode: 240
; IeeeMode: 1
; LDSByteSize: 65536 bytes/workgroup (compile time only)
; SGPRBlocks: 8
; VGPRBlocks: 28
; NumSGPRsForWavesPerEU: 70
; NumVGPRsForWavesPerEU: 232
; AccumOffset: 192
; Occupancy: 1
; WaveLimiterHint : 1
; COMPUTE_PGM_RSRC2:SCRATCH_EN: 0
; COMPUTE_PGM_RSRC2:USER_SGPR: 2
; COMPUTE_PGM_RSRC2:TRAP_HANDLER: 0
; COMPUTE_PGM_RSRC2:TGID_X_EN: 1
; COMPUTE_PGM_RSRC2:TGID_Y_EN: 1
; COMPUTE_PGM_RSRC2:TGID_Z_EN: 0
; COMPUTE_PGM_RSRC2:TIDIG_COMP_CNT: 0
; COMPUTE_PGM_RSRC3_GFX90A:ACCUM_OFFSET: 47
; COMPUTE_PGM_RSRC3_GFX90A:TG_SPLIT: 0
	.section	.text._ZN12_GLOBAL__N_139chunk_gated_delta_rule_fwd_h_hip_kernelILi64ELb0ELb0ELb0ELb1ELb1ELb1ELb0ELb1EEEvPK12hip_bfloat16S3_S3_PKfS5_PKvPS1_S8_PvPKiSB_iiiiilll,"axG",@progbits,_ZN12_GLOBAL__N_139chunk_gated_delta_rule_fwd_h_hip_kernelILi64ELb0ELb0ELb0ELb1ELb1ELb1ELb0ELb1EEEvPK12hip_bfloat16S3_S3_PKfS5_PKvPS1_S8_PvPKiSB_iiiiilll,comdat
	.globl	_ZN12_GLOBAL__N_139chunk_gated_delta_rule_fwd_h_hip_kernelILi64ELb0ELb0ELb0ELb1ELb1ELb1ELb0ELb1EEEvPK12hip_bfloat16S3_S3_PKfS5_PKvPS1_S8_PvPKiSB_iiiiilll ; -- Begin function _ZN12_GLOBAL__N_139chunk_gated_delta_rule_fwd_h_hip_kernelILi64ELb0ELb0ELb0ELb1ELb1ELb1ELb0ELb1EEEvPK12hip_bfloat16S3_S3_PKfS5_PKvPS1_S8_PvPKiSB_iiiiilll
	.p2align	8
	.type	_ZN12_GLOBAL__N_139chunk_gated_delta_rule_fwd_h_hip_kernelILi64ELb0ELb0ELb0ELb1ELb1ELb1ELb0ELb1EEEvPK12hip_bfloat16S3_S3_PKfS5_PKvPS1_S8_PvPKiSB_iiiiilll,@function
_ZN12_GLOBAL__N_139chunk_gated_delta_rule_fwd_h_hip_kernelILi64ELb0ELb0ELb0ELb1ELb1ELb1ELb0ELb1EEEvPK12hip_bfloat16S3_S3_PKfS5_PKvPS1_S8_PvPKiSB_iiiiilll: ; @_ZN12_GLOBAL__N_139chunk_gated_delta_rule_fwd_h_hip_kernelILi64ELb0ELb0ELb0ELb1ELb1ELb1ELb0ELb1EEEvPK12hip_bfloat16S3_S3_PKfS5_PKvPS1_S8_PvPKiSB_iiiiilll
; %bb.0:
	s_load_dwordx4 s[12:15], s[0:1], 0x5c
	s_load_dwordx4 s[16:19], s[0:1], 0x70
	s_abs_i32 s21, s3
	s_ashr_i32 s20, s3, 31
	s_load_dwordx2 s[36:37], s[0:1], 0x30
	s_load_dwordx4 s[24:27], s[0:1], 0x48
	s_waitcnt lgkmcnt(0)
	s_abs_i32 s28, s13
	v_cvt_f32_u32_e32 v1, s28
	s_sub_i32 s22, 0, s28
	s_ashr_i32 s29, s13, 31
	s_xor_b32 s20, s20, s29
	v_rcp_iflag_f32_e32 v1, v1
	s_load_dwordx8 s[4:11], s[0:1], 0x0
	v_lshrrev_b32_e32 v85, 6, v0
	v_bfe_u32 v86, v0, 4, 2
	v_mul_f32_e32 v1, 0x4f7ffffe, v1
	v_cvt_u32_f32_e32 v1, v1
	v_lshlrev_b32_e32 v2, 2, v86
	v_and_b32_e32 v84, 63, v0
	v_mov_b32_e32 v47, 0
	v_readfirstlane_b32 s23, v1
	s_mul_i32 s22, s22, s23
	s_mul_hi_u32 s22, s23, s22
	s_add_i32 s23, s23, s22
	s_mul_hi_u32 s22, s21, s23
	s_mul_i32 s23, s22, s28
	s_sub_i32 s21, s21, s23
	s_add_i32 s30, s22, 1
	s_sub_i32 s23, s21, s28
	s_cmp_ge_u32 s21, s28
	s_cselect_b32 s22, s30, s22
	s_cselect_b32 s21, s23, s21
	s_add_i32 s23, s22, 1
	s_cmp_ge_u32 s21, s28
	s_cselect_b32 s21, s23, s22
	s_xor_b32 s21, s21, s20
	s_sub_i32 s20, s21, s20
	s_mul_i32 s21, s20, s13
	s_sub_i32 s33, s3, s21
	s_ashr_i32 s21, s20, 31
	s_lshl_b64 s[22:23], s[20:21], 2
	s_add_u32 s24, s24, s22
	s_addc_u32 s25, s25, s23
	s_add_u32 s22, s26, s22
	s_addc_u32 s23, s27, s23
	s_abs_i32 s3, s14
	v_cvt_f32_u32_e32 v1, s3
	s_load_dwordx2 s[34:35], s[24:25], 0x0
	s_sub_i32 s25, 0, s3
	s_load_dword s46, s[22:23], 0x0
	v_rcp_iflag_f32_e32 v1, v1
	v_and_b32_e32 v45, 15, v0
	s_waitcnt lgkmcnt(0)
	s_sub_i32 s47, s35, s34
	s_ashr_i32 s24, s47, 31
	v_mul_f32_e32 v1, 0x4f7ffffe, v1
	v_cvt_u32_f32_e32 v1, v1
	s_lshr_b32 s24, s24, 26
	s_add_i32 s24, s47, s24
	s_ashr_i32 s45, s24, 6
	v_readfirstlane_b32 s26, v1
	s_mul_i32 s25, s25, s26
	s_mul_hi_u32 s25, s26, s25
	s_add_i32 s26, s26, s25
	s_mul_hi_u32 s25, s28, s26
	s_mul_i32 s26, s25, s3
	s_ashr_i32 s24, s14, 31
	s_sub_i32 s26, s28, s26
	s_xor_b32 s24, s29, s24
	s_add_i32 s27, s25, 1
	s_sub_i32 s28, s26, s3
	s_cmp_ge_u32 s26, s3
	s_cselect_b32 s25, s27, s25
	s_cselect_b32 s26, s28, s26
	s_add_i32 s27, s25, 1
	s_cmp_ge_u32 s26, s3
	s_cselect_b32 s3, s27, s25
	s_xor_b32 s3, s3, s24
	s_sub_i32 s3, s3, s24
	s_abs_i32 s24, s3
	v_cvt_f32_u32_e32 v1, s24
	s_sub_i32 s23, 0, s24
	s_abs_i32 s22, s33
	s_xor_b32 s3, s33, s3
	v_rcp_iflag_f32_e32 v1, v1
	s_ashr_i32 s3, s3, 31
	s_load_dwordx2 s[28:29], s[0:1], 0x80
	s_mul_hi_i32 s48, s33, s12
	v_mul_f32_e32 v1, 0x4f7ffffe, v1
	v_cvt_u32_f32_e32 v1, v1
	s_mul_i32 s49, s33, s12
	v_lshrrev_b32_e32 v88, 3, v84
	v_lshlrev_b32_e32 v87, 3, v0
	v_readfirstlane_b32 s25, v1
	s_mul_i32 s23, s23, s25
	s_mul_hi_u32 s23, s25, s23
	s_add_i32 s25, s25, s23
	s_mul_hi_u32 s23, s22, s25
	s_mul_i32 s25, s23, s24
	s_sub_i32 s22, s22, s25
	s_add_i32 s25, s23, 1
	s_sub_i32 s26, s22, s24
	s_cmp_ge_u32 s22, s24
	s_cselect_b32 s23, s25, s23
	s_cselect_b32 s22, s26, s22
	s_add_i32 s25, s23, 1
	s_cmp_ge_u32 s22, s24
	s_cselect_b32 s22, s25, s23
	s_xor_b32 s22, s22, s3
	v_lshlrev_b32_e32 v1, 4, v85
	s_sub_i32 s50, s22, s3
	v_or_b32_e32 v89, v2, v1
	s_lshl_b32 s30, s2, 6
	v_or_b32_e32 v90, 64, v89
	s_cmp_lt_i32 s47, 64
	s_mul_i32 s42, s20, s17
	s_mul_hi_u32 s43, s20, s16
	s_mul_i32 s44, s21, s16
	s_mul_i32 s16, s20, s16
	v_mov_b32_e32 v46, v47
	v_mov_b32_e32 v53, v47
	;; [unrolled: 1-line block ×31, first 2 shown]
	s_cbranch_scc1 .LBB24_18
; %bb.1:
	s_ashr_i32 s53, s33, 31
	s_ashr_i32 s3, s34, 31
	s_add_u32 s2, s49, s34
	s_addc_u32 s3, s48, s3
	s_lshl_b64 s[2:3], s[2:3], 8
	v_and_b32_e32 v92, 56, v87
	s_add_u32 s20, s6, s2
	v_lshl_or_b32 v91, v85, 3, v88
	v_lshlrev_b32_e32 v3, 1, v92
	s_addc_u32 s2, s7, s3
	v_lshl_or_b32 v93, v91, 8, v3
	s_and_b32 s21, s2, 0xffff
	s_mov_b32 s23, 0x20000
	s_movk_i32 s22, 0x4000
	s_movk_i32 s2, 0x80
	v_or_b32_e32 v94, 0x2000, v93
	buffer_load_dwordx4 v[4:7], v93, s[20:23], 0 offen
	buffer_load_dwordx4 v[8:11], v93, s[20:23], s2 offen
	;; [unrolled: 1-line block ×4, first 2 shown]
	v_lshlrev_b32_e32 v20, 3, v91
	v_and_or_b32 v22, v0, 7, v20
	v_and_b32_e32 v20, 0x78, v20
	v_lshlrev_b32_e32 v22, 4, v22
	v_xor_b32_e32 v95, v22, v20
	v_mul_lo_u32 v21, v91, s15
	v_or_b32_e32 v96, 0x1000, v95
	s_cmpk_eq_i32 s15, 0x80
	s_mov_b32 s51, s13
	s_mov_b32 s52, s34
	v_xor_b32_e32 v20, 8, v95
	v_xor_b32_e32 v22, 8, v96
	s_cselect_b64 s[2:3], -1, 0
	s_cmpk_lg_i32 s15, 0x80
	s_waitcnt vmcnt(3)
	ds_write_b64 v95, v[4:5] offset:49152
	ds_write_b64 v20, v[6:7] offset:49152
	s_waitcnt vmcnt(2)
	ds_write_b64 v95, v[8:9] offset:57344
	ds_write_b64 v20, v[10:11] offset:57344
	;; [unrolled: 3-line block ×4, first 2 shown]
	v_lshl_add_u32 v4, v21, 1, v92
	s_cbranch_scc0 .LBB24_3
; %bb.2:
	v_lshlrev_b32_e32 v6, 1, v4
	v_add_lshl_u32 v5, v4, s15, 1
	s_lshl_b32 s22, s15, 7
	s_load_dwordx2 s[38:39], s[0:1], 0x20
	v_lshl_or_b32 v3, v91, 9, v3
	s_cbranch_execz .LBB24_4
	s_branch .LBB24_5
.LBB24_3:
                                        ; implicit-def: $vgpr5
                                        ; implicit-def: $vgpr6
                                        ; implicit-def: $sgpr22
	s_load_dwordx2 s[38:39], s[0:1], 0x20
	v_lshl_or_b32 v3, v91, 9, v3
.LBB24_4:
	v_or_b32_e32 v5, 0x100, v3
	s_movk_i32 s22, 0x4000
	v_mov_b32_e32 v6, v3
.LBB24_5:
	s_mul_i32 s0, s34, s14
	s_ashr_i32 s54, s50, 31
	s_mul_hi_i32 s1, s34, s14
	s_add_u32 s0, s0, s50
	s_addc_u32 s1, s1, s54
	s_lshl_b64 s[0:1], s[0:1], 8
	s_add_u32 s20, s4, s0
	s_addc_u32 s0, s5, s1
	s_and_b32 s21, s0, 0xffff
	s_movk_i32 s55, 0x80
	buffer_load_dwordx4 v[8:11], v6, s[20:23], 0 offen
	buffer_load_dwordx4 v[12:15], v6, s[20:23], s55 offen
	;; [unrolled: 1-line block ×4, first 2 shown]
	v_and_b32_e32 v5, 6, v0
	v_lshlrev_b32_e32 v6, 7, v89
	v_xor_b32_e32 v28, v91, v5
	v_and_b32_e32 v7, 1, v0
	v_lshl_or_b32 v31, v45, 3, v6
	v_lshlrev_b32_e32 v28, 2, v28
	v_lshlrev_b32_e32 v24, 2, v45
	v_or_b32_e32 v97, 0x4000, v31
	v_or_b32_e32 v98, 0x6000, v31
	v_xor_b32_e32 v31, 0x440, v28
	v_cmp_eq_u32_e32 vcc, 0, v7
	v_or_b32_e32 v26, 16, v45
	v_or_b32_e32 v27, 32, v45
	v_xor_b32_e32 v29, v89, v24
	v_xor_b32_e32 v30, v90, v24
	v_cndmask_b32_e32 v7, v31, v28, vcc
	s_add_i32 s0, s43, s42
	s_mov_b32 s56, 0x1000504
	v_lshl_or_b32 v32, v26, 3, v6
	v_lshlrev_b32_e32 v26, 8, v26
	v_lshl_or_b32 v33, v27, 3, v6
	v_lshlrev_b32_e32 v29, 1, v29
	v_lshlrev_b32_e32 v30, 1, v30
	v_lshl_or_b32 v5, v5, 10, v7
	s_add_i32 s17, s0, s44
	s_mul_i32 s0, s33, s19
	s_mul_hi_u32 s1, s33, s18
	s_mov_b32 s57, 0x3020706
	v_lshlrev_b32_e32 v25, 8, v45
	v_or_b32_e32 v101, 0x4000, v33
	v_or_b32_e32 v102, 0x6000, v33
	;; [unrolled: 1-line block ×4, first 2 shown]
	v_xor_b32_e32 v7, 8, v5
	v_xor_b32_e32 v26, 24, v5
	;; [unrolled: 1-line block ×4, first 2 shown]
	s_add_i32 s0, s1, s0
	s_mul_i32 s1, s53, s18
	v_or_b32_e32 v99, 0x4000, v32
	v_or_b32_e32 v100, 0x6000, v32
	;; [unrolled: 1-line block ×4, first 2 shown]
	v_xor_b32_e32 v25, 16, v5
	v_xor_b32_e32 v28, 32, v5
	;; [unrolled: 1-line block ×3, first 2 shown]
	v_add_u32_e32 v7, 0x80, v7
	v_add_u32_e32 v26, 0x80, v26
	v_add_u32_e32 v31, 0x80, v31
	v_add_u32_e32 v33, 0x80, v33
	s_add_i32 s1, s0, s1
	s_lshl_b64 s[20:21], s[16:17], 2
	s_mul_i32 s0, s33, s18
	s_add_u32 s17, s10, s20
	s_addc_u32 s20, s11, s21
	s_lshl_b64 s[0:1], s[0:1], 2
	s_add_u32 s40, s17, s0
	s_movk_i32 s0, 0xf8
	s_addc_u32 s41, s20, s1
	s_ashr_i32 s31, s30, 31
	s_lshl_b32 s26, s15, 7
	v_mov_b32_e32 v79, 0
	s_movk_i32 s17, 0x100
	v_lshlrev_b32_e32 v78, 4, v45
	v_lshlrev_b32_e32 v27, 8, v27
	s_mov_b32 s59, 0
	s_movk_i32 s22, 0x4000
	v_or_b32_e32 v107, v27, v29
	v_or_b32_e32 v108, v27, v30
	v_add_u32_e32 v134, v1, v2
	s_movk_i32 s58, 0x3000
	v_mov_b32_e32 v70, v79
	v_mov_b32_e32 v71, v79
	;; [unrolled: 1-line block ×7, first 2 shown]
	s_waitcnt vmcnt(1)
	v_perm_b32 v34, v8, v16, s56
	s_waitcnt vmcnt(0)
	v_perm_b32 v35, v12, v20, s56
	v_perm_b32 v8, v8, v16, s57
	;; [unrolled: 1-line block ×15, first 2 shown]
	ds_write2st64_b32 v5, v34, v35 offset0:128 offset1:160
	ds_write2st64_b32 v7, v8, v12 offset0:128 offset1:160
	;; [unrolled: 1-line block ×8, first 2 shown]
	v_or_b32_e32 v5, 48, v45
	v_lshl_or_b32 v7, v5, 3, v6
	v_lshlrev_b32_e32 v5, 8, v5
	v_or_b32_e32 v111, v5, v29
	v_or_b32_e32 v112, v5, v30
	;; [unrolled: 1-line block ×3, first 2 shown]
	v_lshlrev_b32_e32 v5, 3, v5
	v_lshrrev_b32_e32 v9, 5, v84
	v_and_or_b32 v9, v5, s0, v9
	v_lshlrev_b32_e32 v9, 4, v9
	v_lshlrev_b32_e32 v11, 11, v85
	v_and_b32_e32 v5, 0x78, v5
	v_or_b32_e32 v14, 32, v9
	v_and_b32_e32 v8, 0x1000, v11
	v_xor_b32_e32 v10, v9, v5
	v_lshrrev_b32_e32 v12, 1, v84
	v_xor_b32_e32 v14, v14, v5
	v_or_b32_e32 v10, v10, v8
	v_and_b32_e32 v12, 8, v12
	v_or_b32_e32 v14, v14, v8
	v_xor_b32_e32 v113, v10, v12
	v_lshlrev_b32_e32 v10, 8, v86
	v_xor_b32_e32 v115, v14, v12
	v_or_b32_e32 v14, 64, v9
	v_or_b32_e32 v9, 0x60, v9
	v_or_b32_e32 v13, v10, v24
	v_xor_b32_e32 v14, v14, v5
	v_xor_b32_e32 v5, v9, v5
	v_lshlrev_b32_e32 v13, 1, v13
	v_or_b32_e32 v14, v14, v8
	v_or_b32_e32 v5, v5, v8
	s_lshl_b64 s[0:1], s[30:31], 8
	v_or_b32_e32 v114, 0x4000, v13
	v_or_b32_e32 v116, 0x4080, v13
	;; [unrolled: 1-line block ×4, first 2 shown]
	v_xor_b32_e32 v119, v14, v12
	v_xor_b32_e32 v120, v5, v12
	v_or_b32_e32 v121, 0x6000, v13
	v_or_b32_e32 v122, 0x6080, v13
	;; [unrolled: 1-line block ×4, first 2 shown]
	v_lshlrev_b32_e32 v12, 1, v4
	v_add_lshl_u32 v13, v4, s15, 1
	s_add_u32 s0, s36, s0
	v_lshlrev_b32_e32 v4, 1, v45
	v_lshrrev_b32_e32 v15, 4, v0
	s_addc_u32 s1, s37, s1
	v_or_b32_e32 v5, 1, v4
	v_lshlrev_b32_e32 v18, 2, v0
	v_or_b32_e32 v14, 0x100, v3
	v_xor_b32_e32 v16, v15, v4
	v_xor_b32_e32 v17, v5, v15
	v_lshl_add_u64 v[4:5], s[0:1], 0, v[78:79]
	v_lshlrev_b32_e32 v78, 8, v15
	v_lshrrev_b32_e32 v19, 1, v0
	v_and_or_b32 v10, v18, 60, v10
	v_cndmask_b32_e64 v131, v12, v3, s[2:3]
	v_mov_b32_e32 v3, 0xa000
	v_mov_b32_e32 v12, 0x8000
	v_cmp_gt_u32_e64 s[0:1], s17, v0
	v_lshl_or_b32 v125, v16, 3, v78
	v_and_b32_e32 v16, 8, v0
	v_and_b32_e32 v19, 24, v19
	v_lshlrev_b32_e32 v10, 1, v10
	v_cndmask_b32_e64 v3, v3, v12, s[0:1]
	v_lshlrev_b32_e32 v12, 3, v85
	v_or_b32_e32 v127, 0x6000, v10
	v_or_b32_e32 v128, 0x6080, v10
	;; [unrolled: 1-line block ×4, first 2 shown]
	v_mov_b32_e32 v10, 0x400
	v_cmp_eq_u32_e32 vcc, 0, v16
	v_cndmask_b32_e64 v132, v13, v14, s[2:3]
	v_xor_b32_e32 v13, v12, v19
	v_and_b32_e32 v15, 7, v0
	v_cndmask_b32_e64 v16, v10, 64, vcc
	v_or_b32_e32 v14, 0x440, v13
	v_lshl_or_b32 v126, v17, 3, v78
	v_lshlrev_b32_e32 v17, 3, v15
	v_or_b32_e32 v18, 32, v19
	v_or_b32_e32 v20, 0x60, v19
	v_cndmask_b32_e32 v14, v14, v13, vcc
	v_or3_b32 v13, v11, v16, v13
	v_lshlrev_b32_e32 v15, 7, v15
	v_xor_b32_e32 v18, v12, v18
	v_xor_b32_e32 v13, v13, v17
	;; [unrolled: 1-line block ×3, first 2 shown]
	v_or_b32_e32 v21, 0x440, v18
	v_or_b32_e32 v133, v13, v15
	v_xor_b32_e32 v13, 0x440, v12
	v_cndmask_b32_e32 v18, v21, v18, vcc
	v_cndmask_b32_e32 v12, v13, v12, vcc
	v_or_b32_e32 v109, 0x4000, v7
	v_or_b32_e32 v110, 0x6000, v7
	v_lshrrev_b32_e32 v7, 2, v84
	v_or_b32_e32 v14, v14, v11
	v_or_b32_e32 v18, v18, v11
	;; [unrolled: 1-line block ×3, first 2 shown]
	v_and_b32_e32 v7, 12, v7
	v_or_b32_e32 v8, s30, v45
	v_xor_b32_e32 v14, v14, v17
	v_xor_b32_e32 v18, v18, v17
	;; [unrolled: 1-line block ×3, first 2 shown]
	v_ashrrev_i32_e32 v9, 31, v8
	v_or_b32_e32 v10, v1, v7
	v_add_u32_e32 v19, v3, v14
	v_add_u32_e32 v21, v3, v18
	;; [unrolled: 1-line block ×3, first 2 shown]
	v_or3_b32 v12, v1, v7, 64
	v_add_u32_e32 v7, 0xa000, v14
	v_add_u32_e32 v14, 0xa000, v18
	;; [unrolled: 1-line block ×3, first 2 shown]
	v_lshl_add_u64 v[80:81], v[8:9], 1, s[8:9]
	v_lshl_add_u64 v[82:83], v[4:5], 0, v[78:79]
	s_mov_b32 s17, 0x7060302
	v_lshlrev_b32_e32 v78, 1, v6
	s_movk_i32 s31, 0x2000
	v_lshlrev_b32_e32 v135, 2, v10
	v_add_u32_e32 v136, v19, v15
	v_add_u32_e32 v137, v21, v15
	;; [unrolled: 1-line block ×4, first 2 shown]
	v_lshlrev_b32_e32 v140, 2, v12
	v_add_u32_e32 v141, v7, v15
	v_add_u32_e32 v142, v14, v15
	;; [unrolled: 1-line block ×3, first 2 shown]
	v_mov_b32_e32 v77, v79
	v_mov_b32_e32 v62, v79
	;; [unrolled: 1-line block ×25, first 2 shown]
	s_waitcnt lgkmcnt(0)
	s_barrier
.LBB24_6:                               ; =>This Inner Loop Header: Depth=1
	s_add_i32 s60, s59, 1
	s_cmp_lt_i32 s60, s45
	s_mov_b64 s[24:25], 0
	s_cselect_b64 s[2:3], -1, 0
	s_cmp_ge_i32 s60, s45
	s_mov_b64 s[20:21], 0
	s_cbranch_scc1 .LBB24_8
; %bb.7:                                ;   in Loop: Header=BB24_6 Depth=1
	s_add_i32 s0, s52, 64
	s_ashr_i32 s1, s0, 31
	s_add_u32 s0, s49, s0
	s_addc_u32 s1, s48, s1
	s_lshl_b64 s[0:1], s[0:1], 8
	s_add_u32 s20, s6, s0
	s_addc_u32 s21, s7, s1
.LBB24_8:                               ;   in Loop: Header=BB24_6 Depth=1
	v_cndmask_b32_e64 v2, 0, 1, s[2:3]
	v_cmp_ne_u32_e64 s[0:1], 1, v2
	s_andn2_b64 vcc, exec, s[2:3]
	s_cbranch_vccnz .LBB24_10
; %bb.9:                                ;   in Loop: Header=BB24_6 Depth=1
	s_add_i32 s2, s52, 64
	s_mul_hi_i32 s3, s2, s14
	s_mul_i32 s2, s2, s14
	s_add_u32 s2, s2, s50
	s_addc_u32 s3, s3, s54
	s_lshl_b64 s[2:3], s[2:3], 8
	s_add_u32 s24, s4, s2
	s_addc_u32 s25, s5, s3
.LBB24_10:                              ;   in Loop: Header=BB24_6 Depth=1
	v_perm_b32 v3, v77, v76, s17
	v_perm_b32 v2, v75, v74, s17
	v_perm_b32 v5, v73, v72, s17
	v_perm_b32 v4, v71, v70, s17
	ds_write_b64 v97, v[2:3]
	ds_write_b64 v98, v[4:5]
	ds_write_b64 v103, v[2:3]
	ds_write_b64 v104, v[4:5]
	v_perm_b32 v3, v69, v68, s17
	v_perm_b32 v2, v67, v66, s17
	v_perm_b32 v5, v65, v64, s17
	v_perm_b32 v4, v63, v62, s17
	ds_write_b64 v99, v[2:3]
	ds_write_b64 v100, v[4:5]
	ds_write_b64 v105, v[2:3]
	ds_write_b64 v106, v[4:5]
	;; [unrolled: 8-line block ×4, first 2 shown]
	s_waitcnt lgkmcnt(0)
	s_barrier
	ds_read_b64 v[6:7], v113 offset:49152
	ds_read2_b64 v[2:5], v114 offset1:16
	ds_read_b64 v[18:19], v116 offset:6144
	ds_read_b64 v[20:21], v114 offset:6144
	s_waitcnt lgkmcnt(2)
	v_mfma_f32_16x16x16_bf16 a[0:3], v[6:7], v[2:3], 0
	ds_read_b64 v[22:23], v115 offset:49152
	ds_read2st64_b64 v[10:13], v117 offset0:4 offset1:8
	ds_read2st64_b64 v[14:17], v118 offset0:4 offset1:8
	v_mfma_f32_16x16x16_bf16 a[4:7], v[6:7], v[4:5], 0
	ds_read2_b64 v[2:5], v114 offset0:32 offset1:48
	s_add_i32 s61, s52, 63
	s_ashr_i32 s2, s61, 31
	s_waitcnt lgkmcnt(0)
	v_mfma_f32_16x16x16_bf16 a[8:11], v[6:7], v[2:3], 0
	s_mul_i32 s3, s61, s29
	s_mul_hi_u32 s27, s61, s28
	s_add_i32 s3, s27, s3
	v_mfma_f32_16x16x16_bf16 a[12:15], v[6:7], v[4:5], 0
	ds_read2st64_b64 v[2:5], v114 offset0:4 offset1:8
	ds_read2st64_b64 v[6:9], v116 offset0:4 offset1:8
	s_mul_i32 s2, s2, s28
	s_waitcnt lgkmcnt(1)
	v_mfma_f32_16x16x16_bf16 a[0:3], v[22:23], v[2:3], a[0:3]
	s_add_i32 s3, s3, s2
	s_mul_i32 s2, s61, s28
	s_lshl_b64 s[2:3], s[2:3], 2
	s_waitcnt lgkmcnt(0)
	v_mfma_f32_16x16x16_bf16 a[4:7], v[22:23], v[6:7], a[4:7]
	s_add_u32 s2, s40, s2
	s_addc_u32 s3, s41, s3
	s_and_b64 vcc, exec, s[0:1]
	v_mfma_f32_16x16x16_bf16 a[8:11], v[22:23], v[10:11], a[8:11]
	ds_read_b64 v[2:3], v119 offset:49152
	ds_read_b64 v[6:7], v120 offset:49152
	;; [unrolled: 1-line block ×3, first 2 shown]
	v_mov_b32_e32 v146, 0
	v_mov_b32_e32 v145, 0
	v_mfma_f32_16x16x16_bf16 a[12:15], v[22:23], v[14:15], a[12:15]
	v_mov_b32_e32 v144, 0
	v_mov_b32_e32 v14, 0
	;; [unrolled: 1-line block ×3, first 2 shown]
	s_waitcnt lgkmcnt(2)
	v_mfma_f32_16x16x16_bf16 a[0:3], v[2:3], v[4:5], a[0:3]
	v_mov_b32_e32 v4, 0
	v_mov_b32_e32 v5, 0
	v_mfma_f32_16x16x16_bf16 a[16:19], v[2:3], v[8:9], a[4:7]
	v_mov_b32_e32 v8, 0
	v_mov_b32_e32 v9, 0
	;; [unrolled: 3-line block ×3, first 2 shown]
	v_mfma_f32_16x16x16_bf16 a[24:27], v[2:3], v[16:17], a[12:15]
	ds_read_b64 v[2:3], v117 offset:6144
	v_mov_b32_e32 v16, 0
	v_mov_b32_e32 v17, 0
	s_waitcnt lgkmcnt(2)
	v_mfma_f32_16x16x16_bf16 a[4:7], v[6:7], v[20:21], a[0:3]
	v_mfma_f32_16x16x16_bf16 a[8:11], v[6:7], v[18:19], a[16:19]
	s_waitcnt lgkmcnt(0)
	v_mfma_f32_16x16x16_bf16 a[12:15], v[6:7], v[2:3], a[20:23]
	v_mov_b32_e32 v2, 0
	v_mov_b32_e32 v3, 0
	v_mfma_f32_16x16x16_bf16 a[0:3], v[6:7], v[10:11], a[24:27]
	v_mov_b32_e32 v6, 0
	v_mov_b32_e32 v7, 0
	;; [unrolled: 1-line block ×4, first 2 shown]
	s_cbranch_vccnz .LBB24_12
; %bb.11:                               ;   in Loop: Header=BB24_6 Depth=1
	s_and_b32 s21, s21, 0xffff
	buffer_load_dwordx4 v[14:17], v93, s[20:23], 0 offen
	buffer_load_dwordx4 v[10:13], v93, s[20:23], s55 offen
	;; [unrolled: 1-line block ×4, first 2 shown]
	v_mov_b32_e32 v145, v95
	v_mov_b32_e32 v144, v96
.LBB24_12:                              ;   in Loop: Header=BB24_6 Depth=1
	ds_read_b64 v[34:35], v113 offset:57344
	ds_read2_b64 v[18:21], v121 offset1:16
	ds_read_b64 v[36:37], v115 offset:57344
	ds_read_b64 v[38:39], v119 offset:57344
	;; [unrolled: 1-line block ×3, first 2 shown]
	v_add_u32_e32 v42, s52, v134
	s_waitcnt lgkmcnt(3)
	v_mfma_f32_16x16x16_bf16 a[4:7], v[34:35], v[18:19], a[4:7]
	v_mfma_f32_16x16x16_bf16 a[8:11], v[34:35], v[20:21], a[8:11]
	ds_read2_b64 v[18:21], v121 offset0:32 offset1:48
	ds_read2st64_b64 v[22:25], v121 offset0:4 offset1:8
	ds_read2st64_b64 v[26:29], v122 offset0:4 offset1:8
	;; [unrolled: 1-line block ×3, first 2 shown]
	s_waitcnt lgkmcnt(3)
	v_mfma_f32_16x16x16_bf16 a[12:15], v[34:35], v[18:19], a[12:15]
	v_ashrrev_i32_e32 v18, 31, v42
	v_mfma_f32_16x16x16_bf16 a[0:3], v[34:35], v[20:21], a[0:3]
	v_mul_lo_u32 v20, v18, s28
	v_mul_lo_u32 v21, v42, s29
	v_mad_u64_u32 v[18:19], s[20:21], v42, s28, 0
	v_add3_u32 v19, v19, v21, v20
	v_add_u32_e32 v20, 1, v42
	v_ashrrev_i32_e32 v21, 31, v20
	s_waitcnt lgkmcnt(2)
	v_mfma_f32_16x16x16_bf16 a[4:7], v[36:37], v[22:23], a[4:7]
	v_mul_lo_u32 v22, v21, s28
	v_mul_lo_u32 v23, v20, s29
	v_mad_u64_u32 v[20:21], s[20:21], v20, s28, 0
	v_add3_u32 v21, v21, v23, v22
	v_add_u32_e32 v22, 2, v42
	v_ashrrev_i32_e32 v23, 31, v22
	s_waitcnt lgkmcnt(1)
	v_mfma_f32_16x16x16_bf16 a[8:11], v[36:37], v[26:27], a[8:11]
	v_mul_lo_u32 v26, v23, s28
	v_mul_lo_u32 v27, v22, s29
	v_mad_u64_u32 v[22:23], s[20:21], v22, s28, 0
	v_add3_u32 v23, v23, v27, v26
	v_add_u32_e32 v26, 3, v42
	v_ashrrev_i32_e32 v27, 31, v26
	v_mul_lo_u32 v34, v27, s28
	v_mul_lo_u32 v35, v26, s29
	v_mad_u64_u32 v[26:27], s[20:21], v26, s28, 0
	s_ashr_i32 s21, s52, 31
	s_add_u32 s20, s49, s52
	s_addc_u32 s21, s48, s21
	v_lshl_add_u64 v[18:19], v[18:19], 2, s[40:41]
	v_add3_u32 v27, v27, v35, v34
	s_lshl_b64 s[20:21], s[20:21], 8
	v_lshl_add_u64 v[20:21], v[20:21], 2, s[40:41]
	v_lshl_add_u64 v[22:23], v[22:23], 2, s[40:41]
	v_lshl_add_u64 v[26:27], v[26:27], 2, s[40:41]
	global_load_dword v34, v[18:19], off
	global_load_dword v35, v[20:21], off
	;; [unrolled: 1-line block ×4, first 2 shown]
	v_lshl_add_u64 v[18:19], v[80:81], 0, s[20:21]
	v_lshl_add_u64 v[22:23], v[18:19], 0, v[78:79]
	global_load_ushort v44, v[22:23], off offset:256
	global_load_ushort v147, v[22:23], off
	ds_read2st64_b64 v[18:21], v124 offset0:4 offset1:8
	global_load_ushort v148, v[22:23], off offset:768
	global_load_ushort v149, v[22:23], off offset:512
	s_waitcnt lgkmcnt(1)
	v_mfma_f32_16x16x16_bf16 a[12:15], v[36:37], v[30:31], a[12:15]
	s_and_b64 vcc, exec, s[0:1]
	s_waitcnt vmcnt(3)
	v_lshlrev_b32_e32 v31, 16, v44
	s_waitcnt lgkmcnt(0)
	v_mfma_f32_16x16x16_bf16 a[0:3], v[36:37], v[18:19], a[0:3]
	global_load_ushort v36, v[22:23], off offset:288
	global_load_ushort v37, v[22:23], off offset:32
	;; [unrolled: 1-line block ×8, first 2 shown]
	v_mfma_f32_16x16x16_bf16 a[4:7], v[38:39], v[24:25], a[4:7]
	ds_read_b64 v[18:19], v121 offset:6144
	s_waitcnt vmcnt(10)
	v_lshlrev_b32_e32 v30, 16, v147
	v_mov_b32_e32 v147, 0
	v_mfma_f32_16x16x16_bf16 a[8:11], v[38:39], v[28:29], a[8:11]
	v_mfma_f32_16x16x16_bf16 a[12:15], v[38:39], v[32:33], a[12:15]
	;; [unrolled: 1-line block ×3, first 2 shown]
	global_load_ushort v38, v[22:23], off offset:352
	global_load_ushort v39, v[22:23], off offset:96
	ds_read_b64 v[20:21], v122 offset:6144
	ds_read_b64 v[24:25], v123 offset:6144
	;; [unrolled: 1-line block ×3, first 2 shown]
	global_load_ushort v156, v[22:23], off offset:864
	global_load_ushort v157, v[22:23], off offset:608
	s_load_dword s2, s[2:3], 0x0
	s_waitcnt lgkmcnt(0)
	v_mfma_f32_16x16x16_bf16 a[4:7], v[40:41], v[18:19], a[4:7]
	v_sub_f32_e32 v28, s2, v42
	v_mfma_f32_16x16x16_bf16 a[0:3], v[40:41], v[26:27], a[0:3]
	v_sub_f32_e32 v26, s2, v34
	v_sub_f32_e32 v27, s2, v35
	v_sub_f32_e32 v29, s2, v43
	v_mfma_f32_16x16x16_bf16 a[8:11], v[40:41], v[20:21], a[8:11]
	v_exp_f32_e32 v26, v26
	v_exp_f32_e32 v27, v27
	;; [unrolled: 1-line block ×4, first 2 shown]
	v_accvgpr_read_b32 v33, a5
	v_accvgpr_read_b32 v32, a4
	;; [unrolled: 1-line block ×4, first 2 shown]
	v_pk_add_f32 v[30:31], v[30:31], v[32:33] neg_lo:[0,1] neg_hi:[0,1]
	s_waitcnt vmcnt(13)
	v_lshlrev_b32_e32 v33, 16, v148
	s_waitcnt vmcnt(12)
	v_lshlrev_b32_e32 v32, 16, v149
	v_pk_add_f32 v[18:19], v[32:33], v[18:19] neg_lo:[0,1] neg_hi:[0,1]
	v_pk_mul_f32 v[30:31], v[26:27], v[30:31]
	v_pk_mul_f32 v[18:19], v[28:29], v[18:19]
	v_accvgpr_read_b32 v33, a9
	v_perm_b32 v19, v19, v18, s17
	v_perm_b32 v18, v31, v30, s17
	v_accvgpr_read_b32 v32, a8
	v_accvgpr_read_b32 v21, a11
	v_mfma_f32_16x16x16_bf16 a[12:15], v[40:41], v[24:25], a[12:15]
	v_accvgpr_read_b32 v20, a10
	v_accvgpr_read_b32 v25, a3
	;; [unrolled: 1-line block ×3, first 2 shown]
	s_waitcnt vmcnt(11)
	v_lshlrev_b32_e32 v31, 16, v36
	s_waitcnt vmcnt(10)
	v_lshlrev_b32_e32 v30, 16, v37
	v_pk_add_f32 v[30:31], v[30:31], v[32:33] neg_lo:[0,1] neg_hi:[0,1]
	s_waitcnt vmcnt(9)
	v_lshlrev_b32_e32 v33, 16, v150
	s_waitcnt vmcnt(8)
	v_lshlrev_b32_e32 v32, 16, v151
	v_pk_add_f32 v[20:21], v[32:33], v[20:21] neg_lo:[0,1] neg_hi:[0,1]
	v_pk_mul_f32 v[30:31], v[26:27], v[30:31]
	v_pk_mul_f32 v[20:21], v[28:29], v[20:21]
	v_accvgpr_read_b32 v23, a15
	v_perm_b32 v21, v21, v20, s17
	v_perm_b32 v20, v31, v30, s17
	ds_write2_b64 v98, v[18:19], v[20:21] offset1:16
	v_accvgpr_read_b32 v21, a13
	s_waitcnt vmcnt(7)
	v_lshlrev_b32_e32 v19, 16, v152
	s_waitcnt vmcnt(6)
	v_lshlrev_b32_e32 v18, 16, v153
	v_accvgpr_read_b32 v20, a12
	v_accvgpr_read_b32 v22, a14
	v_pk_add_f32 v[18:19], v[18:19], v[20:21] neg_lo:[0,1] neg_hi:[0,1]
	s_waitcnt vmcnt(5)
	v_lshlrev_b32_e32 v21, 16, v154
	s_waitcnt vmcnt(4)
	v_lshlrev_b32_e32 v20, 16, v155
	v_pk_add_f32 v[20:21], v[20:21], v[22:23] neg_lo:[0,1] neg_hi:[0,1]
	v_pk_mul_f32 v[18:19], v[26:27], v[18:19]
	v_pk_mul_f32 v[20:21], v[28:29], v[20:21]
	v_accvgpr_read_b32 v23, a1
	v_perm_b32 v21, v21, v20, s17
	v_perm_b32 v20, v19, v18, s17
	s_waitcnt vmcnt(3)
	v_lshlrev_b32_e32 v19, 16, v38
	s_waitcnt vmcnt(2)
	v_lshlrev_b32_e32 v18, 16, v39
	v_accvgpr_read_b32 v22, a0
	v_pk_add_f32 v[18:19], v[18:19], v[22:23] neg_lo:[0,1] neg_hi:[0,1]
	s_waitcnt vmcnt(1)
	v_lshlrev_b32_e32 v23, 16, v156
	s_waitcnt vmcnt(0)
	v_lshlrev_b32_e32 v22, 16, v157
	v_pk_add_f32 v[22:23], v[22:23], v[24:25] neg_lo:[0,1] neg_hi:[0,1]
	v_pk_mul_f32 v[18:19], v[26:27], v[18:19]
	v_pk_mul_f32 v[22:23], v[28:29], v[22:23]
	v_mov_b32_e32 v24, 0
	v_perm_b32 v23, v23, v22, s17
	v_perm_b32 v22, v19, v18, s17
	ds_write2_b64 v98, v[20:21], v[22:23] offset0:32 offset1:48
	v_mov_b32_e32 v18, 0
	v_mov_b32_e32 v19, 0
	;; [unrolled: 1-line block ×15, first 2 shown]
	s_cbranch_vccnz .LBB24_14
; %bb.13:                               ;   in Loop: Header=BB24_6 Depth=1
	s_and_b32 s25, s25, 0xffff
	s_mov_b32 s27, s23
	buffer_load_dwordx4 v[30:33], v131, s[24:27], 0 offen
	buffer_load_dwordx4 v[22:25], v131, s[24:27], s55 offen
	;; [unrolled: 1-line block ×4, first 2 shown]
	v_mov_b32_e32 v146, v92
	v_mov_b32_e32 v147, v91
.LBB24_14:                              ;   in Loop: Header=BB24_6 Depth=1
	s_waitcnt lgkmcnt(0)
	s_barrier
	ds_read_b64 v[42:43], v136
	ds_read2_b64 v[34:37], v127 offset1:16
	ds_read_b64 v[164:165], v137
	ds_read_b64 v[166:167], v138
	;; [unrolled: 1-line block ×3, first 2 shown]
	ds_read2_b64 v[38:41], v127 offset0:32 offset1:48
	ds_read2st64_b64 v[148:151], v127 offset0:4 offset1:8
	ds_read2st64_b64 v[152:155], v128 offset0:4 offset1:8
	;; [unrolled: 1-line block ×4, first 2 shown]
	s_waitcnt lgkmcnt(8)
	v_mfma_f32_16x16x16_bf16 a[0:3], v[42:43], v[34:35], 0
	s_add_i32 s3, s46, s59
	s_mul_hi_i32 s21, s3, s51
	s_mul_i32 s3, s3, s51
	v_mfma_f32_16x16x16_bf16 a[4:7], v[42:43], v[36:37], 0
	s_add_u32 s20, s3, s33
	s_addc_u32 s21, s21, s53
	s_lshl_b64 s[20:21], s[20:21], 15
	s_waitcnt lgkmcnt(4)
	v_mfma_f32_16x16x16_bf16 a[8:11], v[42:43], v[38:39], 0
	s_mul_i32 s24, s61, s51
	s_mul_hi_i32 s3, s61, s51
	s_add_u32 s24, s24, s33
	v_mfma_f32_16x16x16_bf16 a[12:15], v[42:43], v[40:41], 0
	ds_read_b64 v[42:43], v127 offset:6144
	ds_read_b64 v[176:177], v128 offset:6144
	;; [unrolled: 1-line block ×4, first 2 shown]
	s_addc_u32 s25, s3, s53
	s_waitcnt lgkmcnt(7)
	v_mfma_f32_16x16x16_bf16 a[0:3], v[164:165], v[148:149], a[0:3]
	s_lshl_b64 s[24:25], s[24:25], 9
	s_add_u32 s24, s38, s24
	s_addc_u32 s25, s39, s25
	s_waitcnt lgkmcnt(6)
	v_mfma_f32_16x16x16_bf16 a[4:7], v[164:165], v[152:153], a[4:7]
	v_lshl_add_u64 v[186:187], v[82:83], 0, s[20:21]
	s_waitcnt lgkmcnt(5)
	v_mfma_f32_16x16x16_bf16 a[8:11], v[164:165], v[156:157], a[8:11]
	s_waitcnt lgkmcnt(4)
	v_mfma_f32_16x16x16_bf16 a[12:15], v[164:165], v[160:161], a[12:15]
	ds_read_b64 v[164:165], v141
	ds_read_b64 v[174:175], v142
	;; [unrolled: 1-line block ×3, first 2 shown]
	s_waitcnt lgkmcnt(2)
	v_mfma_f32_16x16x16_bf16 a[16:19], v[164:165], v[34:35], 0
	v_mfma_f32_16x16x16_bf16 a[20:23], v[164:165], v[36:37], 0
	global_load_dwordx4 v[34:37], v140, s[24:25]
	v_mfma_f32_16x16x16_bf16 a[24:27], v[164:165], v[38:39], 0
	v_mfma_f32_16x16x16_bf16 a[28:31], v[164:165], v[40:41], 0
	global_load_dwordx4 v[38:41], v135, s[24:25]
	v_mfma_f32_16x16x16_bf16 a[0:3], v[166:167], v[150:151], a[0:3]
	v_mfma_f32_16x16x16_bf16 a[4:7], v[166:167], v[154:155], a[4:7]
	;; [unrolled: 1-line block ×8, first 2 shown]
	ds_read2st64_b64 v[164:167], v125 offset1:8
	ds_read2st64_b64 v[168:171], v126 offset1:8
	ds_read_b64 v[184:185], v133 offset:40960
	s_waitcnt lgkmcnt(2)
	v_mov_b32_e32 v172, v164
	v_mfma_f32_16x16x16_bf16 a[16:19], v[174:175], v[148:149], a[16:19]
	v_mov_b32_e32 v173, v165
	v_mfma_f32_16x16x16_bf16 a[20:23], v[174:175], v[152:153], a[20:23]
	v_mfma_f32_16x16x16_bf16 a[24:27], v[174:175], v[156:157], a[24:27]
	;; [unrolled: 1-line block ×3, first 2 shown]
	v_add_co_u32_e32 v160, vcc, s31, v186
	s_waitcnt lgkmcnt(1)
	v_mov_b32_e32 v174, v168
	s_waitcnt lgkmcnt(0)
	v_mfma_f32_16x16x16_bf16 a[16:19], v[184:185], v[150:151], a[16:19]
	ds_read2st64_b64 v[148:151], v125 offset0:16 offset1:24
	v_addc_co_u32_e32 v161, vcc, 0, v187, vcc
	v_mfma_f32_16x16x16_bf16 a[20:23], v[184:185], v[154:155], a[20:23]
	ds_read2st64_b64 v[152:155], v126 offset0:16 offset1:24
	v_mov_b32_e32 v175, v169
	v_mov_b32_e32 v168, v166
	v_mfma_f32_16x16x16_bf16 a[32:35], v[184:185], v[158:159], a[24:27]
	v_mov_b32_e32 v169, v167
	s_waitcnt lgkmcnt(0)
	v_mov_b32_e32 v158, v152
	v_mov_b32_e32 v159, v153
	v_mfma_f32_16x16x16_bf16 a[36:39], v[184:185], v[162:163], a[28:31]
	v_mov_b32_e32 v152, v150
	v_mov_b32_e32 v153, v151
	;; [unrolled: 1-line block ×3, first 2 shown]
	v_mfma_f32_16x16x16_bf16 a[24:27], v[182:183], v[42:43], a[16:19]
	v_add_co_u32_e32 v42, vcc, s58, v186
	v_mov_b32_e32 v157, v149
	v_mfma_f32_16x16x16_bf16 a[28:31], v[182:183], v[176:177], a[20:23]
	v_addc_co_u32_e32 v43, vcc, 0, v187, vcc
	global_store_dwordx4 v[42:43], v[152:155], off
	v_mfma_f32_16x16x16_bf16 a[16:19], v[182:183], v[178:179], a[32:35]
	s_waitcnt vmcnt(2)
	v_mov_b32_e32 v44, v37
	v_mov_b32_e32 v43, v36
	;; [unrolled: 1-line block ×3, first 2 shown]
	v_mfma_f32_16x16x16_bf16 a[20:23], v[182:183], v[180:181], a[36:39]
	s_and_b64 vcc, exec, s[0:1]
	global_store_dwordx4 v[186:187], v[172:175], off
	global_store_dwordx4 v[160:161], v[168:171], off offset:-4096
	global_store_dwordx4 v[160:161], v[156:159], off
	s_cbranch_vccnz .LBB24_16
; %bb.15:                               ;   in Loop: Header=BB24_6 Depth=1
	v_lshrrev_b32_e32 v35, 3, v146
	v_and_b32_e32 v35, 6, v35
	v_xor_b32_e32 v36, v35, v147
	v_lshlrev_b32_e32 v36, 2, v36
	v_and_b32_e32 v37, 8, v146
	v_xor_b32_e32 v146, 0x440, v36
	v_cmp_eq_u32_e32 vcc, 0, v37
	v_perm_b32 v37, v22, v18, s56
	s_nop 0
	v_cndmask_b32_e32 v36, v146, v36, vcc
	v_lshl_or_b32 v35, v35, 10, v36
	v_perm_b32 v36, v30, v26, s56
	s_barrier
	ds_write2st64_b32 v35, v36, v37 offset0:128 offset1:160
	v_xor_b32_e32 v36, 8, v35
	v_perm_b32 v26, v30, v26, s57
	v_perm_b32 v18, v22, v18, s57
	v_add_u32_e32 v22, 0x80, v36
	ds_write2st64_b32 v22, v26, v18 offset0:128 offset1:160
	v_xor_b32_e32 v18, 16, v35
	v_perm_b32 v22, v31, v27, s56
	v_perm_b32 v26, v23, v19, s56
	ds_write2st64_b32 v18, v22, v26 offset0:129 offset1:161
	v_xor_b32_e32 v18, 24, v35
	v_perm_b32 v22, v31, v27, s57
	v_perm_b32 v19, v23, v19, s57
	v_add_u32_e32 v18, 0x80, v18
	ds_write2st64_b32 v18, v22, v19 offset0:129 offset1:161
	v_xor_b32_e32 v18, 32, v35
	v_perm_b32 v19, v32, v28, s56
	v_perm_b32 v22, v24, v20, s56
	;; [unrolled: 9-line block ×3, first 2 shown]
	ds_write2st64_b32 v18, v19, v20 offset0:131 offset1:163
	v_xor_b32_e32 v18, 56, v35
	v_perm_b32 v19, v33, v29, s57
	v_perm_b32 v20, v25, v21, s57
	v_add_u32_e32 v18, 0x80, v18
	ds_write2st64_b32 v18, v19, v20 offset0:131 offset1:163
	ds_write_b64 v145, v[14:15] offset:49152
	v_xor_b32_e32 v14, 8, v145
	ds_write_b64 v14, v[16:17] offset:49152
	ds_write_b64 v145, v[10:11] offset:57344
	;; [unrolled: 1-line block ×4, first 2 shown]
	v_xor_b32_e32 v6, 8, v144
	ds_write_b64 v6, v[8:9] offset:49152
	ds_write_b64 v144, v[2:3] offset:57344
	;; [unrolled: 1-line block ×3, first 2 shown]
.LBB24_16:                              ;   in Loop: Header=BB24_6 Depth=1
	v_exp_f32_e32 v36, s2
	s_waitcnt vmcnt(4)
	v_exp_f32_e32 v38, v38
	v_exp_f32_e32 v39, v39
	v_exp_f32_e32 v40, v40
	v_exp_f32_e32 v41, v41
	v_accvgpr_read_b32 v5, a3
	v_accvgpr_read_b32 v4, a2
	;; [unrolled: 1-line block ×4, first 2 shown]
	v_pk_mul_f32 v[38:39], v[36:37], v[38:39] op_sel_hi:[0,1]
	v_pk_mul_f32 v[40:41], v[36:37], v[40:41] op_sel_hi:[0,1]
	v_pk_fma_f32 v[74:75], v[74:75], v[38:39], v[2:3]
	v_pk_fma_f32 v[76:77], v[76:77], v[40:41], v[4:5]
	v_exp_f32_e32 v2, v34
	v_exp_f32_e32 v3, v42
	;; [unrolled: 1-line block ×4, first 2 shown]
	v_accvgpr_read_b32 v9, a7
	v_accvgpr_read_b32 v13, a11
	;; [unrolled: 1-line block ×28, first 2 shown]
	v_pk_mul_f32 v[2:3], v[36:37], v[2:3] op_sel_hi:[0,1]
	v_pk_mul_f32 v[4:5], v[36:37], v[4:5] op_sel_hi:[0,1]
	s_add_i32 s52, s52, 64
	v_pk_fma_f32 v[66:67], v[38:39], v[66:67], v[6:7]
	v_pk_fma_f32 v[68:69], v[40:41], v[68:69], v[8:9]
	;; [unrolled: 1-line block ×13, first 2 shown]
	s_cmp_eq_u32 s45, s60
	v_pk_fma_f32 v[50:51], v[4:5], v[50:51], v[32:33]
	s_cbranch_scc1 .LBB24_18
; %bb.17:                               ;   in Loop: Header=BB24_6 Depth=1
	s_mov_b32 s59, s60
	s_branch .LBB24_6
.LBB24_18:
	s_lshl_b32 s0, s45, 6
	s_sub_i32 s40, s47, s0
	s_cmp_gt_i32 s40, 0
	s_cbranch_scc0 .LBB24_99
; %bb.19:
	s_add_i32 s34, s0, s34
	s_ashr_i32 s2, s34, 31
	s_cmpk_lg_i32 s15, 0x80
	s_cselect_b64 s[26:27], -1, 0
	s_and_b64 vcc, exec, s[26:27]
	s_cbranch_vccz .LBB24_21
; %bb.20:
	s_mul_i32 s1, s34, s14
	s_ashr_i32 s3, s50, 31
	s_mul_hi_i32 s0, s34, s14
	s_add_u32 s38, s1, s50
	s_addc_u32 s39, s0, s3
	s_cbranch_execz .LBB24_22
	s_branch .LBB24_23
.LBB24_21:
                                        ; implicit-def: $sgpr38_sgpr39
.LBB24_22:
	s_mul_i32 s1, s50, s12
	s_mul_hi_i32 s0, s50, s12
	s_add_u32 s38, s1, s34
	s_addc_u32 s39, s0, s2
.LBB24_23:
	s_add_i32 s3, s45, s46
	s_ashr_i32 s12, s33, 31
	s_add_u32 s0, s49, s34
	v_lshlrev_b32_e32 v6, 6, v89
	v_lshlrev_b32_e32 v24, 2, v45
	s_addc_u32 s1, s48, s2
	s_mov_b32 s2, 0x7060302
	v_or_b32_e32 v9, v6, v24
	v_xor_b32_e32 v7, v89, v24
	v_perm_b32 v3, v77, v76, s2
	v_perm_b32 v2, v75, v74, s2
	;; [unrolled: 1-line block ×4, first 2 shown]
	v_lshlrev_b32_e32 v9, 1, v9
	v_xor_b32_e32 v8, v90, v24
	ds_write2st64_b64 v9, v[2:3], v[4:5] offset0:32 offset1:48
	v_lshlrev_b32_e32 v7, 1, v7
	v_lshlrev_b32_e32 v9, 8, v45
	v_or_b32_e32 v10, v7, v9
	v_lshlrev_b32_e32 v8, 1, v8
	ds_write_b64 v10, v[2:3]
	v_or_b32_e32 v2, v8, v9
	v_or_b32_e32 v9, 16, v45
	v_lshlrev_b32_e32 v23, 2, v9
	v_or_b32_e32 v10, v6, v23
	ds_write_b64 v2, v[4:5]
	v_perm_b32 v3, v69, v68, s2
	v_perm_b32 v2, v67, v66, s2
	;; [unrolled: 1-line block ×4, first 2 shown]
	v_lshlrev_b32_e32 v10, 1, v10
	v_lshlrev_b32_e32 v9, 8, v9
	ds_write2st64_b64 v10, v[2:3], v[4:5] offset0:32 offset1:48
	v_or_b32_e32 v10, v7, v9
	ds_write_b64 v10, v[2:3]
	v_or_b32_e32 v2, v8, v9
	v_or_b32_e32 v9, 32, v45
	v_lshlrev_b32_e32 v22, 2, v9
	v_or_b32_e32 v10, v6, v22
	s_lshl_b64 s[24:25], s[0:1], 8
	ds_write_b64 v2, v[4:5]
	v_perm_b32 v3, v61, v60, s2
	v_perm_b32 v2, v59, v58, s2
	;; [unrolled: 1-line block ×4, first 2 shown]
	v_lshlrev_b32_e32 v10, 1, v10
	v_lshlrev_b32_e32 v9, 8, v9
	s_add_u32 s0, s6, s24
	ds_write2st64_b64 v10, v[2:3], v[4:5] offset0:32 offset1:48
	v_or_b32_e32 v10, v7, v9
	s_addc_u32 s1, s7, s25
	ds_write_b64 v10, v[2:3]
	v_or_b32_e32 v2, v8, v9
	v_or_b32_e32 v9, 48, v45
	s_mul_hi_i32 s6, s3, s13
	s_mul_i32 s3, s3, s13
	ds_write_b64 v2, v[4:5]
	v_perm_b32 v3, v47, v46, s2
	v_perm_b32 v2, v53, v52, s2
	;; [unrolled: 1-line block ×4, first 2 shown]
	v_lshlrev_b32_e32 v19, 2, v9
	s_add_u32 s2, s3, s33
	v_or_b32_e32 v6, v6, v19
	s_addc_u32 s3, s6, s12
	v_lshlrev_b32_e32 v6, 1, v6
	s_ashr_i32 s31, s30, 31
	s_lshl_b64 s[2:3], s[2:3], 15
	ds_write2st64_b64 v6, v[2:3], v[4:5] offset0:32 offset1:48
	v_lshlrev_b32_e32 v6, 8, v9
	s_add_u32 s6, s36, s2
	v_or_b32_e32 v7, v7, v6
	s_addc_u32 s7, s37, s3
	s_lshl_b64 s[2:3], s[30:31], 8
	ds_write_b64 v7, v[2:3]
	v_or_b32_e32 v2, v8, v6
	s_add_u32 s2, s6, s2
	v_lshlrev_b32_e32 v3, 1, v45
	ds_write_b64 v2, v[4:5]
	v_lshrrev_b32_e32 v2, 4, v0
	s_addc_u32 s3, s7, s3
	v_or_b32_e32 v4, 1, v3
	v_lshlrev_b32_e32 v10, 4, v45
	v_mov_b32_e32 v11, 0
	v_xor_b32_e32 v3, v2, v3
	v_xor_b32_e32 v6, v4, v2
	v_lshl_add_u64 v[12:13], s[2:3], 0, v[10:11]
	v_lshlrev_b32_e32 v10, 8, v2
	v_lshl_or_b32 v16, v3, 3, v10
	v_lshl_or_b32 v17, v6, 3, v10
	s_waitcnt lgkmcnt(0)
	s_barrier
	ds_read2st64_b64 v[2:5], v16 offset1:8
	ds_read2st64_b64 v[6:9], v17 offset1:8
	v_lshl_add_u64 v[14:15], v[12:13], 0, v[10:11]
	s_movk_i32 s2, 0x2000
	s_cmp_lg_u32 s40, 64
	s_waitcnt lgkmcnt(1)
	v_mov_b32_e32 v10, v2
	v_mov_b32_e32 v11, v3
	s_waitcnt lgkmcnt(0)
	v_mov_b32_e32 v12, v6
	v_mov_b32_e32 v13, v7
	global_store_dwordx4 v[14:15], v[10:13], off
	v_mov_b32_e32 v6, v4
	v_mov_b32_e32 v7, v5
	ds_read2st64_b64 v[2:5], v16 offset0:16 offset1:24
	ds_read2st64_b64 v[10:13], v17 offset0:16 offset1:24
	v_add_co_u32_e32 v16, vcc, s2, v14
	s_cselect_b64 s[6:7], -1, 0
	s_nop 0
	v_addc_co_u32_e32 v17, vcc, 0, v15, vcc
	global_store_dwordx4 v[16:17], v[6:9], off offset:-4096
	v_lshl_or_b32 v25, v85, 3, v88
	s_mov_b32 s20, 0
	s_waitcnt lgkmcnt(1)
	v_mov_b32_e32 v6, v2
	v_add_co_u32_e32 v2, vcc, 0x3000, v14
	v_mov_b32_e32 v7, v3
	s_nop 0
	v_addc_co_u32_e32 v3, vcc, 0, v15, vcc
	s_waitcnt lgkmcnt(0)
	v_mov_b32_e32 v8, v10
	v_mov_b32_e32 v9, v11
	v_mov_b32_e32 v10, v4
	v_mov_b32_e32 v11, v5
	v_or_b32_e32 v20, 32, v25
	v_and_b32_e32 v18, 56, v87
	s_and_b64 vcc, exec, s[6:7]
	global_store_dwordx4 v[16:17], v[6:9], off
	global_store_dwordx4 v[2:3], v[10:13], off
	s_cbranch_vccz .LBB24_29
; %bb.24:
	s_mov_b32 s21, s20
	s_mov_b32 s22, s20
	;; [unrolled: 1-line block ×3, first 2 shown]
	v_mov_b64_e32 v[6:7], s[20:21]
	v_mov_b64_e32 v[8:9], s[22:23]
	;; [unrolled: 1-line block ×3, first 2 shown]
	v_cmp_gt_i32_e32 vcc, s40, v25
	v_mov_b64_e32 v[4:5], v[8:9]
	s_and_saveexec_b64 s[2:3], vcc
	s_cbranch_execz .LBB24_26
; %bb.25:
	v_lshlrev_b32_e32 v2, 8, v25
	v_mov_b32_e32 v3, 0
	v_lshl_add_u64 v[4:5], s[0:1], 0, v[2:3]
	v_lshlrev_b32_e32 v2, 1, v18
	v_lshl_add_u64 v[10:11], v[4:5], 0, v[2:3]
	global_load_dwordx4 v[6:9], v[10:11], off
	global_load_dwordx4 v[2:5], v[10:11], off offset:128
.LBB24_26:
	s_or_b64 exec, exec, s[2:3]
	s_mov_b32 s21, s20
	s_mov_b32 s22, s20
	;; [unrolled: 1-line block ×3, first 2 shown]
	v_mov_b64_e32 v[14:15], s[20:21]
	v_mov_b64_e32 v[16:17], s[22:23]
	;; [unrolled: 1-line block ×3, first 2 shown]
	v_cmp_gt_i32_e32 vcc, s40, v20
	v_lshlrev_b32_e32 v21, 7, v20
	v_mov_b64_e32 v[12:13], v[16:17]
	s_and_saveexec_b64 s[2:3], vcc
	s_cbranch_execz .LBB24_28
; %bb.27:
	v_lshlrev_b32_e32 v10, 1, v21
	v_mov_b32_e32 v11, 0
	v_lshl_add_u64 v[12:13], s[0:1], 0, v[10:11]
	v_lshlrev_b32_e32 v10, 1, v18
	v_lshl_add_u64 v[26:27], v[12:13], 0, v[10:11]
	global_load_dwordx4 v[14:17], v[26:27], off
	global_load_dwordx4 v[10:13], v[26:27], off offset:128
.LBB24_28:
	s_or_b64 exec, exec, s[2:3]
	v_lshrrev_b32_e32 v26, 3, v18
	v_lshlrev_b32_e32 v27, 3, v25
	v_or_b32_e32 v26, v27, v26
	v_lshlrev_b32_e32 v26, 4, v26
	v_and_b32_e32 v27, 0x78, v27
	v_xor_b32_e32 v26, v26, v27
	s_branch .LBB24_31
.LBB24_29:
                                        ; implicit-def: $vgpr26
                                        ; implicit-def: $vgpr21
                                        ; implicit-def: $vgpr6_vgpr7_vgpr8_vgpr9
                                        ; implicit-def: $vgpr2_vgpr3_vgpr4_vgpr5
                                        ; implicit-def: $vgpr14_vgpr15_vgpr16_vgpr17
                                        ; implicit-def: $vgpr10_vgpr11_vgpr12_vgpr13
	s_cbranch_execz .LBB24_31
; %bb.30:
	s_waitcnt vmcnt(0)
	v_lshlrev_b32_e32 v2, 1, v18
	v_lshl_or_b32 v21, v25, 8, v2
	s_and_b32 s1, s1, 0xffff
	s_mov_b32 s3, 0x20000
	s_movk_i32 s2, 0x4000
	v_lshl_or_b32 v26, v20, 8, v2
	s_movk_i32 s13, 0x80
	buffer_load_dwordx4 v[6:9], v21, s[0:3], 0 offen
	buffer_load_dwordx4 v[2:5], v21, s[0:3], s13 offen
	buffer_load_dwordx4 v[14:17], v26, s[0:3], 0 offen
	buffer_load_dwordx4 v[10:13], v26, s[0:3], s13 offen
	v_lshrrev_b32_e32 v21, 3, v18
	v_lshlrev_b32_e32 v26, 3, v25
	v_or_b32_e32 v21, v26, v21
	v_lshlrev_b32_e32 v21, 4, v21
	v_and_b32_e32 v26, 0x78, v26
	v_xor_b32_e32 v26, v21, v26
	v_lshlrev_b32_e32 v21, 7, v20
.LBB24_31:
	s_movk_i32 s0, 0x1000
	v_and_or_b32 v20, v21, s0, v26
	s_waitcnt vmcnt(1)
	ds_write_b64 v26, v[6:7] offset:49152
	v_xor_b32_e32 v6, 8, v26
	ds_write_b64 v6, v[8:9] offset:49152
	s_waitcnt vmcnt(0)
	ds_write_b64 v26, v[2:3] offset:57344
	ds_write_b64 v6, v[4:5] offset:57344
	;; [unrolled: 1-line block ×3, first 2 shown]
	v_xor_b32_e32 v2, 8, v20
	ds_write_b64 v2, v[16:17] offset:49152
	ds_write_b64 v20, v[10:11] offset:57344
	;; [unrolled: 1-line block ×3, first 2 shown]
	v_or_b32_e32 v2, v1, v45
	v_lshlrev_b32_e32 v3, 11, v85
	v_lshlrev_b32_e32 v2, 3, v2
	v_and_b32_e32 v6, 0x1000, v3
	v_lshrrev_b32_e32 v3, 5, v84
	s_movk_i32 s0, 0xf8
	v_and_or_b32 v3, v2, s0, v3
	v_lshlrev_b32_e32 v7, 4, v3
	v_and_b32_e32 v8, 0x78, v2
	v_or_b32_e32 v10, 32, v7
	v_lshrrev_b32_e32 v3, 1, v84
	v_xor_b32_e32 v10, v10, v8
	v_xor_b32_e32 v2, v7, v8
	v_and_b32_e32 v9, 8, v3
	v_or_b32_e32 v10, v10, v6
	v_or_b32_e32 v2, v2, v6
	v_xor_b32_e32 v28, v10, v9
	v_or_b32_e32 v10, 64, v7
	v_xor_b32_e32 v27, v2, v9
	v_xor_b32_e32 v10, v10, v8
	s_waitcnt lgkmcnt(0)
	s_barrier
	v_or_b32_e32 v13, v10, v6
	ds_read_b64 v[10:11], v27 offset:49152
	v_lshl_or_b32 v14, v86, 8, v24
	v_lshlrev_b32_e32 v26, 1, v14
	v_add_u32_e32 v12, 0x4000, v26
	ds_read2_b64 v[2:5], v12 offset1:16
	v_or_b32_e32 v7, 0x60, v7
	v_xor_b32_e32 v7, v7, v8
	v_or_b32_e32 v6, v7, v6
	v_xor_b32_e32 v29, v13, v9
	v_xor_b32_e32 v30, v6, v9
	ds_read_b64 v[20:21], v28 offset:49152
	ds_read_b64 v[34:35], v29 offset:49152
	ds_read_b64 v[36:37], v30 offset:49152
	s_waitcnt lgkmcnt(3)
	v_mfma_f32_16x16x16_bf16 a[0:3], v[10:11], v[2:3], 0
	ds_read2_b64 v[6:9], v12 offset0:32 offset1:48
	s_lshl_b64 s[0:1], s[38:39], 8
	s_add_u32 s4, s4, s0
	v_mfma_f32_16x16x16_bf16 a[4:7], v[10:11], v[4:5], 0
	ds_read2st64_b64 v[2:5], v26 offset0:36 offset1:40
	s_addc_u32 s5, s5, s1
	s_add_i32 s0, s43, s42
	s_waitcnt lgkmcnt(1)
	v_mfma_f32_16x16x16_bf16 a[8:11], v[10:11], v[6:7], 0
	v_or_b32_e32 v6, 64, v14
	v_lshlrev_b32_e32 v31, 1, v6
	s_add_i32 s2, s35, -1
	s_waitcnt lgkmcnt(0)
	v_mfma_f32_16x16x16_bf16 a[0:3], v[20:21], v[2:3], a[0:3]
	v_or_b32_e32 v2, 0x80, v14
	v_lshlrev_b32_e32 v32, 1, v2
	v_or_b32_e32 v2, 0xc0, v14
	v_mfma_f32_16x16x16_bf16 a[12:15], v[10:11], v[8:9], 0
	ds_read2st64_b64 v[6:9], v31 offset0:36 offset1:40
	v_lshlrev_b32_e32 v33, 1, v2
	ds_read2st64_b64 v[10:13], v32 offset0:36 offset1:40
	ds_read2st64_b64 v[14:17], v33 offset0:36 offset1:40
	s_add_i32 s17, s0, s44
	s_mul_i32 s0, s33, s19
	s_mul_hi_u32 s1, s33, s18
	s_add_i32 s0, s1, s0
	s_mul_i32 s1, s12, s18
	s_ashr_i32 s3, s2, 31
	s_mul_i32 s12, s2, s29
	s_mul_hi_u32 s13, s2, s28
	s_waitcnt lgkmcnt(2)
	v_mfma_f32_16x16x16_bf16 a[4:7], v[20:21], v[6:7], a[4:7]
	s_add_i32 s12, s13, s12
	s_mul_i32 s3, s3, s28
	s_add_i32 s1, s0, s1
	s_waitcnt lgkmcnt(1)
	v_mfma_f32_16x16x16_bf16 a[8:11], v[20:21], v[10:11], a[8:11]
	s_add_i32 s3, s12, s3
	s_lshl_b64 s[12:13], s[16:17], 2
	s_mul_i32 s0, s33, s18
	s_waitcnt lgkmcnt(0)
	v_mfma_f32_16x16x16_bf16 a[12:15], v[20:21], v[14:15], a[12:15]
	s_add_u32 s10, s10, s12
	s_addc_u32 s11, s11, s13
	s_lshl_b64 s[0:1], s[0:1], 2
	v_mfma_f32_16x16x16_bf16 a[0:3], v[34:35], v[4:5], a[0:3]
	s_mul_i32 s2, s2, s28
	ds_read_b64 v[2:3], v26 offset:22528
	s_add_u32 s10, s10, s0
	v_mfma_f32_16x16x16_bf16 a[4:7], v[34:35], v[8:9], a[4:7]
	ds_read_b64 v[4:5], v31 offset:22528
	ds_read_b64 v[6:7], v32 offset:22528
	;; [unrolled: 1-line block ×3, first 2 shown]
	s_addc_u32 s11, s11, s1
	s_lshl_b64 s[0:1], s[2:3], 2
	v_mfma_f32_16x16x16_bf16 a[8:11], v[34:35], v[12:13], a[8:11]
	s_add_u32 s0, s10, s0
	s_addc_u32 s1, s11, s1
	s_load_dword s12, s[0:1], 0x0
	v_mfma_f32_16x16x16_bf16 a[12:15], v[34:35], v[16:17], a[12:15]
	s_and_b64 vcc, exec, s[26:27]
	s_waitcnt lgkmcnt(0)
	v_mfma_f32_16x16x16_bf16 a[0:3], v[36:37], v[2:3], a[0:3]
	v_mfma_f32_16x16x16_bf16 a[4:7], v[36:37], v[4:5], a[4:7]
	;; [unrolled: 1-line block ×4, first 2 shown]
	s_cbranch_vccz .LBB24_42
; %bb.32:
	v_lshlrev_b32_e32 v20, 1, v25
	s_and_b64 vcc, exec, s[6:7]
	s_cbranch_vccz .LBB24_43
; %bb.33:
	v_cmp_gt_i32_e32 vcc, s40, v20
	v_mov_b32_e32 v6, 0
	v_mov_b32_e32 v2, 0
	;; [unrolled: 1-line block ×5, first 2 shown]
	s_and_saveexec_b64 s[0:1], vcc
	s_cbranch_execz .LBB24_35
; %bb.34:
	v_mad_i64_i32 v[2:3], s[2:3], s15, v20, 0
	v_lshl_add_u64 v[2:3], v[2:3], 1, s[4:5]
	v_lshlrev_b32_e32 v4, 1, v18
	v_mov_b32_e32 v5, 0
	v_lshl_add_u64 v[2:3], v[2:3], 0, v[4:5]
	global_load_dwordx4 v[2:5], v[2:3], off
.LBB24_35:
	s_or_b64 exec, exec, s[0:1]
	v_or_b32_e32 v21, 1, v20
	v_cmp_gt_i32_e64 s[0:1], s40, v21
	v_mov_b32_e32 v7, 0
	v_mov_b32_e32 v8, 0
	;; [unrolled: 1-line block ×3, first 2 shown]
	s_and_saveexec_b64 s[2:3], s[0:1]
	s_cbranch_execz .LBB24_37
; %bb.36:
	v_mad_i64_i32 v[6:7], s[16:17], s15, v21, 0
	v_lshl_add_u64 v[6:7], v[6:7], 1, s[4:5]
	v_lshlrev_b32_e32 v8, 1, v18
	v_mov_b32_e32 v9, 0
	v_lshl_add_u64 v[6:7], v[6:7], 0, v[8:9]
	global_load_dwordx4 v[6:9], v[6:7], off
.LBB24_37:
	s_or_b64 exec, exec, s[2:3]
	v_mov_b32_e32 v17, 0
	v_mov_b32_e32 v10, 0
	;; [unrolled: 1-line block ×5, first 2 shown]
	s_and_saveexec_b64 s[2:3], vcc
	s_cbranch_execz .LBB24_39
; %bb.38:
	v_mad_i64_i32 v[10:11], s[16:17], s15, v20, 0
	v_lshl_add_u64 v[10:11], v[10:11], 1, s[4:5]
	v_lshlrev_b32_e32 v12, 1, v18
	v_mov_b32_e32 v13, 0
	v_lshl_add_u64 v[10:11], v[10:11], 0, v[12:13]
	global_load_dwordx4 v[10:13], v[10:11], off offset:128
.LBB24_39:
	s_or_b64 exec, exec, s[2:3]
	v_mov_b32_e32 v16, 0
	v_mov_b32_e32 v15, 0
	;; [unrolled: 1-line block ×3, first 2 shown]
	s_and_saveexec_b64 s[2:3], s[0:1]
	s_cbranch_execz .LBB24_41
; %bb.40:
	v_mad_i64_i32 v[14:15], s[0:1], s15, v21, 0
	v_lshl_add_u64 v[14:15], v[14:15], 1, s[4:5]
	v_lshlrev_b32_e32 v16, 1, v18
	v_mov_b32_e32 v17, 0
	v_lshl_add_u64 v[14:15], v[14:15], 0, v[16:17]
	global_load_dwordx4 v[14:17], v[14:15], off offset:128
.LBB24_41:
	s_or_b64 exec, exec, s[2:3]
	s_branch .LBB24_45
.LBB24_42:
                                        ; implicit-def: $vgpr5
                                        ; implicit-def: $vgpr9
                                        ; implicit-def: $vgpr13
                                        ; implicit-def: $vgpr17
	v_lshrrev_b32_e32 v34, 2, v84
	s_branch .LBB24_46
.LBB24_43:
                                        ; implicit-def: $vgpr5
                                        ; implicit-def: $vgpr9
                                        ; implicit-def: $vgpr13
                                        ; implicit-def: $vgpr17
	s_cbranch_execz .LBB24_45
; %bb.44:
	s_waitcnt vmcnt(0)
	v_mad_u64_u32 v[2:3], s[0:1], v20, s15, v[18:19]
	v_lshlrev_b32_e32 v20, 1, v2
	s_lshl_b32 s2, s15, 7
	s_and_b32 s1, s5, 0xffff
	s_mov_b32 s3, 0x20000
	s_mov_b32 s0, s4
	v_add_lshl_u32 v21, v2, s15, 1
	s_movk_i32 s13, 0x80
	buffer_load_dwordx4 v[2:5], v20, s[0:3], 0 offen
	buffer_load_dwordx4 v[10:13], v20, s[0:3], s13 offen
	;; [unrolled: 1-line block ×4, first 2 shown]
.LBB24_45:
	v_lshrrev_b32_e32 v34, 2, v84
	s_cbranch_execnz .LBB24_58
.LBB24_46:
	s_and_b64 vcc, exec, s[6:7]
	s_cbranch_vccz .LBB24_56
; %bb.47:
	s_waitcnt vmcnt(0)
	v_lshlrev_b32_e32 v7, 1, v25
	v_cmp_gt_i32_e32 vcc, s40, v7
	v_mov_b32_e32 v6, 0
	v_lshlrev_b32_e32 v14, 9, v25
	v_mov_b32_e32 v2, 0
	v_mov_b32_e32 v3, 0
	;; [unrolled: 1-line block ×4, first 2 shown]
	s_and_saveexec_b64 s[0:1], vcc
	s_cbranch_execz .LBB24_49
; %bb.48:
	v_mov_b32_e32 v15, 0
	v_lshl_add_u64 v[2:3], s[4:5], 0, v[14:15]
	v_lshlrev_b32_e32 v4, 1, v18
	v_mov_b32_e32 v5, v15
	v_lshl_add_u64 v[2:3], v[2:3], 0, v[4:5]
	global_load_dwordx4 v[2:5], v[2:3], off
.LBB24_49:
	s_or_b64 exec, exec, s[0:1]
	v_or_b32_e32 v7, 1, v7
	v_cmp_gt_i32_e64 s[0:1], s40, v7
	v_lshlrev_b32_e32 v20, 8, v7
	v_mov_b32_e32 v7, 0
	v_mov_b32_e32 v8, 0
	;; [unrolled: 1-line block ×3, first 2 shown]
	s_and_saveexec_b64 s[2:3], s[0:1]
	s_cbranch_execz .LBB24_51
; %bb.50:
	v_mov_b32_e32 v21, 0
	v_lshl_add_u64 v[6:7], s[4:5], 0, v[20:21]
	v_lshlrev_b32_e32 v8, 1, v18
	v_mov_b32_e32 v9, v21
	v_lshl_add_u64 v[6:7], v[6:7], 0, v[8:9]
	global_load_dwordx4 v[6:9], v[6:7], off
.LBB24_51:
	s_or_b64 exec, exec, s[2:3]
	v_mov_b32_e32 v17, 0
	v_mov_b32_e32 v10, 0
	;; [unrolled: 1-line block ×5, first 2 shown]
	s_and_saveexec_b64 s[2:3], vcc
	s_cbranch_execz .LBB24_53
; %bb.52:
	v_mov_b32_e32 v15, 0
	v_lshl_add_u64 v[10:11], s[4:5], 0, v[14:15]
	v_lshlrev_b32_e32 v14, 1, v18
	v_lshl_add_u64 v[10:11], v[10:11], 0, v[14:15]
	global_load_dwordx4 v[10:13], v[10:11], off offset:128
.LBB24_53:
	s_or_b64 exec, exec, s[2:3]
	v_mov_b32_e32 v16, 0
	v_mov_b32_e32 v15, 0
	;; [unrolled: 1-line block ×3, first 2 shown]
	s_and_saveexec_b64 s[2:3], s[0:1]
	s_cbranch_execz .LBB24_55
; %bb.54:
	v_mov_b32_e32 v21, 0
	v_lshl_add_u64 v[14:15], s[4:5], 0, v[20:21]
	v_lshlrev_b32_e32 v20, 1, v18
	v_lshl_add_u64 v[14:15], v[14:15], 0, v[20:21]
	global_load_dwordx4 v[14:17], v[14:15], off offset:128
.LBB24_55:
	s_or_b64 exec, exec, s[2:3]
	s_branch .LBB24_58
.LBB24_56:
                                        ; implicit-def: $vgpr5
                                        ; implicit-def: $vgpr9
                                        ; implicit-def: $vgpr13
                                        ; implicit-def: $vgpr17
	s_cbranch_execz .LBB24_58
; %bb.57:
	s_waitcnt vmcnt(0)
	v_lshlrev_b32_e32 v2, 1, v18
	v_lshl_or_b32 v18, v25, 9, v2
	s_and_b32 s5, s5, 0xffff
	s_mov_b32 s7, 0x20000
	s_movk_i32 s6, 0x4000
	s_movk_i32 s0, 0x80
	buffer_load_dwordx4 v[2:5], v18, s[4:7], 0 offen
	buffer_load_dwordx4 v[6:9], v18, s[4:7], 0 offen offset:256
	buffer_load_dwordx4 v[10:13], v18, s[4:7], s0 offen
	buffer_load_dwordx4 v[14:17], v18, s[4:7], s0 offen offset:256
.LBB24_58:
	ds_read_b64 v[20:21], v27 offset:57344
	v_add_u32_e32 v18, 0x6000, v26
	ds_read2_b64 v[36:39], v18 offset1:16
	ds_read_b64 v[54:55], v28 offset:57344
	ds_read_b64 v[28:29], v29 offset:57344
	;; [unrolled: 1-line block ×3, first 2 shown]
	ds_read2st64_b64 v[40:43], v26 offset0:52 offset1:56
	s_mov_b32 s0, 0x1000504
	s_mov_b32 s1, 0x3020706
	s_waitcnt lgkmcnt(4)
	v_mfma_f32_16x16x16_bf16 a[0:3], v[20:21], v[36:37], a[0:3]
	v_mfma_f32_16x16x16_bf16 a[4:7], v[20:21], v[38:39], a[4:7]
	ds_read2_b64 v[36:39], v18 offset0:32 offset1:48
	v_and_b32_e32 v18, 6, v0
	v_xor_b32_e32 v25, v25, v18
	s_waitcnt lgkmcnt(0)
	v_mfma_f32_16x16x16_bf16 a[8:11], v[20:21], v[36:37], a[8:11]
	v_lshlrev_b32_e32 v25, 2, v25
	v_and_b32_e32 v0, 1, v0
	v_xor_b32_e32 v35, 0x440, v25
	v_mfma_f32_16x16x16_bf16 a[12:15], v[20:21], v[38:39], a[12:15]
	ds_read2st64_b64 v[36:39], v31 offset0:52 offset1:56
	ds_read2st64_b64 v[46:49], v32 offset0:52 offset1:56
	;; [unrolled: 1-line block ×3, first 2 shown]
	v_cmp_eq_u32_e32 vcc, 0, v0
	ds_read_b64 v[20:21], v26 offset:30720
	ds_read_b64 v[26:27], v31 offset:30720
	;; [unrolled: 1-line block ×4, first 2 shown]
	v_mfma_f32_16x16x16_bf16 a[0:3], v[54:55], v[40:41], a[0:3]
	v_cndmask_b32_e32 v0, v35, v25, vcc
	v_lshl_or_b32 v0, v18, 10, v0
	s_waitcnt vmcnt(0)
	v_perm_b32 v18, v2, v6, s0
	s_waitcnt lgkmcnt(6)
	v_mfma_f32_16x16x16_bf16 a[4:7], v[54:55], v[36:37], a[4:7]
	v_perm_b32 v25, v10, v14, s0
	ds_write2st64_b32 v0, v18, v25 offset0:128 offset1:160
	v_xor_b32_e32 v18, 8, v0
	s_waitcnt lgkmcnt(6)
	v_mfma_f32_16x16x16_bf16 a[8:11], v[54:55], v[46:47], a[8:11]
	v_perm_b32 v2, v2, v6, s1
	v_perm_b32 v6, v10, v14, s1
	v_add_u32_e32 v10, 0x80, v18
	s_waitcnt lgkmcnt(5)
	v_mfma_f32_16x16x16_bf16 a[12:15], v[54:55], v[50:51], a[12:15]
	ds_write2st64_b32 v10, v2, v6 offset0:128 offset1:160
	v_xor_b32_e32 v2, 16, v0
	v_perm_b32 v6, v3, v7, s0
	v_mfma_f32_16x16x16_bf16 a[0:3], v[28:29], v[42:43], a[0:3]
	v_perm_b32 v10, v11, v15, s0
	ds_write2st64_b32 v2, v6, v10 offset0:129 offset1:161
	v_xor_b32_e32 v2, 24, v0
	v_mfma_f32_16x16x16_bf16 a[4:7], v[28:29], v[38:39], a[4:7]
	v_perm_b32 v3, v3, v7, s1
	v_perm_b32 v6, v11, v15, s1
	v_add_u32_e32 v2, 0x80, v2
	v_mfma_f32_16x16x16_bf16 a[16:19], v[28:29], v[48:49], a[8:11]
	ds_write2st64_b32 v2, v3, v6 offset0:129 offset1:161
	v_xor_b32_e32 v2, 32, v0
	v_perm_b32 v3, v4, v8, s0
	v_mfma_f32_16x16x16_bf16 a[20:23], v[28:29], v[52:53], a[12:15]
	v_perm_b32 v6, v12, v16, s0
	ds_write2st64_b32 v2, v3, v6 offset0:130 offset1:162
	v_xor_b32_e32 v2, 40, v0
	s_waitcnt lgkmcnt(8)
	v_mfma_f32_16x16x16_bf16 a[12:15], v[56:57], v[20:21], a[0:3]
	v_perm_b32 v3, v4, v8, s1
	v_perm_b32 v4, v12, v16, s1
	v_add_u32_e32 v2, 0x80, v2
	s_waitcnt lgkmcnt(7)
	v_mfma_f32_16x16x16_bf16 a[8:11], v[56:57], v[26:27], a[4:7]
	ds_write2st64_b32 v2, v3, v4 offset0:130 offset1:162
	v_xor_b32_e32 v2, 48, v0
	v_perm_b32 v3, v5, v9, s0
	s_waitcnt lgkmcnt(7)
	v_mfma_f32_16x16x16_bf16 a[4:7], v[56:57], v[30:31], a[16:19]
	v_perm_b32 v4, v13, v17, s0
	v_xor_b32_e32 v0, 56, v0
	v_and_or_b32 v18, v34, 12, v1
	s_waitcnt lgkmcnt(6)
	v_mfma_f32_16x16x16_bf16 a[0:3], v[56:57], v[32:33], a[20:23]
	ds_write2st64_b32 v2, v3, v4 offset0:131 offset1:163
	v_perm_b32 v2, v5, v9, s1
	v_perm_b32 v3, v13, v17, s1
	v_add_u32_e32 v0, 0x80, v0
	v_cmp_gt_i32_e32 vcc, s40, v18
	v_mov_b32_e32 v14, 0
	v_mov_b32_e32 v16, 0
	ds_write2st64_b32 v0, v2, v3 offset0:131 offset1:163
	s_and_saveexec_b64 s[0:1], vcc
	s_cbranch_execz .LBB24_60
; %bb.59:
	v_add_u32_e32 v0, s34, v18
	v_ashrrev_i32_e32 v1, 31, v0
	v_mul_lo_u32 v2, v1, s28
	v_mul_lo_u32 v3, v0, s29
	v_mad_u64_u32 v[0:1], s[2:3], v0, s28, 0
	v_add3_u32 v1, v1, v3, v2
	v_lshl_add_u64 v[0:1], v[0:1], 2, s[10:11]
	global_load_dword v0, v[0:1], off
	s_waitcnt vmcnt(0)
	v_sub_f32_e32 v0, s12, v0
	v_exp_f32_e32 v16, v0
.LBB24_60:
	s_or_b64 exec, exec, s[0:1]
	v_or_b32_e32 v8, 1, v18
	v_cmp_gt_i32_e64 s[0:1], s40, v8
	s_and_saveexec_b64 s[2:3], s[0:1]
	s_cbranch_execz .LBB24_62
; %bb.61:
	v_add_u32_e32 v0, s34, v8
	v_ashrrev_i32_e32 v1, 31, v0
	v_mul_lo_u32 v2, v1, s28
	v_mul_lo_u32 v3, v0, s29
	v_mad_u64_u32 v[0:1], s[4:5], v0, s28, 0
	v_add3_u32 v1, v1, v3, v2
	v_lshl_add_u64 v[0:1], v[0:1], 2, s[10:11]
	global_load_dword v0, v[0:1], off
	s_waitcnt vmcnt(0)
	v_sub_f32_e32 v0, s12, v0
	v_exp_f32_e32 v14, v0
.LBB24_62:
	s_or_b64 exec, exec, s[2:3]
	v_or_b32_e32 v10, 2, v18
	v_cmp_gt_i32_e64 s[2:3], s40, v10
	v_mov_b32_e32 v15, 0
	v_mov_b32_e32 v17, 0
	s_and_saveexec_b64 s[4:5], s[2:3]
	s_cbranch_execz .LBB24_64
; %bb.63:
	v_add_u32_e32 v0, s34, v10
	v_ashrrev_i32_e32 v1, 31, v0
	v_mul_lo_u32 v2, v1, s28
	v_mul_lo_u32 v3, v0, s29
	v_mad_u64_u32 v[0:1], s[6:7], v0, s28, 0
	v_add3_u32 v1, v1, v3, v2
	v_lshl_add_u64 v[0:1], v[0:1], 2, s[10:11]
	global_load_dword v0, v[0:1], off
	s_waitcnt vmcnt(0)
	v_sub_f32_e32 v0, s12, v0
	v_exp_f32_e32 v17, v0
.LBB24_64:
	s_or_b64 exec, exec, s[4:5]
	v_or_b32_e32 v12, 3, v18
	v_cmp_gt_i32_e64 s[4:5], s40, v12
	s_and_saveexec_b64 s[6:7], s[4:5]
	s_cbranch_execz .LBB24_66
; %bb.65:
	v_add_u32_e32 v0, s34, v12
	v_ashrrev_i32_e32 v1, 31, v0
	v_mul_lo_u32 v2, v1, s28
	v_mul_lo_u32 v3, v0, s29
	v_mad_u64_u32 v[0:1], s[14:15], v0, s28, 0
	v_add3_u32 v1, v1, v3, v2
	v_lshl_add_u64 v[0:1], v[0:1], 2, s[10:11]
	global_load_dword v0, v[0:1], off
	s_waitcnt vmcnt(0)
	v_sub_f32_e32 v0, s12, v0
	v_exp_f32_e32 v15, v0
.LBB24_66:
	s_or_b64 exec, exec, s[6:7]
	v_or_b32_e32 v4, s30, v45
	s_add_u32 s6, s8, s24
	v_accvgpr_read_b32 v0, a12
	s_addc_u32 s7, s9, s25
	v_ashrrev_i32_e32 v5, 31, v4
	v_accvgpr_read_b32 v1, a13
	v_accvgpr_read_b32 v2, a14
	;; [unrolled: 1-line block ×3, first 2 shown]
	v_lshl_add_u64 v[4:5], v[4:5], 1, s[6:7]
	v_mov_b32_e32 v9, 0
	v_lshlrev_b32_e32 v6, 8, v18
	v_mov_b32_e32 v7, 0
	s_and_saveexec_b64 s[6:7], vcc
	s_cbranch_execz .LBB24_68
; %bb.67:
	v_mov_b32_e32 v7, 0
	v_lshl_add_u64 v[20:21], v[4:5], 0, v[6:7]
	global_load_ushort v7, v[20:21], off
	s_waitcnt vmcnt(0)
	v_lshlrev_b32_e32 v7, 16, v7
	v_sub_f32_e32 v0, v7, v0
	v_mul_f32_e32 v0, v16, v0
	v_lshrrev_b32_e32 v7, 16, v0
.LBB24_68:
	s_or_b64 exec, exec, s[6:7]
	v_lshlrev_b32_e32 v8, 8, v8
	s_and_saveexec_b64 s[6:7], s[0:1]
	s_cbranch_execz .LBB24_70
; %bb.69:
	v_mov_b32_e32 v9, 0
	v_lshl_add_u64 v[20:21], v[4:5], 0, v[8:9]
	global_load_ushort v0, v[20:21], off
	s_waitcnt vmcnt(0)
	v_lshlrev_b32_e32 v0, 16, v0
	v_sub_f32_e32 v0, v0, v1
	v_mul_f32_e32 v0, v14, v0
	v_lshrrev_b32_e32 v9, 16, v0
.LBB24_70:
	s_or_b64 exec, exec, s[6:7]
	v_mov_b32_e32 v13, 0
	v_lshlrev_b32_e32 v10, 8, v10
	v_mov_b32_e32 v11, 0
	s_and_saveexec_b64 s[6:7], s[2:3]
	s_cbranch_execz .LBB24_72
; %bb.71:
	v_mov_b32_e32 v11, 0
	v_lshl_add_u64 v[0:1], v[4:5], 0, v[10:11]
	global_load_ushort v0, v[0:1], off
	s_waitcnt vmcnt(0)
	v_lshlrev_b32_e32 v0, 16, v0
	v_sub_f32_e32 v0, v0, v2
	v_mul_f32_e32 v0, v17, v0
	v_lshrrev_b32_e32 v11, 16, v0
.LBB24_72:
	s_or_b64 exec, exec, s[6:7]
	v_lshlrev_b32_e32 v12, 8, v12
	s_and_saveexec_b64 s[6:7], s[4:5]
	s_cbranch_execz .LBB24_74
; %bb.73:
	v_mov_b32_e32 v13, 0
	v_lshl_add_u64 v[0:1], v[4:5], 0, v[12:13]
	global_load_ushort v0, v[0:1], off
	s_waitcnt vmcnt(0)
	v_lshlrev_b32_e32 v0, 16, v0
	v_sub_f32_e32 v0, v0, v3
	v_mul_f32_e32 v0, v15, v0
	v_lshrrev_b32_e32 v13, 16, v0
.LBB24_74:
	s_or_b64 exec, exec, s[6:7]
	v_lshlrev_b32_e32 v18, 6, v18
	s_mov_b32 s6, 0x5040100
	v_perm_b32 v20, v9, v7, s6
	v_or_b32_e32 v7, v18, v24
	v_accvgpr_read_b32 v0, a8
	v_perm_b32 v21, v13, v11, s6
	v_lshlrev_b32_e32 v7, 1, v7
	v_accvgpr_read_b32 v1, a9
	v_accvgpr_read_b32 v2, a10
	;; [unrolled: 1-line block ×3, first 2 shown]
	ds_write_b64 v7, v[20:21] offset:24576
	v_mov_b32_e32 v9, 0
	v_mov_b32_e32 v7, 0
	s_and_saveexec_b64 s[6:7], vcc
	s_cbranch_execz .LBB24_76
; %bb.75:
	v_mov_b32_e32 v7, 0
	v_lshl_add_u64 v[20:21], v[4:5], 0, v[6:7]
	global_load_ushort v7, v[20:21], off offset:32
	s_waitcnt vmcnt(0)
	v_lshlrev_b32_e32 v7, 16, v7
	v_sub_f32_e32 v0, v7, v0
	v_mul_f32_e32 v0, v16, v0
	v_lshrrev_b32_e32 v7, 16, v0
.LBB24_76:
	s_or_b64 exec, exec, s[6:7]
	s_and_saveexec_b64 s[6:7], s[0:1]
	s_cbranch_execz .LBB24_78
; %bb.77:
	v_mov_b32_e32 v9, 0
	v_lshl_add_u64 v[20:21], v[4:5], 0, v[8:9]
	global_load_ushort v0, v[20:21], off offset:32
	s_waitcnt vmcnt(0)
	v_lshlrev_b32_e32 v0, 16, v0
	v_sub_f32_e32 v0, v0, v1
	v_mul_f32_e32 v0, v14, v0
	v_lshrrev_b32_e32 v9, 16, v0
.LBB24_78:
	s_or_b64 exec, exec, s[6:7]
	v_mov_b32_e32 v13, 0
	v_mov_b32_e32 v11, 0
	s_and_saveexec_b64 s[6:7], s[2:3]
	s_cbranch_execz .LBB24_80
; %bb.79:
	v_mov_b32_e32 v11, 0
	v_lshl_add_u64 v[0:1], v[4:5], 0, v[10:11]
	global_load_ushort v0, v[0:1], off offset:32
	s_waitcnt vmcnt(0)
	v_lshlrev_b32_e32 v0, 16, v0
	v_sub_f32_e32 v0, v0, v2
	v_mul_f32_e32 v0, v17, v0
	v_lshrrev_b32_e32 v11, 16, v0
.LBB24_80:
	s_or_b64 exec, exec, s[6:7]
	s_and_saveexec_b64 s[6:7], s[4:5]
	s_cbranch_execz .LBB24_82
; %bb.81:
	v_mov_b32_e32 v13, 0
	v_lshl_add_u64 v[0:1], v[4:5], 0, v[12:13]
	global_load_ushort v0, v[0:1], off offset:32
	s_waitcnt vmcnt(0)
	v_lshlrev_b32_e32 v0, 16, v0
	v_sub_f32_e32 v0, v0, v3
	v_mul_f32_e32 v0, v15, v0
	v_lshrrev_b32_e32 v13, 16, v0
.LBB24_82:
	s_or_b64 exec, exec, s[6:7]
	s_mov_b32 s6, 0x5040100
	v_perm_b32 v20, v9, v7, s6
	v_or_b32_e32 v7, v18, v23
	v_accvgpr_read_b32 v0, a4
	v_perm_b32 v21, v13, v11, s6
	v_lshlrev_b32_e32 v7, 1, v7
	v_accvgpr_read_b32 v1, a5
	v_accvgpr_read_b32 v2, a6
	;; [unrolled: 1-line block ×3, first 2 shown]
	ds_write_b64 v7, v[20:21] offset:24576
	v_mov_b32_e32 v9, 0
	v_mov_b32_e32 v7, 0
	s_and_saveexec_b64 s[6:7], vcc
	s_cbranch_execz .LBB24_84
; %bb.83:
	v_mov_b32_e32 v7, 0
	v_lshl_add_u64 v[20:21], v[4:5], 0, v[6:7]
	global_load_ushort v7, v[20:21], off offset:64
	s_waitcnt vmcnt(0)
	v_lshlrev_b32_e32 v7, 16, v7
	v_sub_f32_e32 v0, v7, v0
	v_mul_f32_e32 v0, v16, v0
	v_lshrrev_b32_e32 v7, 16, v0
.LBB24_84:
	s_or_b64 exec, exec, s[6:7]
	s_and_saveexec_b64 s[6:7], s[0:1]
	s_cbranch_execz .LBB24_86
; %bb.85:
	v_mov_b32_e32 v9, 0
	v_lshl_add_u64 v[20:21], v[4:5], 0, v[8:9]
	global_load_ushort v0, v[20:21], off offset:64
	s_waitcnt vmcnt(0)
	v_lshlrev_b32_e32 v0, 16, v0
	v_sub_f32_e32 v0, v0, v1
	v_mul_f32_e32 v0, v14, v0
	v_lshrrev_b32_e32 v9, 16, v0
.LBB24_86:
	s_or_b64 exec, exec, s[6:7]
	v_mov_b32_e32 v13, 0
	v_mov_b32_e32 v11, 0
	s_and_saveexec_b64 s[6:7], s[2:3]
	s_cbranch_execz .LBB24_88
; %bb.87:
	v_mov_b32_e32 v11, 0
	v_lshl_add_u64 v[0:1], v[4:5], 0, v[10:11]
	global_load_ushort v0, v[0:1], off offset:64
	s_waitcnt vmcnt(0)
	v_lshlrev_b32_e32 v0, 16, v0
	v_sub_f32_e32 v0, v0, v2
	v_mul_f32_e32 v0, v17, v0
	v_lshrrev_b32_e32 v11, 16, v0
.LBB24_88:
	s_or_b64 exec, exec, s[6:7]
	s_and_saveexec_b64 s[6:7], s[4:5]
	s_cbranch_execz .LBB24_90
; %bb.89:
	v_mov_b32_e32 v13, 0
	v_lshl_add_u64 v[0:1], v[4:5], 0, v[12:13]
	global_load_ushort v0, v[0:1], off offset:64
	s_waitcnt vmcnt(0)
	v_lshlrev_b32_e32 v0, 16, v0
	v_sub_f32_e32 v0, v0, v3
	v_mul_f32_e32 v0, v15, v0
	v_lshrrev_b32_e32 v13, 16, v0
.LBB24_90:
	s_or_b64 exec, exec, s[6:7]
	s_mov_b32 s6, 0x5040100
	v_perm_b32 v20, v9, v7, s6
	v_or_b32_e32 v7, v18, v22
	v_accvgpr_read_b32 v0, a0
	v_perm_b32 v21, v13, v11, s6
	v_lshlrev_b32_e32 v7, 1, v7
	v_accvgpr_read_b32 v1, a1
	v_accvgpr_read_b32 v2, a2
	;; [unrolled: 1-line block ×3, first 2 shown]
	ds_write_b64 v7, v[20:21] offset:24576
	v_mov_b32_e32 v9, 0
	v_mov_b32_e32 v7, 0
	s_and_saveexec_b64 s[6:7], vcc
	s_cbranch_execz .LBB24_92
; %bb.91:
	v_mov_b32_e32 v7, 0
	v_lshl_add_u64 v[6:7], v[4:5], 0, v[6:7]
	global_load_ushort v6, v[6:7], off offset:96
	s_waitcnt vmcnt(0)
	v_lshlrev_b32_e32 v6, 16, v6
	v_sub_f32_e32 v0, v6, v0
	v_mul_f32_e32 v0, v16, v0
	v_lshrrev_b32_e32 v7, 16, v0
.LBB24_92:
	s_or_b64 exec, exec, s[6:7]
	s_and_saveexec_b64 s[6:7], s[0:1]
	s_cbranch_execz .LBB24_94
; %bb.93:
	v_mov_b32_e32 v9, 0
	v_lshl_add_u64 v[8:9], v[4:5], 0, v[8:9]
	global_load_ushort v0, v[8:9], off offset:96
	s_waitcnt vmcnt(0)
	v_lshlrev_b32_e32 v0, 16, v0
	v_sub_f32_e32 v0, v0, v1
	v_mul_f32_e32 v0, v14, v0
	v_lshrrev_b32_e32 v9, 16, v0
.LBB24_94:
	s_or_b64 exec, exec, s[6:7]
	v_mov_b32_e32 v0, 0
	v_mov_b32_e32 v1, 0
	s_and_saveexec_b64 s[0:1], s[2:3]
	s_cbranch_execz .LBB24_96
; %bb.95:
	v_mov_b32_e32 v11, 0
	v_lshl_add_u64 v[10:11], v[4:5], 0, v[10:11]
	global_load_ushort v1, v[10:11], off offset:96
	s_waitcnt vmcnt(0)
	v_lshlrev_b32_e32 v1, 16, v1
	v_sub_f32_e32 v1, v1, v2
	v_mul_f32_e32 v1, v17, v1
	v_lshrrev_b32_e32 v1, 16, v1
.LBB24_96:
	s_or_b64 exec, exec, s[0:1]
	s_and_saveexec_b64 s[0:1], s[4:5]
	s_cbranch_execz .LBB24_98
; %bb.97:
	v_mov_b32_e32 v13, 0
	v_lshl_add_u64 v[4:5], v[4:5], 0, v[12:13]
	global_load_ushort v0, v[4:5], off offset:96
	s_waitcnt vmcnt(0)
	v_lshlrev_b32_e32 v0, 16, v0
	v_sub_f32_e32 v0, v0, v3
	v_mul_f32_e32 v0, v15, v0
	v_lshrrev_b32_e32 v0, 16, v0
.LBB24_98:
	s_or_b64 exec, exec, s[0:1]
	s_mov_b32 s0, 0x5040100
	v_or_b32_e32 v2, v18, v19
	v_perm_b32 v1, v0, v1, s0
	v_perm_b32 v0, v9, v7, s0
	v_lshlrev_b32_e32 v2, 1, v2
	ds_write_b64 v2, v[0:1] offset:24576
	s_waitcnt lgkmcnt(0)
	s_barrier
.LBB24_99:
	s_endpgm
	.section	.rodata,"a",@progbits
	.p2align	6, 0x0
	.amdhsa_kernel _ZN12_GLOBAL__N_139chunk_gated_delta_rule_fwd_h_hip_kernelILi64ELb0ELb0ELb0ELb1ELb1ELb1ELb0ELb1EEEvPK12hip_bfloat16S3_S3_PKfS5_PKvPS1_S8_PvPKiSB_iiiiilll
		.amdhsa_group_segment_fixed_size 65536
		.amdhsa_private_segment_fixed_size 0
		.amdhsa_kernarg_size 136
		.amdhsa_user_sgpr_count 2
		.amdhsa_user_sgpr_dispatch_ptr 0
		.amdhsa_user_sgpr_queue_ptr 0
		.amdhsa_user_sgpr_kernarg_segment_ptr 1
		.amdhsa_user_sgpr_dispatch_id 0
		.amdhsa_user_sgpr_kernarg_preload_length 0
		.amdhsa_user_sgpr_kernarg_preload_offset 0
		.amdhsa_user_sgpr_private_segment_size 0
		.amdhsa_uses_dynamic_stack 0
		.amdhsa_enable_private_segment 0
		.amdhsa_system_sgpr_workgroup_id_x 1
		.amdhsa_system_sgpr_workgroup_id_y 1
		.amdhsa_system_sgpr_workgroup_id_z 0
		.amdhsa_system_sgpr_workgroup_info 0
		.amdhsa_system_vgpr_workitem_id 0
		.amdhsa_next_free_vgpr 228
		.amdhsa_next_free_sgpr 62
		.amdhsa_accum_offset 188
		.amdhsa_reserve_vcc 1
		.amdhsa_float_round_mode_32 0
		.amdhsa_float_round_mode_16_64 0
		.amdhsa_float_denorm_mode_32 3
		.amdhsa_float_denorm_mode_16_64 3
		.amdhsa_dx10_clamp 1
		.amdhsa_ieee_mode 1
		.amdhsa_fp16_overflow 0
		.amdhsa_tg_split 0
		.amdhsa_exception_fp_ieee_invalid_op 0
		.amdhsa_exception_fp_denorm_src 0
		.amdhsa_exception_fp_ieee_div_zero 0
		.amdhsa_exception_fp_ieee_overflow 0
		.amdhsa_exception_fp_ieee_underflow 0
		.amdhsa_exception_fp_ieee_inexact 0
		.amdhsa_exception_int_div_zero 0
	.end_amdhsa_kernel
	.section	.text._ZN12_GLOBAL__N_139chunk_gated_delta_rule_fwd_h_hip_kernelILi64ELb0ELb0ELb0ELb1ELb1ELb1ELb0ELb1EEEvPK12hip_bfloat16S3_S3_PKfS5_PKvPS1_S8_PvPKiSB_iiiiilll,"axG",@progbits,_ZN12_GLOBAL__N_139chunk_gated_delta_rule_fwd_h_hip_kernelILi64ELb0ELb0ELb0ELb1ELb1ELb1ELb0ELb1EEEvPK12hip_bfloat16S3_S3_PKfS5_PKvPS1_S8_PvPKiSB_iiiiilll,comdat
.Lfunc_end24:
	.size	_ZN12_GLOBAL__N_139chunk_gated_delta_rule_fwd_h_hip_kernelILi64ELb0ELb0ELb0ELb1ELb1ELb1ELb0ELb1EEEvPK12hip_bfloat16S3_S3_PKfS5_PKvPS1_S8_PvPKiSB_iiiiilll, .Lfunc_end24-_ZN12_GLOBAL__N_139chunk_gated_delta_rule_fwd_h_hip_kernelILi64ELb0ELb0ELb0ELb1ELb1ELb1ELb0ELb1EEEvPK12hip_bfloat16S3_S3_PKfS5_PKvPS1_S8_PvPKiSB_iiiiilll
                                        ; -- End function
	.section	.AMDGPU.csdata,"",@progbits
; Kernel info:
; codeLenInByte = 10872
; NumSgprs: 68
; NumVgprs: 188
; NumAgprs: 40
; TotalNumVgprs: 228
; ScratchSize: 0
; MemoryBound: 0
; FloatMode: 240
; IeeeMode: 1
; LDSByteSize: 65536 bytes/workgroup (compile time only)
; SGPRBlocks: 8
; VGPRBlocks: 28
; NumSGPRsForWavesPerEU: 68
; NumVGPRsForWavesPerEU: 228
; AccumOffset: 188
; Occupancy: 1
; WaveLimiterHint : 1
; COMPUTE_PGM_RSRC2:SCRATCH_EN: 0
; COMPUTE_PGM_RSRC2:USER_SGPR: 2
; COMPUTE_PGM_RSRC2:TRAP_HANDLER: 0
; COMPUTE_PGM_RSRC2:TGID_X_EN: 1
; COMPUTE_PGM_RSRC2:TGID_Y_EN: 1
; COMPUTE_PGM_RSRC2:TGID_Z_EN: 0
; COMPUTE_PGM_RSRC2:TIDIG_COMP_CNT: 0
; COMPUTE_PGM_RSRC3_GFX90A:ACCUM_OFFSET: 46
; COMPUTE_PGM_RSRC3_GFX90A:TG_SPLIT: 0
	.section	.text._ZN12_GLOBAL__N_139chunk_gated_delta_rule_fwd_h_hip_kernelILi64ELb1ELb1ELb1ELb0ELb1ELb1ELb0ELb1EEEvPK12hip_bfloat16S3_S3_PKfS5_PKvPS1_S8_PvPKiSB_iiiiilll,"axG",@progbits,_ZN12_GLOBAL__N_139chunk_gated_delta_rule_fwd_h_hip_kernelILi64ELb1ELb1ELb1ELb0ELb1ELb1ELb0ELb1EEEvPK12hip_bfloat16S3_S3_PKfS5_PKvPS1_S8_PvPKiSB_iiiiilll,comdat
	.globl	_ZN12_GLOBAL__N_139chunk_gated_delta_rule_fwd_h_hip_kernelILi64ELb1ELb1ELb1ELb0ELb1ELb1ELb0ELb1EEEvPK12hip_bfloat16S3_S3_PKfS5_PKvPS1_S8_PvPKiSB_iiiiilll ; -- Begin function _ZN12_GLOBAL__N_139chunk_gated_delta_rule_fwd_h_hip_kernelILi64ELb1ELb1ELb1ELb0ELb1ELb1ELb0ELb1EEEvPK12hip_bfloat16S3_S3_PKfS5_PKvPS1_S8_PvPKiSB_iiiiilll
	.p2align	8
	.type	_ZN12_GLOBAL__N_139chunk_gated_delta_rule_fwd_h_hip_kernelILi64ELb1ELb1ELb1ELb0ELb1ELb1ELb0ELb1EEEvPK12hip_bfloat16S3_S3_PKfS5_PKvPS1_S8_PvPKiSB_iiiiilll,@function
_ZN12_GLOBAL__N_139chunk_gated_delta_rule_fwd_h_hip_kernelILi64ELb1ELb1ELb1ELb0ELb1ELb1ELb0ELb1EEEvPK12hip_bfloat16S3_S3_PKfS5_PKvPS1_S8_PvPKiSB_iiiiilll: ; @_ZN12_GLOBAL__N_139chunk_gated_delta_rule_fwd_h_hip_kernelILi64ELb1ELb1ELb1ELb0ELb1ELb1ELb0ELb1EEEvPK12hip_bfloat16S3_S3_PKfS5_PKvPS1_S8_PvPKiSB_iiiiilll
; %bb.0:
	s_load_dwordx4 s[24:27], s[0:1], 0x5c
	s_abs_i32 s6, s3
	s_ashr_i32 s5, s3, 31
	v_and_b32_e32 v99, 15, v0
	v_bfe_u32 v98, v0, 4, 2
	s_waitcnt lgkmcnt(0)
	s_abs_i32 s4, s25
	v_cvt_f32_u32_e32 v1, s4
	s_sub_i32 s8, 0, s4
	s_ashr_i32 s7, s25, 31
	s_xor_b32 s5, s5, s7
	v_rcp_iflag_f32_e32 v1, v1
	v_mov_b32_e32 v47, 0
	v_lshlrev_b32_e32 v100, 3, v0
	v_mul_f32_e32 v1, 0x4f7ffffe, v1
	v_cvt_u32_f32_e32 v1, v1
	s_nop 0
	v_readfirstlane_b32 s9, v1
	s_mul_i32 s8, s8, s9
	s_mul_hi_u32 s8, s9, s8
	s_add_i32 s9, s9, s8
	s_mul_hi_u32 s8, s6, s9
	s_mul_i32 s9, s8, s4
	s_sub_i32 s6, s6, s9
	s_add_i32 s10, s8, 1
	s_sub_i32 s9, s6, s4
	s_cmp_ge_u32 s6, s4
	s_cselect_b32 s8, s10, s8
	s_cselect_b32 s6, s9, s6
	s_add_i32 s9, s8, 1
	s_cmp_ge_u32 s6, s4
	s_cselect_b32 s6, s9, s8
	s_xor_b32 s6, s6, s5
	s_sub_i32 s58, s6, s5
	s_mul_i32 s6, s58, s25
	s_sub_i32 s33, s3, s6
	s_abs_i32 s3, s26
	v_cvt_f32_u32_e32 v1, s3
	s_add_i32 s8, s24, 63
	s_ashr_i32 s9, s8, 31
	s_lshr_b32 s5, s9, 26
	v_rcp_iflag_f32_e32 v1, v1
	s_ashr_i32 s57, s24, 31
	s_add_i32 s8, s8, s5
	s_lshr_b32 s5, s57, 26
	v_mul_f32_e32 v1, 0x4f7ffffe, v1
	v_cvt_u32_f32_e32 v1, v1
	s_add_i32 s5, s24, s5
	s_ashr_i32 s60, s26, 31
	s_ashr_i32 s28, s8, 6
	;; [unrolled: 1-line block ×3, first 2 shown]
	s_xor_b32 s5, s7, s60
	s_sub_i32 s7, 0, s3
	v_readfirstlane_b32 s8, v1
	s_mul_i32 s7, s7, s8
	s_mul_hi_u32 s7, s8, s7
	s_add_i32 s8, s8, s7
	s_mul_hi_u32 s7, s4, s8
	s_mul_i32 s8, s7, s3
	s_sub_i32 s4, s4, s8
	s_lshl_b32 s2, s2, 6
	s_add_i32 s8, s7, 1
	s_sub_i32 s9, s4, s3
	s_cmp_ge_u32 s4, s3
	s_cselect_b32 s7, s8, s7
	s_cselect_b32 s4, s9, s4
	s_add_i32 s8, s7, 1
	s_cmp_ge_u32 s4, s3
	s_cselect_b32 s3, s8, s7
	s_xor_b32 s3, s3, s5
	s_sub_i32 s3, s3, s5
	s_abs_i32 s4, s3
	v_cvt_f32_u32_e32 v1, s4
	s_sub_i32 s7, 0, s4
	s_abs_i32 s5, s33
	s_xor_b32 s3, s33, s3
	v_rcp_iflag_f32_e32 v2, v1
	s_ashr_i32 s3, s3, 31
	s_load_dwordx8 s[8:15], s[0:1], 0x20
	v_or_b32_e32 v88, s2, v99
	v_mul_f32_e32 v2, 0x4f7ffffe, v2
	v_cvt_u32_f32_e32 v2, v2
	v_lshrrev_b32_e32 v1, 6, v0
	v_lshlrev_b32_e32 v48, 7, v88
	v_lshlrev_b32_e32 v45, 4, v1
	v_readfirstlane_b32 s16, v2
	s_mul_i32 s7, s7, s16
	s_mul_hi_u32 s7, s16, s7
	s_add_i32 s16, s16, s7
	s_mul_hi_u32 s7, s5, s16
	s_mul_i32 s16, s7, s4
	s_sub_i32 s5, s5, s16
	s_add_i32 s16, s7, 1
	s_sub_i32 s17, s5, s4
	s_cmp_ge_u32 s5, s4
	s_cselect_b32 s7, s16, s7
	s_cselect_b32 s5, s17, s5
	s_add_i32 s16, s7, 1
	s_cmp_ge_u32 s5, s4
	s_cselect_b32 s4, s16, s7
	s_xor_b32 s4, s4, s3
	s_sub_i32 s61, s4, s3
	s_ashr_i32 s3, s58, 31
	s_ashr_i32 s50, s33, 31
	s_mul_hi_i32 s4, s58, s25
	s_add_u32 s42, s6, s33
	s_addc_u32 s43, s4, s50
	s_lshl_b64 s[34:35], s[42:43], 15
	s_waitcnt lgkmcnt(0)
	s_add_u32 s4, s10, s34
	v_or_b32_e32 v50, 0x800, v48
	v_lshl_or_b32 v102, v98, 2, v45
	s_addc_u32 s5, s11, s35
	v_ashrrev_i32_e32 v49, 31, v48
	v_ashrrev_i32_e32 v51, 31, v50
	v_lshl_add_u64 v[2:3], v[48:49], 1, s[4:5]
	v_lshlrev_b32_e32 v46, 1, v102
	v_lshl_add_u64 v[6:7], v[50:51], 1, s[4:5]
	v_or_b32_e32 v52, 0x1000, v48
	v_or_b32_e32 v54, 0x1800, v48
	v_lshl_add_u64 v[2:3], v[2:3], 0, v[46:47]
	v_lshl_add_u64 v[6:7], v[6:7], 0, v[46:47]
	v_ashrrev_i32_e32 v53, 31, v52
	v_ashrrev_i32_e32 v55, 31, v54
	global_load_dwordx2 v[4:5], v[2:3], off
	v_lshl_add_u64 v[14:15], v[54:55], 1, s[4:5]
	global_load_dwordx2 v[2:3], v[2:3], off offset:128
	s_nop 0
	global_load_dwordx2 v[8:9], v[6:7], off
	global_load_dwordx2 v[10:11], v[6:7], off offset:128
	v_lshl_add_u64 v[6:7], v[52:53], 1, s[4:5]
	v_lshl_add_u64 v[6:7], v[6:7], 0, v[46:47]
	;; [unrolled: 1-line block ×3, first 2 shown]
	global_load_dwordx2 v[12:13], v[6:7], off
	v_and_b32_e32 v47, 63, v0
	global_load_dwordx2 v[6:7], v[6:7], off offset:128
	s_nop 0
	global_load_dwordx2 v[16:17], v[14:15], off
	global_load_dwordx2 v[18:19], v[14:15], off offset:128
	s_load_dwordx2 s[10:11], s[0:1], 0x40
	s_load_dwordx8 s[16:23], s[0:1], 0x0
	s_load_dwordx2 s[36:37], s[0:1], 0x80
	s_load_dwordx4 s[4:7], s[0:1], 0x70
	v_or_b32_e32 v103, 64, v102
	s_mul_i32 s51, s58, s24
	s_mul_i32 s62, s58, s28
	s_cmp_lt_i32 s24, 64
	v_lshrrev_b32_e32 v101, 3, v47
	s_mul_i32 s63, s43, s24
	s_mul_hi_u32 s64, s42, s24
	s_mul_i32 s44, s42, s24
	s_waitcnt lgkmcnt(0)
	s_mul_i32 s43, s58, s5
	s_mul_hi_u32 s53, s58, s4
	s_mul_i32 s52, s3, s4
	s_mul_i32 s40, s58, s4
	;; [unrolled: 1-line block ×3, first 2 shown]
	s_mul_hi_u32 s55, s33, s6
	s_mul_i32 s56, s50, s6
	s_mul_i32 s38, s33, s6
	s_waitcnt vmcnt(7)
	v_and_b32_e32 v83, 0xffff0000, v4
	v_lshlrev_b32_e32 v82, 16, v4
	v_and_b32_e32 v87, 0xffff0000, v5
	v_lshlrev_b32_e32 v86, 16, v5
	s_waitcnt vmcnt(6)
	v_and_b32_e32 v81, 0xffff0000, v2
	v_lshlrev_b32_e32 v80, 16, v2
	v_and_b32_e32 v85, 0xffff0000, v3
	v_lshlrev_b32_e32 v84, 16, v3
	;; [unrolled: 5-line block ×8, first 2 shown]
	s_cbranch_scc1 .LBB25_18
; %bb.1:
	s_add_i32 s45, s64, s63
	s_lshl_b64 s[0:1], s[44:45], 8
	v_and_b32_e32 v105, 56, v100
	s_add_u32 s4, s18, s0
	v_lshl_or_b32 v104, v1, 3, v101
	v_lshlrev_b32_e32 v2, 1, v105
	s_addc_u32 s0, s19, s1
	v_lshl_or_b32 v106, v104, 8, v2
	s_and_b32 s5, s0, 0xffff
	s_mov_b32 s7, 0x20000
	s_movk_i32 s6, 0x4000
	s_movk_i32 s0, 0x80
	v_or_b32_e32 v107, 0x2000, v106
	buffer_load_dwordx4 v[4:7], v106, s[4:7], 0 offen
	buffer_load_dwordx4 v[8:11], v106, s[4:7], s0 offen
	;; [unrolled: 1-line block ×4, first 2 shown]
	v_lshlrev_b32_e32 v3, 3, v104
	v_and_or_b32 v21, v0, 7, v3
	v_and_b32_e32 v3, 0x78, v3
	v_lshlrev_b32_e32 v21, 4, v21
	v_xor_b32_e32 v108, v21, v3
	v_mul_lo_u32 v20, v104, s27
	v_or_b32_e32 v109, 0x1000, v108
	v_xor_b32_e32 v3, 8, v108
	s_cmpk_eq_i32 s27, 0x80
	s_mov_b32 s65, s26
	v_xor_b32_e32 v21, 8, v109
	s_cselect_b64 s[0:1], -1, 0
	s_cmpk_lg_i32 s27, 0x80
	s_waitcnt vmcnt(3)
	ds_write_b64 v108, v[4:5] offset:49152
	ds_write_b64 v3, v[6:7] offset:49152
	s_waitcnt vmcnt(2)
	ds_write_b64 v108, v[8:9] offset:57344
	ds_write_b64 v3, v[10:11] offset:57344
	;; [unrolled: 3-line block ×4, first 2 shown]
	v_lshl_add_u32 v3, v20, 1, v105
	s_cbranch_scc0 .LBB25_3
; %bb.2:
	v_lshlrev_b32_e32 v5, 1, v3
	v_add_lshl_u32 v4, v3, s27, 1
	s_lshl_b32 s6, s27, 7
	v_lshl_or_b32 v2, v104, 9, v2
	s_cbranch_execz .LBB25_4
	s_branch .LBB25_5
.LBB25_3:
                                        ; implicit-def: $vgpr4
                                        ; implicit-def: $vgpr5
                                        ; implicit-def: $sgpr6
	v_lshl_or_b32 v2, v104, 9, v2
.LBB25_4:
	v_or_b32_e32 v4, 0x100, v2
	s_movk_i32 s6, 0x4000
	v_mov_b32_e32 v5, v2
.LBB25_5:
	s_mul_hi_u32 s4, s26, s24
	s_mul_i32 s5, s60, s24
	s_add_i32 s4, s4, s5
	s_mul_i32 s5, s26, s24
	s_mul_i32 s7, s5, s3
	s_mul_hi_u32 s28, s5, s58
	s_add_i32 s7, s28, s7
	s_mul_i32 s4, s4, s58
	s_add_i32 s7, s7, s4
	s_mul_i32 s5, s5, s58
	s_ashr_i32 s66, s61, 31
	s_add_u32 s4, s5, s61
	s_addc_u32 s5, s7, s66
	s_lshl_b64 s[4:5], s[4:5], 8
	s_add_u32 s4, s16, s4
	s_addc_u32 s5, s17, s5
	s_and_b32 s5, s5, 0xffff
	s_mov_b32 s7, 0x20000
	s_movk_i32 s67, 0x80
	buffer_load_dwordx4 v[6:9], v5, s[4:7], 0 offen
	buffer_load_dwordx4 v[10:13], v5, s[4:7], s67 offen
	;; [unrolled: 1-line block ×4, first 2 shown]
	v_and_b32_e32 v5, 6, v0
	v_lshlrev_b32_e32 v4, 7, v102
	v_xor_b32_e32 v26, v104, v5
	v_and_b32_e32 v22, 1, v0
	v_lshl_or_b32 v29, v99, 3, v4
	v_lshlrev_b32_e32 v26, 2, v26
	v_or_b32_e32 v110, 0x4000, v29
	v_or_b32_e32 v111, 0x6000, v29
	v_xor_b32_e32 v29, 0x440, v26
	v_cmp_eq_u32_e32 vcc, 0, v22
	v_lshlrev_b32_e32 v23, 2, v99
	v_or_b32_e32 v25, 16, v99
	v_cndmask_b32_e32 v22, v29, v26, vcc
	s_mov_b32 s69, 0x1000504
	v_xor_b32_e32 v27, v102, v23
	v_xor_b32_e32 v28, v103, v23
	v_lshl_or_b32 v30, v25, 3, v4
	v_lshl_or_b32 v5, v5, 10, v22
	s_mov_b32 s70, 0x3020706
	v_lshlrev_b32_e32 v24, 8, v99
	v_lshlrev_b32_e32 v27, 1, v27
	v_lshlrev_b32_e32 v28, 1, v28
	v_or_b32_e32 v112, 0x4000, v30
	v_or_b32_e32 v113, 0x6000, v30
	v_xor_b32_e32 v22, 8, v5
	v_xor_b32_e32 v26, 24, v5
	;; [unrolled: 1-line block ×4, first 2 shown]
	s_mul_i32 s3, s3, s24
	s_mul_hi_u32 s4, s58, s24
	v_or_b32_e32 v114, v24, v27
	v_or_b32_e32 v115, v24, v28
	v_xor_b32_e32 v24, 16, v5
	v_xor_b32_e32 v29, 32, v5
	;; [unrolled: 1-line block ×3, first 2 shown]
	v_add_u32_e32 v22, 0x80, v22
	v_add_u32_e32 v26, 0x80, v26
	;; [unrolled: 1-line block ×4, first 2 shown]
	s_add_i32 s71, s4, s3
	s_add_i32 s3, s53, s43
	;; [unrolled: 1-line block ×5, first 2 shown]
	s_lshl_b64 s[4:5], s[40:41], 2
	s_add_u32 s3, s22, s4
	s_addc_u32 s28, s23, s5
	s_lshl_b64 s[4:5], s[38:39], 2
	s_add_u32 s46, s3, s4
	s_movk_i32 s3, 0xf8
	s_addc_u32 s47, s28, s5
	s_lshl_b32 s30, s27, 7
	s_movk_i32 s28, 0x100
	v_mov_b32_e32 v91, 0
	v_lshlrev_b32_e32 v90, 4, v99
	v_ashrrev_i32_e32 v89, 31, v88
	s_mov_b32 s68, 0
	s_movk_i32 s6, 0x4000
	s_mov_b32 s39, 0x7060302
	s_movk_i32 s41, 0x2000
	s_movk_i32 s72, 0x3000
	s_mov_b32 s74, 0
	s_waitcnt vmcnt(1)
	v_perm_b32 v33, v6, v14, s69
	s_waitcnt vmcnt(0)
	v_perm_b32 v34, v10, v18, s69
	v_perm_b32 v6, v6, v14, s70
	;; [unrolled: 1-line block ×15, first 2 shown]
	ds_write2st64_b32 v5, v33, v34 offset0:128 offset1:160
	ds_write2st64_b32 v22, v6, v10 offset0:128 offset1:160
	;; [unrolled: 1-line block ×8, first 2 shown]
	v_lshlrev_b32_e32 v5, 8, v25
	v_or_b32_e32 v116, v5, v27
	v_or_b32_e32 v117, v5, v28
	;; [unrolled: 1-line block ×3, first 2 shown]
	v_lshl_or_b32 v6, v5, 3, v4
	v_lshlrev_b32_e32 v5, 8, v5
	v_or_b32_e32 v120, v5, v27
	v_or_b32_e32 v121, v5, v28
	;; [unrolled: 1-line block ×5, first 2 shown]
	v_lshl_or_b32 v6, v5, 3, v4
	v_lshlrev_b32_e32 v5, 8, v5
	v_or_b32_e32 v124, v5, v27
	v_or_b32_e32 v125, v5, v28
	;; [unrolled: 1-line block ×3, first 2 shown]
	v_lshlrev_b32_e32 v5, 3, v5
	v_lshrrev_b32_e32 v7, 5, v47
	v_and_or_b32 v7, v5, s3, v7
	v_lshlrev_b32_e32 v7, 4, v7
	v_or_b32_e32 v122, 0x4000, v6
	v_or_b32_e32 v123, 0x6000, v6
	v_lshrrev_b32_e32 v6, 2, v47
	v_lshlrev_b32_e32 v9, 11, v1
	v_and_b32_e32 v5, 0x78, v5
	v_or_b32_e32 v13, 32, v7
	v_and_b32_e32 v8, 12, v6
	v_and_b32_e32 v6, 0x1000, v9
	v_lshrrev_b32_e32 v11, 1, v47
	v_xor_b32_e32 v13, v13, v5
	v_xor_b32_e32 v10, v7, v5
	v_and_b32_e32 v11, 8, v11
	v_or_b32_e32 v13, v13, v6
	v_or_b32_e32 v10, v10, v6
	v_xor_b32_e32 v128, v13, v11
	v_or_b32_e32 v13, 64, v7
	v_or_b32_e32 v7, 0x60, v7
	v_xor_b32_e32 v126, v10, v11
	v_lshlrev_b32_e32 v10, 8, v98
	v_xor_b32_e32 v13, v13, v5
	v_xor_b32_e32 v5, v7, v5
	s_ashr_i32 s3, s2, 31
	v_or_b32_e32 v12, v10, v23
	v_or_b32_e32 v13, v13, v6
	;; [unrolled: 1-line block ×3, first 2 shown]
	s_lshl_b64 s[4:5], s[2:3], 8
	v_lshlrev_b32_e32 v15, 2, v0
	v_lshlrev_b32_e32 v12, 1, v12
	v_xor_b32_e32 v132, v13, v11
	v_xor_b32_e32 v133, v5, v11
	v_lshlrev_b32_e32 v5, 1, v3
	v_add_lshl_u32 v3, v3, s27, 1
	v_or_b32_e32 v11, 0x100, v2
	s_add_u32 s4, s12, s4
	v_lshlrev_b32_e32 v6, 1, v99
	v_lshrrev_b32_e32 v16, 1, v0
	v_and_or_b32 v10, v15, 60, v10
	v_or_b32_e32 v127, 0x4000, v12
	v_or_b32_e32 v129, 0x4080, v12
	;; [unrolled: 1-line block ×8, first 2 shown]
	v_lshrrev_b32_e32 v12, 4, v0
	s_addc_u32 s5, s13, s5
	v_or_b32_e32 v7, 1, v6
	v_and_b32_e32 v16, 24, v16
	v_lshlrev_b32_e32 v10, 1, v10
	v_cndmask_b32_e64 v144, v5, v2, s[0:1]
	v_cndmask_b32_e64 v145, v3, v11, s[0:1]
	v_mov_b32_e32 v3, 0xa000
	v_mov_b32_e32 v5, 0x8000
	v_cmp_gt_u32_e64 s[0:1], s28, v0
	v_xor_b32_e32 v13, v12, v6
	v_xor_b32_e32 v14, v7, v12
	v_lshl_add_u64 v[6:7], s[4:5], 0, v[90:91]
	v_lshlrev_b32_e32 v90, 8, v12
	v_or_b32_e32 v140, 0x6000, v10
	v_or_b32_e32 v15, 32, v16
	;; [unrolled: 1-line block ×6, first 2 shown]
	v_cndmask_b32_e64 v3, v3, v5, s[0:1]
	v_lshlrev_b32_e32 v5, 3, v1
	v_lshl_or_b32 v138, v13, 3, v90
	v_and_b32_e32 v13, 8, v0
	v_xor_b32_e32 v11, v5, v16
	v_xor_b32_e32 v15, v5, v15
	;; [unrolled: 1-line block ×3, first 2 shown]
	v_mov_b32_e32 v17, 0x400
	v_cmp_eq_u32_e32 vcc, 0, v13
	v_or_b32_e32 v16, 0x440, v11
	v_or_b32_e32 v18, 0x440, v15
	v_xor_b32_e32 v10, 0x440, v5
	v_and_b32_e32 v12, 7, v0
	v_cndmask_b32_e64 v13, v17, 64, vcc
	v_cndmask_b32_e32 v16, v16, v11, vcc
	v_cndmask_b32_e32 v15, v18, v15, vcc
	;; [unrolled: 1-line block ×3, first 2 shown]
	v_lshl_or_b32 v139, v14, 3, v90
	v_lshlrev_b32_e32 v14, 3, v12
	v_or_b32_e32 v16, v16, v9
	v_or_b32_e32 v15, v15, v9
	v_or3_b32 v11, v9, v13, v11
	v_or_b32_e32 v5, v5, v9
	v_lshlrev_b32_e32 v12, 7, v12
	v_xor_b32_e32 v16, v16, v14
	v_xor_b32_e32 v15, v15, v14
	;; [unrolled: 1-line block ×4, first 2 shown]
	v_or_b32_e32 v2, v45, v8
	v_add_u32_e32 v17, v3, v16
	v_add_u32_e32 v18, v3, v15
	v_or_b32_e32 v146, v11, v12
	v_add_u32_e32 v9, v3, v5
	v_or3_b32 v8, v45, v8, 64
	v_add_u32_e32 v13, 0xa000, v16
	v_add_u32_e32 v14, 0xa000, v15
	;; [unrolled: 1-line block ×3, first 2 shown]
	v_lshlrev_b64 v[10:11], 1, v[88:89]
	v_lshl_add_u64 v[92:93], s[20:21], 0, v[10:11]
	v_lshl_add_u64 v[94:95], s[14:15], 0, v[10:11]
	;; [unrolled: 1-line block ×3, first 2 shown]
	s_add_i32 s3, s51, 63
	v_lshlrev_b32_e32 v90, 1, v4
	v_lshlrev_b32_e32 v89, 2, v2
	v_add_u32_e32 v147, v17, v12
	v_add_u32_e32 v148, v18, v12
	;; [unrolled: 1-line block ×4, first 2 shown]
	v_lshlrev_b32_e32 v151, 2, v8
	v_add_u32_e32 v152, v13, v12
	v_add_u32_e32 v153, v14, v12
	;; [unrolled: 1-line block ×3, first 2 shown]
	s_waitcnt lgkmcnt(0)
	s_barrier
.LBB25_6:                               ; =>This Inner Loop Header: Depth=1
	s_add_i32 s73, s74, 1
	s_cmp_lt_i32 s73, s59
	s_mov_b64 s[28:29], 0
	s_cselect_b64 s[48:49], -1, 0
	s_cmp_ge_i32 s73, s59
	s_mov_b64 s[4:5], 0
	s_cbranch_scc1 .LBB25_8
; %bb.7:                                ;   in Loop: Header=BB25_6 Depth=1
	s_add_i32 s0, s68, 64
	s_add_u32 s0, s44, s0
	s_addc_u32 s1, s45, 0
	s_lshl_b64 s[0:1], s[0:1], 8
	s_add_u32 s4, s18, s0
	s_addc_u32 s5, s19, s1
.LBB25_8:                               ;   in Loop: Header=BB25_6 Depth=1
	v_cndmask_b32_e64 v2, 0, 1, s[48:49]
	v_cmp_ne_u32_e64 s[0:1], 1, v2
	s_andn2_b64 vcc, exec, s[48:49]
	s_cbranch_vccnz .LBB25_10
; %bb.9:                                ;   in Loop: Header=BB25_6 Depth=1
	s_add_i32 s28, s68, 64
	s_add_u32 s28, s51, s28
	s_addc_u32 s29, s71, 0
	s_mul_i32 s31, s28, s60
	s_mul_hi_u32 s48, s28, s65
	s_add_i32 s31, s48, s31
	s_mul_i32 s29, s29, s65
	s_add_i32 s31, s31, s29
	s_mul_i32 s28, s28, s65
	s_add_u32 s28, s28, s61
	s_addc_u32 s29, s31, s66
	s_lshl_b64 s[28:29], s[28:29], 8
	s_add_u32 s28, s16, s28
	s_addc_u32 s29, s17, s29
.LBB25_10:                              ;   in Loop: Header=BB25_6 Depth=1
	v_perm_b32 v3, v87, v86, s39
	v_perm_b32 v2, v83, v82, s39
	v_perm_b32 v5, v85, v84, s39
	v_perm_b32 v4, v81, v80, s39
	ds_write_b64 v110, v[2:3]
	ds_write_b64 v111, v[4:5]
	ds_write_b64 v114, v[2:3]
	ds_write_b64 v115, v[4:5]
	v_perm_b32 v3, v79, v78, s39
	v_perm_b32 v2, v75, v74, s39
	v_perm_b32 v5, v77, v76, s39
	v_perm_b32 v4, v73, v72, s39
	ds_write_b64 v112, v[2:3]
	ds_write_b64 v113, v[4:5]
	ds_write_b64 v116, v[2:3]
	ds_write_b64 v117, v[4:5]
	;; [unrolled: 8-line block ×4, first 2 shown]
	s_waitcnt lgkmcnt(0)
	s_barrier
	ds_read_b64 v[6:7], v126 offset:49152
	ds_read2_b64 v[2:5], v127 offset1:16
	ds_read_b64 v[18:19], v129 offset:6144
	ds_read_b64 v[20:21], v127 offset:6144
	s_waitcnt lgkmcnt(2)
	v_mfma_f32_16x16x16_bf16 a[0:3], v[6:7], v[2:3], 0
	ds_read_b64 v[22:23], v128 offset:49152
	ds_read2st64_b64 v[10:13], v130 offset0:4 offset1:8
	ds_read2st64_b64 v[14:17], v131 offset0:4 offset1:8
	v_mfma_f32_16x16x16_bf16 a[4:7], v[6:7], v[4:5], 0
	ds_read2_b64 v[2:5], v127 offset0:32 offset1:48
	s_add_i32 s31, s68, 63
	s_mul_i32 s48, s31, s37
	s_waitcnt lgkmcnt(0)
	v_mfma_f32_16x16x16_bf16 a[8:11], v[6:7], v[2:3], 0
	s_mul_hi_u32 s49, s31, s36
	s_add_i32 s49, s49, s48
	s_mul_i32 s48, s31, s36
	v_mfma_f32_16x16x16_bf16 a[12:15], v[6:7], v[4:5], 0
	ds_read2st64_b64 v[2:5], v127 offset0:4 offset1:8
	ds_read2st64_b64 v[6:9], v129 offset0:4 offset1:8
	s_lshl_b64 s[48:49], s[48:49], 2
	s_waitcnt lgkmcnt(1)
	v_mfma_f32_16x16x16_bf16 a[0:3], v[22:23], v[2:3], a[0:3]
	s_add_u32 s48, s46, s48
	s_addc_u32 s49, s47, s49
	s_and_b64 vcc, exec, s[0:1]
	s_waitcnt lgkmcnt(0)
	v_mfma_f32_16x16x16_bf16 a[4:7], v[22:23], v[6:7], a[4:7]
	v_mov_b32_e32 v157, 0
	v_mov_b32_e32 v156, 0
	v_mov_b32_e32 v155, 0
	v_mfma_f32_16x16x16_bf16 a[8:11], v[22:23], v[10:11], a[8:11]
	ds_read_b64 v[2:3], v132 offset:49152
	ds_read_b64 v[6:7], v133 offset:49152
	;; [unrolled: 1-line block ×3, first 2 shown]
	v_mfma_f32_16x16x16_bf16 a[12:15], v[22:23], v[14:15], a[12:15]
	v_mov_b32_e32 v14, 0
	v_mov_b32_e32 v15, 0
	s_waitcnt lgkmcnt(2)
	v_mfma_f32_16x16x16_bf16 a[0:3], v[2:3], v[4:5], a[0:3]
	v_mov_b32_e32 v4, 0
	v_mov_b32_e32 v5, 0
	v_mfma_f32_16x16x16_bf16 a[16:19], v[2:3], v[8:9], a[4:7]
	v_mov_b32_e32 v8, 0
	v_mov_b32_e32 v9, 0
	;; [unrolled: 3-line block ×3, first 2 shown]
	v_mfma_f32_16x16x16_bf16 a[24:27], v[2:3], v[16:17], a[12:15]
	ds_read_b64 v[2:3], v130 offset:6144
	v_mov_b32_e32 v16, 0
	v_mov_b32_e32 v17, 0
	s_waitcnt lgkmcnt(2)
	v_mfma_f32_16x16x16_bf16 a[4:7], v[6:7], v[20:21], a[0:3]
	v_mfma_f32_16x16x16_bf16 a[8:11], v[6:7], v[18:19], a[16:19]
	s_waitcnt lgkmcnt(0)
	v_mfma_f32_16x16x16_bf16 a[12:15], v[6:7], v[2:3], a[20:23]
	v_mov_b32_e32 v2, 0
	v_mov_b32_e32 v3, 0
	v_mfma_f32_16x16x16_bf16 a[0:3], v[6:7], v[10:11], a[24:27]
	v_mov_b32_e32 v6, 0
	v_mov_b32_e32 v7, 0
	;; [unrolled: 1-line block ×4, first 2 shown]
	s_cbranch_vccnz .LBB25_12
; %bb.11:                               ;   in Loop: Header=BB25_6 Depth=1
	s_and_b32 s5, s5, 0xffff
	buffer_load_dwordx4 v[14:17], v106, s[4:7], 0 offen
	buffer_load_dwordx4 v[10:13], v106, s[4:7], s67 offen
	;; [unrolled: 1-line block ×4, first 2 shown]
	v_mov_b32_e32 v156, v108
	v_mov_b32_e32 v155, v109
.LBB25_12:                              ;   in Loop: Header=BB25_6 Depth=1
	ds_read_b64 v[30:31], v126 offset:57344
	ds_read2_b64 v[18:21], v134 offset1:16
	ds_read_b64 v[34:35], v128 offset:57344
	ds_read_b64 v[36:37], v132 offset:57344
	;; [unrolled: 1-line block ×3, first 2 shown]
	v_add_u32_e32 v32, s68, v102
	s_waitcnt lgkmcnt(3)
	v_mfma_f32_16x16x16_bf16 a[4:7], v[30:31], v[18:19], a[4:7]
	v_mfma_f32_16x16x16_bf16 a[8:11], v[30:31], v[20:21], a[8:11]
	ds_read2_b64 v[18:21], v134 offset0:32 offset1:48
	ds_read2st64_b64 v[22:25], v134 offset0:4 offset1:8
	ds_read2st64_b64 v[26:29], v135 offset0:4 offset1:8
	s_waitcnt lgkmcnt(2)
	v_mfma_f32_16x16x16_bf16 a[12:15], v[30:31], v[18:19], a[12:15]
	v_ashrrev_i32_e32 v18, 31, v32
	v_mul_lo_u32 v33, v18, s36
	v_mad_u64_u32 v[18:19], s[4:5], v32, s36, 0
	v_mfma_f32_16x16x16_bf16 a[0:3], v[30:31], v[20:21], a[0:3]
	v_mul_lo_u32 v20, v32, s37
	v_add3_u32 v19, v19, v20, v33
	v_add_u32_e32 v20, 1, v32
	v_ashrrev_i32_e32 v21, 31, v20
	s_waitcnt lgkmcnt(1)
	v_mfma_f32_16x16x16_bf16 a[4:7], v[34:35], v[22:23], a[4:7]
	v_mul_lo_u32 v22, v21, s36
	v_mul_lo_u32 v23, v20, s37
	v_mad_u64_u32 v[20:21], s[4:5], v20, s36, 0
	v_add3_u32 v21, v21, v23, v22
	v_add_u32_e32 v22, 2, v32
	v_ashrrev_i32_e32 v23, 31, v22
	v_mul_lo_u32 v30, v23, s36
	v_mul_lo_u32 v31, v22, s37
	v_mad_u64_u32 v[22:23], s[4:5], v22, s36, 0
	v_add3_u32 v23, v23, v31, v30
	v_add_u32_e32 v30, 3, v32
	v_ashrrev_i32_e32 v31, 31, v30
	v_mul_lo_u32 v32, v31, s36
	v_mul_lo_u32 v33, v30, s37
	v_mad_u64_u32 v[30:31], s[4:5], v30, s36, 0
	s_add_u32 s4, s44, s68
	v_lshl_add_u64 v[18:19], v[18:19], 2, s[46:47]
	v_add3_u32 v31, v31, v33, v32
	s_addc_u32 s5, s45, 0
	v_lshl_add_u64 v[20:21], v[20:21], 2, s[46:47]
	global_load_dword v40, v[18:19], off
	v_lshl_add_u64 v[18:19], v[30:31], 2, s[46:47]
	s_lshl_b64 s[4:5], s[4:5], 8
	v_lshl_add_u64 v[22:23], v[22:23], 2, s[46:47]
	global_load_dword v41, v[20:21], off
	global_load_dword v42, v[22:23], off
	;; [unrolled: 1-line block ×3, first 2 shown]
	v_lshl_add_u64 v[18:19], v[92:93], 0, s[4:5]
	v_lshl_add_u64 v[22:23], v[18:19], 0, v[90:91]
	global_load_ushort v44, v[22:23], off offset:256
	global_load_ushort v158, v[22:23], off
	ds_read2st64_b64 v[18:21], v136 offset0:4 offset1:8
	global_load_ushort v159, v[22:23], off offset:768
	global_load_ushort v160, v[22:23], off offset:512
	ds_read2st64_b64 v[30:33], v137 offset0:4 offset1:8
	global_load_ushort v161, v[22:23], off offset:288
	global_load_ushort v162, v[22:23], off offset:32
	;; [unrolled: 1-line block ×4, first 2 shown]
	s_waitcnt lgkmcnt(2)
	v_mfma_f32_16x16x16_bf16 a[8:11], v[34:35], v[26:27], a[8:11]
	global_load_ushort v165, v[22:23], off offset:320
	global_load_ushort v166, v[22:23], off offset:64
	;; [unrolled: 1-line block ×4, first 2 shown]
	s_and_b64 vcc, exec, s[0:1]
	s_waitcnt lgkmcnt(1)
	v_mfma_f32_16x16x16_bf16 a[12:15], v[34:35], v[18:19], a[12:15]
	ds_read_b64 v[18:19], v134 offset:6144
	s_waitcnt lgkmcnt(1)
	v_mfma_f32_16x16x16_bf16 a[0:3], v[34:35], v[30:31], a[0:3]
	v_lshl_add_u64 v[30:31], v[94:95], 0, s[4:5]
	v_lshl_add_u64 v[30:31], v[30:31], 0, v[90:91]
	v_mfma_f32_16x16x16_bf16 a[4:7], v[36:37], v[24:25], a[4:7]
	v_mfma_f32_16x16x16_bf16 a[8:11], v[36:37], v[28:29], a[8:11]
	;; [unrolled: 1-line block ×4, first 2 shown]
	global_load_ushort v36, v[22:23], off offset:352
	global_load_ushort v37, v[22:23], off offset:96
	ds_read_b64 v[20:21], v135 offset:6144
	ds_read_b64 v[24:25], v136 offset:6144
	;; [unrolled: 1-line block ×3, first 2 shown]
	s_load_dword s48, s[48:49], 0x0
	global_load_ushort v169, v[22:23], off offset:864
	global_load_ushort v170, v[22:23], off offset:608
	s_waitcnt lgkmcnt(0)
	v_mfma_f32_16x16x16_bf16 a[4:7], v[38:39], v[18:19], a[4:7]
	s_waitcnt vmcnt(17)
	v_sub_f32_e32 v28, s48, v42
	v_mfma_f32_16x16x16_bf16 a[0:3], v[38:39], v[26:27], a[0:3]
	v_sub_f32_e32 v26, s48, v40
	v_sub_f32_e32 v27, s48, v41
	s_waitcnt vmcnt(16)
	v_sub_f32_e32 v29, s48, v43
	v_mfma_f32_16x16x16_bf16 a[8:11], v[38:39], v[20:21], a[8:11]
	v_exp_f32_e32 v26, v26
	v_exp_f32_e32 v27, v27
	;; [unrolled: 1-line block ×4, first 2 shown]
	v_accvgpr_read_b32 v35, a5
	s_waitcnt vmcnt(15)
	v_lshlrev_b32_e32 v33, 16, v44
	s_waitcnt vmcnt(14)
	v_lshlrev_b32_e32 v32, 16, v158
	v_accvgpr_read_b32 v34, a4
	v_accvgpr_read_b32 v19, a7
	;; [unrolled: 1-line block ×3, first 2 shown]
	v_pk_add_f32 v[32:33], v[32:33], v[34:35] neg_lo:[0,1] neg_hi:[0,1]
	s_waitcnt vmcnt(13)
	v_lshlrev_b32_e32 v35, 16, v159
	s_waitcnt vmcnt(12)
	v_lshlrev_b32_e32 v34, 16, v160
	v_pk_add_f32 v[18:19], v[34:35], v[18:19] neg_lo:[0,1] neg_hi:[0,1]
	global_store_short_d16_hi v[30:31], v32, off
	global_store_short_d16_hi v[30:31], v33, off offset:256
	global_store_short_d16_hi v[30:31], v18, off offset:512
	;; [unrolled: 1-line block ×3, first 2 shown]
	v_pk_mul_f32 v[32:33], v[26:27], v[32:33]
	v_pk_mul_f32 v[18:19], v[28:29], v[18:19]
	v_accvgpr_read_b32 v35, a9
	v_perm_b32 v32, v33, v32, s39
	v_perm_b32 v33, v19, v18, s39
	s_waitcnt vmcnt(15)
	v_lshlrev_b32_e32 v19, 16, v161
	s_waitcnt vmcnt(14)
	v_lshlrev_b32_e32 v18, 16, v162
	v_accvgpr_read_b32 v34, a8
	v_accvgpr_read_b32 v21, a11
	v_mfma_f32_16x16x16_bf16 a[12:15], v[38:39], v[24:25], a[12:15]
	v_accvgpr_read_b32 v20, a10
	v_pk_add_f32 v[18:19], v[18:19], v[34:35] neg_lo:[0,1] neg_hi:[0,1]
	s_waitcnt vmcnt(13)
	v_lshlrev_b32_e32 v35, 16, v163
	s_waitcnt vmcnt(12)
	v_lshlrev_b32_e32 v34, 16, v164
	v_pk_add_f32 v[20:21], v[34:35], v[20:21] neg_lo:[0,1] neg_hi:[0,1]
	global_store_short_d16_hi v[30:31], v18, off offset:32
	global_store_short_d16_hi v[30:31], v19, off offset:288
	;; [unrolled: 1-line block ×4, first 2 shown]
	v_pk_mul_f32 v[18:19], v[26:27], v[18:19]
	v_pk_mul_f32 v[20:21], v[28:29], v[20:21]
	v_accvgpr_read_b32 v23, a15
	v_perm_b32 v21, v21, v20, s39
	v_perm_b32 v20, v19, v18, s39
	ds_write2_b64 v111, v[32:33], v[20:21] offset1:16
	v_accvgpr_read_b32 v21, a13
	s_waitcnt vmcnt(15)
	v_lshlrev_b32_e32 v19, 16, v165
	s_waitcnt vmcnt(14)
	v_lshlrev_b32_e32 v18, 16, v166
	v_accvgpr_read_b32 v20, a12
	v_accvgpr_read_b32 v22, a14
	v_pk_add_f32 v[18:19], v[18:19], v[20:21] neg_lo:[0,1] neg_hi:[0,1]
	s_waitcnt vmcnt(13)
	v_lshlrev_b32_e32 v21, 16, v167
	s_waitcnt vmcnt(12)
	v_lshlrev_b32_e32 v20, 16, v168
	v_pk_add_f32 v[20:21], v[20:21], v[22:23] neg_lo:[0,1] neg_hi:[0,1]
	global_store_short_d16_hi v[30:31], v18, off offset:64
	global_store_short_d16_hi v[30:31], v19, off offset:320
	;; [unrolled: 1-line block ×4, first 2 shown]
	v_pk_mul_f32 v[18:19], v[26:27], v[18:19]
	v_pk_mul_f32 v[20:21], v[28:29], v[20:21]
	v_accvgpr_read_b32 v23, a1
	v_perm_b32 v18, v19, v18, s39
	v_perm_b32 v19, v21, v20, s39
	s_waitcnt vmcnt(15)
	v_lshlrev_b32_e32 v21, 16, v36
	s_waitcnt vmcnt(14)
	v_lshlrev_b32_e32 v20, 16, v37
	v_accvgpr_read_b32 v22, a0
	v_accvgpr_read_b32 v25, a3
	;; [unrolled: 1-line block ×3, first 2 shown]
	v_pk_add_f32 v[20:21], v[20:21], v[22:23] neg_lo:[0,1] neg_hi:[0,1]
	s_waitcnt vmcnt(13)
	v_lshlrev_b32_e32 v23, 16, v169
	s_waitcnt vmcnt(12)
	v_lshlrev_b32_e32 v22, 16, v170
	v_pk_add_f32 v[22:23], v[22:23], v[24:25] neg_lo:[0,1] neg_hi:[0,1]
	global_store_short_d16_hi v[30:31], v20, off offset:96
	global_store_short_d16_hi v[30:31], v21, off offset:352
	;; [unrolled: 1-line block ×4, first 2 shown]
	v_pk_mul_f32 v[20:21], v[26:27], v[20:21]
	v_pk_mul_f32 v[22:23], v[28:29], v[22:23]
	v_mov_b32_e32 v158, 0
	v_perm_b32 v23, v23, v22, s39
	v_perm_b32 v22, v21, v20, s39
	ds_write2_b64 v111, v[18:19], v[22:23] offset0:32 offset1:48
	v_mov_b32_e32 v18, 0
	v_mov_b32_e32 v19, 0
	;; [unrolled: 1-line block ×16, first 2 shown]
	s_cbranch_vccnz .LBB25_14
; %bb.13:                               ;   in Loop: Header=BB25_6 Depth=1
	s_and_b32 s29, s29, 0xffff
	s_mov_b32 s31, s7
	buffer_load_dwordx4 v[30:33], v144, s[28:31], 0 offen
	buffer_load_dwordx4 v[22:25], v144, s[28:31], s67 offen
	;; [unrolled: 1-line block ×4, first 2 shown]
	v_mov_b32_e32 v157, v105
	v_mov_b32_e32 v158, v104
.LBB25_14:                              ;   in Loop: Header=BB25_6 Depth=1
	s_waitcnt lgkmcnt(0)
	s_barrier
	ds_read_b64 v[42:43], v147
	ds_read2_b64 v[34:37], v140 offset1:16
	ds_read_b64 v[176:177], v148
	ds_read_b64 v[178:179], v149
	;; [unrolled: 1-line block ×3, first 2 shown]
	ds_read2_b64 v[38:41], v140 offset0:32 offset1:48
	ds_read2st64_b64 v[160:163], v140 offset0:4 offset1:8
	ds_read2st64_b64 v[164:167], v141 offset0:4 offset1:8
	;; [unrolled: 1-line block ×4, first 2 shown]
	s_waitcnt lgkmcnt(8)
	v_mfma_f32_16x16x16_bf16 a[0:3], v[42:43], v[34:35], 0
	s_add_i32 s4, s62, s74
	s_mul_hi_i32 s5, s4, s25
	s_mul_i32 s4, s4, s25
	v_mfma_f32_16x16x16_bf16 a[4:7], v[42:43], v[36:37], 0
	s_add_u32 s4, s4, s33
	s_addc_u32 s5, s5, s50
	s_add_i32 s28, s3, s68
	s_waitcnt lgkmcnt(4)
	v_mfma_f32_16x16x16_bf16 a[8:11], v[42:43], v[38:39], 0
	s_lshl_b64 s[4:5], s[4:5], 15
	s_mul_hi_i32 s29, s28, s25
	s_mul_i32 s28, s28, s25
	v_mfma_f32_16x16x16_bf16 a[12:15], v[42:43], v[40:41], 0
	ds_read_b64 v[42:43], v140 offset:6144
	ds_read_b64 v[188:189], v141 offset:6144
	;; [unrolled: 1-line block ×4, first 2 shown]
	s_add_u32 s28, s28, s33
	s_waitcnt lgkmcnt(7)
	v_mfma_f32_16x16x16_bf16 a[0:3], v[176:177], v[160:161], a[0:3]
	s_addc_u32 s29, s29, s50
	s_lshl_b64 s[28:29], s[28:29], 9
	s_add_u32 s28, s8, s28
	s_waitcnt lgkmcnt(6)
	v_mfma_f32_16x16x16_bf16 a[4:7], v[176:177], v[164:165], a[4:7]
	s_addc_u32 s29, s9, s29
	v_lshl_add_u64 v[198:199], v[96:97], 0, s[4:5]
	s_waitcnt lgkmcnt(5)
	v_mfma_f32_16x16x16_bf16 a[8:11], v[176:177], v[168:169], a[8:11]
	s_waitcnt lgkmcnt(4)
	v_mfma_f32_16x16x16_bf16 a[12:15], v[176:177], v[172:173], a[12:15]
	ds_read_b64 v[176:177], v152
	ds_read_b64 v[186:187], v153
	;; [unrolled: 1-line block ×3, first 2 shown]
	s_waitcnt lgkmcnt(2)
	v_mfma_f32_16x16x16_bf16 a[16:19], v[176:177], v[34:35], 0
	v_mfma_f32_16x16x16_bf16 a[20:23], v[176:177], v[36:37], 0
	global_load_dwordx4 v[34:37], v151, s[28:29]
	v_mfma_f32_16x16x16_bf16 a[24:27], v[176:177], v[38:39], 0
	v_mfma_f32_16x16x16_bf16 a[28:31], v[176:177], v[40:41], 0
	global_load_dwordx4 v[38:41], v89, s[28:29]
	v_mfma_f32_16x16x16_bf16 a[0:3], v[178:179], v[162:163], a[0:3]
	v_mfma_f32_16x16x16_bf16 a[4:7], v[178:179], v[166:167], a[4:7]
	;; [unrolled: 1-line block ×8, first 2 shown]
	ds_read2st64_b64 v[176:179], v138 offset1:8
	ds_read2st64_b64 v[180:183], v139 offset1:8
	ds_read_b64 v[196:197], v146 offset:40960
	s_waitcnt lgkmcnt(2)
	v_mov_b32_e32 v184, v176
	v_mfma_f32_16x16x16_bf16 a[16:19], v[186:187], v[160:161], a[16:19]
	v_mov_b32_e32 v185, v177
	v_mfma_f32_16x16x16_bf16 a[20:23], v[186:187], v[164:165], a[20:23]
	v_mfma_f32_16x16x16_bf16 a[24:27], v[186:187], v[168:169], a[24:27]
	;; [unrolled: 1-line block ×3, first 2 shown]
	v_add_co_u32_e32 v172, vcc, s41, v198
	s_waitcnt lgkmcnt(1)
	v_mov_b32_e32 v186, v180
	s_waitcnt lgkmcnt(0)
	v_mfma_f32_16x16x16_bf16 a[16:19], v[196:197], v[162:163], a[16:19]
	ds_read2st64_b64 v[160:163], v138 offset0:16 offset1:24
	v_addc_co_u32_e32 v173, vcc, 0, v199, vcc
	v_mfma_f32_16x16x16_bf16 a[32:35], v[196:197], v[166:167], a[20:23]
	ds_read2st64_b64 v[164:167], v139 offset0:16 offset1:24
	v_mov_b32_e32 v187, v181
	v_mov_b32_e32 v180, v178
	v_mfma_f32_16x16x16_bf16 a[24:27], v[196:197], v[170:171], a[24:27]
	v_mov_b32_e32 v181, v179
	s_waitcnt lgkmcnt(0)
	v_mov_b32_e32 v170, v164
	v_mov_b32_e32 v171, v165
	v_mfma_f32_16x16x16_bf16 a[36:39], v[196:197], v[174:175], a[28:31]
	v_mov_b32_e32 v164, v162
	v_mov_b32_e32 v165, v163
	;; [unrolled: 1-line block ×3, first 2 shown]
	v_mfma_f32_16x16x16_bf16 a[20:23], v[194:195], v[42:43], a[16:19]
	v_add_co_u32_e32 v42, vcc, s72, v198
	v_mov_b32_e32 v169, v161
	v_mfma_f32_16x16x16_bf16 a[28:31], v[194:195], v[188:189], a[32:35]
	v_addc_co_u32_e32 v43, vcc, 0, v199, vcc
	global_store_dwordx4 v[42:43], v[164:167], off
	v_mfma_f32_16x16x16_bf16 a[16:19], v[194:195], v[190:191], a[24:27]
	s_waitcnt vmcnt(2)
	v_mov_b32_e32 v44, v37
	v_mov_b32_e32 v43, v36
	;; [unrolled: 1-line block ×3, first 2 shown]
	v_mfma_f32_16x16x16_bf16 a[24:27], v[194:195], v[192:193], a[36:39]
	s_and_b64 vcc, exec, s[0:1]
	global_store_dwordx4 v[198:199], v[184:187], off
	global_store_dwordx4 v[172:173], v[180:183], off offset:-4096
	global_store_dwordx4 v[172:173], v[168:171], off
	s_cbranch_vccnz .LBB25_16
; %bb.15:                               ;   in Loop: Header=BB25_6 Depth=1
	v_lshrrev_b32_e32 v35, 3, v157
	v_and_b32_e32 v35, 6, v35
	v_xor_b32_e32 v36, v35, v158
	v_lshlrev_b32_e32 v36, 2, v36
	v_and_b32_e32 v37, 8, v157
	v_xor_b32_e32 v157, 0x440, v36
	v_cmp_eq_u32_e32 vcc, 0, v37
	v_perm_b32 v37, v22, v18, s69
	s_nop 0
	v_cndmask_b32_e32 v36, v157, v36, vcc
	v_lshl_or_b32 v35, v35, 10, v36
	v_perm_b32 v36, v30, v26, s69
	s_barrier
	ds_write2st64_b32 v35, v36, v37 offset0:128 offset1:160
	v_xor_b32_e32 v36, 8, v35
	v_perm_b32 v26, v30, v26, s70
	v_perm_b32 v18, v22, v18, s70
	v_add_u32_e32 v22, 0x80, v36
	ds_write2st64_b32 v22, v26, v18 offset0:128 offset1:160
	v_xor_b32_e32 v18, 16, v35
	v_perm_b32 v22, v31, v27, s69
	v_perm_b32 v26, v23, v19, s69
	ds_write2st64_b32 v18, v22, v26 offset0:129 offset1:161
	v_xor_b32_e32 v18, 24, v35
	v_perm_b32 v22, v31, v27, s70
	v_perm_b32 v19, v23, v19, s70
	v_add_u32_e32 v18, 0x80, v18
	ds_write2st64_b32 v18, v22, v19 offset0:129 offset1:161
	v_xor_b32_e32 v18, 32, v35
	v_perm_b32 v19, v32, v28, s69
	v_perm_b32 v22, v24, v20, s69
	;; [unrolled: 9-line block ×3, first 2 shown]
	ds_write2st64_b32 v18, v19, v20 offset0:131 offset1:163
	v_xor_b32_e32 v18, 56, v35
	v_perm_b32 v19, v33, v29, s70
	v_perm_b32 v20, v25, v21, s70
	v_add_u32_e32 v18, 0x80, v18
	ds_write2st64_b32 v18, v19, v20 offset0:131 offset1:163
	ds_write_b64 v156, v[14:15] offset:49152
	v_xor_b32_e32 v14, 8, v156
	ds_write_b64 v14, v[16:17] offset:49152
	ds_write_b64 v156, v[10:11] offset:57344
	;; [unrolled: 1-line block ×4, first 2 shown]
	v_xor_b32_e32 v6, 8, v155
	ds_write_b64 v6, v[8:9] offset:49152
	ds_write_b64 v155, v[2:3] offset:57344
	ds_write_b64 v6, v[4:5] offset:57344
.LBB25_16:                              ;   in Loop: Header=BB25_6 Depth=1
	v_exp_f32_e32 v36, s48
	s_waitcnt vmcnt(4)
	v_exp_f32_e32 v38, v38
	v_exp_f32_e32 v39, v39
	;; [unrolled: 1-line block ×4, first 2 shown]
	v_accvgpr_read_b32 v5, a3
	v_accvgpr_read_b32 v4, a2
	;; [unrolled: 1-line block ×4, first 2 shown]
	v_pk_mul_f32 v[38:39], v[36:37], v[38:39] op_sel_hi:[0,1]
	v_pk_mul_f32 v[40:41], v[36:37], v[40:41] op_sel_hi:[0,1]
	v_pk_fma_f32 v[82:83], v[82:83], v[38:39], v[2:3]
	v_pk_fma_f32 v[86:87], v[86:87], v[40:41], v[4:5]
	v_exp_f32_e32 v2, v34
	v_exp_f32_e32 v3, v42
	;; [unrolled: 1-line block ×4, first 2 shown]
	v_accvgpr_read_b32 v9, a7
	v_accvgpr_read_b32 v13, a11
	;; [unrolled: 1-line block ×28, first 2 shown]
	v_pk_mul_f32 v[2:3], v[36:37], v[2:3] op_sel_hi:[0,1]
	v_pk_mul_f32 v[4:5], v[36:37], v[4:5] op_sel_hi:[0,1]
	s_add_i32 s68, s68, 64
	v_pk_fma_f32 v[74:75], v[38:39], v[74:75], v[6:7]
	v_pk_fma_f32 v[78:79], v[40:41], v[78:79], v[8:9]
	;; [unrolled: 1-line block ×13, first 2 shown]
	s_cmp_eq_u32 s59, s73
	v_pk_fma_f32 v[60:61], v[4:5], v[60:61], v[32:33]
	s_cbranch_scc1 .LBB25_18
; %bb.17:                               ;   in Loop: Header=BB25_6 Depth=1
	s_mov_b32 s74, s73
	s_branch .LBB25_6
.LBB25_18:
	s_lshl_b32 s45, s59, 6
	s_sub_i32 s48, s24, s45
	s_cmp_gt_i32 s48, 0
	s_cbranch_scc0 .LBB25_99
; %bb.19:
	s_ashr_i32 s3, s45, 31
	s_cmpk_lg_i32 s27, 0x80
	s_cselect_b64 s[30:31], -1, 0
	s_and_b64 vcc, exec, s[30:31]
	s_cbranch_vccz .LBB25_21
; %bb.20:
	s_mul_hi_i32 s0, s58, s24
	s_add_u32 s1, s51, s45
	s_addc_u32 s0, s0, s3
	s_mul_i32 s4, s1, s60
	s_mul_hi_u32 s5, s1, s26
	s_add_i32 s4, s5, s4
	s_mul_i32 s0, s0, s26
	s_add_i32 s4, s4, s0
	s_mul_i32 s1, s1, s26
	s_ashr_i32 s0, s61, 31
	s_add_u32 s46, s1, s61
	s_addc_u32 s47, s4, s0
	s_cbranch_execz .LBB25_22
	s_branch .LBB25_23
.LBB25_21:
                                        ; implicit-def: $sgpr46_sgpr47
.LBB25_22:
	s_mul_hi_i32 s0, s58, s26
	s_mul_i32 s58, s58, s26
	s_ashr_i32 s1, s61, 31
	s_add_u32 s4, s58, s61
	s_addc_u32 s0, s0, s1
	s_mul_i32 s1, s4, s57
	s_mul_hi_u32 s5, s4, s24
	s_add_i32 s1, s5, s1
	s_mul_i32 s0, s0, s24
	s_add_i32 s1, s1, s0
	s_mul_i32 s4, s4, s24
	s_add_u32 s46, s4, s45
	s_addc_u32 s47, s1, s3
.LBB25_23:
	s_mul_i32 s0, s42, s57
	s_add_i32 s0, s64, s0
	s_add_i32 s4, s62, s59
	;; [unrolled: 1-line block ×3, first 2 shown]
	s_add_u32 s0, s44, s45
	v_lshlrev_b32_e32 v6, 6, v102
	v_lshlrev_b32_e32 v25, 2, v99
	s_addc_u32 s1, s1, s3
	s_mov_b32 s3, 0x7060302
	v_or_b32_e32 v9, v6, v25
	v_xor_b32_e32 v7, v102, v25
	v_perm_b32 v3, v87, v86, s3
	v_perm_b32 v2, v83, v82, s3
	;; [unrolled: 1-line block ×4, first 2 shown]
	v_lshlrev_b32_e32 v9, 1, v9
	v_xor_b32_e32 v8, v103, v25
	ds_write2st64_b64 v9, v[2:3], v[4:5] offset0:32 offset1:48
	v_lshlrev_b32_e32 v7, 1, v7
	v_lshlrev_b32_e32 v9, 8, v99
	v_or_b32_e32 v10, v7, v9
	v_lshlrev_b32_e32 v8, 1, v8
	ds_write_b64 v10, v[2:3]
	v_or_b32_e32 v2, v8, v9
	v_or_b32_e32 v9, 16, v99
	v_lshlrev_b32_e32 v23, 2, v9
	v_or_b32_e32 v10, v6, v23
	ds_write_b64 v2, v[4:5]
	v_perm_b32 v3, v79, v78, s3
	v_perm_b32 v2, v75, v74, s3
	v_perm_b32 v5, v77, v76, s3
	v_perm_b32 v4, v73, v72, s3
	v_lshlrev_b32_e32 v10, 1, v10
	v_lshlrev_b32_e32 v9, 8, v9
	ds_write2st64_b64 v10, v[2:3], v[4:5] offset0:32 offset1:48
	v_or_b32_e32 v10, v7, v9
	ds_write_b64 v10, v[2:3]
	v_or_b32_e32 v2, v8, v9
	v_or_b32_e32 v9, 32, v99
	v_lshlrev_b32_e32 v22, 2, v9
	v_or_b32_e32 v10, v6, v22
	ds_write_b64 v2, v[4:5]
	v_perm_b32 v3, v71, v70, s3
	v_perm_b32 v2, v67, v66, s3
	;; [unrolled: 1-line block ×4, first 2 shown]
	v_lshlrev_b32_e32 v10, 1, v10
	v_lshlrev_b32_e32 v9, 8, v9
	s_lshl_b64 s[28:29], s[0:1], 8
	ds_write2st64_b64 v10, v[2:3], v[4:5] offset0:32 offset1:48
	v_or_b32_e32 v10, v7, v9
	s_add_u32 s0, s18, s28
	ds_write_b64 v10, v[2:3]
	v_or_b32_e32 v2, v8, v9
	s_addc_u32 s1, s19, s29
	ds_write_b64 v2, v[4:5]
	v_perm_b32 v3, v63, v62, s3
	v_perm_b32 v2, v59, v58, s3
	;; [unrolled: 1-line block ×4, first 2 shown]
	v_or_b32_e32 v9, 48, v99
	s_mul_hi_i32 s3, s4, s25
	s_mul_i32 s4, s4, s25
	v_lshlrev_b32_e32 v19, 2, v9
	s_add_u32 s4, s4, s33
	v_or_b32_e32 v6, v6, v19
	s_addc_u32 s5, s3, s50
	v_lshlrev_b32_e32 v6, 1, v6
	s_ashr_i32 s3, s2, 31
	s_lshl_b64 s[4:5], s[4:5], 15
	ds_write2st64_b64 v6, v[2:3], v[4:5] offset0:32 offset1:48
	v_lshlrev_b32_e32 v6, 8, v9
	s_add_u32 s4, s12, s4
	v_or_b32_e32 v7, v7, v6
	s_addc_u32 s5, s13, s5
	s_lshl_b64 s[2:3], s[2:3], 8
	ds_write_b64 v7, v[2:3]
	v_or_b32_e32 v2, v8, v6
	s_add_u32 s2, s4, s2
	v_lshlrev_b32_e32 v3, 1, v99
	ds_write_b64 v2, v[4:5]
	v_lshrrev_b32_e32 v2, 4, v0
	s_addc_u32 s3, s5, s3
	v_or_b32_e32 v4, 1, v3
	v_lshlrev_b32_e32 v10, 4, v99
	v_mov_b32_e32 v11, 0
	v_xor_b32_e32 v3, v2, v3
	v_xor_b32_e32 v6, v4, v2
	v_lshl_add_u64 v[12:13], s[2:3], 0, v[10:11]
	v_lshlrev_b32_e32 v10, 8, v2
	v_lshl_or_b32 v16, v3, 3, v10
	v_lshl_or_b32 v17, v6, 3, v10
	s_waitcnt lgkmcnt(0)
	s_barrier
	ds_read2st64_b64 v[2:5], v16 offset1:8
	ds_read2st64_b64 v[6:9], v17 offset1:8
	v_lshl_add_u64 v[14:15], v[12:13], 0, v[10:11]
	s_movk_i32 s2, 0x2000
	s_cmp_lg_u32 s48, 64
	s_waitcnt lgkmcnt(1)
	v_mov_b32_e32 v10, v2
	v_mov_b32_e32 v11, v3
	s_waitcnt lgkmcnt(0)
	v_mov_b32_e32 v12, v6
	v_mov_b32_e32 v13, v7
	global_store_dwordx4 v[14:15], v[10:13], off
	v_mov_b32_e32 v6, v4
	v_mov_b32_e32 v7, v5
	ds_read2st64_b64 v[2:5], v16 offset0:16 offset1:24
	ds_read2st64_b64 v[10:13], v17 offset0:16 offset1:24
	v_add_co_u32_e32 v16, vcc, s2, v14
	s_cselect_b64 s[18:19], -1, 0
	s_nop 0
	v_addc_co_u32_e32 v17, vcc, 0, v15, vcc
	global_store_dwordx4 v[16:17], v[6:9], off offset:-4096
	v_lshl_or_b32 v30, v1, 3, v101
	s_mov_b32 s4, 0
	s_waitcnt lgkmcnt(1)
	v_mov_b32_e32 v6, v2
	v_add_co_u32_e32 v2, vcc, 0x3000, v14
	v_mov_b32_e32 v7, v3
	s_nop 0
	v_addc_co_u32_e32 v3, vcc, 0, v15, vcc
	s_waitcnt lgkmcnt(0)
	v_mov_b32_e32 v8, v10
	v_mov_b32_e32 v9, v11
	;; [unrolled: 1-line block ×4, first 2 shown]
	v_or_b32_e32 v20, 32, v30
	v_and_b32_e32 v18, 56, v100
	s_and_b64 vcc, exec, s[18:19]
	global_store_dwordx4 v[16:17], v[6:9], off
	global_store_dwordx4 v[2:3], v[10:13], off
	s_cbranch_vccz .LBB25_29
; %bb.24:
	s_mov_b32 s6, s4
	s_mov_b32 s7, s4
	s_mov_b32 s5, s4
	v_mov_b64_e32 v[8:9], s[6:7]
	v_mov_b64_e32 v[6:7], s[4:5]
	;; [unrolled: 1-line block ×3, first 2 shown]
	v_cmp_gt_i32_e32 vcc, s48, v30
	v_mov_b64_e32 v[4:5], v[8:9]
	s_and_saveexec_b64 s[2:3], vcc
	s_cbranch_execz .LBB25_26
; %bb.25:
	v_lshlrev_b32_e32 v2, 8, v30
	v_mov_b32_e32 v3, 0
	v_lshl_add_u64 v[4:5], s[0:1], 0, v[2:3]
	v_lshlrev_b32_e32 v2, 1, v18
	v_lshl_add_u64 v[10:11], v[4:5], 0, v[2:3]
	global_load_dwordx4 v[6:9], v[10:11], off
	global_load_dwordx4 v[2:5], v[10:11], off offset:128
.LBB25_26:
	s_or_b64 exec, exec, s[2:3]
	s_mov_b32 s6, s4
	s_mov_b32 s7, s4
	;; [unrolled: 1-line block ×3, first 2 shown]
	v_mov_b64_e32 v[16:17], s[6:7]
	v_mov_b64_e32 v[14:15], s[4:5]
	;; [unrolled: 1-line block ×3, first 2 shown]
	v_cmp_gt_i32_e32 vcc, s48, v20
	v_lshlrev_b32_e32 v21, 7, v20
	v_mov_b64_e32 v[12:13], v[16:17]
	s_and_saveexec_b64 s[2:3], vcc
	s_cbranch_execz .LBB25_28
; %bb.27:
	v_lshlrev_b32_e32 v10, 1, v21
	v_mov_b32_e32 v11, 0
	v_lshl_add_u64 v[12:13], s[0:1], 0, v[10:11]
	v_lshlrev_b32_e32 v10, 1, v18
	v_lshl_add_u64 v[26:27], v[12:13], 0, v[10:11]
	global_load_dwordx4 v[14:17], v[26:27], off
	global_load_dwordx4 v[10:13], v[26:27], off offset:128
.LBB25_28:
	s_or_b64 exec, exec, s[2:3]
	v_lshrrev_b32_e32 v24, 3, v18
	v_lshlrev_b32_e32 v26, 3, v30
	v_or_b32_e32 v24, v26, v24
	v_lshlrev_b32_e32 v24, 4, v24
	v_and_b32_e32 v26, 0x78, v26
	v_xor_b32_e32 v24, v24, v26
	s_branch .LBB25_31
.LBB25_29:
                                        ; implicit-def: $vgpr24
                                        ; implicit-def: $vgpr21
                                        ; implicit-def: $vgpr6_vgpr7_vgpr8_vgpr9
                                        ; implicit-def: $vgpr2_vgpr3_vgpr4_vgpr5
                                        ; implicit-def: $vgpr14_vgpr15_vgpr16_vgpr17
                                        ; implicit-def: $vgpr10_vgpr11_vgpr12_vgpr13
	s_cbranch_execz .LBB25_31
; %bb.30:
	s_waitcnt vmcnt(0)
	v_lshlrev_b32_e32 v2, 1, v18
	v_lshl_or_b32 v21, v30, 8, v2
	s_and_b32 s1, s1, 0xffff
	s_mov_b32 s3, 0x20000
	s_movk_i32 s2, 0x4000
	v_lshl_or_b32 v24, v20, 8, v2
	s_movk_i32 s4, 0x80
	buffer_load_dwordx4 v[6:9], v21, s[0:3], 0 offen
	buffer_load_dwordx4 v[2:5], v21, s[0:3], s4 offen
	;; [unrolled: 1-line block ×4, first 2 shown]
	v_lshrrev_b32_e32 v21, 3, v18
	v_lshlrev_b32_e32 v24, 3, v30
	v_or_b32_e32 v21, v24, v21
	v_lshlrev_b32_e32 v21, 4, v21
	v_and_b32_e32 v24, 0x78, v24
	v_xor_b32_e32 v24, v21, v24
	v_lshlrev_b32_e32 v21, 7, v20
.LBB25_31:
	s_movk_i32 s0, 0x1000
	v_and_or_b32 v20, v21, s0, v24
	s_waitcnt vmcnt(1)
	ds_write_b64 v24, v[6:7] offset:49152
	v_xor_b32_e32 v6, 8, v24
	ds_write_b64 v6, v[8:9] offset:49152
	s_waitcnt vmcnt(0)
	ds_write_b64 v24, v[2:3] offset:57344
	ds_write_b64 v6, v[4:5] offset:57344
	;; [unrolled: 1-line block ×3, first 2 shown]
	v_xor_b32_e32 v2, 8, v20
	ds_write_b64 v2, v[16:17] offset:49152
	ds_write_b64 v20, v[10:11] offset:57344
	;; [unrolled: 1-line block ×3, first 2 shown]
	v_or_b32_e32 v2, v45, v99
	v_lshlrev_b32_e32 v2, 3, v2
	v_lshrrev_b32_e32 v3, 5, v47
	s_movk_i32 s0, 0xf8
	v_and_or_b32 v3, v2, s0, v3
	v_lshlrev_b32_e32 v7, 4, v3
	v_lshlrev_b32_e32 v24, 11, v1
	v_and_b32_e32 v8, 0x78, v2
	v_or_b32_e32 v10, 32, v7
	v_and_b32_e32 v6, 0x1000, v24
	v_lshrrev_b32_e32 v3, 1, v47
	v_xor_b32_e32 v10, v10, v8
	v_xor_b32_e32 v2, v7, v8
	v_and_b32_e32 v9, 8, v3
	v_or_b32_e32 v10, v10, v6
	v_or_b32_e32 v2, v2, v6
	v_xor_b32_e32 v32, v10, v9
	v_or_b32_e32 v10, 64, v7
	v_xor_b32_e32 v31, v2, v9
	v_xor_b32_e32 v10, v10, v8
	s_waitcnt lgkmcnt(0)
	s_barrier
	v_or_b32_e32 v13, v10, v6
	ds_read_b64 v[10:11], v31 offset:49152
	v_lshl_or_b32 v14, v98, 8, v25
	v_lshlrev_b32_e32 v26, 1, v14
	v_add_u32_e32 v12, 0x4000, v26
	ds_read2_b64 v[2:5], v12 offset1:16
	v_or_b32_e32 v7, 0x60, v7
	v_xor_b32_e32 v7, v7, v8
	v_or_b32_e32 v6, v7, v6
	v_xor_b32_e32 v33, v13, v9
	v_xor_b32_e32 v34, v6, v9
	ds_read_b64 v[20:21], v32 offset:49152
	ds_read_b64 v[36:37], v33 offset:49152
	;; [unrolled: 1-line block ×3, first 2 shown]
	s_waitcnt lgkmcnt(3)
	v_mfma_f32_16x16x16_bf16 a[0:3], v[10:11], v[2:3], 0
	ds_read2st64_b64 v[6:9], v26 offset0:36 offset1:40
	s_lshl_b64 s[0:1], s[46:47], 8
	s_add_u32 s4, s16, s0
	v_mfma_f32_16x16x16_bf16 a[4:7], v[10:11], v[4:5], 0
	ds_read2_b64 v[2:5], v12 offset0:32 offset1:48
	s_addc_u32 s5, s17, s1
	s_add_i32 s0, s53, s43
	s_waitcnt lgkmcnt(0)
	v_mfma_f32_16x16x16_bf16 a[8:11], v[10:11], v[2:3], 0
	v_or_b32_e32 v2, 64, v14
	v_lshlrev_b32_e32 v27, 1, v2
	s_add_i32 s17, s24, -1
	v_mfma_f32_16x16x16_bf16 a[12:15], v[10:11], v[4:5], 0
	ds_read2st64_b64 v[2:5], v27 offset0:36 offset1:40
	s_add_i32 s41, s0, s52
	s_add_i32 s0, s55, s54
	v_mfma_f32_16x16x16_bf16 a[0:3], v[20:21], v[6:7], a[0:3]
	v_or_b32_e32 v6, 0x80, v14
	v_lshlrev_b32_e32 v28, 1, v6
	ds_read2st64_b64 v[10:13], v28 offset0:36 offset1:40
	s_waitcnt lgkmcnt(1)
	v_mfma_f32_16x16x16_bf16 a[4:7], v[20:21], v[2:3], a[4:7]
	v_or_b32_e32 v2, 0xc0, v14
	v_lshlrev_b32_e32 v29, 1, v2
	ds_read2st64_b64 v[14:17], v29 offset0:36 offset1:40
	s_add_i32 s39, s0, s56
	s_ashr_i32 s0, s17, 31
	s_mul_i32 s1, s17, s37
	s_mul_hi_u32 s2, s17, s36
	s_add_i32 s1, s2, s1
	s_mul_i32 s0, s0, s36
	s_waitcnt lgkmcnt(1)
	v_mfma_f32_16x16x16_bf16 a[8:11], v[20:21], v[10:11], a[8:11]
	s_add_i32 s1, s1, s0
	s_lshl_b64 s[2:3], s[40:41], 2
	s_add_u32 s6, s22, s2
	s_waitcnt lgkmcnt(0)
	v_mfma_f32_16x16x16_bf16 a[12:15], v[20:21], v[14:15], a[12:15]
	s_addc_u32 s7, s23, s3
	s_lshl_b64 s[2:3], s[38:39], 2
	s_mul_i32 s0, s17, s36
	v_mfma_f32_16x16x16_bf16 a[0:3], v[36:37], v[8:9], a[0:3]
	ds_read_b64 v[2:3], v26 offset:22528
	s_add_u32 s12, s6, s2
	s_addc_u32 s13, s7, s3
	v_mfma_f32_16x16x16_bf16 a[4:7], v[36:37], v[4:5], a[4:7]
	ds_read_b64 v[4:5], v27 offset:22528
	ds_read_b64 v[6:7], v28 offset:22528
	;; [unrolled: 1-line block ×3, first 2 shown]
	s_lshl_b64 s[0:1], s[0:1], 2
	s_add_u32 s0, s12, s0
	v_mfma_f32_16x16x16_bf16 a[8:11], v[36:37], v[12:13], a[8:11]
	s_addc_u32 s1, s13, s1
	s_load_dword s16, s[0:1], 0x0
	s_and_b64 vcc, exec, s[30:31]
	v_mfma_f32_16x16x16_bf16 a[12:15], v[36:37], v[16:17], a[12:15]
	s_waitcnt lgkmcnt(0)
	v_mfma_f32_16x16x16_bf16 a[0:3], v[38:39], v[2:3], a[0:3]
	v_mfma_f32_16x16x16_bf16 a[4:7], v[38:39], v[4:5], a[4:7]
	;; [unrolled: 1-line block ×4, first 2 shown]
	s_cbranch_vccz .LBB25_42
; %bb.32:
	v_lshlrev_b32_e32 v20, 1, v30
	s_and_b64 vcc, exec, s[18:19]
	s_cbranch_vccz .LBB25_43
; %bb.33:
	v_cmp_gt_i32_e32 vcc, s48, v20
	v_mov_b32_e32 v6, 0
	v_mov_b32_e32 v2, 0
	v_mov_b32_e32 v3, 0
	v_mov_b32_e32 v4, 0
	v_mov_b32_e32 v5, 0
	s_and_saveexec_b64 s[0:1], vcc
	s_cbranch_execz .LBB25_35
; %bb.34:
	v_mad_i64_i32 v[2:3], s[2:3], s27, v20, 0
	v_lshl_add_u64 v[2:3], v[2:3], 1, s[4:5]
	v_lshlrev_b32_e32 v4, 1, v18
	v_mov_b32_e32 v5, 0
	v_lshl_add_u64 v[2:3], v[2:3], 0, v[4:5]
	global_load_dwordx4 v[2:5], v[2:3], off
.LBB25_35:
	s_or_b64 exec, exec, s[0:1]
	v_or_b32_e32 v21, 1, v20
	v_cmp_gt_i32_e64 s[0:1], s48, v21
	v_mov_b32_e32 v7, 0
	v_mov_b32_e32 v8, 0
	;; [unrolled: 1-line block ×3, first 2 shown]
	s_and_saveexec_b64 s[2:3], s[0:1]
	s_cbranch_execz .LBB25_37
; %bb.36:
	v_mad_i64_i32 v[6:7], s[6:7], s27, v21, 0
	v_lshl_add_u64 v[6:7], v[6:7], 1, s[4:5]
	v_lshlrev_b32_e32 v8, 1, v18
	v_mov_b32_e32 v9, 0
	v_lshl_add_u64 v[6:7], v[6:7], 0, v[8:9]
	global_load_dwordx4 v[6:9], v[6:7], off
.LBB25_37:
	s_or_b64 exec, exec, s[2:3]
	v_mov_b32_e32 v17, 0
	v_mov_b32_e32 v10, 0
	;; [unrolled: 1-line block ×5, first 2 shown]
	s_and_saveexec_b64 s[2:3], vcc
	s_cbranch_execz .LBB25_39
; %bb.38:
	v_mad_i64_i32 v[10:11], s[6:7], s27, v20, 0
	v_lshl_add_u64 v[10:11], v[10:11], 1, s[4:5]
	v_lshlrev_b32_e32 v12, 1, v18
	v_mov_b32_e32 v13, 0
	v_lshl_add_u64 v[10:11], v[10:11], 0, v[12:13]
	global_load_dwordx4 v[10:13], v[10:11], off offset:128
.LBB25_39:
	s_or_b64 exec, exec, s[2:3]
	v_mov_b32_e32 v16, 0
	v_mov_b32_e32 v15, 0
	;; [unrolled: 1-line block ×3, first 2 shown]
	s_and_saveexec_b64 s[2:3], s[0:1]
	s_cbranch_execz .LBB25_41
; %bb.40:
	v_mad_i64_i32 v[14:15], s[0:1], s27, v21, 0
	v_lshl_add_u64 v[14:15], v[14:15], 1, s[4:5]
	v_lshlrev_b32_e32 v16, 1, v18
	v_mov_b32_e32 v17, 0
	v_lshl_add_u64 v[14:15], v[14:15], 0, v[16:17]
	global_load_dwordx4 v[14:17], v[14:15], off offset:128
.LBB25_41:
	s_or_b64 exec, exec, s[2:3]
	s_branch .LBB25_45
.LBB25_42:
                                        ; implicit-def: $vgpr5
                                        ; implicit-def: $vgpr9
                                        ; implicit-def: $vgpr13
                                        ; implicit-def: $vgpr17
	v_lshrrev_b32_e32 v35, 2, v47
	s_branch .LBB25_46
.LBB25_43:
                                        ; implicit-def: $vgpr5
                                        ; implicit-def: $vgpr9
                                        ; implicit-def: $vgpr13
                                        ; implicit-def: $vgpr17
	s_cbranch_execz .LBB25_45
; %bb.44:
	s_waitcnt vmcnt(0)
	v_mad_u64_u32 v[2:3], s[0:1], v20, s27, v[18:19]
	v_lshlrev_b32_e32 v20, 1, v2
	s_lshl_b32 s2, s27, 7
	s_and_b32 s1, s5, 0xffff
	s_mov_b32 s3, 0x20000
	s_mov_b32 s0, s4
	v_add_lshl_u32 v21, v2, s27, 1
	s_movk_i32 s6, 0x80
	buffer_load_dwordx4 v[2:5], v20, s[0:3], 0 offen
	buffer_load_dwordx4 v[10:13], v20, s[0:3], s6 offen
	;; [unrolled: 1-line block ×4, first 2 shown]
.LBB25_45:
	v_lshrrev_b32_e32 v35, 2, v47
	s_cbranch_execnz .LBB25_58
.LBB25_46:
	s_and_b64 vcc, exec, s[18:19]
	s_cbranch_vccz .LBB25_56
; %bb.47:
	s_waitcnt vmcnt(0)
	v_lshlrev_b32_e32 v7, 1, v30
	v_cmp_gt_i32_e32 vcc, s48, v7
	v_mov_b32_e32 v6, 0
	v_lshlrev_b32_e32 v14, 9, v30
	v_mov_b32_e32 v2, 0
	v_mov_b32_e32 v3, 0
	v_mov_b32_e32 v4, 0
	v_mov_b32_e32 v5, 0
	s_and_saveexec_b64 s[0:1], vcc
	s_cbranch_execz .LBB25_49
; %bb.48:
	v_mov_b32_e32 v15, 0
	v_lshl_add_u64 v[2:3], s[4:5], 0, v[14:15]
	v_lshlrev_b32_e32 v4, 1, v18
	v_mov_b32_e32 v5, v15
	v_lshl_add_u64 v[2:3], v[2:3], 0, v[4:5]
	global_load_dwordx4 v[2:5], v[2:3], off
.LBB25_49:
	s_or_b64 exec, exec, s[0:1]
	v_or_b32_e32 v7, 1, v7
	v_cmp_gt_i32_e64 s[0:1], s48, v7
	v_lshlrev_b32_e32 v20, 8, v7
	v_mov_b32_e32 v7, 0
	v_mov_b32_e32 v8, 0
	;; [unrolled: 1-line block ×3, first 2 shown]
	s_and_saveexec_b64 s[2:3], s[0:1]
	s_cbranch_execz .LBB25_51
; %bb.50:
	v_mov_b32_e32 v21, 0
	v_lshl_add_u64 v[6:7], s[4:5], 0, v[20:21]
	v_lshlrev_b32_e32 v8, 1, v18
	v_mov_b32_e32 v9, v21
	v_lshl_add_u64 v[6:7], v[6:7], 0, v[8:9]
	global_load_dwordx4 v[6:9], v[6:7], off
.LBB25_51:
	s_or_b64 exec, exec, s[2:3]
	v_mov_b32_e32 v17, 0
	v_mov_b32_e32 v10, 0
	v_mov_b32_e32 v11, 0
	v_mov_b32_e32 v12, 0
	v_mov_b32_e32 v13, 0
	s_and_saveexec_b64 s[2:3], vcc
	s_cbranch_execz .LBB25_53
; %bb.52:
	v_mov_b32_e32 v15, 0
	v_lshl_add_u64 v[10:11], s[4:5], 0, v[14:15]
	v_lshlrev_b32_e32 v14, 1, v18
	v_lshl_add_u64 v[10:11], v[10:11], 0, v[14:15]
	global_load_dwordx4 v[10:13], v[10:11], off offset:128
.LBB25_53:
	s_or_b64 exec, exec, s[2:3]
	v_mov_b32_e32 v16, 0
	v_mov_b32_e32 v15, 0
	;; [unrolled: 1-line block ×3, first 2 shown]
	s_and_saveexec_b64 s[2:3], s[0:1]
	s_cbranch_execz .LBB25_55
; %bb.54:
	v_mov_b32_e32 v21, 0
	v_lshl_add_u64 v[14:15], s[4:5], 0, v[20:21]
	v_lshlrev_b32_e32 v20, 1, v18
	v_lshl_add_u64 v[14:15], v[14:15], 0, v[20:21]
	global_load_dwordx4 v[14:17], v[14:15], off offset:128
.LBB25_55:
	s_or_b64 exec, exec, s[2:3]
	s_branch .LBB25_58
.LBB25_56:
                                        ; implicit-def: $vgpr5
                                        ; implicit-def: $vgpr9
                                        ; implicit-def: $vgpr13
                                        ; implicit-def: $vgpr17
	s_cbranch_execz .LBB25_58
; %bb.57:
	s_waitcnt vmcnt(0)
	v_lshlrev_b32_e32 v2, 1, v18
	v_lshl_or_b32 v18, v30, 9, v2
	s_and_b32 s5, s5, 0xffff
	s_mov_b32 s7, 0x20000
	s_movk_i32 s6, 0x4000
	s_movk_i32 s0, 0x80
	buffer_load_dwordx4 v[2:5], v18, s[4:7], 0 offen
	buffer_load_dwordx4 v[6:9], v18, s[4:7], 0 offen offset:256
	buffer_load_dwordx4 v[10:13], v18, s[4:7], s0 offen
	buffer_load_dwordx4 v[14:17], v18, s[4:7], s0 offen offset:256
.LBB25_58:
	ds_read_b64 v[20:21], v31 offset:57344
	v_add_u32_e32 v18, 0x6000, v26
	ds_read2_b64 v[36:39], v18 offset1:16
	ds_read_b64 v[94:95], v32 offset:57344
	ds_read_b64 v[96:97], v33 offset:57344
	ds_read_b64 v[98:99], v34 offset:57344
	v_and_b32_e32 v31, 6, v0
	v_xor_b32_e32 v30, v30, v31
	v_lshlrev_b32_e32 v30, 2, v30
	s_mov_b32 s0, 0x1000504
	s_mov_b32 s1, 0x3020706
	s_waitcnt lgkmcnt(3)
	v_mfma_f32_16x16x16_bf16 a[0:3], v[20:21], v[36:37], a[0:3]
	v_mfma_f32_16x16x16_bf16 a[4:7], v[20:21], v[38:39], a[4:7]
	ds_read2_b64 v[36:39], v18 offset0:32 offset1:48
	v_and_b32_e32 v18, 12, v35
	ds_read2st64_b64 v[32:35], v26 offset0:52 offset1:56
	s_waitcnt lgkmcnt(1)
	v_mfma_f32_16x16x16_bf16 a[8:11], v[20:21], v[36:37], a[8:11]
	v_mfma_f32_16x16x16_bf16 a[12:15], v[20:21], v[38:39], a[12:15]
	ds_read2st64_b64 v[36:39], v27 offset0:52 offset1:56
	ds_read2st64_b64 v[40:43], v28 offset0:52 offset1:56
	;; [unrolled: 1-line block ×3, first 2 shown]
	s_waitcnt lgkmcnt(3)
	v_mfma_f32_16x16x16_bf16 a[0:3], v[94:95], v[32:33], a[0:3]
	ds_read_b64 v[20:21], v26 offset:30720
	ds_read_b64 v[32:33], v27 offset:30720
	;; [unrolled: 1-line block ×4, first 2 shown]
	s_waitcnt lgkmcnt(6)
	v_mfma_f32_16x16x16_bf16 a[4:7], v[94:95], v[36:37], a[4:7]
	v_and_b32_e32 v36, 1, v0
	v_xor_b32_e32 v37, 0x440, v30
	v_cmp_eq_u32_e32 vcc, 0, v36
	s_waitcnt lgkmcnt(5)
	v_mfma_f32_16x16x16_bf16 a[8:11], v[94:95], v[40:41], a[8:11]
	v_cndmask_b32_e32 v30, v37, v30, vcc
	v_lshl_or_b32 v30, v31, 10, v30
	s_waitcnt lgkmcnt(4)
	v_mfma_f32_16x16x16_bf16 a[12:15], v[94:95], v[90:91], a[12:15]
	s_waitcnt vmcnt(0)
	v_perm_b32 v31, v2, v6, s0
	v_perm_b32 v2, v2, v6, s1
	;; [unrolled: 1-line block ×3, first 2 shown]
	v_mfma_f32_16x16x16_bf16 a[0:3], v[96:97], v[34:35], a[0:3]
	v_perm_b32 v34, v10, v14, s0
	ds_write2st64_b32 v30, v31, v34 offset0:128 offset1:160
	v_xor_b32_e32 v31, 8, v30
	v_add_u32_e32 v10, 0x80, v31
	ds_write2st64_b32 v10, v2, v6 offset0:128 offset1:160
	v_xor_b32_e32 v2, 16, v30
	v_perm_b32 v6, v3, v7, s0
	v_perm_b32 v10, v11, v15, s0
	v_mfma_f32_16x16x16_bf16 a[4:7], v[96:97], v[38:39], a[4:7]
	ds_write2st64_b32 v2, v6, v10 offset0:129 offset1:161
	v_xor_b32_e32 v2, 24, v30
	v_perm_b32 v3, v3, v7, s1
	v_mfma_f32_16x16x16_bf16 a[16:19], v[96:97], v[42:43], a[8:11]
	v_perm_b32 v6, v11, v15, s1
	v_add_u32_e32 v2, 0x80, v2
	ds_write2st64_b32 v2, v3, v6 offset0:129 offset1:161
	v_mfma_f32_16x16x16_bf16 a[20:23], v[96:97], v[92:93], a[12:15]
	v_xor_b32_e32 v2, 32, v30
	v_perm_b32 v3, v4, v8, s0
	v_perm_b32 v6, v12, v16, s0
	ds_write2st64_b32 v2, v3, v6 offset0:130 offset1:162
	v_xor_b32_e32 v2, 40, v30
	s_waitcnt lgkmcnt(8)
	v_mfma_f32_16x16x16_bf16 a[12:15], v[98:99], v[20:21], a[0:3]
	v_perm_b32 v3, v4, v8, s1
	v_perm_b32 v4, v12, v16, s1
	v_add_u32_e32 v2, 0x80, v2
	s_waitcnt lgkmcnt(7)
	v_mfma_f32_16x16x16_bf16 a[8:11], v[98:99], v[32:33], a[4:7]
	ds_write2st64_b32 v2, v3, v4 offset0:130 offset1:162
	v_xor_b32_e32 v2, 48, v30
	v_perm_b32 v3, v5, v9, s0
	s_waitcnt lgkmcnt(7)
	v_mfma_f32_16x16x16_bf16 a[4:7], v[98:99], v[100:101], a[16:19]
	v_perm_b32 v4, v13, v17, s0
	ds_write2st64_b32 v2, v3, v4 offset0:131 offset1:163
	v_xor_b32_e32 v2, 56, v30
	s_waitcnt lgkmcnt(7)
	v_mfma_f32_16x16x16_bf16 a[0:3], v[98:99], v[102:103], a[20:23]
	v_or_b32_e32 v20, v18, v45
	v_perm_b32 v3, v5, v9, s1
	v_perm_b32 v4, v13, v17, s1
	v_add_u32_e32 v2, 0x80, v2
	v_cmp_gt_i32_e64 s[0:1], s48, v20
	v_mov_b32_e32 v30, 0
	v_mov_b32_e32 v31, 0
	ds_write2st64_b32 v2, v3, v4 offset0:131 offset1:163
	s_and_saveexec_b64 s[2:3], s[0:1]
	s_cbranch_execz .LBB25_60
; %bb.59:
	v_add_u32_e32 v2, s45, v20
	v_ashrrev_i32_e32 v3, 31, v2
	v_mul_lo_u32 v4, v3, s36
	v_mul_lo_u32 v5, v2, s37
	v_mad_u64_u32 v[2:3], s[4:5], v2, s36, 0
	v_add3_u32 v3, v3, v5, v4
	v_lshl_add_u64 v[2:3], v[2:3], 2, s[12:13]
	global_load_dword v2, v[2:3], off
	s_waitcnt vmcnt(0)
	v_sub_f32_e32 v2, s16, v2
	v_exp_f32_e32 v31, v2
.LBB25_60:
	s_or_b64 exec, exec, s[2:3]
	v_or_b32_e32 v14, 1, v20
	v_cmp_gt_i32_e64 s[4:5], s48, v14
	s_and_saveexec_b64 s[2:3], s[4:5]
	s_cbranch_execz .LBB25_62
; %bb.61:
	v_add_u32_e32 v2, s45, v14
	v_ashrrev_i32_e32 v3, 31, v2
	v_mul_lo_u32 v4, v3, s36
	v_mul_lo_u32 v5, v2, s37
	v_mad_u64_u32 v[2:3], s[6:7], v2, s36, 0
	v_add3_u32 v3, v3, v5, v4
	v_lshl_add_u64 v[2:3], v[2:3], 2, s[12:13]
	global_load_dword v2, v[2:3], off
	s_waitcnt vmcnt(0)
	v_sub_f32_e32 v2, s16, v2
	v_exp_f32_e32 v30, v2
.LBB25_62:
	s_or_b64 exec, exec, s[2:3]
	v_or_b32_e32 v10, 2, v20
	v_cmp_gt_i32_e64 s[2:3], s48, v10
	v_mov_b32_e32 v21, 0
	v_mov_b32_e32 v32, 0
	s_and_saveexec_b64 s[6:7], s[2:3]
	s_cbranch_execz .LBB25_64
; %bb.63:
	v_add_u32_e32 v2, s45, v10
	v_ashrrev_i32_e32 v3, 31, v2
	v_mul_lo_u32 v4, v3, s36
	v_mul_lo_u32 v5, v2, s37
	v_mad_u64_u32 v[2:3], s[18:19], v2, s36, 0
	v_add3_u32 v3, v3, v5, v4
	v_lshl_add_u64 v[2:3], v[2:3], 2, s[12:13]
	global_load_dword v2, v[2:3], off
	s_waitcnt vmcnt(0)
	v_sub_f32_e32 v2, s16, v2
	v_exp_f32_e32 v32, v2
.LBB25_64:
	s_or_b64 exec, exec, s[6:7]
	v_or_b32_e32 v11, 3, v20
	v_cmp_gt_i32_e32 vcc, s48, v11
	s_and_saveexec_b64 s[6:7], vcc
	s_cbranch_execz .LBB25_66
; %bb.65:
	v_add_u32_e32 v2, s45, v11
	v_ashrrev_i32_e32 v3, 31, v2
	v_mul_lo_u32 v4, v3, s36
	v_mul_lo_u32 v5, v2, s37
	v_mad_u64_u32 v[2:3], s[18:19], v2, s36, 0
	v_add3_u32 v3, v3, v5, v4
	v_lshl_add_u64 v[2:3], v[2:3], 2, s[12:13]
	global_load_dword v2, v[2:3], off
	s_waitcnt vmcnt(0)
	v_sub_f32_e32 v2, s16, v2
	v_exp_f32_e32 v21, v2
.LBB25_66:
	s_or_b64 exec, exec, s[6:7]
	s_add_u32 s6, s20, s28
	s_addc_u32 s7, s21, s29
	s_add_u32 s12, s14, s28
	v_ashrrev_i32_e32 v89, 31, v88
	v_accvgpr_read_b32 v2, a12
	s_addc_u32 s13, s15, s29
	v_lshlrev_b64 v[6:7], 1, v[88:89]
	v_accvgpr_read_b32 v3, a13
	v_accvgpr_read_b32 v4, a14
	;; [unrolled: 1-line block ×3, first 2 shown]
	v_lshl_add_u64 v[8:9], s[6:7], 0, v[6:7]
	v_lshl_add_u64 v[6:7], s[12:13], 0, v[6:7]
	v_mov_b32_e32 v15, 0
	v_lshlrev_b32_e32 v12, 8, v20
	v_mov_b32_e32 v13, 0
	s_and_saveexec_b64 s[6:7], s[0:1]
	s_cbranch_execz .LBB25_68
; %bb.67:
	v_mov_b32_e32 v13, 0
	v_lshl_add_u64 v[16:17], v[8:9], 0, v[12:13]
	global_load_ushort v33, v[16:17], off
	v_lshl_add_u64 v[16:17], v[6:7], 0, v[12:13]
	s_waitcnt vmcnt(0)
	v_lshlrev_b32_e32 v13, 16, v33
	v_sub_f32_e32 v2, v13, v2
	global_store_short_d16_hi v[16:17], v2, off
	v_mul_f32_e32 v2, v31, v2
	v_lshrrev_b32_e32 v13, 16, v2
.LBB25_68:
	s_or_b64 exec, exec, s[6:7]
	v_lshlrev_b32_e32 v14, 8, v14
	s_and_saveexec_b64 s[6:7], s[4:5]
	s_cbranch_execz .LBB25_70
; %bb.69:
	v_mov_b32_e32 v15, 0
	v_lshl_add_u64 v[16:17], v[8:9], 0, v[14:15]
	global_load_ushort v2, v[16:17], off
	v_lshl_add_u64 v[16:17], v[6:7], 0, v[14:15]
	s_waitcnt vmcnt(0)
	v_lshlrev_b32_e32 v2, 16, v2
	v_sub_f32_e32 v2, v2, v3
	global_store_short_d16_hi v[16:17], v2, off
	v_mul_f32_e32 v2, v30, v2
	v_lshrrev_b32_e32 v15, 16, v2
.LBB25_70:
	s_or_b64 exec, exec, s[6:7]
	v_mov_b32_e32 v34, 0
	v_lshlrev_b32_e32 v16, 8, v10
	v_mov_b32_e32 v17, 0
	s_and_saveexec_b64 s[6:7], s[2:3]
	s_cbranch_execz .LBB25_72
; %bb.71:
	v_mov_b32_e32 v17, 0
	v_lshl_add_u64 v[2:3], v[8:9], 0, v[16:17]
	global_load_ushort v10, v[2:3], off
	v_lshl_add_u64 v[2:3], v[6:7], 0, v[16:17]
	s_waitcnt vmcnt(0)
	v_lshlrev_b32_e32 v10, 16, v10
	v_sub_f32_e32 v4, v10, v4
	global_store_short_d16_hi v[2:3], v4, off
	v_mul_f32_e32 v2, v32, v4
	v_lshrrev_b32_e32 v17, 16, v2
.LBB25_72:
	s_or_b64 exec, exec, s[6:7]
	v_lshlrev_b32_e32 v10, 8, v11
	s_and_saveexec_b64 s[6:7], vcc
	s_cbranch_execz .LBB25_74
; %bb.73:
	v_mov_b32_e32 v11, 0
	v_lshl_add_u64 v[2:3], v[8:9], 0, v[10:11]
	global_load_ushort v4, v[2:3], off
	v_lshl_add_u64 v[2:3], v[6:7], 0, v[10:11]
	s_waitcnt vmcnt(0)
	v_lshlrev_b32_e32 v4, 16, v4
	v_sub_f32_e32 v4, v4, v5
	global_store_short_d16_hi v[2:3], v4, off
	v_mul_f32_e32 v2, v21, v4
	v_lshrrev_b32_e32 v34, 16, v2
.LBB25_74:
	s_or_b64 exec, exec, s[6:7]
	v_lshlrev_b32_e32 v33, 6, v20
	v_accvgpr_read_b32 v2, a8
	s_mov_b32 s6, 0x5040100
	v_or_b32_e32 v11, v33, v25
	v_accvgpr_read_b32 v3, a9
	v_accvgpr_read_b32 v4, a10
	;; [unrolled: 1-line block ×3, first 2 shown]
	v_perm_b32 v35, v34, v17, s6
	v_perm_b32 v34, v15, v13, s6
	v_lshlrev_b32_e32 v11, 1, v11
	v_mov_b32_e32 v15, 0
	v_mov_b32_e32 v13, 0
	ds_write_b64 v11, v[34:35] offset:24576
	s_and_saveexec_b64 s[6:7], s[0:1]
	s_cbranch_execz .LBB25_76
; %bb.75:
	v_mov_b32_e32 v13, 0
	v_lshl_add_u64 v[34:35], v[8:9], 0, v[12:13]
	global_load_ushort v11, v[34:35], off offset:32
	v_lshl_add_u64 v[34:35], v[6:7], 0, v[12:13]
	s_waitcnt vmcnt(0)
	v_lshlrev_b32_e32 v11, 16, v11
	v_sub_f32_e32 v2, v11, v2
	global_store_short_d16_hi v[34:35], v2, off offset:32
	v_mul_f32_e32 v2, v31, v2
	v_lshrrev_b32_e32 v13, 16, v2
.LBB25_76:
	s_or_b64 exec, exec, s[6:7]
	s_and_saveexec_b64 s[6:7], s[4:5]
	s_cbranch_execz .LBB25_78
; %bb.77:
	v_mov_b32_e32 v15, 0
	v_lshl_add_u64 v[34:35], v[8:9], 0, v[14:15]
	global_load_ushort v2, v[34:35], off offset:32
	v_lshl_add_u64 v[34:35], v[6:7], 0, v[14:15]
	s_waitcnt vmcnt(0)
	v_lshlrev_b32_e32 v2, 16, v2
	v_sub_f32_e32 v2, v2, v3
	global_store_short_d16_hi v[34:35], v2, off offset:32
	v_mul_f32_e32 v2, v30, v2
	v_lshrrev_b32_e32 v15, 16, v2
.LBB25_78:
	s_or_b64 exec, exec, s[6:7]
	v_mov_b32_e32 v11, 0
	v_mov_b32_e32 v17, 0
	s_and_saveexec_b64 s[6:7], s[2:3]
	s_cbranch_execz .LBB25_80
; %bb.79:
	v_mov_b32_e32 v17, 0
	v_lshl_add_u64 v[2:3], v[8:9], 0, v[16:17]
	global_load_ushort v25, v[2:3], off offset:32
	v_lshl_add_u64 v[2:3], v[6:7], 0, v[16:17]
	s_waitcnt vmcnt(0)
	v_lshlrev_b32_e32 v17, 16, v25
	v_sub_f32_e32 v4, v17, v4
	global_store_short_d16_hi v[2:3], v4, off offset:32
	v_mul_f32_e32 v2, v32, v4
	v_lshrrev_b32_e32 v17, 16, v2
.LBB25_80:
	s_or_b64 exec, exec, s[6:7]
	s_and_saveexec_b64 s[6:7], vcc
	s_cbranch_execz .LBB25_82
; %bb.81:
	v_mov_b32_e32 v11, 0
	v_lshl_add_u64 v[2:3], v[8:9], 0, v[10:11]
	global_load_ushort v4, v[2:3], off offset:32
	v_lshl_add_u64 v[2:3], v[6:7], 0, v[10:11]
	s_waitcnt vmcnt(0)
	v_lshlrev_b32_e32 v4, 16, v4
	v_sub_f32_e32 v4, v4, v5
	global_store_short_d16_hi v[2:3], v4, off offset:32
	v_mul_f32_e32 v2, v21, v4
	v_lshrrev_b32_e32 v11, 16, v2
.LBB25_82:
	s_or_b64 exec, exec, s[6:7]
	s_mov_b32 s6, 0x5040100
	v_accvgpr_read_b32 v2, a4
	v_perm_b32 v35, v11, v17, s6
	v_or_b32_e32 v11, v33, v23
	v_accvgpr_read_b32 v3, a5
	v_accvgpr_read_b32 v4, a6
	;; [unrolled: 1-line block ×3, first 2 shown]
	v_perm_b32 v34, v15, v13, s6
	v_lshlrev_b32_e32 v11, 1, v11
	v_mov_b32_e32 v15, 0
	v_mov_b32_e32 v13, 0
	ds_write_b64 v11, v[34:35] offset:24576
	s_and_saveexec_b64 s[6:7], s[0:1]
	s_cbranch_execz .LBB25_84
; %bb.83:
	v_mov_b32_e32 v13, 0
	v_lshl_add_u64 v[34:35], v[8:9], 0, v[12:13]
	global_load_ushort v11, v[34:35], off offset:64
	v_lshl_add_u64 v[34:35], v[6:7], 0, v[12:13]
	s_waitcnt vmcnt(0)
	v_lshlrev_b32_e32 v11, 16, v11
	v_sub_f32_e32 v2, v11, v2
	global_store_short_d16_hi v[34:35], v2, off offset:64
	v_mul_f32_e32 v2, v31, v2
	v_lshrrev_b32_e32 v13, 16, v2
.LBB25_84:
	s_or_b64 exec, exec, s[6:7]
	s_and_saveexec_b64 s[6:7], s[4:5]
	s_cbranch_execz .LBB25_86
; %bb.85:
	v_mov_b32_e32 v15, 0
	v_lshl_add_u64 v[34:35], v[8:9], 0, v[14:15]
	global_load_ushort v2, v[34:35], off offset:64
	v_lshl_add_u64 v[34:35], v[6:7], 0, v[14:15]
	s_waitcnt vmcnt(0)
	v_lshlrev_b32_e32 v2, 16, v2
	v_sub_f32_e32 v2, v2, v3
	global_store_short_d16_hi v[34:35], v2, off offset:64
	v_mul_f32_e32 v2, v30, v2
	v_lshrrev_b32_e32 v15, 16, v2
.LBB25_86:
	s_or_b64 exec, exec, s[6:7]
	v_mov_b32_e32 v11, 0
	v_mov_b32_e32 v17, 0
	s_and_saveexec_b64 s[6:7], s[2:3]
	s_cbranch_execz .LBB25_88
; %bb.87:
	v_mov_b32_e32 v17, 0
	v_lshl_add_u64 v[2:3], v[8:9], 0, v[16:17]
	global_load_ushort v23, v[2:3], off offset:64
	v_lshl_add_u64 v[2:3], v[6:7], 0, v[16:17]
	s_waitcnt vmcnt(0)
	v_lshlrev_b32_e32 v17, 16, v23
	v_sub_f32_e32 v4, v17, v4
	global_store_short_d16_hi v[2:3], v4, off offset:64
	v_mul_f32_e32 v2, v32, v4
	v_lshrrev_b32_e32 v17, 16, v2
.LBB25_88:
	s_or_b64 exec, exec, s[6:7]
	s_and_saveexec_b64 s[6:7], vcc
	s_cbranch_execz .LBB25_90
; %bb.89:
	v_mov_b32_e32 v11, 0
	v_lshl_add_u64 v[2:3], v[8:9], 0, v[10:11]
	global_load_ushort v4, v[2:3], off offset:64
	v_lshl_add_u64 v[2:3], v[6:7], 0, v[10:11]
	s_waitcnt vmcnt(0)
	v_lshlrev_b32_e32 v4, 16, v4
	v_sub_f32_e32 v4, v4, v5
	global_store_short_d16_hi v[2:3], v4, off offset:64
	v_mul_f32_e32 v2, v21, v4
	v_lshrrev_b32_e32 v11, 16, v2
.LBB25_90:
	s_or_b64 exec, exec, s[6:7]
	s_mov_b32 s6, 0x5040100
	v_accvgpr_read_b32 v5, a3
	v_perm_b32 v35, v11, v17, s6
	v_or_b32_e32 v11, v33, v22
	v_accvgpr_read_b32 v4, a2
	v_accvgpr_read_b32 v3, a1
	;; [unrolled: 1-line block ×3, first 2 shown]
	v_perm_b32 v34, v15, v13, s6
	v_lshlrev_b32_e32 v11, 1, v11
	v_mov_b32_e32 v15, 0
	v_mov_b32_e32 v13, 0
	ds_write_b64 v11, v[34:35] offset:24576
	s_and_saveexec_b64 s[6:7], s[0:1]
	s_cbranch_execz .LBB25_92
; %bb.91:
	v_mov_b32_e32 v13, 0
	v_lshl_add_u64 v[22:23], v[8:9], 0, v[12:13]
	global_load_ushort v11, v[22:23], off offset:96
	v_lshl_add_u64 v[12:13], v[6:7], 0, v[12:13]
	s_waitcnt vmcnt(0)
	v_lshlrev_b32_e32 v11, 16, v11
	v_sub_f32_e32 v2, v11, v2
	global_store_short_d16_hi v[12:13], v2, off offset:96
	v_mul_f32_e32 v2, v31, v2
	v_lshrrev_b32_e32 v13, 16, v2
.LBB25_92:
	s_or_b64 exec, exec, s[6:7]
	s_and_saveexec_b64 s[0:1], s[4:5]
	s_cbranch_execz .LBB25_94
; %bb.93:
	v_mov_b32_e32 v15, 0
	v_lshl_add_u64 v[22:23], v[8:9], 0, v[14:15]
	global_load_ushort v2, v[22:23], off offset:96
	v_lshl_add_u64 v[14:15], v[6:7], 0, v[14:15]
	s_waitcnt vmcnt(0)
	v_lshlrev_b32_e32 v2, 16, v2
	v_sub_f32_e32 v2, v2, v3
	global_store_short_d16_hi v[14:15], v2, off offset:96
	v_mul_f32_e32 v2, v30, v2
	v_lshrrev_b32_e32 v15, 16, v2
.LBB25_94:
	s_or_b64 exec, exec, s[0:1]
	v_mov_b32_e32 v11, 0
	v_mov_b32_e32 v14, 0
	s_and_saveexec_b64 s[0:1], s[2:3]
	s_cbranch_execz .LBB25_96
; %bb.95:
	v_mov_b32_e32 v17, 0
	v_lshl_add_u64 v[2:3], v[8:9], 0, v[16:17]
	global_load_ushort v12, v[2:3], off offset:96
	v_lshl_add_u64 v[2:3], v[6:7], 0, v[16:17]
	s_waitcnt vmcnt(0)
	v_lshlrev_b32_e32 v12, 16, v12
	v_sub_f32_e32 v4, v12, v4
	global_store_short_d16_hi v[2:3], v4, off offset:96
	v_mul_f32_e32 v2, v32, v4
	v_lshrrev_b32_e32 v14, 16, v2
.LBB25_96:
	s_or_b64 exec, exec, s[0:1]
	v_or_b32_e32 v12, 0x6000, v26
	v_or_b32_e32 v2, 0x6000, v27
	;; [unrolled: 1-line block ×4, first 2 shown]
	s_and_saveexec_b64 s[0:1], vcc
	s_cbranch_execz .LBB25_98
; %bb.97:
	v_mov_b32_e32 v11, 0
	v_lshl_add_u64 v[8:9], v[8:9], 0, v[10:11]
	global_load_ushort v8, v[8:9], off offset:96
	v_lshl_add_u64 v[6:7], v[6:7], 0, v[10:11]
	s_waitcnt vmcnt(0)
	v_lshlrev_b32_e32 v8, 16, v8
	v_sub_f32_e32 v5, v8, v5
	global_store_short_d16_hi v[6:7], v5, off offset:96
	v_mul_f32_e32 v5, v21, v5
	v_lshrrev_b32_e32 v11, 16, v5
.LBB25_98:
	s_or_b64 exec, exec, s[0:1]
	s_mov_b32 s0, 0x5040100
	v_or_b32_e32 v5, v33, v19
	v_perm_b32 v7, v11, v14, s0
	v_perm_b32 v6, v15, v13, s0
	v_lshlrev_b32_e32 v5, 1, v5
	ds_write_b64 v5, v[6:7] offset:24576
	v_and_b32_e32 v5, 7, v0
	v_and_b32_e32 v10, 8, v0
	v_lshlrev_b32_e32 v13, 3, v5
	v_lshlrev_b32_e32 v19, 7, v5
	v_lshrrev_b32_e32 v5, 1, v0
	v_and_b32_e32 v5, 24, v5
	v_mov_b32_e32 v11, 0x400
	v_cmp_eq_u32_e32 vcc, 0, v10
	s_movk_i32 s2, 0x100
	v_lshlrev_b32_e32 v25, 3, v1
	v_cndmask_b32_e64 v21, v11, 64, vcc
	v_mov_b32_e32 v10, 0xa000
	v_mov_b32_e32 v11, 0x8000
	v_cmp_gt_u32_e64 s[0:1], s2, v0
	v_xor_b32_e32 v42, v25, v5
	v_or_b32_e32 v14, 32, v5
	v_cndmask_b32_e64 v0, v10, v11, s[0:1]
	v_or_b32_e32 v10, 0x440, v42
	v_cndmask_b32_e32 v10, v10, v42, vcc
	v_or_b32_e32 v10, v10, v24
	v_xor_b32_e32 v47, v10, v13
	v_xor_b32_e32 v14, v25, v14
	v_add3_u32 v10, v0, v47, v19
	v_or_b32_e32 v15, 0x440, v14
	s_waitcnt lgkmcnt(0)
	s_barrier
	ds_read_b64 v[10:11], v10
	v_cndmask_b32_e32 v14, v15, v14, vcc
	v_or_b32_e32 v14, v14, v24
	v_xor_b32_e32 v90, v14, v13
	v_add3_u32 v14, v0, v90, v19
	ds_read_b64 v[22:23], v14
	ds_read2_b64 v[6:9], v12 offset1:16
	ds_read2_b64 v[14:17], v12 offset0:32 offset1:48
	v_or_b32_e32 v5, 0x60, v5
	v_xor_b32_e32 v5, v25, v5
	s_add_i32 s0, s17, s51
	s_waitcnt lgkmcnt(1)
	v_mfma_f32_16x16x16_bf16 a[0:3], v[10:11], v[6:7], 0
	ds_read2st64_b64 v[26:29], v12 offset0:4 offset1:8
	ds_read2st64_b64 v[30:33], v2 offset0:4 offset1:8
	;; [unrolled: 1-line block ×4, first 2 shown]
	v_mfma_f32_16x16x16_bf16 a[4:7], v[10:11], v[8:9], 0
	s_mul_hi_i32 s1, s0, s25
	s_mul_i32 s0, s0, s25
	s_add_u32 s0, s0, s33
	s_waitcnt lgkmcnt(4)
	v_mfma_f32_16x16x16_bf16 a[8:11], v[10:11], v[14:15], 0
	s_addc_u32 s1, s1, s50
	s_lshl_b64 s[0:1], s[0:1], 9
	s_add_u32 s0, s8, s0
	v_mfma_f32_16x16x16_bf16 a[12:15], v[10:11], v[16:17], 0
	v_or3_b32 v10, v24, v21, v42
	v_xor_b32_e32 v21, 0x440, v5
	v_cndmask_b32_e32 v5, v21, v5, vcc
	v_xor_b32_e32 v10, v10, v13
	v_or_b32_e32 v5, v5, v24
	v_or_b32_e32 v91, v10, v19
	v_xor_b32_e32 v13, v5, v13
	v_or_b32_e32 v10, v0, v91
	v_add3_u32 v0, v0, v13, v19
	s_waitcnt lgkmcnt(3)
	v_mfma_f32_16x16x16_bf16 a[0:3], v[22:23], v[26:27], a[0:3]
	ds_read_b64 v[10:11], v10
	s_addc_u32 s1, s9, s1
	ds_read_b64 v[24:25], v12 offset:6144
	s_waitcnt lgkmcnt(4)
	v_mfma_f32_16x16x16_bf16 a[4:7], v[22:23], v[30:31], a[4:7]
	s_waitcnt lgkmcnt(3)
	v_mfma_f32_16x16x16_bf16 a[8:11], v[22:23], v[34:35], a[8:11]
	;; [unrolled: 2-line block ×3, first 2 shown]
	ds_read_b64 v[22:23], v0
	v_lshlrev_b32_e32 v0, 2, v20
	ds_read_b64 v[42:43], v2 offset:6144
	ds_read_b64 v[44:45], v3 offset:6144
	;; [unrolled: 1-line block ×3, first 2 shown]
	global_load_dwordx4 v[2:5], v0, s[0:1]
	v_add_u32_e32 v0, v47, v19
	ds_read_b64 v[20:21], v0 offset:40960
	v_lshlrev_b32_e32 v0, 6, v1
	v_lshlrev_b32_e32 v1, 2, v18
	s_waitcnt lgkmcnt(6)
	v_mfma_f32_16x16x16_bf16 a[0:3], v[10:11], v[28:29], a[0:3]
	s_waitcnt vmcnt(0)
	v_exp_f32_e32 v2, v2
	v_mfma_f32_16x16x16_bf16 a[4:7], v[10:11], v[32:33], a[4:7]
	v_exp_f32_e32 v3, v3
	v_exp_f32_e32 v4, v4
	v_exp_f32_e32 v5, v5
	v_mfma_f32_16x16x16_bf16 a[8:11], v[10:11], v[36:37], a[8:11]
	v_mfma_f32_16x16x16_bf16 a[12:15], v[10:11], v[40:41], a[12:15]
	v_or3_b32 v10, v0, v1, s2
	v_add_u32_e32 v0, v90, v19
	v_add_u32_e32 v11, v13, v19
	ds_read_b64 v[0:1], v0 offset:40960
	ds_read_b64 v[18:19], v11 offset:40960
	global_load_dwordx4 v[10:13], v10, s[0:1]
	s_waitcnt lgkmcnt(6)
	v_mfma_f32_16x16x16_bf16 a[0:3], v[22:23], v[24:25], a[0:3]
	s_waitcnt lgkmcnt(2)
	v_mfma_f32_16x16x16_bf16 a[16:19], v[20:21], v[6:7], 0
	v_exp_f32_e32 v6, s16
	s_nop 0
	v_pk_mul_f32 v[2:3], v[6:7], v[2:3] op_sel_hi:[0,1]
	v_mfma_f32_16x16x16_bf16 a[20:23], v[20:21], v[8:9], 0
	s_nop 0
	v_accvgpr_read_b32 v9, a3
	v_accvgpr_read_b32 v8, a2
	v_pk_mul_f32 v[4:5], v[6:7], v[4:5] op_sel_hi:[0,1]
	v_mfma_f32_16x16x16_bf16 a[24:27], v[20:21], v[14:15], 0
	v_pk_fma_f32 v[86:87], v[86:87], v[4:5], v[8:9]
	s_waitcnt vmcnt(0)
	v_exp_f32_e32 v8, v10
	v_mfma_f32_16x16x16_bf16 a[28:31], v[20:21], v[16:17], 0
	ds_read_b64 v[20:21], v91 offset:40960
	v_mfma_f32_16x16x16_bf16 a[4:7], v[22:23], v[42:43], a[4:7]
	v_mfma_f32_16x16x16_bf16 a[8:11], v[22:23], v[44:45], a[8:11]
	s_waitcnt lgkmcnt(2)
	v_mfma_f32_16x16x16_bf16 a[16:19], v[0:1], v[26:27], a[16:19]
	v_accvgpr_read_b32 v27, a1
	v_accvgpr_read_b32 v26, a0
	s_nop 1
	v_accvgpr_read_b32 v15, a7
	v_mfma_f32_16x16x16_bf16 a[12:15], v[22:23], v[88:89], a[12:15]
	v_accvgpr_read_b32 v14, a6
	v_accvgpr_read_b32 v17, a11
	;; [unrolled: 1-line block ×3, first 2 shown]
	v_mfma_f32_16x16x16_bf16 a[20:23], v[0:1], v[30:31], a[20:23]
	v_pk_fma_f32 v[82:83], v[82:83], v[2:3], v[26:27]
	v_pk_fma_f32 v[78:79], v[4:5], v[78:79], v[14:15]
	;; [unrolled: 1-line block ×3, first 2 shown]
	v_mfma_f32_16x16x16_bf16 a[24:27], v[0:1], v[34:35], a[24:27]
	v_accvgpr_read_b32 v23, a15
	v_accvgpr_read_b32 v22, a14
	v_pk_fma_f32 v[62:63], v[4:5], v[62:63], v[22:23]
	v_mfma_f32_16x16x16_bf16 a[0:3], v[0:1], v[38:39], a[28:31]
	v_accvgpr_read_b32 v0, a4
	v_accvgpr_read_b32 v1, a5
	v_pk_fma_f32 v[74:75], v[2:3], v[74:75], v[0:1]
	v_accvgpr_read_b32 v0, a8
	v_accvgpr_read_b32 v1, a9
	s_waitcnt lgkmcnt(0)
	v_mfma_f32_16x16x16_bf16 a[4:7], v[20:21], v[28:29], a[16:19]
	v_pk_fma_f32 v[66:67], v[2:3], v[66:67], v[0:1]
	v_accvgpr_read_b32 v0, a12
	v_accvgpr_read_b32 v1, a13
	v_mfma_f32_16x16x16_bf16 a[8:11], v[20:21], v[32:33], a[20:23]
	v_pk_fma_f32 v[58:59], v[2:3], v[58:59], v[0:1]
	v_mov_b32_e32 v0, v11
	v_mov_b32_e32 v1, v12
	v_mfma_f32_16x16x16_bf16 a[12:15], v[20:21], v[36:37], a[24:27]
	v_mov_b32_e32 v2, v13
	v_exp_f32_e32 v9, v0
	v_exp_f32_e32 v0, v1
	;; [unrolled: 1-line block ×3, first 2 shown]
	v_mfma_f32_16x16x16_bf16 a[4:7], v[18:19], v[24:25], a[4:7]
	v_pk_mul_f32 v[2:3], v[6:7], v[8:9] op_sel_hi:[0,1]
	v_pk_mul_f32 v[0:1], v[6:7], v[0:1] op_sel_hi:[0,1]
	v_mfma_f32_16x16x16_bf16 a[0:3], v[20:21], v[40:41], a[0:3]
	v_mfma_f32_16x16x16_bf16 a[8:11], v[18:19], v[42:43], a[8:11]
	s_nop 2
	v_accvgpr_read_b32 v5, a7
	v_accvgpr_read_b32 v4, a6
	v_pk_fma_f32 v[84:85], v[84:85], v[0:1], v[4:5]
	v_mfma_f32_16x16x16_bf16 a[12:15], v[18:19], v[44:45], a[12:15]
	v_accvgpr_read_b32 v13, a5
	v_accvgpr_read_b32 v12, a4
	v_pk_fma_f32 v[80:81], v[80:81], v[2:3], v[12:13]
	v_mfma_f32_16x16x16_bf16 a[0:3], v[18:19], v[88:89], a[0:3]
	v_accvgpr_read_b32 v4, a8
	v_accvgpr_read_b32 v5, a9
	v_pk_fma_f32 v[72:73], v[2:3], v[72:73], v[4:5]
	v_accvgpr_read_b32 v4, a12
	v_accvgpr_read_b32 v5, a13
	v_pk_fma_f32 v[64:65], v[2:3], v[64:65], v[4:5]
	v_accvgpr_read_b32 v7, a11
	v_accvgpr_read_b32 v5, a1
	;; [unrolled: 1-line block ×8, first 2 shown]
	v_pk_fma_f32 v[76:77], v[0:1], v[76:77], v[6:7]
	v_pk_fma_f32 v[68:69], v[0:1], v[68:69], v[8:9]
	v_pk_fma_f32 v[56:57], v[2:3], v[56:57], v[4:5]
	v_pk_fma_f32 v[60:61], v[0:1], v[60:61], v[10:11]
.LBB25_99:
	s_add_u32 s0, s10, s34
	s_addc_u32 s1, s11, s35
	v_lshl_add_u64 v[0:1], v[48:49], 1, s[0:1]
	v_mov_b32_e32 v47, 0
	s_mov_b32 s2, 0x7060302
	v_lshl_add_u64 v[0:1], v[0:1], 0, v[46:47]
	v_perm_b32 v3, v87, v86, s2
	v_perm_b32 v2, v83, v82, s2
	global_store_dwordx2 v[0:1], v[2:3], off
	v_perm_b32 v3, v85, v84, s2
	v_perm_b32 v2, v81, v80, s2
	global_store_dwordx2 v[0:1], v[2:3], off offset:128
	v_lshl_add_u64 v[0:1], v[50:51], 1, s[0:1]
	v_lshl_add_u64 v[0:1], v[0:1], 0, v[46:47]
	v_perm_b32 v3, v79, v78, s2
	v_perm_b32 v2, v75, v74, s2
	global_store_dwordx2 v[0:1], v[2:3], off
	v_perm_b32 v3, v77, v76, s2
	v_perm_b32 v2, v73, v72, s2
	global_store_dwordx2 v[0:1], v[2:3], off offset:128
	v_lshl_add_u64 v[0:1], v[52:53], 1, s[0:1]
	;; [unrolled: 8-line block ×3, first 2 shown]
	v_lshl_add_u64 v[0:1], v[0:1], 0, v[46:47]
	v_perm_b32 v3, v63, v62, s2
	v_perm_b32 v2, v59, v58, s2
	global_store_dwordx2 v[0:1], v[2:3], off
	v_perm_b32 v3, v61, v60, s2
	v_perm_b32 v2, v57, v56, s2
	global_store_dwordx2 v[0:1], v[2:3], off offset:128
	s_endpgm
	.section	.rodata,"a",@progbits
	.p2align	6, 0x0
	.amdhsa_kernel _ZN12_GLOBAL__N_139chunk_gated_delta_rule_fwd_h_hip_kernelILi64ELb1ELb1ELb1ELb0ELb1ELb1ELb0ELb1EEEvPK12hip_bfloat16S3_S3_PKfS5_PKvPS1_S8_PvPKiSB_iiiiilll
		.amdhsa_group_segment_fixed_size 65536
		.amdhsa_private_segment_fixed_size 0
		.amdhsa_kernarg_size 136
		.amdhsa_user_sgpr_count 2
		.amdhsa_user_sgpr_dispatch_ptr 0
		.amdhsa_user_sgpr_queue_ptr 0
		.amdhsa_user_sgpr_kernarg_segment_ptr 1
		.amdhsa_user_sgpr_dispatch_id 0
		.amdhsa_user_sgpr_kernarg_preload_length 0
		.amdhsa_user_sgpr_kernarg_preload_offset 0
		.amdhsa_user_sgpr_private_segment_size 0
		.amdhsa_uses_dynamic_stack 0
		.amdhsa_enable_private_segment 0
		.amdhsa_system_sgpr_workgroup_id_x 1
		.amdhsa_system_sgpr_workgroup_id_y 1
		.amdhsa_system_sgpr_workgroup_id_z 0
		.amdhsa_system_sgpr_workgroup_info 0
		.amdhsa_system_vgpr_workitem_id 0
		.amdhsa_next_free_vgpr 240
		.amdhsa_next_free_sgpr 75
		.amdhsa_accum_offset 200
		.amdhsa_reserve_vcc 1
		.amdhsa_float_round_mode_32 0
		.amdhsa_float_round_mode_16_64 0
		.amdhsa_float_denorm_mode_32 3
		.amdhsa_float_denorm_mode_16_64 3
		.amdhsa_dx10_clamp 1
		.amdhsa_ieee_mode 1
		.amdhsa_fp16_overflow 0
		.amdhsa_tg_split 0
		.amdhsa_exception_fp_ieee_invalid_op 0
		.amdhsa_exception_fp_denorm_src 0
		.amdhsa_exception_fp_ieee_div_zero 0
		.amdhsa_exception_fp_ieee_overflow 0
		.amdhsa_exception_fp_ieee_underflow 0
		.amdhsa_exception_fp_ieee_inexact 0
		.amdhsa_exception_int_div_zero 0
	.end_amdhsa_kernel
	.section	.text._ZN12_GLOBAL__N_139chunk_gated_delta_rule_fwd_h_hip_kernelILi64ELb1ELb1ELb1ELb0ELb1ELb1ELb0ELb1EEEvPK12hip_bfloat16S3_S3_PKfS5_PKvPS1_S8_PvPKiSB_iiiiilll,"axG",@progbits,_ZN12_GLOBAL__N_139chunk_gated_delta_rule_fwd_h_hip_kernelILi64ELb1ELb1ELb1ELb0ELb1ELb1ELb0ELb1EEEvPK12hip_bfloat16S3_S3_PKfS5_PKvPS1_S8_PvPKiSB_iiiiilll,comdat
.Lfunc_end25:
	.size	_ZN12_GLOBAL__N_139chunk_gated_delta_rule_fwd_h_hip_kernelILi64ELb1ELb1ELb1ELb0ELb1ELb1ELb0ELb1EEEvPK12hip_bfloat16S3_S3_PKfS5_PKvPS1_S8_PvPKiSB_iiiiilll, .Lfunc_end25-_ZN12_GLOBAL__N_139chunk_gated_delta_rule_fwd_h_hip_kernelILi64ELb1ELb1ELb1ELb0ELb1ELb1ELb0ELb1EEEvPK12hip_bfloat16S3_S3_PKfS5_PKvPS1_S8_PvPKiSB_iiiiilll
                                        ; -- End function
	.section	.AMDGPU.csdata,"",@progbits
; Kernel info:
; codeLenInByte = 13116
; NumSgprs: 81
; NumVgprs: 200
; NumAgprs: 40
; TotalNumVgprs: 240
; ScratchSize: 0
; MemoryBound: 0
; FloatMode: 240
; IeeeMode: 1
; LDSByteSize: 65536 bytes/workgroup (compile time only)
; SGPRBlocks: 10
; VGPRBlocks: 29
; NumSGPRsForWavesPerEU: 81
; NumVGPRsForWavesPerEU: 240
; AccumOffset: 200
; Occupancy: 1
; WaveLimiterHint : 1
; COMPUTE_PGM_RSRC2:SCRATCH_EN: 0
; COMPUTE_PGM_RSRC2:USER_SGPR: 2
; COMPUTE_PGM_RSRC2:TRAP_HANDLER: 0
; COMPUTE_PGM_RSRC2:TGID_X_EN: 1
; COMPUTE_PGM_RSRC2:TGID_Y_EN: 1
; COMPUTE_PGM_RSRC2:TGID_Z_EN: 0
; COMPUTE_PGM_RSRC2:TIDIG_COMP_CNT: 0
; COMPUTE_PGM_RSRC3_GFX90A:ACCUM_OFFSET: 49
; COMPUTE_PGM_RSRC3_GFX90A:TG_SPLIT: 0
	.section	.text._ZN12_GLOBAL__N_139chunk_gated_delta_rule_fwd_h_hip_kernelILi64ELb1ELb1ELb0ELb0ELb1ELb1ELb0ELb1EEEvPK12hip_bfloat16S3_S3_PKfS5_PKvPS1_S8_PvPKiSB_iiiiilll,"axG",@progbits,_ZN12_GLOBAL__N_139chunk_gated_delta_rule_fwd_h_hip_kernelILi64ELb1ELb1ELb0ELb0ELb1ELb1ELb0ELb1EEEvPK12hip_bfloat16S3_S3_PKfS5_PKvPS1_S8_PvPKiSB_iiiiilll,comdat
	.globl	_ZN12_GLOBAL__N_139chunk_gated_delta_rule_fwd_h_hip_kernelILi64ELb1ELb1ELb0ELb0ELb1ELb1ELb0ELb1EEEvPK12hip_bfloat16S3_S3_PKfS5_PKvPS1_S8_PvPKiSB_iiiiilll ; -- Begin function _ZN12_GLOBAL__N_139chunk_gated_delta_rule_fwd_h_hip_kernelILi64ELb1ELb1ELb0ELb0ELb1ELb1ELb0ELb1EEEvPK12hip_bfloat16S3_S3_PKfS5_PKvPS1_S8_PvPKiSB_iiiiilll
	.p2align	8
	.type	_ZN12_GLOBAL__N_139chunk_gated_delta_rule_fwd_h_hip_kernelILi64ELb1ELb1ELb0ELb0ELb1ELb1ELb0ELb1EEEvPK12hip_bfloat16S3_S3_PKfS5_PKvPS1_S8_PvPKiSB_iiiiilll,@function
_ZN12_GLOBAL__N_139chunk_gated_delta_rule_fwd_h_hip_kernelILi64ELb1ELb1ELb0ELb0ELb1ELb1ELb0ELb1EEEvPK12hip_bfloat16S3_S3_PKfS5_PKvPS1_S8_PvPKiSB_iiiiilll: ; @_ZN12_GLOBAL__N_139chunk_gated_delta_rule_fwd_h_hip_kernelILi64ELb1ELb1ELb0ELb0ELb1ELb1ELb0ELb1EEEvPK12hip_bfloat16S3_S3_PKfS5_PKvPS1_S8_PvPKiSB_iiiiilll
; %bb.0:
	s_load_dwordx4 s[12:15], s[0:1], 0x5c
	s_abs_i32 s6, s3
	s_ashr_i32 s5, s3, 31
	s_load_dwordx4 s[16:19], s[0:1], 0x20
	s_load_dwordx2 s[38:39], s[0:1], 0x30
	v_and_b32_e32 v97, 15, v0
	s_waitcnt lgkmcnt(0)
	s_abs_i32 s4, s13
	v_cvt_f32_u32_e32 v1, s4
	s_sub_i32 s8, 0, s4
	s_ashr_i32 s7, s13, 31
	s_xor_b32 s5, s5, s7
	v_rcp_iflag_f32_e32 v1, v1
	v_bfe_u32 v96, v0, 4, 2
	v_mov_b32_e32 v47, 0
	v_lshlrev_b32_e32 v98, 3, v0
	v_mul_f32_e32 v1, 0x4f7ffffe, v1
	v_cvt_u32_f32_e32 v1, v1
	s_nop 0
	v_readfirstlane_b32 s9, v1
	s_mul_i32 s8, s8, s9
	s_mul_hi_u32 s8, s9, s8
	s_add_i32 s9, s9, s8
	s_mul_hi_u32 s8, s6, s9
	s_mul_i32 s9, s8, s4
	s_sub_i32 s6, s6, s9
	s_add_i32 s10, s8, 1
	s_sub_i32 s9, s6, s4
	s_cmp_ge_u32 s6, s4
	s_cselect_b32 s8, s10, s8
	s_cselect_b32 s6, s9, s6
	s_add_i32 s9, s8, 1
	s_cmp_ge_u32 s6, s4
	s_cselect_b32 s6, s9, s8
	s_xor_b32 s6, s6, s5
	s_sub_i32 s56, s6, s5
	s_mul_i32 s6, s56, s13
	s_sub_i32 s33, s3, s6
	s_abs_i32 s3, s14
	v_cvt_f32_u32_e32 v1, s3
	s_add_i32 s8, s12, 63
	s_ashr_i32 s9, s8, 31
	s_lshr_b32 s5, s9, 26
	v_rcp_iflag_f32_e32 v1, v1
	s_ashr_i32 s55, s12, 31
	s_add_i32 s8, s8, s5
	s_lshr_b32 s5, s55, 26
	v_mul_f32_e32 v1, 0x4f7ffffe, v1
	v_cvt_u32_f32_e32 v1, v1
	s_add_i32 s5, s12, s5
	s_ashr_i32 s58, s14, 31
	s_ashr_i32 s24, s8, 6
	;; [unrolled: 1-line block ×3, first 2 shown]
	s_xor_b32 s5, s7, s58
	s_sub_i32 s7, 0, s3
	v_readfirstlane_b32 s8, v1
	s_mul_i32 s7, s7, s8
	s_mul_hi_u32 s7, s8, s7
	s_add_i32 s8, s8, s7
	s_mul_hi_u32 s7, s4, s8
	s_mul_i32 s8, s7, s3
	s_sub_i32 s4, s4, s8
	s_lshl_b32 s2, s2, 6
	s_add_i32 s8, s7, 1
	s_sub_i32 s9, s4, s3
	s_cmp_ge_u32 s4, s3
	s_cselect_b32 s7, s8, s7
	s_cselect_b32 s4, s9, s4
	s_add_i32 s8, s7, 1
	s_cmp_ge_u32 s4, s3
	s_cselect_b32 s3, s8, s7
	s_xor_b32 s3, s3, s5
	s_sub_i32 s3, s3, s5
	s_abs_i32 s4, s3
	v_cvt_f32_u32_e32 v1, s4
	s_sub_i32 s7, 0, s4
	s_abs_i32 s5, s33
	s_xor_b32 s3, s33, s3
	v_rcp_iflag_f32_e32 v2, v1
	s_ashr_i32 s3, s3, 31
	v_or_b32_e32 v88, s2, v97
	v_lshrrev_b32_e32 v1, 6, v0
	v_mul_f32_e32 v2, 0x4f7ffffe, v2
	v_cvt_u32_f32_e32 v2, v2
	v_lshlrev_b32_e32 v48, 7, v88
	v_lshlrev_b32_e32 v45, 4, v1
	v_or_b32_e32 v50, 0x800, v48
	v_readfirstlane_b32 s8, v2
	s_mul_i32 s7, s7, s8
	s_mul_hi_u32 s7, s8, s7
	s_add_i32 s8, s8, s7
	s_mul_hi_u32 s7, s5, s8
	s_mul_i32 s8, s7, s4
	s_sub_i32 s5, s5, s8
	s_add_i32 s8, s7, 1
	s_sub_i32 s9, s5, s4
	s_cmp_ge_u32 s5, s4
	s_cselect_b32 s7, s8, s7
	s_cselect_b32 s5, s9, s5
	s_add_i32 s8, s7, 1
	s_cmp_ge_u32 s5, s4
	s_cselect_b32 s4, s8, s7
	s_xor_b32 s4, s4, s3
	s_sub_i32 s59, s4, s3
	s_ashr_i32 s3, s56, 31
	s_ashr_i32 s48, s33, 31
	s_mul_hi_i32 s4, s56, s13
	s_add_u32 s40, s6, s33
	s_addc_u32 s41, s4, s48
	s_lshl_b64 s[28:29], s[40:41], 15
	s_add_u32 s4, s18, s28
	v_lshl_or_b32 v100, v96, 2, v45
	s_addc_u32 s5, s19, s29
	v_ashrrev_i32_e32 v49, 31, v48
	v_ashrrev_i32_e32 v51, 31, v50
	v_lshl_add_u64 v[2:3], v[48:49], 1, s[4:5]
	v_lshlrev_b32_e32 v46, 1, v100
	v_lshl_add_u64 v[6:7], v[50:51], 1, s[4:5]
	v_or_b32_e32 v52, 0x1000, v48
	v_or_b32_e32 v54, 0x1800, v48
	v_lshl_add_u64 v[2:3], v[2:3], 0, v[46:47]
	v_lshl_add_u64 v[6:7], v[6:7], 0, v[46:47]
	v_ashrrev_i32_e32 v53, 31, v52
	v_ashrrev_i32_e32 v55, 31, v54
	global_load_dwordx2 v[4:5], v[2:3], off
	v_lshl_add_u64 v[14:15], v[54:55], 1, s[4:5]
	global_load_dwordx2 v[2:3], v[2:3], off offset:128
	s_nop 0
	global_load_dwordx2 v[8:9], v[6:7], off
	global_load_dwordx2 v[10:11], v[6:7], off offset:128
	v_lshl_add_u64 v[6:7], v[52:53], 1, s[4:5]
	v_lshl_add_u64 v[6:7], v[6:7], 0, v[46:47]
	;; [unrolled: 1-line block ×3, first 2 shown]
	global_load_dwordx2 v[12:13], v[6:7], off
	v_and_b32_e32 v47, 63, v0
	global_load_dwordx2 v[6:7], v[6:7], off offset:128
	s_nop 0
	global_load_dwordx2 v[16:17], v[14:15], off
	global_load_dwordx2 v[18:19], v[14:15], off offset:128
	s_load_dwordx2 s[18:19], s[0:1], 0x40
	s_load_dwordx8 s[4:11], s[0:1], 0x0
	s_load_dwordx2 s[30:31], s[0:1], 0x80
	s_load_dwordx4 s[20:23], s[0:1], 0x70
	v_or_b32_e32 v101, 64, v100
	s_mul_i32 s49, s56, s12
	s_mul_i32 s60, s56, s24
	s_cmp_lt_i32 s12, 64
	v_lshrrev_b32_e32 v99, 3, v47
	s_mul_i32 s61, s41, s12
	s_mul_hi_u32 s62, s40, s12
	s_mul_i32 s42, s40, s12
	s_waitcnt lgkmcnt(0)
	s_mul_i32 s41, s56, s21
	s_mul_hi_u32 s51, s56, s20
	s_mul_i32 s50, s3, s20
	s_mul_i32 s36, s56, s20
	;; [unrolled: 1-line block ×3, first 2 shown]
	s_mul_hi_u32 s53, s33, s22
	s_mul_i32 s54, s48, s22
	s_mul_i32 s34, s33, s22
	s_waitcnt vmcnt(7)
	v_and_b32_e32 v83, 0xffff0000, v4
	v_lshlrev_b32_e32 v82, 16, v4
	v_and_b32_e32 v87, 0xffff0000, v5
	v_lshlrev_b32_e32 v86, 16, v5
	s_waitcnt vmcnt(6)
	v_and_b32_e32 v81, 0xffff0000, v2
	v_lshlrev_b32_e32 v80, 16, v2
	v_and_b32_e32 v85, 0xffff0000, v3
	v_lshlrev_b32_e32 v84, 16, v3
	;; [unrolled: 5-line block ×8, first 2 shown]
	s_cbranch_scc1 .LBB26_18
; %bb.1:
	s_add_i32 s43, s62, s61
	s_lshl_b64 s[0:1], s[42:43], 8
	v_and_b32_e32 v103, 56, v98
	s_add_u32 s20, s6, s0
	v_lshl_or_b32 v102, v1, 3, v99
	v_lshlrev_b32_e32 v2, 1, v103
	s_addc_u32 s0, s7, s1
	v_lshl_or_b32 v104, v102, 8, v2
	s_and_b32 s21, s0, 0xffff
	s_mov_b32 s23, 0x20000
	s_movk_i32 s22, 0x4000
	s_movk_i32 s0, 0x80
	v_or_b32_e32 v105, 0x2000, v104
	buffer_load_dwordx4 v[4:7], v104, s[20:23], 0 offen
	buffer_load_dwordx4 v[8:11], v104, s[20:23], s0 offen
	;; [unrolled: 1-line block ×4, first 2 shown]
	v_lshlrev_b32_e32 v3, 3, v102
	v_and_or_b32 v21, v0, 7, v3
	v_and_b32_e32 v3, 0x78, v3
	v_lshlrev_b32_e32 v21, 4, v21
	v_xor_b32_e32 v106, v21, v3
	v_mul_lo_u32 v20, v102, s15
	v_or_b32_e32 v107, 0x1000, v106
	v_xor_b32_e32 v3, 8, v106
	s_cmpk_eq_i32 s15, 0x80
	s_mov_b32 s63, s14
	v_xor_b32_e32 v21, 8, v107
	s_cselect_b64 s[0:1], -1, 0
	s_cmpk_lg_i32 s15, 0x80
	s_waitcnt vmcnt(3)
	ds_write_b64 v106, v[4:5] offset:49152
	ds_write_b64 v3, v[6:7] offset:49152
	s_waitcnt vmcnt(2)
	ds_write_b64 v106, v[8:9] offset:57344
	ds_write_b64 v3, v[10:11] offset:57344
	;; [unrolled: 3-line block ×4, first 2 shown]
	v_lshl_add_u32 v3, v20, 1, v103
	s_cbranch_scc0 .LBB26_3
; %bb.2:
	v_lshlrev_b32_e32 v5, 1, v3
	v_add_lshl_u32 v4, v3, s15, 1
	s_lshl_b32 s22, s15, 7
	v_lshl_or_b32 v2, v102, 9, v2
	s_cbranch_execz .LBB26_4
	s_branch .LBB26_5
.LBB26_3:
                                        ; implicit-def: $vgpr4
                                        ; implicit-def: $vgpr5
                                        ; implicit-def: $sgpr22
	v_lshl_or_b32 v2, v102, 9, v2
.LBB26_4:
	v_or_b32_e32 v4, 0x100, v2
	s_movk_i32 s22, 0x4000
	v_mov_b32_e32 v5, v2
.LBB26_5:
	s_mul_hi_u32 s20, s14, s12
	s_mul_i32 s21, s58, s12
	s_add_i32 s20, s20, s21
	s_mul_i32 s21, s14, s12
	s_mul_i32 s23, s21, s3
	s_mul_hi_u32 s24, s21, s56
	s_add_i32 s23, s24, s23
	s_mul_i32 s20, s20, s56
	s_add_i32 s23, s23, s20
	s_mul_i32 s21, s21, s56
	s_ashr_i32 s64, s59, 31
	s_add_u32 s20, s21, s59
	s_addc_u32 s21, s23, s64
	s_lshl_b64 s[20:21], s[20:21], 8
	s_add_u32 s20, s4, s20
	s_addc_u32 s21, s5, s21
	s_and_b32 s21, s21, 0xffff
	s_mov_b32 s23, 0x20000
	s_movk_i32 s65, 0x80
	buffer_load_dwordx4 v[6:9], v5, s[20:23], 0 offen
	buffer_load_dwordx4 v[10:13], v5, s[20:23], s65 offen
	;; [unrolled: 1-line block ×4, first 2 shown]
	v_and_b32_e32 v5, 6, v0
	v_lshlrev_b32_e32 v4, 7, v100
	v_xor_b32_e32 v26, v102, v5
	v_and_b32_e32 v22, 1, v0
	v_lshl_or_b32 v29, v97, 3, v4
	v_lshlrev_b32_e32 v26, 2, v26
	v_or_b32_e32 v108, 0x4000, v29
	v_or_b32_e32 v109, 0x6000, v29
	v_xor_b32_e32 v29, 0x440, v26
	v_cmp_eq_u32_e32 vcc, 0, v22
	v_lshlrev_b32_e32 v23, 2, v97
	v_or_b32_e32 v25, 16, v97
	v_cndmask_b32_e32 v22, v29, v26, vcc
	s_mov_b32 s67, 0x1000504
	v_xor_b32_e32 v27, v100, v23
	v_xor_b32_e32 v28, v101, v23
	v_lshl_or_b32 v30, v25, 3, v4
	v_lshl_or_b32 v5, v5, 10, v22
	s_mov_b32 s68, 0x3020706
	v_lshlrev_b32_e32 v24, 8, v97
	v_lshlrev_b32_e32 v27, 1, v27
	;; [unrolled: 1-line block ×3, first 2 shown]
	v_or_b32_e32 v110, 0x4000, v30
	v_or_b32_e32 v111, 0x6000, v30
	v_xor_b32_e32 v22, 8, v5
	v_xor_b32_e32 v26, 24, v5
	;; [unrolled: 1-line block ×4, first 2 shown]
	s_mul_i32 s3, s3, s12
	s_mul_hi_u32 s20, s56, s12
	v_or_b32_e32 v112, v24, v27
	v_or_b32_e32 v113, v24, v28
	v_xor_b32_e32 v24, 16, v5
	v_xor_b32_e32 v29, 32, v5
	;; [unrolled: 1-line block ×3, first 2 shown]
	v_add_u32_e32 v22, 0x80, v22
	v_add_u32_e32 v26, 0x80, v26
	;; [unrolled: 1-line block ×4, first 2 shown]
	s_add_i32 s69, s20, s3
	s_add_i32 s3, s51, s41
	;; [unrolled: 1-line block ×5, first 2 shown]
	s_lshl_b64 s[20:21], s[36:37], 2
	s_add_u32 s3, s10, s20
	s_addc_u32 s24, s11, s21
	s_lshl_b64 s[20:21], s[34:35], 2
	s_add_u32 s44, s3, s20
	s_movk_i32 s3, 0xf8
	s_addc_u32 s45, s24, s21
	s_lshl_b32 s26, s15, 7
	s_movk_i32 s24, 0x100
	v_mov_b32_e32 v91, 0
	v_lshlrev_b32_e32 v90, 4, v97
	v_ashrrev_i32_e32 v89, 31, v88
	s_mov_b32 s66, 0
	s_movk_i32 s22, 0x4000
	v_lshl_add_u64 v[92:93], v[88:89], 1, s[8:9]
	s_mov_b32 s35, 0x7060302
	s_movk_i32 s37, 0x2000
	s_movk_i32 s70, 0x3000
	s_mov_b32 s72, 0
	s_waitcnt vmcnt(1)
	v_perm_b32 v33, v6, v14, s67
	s_waitcnt vmcnt(0)
	v_perm_b32 v34, v10, v18, s67
	v_perm_b32 v6, v6, v14, s68
	;; [unrolled: 1-line block ×15, first 2 shown]
	ds_write2st64_b32 v5, v33, v34 offset0:128 offset1:160
	ds_write2st64_b32 v22, v6, v10 offset0:128 offset1:160
	;; [unrolled: 1-line block ×8, first 2 shown]
	v_lshlrev_b32_e32 v5, 8, v25
	v_or_b32_e32 v114, v5, v27
	v_or_b32_e32 v115, v5, v28
	;; [unrolled: 1-line block ×3, first 2 shown]
	v_lshl_or_b32 v6, v5, 3, v4
	v_lshlrev_b32_e32 v5, 8, v5
	v_or_b32_e32 v118, v5, v27
	v_or_b32_e32 v119, v5, v28
	;; [unrolled: 1-line block ×5, first 2 shown]
	v_lshl_or_b32 v6, v5, 3, v4
	v_lshlrev_b32_e32 v5, 8, v5
	v_or_b32_e32 v122, v5, v27
	v_or_b32_e32 v123, v5, v28
	;; [unrolled: 1-line block ×3, first 2 shown]
	v_lshlrev_b32_e32 v5, 3, v5
	v_lshrrev_b32_e32 v7, 5, v47
	v_and_or_b32 v7, v5, s3, v7
	v_lshlrev_b32_e32 v7, 4, v7
	v_or_b32_e32 v120, 0x4000, v6
	v_or_b32_e32 v121, 0x6000, v6
	v_lshrrev_b32_e32 v6, 2, v47
	v_lshlrev_b32_e32 v9, 11, v1
	v_and_b32_e32 v5, 0x78, v5
	v_or_b32_e32 v13, 32, v7
	v_and_b32_e32 v8, 12, v6
	v_and_b32_e32 v6, 0x1000, v9
	v_lshrrev_b32_e32 v11, 1, v47
	v_xor_b32_e32 v13, v13, v5
	v_xor_b32_e32 v10, v7, v5
	v_and_b32_e32 v11, 8, v11
	v_or_b32_e32 v13, v13, v6
	v_or_b32_e32 v10, v10, v6
	v_xor_b32_e32 v126, v13, v11
	v_or_b32_e32 v13, 64, v7
	v_or_b32_e32 v7, 0x60, v7
	v_xor_b32_e32 v124, v10, v11
	v_lshlrev_b32_e32 v10, 8, v96
	v_xor_b32_e32 v13, v13, v5
	v_xor_b32_e32 v5, v7, v5
	s_ashr_i32 s3, s2, 31
	v_or_b32_e32 v12, v10, v23
	v_or_b32_e32 v13, v13, v6
	;; [unrolled: 1-line block ×3, first 2 shown]
	s_lshl_b64 s[20:21], s[2:3], 8
	v_lshlrev_b32_e32 v15, 2, v0
	v_lshlrev_b32_e32 v12, 1, v12
	v_xor_b32_e32 v130, v13, v11
	v_xor_b32_e32 v131, v5, v11
	v_lshlrev_b32_e32 v5, 1, v3
	v_add_lshl_u32 v3, v3, s15, 1
	v_or_b32_e32 v11, 0x100, v2
	s_add_u32 s20, s38, s20
	v_lshlrev_b32_e32 v6, 1, v97
	v_lshrrev_b32_e32 v16, 1, v0
	v_and_or_b32 v10, v15, 60, v10
	v_or_b32_e32 v125, 0x4000, v12
	v_or_b32_e32 v127, 0x4080, v12
	;; [unrolled: 1-line block ×8, first 2 shown]
	v_lshrrev_b32_e32 v12, 4, v0
	s_addc_u32 s21, s39, s21
	v_or_b32_e32 v7, 1, v6
	v_and_b32_e32 v16, 24, v16
	v_lshlrev_b32_e32 v10, 1, v10
	v_cndmask_b32_e64 v142, v5, v2, s[0:1]
	v_cndmask_b32_e64 v143, v3, v11, s[0:1]
	v_mov_b32_e32 v3, 0xa000
	v_mov_b32_e32 v5, 0x8000
	v_cmp_gt_u32_e64 s[0:1], s24, v0
	v_xor_b32_e32 v13, v12, v6
	v_xor_b32_e32 v14, v7, v12
	v_lshl_add_u64 v[6:7], s[20:21], 0, v[90:91]
	v_lshlrev_b32_e32 v90, 8, v12
	v_or_b32_e32 v138, 0x6000, v10
	v_or_b32_e32 v15, 32, v16
	;; [unrolled: 1-line block ×6, first 2 shown]
	v_cndmask_b32_e64 v3, v3, v5, s[0:1]
	v_lshlrev_b32_e32 v5, 3, v1
	v_lshl_or_b32 v136, v13, 3, v90
	v_and_b32_e32 v13, 8, v0
	v_xor_b32_e32 v11, v5, v16
	v_xor_b32_e32 v15, v5, v15
	;; [unrolled: 1-line block ×3, first 2 shown]
	v_mov_b32_e32 v17, 0x400
	v_cmp_eq_u32_e32 vcc, 0, v13
	v_or_b32_e32 v16, 0x440, v11
	v_or_b32_e32 v18, 0x440, v15
	v_xor_b32_e32 v10, 0x440, v5
	v_and_b32_e32 v12, 7, v0
	v_cndmask_b32_e64 v13, v17, 64, vcc
	v_cndmask_b32_e32 v16, v16, v11, vcc
	v_cndmask_b32_e32 v15, v18, v15, vcc
	;; [unrolled: 1-line block ×3, first 2 shown]
	v_lshl_or_b32 v137, v14, 3, v90
	v_lshlrev_b32_e32 v14, 3, v12
	v_or_b32_e32 v16, v16, v9
	v_or_b32_e32 v15, v15, v9
	v_or3_b32 v11, v9, v13, v11
	v_or_b32_e32 v5, v5, v9
	v_lshlrev_b32_e32 v12, 7, v12
	v_xor_b32_e32 v16, v16, v14
	v_xor_b32_e32 v15, v15, v14
	;; [unrolled: 1-line block ×4, first 2 shown]
	v_or_b32_e32 v2, v45, v8
	v_add_u32_e32 v17, v3, v16
	v_add_u32_e32 v18, v3, v15
	v_or_b32_e32 v144, v11, v12
	v_add_u32_e32 v9, v3, v5
	v_or3_b32 v8, v45, v8, 64
	v_add_u32_e32 v10, 0xa000, v16
	v_add_u32_e32 v11, 0xa000, v15
	;; [unrolled: 1-line block ×3, first 2 shown]
	v_lshl_add_u64 v[94:95], v[6:7], 0, v[90:91]
	s_add_i32 s3, s49, 63
	v_lshlrev_b32_e32 v90, 1, v4
	v_lshlrev_b32_e32 v89, 2, v2
	v_add_u32_e32 v145, v17, v12
	v_add_u32_e32 v146, v18, v12
	;; [unrolled: 1-line block ×4, first 2 shown]
	v_lshlrev_b32_e32 v149, 2, v8
	v_add_u32_e32 v150, v10, v12
	v_add_u32_e32 v151, v11, v12
	;; [unrolled: 1-line block ×3, first 2 shown]
	s_waitcnt lgkmcnt(0)
	s_barrier
.LBB26_6:                               ; =>This Inner Loop Header: Depth=1
	s_add_i32 s71, s72, 1
	s_cmp_lt_i32 s71, s57
	s_mov_b64 s[24:25], 0
	s_cselect_b64 s[46:47], -1, 0
	s_cmp_ge_i32 s71, s57
	s_mov_b64 s[20:21], 0
	s_cbranch_scc1 .LBB26_8
; %bb.7:                                ;   in Loop: Header=BB26_6 Depth=1
	s_add_i32 s0, s66, 64
	s_add_u32 s0, s42, s0
	s_addc_u32 s1, s43, 0
	s_lshl_b64 s[0:1], s[0:1], 8
	s_add_u32 s20, s6, s0
	s_addc_u32 s21, s7, s1
.LBB26_8:                               ;   in Loop: Header=BB26_6 Depth=1
	v_cndmask_b32_e64 v2, 0, 1, s[46:47]
	v_cmp_ne_u32_e64 s[0:1], 1, v2
	s_andn2_b64 vcc, exec, s[46:47]
	s_cbranch_vccnz .LBB26_10
; %bb.9:                                ;   in Loop: Header=BB26_6 Depth=1
	s_add_i32 s24, s66, 64
	s_add_u32 s24, s49, s24
	s_addc_u32 s25, s69, 0
	s_mul_i32 s27, s24, s58
	s_mul_hi_u32 s46, s24, s63
	s_add_i32 s27, s46, s27
	s_mul_i32 s25, s25, s63
	s_add_i32 s27, s27, s25
	s_mul_i32 s24, s24, s63
	s_add_u32 s24, s24, s59
	s_addc_u32 s25, s27, s64
	s_lshl_b64 s[24:25], s[24:25], 8
	s_add_u32 s24, s4, s24
	s_addc_u32 s25, s5, s25
.LBB26_10:                              ;   in Loop: Header=BB26_6 Depth=1
	v_perm_b32 v3, v87, v86, s35
	v_perm_b32 v2, v83, v82, s35
	v_perm_b32 v5, v85, v84, s35
	v_perm_b32 v4, v81, v80, s35
	ds_write_b64 v108, v[2:3]
	ds_write_b64 v109, v[4:5]
	ds_write_b64 v112, v[2:3]
	ds_write_b64 v113, v[4:5]
	v_perm_b32 v3, v79, v78, s35
	v_perm_b32 v2, v75, v74, s35
	v_perm_b32 v5, v77, v76, s35
	v_perm_b32 v4, v73, v72, s35
	ds_write_b64 v110, v[2:3]
	ds_write_b64 v111, v[4:5]
	ds_write_b64 v114, v[2:3]
	ds_write_b64 v115, v[4:5]
	;; [unrolled: 8-line block ×4, first 2 shown]
	s_waitcnt lgkmcnt(0)
	s_barrier
	ds_read_b64 v[6:7], v124 offset:49152
	ds_read2_b64 v[2:5], v125 offset1:16
	ds_read_b64 v[18:19], v127 offset:6144
	ds_read_b64 v[20:21], v125 offset:6144
	s_waitcnt lgkmcnt(2)
	v_mfma_f32_16x16x16_bf16 a[0:3], v[6:7], v[2:3], 0
	ds_read_b64 v[22:23], v126 offset:49152
	ds_read2st64_b64 v[10:13], v128 offset0:4 offset1:8
	ds_read2st64_b64 v[14:17], v129 offset0:4 offset1:8
	v_mfma_f32_16x16x16_bf16 a[4:7], v[6:7], v[4:5], 0
	ds_read2_b64 v[2:5], v125 offset0:32 offset1:48
	s_add_i32 s27, s66, 63
	s_mul_i32 s46, s27, s31
	s_waitcnt lgkmcnt(0)
	v_mfma_f32_16x16x16_bf16 a[8:11], v[6:7], v[2:3], 0
	s_mul_hi_u32 s47, s27, s30
	s_add_i32 s47, s47, s46
	s_mul_i32 s46, s27, s30
	v_mfma_f32_16x16x16_bf16 a[12:15], v[6:7], v[4:5], 0
	ds_read2st64_b64 v[2:5], v125 offset0:4 offset1:8
	ds_read2st64_b64 v[6:9], v127 offset0:4 offset1:8
	s_lshl_b64 s[46:47], s[46:47], 2
	s_waitcnt lgkmcnt(1)
	v_mfma_f32_16x16x16_bf16 a[0:3], v[22:23], v[2:3], a[0:3]
	s_add_u32 s46, s44, s46
	s_addc_u32 s47, s45, s47
	s_and_b64 vcc, exec, s[0:1]
	s_waitcnt lgkmcnt(0)
	v_mfma_f32_16x16x16_bf16 a[4:7], v[22:23], v[6:7], a[4:7]
	v_mov_b32_e32 v155, 0
	v_mov_b32_e32 v154, 0
	;; [unrolled: 1-line block ×3, first 2 shown]
	v_mfma_f32_16x16x16_bf16 a[8:11], v[22:23], v[10:11], a[8:11]
	ds_read_b64 v[2:3], v130 offset:49152
	ds_read_b64 v[6:7], v131 offset:49152
	;; [unrolled: 1-line block ×3, first 2 shown]
	v_mfma_f32_16x16x16_bf16 a[12:15], v[22:23], v[14:15], a[12:15]
	v_mov_b32_e32 v14, 0
	v_mov_b32_e32 v15, 0
	s_waitcnt lgkmcnt(2)
	v_mfma_f32_16x16x16_bf16 a[0:3], v[2:3], v[4:5], a[0:3]
	v_mov_b32_e32 v4, 0
	v_mov_b32_e32 v5, 0
	v_mfma_f32_16x16x16_bf16 a[16:19], v[2:3], v[8:9], a[4:7]
	v_mov_b32_e32 v8, 0
	v_mov_b32_e32 v9, 0
	;; [unrolled: 3-line block ×3, first 2 shown]
	v_mfma_f32_16x16x16_bf16 a[24:27], v[2:3], v[16:17], a[12:15]
	ds_read_b64 v[2:3], v128 offset:6144
	v_mov_b32_e32 v16, 0
	v_mov_b32_e32 v17, 0
	s_waitcnt lgkmcnt(2)
	v_mfma_f32_16x16x16_bf16 a[4:7], v[6:7], v[20:21], a[0:3]
	v_mfma_f32_16x16x16_bf16 a[8:11], v[6:7], v[18:19], a[16:19]
	s_waitcnt lgkmcnt(0)
	v_mfma_f32_16x16x16_bf16 a[12:15], v[6:7], v[2:3], a[20:23]
	v_mov_b32_e32 v2, 0
	v_mov_b32_e32 v3, 0
	v_mfma_f32_16x16x16_bf16 a[0:3], v[6:7], v[10:11], a[24:27]
	v_mov_b32_e32 v6, 0
	v_mov_b32_e32 v7, 0
	;; [unrolled: 1-line block ×4, first 2 shown]
	s_cbranch_vccnz .LBB26_12
; %bb.11:                               ;   in Loop: Header=BB26_6 Depth=1
	s_and_b32 s21, s21, 0xffff
	buffer_load_dwordx4 v[14:17], v104, s[20:23], 0 offen
	buffer_load_dwordx4 v[10:13], v104, s[20:23], s65 offen
	;; [unrolled: 1-line block ×4, first 2 shown]
	v_mov_b32_e32 v154, v106
	v_mov_b32_e32 v153, v107
.LBB26_12:                              ;   in Loop: Header=BB26_6 Depth=1
	ds_read_b64 v[34:35], v124 offset:57344
	ds_read2_b64 v[18:21], v132 offset1:16
	ds_read_b64 v[36:37], v126 offset:57344
	ds_read_b64 v[38:39], v130 offset:57344
	;; [unrolled: 1-line block ×3, first 2 shown]
	v_add_u32_e32 v42, s66, v100
	s_waitcnt lgkmcnt(3)
	v_mfma_f32_16x16x16_bf16 a[4:7], v[34:35], v[18:19], a[4:7]
	v_mfma_f32_16x16x16_bf16 a[8:11], v[34:35], v[20:21], a[8:11]
	ds_read2_b64 v[18:21], v132 offset0:32 offset1:48
	ds_read2st64_b64 v[22:25], v132 offset0:4 offset1:8
	ds_read2st64_b64 v[26:29], v133 offset0:4 offset1:8
	;; [unrolled: 1-line block ×3, first 2 shown]
	s_waitcnt lgkmcnt(3)
	v_mfma_f32_16x16x16_bf16 a[12:15], v[34:35], v[18:19], a[12:15]
	v_ashrrev_i32_e32 v18, 31, v42
	v_mfma_f32_16x16x16_bf16 a[0:3], v[34:35], v[20:21], a[0:3]
	v_mul_lo_u32 v20, v18, s30
	v_mul_lo_u32 v21, v42, s31
	v_mad_u64_u32 v[18:19], s[20:21], v42, s30, 0
	v_add3_u32 v19, v19, v21, v20
	v_add_u32_e32 v20, 1, v42
	v_ashrrev_i32_e32 v21, 31, v20
	s_waitcnt lgkmcnt(2)
	v_mfma_f32_16x16x16_bf16 a[4:7], v[36:37], v[22:23], a[4:7]
	v_mul_lo_u32 v22, v21, s30
	v_mul_lo_u32 v23, v20, s31
	v_mad_u64_u32 v[20:21], s[20:21], v20, s30, 0
	v_add3_u32 v21, v21, v23, v22
	v_add_u32_e32 v22, 2, v42
	v_ashrrev_i32_e32 v23, 31, v22
	s_waitcnt lgkmcnt(1)
	v_mfma_f32_16x16x16_bf16 a[8:11], v[36:37], v[26:27], a[8:11]
	v_mul_lo_u32 v26, v23, s30
	v_mul_lo_u32 v27, v22, s31
	v_mad_u64_u32 v[22:23], s[20:21], v22, s30, 0
	v_add3_u32 v23, v23, v27, v26
	v_add_u32_e32 v26, 3, v42
	v_ashrrev_i32_e32 v27, 31, v26
	v_mul_lo_u32 v34, v27, s30
	v_mul_lo_u32 v35, v26, s31
	v_mad_u64_u32 v[26:27], s[20:21], v26, s30, 0
	s_add_u32 s20, s42, s66
	s_addc_u32 s21, s43, 0
	v_lshl_add_u64 v[18:19], v[18:19], 2, s[44:45]
	v_add3_u32 v27, v27, v35, v34
	s_lshl_b64 s[20:21], s[20:21], 8
	v_lshl_add_u64 v[20:21], v[20:21], 2, s[44:45]
	v_lshl_add_u64 v[22:23], v[22:23], 2, s[44:45]
	;; [unrolled: 1-line block ×3, first 2 shown]
	global_load_dword v34, v[18:19], off
	global_load_dword v35, v[20:21], off
	;; [unrolled: 1-line block ×4, first 2 shown]
	v_lshl_add_u64 v[18:19], v[92:93], 0, s[20:21]
	v_lshl_add_u64 v[22:23], v[18:19], 0, v[90:91]
	global_load_ushort v44, v[22:23], off offset:256
	global_load_ushort v156, v[22:23], off
	ds_read2st64_b64 v[18:21], v135 offset0:4 offset1:8
	global_load_ushort v157, v[22:23], off offset:768
	global_load_ushort v158, v[22:23], off offset:512
	s_waitcnt lgkmcnt(1)
	v_mfma_f32_16x16x16_bf16 a[12:15], v[36:37], v[30:31], a[12:15]
	s_and_b64 vcc, exec, s[0:1]
	s_waitcnt vmcnt(3)
	v_lshlrev_b32_e32 v31, 16, v44
	s_waitcnt lgkmcnt(0)
	v_mfma_f32_16x16x16_bf16 a[0:3], v[36:37], v[18:19], a[0:3]
	global_load_ushort v36, v[22:23], off offset:288
	global_load_ushort v37, v[22:23], off offset:32
	;; [unrolled: 1-line block ×8, first 2 shown]
	v_mfma_f32_16x16x16_bf16 a[4:7], v[38:39], v[24:25], a[4:7]
	ds_read_b64 v[18:19], v132 offset:6144
	s_waitcnt vmcnt(10)
	v_lshlrev_b32_e32 v30, 16, v156
	v_mov_b32_e32 v156, 0
	v_mfma_f32_16x16x16_bf16 a[8:11], v[38:39], v[28:29], a[8:11]
	v_mfma_f32_16x16x16_bf16 a[12:15], v[38:39], v[32:33], a[12:15]
	;; [unrolled: 1-line block ×3, first 2 shown]
	global_load_ushort v38, v[22:23], off offset:352
	global_load_ushort v39, v[22:23], off offset:96
	ds_read_b64 v[20:21], v133 offset:6144
	ds_read_b64 v[24:25], v134 offset:6144
	;; [unrolled: 1-line block ×3, first 2 shown]
	global_load_ushort v165, v[22:23], off offset:864
	global_load_ushort v166, v[22:23], off offset:608
	s_load_dword s20, s[46:47], 0x0
	s_waitcnt lgkmcnt(0)
	v_mfma_f32_16x16x16_bf16 a[4:7], v[40:41], v[18:19], a[4:7]
	v_sub_f32_e32 v28, s20, v42
	v_mfma_f32_16x16x16_bf16 a[0:3], v[40:41], v[26:27], a[0:3]
	v_sub_f32_e32 v26, s20, v34
	v_sub_f32_e32 v27, s20, v35
	;; [unrolled: 1-line block ×3, first 2 shown]
	v_mfma_f32_16x16x16_bf16 a[8:11], v[40:41], v[20:21], a[8:11]
	v_exp_f32_e32 v26, v26
	v_exp_f32_e32 v27, v27
	;; [unrolled: 1-line block ×4, first 2 shown]
	v_accvgpr_read_b32 v33, a5
	v_accvgpr_read_b32 v32, a4
	;; [unrolled: 1-line block ×4, first 2 shown]
	v_pk_add_f32 v[30:31], v[30:31], v[32:33] neg_lo:[0,1] neg_hi:[0,1]
	s_waitcnt vmcnt(13)
	v_lshlrev_b32_e32 v33, 16, v157
	s_waitcnt vmcnt(12)
	v_lshlrev_b32_e32 v32, 16, v158
	v_pk_add_f32 v[18:19], v[32:33], v[18:19] neg_lo:[0,1] neg_hi:[0,1]
	v_pk_mul_f32 v[30:31], v[26:27], v[30:31]
	v_pk_mul_f32 v[18:19], v[28:29], v[18:19]
	v_accvgpr_read_b32 v33, a9
	v_perm_b32 v19, v19, v18, s35
	v_perm_b32 v18, v31, v30, s35
	v_accvgpr_read_b32 v32, a8
	v_accvgpr_read_b32 v21, a11
	v_mfma_f32_16x16x16_bf16 a[12:15], v[40:41], v[24:25], a[12:15]
	v_accvgpr_read_b32 v20, a10
	v_accvgpr_read_b32 v25, a3
	;; [unrolled: 1-line block ×3, first 2 shown]
	s_waitcnt vmcnt(11)
	v_lshlrev_b32_e32 v31, 16, v36
	s_waitcnt vmcnt(10)
	v_lshlrev_b32_e32 v30, 16, v37
	v_pk_add_f32 v[30:31], v[30:31], v[32:33] neg_lo:[0,1] neg_hi:[0,1]
	s_waitcnt vmcnt(9)
	v_lshlrev_b32_e32 v33, 16, v159
	s_waitcnt vmcnt(8)
	v_lshlrev_b32_e32 v32, 16, v160
	v_pk_add_f32 v[20:21], v[32:33], v[20:21] neg_lo:[0,1] neg_hi:[0,1]
	v_pk_mul_f32 v[30:31], v[26:27], v[30:31]
	v_pk_mul_f32 v[20:21], v[28:29], v[20:21]
	v_accvgpr_read_b32 v23, a15
	v_perm_b32 v21, v21, v20, s35
	v_perm_b32 v20, v31, v30, s35
	ds_write2_b64 v109, v[18:19], v[20:21] offset1:16
	v_accvgpr_read_b32 v21, a13
	s_waitcnt vmcnt(7)
	v_lshlrev_b32_e32 v19, 16, v161
	s_waitcnt vmcnt(6)
	v_lshlrev_b32_e32 v18, 16, v162
	v_accvgpr_read_b32 v20, a12
	v_accvgpr_read_b32 v22, a14
	v_pk_add_f32 v[18:19], v[18:19], v[20:21] neg_lo:[0,1] neg_hi:[0,1]
	s_waitcnt vmcnt(5)
	v_lshlrev_b32_e32 v21, 16, v163
	s_waitcnt vmcnt(4)
	v_lshlrev_b32_e32 v20, 16, v164
	v_pk_add_f32 v[20:21], v[20:21], v[22:23] neg_lo:[0,1] neg_hi:[0,1]
	v_pk_mul_f32 v[18:19], v[26:27], v[18:19]
	v_pk_mul_f32 v[20:21], v[28:29], v[20:21]
	v_accvgpr_read_b32 v23, a1
	v_perm_b32 v21, v21, v20, s35
	v_perm_b32 v20, v19, v18, s35
	s_waitcnt vmcnt(3)
	v_lshlrev_b32_e32 v19, 16, v38
	s_waitcnt vmcnt(2)
	v_lshlrev_b32_e32 v18, 16, v39
	v_accvgpr_read_b32 v22, a0
	v_pk_add_f32 v[18:19], v[18:19], v[22:23] neg_lo:[0,1] neg_hi:[0,1]
	s_waitcnt vmcnt(1)
	v_lshlrev_b32_e32 v23, 16, v165
	s_waitcnt vmcnt(0)
	v_lshlrev_b32_e32 v22, 16, v166
	v_pk_add_f32 v[22:23], v[22:23], v[24:25] neg_lo:[0,1] neg_hi:[0,1]
	v_pk_mul_f32 v[18:19], v[26:27], v[18:19]
	v_pk_mul_f32 v[22:23], v[28:29], v[22:23]
	v_mov_b32_e32 v24, 0
	v_perm_b32 v23, v23, v22, s35
	v_perm_b32 v22, v19, v18, s35
	ds_write2_b64 v109, v[20:21], v[22:23] offset0:32 offset1:48
	v_mov_b32_e32 v18, 0
	v_mov_b32_e32 v19, 0
	;; [unrolled: 1-line block ×15, first 2 shown]
	s_cbranch_vccnz .LBB26_14
; %bb.13:                               ;   in Loop: Header=BB26_6 Depth=1
	s_and_b32 s25, s25, 0xffff
	s_mov_b32 s27, s23
	buffer_load_dwordx4 v[30:33], v142, s[24:27], 0 offen
	buffer_load_dwordx4 v[22:25], v142, s[24:27], s65 offen
	;; [unrolled: 1-line block ×4, first 2 shown]
	v_mov_b32_e32 v155, v103
	v_mov_b32_e32 v156, v102
.LBB26_14:                              ;   in Loop: Header=BB26_6 Depth=1
	s_waitcnt lgkmcnt(0)
	s_barrier
	ds_read_b64 v[42:43], v145
	ds_read2_b64 v[34:37], v138 offset1:16
	ds_read_b64 v[174:175], v146
	ds_read_b64 v[176:177], v147
	;; [unrolled: 1-line block ×3, first 2 shown]
	ds_read2_b64 v[38:41], v138 offset0:32 offset1:48
	ds_read2st64_b64 v[158:161], v138 offset0:4 offset1:8
	ds_read2st64_b64 v[162:165], v139 offset0:4 offset1:8
	;; [unrolled: 1-line block ×4, first 2 shown]
	s_waitcnt lgkmcnt(8)
	v_mfma_f32_16x16x16_bf16 a[0:3], v[42:43], v[34:35], 0
	s_add_i32 s21, s60, s72
	s_mul_hi_i32 s25, s21, s13
	s_mul_i32 s21, s21, s13
	v_mfma_f32_16x16x16_bf16 a[4:7], v[42:43], v[36:37], 0
	s_add_u32 s24, s21, s33
	s_addc_u32 s25, s25, s48
	s_add_i32 s21, s3, s66
	s_waitcnt lgkmcnt(4)
	v_mfma_f32_16x16x16_bf16 a[8:11], v[42:43], v[38:39], 0
	s_lshl_b64 s[24:25], s[24:25], 15
	s_mul_hi_i32 s27, s21, s13
	s_mul_i32 s21, s21, s13
	v_mfma_f32_16x16x16_bf16 a[12:15], v[42:43], v[40:41], 0
	ds_read_b64 v[42:43], v138 offset:6144
	ds_read_b64 v[186:187], v139 offset:6144
	;; [unrolled: 1-line block ×4, first 2 shown]
	s_add_u32 s46, s21, s33
	s_waitcnt lgkmcnt(7)
	v_mfma_f32_16x16x16_bf16 a[0:3], v[174:175], v[158:159], a[0:3]
	s_addc_u32 s47, s27, s48
	s_lshl_b64 s[46:47], s[46:47], 9
	s_add_u32 s46, s16, s46
	s_waitcnt lgkmcnt(6)
	v_mfma_f32_16x16x16_bf16 a[4:7], v[174:175], v[162:163], a[4:7]
	s_addc_u32 s47, s17, s47
	v_lshl_add_u64 v[196:197], v[94:95], 0, s[24:25]
	s_waitcnt lgkmcnt(5)
	v_mfma_f32_16x16x16_bf16 a[8:11], v[174:175], v[166:167], a[8:11]
	s_waitcnt lgkmcnt(4)
	v_mfma_f32_16x16x16_bf16 a[12:15], v[174:175], v[170:171], a[12:15]
	ds_read_b64 v[174:175], v150
	ds_read_b64 v[184:185], v151
	;; [unrolled: 1-line block ×3, first 2 shown]
	s_waitcnt lgkmcnt(2)
	v_mfma_f32_16x16x16_bf16 a[16:19], v[174:175], v[34:35], 0
	v_mfma_f32_16x16x16_bf16 a[20:23], v[174:175], v[36:37], 0
	global_load_dwordx4 v[34:37], v149, s[46:47]
	v_mfma_f32_16x16x16_bf16 a[24:27], v[174:175], v[38:39], 0
	v_mfma_f32_16x16x16_bf16 a[28:31], v[174:175], v[40:41], 0
	global_load_dwordx4 v[38:41], v89, s[46:47]
	v_mfma_f32_16x16x16_bf16 a[0:3], v[176:177], v[160:161], a[0:3]
	v_mfma_f32_16x16x16_bf16 a[4:7], v[176:177], v[164:165], a[4:7]
	;; [unrolled: 1-line block ×8, first 2 shown]
	ds_read2st64_b64 v[174:177], v136 offset1:8
	ds_read2st64_b64 v[178:181], v137 offset1:8
	ds_read_b64 v[194:195], v144 offset:40960
	s_waitcnt lgkmcnt(2)
	v_mov_b32_e32 v182, v174
	v_mfma_f32_16x16x16_bf16 a[16:19], v[184:185], v[158:159], a[16:19]
	v_mov_b32_e32 v183, v175
	v_mfma_f32_16x16x16_bf16 a[20:23], v[184:185], v[162:163], a[20:23]
	v_mfma_f32_16x16x16_bf16 a[24:27], v[184:185], v[166:167], a[24:27]
	;; [unrolled: 1-line block ×3, first 2 shown]
	v_add_co_u32_e32 v170, vcc, s37, v196
	s_waitcnt lgkmcnt(1)
	v_mov_b32_e32 v184, v178
	s_waitcnt lgkmcnt(0)
	v_mfma_f32_16x16x16_bf16 a[16:19], v[194:195], v[160:161], a[16:19]
	ds_read2st64_b64 v[158:161], v136 offset0:16 offset1:24
	v_addc_co_u32_e32 v171, vcc, 0, v197, vcc
	v_mfma_f32_16x16x16_bf16 a[32:35], v[194:195], v[164:165], a[20:23]
	ds_read2st64_b64 v[162:165], v137 offset0:16 offset1:24
	v_mov_b32_e32 v185, v179
	v_mov_b32_e32 v178, v176
	v_mfma_f32_16x16x16_bf16 a[24:27], v[194:195], v[168:169], a[24:27]
	v_mov_b32_e32 v179, v177
	s_waitcnt lgkmcnt(0)
	v_mov_b32_e32 v168, v162
	v_mov_b32_e32 v169, v163
	v_mfma_f32_16x16x16_bf16 a[36:39], v[194:195], v[172:173], a[28:31]
	v_mov_b32_e32 v162, v160
	v_mov_b32_e32 v163, v161
	;; [unrolled: 1-line block ×3, first 2 shown]
	v_mfma_f32_16x16x16_bf16 a[20:23], v[192:193], v[42:43], a[16:19]
	v_add_co_u32_e32 v42, vcc, s70, v196
	v_mov_b32_e32 v167, v159
	v_mfma_f32_16x16x16_bf16 a[28:31], v[192:193], v[186:187], a[32:35]
	v_addc_co_u32_e32 v43, vcc, 0, v197, vcc
	global_store_dwordx4 v[42:43], v[162:165], off
	v_mfma_f32_16x16x16_bf16 a[16:19], v[192:193], v[188:189], a[24:27]
	s_waitcnt vmcnt(2)
	v_mov_b32_e32 v44, v37
	v_mov_b32_e32 v43, v36
	v_mov_b32_e32 v42, v35
	v_mfma_f32_16x16x16_bf16 a[24:27], v[192:193], v[190:191], a[36:39]
	s_and_b64 vcc, exec, s[0:1]
	global_store_dwordx4 v[196:197], v[182:185], off
	global_store_dwordx4 v[170:171], v[178:181], off offset:-4096
	global_store_dwordx4 v[170:171], v[166:169], off
	s_cbranch_vccnz .LBB26_16
; %bb.15:                               ;   in Loop: Header=BB26_6 Depth=1
	v_lshrrev_b32_e32 v35, 3, v155
	v_and_b32_e32 v35, 6, v35
	v_xor_b32_e32 v36, v35, v156
	v_lshlrev_b32_e32 v36, 2, v36
	v_and_b32_e32 v37, 8, v155
	v_xor_b32_e32 v155, 0x440, v36
	v_cmp_eq_u32_e32 vcc, 0, v37
	v_perm_b32 v37, v22, v18, s67
	s_nop 0
	v_cndmask_b32_e32 v36, v155, v36, vcc
	v_lshl_or_b32 v35, v35, 10, v36
	v_perm_b32 v36, v30, v26, s67
	s_barrier
	ds_write2st64_b32 v35, v36, v37 offset0:128 offset1:160
	v_xor_b32_e32 v36, 8, v35
	v_perm_b32 v26, v30, v26, s68
	v_perm_b32 v18, v22, v18, s68
	v_add_u32_e32 v22, 0x80, v36
	ds_write2st64_b32 v22, v26, v18 offset0:128 offset1:160
	v_xor_b32_e32 v18, 16, v35
	v_perm_b32 v22, v31, v27, s67
	v_perm_b32 v26, v23, v19, s67
	ds_write2st64_b32 v18, v22, v26 offset0:129 offset1:161
	v_xor_b32_e32 v18, 24, v35
	v_perm_b32 v22, v31, v27, s68
	v_perm_b32 v19, v23, v19, s68
	v_add_u32_e32 v18, 0x80, v18
	ds_write2st64_b32 v18, v22, v19 offset0:129 offset1:161
	v_xor_b32_e32 v18, 32, v35
	v_perm_b32 v19, v32, v28, s67
	v_perm_b32 v22, v24, v20, s67
	;; [unrolled: 9-line block ×3, first 2 shown]
	ds_write2st64_b32 v18, v19, v20 offset0:131 offset1:163
	v_xor_b32_e32 v18, 56, v35
	v_perm_b32 v19, v33, v29, s68
	v_perm_b32 v20, v25, v21, s68
	v_add_u32_e32 v18, 0x80, v18
	ds_write2st64_b32 v18, v19, v20 offset0:131 offset1:163
	ds_write_b64 v154, v[14:15] offset:49152
	v_xor_b32_e32 v14, 8, v154
	ds_write_b64 v14, v[16:17] offset:49152
	ds_write_b64 v154, v[10:11] offset:57344
	;; [unrolled: 1-line block ×4, first 2 shown]
	v_xor_b32_e32 v6, 8, v153
	ds_write_b64 v6, v[8:9] offset:49152
	ds_write_b64 v153, v[2:3] offset:57344
	ds_write_b64 v6, v[4:5] offset:57344
.LBB26_16:                              ;   in Loop: Header=BB26_6 Depth=1
	v_exp_f32_e32 v36, s20
	s_waitcnt vmcnt(4)
	v_exp_f32_e32 v38, v38
	v_exp_f32_e32 v39, v39
	;; [unrolled: 1-line block ×4, first 2 shown]
	v_accvgpr_read_b32 v5, a3
	v_accvgpr_read_b32 v4, a2
	;; [unrolled: 1-line block ×4, first 2 shown]
	v_pk_mul_f32 v[38:39], v[36:37], v[38:39] op_sel_hi:[0,1]
	v_pk_mul_f32 v[40:41], v[36:37], v[40:41] op_sel_hi:[0,1]
	v_pk_fma_f32 v[82:83], v[82:83], v[38:39], v[2:3]
	v_pk_fma_f32 v[86:87], v[86:87], v[40:41], v[4:5]
	v_exp_f32_e32 v2, v34
	v_exp_f32_e32 v3, v42
	;; [unrolled: 1-line block ×4, first 2 shown]
	v_accvgpr_read_b32 v9, a7
	v_accvgpr_read_b32 v13, a11
	;; [unrolled: 1-line block ×28, first 2 shown]
	v_pk_mul_f32 v[2:3], v[36:37], v[2:3] op_sel_hi:[0,1]
	v_pk_mul_f32 v[4:5], v[36:37], v[4:5] op_sel_hi:[0,1]
	s_add_i32 s66, s66, 64
	v_pk_fma_f32 v[74:75], v[38:39], v[74:75], v[6:7]
	v_pk_fma_f32 v[78:79], v[40:41], v[78:79], v[8:9]
	;; [unrolled: 1-line block ×13, first 2 shown]
	s_cmp_eq_u32 s57, s71
	v_pk_fma_f32 v[60:61], v[4:5], v[60:61], v[32:33]
	s_cbranch_scc1 .LBB26_18
; %bb.17:                               ;   in Loop: Header=BB26_6 Depth=1
	s_mov_b32 s72, s71
	s_branch .LBB26_6
.LBB26_18:
	s_lshl_b32 s43, s57, 6
	s_sub_i32 s46, s12, s43
	s_cmp_gt_i32 s46, 0
	s_cbranch_scc0 .LBB26_99
; %bb.19:
	s_ashr_i32 s3, s43, 31
	s_cmpk_lg_i32 s15, 0x80
	s_cselect_b64 s[26:27], -1, 0
	s_and_b64 vcc, exec, s[26:27]
	s_cbranch_vccz .LBB26_21
; %bb.20:
	s_mul_hi_i32 s0, s56, s12
	s_add_u32 s1, s49, s43
	s_addc_u32 s0, s0, s3
	s_mul_i32 s20, s1, s58
	s_mul_hi_u32 s21, s1, s14
	s_add_i32 s20, s21, s20
	s_mul_i32 s0, s0, s14
	s_add_i32 s20, s20, s0
	s_mul_i32 s1, s1, s14
	s_ashr_i32 s0, s59, 31
	s_add_u32 s44, s1, s59
	s_addc_u32 s45, s20, s0
	s_cbranch_execz .LBB26_22
	s_branch .LBB26_23
.LBB26_21:
                                        ; implicit-def: $sgpr44_sgpr45
.LBB26_22:
	s_mul_hi_i32 s0, s56, s14
	s_mul_i32 s56, s56, s14
	s_ashr_i32 s1, s59, 31
	s_add_u32 s14, s56, s59
	s_addc_u32 s0, s0, s1
	s_mul_i32 s1, s14, s55
	s_mul_hi_u32 s20, s14, s12
	s_add_i32 s1, s20, s1
	s_mul_i32 s0, s0, s12
	s_add_i32 s1, s1, s0
	s_mul_i32 s14, s14, s12
	s_add_u32 s44, s14, s43
	s_addc_u32 s45, s1, s3
.LBB26_23:
	s_mul_i32 s0, s40, s55
	s_add_i32 s0, s62, s0
	s_add_i32 s14, s60, s57
	s_add_i32 s1, s0, s61
	s_add_u32 s0, s42, s43
	v_lshlrev_b32_e32 v6, 6, v100
	v_lshlrev_b32_e32 v24, 2, v97
	s_addc_u32 s1, s1, s3
	s_mov_b32 s3, 0x7060302
	v_or_b32_e32 v9, v6, v24
	v_xor_b32_e32 v7, v100, v24
	v_perm_b32 v3, v87, v86, s3
	v_perm_b32 v2, v83, v82, s3
	;; [unrolled: 1-line block ×4, first 2 shown]
	v_lshlrev_b32_e32 v9, 1, v9
	v_xor_b32_e32 v8, v101, v24
	ds_write2st64_b64 v9, v[2:3], v[4:5] offset0:32 offset1:48
	v_lshlrev_b32_e32 v7, 1, v7
	v_lshlrev_b32_e32 v9, 8, v97
	v_or_b32_e32 v10, v7, v9
	v_lshlrev_b32_e32 v8, 1, v8
	ds_write_b64 v10, v[2:3]
	v_or_b32_e32 v2, v8, v9
	v_or_b32_e32 v9, 16, v97
	v_lshlrev_b32_e32 v23, 2, v9
	v_or_b32_e32 v10, v6, v23
	ds_write_b64 v2, v[4:5]
	v_perm_b32 v3, v79, v78, s3
	v_perm_b32 v2, v75, v74, s3
	;; [unrolled: 1-line block ×4, first 2 shown]
	v_lshlrev_b32_e32 v10, 1, v10
	v_lshlrev_b32_e32 v9, 8, v9
	ds_write2st64_b64 v10, v[2:3], v[4:5] offset0:32 offset1:48
	v_or_b32_e32 v10, v7, v9
	ds_write_b64 v10, v[2:3]
	v_or_b32_e32 v2, v8, v9
	v_or_b32_e32 v9, 32, v97
	v_lshlrev_b32_e32 v22, 2, v9
	v_or_b32_e32 v10, v6, v22
	ds_write_b64 v2, v[4:5]
	v_perm_b32 v3, v71, v70, s3
	v_perm_b32 v2, v67, v66, s3
	;; [unrolled: 1-line block ×4, first 2 shown]
	v_lshlrev_b32_e32 v10, 1, v10
	v_lshlrev_b32_e32 v9, 8, v9
	s_lshl_b64 s[24:25], s[0:1], 8
	ds_write2st64_b64 v10, v[2:3], v[4:5] offset0:32 offset1:48
	v_or_b32_e32 v10, v7, v9
	s_add_u32 s0, s6, s24
	ds_write_b64 v10, v[2:3]
	v_or_b32_e32 v2, v8, v9
	s_addc_u32 s1, s7, s25
	ds_write_b64 v2, v[4:5]
	v_perm_b32 v3, v63, v62, s3
	v_perm_b32 v2, v59, v58, s3
	;; [unrolled: 1-line block ×4, first 2 shown]
	v_or_b32_e32 v9, 48, v97
	s_mul_hi_i32 s3, s14, s13
	s_mul_i32 s14, s14, s13
	v_lshlrev_b32_e32 v19, 2, v9
	s_add_u32 s6, s14, s33
	v_or_b32_e32 v6, v6, v19
	s_addc_u32 s7, s3, s48
	v_lshlrev_b32_e32 v6, 1, v6
	s_ashr_i32 s3, s2, 31
	s_lshl_b64 s[6:7], s[6:7], 15
	ds_write2st64_b64 v6, v[2:3], v[4:5] offset0:32 offset1:48
	v_lshlrev_b32_e32 v6, 8, v9
	s_add_u32 s6, s38, s6
	v_or_b32_e32 v7, v7, v6
	s_addc_u32 s7, s39, s7
	s_lshl_b64 s[2:3], s[2:3], 8
	ds_write_b64 v7, v[2:3]
	v_or_b32_e32 v2, v8, v6
	s_add_u32 s2, s6, s2
	v_lshlrev_b32_e32 v3, 1, v97
	ds_write_b64 v2, v[4:5]
	v_lshrrev_b32_e32 v2, 4, v0
	s_addc_u32 s3, s7, s3
	v_or_b32_e32 v4, 1, v3
	v_lshlrev_b32_e32 v10, 4, v97
	v_mov_b32_e32 v11, 0
	v_xor_b32_e32 v3, v2, v3
	v_xor_b32_e32 v6, v4, v2
	v_lshl_add_u64 v[12:13], s[2:3], 0, v[10:11]
	v_lshlrev_b32_e32 v10, 8, v2
	v_lshl_or_b32 v16, v3, 3, v10
	v_lshl_or_b32 v17, v6, 3, v10
	s_waitcnt lgkmcnt(0)
	s_barrier
	ds_read2st64_b64 v[2:5], v16 offset1:8
	ds_read2st64_b64 v[6:9], v17 offset1:8
	v_lshl_add_u64 v[14:15], v[12:13], 0, v[10:11]
	s_movk_i32 s2, 0x2000
	s_cmp_lg_u32 s46, 64
	s_waitcnt lgkmcnt(1)
	v_mov_b32_e32 v10, v2
	v_mov_b32_e32 v11, v3
	s_waitcnt lgkmcnt(0)
	v_mov_b32_e32 v12, v6
	v_mov_b32_e32 v13, v7
	global_store_dwordx4 v[14:15], v[10:13], off
	v_mov_b32_e32 v6, v4
	v_mov_b32_e32 v7, v5
	ds_read2st64_b64 v[2:5], v16 offset0:16 offset1:24
	ds_read2st64_b64 v[10:13], v17 offset0:16 offset1:24
	v_add_co_u32_e32 v16, vcc, s2, v14
	s_cselect_b64 s[6:7], -1, 0
	s_nop 0
	v_addc_co_u32_e32 v17, vcc, 0, v15, vcc
	global_store_dwordx4 v[16:17], v[6:9], off offset:-4096
	v_lshl_or_b32 v30, v1, 3, v99
	s_mov_b32 s20, 0
	s_waitcnt lgkmcnt(1)
	v_mov_b32_e32 v6, v2
	v_add_co_u32_e32 v2, vcc, 0x3000, v14
	v_mov_b32_e32 v7, v3
	s_nop 0
	v_addc_co_u32_e32 v3, vcc, 0, v15, vcc
	s_waitcnt lgkmcnt(0)
	v_mov_b32_e32 v8, v10
	v_mov_b32_e32 v9, v11
	;; [unrolled: 1-line block ×4, first 2 shown]
	v_or_b32_e32 v20, 32, v30
	v_and_b32_e32 v18, 56, v98
	s_and_b64 vcc, exec, s[6:7]
	global_store_dwordx4 v[16:17], v[6:9], off
	global_store_dwordx4 v[2:3], v[10:13], off
	s_cbranch_vccz .LBB26_29
; %bb.24:
	s_mov_b32 s21, s20
	s_mov_b32 s22, s20
	s_mov_b32 s23, s20
	v_mov_b64_e32 v[6:7], s[20:21]
	v_mov_b64_e32 v[8:9], s[22:23]
	;; [unrolled: 1-line block ×3, first 2 shown]
	v_cmp_gt_i32_e32 vcc, s46, v30
	v_mov_b64_e32 v[4:5], v[8:9]
	s_and_saveexec_b64 s[2:3], vcc
	s_cbranch_execz .LBB26_26
; %bb.25:
	v_lshlrev_b32_e32 v2, 8, v30
	v_mov_b32_e32 v3, 0
	v_lshl_add_u64 v[4:5], s[0:1], 0, v[2:3]
	v_lshlrev_b32_e32 v2, 1, v18
	v_lshl_add_u64 v[10:11], v[4:5], 0, v[2:3]
	global_load_dwordx4 v[6:9], v[10:11], off
	global_load_dwordx4 v[2:5], v[10:11], off offset:128
.LBB26_26:
	s_or_b64 exec, exec, s[2:3]
	s_mov_b32 s21, s20
	s_mov_b32 s22, s20
	;; [unrolled: 1-line block ×3, first 2 shown]
	v_mov_b64_e32 v[14:15], s[20:21]
	v_mov_b64_e32 v[16:17], s[22:23]
	;; [unrolled: 1-line block ×3, first 2 shown]
	v_cmp_gt_i32_e32 vcc, s46, v20
	v_lshlrev_b32_e32 v21, 7, v20
	v_mov_b64_e32 v[12:13], v[16:17]
	s_and_saveexec_b64 s[2:3], vcc
	s_cbranch_execz .LBB26_28
; %bb.27:
	v_lshlrev_b32_e32 v10, 1, v21
	v_mov_b32_e32 v11, 0
	v_lshl_add_u64 v[12:13], s[0:1], 0, v[10:11]
	v_lshlrev_b32_e32 v10, 1, v18
	v_lshl_add_u64 v[26:27], v[12:13], 0, v[10:11]
	global_load_dwordx4 v[14:17], v[26:27], off
	global_load_dwordx4 v[10:13], v[26:27], off offset:128
.LBB26_28:
	s_or_b64 exec, exec, s[2:3]
	v_lshrrev_b32_e32 v25, 3, v18
	v_lshlrev_b32_e32 v26, 3, v30
	v_or_b32_e32 v25, v26, v25
	v_lshlrev_b32_e32 v25, 4, v25
	v_and_b32_e32 v26, 0x78, v26
	v_xor_b32_e32 v25, v25, v26
	s_branch .LBB26_31
.LBB26_29:
                                        ; implicit-def: $vgpr25
                                        ; implicit-def: $vgpr21
                                        ; implicit-def: $vgpr6_vgpr7_vgpr8_vgpr9
                                        ; implicit-def: $vgpr2_vgpr3_vgpr4_vgpr5
                                        ; implicit-def: $vgpr14_vgpr15_vgpr16_vgpr17
                                        ; implicit-def: $vgpr10_vgpr11_vgpr12_vgpr13
	s_cbranch_execz .LBB26_31
; %bb.30:
	s_waitcnt vmcnt(0)
	v_lshlrev_b32_e32 v2, 1, v18
	v_lshl_or_b32 v21, v30, 8, v2
	s_and_b32 s1, s1, 0xffff
	s_mov_b32 s3, 0x20000
	s_movk_i32 s2, 0x4000
	v_lshl_or_b32 v25, v20, 8, v2
	s_movk_i32 s14, 0x80
	buffer_load_dwordx4 v[6:9], v21, s[0:3], 0 offen
	buffer_load_dwordx4 v[2:5], v21, s[0:3], s14 offen
	;; [unrolled: 1-line block ×4, first 2 shown]
	v_lshrrev_b32_e32 v21, 3, v18
	v_lshlrev_b32_e32 v25, 3, v30
	v_or_b32_e32 v21, v25, v21
	v_lshlrev_b32_e32 v21, 4, v21
	v_and_b32_e32 v25, 0x78, v25
	v_xor_b32_e32 v25, v21, v25
	v_lshlrev_b32_e32 v21, 7, v20
.LBB26_31:
	s_movk_i32 s0, 0x1000
	v_and_or_b32 v20, v21, s0, v25
	s_waitcnt vmcnt(1)
	ds_write_b64 v25, v[6:7] offset:49152
	v_xor_b32_e32 v6, 8, v25
	ds_write_b64 v6, v[8:9] offset:49152
	s_waitcnt vmcnt(0)
	ds_write_b64 v25, v[2:3] offset:57344
	ds_write_b64 v6, v[4:5] offset:57344
	;; [unrolled: 1-line block ×3, first 2 shown]
	v_xor_b32_e32 v2, 8, v20
	ds_write_b64 v2, v[16:17] offset:49152
	ds_write_b64 v20, v[10:11] offset:57344
	;; [unrolled: 1-line block ×3, first 2 shown]
	v_or_b32_e32 v2, v45, v97
	v_lshlrev_b32_e32 v2, 3, v2
	v_lshrrev_b32_e32 v3, 5, v47
	s_movk_i32 s0, 0xf8
	v_and_or_b32 v3, v2, s0, v3
	v_lshlrev_b32_e32 v7, 4, v3
	v_lshlrev_b32_e32 v25, 11, v1
	v_and_b32_e32 v8, 0x78, v2
	v_or_b32_e32 v10, 32, v7
	v_and_b32_e32 v6, 0x1000, v25
	v_lshrrev_b32_e32 v3, 1, v47
	v_xor_b32_e32 v10, v10, v8
	v_xor_b32_e32 v2, v7, v8
	v_and_b32_e32 v9, 8, v3
	v_or_b32_e32 v10, v10, v6
	v_or_b32_e32 v2, v2, v6
	v_xor_b32_e32 v32, v10, v9
	v_or_b32_e32 v10, 64, v7
	v_xor_b32_e32 v31, v2, v9
	v_xor_b32_e32 v10, v10, v8
	s_waitcnt lgkmcnt(0)
	s_barrier
	v_or_b32_e32 v13, v10, v6
	ds_read_b64 v[10:11], v31 offset:49152
	v_lshl_or_b32 v14, v96, 8, v24
	v_lshlrev_b32_e32 v26, 1, v14
	v_add_u32_e32 v12, 0x4000, v26
	ds_read2_b64 v[2:5], v12 offset1:16
	v_or_b32_e32 v7, 0x60, v7
	v_xor_b32_e32 v7, v7, v8
	v_or_b32_e32 v6, v7, v6
	v_xor_b32_e32 v33, v13, v9
	v_xor_b32_e32 v34, v6, v9
	ds_read_b64 v[20:21], v32 offset:49152
	ds_read_b64 v[36:37], v33 offset:49152
	;; [unrolled: 1-line block ×3, first 2 shown]
	s_waitcnt lgkmcnt(3)
	v_mfma_f32_16x16x16_bf16 a[0:3], v[10:11], v[2:3], 0
	ds_read2st64_b64 v[6:9], v26 offset0:36 offset1:40
	s_lshl_b64 s[0:1], s[44:45], 8
	s_add_u32 s4, s4, s0
	v_mfma_f32_16x16x16_bf16 a[4:7], v[10:11], v[4:5], 0
	ds_read2_b64 v[2:5], v12 offset0:32 offset1:48
	s_addc_u32 s5, s5, s1
	s_add_i32 s0, s51, s41
	s_waitcnt lgkmcnt(0)
	v_mfma_f32_16x16x16_bf16 a[8:11], v[10:11], v[2:3], 0
	v_or_b32_e32 v2, 64, v14
	v_lshlrev_b32_e32 v27, 1, v2
	s_add_i32 s14, s12, -1
	v_mfma_f32_16x16x16_bf16 a[12:15], v[10:11], v[4:5], 0
	ds_read2st64_b64 v[2:5], v27 offset0:36 offset1:40
	s_add_i32 s37, s0, s50
	s_add_i32 s0, s53, s52
	v_mfma_f32_16x16x16_bf16 a[0:3], v[20:21], v[6:7], a[0:3]
	v_or_b32_e32 v6, 0x80, v14
	v_lshlrev_b32_e32 v28, 1, v6
	ds_read2st64_b64 v[10:13], v28 offset0:36 offset1:40
	s_waitcnt lgkmcnt(1)
	v_mfma_f32_16x16x16_bf16 a[4:7], v[20:21], v[2:3], a[4:7]
	v_or_b32_e32 v2, 0xc0, v14
	v_lshlrev_b32_e32 v29, 1, v2
	ds_read2st64_b64 v[14:17], v29 offset0:36 offset1:40
	s_add_i32 s35, s0, s54
	s_ashr_i32 s0, s14, 31
	s_mul_i32 s1, s14, s31
	s_mul_hi_u32 s2, s14, s30
	s_add_i32 s1, s2, s1
	s_mul_i32 s0, s0, s30
	s_waitcnt lgkmcnt(1)
	v_mfma_f32_16x16x16_bf16 a[8:11], v[20:21], v[10:11], a[8:11]
	s_add_i32 s1, s1, s0
	s_lshl_b64 s[2:3], s[36:37], 2
	s_add_u32 s10, s10, s2
	s_waitcnt lgkmcnt(0)
	v_mfma_f32_16x16x16_bf16 a[12:15], v[20:21], v[14:15], a[12:15]
	s_addc_u32 s11, s11, s3
	s_lshl_b64 s[2:3], s[34:35], 2
	s_mul_i32 s0, s14, s30
	v_mfma_f32_16x16x16_bf16 a[0:3], v[36:37], v[8:9], a[0:3]
	ds_read_b64 v[2:3], v26 offset:22528
	s_add_u32 s10, s10, s2
	s_addc_u32 s11, s11, s3
	v_mfma_f32_16x16x16_bf16 a[4:7], v[36:37], v[4:5], a[4:7]
	ds_read_b64 v[4:5], v27 offset:22528
	ds_read_b64 v[6:7], v28 offset:22528
	;; [unrolled: 1-line block ×3, first 2 shown]
	s_lshl_b64 s[0:1], s[0:1], 2
	s_add_u32 s0, s10, s0
	v_mfma_f32_16x16x16_bf16 a[8:11], v[36:37], v[12:13], a[8:11]
	s_addc_u32 s1, s11, s1
	s_load_dword s12, s[0:1], 0x0
	s_and_b64 vcc, exec, s[26:27]
	v_mfma_f32_16x16x16_bf16 a[12:15], v[36:37], v[16:17], a[12:15]
	s_waitcnt lgkmcnt(0)
	v_mfma_f32_16x16x16_bf16 a[0:3], v[38:39], v[2:3], a[0:3]
	v_mfma_f32_16x16x16_bf16 a[4:7], v[38:39], v[4:5], a[4:7]
	;; [unrolled: 1-line block ×4, first 2 shown]
	s_cbranch_vccz .LBB26_42
; %bb.32:
	v_lshlrev_b32_e32 v20, 1, v30
	s_and_b64 vcc, exec, s[6:7]
	s_cbranch_vccz .LBB26_43
; %bb.33:
	v_cmp_gt_i32_e32 vcc, s46, v20
	v_mov_b32_e32 v6, 0
	v_mov_b32_e32 v2, 0
	;; [unrolled: 1-line block ×5, first 2 shown]
	s_and_saveexec_b64 s[0:1], vcc
	s_cbranch_execz .LBB26_35
; %bb.34:
	v_mad_i64_i32 v[2:3], s[2:3], s15, v20, 0
	v_lshl_add_u64 v[2:3], v[2:3], 1, s[4:5]
	v_lshlrev_b32_e32 v4, 1, v18
	v_mov_b32_e32 v5, 0
	v_lshl_add_u64 v[2:3], v[2:3], 0, v[4:5]
	global_load_dwordx4 v[2:5], v[2:3], off
.LBB26_35:
	s_or_b64 exec, exec, s[0:1]
	v_or_b32_e32 v21, 1, v20
	v_cmp_gt_i32_e64 s[0:1], s46, v21
	v_mov_b32_e32 v7, 0
	v_mov_b32_e32 v8, 0
	;; [unrolled: 1-line block ×3, first 2 shown]
	s_and_saveexec_b64 s[2:3], s[0:1]
	s_cbranch_execz .LBB26_37
; %bb.36:
	v_mad_i64_i32 v[6:7], s[20:21], s15, v21, 0
	v_lshl_add_u64 v[6:7], v[6:7], 1, s[4:5]
	v_lshlrev_b32_e32 v8, 1, v18
	v_mov_b32_e32 v9, 0
	v_lshl_add_u64 v[6:7], v[6:7], 0, v[8:9]
	global_load_dwordx4 v[6:9], v[6:7], off
.LBB26_37:
	s_or_b64 exec, exec, s[2:3]
	v_mov_b32_e32 v17, 0
	v_mov_b32_e32 v10, 0
	;; [unrolled: 1-line block ×5, first 2 shown]
	s_and_saveexec_b64 s[2:3], vcc
	s_cbranch_execz .LBB26_39
; %bb.38:
	v_mad_i64_i32 v[10:11], s[20:21], s15, v20, 0
	v_lshl_add_u64 v[10:11], v[10:11], 1, s[4:5]
	v_lshlrev_b32_e32 v12, 1, v18
	v_mov_b32_e32 v13, 0
	v_lshl_add_u64 v[10:11], v[10:11], 0, v[12:13]
	global_load_dwordx4 v[10:13], v[10:11], off offset:128
.LBB26_39:
	s_or_b64 exec, exec, s[2:3]
	v_mov_b32_e32 v16, 0
	v_mov_b32_e32 v15, 0
	;; [unrolled: 1-line block ×3, first 2 shown]
	s_and_saveexec_b64 s[2:3], s[0:1]
	s_cbranch_execz .LBB26_41
; %bb.40:
	v_mad_i64_i32 v[14:15], s[0:1], s15, v21, 0
	v_lshl_add_u64 v[14:15], v[14:15], 1, s[4:5]
	v_lshlrev_b32_e32 v16, 1, v18
	v_mov_b32_e32 v17, 0
	v_lshl_add_u64 v[14:15], v[14:15], 0, v[16:17]
	global_load_dwordx4 v[14:17], v[14:15], off offset:128
.LBB26_41:
	s_or_b64 exec, exec, s[2:3]
	s_branch .LBB26_45
.LBB26_42:
                                        ; implicit-def: $vgpr5
                                        ; implicit-def: $vgpr9
                                        ; implicit-def: $vgpr13
                                        ; implicit-def: $vgpr17
	v_lshrrev_b32_e32 v35, 2, v47
	s_branch .LBB26_46
.LBB26_43:
                                        ; implicit-def: $vgpr5
                                        ; implicit-def: $vgpr9
                                        ; implicit-def: $vgpr13
                                        ; implicit-def: $vgpr17
	s_cbranch_execz .LBB26_45
; %bb.44:
	s_waitcnt vmcnt(0)
	v_mad_u64_u32 v[2:3], s[0:1], v20, s15, v[18:19]
	v_lshlrev_b32_e32 v20, 1, v2
	s_lshl_b32 s2, s15, 7
	s_and_b32 s1, s5, 0xffff
	s_mov_b32 s3, 0x20000
	s_mov_b32 s0, s4
	v_add_lshl_u32 v21, v2, s15, 1
	s_movk_i32 s15, 0x80
	buffer_load_dwordx4 v[2:5], v20, s[0:3], 0 offen
	buffer_load_dwordx4 v[10:13], v20, s[0:3], s15 offen
	;; [unrolled: 1-line block ×4, first 2 shown]
.LBB26_45:
	v_lshrrev_b32_e32 v35, 2, v47
	s_cbranch_execnz .LBB26_58
.LBB26_46:
	s_and_b64 vcc, exec, s[6:7]
	s_cbranch_vccz .LBB26_56
; %bb.47:
	s_waitcnt vmcnt(0)
	v_lshlrev_b32_e32 v7, 1, v30
	v_cmp_gt_i32_e32 vcc, s46, v7
	v_mov_b32_e32 v6, 0
	v_lshlrev_b32_e32 v14, 9, v30
	v_mov_b32_e32 v2, 0
	v_mov_b32_e32 v3, 0
	v_mov_b32_e32 v4, 0
	v_mov_b32_e32 v5, 0
	s_and_saveexec_b64 s[0:1], vcc
	s_cbranch_execz .LBB26_49
; %bb.48:
	v_mov_b32_e32 v15, 0
	v_lshl_add_u64 v[2:3], s[4:5], 0, v[14:15]
	v_lshlrev_b32_e32 v4, 1, v18
	v_mov_b32_e32 v5, v15
	v_lshl_add_u64 v[2:3], v[2:3], 0, v[4:5]
	global_load_dwordx4 v[2:5], v[2:3], off
.LBB26_49:
	s_or_b64 exec, exec, s[0:1]
	v_or_b32_e32 v7, 1, v7
	v_cmp_gt_i32_e64 s[0:1], s46, v7
	v_lshlrev_b32_e32 v20, 8, v7
	v_mov_b32_e32 v7, 0
	v_mov_b32_e32 v8, 0
	;; [unrolled: 1-line block ×3, first 2 shown]
	s_and_saveexec_b64 s[2:3], s[0:1]
	s_cbranch_execz .LBB26_51
; %bb.50:
	v_mov_b32_e32 v21, 0
	v_lshl_add_u64 v[6:7], s[4:5], 0, v[20:21]
	v_lshlrev_b32_e32 v8, 1, v18
	v_mov_b32_e32 v9, v21
	v_lshl_add_u64 v[6:7], v[6:7], 0, v[8:9]
	global_load_dwordx4 v[6:9], v[6:7], off
.LBB26_51:
	s_or_b64 exec, exec, s[2:3]
	v_mov_b32_e32 v17, 0
	v_mov_b32_e32 v10, 0
	;; [unrolled: 1-line block ×5, first 2 shown]
	s_and_saveexec_b64 s[2:3], vcc
	s_cbranch_execz .LBB26_53
; %bb.52:
	v_mov_b32_e32 v15, 0
	v_lshl_add_u64 v[10:11], s[4:5], 0, v[14:15]
	v_lshlrev_b32_e32 v14, 1, v18
	v_lshl_add_u64 v[10:11], v[10:11], 0, v[14:15]
	global_load_dwordx4 v[10:13], v[10:11], off offset:128
.LBB26_53:
	s_or_b64 exec, exec, s[2:3]
	v_mov_b32_e32 v16, 0
	v_mov_b32_e32 v15, 0
	;; [unrolled: 1-line block ×3, first 2 shown]
	s_and_saveexec_b64 s[2:3], s[0:1]
	s_cbranch_execz .LBB26_55
; %bb.54:
	v_mov_b32_e32 v21, 0
	v_lshl_add_u64 v[14:15], s[4:5], 0, v[20:21]
	v_lshlrev_b32_e32 v20, 1, v18
	v_lshl_add_u64 v[14:15], v[14:15], 0, v[20:21]
	global_load_dwordx4 v[14:17], v[14:15], off offset:128
.LBB26_55:
	s_or_b64 exec, exec, s[2:3]
	s_branch .LBB26_58
.LBB26_56:
                                        ; implicit-def: $vgpr5
                                        ; implicit-def: $vgpr9
                                        ; implicit-def: $vgpr13
                                        ; implicit-def: $vgpr17
	s_cbranch_execz .LBB26_58
; %bb.57:
	s_waitcnt vmcnt(0)
	v_lshlrev_b32_e32 v2, 1, v18
	v_lshl_or_b32 v18, v30, 9, v2
	s_and_b32 s5, s5, 0xffff
	s_mov_b32 s7, 0x20000
	s_movk_i32 s6, 0x4000
	s_movk_i32 s0, 0x80
	buffer_load_dwordx4 v[2:5], v18, s[4:7], 0 offen
	buffer_load_dwordx4 v[6:9], v18, s[4:7], 0 offen offset:256
	buffer_load_dwordx4 v[10:13], v18, s[4:7], s0 offen
	buffer_load_dwordx4 v[14:17], v18, s[4:7], s0 offen offset:256
.LBB26_58:
	ds_read_b64 v[20:21], v31 offset:57344
	v_add_u32_e32 v18, 0x6000, v26
	ds_read2_b64 v[36:39], v18 offset1:16
	ds_read_b64 v[94:95], v32 offset:57344
	ds_read_b64 v[96:97], v33 offset:57344
	;; [unrolled: 1-line block ×3, first 2 shown]
	v_and_b32_e32 v31, 6, v0
	v_xor_b32_e32 v30, v30, v31
	v_lshlrev_b32_e32 v30, 2, v30
	s_mov_b32 s0, 0x1000504
	s_mov_b32 s1, 0x3020706
	s_waitcnt lgkmcnt(3)
	v_mfma_f32_16x16x16_bf16 a[0:3], v[20:21], v[36:37], a[0:3]
	v_mfma_f32_16x16x16_bf16 a[4:7], v[20:21], v[38:39], a[4:7]
	ds_read2_b64 v[36:39], v18 offset0:32 offset1:48
	v_and_b32_e32 v18, 12, v35
	ds_read2st64_b64 v[32:35], v26 offset0:52 offset1:56
	s_waitcnt lgkmcnt(1)
	v_mfma_f32_16x16x16_bf16 a[8:11], v[20:21], v[36:37], a[8:11]
	v_mfma_f32_16x16x16_bf16 a[12:15], v[20:21], v[38:39], a[12:15]
	ds_read2st64_b64 v[36:39], v27 offset0:52 offset1:56
	ds_read2st64_b64 v[40:43], v28 offset0:52 offset1:56
	;; [unrolled: 1-line block ×3, first 2 shown]
	s_waitcnt lgkmcnt(3)
	v_mfma_f32_16x16x16_bf16 a[0:3], v[94:95], v[32:33], a[0:3]
	ds_read_b64 v[20:21], v26 offset:30720
	ds_read_b64 v[32:33], v27 offset:30720
	;; [unrolled: 1-line block ×4, first 2 shown]
	s_waitcnt lgkmcnt(6)
	v_mfma_f32_16x16x16_bf16 a[4:7], v[94:95], v[36:37], a[4:7]
	v_and_b32_e32 v36, 1, v0
	v_xor_b32_e32 v37, 0x440, v30
	v_cmp_eq_u32_e32 vcc, 0, v36
	s_waitcnt lgkmcnt(5)
	v_mfma_f32_16x16x16_bf16 a[8:11], v[94:95], v[40:41], a[8:11]
	v_cndmask_b32_e32 v30, v37, v30, vcc
	v_lshl_or_b32 v30, v31, 10, v30
	s_waitcnt lgkmcnt(4)
	v_mfma_f32_16x16x16_bf16 a[12:15], v[94:95], v[90:91], a[12:15]
	s_waitcnt vmcnt(0)
	v_perm_b32 v31, v2, v6, s0
	v_perm_b32 v2, v2, v6, s1
	;; [unrolled: 1-line block ×3, first 2 shown]
	v_mfma_f32_16x16x16_bf16 a[0:3], v[96:97], v[34:35], a[0:3]
	v_perm_b32 v34, v10, v14, s0
	ds_write2st64_b32 v30, v31, v34 offset0:128 offset1:160
	v_xor_b32_e32 v31, 8, v30
	v_add_u32_e32 v10, 0x80, v31
	ds_write2st64_b32 v10, v2, v6 offset0:128 offset1:160
	v_xor_b32_e32 v2, 16, v30
	v_perm_b32 v6, v3, v7, s0
	v_perm_b32 v10, v11, v15, s0
	v_mfma_f32_16x16x16_bf16 a[4:7], v[96:97], v[38:39], a[4:7]
	ds_write2st64_b32 v2, v6, v10 offset0:129 offset1:161
	v_xor_b32_e32 v2, 24, v30
	v_perm_b32 v3, v3, v7, s1
	v_mfma_f32_16x16x16_bf16 a[16:19], v[96:97], v[42:43], a[8:11]
	v_perm_b32 v6, v11, v15, s1
	v_add_u32_e32 v2, 0x80, v2
	ds_write2st64_b32 v2, v3, v6 offset0:129 offset1:161
	v_mfma_f32_16x16x16_bf16 a[20:23], v[96:97], v[92:93], a[12:15]
	v_xor_b32_e32 v2, 32, v30
	v_perm_b32 v3, v4, v8, s0
	v_perm_b32 v6, v12, v16, s0
	ds_write2st64_b32 v2, v3, v6 offset0:130 offset1:162
	v_xor_b32_e32 v2, 40, v30
	s_waitcnt lgkmcnt(8)
	v_mfma_f32_16x16x16_bf16 a[12:15], v[98:99], v[20:21], a[0:3]
	v_perm_b32 v3, v4, v8, s1
	v_perm_b32 v4, v12, v16, s1
	v_add_u32_e32 v2, 0x80, v2
	s_waitcnt lgkmcnt(7)
	v_mfma_f32_16x16x16_bf16 a[8:11], v[98:99], v[32:33], a[4:7]
	ds_write2st64_b32 v2, v3, v4 offset0:130 offset1:162
	v_xor_b32_e32 v2, 48, v30
	v_perm_b32 v3, v5, v9, s0
	s_waitcnt lgkmcnt(7)
	v_mfma_f32_16x16x16_bf16 a[4:7], v[98:99], v[100:101], a[16:19]
	v_perm_b32 v4, v13, v17, s0
	ds_write2st64_b32 v2, v3, v4 offset0:131 offset1:163
	v_xor_b32_e32 v2, 56, v30
	s_waitcnt lgkmcnt(7)
	v_mfma_f32_16x16x16_bf16 a[0:3], v[98:99], v[102:103], a[20:23]
	v_or_b32_e32 v16, v18, v45
	v_perm_b32 v3, v5, v9, s1
	v_perm_b32 v4, v13, v17, s1
	v_add_u32_e32 v2, 0x80, v2
	v_cmp_gt_i32_e32 vcc, s46, v16
	v_mov_b32_e32 v17, 0
	v_mov_b32_e32 v21, 0
	ds_write2st64_b32 v2, v3, v4 offset0:131 offset1:163
	s_and_saveexec_b64 s[0:1], vcc
	s_cbranch_execz .LBB26_60
; %bb.59:
	v_add_u32_e32 v2, s43, v16
	v_ashrrev_i32_e32 v3, 31, v2
	v_mul_lo_u32 v4, v3, s30
	v_mul_lo_u32 v5, v2, s31
	v_mad_u64_u32 v[2:3], s[2:3], v2, s30, 0
	v_add3_u32 v3, v3, v5, v4
	v_lshl_add_u64 v[2:3], v[2:3], 2, s[10:11]
	global_load_dword v2, v[2:3], off
	s_waitcnt vmcnt(0)
	v_sub_f32_e32 v2, s12, v2
	v_exp_f32_e32 v21, v2
.LBB26_60:
	s_or_b64 exec, exec, s[0:1]
	v_or_b32_e32 v8, 1, v16
	v_cmp_gt_i32_e64 s[0:1], s46, v8
	s_and_saveexec_b64 s[2:3], s[0:1]
	s_cbranch_execz .LBB26_62
; %bb.61:
	v_add_u32_e32 v2, s43, v8
	v_ashrrev_i32_e32 v3, 31, v2
	v_mul_lo_u32 v4, v3, s30
	v_mul_lo_u32 v5, v2, s31
	v_mad_u64_u32 v[2:3], s[4:5], v2, s30, 0
	v_add3_u32 v3, v3, v5, v4
	v_lshl_add_u64 v[2:3], v[2:3], 2, s[10:11]
	global_load_dword v2, v[2:3], off
	s_waitcnt vmcnt(0)
	v_sub_f32_e32 v2, s12, v2
	v_exp_f32_e32 v17, v2
.LBB26_62:
	s_or_b64 exec, exec, s[2:3]
	v_or_b32_e32 v9, 2, v16
	v_cmp_gt_i32_e64 s[2:3], s46, v9
	v_mov_b32_e32 v20, 0
	v_mov_b32_e32 v30, 0
	s_and_saveexec_b64 s[4:5], s[2:3]
	s_cbranch_execz .LBB26_64
; %bb.63:
	v_add_u32_e32 v2, s43, v9
	v_ashrrev_i32_e32 v3, 31, v2
	v_mul_lo_u32 v4, v3, s30
	v_mul_lo_u32 v5, v2, s31
	v_mad_u64_u32 v[2:3], s[6:7], v2, s30, 0
	v_add3_u32 v3, v3, v5, v4
	v_lshl_add_u64 v[2:3], v[2:3], 2, s[10:11]
	global_load_dword v2, v[2:3], off
	s_waitcnt vmcnt(0)
	v_sub_f32_e32 v2, s12, v2
	v_exp_f32_e32 v30, v2
.LBB26_64:
	s_or_b64 exec, exec, s[4:5]
	v_or_b32_e32 v31, 3, v16
	v_cmp_gt_i32_e64 s[4:5], s46, v31
	s_and_saveexec_b64 s[6:7], s[4:5]
	s_cbranch_execz .LBB26_66
; %bb.65:
	v_add_u32_e32 v2, s43, v31
	v_ashrrev_i32_e32 v3, 31, v2
	v_mul_lo_u32 v4, v3, s30
	v_mul_lo_u32 v5, v2, s31
	v_mad_u64_u32 v[2:3], s[20:21], v2, s30, 0
	v_add3_u32 v3, v3, v5, v4
	v_lshl_add_u64 v[2:3], v[2:3], 2, s[10:11]
	global_load_dword v2, v[2:3], off
	s_waitcnt vmcnt(0)
	v_sub_f32_e32 v2, s12, v2
	v_exp_f32_e32 v20, v2
.LBB26_66:
	s_or_b64 exec, exec, s[6:7]
	s_add_u32 s6, s8, s24
	v_accvgpr_read_b32 v2, a12
	s_addc_u32 s7, s9, s25
	v_ashrrev_i32_e32 v89, 31, v88
	v_accvgpr_read_b32 v3, a13
	v_accvgpr_read_b32 v4, a14
	;; [unrolled: 1-line block ×3, first 2 shown]
	v_lshl_add_u64 v[6:7], v[88:89], 1, s[6:7]
	v_mov_b32_e32 v13, 0
	v_lshlrev_b32_e32 v10, 8, v16
	v_mov_b32_e32 v11, 0
	s_and_saveexec_b64 s[6:7], vcc
	s_cbranch_execz .LBB26_68
; %bb.67:
	v_mov_b32_e32 v11, 0
	v_lshl_add_u64 v[14:15], v[6:7], 0, v[10:11]
	global_load_ushort v11, v[14:15], off
	s_waitcnt vmcnt(0)
	v_lshlrev_b32_e32 v11, 16, v11
	v_sub_f32_e32 v2, v11, v2
	v_mul_f32_e32 v2, v21, v2
	v_lshrrev_b32_e32 v11, 16, v2
.LBB26_68:
	s_or_b64 exec, exec, s[6:7]
	v_lshlrev_b32_e32 v12, 8, v8
	s_and_saveexec_b64 s[6:7], s[0:1]
	s_cbranch_execz .LBB26_70
; %bb.69:
	v_mov_b32_e32 v13, 0
	v_lshl_add_u64 v[14:15], v[6:7], 0, v[12:13]
	global_load_ushort v2, v[14:15], off
	s_waitcnt vmcnt(0)
	v_lshlrev_b32_e32 v2, 16, v2
	v_sub_f32_e32 v2, v2, v3
	v_mul_f32_e32 v2, v17, v2
	v_lshrrev_b32_e32 v13, 16, v2
.LBB26_70:
	s_or_b64 exec, exec, s[6:7]
	v_mov_b32_e32 v32, 0
	v_lshlrev_b32_e32 v14, 8, v9
	v_mov_b32_e32 v15, 0
	s_and_saveexec_b64 s[6:7], s[2:3]
	s_cbranch_execz .LBB26_72
; %bb.71:
	v_mov_b32_e32 v15, 0
	v_lshl_add_u64 v[2:3], v[6:7], 0, v[14:15]
	global_load_ushort v2, v[2:3], off
	s_waitcnt vmcnt(0)
	v_lshlrev_b32_e32 v2, 16, v2
	v_sub_f32_e32 v2, v2, v4
	v_mul_f32_e32 v2, v30, v2
	v_lshrrev_b32_e32 v15, 16, v2
.LBB26_72:
	s_or_b64 exec, exec, s[6:7]
	v_lshlrev_b32_e32 v8, 8, v31
	s_and_saveexec_b64 s[6:7], s[4:5]
	s_cbranch_execz .LBB26_74
; %bb.73:
	v_mov_b32_e32 v9, 0
	v_lshl_add_u64 v[2:3], v[6:7], 0, v[8:9]
	global_load_ushort v2, v[2:3], off
	s_waitcnt vmcnt(0)
	v_lshlrev_b32_e32 v2, 16, v2
	v_sub_f32_e32 v2, v2, v5
	v_mul_f32_e32 v2, v20, v2
	v_lshrrev_b32_e32 v32, 16, v2
.LBB26_74:
	s_or_b64 exec, exec, s[6:7]
	v_lshlrev_b32_e32 v31, 6, v16
	v_accvgpr_read_b32 v2, a8
	s_mov_b32 s6, 0x5040100
	v_or_b32_e32 v9, v31, v24
	v_accvgpr_read_b32 v3, a9
	v_accvgpr_read_b32 v4, a10
	;; [unrolled: 1-line block ×3, first 2 shown]
	v_perm_b32 v33, v32, v15, s6
	v_perm_b32 v32, v13, v11, s6
	v_lshlrev_b32_e32 v9, 1, v9
	v_mov_b32_e32 v13, 0
	v_mov_b32_e32 v11, 0
	ds_write_b64 v9, v[32:33] offset:24576
	s_and_saveexec_b64 s[6:7], vcc
	s_cbranch_execz .LBB26_76
; %bb.75:
	v_mov_b32_e32 v11, 0
	v_lshl_add_u64 v[32:33], v[6:7], 0, v[10:11]
	global_load_ushort v9, v[32:33], off offset:32
	s_waitcnt vmcnt(0)
	v_lshlrev_b32_e32 v9, 16, v9
	v_sub_f32_e32 v2, v9, v2
	v_mul_f32_e32 v2, v21, v2
	v_lshrrev_b32_e32 v11, 16, v2
.LBB26_76:
	s_or_b64 exec, exec, s[6:7]
	s_and_saveexec_b64 s[6:7], s[0:1]
	s_cbranch_execz .LBB26_78
; %bb.77:
	v_mov_b32_e32 v13, 0
	v_lshl_add_u64 v[32:33], v[6:7], 0, v[12:13]
	global_load_ushort v2, v[32:33], off offset:32
	s_waitcnt vmcnt(0)
	v_lshlrev_b32_e32 v2, 16, v2
	v_sub_f32_e32 v2, v2, v3
	v_mul_f32_e32 v2, v17, v2
	v_lshrrev_b32_e32 v13, 16, v2
.LBB26_78:
	s_or_b64 exec, exec, s[6:7]
	v_mov_b32_e32 v9, 0
	v_mov_b32_e32 v15, 0
	s_and_saveexec_b64 s[6:7], s[2:3]
	s_cbranch_execz .LBB26_80
; %bb.79:
	v_mov_b32_e32 v15, 0
	v_lshl_add_u64 v[2:3], v[6:7], 0, v[14:15]
	global_load_ushort v2, v[2:3], off offset:32
	s_waitcnt vmcnt(0)
	v_lshlrev_b32_e32 v2, 16, v2
	v_sub_f32_e32 v2, v2, v4
	v_mul_f32_e32 v2, v30, v2
	v_lshrrev_b32_e32 v15, 16, v2
.LBB26_80:
	s_or_b64 exec, exec, s[6:7]
	s_and_saveexec_b64 s[6:7], s[4:5]
	s_cbranch_execz .LBB26_82
; %bb.81:
	v_mov_b32_e32 v9, 0
	v_lshl_add_u64 v[2:3], v[6:7], 0, v[8:9]
	global_load_ushort v2, v[2:3], off offset:32
	s_waitcnt vmcnt(0)
	v_lshlrev_b32_e32 v2, 16, v2
	v_sub_f32_e32 v2, v2, v5
	v_mul_f32_e32 v2, v20, v2
	v_lshrrev_b32_e32 v9, 16, v2
.LBB26_82:
	s_or_b64 exec, exec, s[6:7]
	s_mov_b32 s6, 0x5040100
	v_accvgpr_read_b32 v2, a4
	v_perm_b32 v33, v9, v15, s6
	v_or_b32_e32 v9, v31, v23
	v_accvgpr_read_b32 v3, a5
	v_accvgpr_read_b32 v4, a6
	;; [unrolled: 1-line block ×3, first 2 shown]
	v_perm_b32 v32, v13, v11, s6
	v_lshlrev_b32_e32 v9, 1, v9
	v_mov_b32_e32 v13, 0
	v_mov_b32_e32 v11, 0
	ds_write_b64 v9, v[32:33] offset:24576
	s_and_saveexec_b64 s[6:7], vcc
	s_cbranch_execz .LBB26_84
; %bb.83:
	v_mov_b32_e32 v11, 0
	v_lshl_add_u64 v[32:33], v[6:7], 0, v[10:11]
	global_load_ushort v9, v[32:33], off offset:64
	s_waitcnt vmcnt(0)
	v_lshlrev_b32_e32 v9, 16, v9
	v_sub_f32_e32 v2, v9, v2
	v_mul_f32_e32 v2, v21, v2
	v_lshrrev_b32_e32 v11, 16, v2
.LBB26_84:
	s_or_b64 exec, exec, s[6:7]
	s_and_saveexec_b64 s[6:7], s[0:1]
	s_cbranch_execz .LBB26_86
; %bb.85:
	v_mov_b32_e32 v13, 0
	v_lshl_add_u64 v[32:33], v[6:7], 0, v[12:13]
	global_load_ushort v2, v[32:33], off offset:64
	s_waitcnt vmcnt(0)
	v_lshlrev_b32_e32 v2, 16, v2
	v_sub_f32_e32 v2, v2, v3
	v_mul_f32_e32 v2, v17, v2
	v_lshrrev_b32_e32 v13, 16, v2
.LBB26_86:
	s_or_b64 exec, exec, s[6:7]
	v_mov_b32_e32 v9, 0
	v_mov_b32_e32 v15, 0
	s_and_saveexec_b64 s[6:7], s[2:3]
	s_cbranch_execz .LBB26_88
; %bb.87:
	v_mov_b32_e32 v15, 0
	v_lshl_add_u64 v[2:3], v[6:7], 0, v[14:15]
	global_load_ushort v2, v[2:3], off offset:64
	s_waitcnt vmcnt(0)
	v_lshlrev_b32_e32 v2, 16, v2
	v_sub_f32_e32 v2, v2, v4
	v_mul_f32_e32 v2, v30, v2
	v_lshrrev_b32_e32 v15, 16, v2
.LBB26_88:
	s_or_b64 exec, exec, s[6:7]
	s_and_saveexec_b64 s[6:7], s[4:5]
	s_cbranch_execz .LBB26_90
; %bb.89:
	v_mov_b32_e32 v9, 0
	v_lshl_add_u64 v[2:3], v[6:7], 0, v[8:9]
	global_load_ushort v2, v[2:3], off offset:64
	s_waitcnt vmcnt(0)
	v_lshlrev_b32_e32 v2, 16, v2
	v_sub_f32_e32 v2, v2, v5
	v_mul_f32_e32 v2, v20, v2
	v_lshrrev_b32_e32 v9, 16, v2
.LBB26_90:
	s_or_b64 exec, exec, s[6:7]
	s_mov_b32 s6, 0x5040100
	v_accvgpr_read_b32 v5, a3
	v_perm_b32 v33, v9, v15, s6
	v_or_b32_e32 v9, v31, v22
	v_accvgpr_read_b32 v4, a2
	v_accvgpr_read_b32 v3, a1
	;; [unrolled: 1-line block ×3, first 2 shown]
	v_perm_b32 v32, v13, v11, s6
	v_lshlrev_b32_e32 v9, 1, v9
	v_mov_b32_e32 v13, 0
	v_mov_b32_e32 v11, 0
	ds_write_b64 v9, v[32:33] offset:24576
	s_and_saveexec_b64 s[6:7], vcc
	s_cbranch_execz .LBB26_92
; %bb.91:
	v_mov_b32_e32 v11, 0
	v_lshl_add_u64 v[10:11], v[6:7], 0, v[10:11]
	global_load_ushort v9, v[10:11], off offset:96
	s_waitcnt vmcnt(0)
	v_lshlrev_b32_e32 v9, 16, v9
	v_sub_f32_e32 v2, v9, v2
	v_mul_f32_e32 v2, v21, v2
	v_lshrrev_b32_e32 v11, 16, v2
.LBB26_92:
	s_or_b64 exec, exec, s[6:7]
	s_and_saveexec_b64 s[6:7], s[0:1]
	s_cbranch_execz .LBB26_94
; %bb.93:
	v_mov_b32_e32 v13, 0
	v_lshl_add_u64 v[12:13], v[6:7], 0, v[12:13]
	global_load_ushort v2, v[12:13], off offset:96
	s_waitcnt vmcnt(0)
	v_lshlrev_b32_e32 v2, 16, v2
	v_sub_f32_e32 v2, v2, v3
	v_mul_f32_e32 v2, v17, v2
	v_lshrrev_b32_e32 v13, 16, v2
.LBB26_94:
	s_or_b64 exec, exec, s[6:7]
	v_mov_b32_e32 v9, 0
	v_mov_b32_e32 v12, 0
	s_and_saveexec_b64 s[0:1], s[2:3]
	s_cbranch_execz .LBB26_96
; %bb.95:
	v_mov_b32_e32 v15, 0
	v_lshl_add_u64 v[2:3], v[6:7], 0, v[14:15]
	global_load_ushort v2, v[2:3], off offset:96
	s_waitcnt vmcnt(0)
	v_lshlrev_b32_e32 v2, 16, v2
	v_sub_f32_e32 v2, v2, v4
	v_mul_f32_e32 v2, v30, v2
	v_lshrrev_b32_e32 v12, 16, v2
.LBB26_96:
	s_or_b64 exec, exec, s[0:1]
	v_or_b32_e32 v10, 0x6000, v26
	v_or_b32_e32 v2, 0x6000, v27
	;; [unrolled: 1-line block ×4, first 2 shown]
	s_and_saveexec_b64 s[0:1], s[4:5]
	s_cbranch_execz .LBB26_98
; %bb.97:
	v_mov_b32_e32 v9, 0
	v_lshl_add_u64 v[6:7], v[6:7], 0, v[8:9]
	global_load_ushort v6, v[6:7], off offset:96
	s_waitcnt vmcnt(0)
	v_lshlrev_b32_e32 v6, 16, v6
	v_sub_f32_e32 v5, v6, v5
	v_mul_f32_e32 v5, v20, v5
	v_lshrrev_b32_e32 v9, 16, v5
.LBB26_98:
	s_or_b64 exec, exec, s[0:1]
	s_mov_b32 s0, 0x5040100
	v_or_b32_e32 v5, v31, v19
	v_perm_b32 v7, v9, v12, s0
	v_perm_b32 v6, v13, v11, s0
	v_lshlrev_b32_e32 v5, 1, v5
	ds_write_b64 v5, v[6:7] offset:24576
	v_and_b32_e32 v5, 7, v0
	v_and_b32_e32 v11, 8, v0
	v_lshlrev_b32_e32 v17, 3, v5
	v_lshlrev_b32_e32 v19, 7, v5
	v_lshrrev_b32_e32 v5, 1, v0
	v_and_b32_e32 v5, 24, v5
	v_mov_b32_e32 v12, 0x400
	v_cmp_eq_u32_e32 vcc, 0, v11
	s_movk_i32 s2, 0x100
	v_lshlrev_b32_e32 v24, 3, v1
	v_cndmask_b32_e64 v11, v12, 64, vcc
	v_mov_b32_e32 v12, 0xa000
	v_mov_b32_e32 v13, 0x8000
	v_cmp_gt_u32_e64 s[0:1], s2, v0
	v_xor_b32_e32 v40, v24, v5
	s_waitcnt lgkmcnt(0)
	v_cndmask_b32_e64 v0, v12, v13, s[0:1]
	v_or_b32_e32 v12, 0x440, v40
	v_cndmask_b32_e32 v12, v12, v40, vcc
	v_or_b32_e32 v12, v12, v25
	v_xor_b32_e32 v44, v12, v17
	v_add3_u32 v12, v0, v44, v19
	s_barrier
	ds_read_b64 v[20:21], v12
	v_or_b32_e32 v12, 32, v5
	v_xor_b32_e32 v12, v24, v12
	v_or_b32_e32 v13, 0x440, v12
	v_cndmask_b32_e32 v12, v13, v12, vcc
	v_or_b32_e32 v12, v12, v25
	v_xor_b32_e32 v47, v12, v17
	v_add3_u32 v12, v0, v47, v19
	ds_read2_b64 v[6:9], v10 offset1:16
	ds_read_b64 v[38:39], v12
	ds_read2_b64 v[12:15], v10 offset0:32 offset1:48
	v_or3_b32 v11, v25, v11, v40
	v_xor_b32_e32 v11, v11, v17
	v_or_b32_e32 v88, v11, v19
	v_or_b32_e32 v11, v0, v88
	s_waitcnt lgkmcnt(2)
	v_mfma_f32_16x16x16_bf16 a[0:3], v[20:21], v[6:7], 0
	ds_read2st64_b64 v[26:29], v2 offset0:4 offset1:8
	v_or_b32_e32 v5, 0x60, v5
	v_xor_b32_e32 v5, v24, v5
	v_mfma_f32_16x16x16_bf16 a[4:7], v[20:21], v[8:9], 0
	s_add_i32 s0, s14, s49
	s_mul_hi_i32 s1, s0, s13
	s_mul_i32 s0, s0, s13
	s_waitcnt lgkmcnt(1)
	v_mfma_f32_16x16x16_bf16 a[8:11], v[20:21], v[12:13], 0
	s_add_u32 s0, s0, s33
	s_addc_u32 s1, s1, s48
	s_lshl_b64 s[0:1], s[0:1], 9
	v_mfma_f32_16x16x16_bf16 a[12:15], v[20:21], v[14:15], 0
	ds_read2st64_b64 v[20:23], v10 offset0:4 offset1:8
	ds_read2st64_b64 v[30:33], v3 offset0:4 offset1:8
	;; [unrolled: 1-line block ×3, first 2 shown]
	ds_read_b64 v[40:41], v11
	v_xor_b32_e32 v11, 0x440, v5
	v_cndmask_b32_e32 v5, v11, v5, vcc
	s_waitcnt lgkmcnt(3)
	v_mfma_f32_16x16x16_bf16 a[0:3], v[38:39], v[20:21], a[0:3]
	v_or_b32_e32 v5, v5, v25
	v_xor_b32_e32 v17, v5, v17
	v_add3_u32 v0, v0, v17, v19
	v_mfma_f32_16x16x16_bf16 a[4:7], v[38:39], v[26:27], a[4:7]
	s_add_u32 s0, s16, s0
	ds_read_b64 v[24:25], v0
	s_addc_u32 s1, s17, s1
	s_waitcnt lgkmcnt(3)
	v_mfma_f32_16x16x16_bf16 a[8:11], v[38:39], v[30:31], a[8:11]
	v_lshlrev_b32_e32 v0, 2, v16
	ds_read_b64 v[10:11], v10 offset:6144
	v_add_u32_e32 v17, v17, v19
	s_waitcnt lgkmcnt(3)
	v_mfma_f32_16x16x16_bf16 a[12:15], v[38:39], v[34:35], a[12:15]
	s_waitcnt lgkmcnt(2)
	v_mfma_f32_16x16x16_bf16 a[0:3], v[40:41], v[22:23], a[0:3]
	v_mfma_f32_16x16x16_bf16 a[4:7], v[40:41], v[28:29], a[4:7]
	;; [unrolled: 1-line block ×4, first 2 shown]
	ds_read_b64 v[38:39], v2 offset:6144
	ds_read_b64 v[40:41], v3 offset:6144
	;; [unrolled: 1-line block ×3, first 2 shown]
	global_load_dwordx4 v[2:5], v0, s[0:1]
	v_add_u32_e32 v0, v44, v19
	ds_read_b64 v[44:45], v0 offset:40960
	v_lshlrev_b32_e32 v0, 6, v1
	v_lshlrev_b32_e32 v1, 2, v18
	v_or3_b32 v16, v0, v1, s2
	v_add_u32_e32 v0, v47, v19
	s_waitcnt lgkmcnt(4)
	v_mfma_f32_16x16x16_bf16 a[0:3], v[24:25], v[10:11], a[0:3]
	s_waitcnt vmcnt(0)
	v_exp_f32_e32 v2, v2
	s_waitcnt lgkmcnt(3)
	v_mfma_f32_16x16x16_bf16 a[4:7], v[24:25], v[38:39], a[4:7]
	v_exp_f32_e32 v3, v3
	v_exp_f32_e32 v4, v4
	;; [unrolled: 1-line block ×3, first 2 shown]
	s_waitcnt lgkmcnt(2)
	v_mfma_f32_16x16x16_bf16 a[8:11], v[24:25], v[40:41], a[8:11]
	s_waitcnt lgkmcnt(1)
	v_mfma_f32_16x16x16_bf16 a[12:15], v[24:25], v[42:43], a[12:15]
	ds_read_b64 v[0:1], v0 offset:40960
	ds_read_b64 v[24:25], v17 offset:40960
	global_load_dwordx4 v[16:19], v16, s[0:1]
	s_waitcnt lgkmcnt(2)
	v_mfma_f32_16x16x16_bf16 a[16:19], v[44:45], v[6:7], 0
	v_exp_f32_e32 v6, s12
	s_nop 0
	v_pk_mul_f32 v[2:3], v[6:7], v[2:3] op_sel_hi:[0,1]
	v_mfma_f32_16x16x16_bf16 a[24:27], v[44:45], v[12:13], 0
	v_accvgpr_read_b32 v13, a7
	v_accvgpr_read_b32 v12, a6
	v_pk_mul_f32 v[4:5], v[6:7], v[4:5] op_sel_hi:[0,1]
	s_waitcnt lgkmcnt(1)
	v_mfma_f32_16x16x16_bf16 a[16:19], v[0:1], v[20:21], a[16:19]
	ds_read_b64 v[20:21], v88 offset:40960
	v_pk_fma_f32 v[78:79], v[4:5], v[78:79], v[12:13]
	v_mfma_f32_16x16x16_bf16 a[20:23], v[44:45], v[8:9], 0
	v_accvgpr_read_b32 v9, a3
	v_accvgpr_read_b32 v8, a2
	v_pk_fma_f32 v[86:87], v[86:87], v[4:5], v[8:9]
	v_mfma_f32_16x16x16_bf16 a[28:31], v[44:45], v[14:15], 0
	v_accvgpr_read_b32 v15, a11
	v_accvgpr_read_b32 v14, a10
	;; [unrolled: 4-line block ×5, first 2 shown]
	v_pk_fma_f32 v[74:75], v[2:3], v[74:75], v[0:1]
	v_accvgpr_read_b32 v0, a8
	v_accvgpr_read_b32 v1, a9
	s_waitcnt lgkmcnt(0)
	v_mfma_f32_16x16x16_bf16 a[4:7], v[20:21], v[22:23], a[16:19]
	v_pk_fma_f32 v[66:67], v[2:3], v[66:67], v[0:1]
	v_accvgpr_read_b32 v0, a12
	v_accvgpr_read_b32 v1, a13
	v_mfma_f32_16x16x16_bf16 a[8:11], v[20:21], v[28:29], a[20:23]
	v_pk_fma_f32 v[58:59], v[2:3], v[58:59], v[0:1]
	s_waitcnt vmcnt(0)
	v_mov_b32_e32 v0, v17
	v_mfma_f32_16x16x16_bf16 a[12:15], v[20:21], v[32:33], a[24:27]
	v_mov_b32_e32 v1, v18
	v_mov_b32_e32 v2, v19
	v_exp_f32_e32 v9, v0
	v_exp_f32_e32 v0, v1
	;; [unrolled: 1-line block ×3, first 2 shown]
	v_mfma_f32_16x16x16_bf16 a[4:7], v[24:25], v[10:11], a[4:7]
	v_exp_f32_e32 v8, v16
	v_pk_mul_f32 v[0:1], v[6:7], v[0:1] op_sel_hi:[0,1]
	v_mfma_f32_16x16x16_bf16 a[0:3], v[20:21], v[36:37], a[0:3]
	v_pk_mul_f32 v[2:3], v[6:7], v[8:9] op_sel_hi:[0,1]
	v_mfma_f32_16x16x16_bf16 a[8:11], v[24:25], v[38:39], a[8:11]
	s_nop 1
	v_accvgpr_read_b32 v5, a7
	v_accvgpr_read_b32 v4, a6
	v_pk_fma_f32 v[84:85], v[84:85], v[0:1], v[4:5]
	v_mfma_f32_16x16x16_bf16 a[12:15], v[24:25], v[40:41], a[12:15]
	v_accvgpr_read_b32 v13, a5
	v_accvgpr_read_b32 v12, a4
	v_pk_fma_f32 v[80:81], v[80:81], v[2:3], v[12:13]
	v_mfma_f32_16x16x16_bf16 a[0:3], v[24:25], v[42:43], a[0:3]
	v_accvgpr_read_b32 v4, a8
	v_accvgpr_read_b32 v5, a9
	v_pk_fma_f32 v[72:73], v[2:3], v[72:73], v[4:5]
	v_accvgpr_read_b32 v4, a12
	v_accvgpr_read_b32 v5, a13
	v_pk_fma_f32 v[64:65], v[2:3], v[64:65], v[4:5]
	v_accvgpr_read_b32 v7, a11
	v_accvgpr_read_b32 v5, a1
	v_accvgpr_read_b32 v6, a10
	v_accvgpr_read_b32 v9, a15
	v_accvgpr_read_b32 v8, a14
	v_accvgpr_read_b32 v11, a3
	v_accvgpr_read_b32 v10, a2
	v_accvgpr_read_b32 v4, a0
	v_pk_fma_f32 v[76:77], v[0:1], v[76:77], v[6:7]
	v_pk_fma_f32 v[68:69], v[0:1], v[68:69], v[8:9]
	;; [unrolled: 1-line block ×4, first 2 shown]
.LBB26_99:
	s_add_u32 s0, s18, s28
	s_addc_u32 s1, s19, s29
	v_lshl_add_u64 v[0:1], v[48:49], 1, s[0:1]
	v_mov_b32_e32 v47, 0
	s_mov_b32 s2, 0x7060302
	v_lshl_add_u64 v[0:1], v[0:1], 0, v[46:47]
	v_perm_b32 v3, v87, v86, s2
	v_perm_b32 v2, v83, v82, s2
	global_store_dwordx2 v[0:1], v[2:3], off
	v_perm_b32 v3, v85, v84, s2
	v_perm_b32 v2, v81, v80, s2
	global_store_dwordx2 v[0:1], v[2:3], off offset:128
	v_lshl_add_u64 v[0:1], v[50:51], 1, s[0:1]
	v_lshl_add_u64 v[0:1], v[0:1], 0, v[46:47]
	v_perm_b32 v3, v79, v78, s2
	v_perm_b32 v2, v75, v74, s2
	global_store_dwordx2 v[0:1], v[2:3], off
	v_perm_b32 v3, v77, v76, s2
	v_perm_b32 v2, v73, v72, s2
	global_store_dwordx2 v[0:1], v[2:3], off offset:128
	v_lshl_add_u64 v[0:1], v[52:53], 1, s[0:1]
	;; [unrolled: 8-line block ×3, first 2 shown]
	v_lshl_add_u64 v[0:1], v[0:1], 0, v[46:47]
	v_perm_b32 v3, v63, v62, s2
	v_perm_b32 v2, v59, v58, s2
	global_store_dwordx2 v[0:1], v[2:3], off
	v_perm_b32 v3, v61, v60, s2
	v_perm_b32 v2, v57, v56, s2
	global_store_dwordx2 v[0:1], v[2:3], off offset:128
	s_endpgm
	.section	.rodata,"a",@progbits
	.p2align	6, 0x0
	.amdhsa_kernel _ZN12_GLOBAL__N_139chunk_gated_delta_rule_fwd_h_hip_kernelILi64ELb1ELb1ELb0ELb0ELb1ELb1ELb0ELb1EEEvPK12hip_bfloat16S3_S3_PKfS5_PKvPS1_S8_PvPKiSB_iiiiilll
		.amdhsa_group_segment_fixed_size 65536
		.amdhsa_private_segment_fixed_size 0
		.amdhsa_kernarg_size 136
		.amdhsa_user_sgpr_count 2
		.amdhsa_user_sgpr_dispatch_ptr 0
		.amdhsa_user_sgpr_queue_ptr 0
		.amdhsa_user_sgpr_kernarg_segment_ptr 1
		.amdhsa_user_sgpr_dispatch_id 0
		.amdhsa_user_sgpr_kernarg_preload_length 0
		.amdhsa_user_sgpr_kernarg_preload_offset 0
		.amdhsa_user_sgpr_private_segment_size 0
		.amdhsa_uses_dynamic_stack 0
		.amdhsa_enable_private_segment 0
		.amdhsa_system_sgpr_workgroup_id_x 1
		.amdhsa_system_sgpr_workgroup_id_y 1
		.amdhsa_system_sgpr_workgroup_id_z 0
		.amdhsa_system_sgpr_workgroup_info 0
		.amdhsa_system_vgpr_workitem_id 0
		.amdhsa_next_free_vgpr 240
		.amdhsa_next_free_sgpr 73
		.amdhsa_accum_offset 200
		.amdhsa_reserve_vcc 1
		.amdhsa_float_round_mode_32 0
		.amdhsa_float_round_mode_16_64 0
		.amdhsa_float_denorm_mode_32 3
		.amdhsa_float_denorm_mode_16_64 3
		.amdhsa_dx10_clamp 1
		.amdhsa_ieee_mode 1
		.amdhsa_fp16_overflow 0
		.amdhsa_tg_split 0
		.amdhsa_exception_fp_ieee_invalid_op 0
		.amdhsa_exception_fp_denorm_src 0
		.amdhsa_exception_fp_ieee_div_zero 0
		.amdhsa_exception_fp_ieee_overflow 0
		.amdhsa_exception_fp_ieee_underflow 0
		.amdhsa_exception_fp_ieee_inexact 0
		.amdhsa_exception_int_div_zero 0
	.end_amdhsa_kernel
	.section	.text._ZN12_GLOBAL__N_139chunk_gated_delta_rule_fwd_h_hip_kernelILi64ELb1ELb1ELb0ELb0ELb1ELb1ELb0ELb1EEEvPK12hip_bfloat16S3_S3_PKfS5_PKvPS1_S8_PvPKiSB_iiiiilll,"axG",@progbits,_ZN12_GLOBAL__N_139chunk_gated_delta_rule_fwd_h_hip_kernelILi64ELb1ELb1ELb0ELb0ELb1ELb1ELb0ELb1EEEvPK12hip_bfloat16S3_S3_PKfS5_PKvPS1_S8_PvPKiSB_iiiiilll,comdat
.Lfunc_end26:
	.size	_ZN12_GLOBAL__N_139chunk_gated_delta_rule_fwd_h_hip_kernelILi64ELb1ELb1ELb0ELb0ELb1ELb1ELb0ELb1EEEvPK12hip_bfloat16S3_S3_PKfS5_PKvPS1_S8_PvPKiSB_iiiiilll, .Lfunc_end26-_ZN12_GLOBAL__N_139chunk_gated_delta_rule_fwd_h_hip_kernelILi64ELb1ELb1ELb0ELb0ELb1ELb1ELb0ELb1EEEvPK12hip_bfloat16S3_S3_PKfS5_PKvPS1_S8_PvPKiSB_iiiiilll
                                        ; -- End function
	.section	.AMDGPU.csdata,"",@progbits
; Kernel info:
; codeLenInByte = 12672
; NumSgprs: 79
; NumVgprs: 198
; NumAgprs: 40
; TotalNumVgprs: 240
; ScratchSize: 0
; MemoryBound: 0
; FloatMode: 240
; IeeeMode: 1
; LDSByteSize: 65536 bytes/workgroup (compile time only)
; SGPRBlocks: 9
; VGPRBlocks: 29
; NumSGPRsForWavesPerEU: 79
; NumVGPRsForWavesPerEU: 240
; AccumOffset: 200
; Occupancy: 1
; WaveLimiterHint : 1
; COMPUTE_PGM_RSRC2:SCRATCH_EN: 0
; COMPUTE_PGM_RSRC2:USER_SGPR: 2
; COMPUTE_PGM_RSRC2:TRAP_HANDLER: 0
; COMPUTE_PGM_RSRC2:TGID_X_EN: 1
; COMPUTE_PGM_RSRC2:TGID_Y_EN: 1
; COMPUTE_PGM_RSRC2:TGID_Z_EN: 0
; COMPUTE_PGM_RSRC2:TIDIG_COMP_CNT: 0
; COMPUTE_PGM_RSRC3_GFX90A:ACCUM_OFFSET: 49
; COMPUTE_PGM_RSRC3_GFX90A:TG_SPLIT: 0
	.section	.text._ZN12_GLOBAL__N_139chunk_gated_delta_rule_fwd_h_hip_kernelILi64ELb1ELb0ELb1ELb0ELb1ELb1ELb0ELb1EEEvPK12hip_bfloat16S3_S3_PKfS5_PKvPS1_S8_PvPKiSB_iiiiilll,"axG",@progbits,_ZN12_GLOBAL__N_139chunk_gated_delta_rule_fwd_h_hip_kernelILi64ELb1ELb0ELb1ELb0ELb1ELb1ELb0ELb1EEEvPK12hip_bfloat16S3_S3_PKfS5_PKvPS1_S8_PvPKiSB_iiiiilll,comdat
	.globl	_ZN12_GLOBAL__N_139chunk_gated_delta_rule_fwd_h_hip_kernelILi64ELb1ELb0ELb1ELb0ELb1ELb1ELb0ELb1EEEvPK12hip_bfloat16S3_S3_PKfS5_PKvPS1_S8_PvPKiSB_iiiiilll ; -- Begin function _ZN12_GLOBAL__N_139chunk_gated_delta_rule_fwd_h_hip_kernelILi64ELb1ELb0ELb1ELb0ELb1ELb1ELb0ELb1EEEvPK12hip_bfloat16S3_S3_PKfS5_PKvPS1_S8_PvPKiSB_iiiiilll
	.p2align	8
	.type	_ZN12_GLOBAL__N_139chunk_gated_delta_rule_fwd_h_hip_kernelILi64ELb1ELb0ELb1ELb0ELb1ELb1ELb0ELb1EEEvPK12hip_bfloat16S3_S3_PKfS5_PKvPS1_S8_PvPKiSB_iiiiilll,@function
_ZN12_GLOBAL__N_139chunk_gated_delta_rule_fwd_h_hip_kernelILi64ELb1ELb0ELb1ELb0ELb1ELb1ELb0ELb1EEEvPK12hip_bfloat16S3_S3_PKfS5_PKvPS1_S8_PvPKiSB_iiiiilll: ; @_ZN12_GLOBAL__N_139chunk_gated_delta_rule_fwd_h_hip_kernelILi64ELb1ELb0ELb1ELb0ELb1ELb1ELb0ELb1EEEvPK12hip_bfloat16S3_S3_PKfS5_PKvPS1_S8_PvPKiSB_iiiiilll
; %bb.0:
	s_load_dwordx4 s[12:15], s[0:1], 0x5c
	s_load_dwordx4 s[20:23], s[0:1], 0x70
	s_abs_i32 s6, s3
	s_ashr_i32 s5, s3, 31
	s_load_dwordx4 s[16:19], s[0:1], 0x28
	s_load_dwordx2 s[28:29], s[0:1], 0x38
	s_waitcnt lgkmcnt(0)
	s_abs_i32 s4, s13
	v_cvt_f32_u32_e32 v1, s4
	s_sub_i32 s8, 0, s4
	s_ashr_i32 s7, s13, 31
	s_xor_b32 s5, s5, s7
	v_rcp_iflag_f32_e32 v1, v1
	v_and_b32_e32 v90, 15, v0
	v_lshrrev_b32_e32 v88, 6, v0
	v_bfe_u32 v89, v0, 4, 2
	v_mul_f32_e32 v1, 0x4f7ffffe, v1
	v_cvt_u32_f32_e32 v1, v1
	v_mov_b32_e32 v7, 0
	v_and_b32_e32 v45, 63, v0
	v_lshrrev_b32_e32 v91, 3, v45
	v_readfirstlane_b32 s9, v1
	s_mul_i32 s8, s8, s9
	s_mul_hi_u32 s8, s9, s8
	s_add_i32 s9, s9, s8
	s_mul_hi_u32 s8, s6, s9
	s_mul_i32 s9, s8, s4
	s_sub_i32 s6, s6, s9
	s_add_i32 s10, s8, 1
	s_sub_i32 s9, s6, s4
	s_cmp_ge_u32 s6, s4
	s_cselect_b32 s8, s10, s8
	s_cselect_b32 s6, s9, s6
	s_add_i32 s9, s8, 1
	s_cmp_ge_u32 s6, s4
	s_cselect_b32 s6, s9, s8
	s_xor_b32 s6, s6, s5
	s_add_i32 s8, s12, 63
	s_sub_i32 s53, s6, s5
	s_ashr_i32 s9, s8, 31
	s_mul_i32 s5, s53, s13
	s_sub_i32 s50, s3, s5
	s_lshr_b32 s3, s9, 26
	s_add_i32 s8, s8, s3
	s_abs_i32 s3, s14
	v_cvt_f32_u32_e32 v1, s3
	s_ashr_i32 s52, s12, 31
	s_lshr_b32 s6, s52, 26
	s_add_i32 s6, s12, s6
	v_rcp_iflag_f32_e32 v1, v1
	s_ashr_i32 s55, s14, 31
	s_ashr_i32 s54, s6, 6
	s_lshl_b32 s38, s2, 6
	v_mul_f32_e32 v1, 0x4f7ffffe, v1
	v_cvt_u32_f32_e32 v1, v1
	s_xor_b32 s2, s7, s55
	s_sub_i32 s6, 0, s3
	s_ashr_i32 s25, s8, 6
	v_readfirstlane_b32 s7, v1
	s_mul_i32 s6, s6, s7
	s_mul_hi_u32 s6, s7, s6
	s_add_i32 s7, s7, s6
	s_mul_hi_u32 s6, s4, s7
	s_mul_i32 s7, s6, s3
	s_sub_i32 s4, s4, s7
	s_add_i32 s7, s6, 1
	s_sub_i32 s8, s4, s3
	s_cmp_ge_u32 s4, s3
	s_cselect_b32 s6, s7, s6
	s_cselect_b32 s4, s8, s4
	s_add_i32 s7, s6, 1
	s_cmp_ge_u32 s4, s3
	s_cselect_b32 s3, s7, s6
	s_xor_b32 s3, s3, s2
	s_sub_i32 s2, s3, s2
	s_abs_i32 s3, s2
	v_cvt_f32_u32_e32 v1, s3
	s_sub_i32 s6, 0, s3
	s_abs_i32 s4, s50
	s_xor_b32 s2, s50, s2
	v_rcp_iflag_f32_e32 v1, v1
	s_ashr_i32 s2, s2, 31
	v_or_b32_e32 v46, s38, v90
	v_lshlrev_b32_e32 v2, 7, v46
	v_mul_f32_e32 v1, 0x4f7ffffe, v1
	v_cvt_u32_f32_e32 v1, v1
	v_or_b32_e32 v10, 0x800, v2
	v_ashrrev_i32_e32 v3, 31, v2
	v_ashrrev_i32_e32 v11, 31, v10
	v_readfirstlane_b32 s7, v1
	s_mul_i32 s6, s6, s7
	s_mul_hi_u32 s6, s7, s6
	s_add_i32 s7, s7, s6
	s_mul_hi_u32 s6, s4, s7
	s_mul_i32 s7, s6, s3
	s_sub_i32 s4, s4, s7
	s_add_i32 s7, s6, 1
	s_sub_i32 s8, s4, s3
	s_cmp_ge_u32 s4, s3
	s_cselect_b32 s6, s7, s6
	s_cselect_b32 s4, s8, s4
	s_add_i32 s7, s6, 1
	s_cmp_ge_u32 s4, s3
	s_cselect_b32 s3, s7, s6
	s_xor_b32 s3, s3, s2
	s_sub_i32 s56, s3, s2
	s_ashr_i32 s24, s53, 31
	s_ashr_i32 s51, s50, 31
	s_mul_hi_i32 s2, s53, s13
	s_add_u32 s40, s5, s50
	s_addc_u32 s41, s2, s51
	s_lshl_b64 s[2:3], s[40:41], 15
	v_lshlrev_b32_e32 v1, 4, v88
	s_add_u32 s2, s16, s2
	v_lshl_or_b32 v93, v89, 2, v1
	s_addc_u32 s3, s17, s3
	v_lshl_add_u64 v[4:5], v[2:3], 1, s[2:3]
	v_lshlrev_b32_e32 v6, 1, v93
	v_lshl_add_u64 v[10:11], v[10:11], 1, s[2:3]
	v_lshl_add_u64 v[4:5], v[4:5], 0, v[6:7]
	;; [unrolled: 1-line block ×3, first 2 shown]
	global_load_dwordx2 v[8:9], v[4:5], off
	v_or_b32_e32 v94, 64, v93
	global_load_dwordx2 v[4:5], v[4:5], off offset:128
	s_nop 0
	global_load_dwordx2 v[12:13], v[10:11], off
	global_load_dwordx2 v[14:15], v[10:11], off offset:128
	v_or_b32_e32 v10, 0x1000, v2
	v_or_b32_e32 v2, 0x1800, v2
	v_ashrrev_i32_e32 v11, 31, v10
	v_ashrrev_i32_e32 v3, 31, v2
	v_lshl_add_u64 v[10:11], v[10:11], 1, s[2:3]
	v_lshl_add_u64 v[2:3], v[2:3], 1, s[2:3]
	;; [unrolled: 1-line block ×4, first 2 shown]
	global_load_dwordx2 v[16:17], v[10:11], off
	s_mul_i32 s57, s53, s25
	global_load_dwordx2 v[10:11], v[10:11], off offset:128
	s_nop 0
	global_load_dwordx2 v[6:7], v[2:3], off
	global_load_dwordx2 v[18:19], v[2:3], off offset:128
	s_load_dwordx8 s[4:11], s[0:1], 0x0
	s_load_dwordx2 s[30:31], s[0:1], 0x80
	s_cmp_lt_i32 s12, 64
	v_lshlrev_b32_e32 v92, 3, v0
	s_mul_i32 s58, s41, s12
	s_mul_hi_u32 s59, s40, s12
	s_mul_i32 s16, s40, s12
	s_mul_i32 s33, s53, s21
	s_mul_hi_u32 s46, s53, s20
	s_mul_i32 s41, s24, s20
	s_mul_i32 s36, s53, s20
	;; [unrolled: 1-line block ×3, first 2 shown]
	s_mul_hi_u32 s48, s50, s22
	s_mul_i32 s49, s51, s22
	s_mul_i32 s34, s50, s22
	s_waitcnt vmcnt(7)
	v_and_b32_e32 v75, 0xffff0000, v8
	v_lshlrev_b32_e32 v74, 16, v8
	v_and_b32_e32 v79, 0xffff0000, v9
	v_lshlrev_b32_e32 v78, 16, v9
	s_waitcnt vmcnt(6)
	v_and_b32_e32 v73, 0xffff0000, v4
	v_lshlrev_b32_e32 v72, 16, v4
	v_and_b32_e32 v77, 0xffff0000, v5
	v_lshlrev_b32_e32 v76, 16, v5
	;; [unrolled: 5-line block ×8, first 2 shown]
	s_cbranch_scc1 .LBB27_18
; %bb.1:
	s_add_i32 s17, s59, s58
	s_lshl_b64 s[2:3], s[16:17], 8
	v_and_b32_e32 v96, 56, v92
	s_waitcnt lgkmcnt(0)
	s_add_u32 s20, s6, s2
	v_lshl_or_b32 v95, v88, 3, v91
	v_lshlrev_b32_e32 v2, 1, v96
	s_addc_u32 s2, s7, s3
	v_lshl_or_b32 v97, v95, 8, v2
	s_and_b32 s21, s2, 0xffff
	s_mov_b32 s23, 0x20000
	s_movk_i32 s22, 0x4000
	s_movk_i32 s2, 0x80
	v_or_b32_e32 v98, 0x2000, v97
	buffer_load_dwordx4 v[4:7], v97, s[20:23], 0 offen
	buffer_load_dwordx4 v[8:11], v97, s[20:23], s2 offen
	;; [unrolled: 1-line block ×4, first 2 shown]
	v_lshlrev_b32_e32 v3, 3, v95
	v_and_or_b32 v21, v0, 7, v3
	v_and_b32_e32 v3, 0x78, v3
	v_lshlrev_b32_e32 v21, 4, v21
	v_xor_b32_e32 v99, v21, v3
	v_mul_lo_u32 v20, v95, s15
	v_or_b32_e32 v100, 0x1000, v99
	v_xor_b32_e32 v3, 8, v99
	s_cmpk_eq_i32 s15, 0x80
	s_mov_b32 s60, s14
	v_xor_b32_e32 v21, 8, v100
	s_cselect_b64 s[2:3], -1, 0
	s_cmpk_lg_i32 s15, 0x80
	s_waitcnt vmcnt(3)
	ds_write_b64 v99, v[4:5] offset:49152
	ds_write_b64 v3, v[6:7] offset:49152
	s_waitcnt vmcnt(2)
	ds_write_b64 v99, v[8:9] offset:57344
	ds_write_b64 v3, v[10:11] offset:57344
	s_waitcnt vmcnt(1)
	ds_write_b64 v99, v[12:13] offset:53248
	ds_write_b64 v21, v[14:15] offset:49152
	s_waitcnt vmcnt(0)
	ds_write_b64 v99, v[16:17] offset:61440
	ds_write_b64 v21, v[18:19] offset:57344
	v_lshl_add_u32 v3, v20, 1, v96
	s_cbranch_scc0 .LBB27_3
; %bb.2:
	v_lshlrev_b32_e32 v5, 1, v3
	v_add_lshl_u32 v4, v3, s15, 1
	s_lshl_b32 s22, s15, 7
	s_load_dwordx2 s[42:43], s[0:1], 0x20
	v_lshl_or_b32 v2, v95, 9, v2
	s_cbranch_execz .LBB27_4
	s_branch .LBB27_5
.LBB27_3:
                                        ; implicit-def: $vgpr4
                                        ; implicit-def: $vgpr5
                                        ; implicit-def: $sgpr22
	s_load_dwordx2 s[42:43], s[0:1], 0x20
	v_lshl_or_b32 v2, v95, 9, v2
.LBB27_4:
	v_or_b32_e32 v4, 0x100, v2
	s_movk_i32 s22, 0x4000
	v_mov_b32_e32 v5, v2
.LBB27_5:
	s_mul_hi_u32 s0, s14, s12
	s_mul_i32 s1, s55, s12
	s_add_i32 s0, s0, s1
	s_mul_i32 s1, s14, s12
	s_mul_i32 s20, s1, s24
	s_mul_hi_u32 s21, s1, s53
	s_add_i32 s20, s21, s20
	s_mul_i32 s0, s0, s53
	s_add_i32 s20, s20, s0
	s_mul_i32 s1, s1, s53
	s_ashr_i32 s61, s56, 31
	s_add_u32 s0, s1, s56
	s_addc_u32 s1, s20, s61
	s_lshl_b64 s[0:1], s[0:1], 8
	s_add_u32 s20, s4, s0
	s_addc_u32 s0, s5, s1
	s_and_b32 s21, s0, 0xffff
	s_movk_i32 s62, 0x80
	buffer_load_dwordx4 v[6:9], v5, s[20:23], 0 offen
	buffer_load_dwordx4 v[10:13], v5, s[20:23], s62 offen
	;; [unrolled: 1-line block ×4, first 2 shown]
	v_and_b32_e32 v5, 6, v0
	v_lshlrev_b32_e32 v4, 7, v93
	v_xor_b32_e32 v26, v95, v5
	v_and_b32_e32 v22, 1, v0
	v_lshl_or_b32 v29, v90, 3, v4
	v_lshlrev_b32_e32 v26, 2, v26
	v_or_b32_e32 v101, 0x4000, v29
	v_or_b32_e32 v102, 0x6000, v29
	v_xor_b32_e32 v29, 0x440, v26
	v_cmp_eq_u32_e32 vcc, 0, v22
	v_lshlrev_b32_e32 v23, 2, v90
	s_mov_b32 s65, 0x1000504
	v_cndmask_b32_e32 v22, v29, v26, vcc
	v_xor_b32_e32 v27, v93, v23
	v_xor_b32_e32 v28, v94, v23
	v_lshl_or_b32 v5, v5, 10, v22
	s_mov_b32 s66, 0x3020706
	v_lshlrev_b32_e32 v24, 8, v90
	v_or_b32_e32 v25, 16, v90
	v_lshlrev_b32_e32 v27, 1, v27
	v_lshlrev_b32_e32 v28, 1, v28
	v_xor_b32_e32 v22, 8, v5
	v_xor_b32_e32 v26, 24, v5
	;; [unrolled: 1-line block ×4, first 2 shown]
	s_mul_i32 s24, s24, s12
	s_mul_hi_u32 s0, s53, s12
	v_or_b32_e32 v104, v24, v27
	v_or_b32_e32 v105, v24, v28
	v_xor_b32_e32 v24, 16, v5
	v_xor_b32_e32 v29, 32, v5
	;; [unrolled: 1-line block ×3, first 2 shown]
	v_add_u32_e32 v22, 0x80, v22
	v_add_u32_e32 v26, 0x80, v26
	;; [unrolled: 1-line block ×4, first 2 shown]
	s_add_i32 s67, s0, s24
	s_add_i32 s0, s46, s33
	;; [unrolled: 1-line block ×5, first 2 shown]
	s_lshl_b64 s[0:1], s[36:37], 2
	s_add_u32 s20, s10, s0
	s_addc_u32 s21, s11, s1
	s_lshl_b64 s[0:1], s[34:35], 2
	s_add_u32 s44, s20, s0
	s_movk_i32 s0, 0xf8
	s_addc_u32 s45, s21, s1
	s_ashr_i32 s39, s38, 31
	s_lshl_b32 s26, s15, 7
	v_mov_b32_e32 v81, 0
	s_movk_i32 s20, 0x100
	v_lshlrev_b32_e32 v80, 4, v90
	v_ashrrev_i32_e32 v47, 31, v46
	s_mul_i32 s63, s53, s12
	v_lshl_or_b32 v30, v25, 3, v4
	s_mov_b32 s64, 0
	v_or_b32_e32 v103, 0x4000, v30
	s_movk_i32 s22, 0x4000
	v_or_b32_e32 v106, 0x6000, v30
	s_mov_b32 s37, 0x7060302
	s_movk_i32 s68, 0x3000
	s_mov_b32 s70, 0
	s_waitcnt vmcnt(1)
	v_perm_b32 v34, v6, v14, s65
	s_waitcnt vmcnt(0)
	v_perm_b32 v35, v10, v18, s65
	v_perm_b32 v6, v6, v14, s66
	;; [unrolled: 1-line block ×15, first 2 shown]
	ds_write2st64_b32 v5, v34, v35 offset0:128 offset1:160
	ds_write2st64_b32 v22, v6, v10 offset0:128 offset1:160
	ds_write2st64_b32 v24, v14, v18 offset0:129 offset1:161
	ds_write2st64_b32 v26, v7, v11 offset0:129 offset1:161
	ds_write2st64_b32 v29, v15, v19 offset0:130 offset1:162
	ds_write2st64_b32 v31, v8, v12 offset0:130 offset1:162
	ds_write2st64_b32 v32, v16, v20 offset0:131 offset1:163
	ds_write2st64_b32 v33, v9, v13 offset0:131 offset1:163
	v_lshlrev_b32_e32 v5, 8, v25
	v_or_b32_e32 v107, v5, v27
	v_or_b32_e32 v108, v5, v28
	v_or_b32_e32 v5, 32, v90
	v_lshl_or_b32 v6, v5, 3, v4
	v_lshlrev_b32_e32 v5, 8, v5
	v_or_b32_e32 v111, v5, v27
	v_or_b32_e32 v112, v5, v28
	;; [unrolled: 1-line block ×5, first 2 shown]
	v_lshl_or_b32 v6, v5, 3, v4
	v_lshlrev_b32_e32 v5, 8, v5
	v_or_b32_e32 v115, v5, v27
	v_or_b32_e32 v116, v5, v28
	;; [unrolled: 1-line block ×3, first 2 shown]
	v_lshlrev_b32_e32 v5, 3, v5
	v_lshrrev_b32_e32 v7, 5, v45
	v_and_or_b32 v7, v5, s0, v7
	v_lshlrev_b32_e32 v7, 4, v7
	v_or_b32_e32 v113, 0x4000, v6
	v_or_b32_e32 v114, 0x6000, v6
	v_lshrrev_b32_e32 v6, 2, v45
	v_lshlrev_b32_e32 v9, 11, v88
	v_and_b32_e32 v5, 0x78, v5
	v_or_b32_e32 v13, 32, v7
	v_and_b32_e32 v8, 12, v6
	v_and_b32_e32 v6, 0x1000, v9
	v_xor_b32_e32 v10, v7, v5
	v_lshrrev_b32_e32 v11, 1, v45
	v_xor_b32_e32 v13, v13, v5
	v_or_b32_e32 v10, v10, v6
	v_and_b32_e32 v11, 8, v11
	v_or_b32_e32 v13, v13, v6
	v_xor_b32_e32 v117, v10, v11
	v_lshlrev_b32_e32 v10, 8, v89
	v_xor_b32_e32 v119, v13, v11
	v_or_b32_e32 v13, 64, v7
	v_or_b32_e32 v7, 0x60, v7
	;; [unrolled: 1-line block ×3, first 2 shown]
	v_xor_b32_e32 v13, v13, v5
	v_xor_b32_e32 v5, v7, v5
	s_lshl_b64 s[0:1], s[38:39], 8
	v_lshlrev_b32_e32 v12, 1, v12
	v_or_b32_e32 v13, v13, v6
	v_or_b32_e32 v5, v5, v6
	s_add_u32 s0, s18, s0
	v_lshlrev_b32_e32 v6, 1, v90
	v_lshlrev_b32_e32 v15, 2, v0
	v_or_b32_e32 v118, 0x4000, v12
	v_or_b32_e32 v120, 0x4080, v12
	v_or_b32_e32 v121, 0x4100, v12
	v_or_b32_e32 v122, 0x4180, v12
	v_xor_b32_e32 v123, v13, v11
	v_xor_b32_e32 v124, v5, v11
	v_or_b32_e32 v125, 0x6000, v12
	v_or_b32_e32 v126, 0x6080, v12
	;; [unrolled: 1-line block ×4, first 2 shown]
	v_lshlrev_b32_e32 v5, 1, v3
	v_add_lshl_u32 v3, v3, s15, 1
	v_or_b32_e32 v11, 0x100, v2
	v_lshrrev_b32_e32 v12, 4, v0
	s_addc_u32 s1, s19, s1
	v_or_b32_e32 v7, 1, v6
	v_lshrrev_b32_e32 v16, 1, v0
	v_and_or_b32 v10, v15, 60, v10
	v_xor_b32_e32 v13, v12, v6
	v_xor_b32_e32 v14, v7, v12
	v_lshl_add_u64 v[6:7], s[0:1], 0, v[80:81]
	v_and_b32_e32 v16, 24, v16
	v_lshlrev_b32_e32 v10, 1, v10
	v_cndmask_b32_e64 v135, v5, v2, s[2:3]
	v_cndmask_b32_e64 v136, v3, v11, s[2:3]
	v_mov_b32_e32 v3, 0xa000
	v_mov_b32_e32 v5, 0x8000
	v_cmp_gt_u32_e64 s[0:1], s20, v0
	v_lshlrev_b32_e32 v80, 8, v12
	v_or_b32_e32 v131, 0x6000, v10
	v_or_b32_e32 v15, 32, v16
	;; [unrolled: 1-line block ×6, first 2 shown]
	v_cndmask_b32_e64 v3, v3, v5, s[0:1]
	v_lshlrev_b32_e32 v5, 3, v88
	v_lshl_or_b32 v129, v13, 3, v80
	v_and_b32_e32 v13, 8, v0
	v_xor_b32_e32 v11, v5, v16
	v_xor_b32_e32 v15, v5, v15
	;; [unrolled: 1-line block ×3, first 2 shown]
	v_mov_b32_e32 v17, 0x400
	v_cmp_eq_u32_e32 vcc, 0, v13
	v_or_b32_e32 v16, 0x440, v11
	v_or_b32_e32 v18, 0x440, v15
	v_xor_b32_e32 v10, 0x440, v5
	v_and_b32_e32 v12, 7, v0
	v_cndmask_b32_e64 v13, v17, 64, vcc
	v_cndmask_b32_e32 v16, v16, v11, vcc
	v_cndmask_b32_e32 v15, v18, v15, vcc
	;; [unrolled: 1-line block ×3, first 2 shown]
	v_lshl_or_b32 v130, v14, 3, v80
	v_lshlrev_b32_e32 v14, 3, v12
	v_or_b32_e32 v16, v16, v9
	v_or_b32_e32 v15, v15, v9
	v_or3_b32 v11, v9, v13, v11
	v_or_b32_e32 v5, v5, v9
	v_lshlrev_b32_e32 v12, 7, v12
	v_xor_b32_e32 v16, v16, v14
	v_xor_b32_e32 v15, v15, v14
	;; [unrolled: 1-line block ×4, first 2 shown]
	v_or_b32_e32 v2, v1, v8
	v_add_u32_e32 v17, v3, v16
	v_add_u32_e32 v18, v3, v15
	v_or_b32_e32 v137, v11, v12
	v_add_u32_e32 v9, v3, v5
	v_or3_b32 v8, v1, v8, 64
	v_add_u32_e32 v13, 0xa000, v16
	v_add_u32_e32 v14, 0xa000, v15
	;; [unrolled: 1-line block ×3, first 2 shown]
	v_lshlrev_b64 v[10:11], 1, v[46:47]
	v_lshl_add_u64 v[82:83], s[8:9], 0, v[10:11]
	v_lshl_add_u64 v[84:85], s[28:29], 0, v[10:11]
	;; [unrolled: 1-line block ×3, first 2 shown]
	s_add_i32 s35, s63, 63
	v_lshlrev_b32_e32 v80, 1, v4
	s_movk_i32 s39, 0x2000
	v_lshlrev_b32_e32 v47, 2, v2
	v_add_u32_e32 v138, v17, v12
	v_add_u32_e32 v139, v18, v12
	;; [unrolled: 1-line block ×4, first 2 shown]
	v_lshlrev_b32_e32 v142, 2, v8
	v_add_u32_e32 v143, v13, v12
	v_add_u32_e32 v144, v14, v12
	;; [unrolled: 1-line block ×3, first 2 shown]
	s_waitcnt lgkmcnt(0)
	s_barrier
.LBB27_6:                               ; =>This Inner Loop Header: Depth=1
	s_add_i32 s69, s70, 1
	s_cmp_lt_i32 s69, s54
	s_mov_b64 s[24:25], 0
	s_cselect_b64 s[2:3], -1, 0
	s_cmp_ge_i32 s69, s54
	s_mov_b64 s[20:21], 0
	s_cbranch_scc1 .LBB27_8
; %bb.7:                                ;   in Loop: Header=BB27_6 Depth=1
	s_add_i32 s0, s64, 64
	s_add_u32 s0, s16, s0
	s_addc_u32 s1, s17, 0
	s_lshl_b64 s[0:1], s[0:1], 8
	s_add_u32 s20, s6, s0
	s_addc_u32 s21, s7, s1
.LBB27_8:                               ;   in Loop: Header=BB27_6 Depth=1
	v_cndmask_b32_e64 v2, 0, 1, s[2:3]
	v_cmp_ne_u32_e64 s[0:1], 1, v2
	s_andn2_b64 vcc, exec, s[2:3]
	s_cbranch_vccnz .LBB27_10
; %bb.9:                                ;   in Loop: Header=BB27_6 Depth=1
	s_add_i32 s2, s64, 64
	s_add_u32 s2, s63, s2
	s_addc_u32 s3, s67, 0
	s_mul_i32 s24, s2, s55
	s_mul_hi_u32 s25, s2, s60
	s_add_i32 s24, s25, s24
	s_mul_i32 s3, s3, s60
	s_add_i32 s24, s24, s3
	s_mul_i32 s2, s2, s60
	s_add_u32 s2, s2, s56
	s_addc_u32 s3, s24, s61
	s_lshl_b64 s[2:3], s[2:3], 8
	s_add_u32 s24, s4, s2
	s_addc_u32 s25, s5, s3
.LBB27_10:                              ;   in Loop: Header=BB27_6 Depth=1
	v_perm_b32 v3, v79, v78, s37
	v_perm_b32 v2, v75, v74, s37
	v_perm_b32 v5, v77, v76, s37
	v_perm_b32 v4, v73, v72, s37
	ds_write_b64 v101, v[2:3]
	ds_write_b64 v102, v[4:5]
	ds_write_b64 v104, v[2:3]
	ds_write_b64 v105, v[4:5]
	v_perm_b32 v3, v71, v70, s37
	v_perm_b32 v2, v67, v66, s37
	v_perm_b32 v5, v69, v68, s37
	v_perm_b32 v4, v65, v64, s37
	ds_write_b64 v103, v[2:3]
	ds_write_b64 v106, v[4:5]
	ds_write_b64 v107, v[2:3]
	ds_write_b64 v108, v[4:5]
	;; [unrolled: 8-line block ×4, first 2 shown]
	s_waitcnt lgkmcnt(0)
	s_barrier
	ds_read_b64 v[6:7], v117 offset:49152
	ds_read2_b64 v[2:5], v118 offset1:16
	ds_read_b64 v[18:19], v120 offset:6144
	ds_read_b64 v[20:21], v118 offset:6144
	s_waitcnt lgkmcnt(2)
	v_mfma_f32_16x16x16_bf16 a[0:3], v[6:7], v[2:3], 0
	ds_read_b64 v[22:23], v119 offset:49152
	ds_read2st64_b64 v[10:13], v121 offset0:4 offset1:8
	ds_read2st64_b64 v[14:17], v122 offset0:4 offset1:8
	v_mfma_f32_16x16x16_bf16 a[4:7], v[6:7], v[4:5], 0
	ds_read2_b64 v[2:5], v118 offset0:32 offset1:48
	s_add_i32 s2, s64, 63
	s_mul_i32 s3, s2, s31
	s_waitcnt lgkmcnt(0)
	v_mfma_f32_16x16x16_bf16 a[8:11], v[6:7], v[2:3], 0
	s_mul_hi_u32 s27, s2, s30
	s_add_i32 s3, s27, s3
	s_mul_i32 s2, s2, s30
	v_mfma_f32_16x16x16_bf16 a[12:15], v[6:7], v[4:5], 0
	ds_read2st64_b64 v[2:5], v118 offset0:4 offset1:8
	ds_read2st64_b64 v[6:9], v120 offset0:4 offset1:8
	s_lshl_b64 s[2:3], s[2:3], 2
	s_waitcnt lgkmcnt(1)
	v_mfma_f32_16x16x16_bf16 a[0:3], v[22:23], v[2:3], a[0:3]
	s_add_u32 s2, s44, s2
	s_addc_u32 s3, s45, s3
	s_and_b64 vcc, exec, s[0:1]
	s_waitcnt lgkmcnt(0)
	v_mfma_f32_16x16x16_bf16 a[4:7], v[22:23], v[6:7], a[4:7]
	v_mov_b32_e32 v148, 0
	v_mov_b32_e32 v147, 0
	;; [unrolled: 1-line block ×3, first 2 shown]
	v_mfma_f32_16x16x16_bf16 a[8:11], v[22:23], v[10:11], a[8:11]
	ds_read_b64 v[2:3], v123 offset:49152
	ds_read_b64 v[6:7], v124 offset:49152
	;; [unrolled: 1-line block ×3, first 2 shown]
	v_mfma_f32_16x16x16_bf16 a[12:15], v[22:23], v[14:15], a[12:15]
	v_mov_b32_e32 v14, 0
	v_mov_b32_e32 v15, 0
	s_waitcnt lgkmcnt(2)
	v_mfma_f32_16x16x16_bf16 a[0:3], v[2:3], v[4:5], a[0:3]
	v_mov_b32_e32 v4, 0
	v_mov_b32_e32 v5, 0
	v_mfma_f32_16x16x16_bf16 a[16:19], v[2:3], v[8:9], a[4:7]
	v_mov_b32_e32 v8, 0
	v_mov_b32_e32 v9, 0
	;; [unrolled: 3-line block ×3, first 2 shown]
	v_mfma_f32_16x16x16_bf16 a[24:27], v[2:3], v[16:17], a[12:15]
	ds_read_b64 v[2:3], v121 offset:6144
	v_mov_b32_e32 v16, 0
	v_mov_b32_e32 v17, 0
	s_waitcnt lgkmcnt(2)
	v_mfma_f32_16x16x16_bf16 a[4:7], v[6:7], v[20:21], a[0:3]
	v_mfma_f32_16x16x16_bf16 a[8:11], v[6:7], v[18:19], a[16:19]
	s_waitcnt lgkmcnt(0)
	v_mfma_f32_16x16x16_bf16 a[12:15], v[6:7], v[2:3], a[20:23]
	v_mov_b32_e32 v2, 0
	v_mov_b32_e32 v3, 0
	v_mfma_f32_16x16x16_bf16 a[0:3], v[6:7], v[10:11], a[24:27]
	v_mov_b32_e32 v6, 0
	v_mov_b32_e32 v7, 0
	;; [unrolled: 1-line block ×4, first 2 shown]
	s_cbranch_vccnz .LBB27_12
; %bb.11:                               ;   in Loop: Header=BB27_6 Depth=1
	s_and_b32 s21, s21, 0xffff
	buffer_load_dwordx4 v[14:17], v97, s[20:23], 0 offen
	buffer_load_dwordx4 v[10:13], v97, s[20:23], s62 offen
	;; [unrolled: 1-line block ×4, first 2 shown]
	v_mov_b32_e32 v147, v99
	v_mov_b32_e32 v146, v100
.LBB27_12:                              ;   in Loop: Header=BB27_6 Depth=1
	ds_read_b64 v[30:31], v117 offset:57344
	ds_read2_b64 v[18:21], v125 offset1:16
	ds_read_b64 v[34:35], v119 offset:57344
	ds_read_b64 v[36:37], v123 offset:57344
	;; [unrolled: 1-line block ×3, first 2 shown]
	v_add_u32_e32 v32, s64, v93
	s_waitcnt lgkmcnt(3)
	v_mfma_f32_16x16x16_bf16 a[4:7], v[30:31], v[18:19], a[4:7]
	v_mfma_f32_16x16x16_bf16 a[8:11], v[30:31], v[20:21], a[8:11]
	ds_read2_b64 v[18:21], v125 offset0:32 offset1:48
	ds_read2st64_b64 v[22:25], v125 offset0:4 offset1:8
	ds_read2st64_b64 v[26:29], v126 offset0:4 offset1:8
	s_waitcnt lgkmcnt(2)
	v_mfma_f32_16x16x16_bf16 a[12:15], v[30:31], v[18:19], a[12:15]
	v_ashrrev_i32_e32 v18, 31, v32
	v_mul_lo_u32 v33, v18, s30
	v_mad_u64_u32 v[18:19], s[20:21], v32, s30, 0
	v_mfma_f32_16x16x16_bf16 a[0:3], v[30:31], v[20:21], a[0:3]
	v_mul_lo_u32 v20, v32, s31
	v_add3_u32 v19, v19, v20, v33
	v_add_u32_e32 v20, 1, v32
	v_ashrrev_i32_e32 v21, 31, v20
	s_waitcnt lgkmcnt(1)
	v_mfma_f32_16x16x16_bf16 a[4:7], v[34:35], v[22:23], a[4:7]
	v_mul_lo_u32 v22, v21, s30
	v_mul_lo_u32 v23, v20, s31
	v_mad_u64_u32 v[20:21], s[20:21], v20, s30, 0
	v_add3_u32 v21, v21, v23, v22
	v_add_u32_e32 v22, 2, v32
	v_ashrrev_i32_e32 v23, 31, v22
	v_mul_lo_u32 v30, v23, s30
	v_mul_lo_u32 v31, v22, s31
	v_mad_u64_u32 v[22:23], s[20:21], v22, s30, 0
	v_add3_u32 v23, v23, v31, v30
	v_add_u32_e32 v30, 3, v32
	v_ashrrev_i32_e32 v31, 31, v30
	v_mul_lo_u32 v32, v31, s30
	v_mul_lo_u32 v33, v30, s31
	v_mad_u64_u32 v[30:31], s[20:21], v30, s30, 0
	s_add_u32 s20, s16, s64
	v_lshl_add_u64 v[18:19], v[18:19], 2, s[44:45]
	v_add3_u32 v31, v31, v33, v32
	s_addc_u32 s21, s17, 0
	v_lshl_add_u64 v[20:21], v[20:21], 2, s[44:45]
	global_load_dword v40, v[18:19], off
	v_lshl_add_u64 v[18:19], v[30:31], 2, s[44:45]
	s_lshl_b64 s[20:21], s[20:21], 8
	v_lshl_add_u64 v[22:23], v[22:23], 2, s[44:45]
	global_load_dword v41, v[20:21], off
	global_load_dword v42, v[22:23], off
	;; [unrolled: 1-line block ×3, first 2 shown]
	v_lshl_add_u64 v[18:19], v[82:83], 0, s[20:21]
	v_lshl_add_u64 v[22:23], v[18:19], 0, v[80:81]
	global_load_ushort v44, v[22:23], off offset:256
	global_load_ushort v149, v[22:23], off
	ds_read2st64_b64 v[18:21], v127 offset0:4 offset1:8
	global_load_ushort v150, v[22:23], off offset:768
	global_load_ushort v151, v[22:23], off offset:512
	ds_read2st64_b64 v[30:33], v128 offset0:4 offset1:8
	global_load_ushort v152, v[22:23], off offset:288
	global_load_ushort v153, v[22:23], off offset:32
	;; [unrolled: 1-line block ×4, first 2 shown]
	s_waitcnt lgkmcnt(2)
	v_mfma_f32_16x16x16_bf16 a[8:11], v[34:35], v[26:27], a[8:11]
	global_load_ushort v156, v[22:23], off offset:320
	global_load_ushort v157, v[22:23], off offset:64
	global_load_ushort v158, v[22:23], off offset:832
	global_load_ushort v159, v[22:23], off offset:576
	s_and_b64 vcc, exec, s[0:1]
	s_waitcnt lgkmcnt(1)
	v_mfma_f32_16x16x16_bf16 a[12:15], v[34:35], v[18:19], a[12:15]
	ds_read_b64 v[18:19], v125 offset:6144
	s_waitcnt lgkmcnt(1)
	v_mfma_f32_16x16x16_bf16 a[0:3], v[34:35], v[30:31], a[0:3]
	v_lshl_add_u64 v[30:31], v[84:85], 0, s[20:21]
	v_lshl_add_u64 v[30:31], v[30:31], 0, v[80:81]
	v_mfma_f32_16x16x16_bf16 a[4:7], v[36:37], v[24:25], a[4:7]
	v_mfma_f32_16x16x16_bf16 a[8:11], v[36:37], v[28:29], a[8:11]
	;; [unrolled: 1-line block ×4, first 2 shown]
	global_load_ushort v36, v[22:23], off offset:352
	global_load_ushort v37, v[22:23], off offset:96
	ds_read_b64 v[20:21], v126 offset:6144
	ds_read_b64 v[24:25], v127 offset:6144
	ds_read_b64 v[26:27], v128 offset:6144
	s_load_dword s2, s[2:3], 0x0
	global_load_ushort v160, v[22:23], off offset:864
	global_load_ushort v161, v[22:23], off offset:608
	s_waitcnt lgkmcnt(0)
	v_mfma_f32_16x16x16_bf16 a[4:7], v[38:39], v[18:19], a[4:7]
	s_waitcnt vmcnt(17)
	v_sub_f32_e32 v28, s2, v42
	v_mfma_f32_16x16x16_bf16 a[0:3], v[38:39], v[26:27], a[0:3]
	v_sub_f32_e32 v26, s2, v40
	v_sub_f32_e32 v27, s2, v41
	s_waitcnt vmcnt(16)
	v_sub_f32_e32 v29, s2, v43
	v_mfma_f32_16x16x16_bf16 a[8:11], v[38:39], v[20:21], a[8:11]
	v_exp_f32_e32 v26, v26
	v_exp_f32_e32 v27, v27
	;; [unrolled: 1-line block ×4, first 2 shown]
	v_accvgpr_read_b32 v35, a5
	s_waitcnt vmcnt(15)
	v_lshlrev_b32_e32 v33, 16, v44
	s_waitcnt vmcnt(14)
	v_lshlrev_b32_e32 v32, 16, v149
	v_accvgpr_read_b32 v34, a4
	v_accvgpr_read_b32 v19, a7
	;; [unrolled: 1-line block ×3, first 2 shown]
	v_pk_add_f32 v[32:33], v[32:33], v[34:35] neg_lo:[0,1] neg_hi:[0,1]
	s_waitcnt vmcnt(13)
	v_lshlrev_b32_e32 v35, 16, v150
	s_waitcnt vmcnt(12)
	v_lshlrev_b32_e32 v34, 16, v151
	v_pk_add_f32 v[18:19], v[34:35], v[18:19] neg_lo:[0,1] neg_hi:[0,1]
	global_store_short_d16_hi v[30:31], v32, off
	global_store_short_d16_hi v[30:31], v33, off offset:256
	global_store_short_d16_hi v[30:31], v18, off offset:512
	;; [unrolled: 1-line block ×3, first 2 shown]
	v_pk_mul_f32 v[32:33], v[26:27], v[32:33]
	v_pk_mul_f32 v[18:19], v[28:29], v[18:19]
	v_accvgpr_read_b32 v35, a9
	v_perm_b32 v32, v33, v32, s37
	v_perm_b32 v33, v19, v18, s37
	s_waitcnt vmcnt(15)
	v_lshlrev_b32_e32 v19, 16, v152
	s_waitcnt vmcnt(14)
	v_lshlrev_b32_e32 v18, 16, v153
	v_accvgpr_read_b32 v34, a8
	v_accvgpr_read_b32 v21, a11
	v_mfma_f32_16x16x16_bf16 a[12:15], v[38:39], v[24:25], a[12:15]
	v_accvgpr_read_b32 v20, a10
	v_pk_add_f32 v[18:19], v[18:19], v[34:35] neg_lo:[0,1] neg_hi:[0,1]
	s_waitcnt vmcnt(13)
	v_lshlrev_b32_e32 v35, 16, v154
	s_waitcnt vmcnt(12)
	v_lshlrev_b32_e32 v34, 16, v155
	v_pk_add_f32 v[20:21], v[34:35], v[20:21] neg_lo:[0,1] neg_hi:[0,1]
	global_store_short_d16_hi v[30:31], v18, off offset:32
	global_store_short_d16_hi v[30:31], v19, off offset:288
	;; [unrolled: 1-line block ×4, first 2 shown]
	v_pk_mul_f32 v[18:19], v[26:27], v[18:19]
	v_pk_mul_f32 v[20:21], v[28:29], v[20:21]
	v_accvgpr_read_b32 v23, a15
	v_perm_b32 v21, v21, v20, s37
	v_perm_b32 v20, v19, v18, s37
	ds_write2_b64 v102, v[32:33], v[20:21] offset1:16
	v_accvgpr_read_b32 v21, a13
	s_waitcnt vmcnt(15)
	v_lshlrev_b32_e32 v19, 16, v156
	s_waitcnt vmcnt(14)
	v_lshlrev_b32_e32 v18, 16, v157
	v_accvgpr_read_b32 v20, a12
	v_accvgpr_read_b32 v22, a14
	v_pk_add_f32 v[18:19], v[18:19], v[20:21] neg_lo:[0,1] neg_hi:[0,1]
	s_waitcnt vmcnt(13)
	v_lshlrev_b32_e32 v21, 16, v158
	s_waitcnt vmcnt(12)
	v_lshlrev_b32_e32 v20, 16, v159
	v_pk_add_f32 v[20:21], v[20:21], v[22:23] neg_lo:[0,1] neg_hi:[0,1]
	global_store_short_d16_hi v[30:31], v18, off offset:64
	global_store_short_d16_hi v[30:31], v19, off offset:320
	global_store_short_d16_hi v[30:31], v20, off offset:576
	global_store_short_d16_hi v[30:31], v21, off offset:832
	v_pk_mul_f32 v[18:19], v[26:27], v[18:19]
	v_pk_mul_f32 v[20:21], v[28:29], v[20:21]
	v_accvgpr_read_b32 v23, a1
	v_perm_b32 v18, v19, v18, s37
	v_perm_b32 v19, v21, v20, s37
	s_waitcnt vmcnt(15)
	v_lshlrev_b32_e32 v21, 16, v36
	s_waitcnt vmcnt(14)
	v_lshlrev_b32_e32 v20, 16, v37
	v_accvgpr_read_b32 v22, a0
	v_accvgpr_read_b32 v25, a3
	;; [unrolled: 1-line block ×3, first 2 shown]
	v_pk_add_f32 v[20:21], v[20:21], v[22:23] neg_lo:[0,1] neg_hi:[0,1]
	s_waitcnt vmcnt(13)
	v_lshlrev_b32_e32 v23, 16, v160
	s_waitcnt vmcnt(12)
	v_lshlrev_b32_e32 v22, 16, v161
	v_pk_add_f32 v[22:23], v[22:23], v[24:25] neg_lo:[0,1] neg_hi:[0,1]
	global_store_short_d16_hi v[30:31], v20, off offset:96
	global_store_short_d16_hi v[30:31], v21, off offset:352
	;; [unrolled: 1-line block ×4, first 2 shown]
	v_pk_mul_f32 v[20:21], v[26:27], v[20:21]
	v_pk_mul_f32 v[22:23], v[28:29], v[22:23]
	v_mov_b32_e32 v149, 0
	v_perm_b32 v23, v23, v22, s37
	v_perm_b32 v22, v21, v20, s37
	ds_write2_b64 v102, v[18:19], v[22:23] offset0:32 offset1:48
	v_mov_b32_e32 v18, 0
	v_mov_b32_e32 v19, 0
	;; [unrolled: 1-line block ×16, first 2 shown]
	s_cbranch_vccnz .LBB27_14
; %bb.13:                               ;   in Loop: Header=BB27_6 Depth=1
	s_and_b32 s25, s25, 0xffff
	s_mov_b32 s27, s23
	buffer_load_dwordx4 v[30:33], v135, s[24:27], 0 offen
	buffer_load_dwordx4 v[22:25], v135, s[24:27], s62 offen
	;; [unrolled: 1-line block ×4, first 2 shown]
	v_mov_b32_e32 v148, v96
	v_mov_b32_e32 v149, v95
.LBB27_14:                              ;   in Loop: Header=BB27_6 Depth=1
	s_waitcnt lgkmcnt(0)
	s_barrier
	ds_read_b64 v[42:43], v138
	ds_read2_b64 v[34:37], v131 offset1:16
	ds_read_b64 v[166:167], v139
	ds_read_b64 v[168:169], v140
	ds_read_b64 v[170:171], v141
	ds_read2_b64 v[38:41], v131 offset0:32 offset1:48
	ds_read2st64_b64 v[150:153], v131 offset0:4 offset1:8
	ds_read2st64_b64 v[154:157], v132 offset0:4 offset1:8
	;; [unrolled: 1-line block ×4, first 2 shown]
	s_waitcnt lgkmcnt(8)
	v_mfma_f32_16x16x16_bf16 a[0:3], v[42:43], v[34:35], 0
	s_add_i32 s3, s57, s70
	s_mul_hi_i32 s21, s3, s13
	s_mul_i32 s3, s3, s13
	v_mfma_f32_16x16x16_bf16 a[4:7], v[42:43], v[36:37], 0
	s_add_u32 s20, s3, s50
	s_addc_u32 s21, s21, s51
	s_add_i32 s3, s35, s64
	s_waitcnt lgkmcnt(4)
	v_mfma_f32_16x16x16_bf16 a[8:11], v[42:43], v[38:39], 0
	s_lshl_b64 s[20:21], s[20:21], 15
	s_mul_hi_i32 s25, s3, s13
	s_mul_i32 s3, s3, s13
	v_mfma_f32_16x16x16_bf16 a[12:15], v[42:43], v[40:41], 0
	ds_read_b64 v[42:43], v131 offset:6144
	ds_read_b64 v[178:179], v132 offset:6144
	;; [unrolled: 1-line block ×4, first 2 shown]
	s_add_u32 s24, s3, s50
	s_waitcnt lgkmcnt(7)
	v_mfma_f32_16x16x16_bf16 a[0:3], v[166:167], v[150:151], a[0:3]
	s_addc_u32 s25, s25, s51
	s_lshl_b64 s[24:25], s[24:25], 9
	s_add_u32 s24, s42, s24
	s_waitcnt lgkmcnt(6)
	v_mfma_f32_16x16x16_bf16 a[4:7], v[166:167], v[154:155], a[4:7]
	s_addc_u32 s25, s43, s25
	v_lshl_add_u64 v[188:189], v[86:87], 0, s[20:21]
	s_waitcnt lgkmcnt(5)
	v_mfma_f32_16x16x16_bf16 a[8:11], v[166:167], v[158:159], a[8:11]
	s_waitcnt lgkmcnt(4)
	v_mfma_f32_16x16x16_bf16 a[12:15], v[166:167], v[162:163], a[12:15]
	ds_read_b64 v[166:167], v143
	ds_read_b64 v[176:177], v144
	;; [unrolled: 1-line block ×3, first 2 shown]
	s_waitcnt lgkmcnt(2)
	v_mfma_f32_16x16x16_bf16 a[16:19], v[166:167], v[34:35], 0
	v_mfma_f32_16x16x16_bf16 a[20:23], v[166:167], v[36:37], 0
	global_load_dwordx4 v[34:37], v142, s[24:25]
	v_mfma_f32_16x16x16_bf16 a[24:27], v[166:167], v[38:39], 0
	v_mfma_f32_16x16x16_bf16 a[28:31], v[166:167], v[40:41], 0
	global_load_dwordx4 v[38:41], v47, s[24:25]
	v_mfma_f32_16x16x16_bf16 a[0:3], v[168:169], v[152:153], a[0:3]
	v_mfma_f32_16x16x16_bf16 a[4:7], v[168:169], v[156:157], a[4:7]
	;; [unrolled: 1-line block ×8, first 2 shown]
	ds_read2st64_b64 v[166:169], v129 offset1:8
	ds_read2st64_b64 v[170:173], v130 offset1:8
	ds_read_b64 v[186:187], v137 offset:40960
	s_waitcnt lgkmcnt(2)
	v_mov_b32_e32 v174, v166
	v_mfma_f32_16x16x16_bf16 a[16:19], v[176:177], v[150:151], a[16:19]
	v_mov_b32_e32 v175, v167
	v_mfma_f32_16x16x16_bf16 a[20:23], v[176:177], v[154:155], a[20:23]
	v_mfma_f32_16x16x16_bf16 a[24:27], v[176:177], v[158:159], a[24:27]
	;; [unrolled: 1-line block ×3, first 2 shown]
	v_add_co_u32_e32 v162, vcc, s39, v188
	s_waitcnt lgkmcnt(1)
	v_mov_b32_e32 v176, v170
	s_waitcnt lgkmcnt(0)
	v_mfma_f32_16x16x16_bf16 a[16:19], v[186:187], v[152:153], a[16:19]
	ds_read2st64_b64 v[150:153], v129 offset0:16 offset1:24
	v_addc_co_u32_e32 v163, vcc, 0, v189, vcc
	v_mfma_f32_16x16x16_bf16 a[20:23], v[186:187], v[156:157], a[20:23]
	ds_read2st64_b64 v[154:157], v130 offset0:16 offset1:24
	v_mov_b32_e32 v177, v171
	v_mov_b32_e32 v170, v168
	v_mfma_f32_16x16x16_bf16 a[32:35], v[186:187], v[160:161], a[24:27]
	v_mov_b32_e32 v171, v169
	s_waitcnt lgkmcnt(0)
	v_mov_b32_e32 v160, v154
	v_mov_b32_e32 v161, v155
	v_mfma_f32_16x16x16_bf16 a[36:39], v[186:187], v[164:165], a[28:31]
	v_mov_b32_e32 v154, v152
	v_mov_b32_e32 v155, v153
	;; [unrolled: 1-line block ×3, first 2 shown]
	v_mfma_f32_16x16x16_bf16 a[24:27], v[184:185], v[42:43], a[16:19]
	v_add_co_u32_e32 v42, vcc, s68, v188
	v_mov_b32_e32 v159, v151
	v_mfma_f32_16x16x16_bf16 a[28:31], v[184:185], v[178:179], a[20:23]
	v_addc_co_u32_e32 v43, vcc, 0, v189, vcc
	global_store_dwordx4 v[42:43], v[154:157], off
	v_mfma_f32_16x16x16_bf16 a[16:19], v[184:185], v[180:181], a[32:35]
	s_waitcnt vmcnt(2)
	v_mov_b32_e32 v44, v37
	v_mov_b32_e32 v43, v36
	;; [unrolled: 1-line block ×3, first 2 shown]
	v_mfma_f32_16x16x16_bf16 a[20:23], v[184:185], v[182:183], a[36:39]
	s_and_b64 vcc, exec, s[0:1]
	global_store_dwordx4 v[188:189], v[174:177], off
	global_store_dwordx4 v[162:163], v[170:173], off offset:-4096
	global_store_dwordx4 v[162:163], v[158:161], off
	s_cbranch_vccnz .LBB27_16
; %bb.15:                               ;   in Loop: Header=BB27_6 Depth=1
	v_lshrrev_b32_e32 v35, 3, v148
	v_and_b32_e32 v35, 6, v35
	v_xor_b32_e32 v36, v35, v149
	v_lshlrev_b32_e32 v36, 2, v36
	v_and_b32_e32 v37, 8, v148
	v_xor_b32_e32 v148, 0x440, v36
	v_cmp_eq_u32_e32 vcc, 0, v37
	v_perm_b32 v37, v22, v18, s65
	s_nop 0
	v_cndmask_b32_e32 v36, v148, v36, vcc
	v_lshl_or_b32 v35, v35, 10, v36
	v_perm_b32 v36, v30, v26, s65
	s_barrier
	ds_write2st64_b32 v35, v36, v37 offset0:128 offset1:160
	v_xor_b32_e32 v36, 8, v35
	v_perm_b32 v26, v30, v26, s66
	v_perm_b32 v18, v22, v18, s66
	v_add_u32_e32 v22, 0x80, v36
	ds_write2st64_b32 v22, v26, v18 offset0:128 offset1:160
	v_xor_b32_e32 v18, 16, v35
	v_perm_b32 v22, v31, v27, s65
	v_perm_b32 v26, v23, v19, s65
	ds_write2st64_b32 v18, v22, v26 offset0:129 offset1:161
	v_xor_b32_e32 v18, 24, v35
	v_perm_b32 v22, v31, v27, s66
	v_perm_b32 v19, v23, v19, s66
	v_add_u32_e32 v18, 0x80, v18
	ds_write2st64_b32 v18, v22, v19 offset0:129 offset1:161
	v_xor_b32_e32 v18, 32, v35
	v_perm_b32 v19, v32, v28, s65
	v_perm_b32 v22, v24, v20, s65
	;; [unrolled: 9-line block ×3, first 2 shown]
	ds_write2st64_b32 v18, v19, v20 offset0:131 offset1:163
	v_xor_b32_e32 v18, 56, v35
	v_perm_b32 v19, v33, v29, s66
	v_perm_b32 v20, v25, v21, s66
	v_add_u32_e32 v18, 0x80, v18
	ds_write2st64_b32 v18, v19, v20 offset0:131 offset1:163
	ds_write_b64 v147, v[14:15] offset:49152
	v_xor_b32_e32 v14, 8, v147
	ds_write_b64 v14, v[16:17] offset:49152
	ds_write_b64 v147, v[10:11] offset:57344
	;; [unrolled: 1-line block ×4, first 2 shown]
	v_xor_b32_e32 v6, 8, v146
	ds_write_b64 v6, v[8:9] offset:49152
	ds_write_b64 v146, v[2:3] offset:57344
	ds_write_b64 v6, v[4:5] offset:57344
.LBB27_16:                              ;   in Loop: Header=BB27_6 Depth=1
	v_exp_f32_e32 v36, s2
	s_waitcnt vmcnt(4)
	v_exp_f32_e32 v38, v38
	v_exp_f32_e32 v39, v39
	;; [unrolled: 1-line block ×4, first 2 shown]
	v_accvgpr_read_b32 v5, a3
	v_accvgpr_read_b32 v4, a2
	;; [unrolled: 1-line block ×4, first 2 shown]
	v_pk_mul_f32 v[38:39], v[36:37], v[38:39] op_sel_hi:[0,1]
	v_pk_mul_f32 v[40:41], v[36:37], v[40:41] op_sel_hi:[0,1]
	v_pk_fma_f32 v[74:75], v[74:75], v[38:39], v[2:3]
	v_pk_fma_f32 v[78:79], v[78:79], v[40:41], v[4:5]
	v_exp_f32_e32 v2, v34
	v_exp_f32_e32 v3, v42
	;; [unrolled: 1-line block ×4, first 2 shown]
	v_accvgpr_read_b32 v9, a7
	v_accvgpr_read_b32 v13, a11
	;; [unrolled: 1-line block ×28, first 2 shown]
	v_pk_mul_f32 v[2:3], v[36:37], v[2:3] op_sel_hi:[0,1]
	v_pk_mul_f32 v[4:5], v[36:37], v[4:5] op_sel_hi:[0,1]
	s_add_i32 s64, s64, 64
	v_pk_fma_f32 v[66:67], v[38:39], v[66:67], v[6:7]
	v_pk_fma_f32 v[70:71], v[40:41], v[70:71], v[8:9]
	;; [unrolled: 1-line block ×13, first 2 shown]
	s_cmp_eq_u32 s54, s69
	v_pk_fma_f32 v[52:53], v[4:5], v[52:53], v[32:33]
	s_cbranch_scc1 .LBB27_18
; %bb.17:                               ;   in Loop: Header=BB27_6 Depth=1
	s_mov_b32 s70, s69
	s_branch .LBB27_6
.LBB27_18:
	s_lshl_b32 s26, s54, 6
	s_sub_i32 s27, s12, s26
	s_cmp_gt_i32 s27, 0
	s_cbranch_scc0 .LBB27_99
; %bb.19:
	s_ashr_i32 s2, s26, 31
	s_cmpk_lg_i32 s15, 0x80
	s_cselect_b64 s[22:23], -1, 0
	s_and_b64 vcc, exec, s[22:23]
	s_cbranch_vccz .LBB27_21
; %bb.20:
	s_mul_i32 s1, s53, s12
	s_mul_hi_i32 s0, s53, s12
	s_add_u32 s1, s1, s26
	s_addc_u32 s0, s0, s2
	s_mul_i32 s3, s1, s55
	s_mul_hi_u32 s17, s1, s14
	s_add_i32 s3, s17, s3
	s_mul_i32 s0, s0, s14
	s_add_i32 s3, s3, s0
	s_mul_i32 s1, s1, s14
	s_ashr_i32 s0, s56, 31
	s_add_u32 s24, s1, s56
	s_addc_u32 s25, s3, s0
	s_cbranch_execz .LBB27_22
	s_branch .LBB27_23
.LBB27_21:
                                        ; implicit-def: $sgpr24_sgpr25
.LBB27_22:
	s_mul_hi_i32 s0, s53, s14
	s_mul_i32 s53, s53, s14
	s_ashr_i32 s1, s56, 31
	s_add_u32 s3, s53, s56
	s_addc_u32 s0, s0, s1
	s_mul_i32 s1, s3, s52
	s_mul_hi_u32 s14, s3, s12
	s_add_i32 s1, s14, s1
	s_mul_i32 s0, s0, s12
	s_add_i32 s1, s1, s0
	s_mul_i32 s3, s3, s12
	s_add_u32 s24, s3, s26
	s_addc_u32 s25, s1, s2
.LBB27_23:
	s_mul_i32 s0, s40, s52
	s_add_i32 s0, s59, s0
	s_add_i32 s3, s57, s54
	;; [unrolled: 1-line block ×3, first 2 shown]
	s_add_u32 s0, s16, s26
	v_lshlrev_b32_e32 v6, 6, v93
	v_lshlrev_b32_e32 v24, 2, v90
	s_addc_u32 s1, s1, s2
	s_mov_b32 s2, 0x7060302
	v_or_b32_e32 v9, v6, v24
	v_xor_b32_e32 v7, v93, v24
	v_perm_b32 v3, v79, v78, s2
	v_perm_b32 v2, v75, v74, s2
	;; [unrolled: 1-line block ×4, first 2 shown]
	v_lshlrev_b32_e32 v9, 1, v9
	v_xor_b32_e32 v8, v94, v24
	ds_write2st64_b64 v9, v[2:3], v[4:5] offset0:32 offset1:48
	v_lshlrev_b32_e32 v7, 1, v7
	v_lshlrev_b32_e32 v9, 8, v90
	v_or_b32_e32 v10, v7, v9
	v_lshlrev_b32_e32 v8, 1, v8
	ds_write_b64 v10, v[2:3]
	v_or_b32_e32 v2, v8, v9
	v_or_b32_e32 v9, 16, v90
	v_lshlrev_b32_e32 v23, 2, v9
	v_or_b32_e32 v10, v6, v23
	ds_write_b64 v2, v[4:5]
	v_perm_b32 v3, v71, v70, s2
	v_perm_b32 v2, v67, v66, s2
	;; [unrolled: 1-line block ×4, first 2 shown]
	v_lshlrev_b32_e32 v10, 1, v10
	v_lshlrev_b32_e32 v9, 8, v9
	ds_write2st64_b64 v10, v[2:3], v[4:5] offset0:32 offset1:48
	v_or_b32_e32 v10, v7, v9
	ds_write_b64 v10, v[2:3]
	v_or_b32_e32 v2, v8, v9
	v_or_b32_e32 v9, 32, v90
	v_lshlrev_b32_e32 v22, 2, v9
	v_or_b32_e32 v10, v6, v22
	s_lshl_b64 s[20:21], s[0:1], 8
	ds_write_b64 v2, v[4:5]
	v_perm_b32 v3, v63, v62, s2
	v_perm_b32 v2, v59, v58, s2
	;; [unrolled: 1-line block ×4, first 2 shown]
	v_lshlrev_b32_e32 v10, 1, v10
	v_lshlrev_b32_e32 v9, 8, v9
	s_waitcnt lgkmcnt(0)
	s_add_u32 s0, s6, s20
	ds_write2st64_b64 v10, v[2:3], v[4:5] offset0:32 offset1:48
	v_or_b32_e32 v10, v7, v9
	s_addc_u32 s1, s7, s21
	ds_write_b64 v10, v[2:3]
	v_or_b32_e32 v2, v8, v9
	v_or_b32_e32 v9, 48, v90
	s_mul_hi_i32 s6, s3, s13
	s_mul_i32 s3, s3, s13
	ds_write_b64 v2, v[4:5]
	v_perm_b32 v3, v55, v54, s2
	v_perm_b32 v2, v51, v50, s2
	v_perm_b32 v5, v53, v52, s2
	v_perm_b32 v4, v49, v48, s2
	v_lshlrev_b32_e32 v19, 2, v9
	s_add_u32 s2, s3, s50
	v_or_b32_e32 v6, v6, v19
	s_addc_u32 s3, s6, s51
	v_lshlrev_b32_e32 v6, 1, v6
	s_ashr_i32 s39, s38, 31
	s_lshl_b64 s[2:3], s[2:3], 15
	ds_write2st64_b64 v6, v[2:3], v[4:5] offset0:32 offset1:48
	v_lshlrev_b32_e32 v6, 8, v9
	s_add_u32 s6, s18, s2
	v_or_b32_e32 v7, v7, v6
	s_addc_u32 s7, s19, s3
	s_lshl_b64 s[2:3], s[38:39], 8
	ds_write_b64 v7, v[2:3]
	v_or_b32_e32 v2, v8, v6
	s_add_u32 s2, s6, s2
	v_lshlrev_b32_e32 v3, 1, v90
	ds_write_b64 v2, v[4:5]
	v_lshrrev_b32_e32 v2, 4, v0
	s_addc_u32 s3, s7, s3
	v_or_b32_e32 v4, 1, v3
	v_lshlrev_b32_e32 v10, 4, v90
	v_mov_b32_e32 v11, 0
	v_xor_b32_e32 v3, v2, v3
	v_xor_b32_e32 v6, v4, v2
	v_lshl_add_u64 v[12:13], s[2:3], 0, v[10:11]
	v_lshlrev_b32_e32 v10, 8, v2
	v_lshl_or_b32 v16, v3, 3, v10
	v_lshl_or_b32 v17, v6, 3, v10
	s_waitcnt lgkmcnt(0)
	s_barrier
	ds_read2st64_b64 v[2:5], v16 offset1:8
	ds_read2st64_b64 v[6:9], v17 offset1:8
	v_lshl_add_u64 v[14:15], v[12:13], 0, v[10:11]
	s_movk_i32 s2, 0x2000
	s_cmp_lg_u32 s27, 64
	s_waitcnt lgkmcnt(1)
	v_mov_b32_e32 v10, v2
	v_mov_b32_e32 v11, v3
	s_waitcnt lgkmcnt(0)
	v_mov_b32_e32 v12, v6
	v_mov_b32_e32 v13, v7
	global_store_dwordx4 v[14:15], v[10:13], off
	v_mov_b32_e32 v6, v4
	v_mov_b32_e32 v7, v5
	ds_read2st64_b64 v[2:5], v16 offset0:16 offset1:24
	ds_read2st64_b64 v[10:13], v17 offset0:16 offset1:24
	v_add_co_u32_e32 v16, vcc, s2, v14
	s_cselect_b64 s[6:7], -1, 0
	s_nop 0
	v_addc_co_u32_e32 v17, vcc, 0, v15, vcc
	global_store_dwordx4 v[16:17], v[6:9], off offset:-4096
	v_lshl_or_b32 v25, v88, 3, v91
	s_mov_b32 s16, 0
	s_waitcnt lgkmcnt(1)
	v_mov_b32_e32 v6, v2
	v_add_co_u32_e32 v2, vcc, 0x3000, v14
	v_mov_b32_e32 v7, v3
	s_nop 0
	v_addc_co_u32_e32 v3, vcc, 0, v15, vcc
	s_waitcnt lgkmcnt(0)
	v_mov_b32_e32 v8, v10
	v_mov_b32_e32 v9, v11
	;; [unrolled: 1-line block ×4, first 2 shown]
	v_or_b32_e32 v20, 32, v25
	v_and_b32_e32 v18, 56, v92
	s_and_b64 vcc, exec, s[6:7]
	global_store_dwordx4 v[16:17], v[6:9], off
	global_store_dwordx4 v[2:3], v[10:13], off
	s_cbranch_vccz .LBB27_29
; %bb.24:
	s_mov_b32 s17, s16
	s_mov_b32 s18, s16
	;; [unrolled: 1-line block ×3, first 2 shown]
	v_mov_b64_e32 v[6:7], s[16:17]
	v_mov_b64_e32 v[8:9], s[18:19]
	;; [unrolled: 1-line block ×3, first 2 shown]
	v_cmp_gt_i32_e32 vcc, s27, v25
	v_mov_b64_e32 v[4:5], v[8:9]
	s_and_saveexec_b64 s[2:3], vcc
	s_cbranch_execz .LBB27_26
; %bb.25:
	v_lshlrev_b32_e32 v2, 8, v25
	v_mov_b32_e32 v3, 0
	v_lshl_add_u64 v[4:5], s[0:1], 0, v[2:3]
	v_lshlrev_b32_e32 v2, 1, v18
	v_lshl_add_u64 v[10:11], v[4:5], 0, v[2:3]
	global_load_dwordx4 v[6:9], v[10:11], off
	global_load_dwordx4 v[2:5], v[10:11], off offset:128
.LBB27_26:
	s_or_b64 exec, exec, s[2:3]
	s_mov_b32 s17, s16
	s_mov_b32 s18, s16
	s_mov_b32 s19, s16
	v_mov_b64_e32 v[14:15], s[16:17]
	v_mov_b64_e32 v[16:17], s[18:19]
	;; [unrolled: 1-line block ×3, first 2 shown]
	v_cmp_gt_i32_e32 vcc, s27, v20
	v_lshlrev_b32_e32 v21, 7, v20
	v_mov_b64_e32 v[12:13], v[16:17]
	s_and_saveexec_b64 s[2:3], vcc
	s_cbranch_execz .LBB27_28
; %bb.27:
	v_lshlrev_b32_e32 v10, 1, v21
	v_mov_b32_e32 v11, 0
	v_lshl_add_u64 v[12:13], s[0:1], 0, v[10:11]
	v_lshlrev_b32_e32 v10, 1, v18
	v_lshl_add_u64 v[26:27], v[12:13], 0, v[10:11]
	global_load_dwordx4 v[14:17], v[26:27], off
	global_load_dwordx4 v[10:13], v[26:27], off offset:128
.LBB27_28:
	s_or_b64 exec, exec, s[2:3]
	v_lshrrev_b32_e32 v26, 3, v18
	v_lshlrev_b32_e32 v27, 3, v25
	v_or_b32_e32 v26, v27, v26
	v_lshlrev_b32_e32 v26, 4, v26
	v_and_b32_e32 v27, 0x78, v27
	v_xor_b32_e32 v26, v26, v27
	s_branch .LBB27_31
.LBB27_29:
                                        ; implicit-def: $vgpr26
                                        ; implicit-def: $vgpr21
                                        ; implicit-def: $vgpr6_vgpr7_vgpr8_vgpr9
                                        ; implicit-def: $vgpr2_vgpr3_vgpr4_vgpr5
                                        ; implicit-def: $vgpr14_vgpr15_vgpr16_vgpr17
                                        ; implicit-def: $vgpr10_vgpr11_vgpr12_vgpr13
	s_cbranch_execz .LBB27_31
; %bb.30:
	s_waitcnt vmcnt(0)
	v_lshlrev_b32_e32 v2, 1, v18
	v_lshl_or_b32 v21, v25, 8, v2
	s_and_b32 s1, s1, 0xffff
	s_mov_b32 s3, 0x20000
	s_movk_i32 s2, 0x4000
	v_lshl_or_b32 v26, v20, 8, v2
	s_movk_i32 s13, 0x80
	buffer_load_dwordx4 v[6:9], v21, s[0:3], 0 offen
	buffer_load_dwordx4 v[2:5], v21, s[0:3], s13 offen
	;; [unrolled: 1-line block ×4, first 2 shown]
	v_lshrrev_b32_e32 v21, 3, v18
	v_lshlrev_b32_e32 v26, 3, v25
	v_or_b32_e32 v21, v26, v21
	v_lshlrev_b32_e32 v21, 4, v21
	v_and_b32_e32 v26, 0x78, v26
	v_xor_b32_e32 v26, v21, v26
	v_lshlrev_b32_e32 v21, 7, v20
.LBB27_31:
	s_movk_i32 s0, 0x1000
	v_and_or_b32 v20, v21, s0, v26
	s_waitcnt vmcnt(1)
	ds_write_b64 v26, v[6:7] offset:49152
	v_xor_b32_e32 v6, 8, v26
	ds_write_b64 v6, v[8:9] offset:49152
	s_waitcnt vmcnt(0)
	ds_write_b64 v26, v[2:3] offset:57344
	ds_write_b64 v6, v[4:5] offset:57344
	;; [unrolled: 1-line block ×3, first 2 shown]
	v_xor_b32_e32 v2, 8, v20
	ds_write_b64 v2, v[16:17] offset:49152
	ds_write_b64 v20, v[10:11] offset:57344
	;; [unrolled: 1-line block ×3, first 2 shown]
	v_or_b32_e32 v2, v1, v90
	v_lshlrev_b32_e32 v3, 11, v88
	v_lshlrev_b32_e32 v2, 3, v2
	v_and_b32_e32 v6, 0x1000, v3
	v_lshrrev_b32_e32 v3, 5, v45
	s_movk_i32 s0, 0xf8
	v_and_or_b32 v3, v2, s0, v3
	v_lshlrev_b32_e32 v7, 4, v3
	v_and_b32_e32 v8, 0x78, v2
	v_or_b32_e32 v10, 32, v7
	v_lshrrev_b32_e32 v3, 1, v45
	v_xor_b32_e32 v10, v10, v8
	v_xor_b32_e32 v2, v7, v8
	v_and_b32_e32 v9, 8, v3
	v_or_b32_e32 v10, v10, v6
	v_or_b32_e32 v2, v2, v6
	v_xor_b32_e32 v28, v10, v9
	v_or_b32_e32 v10, 64, v7
	v_xor_b32_e32 v27, v2, v9
	v_xor_b32_e32 v10, v10, v8
	s_waitcnt lgkmcnt(0)
	s_barrier
	v_or_b32_e32 v13, v10, v6
	ds_read_b64 v[10:11], v27 offset:49152
	v_lshl_or_b32 v14, v89, 8, v24
	v_lshlrev_b32_e32 v26, 1, v14
	v_add_u32_e32 v12, 0x4000, v26
	ds_read2_b64 v[2:5], v12 offset1:16
	v_or_b32_e32 v7, 0x60, v7
	v_xor_b32_e32 v7, v7, v8
	v_or_b32_e32 v6, v7, v6
	v_xor_b32_e32 v29, v13, v9
	v_xor_b32_e32 v30, v6, v9
	ds_read_b64 v[20:21], v28 offset:49152
	ds_read_b64 v[34:35], v29 offset:49152
	;; [unrolled: 1-line block ×3, first 2 shown]
	s_waitcnt lgkmcnt(3)
	v_mfma_f32_16x16x16_bf16 a[0:3], v[10:11], v[2:3], 0
	ds_read2st64_b64 v[6:9], v26 offset0:36 offset1:40
	s_lshl_b64 s[0:1], s[24:25], 8
	s_add_u32 s4, s4, s0
	v_mfma_f32_16x16x16_bf16 a[4:7], v[10:11], v[4:5], 0
	ds_read2_b64 v[2:5], v12 offset0:32 offset1:48
	s_addc_u32 s5, s5, s1
	s_add_i32 s1, s46, s33
	s_waitcnt lgkmcnt(0)
	v_mfma_f32_16x16x16_bf16 a[8:11], v[10:11], v[2:3], 0
	v_or_b32_e32 v2, 64, v14
	v_lshlrev_b32_e32 v31, 1, v2
	s_add_i32 s0, s12, -1
	v_mfma_f32_16x16x16_bf16 a[12:15], v[10:11], v[4:5], 0
	ds_read2st64_b64 v[2:5], v31 offset0:36 offset1:40
	s_add_i32 s37, s1, s41
	s_add_i32 s1, s48, s47
	v_mfma_f32_16x16x16_bf16 a[0:3], v[20:21], v[6:7], a[0:3]
	v_or_b32_e32 v6, 0x80, v14
	v_lshlrev_b32_e32 v32, 1, v6
	ds_read2st64_b64 v[10:13], v32 offset0:36 offset1:40
	s_waitcnt lgkmcnt(1)
	v_mfma_f32_16x16x16_bf16 a[4:7], v[20:21], v[2:3], a[4:7]
	v_or_b32_e32 v2, 0xc0, v14
	v_lshlrev_b32_e32 v33, 1, v2
	ds_read2st64_b64 v[14:17], v33 offset0:36 offset1:40
	s_add_i32 s35, s1, s49
	s_ashr_i32 s1, s0, 31
	s_mul_i32 s2, s0, s31
	s_mul_hi_u32 s3, s0, s30
	s_add_i32 s2, s3, s2
	s_mul_i32 s1, s1, s30
	s_waitcnt lgkmcnt(1)
	v_mfma_f32_16x16x16_bf16 a[8:11], v[20:21], v[10:11], a[8:11]
	s_add_i32 s1, s2, s1
	s_lshl_b64 s[2:3], s[36:37], 2
	s_add_u32 s10, s10, s2
	s_waitcnt lgkmcnt(0)
	v_mfma_f32_16x16x16_bf16 a[12:15], v[20:21], v[14:15], a[12:15]
	s_addc_u32 s11, s11, s3
	s_lshl_b64 s[2:3], s[34:35], 2
	s_mul_i32 s0, s0, s30
	v_mfma_f32_16x16x16_bf16 a[0:3], v[34:35], v[8:9], a[0:3]
	ds_read_b64 v[2:3], v26 offset:22528
	s_add_u32 s10, s10, s2
	s_addc_u32 s11, s11, s3
	v_mfma_f32_16x16x16_bf16 a[4:7], v[34:35], v[4:5], a[4:7]
	ds_read_b64 v[4:5], v31 offset:22528
	ds_read_b64 v[6:7], v32 offset:22528
	;; [unrolled: 1-line block ×3, first 2 shown]
	s_lshl_b64 s[0:1], s[0:1], 2
	s_add_u32 s0, s10, s0
	v_mfma_f32_16x16x16_bf16 a[8:11], v[34:35], v[12:13], a[8:11]
	s_addc_u32 s1, s11, s1
	s_load_dword s12, s[0:1], 0x0
	s_and_b64 vcc, exec, s[22:23]
	v_mfma_f32_16x16x16_bf16 a[12:15], v[34:35], v[16:17], a[12:15]
	s_waitcnt lgkmcnt(0)
	v_mfma_f32_16x16x16_bf16 a[0:3], v[36:37], v[2:3], a[0:3]
	v_mfma_f32_16x16x16_bf16 a[4:7], v[36:37], v[4:5], a[4:7]
	v_mfma_f32_16x16x16_bf16 a[8:11], v[36:37], v[6:7], a[8:11]
	v_mfma_f32_16x16x16_bf16 a[12:15], v[36:37], v[8:9], a[12:15]
	s_cbranch_vccz .LBB27_42
; %bb.32:
	v_lshlrev_b32_e32 v20, 1, v25
	s_and_b64 vcc, exec, s[6:7]
	s_cbranch_vccz .LBB27_43
; %bb.33:
	v_cmp_gt_i32_e32 vcc, s27, v20
	v_mov_b32_e32 v6, 0
	v_mov_b32_e32 v2, 0
	;; [unrolled: 1-line block ×5, first 2 shown]
	s_and_saveexec_b64 s[0:1], vcc
	s_cbranch_execz .LBB27_35
; %bb.34:
	v_mad_i64_i32 v[2:3], s[2:3], s15, v20, 0
	v_lshl_add_u64 v[2:3], v[2:3], 1, s[4:5]
	v_lshlrev_b32_e32 v4, 1, v18
	v_mov_b32_e32 v5, 0
	v_lshl_add_u64 v[2:3], v[2:3], 0, v[4:5]
	global_load_dwordx4 v[2:5], v[2:3], off
.LBB27_35:
	s_or_b64 exec, exec, s[0:1]
	v_or_b32_e32 v21, 1, v20
	v_cmp_gt_i32_e64 s[0:1], s27, v21
	v_mov_b32_e32 v7, 0
	v_mov_b32_e32 v8, 0
	v_mov_b32_e32 v9, 0
	s_and_saveexec_b64 s[2:3], s[0:1]
	s_cbranch_execz .LBB27_37
; %bb.36:
	v_mad_i64_i32 v[6:7], s[16:17], s15, v21, 0
	v_lshl_add_u64 v[6:7], v[6:7], 1, s[4:5]
	v_lshlrev_b32_e32 v8, 1, v18
	v_mov_b32_e32 v9, 0
	v_lshl_add_u64 v[6:7], v[6:7], 0, v[8:9]
	global_load_dwordx4 v[6:9], v[6:7], off
.LBB27_37:
	s_or_b64 exec, exec, s[2:3]
	v_mov_b32_e32 v17, 0
	v_mov_b32_e32 v10, 0
	;; [unrolled: 1-line block ×5, first 2 shown]
	s_and_saveexec_b64 s[2:3], vcc
	s_cbranch_execz .LBB27_39
; %bb.38:
	v_mad_i64_i32 v[10:11], s[16:17], s15, v20, 0
	v_lshl_add_u64 v[10:11], v[10:11], 1, s[4:5]
	v_lshlrev_b32_e32 v12, 1, v18
	v_mov_b32_e32 v13, 0
	v_lshl_add_u64 v[10:11], v[10:11], 0, v[12:13]
	global_load_dwordx4 v[10:13], v[10:11], off offset:128
.LBB27_39:
	s_or_b64 exec, exec, s[2:3]
	v_mov_b32_e32 v16, 0
	v_mov_b32_e32 v15, 0
	;; [unrolled: 1-line block ×3, first 2 shown]
	s_and_saveexec_b64 s[2:3], s[0:1]
	s_cbranch_execz .LBB27_41
; %bb.40:
	v_mad_i64_i32 v[14:15], s[0:1], s15, v21, 0
	v_lshl_add_u64 v[14:15], v[14:15], 1, s[4:5]
	v_lshlrev_b32_e32 v16, 1, v18
	v_mov_b32_e32 v17, 0
	v_lshl_add_u64 v[14:15], v[14:15], 0, v[16:17]
	global_load_dwordx4 v[14:17], v[14:15], off offset:128
.LBB27_41:
	s_or_b64 exec, exec, s[2:3]
	s_branch .LBB27_45
.LBB27_42:
                                        ; implicit-def: $vgpr5
                                        ; implicit-def: $vgpr9
                                        ; implicit-def: $vgpr13
                                        ; implicit-def: $vgpr17
	v_lshrrev_b32_e32 v34, 2, v45
	s_branch .LBB27_46
.LBB27_43:
                                        ; implicit-def: $vgpr5
                                        ; implicit-def: $vgpr9
                                        ; implicit-def: $vgpr13
                                        ; implicit-def: $vgpr17
	s_cbranch_execz .LBB27_45
; %bb.44:
	s_waitcnt vmcnt(0)
	v_mad_u64_u32 v[2:3], s[0:1], v20, s15, v[18:19]
	v_lshlrev_b32_e32 v20, 1, v2
	s_lshl_b32 s2, s15, 7
	s_and_b32 s1, s5, 0xffff
	s_mov_b32 s3, 0x20000
	s_mov_b32 s0, s4
	v_add_lshl_u32 v21, v2, s15, 1
	s_movk_i32 s13, 0x80
	buffer_load_dwordx4 v[2:5], v20, s[0:3], 0 offen
	buffer_load_dwordx4 v[10:13], v20, s[0:3], s13 offen
	;; [unrolled: 1-line block ×4, first 2 shown]
.LBB27_45:
	v_lshrrev_b32_e32 v34, 2, v45
	s_cbranch_execnz .LBB27_58
.LBB27_46:
	s_and_b64 vcc, exec, s[6:7]
	s_cbranch_vccz .LBB27_56
; %bb.47:
	s_waitcnt vmcnt(0)
	v_lshlrev_b32_e32 v7, 1, v25
	v_cmp_gt_i32_e32 vcc, s27, v7
	v_mov_b32_e32 v6, 0
	v_lshlrev_b32_e32 v14, 9, v25
	v_mov_b32_e32 v2, 0
	v_mov_b32_e32 v3, 0
	;; [unrolled: 1-line block ×4, first 2 shown]
	s_and_saveexec_b64 s[0:1], vcc
	s_cbranch_execz .LBB27_49
; %bb.48:
	v_mov_b32_e32 v15, 0
	v_lshl_add_u64 v[2:3], s[4:5], 0, v[14:15]
	v_lshlrev_b32_e32 v4, 1, v18
	v_mov_b32_e32 v5, v15
	v_lshl_add_u64 v[2:3], v[2:3], 0, v[4:5]
	global_load_dwordx4 v[2:5], v[2:3], off
.LBB27_49:
	s_or_b64 exec, exec, s[0:1]
	v_or_b32_e32 v7, 1, v7
	v_cmp_gt_i32_e64 s[0:1], s27, v7
	v_lshlrev_b32_e32 v20, 8, v7
	v_mov_b32_e32 v7, 0
	v_mov_b32_e32 v8, 0
	;; [unrolled: 1-line block ×3, first 2 shown]
	s_and_saveexec_b64 s[2:3], s[0:1]
	s_cbranch_execz .LBB27_51
; %bb.50:
	v_mov_b32_e32 v21, 0
	v_lshl_add_u64 v[6:7], s[4:5], 0, v[20:21]
	v_lshlrev_b32_e32 v8, 1, v18
	v_mov_b32_e32 v9, v21
	v_lshl_add_u64 v[6:7], v[6:7], 0, v[8:9]
	global_load_dwordx4 v[6:9], v[6:7], off
.LBB27_51:
	s_or_b64 exec, exec, s[2:3]
	v_mov_b32_e32 v17, 0
	v_mov_b32_e32 v10, 0
	;; [unrolled: 1-line block ×5, first 2 shown]
	s_and_saveexec_b64 s[2:3], vcc
	s_cbranch_execz .LBB27_53
; %bb.52:
	v_mov_b32_e32 v15, 0
	v_lshl_add_u64 v[10:11], s[4:5], 0, v[14:15]
	v_lshlrev_b32_e32 v14, 1, v18
	v_lshl_add_u64 v[10:11], v[10:11], 0, v[14:15]
	global_load_dwordx4 v[10:13], v[10:11], off offset:128
.LBB27_53:
	s_or_b64 exec, exec, s[2:3]
	v_mov_b32_e32 v16, 0
	v_mov_b32_e32 v15, 0
	;; [unrolled: 1-line block ×3, first 2 shown]
	s_and_saveexec_b64 s[2:3], s[0:1]
	s_cbranch_execz .LBB27_55
; %bb.54:
	v_mov_b32_e32 v21, 0
	v_lshl_add_u64 v[14:15], s[4:5], 0, v[20:21]
	v_lshlrev_b32_e32 v20, 1, v18
	v_lshl_add_u64 v[14:15], v[14:15], 0, v[20:21]
	global_load_dwordx4 v[14:17], v[14:15], off offset:128
.LBB27_55:
	s_or_b64 exec, exec, s[2:3]
	s_branch .LBB27_58
.LBB27_56:
                                        ; implicit-def: $vgpr5
                                        ; implicit-def: $vgpr9
                                        ; implicit-def: $vgpr13
                                        ; implicit-def: $vgpr17
	s_cbranch_execz .LBB27_58
; %bb.57:
	s_waitcnt vmcnt(0)
	v_lshlrev_b32_e32 v2, 1, v18
	v_lshl_or_b32 v18, v25, 9, v2
	s_and_b32 s5, s5, 0xffff
	s_mov_b32 s7, 0x20000
	s_movk_i32 s6, 0x4000
	s_movk_i32 s0, 0x80
	buffer_load_dwordx4 v[2:5], v18, s[4:7], 0 offen
	buffer_load_dwordx4 v[6:9], v18, s[4:7], 0 offen offset:256
	buffer_load_dwordx4 v[10:13], v18, s[4:7], s0 offen
	buffer_load_dwordx4 v[14:17], v18, s[4:7], s0 offen offset:256
.LBB27_58:
	ds_read_b64 v[20:21], v27 offset:57344
	v_add_u32_e32 v18, 0x6000, v26
	ds_read2_b64 v[36:39], v18 offset1:16
	ds_read_b64 v[44:45], v28 offset:57344
	ds_read_b64 v[28:29], v29 offset:57344
	;; [unrolled: 1-line block ×3, first 2 shown]
	ds_read2st64_b64 v[40:43], v26 offset0:52 offset1:56
	s_mov_b32 s0, 0x1000504
	s_mov_b32 s1, 0x3020706
	s_waitcnt lgkmcnt(4)
	v_mfma_f32_16x16x16_bf16 a[0:3], v[20:21], v[36:37], a[0:3]
	v_mfma_f32_16x16x16_bf16 a[4:7], v[20:21], v[38:39], a[4:7]
	ds_read2_b64 v[36:39], v18 offset0:32 offset1:48
	v_and_b32_e32 v18, 6, v0
	v_xor_b32_e32 v25, v25, v18
	s_waitcnt lgkmcnt(0)
	v_mfma_f32_16x16x16_bf16 a[8:11], v[20:21], v[36:37], a[8:11]
	v_lshlrev_b32_e32 v25, 2, v25
	v_and_b32_e32 v0, 1, v0
	v_xor_b32_e32 v35, 0x440, v25
	v_mfma_f32_16x16x16_bf16 a[12:15], v[20:21], v[38:39], a[12:15]
	ds_read2st64_b64 v[36:39], v31 offset0:52 offset1:56
	ds_read2st64_b64 v[48:51], v32 offset0:52 offset1:56
	;; [unrolled: 1-line block ×3, first 2 shown]
	v_cmp_eq_u32_e32 vcc, 0, v0
	ds_read_b64 v[20:21], v26 offset:30720
	ds_read_b64 v[26:27], v31 offset:30720
	;; [unrolled: 1-line block ×4, first 2 shown]
	v_mfma_f32_16x16x16_bf16 a[0:3], v[44:45], v[40:41], a[0:3]
	v_cndmask_b32_e32 v0, v35, v25, vcc
	v_lshl_or_b32 v0, v18, 10, v0
	s_waitcnt vmcnt(0)
	v_perm_b32 v18, v2, v6, s0
	s_waitcnt lgkmcnt(6)
	v_mfma_f32_16x16x16_bf16 a[4:7], v[44:45], v[36:37], a[4:7]
	v_perm_b32 v25, v10, v14, s0
	ds_write2st64_b32 v0, v18, v25 offset0:128 offset1:160
	v_xor_b32_e32 v18, 8, v0
	s_waitcnt lgkmcnt(6)
	v_mfma_f32_16x16x16_bf16 a[8:11], v[44:45], v[48:49], a[8:11]
	v_perm_b32 v2, v2, v6, s1
	v_perm_b32 v6, v10, v14, s1
	v_add_u32_e32 v10, 0x80, v18
	s_waitcnt lgkmcnt(5)
	v_mfma_f32_16x16x16_bf16 a[12:15], v[44:45], v[52:53], a[12:15]
	ds_write2st64_b32 v10, v2, v6 offset0:128 offset1:160
	v_xor_b32_e32 v2, 16, v0
	v_perm_b32 v6, v3, v7, s0
	v_mfma_f32_16x16x16_bf16 a[0:3], v[28:29], v[42:43], a[0:3]
	v_perm_b32 v10, v11, v15, s0
	ds_write2st64_b32 v2, v6, v10 offset0:129 offset1:161
	v_xor_b32_e32 v2, 24, v0
	v_mfma_f32_16x16x16_bf16 a[4:7], v[28:29], v[38:39], a[4:7]
	v_perm_b32 v3, v3, v7, s1
	v_perm_b32 v6, v11, v15, s1
	v_add_u32_e32 v2, 0x80, v2
	v_mfma_f32_16x16x16_bf16 a[16:19], v[28:29], v[50:51], a[8:11]
	ds_write2st64_b32 v2, v3, v6 offset0:129 offset1:161
	v_xor_b32_e32 v2, 32, v0
	v_perm_b32 v3, v4, v8, s0
	v_mfma_f32_16x16x16_bf16 a[20:23], v[28:29], v[54:55], a[12:15]
	v_perm_b32 v6, v12, v16, s0
	ds_write2st64_b32 v2, v3, v6 offset0:130 offset1:162
	v_xor_b32_e32 v2, 40, v0
	s_waitcnt lgkmcnt(8)
	v_mfma_f32_16x16x16_bf16 a[12:15], v[56:57], v[20:21], a[0:3]
	v_perm_b32 v3, v4, v8, s1
	v_perm_b32 v4, v12, v16, s1
	v_add_u32_e32 v2, 0x80, v2
	s_waitcnt lgkmcnt(7)
	v_mfma_f32_16x16x16_bf16 a[8:11], v[56:57], v[26:27], a[4:7]
	ds_write2st64_b32 v2, v3, v4 offset0:130 offset1:162
	v_xor_b32_e32 v2, 48, v0
	v_perm_b32 v3, v5, v9, s0
	s_waitcnt lgkmcnt(7)
	v_mfma_f32_16x16x16_bf16 a[4:7], v[56:57], v[30:31], a[16:19]
	v_perm_b32 v4, v13, v17, s0
	v_xor_b32_e32 v0, 56, v0
	v_and_or_b32 v21, v34, 12, v1
	s_waitcnt lgkmcnt(6)
	v_mfma_f32_16x16x16_bf16 a[0:3], v[56:57], v[32:33], a[20:23]
	ds_write2st64_b32 v2, v3, v4 offset0:131 offset1:163
	v_perm_b32 v2, v5, v9, s1
	v_perm_b32 v3, v13, v17, s1
	v_add_u32_e32 v0, 0x80, v0
	v_cmp_gt_i32_e32 vcc, s27, v21
	v_mov_b32_e32 v16, 0
	v_mov_b32_e32 v18, 0
	ds_write2st64_b32 v0, v2, v3 offset0:131 offset1:163
	s_and_saveexec_b64 s[0:1], vcc
	s_cbranch_execz .LBB27_60
; %bb.59:
	v_add_u32_e32 v0, s26, v21
	v_ashrrev_i32_e32 v1, 31, v0
	v_mul_lo_u32 v2, v1, s30
	v_mul_lo_u32 v3, v0, s31
	v_mad_u64_u32 v[0:1], s[2:3], v0, s30, 0
	v_add3_u32 v1, v1, v3, v2
	v_lshl_add_u64 v[0:1], v[0:1], 2, s[10:11]
	global_load_dword v0, v[0:1], off
	s_waitcnt vmcnt(0)
	v_sub_f32_e32 v0, s12, v0
	v_exp_f32_e32 v18, v0
.LBB27_60:
	s_or_b64 exec, exec, s[0:1]
	v_or_b32_e32 v10, 1, v21
	v_cmp_gt_i32_e64 s[2:3], s27, v10
	s_and_saveexec_b64 s[0:1], s[2:3]
	s_cbranch_execz .LBB27_62
; %bb.61:
	v_add_u32_e32 v0, s26, v10
	v_ashrrev_i32_e32 v1, 31, v0
	v_mul_lo_u32 v2, v1, s30
	v_mul_lo_u32 v3, v0, s31
	v_mad_u64_u32 v[0:1], s[4:5], v0, s30, 0
	v_add3_u32 v1, v1, v3, v2
	v_lshl_add_u64 v[0:1], v[0:1], 2, s[10:11]
	global_load_dword v0, v[0:1], off
	s_waitcnt vmcnt(0)
	v_sub_f32_e32 v0, s12, v0
	v_exp_f32_e32 v16, v0
.LBB27_62:
	s_or_b64 exec, exec, s[0:1]
	v_or_b32_e32 v12, 2, v21
	v_cmp_gt_i32_e64 s[0:1], s27, v12
	v_mov_b32_e32 v17, 0
	v_mov_b32_e32 v20, 0
	s_and_saveexec_b64 s[4:5], s[0:1]
	s_cbranch_execz .LBB27_64
; %bb.63:
	v_add_u32_e32 v0, s26, v12
	v_ashrrev_i32_e32 v1, 31, v0
	v_mul_lo_u32 v2, v1, s30
	v_mul_lo_u32 v3, v0, s31
	v_mad_u64_u32 v[0:1], s[6:7], v0, s30, 0
	v_add3_u32 v1, v1, v3, v2
	v_lshl_add_u64 v[0:1], v[0:1], 2, s[10:11]
	global_load_dword v0, v[0:1], off
	s_waitcnt vmcnt(0)
	v_sub_f32_e32 v0, s12, v0
	v_exp_f32_e32 v20, v0
.LBB27_64:
	s_or_b64 exec, exec, s[4:5]
	v_or_b32_e32 v14, 3, v21
	v_cmp_gt_i32_e64 s[4:5], s27, v14
	s_and_saveexec_b64 s[6:7], s[4:5]
	s_cbranch_execz .LBB27_66
; %bb.65:
	v_add_u32_e32 v0, s26, v14
	v_ashrrev_i32_e32 v1, 31, v0
	v_mul_lo_u32 v2, v1, s30
	v_mul_lo_u32 v3, v0, s31
	v_mad_u64_u32 v[0:1], s[14:15], v0, s30, 0
	v_add3_u32 v1, v1, v3, v2
	v_lshl_add_u64 v[0:1], v[0:1], 2, s[10:11]
	global_load_dword v0, v[0:1], off
	s_waitcnt vmcnt(0)
	v_sub_f32_e32 v0, s12, v0
	v_exp_f32_e32 v17, v0
.LBB27_66:
	s_or_b64 exec, exec, s[6:7]
	s_add_u32 s6, s8, s20
	s_addc_u32 s7, s9, s21
	s_add_u32 s8, s28, s20
	v_ashrrev_i32_e32 v47, 31, v46
	v_accvgpr_read_b32 v0, a12
	s_addc_u32 s9, s29, s21
	v_lshlrev_b64 v[4:5], 1, v[46:47]
	v_accvgpr_read_b32 v1, a13
	v_accvgpr_read_b32 v2, a14
	;; [unrolled: 1-line block ×3, first 2 shown]
	v_lshl_add_u64 v[6:7], s[6:7], 0, v[4:5]
	v_lshl_add_u64 v[4:5], s[8:9], 0, v[4:5]
	v_mov_b32_e32 v11, 0
	v_lshlrev_b32_e32 v8, 8, v21
	v_mov_b32_e32 v9, 0
	s_and_saveexec_b64 s[6:7], vcc
	s_cbranch_execz .LBB27_68
; %bb.67:
	v_mov_b32_e32 v9, 0
	v_lshl_add_u64 v[26:27], v[6:7], 0, v[8:9]
	global_load_ushort v13, v[26:27], off
	v_lshl_add_u64 v[26:27], v[4:5], 0, v[8:9]
	s_waitcnt vmcnt(0)
	v_lshlrev_b32_e32 v9, 16, v13
	v_sub_f32_e32 v0, v9, v0
	global_store_short_d16_hi v[26:27], v0, off
	v_mul_f32_e32 v0, v18, v0
	v_lshrrev_b32_e32 v9, 16, v0
.LBB27_68:
	s_or_b64 exec, exec, s[6:7]
	v_lshlrev_b32_e32 v10, 8, v10
	s_and_saveexec_b64 s[6:7], s[2:3]
	s_cbranch_execz .LBB27_70
; %bb.69:
	v_mov_b32_e32 v11, 0
	v_lshl_add_u64 v[26:27], v[6:7], 0, v[10:11]
	global_load_ushort v0, v[26:27], off
	v_lshl_add_u64 v[26:27], v[4:5], 0, v[10:11]
	s_waitcnt vmcnt(0)
	v_lshlrev_b32_e32 v0, 16, v0
	v_sub_f32_e32 v0, v0, v1
	global_store_short_d16_hi v[26:27], v0, off
	v_mul_f32_e32 v0, v16, v0
	v_lshrrev_b32_e32 v11, 16, v0
.LBB27_70:
	s_or_b64 exec, exec, s[6:7]
	v_mov_b32_e32 v15, 0
	v_lshlrev_b32_e32 v12, 8, v12
	v_mov_b32_e32 v13, 0
	s_and_saveexec_b64 s[6:7], s[0:1]
	s_cbranch_execz .LBB27_72
; %bb.71:
	v_mov_b32_e32 v13, 0
	v_lshl_add_u64 v[0:1], v[6:7], 0, v[12:13]
	global_load_ushort v25, v[0:1], off
	v_lshl_add_u64 v[0:1], v[4:5], 0, v[12:13]
	s_waitcnt vmcnt(0)
	v_lshlrev_b32_e32 v13, 16, v25
	v_sub_f32_e32 v2, v13, v2
	global_store_short_d16_hi v[0:1], v2, off
	v_mul_f32_e32 v0, v20, v2
	v_lshrrev_b32_e32 v13, 16, v0
.LBB27_72:
	s_or_b64 exec, exec, s[6:7]
	v_lshlrev_b32_e32 v14, 8, v14
	s_and_saveexec_b64 s[6:7], s[4:5]
	s_cbranch_execz .LBB27_74
; %bb.73:
	v_mov_b32_e32 v15, 0
	v_lshl_add_u64 v[0:1], v[6:7], 0, v[14:15]
	global_load_ushort v2, v[0:1], off
	v_lshl_add_u64 v[0:1], v[4:5], 0, v[14:15]
	s_waitcnt vmcnt(0)
	v_lshlrev_b32_e32 v2, 16, v2
	v_sub_f32_e32 v2, v2, v3
	global_store_short_d16_hi v[0:1], v2, off
	v_mul_f32_e32 v0, v17, v2
	v_lshrrev_b32_e32 v15, 16, v0
.LBB27_74:
	s_or_b64 exec, exec, s[6:7]
	v_lshlrev_b32_e32 v21, 6, v21
	s_mov_b32 s6, 0x5040100
	v_perm_b32 v26, v11, v9, s6
	v_or_b32_e32 v9, v21, v24
	v_accvgpr_read_b32 v0, a8
	v_perm_b32 v27, v15, v13, s6
	v_lshlrev_b32_e32 v9, 1, v9
	v_accvgpr_read_b32 v1, a9
	v_accvgpr_read_b32 v2, a10
	;; [unrolled: 1-line block ×3, first 2 shown]
	ds_write_b64 v9, v[26:27] offset:24576
	v_mov_b32_e32 v11, 0
	v_mov_b32_e32 v9, 0
	s_and_saveexec_b64 s[6:7], vcc
	s_cbranch_execz .LBB27_76
; %bb.75:
	v_mov_b32_e32 v9, 0
	v_lshl_add_u64 v[24:25], v[6:7], 0, v[8:9]
	global_load_ushort v13, v[24:25], off offset:32
	v_lshl_add_u64 v[24:25], v[4:5], 0, v[8:9]
	s_waitcnt vmcnt(0)
	v_lshlrev_b32_e32 v9, 16, v13
	v_sub_f32_e32 v0, v9, v0
	global_store_short_d16_hi v[24:25], v0, off offset:32
	v_mul_f32_e32 v0, v18, v0
	v_lshrrev_b32_e32 v9, 16, v0
.LBB27_76:
	s_or_b64 exec, exec, s[6:7]
	s_and_saveexec_b64 s[6:7], s[2:3]
	s_cbranch_execz .LBB27_78
; %bb.77:
	v_mov_b32_e32 v11, 0
	v_lshl_add_u64 v[24:25], v[6:7], 0, v[10:11]
	global_load_ushort v0, v[24:25], off offset:32
	v_lshl_add_u64 v[24:25], v[4:5], 0, v[10:11]
	s_waitcnt vmcnt(0)
	v_lshlrev_b32_e32 v0, 16, v0
	v_sub_f32_e32 v0, v0, v1
	global_store_short_d16_hi v[24:25], v0, off offset:32
	v_mul_f32_e32 v0, v16, v0
	v_lshrrev_b32_e32 v11, 16, v0
.LBB27_78:
	s_or_b64 exec, exec, s[6:7]
	v_mov_b32_e32 v15, 0
	v_mov_b32_e32 v13, 0
	s_and_saveexec_b64 s[6:7], s[0:1]
	s_cbranch_execz .LBB27_80
; %bb.79:
	v_mov_b32_e32 v13, 0
	v_lshl_add_u64 v[0:1], v[6:7], 0, v[12:13]
	global_load_ushort v24, v[0:1], off offset:32
	v_lshl_add_u64 v[0:1], v[4:5], 0, v[12:13]
	s_waitcnt vmcnt(0)
	v_lshlrev_b32_e32 v13, 16, v24
	v_sub_f32_e32 v2, v13, v2
	global_store_short_d16_hi v[0:1], v2, off offset:32
	v_mul_f32_e32 v0, v20, v2
	v_lshrrev_b32_e32 v13, 16, v0
.LBB27_80:
	s_or_b64 exec, exec, s[6:7]
	s_and_saveexec_b64 s[6:7], s[4:5]
	s_cbranch_execz .LBB27_82
; %bb.81:
	v_mov_b32_e32 v15, 0
	v_lshl_add_u64 v[0:1], v[6:7], 0, v[14:15]
	global_load_ushort v2, v[0:1], off offset:32
	v_lshl_add_u64 v[0:1], v[4:5], 0, v[14:15]
	s_waitcnt vmcnt(0)
	v_lshlrev_b32_e32 v2, 16, v2
	v_sub_f32_e32 v2, v2, v3
	global_store_short_d16_hi v[0:1], v2, off offset:32
	v_mul_f32_e32 v0, v17, v2
	v_lshrrev_b32_e32 v15, 16, v0
.LBB27_82:
	s_or_b64 exec, exec, s[6:7]
	s_mov_b32 s6, 0x5040100
	v_perm_b32 v24, v11, v9, s6
	v_or_b32_e32 v9, v21, v23
	v_accvgpr_read_b32 v0, a4
	v_perm_b32 v25, v15, v13, s6
	v_lshlrev_b32_e32 v9, 1, v9
	v_accvgpr_read_b32 v1, a5
	v_accvgpr_read_b32 v2, a6
	;; [unrolled: 1-line block ×3, first 2 shown]
	ds_write_b64 v9, v[24:25] offset:24576
	v_mov_b32_e32 v11, 0
	v_mov_b32_e32 v9, 0
	s_and_saveexec_b64 s[6:7], vcc
	s_cbranch_execz .LBB27_84
; %bb.83:
	v_mov_b32_e32 v9, 0
	v_lshl_add_u64 v[24:25], v[6:7], 0, v[8:9]
	global_load_ushort v13, v[24:25], off offset:64
	v_lshl_add_u64 v[24:25], v[4:5], 0, v[8:9]
	s_waitcnt vmcnt(0)
	v_lshlrev_b32_e32 v9, 16, v13
	v_sub_f32_e32 v0, v9, v0
	global_store_short_d16_hi v[24:25], v0, off offset:64
	v_mul_f32_e32 v0, v18, v0
	v_lshrrev_b32_e32 v9, 16, v0
.LBB27_84:
	s_or_b64 exec, exec, s[6:7]
	s_and_saveexec_b64 s[6:7], s[2:3]
	s_cbranch_execz .LBB27_86
; %bb.85:
	v_mov_b32_e32 v11, 0
	v_lshl_add_u64 v[24:25], v[6:7], 0, v[10:11]
	global_load_ushort v0, v[24:25], off offset:64
	v_lshl_add_u64 v[24:25], v[4:5], 0, v[10:11]
	s_waitcnt vmcnt(0)
	v_lshlrev_b32_e32 v0, 16, v0
	v_sub_f32_e32 v0, v0, v1
	global_store_short_d16_hi v[24:25], v0, off offset:64
	v_mul_f32_e32 v0, v16, v0
	v_lshrrev_b32_e32 v11, 16, v0
.LBB27_86:
	s_or_b64 exec, exec, s[6:7]
	v_mov_b32_e32 v15, 0
	v_mov_b32_e32 v13, 0
	s_and_saveexec_b64 s[6:7], s[0:1]
	s_cbranch_execz .LBB27_88
; %bb.87:
	v_mov_b32_e32 v13, 0
	v_lshl_add_u64 v[0:1], v[6:7], 0, v[12:13]
	global_load_ushort v23, v[0:1], off offset:64
	v_lshl_add_u64 v[0:1], v[4:5], 0, v[12:13]
	s_waitcnt vmcnt(0)
	v_lshlrev_b32_e32 v13, 16, v23
	v_sub_f32_e32 v2, v13, v2
	global_store_short_d16_hi v[0:1], v2, off offset:64
	v_mul_f32_e32 v0, v20, v2
	v_lshrrev_b32_e32 v13, 16, v0
.LBB27_88:
	s_or_b64 exec, exec, s[6:7]
	s_and_saveexec_b64 s[6:7], s[4:5]
	s_cbranch_execz .LBB27_90
; %bb.89:
	v_mov_b32_e32 v15, 0
	v_lshl_add_u64 v[0:1], v[6:7], 0, v[14:15]
	global_load_ushort v2, v[0:1], off offset:64
	v_lshl_add_u64 v[0:1], v[4:5], 0, v[14:15]
	s_waitcnt vmcnt(0)
	v_lshlrev_b32_e32 v2, 16, v2
	v_sub_f32_e32 v2, v2, v3
	global_store_short_d16_hi v[0:1], v2, off offset:64
	v_mul_f32_e32 v0, v17, v2
	v_lshrrev_b32_e32 v15, 16, v0
.LBB27_90:
	s_or_b64 exec, exec, s[6:7]
	s_mov_b32 s6, 0x5040100
	v_perm_b32 v24, v11, v9, s6
	v_or_b32_e32 v9, v21, v22
	v_accvgpr_read_b32 v0, a0
	v_perm_b32 v25, v15, v13, s6
	v_lshlrev_b32_e32 v9, 1, v9
	v_accvgpr_read_b32 v1, a1
	v_accvgpr_read_b32 v2, a2
	;; [unrolled: 1-line block ×3, first 2 shown]
	ds_write_b64 v9, v[24:25] offset:24576
	v_mov_b32_e32 v11, 0
	v_mov_b32_e32 v9, 0
	s_and_saveexec_b64 s[6:7], vcc
	s_cbranch_execz .LBB27_92
; %bb.91:
	v_mov_b32_e32 v9, 0
	v_lshl_add_u64 v[22:23], v[6:7], 0, v[8:9]
	global_load_ushort v13, v[22:23], off offset:96
	v_lshl_add_u64 v[8:9], v[4:5], 0, v[8:9]
	s_waitcnt vmcnt(0)
	v_lshlrev_b32_e32 v13, 16, v13
	v_sub_f32_e32 v0, v13, v0
	global_store_short_d16_hi v[8:9], v0, off offset:96
	v_mul_f32_e32 v0, v18, v0
	v_lshrrev_b32_e32 v9, 16, v0
.LBB27_92:
	s_or_b64 exec, exec, s[6:7]
	s_and_saveexec_b64 s[6:7], s[2:3]
	s_cbranch_execz .LBB27_94
; %bb.93:
	v_mov_b32_e32 v11, 0
	v_lshl_add_u64 v[22:23], v[6:7], 0, v[10:11]
	global_load_ushort v0, v[22:23], off offset:96
	v_lshl_add_u64 v[10:11], v[4:5], 0, v[10:11]
	s_waitcnt vmcnt(0)
	v_lshlrev_b32_e32 v0, 16, v0
	v_sub_f32_e32 v0, v0, v1
	global_store_short_d16_hi v[10:11], v0, off offset:96
	v_mul_f32_e32 v0, v16, v0
	v_lshrrev_b32_e32 v11, 16, v0
.LBB27_94:
	s_or_b64 exec, exec, s[6:7]
	v_mov_b32_e32 v0, 0
	v_mov_b32_e32 v1, 0
	s_and_saveexec_b64 s[2:3], s[0:1]
	s_cbranch_execz .LBB27_96
; %bb.95:
	v_mov_b32_e32 v13, 0
	v_lshl_add_u64 v[22:23], v[6:7], 0, v[12:13]
	global_load_ushort v1, v[22:23], off offset:96
	v_lshl_add_u64 v[12:13], v[4:5], 0, v[12:13]
	s_waitcnt vmcnt(0)
	v_lshlrev_b32_e32 v1, 16, v1
	v_sub_f32_e32 v1, v1, v2
	global_store_short_d16_hi v[12:13], v1, off offset:96
	v_mul_f32_e32 v1, v20, v1
	v_lshrrev_b32_e32 v1, 16, v1
.LBB27_96:
	s_or_b64 exec, exec, s[2:3]
	s_and_saveexec_b64 s[0:1], s[4:5]
	s_cbranch_execz .LBB27_98
; %bb.97:
	v_mov_b32_e32 v15, 0
	v_lshl_add_u64 v[6:7], v[6:7], 0, v[14:15]
	global_load_ushort v0, v[6:7], off offset:96
	v_lshl_add_u64 v[4:5], v[4:5], 0, v[14:15]
	s_waitcnt vmcnt(0)
	v_lshlrev_b32_e32 v0, 16, v0
	v_sub_f32_e32 v0, v0, v3
	global_store_short_d16_hi v[4:5], v0, off offset:96
	v_mul_f32_e32 v0, v17, v0
	v_lshrrev_b32_e32 v0, 16, v0
.LBB27_98:
	s_or_b64 exec, exec, s[0:1]
	s_mov_b32 s0, 0x5040100
	v_or_b32_e32 v2, v21, v19
	v_perm_b32 v1, v0, v1, s0
	v_perm_b32 v0, v11, v9, s0
	v_lshlrev_b32_e32 v2, 1, v2
	ds_write_b64 v2, v[0:1] offset:24576
	s_waitcnt lgkmcnt(0)
	s_barrier
.LBB27_99:
	s_endpgm
	.section	.rodata,"a",@progbits
	.p2align	6, 0x0
	.amdhsa_kernel _ZN12_GLOBAL__N_139chunk_gated_delta_rule_fwd_h_hip_kernelILi64ELb1ELb0ELb1ELb0ELb1ELb1ELb0ELb1EEEvPK12hip_bfloat16S3_S3_PKfS5_PKvPS1_S8_PvPKiSB_iiiiilll
		.amdhsa_group_segment_fixed_size 65536
		.amdhsa_private_segment_fixed_size 0
		.amdhsa_kernarg_size 136
		.amdhsa_user_sgpr_count 2
		.amdhsa_user_sgpr_dispatch_ptr 0
		.amdhsa_user_sgpr_queue_ptr 0
		.amdhsa_user_sgpr_kernarg_segment_ptr 1
		.amdhsa_user_sgpr_dispatch_id 0
		.amdhsa_user_sgpr_kernarg_preload_length 0
		.amdhsa_user_sgpr_kernarg_preload_offset 0
		.amdhsa_user_sgpr_private_segment_size 0
		.amdhsa_uses_dynamic_stack 0
		.amdhsa_enable_private_segment 0
		.amdhsa_system_sgpr_workgroup_id_x 1
		.amdhsa_system_sgpr_workgroup_id_y 1
		.amdhsa_system_sgpr_workgroup_id_z 0
		.amdhsa_system_sgpr_workgroup_info 0
		.amdhsa_system_vgpr_workitem_id 0
		.amdhsa_next_free_vgpr 232
		.amdhsa_next_free_sgpr 71
		.amdhsa_accum_offset 192
		.amdhsa_reserve_vcc 1
		.amdhsa_float_round_mode_32 0
		.amdhsa_float_round_mode_16_64 0
		.amdhsa_float_denorm_mode_32 3
		.amdhsa_float_denorm_mode_16_64 3
		.amdhsa_dx10_clamp 1
		.amdhsa_ieee_mode 1
		.amdhsa_fp16_overflow 0
		.amdhsa_tg_split 0
		.amdhsa_exception_fp_ieee_invalid_op 0
		.amdhsa_exception_fp_denorm_src 0
		.amdhsa_exception_fp_ieee_div_zero 0
		.amdhsa_exception_fp_ieee_overflow 0
		.amdhsa_exception_fp_ieee_underflow 0
		.amdhsa_exception_fp_ieee_inexact 0
		.amdhsa_exception_int_div_zero 0
	.end_amdhsa_kernel
	.section	.text._ZN12_GLOBAL__N_139chunk_gated_delta_rule_fwd_h_hip_kernelILi64ELb1ELb0ELb1ELb0ELb1ELb1ELb0ELb1EEEvPK12hip_bfloat16S3_S3_PKfS5_PKvPS1_S8_PvPKiSB_iiiiilll,"axG",@progbits,_ZN12_GLOBAL__N_139chunk_gated_delta_rule_fwd_h_hip_kernelILi64ELb1ELb0ELb1ELb0ELb1ELb1ELb0ELb1EEEvPK12hip_bfloat16S3_S3_PKfS5_PKvPS1_S8_PvPKiSB_iiiiilll,comdat
.Lfunc_end27:
	.size	_ZN12_GLOBAL__N_139chunk_gated_delta_rule_fwd_h_hip_kernelILi64ELb1ELb0ELb1ELb0ELb1ELb1ELb0ELb1EEEvPK12hip_bfloat16S3_S3_PKfS5_PKvPS1_S8_PvPKiSB_iiiiilll, .Lfunc_end27-_ZN12_GLOBAL__N_139chunk_gated_delta_rule_fwd_h_hip_kernelILi64ELb1ELb0ELb1ELb0ELb1ELb1ELb0ELb1EEEvPK12hip_bfloat16S3_S3_PKfS5_PKvPS1_S8_PvPKiSB_iiiiilll
                                        ; -- End function
	.section	.AMDGPU.csdata,"",@progbits
; Kernel info:
; codeLenInByte = 11588
; NumSgprs: 77
; NumVgprs: 190
; NumAgprs: 40
; TotalNumVgprs: 232
; ScratchSize: 0
; MemoryBound: 0
; FloatMode: 240
; IeeeMode: 1
; LDSByteSize: 65536 bytes/workgroup (compile time only)
; SGPRBlocks: 9
; VGPRBlocks: 28
; NumSGPRsForWavesPerEU: 77
; NumVGPRsForWavesPerEU: 232
; AccumOffset: 192
; Occupancy: 1
; WaveLimiterHint : 1
; COMPUTE_PGM_RSRC2:SCRATCH_EN: 0
; COMPUTE_PGM_RSRC2:USER_SGPR: 2
; COMPUTE_PGM_RSRC2:TRAP_HANDLER: 0
; COMPUTE_PGM_RSRC2:TGID_X_EN: 1
; COMPUTE_PGM_RSRC2:TGID_Y_EN: 1
; COMPUTE_PGM_RSRC2:TGID_Z_EN: 0
; COMPUTE_PGM_RSRC2:TIDIG_COMP_CNT: 0
; COMPUTE_PGM_RSRC3_GFX90A:ACCUM_OFFSET: 47
; COMPUTE_PGM_RSRC3_GFX90A:TG_SPLIT: 0
	.section	.text._ZN12_GLOBAL__N_139chunk_gated_delta_rule_fwd_h_hip_kernelILi64ELb1ELb0ELb0ELb0ELb1ELb1ELb0ELb1EEEvPK12hip_bfloat16S3_S3_PKfS5_PKvPS1_S8_PvPKiSB_iiiiilll,"axG",@progbits,_ZN12_GLOBAL__N_139chunk_gated_delta_rule_fwd_h_hip_kernelILi64ELb1ELb0ELb0ELb0ELb1ELb1ELb0ELb1EEEvPK12hip_bfloat16S3_S3_PKfS5_PKvPS1_S8_PvPKiSB_iiiiilll,comdat
	.globl	_ZN12_GLOBAL__N_139chunk_gated_delta_rule_fwd_h_hip_kernelILi64ELb1ELb0ELb0ELb0ELb1ELb1ELb0ELb1EEEvPK12hip_bfloat16S3_S3_PKfS5_PKvPS1_S8_PvPKiSB_iiiiilll ; -- Begin function _ZN12_GLOBAL__N_139chunk_gated_delta_rule_fwd_h_hip_kernelILi64ELb1ELb0ELb0ELb0ELb1ELb1ELb0ELb1EEEvPK12hip_bfloat16S3_S3_PKfS5_PKvPS1_S8_PvPKiSB_iiiiilll
	.p2align	8
	.type	_ZN12_GLOBAL__N_139chunk_gated_delta_rule_fwd_h_hip_kernelILi64ELb1ELb0ELb0ELb0ELb1ELb1ELb0ELb1EEEvPK12hip_bfloat16S3_S3_PKfS5_PKvPS1_S8_PvPKiSB_iiiiilll,@function
_ZN12_GLOBAL__N_139chunk_gated_delta_rule_fwd_h_hip_kernelILi64ELb1ELb0ELb0ELb0ELb1ELb1ELb0ELb1EEEvPK12hip_bfloat16S3_S3_PKfS5_PKvPS1_S8_PvPKiSB_iiiiilll: ; @_ZN12_GLOBAL__N_139chunk_gated_delta_rule_fwd_h_hip_kernelILi64ELb1ELb0ELb0ELb0ELb1ELb1ELb0ELb1EEEvPK12hip_bfloat16S3_S3_PKfS5_PKvPS1_S8_PvPKiSB_iiiiilll
; %bb.0:
	s_load_dwordx4 s[12:15], s[0:1], 0x5c
	s_load_dwordx4 s[16:19], s[0:1], 0x28
	s_abs_i32 s6, s3
	s_ashr_i32 s5, s3, 31
	v_and_b32_e32 v88, 15, v0
	s_waitcnt lgkmcnt(0)
	s_abs_i32 s4, s13
	v_cvt_f32_u32_e32 v1, s4
	s_sub_i32 s8, 0, s4
	s_ashr_i32 s7, s13, 31
	s_xor_b32 s5, s5, s7
	v_rcp_iflag_f32_e32 v1, v1
	v_lshrrev_b32_e32 v86, 6, v0
	v_bfe_u32 v87, v0, 4, 2
	v_mov_b32_e32 v7, 0
	v_mul_f32_e32 v1, 0x4f7ffffe, v1
	v_cvt_u32_f32_e32 v1, v1
	v_and_b32_e32 v45, 63, v0
	v_lshlrev_b32_e32 v89, 3, v0
	v_lshrrev_b32_e32 v90, 3, v45
	v_readfirstlane_b32 s9, v1
	s_mul_i32 s8, s8, s9
	s_mul_hi_u32 s8, s9, s8
	s_add_i32 s9, s9, s8
	s_mul_hi_u32 s8, s6, s9
	s_mul_i32 s9, s8, s4
	s_sub_i32 s6, s6, s9
	s_add_i32 s10, s8, 1
	s_sub_i32 s9, s6, s4
	s_cmp_ge_u32 s6, s4
	s_cselect_b32 s8, s10, s8
	s_cselect_b32 s6, s9, s6
	s_add_i32 s9, s8, 1
	s_cmp_ge_u32 s6, s4
	s_cselect_b32 s6, s9, s8
	s_xor_b32 s6, s6, s5
	s_sub_i32 s51, s6, s5
	s_mul_i32 s6, s51, s13
	s_sub_i32 s48, s3, s6
	s_abs_i32 s3, s14
	v_cvt_f32_u32_e32 v1, s3
	s_add_i32 s8, s12, 63
	s_ashr_i32 s9, s8, 31
	s_lshr_b32 s5, s9, 26
	v_rcp_iflag_f32_e32 v1, v1
	s_ashr_i32 s50, s12, 31
	s_add_i32 s8, s8, s5
	s_lshr_b32 s5, s50, 26
	v_mul_f32_e32 v1, 0x4f7ffffe, v1
	v_cvt_u32_f32_e32 v1, v1
	s_add_i32 s5, s12, s5
	s_ashr_i32 s53, s14, 31
	s_ashr_i32 s52, s5, 6
	s_lshl_b32 s36, s2, 6
	s_xor_b32 s2, s7, s53
	s_sub_i32 s5, 0, s3
	v_readfirstlane_b32 s7, v1
	s_mul_i32 s5, s5, s7
	s_mul_hi_u32 s5, s7, s5
	s_add_i32 s7, s7, s5
	s_mul_hi_u32 s5, s4, s7
	s_mul_i32 s7, s5, s3
	s_sub_i32 s4, s4, s7
	s_ashr_i32 s25, s8, 6
	s_add_i32 s7, s5, 1
	s_sub_i32 s8, s4, s3
	s_cmp_ge_u32 s4, s3
	s_cselect_b32 s5, s7, s5
	s_cselect_b32 s4, s8, s4
	s_add_i32 s7, s5, 1
	s_cmp_ge_u32 s4, s3
	s_cselect_b32 s3, s7, s5
	s_xor_b32 s3, s3, s2
	s_sub_i32 s2, s3, s2
	s_abs_i32 s3, s2
	v_cvt_f32_u32_e32 v1, s3
	s_sub_i32 s5, 0, s3
	s_abs_i32 s4, s48
	s_xor_b32 s2, s48, s2
	v_rcp_iflag_f32_e32 v1, v1
	s_ashr_i32 s2, s2, 31
	v_or_b32_e32 v46, s36, v88
	v_lshlrev_b32_e32 v2, 7, v46
	v_mul_f32_e32 v1, 0x4f7ffffe, v1
	v_cvt_u32_f32_e32 v1, v1
	v_or_b32_e32 v10, 0x800, v2
	v_ashrrev_i32_e32 v3, 31, v2
	v_ashrrev_i32_e32 v11, 31, v10
	v_readfirstlane_b32 s7, v1
	s_mul_i32 s5, s5, s7
	s_mul_hi_u32 s5, s7, s5
	s_add_i32 s7, s7, s5
	s_mul_hi_u32 s5, s4, s7
	s_mul_i32 s7, s5, s3
	s_sub_i32 s4, s4, s7
	s_add_i32 s7, s5, 1
	s_sub_i32 s8, s4, s3
	s_cmp_ge_u32 s4, s3
	s_cselect_b32 s5, s7, s5
	s_cselect_b32 s4, s8, s4
	s_add_i32 s7, s5, 1
	s_cmp_ge_u32 s4, s3
	s_cselect_b32 s3, s7, s5
	s_xor_b32 s3, s3, s2
	s_sub_i32 s54, s3, s2
	s_ashr_i32 s24, s51, 31
	s_ashr_i32 s49, s48, 31
	s_mul_hi_i32 s2, s51, s13
	s_add_u32 s38, s6, s48
	s_addc_u32 s39, s2, s49
	s_lshl_b64 s[2:3], s[38:39], 15
	v_lshlrev_b32_e32 v1, 4, v86
	s_add_u32 s2, s16, s2
	v_lshl_or_b32 v91, v87, 2, v1
	s_addc_u32 s3, s17, s3
	v_lshl_add_u64 v[4:5], v[2:3], 1, s[2:3]
	v_lshlrev_b32_e32 v6, 1, v91
	v_lshl_add_u64 v[10:11], v[10:11], 1, s[2:3]
	v_lshl_add_u64 v[4:5], v[4:5], 0, v[6:7]
	;; [unrolled: 1-line block ×3, first 2 shown]
	global_load_dwordx2 v[8:9], v[4:5], off
	v_or_b32_e32 v92, 64, v91
	global_load_dwordx2 v[4:5], v[4:5], off offset:128
	s_nop 0
	global_load_dwordx2 v[12:13], v[10:11], off
	global_load_dwordx2 v[14:15], v[10:11], off offset:128
	v_or_b32_e32 v10, 0x1000, v2
	v_or_b32_e32 v2, 0x1800, v2
	v_ashrrev_i32_e32 v11, 31, v10
	v_ashrrev_i32_e32 v3, 31, v2
	v_lshl_add_u64 v[10:11], v[10:11], 1, s[2:3]
	v_lshl_add_u64 v[2:3], v[2:3], 1, s[2:3]
	;; [unrolled: 1-line block ×4, first 2 shown]
	global_load_dwordx2 v[16:17], v[10:11], off
	s_mul_i32 s55, s51, s25
	global_load_dwordx2 v[10:11], v[10:11], off offset:128
	s_nop 0
	global_load_dwordx2 v[6:7], v[2:3], off
	global_load_dwordx2 v[18:19], v[2:3], off offset:128
	s_load_dwordx8 s[4:11], s[0:1], 0x0
	s_load_dwordx2 s[28:29], s[0:1], 0x80
	s_load_dwordx4 s[20:23], s[0:1], 0x70
	s_cmp_lt_i32 s12, 64
	s_mul_i32 s56, s39, s12
	s_mul_hi_u32 s57, s38, s12
	s_mul_i32 s16, s38, s12
	s_waitcnt lgkmcnt(0)
	s_mul_i32 s33, s51, s21
	s_mul_hi_u32 s44, s51, s20
	s_mul_i32 s39, s24, s20
	s_mul_i32 s34, s51, s20
	;; [unrolled: 1-line block ×3, first 2 shown]
	s_mul_hi_u32 s46, s48, s22
	s_mul_i32 s47, s49, s22
	s_mul_i32 s30, s48, s22
	s_waitcnt vmcnt(7)
	v_and_b32_e32 v75, 0xffff0000, v8
	v_lshlrev_b32_e32 v74, 16, v8
	v_and_b32_e32 v79, 0xffff0000, v9
	v_lshlrev_b32_e32 v78, 16, v9
	s_waitcnt vmcnt(6)
	v_and_b32_e32 v73, 0xffff0000, v4
	v_lshlrev_b32_e32 v72, 16, v4
	v_and_b32_e32 v77, 0xffff0000, v5
	v_lshlrev_b32_e32 v76, 16, v5
	;; [unrolled: 5-line block ×8, first 2 shown]
	s_cbranch_scc1 .LBB28_18
; %bb.1:
	s_add_i32 s17, s57, s56
	s_lshl_b64 s[2:3], s[16:17], 8
	v_and_b32_e32 v94, 56, v89
	s_add_u32 s20, s6, s2
	v_lshl_or_b32 v93, v86, 3, v90
	v_lshlrev_b32_e32 v2, 1, v94
	s_addc_u32 s2, s7, s3
	v_lshl_or_b32 v95, v93, 8, v2
	s_and_b32 s21, s2, 0xffff
	s_mov_b32 s23, 0x20000
	s_movk_i32 s22, 0x4000
	s_movk_i32 s2, 0x80
	v_or_b32_e32 v96, 0x2000, v95
	buffer_load_dwordx4 v[4:7], v95, s[20:23], 0 offen
	buffer_load_dwordx4 v[8:11], v95, s[20:23], s2 offen
	;; [unrolled: 1-line block ×4, first 2 shown]
	v_lshlrev_b32_e32 v3, 3, v93
	v_and_or_b32 v21, v0, 7, v3
	v_and_b32_e32 v3, 0x78, v3
	v_lshlrev_b32_e32 v21, 4, v21
	v_xor_b32_e32 v97, v21, v3
	v_mul_lo_u32 v20, v93, s15
	v_or_b32_e32 v98, 0x1000, v97
	v_xor_b32_e32 v3, 8, v97
	s_cmpk_eq_i32 s15, 0x80
	s_mov_b32 s58, s14
	v_xor_b32_e32 v21, 8, v98
	s_cselect_b64 s[2:3], -1, 0
	s_cmpk_lg_i32 s15, 0x80
	s_waitcnt vmcnt(3)
	ds_write_b64 v97, v[4:5] offset:49152
	ds_write_b64 v3, v[6:7] offset:49152
	s_waitcnt vmcnt(2)
	ds_write_b64 v97, v[8:9] offset:57344
	ds_write_b64 v3, v[10:11] offset:57344
	;; [unrolled: 3-line block ×4, first 2 shown]
	v_lshl_add_u32 v3, v20, 1, v94
	s_cbranch_scc0 .LBB28_3
; %bb.2:
	v_lshlrev_b32_e32 v5, 1, v3
	v_add_lshl_u32 v4, v3, s15, 1
	s_lshl_b32 s22, s15, 7
	s_load_dwordx2 s[40:41], s[0:1], 0x20
	v_lshl_or_b32 v2, v93, 9, v2
	s_cbranch_execz .LBB28_4
	s_branch .LBB28_5
.LBB28_3:
                                        ; implicit-def: $vgpr4
                                        ; implicit-def: $vgpr5
                                        ; implicit-def: $sgpr22
	s_load_dwordx2 s[40:41], s[0:1], 0x20
	v_lshl_or_b32 v2, v93, 9, v2
.LBB28_4:
	v_or_b32_e32 v4, 0x100, v2
	s_movk_i32 s22, 0x4000
	v_mov_b32_e32 v5, v2
.LBB28_5:
	s_mul_hi_u32 s0, s14, s12
	s_mul_i32 s1, s53, s12
	s_add_i32 s0, s0, s1
	s_mul_i32 s1, s14, s12
	s_mul_i32 s20, s1, s24
	s_mul_hi_u32 s21, s1, s51
	s_add_i32 s20, s21, s20
	s_mul_i32 s0, s0, s51
	s_add_i32 s20, s20, s0
	s_mul_i32 s1, s1, s51
	s_ashr_i32 s59, s54, 31
	s_add_u32 s0, s1, s54
	s_addc_u32 s1, s20, s59
	s_lshl_b64 s[0:1], s[0:1], 8
	s_add_u32 s20, s4, s0
	s_addc_u32 s0, s5, s1
	s_and_b32 s21, s0, 0xffff
	s_movk_i32 s60, 0x80
	buffer_load_dwordx4 v[6:9], v5, s[20:23], 0 offen
	buffer_load_dwordx4 v[10:13], v5, s[20:23], s60 offen
	;; [unrolled: 1-line block ×4, first 2 shown]
	v_and_b32_e32 v5, 6, v0
	v_lshlrev_b32_e32 v4, 7, v91
	v_xor_b32_e32 v26, v93, v5
	v_and_b32_e32 v22, 1, v0
	v_lshl_or_b32 v29, v88, 3, v4
	v_lshlrev_b32_e32 v26, 2, v26
	v_or_b32_e32 v99, 0x4000, v29
	v_or_b32_e32 v100, 0x6000, v29
	v_xor_b32_e32 v29, 0x440, v26
	v_cmp_eq_u32_e32 vcc, 0, v22
	v_lshlrev_b32_e32 v23, 2, v88
	s_mov_b32 s63, 0x1000504
	v_cndmask_b32_e32 v22, v29, v26, vcc
	v_xor_b32_e32 v27, v91, v23
	v_xor_b32_e32 v28, v92, v23
	v_lshl_or_b32 v5, v5, 10, v22
	s_mov_b32 s64, 0x3020706
	v_lshlrev_b32_e32 v24, 8, v88
	v_or_b32_e32 v25, 16, v88
	v_lshlrev_b32_e32 v27, 1, v27
	v_lshlrev_b32_e32 v28, 1, v28
	v_xor_b32_e32 v22, 8, v5
	v_xor_b32_e32 v26, 24, v5
	;; [unrolled: 1-line block ×4, first 2 shown]
	s_mul_i32 s24, s24, s12
	s_mul_hi_u32 s0, s51, s12
	v_or_b32_e32 v102, v24, v27
	v_or_b32_e32 v103, v24, v28
	v_xor_b32_e32 v24, 16, v5
	v_xor_b32_e32 v29, 32, v5
	;; [unrolled: 1-line block ×3, first 2 shown]
	v_add_u32_e32 v22, 0x80, v22
	v_add_u32_e32 v26, 0x80, v26
	;; [unrolled: 1-line block ×4, first 2 shown]
	s_add_i32 s65, s0, s24
	s_add_i32 s0, s44, s33
	;; [unrolled: 1-line block ×5, first 2 shown]
	s_lshl_b64 s[0:1], s[34:35], 2
	s_add_u32 s20, s10, s0
	s_addc_u32 s21, s11, s1
	s_lshl_b64 s[0:1], s[30:31], 2
	s_add_u32 s42, s20, s0
	s_movk_i32 s0, 0xf8
	s_addc_u32 s43, s21, s1
	s_ashr_i32 s37, s36, 31
	s_lshl_b32 s26, s15, 7
	v_mov_b32_e32 v81, 0
	s_movk_i32 s20, 0x100
	v_lshlrev_b32_e32 v80, 4, v88
	s_mul_i32 s61, s51, s12
	v_lshl_or_b32 v30, v25, 3, v4
	v_ashrrev_i32_e32 v47, 31, v46
	s_mov_b32 s62, 0
	v_or_b32_e32 v101, 0x4000, v30
	s_movk_i32 s22, 0x4000
	v_or_b32_e32 v104, 0x6000, v30
	v_lshl_add_u64 v[82:83], v[46:47], 1, s[8:9]
	s_mov_b32 s35, 0x7060302
	s_movk_i32 s66, 0x3000
	s_mov_b32 s68, 0
	s_waitcnt vmcnt(1)
	v_perm_b32 v34, v6, v14, s63
	s_waitcnt vmcnt(0)
	v_perm_b32 v35, v10, v18, s63
	v_perm_b32 v6, v6, v14, s64
	;; [unrolled: 1-line block ×15, first 2 shown]
	ds_write2st64_b32 v5, v34, v35 offset0:128 offset1:160
	ds_write2st64_b32 v22, v6, v10 offset0:128 offset1:160
	;; [unrolled: 1-line block ×8, first 2 shown]
	v_lshlrev_b32_e32 v5, 8, v25
	v_or_b32_e32 v105, v5, v27
	v_or_b32_e32 v106, v5, v28
	;; [unrolled: 1-line block ×3, first 2 shown]
	v_lshl_or_b32 v6, v5, 3, v4
	v_lshlrev_b32_e32 v5, 8, v5
	v_or_b32_e32 v109, v5, v27
	v_or_b32_e32 v110, v5, v28
	;; [unrolled: 1-line block ×5, first 2 shown]
	v_lshl_or_b32 v6, v5, 3, v4
	v_lshlrev_b32_e32 v5, 8, v5
	v_or_b32_e32 v113, v5, v27
	v_or_b32_e32 v114, v5, v28
	;; [unrolled: 1-line block ×3, first 2 shown]
	v_lshlrev_b32_e32 v5, 3, v5
	v_lshrrev_b32_e32 v7, 5, v45
	v_and_or_b32 v7, v5, s0, v7
	v_lshlrev_b32_e32 v7, 4, v7
	v_or_b32_e32 v111, 0x4000, v6
	v_or_b32_e32 v112, 0x6000, v6
	v_lshrrev_b32_e32 v6, 2, v45
	v_lshlrev_b32_e32 v9, 11, v86
	v_and_b32_e32 v5, 0x78, v5
	v_or_b32_e32 v13, 32, v7
	v_and_b32_e32 v8, 12, v6
	v_and_b32_e32 v6, 0x1000, v9
	v_xor_b32_e32 v10, v7, v5
	v_lshrrev_b32_e32 v11, 1, v45
	v_xor_b32_e32 v13, v13, v5
	v_or_b32_e32 v10, v10, v6
	v_and_b32_e32 v11, 8, v11
	v_or_b32_e32 v13, v13, v6
	v_xor_b32_e32 v115, v10, v11
	v_lshlrev_b32_e32 v10, 8, v87
	v_xor_b32_e32 v117, v13, v11
	v_or_b32_e32 v13, 64, v7
	v_or_b32_e32 v7, 0x60, v7
	;; [unrolled: 1-line block ×3, first 2 shown]
	v_xor_b32_e32 v13, v13, v5
	v_xor_b32_e32 v5, v7, v5
	s_lshl_b64 s[0:1], s[36:37], 8
	v_lshlrev_b32_e32 v12, 1, v12
	v_or_b32_e32 v13, v13, v6
	v_or_b32_e32 v5, v5, v6
	s_add_u32 s0, s18, s0
	v_lshlrev_b32_e32 v6, 1, v88
	v_lshlrev_b32_e32 v15, 2, v0
	v_or_b32_e32 v116, 0x4000, v12
	v_or_b32_e32 v118, 0x4080, v12
	v_or_b32_e32 v119, 0x4100, v12
	v_or_b32_e32 v120, 0x4180, v12
	v_xor_b32_e32 v121, v13, v11
	v_xor_b32_e32 v122, v5, v11
	v_or_b32_e32 v123, 0x6000, v12
	v_or_b32_e32 v124, 0x6080, v12
	;; [unrolled: 1-line block ×4, first 2 shown]
	v_lshlrev_b32_e32 v5, 1, v3
	v_add_lshl_u32 v3, v3, s15, 1
	v_or_b32_e32 v11, 0x100, v2
	v_lshrrev_b32_e32 v12, 4, v0
	s_addc_u32 s1, s19, s1
	v_or_b32_e32 v7, 1, v6
	v_lshrrev_b32_e32 v16, 1, v0
	v_and_or_b32 v10, v15, 60, v10
	v_xor_b32_e32 v13, v12, v6
	v_xor_b32_e32 v14, v7, v12
	v_lshl_add_u64 v[6:7], s[0:1], 0, v[80:81]
	v_and_b32_e32 v16, 24, v16
	v_lshlrev_b32_e32 v10, 1, v10
	v_cndmask_b32_e64 v133, v5, v2, s[2:3]
	v_cndmask_b32_e64 v134, v3, v11, s[2:3]
	v_mov_b32_e32 v3, 0xa000
	v_mov_b32_e32 v5, 0x8000
	v_cmp_gt_u32_e64 s[0:1], s20, v0
	v_lshlrev_b32_e32 v80, 8, v12
	v_or_b32_e32 v129, 0x6000, v10
	v_or_b32_e32 v15, 32, v16
	;; [unrolled: 1-line block ×6, first 2 shown]
	v_cndmask_b32_e64 v3, v3, v5, s[0:1]
	v_lshlrev_b32_e32 v5, 3, v86
	v_lshl_or_b32 v127, v13, 3, v80
	v_and_b32_e32 v13, 8, v0
	v_xor_b32_e32 v11, v5, v16
	v_xor_b32_e32 v15, v5, v15
	;; [unrolled: 1-line block ×3, first 2 shown]
	v_mov_b32_e32 v17, 0x400
	v_cmp_eq_u32_e32 vcc, 0, v13
	v_or_b32_e32 v16, 0x440, v11
	v_or_b32_e32 v18, 0x440, v15
	v_xor_b32_e32 v10, 0x440, v5
	v_and_b32_e32 v12, 7, v0
	v_cndmask_b32_e64 v13, v17, 64, vcc
	v_cndmask_b32_e32 v16, v16, v11, vcc
	v_cndmask_b32_e32 v15, v18, v15, vcc
	;; [unrolled: 1-line block ×3, first 2 shown]
	v_lshl_or_b32 v128, v14, 3, v80
	v_lshlrev_b32_e32 v14, 3, v12
	v_or_b32_e32 v16, v16, v9
	v_or_b32_e32 v15, v15, v9
	v_or3_b32 v11, v9, v13, v11
	v_or_b32_e32 v5, v5, v9
	v_lshlrev_b32_e32 v12, 7, v12
	v_xor_b32_e32 v16, v16, v14
	v_xor_b32_e32 v15, v15, v14
	;; [unrolled: 1-line block ×4, first 2 shown]
	v_or_b32_e32 v2, v1, v8
	v_add_u32_e32 v17, v3, v16
	v_add_u32_e32 v18, v3, v15
	v_or_b32_e32 v135, v11, v12
	v_add_u32_e32 v9, v3, v5
	v_or3_b32 v8, v1, v8, 64
	v_add_u32_e32 v10, 0xa000, v16
	v_add_u32_e32 v11, 0xa000, v15
	;; [unrolled: 1-line block ×3, first 2 shown]
	v_lshl_add_u64 v[84:85], v[6:7], 0, v[80:81]
	s_add_i32 s31, s61, 63
	v_lshlrev_b32_e32 v80, 1, v4
	s_movk_i32 s37, 0x2000
	v_lshlrev_b32_e32 v47, 2, v2
	v_add_u32_e32 v136, v17, v12
	v_add_u32_e32 v137, v18, v12
	;; [unrolled: 1-line block ×4, first 2 shown]
	v_lshlrev_b32_e32 v140, 2, v8
	v_add_u32_e32 v141, v10, v12
	v_add_u32_e32 v142, v11, v12
	;; [unrolled: 1-line block ×3, first 2 shown]
	s_waitcnt lgkmcnt(0)
	s_barrier
.LBB28_6:                               ; =>This Inner Loop Header: Depth=1
	s_add_i32 s67, s68, 1
	s_cmp_lt_i32 s67, s52
	s_mov_b64 s[24:25], 0
	s_cselect_b64 s[2:3], -1, 0
	s_cmp_ge_i32 s67, s52
	s_mov_b64 s[20:21], 0
	s_cbranch_scc1 .LBB28_8
; %bb.7:                                ;   in Loop: Header=BB28_6 Depth=1
	s_add_i32 s0, s62, 64
	s_add_u32 s0, s16, s0
	s_addc_u32 s1, s17, 0
	s_lshl_b64 s[0:1], s[0:1], 8
	s_add_u32 s20, s6, s0
	s_addc_u32 s21, s7, s1
.LBB28_8:                               ;   in Loop: Header=BB28_6 Depth=1
	v_cndmask_b32_e64 v2, 0, 1, s[2:3]
	v_cmp_ne_u32_e64 s[0:1], 1, v2
	s_andn2_b64 vcc, exec, s[2:3]
	s_cbranch_vccnz .LBB28_10
; %bb.9:                                ;   in Loop: Header=BB28_6 Depth=1
	s_add_i32 s2, s62, 64
	s_add_u32 s2, s61, s2
	s_addc_u32 s3, s65, 0
	s_mul_i32 s24, s2, s53
	s_mul_hi_u32 s25, s2, s58
	s_add_i32 s24, s25, s24
	s_mul_i32 s3, s3, s58
	s_add_i32 s24, s24, s3
	s_mul_i32 s2, s2, s58
	s_add_u32 s2, s2, s54
	s_addc_u32 s3, s24, s59
	s_lshl_b64 s[2:3], s[2:3], 8
	s_add_u32 s24, s4, s2
	s_addc_u32 s25, s5, s3
.LBB28_10:                              ;   in Loop: Header=BB28_6 Depth=1
	v_perm_b32 v3, v79, v78, s35
	v_perm_b32 v2, v75, v74, s35
	v_perm_b32 v5, v77, v76, s35
	v_perm_b32 v4, v73, v72, s35
	ds_write_b64 v99, v[2:3]
	ds_write_b64 v100, v[4:5]
	ds_write_b64 v102, v[2:3]
	ds_write_b64 v103, v[4:5]
	v_perm_b32 v3, v71, v70, s35
	v_perm_b32 v2, v67, v66, s35
	v_perm_b32 v5, v69, v68, s35
	v_perm_b32 v4, v65, v64, s35
	ds_write_b64 v101, v[2:3]
	ds_write_b64 v104, v[4:5]
	ds_write_b64 v105, v[2:3]
	ds_write_b64 v106, v[4:5]
	;; [unrolled: 8-line block ×4, first 2 shown]
	s_waitcnt lgkmcnt(0)
	s_barrier
	ds_read_b64 v[6:7], v115 offset:49152
	ds_read2_b64 v[2:5], v116 offset1:16
	ds_read_b64 v[18:19], v118 offset:6144
	ds_read_b64 v[20:21], v116 offset:6144
	s_waitcnt lgkmcnt(2)
	v_mfma_f32_16x16x16_bf16 a[0:3], v[6:7], v[2:3], 0
	ds_read_b64 v[22:23], v117 offset:49152
	ds_read2st64_b64 v[10:13], v119 offset0:4 offset1:8
	ds_read2st64_b64 v[14:17], v120 offset0:4 offset1:8
	v_mfma_f32_16x16x16_bf16 a[4:7], v[6:7], v[4:5], 0
	ds_read2_b64 v[2:5], v116 offset0:32 offset1:48
	s_add_i32 s2, s62, 63
	s_mul_i32 s3, s2, s29
	s_waitcnt lgkmcnt(0)
	v_mfma_f32_16x16x16_bf16 a[8:11], v[6:7], v[2:3], 0
	s_mul_hi_u32 s27, s2, s28
	s_add_i32 s3, s27, s3
	s_mul_i32 s2, s2, s28
	v_mfma_f32_16x16x16_bf16 a[12:15], v[6:7], v[4:5], 0
	ds_read2st64_b64 v[2:5], v116 offset0:4 offset1:8
	ds_read2st64_b64 v[6:9], v118 offset0:4 offset1:8
	s_lshl_b64 s[2:3], s[2:3], 2
	s_waitcnt lgkmcnt(1)
	v_mfma_f32_16x16x16_bf16 a[0:3], v[22:23], v[2:3], a[0:3]
	s_add_u32 s2, s42, s2
	s_addc_u32 s3, s43, s3
	s_and_b64 vcc, exec, s[0:1]
	s_waitcnt lgkmcnt(0)
	v_mfma_f32_16x16x16_bf16 a[4:7], v[22:23], v[6:7], a[4:7]
	v_mov_b32_e32 v146, 0
	v_mov_b32_e32 v145, 0
	;; [unrolled: 1-line block ×3, first 2 shown]
	v_mfma_f32_16x16x16_bf16 a[8:11], v[22:23], v[10:11], a[8:11]
	ds_read_b64 v[2:3], v121 offset:49152
	ds_read_b64 v[6:7], v122 offset:49152
	;; [unrolled: 1-line block ×3, first 2 shown]
	v_mfma_f32_16x16x16_bf16 a[12:15], v[22:23], v[14:15], a[12:15]
	v_mov_b32_e32 v14, 0
	v_mov_b32_e32 v15, 0
	s_waitcnt lgkmcnt(2)
	v_mfma_f32_16x16x16_bf16 a[0:3], v[2:3], v[4:5], a[0:3]
	v_mov_b32_e32 v4, 0
	v_mov_b32_e32 v5, 0
	v_mfma_f32_16x16x16_bf16 a[16:19], v[2:3], v[8:9], a[4:7]
	v_mov_b32_e32 v8, 0
	v_mov_b32_e32 v9, 0
	;; [unrolled: 3-line block ×3, first 2 shown]
	v_mfma_f32_16x16x16_bf16 a[24:27], v[2:3], v[16:17], a[12:15]
	ds_read_b64 v[2:3], v119 offset:6144
	v_mov_b32_e32 v16, 0
	v_mov_b32_e32 v17, 0
	s_waitcnt lgkmcnt(2)
	v_mfma_f32_16x16x16_bf16 a[4:7], v[6:7], v[20:21], a[0:3]
	v_mfma_f32_16x16x16_bf16 a[8:11], v[6:7], v[18:19], a[16:19]
	s_waitcnt lgkmcnt(0)
	v_mfma_f32_16x16x16_bf16 a[12:15], v[6:7], v[2:3], a[20:23]
	v_mov_b32_e32 v2, 0
	v_mov_b32_e32 v3, 0
	v_mfma_f32_16x16x16_bf16 a[0:3], v[6:7], v[10:11], a[24:27]
	v_mov_b32_e32 v6, 0
	v_mov_b32_e32 v7, 0
	;; [unrolled: 1-line block ×4, first 2 shown]
	s_cbranch_vccnz .LBB28_12
; %bb.11:                               ;   in Loop: Header=BB28_6 Depth=1
	s_and_b32 s21, s21, 0xffff
	buffer_load_dwordx4 v[14:17], v95, s[20:23], 0 offen
	buffer_load_dwordx4 v[10:13], v95, s[20:23], s60 offen
	;; [unrolled: 1-line block ×4, first 2 shown]
	v_mov_b32_e32 v145, v97
	v_mov_b32_e32 v144, v98
.LBB28_12:                              ;   in Loop: Header=BB28_6 Depth=1
	ds_read_b64 v[34:35], v115 offset:57344
	ds_read2_b64 v[18:21], v123 offset1:16
	ds_read_b64 v[36:37], v117 offset:57344
	ds_read_b64 v[38:39], v121 offset:57344
	;; [unrolled: 1-line block ×3, first 2 shown]
	v_add_u32_e32 v42, s62, v91
	s_waitcnt lgkmcnt(3)
	v_mfma_f32_16x16x16_bf16 a[4:7], v[34:35], v[18:19], a[4:7]
	v_mfma_f32_16x16x16_bf16 a[8:11], v[34:35], v[20:21], a[8:11]
	ds_read2_b64 v[18:21], v123 offset0:32 offset1:48
	ds_read2st64_b64 v[22:25], v123 offset0:4 offset1:8
	ds_read2st64_b64 v[26:29], v124 offset0:4 offset1:8
	;; [unrolled: 1-line block ×3, first 2 shown]
	s_waitcnt lgkmcnt(3)
	v_mfma_f32_16x16x16_bf16 a[12:15], v[34:35], v[18:19], a[12:15]
	v_ashrrev_i32_e32 v18, 31, v42
	v_mfma_f32_16x16x16_bf16 a[0:3], v[34:35], v[20:21], a[0:3]
	v_mul_lo_u32 v20, v18, s28
	v_mul_lo_u32 v21, v42, s29
	v_mad_u64_u32 v[18:19], s[20:21], v42, s28, 0
	v_add3_u32 v19, v19, v21, v20
	v_add_u32_e32 v20, 1, v42
	v_ashrrev_i32_e32 v21, 31, v20
	s_waitcnt lgkmcnt(2)
	v_mfma_f32_16x16x16_bf16 a[4:7], v[36:37], v[22:23], a[4:7]
	v_mul_lo_u32 v22, v21, s28
	v_mul_lo_u32 v23, v20, s29
	v_mad_u64_u32 v[20:21], s[20:21], v20, s28, 0
	v_add3_u32 v21, v21, v23, v22
	v_add_u32_e32 v22, 2, v42
	v_ashrrev_i32_e32 v23, 31, v22
	s_waitcnt lgkmcnt(1)
	v_mfma_f32_16x16x16_bf16 a[8:11], v[36:37], v[26:27], a[8:11]
	v_mul_lo_u32 v26, v23, s28
	v_mul_lo_u32 v27, v22, s29
	v_mad_u64_u32 v[22:23], s[20:21], v22, s28, 0
	v_add3_u32 v23, v23, v27, v26
	v_add_u32_e32 v26, 3, v42
	v_ashrrev_i32_e32 v27, 31, v26
	v_mul_lo_u32 v34, v27, s28
	v_mul_lo_u32 v35, v26, s29
	v_mad_u64_u32 v[26:27], s[20:21], v26, s28, 0
	s_add_u32 s20, s16, s62
	s_addc_u32 s21, s17, 0
	v_lshl_add_u64 v[18:19], v[18:19], 2, s[42:43]
	v_add3_u32 v27, v27, v35, v34
	s_lshl_b64 s[20:21], s[20:21], 8
	v_lshl_add_u64 v[20:21], v[20:21], 2, s[42:43]
	v_lshl_add_u64 v[22:23], v[22:23], 2, s[42:43]
	;; [unrolled: 1-line block ×3, first 2 shown]
	global_load_dword v34, v[18:19], off
	global_load_dword v35, v[20:21], off
	;; [unrolled: 1-line block ×4, first 2 shown]
	v_lshl_add_u64 v[18:19], v[82:83], 0, s[20:21]
	v_lshl_add_u64 v[22:23], v[18:19], 0, v[80:81]
	global_load_ushort v44, v[22:23], off offset:256
	global_load_ushort v147, v[22:23], off
	ds_read2st64_b64 v[18:21], v126 offset0:4 offset1:8
	global_load_ushort v148, v[22:23], off offset:768
	global_load_ushort v149, v[22:23], off offset:512
	s_waitcnt lgkmcnt(1)
	v_mfma_f32_16x16x16_bf16 a[12:15], v[36:37], v[30:31], a[12:15]
	s_and_b64 vcc, exec, s[0:1]
	s_waitcnt vmcnt(3)
	v_lshlrev_b32_e32 v31, 16, v44
	s_waitcnt lgkmcnt(0)
	v_mfma_f32_16x16x16_bf16 a[0:3], v[36:37], v[18:19], a[0:3]
	global_load_ushort v36, v[22:23], off offset:288
	global_load_ushort v37, v[22:23], off offset:32
	;; [unrolled: 1-line block ×8, first 2 shown]
	v_mfma_f32_16x16x16_bf16 a[4:7], v[38:39], v[24:25], a[4:7]
	ds_read_b64 v[18:19], v123 offset:6144
	s_waitcnt vmcnt(10)
	v_lshlrev_b32_e32 v30, 16, v147
	v_mov_b32_e32 v147, 0
	v_mfma_f32_16x16x16_bf16 a[8:11], v[38:39], v[28:29], a[8:11]
	v_mfma_f32_16x16x16_bf16 a[12:15], v[38:39], v[32:33], a[12:15]
	v_mfma_f32_16x16x16_bf16 a[0:3], v[38:39], v[20:21], a[0:3]
	global_load_ushort v38, v[22:23], off offset:352
	global_load_ushort v39, v[22:23], off offset:96
	ds_read_b64 v[20:21], v124 offset:6144
	ds_read_b64 v[24:25], v125 offset:6144
	;; [unrolled: 1-line block ×3, first 2 shown]
	global_load_ushort v156, v[22:23], off offset:864
	global_load_ushort v157, v[22:23], off offset:608
	s_load_dword s2, s[2:3], 0x0
	s_waitcnt lgkmcnt(0)
	v_mfma_f32_16x16x16_bf16 a[4:7], v[40:41], v[18:19], a[4:7]
	v_sub_f32_e32 v28, s2, v42
	v_mfma_f32_16x16x16_bf16 a[0:3], v[40:41], v[26:27], a[0:3]
	v_sub_f32_e32 v26, s2, v34
	v_sub_f32_e32 v27, s2, v35
	;; [unrolled: 1-line block ×3, first 2 shown]
	v_mfma_f32_16x16x16_bf16 a[8:11], v[40:41], v[20:21], a[8:11]
	v_exp_f32_e32 v26, v26
	v_exp_f32_e32 v27, v27
	;; [unrolled: 1-line block ×4, first 2 shown]
	v_accvgpr_read_b32 v33, a5
	v_accvgpr_read_b32 v32, a4
	;; [unrolled: 1-line block ×4, first 2 shown]
	v_pk_add_f32 v[30:31], v[30:31], v[32:33] neg_lo:[0,1] neg_hi:[0,1]
	s_waitcnt vmcnt(13)
	v_lshlrev_b32_e32 v33, 16, v148
	s_waitcnt vmcnt(12)
	v_lshlrev_b32_e32 v32, 16, v149
	v_pk_add_f32 v[18:19], v[32:33], v[18:19] neg_lo:[0,1] neg_hi:[0,1]
	v_pk_mul_f32 v[30:31], v[26:27], v[30:31]
	v_pk_mul_f32 v[18:19], v[28:29], v[18:19]
	v_accvgpr_read_b32 v33, a9
	v_perm_b32 v19, v19, v18, s35
	v_perm_b32 v18, v31, v30, s35
	v_accvgpr_read_b32 v32, a8
	v_accvgpr_read_b32 v21, a11
	v_mfma_f32_16x16x16_bf16 a[12:15], v[40:41], v[24:25], a[12:15]
	v_accvgpr_read_b32 v20, a10
	v_accvgpr_read_b32 v25, a3
	;; [unrolled: 1-line block ×3, first 2 shown]
	s_waitcnt vmcnt(11)
	v_lshlrev_b32_e32 v31, 16, v36
	s_waitcnt vmcnt(10)
	v_lshlrev_b32_e32 v30, 16, v37
	v_pk_add_f32 v[30:31], v[30:31], v[32:33] neg_lo:[0,1] neg_hi:[0,1]
	s_waitcnt vmcnt(9)
	v_lshlrev_b32_e32 v33, 16, v150
	s_waitcnt vmcnt(8)
	v_lshlrev_b32_e32 v32, 16, v151
	v_pk_add_f32 v[20:21], v[32:33], v[20:21] neg_lo:[0,1] neg_hi:[0,1]
	v_pk_mul_f32 v[30:31], v[26:27], v[30:31]
	v_pk_mul_f32 v[20:21], v[28:29], v[20:21]
	v_accvgpr_read_b32 v23, a15
	v_perm_b32 v21, v21, v20, s35
	v_perm_b32 v20, v31, v30, s35
	ds_write2_b64 v100, v[18:19], v[20:21] offset1:16
	v_accvgpr_read_b32 v21, a13
	s_waitcnt vmcnt(7)
	v_lshlrev_b32_e32 v19, 16, v152
	s_waitcnt vmcnt(6)
	v_lshlrev_b32_e32 v18, 16, v153
	v_accvgpr_read_b32 v20, a12
	v_accvgpr_read_b32 v22, a14
	v_pk_add_f32 v[18:19], v[18:19], v[20:21] neg_lo:[0,1] neg_hi:[0,1]
	s_waitcnt vmcnt(5)
	v_lshlrev_b32_e32 v21, 16, v154
	s_waitcnt vmcnt(4)
	v_lshlrev_b32_e32 v20, 16, v155
	v_pk_add_f32 v[20:21], v[20:21], v[22:23] neg_lo:[0,1] neg_hi:[0,1]
	v_pk_mul_f32 v[18:19], v[26:27], v[18:19]
	v_pk_mul_f32 v[20:21], v[28:29], v[20:21]
	v_accvgpr_read_b32 v23, a1
	v_perm_b32 v21, v21, v20, s35
	v_perm_b32 v20, v19, v18, s35
	s_waitcnt vmcnt(3)
	v_lshlrev_b32_e32 v19, 16, v38
	s_waitcnt vmcnt(2)
	v_lshlrev_b32_e32 v18, 16, v39
	v_accvgpr_read_b32 v22, a0
	v_pk_add_f32 v[18:19], v[18:19], v[22:23] neg_lo:[0,1] neg_hi:[0,1]
	s_waitcnt vmcnt(1)
	v_lshlrev_b32_e32 v23, 16, v156
	s_waitcnt vmcnt(0)
	v_lshlrev_b32_e32 v22, 16, v157
	v_pk_add_f32 v[22:23], v[22:23], v[24:25] neg_lo:[0,1] neg_hi:[0,1]
	v_pk_mul_f32 v[18:19], v[26:27], v[18:19]
	v_pk_mul_f32 v[22:23], v[28:29], v[22:23]
	v_mov_b32_e32 v24, 0
	v_perm_b32 v23, v23, v22, s35
	v_perm_b32 v22, v19, v18, s35
	ds_write2_b64 v100, v[20:21], v[22:23] offset0:32 offset1:48
	v_mov_b32_e32 v18, 0
	v_mov_b32_e32 v19, 0
	v_mov_b32_e32 v20, 0
	v_mov_b32_e32 v21, 0
	v_mov_b32_e32 v22, 0
	v_mov_b32_e32 v23, 0
	v_mov_b32_e32 v25, 0
	v_mov_b32_e32 v26, 0
	v_mov_b32_e32 v27, 0
	v_mov_b32_e32 v28, 0
	v_mov_b32_e32 v29, 0
	v_mov_b32_e32 v30, 0
	v_mov_b32_e32 v31, 0
	v_mov_b32_e32 v32, 0
	v_mov_b32_e32 v33, 0
	s_cbranch_vccnz .LBB28_14
; %bb.13:                               ;   in Loop: Header=BB28_6 Depth=1
	s_and_b32 s25, s25, 0xffff
	s_mov_b32 s27, s23
	buffer_load_dwordx4 v[30:33], v133, s[24:27], 0 offen
	buffer_load_dwordx4 v[22:25], v133, s[24:27], s60 offen
	;; [unrolled: 1-line block ×4, first 2 shown]
	v_mov_b32_e32 v146, v94
	v_mov_b32_e32 v147, v93
.LBB28_14:                              ;   in Loop: Header=BB28_6 Depth=1
	s_waitcnt lgkmcnt(0)
	s_barrier
	ds_read_b64 v[42:43], v136
	ds_read2_b64 v[34:37], v129 offset1:16
	ds_read_b64 v[164:165], v137
	ds_read_b64 v[166:167], v138
	;; [unrolled: 1-line block ×3, first 2 shown]
	ds_read2_b64 v[38:41], v129 offset0:32 offset1:48
	ds_read2st64_b64 v[148:151], v129 offset0:4 offset1:8
	ds_read2st64_b64 v[152:155], v130 offset0:4 offset1:8
	;; [unrolled: 1-line block ×4, first 2 shown]
	s_waitcnt lgkmcnt(8)
	v_mfma_f32_16x16x16_bf16 a[0:3], v[42:43], v[34:35], 0
	s_add_i32 s3, s55, s68
	s_mul_hi_i32 s21, s3, s13
	s_mul_i32 s3, s3, s13
	v_mfma_f32_16x16x16_bf16 a[4:7], v[42:43], v[36:37], 0
	s_add_u32 s20, s3, s48
	s_addc_u32 s21, s21, s49
	s_add_i32 s3, s31, s62
	s_waitcnt lgkmcnt(4)
	v_mfma_f32_16x16x16_bf16 a[8:11], v[42:43], v[38:39], 0
	s_lshl_b64 s[20:21], s[20:21], 15
	s_mul_hi_i32 s25, s3, s13
	s_mul_i32 s3, s3, s13
	v_mfma_f32_16x16x16_bf16 a[12:15], v[42:43], v[40:41], 0
	ds_read_b64 v[42:43], v129 offset:6144
	ds_read_b64 v[176:177], v130 offset:6144
	;; [unrolled: 1-line block ×4, first 2 shown]
	s_add_u32 s24, s3, s48
	s_waitcnt lgkmcnt(7)
	v_mfma_f32_16x16x16_bf16 a[0:3], v[164:165], v[148:149], a[0:3]
	s_addc_u32 s25, s25, s49
	s_lshl_b64 s[24:25], s[24:25], 9
	s_add_u32 s24, s40, s24
	s_waitcnt lgkmcnt(6)
	v_mfma_f32_16x16x16_bf16 a[4:7], v[164:165], v[152:153], a[4:7]
	s_addc_u32 s25, s41, s25
	v_lshl_add_u64 v[186:187], v[84:85], 0, s[20:21]
	s_waitcnt lgkmcnt(5)
	v_mfma_f32_16x16x16_bf16 a[8:11], v[164:165], v[156:157], a[8:11]
	s_waitcnt lgkmcnt(4)
	v_mfma_f32_16x16x16_bf16 a[12:15], v[164:165], v[160:161], a[12:15]
	ds_read_b64 v[164:165], v141
	ds_read_b64 v[174:175], v142
	;; [unrolled: 1-line block ×3, first 2 shown]
	s_waitcnt lgkmcnt(2)
	v_mfma_f32_16x16x16_bf16 a[16:19], v[164:165], v[34:35], 0
	v_mfma_f32_16x16x16_bf16 a[20:23], v[164:165], v[36:37], 0
	global_load_dwordx4 v[34:37], v140, s[24:25]
	v_mfma_f32_16x16x16_bf16 a[24:27], v[164:165], v[38:39], 0
	v_mfma_f32_16x16x16_bf16 a[28:31], v[164:165], v[40:41], 0
	global_load_dwordx4 v[38:41], v47, s[24:25]
	v_mfma_f32_16x16x16_bf16 a[0:3], v[166:167], v[150:151], a[0:3]
	v_mfma_f32_16x16x16_bf16 a[4:7], v[166:167], v[154:155], a[4:7]
	;; [unrolled: 1-line block ×8, first 2 shown]
	ds_read2st64_b64 v[164:167], v127 offset1:8
	ds_read2st64_b64 v[168:171], v128 offset1:8
	ds_read_b64 v[184:185], v135 offset:40960
	s_waitcnt lgkmcnt(2)
	v_mov_b32_e32 v172, v164
	v_mfma_f32_16x16x16_bf16 a[16:19], v[174:175], v[148:149], a[16:19]
	v_mov_b32_e32 v173, v165
	v_mfma_f32_16x16x16_bf16 a[20:23], v[174:175], v[152:153], a[20:23]
	v_mfma_f32_16x16x16_bf16 a[24:27], v[174:175], v[156:157], a[24:27]
	;; [unrolled: 1-line block ×3, first 2 shown]
	v_add_co_u32_e32 v160, vcc, s37, v186
	s_waitcnt lgkmcnt(1)
	v_mov_b32_e32 v174, v168
	s_waitcnt lgkmcnt(0)
	v_mfma_f32_16x16x16_bf16 a[16:19], v[184:185], v[150:151], a[16:19]
	ds_read2st64_b64 v[148:151], v127 offset0:16 offset1:24
	v_addc_co_u32_e32 v161, vcc, 0, v187, vcc
	v_mfma_f32_16x16x16_bf16 a[20:23], v[184:185], v[154:155], a[20:23]
	ds_read2st64_b64 v[152:155], v128 offset0:16 offset1:24
	v_mov_b32_e32 v175, v169
	v_mov_b32_e32 v168, v166
	v_mfma_f32_16x16x16_bf16 a[32:35], v[184:185], v[158:159], a[24:27]
	v_mov_b32_e32 v169, v167
	s_waitcnt lgkmcnt(0)
	v_mov_b32_e32 v158, v152
	v_mov_b32_e32 v159, v153
	v_mfma_f32_16x16x16_bf16 a[36:39], v[184:185], v[162:163], a[28:31]
	v_mov_b32_e32 v152, v150
	v_mov_b32_e32 v153, v151
	;; [unrolled: 1-line block ×3, first 2 shown]
	v_mfma_f32_16x16x16_bf16 a[24:27], v[182:183], v[42:43], a[16:19]
	v_add_co_u32_e32 v42, vcc, s66, v186
	v_mov_b32_e32 v157, v149
	v_mfma_f32_16x16x16_bf16 a[28:31], v[182:183], v[176:177], a[20:23]
	v_addc_co_u32_e32 v43, vcc, 0, v187, vcc
	global_store_dwordx4 v[42:43], v[152:155], off
	v_mfma_f32_16x16x16_bf16 a[16:19], v[182:183], v[178:179], a[32:35]
	s_waitcnt vmcnt(2)
	v_mov_b32_e32 v44, v37
	v_mov_b32_e32 v43, v36
	;; [unrolled: 1-line block ×3, first 2 shown]
	v_mfma_f32_16x16x16_bf16 a[20:23], v[182:183], v[180:181], a[36:39]
	s_and_b64 vcc, exec, s[0:1]
	global_store_dwordx4 v[186:187], v[172:175], off
	global_store_dwordx4 v[160:161], v[168:171], off offset:-4096
	global_store_dwordx4 v[160:161], v[156:159], off
	s_cbranch_vccnz .LBB28_16
; %bb.15:                               ;   in Loop: Header=BB28_6 Depth=1
	v_lshrrev_b32_e32 v35, 3, v146
	v_and_b32_e32 v35, 6, v35
	v_xor_b32_e32 v36, v35, v147
	v_lshlrev_b32_e32 v36, 2, v36
	v_and_b32_e32 v37, 8, v146
	v_xor_b32_e32 v146, 0x440, v36
	v_cmp_eq_u32_e32 vcc, 0, v37
	v_perm_b32 v37, v22, v18, s63
	s_nop 0
	v_cndmask_b32_e32 v36, v146, v36, vcc
	v_lshl_or_b32 v35, v35, 10, v36
	v_perm_b32 v36, v30, v26, s63
	s_barrier
	ds_write2st64_b32 v35, v36, v37 offset0:128 offset1:160
	v_xor_b32_e32 v36, 8, v35
	v_perm_b32 v26, v30, v26, s64
	v_perm_b32 v18, v22, v18, s64
	v_add_u32_e32 v22, 0x80, v36
	ds_write2st64_b32 v22, v26, v18 offset0:128 offset1:160
	v_xor_b32_e32 v18, 16, v35
	v_perm_b32 v22, v31, v27, s63
	v_perm_b32 v26, v23, v19, s63
	ds_write2st64_b32 v18, v22, v26 offset0:129 offset1:161
	v_xor_b32_e32 v18, 24, v35
	v_perm_b32 v22, v31, v27, s64
	v_perm_b32 v19, v23, v19, s64
	v_add_u32_e32 v18, 0x80, v18
	ds_write2st64_b32 v18, v22, v19 offset0:129 offset1:161
	v_xor_b32_e32 v18, 32, v35
	v_perm_b32 v19, v32, v28, s63
	v_perm_b32 v22, v24, v20, s63
	;; [unrolled: 9-line block ×3, first 2 shown]
	ds_write2st64_b32 v18, v19, v20 offset0:131 offset1:163
	v_xor_b32_e32 v18, 56, v35
	v_perm_b32 v19, v33, v29, s64
	v_perm_b32 v20, v25, v21, s64
	v_add_u32_e32 v18, 0x80, v18
	ds_write2st64_b32 v18, v19, v20 offset0:131 offset1:163
	ds_write_b64 v145, v[14:15] offset:49152
	v_xor_b32_e32 v14, 8, v145
	ds_write_b64 v14, v[16:17] offset:49152
	ds_write_b64 v145, v[10:11] offset:57344
	;; [unrolled: 1-line block ×4, first 2 shown]
	v_xor_b32_e32 v6, 8, v144
	ds_write_b64 v6, v[8:9] offset:49152
	ds_write_b64 v144, v[2:3] offset:57344
	;; [unrolled: 1-line block ×3, first 2 shown]
.LBB28_16:                              ;   in Loop: Header=BB28_6 Depth=1
	v_exp_f32_e32 v36, s2
	s_waitcnt vmcnt(4)
	v_exp_f32_e32 v38, v38
	v_exp_f32_e32 v39, v39
	;; [unrolled: 1-line block ×4, first 2 shown]
	v_accvgpr_read_b32 v5, a3
	v_accvgpr_read_b32 v4, a2
	;; [unrolled: 1-line block ×4, first 2 shown]
	v_pk_mul_f32 v[38:39], v[36:37], v[38:39] op_sel_hi:[0,1]
	v_pk_mul_f32 v[40:41], v[36:37], v[40:41] op_sel_hi:[0,1]
	v_pk_fma_f32 v[74:75], v[74:75], v[38:39], v[2:3]
	v_pk_fma_f32 v[78:79], v[78:79], v[40:41], v[4:5]
	v_exp_f32_e32 v2, v34
	v_exp_f32_e32 v3, v42
	;; [unrolled: 1-line block ×4, first 2 shown]
	v_accvgpr_read_b32 v9, a7
	v_accvgpr_read_b32 v13, a11
	;; [unrolled: 1-line block ×28, first 2 shown]
	v_pk_mul_f32 v[2:3], v[36:37], v[2:3] op_sel_hi:[0,1]
	v_pk_mul_f32 v[4:5], v[36:37], v[4:5] op_sel_hi:[0,1]
	s_add_i32 s62, s62, 64
	v_pk_fma_f32 v[66:67], v[38:39], v[66:67], v[6:7]
	v_pk_fma_f32 v[70:71], v[40:41], v[70:71], v[8:9]
	;; [unrolled: 1-line block ×13, first 2 shown]
	s_cmp_eq_u32 s52, s67
	v_pk_fma_f32 v[52:53], v[4:5], v[52:53], v[32:33]
	s_cbranch_scc1 .LBB28_18
; %bb.17:                               ;   in Loop: Header=BB28_6 Depth=1
	s_mov_b32 s68, s67
	s_branch .LBB28_6
.LBB28_18:
	s_lshl_b32 s26, s52, 6
	s_sub_i32 s27, s12, s26
	s_cmp_gt_i32 s27, 0
	s_cbranch_scc0 .LBB28_99
; %bb.19:
	s_ashr_i32 s2, s26, 31
	s_cmpk_lg_i32 s15, 0x80
	s_cselect_b64 s[22:23], -1, 0
	s_and_b64 vcc, exec, s[22:23]
	s_cbranch_vccz .LBB28_21
; %bb.20:
	s_mul_i32 s1, s51, s12
	s_mul_hi_i32 s0, s51, s12
	s_add_u32 s1, s1, s26
	s_addc_u32 s0, s0, s2
	s_mul_i32 s3, s1, s53
	s_mul_hi_u32 s17, s1, s14
	s_add_i32 s3, s17, s3
	s_mul_i32 s0, s0, s14
	s_add_i32 s3, s3, s0
	s_mul_i32 s1, s1, s14
	s_ashr_i32 s0, s54, 31
	s_add_u32 s24, s1, s54
	s_addc_u32 s25, s3, s0
	s_cbranch_execz .LBB28_22
	s_branch .LBB28_23
.LBB28_21:
                                        ; implicit-def: $sgpr24_sgpr25
.LBB28_22:
	s_mul_hi_i32 s0, s51, s14
	s_mul_i32 s51, s51, s14
	s_ashr_i32 s1, s54, 31
	s_add_u32 s3, s51, s54
	s_addc_u32 s0, s0, s1
	s_mul_i32 s1, s3, s50
	s_mul_hi_u32 s14, s3, s12
	s_add_i32 s1, s14, s1
	s_mul_i32 s0, s0, s12
	s_add_i32 s1, s1, s0
	s_mul_i32 s3, s3, s12
	s_add_u32 s24, s3, s26
	s_addc_u32 s25, s1, s2
.LBB28_23:
	s_mul_i32 s0, s38, s50
	s_add_i32 s0, s57, s0
	s_add_i32 s3, s55, s52
	s_add_i32 s1, s0, s56
	s_add_u32 s0, s16, s26
	v_lshlrev_b32_e32 v6, 6, v91
	v_lshlrev_b32_e32 v24, 2, v88
	s_addc_u32 s1, s1, s2
	s_mov_b32 s2, 0x7060302
	v_or_b32_e32 v9, v6, v24
	v_xor_b32_e32 v7, v91, v24
	v_perm_b32 v3, v79, v78, s2
	v_perm_b32 v2, v75, v74, s2
	;; [unrolled: 1-line block ×4, first 2 shown]
	v_lshlrev_b32_e32 v9, 1, v9
	v_xor_b32_e32 v8, v92, v24
	ds_write2st64_b64 v9, v[2:3], v[4:5] offset0:32 offset1:48
	v_lshlrev_b32_e32 v7, 1, v7
	v_lshlrev_b32_e32 v9, 8, v88
	v_or_b32_e32 v10, v7, v9
	v_lshlrev_b32_e32 v8, 1, v8
	ds_write_b64 v10, v[2:3]
	v_or_b32_e32 v2, v8, v9
	v_or_b32_e32 v9, 16, v88
	v_lshlrev_b32_e32 v23, 2, v9
	v_or_b32_e32 v10, v6, v23
	ds_write_b64 v2, v[4:5]
	v_perm_b32 v3, v71, v70, s2
	v_perm_b32 v2, v67, v66, s2
	;; [unrolled: 1-line block ×4, first 2 shown]
	v_lshlrev_b32_e32 v10, 1, v10
	v_lshlrev_b32_e32 v9, 8, v9
	ds_write2st64_b64 v10, v[2:3], v[4:5] offset0:32 offset1:48
	v_or_b32_e32 v10, v7, v9
	ds_write_b64 v10, v[2:3]
	v_or_b32_e32 v2, v8, v9
	v_or_b32_e32 v9, 32, v88
	v_lshlrev_b32_e32 v22, 2, v9
	v_or_b32_e32 v10, v6, v22
	s_lshl_b64 s[20:21], s[0:1], 8
	ds_write_b64 v2, v[4:5]
	v_perm_b32 v3, v63, v62, s2
	v_perm_b32 v2, v59, v58, s2
	;; [unrolled: 1-line block ×4, first 2 shown]
	v_lshlrev_b32_e32 v10, 1, v10
	v_lshlrev_b32_e32 v9, 8, v9
	s_add_u32 s0, s6, s20
	ds_write2st64_b64 v10, v[2:3], v[4:5] offset0:32 offset1:48
	v_or_b32_e32 v10, v7, v9
	s_addc_u32 s1, s7, s21
	ds_write_b64 v10, v[2:3]
	v_or_b32_e32 v2, v8, v9
	v_or_b32_e32 v9, 48, v88
	s_mul_hi_i32 s6, s3, s13
	s_mul_i32 s3, s3, s13
	ds_write_b64 v2, v[4:5]
	v_perm_b32 v3, v55, v54, s2
	v_perm_b32 v2, v51, v50, s2
	;; [unrolled: 1-line block ×4, first 2 shown]
	v_lshlrev_b32_e32 v19, 2, v9
	s_add_u32 s2, s3, s48
	v_or_b32_e32 v6, v6, v19
	s_addc_u32 s3, s6, s49
	v_lshlrev_b32_e32 v6, 1, v6
	s_ashr_i32 s37, s36, 31
	s_lshl_b64 s[2:3], s[2:3], 15
	ds_write2st64_b64 v6, v[2:3], v[4:5] offset0:32 offset1:48
	v_lshlrev_b32_e32 v6, 8, v9
	s_add_u32 s6, s18, s2
	v_or_b32_e32 v7, v7, v6
	s_addc_u32 s7, s19, s3
	s_lshl_b64 s[2:3], s[36:37], 8
	ds_write_b64 v7, v[2:3]
	v_or_b32_e32 v2, v8, v6
	s_add_u32 s2, s6, s2
	v_lshlrev_b32_e32 v3, 1, v88
	ds_write_b64 v2, v[4:5]
	v_lshrrev_b32_e32 v2, 4, v0
	s_addc_u32 s3, s7, s3
	v_or_b32_e32 v4, 1, v3
	v_lshlrev_b32_e32 v10, 4, v88
	v_mov_b32_e32 v11, 0
	v_xor_b32_e32 v3, v2, v3
	v_xor_b32_e32 v6, v4, v2
	v_lshl_add_u64 v[12:13], s[2:3], 0, v[10:11]
	v_lshlrev_b32_e32 v10, 8, v2
	v_lshl_or_b32 v16, v3, 3, v10
	v_lshl_or_b32 v17, v6, 3, v10
	s_waitcnt lgkmcnt(0)
	s_barrier
	ds_read2st64_b64 v[2:5], v16 offset1:8
	ds_read2st64_b64 v[6:9], v17 offset1:8
	v_lshl_add_u64 v[14:15], v[12:13], 0, v[10:11]
	s_movk_i32 s2, 0x2000
	s_cmp_lg_u32 s27, 64
	s_waitcnt lgkmcnt(1)
	v_mov_b32_e32 v10, v2
	v_mov_b32_e32 v11, v3
	s_waitcnt lgkmcnt(0)
	v_mov_b32_e32 v12, v6
	v_mov_b32_e32 v13, v7
	global_store_dwordx4 v[14:15], v[10:13], off
	v_mov_b32_e32 v6, v4
	v_mov_b32_e32 v7, v5
	ds_read2st64_b64 v[2:5], v16 offset0:16 offset1:24
	ds_read2st64_b64 v[10:13], v17 offset0:16 offset1:24
	v_add_co_u32_e32 v16, vcc, s2, v14
	s_cselect_b64 s[6:7], -1, 0
	s_nop 0
	v_addc_co_u32_e32 v17, vcc, 0, v15, vcc
	global_store_dwordx4 v[16:17], v[6:9], off offset:-4096
	v_lshl_or_b32 v25, v86, 3, v90
	s_mov_b32 s16, 0
	s_waitcnt lgkmcnt(1)
	v_mov_b32_e32 v6, v2
	v_add_co_u32_e32 v2, vcc, 0x3000, v14
	v_mov_b32_e32 v7, v3
	s_nop 0
	v_addc_co_u32_e32 v3, vcc, 0, v15, vcc
	s_waitcnt lgkmcnt(0)
	v_mov_b32_e32 v8, v10
	v_mov_b32_e32 v9, v11
	;; [unrolled: 1-line block ×4, first 2 shown]
	v_or_b32_e32 v20, 32, v25
	v_and_b32_e32 v18, 56, v89
	s_and_b64 vcc, exec, s[6:7]
	global_store_dwordx4 v[16:17], v[6:9], off
	global_store_dwordx4 v[2:3], v[10:13], off
	s_cbranch_vccz .LBB28_29
; %bb.24:
	s_mov_b32 s17, s16
	s_mov_b32 s18, s16
	;; [unrolled: 1-line block ×3, first 2 shown]
	v_mov_b64_e32 v[6:7], s[16:17]
	v_mov_b64_e32 v[8:9], s[18:19]
	;; [unrolled: 1-line block ×3, first 2 shown]
	v_cmp_gt_i32_e32 vcc, s27, v25
	v_mov_b64_e32 v[4:5], v[8:9]
	s_and_saveexec_b64 s[2:3], vcc
	s_cbranch_execz .LBB28_26
; %bb.25:
	v_lshlrev_b32_e32 v2, 8, v25
	v_mov_b32_e32 v3, 0
	v_lshl_add_u64 v[4:5], s[0:1], 0, v[2:3]
	v_lshlrev_b32_e32 v2, 1, v18
	v_lshl_add_u64 v[10:11], v[4:5], 0, v[2:3]
	global_load_dwordx4 v[6:9], v[10:11], off
	global_load_dwordx4 v[2:5], v[10:11], off offset:128
.LBB28_26:
	s_or_b64 exec, exec, s[2:3]
	s_mov_b32 s17, s16
	s_mov_b32 s18, s16
	;; [unrolled: 1-line block ×3, first 2 shown]
	v_mov_b64_e32 v[14:15], s[16:17]
	v_mov_b64_e32 v[16:17], s[18:19]
	;; [unrolled: 1-line block ×3, first 2 shown]
	v_cmp_gt_i32_e32 vcc, s27, v20
	v_lshlrev_b32_e32 v21, 7, v20
	v_mov_b64_e32 v[12:13], v[16:17]
	s_and_saveexec_b64 s[2:3], vcc
	s_cbranch_execz .LBB28_28
; %bb.27:
	v_lshlrev_b32_e32 v10, 1, v21
	v_mov_b32_e32 v11, 0
	v_lshl_add_u64 v[12:13], s[0:1], 0, v[10:11]
	v_lshlrev_b32_e32 v10, 1, v18
	v_lshl_add_u64 v[26:27], v[12:13], 0, v[10:11]
	global_load_dwordx4 v[14:17], v[26:27], off
	global_load_dwordx4 v[10:13], v[26:27], off offset:128
.LBB28_28:
	s_or_b64 exec, exec, s[2:3]
	v_lshrrev_b32_e32 v26, 3, v18
	v_lshlrev_b32_e32 v27, 3, v25
	v_or_b32_e32 v26, v27, v26
	v_lshlrev_b32_e32 v26, 4, v26
	v_and_b32_e32 v27, 0x78, v27
	v_xor_b32_e32 v26, v26, v27
	s_branch .LBB28_31
.LBB28_29:
                                        ; implicit-def: $vgpr26
                                        ; implicit-def: $vgpr21
                                        ; implicit-def: $vgpr6_vgpr7_vgpr8_vgpr9
                                        ; implicit-def: $vgpr2_vgpr3_vgpr4_vgpr5
                                        ; implicit-def: $vgpr14_vgpr15_vgpr16_vgpr17
                                        ; implicit-def: $vgpr10_vgpr11_vgpr12_vgpr13
	s_cbranch_execz .LBB28_31
; %bb.30:
	s_waitcnt vmcnt(0)
	v_lshlrev_b32_e32 v2, 1, v18
	v_lshl_or_b32 v21, v25, 8, v2
	s_and_b32 s1, s1, 0xffff
	s_mov_b32 s3, 0x20000
	s_movk_i32 s2, 0x4000
	v_lshl_or_b32 v26, v20, 8, v2
	s_movk_i32 s13, 0x80
	buffer_load_dwordx4 v[6:9], v21, s[0:3], 0 offen
	buffer_load_dwordx4 v[2:5], v21, s[0:3], s13 offen
	;; [unrolled: 1-line block ×4, first 2 shown]
	v_lshrrev_b32_e32 v21, 3, v18
	v_lshlrev_b32_e32 v26, 3, v25
	v_or_b32_e32 v21, v26, v21
	v_lshlrev_b32_e32 v21, 4, v21
	v_and_b32_e32 v26, 0x78, v26
	v_xor_b32_e32 v26, v21, v26
	v_lshlrev_b32_e32 v21, 7, v20
.LBB28_31:
	s_movk_i32 s0, 0x1000
	v_and_or_b32 v20, v21, s0, v26
	s_waitcnt vmcnt(1)
	ds_write_b64 v26, v[6:7] offset:49152
	v_xor_b32_e32 v6, 8, v26
	ds_write_b64 v6, v[8:9] offset:49152
	s_waitcnt vmcnt(0)
	ds_write_b64 v26, v[2:3] offset:57344
	ds_write_b64 v6, v[4:5] offset:57344
	;; [unrolled: 1-line block ×3, first 2 shown]
	v_xor_b32_e32 v2, 8, v20
	ds_write_b64 v2, v[16:17] offset:49152
	ds_write_b64 v20, v[10:11] offset:57344
	;; [unrolled: 1-line block ×3, first 2 shown]
	v_or_b32_e32 v2, v1, v88
	v_lshlrev_b32_e32 v3, 11, v86
	v_lshlrev_b32_e32 v2, 3, v2
	v_and_b32_e32 v6, 0x1000, v3
	v_lshrrev_b32_e32 v3, 5, v45
	s_movk_i32 s0, 0xf8
	v_and_or_b32 v3, v2, s0, v3
	v_lshlrev_b32_e32 v7, 4, v3
	v_and_b32_e32 v8, 0x78, v2
	v_or_b32_e32 v10, 32, v7
	v_lshrrev_b32_e32 v3, 1, v45
	v_xor_b32_e32 v10, v10, v8
	v_xor_b32_e32 v2, v7, v8
	v_and_b32_e32 v9, 8, v3
	v_or_b32_e32 v10, v10, v6
	v_or_b32_e32 v2, v2, v6
	v_xor_b32_e32 v28, v10, v9
	v_or_b32_e32 v10, 64, v7
	v_xor_b32_e32 v27, v2, v9
	v_xor_b32_e32 v10, v10, v8
	s_waitcnt lgkmcnt(0)
	s_barrier
	v_or_b32_e32 v13, v10, v6
	ds_read_b64 v[10:11], v27 offset:49152
	v_lshl_or_b32 v14, v87, 8, v24
	v_lshlrev_b32_e32 v26, 1, v14
	v_add_u32_e32 v12, 0x4000, v26
	ds_read2_b64 v[2:5], v12 offset1:16
	v_or_b32_e32 v7, 0x60, v7
	v_xor_b32_e32 v7, v7, v8
	v_or_b32_e32 v6, v7, v6
	v_xor_b32_e32 v29, v13, v9
	v_xor_b32_e32 v30, v6, v9
	ds_read_b64 v[20:21], v28 offset:49152
	ds_read_b64 v[34:35], v29 offset:49152
	;; [unrolled: 1-line block ×3, first 2 shown]
	s_waitcnt lgkmcnt(3)
	v_mfma_f32_16x16x16_bf16 a[0:3], v[10:11], v[2:3], 0
	ds_read2st64_b64 v[6:9], v26 offset0:36 offset1:40
	s_lshl_b64 s[0:1], s[24:25], 8
	s_add_u32 s4, s4, s0
	v_mfma_f32_16x16x16_bf16 a[4:7], v[10:11], v[4:5], 0
	ds_read2_b64 v[2:5], v12 offset0:32 offset1:48
	s_addc_u32 s5, s5, s1
	s_add_i32 s1, s44, s33
	s_waitcnt lgkmcnt(0)
	v_mfma_f32_16x16x16_bf16 a[8:11], v[10:11], v[2:3], 0
	v_or_b32_e32 v2, 64, v14
	v_lshlrev_b32_e32 v31, 1, v2
	s_add_i32 s0, s12, -1
	v_mfma_f32_16x16x16_bf16 a[12:15], v[10:11], v[4:5], 0
	ds_read2st64_b64 v[2:5], v31 offset0:36 offset1:40
	s_add_i32 s35, s1, s39
	s_add_i32 s1, s46, s45
	v_mfma_f32_16x16x16_bf16 a[0:3], v[20:21], v[6:7], a[0:3]
	v_or_b32_e32 v6, 0x80, v14
	v_lshlrev_b32_e32 v32, 1, v6
	ds_read2st64_b64 v[10:13], v32 offset0:36 offset1:40
	s_waitcnt lgkmcnt(1)
	v_mfma_f32_16x16x16_bf16 a[4:7], v[20:21], v[2:3], a[4:7]
	v_or_b32_e32 v2, 0xc0, v14
	v_lshlrev_b32_e32 v33, 1, v2
	ds_read2st64_b64 v[14:17], v33 offset0:36 offset1:40
	s_add_i32 s31, s1, s47
	s_ashr_i32 s1, s0, 31
	s_mul_i32 s2, s0, s29
	s_mul_hi_u32 s3, s0, s28
	s_add_i32 s2, s3, s2
	s_mul_i32 s1, s1, s28
	s_waitcnt lgkmcnt(1)
	v_mfma_f32_16x16x16_bf16 a[8:11], v[20:21], v[10:11], a[8:11]
	s_add_i32 s1, s2, s1
	s_lshl_b64 s[2:3], s[34:35], 2
	s_add_u32 s10, s10, s2
	s_waitcnt lgkmcnt(0)
	v_mfma_f32_16x16x16_bf16 a[12:15], v[20:21], v[14:15], a[12:15]
	s_addc_u32 s11, s11, s3
	s_lshl_b64 s[2:3], s[30:31], 2
	s_mul_i32 s0, s0, s28
	v_mfma_f32_16x16x16_bf16 a[0:3], v[34:35], v[8:9], a[0:3]
	ds_read_b64 v[2:3], v26 offset:22528
	s_add_u32 s10, s10, s2
	s_addc_u32 s11, s11, s3
	v_mfma_f32_16x16x16_bf16 a[4:7], v[34:35], v[4:5], a[4:7]
	ds_read_b64 v[4:5], v31 offset:22528
	ds_read_b64 v[6:7], v32 offset:22528
	;; [unrolled: 1-line block ×3, first 2 shown]
	s_lshl_b64 s[0:1], s[0:1], 2
	s_add_u32 s0, s10, s0
	v_mfma_f32_16x16x16_bf16 a[8:11], v[34:35], v[12:13], a[8:11]
	s_addc_u32 s1, s11, s1
	s_load_dword s12, s[0:1], 0x0
	s_and_b64 vcc, exec, s[22:23]
	v_mfma_f32_16x16x16_bf16 a[12:15], v[34:35], v[16:17], a[12:15]
	s_waitcnt lgkmcnt(0)
	v_mfma_f32_16x16x16_bf16 a[0:3], v[36:37], v[2:3], a[0:3]
	v_mfma_f32_16x16x16_bf16 a[4:7], v[36:37], v[4:5], a[4:7]
	;; [unrolled: 1-line block ×4, first 2 shown]
	s_cbranch_vccz .LBB28_42
; %bb.32:
	v_lshlrev_b32_e32 v20, 1, v25
	s_and_b64 vcc, exec, s[6:7]
	s_cbranch_vccz .LBB28_43
; %bb.33:
	v_cmp_gt_i32_e32 vcc, s27, v20
	v_mov_b32_e32 v6, 0
	v_mov_b32_e32 v2, 0
	;; [unrolled: 1-line block ×5, first 2 shown]
	s_and_saveexec_b64 s[0:1], vcc
	s_cbranch_execz .LBB28_35
; %bb.34:
	v_mad_i64_i32 v[2:3], s[2:3], s15, v20, 0
	v_lshl_add_u64 v[2:3], v[2:3], 1, s[4:5]
	v_lshlrev_b32_e32 v4, 1, v18
	v_mov_b32_e32 v5, 0
	v_lshl_add_u64 v[2:3], v[2:3], 0, v[4:5]
	global_load_dwordx4 v[2:5], v[2:3], off
.LBB28_35:
	s_or_b64 exec, exec, s[0:1]
	v_or_b32_e32 v21, 1, v20
	v_cmp_gt_i32_e64 s[0:1], s27, v21
	v_mov_b32_e32 v7, 0
	v_mov_b32_e32 v8, 0
	;; [unrolled: 1-line block ×3, first 2 shown]
	s_and_saveexec_b64 s[2:3], s[0:1]
	s_cbranch_execz .LBB28_37
; %bb.36:
	v_mad_i64_i32 v[6:7], s[16:17], s15, v21, 0
	v_lshl_add_u64 v[6:7], v[6:7], 1, s[4:5]
	v_lshlrev_b32_e32 v8, 1, v18
	v_mov_b32_e32 v9, 0
	v_lshl_add_u64 v[6:7], v[6:7], 0, v[8:9]
	global_load_dwordx4 v[6:9], v[6:7], off
.LBB28_37:
	s_or_b64 exec, exec, s[2:3]
	v_mov_b32_e32 v17, 0
	v_mov_b32_e32 v10, 0
	;; [unrolled: 1-line block ×5, first 2 shown]
	s_and_saveexec_b64 s[2:3], vcc
	s_cbranch_execz .LBB28_39
; %bb.38:
	v_mad_i64_i32 v[10:11], s[16:17], s15, v20, 0
	v_lshl_add_u64 v[10:11], v[10:11], 1, s[4:5]
	v_lshlrev_b32_e32 v12, 1, v18
	v_mov_b32_e32 v13, 0
	v_lshl_add_u64 v[10:11], v[10:11], 0, v[12:13]
	global_load_dwordx4 v[10:13], v[10:11], off offset:128
.LBB28_39:
	s_or_b64 exec, exec, s[2:3]
	v_mov_b32_e32 v16, 0
	v_mov_b32_e32 v15, 0
	;; [unrolled: 1-line block ×3, first 2 shown]
	s_and_saveexec_b64 s[2:3], s[0:1]
	s_cbranch_execz .LBB28_41
; %bb.40:
	v_mad_i64_i32 v[14:15], s[0:1], s15, v21, 0
	v_lshl_add_u64 v[14:15], v[14:15], 1, s[4:5]
	v_lshlrev_b32_e32 v16, 1, v18
	v_mov_b32_e32 v17, 0
	v_lshl_add_u64 v[14:15], v[14:15], 0, v[16:17]
	global_load_dwordx4 v[14:17], v[14:15], off offset:128
.LBB28_41:
	s_or_b64 exec, exec, s[2:3]
	s_branch .LBB28_45
.LBB28_42:
                                        ; implicit-def: $vgpr5
                                        ; implicit-def: $vgpr9
                                        ; implicit-def: $vgpr13
                                        ; implicit-def: $vgpr17
	v_lshrrev_b32_e32 v34, 2, v45
	s_branch .LBB28_46
.LBB28_43:
                                        ; implicit-def: $vgpr5
                                        ; implicit-def: $vgpr9
                                        ; implicit-def: $vgpr13
                                        ; implicit-def: $vgpr17
	s_cbranch_execz .LBB28_45
; %bb.44:
	s_waitcnt vmcnt(0)
	v_mad_u64_u32 v[2:3], s[0:1], v20, s15, v[18:19]
	v_lshlrev_b32_e32 v20, 1, v2
	s_lshl_b32 s2, s15, 7
	s_and_b32 s1, s5, 0xffff
	s_mov_b32 s3, 0x20000
	s_mov_b32 s0, s4
	v_add_lshl_u32 v21, v2, s15, 1
	s_movk_i32 s13, 0x80
	buffer_load_dwordx4 v[2:5], v20, s[0:3], 0 offen
	buffer_load_dwordx4 v[10:13], v20, s[0:3], s13 offen
	buffer_load_dwordx4 v[6:9], v21, s[0:3], 0 offen
	buffer_load_dwordx4 v[14:17], v21, s[0:3], s13 offen
.LBB28_45:
	v_lshrrev_b32_e32 v34, 2, v45
	s_cbranch_execnz .LBB28_58
.LBB28_46:
	s_and_b64 vcc, exec, s[6:7]
	s_cbranch_vccz .LBB28_56
; %bb.47:
	s_waitcnt vmcnt(0)
	v_lshlrev_b32_e32 v7, 1, v25
	v_cmp_gt_i32_e32 vcc, s27, v7
	v_mov_b32_e32 v6, 0
	v_lshlrev_b32_e32 v14, 9, v25
	v_mov_b32_e32 v2, 0
	v_mov_b32_e32 v3, 0
	;; [unrolled: 1-line block ×4, first 2 shown]
	s_and_saveexec_b64 s[0:1], vcc
	s_cbranch_execz .LBB28_49
; %bb.48:
	v_mov_b32_e32 v15, 0
	v_lshl_add_u64 v[2:3], s[4:5], 0, v[14:15]
	v_lshlrev_b32_e32 v4, 1, v18
	v_mov_b32_e32 v5, v15
	v_lshl_add_u64 v[2:3], v[2:3], 0, v[4:5]
	global_load_dwordx4 v[2:5], v[2:3], off
.LBB28_49:
	s_or_b64 exec, exec, s[0:1]
	v_or_b32_e32 v7, 1, v7
	v_cmp_gt_i32_e64 s[0:1], s27, v7
	v_lshlrev_b32_e32 v20, 8, v7
	v_mov_b32_e32 v7, 0
	v_mov_b32_e32 v8, 0
	;; [unrolled: 1-line block ×3, first 2 shown]
	s_and_saveexec_b64 s[2:3], s[0:1]
	s_cbranch_execz .LBB28_51
; %bb.50:
	v_mov_b32_e32 v21, 0
	v_lshl_add_u64 v[6:7], s[4:5], 0, v[20:21]
	v_lshlrev_b32_e32 v8, 1, v18
	v_mov_b32_e32 v9, v21
	v_lshl_add_u64 v[6:7], v[6:7], 0, v[8:9]
	global_load_dwordx4 v[6:9], v[6:7], off
.LBB28_51:
	s_or_b64 exec, exec, s[2:3]
	v_mov_b32_e32 v17, 0
	v_mov_b32_e32 v10, 0
	;; [unrolled: 1-line block ×5, first 2 shown]
	s_and_saveexec_b64 s[2:3], vcc
	s_cbranch_execz .LBB28_53
; %bb.52:
	v_mov_b32_e32 v15, 0
	v_lshl_add_u64 v[10:11], s[4:5], 0, v[14:15]
	v_lshlrev_b32_e32 v14, 1, v18
	v_lshl_add_u64 v[10:11], v[10:11], 0, v[14:15]
	global_load_dwordx4 v[10:13], v[10:11], off offset:128
.LBB28_53:
	s_or_b64 exec, exec, s[2:3]
	v_mov_b32_e32 v16, 0
	v_mov_b32_e32 v15, 0
	;; [unrolled: 1-line block ×3, first 2 shown]
	s_and_saveexec_b64 s[2:3], s[0:1]
	s_cbranch_execz .LBB28_55
; %bb.54:
	v_mov_b32_e32 v21, 0
	v_lshl_add_u64 v[14:15], s[4:5], 0, v[20:21]
	v_lshlrev_b32_e32 v20, 1, v18
	v_lshl_add_u64 v[14:15], v[14:15], 0, v[20:21]
	global_load_dwordx4 v[14:17], v[14:15], off offset:128
.LBB28_55:
	s_or_b64 exec, exec, s[2:3]
	s_branch .LBB28_58
.LBB28_56:
                                        ; implicit-def: $vgpr5
                                        ; implicit-def: $vgpr9
                                        ; implicit-def: $vgpr13
                                        ; implicit-def: $vgpr17
	s_cbranch_execz .LBB28_58
; %bb.57:
	s_waitcnt vmcnt(0)
	v_lshlrev_b32_e32 v2, 1, v18
	v_lshl_or_b32 v18, v25, 9, v2
	s_and_b32 s5, s5, 0xffff
	s_mov_b32 s7, 0x20000
	s_movk_i32 s6, 0x4000
	s_movk_i32 s0, 0x80
	buffer_load_dwordx4 v[2:5], v18, s[4:7], 0 offen
	buffer_load_dwordx4 v[6:9], v18, s[4:7], 0 offen offset:256
	buffer_load_dwordx4 v[10:13], v18, s[4:7], s0 offen
	buffer_load_dwordx4 v[14:17], v18, s[4:7], s0 offen offset:256
.LBB28_58:
	ds_read_b64 v[20:21], v27 offset:57344
	v_add_u32_e32 v18, 0x6000, v26
	ds_read2_b64 v[36:39], v18 offset1:16
	ds_read_b64 v[44:45], v28 offset:57344
	ds_read_b64 v[28:29], v29 offset:57344
	;; [unrolled: 1-line block ×3, first 2 shown]
	ds_read2st64_b64 v[40:43], v26 offset0:52 offset1:56
	s_mov_b32 s0, 0x1000504
	s_mov_b32 s1, 0x3020706
	s_waitcnt lgkmcnt(4)
	v_mfma_f32_16x16x16_bf16 a[0:3], v[20:21], v[36:37], a[0:3]
	v_mfma_f32_16x16x16_bf16 a[4:7], v[20:21], v[38:39], a[4:7]
	ds_read2_b64 v[36:39], v18 offset0:32 offset1:48
	v_and_b32_e32 v18, 6, v0
	v_xor_b32_e32 v25, v25, v18
	s_waitcnt lgkmcnt(0)
	v_mfma_f32_16x16x16_bf16 a[8:11], v[20:21], v[36:37], a[8:11]
	v_lshlrev_b32_e32 v25, 2, v25
	v_and_b32_e32 v0, 1, v0
	v_xor_b32_e32 v35, 0x440, v25
	v_mfma_f32_16x16x16_bf16 a[12:15], v[20:21], v[38:39], a[12:15]
	ds_read2st64_b64 v[36:39], v31 offset0:52 offset1:56
	ds_read2st64_b64 v[48:51], v32 offset0:52 offset1:56
	;; [unrolled: 1-line block ×3, first 2 shown]
	v_cmp_eq_u32_e32 vcc, 0, v0
	ds_read_b64 v[20:21], v26 offset:30720
	ds_read_b64 v[26:27], v31 offset:30720
	;; [unrolled: 1-line block ×4, first 2 shown]
	v_mfma_f32_16x16x16_bf16 a[0:3], v[44:45], v[40:41], a[0:3]
	v_cndmask_b32_e32 v0, v35, v25, vcc
	v_lshl_or_b32 v0, v18, 10, v0
	s_waitcnt vmcnt(0)
	v_perm_b32 v18, v2, v6, s0
	s_waitcnt lgkmcnt(6)
	v_mfma_f32_16x16x16_bf16 a[4:7], v[44:45], v[36:37], a[4:7]
	v_perm_b32 v25, v10, v14, s0
	ds_write2st64_b32 v0, v18, v25 offset0:128 offset1:160
	v_xor_b32_e32 v18, 8, v0
	s_waitcnt lgkmcnt(6)
	v_mfma_f32_16x16x16_bf16 a[8:11], v[44:45], v[48:49], a[8:11]
	v_perm_b32 v2, v2, v6, s1
	v_perm_b32 v6, v10, v14, s1
	v_add_u32_e32 v10, 0x80, v18
	s_waitcnt lgkmcnt(5)
	v_mfma_f32_16x16x16_bf16 a[12:15], v[44:45], v[52:53], a[12:15]
	ds_write2st64_b32 v10, v2, v6 offset0:128 offset1:160
	v_xor_b32_e32 v2, 16, v0
	v_perm_b32 v6, v3, v7, s0
	v_mfma_f32_16x16x16_bf16 a[0:3], v[28:29], v[42:43], a[0:3]
	v_perm_b32 v10, v11, v15, s0
	ds_write2st64_b32 v2, v6, v10 offset0:129 offset1:161
	v_xor_b32_e32 v2, 24, v0
	v_mfma_f32_16x16x16_bf16 a[4:7], v[28:29], v[38:39], a[4:7]
	v_perm_b32 v3, v3, v7, s1
	v_perm_b32 v6, v11, v15, s1
	v_add_u32_e32 v2, 0x80, v2
	v_mfma_f32_16x16x16_bf16 a[16:19], v[28:29], v[50:51], a[8:11]
	ds_write2st64_b32 v2, v3, v6 offset0:129 offset1:161
	v_xor_b32_e32 v2, 32, v0
	v_perm_b32 v3, v4, v8, s0
	v_mfma_f32_16x16x16_bf16 a[20:23], v[28:29], v[54:55], a[12:15]
	v_perm_b32 v6, v12, v16, s0
	ds_write2st64_b32 v2, v3, v6 offset0:130 offset1:162
	v_xor_b32_e32 v2, 40, v0
	s_waitcnt lgkmcnt(8)
	v_mfma_f32_16x16x16_bf16 a[12:15], v[56:57], v[20:21], a[0:3]
	v_perm_b32 v3, v4, v8, s1
	v_perm_b32 v4, v12, v16, s1
	v_add_u32_e32 v2, 0x80, v2
	s_waitcnt lgkmcnt(7)
	v_mfma_f32_16x16x16_bf16 a[8:11], v[56:57], v[26:27], a[4:7]
	ds_write2st64_b32 v2, v3, v4 offset0:130 offset1:162
	v_xor_b32_e32 v2, 48, v0
	v_perm_b32 v3, v5, v9, s0
	s_waitcnt lgkmcnt(7)
	v_mfma_f32_16x16x16_bf16 a[4:7], v[56:57], v[30:31], a[16:19]
	v_perm_b32 v4, v13, v17, s0
	v_xor_b32_e32 v0, 56, v0
	v_and_or_b32 v18, v34, 12, v1
	s_waitcnt lgkmcnt(6)
	v_mfma_f32_16x16x16_bf16 a[0:3], v[56:57], v[32:33], a[20:23]
	ds_write2st64_b32 v2, v3, v4 offset0:131 offset1:163
	v_perm_b32 v2, v5, v9, s1
	v_perm_b32 v3, v13, v17, s1
	v_add_u32_e32 v0, 0x80, v0
	v_cmp_gt_i32_e32 vcc, s27, v18
	v_mov_b32_e32 v14, 0
	v_mov_b32_e32 v16, 0
	ds_write2st64_b32 v0, v2, v3 offset0:131 offset1:163
	s_and_saveexec_b64 s[0:1], vcc
	s_cbranch_execz .LBB28_60
; %bb.59:
	v_add_u32_e32 v0, s26, v18
	v_ashrrev_i32_e32 v1, 31, v0
	v_mul_lo_u32 v2, v1, s28
	v_mul_lo_u32 v3, v0, s29
	v_mad_u64_u32 v[0:1], s[2:3], v0, s28, 0
	v_add3_u32 v1, v1, v3, v2
	v_lshl_add_u64 v[0:1], v[0:1], 2, s[10:11]
	global_load_dword v0, v[0:1], off
	s_waitcnt vmcnt(0)
	v_sub_f32_e32 v0, s12, v0
	v_exp_f32_e32 v16, v0
.LBB28_60:
	s_or_b64 exec, exec, s[0:1]
	v_or_b32_e32 v8, 1, v18
	v_cmp_gt_i32_e64 s[0:1], s27, v8
	s_and_saveexec_b64 s[2:3], s[0:1]
	s_cbranch_execz .LBB28_62
; %bb.61:
	v_add_u32_e32 v0, s26, v8
	v_ashrrev_i32_e32 v1, 31, v0
	v_mul_lo_u32 v2, v1, s28
	v_mul_lo_u32 v3, v0, s29
	v_mad_u64_u32 v[0:1], s[4:5], v0, s28, 0
	v_add3_u32 v1, v1, v3, v2
	v_lshl_add_u64 v[0:1], v[0:1], 2, s[10:11]
	global_load_dword v0, v[0:1], off
	s_waitcnt vmcnt(0)
	v_sub_f32_e32 v0, s12, v0
	v_exp_f32_e32 v14, v0
.LBB28_62:
	s_or_b64 exec, exec, s[2:3]
	v_or_b32_e32 v10, 2, v18
	v_cmp_gt_i32_e64 s[2:3], s27, v10
	v_mov_b32_e32 v15, 0
	v_mov_b32_e32 v17, 0
	s_and_saveexec_b64 s[4:5], s[2:3]
	s_cbranch_execz .LBB28_64
; %bb.63:
	v_add_u32_e32 v0, s26, v10
	v_ashrrev_i32_e32 v1, 31, v0
	v_mul_lo_u32 v2, v1, s28
	v_mul_lo_u32 v3, v0, s29
	v_mad_u64_u32 v[0:1], s[6:7], v0, s28, 0
	v_add3_u32 v1, v1, v3, v2
	v_lshl_add_u64 v[0:1], v[0:1], 2, s[10:11]
	global_load_dword v0, v[0:1], off
	s_waitcnt vmcnt(0)
	v_sub_f32_e32 v0, s12, v0
	v_exp_f32_e32 v17, v0
.LBB28_64:
	s_or_b64 exec, exec, s[4:5]
	v_or_b32_e32 v12, 3, v18
	v_cmp_gt_i32_e64 s[4:5], s27, v12
	s_and_saveexec_b64 s[6:7], s[4:5]
	s_cbranch_execz .LBB28_66
; %bb.65:
	v_add_u32_e32 v0, s26, v12
	v_ashrrev_i32_e32 v1, 31, v0
	v_mul_lo_u32 v2, v1, s28
	v_mul_lo_u32 v3, v0, s29
	v_mad_u64_u32 v[0:1], s[14:15], v0, s28, 0
	v_add3_u32 v1, v1, v3, v2
	v_lshl_add_u64 v[0:1], v[0:1], 2, s[10:11]
	global_load_dword v0, v[0:1], off
	s_waitcnt vmcnt(0)
	v_sub_f32_e32 v0, s12, v0
	v_exp_f32_e32 v15, v0
.LBB28_66:
	s_or_b64 exec, exec, s[6:7]
	s_add_u32 s6, s8, s20
	v_accvgpr_read_b32 v0, a12
	s_addc_u32 s7, s9, s21
	v_ashrrev_i32_e32 v47, 31, v46
	v_accvgpr_read_b32 v1, a13
	v_accvgpr_read_b32 v2, a14
	;; [unrolled: 1-line block ×3, first 2 shown]
	v_lshl_add_u64 v[4:5], v[46:47], 1, s[6:7]
	v_mov_b32_e32 v9, 0
	v_lshlrev_b32_e32 v6, 8, v18
	v_mov_b32_e32 v7, 0
	s_and_saveexec_b64 s[6:7], vcc
	s_cbranch_execz .LBB28_68
; %bb.67:
	v_mov_b32_e32 v7, 0
	v_lshl_add_u64 v[20:21], v[4:5], 0, v[6:7]
	global_load_ushort v7, v[20:21], off
	s_waitcnt vmcnt(0)
	v_lshlrev_b32_e32 v7, 16, v7
	v_sub_f32_e32 v0, v7, v0
	v_mul_f32_e32 v0, v16, v0
	v_lshrrev_b32_e32 v7, 16, v0
.LBB28_68:
	s_or_b64 exec, exec, s[6:7]
	v_lshlrev_b32_e32 v8, 8, v8
	s_and_saveexec_b64 s[6:7], s[0:1]
	s_cbranch_execz .LBB28_70
; %bb.69:
	v_mov_b32_e32 v9, 0
	v_lshl_add_u64 v[20:21], v[4:5], 0, v[8:9]
	global_load_ushort v0, v[20:21], off
	s_waitcnt vmcnt(0)
	v_lshlrev_b32_e32 v0, 16, v0
	v_sub_f32_e32 v0, v0, v1
	v_mul_f32_e32 v0, v14, v0
	v_lshrrev_b32_e32 v9, 16, v0
.LBB28_70:
	s_or_b64 exec, exec, s[6:7]
	v_mov_b32_e32 v13, 0
	v_lshlrev_b32_e32 v10, 8, v10
	v_mov_b32_e32 v11, 0
	s_and_saveexec_b64 s[6:7], s[2:3]
	s_cbranch_execz .LBB28_72
; %bb.71:
	v_mov_b32_e32 v11, 0
	v_lshl_add_u64 v[0:1], v[4:5], 0, v[10:11]
	global_load_ushort v0, v[0:1], off
	s_waitcnt vmcnt(0)
	v_lshlrev_b32_e32 v0, 16, v0
	v_sub_f32_e32 v0, v0, v2
	v_mul_f32_e32 v0, v17, v0
	v_lshrrev_b32_e32 v11, 16, v0
.LBB28_72:
	s_or_b64 exec, exec, s[6:7]
	v_lshlrev_b32_e32 v12, 8, v12
	s_and_saveexec_b64 s[6:7], s[4:5]
	s_cbranch_execz .LBB28_74
; %bb.73:
	v_mov_b32_e32 v13, 0
	v_lshl_add_u64 v[0:1], v[4:5], 0, v[12:13]
	global_load_ushort v0, v[0:1], off
	s_waitcnt vmcnt(0)
	v_lshlrev_b32_e32 v0, 16, v0
	v_sub_f32_e32 v0, v0, v3
	v_mul_f32_e32 v0, v15, v0
	v_lshrrev_b32_e32 v13, 16, v0
.LBB28_74:
	s_or_b64 exec, exec, s[6:7]
	v_lshlrev_b32_e32 v18, 6, v18
	s_mov_b32 s6, 0x5040100
	v_perm_b32 v20, v9, v7, s6
	v_or_b32_e32 v7, v18, v24
	v_accvgpr_read_b32 v0, a8
	v_perm_b32 v21, v13, v11, s6
	v_lshlrev_b32_e32 v7, 1, v7
	v_accvgpr_read_b32 v1, a9
	v_accvgpr_read_b32 v2, a10
	v_accvgpr_read_b32 v3, a11
	ds_write_b64 v7, v[20:21] offset:24576
	v_mov_b32_e32 v9, 0
	v_mov_b32_e32 v7, 0
	s_and_saveexec_b64 s[6:7], vcc
	s_cbranch_execz .LBB28_76
; %bb.75:
	v_mov_b32_e32 v7, 0
	v_lshl_add_u64 v[20:21], v[4:5], 0, v[6:7]
	global_load_ushort v7, v[20:21], off offset:32
	s_waitcnt vmcnt(0)
	v_lshlrev_b32_e32 v7, 16, v7
	v_sub_f32_e32 v0, v7, v0
	v_mul_f32_e32 v0, v16, v0
	v_lshrrev_b32_e32 v7, 16, v0
.LBB28_76:
	s_or_b64 exec, exec, s[6:7]
	s_and_saveexec_b64 s[6:7], s[0:1]
	s_cbranch_execz .LBB28_78
; %bb.77:
	v_mov_b32_e32 v9, 0
	v_lshl_add_u64 v[20:21], v[4:5], 0, v[8:9]
	global_load_ushort v0, v[20:21], off offset:32
	s_waitcnt vmcnt(0)
	v_lshlrev_b32_e32 v0, 16, v0
	v_sub_f32_e32 v0, v0, v1
	v_mul_f32_e32 v0, v14, v0
	v_lshrrev_b32_e32 v9, 16, v0
.LBB28_78:
	s_or_b64 exec, exec, s[6:7]
	v_mov_b32_e32 v13, 0
	v_mov_b32_e32 v11, 0
	s_and_saveexec_b64 s[6:7], s[2:3]
	s_cbranch_execz .LBB28_80
; %bb.79:
	v_mov_b32_e32 v11, 0
	v_lshl_add_u64 v[0:1], v[4:5], 0, v[10:11]
	global_load_ushort v0, v[0:1], off offset:32
	s_waitcnt vmcnt(0)
	v_lshlrev_b32_e32 v0, 16, v0
	v_sub_f32_e32 v0, v0, v2
	v_mul_f32_e32 v0, v17, v0
	v_lshrrev_b32_e32 v11, 16, v0
.LBB28_80:
	s_or_b64 exec, exec, s[6:7]
	s_and_saveexec_b64 s[6:7], s[4:5]
	s_cbranch_execz .LBB28_82
; %bb.81:
	v_mov_b32_e32 v13, 0
	v_lshl_add_u64 v[0:1], v[4:5], 0, v[12:13]
	global_load_ushort v0, v[0:1], off offset:32
	s_waitcnt vmcnt(0)
	v_lshlrev_b32_e32 v0, 16, v0
	v_sub_f32_e32 v0, v0, v3
	v_mul_f32_e32 v0, v15, v0
	v_lshrrev_b32_e32 v13, 16, v0
.LBB28_82:
	s_or_b64 exec, exec, s[6:7]
	s_mov_b32 s6, 0x5040100
	v_perm_b32 v20, v9, v7, s6
	v_or_b32_e32 v7, v18, v23
	v_accvgpr_read_b32 v0, a4
	v_perm_b32 v21, v13, v11, s6
	v_lshlrev_b32_e32 v7, 1, v7
	v_accvgpr_read_b32 v1, a5
	v_accvgpr_read_b32 v2, a6
	;; [unrolled: 1-line block ×3, first 2 shown]
	ds_write_b64 v7, v[20:21] offset:24576
	v_mov_b32_e32 v9, 0
	v_mov_b32_e32 v7, 0
	s_and_saveexec_b64 s[6:7], vcc
	s_cbranch_execz .LBB28_84
; %bb.83:
	v_mov_b32_e32 v7, 0
	v_lshl_add_u64 v[20:21], v[4:5], 0, v[6:7]
	global_load_ushort v7, v[20:21], off offset:64
	s_waitcnt vmcnt(0)
	v_lshlrev_b32_e32 v7, 16, v7
	v_sub_f32_e32 v0, v7, v0
	v_mul_f32_e32 v0, v16, v0
	v_lshrrev_b32_e32 v7, 16, v0
.LBB28_84:
	s_or_b64 exec, exec, s[6:7]
	s_and_saveexec_b64 s[6:7], s[0:1]
	s_cbranch_execz .LBB28_86
; %bb.85:
	v_mov_b32_e32 v9, 0
	v_lshl_add_u64 v[20:21], v[4:5], 0, v[8:9]
	global_load_ushort v0, v[20:21], off offset:64
	s_waitcnt vmcnt(0)
	v_lshlrev_b32_e32 v0, 16, v0
	v_sub_f32_e32 v0, v0, v1
	v_mul_f32_e32 v0, v14, v0
	v_lshrrev_b32_e32 v9, 16, v0
.LBB28_86:
	s_or_b64 exec, exec, s[6:7]
	v_mov_b32_e32 v13, 0
	v_mov_b32_e32 v11, 0
	s_and_saveexec_b64 s[6:7], s[2:3]
	s_cbranch_execz .LBB28_88
; %bb.87:
	v_mov_b32_e32 v11, 0
	v_lshl_add_u64 v[0:1], v[4:5], 0, v[10:11]
	global_load_ushort v0, v[0:1], off offset:64
	s_waitcnt vmcnt(0)
	v_lshlrev_b32_e32 v0, 16, v0
	v_sub_f32_e32 v0, v0, v2
	v_mul_f32_e32 v0, v17, v0
	v_lshrrev_b32_e32 v11, 16, v0
.LBB28_88:
	s_or_b64 exec, exec, s[6:7]
	s_and_saveexec_b64 s[6:7], s[4:5]
	s_cbranch_execz .LBB28_90
; %bb.89:
	v_mov_b32_e32 v13, 0
	v_lshl_add_u64 v[0:1], v[4:5], 0, v[12:13]
	global_load_ushort v0, v[0:1], off offset:64
	s_waitcnt vmcnt(0)
	v_lshlrev_b32_e32 v0, 16, v0
	v_sub_f32_e32 v0, v0, v3
	v_mul_f32_e32 v0, v15, v0
	v_lshrrev_b32_e32 v13, 16, v0
.LBB28_90:
	s_or_b64 exec, exec, s[6:7]
	s_mov_b32 s6, 0x5040100
	v_perm_b32 v20, v9, v7, s6
	v_or_b32_e32 v7, v18, v22
	v_accvgpr_read_b32 v0, a0
	v_perm_b32 v21, v13, v11, s6
	v_lshlrev_b32_e32 v7, 1, v7
	v_accvgpr_read_b32 v1, a1
	v_accvgpr_read_b32 v2, a2
	;; [unrolled: 1-line block ×3, first 2 shown]
	ds_write_b64 v7, v[20:21] offset:24576
	v_mov_b32_e32 v9, 0
	v_mov_b32_e32 v7, 0
	s_and_saveexec_b64 s[6:7], vcc
	s_cbranch_execz .LBB28_92
; %bb.91:
	v_mov_b32_e32 v7, 0
	v_lshl_add_u64 v[6:7], v[4:5], 0, v[6:7]
	global_load_ushort v6, v[6:7], off offset:96
	s_waitcnt vmcnt(0)
	v_lshlrev_b32_e32 v6, 16, v6
	v_sub_f32_e32 v0, v6, v0
	v_mul_f32_e32 v0, v16, v0
	v_lshrrev_b32_e32 v7, 16, v0
.LBB28_92:
	s_or_b64 exec, exec, s[6:7]
	s_and_saveexec_b64 s[6:7], s[0:1]
	s_cbranch_execz .LBB28_94
; %bb.93:
	v_mov_b32_e32 v9, 0
	v_lshl_add_u64 v[8:9], v[4:5], 0, v[8:9]
	global_load_ushort v0, v[8:9], off offset:96
	s_waitcnt vmcnt(0)
	v_lshlrev_b32_e32 v0, 16, v0
	v_sub_f32_e32 v0, v0, v1
	v_mul_f32_e32 v0, v14, v0
	v_lshrrev_b32_e32 v9, 16, v0
.LBB28_94:
	s_or_b64 exec, exec, s[6:7]
	v_mov_b32_e32 v0, 0
	v_mov_b32_e32 v1, 0
	s_and_saveexec_b64 s[0:1], s[2:3]
	s_cbranch_execz .LBB28_96
; %bb.95:
	v_mov_b32_e32 v11, 0
	v_lshl_add_u64 v[10:11], v[4:5], 0, v[10:11]
	global_load_ushort v1, v[10:11], off offset:96
	s_waitcnt vmcnt(0)
	v_lshlrev_b32_e32 v1, 16, v1
	v_sub_f32_e32 v1, v1, v2
	v_mul_f32_e32 v1, v17, v1
	v_lshrrev_b32_e32 v1, 16, v1
.LBB28_96:
	s_or_b64 exec, exec, s[0:1]
	s_and_saveexec_b64 s[0:1], s[4:5]
	s_cbranch_execz .LBB28_98
; %bb.97:
	v_mov_b32_e32 v13, 0
	v_lshl_add_u64 v[4:5], v[4:5], 0, v[12:13]
	global_load_ushort v0, v[4:5], off offset:96
	s_waitcnt vmcnt(0)
	v_lshlrev_b32_e32 v0, 16, v0
	v_sub_f32_e32 v0, v0, v3
	v_mul_f32_e32 v0, v15, v0
	v_lshrrev_b32_e32 v0, 16, v0
.LBB28_98:
	s_or_b64 exec, exec, s[0:1]
	s_mov_b32 s0, 0x5040100
	v_or_b32_e32 v2, v18, v19
	v_perm_b32 v1, v0, v1, s0
	v_perm_b32 v0, v9, v7, s0
	v_lshlrev_b32_e32 v2, 1, v2
	ds_write_b64 v2, v[0:1] offset:24576
	s_waitcnt lgkmcnt(0)
	s_barrier
.LBB28_99:
	s_endpgm
	.section	.rodata,"a",@progbits
	.p2align	6, 0x0
	.amdhsa_kernel _ZN12_GLOBAL__N_139chunk_gated_delta_rule_fwd_h_hip_kernelILi64ELb1ELb0ELb0ELb0ELb1ELb1ELb0ELb1EEEvPK12hip_bfloat16S3_S3_PKfS5_PKvPS1_S8_PvPKiSB_iiiiilll
		.amdhsa_group_segment_fixed_size 65536
		.amdhsa_private_segment_fixed_size 0
		.amdhsa_kernarg_size 136
		.amdhsa_user_sgpr_count 2
		.amdhsa_user_sgpr_dispatch_ptr 0
		.amdhsa_user_sgpr_queue_ptr 0
		.amdhsa_user_sgpr_kernarg_segment_ptr 1
		.amdhsa_user_sgpr_dispatch_id 0
		.amdhsa_user_sgpr_kernarg_preload_length 0
		.amdhsa_user_sgpr_kernarg_preload_offset 0
		.amdhsa_user_sgpr_private_segment_size 0
		.amdhsa_uses_dynamic_stack 0
		.amdhsa_enable_private_segment 0
		.amdhsa_system_sgpr_workgroup_id_x 1
		.amdhsa_system_sgpr_workgroup_id_y 1
		.amdhsa_system_sgpr_workgroup_id_z 0
		.amdhsa_system_sgpr_workgroup_info 0
		.amdhsa_system_vgpr_workitem_id 0
		.amdhsa_next_free_vgpr 228
		.amdhsa_next_free_sgpr 69
		.amdhsa_accum_offset 188
		.amdhsa_reserve_vcc 1
		.amdhsa_float_round_mode_32 0
		.amdhsa_float_round_mode_16_64 0
		.amdhsa_float_denorm_mode_32 3
		.amdhsa_float_denorm_mode_16_64 3
		.amdhsa_dx10_clamp 1
		.amdhsa_ieee_mode 1
		.amdhsa_fp16_overflow 0
		.amdhsa_tg_split 0
		.amdhsa_exception_fp_ieee_invalid_op 0
		.amdhsa_exception_fp_denorm_src 0
		.amdhsa_exception_fp_ieee_div_zero 0
		.amdhsa_exception_fp_ieee_overflow 0
		.amdhsa_exception_fp_ieee_underflow 0
		.amdhsa_exception_fp_ieee_inexact 0
		.amdhsa_exception_int_div_zero 0
	.end_amdhsa_kernel
	.section	.text._ZN12_GLOBAL__N_139chunk_gated_delta_rule_fwd_h_hip_kernelILi64ELb1ELb0ELb0ELb0ELb1ELb1ELb0ELb1EEEvPK12hip_bfloat16S3_S3_PKfS5_PKvPS1_S8_PvPKiSB_iiiiilll,"axG",@progbits,_ZN12_GLOBAL__N_139chunk_gated_delta_rule_fwd_h_hip_kernelILi64ELb1ELb0ELb0ELb0ELb1ELb1ELb0ELb1EEEvPK12hip_bfloat16S3_S3_PKfS5_PKvPS1_S8_PvPKiSB_iiiiilll,comdat
.Lfunc_end28:
	.size	_ZN12_GLOBAL__N_139chunk_gated_delta_rule_fwd_h_hip_kernelILi64ELb1ELb0ELb0ELb0ELb1ELb1ELb0ELb1EEEvPK12hip_bfloat16S3_S3_PKfS5_PKvPS1_S8_PvPKiSB_iiiiilll, .Lfunc_end28-_ZN12_GLOBAL__N_139chunk_gated_delta_rule_fwd_h_hip_kernelILi64ELb1ELb0ELb0ELb0ELb1ELb1ELb0ELb1EEEvPK12hip_bfloat16S3_S3_PKfS5_PKvPS1_S8_PvPKiSB_iiiiilll
                                        ; -- End function
	.section	.AMDGPU.csdata,"",@progbits
; Kernel info:
; codeLenInByte = 11128
; NumSgprs: 75
; NumVgprs: 188
; NumAgprs: 40
; TotalNumVgprs: 228
; ScratchSize: 0
; MemoryBound: 0
; FloatMode: 240
; IeeeMode: 1
; LDSByteSize: 65536 bytes/workgroup (compile time only)
; SGPRBlocks: 9
; VGPRBlocks: 28
; NumSGPRsForWavesPerEU: 75
; NumVGPRsForWavesPerEU: 228
; AccumOffset: 188
; Occupancy: 1
; WaveLimiterHint : 1
; COMPUTE_PGM_RSRC2:SCRATCH_EN: 0
; COMPUTE_PGM_RSRC2:USER_SGPR: 2
; COMPUTE_PGM_RSRC2:TRAP_HANDLER: 0
; COMPUTE_PGM_RSRC2:TGID_X_EN: 1
; COMPUTE_PGM_RSRC2:TGID_Y_EN: 1
; COMPUTE_PGM_RSRC2:TGID_Z_EN: 0
; COMPUTE_PGM_RSRC2:TIDIG_COMP_CNT: 0
; COMPUTE_PGM_RSRC3_GFX90A:ACCUM_OFFSET: 46
; COMPUTE_PGM_RSRC3_GFX90A:TG_SPLIT: 0
	.section	.text._ZN12_GLOBAL__N_139chunk_gated_delta_rule_fwd_h_hip_kernelILi64ELb0ELb1ELb1ELb0ELb1ELb1ELb0ELb1EEEvPK12hip_bfloat16S3_S3_PKfS5_PKvPS1_S8_PvPKiSB_iiiiilll,"axG",@progbits,_ZN12_GLOBAL__N_139chunk_gated_delta_rule_fwd_h_hip_kernelILi64ELb0ELb1ELb1ELb0ELb1ELb1ELb0ELb1EEEvPK12hip_bfloat16S3_S3_PKfS5_PKvPS1_S8_PvPKiSB_iiiiilll,comdat
	.globl	_ZN12_GLOBAL__N_139chunk_gated_delta_rule_fwd_h_hip_kernelILi64ELb0ELb1ELb1ELb0ELb1ELb1ELb0ELb1EEEvPK12hip_bfloat16S3_S3_PKfS5_PKvPS1_S8_PvPKiSB_iiiiilll ; -- Begin function _ZN12_GLOBAL__N_139chunk_gated_delta_rule_fwd_h_hip_kernelILi64ELb0ELb1ELb1ELb0ELb1ELb1ELb0ELb1EEEvPK12hip_bfloat16S3_S3_PKfS5_PKvPS1_S8_PvPKiSB_iiiiilll
	.p2align	8
	.type	_ZN12_GLOBAL__N_139chunk_gated_delta_rule_fwd_h_hip_kernelILi64ELb0ELb1ELb1ELb0ELb1ELb1ELb0ELb1EEEvPK12hip_bfloat16S3_S3_PKfS5_PKvPS1_S8_PvPKiSB_iiiiilll,@function
_ZN12_GLOBAL__N_139chunk_gated_delta_rule_fwd_h_hip_kernelILi64ELb0ELb1ELb1ELb0ELb1ELb1ELb0ELb1EEEvPK12hip_bfloat16S3_S3_PKfS5_PKvPS1_S8_PvPKiSB_iiiiilll: ; @_ZN12_GLOBAL__N_139chunk_gated_delta_rule_fwd_h_hip_kernelILi64ELb0ELb1ELb1ELb0ELb1ELb1ELb0ELb1EEEvPK12hip_bfloat16S3_S3_PKfS5_PKvPS1_S8_PvPKiSB_iiiiilll
; %bb.0:
	s_load_dwordx4 s[12:15], s[0:1], 0x5c
	s_load_dwordx2 s[34:35], s[0:1], 0x40
	s_abs_i32 s22, s3
	s_ashr_i32 s21, s3, 31
	s_load_dwordx8 s[4:11], s[0:1], 0x0
	s_load_dwordx2 s[36:37], s[0:1], 0x20
	s_load_dwordx4 s[16:19], s[0:1], 0x30
	s_waitcnt lgkmcnt(0)
	s_abs_i32 s20, s13
	v_cvt_f32_u32_e32 v1, s20
	s_sub_i32 s24, 0, s20
	s_ashr_i32 s23, s13, 31
	s_xor_b32 s21, s21, s23
	v_rcp_iflag_f32_e32 v1, v1
	v_lshrrev_b32_e32 v45, 6, v0
	v_bfe_u32 v88, v0, 4, 2
	v_lshlrev_b32_e32 v86, 4, v45
	v_mul_f32_e32 v1, 0x4f7ffffe, v1
	v_cvt_u32_f32_e32 v1, v1
	v_lshlrev_b32_e32 v2, 2, v88
	v_and_b32_e32 v87, 63, v0
	v_and_b32_e32 v89, 15, v0
	v_readfirstlane_b32 s25, v1
	s_mul_i32 s24, s24, s25
	s_mul_hi_u32 s24, s25, s24
	s_add_i32 s25, s25, s24
	s_mul_hi_u32 s24, s22, s25
	s_mul_i32 s25, s24, s20
	s_sub_i32 s22, s22, s25
	s_add_i32 s25, s24, 1
	s_sub_i32 s26, s22, s20
	s_cmp_ge_u32 s22, s20
	s_cselect_b32 s24, s25, s24
	s_cselect_b32 s22, s26, s22
	s_add_i32 s25, s24, 1
	s_cmp_ge_u32 s22, s20
	s_cselect_b32 s22, s25, s24
	s_xor_b32 s22, s22, s21
	s_sub_i32 s52, s22, s21
	s_abs_i32 s21, s14
	v_cvt_f32_u32_e32 v1, s21
	s_ashr_i32 s51, s12, 31
	s_lshr_b32 s22, s51, 26
	s_add_i32 s22, s12, s22
	v_rcp_iflag_f32_e32 v1, v1
	s_ashr_i32 s54, s14, 31
	s_ashr_i32 s53, s22, 6
	s_xor_b32 s22, s23, s54
	v_mul_f32_e32 v1, 0x4f7ffffe, v1
	v_cvt_u32_f32_e32 v1, v1
	s_sub_i32 s23, 0, s21
	s_mul_i32 s50, s52, s13
	s_sub_i32 s33, s3, s50
	v_readfirstlane_b32 s24, v1
	s_mul_i32 s23, s23, s24
	s_mul_hi_u32 s23, s24, s23
	s_add_i32 s24, s24, s23
	s_mul_hi_u32 s23, s20, s24
	s_mul_i32 s24, s23, s21
	s_sub_i32 s20, s20, s24
	s_add_i32 s3, s12, 63
	s_add_i32 s24, s23, 1
	s_sub_i32 s25, s20, s21
	s_cmp_ge_u32 s20, s21
	s_cselect_b32 s23, s24, s23
	s_cselect_b32 s20, s25, s20
	s_add_i32 s24, s23, 1
	s_cmp_ge_u32 s20, s21
	s_cselect_b32 s20, s24, s23
	s_xor_b32 s20, s20, s22
	s_sub_i32 s24, s20, s22
	s_abs_i32 s25, s24
	v_cvt_f32_u32_e32 v1, s25
	s_sub_i32 s26, 0, s25
	s_load_dwordx2 s[38:39], s[0:1], 0x80
	s_load_dwordx4 s[20:23], s[0:1], 0x70
	s_xor_b32 s1, s33, s24
	v_rcp_iflag_f32_e32 v1, v1
	s_abs_i32 s24, s33
	s_ashr_i32 s1, s1, 31
	s_mov_b32 s0, 0
	v_mul_f32_e32 v1, 0x4f7ffffe, v1
	v_cvt_u32_f32_e32 v1, v1
	s_mul_i32 s48, s52, s12
	s_mul_hi_i32 s56, s52, s13
	v_lshrrev_b32_e32 v91, 3, v87
	v_readfirstlane_b32 s27, v1
	s_mul_i32 s26, s26, s27
	s_mul_hi_u32 s26, s27, s26
	s_add_i32 s27, s27, s26
	s_mul_hi_u32 s26, s24, s27
	s_mul_i32 s27, s26, s25
	s_sub_i32 s24, s24, s27
	s_add_i32 s27, s26, 1
	s_sub_i32 s28, s24, s25
	s_cmp_ge_u32 s24, s25
	s_cselect_b32 s26, s27, s26
	s_cselect_b32 s24, s28, s24
	s_add_i32 s27, s26, 1
	s_cmp_ge_u32 s24, s25
	s_cselect_b32 s24, s27, s26
	s_xor_b32 s24, s24, s1
	s_sub_i32 s57, s24, s1
	s_ashr_i32 s1, s3, 31
	s_lshr_b32 s1, s1, 26
	s_add_i32 s3, s3, s1
	s_ashr_i32 s1, s3, 6
	v_or_b32_e32 v1, v2, v86
	s_mul_i32 s55, s52, s1
	s_lshl_b32 s2, s2, 6
	s_mov_b32 s1, s0
	v_or_b32_e32 v92, 64, v1
	s_cmp_lt_i32 s12, 64
	v_mov_b64_e32 v[54:55], s[0:1]
	v_lshlrev_b32_e32 v90, 3, v0
	s_waitcnt lgkmcnt(0)
	s_mul_i32 s21, s52, s21
	s_mul_hi_u32 s49, s52, s20
	s_mul_i32 s40, s52, s20
	v_mov_b64_e32 v[56:57], s[0:1]
	v_mov_b64_e32 v[60:61], s[0:1]
	;; [unrolled: 1-line block ×15, first 2 shown]
	s_cbranch_scc1 .LBB29_17
; %bb.1:
	s_ashr_i32 s3, s52, 31
	s_ashr_i32 s59, s33, 31
	s_add_u32 s0, s50, s33
	s_addc_u32 s1, s56, s59
	s_mul_i32 s1, s12, s1
	s_mul_hi_u32 s24, s12, s0
	s_add_i32 s43, s24, s1
	s_mul_i32 s42, s12, s0
	s_lshl_b64 s[0:1], s[42:43], 8
	v_and_b32_e32 v94, 56, v90
	s_add_u32 s24, s6, s0
	v_lshl_or_b32 v93, v45, 3, v91
	v_lshlrev_b32_e32 v3, 1, v94
	s_addc_u32 s0, s7, s1
	v_lshl_or_b32 v95, v93, 8, v3
	s_and_b32 s25, s0, 0xffff
	s_mov_b32 s27, 0x20000
	s_movk_i32 s26, 0x4000
	s_movk_i32 s0, 0x80
	v_or_b32_e32 v96, 0x2000, v95
	buffer_load_dwordx4 v[4:7], v95, s[24:27], 0 offen
	buffer_load_dwordx4 v[8:11], v95, s[24:27], s0 offen
	;; [unrolled: 1-line block ×4, first 2 shown]
	v_lshlrev_b32_e32 v20, 3, v93
	v_and_or_b32 v22, v0, 7, v20
	v_and_b32_e32 v20, 0x78, v20
	v_lshlrev_b32_e32 v22, 4, v22
	v_xor_b32_e32 v97, v22, v20
	v_mul_lo_u32 v21, v93, s15
	v_or_b32_e32 v98, 0x1000, v97
	s_cmpk_eq_i32 s15, 0x80
	s_mov_b32 s58, s14
	v_xor_b32_e32 v20, 8, v97
	v_xor_b32_e32 v22, 8, v98
	s_cselect_b64 s[0:1], -1, 0
	s_cmpk_lg_i32 s15, 0x80
	s_waitcnt vmcnt(3)
	ds_write_b64 v97, v[4:5] offset:49152
	ds_write_b64 v20, v[6:7] offset:49152
	s_waitcnt vmcnt(2)
	ds_write_b64 v97, v[8:9] offset:57344
	ds_write_b64 v20, v[10:11] offset:57344
	;; [unrolled: 3-line block ×4, first 2 shown]
	v_lshl_add_u32 v4, v21, 1, v94
	s_cbranch_scc0 .LBB29_3
; %bb.2:
	v_lshlrev_b32_e32 v6, 1, v4
	v_add_lshl_u32 v5, v4, s15, 1
	s_lshl_b32 s26, s15, 7
	v_lshl_or_b32 v3, v93, 9, v3
	s_cbranch_execz .LBB29_4
	s_branch .LBB29_5
.LBB29_3:
                                        ; implicit-def: $vgpr5
                                        ; implicit-def: $vgpr6
                                        ; implicit-def: $sgpr26
	v_lshl_or_b32 v3, v93, 9, v3
.LBB29_4:
	v_or_b32_e32 v5, 0x100, v3
	s_movk_i32 s26, 0x4000
	v_mov_b32_e32 v6, v3
.LBB29_5:
	s_mul_hi_u32 s24, s14, s12
	s_mul_i32 s25, s54, s12
	s_add_i32 s24, s24, s25
	s_mul_i32 s25, s14, s12
	s_mul_i32 s27, s25, s3
	s_mul_hi_u32 s28, s25, s52
	s_add_i32 s27, s28, s27
	s_mul_i32 s24, s24, s52
	s_add_i32 s27, s27, s24
	s_mul_i32 s25, s25, s52
	s_ashr_i32 s60, s57, 31
	s_add_u32 s24, s25, s57
	s_addc_u32 s25, s27, s60
	s_lshl_b64 s[24:25], s[24:25], 8
	s_add_u32 s24, s4, s24
	s_addc_u32 s25, s5, s25
	s_and_b32 s25, s25, 0xffff
	s_mov_b32 s27, 0x20000
	s_movk_i32 s61, 0x80
	buffer_load_dwordx4 v[8:11], v6, s[24:27], 0 offen
	buffer_load_dwordx4 v[12:15], v6, s[24:27], s61 offen
	;; [unrolled: 1-line block ×4, first 2 shown]
	v_and_b32_e32 v5, 6, v0
	v_lshlrev_b32_e32 v6, 7, v1
	v_xor_b32_e32 v27, v93, v5
	v_and_b32_e32 v7, 1, v0
	v_lshl_or_b32 v30, v89, 3, v6
	v_lshlrev_b32_e32 v27, 2, v27
	v_or_b32_e32 v99, 0x4000, v30
	v_or_b32_e32 v100, 0x6000, v30
	v_xor_b32_e32 v30, 0x440, v27
	v_cmp_eq_u32_e32 vcc, 0, v7
	v_lshlrev_b32_e32 v24, 2, v89
	v_or_b32_e32 v26, 16, v89
	v_cndmask_b32_e32 v7, v30, v27, vcc
	s_mov_b32 s63, 0x1000504
	v_xor_b32_e32 v28, v1, v24
	v_xor_b32_e32 v29, v92, v24
	v_lshl_or_b32 v31, v26, 3, v6
	v_lshl_or_b32 v5, v5, 10, v7
	s_mov_b32 s64, 0x3020706
	s_mul_i32 s24, s3, s12
	s_mul_hi_u32 s25, s52, s12
	v_lshlrev_b32_e32 v25, 8, v89
	v_lshlrev_b32_e32 v28, 1, v28
	;; [unrolled: 1-line block ×3, first 2 shown]
	v_or_b32_e32 v101, 0x4000, v31
	v_or_b32_e32 v102, 0x6000, v31
	v_xor_b32_e32 v7, 8, v5
	v_xor_b32_e32 v27, 24, v5
	;; [unrolled: 1-line block ×4, first 2 shown]
	v_or_b32_e32 v103, v25, v28
	v_or_b32_e32 v104, v25, v29
	v_xor_b32_e32 v25, 16, v5
	v_xor_b32_e32 v30, 32, v5
	;; [unrolled: 1-line block ×3, first 2 shown]
	v_add_u32_e32 v7, 0x80, v7
	v_add_u32_e32 v27, 0x80, v27
	;; [unrolled: 1-line block ×4, first 2 shown]
	s_add_i32 s65, s25, s24
	s_add_i32 s24, s49, s21
	s_mul_i32 s3, s3, s20
	s_add_i32 s41, s24, s3
	s_mul_i32 s3, s33, s23
	s_mul_hi_u32 s24, s33, s22
	s_add_i32 s3, s24, s3
	s_mul_i32 s24, s59, s22
	s_add_i32 s25, s3, s24
	s_lshl_b64 s[28:29], s[40:41], 2
	s_mul_i32 s24, s33, s22
	s_add_u32 s3, s10, s28
	s_addc_u32 s28, s11, s29
	s_lshl_b64 s[24:25], s[24:25], 2
	s_add_u32 s44, s3, s24
	s_movk_i32 s3, 0xf8
	s_addc_u32 s45, s28, s25
	s_lshl_b32 s30, s15, 7
	v_mov_b32_e32 v79, 0
	s_movk_i32 s28, 0x100
	v_lshlrev_b32_e32 v78, 4, v89
	s_mov_b32 s62, 0
	s_movk_i32 s26, 0x4000
	v_add_u32_e32 v136, v86, v2
	s_mov_b32 s41, 0x7060302
	s_movk_i32 s66, 0x2000
	s_movk_i32 s67, 0x3000
	s_mov_b32 s69, 0
	v_mov_b32_e32 v48, v79
	v_mov_b32_e32 v49, v79
	;; [unrolled: 1-line block ×11, first 2 shown]
	s_waitcnt vmcnt(1)
	v_perm_b32 v34, v8, v16, s63
	s_waitcnt vmcnt(0)
	v_perm_b32 v35, v12, v20, s63
	v_perm_b32 v8, v8, v16, s64
	v_perm_b32 v12, v12, v20, s64
	v_perm_b32 v16, v9, v17, s63
	v_perm_b32 v20, v13, v21, s63
	v_perm_b32 v9, v9, v17, s64
	v_perm_b32 v13, v13, v21, s64
	v_perm_b32 v17, v10, v18, s63
	v_perm_b32 v21, v14, v22, s63
	v_perm_b32 v10, v10, v18, s64
	v_perm_b32 v14, v14, v22, s64
	v_perm_b32 v18, v11, v19, s63
	v_perm_b32 v22, v15, v23, s63
	v_perm_b32 v11, v11, v19, s64
	v_perm_b32 v15, v15, v23, s64
	ds_write2st64_b32 v5, v34, v35 offset0:128 offset1:160
	ds_write2st64_b32 v7, v8, v12 offset0:128 offset1:160
	;; [unrolled: 1-line block ×8, first 2 shown]
	v_lshlrev_b32_e32 v5, 8, v26
	v_or_b32_e32 v105, v5, v28
	v_or_b32_e32 v106, v5, v29
	v_or_b32_e32 v5, 32, v89
	v_lshl_or_b32 v7, v5, 3, v6
	v_lshlrev_b32_e32 v5, 8, v5
	v_or_b32_e32 v109, v5, v28
	v_or_b32_e32 v110, v5, v29
	;; [unrolled: 1-line block ×5, first 2 shown]
	v_lshl_or_b32 v7, v5, 3, v6
	v_lshlrev_b32_e32 v5, 8, v5
	v_or_b32_e32 v113, v5, v28
	v_or_b32_e32 v114, v5, v29
	;; [unrolled: 1-line block ×3, first 2 shown]
	v_lshlrev_b32_e32 v5, 3, v5
	v_lshrrev_b32_e32 v9, 5, v87
	v_and_or_b32 v9, v5, s3, v9
	v_lshlrev_b32_e32 v9, 4, v9
	v_lshlrev_b32_e32 v11, 11, v45
	v_and_b32_e32 v5, 0x78, v5
	v_or_b32_e32 v14, 32, v9
	v_and_b32_e32 v8, 0x1000, v11
	v_xor_b32_e32 v10, v9, v5
	v_lshrrev_b32_e32 v12, 1, v87
	v_xor_b32_e32 v14, v14, v5
	v_or_b32_e32 v10, v10, v8
	v_and_b32_e32 v12, 8, v12
	v_or_b32_e32 v14, v14, v8
	v_xor_b32_e32 v115, v10, v12
	v_lshlrev_b32_e32 v10, 8, v88
	v_xor_b32_e32 v117, v14, v12
	v_or_b32_e32 v14, 64, v9
	v_or_b32_e32 v9, 0x60, v9
	;; [unrolled: 1-line block ×3, first 2 shown]
	v_xor_b32_e32 v14, v14, v5
	v_xor_b32_e32 v5, v9, v5
	s_ashr_i32 s3, s2, 31
	v_lshlrev_b32_e32 v13, 1, v13
	v_or_b32_e32 v14, v14, v8
	v_or_b32_e32 v5, v5, v8
	s_lshl_b64 s[24:25], s[2:3], 8
	v_or_b32_e32 v116, 0x4000, v13
	v_or_b32_e32 v118, 0x4080, v13
	;; [unrolled: 1-line block ×4, first 2 shown]
	v_xor_b32_e32 v121, v14, v12
	v_xor_b32_e32 v122, v5, v12
	v_or_b32_e32 v123, 0x6000, v13
	v_or_b32_e32 v124, 0x6080, v13
	v_or_b32_e32 v125, 0x6100, v13
	v_or_b32_e32 v126, 0x6180, v13
	v_lshlrev_b32_e32 v12, 1, v4
	v_add_lshl_u32 v13, v4, s15, 1
	s_add_u32 s24, s16, s24
	v_lshlrev_b32_e32 v4, 1, v89
	v_or_b32_e32 v14, 0x100, v3
	v_lshrrev_b32_e32 v15, 4, v0
	s_addc_u32 s25, s17, s25
	v_or_b32_e32 v5, 1, v4
	v_lshlrev_b32_e32 v18, 2, v0
	v_xor_b32_e32 v16, v15, v4
	v_xor_b32_e32 v17, v5, v15
	v_lshl_add_u64 v[4:5], s[24:25], 0, v[78:79]
	v_lshlrev_b32_e32 v78, 8, v15
	v_lshrrev_b32_e32 v19, 1, v0
	v_and_or_b32 v10, v18, 60, v10
	v_cndmask_b32_e64 v133, v12, v3, s[0:1]
	v_cndmask_b32_e64 v134, v13, v14, s[0:1]
	v_mov_b32_e32 v3, 0xa000
	v_mov_b32_e32 v12, 0x8000
	v_cmp_gt_u32_e64 s[0:1], s28, v0
	v_lshl_or_b32 v127, v16, 3, v78
	v_and_b32_e32 v16, 8, v0
	v_and_b32_e32 v19, 24, v19
	v_lshlrev_b32_e32 v10, 1, v10
	v_cndmask_b32_e64 v3, v3, v12, s[0:1]
	v_lshlrev_b32_e32 v12, 3, v45
	v_or_b32_e32 v129, 0x6000, v10
	v_or_b32_e32 v130, 0x6080, v10
	;; [unrolled: 1-line block ×4, first 2 shown]
	v_mov_b32_e32 v10, 0x400
	v_cmp_eq_u32_e32 vcc, 0, v16
	v_xor_b32_e32 v13, v12, v19
	v_and_b32_e32 v15, 7, v0
	v_cndmask_b32_e64 v16, v10, 64, vcc
	v_or_b32_e32 v14, 0x440, v13
	v_lshl_or_b32 v128, v17, 3, v78
	v_lshlrev_b32_e32 v17, 3, v15
	v_or_b32_e32 v18, 32, v19
	v_or_b32_e32 v20, 0x60, v19
	v_cndmask_b32_e32 v14, v14, v13, vcc
	v_or3_b32 v13, v11, v16, v13
	v_lshlrev_b32_e32 v15, 7, v15
	v_xor_b32_e32 v18, v12, v18
	v_xor_b32_e32 v13, v13, v17
	;; [unrolled: 1-line block ×3, first 2 shown]
	v_or_b32_e32 v21, 0x440, v18
	v_or_b32_e32 v135, v13, v15
	v_xor_b32_e32 v13, 0x440, v12
	v_cndmask_b32_e32 v18, v21, v18, vcc
	v_cndmask_b32_e32 v12, v13, v12, vcc
	v_or_b32_e32 v111, 0x4000, v7
	v_or_b32_e32 v112, 0x6000, v7
	v_lshrrev_b32_e32 v7, 2, v87
	v_or_b32_e32 v8, s2, v89
	v_or_b32_e32 v14, v14, v11
	;; [unrolled: 1-line block ×4, first 2 shown]
	v_and_b32_e32 v7, 12, v7
	v_ashrrev_i32_e32 v9, 31, v8
	v_xor_b32_e32 v14, v14, v17
	v_xor_b32_e32 v18, v18, v17
	;; [unrolled: 1-line block ×3, first 2 shown]
	v_or_b32_e32 v10, v86, v7
	v_add_u32_e32 v19, v3, v14
	v_add_u32_e32 v21, v3, v18
	;; [unrolled: 1-line block ×3, first 2 shown]
	v_or3_b32 v12, v86, v7, 64
	v_add_u32_e32 v7, 0xa000, v14
	v_add_u32_e32 v14, 0xa000, v18
	;; [unrolled: 1-line block ×3, first 2 shown]
	v_lshlrev_b64 v[8:9], 1, v[8:9]
	v_lshl_add_u64 v[80:81], s[8:9], 0, v[8:9]
	v_lshl_add_u64 v[82:83], s[18:19], 0, v[8:9]
	;; [unrolled: 1-line block ×3, first 2 shown]
	s_add_i32 s3, s48, 63
	v_lshlrev_b32_e32 v78, 1, v6
	v_lshlrev_b32_e32 v137, 2, v10
	v_add_u32_e32 v138, v19, v15
	v_add_u32_e32 v139, v21, v15
	;; [unrolled: 1-line block ×4, first 2 shown]
	v_lshlrev_b32_e32 v142, 2, v12
	v_add_u32_e32 v143, v7, v15
	v_add_u32_e32 v144, v14, v15
	;; [unrolled: 1-line block ×3, first 2 shown]
	v_mov_b32_e32 v77, v79
	v_mov_b32_e32 v70, v79
	;; [unrolled: 1-line block ×21, first 2 shown]
	s_waitcnt lgkmcnt(0)
	s_barrier
	s_branch .LBB29_7
.LBB29_6:                               ;   in Loop: Header=BB29_7 Depth=1
	v_exp_f32_e32 v36, s46
	s_waitcnt vmcnt(4)
	v_exp_f32_e32 v38, v38
	v_exp_f32_e32 v39, v39
	;; [unrolled: 1-line block ×4, first 2 shown]
	v_accvgpr_read_b32 v5, a3
	v_accvgpr_read_b32 v4, a2
	;; [unrolled: 1-line block ×4, first 2 shown]
	v_pk_mul_f32 v[38:39], v[36:37], v[38:39] op_sel_hi:[0,1]
	v_pk_mul_f32 v[40:41], v[36:37], v[40:41] op_sel_hi:[0,1]
	v_pk_fma_f32 v[74:75], v[74:75], v[38:39], v[2:3]
	v_pk_fma_f32 v[76:77], v[76:77], v[40:41], v[4:5]
	v_exp_f32_e32 v2, v34
	v_exp_f32_e32 v3, v42
	;; [unrolled: 1-line block ×4, first 2 shown]
	v_accvgpr_read_b32 v9, a7
	v_accvgpr_read_b32 v13, a11
	;; [unrolled: 1-line block ×28, first 2 shown]
	v_pk_mul_f32 v[2:3], v[36:37], v[2:3] op_sel_hi:[0,1]
	v_pk_mul_f32 v[4:5], v[36:37], v[4:5] op_sel_hi:[0,1]
	s_add_i32 s62, s62, 64
	v_pk_fma_f32 v[66:67], v[38:39], v[66:67], v[6:7]
	v_pk_fma_f32 v[68:69], v[40:41], v[68:69], v[8:9]
	;; [unrolled: 1-line block ×14, first 2 shown]
	s_cmp_eq_u32 s53, s68
	s_mov_b32 s69, s68
	s_cbranch_scc1 .LBB29_17
.LBB29_7:                               ; =>This Inner Loop Header: Depth=1
	s_add_i32 s68, s69, 1
	s_cmp_lt_i32 s68, s53
	s_mov_b64 s[28:29], 0
	s_cselect_b64 s[46:47], -1, 0
	s_cmp_ge_i32 s68, s53
	s_mov_b64 s[24:25], 0
	s_cbranch_scc1 .LBB29_9
; %bb.8:                                ;   in Loop: Header=BB29_7 Depth=1
	s_add_i32 s0, s62, 64
	s_add_u32 s0, s42, s0
	s_addc_u32 s1, s43, 0
	s_lshl_b64 s[0:1], s[0:1], 8
	s_add_u32 s24, s6, s0
	s_addc_u32 s25, s7, s1
.LBB29_9:                               ;   in Loop: Header=BB29_7 Depth=1
	v_cndmask_b32_e64 v2, 0, 1, s[46:47]
	v_cmp_ne_u32_e64 s[0:1], 1, v2
	s_andn2_b64 vcc, exec, s[46:47]
	s_cbranch_vccnz .LBB29_11
; %bb.10:                               ;   in Loop: Header=BB29_7 Depth=1
	s_add_i32 s28, s62, 64
	s_add_u32 s28, s48, s28
	s_addc_u32 s29, s65, 0
	s_mul_i32 s31, s28, s54
	s_mul_hi_u32 s46, s28, s58
	s_add_i32 s31, s46, s31
	s_mul_i32 s29, s29, s58
	s_add_i32 s31, s31, s29
	s_mul_i32 s28, s28, s58
	s_add_u32 s28, s28, s57
	s_addc_u32 s29, s31, s60
	s_lshl_b64 s[28:29], s[28:29], 8
	s_add_u32 s28, s4, s28
	s_addc_u32 s29, s5, s29
.LBB29_11:                              ;   in Loop: Header=BB29_7 Depth=1
	v_perm_b32 v3, v77, v76, s41
	v_perm_b32 v2, v75, v74, s41
	v_perm_b32 v5, v73, v72, s41
	v_perm_b32 v4, v71, v70, s41
	ds_write_b64 v99, v[2:3]
	ds_write_b64 v100, v[4:5]
	ds_write_b64 v103, v[2:3]
	ds_write_b64 v104, v[4:5]
	v_perm_b32 v3, v69, v68, s41
	v_perm_b32 v2, v67, v66, s41
	v_perm_b32 v5, v65, v64, s41
	v_perm_b32 v4, v63, v62, s41
	ds_write_b64 v101, v[2:3]
	ds_write_b64 v102, v[4:5]
	ds_write_b64 v105, v[2:3]
	ds_write_b64 v106, v[4:5]
	;; [unrolled: 8-line block ×4, first 2 shown]
	s_waitcnt lgkmcnt(0)
	s_barrier
	ds_read_b64 v[6:7], v115 offset:49152
	ds_read2_b64 v[2:5], v116 offset1:16
	ds_read_b64 v[18:19], v118 offset:6144
	ds_read_b64 v[20:21], v116 offset:6144
	s_waitcnt lgkmcnt(2)
	v_mfma_f32_16x16x16_bf16 a[0:3], v[6:7], v[2:3], 0
	ds_read_b64 v[22:23], v117 offset:49152
	ds_read2st64_b64 v[10:13], v119 offset0:4 offset1:8
	ds_read2st64_b64 v[14:17], v120 offset0:4 offset1:8
	v_mfma_f32_16x16x16_bf16 a[4:7], v[6:7], v[4:5], 0
	ds_read2_b64 v[2:5], v116 offset0:32 offset1:48
	s_add_i32 s31, s62, 63
	s_mul_i32 s46, s31, s39
	s_waitcnt lgkmcnt(0)
	v_mfma_f32_16x16x16_bf16 a[8:11], v[6:7], v[2:3], 0
	s_mul_hi_u32 s47, s31, s38
	s_add_i32 s47, s47, s46
	s_mul_i32 s46, s31, s38
	v_mfma_f32_16x16x16_bf16 a[12:15], v[6:7], v[4:5], 0
	ds_read2st64_b64 v[2:5], v116 offset0:4 offset1:8
	ds_read2st64_b64 v[6:9], v118 offset0:4 offset1:8
	s_lshl_b64 s[46:47], s[46:47], 2
	s_waitcnt lgkmcnt(1)
	v_mfma_f32_16x16x16_bf16 a[0:3], v[22:23], v[2:3], a[0:3]
	s_add_u32 s46, s44, s46
	s_addc_u32 s47, s45, s47
	s_and_b64 vcc, exec, s[0:1]
	s_waitcnt lgkmcnt(0)
	v_mfma_f32_16x16x16_bf16 a[4:7], v[22:23], v[6:7], a[4:7]
	v_mov_b32_e32 v148, 0
	v_mov_b32_e32 v147, 0
	;; [unrolled: 1-line block ×3, first 2 shown]
	v_mfma_f32_16x16x16_bf16 a[8:11], v[22:23], v[10:11], a[8:11]
	ds_read_b64 v[2:3], v121 offset:49152
	ds_read_b64 v[6:7], v122 offset:49152
	;; [unrolled: 1-line block ×3, first 2 shown]
	v_mfma_f32_16x16x16_bf16 a[12:15], v[22:23], v[14:15], a[12:15]
	v_mov_b32_e32 v14, 0
	v_mov_b32_e32 v15, 0
	s_waitcnt lgkmcnt(2)
	v_mfma_f32_16x16x16_bf16 a[0:3], v[2:3], v[4:5], a[0:3]
	v_mov_b32_e32 v4, 0
	v_mov_b32_e32 v5, 0
	v_mfma_f32_16x16x16_bf16 a[16:19], v[2:3], v[8:9], a[4:7]
	v_mov_b32_e32 v8, 0
	v_mov_b32_e32 v9, 0
	;; [unrolled: 3-line block ×3, first 2 shown]
	v_mfma_f32_16x16x16_bf16 a[24:27], v[2:3], v[16:17], a[12:15]
	ds_read_b64 v[2:3], v119 offset:6144
	v_mov_b32_e32 v16, 0
	v_mov_b32_e32 v17, 0
	s_waitcnt lgkmcnt(2)
	v_mfma_f32_16x16x16_bf16 a[4:7], v[6:7], v[20:21], a[0:3]
	v_mfma_f32_16x16x16_bf16 a[8:11], v[6:7], v[18:19], a[16:19]
	s_waitcnt lgkmcnt(0)
	v_mfma_f32_16x16x16_bf16 a[12:15], v[6:7], v[2:3], a[20:23]
	v_mov_b32_e32 v2, 0
	v_mov_b32_e32 v3, 0
	v_mfma_f32_16x16x16_bf16 a[0:3], v[6:7], v[10:11], a[24:27]
	v_mov_b32_e32 v6, 0
	v_mov_b32_e32 v7, 0
	v_mov_b32_e32 v10, 0
	v_mov_b32_e32 v11, 0
	s_cbranch_vccnz .LBB29_13
; %bb.12:                               ;   in Loop: Header=BB29_7 Depth=1
	s_and_b32 s25, s25, 0xffff
	buffer_load_dwordx4 v[14:17], v95, s[24:27], 0 offen
	buffer_load_dwordx4 v[10:13], v95, s[24:27], s61 offen
	;; [unrolled: 1-line block ×4, first 2 shown]
	v_mov_b32_e32 v147, v97
	v_mov_b32_e32 v146, v98
.LBB29_13:                              ;   in Loop: Header=BB29_7 Depth=1
	ds_read_b64 v[30:31], v115 offset:57344
	ds_read2_b64 v[18:21], v123 offset1:16
	ds_read_b64 v[34:35], v117 offset:57344
	ds_read_b64 v[36:37], v121 offset:57344
	;; [unrolled: 1-line block ×3, first 2 shown]
	v_add_u32_e32 v32, s62, v136
	s_waitcnt lgkmcnt(3)
	v_mfma_f32_16x16x16_bf16 a[4:7], v[30:31], v[18:19], a[4:7]
	v_mfma_f32_16x16x16_bf16 a[8:11], v[30:31], v[20:21], a[8:11]
	ds_read2_b64 v[18:21], v123 offset0:32 offset1:48
	ds_read2st64_b64 v[22:25], v123 offset0:4 offset1:8
	ds_read2st64_b64 v[26:29], v124 offset0:4 offset1:8
	s_waitcnt lgkmcnt(2)
	v_mfma_f32_16x16x16_bf16 a[12:15], v[30:31], v[18:19], a[12:15]
	v_ashrrev_i32_e32 v18, 31, v32
	v_mul_lo_u32 v33, v18, s38
	v_mad_u64_u32 v[18:19], s[24:25], v32, s38, 0
	v_mfma_f32_16x16x16_bf16 a[0:3], v[30:31], v[20:21], a[0:3]
	v_mul_lo_u32 v20, v32, s39
	v_add3_u32 v19, v19, v20, v33
	v_add_u32_e32 v20, 1, v32
	v_ashrrev_i32_e32 v21, 31, v20
	s_waitcnt lgkmcnt(1)
	v_mfma_f32_16x16x16_bf16 a[4:7], v[34:35], v[22:23], a[4:7]
	v_mul_lo_u32 v22, v21, s38
	v_mul_lo_u32 v23, v20, s39
	v_mad_u64_u32 v[20:21], s[24:25], v20, s38, 0
	v_add3_u32 v21, v21, v23, v22
	v_add_u32_e32 v22, 2, v32
	v_ashrrev_i32_e32 v23, 31, v22
	v_mul_lo_u32 v30, v23, s38
	v_mul_lo_u32 v31, v22, s39
	v_mad_u64_u32 v[22:23], s[24:25], v22, s38, 0
	v_add3_u32 v23, v23, v31, v30
	v_add_u32_e32 v30, 3, v32
	v_ashrrev_i32_e32 v31, 31, v30
	v_mul_lo_u32 v32, v31, s38
	v_mul_lo_u32 v33, v30, s39
	v_mad_u64_u32 v[30:31], s[24:25], v30, s38, 0
	s_add_u32 s24, s42, s62
	v_lshl_add_u64 v[18:19], v[18:19], 2, s[44:45]
	v_add3_u32 v31, v31, v33, v32
	s_addc_u32 s25, s43, 0
	v_lshl_add_u64 v[20:21], v[20:21], 2, s[44:45]
	global_load_dword v40, v[18:19], off
	v_lshl_add_u64 v[18:19], v[30:31], 2, s[44:45]
	s_lshl_b64 s[24:25], s[24:25], 8
	v_lshl_add_u64 v[22:23], v[22:23], 2, s[44:45]
	global_load_dword v41, v[20:21], off
	global_load_dword v42, v[22:23], off
	;; [unrolled: 1-line block ×3, first 2 shown]
	v_lshl_add_u64 v[18:19], v[80:81], 0, s[24:25]
	v_lshl_add_u64 v[22:23], v[18:19], 0, v[78:79]
	global_load_ushort v44, v[22:23], off offset:256
	global_load_ushort v149, v[22:23], off
	ds_read2st64_b64 v[18:21], v125 offset0:4 offset1:8
	global_load_ushort v150, v[22:23], off offset:768
	global_load_ushort v151, v[22:23], off offset:512
	ds_read2st64_b64 v[30:33], v126 offset0:4 offset1:8
	global_load_ushort v152, v[22:23], off offset:288
	global_load_ushort v153, v[22:23], off offset:32
	;; [unrolled: 1-line block ×4, first 2 shown]
	s_waitcnt lgkmcnt(2)
	v_mfma_f32_16x16x16_bf16 a[8:11], v[34:35], v[26:27], a[8:11]
	global_load_ushort v156, v[22:23], off offset:320
	global_load_ushort v157, v[22:23], off offset:64
	global_load_ushort v158, v[22:23], off offset:832
	global_load_ushort v159, v[22:23], off offset:576
	s_and_b64 vcc, exec, s[0:1]
	s_waitcnt lgkmcnt(1)
	v_mfma_f32_16x16x16_bf16 a[12:15], v[34:35], v[18:19], a[12:15]
	ds_read_b64 v[18:19], v123 offset:6144
	s_waitcnt lgkmcnt(1)
	v_mfma_f32_16x16x16_bf16 a[0:3], v[34:35], v[30:31], a[0:3]
	v_lshl_add_u64 v[30:31], v[82:83], 0, s[24:25]
	v_lshl_add_u64 v[30:31], v[30:31], 0, v[78:79]
	v_mfma_f32_16x16x16_bf16 a[4:7], v[36:37], v[24:25], a[4:7]
	v_mfma_f32_16x16x16_bf16 a[8:11], v[36:37], v[28:29], a[8:11]
	;; [unrolled: 1-line block ×4, first 2 shown]
	global_load_ushort v36, v[22:23], off offset:352
	global_load_ushort v37, v[22:23], off offset:96
	ds_read_b64 v[20:21], v124 offset:6144
	ds_read_b64 v[24:25], v125 offset:6144
	ds_read_b64 v[26:27], v126 offset:6144
	s_load_dword s46, s[46:47], 0x0
	global_load_ushort v160, v[22:23], off offset:864
	global_load_ushort v161, v[22:23], off offset:608
	s_waitcnt lgkmcnt(0)
	v_mfma_f32_16x16x16_bf16 a[4:7], v[38:39], v[18:19], a[4:7]
	s_waitcnt vmcnt(17)
	v_sub_f32_e32 v28, s46, v42
	v_mfma_f32_16x16x16_bf16 a[0:3], v[38:39], v[26:27], a[0:3]
	v_sub_f32_e32 v26, s46, v40
	v_sub_f32_e32 v27, s46, v41
	s_waitcnt vmcnt(16)
	v_sub_f32_e32 v29, s46, v43
	v_mfma_f32_16x16x16_bf16 a[8:11], v[38:39], v[20:21], a[8:11]
	v_exp_f32_e32 v26, v26
	v_exp_f32_e32 v27, v27
	;; [unrolled: 1-line block ×4, first 2 shown]
	v_accvgpr_read_b32 v35, a5
	s_waitcnt vmcnt(15)
	v_lshlrev_b32_e32 v33, 16, v44
	s_waitcnt vmcnt(14)
	v_lshlrev_b32_e32 v32, 16, v149
	v_accvgpr_read_b32 v34, a4
	v_accvgpr_read_b32 v19, a7
	;; [unrolled: 1-line block ×3, first 2 shown]
	v_pk_add_f32 v[32:33], v[32:33], v[34:35] neg_lo:[0,1] neg_hi:[0,1]
	s_waitcnt vmcnt(13)
	v_lshlrev_b32_e32 v35, 16, v150
	s_waitcnt vmcnt(12)
	v_lshlrev_b32_e32 v34, 16, v151
	v_pk_add_f32 v[18:19], v[34:35], v[18:19] neg_lo:[0,1] neg_hi:[0,1]
	global_store_short_d16_hi v[30:31], v32, off
	global_store_short_d16_hi v[30:31], v33, off offset:256
	global_store_short_d16_hi v[30:31], v18, off offset:512
	;; [unrolled: 1-line block ×3, first 2 shown]
	v_pk_mul_f32 v[32:33], v[26:27], v[32:33]
	v_pk_mul_f32 v[18:19], v[28:29], v[18:19]
	v_accvgpr_read_b32 v35, a9
	v_perm_b32 v32, v33, v32, s41
	v_perm_b32 v33, v19, v18, s41
	s_waitcnt vmcnt(15)
	v_lshlrev_b32_e32 v19, 16, v152
	s_waitcnt vmcnt(14)
	v_lshlrev_b32_e32 v18, 16, v153
	v_accvgpr_read_b32 v34, a8
	v_accvgpr_read_b32 v21, a11
	v_mfma_f32_16x16x16_bf16 a[12:15], v[38:39], v[24:25], a[12:15]
	v_accvgpr_read_b32 v20, a10
	v_pk_add_f32 v[18:19], v[18:19], v[34:35] neg_lo:[0,1] neg_hi:[0,1]
	s_waitcnt vmcnt(13)
	v_lshlrev_b32_e32 v35, 16, v154
	s_waitcnt vmcnt(12)
	v_lshlrev_b32_e32 v34, 16, v155
	v_pk_add_f32 v[20:21], v[34:35], v[20:21] neg_lo:[0,1] neg_hi:[0,1]
	global_store_short_d16_hi v[30:31], v18, off offset:32
	global_store_short_d16_hi v[30:31], v19, off offset:288
	;; [unrolled: 1-line block ×4, first 2 shown]
	v_pk_mul_f32 v[18:19], v[26:27], v[18:19]
	v_pk_mul_f32 v[20:21], v[28:29], v[20:21]
	v_accvgpr_read_b32 v23, a15
	v_perm_b32 v21, v21, v20, s41
	v_perm_b32 v20, v19, v18, s41
	ds_write2_b64 v100, v[32:33], v[20:21] offset1:16
	v_accvgpr_read_b32 v21, a13
	s_waitcnt vmcnt(15)
	v_lshlrev_b32_e32 v19, 16, v156
	s_waitcnt vmcnt(14)
	v_lshlrev_b32_e32 v18, 16, v157
	v_accvgpr_read_b32 v20, a12
	v_accvgpr_read_b32 v22, a14
	v_pk_add_f32 v[18:19], v[18:19], v[20:21] neg_lo:[0,1] neg_hi:[0,1]
	s_waitcnt vmcnt(13)
	v_lshlrev_b32_e32 v21, 16, v158
	s_waitcnt vmcnt(12)
	v_lshlrev_b32_e32 v20, 16, v159
	v_pk_add_f32 v[20:21], v[20:21], v[22:23] neg_lo:[0,1] neg_hi:[0,1]
	global_store_short_d16_hi v[30:31], v18, off offset:64
	global_store_short_d16_hi v[30:31], v19, off offset:320
	;; [unrolled: 1-line block ×4, first 2 shown]
	v_pk_mul_f32 v[18:19], v[26:27], v[18:19]
	v_pk_mul_f32 v[20:21], v[28:29], v[20:21]
	v_accvgpr_read_b32 v23, a1
	v_perm_b32 v18, v19, v18, s41
	v_perm_b32 v19, v21, v20, s41
	s_waitcnt vmcnt(15)
	v_lshlrev_b32_e32 v21, 16, v36
	s_waitcnt vmcnt(14)
	v_lshlrev_b32_e32 v20, 16, v37
	v_accvgpr_read_b32 v22, a0
	v_accvgpr_read_b32 v25, a3
	;; [unrolled: 1-line block ×3, first 2 shown]
	v_pk_add_f32 v[20:21], v[20:21], v[22:23] neg_lo:[0,1] neg_hi:[0,1]
	s_waitcnt vmcnt(13)
	v_lshlrev_b32_e32 v23, 16, v160
	s_waitcnt vmcnt(12)
	v_lshlrev_b32_e32 v22, 16, v161
	v_pk_add_f32 v[22:23], v[22:23], v[24:25] neg_lo:[0,1] neg_hi:[0,1]
	global_store_short_d16_hi v[30:31], v20, off offset:96
	global_store_short_d16_hi v[30:31], v21, off offset:352
	;; [unrolled: 1-line block ×4, first 2 shown]
	v_pk_mul_f32 v[20:21], v[26:27], v[20:21]
	v_pk_mul_f32 v[22:23], v[28:29], v[22:23]
	v_mov_b32_e32 v149, 0
	v_perm_b32 v23, v23, v22, s41
	v_perm_b32 v22, v21, v20, s41
	ds_write2_b64 v100, v[18:19], v[22:23] offset0:32 offset1:48
	v_mov_b32_e32 v18, 0
	v_mov_b32_e32 v19, 0
	;; [unrolled: 1-line block ×16, first 2 shown]
	s_cbranch_vccnz .LBB29_15
; %bb.14:                               ;   in Loop: Header=BB29_7 Depth=1
	s_and_b32 s29, s29, 0xffff
	s_mov_b32 s31, s27
	buffer_load_dwordx4 v[30:33], v133, s[28:31], 0 offen
	buffer_load_dwordx4 v[22:25], v133, s[28:31], s61 offen
	;; [unrolled: 1-line block ×4, first 2 shown]
	v_mov_b32_e32 v148, v94
	v_mov_b32_e32 v149, v93
.LBB29_15:                              ;   in Loop: Header=BB29_7 Depth=1
	s_waitcnt lgkmcnt(0)
	s_barrier
	ds_read_b64 v[42:43], v138
	ds_read2_b64 v[34:37], v129 offset1:16
	ds_read_b64 v[166:167], v139
	ds_read_b64 v[168:169], v140
	;; [unrolled: 1-line block ×3, first 2 shown]
	ds_read2_b64 v[38:41], v129 offset0:32 offset1:48
	ds_read2st64_b64 v[150:153], v129 offset0:4 offset1:8
	ds_read2st64_b64 v[154:157], v130 offset0:4 offset1:8
	;; [unrolled: 1-line block ×4, first 2 shown]
	s_waitcnt lgkmcnt(8)
	v_mfma_f32_16x16x16_bf16 a[0:3], v[42:43], v[34:35], 0
	s_add_i32 s24, s55, s69
	s_mul_hi_i32 s25, s24, s13
	s_mul_i32 s24, s24, s13
	v_mfma_f32_16x16x16_bf16 a[4:7], v[42:43], v[36:37], 0
	s_add_u32 s24, s24, s33
	s_addc_u32 s25, s25, s59
	s_add_i32 s28, s3, s62
	s_waitcnt lgkmcnt(4)
	v_mfma_f32_16x16x16_bf16 a[8:11], v[42:43], v[38:39], 0
	s_lshl_b64 s[24:25], s[24:25], 15
	s_mul_hi_i32 s29, s28, s13
	s_mul_i32 s28, s28, s13
	v_mfma_f32_16x16x16_bf16 a[12:15], v[42:43], v[40:41], 0
	ds_read_b64 v[42:43], v129 offset:6144
	ds_read_b64 v[178:179], v130 offset:6144
	;; [unrolled: 1-line block ×4, first 2 shown]
	s_add_u32 s28, s28, s33
	s_waitcnt lgkmcnt(7)
	v_mfma_f32_16x16x16_bf16 a[0:3], v[166:167], v[150:151], a[0:3]
	s_addc_u32 s29, s29, s59
	s_lshl_b64 s[28:29], s[28:29], 9
	s_add_u32 s28, s36, s28
	s_waitcnt lgkmcnt(6)
	v_mfma_f32_16x16x16_bf16 a[4:7], v[166:167], v[154:155], a[4:7]
	s_addc_u32 s29, s37, s29
	v_lshl_add_u64 v[188:189], v[84:85], 0, s[24:25]
	s_waitcnt lgkmcnt(5)
	v_mfma_f32_16x16x16_bf16 a[8:11], v[166:167], v[158:159], a[8:11]
	s_waitcnt lgkmcnt(4)
	v_mfma_f32_16x16x16_bf16 a[12:15], v[166:167], v[162:163], a[12:15]
	ds_read_b64 v[166:167], v143
	ds_read_b64 v[176:177], v144
	;; [unrolled: 1-line block ×3, first 2 shown]
	s_waitcnt lgkmcnt(2)
	v_mfma_f32_16x16x16_bf16 a[16:19], v[166:167], v[34:35], 0
	v_mfma_f32_16x16x16_bf16 a[20:23], v[166:167], v[36:37], 0
	global_load_dwordx4 v[34:37], v142, s[28:29]
	v_mfma_f32_16x16x16_bf16 a[24:27], v[166:167], v[38:39], 0
	v_mfma_f32_16x16x16_bf16 a[28:31], v[166:167], v[40:41], 0
	global_load_dwordx4 v[38:41], v137, s[28:29]
	v_mfma_f32_16x16x16_bf16 a[0:3], v[168:169], v[152:153], a[0:3]
	v_mfma_f32_16x16x16_bf16 a[4:7], v[168:169], v[156:157], a[4:7]
	v_mfma_f32_16x16x16_bf16 a[8:11], v[168:169], v[160:161], a[8:11]
	v_mfma_f32_16x16x16_bf16 a[12:15], v[168:169], v[164:165], a[12:15]
	v_mfma_f32_16x16x16_bf16 a[0:3], v[170:171], v[42:43], a[0:3]
	v_mfma_f32_16x16x16_bf16 a[4:7], v[170:171], v[178:179], a[4:7]
	v_mfma_f32_16x16x16_bf16 a[8:11], v[170:171], v[180:181], a[8:11]
	v_mfma_f32_16x16x16_bf16 a[12:15], v[170:171], v[182:183], a[12:15]
	ds_read2st64_b64 v[166:169], v127 offset1:8
	ds_read2st64_b64 v[170:173], v128 offset1:8
	ds_read_b64 v[186:187], v135 offset:40960
	s_waitcnt lgkmcnt(2)
	v_mov_b32_e32 v174, v166
	v_mfma_f32_16x16x16_bf16 a[16:19], v[176:177], v[150:151], a[16:19]
	v_mov_b32_e32 v175, v167
	v_mfma_f32_16x16x16_bf16 a[20:23], v[176:177], v[154:155], a[20:23]
	v_mfma_f32_16x16x16_bf16 a[24:27], v[176:177], v[158:159], a[24:27]
	;; [unrolled: 1-line block ×3, first 2 shown]
	v_add_co_u32_e32 v162, vcc, s66, v188
	s_waitcnt lgkmcnt(1)
	v_mov_b32_e32 v176, v170
	s_waitcnt lgkmcnt(0)
	v_mfma_f32_16x16x16_bf16 a[16:19], v[186:187], v[152:153], a[16:19]
	ds_read2st64_b64 v[150:153], v127 offset0:16 offset1:24
	v_addc_co_u32_e32 v163, vcc, 0, v189, vcc
	v_mfma_f32_16x16x16_bf16 a[32:35], v[186:187], v[156:157], a[20:23]
	ds_read2st64_b64 v[154:157], v128 offset0:16 offset1:24
	v_mov_b32_e32 v177, v171
	v_mov_b32_e32 v170, v168
	v_mfma_f32_16x16x16_bf16 a[24:27], v[186:187], v[160:161], a[24:27]
	v_mov_b32_e32 v171, v169
	s_waitcnt lgkmcnt(0)
	v_mov_b32_e32 v160, v154
	v_mov_b32_e32 v161, v155
	v_mfma_f32_16x16x16_bf16 a[36:39], v[186:187], v[164:165], a[28:31]
	v_mov_b32_e32 v154, v152
	v_mov_b32_e32 v155, v153
	;; [unrolled: 1-line block ×3, first 2 shown]
	v_mfma_f32_16x16x16_bf16 a[20:23], v[184:185], v[42:43], a[16:19]
	v_add_co_u32_e32 v42, vcc, s67, v188
	v_mov_b32_e32 v159, v151
	v_mfma_f32_16x16x16_bf16 a[28:31], v[184:185], v[178:179], a[32:35]
	v_addc_co_u32_e32 v43, vcc, 0, v189, vcc
	global_store_dwordx4 v[42:43], v[154:157], off
	v_mfma_f32_16x16x16_bf16 a[16:19], v[184:185], v[180:181], a[24:27]
	s_waitcnt vmcnt(2)
	v_mov_b32_e32 v44, v37
	v_mov_b32_e32 v43, v36
	;; [unrolled: 1-line block ×3, first 2 shown]
	v_mfma_f32_16x16x16_bf16 a[24:27], v[184:185], v[182:183], a[36:39]
	s_and_b64 vcc, exec, s[0:1]
	global_store_dwordx4 v[188:189], v[174:177], off
	global_store_dwordx4 v[162:163], v[170:173], off offset:-4096
	global_store_dwordx4 v[162:163], v[158:161], off
	s_cbranch_vccnz .LBB29_6
; %bb.16:                               ;   in Loop: Header=BB29_7 Depth=1
	v_lshrrev_b32_e32 v35, 3, v148
	v_and_b32_e32 v35, 6, v35
	v_xor_b32_e32 v36, v35, v149
	v_lshlrev_b32_e32 v36, 2, v36
	v_and_b32_e32 v37, 8, v148
	v_xor_b32_e32 v148, 0x440, v36
	v_cmp_eq_u32_e32 vcc, 0, v37
	v_perm_b32 v37, v22, v18, s63
	s_nop 0
	v_cndmask_b32_e32 v36, v148, v36, vcc
	v_lshl_or_b32 v35, v35, 10, v36
	v_perm_b32 v36, v30, v26, s63
	s_barrier
	ds_write2st64_b32 v35, v36, v37 offset0:128 offset1:160
	v_xor_b32_e32 v36, 8, v35
	v_perm_b32 v26, v30, v26, s64
	v_perm_b32 v18, v22, v18, s64
	v_add_u32_e32 v22, 0x80, v36
	ds_write2st64_b32 v22, v26, v18 offset0:128 offset1:160
	v_xor_b32_e32 v18, 16, v35
	v_perm_b32 v22, v31, v27, s63
	v_perm_b32 v26, v23, v19, s63
	ds_write2st64_b32 v18, v22, v26 offset0:129 offset1:161
	v_xor_b32_e32 v18, 24, v35
	v_perm_b32 v22, v31, v27, s64
	v_perm_b32 v19, v23, v19, s64
	v_add_u32_e32 v18, 0x80, v18
	ds_write2st64_b32 v18, v22, v19 offset0:129 offset1:161
	v_xor_b32_e32 v18, 32, v35
	v_perm_b32 v19, v32, v28, s63
	v_perm_b32 v22, v24, v20, s63
	;; [unrolled: 9-line block ×3, first 2 shown]
	ds_write2st64_b32 v18, v19, v20 offset0:131 offset1:163
	v_xor_b32_e32 v18, 56, v35
	v_perm_b32 v19, v33, v29, s64
	v_perm_b32 v20, v25, v21, s64
	v_add_u32_e32 v18, 0x80, v18
	ds_write2st64_b32 v18, v19, v20 offset0:131 offset1:163
	ds_write_b64 v147, v[14:15] offset:49152
	v_xor_b32_e32 v14, 8, v147
	ds_write_b64 v14, v[16:17] offset:49152
	ds_write_b64 v147, v[10:11] offset:57344
	;; [unrolled: 1-line block ×4, first 2 shown]
	v_xor_b32_e32 v6, 8, v146
	ds_write_b64 v6, v[8:9] offset:49152
	ds_write_b64 v146, v[2:3] offset:57344
	;; [unrolled: 1-line block ×3, first 2 shown]
	s_branch .LBB29_6
.LBB29_17:
	s_lshl_b32 s46, s53, 6
	s_sub_i32 s47, s12, s46
	s_cmp_gt_i32 s47, 0
	v_or_b32_e32 v18, s2, v89
	s_cbranch_scc1 .LBB29_19
; %bb.18:
	s_ashr_i32 s0, s33, 31
	s_add_u32 s28, s50, s33
	s_addc_u32 s29, s56, s0
	v_or_b32_e32 v2, s2, v89
	s_cbranch_execz .LBB29_20
	s_branch .LBB29_100
.LBB29_19:
                                        ; implicit-def: $sgpr28_sgpr29
                                        ; implicit-def: $vgpr2
.LBB29_20:
	s_ashr_i32 s41, s52, 31
	s_ashr_i32 s3, s46, 31
	s_cmpk_lg_i32 s15, 0x80
	s_cselect_b64 s[42:43], -1, 0
	s_and_b64 vcc, exec, s[42:43]
	s_cbranch_vccz .LBB29_22
; %bb.21:
	s_mul_hi_i32 s0, s52, s12
	s_add_u32 s1, s48, s46
	s_addc_u32 s0, s0, s3
	s_mul_i32 s24, s1, s54
	s_mul_hi_u32 s25, s1, s14
	s_add_i32 s24, s25, s24
	s_mul_i32 s0, s0, s14
	s_add_i32 s24, s24, s0
	s_mul_i32 s1, s1, s14
	s_ashr_i32 s0, s57, 31
	s_add_u32 s44, s1, s57
	s_addc_u32 s45, s24, s0
	s_cbranch_execz .LBB29_23
	s_branch .LBB29_24
.LBB29_22:
                                        ; implicit-def: $sgpr44_sgpr45
.LBB29_23:
	s_mul_hi_i32 s0, s52, s14
	s_mul_i32 s52, s52, s14
	s_ashr_i32 s1, s57, 31
	s_add_u32 s14, s52, s57
	s_addc_u32 s0, s0, s1
	s_mul_i32 s1, s14, s51
	s_mul_hi_u32 s24, s14, s12
	s_add_i32 s1, s24, s1
	s_mul_i32 s0, s0, s12
	s_add_i32 s1, s1, s0
	s_mul_i32 s14, s14, s12
	s_add_u32 s44, s14, s46
	s_addc_u32 s45, s1, s3
.LBB29_24:
	s_add_i32 s24, s55, s53
	s_ashr_i32 s14, s33, 31
	s_add_u32 s28, s50, s33
	s_addc_u32 s29, s56, s14
	s_mul_i32 s0, s28, s51
	s_mul_hi_u32 s1, s28, s12
	s_add_i32 s0, s1, s0
	s_mul_i32 s1, s29, s12
	s_add_i32 s1, s0, s1
	s_mul_i32 s0, s28, s12
	s_add_u32 s0, s0, s46
	v_lshlrev_b32_e32 v6, 6, v1
	v_lshlrev_b32_e32 v27, 2, v89
	s_addc_u32 s1, s1, s3
	s_mov_b32 s3, 0x7060302
	v_or_b32_e32 v9, v6, v27
	v_xor_b32_e32 v7, v1, v27
	v_perm_b32 v3, v77, v76, s3
	v_perm_b32 v2, v75, v74, s3
	v_perm_b32 v5, v73, v72, s3
	v_perm_b32 v4, v71, v70, s3
	v_lshlrev_b32_e32 v9, 1, v9
	v_xor_b32_e32 v8, v92, v27
	ds_write2st64_b64 v9, v[2:3], v[4:5] offset0:32 offset1:48
	v_lshlrev_b32_e32 v7, 1, v7
	v_lshlrev_b32_e32 v9, 8, v89
	v_or_b32_e32 v10, v7, v9
	v_lshlrev_b32_e32 v8, 1, v8
	ds_write_b64 v10, v[2:3]
	v_or_b32_e32 v2, v8, v9
	v_or_b32_e32 v9, 16, v89
	v_lshlrev_b32_e32 v25, 2, v9
	v_or_b32_e32 v10, v6, v25
	ds_write_b64 v2, v[4:5]
	v_perm_b32 v3, v69, v68, s3
	v_perm_b32 v2, v67, v66, s3
	;; [unrolled: 1-line block ×4, first 2 shown]
	v_lshlrev_b32_e32 v10, 1, v10
	v_lshlrev_b32_e32 v9, 8, v9
	ds_write2st64_b64 v10, v[2:3], v[4:5] offset0:32 offset1:48
	v_or_b32_e32 v10, v7, v9
	ds_write_b64 v10, v[2:3]
	v_or_b32_e32 v2, v8, v9
	v_or_b32_e32 v9, 32, v89
	v_lshlrev_b32_e32 v24, 2, v9
	v_or_b32_e32 v10, v6, v24
	ds_write_b64 v2, v[4:5]
	v_perm_b32 v3, v61, v60, s3
	v_perm_b32 v2, v59, v58, s3
	;; [unrolled: 1-line block ×4, first 2 shown]
	v_lshlrev_b32_e32 v10, 1, v10
	v_lshlrev_b32_e32 v9, 8, v9
	s_lshl_b64 s[30:31], s[0:1], 8
	ds_write2st64_b64 v10, v[2:3], v[4:5] offset0:32 offset1:48
	v_or_b32_e32 v10, v7, v9
	s_add_u32 s0, s6, s30
	ds_write_b64 v10, v[2:3]
	v_or_b32_e32 v2, v8, v9
	s_addc_u32 s1, s7, s31
	ds_write_b64 v2, v[4:5]
	v_perm_b32 v3, v53, v52, s3
	v_perm_b32 v2, v51, v50, s3
	;; [unrolled: 1-line block ×4, first 2 shown]
	v_or_b32_e32 v9, 48, v89
	s_mul_hi_i32 s3, s24, s13
	s_mul_i32 s24, s24, s13
	v_lshlrev_b32_e32 v21, 2, v9
	s_add_u32 s6, s24, s33
	v_or_b32_e32 v6, v6, v21
	s_addc_u32 s7, s3, s14
	v_lshlrev_b32_e32 v6, 1, v6
	s_ashr_i32 s3, s2, 31
	s_lshl_b64 s[6:7], s[6:7], 15
	ds_write2st64_b64 v6, v[2:3], v[4:5] offset0:32 offset1:48
	v_lshlrev_b32_e32 v6, 8, v9
	s_add_u32 s6, s16, s6
	v_or_b32_e32 v7, v7, v6
	s_addc_u32 s7, s17, s7
	s_lshl_b64 s[2:3], s[2:3], 8
	ds_write_b64 v7, v[2:3]
	v_or_b32_e32 v2, v8, v6
	s_add_u32 s2, s6, s2
	v_lshlrev_b32_e32 v3, 1, v89
	ds_write_b64 v2, v[4:5]
	v_lshrrev_b32_e32 v2, 4, v0
	s_addc_u32 s3, s7, s3
	v_or_b32_e32 v4, 1, v3
	v_lshlrev_b32_e32 v10, 4, v89
	v_mov_b32_e32 v11, 0
	v_xor_b32_e32 v3, v2, v3
	v_xor_b32_e32 v6, v4, v2
	v_lshl_add_u64 v[12:13], s[2:3], 0, v[10:11]
	v_lshlrev_b32_e32 v10, 8, v2
	v_lshl_or_b32 v16, v3, 3, v10
	v_lshl_or_b32 v17, v6, 3, v10
	s_waitcnt lgkmcnt(0)
	s_barrier
	ds_read2st64_b64 v[2:5], v16 offset1:8
	ds_read2st64_b64 v[6:9], v17 offset1:8
	v_lshl_add_u64 v[14:15], v[12:13], 0, v[10:11]
	s_movk_i32 s2, 0x2000
	s_cmp_lg_u32 s47, 64
	s_waitcnt lgkmcnt(1)
	v_mov_b32_e32 v10, v2
	v_mov_b32_e32 v11, v3
	s_waitcnt lgkmcnt(0)
	v_mov_b32_e32 v12, v6
	v_mov_b32_e32 v13, v7
	global_store_dwordx4 v[14:15], v[10:13], off
	v_mov_b32_e32 v6, v4
	v_mov_b32_e32 v7, v5
	ds_read2st64_b64 v[2:5], v16 offset0:16 offset1:24
	ds_read2st64_b64 v[10:13], v17 offset0:16 offset1:24
	v_add_co_u32_e32 v16, vcc, s2, v14
	s_cselect_b64 s[6:7], -1, 0
	s_nop 0
	v_addc_co_u32_e32 v17, vcc, 0, v15, vcc
	global_store_dwordx4 v[16:17], v[6:9], off offset:-4096
	v_lshl_or_b32 v19, v45, 3, v91
	s_mov_b32 s24, 0
	s_waitcnt lgkmcnt(1)
	v_mov_b32_e32 v6, v2
	v_add_co_u32_e32 v2, vcc, 0x3000, v14
	v_mov_b32_e32 v7, v3
	s_nop 0
	v_addc_co_u32_e32 v3, vcc, 0, v15, vcc
	s_waitcnt lgkmcnt(0)
	v_mov_b32_e32 v8, v10
	v_mov_b32_e32 v9, v11
	v_mov_b32_e32 v10, v4
	v_mov_b32_e32 v11, v5
	v_or_b32_e32 v22, 32, v19
	v_and_b32_e32 v20, 56, v90
	s_and_b64 vcc, exec, s[6:7]
	global_store_dwordx4 v[16:17], v[6:9], off
	global_store_dwordx4 v[2:3], v[10:13], off
	s_cbranch_vccz .LBB29_30
; %bb.25:
	s_mov_b32 s25, s24
	s_mov_b32 s26, s24
	s_mov_b32 s27, s24
	v_mov_b64_e32 v[6:7], s[24:25]
	v_mov_b64_e32 v[8:9], s[26:27]
	;; [unrolled: 1-line block ×3, first 2 shown]
	v_cmp_gt_i32_e32 vcc, s47, v19
	v_mov_b64_e32 v[4:5], v[8:9]
	s_and_saveexec_b64 s[2:3], vcc
	s_cbranch_execz .LBB29_27
; %bb.26:
	v_lshlrev_b32_e32 v2, 8, v19
	v_mov_b32_e32 v3, 0
	v_lshl_add_u64 v[4:5], s[0:1], 0, v[2:3]
	v_lshlrev_b32_e32 v2, 1, v20
	v_lshl_add_u64 v[10:11], v[4:5], 0, v[2:3]
	global_load_dwordx4 v[6:9], v[10:11], off
	global_load_dwordx4 v[2:5], v[10:11], off offset:128
.LBB29_27:
	s_or_b64 exec, exec, s[2:3]
	s_mov_b32 s25, s24
	s_mov_b32 s26, s24
	;; [unrolled: 1-line block ×3, first 2 shown]
	v_mov_b64_e32 v[14:15], s[24:25]
	v_mov_b64_e32 v[16:17], s[26:27]
	;; [unrolled: 1-line block ×3, first 2 shown]
	v_cmp_gt_i32_e32 vcc, s47, v22
	v_lshlrev_b32_e32 v23, 7, v22
	v_mov_b64_e32 v[12:13], v[16:17]
	s_and_saveexec_b64 s[2:3], vcc
	s_cbranch_execz .LBB29_29
; %bb.28:
	v_lshlrev_b32_e32 v10, 1, v23
	v_mov_b32_e32 v11, 0
	v_lshl_add_u64 v[12:13], s[0:1], 0, v[10:11]
	v_lshlrev_b32_e32 v10, 1, v20
	v_lshl_add_u64 v[28:29], v[12:13], 0, v[10:11]
	global_load_dwordx4 v[14:17], v[28:29], off
	global_load_dwordx4 v[10:13], v[28:29], off offset:128
.LBB29_29:
	s_or_b64 exec, exec, s[2:3]
	v_lshrrev_b32_e32 v26, 3, v20
	v_lshlrev_b32_e32 v28, 3, v19
	v_or_b32_e32 v26, v28, v26
	v_lshlrev_b32_e32 v26, 4, v26
	v_and_b32_e32 v28, 0x78, v28
	v_xor_b32_e32 v26, v26, v28
	s_branch .LBB29_32
.LBB29_30:
                                        ; implicit-def: $vgpr26
                                        ; implicit-def: $vgpr23
                                        ; implicit-def: $vgpr6_vgpr7_vgpr8_vgpr9
                                        ; implicit-def: $vgpr2_vgpr3_vgpr4_vgpr5
                                        ; implicit-def: $vgpr14_vgpr15_vgpr16_vgpr17
                                        ; implicit-def: $vgpr10_vgpr11_vgpr12_vgpr13
	s_cbranch_execz .LBB29_32
; %bb.31:
	s_waitcnt vmcnt(0)
	v_lshlrev_b32_e32 v2, 1, v20
	v_lshl_or_b32 v23, v19, 8, v2
	s_and_b32 s1, s1, 0xffff
	s_mov_b32 s3, 0x20000
	s_movk_i32 s2, 0x4000
	v_lshl_or_b32 v26, v22, 8, v2
	s_movk_i32 s16, 0x80
	buffer_load_dwordx4 v[6:9], v23, s[0:3], 0 offen
	buffer_load_dwordx4 v[2:5], v23, s[0:3], s16 offen
	;; [unrolled: 1-line block ×4, first 2 shown]
	v_lshrrev_b32_e32 v23, 3, v20
	v_lshlrev_b32_e32 v26, 3, v19
	v_or_b32_e32 v23, v26, v23
	v_lshlrev_b32_e32 v23, 4, v23
	v_and_b32_e32 v26, 0x78, v26
	v_xor_b32_e32 v26, v23, v26
	v_lshlrev_b32_e32 v23, 7, v22
.LBB29_32:
	s_movk_i32 s0, 0x1000
	v_and_or_b32 v22, v23, s0, v26
	s_waitcnt vmcnt(1)
	ds_write_b64 v26, v[6:7] offset:49152
	v_xor_b32_e32 v6, 8, v26
	ds_write_b64 v6, v[8:9] offset:49152
	s_waitcnt vmcnt(0)
	ds_write_b64 v26, v[2:3] offset:57344
	ds_write_b64 v6, v[4:5] offset:57344
	;; [unrolled: 1-line block ×3, first 2 shown]
	v_xor_b32_e32 v2, 8, v22
	ds_write_b64 v2, v[16:17] offset:49152
	ds_write_b64 v22, v[10:11] offset:57344
	ds_write_b64 v2, v[12:13] offset:57344
	v_or_b32_e32 v2, v86, v89
	v_lshlrev_b32_e32 v2, 3, v2
	v_lshrrev_b32_e32 v3, 5, v87
	s_movk_i32 s0, 0xf8
	v_and_or_b32 v3, v2, s0, v3
	v_lshlrev_b32_e32 v7, 4, v3
	v_lshlrev_b32_e32 v26, 11, v45
	v_and_b32_e32 v8, 0x78, v2
	v_or_b32_e32 v10, 32, v7
	v_and_b32_e32 v6, 0x1000, v26
	v_lshrrev_b32_e32 v3, 1, v87
	v_xor_b32_e32 v10, v10, v8
	v_xor_b32_e32 v2, v7, v8
	v_and_b32_e32 v9, 8, v3
	v_or_b32_e32 v10, v10, v6
	v_or_b32_e32 v2, v2, v6
	v_xor_b32_e32 v33, v10, v9
	v_or_b32_e32 v10, 64, v7
	v_xor_b32_e32 v32, v2, v9
	v_xor_b32_e32 v10, v10, v8
	s_waitcnt lgkmcnt(0)
	s_barrier
	v_or_b32_e32 v13, v10, v6
	ds_read_b64 v[10:11], v32 offset:49152
	v_lshl_or_b32 v14, v88, 8, v27
	v_lshlrev_b32_e32 v28, 1, v14
	v_add_u32_e32 v12, 0x4000, v28
	ds_read2_b64 v[2:5], v12 offset1:16
	v_or_b32_e32 v7, 0x60, v7
	v_xor_b32_e32 v7, v7, v8
	v_or_b32_e32 v6, v7, v6
	v_xor_b32_e32 v34, v13, v9
	v_xor_b32_e32 v35, v6, v9
	ds_read_b64 v[22:23], v33 offset:49152
	ds_read_b64 v[36:37], v34 offset:49152
	;; [unrolled: 1-line block ×3, first 2 shown]
	s_waitcnt lgkmcnt(3)
	v_mfma_f32_16x16x16_bf16 a[0:3], v[10:11], v[2:3], 0
	ds_read2_b64 v[6:9], v12 offset0:32 offset1:48
	s_lshl_b64 s[0:1], s[44:45], 8
	s_add_u32 s4, s4, s0
	v_mfma_f32_16x16x16_bf16 a[4:7], v[10:11], v[4:5], 0
	ds_read2st64_b64 v[2:5], v28 offset0:36 offset1:40
	s_addc_u32 s5, s5, s1
	s_add_i32 s16, s12, -1
	s_waitcnt lgkmcnt(1)
	v_mfma_f32_16x16x16_bf16 a[8:11], v[10:11], v[6:7], 0
	v_or_b32_e32 v6, 64, v14
	v_lshlrev_b32_e32 v29, 1, v6
	s_add_i32 s0, s49, s21
	s_waitcnt lgkmcnt(0)
	v_mfma_f32_16x16x16_bf16 a[0:3], v[22:23], v[2:3], a[0:3]
	v_or_b32_e32 v2, 0x80, v14
	v_lshlrev_b32_e32 v30, 1, v2
	v_or_b32_e32 v2, 0xc0, v14
	v_mfma_f32_16x16x16_bf16 a[12:15], v[10:11], v[8:9], 0
	ds_read2st64_b64 v[6:9], v29 offset0:36 offset1:40
	v_lshlrev_b32_e32 v31, 1, v2
	ds_read2st64_b64 v[10:13], v30 offset0:36 offset1:40
	ds_read2st64_b64 v[14:17], v31 offset0:36 offset1:40
	s_mul_i32 s41, s41, s20
	s_add_i32 s41, s0, s41
	s_mul_i32 s0, s33, s23
	s_mul_hi_u32 s1, s33, s22
	s_ashr_i32 s2, s16, 31
	s_mul_i32 s3, s16, s39
	s_mul_hi_u32 s12, s16, s38
	s_waitcnt lgkmcnt(2)
	v_mfma_f32_16x16x16_bf16 a[4:7], v[22:23], v[6:7], a[4:7]
	s_add_i32 s0, s1, s0
	s_mul_i32 s1, s14, s22
	s_add_i32 s3, s12, s3
	s_mul_i32 s2, s2, s38
	s_waitcnt lgkmcnt(1)
	v_mfma_f32_16x16x16_bf16 a[8:11], v[22:23], v[10:11], a[8:11]
	s_add_i32 s1, s0, s1
	s_add_i32 s3, s3, s2
	s_lshl_b64 s[20:21], s[40:41], 2
	s_waitcnt lgkmcnt(0)
	v_mfma_f32_16x16x16_bf16 a[12:15], v[22:23], v[14:15], a[12:15]
	s_mul_i32 s0, s33, s22
	s_add_u32 s10, s10, s20
	s_addc_u32 s11, s11, s21
	s_lshl_b64 s[0:1], s[0:1], 2
	v_mfma_f32_16x16x16_bf16 a[0:3], v[36:37], v[4:5], a[0:3]
	s_mul_i32 s2, s16, s38
	ds_read_b64 v[2:3], v28 offset:22528
	s_add_u32 s10, s10, s0
	v_mfma_f32_16x16x16_bf16 a[4:7], v[36:37], v[8:9], a[4:7]
	ds_read_b64 v[4:5], v29 offset:22528
	ds_read_b64 v[6:7], v30 offset:22528
	;; [unrolled: 1-line block ×3, first 2 shown]
	s_addc_u32 s11, s11, s1
	s_lshl_b64 s[0:1], s[2:3], 2
	v_mfma_f32_16x16x16_bf16 a[8:11], v[36:37], v[12:13], a[8:11]
	s_add_u32 s0, s10, s0
	s_addc_u32 s1, s11, s1
	s_load_dword s12, s[0:1], 0x0
	v_mfma_f32_16x16x16_bf16 a[12:15], v[36:37], v[16:17], a[12:15]
	s_and_b64 vcc, exec, s[42:43]
	s_waitcnt lgkmcnt(0)
	v_mfma_f32_16x16x16_bf16 a[0:3], v[38:39], v[2:3], a[0:3]
	v_mfma_f32_16x16x16_bf16 a[4:7], v[38:39], v[4:5], a[4:7]
	;; [unrolled: 1-line block ×4, first 2 shown]
	s_cbranch_vccz .LBB29_43
; %bb.33:
	v_lshlrev_b32_e32 v22, 1, v19
	s_and_b64 vcc, exec, s[6:7]
	s_cbranch_vccz .LBB29_44
; %bb.34:
	v_cmp_gt_i32_e32 vcc, s47, v22
	v_mov_b32_e32 v6, 0
	v_mov_b32_e32 v2, 0
	;; [unrolled: 1-line block ×5, first 2 shown]
	s_and_saveexec_b64 s[0:1], vcc
	s_cbranch_execz .LBB29_36
; %bb.35:
	v_mad_i64_i32 v[2:3], s[2:3], s15, v22, 0
	v_lshl_add_u64 v[2:3], v[2:3], 1, s[4:5]
	v_lshlrev_b32_e32 v4, 1, v20
	v_mov_b32_e32 v5, 0
	v_lshl_add_u64 v[2:3], v[2:3], 0, v[4:5]
	global_load_dwordx4 v[2:5], v[2:3], off
.LBB29_36:
	s_or_b64 exec, exec, s[0:1]
	v_or_b32_e32 v23, 1, v22
	v_cmp_gt_i32_e64 s[0:1], s47, v23
	v_mov_b32_e32 v7, 0
	v_mov_b32_e32 v8, 0
	;; [unrolled: 1-line block ×3, first 2 shown]
	s_and_saveexec_b64 s[2:3], s[0:1]
	s_cbranch_execz .LBB29_38
; %bb.37:
	v_mad_i64_i32 v[6:7], s[20:21], s15, v23, 0
	v_lshl_add_u64 v[6:7], v[6:7], 1, s[4:5]
	v_lshlrev_b32_e32 v8, 1, v20
	v_mov_b32_e32 v9, 0
	v_lshl_add_u64 v[6:7], v[6:7], 0, v[8:9]
	global_load_dwordx4 v[6:9], v[6:7], off
.LBB29_38:
	s_or_b64 exec, exec, s[2:3]
	v_mov_b32_e32 v17, 0
	v_mov_b32_e32 v10, 0
	;; [unrolled: 1-line block ×5, first 2 shown]
	s_and_saveexec_b64 s[2:3], vcc
	s_cbranch_execz .LBB29_40
; %bb.39:
	v_mad_i64_i32 v[10:11], s[20:21], s15, v22, 0
	v_lshl_add_u64 v[10:11], v[10:11], 1, s[4:5]
	v_lshlrev_b32_e32 v12, 1, v20
	v_mov_b32_e32 v13, 0
	v_lshl_add_u64 v[10:11], v[10:11], 0, v[12:13]
	global_load_dwordx4 v[10:13], v[10:11], off offset:128
.LBB29_40:
	s_or_b64 exec, exec, s[2:3]
	v_mov_b32_e32 v16, 0
	v_mov_b32_e32 v15, 0
	;; [unrolled: 1-line block ×3, first 2 shown]
	s_and_saveexec_b64 s[2:3], s[0:1]
	s_cbranch_execz .LBB29_42
; %bb.41:
	v_mad_i64_i32 v[14:15], s[0:1], s15, v23, 0
	v_lshl_add_u64 v[14:15], v[14:15], 1, s[4:5]
	v_lshlrev_b32_e32 v16, 1, v20
	v_mov_b32_e32 v17, 0
	v_lshl_add_u64 v[14:15], v[14:15], 0, v[16:17]
	global_load_dwordx4 v[14:17], v[14:15], off offset:128
.LBB29_42:
	s_or_b64 exec, exec, s[2:3]
	s_branch .LBB29_46
.LBB29_43:
                                        ; implicit-def: $vgpr5
                                        ; implicit-def: $vgpr9
                                        ; implicit-def: $vgpr13
                                        ; implicit-def: $vgpr17
	v_lshrrev_b32_e32 v36, 2, v87
	s_branch .LBB29_47
.LBB29_44:
                                        ; implicit-def: $vgpr5
                                        ; implicit-def: $vgpr9
                                        ; implicit-def: $vgpr13
                                        ; implicit-def: $vgpr17
	s_cbranch_execz .LBB29_46
; %bb.45:
	s_waitcnt vmcnt(0)
	v_mad_u64_u32 v[2:3], s[0:1], v22, s15, v[20:21]
	v_lshlrev_b32_e32 v22, 1, v2
	s_lshl_b32 s2, s15, 7
	s_and_b32 s1, s5, 0xffff
	s_mov_b32 s3, 0x20000
	s_mov_b32 s0, s4
	v_add_lshl_u32 v23, v2, s15, 1
	s_movk_i32 s15, 0x80
	buffer_load_dwordx4 v[2:5], v22, s[0:3], 0 offen
	buffer_load_dwordx4 v[10:13], v22, s[0:3], s15 offen
	buffer_load_dwordx4 v[6:9], v23, s[0:3], 0 offen
	buffer_load_dwordx4 v[14:17], v23, s[0:3], s15 offen
.LBB29_46:
	v_lshrrev_b32_e32 v36, 2, v87
	s_cbranch_execnz .LBB29_59
.LBB29_47:
	s_and_b64 vcc, exec, s[6:7]
	s_cbranch_vccz .LBB29_57
; %bb.48:
	s_waitcnt vmcnt(0)
	v_lshlrev_b32_e32 v7, 1, v19
	v_cmp_gt_i32_e32 vcc, s47, v7
	v_mov_b32_e32 v6, 0
	v_lshlrev_b32_e32 v14, 9, v19
	v_mov_b32_e32 v2, 0
	v_mov_b32_e32 v3, 0
	;; [unrolled: 1-line block ×4, first 2 shown]
	s_and_saveexec_b64 s[0:1], vcc
	s_cbranch_execz .LBB29_50
; %bb.49:
	v_mov_b32_e32 v15, 0
	v_lshl_add_u64 v[2:3], s[4:5], 0, v[14:15]
	v_lshlrev_b32_e32 v4, 1, v20
	v_mov_b32_e32 v5, v15
	v_lshl_add_u64 v[2:3], v[2:3], 0, v[4:5]
	global_load_dwordx4 v[2:5], v[2:3], off
.LBB29_50:
	s_or_b64 exec, exec, s[0:1]
	v_or_b32_e32 v7, 1, v7
	v_cmp_gt_i32_e64 s[0:1], s47, v7
	v_lshlrev_b32_e32 v22, 8, v7
	v_mov_b32_e32 v7, 0
	v_mov_b32_e32 v8, 0
	;; [unrolled: 1-line block ×3, first 2 shown]
	s_and_saveexec_b64 s[2:3], s[0:1]
	s_cbranch_execz .LBB29_52
; %bb.51:
	v_mov_b32_e32 v23, 0
	v_lshl_add_u64 v[6:7], s[4:5], 0, v[22:23]
	v_lshlrev_b32_e32 v8, 1, v20
	v_mov_b32_e32 v9, v23
	v_lshl_add_u64 v[6:7], v[6:7], 0, v[8:9]
	global_load_dwordx4 v[6:9], v[6:7], off
.LBB29_52:
	s_or_b64 exec, exec, s[2:3]
	v_mov_b32_e32 v17, 0
	v_mov_b32_e32 v10, 0
	;; [unrolled: 1-line block ×5, first 2 shown]
	s_and_saveexec_b64 s[2:3], vcc
	s_cbranch_execz .LBB29_54
; %bb.53:
	v_mov_b32_e32 v15, 0
	v_lshl_add_u64 v[10:11], s[4:5], 0, v[14:15]
	v_lshlrev_b32_e32 v14, 1, v20
	v_lshl_add_u64 v[10:11], v[10:11], 0, v[14:15]
	global_load_dwordx4 v[10:13], v[10:11], off offset:128
.LBB29_54:
	s_or_b64 exec, exec, s[2:3]
	v_mov_b32_e32 v16, 0
	v_mov_b32_e32 v15, 0
	;; [unrolled: 1-line block ×3, first 2 shown]
	s_and_saveexec_b64 s[2:3], s[0:1]
	s_cbranch_execz .LBB29_56
; %bb.55:
	v_mov_b32_e32 v23, 0
	v_lshl_add_u64 v[14:15], s[4:5], 0, v[22:23]
	v_lshlrev_b32_e32 v22, 1, v20
	v_lshl_add_u64 v[14:15], v[14:15], 0, v[22:23]
	global_load_dwordx4 v[14:17], v[14:15], off offset:128
.LBB29_56:
	s_or_b64 exec, exec, s[2:3]
	s_branch .LBB29_59
.LBB29_57:
                                        ; implicit-def: $vgpr5
                                        ; implicit-def: $vgpr9
                                        ; implicit-def: $vgpr13
                                        ; implicit-def: $vgpr17
	s_cbranch_execz .LBB29_59
; %bb.58:
	s_waitcnt vmcnt(0)
	v_lshlrev_b32_e32 v2, 1, v20
	v_lshl_or_b32 v20, v19, 9, v2
	s_and_b32 s5, s5, 0xffff
	s_mov_b32 s7, 0x20000
	s_movk_i32 s6, 0x4000
	s_movk_i32 s0, 0x80
	buffer_load_dwordx4 v[2:5], v20, s[4:7], 0 offen
	buffer_load_dwordx4 v[6:9], v20, s[4:7], 0 offen offset:256
	buffer_load_dwordx4 v[10:13], v20, s[4:7], s0 offen
	buffer_load_dwordx4 v[14:17], v20, s[4:7], s0 offen offset:256
.LBB29_59:
	ds_read_b64 v[22:23], v32 offset:57344
	v_add_u32_e32 v20, 0x6000, v28
	ds_read2_b64 v[38:41], v20 offset1:16
	ds_read_b64 v[82:83], v33 offset:57344
	ds_read_b64 v[84:85], v34 offset:57344
	;; [unrolled: 1-line block ×3, first 2 shown]
	ds_read2_b64 v[32:35], v20 offset0:32 offset1:48
	v_and_b32_e32 v20, 12, v36
	v_and_b32_e32 v44, 6, v0
	v_xor_b32_e32 v19, v19, v44
	v_lshlrev_b32_e32 v19, 2, v19
	s_mov_b32 s0, 0x1000504
	s_waitcnt lgkmcnt(4)
	v_mfma_f32_16x16x16_bf16 a[4:7], v[22:23], v[40:41], a[4:7]
	s_mov_b32 s1, 0x3020706
	v_mfma_f32_16x16x16_bf16 a[0:3], v[22:23], v[38:39], a[0:3]
	ds_read2st64_b64 v[36:39], v28 offset0:52 offset1:56
	s_waitcnt lgkmcnt(1)
	v_mfma_f32_16x16x16_bf16 a[8:11], v[22:23], v[32:33], a[8:11]
	v_mfma_f32_16x16x16_bf16 a[12:15], v[22:23], v[34:35], a[12:15]
	ds_read2st64_b64 v[32:35], v29 offset0:52 offset1:56
	ds_read2st64_b64 v[40:43], v30 offset0:52 offset1:56
	;; [unrolled: 1-line block ×3, first 2 shown]
	s_waitcnt lgkmcnt(2)
	v_mfma_f32_16x16x16_bf16 a[4:7], v[82:83], v[32:33], a[4:7]
	v_and_b32_e32 v32, 1, v0
	v_xor_b32_e32 v33, 0x440, v19
	v_cmp_eq_u32_e32 vcc, 0, v32
	v_mfma_f32_16x16x16_bf16 a[0:3], v[82:83], v[36:37], a[0:3]
	s_waitcnt vmcnt(0)
	v_perm_b32 v32, v2, v6, s0
	v_cndmask_b32_e32 v19, v33, v19, vcc
	v_lshl_or_b32 v19, v44, 10, v19
	s_waitcnt lgkmcnt(1)
	v_mfma_f32_16x16x16_bf16 a[8:11], v[82:83], v[40:41], a[8:11]
	v_perm_b32 v33, v10, v14, s0
	ds_read_b64 v[22:23], v28 offset:30720
	ds_read_b64 v[36:37], v29 offset:30720
	;; [unrolled: 1-line block ×4, first 2 shown]
	ds_write2st64_b32 v19, v32, v33 offset0:128 offset1:160
	s_waitcnt lgkmcnt(5)
	v_mfma_f32_16x16x16_bf16 a[12:15], v[82:83], v[78:79], a[12:15]
	v_xor_b32_e32 v32, 8, v19
	v_perm_b32 v2, v2, v6, s1
	v_perm_b32 v6, v10, v14, s1
	v_add_u32_e32 v10, 0x80, v32
	ds_write2st64_b32 v10, v2, v6 offset0:128 offset1:160
	v_xor_b32_e32 v2, 16, v19
	v_perm_b32 v6, v3, v7, s0
	v_perm_b32 v10, v11, v15, s0
	v_mfma_f32_16x16x16_bf16 a[0:3], v[84:85], v[38:39], a[0:3]
	ds_write2st64_b32 v2, v6, v10 offset0:129 offset1:161
	v_xor_b32_e32 v2, 24, v19
	v_perm_b32 v3, v3, v7, s1
	v_mfma_f32_16x16x16_bf16 a[4:7], v[84:85], v[34:35], a[4:7]
	v_perm_b32 v6, v11, v15, s1
	v_add_u32_e32 v2, 0x80, v2
	ds_write2st64_b32 v2, v3, v6 offset0:129 offset1:161
	v_mfma_f32_16x16x16_bf16 a[16:19], v[84:85], v[42:43], a[8:11]
	v_xor_b32_e32 v2, 32, v19
	v_perm_b32 v3, v4, v8, s0
	v_perm_b32 v6, v12, v16, s0
	v_mfma_f32_16x16x16_bf16 a[20:23], v[84:85], v[80:81], a[12:15]
	ds_write2st64_b32 v2, v3, v6 offset0:130 offset1:162
	v_xor_b32_e32 v2, 40, v19
	v_perm_b32 v3, v4, v8, s1
	s_waitcnt lgkmcnt(8)
	v_mfma_f32_16x16x16_bf16 a[12:15], v[88:89], v[22:23], a[0:3]
	v_perm_b32 v4, v12, v16, s1
	v_add_u32_e32 v2, 0x80, v2
	ds_write2st64_b32 v2, v3, v4 offset0:130 offset1:162
	s_waitcnt lgkmcnt(8)
	v_mfma_f32_16x16x16_bf16 a[8:11], v[88:89], v[36:37], a[4:7]
	v_xor_b32_e32 v2, 48, v19
	v_perm_b32 v3, v5, v9, s0
	v_perm_b32 v4, v13, v17, s0
	s_waitcnt lgkmcnt(7)
	v_mfma_f32_16x16x16_bf16 a[4:7], v[88:89], v[90:91], a[16:19]
	ds_write2st64_b32 v2, v3, v4 offset0:131 offset1:163
	v_xor_b32_e32 v2, 56, v19
	v_or_b32_e32 v22, v20, v86
	s_waitcnt lgkmcnt(7)
	v_mfma_f32_16x16x16_bf16 a[0:3], v[88:89], v[92:93], a[20:23]
	v_perm_b32 v3, v5, v9, s1
	v_perm_b32 v4, v13, v17, s1
	v_add_u32_e32 v2, 0x80, v2
	v_cmp_gt_i32_e64 s[0:1], s47, v22
	v_mov_b32_e32 v32, 0
	v_mov_b32_e32 v33, 0
	ds_write2st64_b32 v2, v3, v4 offset0:131 offset1:163
	s_and_saveexec_b64 s[2:3], s[0:1]
	s_cbranch_execz .LBB29_61
; %bb.60:
	v_add_u32_e32 v2, s46, v22
	v_ashrrev_i32_e32 v3, 31, v2
	v_mul_lo_u32 v4, v3, s38
	v_mul_lo_u32 v5, v2, s39
	v_mad_u64_u32 v[2:3], s[4:5], v2, s38, 0
	v_add3_u32 v3, v3, v5, v4
	v_lshl_add_u64 v[2:3], v[2:3], 2, s[10:11]
	global_load_dword v2, v[2:3], off
	s_waitcnt vmcnt(0)
	v_sub_f32_e32 v2, s12, v2
	v_exp_f32_e32 v33, v2
.LBB29_61:
	s_or_b64 exec, exec, s[2:3]
	v_or_b32_e32 v14, 1, v22
	v_cmp_gt_i32_e64 s[4:5], s47, v14
	s_and_saveexec_b64 s[2:3], s[4:5]
	s_cbranch_execz .LBB29_63
; %bb.62:
	v_add_u32_e32 v2, s46, v14
	v_ashrrev_i32_e32 v3, 31, v2
	v_mul_lo_u32 v4, v3, s38
	v_mul_lo_u32 v5, v2, s39
	v_mad_u64_u32 v[2:3], s[6:7], v2, s38, 0
	v_add3_u32 v3, v3, v5, v4
	v_lshl_add_u64 v[2:3], v[2:3], 2, s[10:11]
	global_load_dword v2, v[2:3], off
	s_waitcnt vmcnt(0)
	v_sub_f32_e32 v2, s12, v2
	v_exp_f32_e32 v32, v2
.LBB29_63:
	s_or_b64 exec, exec, s[2:3]
	v_or_b32_e32 v10, 2, v22
	v_cmp_gt_i32_e64 s[2:3], s47, v10
	v_mov_b32_e32 v23, 0
	v_mov_b32_e32 v34, 0
	s_and_saveexec_b64 s[6:7], s[2:3]
	s_cbranch_execz .LBB29_65
; %bb.64:
	v_add_u32_e32 v2, s46, v10
	v_ashrrev_i32_e32 v3, 31, v2
	v_mul_lo_u32 v4, v3, s38
	v_mul_lo_u32 v5, v2, s39
	v_mad_u64_u32 v[2:3], s[20:21], v2, s38, 0
	v_add3_u32 v3, v3, v5, v4
	v_lshl_add_u64 v[2:3], v[2:3], 2, s[10:11]
	global_load_dword v2, v[2:3], off
	s_waitcnt vmcnt(0)
	v_sub_f32_e32 v2, s12, v2
	v_exp_f32_e32 v34, v2
.LBB29_65:
	s_or_b64 exec, exec, s[6:7]
	v_or_b32_e32 v11, 3, v22
	v_cmp_gt_i32_e32 vcc, s47, v11
	s_and_saveexec_b64 s[6:7], vcc
	s_cbranch_execz .LBB29_67
; %bb.66:
	v_add_u32_e32 v2, s46, v11
	v_ashrrev_i32_e32 v3, 31, v2
	v_mul_lo_u32 v4, v3, s38
	v_mul_lo_u32 v5, v2, s39
	v_mad_u64_u32 v[2:3], s[20:21], v2, s38, 0
	v_add3_u32 v3, v3, v5, v4
	v_lshl_add_u64 v[2:3], v[2:3], 2, s[10:11]
	global_load_dword v2, v[2:3], off
	s_waitcnt vmcnt(0)
	v_sub_f32_e32 v2, s12, v2
	v_exp_f32_e32 v23, v2
.LBB29_67:
	s_or_b64 exec, exec, s[6:7]
	s_add_u32 s6, s8, s30
	s_addc_u32 s7, s9, s31
	s_add_u32 s8, s18, s30
	v_ashrrev_i32_e32 v19, 31, v18
	v_accvgpr_read_b32 v2, a12
	s_addc_u32 s9, s19, s31
	v_lshlrev_b64 v[6:7], 1, v[18:19]
	v_accvgpr_read_b32 v3, a13
	v_accvgpr_read_b32 v4, a14
	;; [unrolled: 1-line block ×3, first 2 shown]
	v_lshl_add_u64 v[8:9], s[6:7], 0, v[6:7]
	v_lshl_add_u64 v[6:7], s[8:9], 0, v[6:7]
	v_mov_b32_e32 v15, 0
	v_lshlrev_b32_e32 v12, 8, v22
	v_mov_b32_e32 v13, 0
	s_and_saveexec_b64 s[6:7], s[0:1]
	s_cbranch_execz .LBB29_69
; %bb.68:
	v_mov_b32_e32 v13, 0
	v_lshl_add_u64 v[16:17], v[8:9], 0, v[12:13]
	global_load_ushort v19, v[16:17], off
	v_lshl_add_u64 v[16:17], v[6:7], 0, v[12:13]
	s_waitcnt vmcnt(0)
	v_lshlrev_b32_e32 v13, 16, v19
	v_sub_f32_e32 v2, v13, v2
	global_store_short_d16_hi v[16:17], v2, off
	v_mul_f32_e32 v2, v33, v2
	v_lshrrev_b32_e32 v13, 16, v2
.LBB29_69:
	s_or_b64 exec, exec, s[6:7]
	v_lshlrev_b32_e32 v14, 8, v14
	s_and_saveexec_b64 s[6:7], s[4:5]
	s_cbranch_execz .LBB29_71
; %bb.70:
	v_mov_b32_e32 v15, 0
	v_lshl_add_u64 v[16:17], v[8:9], 0, v[14:15]
	global_load_ushort v2, v[16:17], off
	v_lshl_add_u64 v[16:17], v[6:7], 0, v[14:15]
	s_waitcnt vmcnt(0)
	v_lshlrev_b32_e32 v2, 16, v2
	v_sub_f32_e32 v2, v2, v3
	global_store_short_d16_hi v[16:17], v2, off
	v_mul_f32_e32 v2, v32, v2
	v_lshrrev_b32_e32 v15, 16, v2
.LBB29_71:
	s_or_b64 exec, exec, s[6:7]
	v_mov_b32_e32 v35, 0
	v_lshlrev_b32_e32 v16, 8, v10
	v_mov_b32_e32 v17, 0
	s_and_saveexec_b64 s[6:7], s[2:3]
	s_cbranch_execz .LBB29_73
; %bb.72:
	v_mov_b32_e32 v17, 0
	v_lshl_add_u64 v[2:3], v[8:9], 0, v[16:17]
	global_load_ushort v10, v[2:3], off
	v_lshl_add_u64 v[2:3], v[6:7], 0, v[16:17]
	s_waitcnt vmcnt(0)
	v_lshlrev_b32_e32 v10, 16, v10
	v_sub_f32_e32 v4, v10, v4
	global_store_short_d16_hi v[2:3], v4, off
	v_mul_f32_e32 v2, v34, v4
	v_lshrrev_b32_e32 v17, 16, v2
.LBB29_73:
	s_or_b64 exec, exec, s[6:7]
	v_lshlrev_b32_e32 v10, 8, v11
	s_and_saveexec_b64 s[6:7], vcc
	s_cbranch_execz .LBB29_75
; %bb.74:
	v_mov_b32_e32 v11, 0
	v_lshl_add_u64 v[2:3], v[8:9], 0, v[10:11]
	global_load_ushort v4, v[2:3], off
	v_lshl_add_u64 v[2:3], v[6:7], 0, v[10:11]
	s_waitcnt vmcnt(0)
	v_lshlrev_b32_e32 v4, 16, v4
	v_sub_f32_e32 v4, v4, v5
	global_store_short_d16_hi v[2:3], v4, off
	v_mul_f32_e32 v2, v23, v4
	v_lshrrev_b32_e32 v35, 16, v2
.LBB29_75:
	s_or_b64 exec, exec, s[6:7]
	v_lshlrev_b32_e32 v19, 6, v22
	v_accvgpr_read_b32 v2, a8
	s_mov_b32 s6, 0x5040100
	v_or_b32_e32 v11, v19, v27
	v_accvgpr_read_b32 v3, a9
	v_accvgpr_read_b32 v4, a10
	;; [unrolled: 1-line block ×3, first 2 shown]
	v_perm_b32 v37, v35, v17, s6
	v_perm_b32 v36, v15, v13, s6
	v_lshlrev_b32_e32 v11, 1, v11
	v_mov_b32_e32 v15, 0
	v_mov_b32_e32 v13, 0
	ds_write_b64 v11, v[36:37] offset:24576
	s_and_saveexec_b64 s[6:7], s[0:1]
	s_cbranch_execz .LBB29_77
; %bb.76:
	v_mov_b32_e32 v13, 0
	v_lshl_add_u64 v[36:37], v[8:9], 0, v[12:13]
	global_load_ushort v11, v[36:37], off offset:32
	v_lshl_add_u64 v[36:37], v[6:7], 0, v[12:13]
	s_waitcnt vmcnt(0)
	v_lshlrev_b32_e32 v11, 16, v11
	v_sub_f32_e32 v2, v11, v2
	global_store_short_d16_hi v[36:37], v2, off offset:32
	v_mul_f32_e32 v2, v33, v2
	v_lshrrev_b32_e32 v13, 16, v2
.LBB29_77:
	s_or_b64 exec, exec, s[6:7]
	s_and_saveexec_b64 s[6:7], s[4:5]
	s_cbranch_execz .LBB29_79
; %bb.78:
	v_mov_b32_e32 v15, 0
	v_lshl_add_u64 v[36:37], v[8:9], 0, v[14:15]
	global_load_ushort v2, v[36:37], off offset:32
	v_lshl_add_u64 v[36:37], v[6:7], 0, v[14:15]
	s_waitcnt vmcnt(0)
	v_lshlrev_b32_e32 v2, 16, v2
	v_sub_f32_e32 v2, v2, v3
	global_store_short_d16_hi v[36:37], v2, off offset:32
	v_mul_f32_e32 v2, v32, v2
	v_lshrrev_b32_e32 v15, 16, v2
.LBB29_79:
	s_or_b64 exec, exec, s[6:7]
	v_mov_b32_e32 v11, 0
	v_mov_b32_e32 v17, 0
	s_and_saveexec_b64 s[6:7], s[2:3]
	s_cbranch_execz .LBB29_81
; %bb.80:
	v_mov_b32_e32 v17, 0
	v_lshl_add_u64 v[2:3], v[8:9], 0, v[16:17]
	global_load_ushort v27, v[2:3], off offset:32
	v_lshl_add_u64 v[2:3], v[6:7], 0, v[16:17]
	s_waitcnt vmcnt(0)
	v_lshlrev_b32_e32 v17, 16, v27
	v_sub_f32_e32 v4, v17, v4
	global_store_short_d16_hi v[2:3], v4, off offset:32
	v_mul_f32_e32 v2, v34, v4
	v_lshrrev_b32_e32 v17, 16, v2
.LBB29_81:
	s_or_b64 exec, exec, s[6:7]
	s_and_saveexec_b64 s[6:7], vcc
	s_cbranch_execz .LBB29_83
; %bb.82:
	v_mov_b32_e32 v11, 0
	v_lshl_add_u64 v[2:3], v[8:9], 0, v[10:11]
	global_load_ushort v4, v[2:3], off offset:32
	v_lshl_add_u64 v[2:3], v[6:7], 0, v[10:11]
	s_waitcnt vmcnt(0)
	v_lshlrev_b32_e32 v4, 16, v4
	v_sub_f32_e32 v4, v4, v5
	global_store_short_d16_hi v[2:3], v4, off offset:32
	v_mul_f32_e32 v2, v23, v4
	v_lshrrev_b32_e32 v11, 16, v2
.LBB29_83:
	s_or_b64 exec, exec, s[6:7]
	s_mov_b32 s6, 0x5040100
	v_accvgpr_read_b32 v2, a4
	v_perm_b32 v37, v11, v17, s6
	v_or_b32_e32 v11, v19, v25
	v_accvgpr_read_b32 v3, a5
	v_accvgpr_read_b32 v4, a6
	;; [unrolled: 1-line block ×3, first 2 shown]
	v_perm_b32 v36, v15, v13, s6
	v_lshlrev_b32_e32 v11, 1, v11
	v_mov_b32_e32 v15, 0
	v_mov_b32_e32 v13, 0
	ds_write_b64 v11, v[36:37] offset:24576
	s_and_saveexec_b64 s[6:7], s[0:1]
	s_cbranch_execz .LBB29_85
; %bb.84:
	v_mov_b32_e32 v13, 0
	v_lshl_add_u64 v[36:37], v[8:9], 0, v[12:13]
	global_load_ushort v11, v[36:37], off offset:64
	v_lshl_add_u64 v[36:37], v[6:7], 0, v[12:13]
	s_waitcnt vmcnt(0)
	v_lshlrev_b32_e32 v11, 16, v11
	v_sub_f32_e32 v2, v11, v2
	global_store_short_d16_hi v[36:37], v2, off offset:64
	v_mul_f32_e32 v2, v33, v2
	v_lshrrev_b32_e32 v13, 16, v2
.LBB29_85:
	s_or_b64 exec, exec, s[6:7]
	s_and_saveexec_b64 s[6:7], s[4:5]
	s_cbranch_execz .LBB29_87
; %bb.86:
	v_mov_b32_e32 v15, 0
	v_lshl_add_u64 v[36:37], v[8:9], 0, v[14:15]
	global_load_ushort v2, v[36:37], off offset:64
	v_lshl_add_u64 v[36:37], v[6:7], 0, v[14:15]
	s_waitcnt vmcnt(0)
	v_lshlrev_b32_e32 v2, 16, v2
	v_sub_f32_e32 v2, v2, v3
	global_store_short_d16_hi v[36:37], v2, off offset:64
	v_mul_f32_e32 v2, v32, v2
	v_lshrrev_b32_e32 v15, 16, v2
.LBB29_87:
	s_or_b64 exec, exec, s[6:7]
	v_mov_b32_e32 v11, 0
	v_mov_b32_e32 v17, 0
	s_and_saveexec_b64 s[6:7], s[2:3]
	s_cbranch_execz .LBB29_89
; %bb.88:
	v_mov_b32_e32 v17, 0
	v_lshl_add_u64 v[2:3], v[8:9], 0, v[16:17]
	global_load_ushort v25, v[2:3], off offset:64
	v_lshl_add_u64 v[2:3], v[6:7], 0, v[16:17]
	s_waitcnt vmcnt(0)
	v_lshlrev_b32_e32 v17, 16, v25
	v_sub_f32_e32 v4, v17, v4
	global_store_short_d16_hi v[2:3], v4, off offset:64
	v_mul_f32_e32 v2, v34, v4
	v_lshrrev_b32_e32 v17, 16, v2
.LBB29_89:
	s_or_b64 exec, exec, s[6:7]
	s_and_saveexec_b64 s[6:7], vcc
	s_cbranch_execz .LBB29_91
; %bb.90:
	v_mov_b32_e32 v11, 0
	v_lshl_add_u64 v[2:3], v[8:9], 0, v[10:11]
	global_load_ushort v4, v[2:3], off offset:64
	v_lshl_add_u64 v[2:3], v[6:7], 0, v[10:11]
	s_waitcnt vmcnt(0)
	v_lshlrev_b32_e32 v4, 16, v4
	v_sub_f32_e32 v4, v4, v5
	global_store_short_d16_hi v[2:3], v4, off offset:64
	v_mul_f32_e32 v2, v23, v4
	v_lshrrev_b32_e32 v11, 16, v2
.LBB29_91:
	s_or_b64 exec, exec, s[6:7]
	s_mov_b32 s6, 0x5040100
	v_accvgpr_read_b32 v5, a3
	v_perm_b32 v37, v11, v17, s6
	v_or_b32_e32 v11, v19, v24
	v_accvgpr_read_b32 v4, a2
	v_accvgpr_read_b32 v3, a1
	;; [unrolled: 1-line block ×3, first 2 shown]
	v_perm_b32 v36, v15, v13, s6
	v_lshlrev_b32_e32 v11, 1, v11
	v_mov_b32_e32 v15, 0
	v_mov_b32_e32 v13, 0
	ds_write_b64 v11, v[36:37] offset:24576
	s_and_saveexec_b64 s[6:7], s[0:1]
	s_cbranch_execz .LBB29_93
; %bb.92:
	v_mov_b32_e32 v13, 0
	v_lshl_add_u64 v[24:25], v[8:9], 0, v[12:13]
	global_load_ushort v11, v[24:25], off offset:96
	v_lshl_add_u64 v[12:13], v[6:7], 0, v[12:13]
	s_waitcnt vmcnt(0)
	v_lshlrev_b32_e32 v11, 16, v11
	v_sub_f32_e32 v2, v11, v2
	global_store_short_d16_hi v[12:13], v2, off offset:96
	v_mul_f32_e32 v2, v33, v2
	v_lshrrev_b32_e32 v13, 16, v2
.LBB29_93:
	s_or_b64 exec, exec, s[6:7]
	s_and_saveexec_b64 s[0:1], s[4:5]
	s_cbranch_execz .LBB29_95
; %bb.94:
	v_mov_b32_e32 v15, 0
	v_lshl_add_u64 v[24:25], v[8:9], 0, v[14:15]
	global_load_ushort v2, v[24:25], off offset:96
	v_lshl_add_u64 v[14:15], v[6:7], 0, v[14:15]
	s_waitcnt vmcnt(0)
	v_lshlrev_b32_e32 v2, 16, v2
	v_sub_f32_e32 v2, v2, v3
	global_store_short_d16_hi v[14:15], v2, off offset:96
	v_mul_f32_e32 v2, v32, v2
	v_lshrrev_b32_e32 v15, 16, v2
.LBB29_95:
	s_or_b64 exec, exec, s[0:1]
	v_mov_b32_e32 v11, 0
	v_mov_b32_e32 v14, 0
	s_and_saveexec_b64 s[0:1], s[2:3]
	s_cbranch_execz .LBB29_97
; %bb.96:
	v_mov_b32_e32 v17, 0
	v_lshl_add_u64 v[2:3], v[8:9], 0, v[16:17]
	global_load_ushort v12, v[2:3], off offset:96
	v_lshl_add_u64 v[2:3], v[6:7], 0, v[16:17]
	s_waitcnt vmcnt(0)
	v_lshlrev_b32_e32 v12, 16, v12
	v_sub_f32_e32 v4, v12, v4
	global_store_short_d16_hi v[2:3], v4, off offset:96
	v_mul_f32_e32 v2, v34, v4
	v_lshrrev_b32_e32 v14, 16, v2
.LBB29_97:
	s_or_b64 exec, exec, s[0:1]
	v_or_b32_e32 v12, 0x6000, v28
	v_or_b32_e32 v2, 0x6000, v29
	;; [unrolled: 1-line block ×4, first 2 shown]
	s_and_saveexec_b64 s[0:1], vcc
	s_cbranch_execz .LBB29_99
; %bb.98:
	v_mov_b32_e32 v11, 0
	v_lshl_add_u64 v[8:9], v[8:9], 0, v[10:11]
	global_load_ushort v8, v[8:9], off offset:96
	v_lshl_add_u64 v[6:7], v[6:7], 0, v[10:11]
	s_waitcnt vmcnt(0)
	v_lshlrev_b32_e32 v8, 16, v8
	v_sub_f32_e32 v5, v8, v5
	global_store_short_d16_hi v[6:7], v5, off offset:96
	v_mul_f32_e32 v5, v23, v5
	v_lshrrev_b32_e32 v11, 16, v5
.LBB29_99:
	s_or_b64 exec, exec, s[0:1]
	s_mov_b32 s0, 0x5040100
	v_or_b32_e32 v5, v19, v21
	v_perm_b32 v7, v11, v14, s0
	v_perm_b32 v6, v15, v13, s0
	v_lshlrev_b32_e32 v5, 1, v5
	ds_write_b64 v5, v[6:7] offset:24576
	v_and_b32_e32 v5, 7, v0
	v_and_b32_e32 v10, 8, v0
	v_lshlrev_b32_e32 v13, 3, v5
	v_lshlrev_b32_e32 v19, 7, v5
	v_lshrrev_b32_e32 v5, 1, v0
	v_and_b32_e32 v5, 24, v5
	v_mov_b32_e32 v11, 0x400
	v_cmp_eq_u32_e32 vcc, 0, v10
	s_movk_i32 s2, 0x100
	v_lshlrev_b32_e32 v23, 3, v45
	v_cndmask_b32_e64 v21, v11, 64, vcc
	v_mov_b32_e32 v10, 0xa000
	v_mov_b32_e32 v11, 0x8000
	v_cmp_gt_u32_e64 s[0:1], s2, v0
	v_xor_b32_e32 v27, v23, v5
	v_or_b32_e32 v14, 32, v5
	v_cndmask_b32_e64 v0, v10, v11, s[0:1]
	v_or_b32_e32 v10, 0x440, v27
	v_cndmask_b32_e32 v10, v10, v27, vcc
	v_or_b32_e32 v10, v10, v26
	v_xor_b32_e32 v44, v10, v13
	v_xor_b32_e32 v14, v23, v14
	v_add3_u32 v10, v0, v44, v19
	v_or_b32_e32 v15, 0x440, v14
	s_waitcnt lgkmcnt(0)
	s_barrier
	ds_read_b64 v[10:11], v10
	v_cndmask_b32_e32 v14, v15, v14, vcc
	v_or_b32_e32 v14, v14, v26
	v_xor_b32_e32 v84, v14, v13
	v_add3_u32 v14, v0, v84, v19
	ds_read_b64 v[24:25], v14
	ds_read2_b64 v[6:9], v12 offset1:16
	ds_read2_b64 v[14:17], v12 offset0:32 offset1:48
	v_or_b32_e32 v5, 0x60, v5
	v_xor_b32_e32 v5, v23, v5
	s_add_i32 s0, s16, s48
	s_waitcnt lgkmcnt(1)
	v_mfma_f32_16x16x16_bf16 a[0:3], v[10:11], v[6:7], 0
	ds_read2st64_b64 v[28:31], v12 offset0:4 offset1:8
	ds_read2st64_b64 v[32:35], v2 offset0:4 offset1:8
	;; [unrolled: 1-line block ×4, first 2 shown]
	v_mfma_f32_16x16x16_bf16 a[4:7], v[10:11], v[8:9], 0
	s_mul_hi_i32 s1, s0, s13
	s_mul_i32 s0, s0, s13
	s_add_u32 s0, s0, s33
	s_waitcnt lgkmcnt(4)
	v_mfma_f32_16x16x16_bf16 a[8:11], v[10:11], v[14:15], 0
	s_addc_u32 s1, s1, s14
	s_lshl_b64 s[0:1], s[0:1], 9
	s_add_u32 s0, s36, s0
	v_mfma_f32_16x16x16_bf16 a[12:15], v[10:11], v[16:17], 0
	v_or3_b32 v10, v26, v21, v27
	v_xor_b32_e32 v21, 0x440, v5
	v_xor_b32_e32 v10, v10, v13
	v_cndmask_b32_e32 v5, v21, v5, vcc
	v_or_b32_e32 v85, v10, v19
	v_or_b32_e32 v5, v5, v26
	;; [unrolled: 1-line block ×3, first 2 shown]
	v_xor_b32_e32 v13, v5, v13
	ds_read_b64 v[10:11], v10
	v_add3_u32 v0, v0, v13, v19
	s_waitcnt lgkmcnt(4)
	v_mfma_f32_16x16x16_bf16 a[0:3], v[24:25], v[28:29], a[0:3]
	s_addc_u32 s1, s37, s1
	ds_read_b64 v[26:27], v12 offset:6144
	s_waitcnt lgkmcnt(4)
	v_mfma_f32_16x16x16_bf16 a[4:7], v[24:25], v[32:33], a[4:7]
	s_waitcnt lgkmcnt(3)
	v_mfma_f32_16x16x16_bf16 a[8:11], v[24:25], v[36:37], a[8:11]
	;; [unrolled: 2-line block ×3, first 2 shown]
	ds_read_b64 v[24:25], v0
	v_lshlrev_b32_e32 v0, 2, v22
	ds_read_b64 v[78:79], v2 offset:6144
	ds_read_b64 v[80:81], v3 offset:6144
	ds_read_b64 v[82:83], v4 offset:6144
	global_load_dwordx4 v[2:5], v0, s[0:1]
	s_waitcnt lgkmcnt(5)
	v_mfma_f32_16x16x16_bf16 a[0:3], v[10:11], v[30:31], a[0:3]
	v_add_u32_e32 v0, v44, v19
	ds_read_b64 v[22:23], v0 offset:40960
	v_lshlrev_b32_e32 v0, 6, v45
	v_mfma_f32_16x16x16_bf16 a[4:7], v[10:11], v[34:35], a[4:7]
	s_waitcnt vmcnt(0)
	v_exp_f32_e32 v4, v4
	v_mfma_f32_16x16x16_bf16 a[8:11], v[10:11], v[38:39], a[8:11]
	v_exp_f32_e32 v5, v5
	v_exp_f32_e32 v2, v2
	;; [unrolled: 1-line block ×3, first 2 shown]
	v_mfma_f32_16x16x16_bf16 a[12:15], v[10:11], v[42:43], a[12:15]
	v_lshlrev_b32_e32 v10, 2, v20
	v_or3_b32 v0, v0, v10, s2
	v_add_u32_e32 v10, v84, v19
	v_add_u32_e32 v11, v13, v19
	s_waitcnt lgkmcnt(4)
	v_mfma_f32_16x16x16_bf16 a[0:3], v[24:25], v[26:27], a[0:3]
	s_waitcnt lgkmcnt(3)
	v_mfma_f32_16x16x16_bf16 a[4:7], v[24:25], v[78:79], a[4:7]
	;; [unrolled: 2-line block ×4, first 2 shown]
	ds_read_b64 v[20:21], v10 offset:40960
	ds_read_b64 v[24:25], v11 offset:40960
	global_load_dwordx4 v[10:13], v0, s[0:1]
	v_exp_f32_e32 v0, s12
	s_waitcnt lgkmcnt(2)
	v_mfma_f32_16x16x16_bf16 a[28:31], v[22:23], v[16:17], 0
	ds_read_b64 v[16:17], v85 offset:40960
	v_pk_mul_f32 v[2:3], v[0:1], v[2:3] op_sel_hi:[0,1]
	v_mfma_f32_16x16x16_bf16 a[16:19], v[22:23], v[6:7], 0
	v_pk_mul_f32 v[6:7], v[0:1], v[4:5] op_sel_hi:[0,1]
	v_accvgpr_read_b32 v5, a3
	v_accvgpr_read_b32 v4, a2
	v_mfma_f32_16x16x16_bf16 a[20:23], v[22:23], v[8:9], 0
	v_pk_fma_f32 v[76:77], v[76:77], v[6:7], v[4:5]
	v_accvgpr_read_b32 v4, a4
	v_accvgpr_read_b32 v5, a5
	v_mfma_f32_16x16x16_bf16 a[24:27], v[22:23], v[14:15], 0
	v_pk_fma_f32 v[66:67], v[2:3], v[66:67], v[4:5]
	v_accvgpr_read_b32 v4, a8
	v_accvgpr_read_b32 v5, a9
	s_waitcnt lgkmcnt(2)
	v_mfma_f32_16x16x16_bf16 a[16:19], v[20:21], v[28:29], a[16:19]
	v_accvgpr_read_b32 v9, a7
	v_accvgpr_read_b32 v8, a6
	;; [unrolled: 1-line block ×3, first 2 shown]
	v_mfma_f32_16x16x16_bf16 a[20:23], v[20:21], v[32:33], a[20:23]
	v_pk_fma_f32 v[58:59], v[2:3], v[58:59], v[4:5]
	v_accvgpr_read_b32 v4, a12
	v_accvgpr_read_b32 v15, a11
	v_mfma_f32_16x16x16_bf16 a[24:27], v[20:21], v[36:37], a[24:27]
	v_accvgpr_read_b32 v14, a10
	v_accvgpr_read_b32 v28, a0
	;; [unrolled: 1-line block ×3, first 2 shown]
	s_waitcnt lgkmcnt(0)
	v_mfma_f32_16x16x16_bf16 a[4:7], v[16:17], v[30:31], a[16:19]
	v_pk_fma_f32 v[74:75], v[74:75], v[2:3], v[28:29]
	v_pk_fma_f32 v[50:51], v[2:3], v[50:51], v[4:5]
	v_accvgpr_read_b32 v23, a15
	v_mfma_f32_16x16x16_bf16 a[0:3], v[20:21], v[40:41], a[28:31]
	v_accvgpr_read_b32 v22, a14
	v_pk_fma_f32 v[68:69], v[6:7], v[68:69], v[8:9]
	v_pk_fma_f32 v[60:61], v[6:7], v[60:61], v[14:15]
	v_mfma_f32_16x16x16_bf16 a[8:11], v[16:17], v[34:35], a[20:23]
	v_pk_fma_f32 v[52:53], v[6:7], v[52:53], v[22:23]
	s_waitcnt vmcnt(0)
	v_mov_b32_e32 v2, v11
	v_mfma_f32_16x16x16_bf16 a[12:15], v[16:17], v[38:39], a[24:27]
	v_mov_b32_e32 v3, v12
	v_mov_b32_e32 v4, v13
	v_exp_f32_e32 v9, v2
	v_exp_f32_e32 v2, v3
	;; [unrolled: 1-line block ×3, first 2 shown]
	v_mfma_f32_16x16x16_bf16 a[4:7], v[24:25], v[26:27], a[4:7]
	v_exp_f32_e32 v8, v10
	v_pk_mul_f32 v[2:3], v[0:1], v[2:3] op_sel_hi:[0,1]
	v_mfma_f32_16x16x16_bf16 a[0:3], v[16:17], v[42:43], a[0:3]
	v_pk_mul_f32 v[4:5], v[0:1], v[8:9] op_sel_hi:[0,1]
	v_mfma_f32_16x16x16_bf16 a[8:11], v[24:25], v[78:79], a[8:11]
	s_nop 1
	v_accvgpr_read_b32 v7, a7
	v_accvgpr_read_b32 v6, a6
	v_pk_fma_f32 v[72:73], v[72:73], v[2:3], v[6:7]
	v_mfma_f32_16x16x16_bf16 a[12:15], v[24:25], v[80:81], a[12:15]
	v_accvgpr_read_b32 v15, a5
	v_accvgpr_read_b32 v14, a4
	v_pk_fma_f32 v[70:71], v[70:71], v[4:5], v[14:15]
	v_mfma_f32_16x16x16_bf16 a[0:3], v[24:25], v[82:83], a[0:3]
	v_accvgpr_read_b32 v6, a8
	v_accvgpr_read_b32 v7, a9
	v_pk_fma_f32 v[62:63], v[4:5], v[62:63], v[6:7]
	v_accvgpr_read_b32 v6, a12
	v_accvgpr_read_b32 v7, a13
	v_pk_fma_f32 v[56:57], v[4:5], v[56:57], v[6:7]
	v_accvgpr_read_b32 v9, a11
	v_accvgpr_read_b32 v7, a1
	;; [unrolled: 1-line block ×8, first 2 shown]
	v_pk_fma_f32 v[64:65], v[2:3], v[64:65], v[8:9]
	v_pk_fma_f32 v[54:55], v[2:3], v[54:55], v[10:11]
	;; [unrolled: 1-line block ×4, first 2 shown]
	v_mov_b32_e32 v2, v18
.LBB29_100:
	s_lshl_b64 s[0:1], s[28:29], 15
	s_add_u32 s0, s34, s0
	v_lshlrev_b32_e32 v2, 7, v2
	s_addc_u32 s1, s35, s1
	v_ashrrev_i32_e32 v3, 31, v2
	v_lshl_add_u64 v[4:5], v[2:3], 1, s[0:1]
	v_lshlrev_b32_e32 v0, 1, v1
	v_mov_b32_e32 v1, 0
	s_mov_b32 s2, 0x7060302
	v_lshl_add_u64 v[4:5], v[4:5], 0, v[0:1]
	v_perm_b32 v7, v77, v76, s2
	v_perm_b32 v6, v75, v74, s2
	global_store_dwordx2 v[4:5], v[6:7], off
	v_perm_b32 v7, v73, v72, s2
	v_perm_b32 v6, v71, v70, s2
	global_store_dwordx2 v[4:5], v[6:7], off offset:128
	v_or_b32_e32 v4, 0x800, v2
	v_ashrrev_i32_e32 v5, 31, v4
	v_lshl_add_u64 v[4:5], v[4:5], 1, s[0:1]
	v_lshl_add_u64 v[4:5], v[4:5], 0, v[0:1]
	v_perm_b32 v7, v69, v68, s2
	v_perm_b32 v6, v67, v66, s2
	global_store_dwordx2 v[4:5], v[6:7], off
	v_perm_b32 v7, v65, v64, s2
	v_perm_b32 v6, v63, v62, s2
	global_store_dwordx2 v[4:5], v[6:7], off offset:128
	v_or_b32_e32 v4, 0x1000, v2
	v_or_b32_e32 v2, 0x1800, v2
	v_ashrrev_i32_e32 v5, 31, v4
	v_ashrrev_i32_e32 v3, 31, v2
	v_lshl_add_u64 v[4:5], v[4:5], 1, s[0:1]
	v_lshl_add_u64 v[2:3], v[2:3], 1, s[0:1]
	;; [unrolled: 1-line block ×3, first 2 shown]
	v_perm_b32 v7, v61, v60, s2
	v_perm_b32 v6, v59, v58, s2
	v_lshl_add_u64 v[0:1], v[2:3], 0, v[0:1]
	v_perm_b32 v3, v53, v52, s2
	v_perm_b32 v2, v51, v50, s2
	global_store_dwordx2 v[4:5], v[6:7], off
	v_perm_b32 v7, v55, v54, s2
	v_perm_b32 v6, v57, v56, s2
	global_store_dwordx2 v[0:1], v[2:3], off
	v_perm_b32 v3, v49, v48, s2
	v_perm_b32 v2, v47, v46, s2
	global_store_dwordx2 v[4:5], v[6:7], off offset:128
	global_store_dwordx2 v[0:1], v[2:3], off offset:128
	s_endpgm
	.section	.rodata,"a",@progbits
	.p2align	6, 0x0
	.amdhsa_kernel _ZN12_GLOBAL__N_139chunk_gated_delta_rule_fwd_h_hip_kernelILi64ELb0ELb1ELb1ELb0ELb1ELb1ELb0ELb1EEEvPK12hip_bfloat16S3_S3_PKfS5_PKvPS1_S8_PvPKiSB_iiiiilll
		.amdhsa_group_segment_fixed_size 65536
		.amdhsa_private_segment_fixed_size 0
		.amdhsa_kernarg_size 136
		.amdhsa_user_sgpr_count 2
		.amdhsa_user_sgpr_dispatch_ptr 0
		.amdhsa_user_sgpr_queue_ptr 0
		.amdhsa_user_sgpr_kernarg_segment_ptr 1
		.amdhsa_user_sgpr_dispatch_id 0
		.amdhsa_user_sgpr_kernarg_preload_length 0
		.amdhsa_user_sgpr_kernarg_preload_offset 0
		.amdhsa_user_sgpr_private_segment_size 0
		.amdhsa_uses_dynamic_stack 0
		.amdhsa_enable_private_segment 0
		.amdhsa_system_sgpr_workgroup_id_x 1
		.amdhsa_system_sgpr_workgroup_id_y 1
		.amdhsa_system_sgpr_workgroup_id_z 0
		.amdhsa_system_sgpr_workgroup_info 0
		.amdhsa_system_vgpr_workitem_id 0
		.amdhsa_next_free_vgpr 232
		.amdhsa_next_free_sgpr 70
		.amdhsa_accum_offset 192
		.amdhsa_reserve_vcc 1
		.amdhsa_float_round_mode_32 0
		.amdhsa_float_round_mode_16_64 0
		.amdhsa_float_denorm_mode_32 3
		.amdhsa_float_denorm_mode_16_64 3
		.amdhsa_dx10_clamp 1
		.amdhsa_ieee_mode 1
		.amdhsa_fp16_overflow 0
		.amdhsa_tg_split 0
		.amdhsa_exception_fp_ieee_invalid_op 0
		.amdhsa_exception_fp_denorm_src 0
		.amdhsa_exception_fp_ieee_div_zero 0
		.amdhsa_exception_fp_ieee_overflow 0
		.amdhsa_exception_fp_ieee_underflow 0
		.amdhsa_exception_fp_ieee_inexact 0
		.amdhsa_exception_int_div_zero 0
	.end_amdhsa_kernel
	.section	.text._ZN12_GLOBAL__N_139chunk_gated_delta_rule_fwd_h_hip_kernelILi64ELb0ELb1ELb1ELb0ELb1ELb1ELb0ELb1EEEvPK12hip_bfloat16S3_S3_PKfS5_PKvPS1_S8_PvPKiSB_iiiiilll,"axG",@progbits,_ZN12_GLOBAL__N_139chunk_gated_delta_rule_fwd_h_hip_kernelILi64ELb0ELb1ELb1ELb0ELb1ELb1ELb0ELb1EEEvPK12hip_bfloat16S3_S3_PKfS5_PKvPS1_S8_PvPKiSB_iiiiilll,comdat
.Lfunc_end29:
	.size	_ZN12_GLOBAL__N_139chunk_gated_delta_rule_fwd_h_hip_kernelILi64ELb0ELb1ELb1ELb0ELb1ELb1ELb0ELb1EEEvPK12hip_bfloat16S3_S3_PKfS5_PKvPS1_S8_PvPKiSB_iiiiilll, .Lfunc_end29-_ZN12_GLOBAL__N_139chunk_gated_delta_rule_fwd_h_hip_kernelILi64ELb0ELb1ELb1ELb0ELb1ELb1ELb0ELb1EEEvPK12hip_bfloat16S3_S3_PKfS5_PKvPS1_S8_PvPKiSB_iiiiilll
                                        ; -- End function
	.section	.AMDGPU.csdata,"",@progbits
; Kernel info:
; codeLenInByte = 13032
; NumSgprs: 76
; NumVgprs: 190
; NumAgprs: 40
; TotalNumVgprs: 232
; ScratchSize: 0
; MemoryBound: 0
; FloatMode: 240
; IeeeMode: 1
; LDSByteSize: 65536 bytes/workgroup (compile time only)
; SGPRBlocks: 9
; VGPRBlocks: 28
; NumSGPRsForWavesPerEU: 76
; NumVGPRsForWavesPerEU: 232
; AccumOffset: 192
; Occupancy: 1
; WaveLimiterHint : 1
; COMPUTE_PGM_RSRC2:SCRATCH_EN: 0
; COMPUTE_PGM_RSRC2:USER_SGPR: 2
; COMPUTE_PGM_RSRC2:TRAP_HANDLER: 0
; COMPUTE_PGM_RSRC2:TGID_X_EN: 1
; COMPUTE_PGM_RSRC2:TGID_Y_EN: 1
; COMPUTE_PGM_RSRC2:TGID_Z_EN: 0
; COMPUTE_PGM_RSRC2:TIDIG_COMP_CNT: 0
; COMPUTE_PGM_RSRC3_GFX90A:ACCUM_OFFSET: 47
; COMPUTE_PGM_RSRC3_GFX90A:TG_SPLIT: 0
	.section	.text._ZN12_GLOBAL__N_139chunk_gated_delta_rule_fwd_h_hip_kernelILi64ELb0ELb1ELb0ELb0ELb1ELb1ELb0ELb1EEEvPK12hip_bfloat16S3_S3_PKfS5_PKvPS1_S8_PvPKiSB_iiiiilll,"axG",@progbits,_ZN12_GLOBAL__N_139chunk_gated_delta_rule_fwd_h_hip_kernelILi64ELb0ELb1ELb0ELb0ELb1ELb1ELb0ELb1EEEvPK12hip_bfloat16S3_S3_PKfS5_PKvPS1_S8_PvPKiSB_iiiiilll,comdat
	.globl	_ZN12_GLOBAL__N_139chunk_gated_delta_rule_fwd_h_hip_kernelILi64ELb0ELb1ELb0ELb0ELb1ELb1ELb0ELb1EEEvPK12hip_bfloat16S3_S3_PKfS5_PKvPS1_S8_PvPKiSB_iiiiilll ; -- Begin function _ZN12_GLOBAL__N_139chunk_gated_delta_rule_fwd_h_hip_kernelILi64ELb0ELb1ELb0ELb0ELb1ELb1ELb0ELb1EEEvPK12hip_bfloat16S3_S3_PKfS5_PKvPS1_S8_PvPKiSB_iiiiilll
	.p2align	8
	.type	_ZN12_GLOBAL__N_139chunk_gated_delta_rule_fwd_h_hip_kernelILi64ELb0ELb1ELb0ELb0ELb1ELb1ELb0ELb1EEEvPK12hip_bfloat16S3_S3_PKfS5_PKvPS1_S8_PvPKiSB_iiiiilll,@function
_ZN12_GLOBAL__N_139chunk_gated_delta_rule_fwd_h_hip_kernelILi64ELb0ELb1ELb0ELb0ELb1ELb1ELb0ELb1EEEvPK12hip_bfloat16S3_S3_PKfS5_PKvPS1_S8_PvPKiSB_iiiiilll: ; @_ZN12_GLOBAL__N_139chunk_gated_delta_rule_fwd_h_hip_kernelILi64ELb0ELb1ELb0ELb0ELb1ELb1ELb0ELb1EEEvPK12hip_bfloat16S3_S3_PKfS5_PKvPS1_S8_PvPKiSB_iiiiilll
; %bb.0:
	s_load_dwordx4 s[12:15], s[0:1], 0x5c
	s_load_dwordx8 s[4:11], s[0:1], 0x0
	s_load_dwordx4 s[16:19], s[0:1], 0x70
	s_abs_i32 s23, s3
	s_ashr_i32 s21, s3, 31
	s_waitcnt lgkmcnt(0)
	s_abs_i32 s20, s13
	v_cvt_f32_u32_e32 v1, s20
	s_sub_i32 s24, 0, s20
	s_ashr_i32 s22, s13, 31
	s_xor_b32 s21, s21, s22
	v_rcp_iflag_f32_e32 v1, v1
	s_load_dwordx2 s[30:31], s[0:1], 0x20
	s_load_dwordx2 s[28:29], s[0:1], 0x40
	;; [unrolled: 1-line block ×4, first 2 shown]
	v_lshrrev_b32_e32 v45, 6, v0
	v_mul_f32_e32 v1, 0x4f7ffffe, v1
	v_cvt_u32_f32_e32 v1, v1
	v_bfe_u32 v86, v0, 4, 2
	s_mov_b32 s0, 0
	v_lshlrev_b32_e32 v84, 4, v45
	v_readfirstlane_b32 s25, v1
	s_mul_i32 s24, s24, s25
	s_mul_hi_u32 s24, s25, s24
	s_add_i32 s25, s25, s24
	s_mul_hi_u32 s24, s23, s25
	s_mul_i32 s25, s24, s20
	s_sub_i32 s23, s23, s25
	s_add_i32 s25, s24, 1
	s_sub_i32 s26, s23, s20
	s_cmp_ge_u32 s23, s20
	s_cselect_b32 s24, s25, s24
	s_cselect_b32 s23, s26, s23
	s_add_i32 s25, s24, 1
	s_cmp_ge_u32 s23, s20
	s_cselect_b32 s23, s25, s24
	s_xor_b32 s23, s23, s21
	s_sub_i32 s50, s23, s21
	s_abs_i32 s21, s14
	v_cvt_f32_u32_e32 v1, s21
	s_ashr_i32 s49, s12, 31
	s_lshr_b32 s23, s49, 26
	s_add_i32 s23, s12, s23
	v_rcp_iflag_f32_e32 v1, v1
	s_ashr_i32 s51, s23, 6
	s_sub_i32 s23, 0, s21
	s_mul_i32 s48, s50, s13
	v_mul_f32_e32 v1, 0x4f7ffffe, v1
	v_cvt_u32_f32_e32 v1, v1
	s_ashr_i32 s52, s14, 31
	s_sub_i32 s33, s3, s48
	s_add_i32 s3, s12, 63
	v_readfirstlane_b32 s24, v1
	s_mul_i32 s23, s23, s24
	s_mul_hi_u32 s23, s24, s23
	s_add_i32 s24, s24, s23
	s_mul_hi_u32 s23, s20, s24
	s_mul_i32 s24, s23, s21
	s_sub_i32 s20, s20, s24
	s_xor_b32 s22, s22, s52
	s_add_i32 s24, s23, 1
	s_sub_i32 s25, s20, s21
	s_cmp_ge_u32 s20, s21
	s_cselect_b32 s23, s24, s23
	s_cselect_b32 s20, s25, s20
	s_add_i32 s24, s23, 1
	s_cmp_ge_u32 s20, s21
	s_cselect_b32 s20, s24, s23
	s_xor_b32 s20, s20, s22
	s_sub_i32 s20, s20, s22
	s_abs_i32 s21, s20
	v_cvt_f32_u32_e32 v1, s21
	s_sub_i32 s22, 0, s21
	s_xor_b32 s1, s33, s20
	s_abs_i32 s20, s33
	v_rcp_iflag_f32_e32 v1, v1
	s_ashr_i32 s1, s1, 31
	v_lshlrev_b32_e32 v2, 2, v86
	v_and_b32_e32 v85, 63, v0
	v_mul_f32_e32 v1, 0x4f7ffffe, v1
	v_cvt_u32_f32_e32 v1, v1
	s_mul_i32 s46, s50, s12
	v_and_b32_e32 v87, 15, v0
	s_mul_hi_i32 s54, s50, s13
	v_readfirstlane_b32 s23, v1
	s_mul_i32 s22, s22, s23
	s_mul_hi_u32 s22, s23, s22
	s_add_i32 s23, s23, s22
	s_mul_hi_u32 s22, s20, s23
	s_mul_i32 s23, s22, s21
	s_sub_i32 s20, s20, s23
	s_add_i32 s23, s22, 1
	s_sub_i32 s24, s20, s21
	s_cmp_ge_u32 s20, s21
	s_cselect_b32 s22, s23, s22
	s_cselect_b32 s20, s24, s20
	s_add_i32 s23, s22, 1
	s_cmp_ge_u32 s20, s21
	s_cselect_b32 s20, s23, s22
	s_xor_b32 s20, s20, s1
	s_sub_i32 s55, s20, s1
	s_ashr_i32 s1, s3, 31
	s_lshr_b32 s1, s1, 26
	s_add_i32 s3, s3, s1
	s_ashr_i32 s1, s3, 6
	v_or_b32_e32 v1, v2, v84
	s_mul_i32 s53, s50, s1
	s_lshl_b32 s2, s2, 6
	s_mov_b32 s1, s0
	v_or_b32_e32 v90, 64, v1
	s_cmp_lt_i32 s12, 64
	v_mov_b64_e32 v[54:55], s[0:1]
	v_lshrrev_b32_e32 v89, 3, v85
	v_lshlrev_b32_e32 v88, 3, v0
	s_mul_i32 s17, s50, s17
	s_mul_hi_u32 s47, s50, s16
	s_mul_i32 s36, s50, s16
	v_mov_b64_e32 v[56:57], s[0:1]
	v_mov_b64_e32 v[60:61], s[0:1]
	;; [unrolled: 1-line block ×15, first 2 shown]
	s_cbranch_scc1 .LBB30_17
; %bb.1:
	s_ashr_i32 s3, s50, 31
	s_ashr_i32 s57, s33, 31
	s_add_u32 s0, s48, s33
	s_addc_u32 s1, s54, s57
	s_mul_i32 s1, s12, s1
	s_mul_hi_u32 s20, s12, s0
	s_add_i32 s41, s20, s1
	s_mul_i32 s40, s12, s0
	s_lshl_b64 s[0:1], s[40:41], 8
	v_and_b32_e32 v92, 56, v88
	s_add_u32 s20, s6, s0
	v_lshl_or_b32 v91, v45, 3, v89
	v_lshlrev_b32_e32 v3, 1, v92
	s_addc_u32 s0, s7, s1
	v_lshl_or_b32 v93, v91, 8, v3
	s_and_b32 s21, s0, 0xffff
	s_mov_b32 s23, 0x20000
	s_movk_i32 s22, 0x4000
	s_movk_i32 s0, 0x80
	v_or_b32_e32 v94, 0x2000, v93
	buffer_load_dwordx4 v[4:7], v93, s[20:23], 0 offen
	buffer_load_dwordx4 v[8:11], v93, s[20:23], s0 offen
	;; [unrolled: 1-line block ×4, first 2 shown]
	v_lshlrev_b32_e32 v20, 3, v91
	v_and_or_b32 v22, v0, 7, v20
	v_and_b32_e32 v20, 0x78, v20
	v_lshlrev_b32_e32 v22, 4, v22
	v_xor_b32_e32 v95, v22, v20
	v_mul_lo_u32 v21, v91, s15
	v_or_b32_e32 v96, 0x1000, v95
	s_cmpk_eq_i32 s15, 0x80
	s_mov_b32 s56, s14
	v_xor_b32_e32 v20, 8, v95
	v_xor_b32_e32 v22, 8, v96
	s_cselect_b64 s[0:1], -1, 0
	s_cmpk_lg_i32 s15, 0x80
	s_waitcnt vmcnt(3)
	ds_write_b64 v95, v[4:5] offset:49152
	ds_write_b64 v20, v[6:7] offset:49152
	s_waitcnt vmcnt(2)
	ds_write_b64 v95, v[8:9] offset:57344
	ds_write_b64 v20, v[10:11] offset:57344
	s_waitcnt vmcnt(1)
	ds_write_b64 v95, v[12:13] offset:53248
	ds_write_b64 v22, v[14:15] offset:49152
	s_waitcnt vmcnt(0)
	ds_write_b64 v95, v[16:17] offset:61440
	ds_write_b64 v22, v[18:19] offset:57344
	v_lshl_add_u32 v4, v21, 1, v92
	s_cbranch_scc0 .LBB30_3
; %bb.2:
	v_lshlrev_b32_e32 v6, 1, v4
	v_add_lshl_u32 v5, v4, s15, 1
	s_lshl_b32 s22, s15, 7
	v_lshl_or_b32 v3, v91, 9, v3
	s_cbranch_execz .LBB30_4
	s_branch .LBB30_5
.LBB30_3:
                                        ; implicit-def: $vgpr5
                                        ; implicit-def: $vgpr6
                                        ; implicit-def: $sgpr22
	v_lshl_or_b32 v3, v91, 9, v3
.LBB30_4:
	v_or_b32_e32 v5, 0x100, v3
	s_movk_i32 s22, 0x4000
	v_mov_b32_e32 v6, v3
.LBB30_5:
	s_mul_hi_u32 s20, s14, s12
	s_mul_i32 s21, s52, s12
	s_add_i32 s20, s20, s21
	s_mul_i32 s21, s14, s12
	s_mul_i32 s23, s21, s3
	s_mul_hi_u32 s24, s21, s50
	s_add_i32 s23, s24, s23
	s_mul_i32 s20, s20, s50
	s_add_i32 s23, s23, s20
	s_mul_i32 s21, s21, s50
	s_ashr_i32 s58, s55, 31
	s_add_u32 s20, s21, s55
	s_addc_u32 s21, s23, s58
	s_lshl_b64 s[20:21], s[20:21], 8
	s_add_u32 s20, s4, s20
	s_addc_u32 s21, s5, s21
	s_and_b32 s21, s21, 0xffff
	s_mov_b32 s23, 0x20000
	s_movk_i32 s59, 0x80
	buffer_load_dwordx4 v[8:11], v6, s[20:23], 0 offen
	buffer_load_dwordx4 v[12:15], v6, s[20:23], s59 offen
	;; [unrolled: 1-line block ×4, first 2 shown]
	v_and_b32_e32 v5, 6, v0
	v_lshlrev_b32_e32 v6, 7, v1
	v_xor_b32_e32 v27, v91, v5
	v_and_b32_e32 v7, 1, v0
	v_lshl_or_b32 v30, v87, 3, v6
	v_lshlrev_b32_e32 v27, 2, v27
	v_or_b32_e32 v97, 0x4000, v30
	v_or_b32_e32 v98, 0x6000, v30
	v_xor_b32_e32 v30, 0x440, v27
	v_cmp_eq_u32_e32 vcc, 0, v7
	v_lshlrev_b32_e32 v24, 2, v87
	v_or_b32_e32 v26, 16, v87
	v_cndmask_b32_e32 v7, v30, v27, vcc
	s_mov_b32 s61, 0x1000504
	v_xor_b32_e32 v28, v1, v24
	v_xor_b32_e32 v29, v90, v24
	v_lshl_or_b32 v31, v26, 3, v6
	v_lshl_or_b32 v5, v5, 10, v7
	s_mov_b32 s62, 0x3020706
	s_mul_i32 s20, s3, s12
	s_mul_hi_u32 s21, s50, s12
	v_lshlrev_b32_e32 v25, 8, v87
	v_lshlrev_b32_e32 v28, 1, v28
	;; [unrolled: 1-line block ×3, first 2 shown]
	v_or_b32_e32 v99, 0x4000, v31
	v_or_b32_e32 v100, 0x6000, v31
	v_xor_b32_e32 v7, 8, v5
	v_xor_b32_e32 v27, 24, v5
	;; [unrolled: 1-line block ×4, first 2 shown]
	v_or_b32_e32 v101, v25, v28
	v_or_b32_e32 v102, v25, v29
	v_xor_b32_e32 v25, 16, v5
	v_xor_b32_e32 v30, 32, v5
	;; [unrolled: 1-line block ×3, first 2 shown]
	v_add_u32_e32 v7, 0x80, v7
	v_add_u32_e32 v27, 0x80, v27
	;; [unrolled: 1-line block ×4, first 2 shown]
	s_add_i32 s63, s21, s20
	s_add_i32 s20, s47, s17
	s_mul_i32 s3, s3, s16
	s_add_i32 s37, s20, s3
	s_mul_i32 s3, s33, s19
	s_mul_hi_u32 s20, s33, s18
	s_add_i32 s3, s20, s3
	s_mul_i32 s20, s57, s18
	s_add_i32 s21, s3, s20
	s_lshl_b64 s[24:25], s[36:37], 2
	s_mul_i32 s20, s33, s18
	s_add_u32 s3, s10, s24
	s_addc_u32 s24, s11, s25
	s_lshl_b64 s[20:21], s[20:21], 2
	s_add_u32 s42, s3, s20
	s_movk_i32 s3, 0xf8
	s_addc_u32 s43, s24, s21
	s_lshl_b32 s26, s15, 7
	v_mov_b32_e32 v79, 0
	s_movk_i32 s24, 0x100
	v_lshlrev_b32_e32 v78, 4, v87
	s_mov_b32 s60, 0
	s_movk_i32 s22, 0x4000
	v_add_u32_e32 v134, v84, v2
	s_mov_b32 s37, 0x7060302
	s_movk_i32 s64, 0x2000
	s_movk_i32 s65, 0x3000
	s_mov_b32 s67, 0
	v_mov_b32_e32 v48, v79
	v_mov_b32_e32 v49, v79
	;; [unrolled: 1-line block ×11, first 2 shown]
	s_waitcnt vmcnt(1)
	v_perm_b32 v34, v8, v16, s61
	s_waitcnt vmcnt(0)
	v_perm_b32 v35, v12, v20, s61
	v_perm_b32 v8, v8, v16, s62
	;; [unrolled: 1-line block ×15, first 2 shown]
	ds_write2st64_b32 v5, v34, v35 offset0:128 offset1:160
	ds_write2st64_b32 v7, v8, v12 offset0:128 offset1:160
	;; [unrolled: 1-line block ×8, first 2 shown]
	v_lshlrev_b32_e32 v5, 8, v26
	v_or_b32_e32 v103, v5, v28
	v_or_b32_e32 v104, v5, v29
	;; [unrolled: 1-line block ×3, first 2 shown]
	v_lshl_or_b32 v7, v5, 3, v6
	v_lshlrev_b32_e32 v5, 8, v5
	v_or_b32_e32 v107, v5, v28
	v_or_b32_e32 v108, v5, v29
	;; [unrolled: 1-line block ×5, first 2 shown]
	v_lshl_or_b32 v7, v5, 3, v6
	v_lshlrev_b32_e32 v5, 8, v5
	v_or_b32_e32 v111, v5, v28
	v_or_b32_e32 v112, v5, v29
	;; [unrolled: 1-line block ×3, first 2 shown]
	v_lshlrev_b32_e32 v5, 3, v5
	v_lshrrev_b32_e32 v9, 5, v85
	v_and_or_b32 v9, v5, s3, v9
	v_lshlrev_b32_e32 v9, 4, v9
	v_lshlrev_b32_e32 v11, 11, v45
	v_and_b32_e32 v5, 0x78, v5
	v_or_b32_e32 v14, 32, v9
	v_and_b32_e32 v8, 0x1000, v11
	v_xor_b32_e32 v10, v9, v5
	v_lshrrev_b32_e32 v12, 1, v85
	v_xor_b32_e32 v14, v14, v5
	v_or_b32_e32 v10, v10, v8
	v_and_b32_e32 v12, 8, v12
	v_or_b32_e32 v14, v14, v8
	v_xor_b32_e32 v113, v10, v12
	v_lshlrev_b32_e32 v10, 8, v86
	v_xor_b32_e32 v115, v14, v12
	v_or_b32_e32 v14, 64, v9
	v_or_b32_e32 v9, 0x60, v9
	;; [unrolled: 1-line block ×3, first 2 shown]
	v_xor_b32_e32 v14, v14, v5
	v_xor_b32_e32 v5, v9, v5
	s_ashr_i32 s3, s2, 31
	v_lshlrev_b32_e32 v13, 1, v13
	v_or_b32_e32 v14, v14, v8
	v_or_b32_e32 v5, v5, v8
	s_lshl_b64 s[20:21], s[2:3], 8
	v_or_b32_e32 v114, 0x4000, v13
	v_or_b32_e32 v116, 0x4080, v13
	;; [unrolled: 1-line block ×4, first 2 shown]
	v_xor_b32_e32 v119, v14, v12
	v_xor_b32_e32 v120, v5, v12
	v_or_b32_e32 v121, 0x6000, v13
	v_or_b32_e32 v122, 0x6080, v13
	v_or_b32_e32 v123, 0x6100, v13
	v_or_b32_e32 v124, 0x6180, v13
	v_lshlrev_b32_e32 v12, 1, v4
	v_add_lshl_u32 v13, v4, s15, 1
	s_waitcnt lgkmcnt(0)
	s_add_u32 s20, s38, s20
	v_lshlrev_b32_e32 v4, 1, v87
	v_or_b32_e32 v14, 0x100, v3
	v_lshrrev_b32_e32 v15, 4, v0
	s_addc_u32 s21, s39, s21
	v_or_b32_e32 v5, 1, v4
	v_lshlrev_b32_e32 v18, 2, v0
	v_xor_b32_e32 v16, v15, v4
	v_xor_b32_e32 v17, v5, v15
	v_lshl_add_u64 v[4:5], s[20:21], 0, v[78:79]
	v_lshlrev_b32_e32 v78, 8, v15
	v_lshrrev_b32_e32 v19, 1, v0
	v_and_or_b32 v10, v18, 60, v10
	v_cndmask_b32_e64 v131, v12, v3, s[0:1]
	v_cndmask_b32_e64 v132, v13, v14, s[0:1]
	v_mov_b32_e32 v3, 0xa000
	v_mov_b32_e32 v12, 0x8000
	v_cmp_gt_u32_e64 s[0:1], s24, v0
	v_lshl_or_b32 v125, v16, 3, v78
	v_and_b32_e32 v16, 8, v0
	v_and_b32_e32 v19, 24, v19
	v_lshlrev_b32_e32 v10, 1, v10
	v_cndmask_b32_e64 v3, v3, v12, s[0:1]
	v_lshlrev_b32_e32 v12, 3, v45
	v_or_b32_e32 v127, 0x6000, v10
	v_or_b32_e32 v128, 0x6080, v10
	;; [unrolled: 1-line block ×4, first 2 shown]
	v_mov_b32_e32 v10, 0x400
	v_cmp_eq_u32_e32 vcc, 0, v16
	v_xor_b32_e32 v13, v12, v19
	v_and_b32_e32 v15, 7, v0
	v_cndmask_b32_e64 v16, v10, 64, vcc
	v_or_b32_e32 v14, 0x440, v13
	v_lshl_or_b32 v126, v17, 3, v78
	v_lshlrev_b32_e32 v17, 3, v15
	v_or_b32_e32 v18, 32, v19
	v_or_b32_e32 v20, 0x60, v19
	v_cndmask_b32_e32 v14, v14, v13, vcc
	v_or3_b32 v13, v11, v16, v13
	v_lshlrev_b32_e32 v15, 7, v15
	v_xor_b32_e32 v18, v12, v18
	v_xor_b32_e32 v13, v13, v17
	;; [unrolled: 1-line block ×3, first 2 shown]
	v_or_b32_e32 v21, 0x440, v18
	v_or_b32_e32 v133, v13, v15
	v_xor_b32_e32 v13, 0x440, v12
	v_cndmask_b32_e32 v18, v21, v18, vcc
	v_cndmask_b32_e32 v12, v13, v12, vcc
	v_or_b32_e32 v109, 0x4000, v7
	v_or_b32_e32 v110, 0x6000, v7
	v_lshrrev_b32_e32 v7, 2, v85
	v_or_b32_e32 v14, v14, v11
	v_or_b32_e32 v18, v18, v11
	;; [unrolled: 1-line block ×3, first 2 shown]
	v_and_b32_e32 v7, 12, v7
	v_or_b32_e32 v8, s2, v87
	v_xor_b32_e32 v14, v14, v17
	v_xor_b32_e32 v18, v18, v17
	;; [unrolled: 1-line block ×3, first 2 shown]
	v_ashrrev_i32_e32 v9, 31, v8
	v_or_b32_e32 v10, v84, v7
	v_add_u32_e32 v19, v3, v14
	v_add_u32_e32 v21, v3, v18
	v_add_u32_e32 v13, v3, v11
	v_or3_b32 v12, v84, v7, 64
	v_add_u32_e32 v7, 0xa000, v14
	v_add_u32_e32 v14, 0xa000, v18
	;; [unrolled: 1-line block ×3, first 2 shown]
	v_lshl_add_u64 v[80:81], v[8:9], 1, s[8:9]
	v_lshl_add_u64 v[82:83], v[4:5], 0, v[78:79]
	s_add_i32 s3, s46, 63
	v_lshlrev_b32_e32 v78, 1, v6
	v_lshlrev_b32_e32 v135, 2, v10
	v_add_u32_e32 v136, v19, v15
	v_add_u32_e32 v137, v21, v15
	;; [unrolled: 1-line block ×4, first 2 shown]
	v_lshlrev_b32_e32 v140, 2, v12
	v_add_u32_e32 v141, v7, v15
	v_add_u32_e32 v142, v14, v15
	;; [unrolled: 1-line block ×3, first 2 shown]
	v_mov_b32_e32 v77, v79
	v_mov_b32_e32 v70, v79
	;; [unrolled: 1-line block ×21, first 2 shown]
	s_barrier
	s_branch .LBB30_7
.LBB30_6:                               ;   in Loop: Header=BB30_7 Depth=1
	v_exp_f32_e32 v36, s20
	s_waitcnt vmcnt(4)
	v_exp_f32_e32 v38, v38
	v_exp_f32_e32 v39, v39
	;; [unrolled: 1-line block ×4, first 2 shown]
	v_accvgpr_read_b32 v5, a3
	v_accvgpr_read_b32 v4, a2
	;; [unrolled: 1-line block ×4, first 2 shown]
	v_pk_mul_f32 v[38:39], v[36:37], v[38:39] op_sel_hi:[0,1]
	v_pk_mul_f32 v[40:41], v[36:37], v[40:41] op_sel_hi:[0,1]
	v_pk_fma_f32 v[74:75], v[74:75], v[38:39], v[2:3]
	v_pk_fma_f32 v[76:77], v[76:77], v[40:41], v[4:5]
	v_exp_f32_e32 v2, v34
	v_exp_f32_e32 v3, v42
	;; [unrolled: 1-line block ×4, first 2 shown]
	v_accvgpr_read_b32 v9, a7
	v_accvgpr_read_b32 v13, a11
	;; [unrolled: 1-line block ×28, first 2 shown]
	v_pk_mul_f32 v[2:3], v[36:37], v[2:3] op_sel_hi:[0,1]
	v_pk_mul_f32 v[4:5], v[36:37], v[4:5] op_sel_hi:[0,1]
	s_add_i32 s60, s60, 64
	v_pk_fma_f32 v[66:67], v[38:39], v[66:67], v[6:7]
	v_pk_fma_f32 v[68:69], v[40:41], v[68:69], v[8:9]
	;; [unrolled: 1-line block ×14, first 2 shown]
	s_cmp_eq_u32 s51, s66
	s_mov_b32 s67, s66
	s_cbranch_scc1 .LBB30_17
.LBB30_7:                               ; =>This Inner Loop Header: Depth=1
	s_add_i32 s66, s67, 1
	s_cmp_lt_i32 s66, s51
	s_mov_b64 s[24:25], 0
	s_cselect_b64 s[44:45], -1, 0
	s_cmp_ge_i32 s66, s51
	s_mov_b64 s[20:21], 0
	s_cbranch_scc1 .LBB30_9
; %bb.8:                                ;   in Loop: Header=BB30_7 Depth=1
	s_add_i32 s0, s60, 64
	s_add_u32 s0, s40, s0
	s_addc_u32 s1, s41, 0
	s_lshl_b64 s[0:1], s[0:1], 8
	s_add_u32 s20, s6, s0
	s_addc_u32 s21, s7, s1
.LBB30_9:                               ;   in Loop: Header=BB30_7 Depth=1
	v_cndmask_b32_e64 v2, 0, 1, s[44:45]
	v_cmp_ne_u32_e64 s[0:1], 1, v2
	s_andn2_b64 vcc, exec, s[44:45]
	s_cbranch_vccnz .LBB30_11
; %bb.10:                               ;   in Loop: Header=BB30_7 Depth=1
	s_add_i32 s24, s60, 64
	s_add_u32 s24, s46, s24
	s_addc_u32 s25, s63, 0
	s_mul_i32 s27, s24, s52
	s_mul_hi_u32 s44, s24, s56
	s_add_i32 s27, s44, s27
	s_mul_i32 s25, s25, s56
	s_add_i32 s27, s27, s25
	s_mul_i32 s24, s24, s56
	s_add_u32 s24, s24, s55
	s_addc_u32 s25, s27, s58
	s_lshl_b64 s[24:25], s[24:25], 8
	s_add_u32 s24, s4, s24
	s_addc_u32 s25, s5, s25
.LBB30_11:                              ;   in Loop: Header=BB30_7 Depth=1
	v_perm_b32 v3, v77, v76, s37
	v_perm_b32 v2, v75, v74, s37
	v_perm_b32 v5, v73, v72, s37
	v_perm_b32 v4, v71, v70, s37
	ds_write_b64 v97, v[2:3]
	ds_write_b64 v98, v[4:5]
	ds_write_b64 v101, v[2:3]
	ds_write_b64 v102, v[4:5]
	v_perm_b32 v3, v69, v68, s37
	v_perm_b32 v2, v67, v66, s37
	v_perm_b32 v5, v65, v64, s37
	v_perm_b32 v4, v63, v62, s37
	ds_write_b64 v99, v[2:3]
	ds_write_b64 v100, v[4:5]
	ds_write_b64 v103, v[2:3]
	ds_write_b64 v104, v[4:5]
	;; [unrolled: 8-line block ×4, first 2 shown]
	s_waitcnt lgkmcnt(0)
	s_barrier
	ds_read_b64 v[6:7], v113 offset:49152
	ds_read2_b64 v[2:5], v114 offset1:16
	ds_read_b64 v[18:19], v116 offset:6144
	ds_read_b64 v[20:21], v114 offset:6144
	s_waitcnt lgkmcnt(2)
	v_mfma_f32_16x16x16_bf16 a[0:3], v[6:7], v[2:3], 0
	ds_read_b64 v[22:23], v115 offset:49152
	ds_read2st64_b64 v[10:13], v117 offset0:4 offset1:8
	ds_read2st64_b64 v[14:17], v118 offset0:4 offset1:8
	v_mfma_f32_16x16x16_bf16 a[4:7], v[6:7], v[4:5], 0
	ds_read2_b64 v[2:5], v114 offset0:32 offset1:48
	s_add_i32 s27, s60, 63
	s_mul_i32 s44, s27, s35
	s_waitcnt lgkmcnt(0)
	v_mfma_f32_16x16x16_bf16 a[8:11], v[6:7], v[2:3], 0
	s_mul_hi_u32 s45, s27, s34
	s_add_i32 s45, s45, s44
	s_mul_i32 s44, s27, s34
	v_mfma_f32_16x16x16_bf16 a[12:15], v[6:7], v[4:5], 0
	ds_read2st64_b64 v[2:5], v114 offset0:4 offset1:8
	ds_read2st64_b64 v[6:9], v116 offset0:4 offset1:8
	s_lshl_b64 s[44:45], s[44:45], 2
	s_waitcnt lgkmcnt(1)
	v_mfma_f32_16x16x16_bf16 a[0:3], v[22:23], v[2:3], a[0:3]
	s_add_u32 s44, s42, s44
	s_addc_u32 s45, s43, s45
	s_and_b64 vcc, exec, s[0:1]
	s_waitcnt lgkmcnt(0)
	v_mfma_f32_16x16x16_bf16 a[4:7], v[22:23], v[6:7], a[4:7]
	v_mov_b32_e32 v146, 0
	v_mov_b32_e32 v145, 0
	;; [unrolled: 1-line block ×3, first 2 shown]
	v_mfma_f32_16x16x16_bf16 a[8:11], v[22:23], v[10:11], a[8:11]
	ds_read_b64 v[2:3], v119 offset:49152
	ds_read_b64 v[6:7], v120 offset:49152
	;; [unrolled: 1-line block ×3, first 2 shown]
	v_mfma_f32_16x16x16_bf16 a[12:15], v[22:23], v[14:15], a[12:15]
	v_mov_b32_e32 v14, 0
	v_mov_b32_e32 v15, 0
	s_waitcnt lgkmcnt(2)
	v_mfma_f32_16x16x16_bf16 a[0:3], v[2:3], v[4:5], a[0:3]
	v_mov_b32_e32 v4, 0
	v_mov_b32_e32 v5, 0
	v_mfma_f32_16x16x16_bf16 a[16:19], v[2:3], v[8:9], a[4:7]
	v_mov_b32_e32 v8, 0
	v_mov_b32_e32 v9, 0
	;; [unrolled: 3-line block ×3, first 2 shown]
	v_mfma_f32_16x16x16_bf16 a[24:27], v[2:3], v[16:17], a[12:15]
	ds_read_b64 v[2:3], v117 offset:6144
	v_mov_b32_e32 v16, 0
	v_mov_b32_e32 v17, 0
	s_waitcnt lgkmcnt(2)
	v_mfma_f32_16x16x16_bf16 a[4:7], v[6:7], v[20:21], a[0:3]
	v_mfma_f32_16x16x16_bf16 a[8:11], v[6:7], v[18:19], a[16:19]
	s_waitcnt lgkmcnt(0)
	v_mfma_f32_16x16x16_bf16 a[12:15], v[6:7], v[2:3], a[20:23]
	v_mov_b32_e32 v2, 0
	v_mov_b32_e32 v3, 0
	v_mfma_f32_16x16x16_bf16 a[0:3], v[6:7], v[10:11], a[24:27]
	v_mov_b32_e32 v6, 0
	v_mov_b32_e32 v7, 0
	;; [unrolled: 1-line block ×4, first 2 shown]
	s_cbranch_vccnz .LBB30_13
; %bb.12:                               ;   in Loop: Header=BB30_7 Depth=1
	s_and_b32 s21, s21, 0xffff
	buffer_load_dwordx4 v[14:17], v93, s[20:23], 0 offen
	buffer_load_dwordx4 v[10:13], v93, s[20:23], s59 offen
	;; [unrolled: 1-line block ×4, first 2 shown]
	v_mov_b32_e32 v145, v95
	v_mov_b32_e32 v144, v96
.LBB30_13:                              ;   in Loop: Header=BB30_7 Depth=1
	ds_read_b64 v[34:35], v113 offset:57344
	ds_read2_b64 v[18:21], v121 offset1:16
	ds_read_b64 v[36:37], v115 offset:57344
	ds_read_b64 v[38:39], v119 offset:57344
	ds_read_b64 v[40:41], v120 offset:57344
	v_add_u32_e32 v42, s60, v134
	s_waitcnt lgkmcnt(3)
	v_mfma_f32_16x16x16_bf16 a[4:7], v[34:35], v[18:19], a[4:7]
	v_mfma_f32_16x16x16_bf16 a[8:11], v[34:35], v[20:21], a[8:11]
	ds_read2_b64 v[18:21], v121 offset0:32 offset1:48
	ds_read2st64_b64 v[22:25], v121 offset0:4 offset1:8
	ds_read2st64_b64 v[26:29], v122 offset0:4 offset1:8
	;; [unrolled: 1-line block ×3, first 2 shown]
	s_waitcnt lgkmcnt(3)
	v_mfma_f32_16x16x16_bf16 a[12:15], v[34:35], v[18:19], a[12:15]
	v_ashrrev_i32_e32 v18, 31, v42
	v_mfma_f32_16x16x16_bf16 a[0:3], v[34:35], v[20:21], a[0:3]
	v_mul_lo_u32 v20, v18, s34
	v_mul_lo_u32 v21, v42, s35
	v_mad_u64_u32 v[18:19], s[20:21], v42, s34, 0
	v_add3_u32 v19, v19, v21, v20
	v_add_u32_e32 v20, 1, v42
	v_ashrrev_i32_e32 v21, 31, v20
	s_waitcnt lgkmcnt(2)
	v_mfma_f32_16x16x16_bf16 a[4:7], v[36:37], v[22:23], a[4:7]
	v_mul_lo_u32 v22, v21, s34
	v_mul_lo_u32 v23, v20, s35
	v_mad_u64_u32 v[20:21], s[20:21], v20, s34, 0
	v_add3_u32 v21, v21, v23, v22
	v_add_u32_e32 v22, 2, v42
	v_ashrrev_i32_e32 v23, 31, v22
	s_waitcnt lgkmcnt(1)
	v_mfma_f32_16x16x16_bf16 a[8:11], v[36:37], v[26:27], a[8:11]
	v_mul_lo_u32 v26, v23, s34
	v_mul_lo_u32 v27, v22, s35
	v_mad_u64_u32 v[22:23], s[20:21], v22, s34, 0
	v_add3_u32 v23, v23, v27, v26
	v_add_u32_e32 v26, 3, v42
	v_ashrrev_i32_e32 v27, 31, v26
	v_mul_lo_u32 v34, v27, s34
	v_mul_lo_u32 v35, v26, s35
	v_mad_u64_u32 v[26:27], s[20:21], v26, s34, 0
	s_add_u32 s20, s40, s60
	s_addc_u32 s21, s41, 0
	v_lshl_add_u64 v[18:19], v[18:19], 2, s[42:43]
	v_add3_u32 v27, v27, v35, v34
	s_lshl_b64 s[20:21], s[20:21], 8
	v_lshl_add_u64 v[20:21], v[20:21], 2, s[42:43]
	v_lshl_add_u64 v[22:23], v[22:23], 2, s[42:43]
	;; [unrolled: 1-line block ×3, first 2 shown]
	global_load_dword v34, v[18:19], off
	global_load_dword v35, v[20:21], off
	;; [unrolled: 1-line block ×4, first 2 shown]
	v_lshl_add_u64 v[18:19], v[80:81], 0, s[20:21]
	v_lshl_add_u64 v[22:23], v[18:19], 0, v[78:79]
	global_load_ushort v44, v[22:23], off offset:256
	global_load_ushort v147, v[22:23], off
	ds_read2st64_b64 v[18:21], v124 offset0:4 offset1:8
	global_load_ushort v148, v[22:23], off offset:768
	global_load_ushort v149, v[22:23], off offset:512
	s_waitcnt lgkmcnt(1)
	v_mfma_f32_16x16x16_bf16 a[12:15], v[36:37], v[30:31], a[12:15]
	s_and_b64 vcc, exec, s[0:1]
	s_waitcnt vmcnt(3)
	v_lshlrev_b32_e32 v31, 16, v44
	s_waitcnt lgkmcnt(0)
	v_mfma_f32_16x16x16_bf16 a[0:3], v[36:37], v[18:19], a[0:3]
	global_load_ushort v36, v[22:23], off offset:288
	global_load_ushort v37, v[22:23], off offset:32
	;; [unrolled: 1-line block ×8, first 2 shown]
	v_mfma_f32_16x16x16_bf16 a[4:7], v[38:39], v[24:25], a[4:7]
	ds_read_b64 v[18:19], v121 offset:6144
	s_waitcnt vmcnt(10)
	v_lshlrev_b32_e32 v30, 16, v147
	v_mov_b32_e32 v147, 0
	v_mfma_f32_16x16x16_bf16 a[8:11], v[38:39], v[28:29], a[8:11]
	v_mfma_f32_16x16x16_bf16 a[12:15], v[38:39], v[32:33], a[12:15]
	v_mfma_f32_16x16x16_bf16 a[0:3], v[38:39], v[20:21], a[0:3]
	global_load_ushort v38, v[22:23], off offset:352
	global_load_ushort v39, v[22:23], off offset:96
	ds_read_b64 v[20:21], v122 offset:6144
	ds_read_b64 v[24:25], v123 offset:6144
	;; [unrolled: 1-line block ×3, first 2 shown]
	global_load_ushort v156, v[22:23], off offset:864
	global_load_ushort v157, v[22:23], off offset:608
	s_load_dword s20, s[44:45], 0x0
	s_waitcnt lgkmcnt(0)
	v_mfma_f32_16x16x16_bf16 a[4:7], v[40:41], v[18:19], a[4:7]
	v_sub_f32_e32 v28, s20, v42
	v_mfma_f32_16x16x16_bf16 a[0:3], v[40:41], v[26:27], a[0:3]
	v_sub_f32_e32 v26, s20, v34
	v_sub_f32_e32 v27, s20, v35
	;; [unrolled: 1-line block ×3, first 2 shown]
	v_mfma_f32_16x16x16_bf16 a[8:11], v[40:41], v[20:21], a[8:11]
	v_exp_f32_e32 v26, v26
	v_exp_f32_e32 v27, v27
	v_exp_f32_e32 v28, v28
	v_exp_f32_e32 v29, v29
	v_accvgpr_read_b32 v33, a5
	v_accvgpr_read_b32 v32, a4
	;; [unrolled: 1-line block ×4, first 2 shown]
	v_pk_add_f32 v[30:31], v[30:31], v[32:33] neg_lo:[0,1] neg_hi:[0,1]
	s_waitcnt vmcnt(13)
	v_lshlrev_b32_e32 v33, 16, v148
	s_waitcnt vmcnt(12)
	v_lshlrev_b32_e32 v32, 16, v149
	v_pk_add_f32 v[18:19], v[32:33], v[18:19] neg_lo:[0,1] neg_hi:[0,1]
	v_pk_mul_f32 v[30:31], v[26:27], v[30:31]
	v_pk_mul_f32 v[18:19], v[28:29], v[18:19]
	v_accvgpr_read_b32 v33, a9
	v_perm_b32 v19, v19, v18, s37
	v_perm_b32 v18, v31, v30, s37
	v_accvgpr_read_b32 v32, a8
	v_accvgpr_read_b32 v21, a11
	v_mfma_f32_16x16x16_bf16 a[12:15], v[40:41], v[24:25], a[12:15]
	v_accvgpr_read_b32 v20, a10
	v_accvgpr_read_b32 v25, a3
	;; [unrolled: 1-line block ×3, first 2 shown]
	s_waitcnt vmcnt(11)
	v_lshlrev_b32_e32 v31, 16, v36
	s_waitcnt vmcnt(10)
	v_lshlrev_b32_e32 v30, 16, v37
	v_pk_add_f32 v[30:31], v[30:31], v[32:33] neg_lo:[0,1] neg_hi:[0,1]
	s_waitcnt vmcnt(9)
	v_lshlrev_b32_e32 v33, 16, v150
	s_waitcnt vmcnt(8)
	v_lshlrev_b32_e32 v32, 16, v151
	v_pk_add_f32 v[20:21], v[32:33], v[20:21] neg_lo:[0,1] neg_hi:[0,1]
	v_pk_mul_f32 v[30:31], v[26:27], v[30:31]
	v_pk_mul_f32 v[20:21], v[28:29], v[20:21]
	v_accvgpr_read_b32 v23, a15
	v_perm_b32 v21, v21, v20, s37
	v_perm_b32 v20, v31, v30, s37
	ds_write2_b64 v98, v[18:19], v[20:21] offset1:16
	v_accvgpr_read_b32 v21, a13
	s_waitcnt vmcnt(7)
	v_lshlrev_b32_e32 v19, 16, v152
	s_waitcnt vmcnt(6)
	v_lshlrev_b32_e32 v18, 16, v153
	v_accvgpr_read_b32 v20, a12
	v_accvgpr_read_b32 v22, a14
	v_pk_add_f32 v[18:19], v[18:19], v[20:21] neg_lo:[0,1] neg_hi:[0,1]
	s_waitcnt vmcnt(5)
	v_lshlrev_b32_e32 v21, 16, v154
	s_waitcnt vmcnt(4)
	v_lshlrev_b32_e32 v20, 16, v155
	v_pk_add_f32 v[20:21], v[20:21], v[22:23] neg_lo:[0,1] neg_hi:[0,1]
	v_pk_mul_f32 v[18:19], v[26:27], v[18:19]
	v_pk_mul_f32 v[20:21], v[28:29], v[20:21]
	v_accvgpr_read_b32 v23, a1
	v_perm_b32 v21, v21, v20, s37
	v_perm_b32 v20, v19, v18, s37
	s_waitcnt vmcnt(3)
	v_lshlrev_b32_e32 v19, 16, v38
	s_waitcnt vmcnt(2)
	v_lshlrev_b32_e32 v18, 16, v39
	v_accvgpr_read_b32 v22, a0
	v_pk_add_f32 v[18:19], v[18:19], v[22:23] neg_lo:[0,1] neg_hi:[0,1]
	s_waitcnt vmcnt(1)
	v_lshlrev_b32_e32 v23, 16, v156
	s_waitcnt vmcnt(0)
	v_lshlrev_b32_e32 v22, 16, v157
	v_pk_add_f32 v[22:23], v[22:23], v[24:25] neg_lo:[0,1] neg_hi:[0,1]
	v_pk_mul_f32 v[18:19], v[26:27], v[18:19]
	v_pk_mul_f32 v[22:23], v[28:29], v[22:23]
	v_mov_b32_e32 v24, 0
	v_perm_b32 v23, v23, v22, s37
	v_perm_b32 v22, v19, v18, s37
	ds_write2_b64 v98, v[20:21], v[22:23] offset0:32 offset1:48
	v_mov_b32_e32 v18, 0
	v_mov_b32_e32 v19, 0
	;; [unrolled: 1-line block ×15, first 2 shown]
	s_cbranch_vccnz .LBB30_15
; %bb.14:                               ;   in Loop: Header=BB30_7 Depth=1
	s_and_b32 s25, s25, 0xffff
	s_mov_b32 s27, s23
	buffer_load_dwordx4 v[30:33], v131, s[24:27], 0 offen
	buffer_load_dwordx4 v[22:25], v131, s[24:27], s59 offen
	;; [unrolled: 1-line block ×4, first 2 shown]
	v_mov_b32_e32 v146, v92
	v_mov_b32_e32 v147, v91
.LBB30_15:                              ;   in Loop: Header=BB30_7 Depth=1
	s_waitcnt lgkmcnt(0)
	s_barrier
	ds_read_b64 v[42:43], v136
	ds_read2_b64 v[34:37], v127 offset1:16
	ds_read_b64 v[164:165], v137
	ds_read_b64 v[166:167], v138
	;; [unrolled: 1-line block ×3, first 2 shown]
	ds_read2_b64 v[38:41], v127 offset0:32 offset1:48
	ds_read2st64_b64 v[148:151], v127 offset0:4 offset1:8
	ds_read2st64_b64 v[152:155], v128 offset0:4 offset1:8
	;; [unrolled: 1-line block ×4, first 2 shown]
	s_waitcnt lgkmcnt(8)
	v_mfma_f32_16x16x16_bf16 a[0:3], v[42:43], v[34:35], 0
	s_add_i32 s21, s53, s67
	s_mul_hi_i32 s25, s21, s13
	s_mul_i32 s21, s21, s13
	v_mfma_f32_16x16x16_bf16 a[4:7], v[42:43], v[36:37], 0
	s_add_u32 s24, s21, s33
	s_addc_u32 s25, s25, s57
	s_add_i32 s21, s3, s60
	s_waitcnt lgkmcnt(4)
	v_mfma_f32_16x16x16_bf16 a[8:11], v[42:43], v[38:39], 0
	s_lshl_b64 s[24:25], s[24:25], 15
	s_mul_hi_i32 s27, s21, s13
	s_mul_i32 s21, s21, s13
	v_mfma_f32_16x16x16_bf16 a[12:15], v[42:43], v[40:41], 0
	ds_read_b64 v[42:43], v127 offset:6144
	ds_read_b64 v[176:177], v128 offset:6144
	;; [unrolled: 1-line block ×4, first 2 shown]
	s_add_u32 s44, s21, s33
	s_waitcnt lgkmcnt(7)
	v_mfma_f32_16x16x16_bf16 a[0:3], v[164:165], v[148:149], a[0:3]
	s_addc_u32 s45, s27, s57
	s_lshl_b64 s[44:45], s[44:45], 9
	s_add_u32 s44, s30, s44
	s_waitcnt lgkmcnt(6)
	v_mfma_f32_16x16x16_bf16 a[4:7], v[164:165], v[152:153], a[4:7]
	s_addc_u32 s45, s31, s45
	v_lshl_add_u64 v[186:187], v[82:83], 0, s[24:25]
	s_waitcnt lgkmcnt(5)
	v_mfma_f32_16x16x16_bf16 a[8:11], v[164:165], v[156:157], a[8:11]
	s_waitcnt lgkmcnt(4)
	v_mfma_f32_16x16x16_bf16 a[12:15], v[164:165], v[160:161], a[12:15]
	ds_read_b64 v[164:165], v141
	ds_read_b64 v[174:175], v142
	;; [unrolled: 1-line block ×3, first 2 shown]
	s_waitcnt lgkmcnt(2)
	v_mfma_f32_16x16x16_bf16 a[16:19], v[164:165], v[34:35], 0
	v_mfma_f32_16x16x16_bf16 a[20:23], v[164:165], v[36:37], 0
	global_load_dwordx4 v[34:37], v140, s[44:45]
	v_mfma_f32_16x16x16_bf16 a[24:27], v[164:165], v[38:39], 0
	v_mfma_f32_16x16x16_bf16 a[28:31], v[164:165], v[40:41], 0
	global_load_dwordx4 v[38:41], v135, s[44:45]
	v_mfma_f32_16x16x16_bf16 a[0:3], v[166:167], v[150:151], a[0:3]
	v_mfma_f32_16x16x16_bf16 a[4:7], v[166:167], v[154:155], a[4:7]
	;; [unrolled: 1-line block ×8, first 2 shown]
	ds_read2st64_b64 v[164:167], v125 offset1:8
	ds_read2st64_b64 v[168:171], v126 offset1:8
	ds_read_b64 v[184:185], v133 offset:40960
	s_waitcnt lgkmcnt(2)
	v_mov_b32_e32 v172, v164
	v_mfma_f32_16x16x16_bf16 a[16:19], v[174:175], v[148:149], a[16:19]
	v_mov_b32_e32 v173, v165
	v_mfma_f32_16x16x16_bf16 a[20:23], v[174:175], v[152:153], a[20:23]
	v_mfma_f32_16x16x16_bf16 a[24:27], v[174:175], v[156:157], a[24:27]
	;; [unrolled: 1-line block ×3, first 2 shown]
	v_add_co_u32_e32 v160, vcc, s64, v186
	s_waitcnt lgkmcnt(1)
	v_mov_b32_e32 v174, v168
	s_waitcnt lgkmcnt(0)
	v_mfma_f32_16x16x16_bf16 a[16:19], v[184:185], v[150:151], a[16:19]
	ds_read2st64_b64 v[148:151], v125 offset0:16 offset1:24
	v_addc_co_u32_e32 v161, vcc, 0, v187, vcc
	v_mfma_f32_16x16x16_bf16 a[32:35], v[184:185], v[154:155], a[20:23]
	ds_read2st64_b64 v[152:155], v126 offset0:16 offset1:24
	v_mov_b32_e32 v175, v169
	v_mov_b32_e32 v168, v166
	v_mfma_f32_16x16x16_bf16 a[24:27], v[184:185], v[158:159], a[24:27]
	v_mov_b32_e32 v169, v167
	s_waitcnt lgkmcnt(0)
	v_mov_b32_e32 v158, v152
	v_mov_b32_e32 v159, v153
	v_mfma_f32_16x16x16_bf16 a[36:39], v[184:185], v[162:163], a[28:31]
	v_mov_b32_e32 v152, v150
	v_mov_b32_e32 v153, v151
	;; [unrolled: 1-line block ×3, first 2 shown]
	v_mfma_f32_16x16x16_bf16 a[20:23], v[182:183], v[42:43], a[16:19]
	v_add_co_u32_e32 v42, vcc, s65, v186
	v_mov_b32_e32 v157, v149
	v_mfma_f32_16x16x16_bf16 a[28:31], v[182:183], v[176:177], a[32:35]
	v_addc_co_u32_e32 v43, vcc, 0, v187, vcc
	global_store_dwordx4 v[42:43], v[152:155], off
	v_mfma_f32_16x16x16_bf16 a[16:19], v[182:183], v[178:179], a[24:27]
	s_waitcnt vmcnt(2)
	v_mov_b32_e32 v44, v37
	v_mov_b32_e32 v43, v36
	;; [unrolled: 1-line block ×3, first 2 shown]
	v_mfma_f32_16x16x16_bf16 a[24:27], v[182:183], v[180:181], a[36:39]
	s_and_b64 vcc, exec, s[0:1]
	global_store_dwordx4 v[186:187], v[172:175], off
	global_store_dwordx4 v[160:161], v[168:171], off offset:-4096
	global_store_dwordx4 v[160:161], v[156:159], off
	s_cbranch_vccnz .LBB30_6
; %bb.16:                               ;   in Loop: Header=BB30_7 Depth=1
	v_lshrrev_b32_e32 v35, 3, v146
	v_and_b32_e32 v35, 6, v35
	v_xor_b32_e32 v36, v35, v147
	v_lshlrev_b32_e32 v36, 2, v36
	v_and_b32_e32 v37, 8, v146
	v_xor_b32_e32 v146, 0x440, v36
	v_cmp_eq_u32_e32 vcc, 0, v37
	v_perm_b32 v37, v22, v18, s61
	s_nop 0
	v_cndmask_b32_e32 v36, v146, v36, vcc
	v_lshl_or_b32 v35, v35, 10, v36
	v_perm_b32 v36, v30, v26, s61
	s_barrier
	ds_write2st64_b32 v35, v36, v37 offset0:128 offset1:160
	v_xor_b32_e32 v36, 8, v35
	v_perm_b32 v26, v30, v26, s62
	v_perm_b32 v18, v22, v18, s62
	v_add_u32_e32 v22, 0x80, v36
	ds_write2st64_b32 v22, v26, v18 offset0:128 offset1:160
	v_xor_b32_e32 v18, 16, v35
	v_perm_b32 v22, v31, v27, s61
	v_perm_b32 v26, v23, v19, s61
	ds_write2st64_b32 v18, v22, v26 offset0:129 offset1:161
	v_xor_b32_e32 v18, 24, v35
	v_perm_b32 v22, v31, v27, s62
	v_perm_b32 v19, v23, v19, s62
	v_add_u32_e32 v18, 0x80, v18
	ds_write2st64_b32 v18, v22, v19 offset0:129 offset1:161
	v_xor_b32_e32 v18, 32, v35
	v_perm_b32 v19, v32, v28, s61
	v_perm_b32 v22, v24, v20, s61
	;; [unrolled: 9-line block ×3, first 2 shown]
	ds_write2st64_b32 v18, v19, v20 offset0:131 offset1:163
	v_xor_b32_e32 v18, 56, v35
	v_perm_b32 v19, v33, v29, s62
	v_perm_b32 v20, v25, v21, s62
	v_add_u32_e32 v18, 0x80, v18
	ds_write2st64_b32 v18, v19, v20 offset0:131 offset1:163
	ds_write_b64 v145, v[14:15] offset:49152
	v_xor_b32_e32 v14, 8, v145
	ds_write_b64 v14, v[16:17] offset:49152
	ds_write_b64 v145, v[10:11] offset:57344
	ds_write_b64 v14, v[12:13] offset:57344
	ds_write_b64 v144, v[6:7] offset:49152
	v_xor_b32_e32 v6, 8, v144
	ds_write_b64 v6, v[8:9] offset:49152
	ds_write_b64 v144, v[2:3] offset:57344
	;; [unrolled: 1-line block ×3, first 2 shown]
	s_branch .LBB30_6
.LBB30_17:
	s_lshl_b32 s44, s51, 6
	s_sub_i32 s45, s12, s44
	s_cmp_gt_i32 s45, 0
	v_or_b32_e32 v18, s2, v87
	s_cbranch_scc1 .LBB30_19
; %bb.18:
	s_ashr_i32 s0, s33, 31
	s_add_u32 s24, s48, s33
	s_addc_u32 s25, s54, s0
	v_or_b32_e32 v2, s2, v87
	s_cbranch_execz .LBB30_20
	s_branch .LBB30_100
.LBB30_19:
                                        ; implicit-def: $sgpr24_sgpr25
                                        ; implicit-def: $vgpr2
.LBB30_20:
	s_ashr_i32 s37, s50, 31
	s_ashr_i32 s3, s44, 31
	s_cmpk_lg_i32 s15, 0x80
	s_cselect_b64 s[40:41], -1, 0
	s_and_b64 vcc, exec, s[40:41]
	s_cbranch_vccz .LBB30_22
; %bb.21:
	s_mul_hi_i32 s0, s50, s12
	s_add_u32 s1, s46, s44
	s_addc_u32 s0, s0, s3
	s_mul_i32 s20, s1, s52
	s_mul_hi_u32 s21, s1, s14
	s_add_i32 s20, s21, s20
	s_mul_i32 s0, s0, s14
	s_add_i32 s20, s20, s0
	s_mul_i32 s1, s1, s14
	s_ashr_i32 s0, s55, 31
	s_add_u32 s42, s1, s55
	s_addc_u32 s43, s20, s0
	s_cbranch_execz .LBB30_23
	s_branch .LBB30_24
.LBB30_22:
                                        ; implicit-def: $sgpr42_sgpr43
.LBB30_23:
	s_mul_hi_i32 s0, s50, s14
	s_mul_i32 s50, s50, s14
	s_ashr_i32 s1, s55, 31
	s_add_u32 s14, s50, s55
	s_addc_u32 s0, s0, s1
	s_mul_i32 s1, s14, s49
	s_mul_hi_u32 s20, s14, s12
	s_add_i32 s1, s20, s1
	s_mul_i32 s0, s0, s12
	s_add_i32 s1, s1, s0
	s_mul_i32 s14, s14, s12
	s_add_u32 s42, s14, s44
	s_addc_u32 s43, s1, s3
.LBB30_24:
	s_add_i32 s20, s53, s51
	s_ashr_i32 s14, s33, 31
	s_add_u32 s24, s48, s33
	s_addc_u32 s25, s54, s14
	s_mul_i32 s0, s24, s49
	s_mul_hi_u32 s1, s24, s12
	s_add_i32 s0, s1, s0
	s_mul_i32 s1, s25, s12
	s_add_i32 s1, s0, s1
	s_mul_i32 s0, s24, s12
	s_add_u32 s0, s0, s44
	v_lshlrev_b32_e32 v6, 6, v1
	v_lshlrev_b32_e32 v26, 2, v87
	s_addc_u32 s1, s1, s3
	s_mov_b32 s3, 0x7060302
	v_or_b32_e32 v9, v6, v26
	v_xor_b32_e32 v7, v1, v26
	v_perm_b32 v3, v77, v76, s3
	v_perm_b32 v2, v75, v74, s3
	;; [unrolled: 1-line block ×4, first 2 shown]
	v_lshlrev_b32_e32 v9, 1, v9
	v_xor_b32_e32 v8, v90, v26
	ds_write2st64_b64 v9, v[2:3], v[4:5] offset0:32 offset1:48
	v_lshlrev_b32_e32 v7, 1, v7
	v_lshlrev_b32_e32 v9, 8, v87
	v_or_b32_e32 v10, v7, v9
	v_lshlrev_b32_e32 v8, 1, v8
	ds_write_b64 v10, v[2:3]
	v_or_b32_e32 v2, v8, v9
	v_or_b32_e32 v9, 16, v87
	v_lshlrev_b32_e32 v25, 2, v9
	v_or_b32_e32 v10, v6, v25
	ds_write_b64 v2, v[4:5]
	v_perm_b32 v3, v69, v68, s3
	v_perm_b32 v2, v67, v66, s3
	;; [unrolled: 1-line block ×4, first 2 shown]
	v_lshlrev_b32_e32 v10, 1, v10
	v_lshlrev_b32_e32 v9, 8, v9
	ds_write2st64_b64 v10, v[2:3], v[4:5] offset0:32 offset1:48
	v_or_b32_e32 v10, v7, v9
	ds_write_b64 v10, v[2:3]
	v_or_b32_e32 v2, v8, v9
	v_or_b32_e32 v9, 32, v87
	v_lshlrev_b32_e32 v24, 2, v9
	v_or_b32_e32 v10, v6, v24
	ds_write_b64 v2, v[4:5]
	v_perm_b32 v3, v61, v60, s3
	v_perm_b32 v2, v59, v58, s3
	v_perm_b32 v5, v55, v54, s3
	v_perm_b32 v4, v57, v56, s3
	v_lshlrev_b32_e32 v10, 1, v10
	v_lshlrev_b32_e32 v9, 8, v9
	s_lshl_b64 s[26:27], s[0:1], 8
	ds_write2st64_b64 v10, v[2:3], v[4:5] offset0:32 offset1:48
	v_or_b32_e32 v10, v7, v9
	s_add_u32 s0, s6, s26
	ds_write_b64 v10, v[2:3]
	v_or_b32_e32 v2, v8, v9
	s_addc_u32 s1, s7, s27
	ds_write_b64 v2, v[4:5]
	v_perm_b32 v3, v53, v52, s3
	v_perm_b32 v2, v51, v50, s3
	;; [unrolled: 1-line block ×4, first 2 shown]
	v_or_b32_e32 v9, 48, v87
	s_mul_hi_i32 s3, s20, s13
	s_mul_i32 s20, s20, s13
	v_lshlrev_b32_e32 v21, 2, v9
	s_add_u32 s6, s20, s33
	v_or_b32_e32 v6, v6, v21
	s_addc_u32 s7, s3, s14
	v_lshlrev_b32_e32 v6, 1, v6
	s_ashr_i32 s3, s2, 31
	s_lshl_b64 s[6:7], s[6:7], 15
	ds_write2st64_b64 v6, v[2:3], v[4:5] offset0:32 offset1:48
	v_lshlrev_b32_e32 v6, 8, v9
	s_waitcnt lgkmcnt(0)
	s_add_u32 s6, s38, s6
	v_or_b32_e32 v7, v7, v6
	s_addc_u32 s7, s39, s7
	s_lshl_b64 s[2:3], s[2:3], 8
	ds_write_b64 v7, v[2:3]
	v_or_b32_e32 v2, v8, v6
	s_add_u32 s2, s6, s2
	v_lshlrev_b32_e32 v3, 1, v87
	ds_write_b64 v2, v[4:5]
	v_lshrrev_b32_e32 v2, 4, v0
	s_addc_u32 s3, s7, s3
	v_or_b32_e32 v4, 1, v3
	v_lshlrev_b32_e32 v10, 4, v87
	v_mov_b32_e32 v11, 0
	v_xor_b32_e32 v3, v2, v3
	v_xor_b32_e32 v6, v4, v2
	v_lshl_add_u64 v[12:13], s[2:3], 0, v[10:11]
	v_lshlrev_b32_e32 v10, 8, v2
	v_lshl_or_b32 v16, v3, 3, v10
	v_lshl_or_b32 v17, v6, 3, v10
	s_waitcnt lgkmcnt(0)
	s_barrier
	ds_read2st64_b64 v[2:5], v16 offset1:8
	ds_read2st64_b64 v[6:9], v17 offset1:8
	v_lshl_add_u64 v[14:15], v[12:13], 0, v[10:11]
	s_movk_i32 s2, 0x2000
	s_cmp_lg_u32 s45, 64
	s_waitcnt lgkmcnt(1)
	v_mov_b32_e32 v10, v2
	v_mov_b32_e32 v11, v3
	s_waitcnt lgkmcnt(0)
	v_mov_b32_e32 v12, v6
	v_mov_b32_e32 v13, v7
	global_store_dwordx4 v[14:15], v[10:13], off
	v_mov_b32_e32 v6, v4
	v_mov_b32_e32 v7, v5
	ds_read2st64_b64 v[2:5], v16 offset0:16 offset1:24
	ds_read2st64_b64 v[10:13], v17 offset0:16 offset1:24
	v_add_co_u32_e32 v16, vcc, s2, v14
	s_cselect_b64 s[6:7], -1, 0
	s_nop 0
	v_addc_co_u32_e32 v17, vcc, 0, v15, vcc
	global_store_dwordx4 v[16:17], v[6:9], off offset:-4096
	v_lshl_or_b32 v19, v45, 3, v89
	s_mov_b32 s20, 0
	s_waitcnt lgkmcnt(1)
	v_mov_b32_e32 v6, v2
	v_add_co_u32_e32 v2, vcc, 0x3000, v14
	v_mov_b32_e32 v7, v3
	s_nop 0
	v_addc_co_u32_e32 v3, vcc, 0, v15, vcc
	s_waitcnt lgkmcnt(0)
	v_mov_b32_e32 v8, v10
	v_mov_b32_e32 v9, v11
	;; [unrolled: 1-line block ×4, first 2 shown]
	v_or_b32_e32 v22, 32, v19
	v_and_b32_e32 v20, 56, v88
	s_and_b64 vcc, exec, s[6:7]
	global_store_dwordx4 v[16:17], v[6:9], off
	global_store_dwordx4 v[2:3], v[10:13], off
	s_cbranch_vccz .LBB30_30
; %bb.25:
	s_mov_b32 s21, s20
	s_mov_b32 s22, s20
	;; [unrolled: 1-line block ×3, first 2 shown]
	v_mov_b64_e32 v[6:7], s[20:21]
	v_mov_b64_e32 v[8:9], s[22:23]
	;; [unrolled: 1-line block ×3, first 2 shown]
	v_cmp_gt_i32_e32 vcc, s45, v19
	v_mov_b64_e32 v[4:5], v[8:9]
	s_and_saveexec_b64 s[2:3], vcc
	s_cbranch_execz .LBB30_27
; %bb.26:
	v_lshlrev_b32_e32 v2, 8, v19
	v_mov_b32_e32 v3, 0
	v_lshl_add_u64 v[4:5], s[0:1], 0, v[2:3]
	v_lshlrev_b32_e32 v2, 1, v20
	v_lshl_add_u64 v[10:11], v[4:5], 0, v[2:3]
	global_load_dwordx4 v[6:9], v[10:11], off
	global_load_dwordx4 v[2:5], v[10:11], off offset:128
.LBB30_27:
	s_or_b64 exec, exec, s[2:3]
	s_mov_b32 s21, s20
	s_mov_b32 s22, s20
	;; [unrolled: 1-line block ×3, first 2 shown]
	v_mov_b64_e32 v[14:15], s[20:21]
	v_mov_b64_e32 v[16:17], s[22:23]
	;; [unrolled: 1-line block ×3, first 2 shown]
	v_cmp_gt_i32_e32 vcc, s45, v22
	v_lshlrev_b32_e32 v23, 7, v22
	v_mov_b64_e32 v[12:13], v[16:17]
	s_and_saveexec_b64 s[2:3], vcc
	s_cbranch_execz .LBB30_29
; %bb.28:
	v_lshlrev_b32_e32 v10, 1, v23
	v_mov_b32_e32 v11, 0
	v_lshl_add_u64 v[12:13], s[0:1], 0, v[10:11]
	v_lshlrev_b32_e32 v10, 1, v20
	v_lshl_add_u64 v[28:29], v[12:13], 0, v[10:11]
	global_load_dwordx4 v[14:17], v[28:29], off
	global_load_dwordx4 v[10:13], v[28:29], off offset:128
.LBB30_29:
	s_or_b64 exec, exec, s[2:3]
	v_lshrrev_b32_e32 v27, 3, v20
	v_lshlrev_b32_e32 v28, 3, v19
	v_or_b32_e32 v27, v28, v27
	v_lshlrev_b32_e32 v27, 4, v27
	v_and_b32_e32 v28, 0x78, v28
	v_xor_b32_e32 v27, v27, v28
	s_branch .LBB30_32
.LBB30_30:
                                        ; implicit-def: $vgpr27
                                        ; implicit-def: $vgpr23
                                        ; implicit-def: $vgpr6_vgpr7_vgpr8_vgpr9
                                        ; implicit-def: $vgpr2_vgpr3_vgpr4_vgpr5
                                        ; implicit-def: $vgpr14_vgpr15_vgpr16_vgpr17
                                        ; implicit-def: $vgpr10_vgpr11_vgpr12_vgpr13
	s_cbranch_execz .LBB30_32
; %bb.31:
	s_waitcnt vmcnt(0)
	v_lshlrev_b32_e32 v2, 1, v20
	v_lshl_or_b32 v23, v19, 8, v2
	s_and_b32 s1, s1, 0xffff
	s_mov_b32 s3, 0x20000
	s_movk_i32 s2, 0x4000
	v_lshl_or_b32 v27, v22, 8, v2
	s_movk_i32 s20, 0x80
	buffer_load_dwordx4 v[6:9], v23, s[0:3], 0 offen
	buffer_load_dwordx4 v[2:5], v23, s[0:3], s20 offen
	;; [unrolled: 1-line block ×4, first 2 shown]
	v_lshrrev_b32_e32 v23, 3, v20
	v_lshlrev_b32_e32 v27, 3, v19
	v_or_b32_e32 v23, v27, v23
	v_lshlrev_b32_e32 v23, 4, v23
	v_and_b32_e32 v27, 0x78, v27
	v_xor_b32_e32 v27, v23, v27
	v_lshlrev_b32_e32 v23, 7, v22
.LBB30_32:
	s_movk_i32 s0, 0x1000
	v_and_or_b32 v22, v23, s0, v27
	s_waitcnt vmcnt(1)
	ds_write_b64 v27, v[6:7] offset:49152
	v_xor_b32_e32 v6, 8, v27
	ds_write_b64 v6, v[8:9] offset:49152
	s_waitcnt vmcnt(0)
	ds_write_b64 v27, v[2:3] offset:57344
	ds_write_b64 v6, v[4:5] offset:57344
	;; [unrolled: 1-line block ×3, first 2 shown]
	v_xor_b32_e32 v2, 8, v22
	ds_write_b64 v2, v[16:17] offset:49152
	ds_write_b64 v22, v[10:11] offset:57344
	ds_write_b64 v2, v[12:13] offset:57344
	v_or_b32_e32 v2, v84, v87
	v_lshlrev_b32_e32 v2, 3, v2
	v_lshrrev_b32_e32 v3, 5, v85
	s_movk_i32 s0, 0xf8
	v_and_or_b32 v3, v2, s0, v3
	v_lshlrev_b32_e32 v7, 4, v3
	v_lshlrev_b32_e32 v27, 11, v45
	v_and_b32_e32 v8, 0x78, v2
	v_or_b32_e32 v10, 32, v7
	v_and_b32_e32 v6, 0x1000, v27
	v_lshrrev_b32_e32 v3, 1, v85
	v_xor_b32_e32 v10, v10, v8
	v_xor_b32_e32 v2, v7, v8
	v_and_b32_e32 v9, 8, v3
	v_or_b32_e32 v10, v10, v6
	v_or_b32_e32 v2, v2, v6
	v_xor_b32_e32 v33, v10, v9
	v_or_b32_e32 v10, 64, v7
	v_xor_b32_e32 v32, v2, v9
	v_xor_b32_e32 v10, v10, v8
	s_waitcnt lgkmcnt(0)
	s_barrier
	v_or_b32_e32 v13, v10, v6
	ds_read_b64 v[10:11], v32 offset:49152
	v_lshl_or_b32 v14, v86, 8, v26
	v_lshlrev_b32_e32 v28, 1, v14
	v_add_u32_e32 v12, 0x4000, v28
	ds_read2_b64 v[2:5], v12 offset1:16
	v_or_b32_e32 v7, 0x60, v7
	v_xor_b32_e32 v7, v7, v8
	v_or_b32_e32 v6, v7, v6
	v_xor_b32_e32 v34, v13, v9
	v_xor_b32_e32 v35, v6, v9
	ds_read_b64 v[22:23], v33 offset:49152
	ds_read_b64 v[36:37], v34 offset:49152
	;; [unrolled: 1-line block ×3, first 2 shown]
	s_waitcnt lgkmcnt(3)
	v_mfma_f32_16x16x16_bf16 a[0:3], v[10:11], v[2:3], 0
	ds_read2_b64 v[6:9], v12 offset0:32 offset1:48
	s_lshl_b64 s[0:1], s[42:43], 8
	s_add_u32 s4, s4, s0
	v_mfma_f32_16x16x16_bf16 a[4:7], v[10:11], v[4:5], 0
	ds_read2st64_b64 v[2:5], v28 offset0:36 offset1:40
	s_addc_u32 s5, s5, s1
	s_add_i32 s20, s12, -1
	s_waitcnt lgkmcnt(1)
	v_mfma_f32_16x16x16_bf16 a[8:11], v[10:11], v[6:7], 0
	v_or_b32_e32 v6, 64, v14
	v_lshlrev_b32_e32 v29, 1, v6
	s_add_i32 s0, s47, s17
	s_waitcnt lgkmcnt(0)
	v_mfma_f32_16x16x16_bf16 a[0:3], v[22:23], v[2:3], a[0:3]
	v_or_b32_e32 v2, 0x80, v14
	v_lshlrev_b32_e32 v30, 1, v2
	v_or_b32_e32 v2, 0xc0, v14
	v_mfma_f32_16x16x16_bf16 a[12:15], v[10:11], v[8:9], 0
	ds_read2st64_b64 v[6:9], v29 offset0:36 offset1:40
	v_lshlrev_b32_e32 v31, 1, v2
	ds_read2st64_b64 v[10:13], v30 offset0:36 offset1:40
	ds_read2st64_b64 v[14:17], v31 offset0:36 offset1:40
	s_mul_i32 s37, s37, s16
	s_add_i32 s37, s0, s37
	s_mul_i32 s0, s33, s19
	s_mul_hi_u32 s1, s33, s18
	s_ashr_i32 s2, s20, 31
	s_mul_i32 s3, s20, s35
	s_mul_hi_u32 s12, s20, s34
	s_waitcnt lgkmcnt(2)
	v_mfma_f32_16x16x16_bf16 a[4:7], v[22:23], v[6:7], a[4:7]
	s_add_i32 s0, s1, s0
	s_mul_i32 s1, s14, s18
	s_add_i32 s3, s12, s3
	s_mul_i32 s2, s2, s34
	s_waitcnt lgkmcnt(1)
	v_mfma_f32_16x16x16_bf16 a[8:11], v[22:23], v[10:11], a[8:11]
	s_add_i32 s1, s0, s1
	s_add_i32 s3, s3, s2
	s_lshl_b64 s[16:17], s[36:37], 2
	s_waitcnt lgkmcnt(0)
	v_mfma_f32_16x16x16_bf16 a[12:15], v[22:23], v[14:15], a[12:15]
	s_mul_i32 s0, s33, s18
	s_add_u32 s10, s10, s16
	s_addc_u32 s11, s11, s17
	s_lshl_b64 s[0:1], s[0:1], 2
	v_mfma_f32_16x16x16_bf16 a[0:3], v[36:37], v[4:5], a[0:3]
	s_mul_i32 s2, s20, s34
	ds_read_b64 v[2:3], v28 offset:22528
	s_add_u32 s10, s10, s0
	v_mfma_f32_16x16x16_bf16 a[4:7], v[36:37], v[8:9], a[4:7]
	ds_read_b64 v[4:5], v29 offset:22528
	ds_read_b64 v[6:7], v30 offset:22528
	;; [unrolled: 1-line block ×3, first 2 shown]
	s_addc_u32 s11, s11, s1
	s_lshl_b64 s[0:1], s[2:3], 2
	v_mfma_f32_16x16x16_bf16 a[8:11], v[36:37], v[12:13], a[8:11]
	s_add_u32 s0, s10, s0
	s_addc_u32 s1, s11, s1
	s_load_dword s12, s[0:1], 0x0
	v_mfma_f32_16x16x16_bf16 a[12:15], v[36:37], v[16:17], a[12:15]
	s_and_b64 vcc, exec, s[40:41]
	s_waitcnt lgkmcnt(0)
	v_mfma_f32_16x16x16_bf16 a[0:3], v[38:39], v[2:3], a[0:3]
	v_mfma_f32_16x16x16_bf16 a[4:7], v[38:39], v[4:5], a[4:7]
	;; [unrolled: 1-line block ×4, first 2 shown]
	s_cbranch_vccz .LBB30_43
; %bb.33:
	v_lshlrev_b32_e32 v22, 1, v19
	s_and_b64 vcc, exec, s[6:7]
	s_cbranch_vccz .LBB30_44
; %bb.34:
	v_cmp_gt_i32_e32 vcc, s45, v22
	v_mov_b32_e32 v6, 0
	v_mov_b32_e32 v2, 0
	;; [unrolled: 1-line block ×5, first 2 shown]
	s_and_saveexec_b64 s[0:1], vcc
	s_cbranch_execz .LBB30_36
; %bb.35:
	v_mad_i64_i32 v[2:3], s[2:3], s15, v22, 0
	v_lshl_add_u64 v[2:3], v[2:3], 1, s[4:5]
	v_lshlrev_b32_e32 v4, 1, v20
	v_mov_b32_e32 v5, 0
	v_lshl_add_u64 v[2:3], v[2:3], 0, v[4:5]
	global_load_dwordx4 v[2:5], v[2:3], off
.LBB30_36:
	s_or_b64 exec, exec, s[0:1]
	v_or_b32_e32 v23, 1, v22
	v_cmp_gt_i32_e64 s[0:1], s45, v23
	v_mov_b32_e32 v7, 0
	v_mov_b32_e32 v8, 0
	;; [unrolled: 1-line block ×3, first 2 shown]
	s_and_saveexec_b64 s[2:3], s[0:1]
	s_cbranch_execz .LBB30_38
; %bb.37:
	v_mad_i64_i32 v[6:7], s[16:17], s15, v23, 0
	v_lshl_add_u64 v[6:7], v[6:7], 1, s[4:5]
	v_lshlrev_b32_e32 v8, 1, v20
	v_mov_b32_e32 v9, 0
	v_lshl_add_u64 v[6:7], v[6:7], 0, v[8:9]
	global_load_dwordx4 v[6:9], v[6:7], off
.LBB30_38:
	s_or_b64 exec, exec, s[2:3]
	v_mov_b32_e32 v17, 0
	v_mov_b32_e32 v10, 0
	;; [unrolled: 1-line block ×5, first 2 shown]
	s_and_saveexec_b64 s[2:3], vcc
	s_cbranch_execz .LBB30_40
; %bb.39:
	v_mad_i64_i32 v[10:11], s[16:17], s15, v22, 0
	v_lshl_add_u64 v[10:11], v[10:11], 1, s[4:5]
	v_lshlrev_b32_e32 v12, 1, v20
	v_mov_b32_e32 v13, 0
	v_lshl_add_u64 v[10:11], v[10:11], 0, v[12:13]
	global_load_dwordx4 v[10:13], v[10:11], off offset:128
.LBB30_40:
	s_or_b64 exec, exec, s[2:3]
	v_mov_b32_e32 v16, 0
	v_mov_b32_e32 v15, 0
	;; [unrolled: 1-line block ×3, first 2 shown]
	s_and_saveexec_b64 s[2:3], s[0:1]
	s_cbranch_execz .LBB30_42
; %bb.41:
	v_mad_i64_i32 v[14:15], s[0:1], s15, v23, 0
	v_lshl_add_u64 v[14:15], v[14:15], 1, s[4:5]
	v_lshlrev_b32_e32 v16, 1, v20
	v_mov_b32_e32 v17, 0
	v_lshl_add_u64 v[14:15], v[14:15], 0, v[16:17]
	global_load_dwordx4 v[14:17], v[14:15], off offset:128
.LBB30_42:
	s_or_b64 exec, exec, s[2:3]
	s_branch .LBB30_46
.LBB30_43:
                                        ; implicit-def: $vgpr5
                                        ; implicit-def: $vgpr9
                                        ; implicit-def: $vgpr13
                                        ; implicit-def: $vgpr17
	v_lshrrev_b32_e32 v36, 2, v85
	s_branch .LBB30_47
.LBB30_44:
                                        ; implicit-def: $vgpr5
                                        ; implicit-def: $vgpr9
                                        ; implicit-def: $vgpr13
                                        ; implicit-def: $vgpr17
	s_cbranch_execz .LBB30_46
; %bb.45:
	s_waitcnt vmcnt(0)
	v_mad_u64_u32 v[2:3], s[0:1], v22, s15, v[20:21]
	v_lshlrev_b32_e32 v22, 1, v2
	s_lshl_b32 s2, s15, 7
	s_and_b32 s1, s5, 0xffff
	s_mov_b32 s3, 0x20000
	s_mov_b32 s0, s4
	v_add_lshl_u32 v23, v2, s15, 1
	s_movk_i32 s15, 0x80
	buffer_load_dwordx4 v[2:5], v22, s[0:3], 0 offen
	buffer_load_dwordx4 v[10:13], v22, s[0:3], s15 offen
	;; [unrolled: 1-line block ×4, first 2 shown]
.LBB30_46:
	v_lshrrev_b32_e32 v36, 2, v85
	s_cbranch_execnz .LBB30_59
.LBB30_47:
	s_and_b64 vcc, exec, s[6:7]
	s_cbranch_vccz .LBB30_57
; %bb.48:
	s_waitcnt vmcnt(0)
	v_lshlrev_b32_e32 v7, 1, v19
	v_cmp_gt_i32_e32 vcc, s45, v7
	v_mov_b32_e32 v6, 0
	v_lshlrev_b32_e32 v14, 9, v19
	v_mov_b32_e32 v2, 0
	v_mov_b32_e32 v3, 0
	;; [unrolled: 1-line block ×4, first 2 shown]
	s_and_saveexec_b64 s[0:1], vcc
	s_cbranch_execz .LBB30_50
; %bb.49:
	v_mov_b32_e32 v15, 0
	v_lshl_add_u64 v[2:3], s[4:5], 0, v[14:15]
	v_lshlrev_b32_e32 v4, 1, v20
	v_mov_b32_e32 v5, v15
	v_lshl_add_u64 v[2:3], v[2:3], 0, v[4:5]
	global_load_dwordx4 v[2:5], v[2:3], off
.LBB30_50:
	s_or_b64 exec, exec, s[0:1]
	v_or_b32_e32 v7, 1, v7
	v_cmp_gt_i32_e64 s[0:1], s45, v7
	v_lshlrev_b32_e32 v22, 8, v7
	v_mov_b32_e32 v7, 0
	v_mov_b32_e32 v8, 0
	;; [unrolled: 1-line block ×3, first 2 shown]
	s_and_saveexec_b64 s[2:3], s[0:1]
	s_cbranch_execz .LBB30_52
; %bb.51:
	v_mov_b32_e32 v23, 0
	v_lshl_add_u64 v[6:7], s[4:5], 0, v[22:23]
	v_lshlrev_b32_e32 v8, 1, v20
	v_mov_b32_e32 v9, v23
	v_lshl_add_u64 v[6:7], v[6:7], 0, v[8:9]
	global_load_dwordx4 v[6:9], v[6:7], off
.LBB30_52:
	s_or_b64 exec, exec, s[2:3]
	v_mov_b32_e32 v17, 0
	v_mov_b32_e32 v10, 0
	;; [unrolled: 1-line block ×5, first 2 shown]
	s_and_saveexec_b64 s[2:3], vcc
	s_cbranch_execz .LBB30_54
; %bb.53:
	v_mov_b32_e32 v15, 0
	v_lshl_add_u64 v[10:11], s[4:5], 0, v[14:15]
	v_lshlrev_b32_e32 v14, 1, v20
	v_lshl_add_u64 v[10:11], v[10:11], 0, v[14:15]
	global_load_dwordx4 v[10:13], v[10:11], off offset:128
.LBB30_54:
	s_or_b64 exec, exec, s[2:3]
	v_mov_b32_e32 v16, 0
	v_mov_b32_e32 v15, 0
	;; [unrolled: 1-line block ×3, first 2 shown]
	s_and_saveexec_b64 s[2:3], s[0:1]
	s_cbranch_execz .LBB30_56
; %bb.55:
	v_mov_b32_e32 v23, 0
	v_lshl_add_u64 v[14:15], s[4:5], 0, v[22:23]
	v_lshlrev_b32_e32 v22, 1, v20
	v_lshl_add_u64 v[14:15], v[14:15], 0, v[22:23]
	global_load_dwordx4 v[14:17], v[14:15], off offset:128
.LBB30_56:
	s_or_b64 exec, exec, s[2:3]
	s_branch .LBB30_59
.LBB30_57:
                                        ; implicit-def: $vgpr5
                                        ; implicit-def: $vgpr9
                                        ; implicit-def: $vgpr13
                                        ; implicit-def: $vgpr17
	s_cbranch_execz .LBB30_59
; %bb.58:
	s_waitcnt vmcnt(0)
	v_lshlrev_b32_e32 v2, 1, v20
	v_lshl_or_b32 v20, v19, 9, v2
	s_and_b32 s5, s5, 0xffff
	s_mov_b32 s7, 0x20000
	s_movk_i32 s6, 0x4000
	s_movk_i32 s0, 0x80
	buffer_load_dwordx4 v[2:5], v20, s[4:7], 0 offen
	buffer_load_dwordx4 v[6:9], v20, s[4:7], 0 offen offset:256
	buffer_load_dwordx4 v[10:13], v20, s[4:7], s0 offen
	buffer_load_dwordx4 v[14:17], v20, s[4:7], s0 offen offset:256
.LBB30_59:
	ds_read_b64 v[22:23], v32 offset:57344
	v_add_u32_e32 v20, 0x6000, v28
	ds_read2_b64 v[38:41], v20 offset1:16
	ds_read_b64 v[82:83], v33 offset:57344
	ds_read_b64 v[86:87], v34 offset:57344
	;; [unrolled: 1-line block ×3, first 2 shown]
	ds_read2_b64 v[32:35], v20 offset0:32 offset1:48
	v_and_b32_e32 v20, 12, v36
	v_and_b32_e32 v44, 6, v0
	v_xor_b32_e32 v19, v19, v44
	v_lshlrev_b32_e32 v19, 2, v19
	s_mov_b32 s0, 0x1000504
	s_waitcnt lgkmcnt(4)
	v_mfma_f32_16x16x16_bf16 a[4:7], v[22:23], v[40:41], a[4:7]
	s_mov_b32 s1, 0x3020706
	v_mfma_f32_16x16x16_bf16 a[0:3], v[22:23], v[38:39], a[0:3]
	ds_read2st64_b64 v[36:39], v28 offset0:52 offset1:56
	s_waitcnt lgkmcnt(1)
	v_mfma_f32_16x16x16_bf16 a[8:11], v[22:23], v[32:33], a[8:11]
	v_mfma_f32_16x16x16_bf16 a[12:15], v[22:23], v[34:35], a[12:15]
	ds_read2st64_b64 v[32:35], v29 offset0:52 offset1:56
	ds_read2st64_b64 v[40:43], v30 offset0:52 offset1:56
	;; [unrolled: 1-line block ×3, first 2 shown]
	s_waitcnt lgkmcnt(2)
	v_mfma_f32_16x16x16_bf16 a[4:7], v[82:83], v[32:33], a[4:7]
	v_and_b32_e32 v32, 1, v0
	v_xor_b32_e32 v33, 0x440, v19
	v_cmp_eq_u32_e32 vcc, 0, v32
	v_mfma_f32_16x16x16_bf16 a[0:3], v[82:83], v[36:37], a[0:3]
	s_waitcnt vmcnt(0)
	v_perm_b32 v32, v2, v6, s0
	v_cndmask_b32_e32 v19, v33, v19, vcc
	v_lshl_or_b32 v19, v44, 10, v19
	s_waitcnt lgkmcnt(1)
	v_mfma_f32_16x16x16_bf16 a[8:11], v[82:83], v[40:41], a[8:11]
	v_perm_b32 v33, v10, v14, s0
	ds_read_b64 v[22:23], v28 offset:30720
	ds_read_b64 v[36:37], v29 offset:30720
	ds_read_b64 v[90:91], v30 offset:30720
	ds_read_b64 v[92:93], v31 offset:30720
	ds_write2st64_b32 v19, v32, v33 offset0:128 offset1:160
	s_waitcnt lgkmcnt(5)
	v_mfma_f32_16x16x16_bf16 a[12:15], v[82:83], v[78:79], a[12:15]
	v_xor_b32_e32 v32, 8, v19
	v_perm_b32 v2, v2, v6, s1
	v_perm_b32 v6, v10, v14, s1
	v_add_u32_e32 v10, 0x80, v32
	ds_write2st64_b32 v10, v2, v6 offset0:128 offset1:160
	v_xor_b32_e32 v2, 16, v19
	v_perm_b32 v6, v3, v7, s0
	v_perm_b32 v10, v11, v15, s0
	v_mfma_f32_16x16x16_bf16 a[0:3], v[86:87], v[38:39], a[0:3]
	ds_write2st64_b32 v2, v6, v10 offset0:129 offset1:161
	v_xor_b32_e32 v2, 24, v19
	v_perm_b32 v3, v3, v7, s1
	v_mfma_f32_16x16x16_bf16 a[4:7], v[86:87], v[34:35], a[4:7]
	v_perm_b32 v6, v11, v15, s1
	v_add_u32_e32 v2, 0x80, v2
	ds_write2st64_b32 v2, v3, v6 offset0:129 offset1:161
	v_mfma_f32_16x16x16_bf16 a[16:19], v[86:87], v[42:43], a[8:11]
	v_xor_b32_e32 v2, 32, v19
	v_perm_b32 v3, v4, v8, s0
	v_perm_b32 v6, v12, v16, s0
	v_mfma_f32_16x16x16_bf16 a[20:23], v[86:87], v[80:81], a[12:15]
	ds_write2st64_b32 v2, v3, v6 offset0:130 offset1:162
	v_xor_b32_e32 v2, 40, v19
	v_perm_b32 v3, v4, v8, s1
	s_waitcnt lgkmcnt(8)
	v_mfma_f32_16x16x16_bf16 a[12:15], v[88:89], v[22:23], a[0:3]
	v_perm_b32 v4, v12, v16, s1
	v_add_u32_e32 v2, 0x80, v2
	ds_write2st64_b32 v2, v3, v4 offset0:130 offset1:162
	s_waitcnt lgkmcnt(8)
	v_mfma_f32_16x16x16_bf16 a[8:11], v[88:89], v[36:37], a[4:7]
	v_xor_b32_e32 v2, 48, v19
	v_perm_b32 v3, v5, v9, s0
	v_perm_b32 v4, v13, v17, s0
	s_waitcnt lgkmcnt(7)
	v_mfma_f32_16x16x16_bf16 a[4:7], v[88:89], v[90:91], a[16:19]
	ds_write2st64_b32 v2, v3, v4 offset0:131 offset1:163
	v_xor_b32_e32 v2, 56, v19
	v_or_b32_e32 v16, v20, v84
	s_waitcnt lgkmcnt(7)
	v_mfma_f32_16x16x16_bf16 a[0:3], v[88:89], v[92:93], a[20:23]
	v_perm_b32 v3, v5, v9, s1
	v_perm_b32 v4, v13, v17, s1
	v_add_u32_e32 v2, 0x80, v2
	v_cmp_gt_i32_e32 vcc, s45, v16
	v_mov_b32_e32 v17, 0
	v_mov_b32_e32 v23, 0
	ds_write2st64_b32 v2, v3, v4 offset0:131 offset1:163
	s_and_saveexec_b64 s[0:1], vcc
	s_cbranch_execz .LBB30_61
; %bb.60:
	v_add_u32_e32 v2, s44, v16
	v_ashrrev_i32_e32 v3, 31, v2
	v_mul_lo_u32 v4, v3, s34
	v_mul_lo_u32 v5, v2, s35
	v_mad_u64_u32 v[2:3], s[2:3], v2, s34, 0
	v_add3_u32 v3, v3, v5, v4
	v_lshl_add_u64 v[2:3], v[2:3], 2, s[10:11]
	global_load_dword v2, v[2:3], off
	s_waitcnt vmcnt(0)
	v_sub_f32_e32 v2, s12, v2
	v_exp_f32_e32 v23, v2
.LBB30_61:
	s_or_b64 exec, exec, s[0:1]
	v_or_b32_e32 v8, 1, v16
	v_cmp_gt_i32_e64 s[0:1], s45, v8
	s_and_saveexec_b64 s[2:3], s[0:1]
	s_cbranch_execz .LBB30_63
; %bb.62:
	v_add_u32_e32 v2, s44, v8
	v_ashrrev_i32_e32 v3, 31, v2
	v_mul_lo_u32 v4, v3, s34
	v_mul_lo_u32 v5, v2, s35
	v_mad_u64_u32 v[2:3], s[4:5], v2, s34, 0
	v_add3_u32 v3, v3, v5, v4
	v_lshl_add_u64 v[2:3], v[2:3], 2, s[10:11]
	global_load_dword v2, v[2:3], off
	s_waitcnt vmcnt(0)
	v_sub_f32_e32 v2, s12, v2
	v_exp_f32_e32 v17, v2
.LBB30_63:
	s_or_b64 exec, exec, s[2:3]
	v_or_b32_e32 v9, 2, v16
	v_cmp_gt_i32_e64 s[2:3], s45, v9
	v_mov_b32_e32 v22, 0
	v_mov_b32_e32 v32, 0
	s_and_saveexec_b64 s[4:5], s[2:3]
	s_cbranch_execz .LBB30_65
; %bb.64:
	v_add_u32_e32 v2, s44, v9
	v_ashrrev_i32_e32 v3, 31, v2
	v_mul_lo_u32 v4, v3, s34
	v_mul_lo_u32 v5, v2, s35
	v_mad_u64_u32 v[2:3], s[6:7], v2, s34, 0
	v_add3_u32 v3, v3, v5, v4
	v_lshl_add_u64 v[2:3], v[2:3], 2, s[10:11]
	global_load_dword v2, v[2:3], off
	s_waitcnt vmcnt(0)
	v_sub_f32_e32 v2, s12, v2
	v_exp_f32_e32 v32, v2
.LBB30_65:
	s_or_b64 exec, exec, s[4:5]
	v_or_b32_e32 v33, 3, v16
	v_cmp_gt_i32_e64 s[4:5], s45, v33
	s_and_saveexec_b64 s[6:7], s[4:5]
	s_cbranch_execz .LBB30_67
; %bb.66:
	v_add_u32_e32 v2, s44, v33
	v_ashrrev_i32_e32 v3, 31, v2
	v_mul_lo_u32 v4, v3, s34
	v_mul_lo_u32 v5, v2, s35
	v_mad_u64_u32 v[2:3], s[16:17], v2, s34, 0
	v_add3_u32 v3, v3, v5, v4
	v_lshl_add_u64 v[2:3], v[2:3], 2, s[10:11]
	global_load_dword v2, v[2:3], off
	s_waitcnt vmcnt(0)
	v_sub_f32_e32 v2, s12, v2
	v_exp_f32_e32 v22, v2
.LBB30_67:
	s_or_b64 exec, exec, s[6:7]
	s_add_u32 s6, s8, s26
	v_accvgpr_read_b32 v2, a12
	s_addc_u32 s7, s9, s27
	v_ashrrev_i32_e32 v19, 31, v18
	v_accvgpr_read_b32 v3, a13
	v_accvgpr_read_b32 v4, a14
	;; [unrolled: 1-line block ×3, first 2 shown]
	v_lshl_add_u64 v[6:7], v[18:19], 1, s[6:7]
	v_mov_b32_e32 v13, 0
	v_lshlrev_b32_e32 v10, 8, v16
	v_mov_b32_e32 v11, 0
	s_and_saveexec_b64 s[6:7], vcc
	s_cbranch_execz .LBB30_69
; %bb.68:
	v_mov_b32_e32 v11, 0
	v_lshl_add_u64 v[14:15], v[6:7], 0, v[10:11]
	global_load_ushort v11, v[14:15], off
	s_waitcnt vmcnt(0)
	v_lshlrev_b32_e32 v11, 16, v11
	v_sub_f32_e32 v2, v11, v2
	v_mul_f32_e32 v2, v23, v2
	v_lshrrev_b32_e32 v11, 16, v2
.LBB30_69:
	s_or_b64 exec, exec, s[6:7]
	v_lshlrev_b32_e32 v12, 8, v8
	s_and_saveexec_b64 s[6:7], s[0:1]
	s_cbranch_execz .LBB30_71
; %bb.70:
	v_mov_b32_e32 v13, 0
	v_lshl_add_u64 v[14:15], v[6:7], 0, v[12:13]
	global_load_ushort v2, v[14:15], off
	s_waitcnt vmcnt(0)
	v_lshlrev_b32_e32 v2, 16, v2
	v_sub_f32_e32 v2, v2, v3
	v_mul_f32_e32 v2, v17, v2
	v_lshrrev_b32_e32 v13, 16, v2
.LBB30_71:
	s_or_b64 exec, exec, s[6:7]
	v_mov_b32_e32 v34, 0
	v_lshlrev_b32_e32 v14, 8, v9
	v_mov_b32_e32 v15, 0
	s_and_saveexec_b64 s[6:7], s[2:3]
	s_cbranch_execz .LBB30_73
; %bb.72:
	v_mov_b32_e32 v15, 0
	v_lshl_add_u64 v[2:3], v[6:7], 0, v[14:15]
	global_load_ushort v2, v[2:3], off
	s_waitcnt vmcnt(0)
	v_lshlrev_b32_e32 v2, 16, v2
	v_sub_f32_e32 v2, v2, v4
	v_mul_f32_e32 v2, v32, v2
	v_lshrrev_b32_e32 v15, 16, v2
.LBB30_73:
	s_or_b64 exec, exec, s[6:7]
	v_lshlrev_b32_e32 v8, 8, v33
	s_and_saveexec_b64 s[6:7], s[4:5]
	s_cbranch_execz .LBB30_75
; %bb.74:
	v_mov_b32_e32 v9, 0
	v_lshl_add_u64 v[2:3], v[6:7], 0, v[8:9]
	global_load_ushort v2, v[2:3], off
	s_waitcnt vmcnt(0)
	v_lshlrev_b32_e32 v2, 16, v2
	v_sub_f32_e32 v2, v2, v5
	v_mul_f32_e32 v2, v22, v2
	v_lshrrev_b32_e32 v34, 16, v2
.LBB30_75:
	s_or_b64 exec, exec, s[6:7]
	v_lshlrev_b32_e32 v19, 6, v16
	v_accvgpr_read_b32 v2, a8
	s_mov_b32 s6, 0x5040100
	v_or_b32_e32 v9, v19, v26
	v_accvgpr_read_b32 v3, a9
	v_accvgpr_read_b32 v4, a10
	;; [unrolled: 1-line block ×3, first 2 shown]
	v_perm_b32 v35, v34, v15, s6
	v_perm_b32 v34, v13, v11, s6
	v_lshlrev_b32_e32 v9, 1, v9
	v_mov_b32_e32 v13, 0
	v_mov_b32_e32 v11, 0
	ds_write_b64 v9, v[34:35] offset:24576
	s_and_saveexec_b64 s[6:7], vcc
	s_cbranch_execz .LBB30_77
; %bb.76:
	v_mov_b32_e32 v11, 0
	v_lshl_add_u64 v[34:35], v[6:7], 0, v[10:11]
	global_load_ushort v9, v[34:35], off offset:32
	s_waitcnt vmcnt(0)
	v_lshlrev_b32_e32 v9, 16, v9
	v_sub_f32_e32 v2, v9, v2
	v_mul_f32_e32 v2, v23, v2
	v_lshrrev_b32_e32 v11, 16, v2
.LBB30_77:
	s_or_b64 exec, exec, s[6:7]
	s_and_saveexec_b64 s[6:7], s[0:1]
	s_cbranch_execz .LBB30_79
; %bb.78:
	v_mov_b32_e32 v13, 0
	v_lshl_add_u64 v[34:35], v[6:7], 0, v[12:13]
	global_load_ushort v2, v[34:35], off offset:32
	s_waitcnt vmcnt(0)
	v_lshlrev_b32_e32 v2, 16, v2
	v_sub_f32_e32 v2, v2, v3
	v_mul_f32_e32 v2, v17, v2
	v_lshrrev_b32_e32 v13, 16, v2
.LBB30_79:
	s_or_b64 exec, exec, s[6:7]
	v_mov_b32_e32 v9, 0
	v_mov_b32_e32 v15, 0
	s_and_saveexec_b64 s[6:7], s[2:3]
	s_cbranch_execz .LBB30_81
; %bb.80:
	v_mov_b32_e32 v15, 0
	v_lshl_add_u64 v[2:3], v[6:7], 0, v[14:15]
	global_load_ushort v2, v[2:3], off offset:32
	s_waitcnt vmcnt(0)
	v_lshlrev_b32_e32 v2, 16, v2
	v_sub_f32_e32 v2, v2, v4
	v_mul_f32_e32 v2, v32, v2
	v_lshrrev_b32_e32 v15, 16, v2
.LBB30_81:
	s_or_b64 exec, exec, s[6:7]
	s_and_saveexec_b64 s[6:7], s[4:5]
	s_cbranch_execz .LBB30_83
; %bb.82:
	v_mov_b32_e32 v9, 0
	v_lshl_add_u64 v[2:3], v[6:7], 0, v[8:9]
	global_load_ushort v2, v[2:3], off offset:32
	s_waitcnt vmcnt(0)
	v_lshlrev_b32_e32 v2, 16, v2
	v_sub_f32_e32 v2, v2, v5
	v_mul_f32_e32 v2, v22, v2
	v_lshrrev_b32_e32 v9, 16, v2
.LBB30_83:
	s_or_b64 exec, exec, s[6:7]
	s_mov_b32 s6, 0x5040100
	v_accvgpr_read_b32 v2, a4
	v_perm_b32 v35, v9, v15, s6
	v_or_b32_e32 v9, v19, v25
	v_accvgpr_read_b32 v3, a5
	v_accvgpr_read_b32 v4, a6
	;; [unrolled: 1-line block ×3, first 2 shown]
	v_perm_b32 v34, v13, v11, s6
	v_lshlrev_b32_e32 v9, 1, v9
	v_mov_b32_e32 v13, 0
	v_mov_b32_e32 v11, 0
	ds_write_b64 v9, v[34:35] offset:24576
	s_and_saveexec_b64 s[6:7], vcc
	s_cbranch_execz .LBB30_85
; %bb.84:
	v_mov_b32_e32 v11, 0
	v_lshl_add_u64 v[34:35], v[6:7], 0, v[10:11]
	global_load_ushort v9, v[34:35], off offset:64
	s_waitcnt vmcnt(0)
	v_lshlrev_b32_e32 v9, 16, v9
	v_sub_f32_e32 v2, v9, v2
	v_mul_f32_e32 v2, v23, v2
	v_lshrrev_b32_e32 v11, 16, v2
.LBB30_85:
	s_or_b64 exec, exec, s[6:7]
	s_and_saveexec_b64 s[6:7], s[0:1]
	s_cbranch_execz .LBB30_87
; %bb.86:
	v_mov_b32_e32 v13, 0
	v_lshl_add_u64 v[34:35], v[6:7], 0, v[12:13]
	global_load_ushort v2, v[34:35], off offset:64
	s_waitcnt vmcnt(0)
	v_lshlrev_b32_e32 v2, 16, v2
	v_sub_f32_e32 v2, v2, v3
	v_mul_f32_e32 v2, v17, v2
	v_lshrrev_b32_e32 v13, 16, v2
.LBB30_87:
	s_or_b64 exec, exec, s[6:7]
	v_mov_b32_e32 v9, 0
	v_mov_b32_e32 v15, 0
	s_and_saveexec_b64 s[6:7], s[2:3]
	s_cbranch_execz .LBB30_89
; %bb.88:
	v_mov_b32_e32 v15, 0
	v_lshl_add_u64 v[2:3], v[6:7], 0, v[14:15]
	global_load_ushort v2, v[2:3], off offset:64
	s_waitcnt vmcnt(0)
	v_lshlrev_b32_e32 v2, 16, v2
	v_sub_f32_e32 v2, v2, v4
	v_mul_f32_e32 v2, v32, v2
	v_lshrrev_b32_e32 v15, 16, v2
.LBB30_89:
	s_or_b64 exec, exec, s[6:7]
	s_and_saveexec_b64 s[6:7], s[4:5]
	s_cbranch_execz .LBB30_91
; %bb.90:
	v_mov_b32_e32 v9, 0
	v_lshl_add_u64 v[2:3], v[6:7], 0, v[8:9]
	global_load_ushort v2, v[2:3], off offset:64
	s_waitcnt vmcnt(0)
	v_lshlrev_b32_e32 v2, 16, v2
	v_sub_f32_e32 v2, v2, v5
	v_mul_f32_e32 v2, v22, v2
	v_lshrrev_b32_e32 v9, 16, v2
.LBB30_91:
	s_or_b64 exec, exec, s[6:7]
	s_mov_b32 s6, 0x5040100
	v_accvgpr_read_b32 v5, a3
	v_perm_b32 v35, v9, v15, s6
	v_or_b32_e32 v9, v19, v24
	v_accvgpr_read_b32 v4, a2
	v_accvgpr_read_b32 v3, a1
	;; [unrolled: 1-line block ×3, first 2 shown]
	v_perm_b32 v34, v13, v11, s6
	v_lshlrev_b32_e32 v9, 1, v9
	v_mov_b32_e32 v13, 0
	v_mov_b32_e32 v11, 0
	ds_write_b64 v9, v[34:35] offset:24576
	s_and_saveexec_b64 s[6:7], vcc
	s_cbranch_execz .LBB30_93
; %bb.92:
	v_mov_b32_e32 v11, 0
	v_lshl_add_u64 v[10:11], v[6:7], 0, v[10:11]
	global_load_ushort v9, v[10:11], off offset:96
	s_waitcnt vmcnt(0)
	v_lshlrev_b32_e32 v9, 16, v9
	v_sub_f32_e32 v2, v9, v2
	v_mul_f32_e32 v2, v23, v2
	v_lshrrev_b32_e32 v11, 16, v2
.LBB30_93:
	s_or_b64 exec, exec, s[6:7]
	s_and_saveexec_b64 s[6:7], s[0:1]
	s_cbranch_execz .LBB30_95
; %bb.94:
	v_mov_b32_e32 v13, 0
	v_lshl_add_u64 v[12:13], v[6:7], 0, v[12:13]
	global_load_ushort v2, v[12:13], off offset:96
	s_waitcnt vmcnt(0)
	v_lshlrev_b32_e32 v2, 16, v2
	v_sub_f32_e32 v2, v2, v3
	v_mul_f32_e32 v2, v17, v2
	v_lshrrev_b32_e32 v13, 16, v2
.LBB30_95:
	s_or_b64 exec, exec, s[6:7]
	v_mov_b32_e32 v9, 0
	v_mov_b32_e32 v12, 0
	s_and_saveexec_b64 s[0:1], s[2:3]
	s_cbranch_execz .LBB30_97
; %bb.96:
	v_mov_b32_e32 v15, 0
	v_lshl_add_u64 v[2:3], v[6:7], 0, v[14:15]
	global_load_ushort v2, v[2:3], off offset:96
	s_waitcnt vmcnt(0)
	v_lshlrev_b32_e32 v2, 16, v2
	v_sub_f32_e32 v2, v2, v4
	v_mul_f32_e32 v2, v32, v2
	v_lshrrev_b32_e32 v12, 16, v2
.LBB30_97:
	s_or_b64 exec, exec, s[0:1]
	v_or_b32_e32 v10, 0x6000, v28
	v_or_b32_e32 v2, 0x6000, v29
	;; [unrolled: 1-line block ×4, first 2 shown]
	s_and_saveexec_b64 s[0:1], s[4:5]
	s_cbranch_execz .LBB30_99
; %bb.98:
	v_mov_b32_e32 v9, 0
	v_lshl_add_u64 v[6:7], v[6:7], 0, v[8:9]
	global_load_ushort v6, v[6:7], off offset:96
	s_waitcnt vmcnt(0)
	v_lshlrev_b32_e32 v6, 16, v6
	v_sub_f32_e32 v5, v6, v5
	v_mul_f32_e32 v5, v22, v5
	v_lshrrev_b32_e32 v9, 16, v5
.LBB30_99:
	s_or_b64 exec, exec, s[0:1]
	s_mov_b32 s0, 0x5040100
	v_or_b32_e32 v5, v19, v21
	v_perm_b32 v7, v9, v12, s0
	v_perm_b32 v6, v13, v11, s0
	v_lshlrev_b32_e32 v5, 1, v5
	ds_write_b64 v5, v[6:7] offset:24576
	v_and_b32_e32 v5, 7, v0
	v_and_b32_e32 v11, 8, v0
	v_lshlrev_b32_e32 v17, 3, v5
	v_lshlrev_b32_e32 v19, 7, v5
	v_lshrrev_b32_e32 v5, 1, v0
	v_and_b32_e32 v5, 24, v5
	v_mov_b32_e32 v12, 0x400
	v_cmp_eq_u32_e32 vcc, 0, v11
	s_movk_i32 s2, 0x100
	v_lshlrev_b32_e32 v21, 3, v45
	v_cndmask_b32_e64 v11, v12, 64, vcc
	v_mov_b32_e32 v12, 0xa000
	v_mov_b32_e32 v13, 0x8000
	v_cmp_gt_u32_e64 s[0:1], s2, v0
	v_xor_b32_e32 v26, v21, v5
	s_waitcnt lgkmcnt(0)
	v_cndmask_b32_e64 v0, v12, v13, s[0:1]
	v_or_b32_e32 v12, 0x440, v26
	v_cndmask_b32_e32 v12, v12, v26, vcc
	v_or_b32_e32 v12, v12, v27
	v_xor_b32_e32 v44, v12, v17
	v_add3_u32 v12, v0, v44, v19
	s_barrier
	ds_read_b64 v[22:23], v12
	v_or_b32_e32 v12, 32, v5
	v_xor_b32_e32 v12, v21, v12
	v_or_b32_e32 v13, 0x440, v12
	v_cndmask_b32_e32 v12, v13, v12, vcc
	v_or_b32_e32 v12, v12, v27
	v_xor_b32_e32 v84, v12, v17
	v_add3_u32 v12, v0, v84, v19
	ds_read2_b64 v[6:9], v10 offset1:16
	ds_read_b64 v[40:41], v12
	ds_read2_b64 v[12:15], v10 offset0:32 offset1:48
	v_or3_b32 v11, v27, v11, v26
	v_xor_b32_e32 v11, v11, v17
	v_or_b32_e32 v5, 0x60, v5
	v_or_b32_e32 v85, v11, v19
	;; [unrolled: 1-line block ×3, first 2 shown]
	v_xor_b32_e32 v5, v21, v5
	s_add_i32 s0, s20, s46
	s_waitcnt lgkmcnt(2)
	v_mfma_f32_16x16x16_bf16 a[0:3], v[22:23], v[6:7], 0
	ds_read2st64_b64 v[28:31], v2 offset0:4 offset1:8
	s_mul_hi_i32 s1, s0, s13
	s_mul_i32 s0, s0, s13
	v_mfma_f32_16x16x16_bf16 a[4:7], v[22:23], v[8:9], 0
	s_add_u32 s0, s0, s33
	s_addc_u32 s1, s1, s14
	s_lshl_b64 s[0:1], s[0:1], 9
	s_waitcnt lgkmcnt(1)
	v_mfma_f32_16x16x16_bf16 a[8:11], v[22:23], v[12:13], 0
	s_add_u32 s0, s30, s0
	s_addc_u32 s1, s31, s1
	v_lshlrev_b32_e32 v20, 2, v20
	v_mfma_f32_16x16x16_bf16 a[12:15], v[22:23], v[14:15], 0
	ds_read2st64_b64 v[22:25], v10 offset0:4 offset1:8
	ds_read2st64_b64 v[32:35], v3 offset0:4 offset1:8
	;; [unrolled: 1-line block ×3, first 2 shown]
	ds_read_b64 v[42:43], v11
	v_xor_b32_e32 v11, 0x440, v5
	v_cndmask_b32_e32 v5, v11, v5, vcc
	v_or_b32_e32 v5, v5, v27
	v_xor_b32_e32 v21, v5, v17
	v_add3_u32 v0, v0, v21, v19
	ds_read_b64 v[26:27], v0
	v_lshlrev_b32_e32 v0, 2, v16
	ds_read_b64 v[10:11], v10 offset:6144
	ds_read_b64 v[78:79], v2 offset:6144
	;; [unrolled: 1-line block ×4, first 2 shown]
	global_load_dwordx4 v[2:5], v0, s[0:1]
	s_waitcnt lgkmcnt(8)
	v_mfma_f32_16x16x16_bf16 a[0:3], v[40:41], v[22:23], a[0:3]
	v_add_u32_e32 v0, v44, v19
	ds_read_b64 v[16:17], v0 offset:40960
	v_lshlrev_b32_e32 v0, 6, v45
	v_mfma_f32_16x16x16_bf16 a[4:7], v[40:41], v[28:29], a[4:7]
	v_or3_b32 v0, v0, v20, s2
	v_add_u32_e32 v20, v84, v19
	v_add_u32_e32 v19, v21, v19
	s_waitcnt lgkmcnt(8)
	v_mfma_f32_16x16x16_bf16 a[8:11], v[40:41], v[32:33], a[8:11]
	s_waitcnt vmcnt(0)
	v_exp_f32_e32 v4, v4
	s_waitcnt lgkmcnt(7)
	v_mfma_f32_16x16x16_bf16 a[12:15], v[40:41], v[36:37], a[12:15]
	v_exp_f32_e32 v5, v5
	v_exp_f32_e32 v2, v2
	;; [unrolled: 1-line block ×3, first 2 shown]
	s_waitcnt lgkmcnt(6)
	v_mfma_f32_16x16x16_bf16 a[0:3], v[42:43], v[24:25], a[0:3]
	v_mfma_f32_16x16x16_bf16 a[4:7], v[42:43], v[30:31], a[4:7]
	;; [unrolled: 1-line block ×4, first 2 shown]
	s_waitcnt lgkmcnt(4)
	v_mfma_f32_16x16x16_bf16 a[0:3], v[26:27], v[10:11], a[0:3]
	s_waitcnt lgkmcnt(3)
	v_mfma_f32_16x16x16_bf16 a[4:7], v[26:27], v[78:79], a[4:7]
	;; [unrolled: 2-line block ×4, first 2 shown]
	ds_read_b64 v[20:21], v20 offset:40960
	ds_read_b64 v[26:27], v19 offset:40960
	global_load_dwordx4 v[40:43], v0, s[0:1]
	v_exp_f32_e32 v0, s12
	s_waitcnt lgkmcnt(2)
	v_mfma_f32_16x16x16_bf16 a[28:31], v[16:17], v[14:15], 0
	ds_read_b64 v[14:15], v85 offset:40960
	v_pk_mul_f32 v[2:3], v[0:1], v[2:3] op_sel_hi:[0,1]
	v_mfma_f32_16x16x16_bf16 a[16:19], v[16:17], v[6:7], 0
	v_pk_mul_f32 v[6:7], v[0:1], v[4:5] op_sel_hi:[0,1]
	v_accvgpr_read_b32 v5, a3
	v_accvgpr_read_b32 v4, a2
	v_mfma_f32_16x16x16_bf16 a[20:23], v[16:17], v[8:9], 0
	v_pk_fma_f32 v[76:77], v[76:77], v[6:7], v[4:5]
	v_accvgpr_read_b32 v4, a4
	v_accvgpr_read_b32 v5, a5
	v_mfma_f32_16x16x16_bf16 a[24:27], v[16:17], v[12:13], 0
	v_pk_fma_f32 v[66:67], v[2:3], v[66:67], v[4:5]
	v_accvgpr_read_b32 v4, a8
	v_accvgpr_read_b32 v5, a9
	s_waitcnt lgkmcnt(2)
	v_mfma_f32_16x16x16_bf16 a[16:19], v[20:21], v[22:23], a[16:19]
	v_accvgpr_read_b32 v9, a7
	v_accvgpr_read_b32 v8, a6
	;; [unrolled: 1-line block ×3, first 2 shown]
	v_mfma_f32_16x16x16_bf16 a[20:23], v[20:21], v[28:29], a[20:23]
	v_pk_fma_f32 v[58:59], v[2:3], v[58:59], v[4:5]
	v_accvgpr_read_b32 v4, a12
	v_accvgpr_read_b32 v13, a11
	v_mfma_f32_16x16x16_bf16 a[24:27], v[20:21], v[32:33], a[24:27]
	v_accvgpr_read_b32 v12, a10
	v_accvgpr_read_b32 v22, a0
	;; [unrolled: 1-line block ×3, first 2 shown]
	s_waitcnt lgkmcnt(0)
	v_mfma_f32_16x16x16_bf16 a[4:7], v[14:15], v[24:25], a[16:19]
	v_pk_fma_f32 v[74:75], v[74:75], v[2:3], v[22:23]
	v_pk_fma_f32 v[50:51], v[2:3], v[50:51], v[4:5]
	v_accvgpr_read_b32 v17, a15
	v_mfma_f32_16x16x16_bf16 a[0:3], v[20:21], v[36:37], a[28:31]
	v_accvgpr_read_b32 v16, a14
	v_pk_fma_f32 v[68:69], v[6:7], v[68:69], v[8:9]
	v_pk_fma_f32 v[60:61], v[6:7], v[60:61], v[12:13]
	v_mfma_f32_16x16x16_bf16 a[8:11], v[14:15], v[30:31], a[20:23]
	v_pk_fma_f32 v[52:53], v[6:7], v[52:53], v[16:17]
	s_waitcnt vmcnt(0)
	v_mov_b32_e32 v2, v41
	v_mfma_f32_16x16x16_bf16 a[12:15], v[14:15], v[34:35], a[24:27]
	v_mov_b32_e32 v3, v42
	v_mov_b32_e32 v4, v43
	v_exp_f32_e32 v9, v2
	v_exp_f32_e32 v2, v3
	;; [unrolled: 1-line block ×3, first 2 shown]
	v_mfma_f32_16x16x16_bf16 a[4:7], v[26:27], v[10:11], a[4:7]
	v_exp_f32_e32 v8, v40
	v_pk_mul_f32 v[2:3], v[0:1], v[2:3] op_sel_hi:[0,1]
	v_mfma_f32_16x16x16_bf16 a[0:3], v[14:15], v[38:39], a[0:3]
	v_pk_mul_f32 v[4:5], v[0:1], v[8:9] op_sel_hi:[0,1]
	v_mfma_f32_16x16x16_bf16 a[8:11], v[26:27], v[78:79], a[8:11]
	s_nop 1
	v_accvgpr_read_b32 v7, a7
	v_accvgpr_read_b32 v6, a6
	v_pk_fma_f32 v[72:73], v[72:73], v[2:3], v[6:7]
	v_mfma_f32_16x16x16_bf16 a[12:15], v[26:27], v[80:81], a[12:15]
	v_accvgpr_read_b32 v15, a5
	v_accvgpr_read_b32 v14, a4
	v_pk_fma_f32 v[70:71], v[70:71], v[4:5], v[14:15]
	v_mfma_f32_16x16x16_bf16 a[0:3], v[26:27], v[82:83], a[0:3]
	v_accvgpr_read_b32 v6, a8
	v_accvgpr_read_b32 v7, a9
	v_pk_fma_f32 v[62:63], v[4:5], v[62:63], v[6:7]
	v_accvgpr_read_b32 v6, a12
	v_accvgpr_read_b32 v7, a13
	v_pk_fma_f32 v[56:57], v[4:5], v[56:57], v[6:7]
	v_accvgpr_read_b32 v9, a11
	v_accvgpr_read_b32 v7, a1
	;; [unrolled: 1-line block ×8, first 2 shown]
	v_pk_fma_f32 v[64:65], v[2:3], v[64:65], v[8:9]
	v_pk_fma_f32 v[54:55], v[2:3], v[54:55], v[10:11]
	;; [unrolled: 1-line block ×4, first 2 shown]
	v_mov_b32_e32 v2, v18
.LBB30_100:
	s_lshl_b64 s[0:1], s[24:25], 15
	s_waitcnt lgkmcnt(0)
	s_add_u32 s0, s28, s0
	v_lshlrev_b32_e32 v2, 7, v2
	s_addc_u32 s1, s29, s1
	v_ashrrev_i32_e32 v3, 31, v2
	v_lshl_add_u64 v[4:5], v[2:3], 1, s[0:1]
	v_lshlrev_b32_e32 v0, 1, v1
	v_mov_b32_e32 v1, 0
	s_mov_b32 s2, 0x7060302
	v_lshl_add_u64 v[4:5], v[4:5], 0, v[0:1]
	v_perm_b32 v7, v77, v76, s2
	v_perm_b32 v6, v75, v74, s2
	global_store_dwordx2 v[4:5], v[6:7], off
	v_perm_b32 v7, v73, v72, s2
	v_perm_b32 v6, v71, v70, s2
	global_store_dwordx2 v[4:5], v[6:7], off offset:128
	v_or_b32_e32 v4, 0x800, v2
	v_ashrrev_i32_e32 v5, 31, v4
	v_lshl_add_u64 v[4:5], v[4:5], 1, s[0:1]
	v_lshl_add_u64 v[4:5], v[4:5], 0, v[0:1]
	v_perm_b32 v7, v69, v68, s2
	v_perm_b32 v6, v67, v66, s2
	global_store_dwordx2 v[4:5], v[6:7], off
	v_perm_b32 v7, v65, v64, s2
	v_perm_b32 v6, v63, v62, s2
	global_store_dwordx2 v[4:5], v[6:7], off offset:128
	v_or_b32_e32 v4, 0x1000, v2
	v_or_b32_e32 v2, 0x1800, v2
	v_ashrrev_i32_e32 v5, 31, v4
	v_ashrrev_i32_e32 v3, 31, v2
	v_lshl_add_u64 v[4:5], v[4:5], 1, s[0:1]
	v_lshl_add_u64 v[2:3], v[2:3], 1, s[0:1]
	;; [unrolled: 1-line block ×3, first 2 shown]
	v_perm_b32 v7, v61, v60, s2
	v_perm_b32 v6, v59, v58, s2
	v_lshl_add_u64 v[0:1], v[2:3], 0, v[0:1]
	v_perm_b32 v3, v53, v52, s2
	v_perm_b32 v2, v51, v50, s2
	global_store_dwordx2 v[4:5], v[6:7], off
	v_perm_b32 v7, v55, v54, s2
	v_perm_b32 v6, v57, v56, s2
	global_store_dwordx2 v[0:1], v[2:3], off
	v_perm_b32 v3, v49, v48, s2
	v_perm_b32 v2, v47, v46, s2
	global_store_dwordx2 v[4:5], v[6:7], off offset:128
	global_store_dwordx2 v[0:1], v[2:3], off offset:128
	s_endpgm
	.section	.rodata,"a",@progbits
	.p2align	6, 0x0
	.amdhsa_kernel _ZN12_GLOBAL__N_139chunk_gated_delta_rule_fwd_h_hip_kernelILi64ELb0ELb1ELb0ELb0ELb1ELb1ELb0ELb1EEEvPK12hip_bfloat16S3_S3_PKfS5_PKvPS1_S8_PvPKiSB_iiiiilll
		.amdhsa_group_segment_fixed_size 65536
		.amdhsa_private_segment_fixed_size 0
		.amdhsa_kernarg_size 136
		.amdhsa_user_sgpr_count 2
		.amdhsa_user_sgpr_dispatch_ptr 0
		.amdhsa_user_sgpr_queue_ptr 0
		.amdhsa_user_sgpr_kernarg_segment_ptr 1
		.amdhsa_user_sgpr_dispatch_id 0
		.amdhsa_user_sgpr_kernarg_preload_length 0
		.amdhsa_user_sgpr_kernarg_preload_offset 0
		.amdhsa_user_sgpr_private_segment_size 0
		.amdhsa_uses_dynamic_stack 0
		.amdhsa_enable_private_segment 0
		.amdhsa_system_sgpr_workgroup_id_x 1
		.amdhsa_system_sgpr_workgroup_id_y 1
		.amdhsa_system_sgpr_workgroup_id_z 0
		.amdhsa_system_sgpr_workgroup_info 0
		.amdhsa_system_vgpr_workitem_id 0
		.amdhsa_next_free_vgpr 228
		.amdhsa_next_free_sgpr 68
		.amdhsa_accum_offset 188
		.amdhsa_reserve_vcc 1
		.amdhsa_float_round_mode_32 0
		.amdhsa_float_round_mode_16_64 0
		.amdhsa_float_denorm_mode_32 3
		.amdhsa_float_denorm_mode_16_64 3
		.amdhsa_dx10_clamp 1
		.amdhsa_ieee_mode 1
		.amdhsa_fp16_overflow 0
		.amdhsa_tg_split 0
		.amdhsa_exception_fp_ieee_invalid_op 0
		.amdhsa_exception_fp_denorm_src 0
		.amdhsa_exception_fp_ieee_div_zero 0
		.amdhsa_exception_fp_ieee_overflow 0
		.amdhsa_exception_fp_ieee_underflow 0
		.amdhsa_exception_fp_ieee_inexact 0
		.amdhsa_exception_int_div_zero 0
	.end_amdhsa_kernel
	.section	.text._ZN12_GLOBAL__N_139chunk_gated_delta_rule_fwd_h_hip_kernelILi64ELb0ELb1ELb0ELb0ELb1ELb1ELb0ELb1EEEvPK12hip_bfloat16S3_S3_PKfS5_PKvPS1_S8_PvPKiSB_iiiiilll,"axG",@progbits,_ZN12_GLOBAL__N_139chunk_gated_delta_rule_fwd_h_hip_kernelILi64ELb0ELb1ELb0ELb0ELb1ELb1ELb0ELb1EEEvPK12hip_bfloat16S3_S3_PKfS5_PKvPS1_S8_PvPKiSB_iiiiilll,comdat
.Lfunc_end30:
	.size	_ZN12_GLOBAL__N_139chunk_gated_delta_rule_fwd_h_hip_kernelILi64ELb0ELb1ELb0ELb0ELb1ELb1ELb0ELb1EEEvPK12hip_bfloat16S3_S3_PKfS5_PKvPS1_S8_PvPKiSB_iiiiilll, .Lfunc_end30-_ZN12_GLOBAL__N_139chunk_gated_delta_rule_fwd_h_hip_kernelILi64ELb0ELb1ELb0ELb0ELb1ELb1ELb0ELb1EEEvPK12hip_bfloat16S3_S3_PKfS5_PKvPS1_S8_PvPKiSB_iiiiilll
                                        ; -- End function
	.section	.AMDGPU.csdata,"",@progbits
; Kernel info:
; codeLenInByte = 12584
; NumSgprs: 74
; NumVgprs: 188
; NumAgprs: 40
; TotalNumVgprs: 228
; ScratchSize: 0
; MemoryBound: 0
; FloatMode: 240
; IeeeMode: 1
; LDSByteSize: 65536 bytes/workgroup (compile time only)
; SGPRBlocks: 9
; VGPRBlocks: 28
; NumSGPRsForWavesPerEU: 74
; NumVGPRsForWavesPerEU: 228
; AccumOffset: 188
; Occupancy: 1
; WaveLimiterHint : 1
; COMPUTE_PGM_RSRC2:SCRATCH_EN: 0
; COMPUTE_PGM_RSRC2:USER_SGPR: 2
; COMPUTE_PGM_RSRC2:TRAP_HANDLER: 0
; COMPUTE_PGM_RSRC2:TGID_X_EN: 1
; COMPUTE_PGM_RSRC2:TGID_Y_EN: 1
; COMPUTE_PGM_RSRC2:TGID_Z_EN: 0
; COMPUTE_PGM_RSRC2:TIDIG_COMP_CNT: 0
; COMPUTE_PGM_RSRC3_GFX90A:ACCUM_OFFSET: 46
; COMPUTE_PGM_RSRC3_GFX90A:TG_SPLIT: 0
	.section	.text._ZN12_GLOBAL__N_139chunk_gated_delta_rule_fwd_h_hip_kernelILi64ELb0ELb0ELb1ELb0ELb1ELb1ELb0ELb1EEEvPK12hip_bfloat16S3_S3_PKfS5_PKvPS1_S8_PvPKiSB_iiiiilll,"axG",@progbits,_ZN12_GLOBAL__N_139chunk_gated_delta_rule_fwd_h_hip_kernelILi64ELb0ELb0ELb1ELb0ELb1ELb1ELb0ELb1EEEvPK12hip_bfloat16S3_S3_PKfS5_PKvPS1_S8_PvPKiSB_iiiiilll,comdat
	.globl	_ZN12_GLOBAL__N_139chunk_gated_delta_rule_fwd_h_hip_kernelILi64ELb0ELb0ELb1ELb0ELb1ELb1ELb0ELb1EEEvPK12hip_bfloat16S3_S3_PKfS5_PKvPS1_S8_PvPKiSB_iiiiilll ; -- Begin function _ZN12_GLOBAL__N_139chunk_gated_delta_rule_fwd_h_hip_kernelILi64ELb0ELb0ELb1ELb0ELb1ELb1ELb0ELb1EEEvPK12hip_bfloat16S3_S3_PKfS5_PKvPS1_S8_PvPKiSB_iiiiilll
	.p2align	8
	.type	_ZN12_GLOBAL__N_139chunk_gated_delta_rule_fwd_h_hip_kernelILi64ELb0ELb0ELb1ELb0ELb1ELb1ELb0ELb1EEEvPK12hip_bfloat16S3_S3_PKfS5_PKvPS1_S8_PvPKiSB_iiiiilll,@function
_ZN12_GLOBAL__N_139chunk_gated_delta_rule_fwd_h_hip_kernelILi64ELb0ELb0ELb1ELb0ELb1ELb1ELb0ELb1EEEvPK12hip_bfloat16S3_S3_PKfS5_PKvPS1_S8_PvPKiSB_iiiiilll: ; @_ZN12_GLOBAL__N_139chunk_gated_delta_rule_fwd_h_hip_kernelILi64ELb0ELb0ELb1ELb0ELb1ELb1ELb0ELb1EEEvPK12hip_bfloat16S3_S3_PKfS5_PKvPS1_S8_PvPKiSB_iiiiilll
; %bb.0:
	s_load_dwordx4 s[16:19], s[0:1], 0x5c
	s_load_dwordx4 s[12:15], s[0:1], 0x30
	s_abs_i32 s22, s3
	s_ashr_i32 s21, s3, 31
	s_load_dwordx8 s[4:11], s[0:1], 0x0
	s_waitcnt lgkmcnt(0)
	s_abs_i32 s20, s17
	v_cvt_f32_u32_e32 v1, s20
	s_sub_i32 s24, 0, s20
	s_ashr_i32 s23, s17, 31
	s_xor_b32 s21, s21, s23
	v_rcp_iflag_f32_e32 v1, v1
	v_lshrrev_b32_e32 v87, 6, v0
	v_bfe_u32 v88, v0, 4, 2
	v_lshlrev_b32_e32 v2, 2, v88
	v_mul_f32_e32 v1, 0x4f7ffffe, v1
	v_cvt_u32_f32_e32 v1, v1
	v_and_b32_e32 v86, 63, v0
	v_mov_b32_e32 v47, 0
	v_and_b32_e32 v45, 15, v0
	v_readfirstlane_b32 s25, v1
	s_mul_i32 s24, s24, s25
	s_mul_hi_u32 s24, s25, s24
	s_add_i32 s25, s25, s24
	s_mul_hi_u32 s24, s22, s25
	s_mul_i32 s25, s24, s20
	s_sub_i32 s22, s22, s25
	s_add_i32 s26, s24, 1
	s_sub_i32 s25, s22, s20
	s_cmp_ge_u32 s22, s20
	s_cselect_b32 s24, s26, s24
	s_cselect_b32 s22, s25, s22
	s_add_i32 s25, s24, 1
	s_cmp_ge_u32 s22, s20
	s_cselect_b32 s22, s25, s24
	s_abs_i32 s24, s18
	v_cvt_f32_u32_e32 v1, s24
	s_xor_b32 s22, s22, s21
	s_ashr_i32 s48, s16, 31
	s_sub_i32 s50, s22, s21
	v_rcp_iflag_f32_e32 v1, v1
	s_lshr_b32 s21, s48, 26
	s_add_i32 s21, s16, s21
	s_ashr_i32 s51, s18, 31
	v_mul_f32_e32 v1, 0x4f7ffffe, v1
	v_cvt_u32_f32_e32 v1, v1
	s_ashr_i32 s49, s21, 6
	s_xor_b32 s21, s23, s51
	s_sub_i32 s22, 0, s24
	v_readfirstlane_b32 s23, v1
	s_mul_i32 s22, s22, s23
	s_mul_hi_u32 s22, s23, s22
	s_add_i32 s23, s23, s22
	s_mul_hi_u32 s22, s20, s23
	s_mul_i32 s23, s22, s24
	s_mul_i32 s47, s50, s17
	s_sub_i32 s20, s20, s23
	s_sub_i32 s33, s3, s47
	s_add_i32 s3, s16, 63
	s_add_i32 s23, s22, 1
	s_sub_i32 s25, s20, s24
	s_cmp_ge_u32 s20, s24
	s_cselect_b32 s22, s23, s22
	s_cselect_b32 s20, s25, s20
	s_add_i32 s23, s22, 1
	s_cmp_ge_u32 s20, s24
	s_cselect_b32 s20, s23, s22
	s_xor_b32 s20, s20, s21
	s_sub_i32 s24, s20, s21
	s_abs_i32 s25, s24
	v_cvt_f32_u32_e32 v1, s25
	s_sub_i32 s27, 0, s25
	s_abs_i32 s26, s33
	s_xor_b32 s24, s33, s24
	v_rcp_iflag_f32_e32 v1, v1
	s_ashr_i32 s24, s24, 31
	s_load_dwordx2 s[34:35], s[0:1], 0x80
	s_load_dwordx4 s[20:23], s[0:1], 0x70
	s_mul_hi_i32 s53, s50, s17
	v_mul_f32_e32 v1, 0x4f7ffffe, v1
	v_cvt_u32_f32_e32 v1, v1
	v_lshrrev_b32_e32 v90, 3, v86
	v_lshlrev_b32_e32 v89, 3, v0
	s_waitcnt lgkmcnt(0)
	s_mul_i32 s21, s50, s21
	v_readfirstlane_b32 s28, v1
	s_mul_i32 s27, s27, s28
	s_mul_hi_u32 s27, s28, s27
	s_add_i32 s28, s28, s27
	s_mul_hi_u32 s27, s26, s28
	s_mul_i32 s28, s27, s25
	s_sub_i32 s26, s26, s28
	s_add_i32 s28, s27, 1
	s_sub_i32 s29, s26, s25
	s_cmp_ge_u32 s26, s25
	s_cselect_b32 s27, s28, s27
	s_cselect_b32 s26, s29, s26
	s_add_i32 s28, s27, 1
	s_cmp_ge_u32 s26, s25
	s_cselect_b32 s25, s28, s27
	s_xor_b32 s25, s25, s24
	s_sub_i32 s54, s25, s24
	s_ashr_i32 s24, s3, 31
	s_lshr_b32 s24, s24, 26
	v_lshlrev_b32_e32 v1, 4, v87
	s_add_i32 s3, s3, s24
	v_or_b32_e32 v91, v2, v1
	s_ashr_i32 s3, s3, 6
	s_lshl_b32 s36, s2, 6
	s_mul_i32 s52, s50, s3
	v_or_b32_e32 v92, 64, v91
	s_cmp_lt_i32 s16, 64
	s_mul_hi_u32 s46, s50, s20
	s_mul_i32 s38, s50, s20
	v_mov_b32_e32 v46, v47
	v_mov_b32_e32 v53, v47
	;; [unrolled: 1-line block ×31, first 2 shown]
	s_cbranch_scc1 .LBB31_18
; %bb.1:
	s_ashr_i32 s28, s50, 31
	s_ashr_i32 s56, s33, 31
	s_add_u32 s2, s47, s33
	s_addc_u32 s3, s53, s56
	s_mul_i32 s3, s16, s3
	s_mul_hi_u32 s24, s16, s2
	s_add_i32 s41, s24, s3
	s_mul_i32 s40, s16, s2
	s_lshl_b64 s[2:3], s[40:41], 8
	v_and_b32_e32 v94, 56, v89
	s_add_u32 s24, s6, s2
	v_lshl_or_b32 v93, v87, 3, v90
	v_lshlrev_b32_e32 v3, 1, v94
	s_addc_u32 s2, s7, s3
	v_lshl_or_b32 v95, v93, 8, v3
	s_and_b32 s25, s2, 0xffff
	s_mov_b32 s27, 0x20000
	s_movk_i32 s26, 0x4000
	s_movk_i32 s2, 0x80
	v_or_b32_e32 v96, 0x2000, v95
	buffer_load_dwordx4 v[4:7], v95, s[24:27], 0 offen
	buffer_load_dwordx4 v[8:11], v95, s[24:27], s2 offen
	;; [unrolled: 1-line block ×4, first 2 shown]
	v_lshlrev_b32_e32 v20, 3, v93
	v_and_or_b32 v22, v0, 7, v20
	v_and_b32_e32 v20, 0x78, v20
	v_lshlrev_b32_e32 v22, 4, v22
	v_xor_b32_e32 v97, v22, v20
	v_mul_lo_u32 v21, v93, s19
	v_or_b32_e32 v98, 0x1000, v97
	s_cmpk_eq_i32 s19, 0x80
	s_mov_b32 s55, s18
	v_xor_b32_e32 v20, 8, v97
	v_xor_b32_e32 v22, 8, v98
	s_cselect_b64 s[2:3], -1, 0
	s_cmpk_lg_i32 s19, 0x80
	s_waitcnt vmcnt(3)
	ds_write_b64 v97, v[4:5] offset:49152
	ds_write_b64 v20, v[6:7] offset:49152
	s_waitcnt vmcnt(2)
	ds_write_b64 v97, v[8:9] offset:57344
	ds_write_b64 v20, v[10:11] offset:57344
	;; [unrolled: 3-line block ×4, first 2 shown]
	v_lshl_add_u32 v4, v21, 1, v94
	s_cbranch_scc0 .LBB31_3
; %bb.2:
	v_lshlrev_b32_e32 v6, 1, v4
	v_add_lshl_u32 v5, v4, s19, 1
	s_lshl_b32 s26, s19, 7
	s_load_dwordx2 s[42:43], s[0:1], 0x20
	v_lshl_or_b32 v3, v93, 9, v3
	s_cbranch_execz .LBB31_4
	s_branch .LBB31_5
.LBB31_3:
                                        ; implicit-def: $vgpr5
                                        ; implicit-def: $vgpr6
                                        ; implicit-def: $sgpr26
	s_load_dwordx2 s[42:43], s[0:1], 0x20
	v_lshl_or_b32 v3, v93, 9, v3
.LBB31_4:
	v_or_b32_e32 v5, 0x100, v3
	s_movk_i32 s26, 0x4000
	v_mov_b32_e32 v6, v3
.LBB31_5:
	s_mul_hi_u32 s0, s18, s16
	s_mul_i32 s1, s51, s16
	s_add_i32 s0, s0, s1
	s_mul_i32 s1, s18, s16
	s_mul_i32 s24, s1, s28
	s_mul_hi_u32 s25, s1, s50
	s_add_i32 s24, s25, s24
	s_mul_i32 s0, s0, s50
	s_add_i32 s24, s24, s0
	s_mul_i32 s1, s1, s50
	s_ashr_i32 s57, s54, 31
	s_add_u32 s0, s1, s54
	s_addc_u32 s1, s24, s57
	s_lshl_b64 s[0:1], s[0:1], 8
	s_add_u32 s24, s4, s0
	s_addc_u32 s0, s5, s1
	s_and_b32 s25, s0, 0xffff
	s_movk_i32 s58, 0x80
	buffer_load_dwordx4 v[8:11], v6, s[24:27], 0 offen
	buffer_load_dwordx4 v[12:15], v6, s[24:27], s58 offen
	;; [unrolled: 1-line block ×4, first 2 shown]
	v_and_b32_e32 v5, 6, v0
	v_lshlrev_b32_e32 v6, 7, v91
	v_xor_b32_e32 v27, v93, v5
	v_and_b32_e32 v7, 1, v0
	v_lshl_or_b32 v30, v45, 3, v6
	v_lshlrev_b32_e32 v27, 2, v27
	v_or_b32_e32 v99, 0x4000, v30
	v_or_b32_e32 v100, 0x6000, v30
	v_xor_b32_e32 v30, 0x440, v27
	v_cmp_eq_u32_e32 vcc, 0, v7
	v_lshlrev_b32_e32 v24, 2, v45
	s_mov_b32 s61, 0x1000504
	v_cndmask_b32_e32 v7, v30, v27, vcc
	v_xor_b32_e32 v28, v91, v24
	v_xor_b32_e32 v29, v92, v24
	v_lshl_or_b32 v5, v5, 10, v7
	s_mov_b32 s62, 0x3020706
	s_mul_i32 s0, s28, s16
	s_mul_hi_u32 s1, s50, s16
	v_lshlrev_b32_e32 v25, 8, v45
	v_or_b32_e32 v26, 16, v45
	v_lshlrev_b32_e32 v28, 1, v28
	v_lshlrev_b32_e32 v29, 1, v29
	v_xor_b32_e32 v7, 8, v5
	v_xor_b32_e32 v27, 24, v5
	;; [unrolled: 1-line block ×4, first 2 shown]
	v_or_b32_e32 v102, v25, v28
	v_or_b32_e32 v103, v25, v29
	v_xor_b32_e32 v25, 16, v5
	v_xor_b32_e32 v30, 32, v5
	;; [unrolled: 1-line block ×3, first 2 shown]
	v_add_u32_e32 v7, 0x80, v7
	v_add_u32_e32 v27, 0x80, v27
	;; [unrolled: 1-line block ×4, first 2 shown]
	s_add_i32 s63, s1, s0
	s_add_i32 s0, s46, s21
	s_mul_i32 s28, s28, s20
	s_add_i32 s39, s0, s28
	s_mul_i32 s0, s33, s23
	s_mul_hi_u32 s1, s33, s22
	s_add_i32 s0, s1, s0
	s_mul_i32 s1, s56, s22
	s_add_i32 s1, s0, s1
	s_lshl_b64 s[24:25], s[38:39], 2
	s_mul_i32 s0, s33, s22
	s_add_u32 s24, s10, s24
	s_addc_u32 s25, s11, s25
	s_lshl_b64 s[0:1], s[0:1], 2
	s_add_u32 s44, s24, s0
	s_movk_i32 s0, 0xf8
	s_addc_u32 s45, s25, s1
	s_ashr_i32 s37, s36, 31
	s_lshl_b32 s30, s19, 7
	v_mov_b32_e32 v79, 0
	s_movk_i32 s24, 0x100
	v_lshlrev_b32_e32 v78, 4, v45
	s_mul_i32 s59, s50, s16
	v_lshl_or_b32 v31, v26, 3, v6
	s_mov_b32 s60, 0
	v_or_b32_e32 v101, 0x4000, v31
	s_movk_i32 s26, 0x4000
	v_or_b32_e32 v104, 0x6000, v31
	v_add_u32_e32 v136, v1, v2
	s_mov_b32 s39, 0x7060302
	s_movk_i32 s64, 0x2000
	s_movk_i32 s65, 0x3000
	s_mov_b32 s67, 0
	v_mov_b32_e32 v70, v79
	v_mov_b32_e32 v71, v79
	;; [unrolled: 1-line block ×9, first 2 shown]
	s_waitcnt vmcnt(1)
	v_perm_b32 v35, v8, v16, s61
	s_waitcnt vmcnt(0)
	v_perm_b32 v36, v12, v20, s61
	v_perm_b32 v8, v8, v16, s62
	v_perm_b32 v12, v12, v20, s62
	v_perm_b32 v16, v9, v17, s61
	v_perm_b32 v20, v13, v21, s61
	v_perm_b32 v9, v9, v17, s62
	v_perm_b32 v13, v13, v21, s62
	v_perm_b32 v17, v10, v18, s61
	v_perm_b32 v21, v14, v22, s61
	v_perm_b32 v10, v10, v18, s62
	v_perm_b32 v14, v14, v22, s62
	v_perm_b32 v18, v11, v19, s61
	v_perm_b32 v22, v15, v23, s61
	v_perm_b32 v11, v11, v19, s62
	v_perm_b32 v15, v15, v23, s62
	ds_write2st64_b32 v5, v35, v36 offset0:128 offset1:160
	ds_write2st64_b32 v7, v8, v12 offset0:128 offset1:160
	;; [unrolled: 1-line block ×8, first 2 shown]
	v_lshlrev_b32_e32 v5, 8, v26
	v_or_b32_e32 v105, v5, v28
	v_or_b32_e32 v106, v5, v29
	;; [unrolled: 1-line block ×3, first 2 shown]
	v_lshl_or_b32 v7, v5, 3, v6
	v_lshlrev_b32_e32 v5, 8, v5
	v_or_b32_e32 v109, v5, v28
	v_or_b32_e32 v110, v5, v29
	;; [unrolled: 1-line block ×5, first 2 shown]
	v_lshl_or_b32 v7, v5, 3, v6
	v_lshlrev_b32_e32 v5, 8, v5
	v_or_b32_e32 v113, v5, v28
	v_or_b32_e32 v114, v5, v29
	;; [unrolled: 1-line block ×3, first 2 shown]
	v_lshlrev_b32_e32 v5, 3, v5
	v_lshrrev_b32_e32 v9, 5, v86
	v_and_or_b32 v9, v5, s0, v9
	v_lshlrev_b32_e32 v9, 4, v9
	v_lshlrev_b32_e32 v11, 11, v87
	v_and_b32_e32 v5, 0x78, v5
	v_or_b32_e32 v14, 32, v9
	v_and_b32_e32 v8, 0x1000, v11
	v_xor_b32_e32 v10, v9, v5
	v_lshrrev_b32_e32 v12, 1, v86
	v_xor_b32_e32 v14, v14, v5
	v_or_b32_e32 v10, v10, v8
	v_and_b32_e32 v12, 8, v12
	v_or_b32_e32 v14, v14, v8
	v_xor_b32_e32 v115, v10, v12
	v_lshlrev_b32_e32 v10, 8, v88
	v_xor_b32_e32 v117, v14, v12
	v_or_b32_e32 v14, 64, v9
	v_or_b32_e32 v9, 0x60, v9
	;; [unrolled: 1-line block ×3, first 2 shown]
	v_xor_b32_e32 v14, v14, v5
	v_xor_b32_e32 v5, v9, v5
	v_lshlrev_b32_e32 v13, 1, v13
	v_or_b32_e32 v14, v14, v8
	v_or_b32_e32 v5, v5, v8
	s_lshl_b64 s[0:1], s[36:37], 8
	v_or_b32_e32 v116, 0x4000, v13
	v_or_b32_e32 v118, 0x4080, v13
	;; [unrolled: 1-line block ×4, first 2 shown]
	v_xor_b32_e32 v121, v14, v12
	v_xor_b32_e32 v122, v5, v12
	v_or_b32_e32 v123, 0x6000, v13
	v_or_b32_e32 v124, 0x6080, v13
	;; [unrolled: 1-line block ×4, first 2 shown]
	v_lshlrev_b32_e32 v12, 1, v4
	v_add_lshl_u32 v13, v4, s19, 1
	s_add_u32 s0, s12, s0
	v_lshlrev_b32_e32 v4, 1, v45
	v_lshrrev_b32_e32 v15, 4, v0
	s_addc_u32 s1, s13, s1
	v_or_b32_e32 v5, 1, v4
	v_lshlrev_b32_e32 v18, 2, v0
	v_or_b32_e32 v14, 0x100, v3
	v_xor_b32_e32 v16, v15, v4
	v_xor_b32_e32 v17, v5, v15
	v_lshl_add_u64 v[4:5], s[0:1], 0, v[78:79]
	v_lshlrev_b32_e32 v78, 8, v15
	v_lshrrev_b32_e32 v19, 1, v0
	v_and_or_b32 v10, v18, 60, v10
	v_cndmask_b32_e64 v133, v12, v3, s[2:3]
	v_mov_b32_e32 v3, 0xa000
	v_mov_b32_e32 v12, 0x8000
	v_cmp_gt_u32_e64 s[0:1], s24, v0
	v_lshl_or_b32 v127, v16, 3, v78
	v_and_b32_e32 v16, 8, v0
	v_and_b32_e32 v19, 24, v19
	v_lshlrev_b32_e32 v10, 1, v10
	v_cndmask_b32_e64 v3, v3, v12, s[0:1]
	v_lshlrev_b32_e32 v12, 3, v87
	v_or_b32_e32 v129, 0x6000, v10
	v_or_b32_e32 v130, 0x6080, v10
	;; [unrolled: 1-line block ×4, first 2 shown]
	v_mov_b32_e32 v10, 0x400
	v_cmp_eq_u32_e32 vcc, 0, v16
	v_cndmask_b32_e64 v134, v13, v14, s[2:3]
	v_xor_b32_e32 v13, v12, v19
	v_and_b32_e32 v15, 7, v0
	v_cndmask_b32_e64 v16, v10, 64, vcc
	v_or_b32_e32 v14, 0x440, v13
	v_lshl_or_b32 v128, v17, 3, v78
	v_lshlrev_b32_e32 v17, 3, v15
	v_or_b32_e32 v18, 32, v19
	v_or_b32_e32 v20, 0x60, v19
	v_cndmask_b32_e32 v14, v14, v13, vcc
	v_or3_b32 v13, v11, v16, v13
	v_lshlrev_b32_e32 v15, 7, v15
	v_xor_b32_e32 v18, v12, v18
	v_xor_b32_e32 v13, v13, v17
	;; [unrolled: 1-line block ×3, first 2 shown]
	v_or_b32_e32 v21, 0x440, v18
	v_or_b32_e32 v135, v13, v15
	v_xor_b32_e32 v13, 0x440, v12
	v_cndmask_b32_e32 v18, v21, v18, vcc
	v_cndmask_b32_e32 v12, v13, v12, vcc
	v_or_b32_e32 v111, 0x4000, v7
	v_or_b32_e32 v112, 0x6000, v7
	v_lshrrev_b32_e32 v7, 2, v86
	v_or_b32_e32 v8, s36, v45
	v_or_b32_e32 v14, v14, v11
	;; [unrolled: 1-line block ×4, first 2 shown]
	v_and_b32_e32 v7, 12, v7
	v_ashrrev_i32_e32 v9, 31, v8
	v_xor_b32_e32 v14, v14, v17
	v_xor_b32_e32 v18, v18, v17
	;; [unrolled: 1-line block ×3, first 2 shown]
	v_or_b32_e32 v10, v1, v7
	v_add_u32_e32 v19, v3, v14
	v_add_u32_e32 v21, v3, v18
	;; [unrolled: 1-line block ×3, first 2 shown]
	v_or3_b32 v12, v1, v7, 64
	v_add_u32_e32 v7, 0xa000, v14
	v_add_u32_e32 v14, 0xa000, v18
	;; [unrolled: 1-line block ×3, first 2 shown]
	v_lshlrev_b64 v[8:9], 1, v[8:9]
	v_lshl_add_u64 v[80:81], s[8:9], 0, v[8:9]
	v_lshl_add_u64 v[82:83], s[14:15], 0, v[8:9]
	;; [unrolled: 1-line block ×3, first 2 shown]
	s_add_i32 s37, s59, 63
	v_lshlrev_b32_e32 v78, 1, v6
	v_lshlrev_b32_e32 v137, 2, v10
	v_add_u32_e32 v138, v19, v15
	v_add_u32_e32 v139, v21, v15
	;; [unrolled: 1-line block ×4, first 2 shown]
	v_lshlrev_b32_e32 v142, 2, v12
	v_add_u32_e32 v143, v7, v15
	v_add_u32_e32 v144, v14, v15
	;; [unrolled: 1-line block ×3, first 2 shown]
	v_mov_b32_e32 v63, v79
	v_mov_b32_e32 v64, v79
	;; [unrolled: 1-line block ×23, first 2 shown]
	s_waitcnt lgkmcnt(0)
	s_barrier
.LBB31_6:                               ; =>This Inner Loop Header: Depth=1
	s_add_i32 s66, s67, 1
	s_cmp_lt_i32 s66, s49
	s_mov_b64 s[28:29], 0
	s_cselect_b64 s[2:3], -1, 0
	s_cmp_ge_i32 s66, s49
	s_mov_b64 s[24:25], 0
	s_cbranch_scc1 .LBB31_8
; %bb.7:                                ;   in Loop: Header=BB31_6 Depth=1
	s_add_i32 s0, s60, 64
	s_add_u32 s0, s40, s0
	s_addc_u32 s1, s41, 0
	s_lshl_b64 s[0:1], s[0:1], 8
	s_add_u32 s24, s6, s0
	s_addc_u32 s25, s7, s1
.LBB31_8:                               ;   in Loop: Header=BB31_6 Depth=1
	v_cndmask_b32_e64 v2, 0, 1, s[2:3]
	v_cmp_ne_u32_e64 s[0:1], 1, v2
	s_andn2_b64 vcc, exec, s[2:3]
	s_cbranch_vccnz .LBB31_10
; %bb.9:                                ;   in Loop: Header=BB31_6 Depth=1
	s_add_i32 s2, s60, 64
	s_add_u32 s2, s59, s2
	s_addc_u32 s3, s63, 0
	s_mul_i32 s28, s2, s51
	s_mul_hi_u32 s29, s2, s55
	s_add_i32 s28, s29, s28
	s_mul_i32 s3, s3, s55
	s_add_i32 s28, s28, s3
	s_mul_i32 s2, s2, s55
	s_add_u32 s2, s2, s54
	s_addc_u32 s3, s28, s57
	s_lshl_b64 s[2:3], s[2:3], 8
	s_add_u32 s28, s4, s2
	s_addc_u32 s29, s5, s3
.LBB31_10:                              ;   in Loop: Header=BB31_6 Depth=1
	v_perm_b32 v3, v77, v76, s39
	v_perm_b32 v2, v75, v74, s39
	v_perm_b32 v5, v73, v72, s39
	v_perm_b32 v4, v71, v70, s39
	ds_write_b64 v99, v[2:3]
	ds_write_b64 v100, v[4:5]
	ds_write_b64 v102, v[2:3]
	ds_write_b64 v103, v[4:5]
	v_perm_b32 v3, v69, v68, s39
	v_perm_b32 v2, v67, v66, s39
	v_perm_b32 v5, v65, v64, s39
	v_perm_b32 v4, v63, v62, s39
	ds_write_b64 v101, v[2:3]
	ds_write_b64 v104, v[4:5]
	ds_write_b64 v105, v[2:3]
	ds_write_b64 v106, v[4:5]
	;; [unrolled: 8-line block ×4, first 2 shown]
	s_waitcnt lgkmcnt(0)
	s_barrier
	ds_read_b64 v[6:7], v115 offset:49152
	ds_read2_b64 v[2:5], v116 offset1:16
	ds_read_b64 v[18:19], v118 offset:6144
	ds_read_b64 v[20:21], v116 offset:6144
	s_waitcnt lgkmcnt(2)
	v_mfma_f32_16x16x16_bf16 a[0:3], v[6:7], v[2:3], 0
	ds_read_b64 v[22:23], v117 offset:49152
	ds_read2st64_b64 v[10:13], v119 offset0:4 offset1:8
	ds_read2st64_b64 v[14:17], v120 offset0:4 offset1:8
	v_mfma_f32_16x16x16_bf16 a[4:7], v[6:7], v[4:5], 0
	ds_read2_b64 v[2:5], v116 offset0:32 offset1:48
	s_add_i32 s2, s60, 63
	s_mul_i32 s3, s2, s35
	s_waitcnt lgkmcnt(0)
	v_mfma_f32_16x16x16_bf16 a[8:11], v[6:7], v[2:3], 0
	s_mul_hi_u32 s31, s2, s34
	s_add_i32 s3, s31, s3
	s_mul_i32 s2, s2, s34
	v_mfma_f32_16x16x16_bf16 a[12:15], v[6:7], v[4:5], 0
	ds_read2st64_b64 v[2:5], v116 offset0:4 offset1:8
	ds_read2st64_b64 v[6:9], v118 offset0:4 offset1:8
	s_lshl_b64 s[2:3], s[2:3], 2
	s_waitcnt lgkmcnt(1)
	v_mfma_f32_16x16x16_bf16 a[0:3], v[22:23], v[2:3], a[0:3]
	s_add_u32 s2, s44, s2
	s_addc_u32 s3, s45, s3
	s_and_b64 vcc, exec, s[0:1]
	s_waitcnt lgkmcnt(0)
	v_mfma_f32_16x16x16_bf16 a[4:7], v[22:23], v[6:7], a[4:7]
	v_mov_b32_e32 v148, 0
	v_mov_b32_e32 v147, 0
	;; [unrolled: 1-line block ×3, first 2 shown]
	v_mfma_f32_16x16x16_bf16 a[8:11], v[22:23], v[10:11], a[8:11]
	ds_read_b64 v[2:3], v121 offset:49152
	ds_read_b64 v[6:7], v122 offset:49152
	;; [unrolled: 1-line block ×3, first 2 shown]
	v_mfma_f32_16x16x16_bf16 a[12:15], v[22:23], v[14:15], a[12:15]
	v_mov_b32_e32 v14, 0
	v_mov_b32_e32 v15, 0
	s_waitcnt lgkmcnt(2)
	v_mfma_f32_16x16x16_bf16 a[0:3], v[2:3], v[4:5], a[0:3]
	v_mov_b32_e32 v4, 0
	v_mov_b32_e32 v5, 0
	v_mfma_f32_16x16x16_bf16 a[16:19], v[2:3], v[8:9], a[4:7]
	v_mov_b32_e32 v8, 0
	v_mov_b32_e32 v9, 0
	;; [unrolled: 3-line block ×3, first 2 shown]
	v_mfma_f32_16x16x16_bf16 a[24:27], v[2:3], v[16:17], a[12:15]
	ds_read_b64 v[2:3], v119 offset:6144
	v_mov_b32_e32 v16, 0
	v_mov_b32_e32 v17, 0
	s_waitcnt lgkmcnt(2)
	v_mfma_f32_16x16x16_bf16 a[4:7], v[6:7], v[20:21], a[0:3]
	v_mfma_f32_16x16x16_bf16 a[8:11], v[6:7], v[18:19], a[16:19]
	s_waitcnt lgkmcnt(0)
	v_mfma_f32_16x16x16_bf16 a[12:15], v[6:7], v[2:3], a[20:23]
	v_mov_b32_e32 v2, 0
	v_mov_b32_e32 v3, 0
	v_mfma_f32_16x16x16_bf16 a[0:3], v[6:7], v[10:11], a[24:27]
	v_mov_b32_e32 v6, 0
	v_mov_b32_e32 v7, 0
	;; [unrolled: 1-line block ×4, first 2 shown]
	s_cbranch_vccnz .LBB31_12
; %bb.11:                               ;   in Loop: Header=BB31_6 Depth=1
	s_and_b32 s25, s25, 0xffff
	buffer_load_dwordx4 v[14:17], v95, s[24:27], 0 offen
	buffer_load_dwordx4 v[10:13], v95, s[24:27], s58 offen
	;; [unrolled: 1-line block ×4, first 2 shown]
	v_mov_b32_e32 v147, v97
	v_mov_b32_e32 v146, v98
.LBB31_12:                              ;   in Loop: Header=BB31_6 Depth=1
	ds_read_b64 v[30:31], v115 offset:57344
	ds_read2_b64 v[18:21], v123 offset1:16
	ds_read_b64 v[34:35], v117 offset:57344
	ds_read_b64 v[36:37], v121 offset:57344
	;; [unrolled: 1-line block ×3, first 2 shown]
	v_add_u32_e32 v32, s60, v136
	s_waitcnt lgkmcnt(3)
	v_mfma_f32_16x16x16_bf16 a[4:7], v[30:31], v[18:19], a[4:7]
	v_mfma_f32_16x16x16_bf16 a[8:11], v[30:31], v[20:21], a[8:11]
	ds_read2_b64 v[18:21], v123 offset0:32 offset1:48
	ds_read2st64_b64 v[22:25], v123 offset0:4 offset1:8
	ds_read2st64_b64 v[26:29], v124 offset0:4 offset1:8
	s_waitcnt lgkmcnt(2)
	v_mfma_f32_16x16x16_bf16 a[12:15], v[30:31], v[18:19], a[12:15]
	v_ashrrev_i32_e32 v18, 31, v32
	v_mul_lo_u32 v33, v18, s34
	v_mad_u64_u32 v[18:19], s[24:25], v32, s34, 0
	v_mfma_f32_16x16x16_bf16 a[0:3], v[30:31], v[20:21], a[0:3]
	v_mul_lo_u32 v20, v32, s35
	v_add3_u32 v19, v19, v20, v33
	v_add_u32_e32 v20, 1, v32
	v_ashrrev_i32_e32 v21, 31, v20
	s_waitcnt lgkmcnt(1)
	v_mfma_f32_16x16x16_bf16 a[4:7], v[34:35], v[22:23], a[4:7]
	v_mul_lo_u32 v22, v21, s34
	v_mul_lo_u32 v23, v20, s35
	v_mad_u64_u32 v[20:21], s[24:25], v20, s34, 0
	v_add3_u32 v21, v21, v23, v22
	v_add_u32_e32 v22, 2, v32
	v_ashrrev_i32_e32 v23, 31, v22
	v_mul_lo_u32 v30, v23, s34
	v_mul_lo_u32 v31, v22, s35
	v_mad_u64_u32 v[22:23], s[24:25], v22, s34, 0
	v_add3_u32 v23, v23, v31, v30
	v_add_u32_e32 v30, 3, v32
	v_ashrrev_i32_e32 v31, 31, v30
	v_mul_lo_u32 v32, v31, s34
	v_mul_lo_u32 v33, v30, s35
	v_mad_u64_u32 v[30:31], s[24:25], v30, s34, 0
	s_add_u32 s24, s40, s60
	v_lshl_add_u64 v[18:19], v[18:19], 2, s[44:45]
	v_add3_u32 v31, v31, v33, v32
	s_addc_u32 s25, s41, 0
	v_lshl_add_u64 v[20:21], v[20:21], 2, s[44:45]
	global_load_dword v40, v[18:19], off
	v_lshl_add_u64 v[18:19], v[30:31], 2, s[44:45]
	s_lshl_b64 s[24:25], s[24:25], 8
	v_lshl_add_u64 v[22:23], v[22:23], 2, s[44:45]
	global_load_dword v41, v[20:21], off
	global_load_dword v42, v[22:23], off
	;; [unrolled: 1-line block ×3, first 2 shown]
	v_lshl_add_u64 v[18:19], v[80:81], 0, s[24:25]
	v_lshl_add_u64 v[22:23], v[18:19], 0, v[78:79]
	global_load_ushort v44, v[22:23], off offset:256
	global_load_ushort v149, v[22:23], off
	ds_read2st64_b64 v[18:21], v125 offset0:4 offset1:8
	global_load_ushort v150, v[22:23], off offset:768
	global_load_ushort v151, v[22:23], off offset:512
	ds_read2st64_b64 v[30:33], v126 offset0:4 offset1:8
	global_load_ushort v152, v[22:23], off offset:288
	global_load_ushort v153, v[22:23], off offset:32
	;; [unrolled: 1-line block ×4, first 2 shown]
	s_waitcnt lgkmcnt(2)
	v_mfma_f32_16x16x16_bf16 a[8:11], v[34:35], v[26:27], a[8:11]
	global_load_ushort v156, v[22:23], off offset:320
	global_load_ushort v157, v[22:23], off offset:64
	;; [unrolled: 1-line block ×4, first 2 shown]
	s_and_b64 vcc, exec, s[0:1]
	s_waitcnt lgkmcnt(1)
	v_mfma_f32_16x16x16_bf16 a[12:15], v[34:35], v[18:19], a[12:15]
	ds_read_b64 v[18:19], v123 offset:6144
	s_waitcnt lgkmcnt(1)
	v_mfma_f32_16x16x16_bf16 a[0:3], v[34:35], v[30:31], a[0:3]
	v_lshl_add_u64 v[30:31], v[82:83], 0, s[24:25]
	v_lshl_add_u64 v[30:31], v[30:31], 0, v[78:79]
	v_mfma_f32_16x16x16_bf16 a[4:7], v[36:37], v[24:25], a[4:7]
	v_mfma_f32_16x16x16_bf16 a[8:11], v[36:37], v[28:29], a[8:11]
	;; [unrolled: 1-line block ×4, first 2 shown]
	global_load_ushort v36, v[22:23], off offset:352
	global_load_ushort v37, v[22:23], off offset:96
	ds_read_b64 v[20:21], v124 offset:6144
	ds_read_b64 v[24:25], v125 offset:6144
	;; [unrolled: 1-line block ×3, first 2 shown]
	s_load_dword s2, s[2:3], 0x0
	global_load_ushort v160, v[22:23], off offset:864
	global_load_ushort v161, v[22:23], off offset:608
	s_waitcnt lgkmcnt(0)
	v_mfma_f32_16x16x16_bf16 a[4:7], v[38:39], v[18:19], a[4:7]
	s_waitcnt vmcnt(17)
	v_sub_f32_e32 v28, s2, v42
	v_mfma_f32_16x16x16_bf16 a[0:3], v[38:39], v[26:27], a[0:3]
	v_sub_f32_e32 v26, s2, v40
	v_sub_f32_e32 v27, s2, v41
	s_waitcnt vmcnt(16)
	v_sub_f32_e32 v29, s2, v43
	v_mfma_f32_16x16x16_bf16 a[8:11], v[38:39], v[20:21], a[8:11]
	v_exp_f32_e32 v26, v26
	v_exp_f32_e32 v27, v27
	;; [unrolled: 1-line block ×4, first 2 shown]
	v_accvgpr_read_b32 v35, a5
	s_waitcnt vmcnt(15)
	v_lshlrev_b32_e32 v33, 16, v44
	s_waitcnt vmcnt(14)
	v_lshlrev_b32_e32 v32, 16, v149
	v_accvgpr_read_b32 v34, a4
	v_accvgpr_read_b32 v19, a7
	;; [unrolled: 1-line block ×3, first 2 shown]
	v_pk_add_f32 v[32:33], v[32:33], v[34:35] neg_lo:[0,1] neg_hi:[0,1]
	s_waitcnt vmcnt(13)
	v_lshlrev_b32_e32 v35, 16, v150
	s_waitcnt vmcnt(12)
	v_lshlrev_b32_e32 v34, 16, v151
	v_pk_add_f32 v[18:19], v[34:35], v[18:19] neg_lo:[0,1] neg_hi:[0,1]
	global_store_short_d16_hi v[30:31], v32, off
	global_store_short_d16_hi v[30:31], v33, off offset:256
	global_store_short_d16_hi v[30:31], v18, off offset:512
	;; [unrolled: 1-line block ×3, first 2 shown]
	v_pk_mul_f32 v[32:33], v[26:27], v[32:33]
	v_pk_mul_f32 v[18:19], v[28:29], v[18:19]
	v_accvgpr_read_b32 v35, a9
	v_perm_b32 v32, v33, v32, s39
	v_perm_b32 v33, v19, v18, s39
	s_waitcnt vmcnt(15)
	v_lshlrev_b32_e32 v19, 16, v152
	s_waitcnt vmcnt(14)
	v_lshlrev_b32_e32 v18, 16, v153
	v_accvgpr_read_b32 v34, a8
	v_accvgpr_read_b32 v21, a11
	v_mfma_f32_16x16x16_bf16 a[12:15], v[38:39], v[24:25], a[12:15]
	v_accvgpr_read_b32 v20, a10
	v_pk_add_f32 v[18:19], v[18:19], v[34:35] neg_lo:[0,1] neg_hi:[0,1]
	s_waitcnt vmcnt(13)
	v_lshlrev_b32_e32 v35, 16, v154
	s_waitcnt vmcnt(12)
	v_lshlrev_b32_e32 v34, 16, v155
	v_pk_add_f32 v[20:21], v[34:35], v[20:21] neg_lo:[0,1] neg_hi:[0,1]
	global_store_short_d16_hi v[30:31], v18, off offset:32
	global_store_short_d16_hi v[30:31], v19, off offset:288
	;; [unrolled: 1-line block ×4, first 2 shown]
	v_pk_mul_f32 v[18:19], v[26:27], v[18:19]
	v_pk_mul_f32 v[20:21], v[28:29], v[20:21]
	v_accvgpr_read_b32 v23, a15
	v_perm_b32 v21, v21, v20, s39
	v_perm_b32 v20, v19, v18, s39
	ds_write2_b64 v100, v[32:33], v[20:21] offset1:16
	v_accvgpr_read_b32 v21, a13
	s_waitcnt vmcnt(15)
	v_lshlrev_b32_e32 v19, 16, v156
	s_waitcnt vmcnt(14)
	v_lshlrev_b32_e32 v18, 16, v157
	v_accvgpr_read_b32 v20, a12
	v_accvgpr_read_b32 v22, a14
	v_pk_add_f32 v[18:19], v[18:19], v[20:21] neg_lo:[0,1] neg_hi:[0,1]
	s_waitcnt vmcnt(13)
	v_lshlrev_b32_e32 v21, 16, v158
	s_waitcnt vmcnt(12)
	v_lshlrev_b32_e32 v20, 16, v159
	v_pk_add_f32 v[20:21], v[20:21], v[22:23] neg_lo:[0,1] neg_hi:[0,1]
	global_store_short_d16_hi v[30:31], v18, off offset:64
	global_store_short_d16_hi v[30:31], v19, off offset:320
	;; [unrolled: 1-line block ×4, first 2 shown]
	v_pk_mul_f32 v[18:19], v[26:27], v[18:19]
	v_pk_mul_f32 v[20:21], v[28:29], v[20:21]
	v_accvgpr_read_b32 v23, a1
	v_perm_b32 v18, v19, v18, s39
	v_perm_b32 v19, v21, v20, s39
	s_waitcnt vmcnt(15)
	v_lshlrev_b32_e32 v21, 16, v36
	s_waitcnt vmcnt(14)
	v_lshlrev_b32_e32 v20, 16, v37
	v_accvgpr_read_b32 v22, a0
	v_accvgpr_read_b32 v25, a3
	;; [unrolled: 1-line block ×3, first 2 shown]
	v_pk_add_f32 v[20:21], v[20:21], v[22:23] neg_lo:[0,1] neg_hi:[0,1]
	s_waitcnt vmcnt(13)
	v_lshlrev_b32_e32 v23, 16, v160
	s_waitcnt vmcnt(12)
	v_lshlrev_b32_e32 v22, 16, v161
	v_pk_add_f32 v[22:23], v[22:23], v[24:25] neg_lo:[0,1] neg_hi:[0,1]
	global_store_short_d16_hi v[30:31], v20, off offset:96
	global_store_short_d16_hi v[30:31], v21, off offset:352
	;; [unrolled: 1-line block ×4, first 2 shown]
	v_pk_mul_f32 v[20:21], v[26:27], v[20:21]
	v_pk_mul_f32 v[22:23], v[28:29], v[22:23]
	v_mov_b32_e32 v149, 0
	v_perm_b32 v23, v23, v22, s39
	v_perm_b32 v22, v21, v20, s39
	ds_write2_b64 v100, v[18:19], v[22:23] offset0:32 offset1:48
	v_mov_b32_e32 v18, 0
	v_mov_b32_e32 v19, 0
	;; [unrolled: 1-line block ×16, first 2 shown]
	s_cbranch_vccnz .LBB31_14
; %bb.13:                               ;   in Loop: Header=BB31_6 Depth=1
	s_and_b32 s29, s29, 0xffff
	s_mov_b32 s31, s27
	buffer_load_dwordx4 v[30:33], v133, s[28:31], 0 offen
	buffer_load_dwordx4 v[22:25], v133, s[28:31], s58 offen
	;; [unrolled: 1-line block ×4, first 2 shown]
	v_mov_b32_e32 v148, v94
	v_mov_b32_e32 v149, v93
.LBB31_14:                              ;   in Loop: Header=BB31_6 Depth=1
	s_waitcnt lgkmcnt(0)
	s_barrier
	ds_read_b64 v[42:43], v138
	ds_read2_b64 v[34:37], v129 offset1:16
	ds_read_b64 v[166:167], v139
	ds_read_b64 v[168:169], v140
	;; [unrolled: 1-line block ×3, first 2 shown]
	ds_read2_b64 v[38:41], v129 offset0:32 offset1:48
	ds_read2st64_b64 v[150:153], v129 offset0:4 offset1:8
	ds_read2st64_b64 v[154:157], v130 offset0:4 offset1:8
	;; [unrolled: 1-line block ×4, first 2 shown]
	s_waitcnt lgkmcnt(8)
	v_mfma_f32_16x16x16_bf16 a[0:3], v[42:43], v[34:35], 0
	s_add_i32 s3, s52, s67
	s_mul_hi_i32 s25, s3, s17
	s_mul_i32 s3, s3, s17
	v_mfma_f32_16x16x16_bf16 a[4:7], v[42:43], v[36:37], 0
	s_add_u32 s24, s3, s33
	s_addc_u32 s25, s25, s56
	s_add_i32 s3, s37, s60
	s_waitcnt lgkmcnt(4)
	v_mfma_f32_16x16x16_bf16 a[8:11], v[42:43], v[38:39], 0
	s_lshl_b64 s[24:25], s[24:25], 15
	s_mul_hi_i32 s29, s3, s17
	s_mul_i32 s3, s3, s17
	v_mfma_f32_16x16x16_bf16 a[12:15], v[42:43], v[40:41], 0
	ds_read_b64 v[42:43], v129 offset:6144
	ds_read_b64 v[178:179], v130 offset:6144
	;; [unrolled: 1-line block ×4, first 2 shown]
	s_add_u32 s28, s3, s33
	s_waitcnt lgkmcnt(7)
	v_mfma_f32_16x16x16_bf16 a[0:3], v[166:167], v[150:151], a[0:3]
	s_addc_u32 s29, s29, s56
	s_lshl_b64 s[28:29], s[28:29], 9
	s_add_u32 s28, s42, s28
	s_waitcnt lgkmcnt(6)
	v_mfma_f32_16x16x16_bf16 a[4:7], v[166:167], v[154:155], a[4:7]
	s_addc_u32 s29, s43, s29
	v_lshl_add_u64 v[188:189], v[84:85], 0, s[24:25]
	s_waitcnt lgkmcnt(5)
	v_mfma_f32_16x16x16_bf16 a[8:11], v[166:167], v[158:159], a[8:11]
	s_waitcnt lgkmcnt(4)
	v_mfma_f32_16x16x16_bf16 a[12:15], v[166:167], v[162:163], a[12:15]
	ds_read_b64 v[166:167], v143
	ds_read_b64 v[176:177], v144
	;; [unrolled: 1-line block ×3, first 2 shown]
	s_waitcnt lgkmcnt(2)
	v_mfma_f32_16x16x16_bf16 a[16:19], v[166:167], v[34:35], 0
	v_mfma_f32_16x16x16_bf16 a[20:23], v[166:167], v[36:37], 0
	global_load_dwordx4 v[34:37], v142, s[28:29]
	v_mfma_f32_16x16x16_bf16 a[24:27], v[166:167], v[38:39], 0
	v_mfma_f32_16x16x16_bf16 a[28:31], v[166:167], v[40:41], 0
	global_load_dwordx4 v[38:41], v137, s[28:29]
	v_mfma_f32_16x16x16_bf16 a[0:3], v[168:169], v[152:153], a[0:3]
	v_mfma_f32_16x16x16_bf16 a[4:7], v[168:169], v[156:157], a[4:7]
	;; [unrolled: 1-line block ×8, first 2 shown]
	ds_read2st64_b64 v[166:169], v127 offset1:8
	ds_read2st64_b64 v[170:173], v128 offset1:8
	ds_read_b64 v[186:187], v135 offset:40960
	s_waitcnt lgkmcnt(2)
	v_mov_b32_e32 v174, v166
	v_mfma_f32_16x16x16_bf16 a[16:19], v[176:177], v[150:151], a[16:19]
	v_mov_b32_e32 v175, v167
	v_mfma_f32_16x16x16_bf16 a[20:23], v[176:177], v[154:155], a[20:23]
	v_mfma_f32_16x16x16_bf16 a[24:27], v[176:177], v[158:159], a[24:27]
	;; [unrolled: 1-line block ×3, first 2 shown]
	v_add_co_u32_e32 v162, vcc, s64, v188
	s_waitcnt lgkmcnt(1)
	v_mov_b32_e32 v176, v170
	s_waitcnt lgkmcnt(0)
	v_mfma_f32_16x16x16_bf16 a[16:19], v[186:187], v[152:153], a[16:19]
	ds_read2st64_b64 v[150:153], v127 offset0:16 offset1:24
	v_addc_co_u32_e32 v163, vcc, 0, v189, vcc
	v_mfma_f32_16x16x16_bf16 a[20:23], v[186:187], v[156:157], a[20:23]
	ds_read2st64_b64 v[154:157], v128 offset0:16 offset1:24
	v_mov_b32_e32 v177, v171
	v_mov_b32_e32 v170, v168
	v_mfma_f32_16x16x16_bf16 a[32:35], v[186:187], v[160:161], a[24:27]
	v_mov_b32_e32 v171, v169
	s_waitcnt lgkmcnt(0)
	v_mov_b32_e32 v160, v154
	v_mov_b32_e32 v161, v155
	v_mfma_f32_16x16x16_bf16 a[36:39], v[186:187], v[164:165], a[28:31]
	v_mov_b32_e32 v154, v152
	v_mov_b32_e32 v155, v153
	;; [unrolled: 1-line block ×3, first 2 shown]
	v_mfma_f32_16x16x16_bf16 a[24:27], v[184:185], v[42:43], a[16:19]
	v_add_co_u32_e32 v42, vcc, s65, v188
	v_mov_b32_e32 v159, v151
	v_mfma_f32_16x16x16_bf16 a[28:31], v[184:185], v[178:179], a[20:23]
	v_addc_co_u32_e32 v43, vcc, 0, v189, vcc
	global_store_dwordx4 v[42:43], v[154:157], off
	v_mfma_f32_16x16x16_bf16 a[16:19], v[184:185], v[180:181], a[32:35]
	s_waitcnt vmcnt(2)
	v_mov_b32_e32 v44, v37
	v_mov_b32_e32 v43, v36
	;; [unrolled: 1-line block ×3, first 2 shown]
	v_mfma_f32_16x16x16_bf16 a[20:23], v[184:185], v[182:183], a[36:39]
	s_and_b64 vcc, exec, s[0:1]
	global_store_dwordx4 v[188:189], v[174:177], off
	global_store_dwordx4 v[162:163], v[170:173], off offset:-4096
	global_store_dwordx4 v[162:163], v[158:161], off
	s_cbranch_vccnz .LBB31_16
; %bb.15:                               ;   in Loop: Header=BB31_6 Depth=1
	v_lshrrev_b32_e32 v35, 3, v148
	v_and_b32_e32 v35, 6, v35
	v_xor_b32_e32 v36, v35, v149
	v_lshlrev_b32_e32 v36, 2, v36
	v_and_b32_e32 v37, 8, v148
	v_xor_b32_e32 v148, 0x440, v36
	v_cmp_eq_u32_e32 vcc, 0, v37
	v_perm_b32 v37, v22, v18, s61
	s_nop 0
	v_cndmask_b32_e32 v36, v148, v36, vcc
	v_lshl_or_b32 v35, v35, 10, v36
	v_perm_b32 v36, v30, v26, s61
	s_barrier
	ds_write2st64_b32 v35, v36, v37 offset0:128 offset1:160
	v_xor_b32_e32 v36, 8, v35
	v_perm_b32 v26, v30, v26, s62
	v_perm_b32 v18, v22, v18, s62
	v_add_u32_e32 v22, 0x80, v36
	ds_write2st64_b32 v22, v26, v18 offset0:128 offset1:160
	v_xor_b32_e32 v18, 16, v35
	v_perm_b32 v22, v31, v27, s61
	v_perm_b32 v26, v23, v19, s61
	ds_write2st64_b32 v18, v22, v26 offset0:129 offset1:161
	v_xor_b32_e32 v18, 24, v35
	v_perm_b32 v22, v31, v27, s62
	v_perm_b32 v19, v23, v19, s62
	v_add_u32_e32 v18, 0x80, v18
	ds_write2st64_b32 v18, v22, v19 offset0:129 offset1:161
	v_xor_b32_e32 v18, 32, v35
	v_perm_b32 v19, v32, v28, s61
	v_perm_b32 v22, v24, v20, s61
	;; [unrolled: 9-line block ×3, first 2 shown]
	ds_write2st64_b32 v18, v19, v20 offset0:131 offset1:163
	v_xor_b32_e32 v18, 56, v35
	v_perm_b32 v19, v33, v29, s62
	v_perm_b32 v20, v25, v21, s62
	v_add_u32_e32 v18, 0x80, v18
	ds_write2st64_b32 v18, v19, v20 offset0:131 offset1:163
	ds_write_b64 v147, v[14:15] offset:49152
	v_xor_b32_e32 v14, 8, v147
	ds_write_b64 v14, v[16:17] offset:49152
	ds_write_b64 v147, v[10:11] offset:57344
	;; [unrolled: 1-line block ×4, first 2 shown]
	v_xor_b32_e32 v6, 8, v146
	ds_write_b64 v6, v[8:9] offset:49152
	ds_write_b64 v146, v[2:3] offset:57344
	;; [unrolled: 1-line block ×3, first 2 shown]
.LBB31_16:                              ;   in Loop: Header=BB31_6 Depth=1
	v_exp_f32_e32 v36, s2
	s_waitcnt vmcnt(4)
	v_exp_f32_e32 v38, v38
	v_exp_f32_e32 v39, v39
	;; [unrolled: 1-line block ×4, first 2 shown]
	v_accvgpr_read_b32 v5, a3
	v_accvgpr_read_b32 v4, a2
	;; [unrolled: 1-line block ×4, first 2 shown]
	v_pk_mul_f32 v[38:39], v[36:37], v[38:39] op_sel_hi:[0,1]
	v_pk_mul_f32 v[40:41], v[36:37], v[40:41] op_sel_hi:[0,1]
	v_pk_fma_f32 v[74:75], v[74:75], v[38:39], v[2:3]
	v_pk_fma_f32 v[76:77], v[76:77], v[40:41], v[4:5]
	v_exp_f32_e32 v2, v34
	v_exp_f32_e32 v3, v42
	;; [unrolled: 1-line block ×4, first 2 shown]
	v_accvgpr_read_b32 v9, a7
	v_accvgpr_read_b32 v13, a11
	;; [unrolled: 1-line block ×28, first 2 shown]
	v_pk_mul_f32 v[2:3], v[36:37], v[2:3] op_sel_hi:[0,1]
	v_pk_mul_f32 v[4:5], v[36:37], v[4:5] op_sel_hi:[0,1]
	s_add_i32 s60, s60, 64
	v_pk_fma_f32 v[66:67], v[38:39], v[66:67], v[6:7]
	v_pk_fma_f32 v[68:69], v[40:41], v[68:69], v[8:9]
	;; [unrolled: 1-line block ×13, first 2 shown]
	s_cmp_eq_u32 s49, s66
	v_pk_fma_f32 v[50:51], v[4:5], v[50:51], v[32:33]
	s_cbranch_scc1 .LBB31_18
; %bb.17:                               ;   in Loop: Header=BB31_6 Depth=1
	s_mov_b32 s67, s66
	s_branch .LBB31_6
.LBB31_18:
	s_lshl_b32 s42, s49, 6
	s_sub_i32 s43, s16, s42
	s_cmp_gt_i32 s43, 0
	s_cbranch_scc0 .LBB31_99
; %bb.19:
	s_ashr_i32 s39, s50, 31
	s_ashr_i32 s2, s42, 31
	s_cmpk_lg_i32 s19, 0x80
	s_cselect_b64 s[30:31], -1, 0
	s_and_b64 vcc, exec, s[30:31]
	s_cbranch_vccz .LBB31_21
; %bb.20:
	s_mul_i32 s1, s50, s16
	s_mul_hi_i32 s0, s50, s16
	s_add_u32 s1, s1, s42
	s_addc_u32 s0, s0, s2
	s_mul_i32 s3, s1, s51
	s_mul_hi_u32 s24, s1, s18
	s_add_i32 s3, s24, s3
	s_mul_i32 s0, s0, s18
	s_add_i32 s3, s3, s0
	s_mul_i32 s1, s1, s18
	s_ashr_i32 s0, s54, 31
	s_add_u32 s40, s1, s54
	s_addc_u32 s41, s3, s0
	s_cbranch_execz .LBB31_22
	s_branch .LBB31_23
.LBB31_21:
                                        ; implicit-def: $sgpr40_sgpr41
.LBB31_22:
	s_mul_hi_i32 s0, s50, s18
	s_mul_i32 s50, s50, s18
	s_ashr_i32 s1, s54, 31
	s_add_u32 s3, s50, s54
	s_addc_u32 s0, s0, s1
	s_mul_i32 s1, s3, s48
	s_mul_hi_u32 s18, s3, s16
	s_add_i32 s1, s18, s1
	s_mul_i32 s0, s0, s16
	s_add_i32 s1, s1, s0
	s_mul_i32 s3, s3, s16
	s_add_u32 s40, s3, s42
	s_addc_u32 s41, s1, s2
.LBB31_23:
	s_add_i32 s3, s52, s49
	s_ashr_i32 s18, s33, 31
	s_add_u32 s0, s47, s33
	s_addc_u32 s1, s53, s18
	s_mul_i32 s24, s0, s48
	s_mul_hi_u32 s25, s0, s16
	s_add_i32 s24, s25, s24
	s_mul_i32 s1, s1, s16
	s_add_i32 s24, s24, s1
	s_mul_i32 s0, s0, s16
	s_add_u32 s0, s0, s42
	v_lshlrev_b32_e32 v6, 6, v91
	v_lshlrev_b32_e32 v24, 2, v45
	s_addc_u32 s1, s24, s2
	s_mov_b32 s2, 0x7060302
	v_or_b32_e32 v9, v6, v24
	v_xor_b32_e32 v7, v91, v24
	v_perm_b32 v3, v77, v76, s2
	v_perm_b32 v2, v75, v74, s2
	;; [unrolled: 1-line block ×4, first 2 shown]
	v_lshlrev_b32_e32 v9, 1, v9
	v_xor_b32_e32 v8, v92, v24
	ds_write2st64_b64 v9, v[2:3], v[4:5] offset0:32 offset1:48
	v_lshlrev_b32_e32 v7, 1, v7
	v_lshlrev_b32_e32 v9, 8, v45
	v_or_b32_e32 v10, v7, v9
	v_lshlrev_b32_e32 v8, 1, v8
	ds_write_b64 v10, v[2:3]
	v_or_b32_e32 v2, v8, v9
	v_or_b32_e32 v9, 16, v45
	v_lshlrev_b32_e32 v23, 2, v9
	v_or_b32_e32 v10, v6, v23
	ds_write_b64 v2, v[4:5]
	v_perm_b32 v3, v69, v68, s2
	v_perm_b32 v2, v67, v66, s2
	;; [unrolled: 1-line block ×4, first 2 shown]
	v_lshlrev_b32_e32 v10, 1, v10
	v_lshlrev_b32_e32 v9, 8, v9
	ds_write2st64_b64 v10, v[2:3], v[4:5] offset0:32 offset1:48
	v_or_b32_e32 v10, v7, v9
	ds_write_b64 v10, v[2:3]
	v_or_b32_e32 v2, v8, v9
	v_or_b32_e32 v9, 32, v45
	v_lshlrev_b32_e32 v22, 2, v9
	v_or_b32_e32 v10, v6, v22
	s_lshl_b64 s[28:29], s[0:1], 8
	ds_write_b64 v2, v[4:5]
	v_perm_b32 v3, v61, v60, s2
	v_perm_b32 v2, v59, v58, s2
	;; [unrolled: 1-line block ×4, first 2 shown]
	v_lshlrev_b32_e32 v10, 1, v10
	v_lshlrev_b32_e32 v9, 8, v9
	s_add_u32 s0, s6, s28
	ds_write2st64_b64 v10, v[2:3], v[4:5] offset0:32 offset1:48
	v_or_b32_e32 v10, v7, v9
	s_addc_u32 s1, s7, s29
	ds_write_b64 v10, v[2:3]
	v_or_b32_e32 v2, v8, v9
	v_or_b32_e32 v9, 48, v45
	s_mul_hi_i32 s6, s3, s17
	s_mul_i32 s3, s3, s17
	ds_write_b64 v2, v[4:5]
	v_perm_b32 v3, v47, v46, s2
	v_perm_b32 v2, v53, v52, s2
	;; [unrolled: 1-line block ×4, first 2 shown]
	v_lshlrev_b32_e32 v19, 2, v9
	s_add_u32 s2, s3, s33
	v_or_b32_e32 v6, v6, v19
	s_addc_u32 s3, s6, s18
	v_lshlrev_b32_e32 v6, 1, v6
	s_ashr_i32 s37, s36, 31
	s_lshl_b64 s[2:3], s[2:3], 15
	ds_write2st64_b64 v6, v[2:3], v[4:5] offset0:32 offset1:48
	v_lshlrev_b32_e32 v6, 8, v9
	s_add_u32 s6, s12, s2
	v_or_b32_e32 v7, v7, v6
	s_addc_u32 s7, s13, s3
	s_lshl_b64 s[2:3], s[36:37], 8
	ds_write_b64 v7, v[2:3]
	v_or_b32_e32 v2, v8, v6
	s_add_u32 s2, s6, s2
	v_lshlrev_b32_e32 v3, 1, v45
	ds_write_b64 v2, v[4:5]
	v_lshrrev_b32_e32 v2, 4, v0
	s_addc_u32 s3, s7, s3
	v_or_b32_e32 v4, 1, v3
	v_lshlrev_b32_e32 v10, 4, v45
	v_mov_b32_e32 v11, 0
	v_xor_b32_e32 v3, v2, v3
	v_xor_b32_e32 v6, v4, v2
	v_lshl_add_u64 v[12:13], s[2:3], 0, v[10:11]
	v_lshlrev_b32_e32 v10, 8, v2
	v_lshl_or_b32 v16, v3, 3, v10
	v_lshl_or_b32 v17, v6, 3, v10
	s_waitcnt lgkmcnt(0)
	s_barrier
	ds_read2st64_b64 v[2:5], v16 offset1:8
	ds_read2st64_b64 v[6:9], v17 offset1:8
	v_lshl_add_u64 v[14:15], v[12:13], 0, v[10:11]
	s_movk_i32 s2, 0x2000
	s_cmp_lg_u32 s43, 64
	s_waitcnt lgkmcnt(1)
	v_mov_b32_e32 v10, v2
	v_mov_b32_e32 v11, v3
	s_waitcnt lgkmcnt(0)
	v_mov_b32_e32 v12, v6
	v_mov_b32_e32 v13, v7
	global_store_dwordx4 v[14:15], v[10:13], off
	v_mov_b32_e32 v6, v4
	v_mov_b32_e32 v7, v5
	ds_read2st64_b64 v[2:5], v16 offset0:16 offset1:24
	ds_read2st64_b64 v[10:13], v17 offset0:16 offset1:24
	v_add_co_u32_e32 v16, vcc, s2, v14
	s_cselect_b64 s[6:7], -1, 0
	s_nop 0
	v_addc_co_u32_e32 v17, vcc, 0, v15, vcc
	global_store_dwordx4 v[16:17], v[6:9], off offset:-4096
	v_lshl_or_b32 v25, v87, 3, v90
	s_mov_b32 s24, 0
	s_waitcnt lgkmcnt(1)
	v_mov_b32_e32 v6, v2
	v_add_co_u32_e32 v2, vcc, 0x3000, v14
	v_mov_b32_e32 v7, v3
	s_nop 0
	v_addc_co_u32_e32 v3, vcc, 0, v15, vcc
	s_waitcnt lgkmcnt(0)
	v_mov_b32_e32 v8, v10
	v_mov_b32_e32 v9, v11
	;; [unrolled: 1-line block ×4, first 2 shown]
	v_or_b32_e32 v20, 32, v25
	v_and_b32_e32 v18, 56, v89
	s_and_b64 vcc, exec, s[6:7]
	global_store_dwordx4 v[16:17], v[6:9], off
	global_store_dwordx4 v[2:3], v[10:13], off
	s_cbranch_vccz .LBB31_29
; %bb.24:
	s_mov_b32 s25, s24
	s_mov_b32 s26, s24
	;; [unrolled: 1-line block ×3, first 2 shown]
	v_mov_b64_e32 v[6:7], s[24:25]
	v_mov_b64_e32 v[8:9], s[26:27]
	;; [unrolled: 1-line block ×3, first 2 shown]
	v_cmp_gt_i32_e32 vcc, s43, v25
	v_mov_b64_e32 v[4:5], v[8:9]
	s_and_saveexec_b64 s[2:3], vcc
	s_cbranch_execz .LBB31_26
; %bb.25:
	v_lshlrev_b32_e32 v2, 8, v25
	v_mov_b32_e32 v3, 0
	v_lshl_add_u64 v[4:5], s[0:1], 0, v[2:3]
	v_lshlrev_b32_e32 v2, 1, v18
	v_lshl_add_u64 v[10:11], v[4:5], 0, v[2:3]
	global_load_dwordx4 v[6:9], v[10:11], off
	global_load_dwordx4 v[2:5], v[10:11], off offset:128
.LBB31_26:
	s_or_b64 exec, exec, s[2:3]
	s_mov_b32 s25, s24
	s_mov_b32 s26, s24
	;; [unrolled: 1-line block ×3, first 2 shown]
	v_mov_b64_e32 v[14:15], s[24:25]
	v_mov_b64_e32 v[16:17], s[26:27]
	v_mov_b64_e32 v[10:11], v[14:15]
	v_cmp_gt_i32_e32 vcc, s43, v20
	v_lshlrev_b32_e32 v21, 7, v20
	v_mov_b64_e32 v[12:13], v[16:17]
	s_and_saveexec_b64 s[2:3], vcc
	s_cbranch_execz .LBB31_28
; %bb.27:
	v_lshlrev_b32_e32 v10, 1, v21
	v_mov_b32_e32 v11, 0
	v_lshl_add_u64 v[12:13], s[0:1], 0, v[10:11]
	v_lshlrev_b32_e32 v10, 1, v18
	v_lshl_add_u64 v[26:27], v[12:13], 0, v[10:11]
	global_load_dwordx4 v[14:17], v[26:27], off
	global_load_dwordx4 v[10:13], v[26:27], off offset:128
.LBB31_28:
	s_or_b64 exec, exec, s[2:3]
	v_lshrrev_b32_e32 v26, 3, v18
	v_lshlrev_b32_e32 v27, 3, v25
	v_or_b32_e32 v26, v27, v26
	v_lshlrev_b32_e32 v26, 4, v26
	v_and_b32_e32 v27, 0x78, v27
	v_xor_b32_e32 v26, v26, v27
	s_branch .LBB31_31
.LBB31_29:
                                        ; implicit-def: $vgpr26
                                        ; implicit-def: $vgpr21
                                        ; implicit-def: $vgpr6_vgpr7_vgpr8_vgpr9
                                        ; implicit-def: $vgpr2_vgpr3_vgpr4_vgpr5
                                        ; implicit-def: $vgpr14_vgpr15_vgpr16_vgpr17
                                        ; implicit-def: $vgpr10_vgpr11_vgpr12_vgpr13
	s_cbranch_execz .LBB31_31
; %bb.30:
	s_waitcnt vmcnt(0)
	v_lshlrev_b32_e32 v2, 1, v18
	v_lshl_or_b32 v21, v25, 8, v2
	s_and_b32 s1, s1, 0xffff
	s_mov_b32 s3, 0x20000
	s_movk_i32 s2, 0x4000
	v_lshl_or_b32 v26, v20, 8, v2
	s_movk_i32 s12, 0x80
	buffer_load_dwordx4 v[6:9], v21, s[0:3], 0 offen
	buffer_load_dwordx4 v[2:5], v21, s[0:3], s12 offen
	;; [unrolled: 1-line block ×4, first 2 shown]
	v_lshrrev_b32_e32 v21, 3, v18
	v_lshlrev_b32_e32 v26, 3, v25
	v_or_b32_e32 v21, v26, v21
	v_lshlrev_b32_e32 v21, 4, v21
	v_and_b32_e32 v26, 0x78, v26
	v_xor_b32_e32 v26, v21, v26
	v_lshlrev_b32_e32 v21, 7, v20
.LBB31_31:
	s_movk_i32 s0, 0x1000
	v_and_or_b32 v20, v21, s0, v26
	s_waitcnt vmcnt(1)
	ds_write_b64 v26, v[6:7] offset:49152
	v_xor_b32_e32 v6, 8, v26
	ds_write_b64 v6, v[8:9] offset:49152
	s_waitcnt vmcnt(0)
	ds_write_b64 v26, v[2:3] offset:57344
	ds_write_b64 v6, v[4:5] offset:57344
	;; [unrolled: 1-line block ×3, first 2 shown]
	v_xor_b32_e32 v2, 8, v20
	ds_write_b64 v2, v[16:17] offset:49152
	ds_write_b64 v20, v[10:11] offset:57344
	;; [unrolled: 1-line block ×3, first 2 shown]
	v_or_b32_e32 v2, v1, v45
	v_lshlrev_b32_e32 v3, 11, v87
	v_lshlrev_b32_e32 v2, 3, v2
	v_and_b32_e32 v6, 0x1000, v3
	v_lshrrev_b32_e32 v3, 5, v86
	s_movk_i32 s0, 0xf8
	v_and_or_b32 v3, v2, s0, v3
	v_lshlrev_b32_e32 v7, 4, v3
	v_and_b32_e32 v8, 0x78, v2
	v_or_b32_e32 v10, 32, v7
	v_lshrrev_b32_e32 v3, 1, v86
	v_xor_b32_e32 v10, v10, v8
	v_xor_b32_e32 v2, v7, v8
	v_and_b32_e32 v9, 8, v3
	v_or_b32_e32 v10, v10, v6
	v_or_b32_e32 v2, v2, v6
	v_xor_b32_e32 v28, v10, v9
	v_or_b32_e32 v10, 64, v7
	v_xor_b32_e32 v27, v2, v9
	v_xor_b32_e32 v10, v10, v8
	s_waitcnt lgkmcnt(0)
	s_barrier
	v_or_b32_e32 v13, v10, v6
	ds_read_b64 v[10:11], v27 offset:49152
	v_lshl_or_b32 v14, v88, 8, v24
	v_lshlrev_b32_e32 v26, 1, v14
	v_add_u32_e32 v12, 0x4000, v26
	ds_read2_b64 v[2:5], v12 offset1:16
	v_or_b32_e32 v7, 0x60, v7
	v_xor_b32_e32 v7, v7, v8
	v_or_b32_e32 v6, v7, v6
	v_xor_b32_e32 v29, v13, v9
	v_xor_b32_e32 v30, v6, v9
	ds_read_b64 v[20:21], v28 offset:49152
	ds_read_b64 v[34:35], v29 offset:49152
	;; [unrolled: 1-line block ×3, first 2 shown]
	s_waitcnt lgkmcnt(3)
	v_mfma_f32_16x16x16_bf16 a[0:3], v[10:11], v[2:3], 0
	ds_read2_b64 v[6:9], v12 offset0:32 offset1:48
	s_lshl_b64 s[0:1], s[40:41], 8
	s_add_u32 s4, s4, s0
	v_mfma_f32_16x16x16_bf16 a[4:7], v[10:11], v[4:5], 0
	ds_read2st64_b64 v[2:5], v26 offset0:36 offset1:40
	s_addc_u32 s5, s5, s1
	s_add_i32 s2, s16, -1
	s_waitcnt lgkmcnt(1)
	v_mfma_f32_16x16x16_bf16 a[8:11], v[10:11], v[6:7], 0
	v_or_b32_e32 v6, 64, v14
	v_lshlrev_b32_e32 v31, 1, v6
	s_add_i32 s0, s46, s21
	s_waitcnt lgkmcnt(0)
	v_mfma_f32_16x16x16_bf16 a[0:3], v[20:21], v[2:3], a[0:3]
	v_or_b32_e32 v2, 0x80, v14
	v_lshlrev_b32_e32 v32, 1, v2
	v_or_b32_e32 v2, 0xc0, v14
	v_mfma_f32_16x16x16_bf16 a[12:15], v[10:11], v[8:9], 0
	ds_read2st64_b64 v[6:9], v31 offset0:36 offset1:40
	v_lshlrev_b32_e32 v33, 1, v2
	ds_read2st64_b64 v[10:13], v32 offset0:36 offset1:40
	ds_read2st64_b64 v[14:17], v33 offset0:36 offset1:40
	s_mul_i32 s39, s39, s20
	s_add_i32 s39, s0, s39
	s_mul_i32 s0, s33, s23
	s_mul_hi_u32 s1, s33, s22
	s_ashr_i32 s3, s2, 31
	s_mul_i32 s12, s2, s35
	s_mul_hi_u32 s13, s2, s34
	s_waitcnt lgkmcnt(2)
	v_mfma_f32_16x16x16_bf16 a[4:7], v[20:21], v[6:7], a[4:7]
	s_add_i32 s0, s1, s0
	s_mul_i32 s1, s18, s22
	s_add_i32 s12, s13, s12
	s_mul_i32 s3, s3, s34
	s_waitcnt lgkmcnt(1)
	v_mfma_f32_16x16x16_bf16 a[8:11], v[20:21], v[10:11], a[8:11]
	s_add_i32 s1, s0, s1
	s_add_i32 s3, s12, s3
	s_lshl_b64 s[12:13], s[38:39], 2
	s_waitcnt lgkmcnt(0)
	v_mfma_f32_16x16x16_bf16 a[12:15], v[20:21], v[14:15], a[12:15]
	s_mul_i32 s0, s33, s22
	s_add_u32 s10, s10, s12
	s_addc_u32 s11, s11, s13
	s_lshl_b64 s[0:1], s[0:1], 2
	v_mfma_f32_16x16x16_bf16 a[0:3], v[34:35], v[4:5], a[0:3]
	s_mul_i32 s2, s2, s34
	ds_read_b64 v[2:3], v26 offset:22528
	s_add_u32 s10, s10, s0
	v_mfma_f32_16x16x16_bf16 a[4:7], v[34:35], v[8:9], a[4:7]
	ds_read_b64 v[4:5], v31 offset:22528
	ds_read_b64 v[6:7], v32 offset:22528
	;; [unrolled: 1-line block ×3, first 2 shown]
	s_addc_u32 s11, s11, s1
	s_lshl_b64 s[0:1], s[2:3], 2
	v_mfma_f32_16x16x16_bf16 a[8:11], v[34:35], v[12:13], a[8:11]
	s_add_u32 s0, s10, s0
	s_addc_u32 s1, s11, s1
	s_load_dword s12, s[0:1], 0x0
	v_mfma_f32_16x16x16_bf16 a[12:15], v[34:35], v[16:17], a[12:15]
	s_and_b64 vcc, exec, s[30:31]
	s_waitcnt lgkmcnt(0)
	v_mfma_f32_16x16x16_bf16 a[0:3], v[36:37], v[2:3], a[0:3]
	v_mfma_f32_16x16x16_bf16 a[4:7], v[36:37], v[4:5], a[4:7]
	;; [unrolled: 1-line block ×4, first 2 shown]
	s_cbranch_vccz .LBB31_42
; %bb.32:
	v_lshlrev_b32_e32 v20, 1, v25
	s_and_b64 vcc, exec, s[6:7]
	s_cbranch_vccz .LBB31_43
; %bb.33:
	v_cmp_gt_i32_e32 vcc, s43, v20
	v_mov_b32_e32 v6, 0
	v_mov_b32_e32 v2, 0
	;; [unrolled: 1-line block ×5, first 2 shown]
	s_and_saveexec_b64 s[0:1], vcc
	s_cbranch_execz .LBB31_35
; %bb.34:
	v_mad_i64_i32 v[2:3], s[2:3], s19, v20, 0
	v_lshl_add_u64 v[2:3], v[2:3], 1, s[4:5]
	v_lshlrev_b32_e32 v4, 1, v18
	v_mov_b32_e32 v5, 0
	v_lshl_add_u64 v[2:3], v[2:3], 0, v[4:5]
	global_load_dwordx4 v[2:5], v[2:3], off
.LBB31_35:
	s_or_b64 exec, exec, s[0:1]
	v_or_b32_e32 v21, 1, v20
	v_cmp_gt_i32_e64 s[0:1], s43, v21
	v_mov_b32_e32 v7, 0
	v_mov_b32_e32 v8, 0
	v_mov_b32_e32 v9, 0
	s_and_saveexec_b64 s[2:3], s[0:1]
	s_cbranch_execz .LBB31_37
; %bb.36:
	v_mad_i64_i32 v[6:7], s[16:17], s19, v21, 0
	v_lshl_add_u64 v[6:7], v[6:7], 1, s[4:5]
	v_lshlrev_b32_e32 v8, 1, v18
	v_mov_b32_e32 v9, 0
	v_lshl_add_u64 v[6:7], v[6:7], 0, v[8:9]
	global_load_dwordx4 v[6:9], v[6:7], off
.LBB31_37:
	s_or_b64 exec, exec, s[2:3]
	v_mov_b32_e32 v17, 0
	v_mov_b32_e32 v10, 0
	;; [unrolled: 1-line block ×5, first 2 shown]
	s_and_saveexec_b64 s[2:3], vcc
	s_cbranch_execz .LBB31_39
; %bb.38:
	v_mad_i64_i32 v[10:11], s[16:17], s19, v20, 0
	v_lshl_add_u64 v[10:11], v[10:11], 1, s[4:5]
	v_lshlrev_b32_e32 v12, 1, v18
	v_mov_b32_e32 v13, 0
	v_lshl_add_u64 v[10:11], v[10:11], 0, v[12:13]
	global_load_dwordx4 v[10:13], v[10:11], off offset:128
.LBB31_39:
	s_or_b64 exec, exec, s[2:3]
	v_mov_b32_e32 v16, 0
	v_mov_b32_e32 v15, 0
	;; [unrolled: 1-line block ×3, first 2 shown]
	s_and_saveexec_b64 s[2:3], s[0:1]
	s_cbranch_execz .LBB31_41
; %bb.40:
	v_mad_i64_i32 v[14:15], s[0:1], s19, v21, 0
	v_lshl_add_u64 v[14:15], v[14:15], 1, s[4:5]
	v_lshlrev_b32_e32 v16, 1, v18
	v_mov_b32_e32 v17, 0
	v_lshl_add_u64 v[14:15], v[14:15], 0, v[16:17]
	global_load_dwordx4 v[14:17], v[14:15], off offset:128
.LBB31_41:
	s_or_b64 exec, exec, s[2:3]
	s_branch .LBB31_45
.LBB31_42:
                                        ; implicit-def: $vgpr5
                                        ; implicit-def: $vgpr9
                                        ; implicit-def: $vgpr13
                                        ; implicit-def: $vgpr17
	v_lshrrev_b32_e32 v34, 2, v86
	s_branch .LBB31_46
.LBB31_43:
                                        ; implicit-def: $vgpr5
                                        ; implicit-def: $vgpr9
                                        ; implicit-def: $vgpr13
                                        ; implicit-def: $vgpr17
	s_cbranch_execz .LBB31_45
; %bb.44:
	s_waitcnt vmcnt(0)
	v_mad_u64_u32 v[2:3], s[0:1], v20, s19, v[18:19]
	v_lshlrev_b32_e32 v20, 1, v2
	s_lshl_b32 s2, s19, 7
	s_and_b32 s1, s5, 0xffff
	s_mov_b32 s3, 0x20000
	s_mov_b32 s0, s4
	v_add_lshl_u32 v21, v2, s19, 1
	s_movk_i32 s13, 0x80
	buffer_load_dwordx4 v[2:5], v20, s[0:3], 0 offen
	buffer_load_dwordx4 v[10:13], v20, s[0:3], s13 offen
	;; [unrolled: 1-line block ×4, first 2 shown]
.LBB31_45:
	v_lshrrev_b32_e32 v34, 2, v86
	s_cbranch_execnz .LBB31_58
.LBB31_46:
	s_and_b64 vcc, exec, s[6:7]
	s_cbranch_vccz .LBB31_56
; %bb.47:
	s_waitcnt vmcnt(0)
	v_lshlrev_b32_e32 v7, 1, v25
	v_cmp_gt_i32_e32 vcc, s43, v7
	v_mov_b32_e32 v6, 0
	v_lshlrev_b32_e32 v14, 9, v25
	v_mov_b32_e32 v2, 0
	v_mov_b32_e32 v3, 0
	;; [unrolled: 1-line block ×4, first 2 shown]
	s_and_saveexec_b64 s[0:1], vcc
	s_cbranch_execz .LBB31_49
; %bb.48:
	v_mov_b32_e32 v15, 0
	v_lshl_add_u64 v[2:3], s[4:5], 0, v[14:15]
	v_lshlrev_b32_e32 v4, 1, v18
	v_mov_b32_e32 v5, v15
	v_lshl_add_u64 v[2:3], v[2:3], 0, v[4:5]
	global_load_dwordx4 v[2:5], v[2:3], off
.LBB31_49:
	s_or_b64 exec, exec, s[0:1]
	v_or_b32_e32 v7, 1, v7
	v_cmp_gt_i32_e64 s[0:1], s43, v7
	v_lshlrev_b32_e32 v20, 8, v7
	v_mov_b32_e32 v7, 0
	v_mov_b32_e32 v8, 0
	;; [unrolled: 1-line block ×3, first 2 shown]
	s_and_saveexec_b64 s[2:3], s[0:1]
	s_cbranch_execz .LBB31_51
; %bb.50:
	v_mov_b32_e32 v21, 0
	v_lshl_add_u64 v[6:7], s[4:5], 0, v[20:21]
	v_lshlrev_b32_e32 v8, 1, v18
	v_mov_b32_e32 v9, v21
	v_lshl_add_u64 v[6:7], v[6:7], 0, v[8:9]
	global_load_dwordx4 v[6:9], v[6:7], off
.LBB31_51:
	s_or_b64 exec, exec, s[2:3]
	v_mov_b32_e32 v17, 0
	v_mov_b32_e32 v10, 0
	;; [unrolled: 1-line block ×5, first 2 shown]
	s_and_saveexec_b64 s[2:3], vcc
	s_cbranch_execz .LBB31_53
; %bb.52:
	v_mov_b32_e32 v15, 0
	v_lshl_add_u64 v[10:11], s[4:5], 0, v[14:15]
	v_lshlrev_b32_e32 v14, 1, v18
	v_lshl_add_u64 v[10:11], v[10:11], 0, v[14:15]
	global_load_dwordx4 v[10:13], v[10:11], off offset:128
.LBB31_53:
	s_or_b64 exec, exec, s[2:3]
	v_mov_b32_e32 v16, 0
	v_mov_b32_e32 v15, 0
	;; [unrolled: 1-line block ×3, first 2 shown]
	s_and_saveexec_b64 s[2:3], s[0:1]
	s_cbranch_execz .LBB31_55
; %bb.54:
	v_mov_b32_e32 v21, 0
	v_lshl_add_u64 v[14:15], s[4:5], 0, v[20:21]
	v_lshlrev_b32_e32 v20, 1, v18
	v_lshl_add_u64 v[14:15], v[14:15], 0, v[20:21]
	global_load_dwordx4 v[14:17], v[14:15], off offset:128
.LBB31_55:
	s_or_b64 exec, exec, s[2:3]
	s_branch .LBB31_58
.LBB31_56:
                                        ; implicit-def: $vgpr5
                                        ; implicit-def: $vgpr9
                                        ; implicit-def: $vgpr13
                                        ; implicit-def: $vgpr17
	s_cbranch_execz .LBB31_58
; %bb.57:
	s_waitcnt vmcnt(0)
	v_lshlrev_b32_e32 v2, 1, v18
	v_lshl_or_b32 v18, v25, 9, v2
	s_and_b32 s5, s5, 0xffff
	s_mov_b32 s7, 0x20000
	s_movk_i32 s6, 0x4000
	s_movk_i32 s0, 0x80
	buffer_load_dwordx4 v[2:5], v18, s[4:7], 0 offen
	buffer_load_dwordx4 v[6:9], v18, s[4:7], 0 offen offset:256
	buffer_load_dwordx4 v[10:13], v18, s[4:7], s0 offen
	buffer_load_dwordx4 v[14:17], v18, s[4:7], s0 offen offset:256
.LBB31_58:
	ds_read_b64 v[20:21], v27 offset:57344
	v_add_u32_e32 v18, 0x6000, v26
	ds_read2_b64 v[36:39], v18 offset1:16
	ds_read_b64 v[54:55], v28 offset:57344
	ds_read_b64 v[28:29], v29 offset:57344
	;; [unrolled: 1-line block ×3, first 2 shown]
	ds_read2st64_b64 v[40:43], v26 offset0:52 offset1:56
	s_mov_b32 s0, 0x1000504
	s_mov_b32 s1, 0x3020706
	s_waitcnt lgkmcnt(4)
	v_mfma_f32_16x16x16_bf16 a[0:3], v[20:21], v[36:37], a[0:3]
	v_mfma_f32_16x16x16_bf16 a[4:7], v[20:21], v[38:39], a[4:7]
	ds_read2_b64 v[36:39], v18 offset0:32 offset1:48
	v_and_b32_e32 v18, 6, v0
	v_xor_b32_e32 v25, v25, v18
	s_waitcnt lgkmcnt(0)
	v_mfma_f32_16x16x16_bf16 a[8:11], v[20:21], v[36:37], a[8:11]
	v_lshlrev_b32_e32 v25, 2, v25
	v_and_b32_e32 v0, 1, v0
	v_xor_b32_e32 v35, 0x440, v25
	v_mfma_f32_16x16x16_bf16 a[12:15], v[20:21], v[38:39], a[12:15]
	ds_read2st64_b64 v[36:39], v31 offset0:52 offset1:56
	ds_read2st64_b64 v[46:49], v32 offset0:52 offset1:56
	;; [unrolled: 1-line block ×3, first 2 shown]
	v_cmp_eq_u32_e32 vcc, 0, v0
	ds_read_b64 v[20:21], v26 offset:30720
	ds_read_b64 v[26:27], v31 offset:30720
	ds_read_b64 v[30:31], v32 offset:30720
	ds_read_b64 v[32:33], v33 offset:30720
	v_mfma_f32_16x16x16_bf16 a[0:3], v[54:55], v[40:41], a[0:3]
	v_cndmask_b32_e32 v0, v35, v25, vcc
	v_lshl_or_b32 v0, v18, 10, v0
	s_waitcnt vmcnt(0)
	v_perm_b32 v18, v2, v6, s0
	s_waitcnt lgkmcnt(6)
	v_mfma_f32_16x16x16_bf16 a[4:7], v[54:55], v[36:37], a[4:7]
	v_perm_b32 v25, v10, v14, s0
	ds_write2st64_b32 v0, v18, v25 offset0:128 offset1:160
	v_xor_b32_e32 v18, 8, v0
	s_waitcnt lgkmcnt(6)
	v_mfma_f32_16x16x16_bf16 a[8:11], v[54:55], v[46:47], a[8:11]
	v_perm_b32 v2, v2, v6, s1
	v_perm_b32 v6, v10, v14, s1
	v_add_u32_e32 v10, 0x80, v18
	s_waitcnt lgkmcnt(5)
	v_mfma_f32_16x16x16_bf16 a[12:15], v[54:55], v[50:51], a[12:15]
	ds_write2st64_b32 v10, v2, v6 offset0:128 offset1:160
	v_xor_b32_e32 v2, 16, v0
	v_perm_b32 v6, v3, v7, s0
	v_mfma_f32_16x16x16_bf16 a[0:3], v[28:29], v[42:43], a[0:3]
	v_perm_b32 v10, v11, v15, s0
	ds_write2st64_b32 v2, v6, v10 offset0:129 offset1:161
	v_xor_b32_e32 v2, 24, v0
	v_mfma_f32_16x16x16_bf16 a[4:7], v[28:29], v[38:39], a[4:7]
	v_perm_b32 v3, v3, v7, s1
	v_perm_b32 v6, v11, v15, s1
	v_add_u32_e32 v2, 0x80, v2
	v_mfma_f32_16x16x16_bf16 a[16:19], v[28:29], v[48:49], a[8:11]
	ds_write2st64_b32 v2, v3, v6 offset0:129 offset1:161
	v_xor_b32_e32 v2, 32, v0
	v_perm_b32 v3, v4, v8, s0
	v_mfma_f32_16x16x16_bf16 a[20:23], v[28:29], v[52:53], a[12:15]
	v_perm_b32 v6, v12, v16, s0
	ds_write2st64_b32 v2, v3, v6 offset0:130 offset1:162
	v_xor_b32_e32 v2, 40, v0
	s_waitcnt lgkmcnt(8)
	v_mfma_f32_16x16x16_bf16 a[12:15], v[56:57], v[20:21], a[0:3]
	v_perm_b32 v3, v4, v8, s1
	v_perm_b32 v4, v12, v16, s1
	v_add_u32_e32 v2, 0x80, v2
	s_waitcnt lgkmcnt(7)
	v_mfma_f32_16x16x16_bf16 a[8:11], v[56:57], v[26:27], a[4:7]
	ds_write2st64_b32 v2, v3, v4 offset0:130 offset1:162
	v_xor_b32_e32 v2, 48, v0
	v_perm_b32 v3, v5, v9, s0
	s_waitcnt lgkmcnt(7)
	v_mfma_f32_16x16x16_bf16 a[4:7], v[56:57], v[30:31], a[16:19]
	v_perm_b32 v4, v13, v17, s0
	v_xor_b32_e32 v0, 56, v0
	v_and_or_b32 v21, v34, 12, v1
	s_waitcnt lgkmcnt(6)
	v_mfma_f32_16x16x16_bf16 a[0:3], v[56:57], v[32:33], a[20:23]
	ds_write2st64_b32 v2, v3, v4 offset0:131 offset1:163
	v_perm_b32 v2, v5, v9, s1
	v_perm_b32 v3, v13, v17, s1
	v_add_u32_e32 v0, 0x80, v0
	v_cmp_gt_i32_e32 vcc, s43, v21
	v_mov_b32_e32 v16, 0
	v_mov_b32_e32 v18, 0
	ds_write2st64_b32 v0, v2, v3 offset0:131 offset1:163
	s_and_saveexec_b64 s[0:1], vcc
	s_cbranch_execz .LBB31_60
; %bb.59:
	v_add_u32_e32 v0, s42, v21
	v_ashrrev_i32_e32 v1, 31, v0
	v_mul_lo_u32 v2, v1, s34
	v_mul_lo_u32 v3, v0, s35
	v_mad_u64_u32 v[0:1], s[2:3], v0, s34, 0
	v_add3_u32 v1, v1, v3, v2
	v_lshl_add_u64 v[0:1], v[0:1], 2, s[10:11]
	global_load_dword v0, v[0:1], off
	s_waitcnt vmcnt(0)
	v_sub_f32_e32 v0, s12, v0
	v_exp_f32_e32 v18, v0
.LBB31_60:
	s_or_b64 exec, exec, s[0:1]
	v_or_b32_e32 v10, 1, v21
	v_cmp_gt_i32_e64 s[2:3], s43, v10
	s_and_saveexec_b64 s[0:1], s[2:3]
	s_cbranch_execz .LBB31_62
; %bb.61:
	v_add_u32_e32 v0, s42, v10
	v_ashrrev_i32_e32 v1, 31, v0
	v_mul_lo_u32 v2, v1, s34
	v_mul_lo_u32 v3, v0, s35
	v_mad_u64_u32 v[0:1], s[4:5], v0, s34, 0
	v_add3_u32 v1, v1, v3, v2
	v_lshl_add_u64 v[0:1], v[0:1], 2, s[10:11]
	global_load_dword v0, v[0:1], off
	s_waitcnt vmcnt(0)
	v_sub_f32_e32 v0, s12, v0
	v_exp_f32_e32 v16, v0
.LBB31_62:
	s_or_b64 exec, exec, s[0:1]
	v_or_b32_e32 v12, 2, v21
	v_cmp_gt_i32_e64 s[0:1], s43, v12
	v_mov_b32_e32 v17, 0
	v_mov_b32_e32 v20, 0
	s_and_saveexec_b64 s[4:5], s[0:1]
	s_cbranch_execz .LBB31_64
; %bb.63:
	v_add_u32_e32 v0, s42, v12
	v_ashrrev_i32_e32 v1, 31, v0
	v_mul_lo_u32 v2, v1, s34
	v_mul_lo_u32 v3, v0, s35
	v_mad_u64_u32 v[0:1], s[6:7], v0, s34, 0
	v_add3_u32 v1, v1, v3, v2
	v_lshl_add_u64 v[0:1], v[0:1], 2, s[10:11]
	global_load_dword v0, v[0:1], off
	s_waitcnt vmcnt(0)
	v_sub_f32_e32 v0, s12, v0
	v_exp_f32_e32 v20, v0
.LBB31_64:
	s_or_b64 exec, exec, s[4:5]
	v_or_b32_e32 v14, 3, v21
	v_cmp_gt_i32_e64 s[4:5], s43, v14
	s_and_saveexec_b64 s[6:7], s[4:5]
	s_cbranch_execz .LBB31_66
; %bb.65:
	v_add_u32_e32 v0, s42, v14
	v_ashrrev_i32_e32 v1, 31, v0
	v_mul_lo_u32 v2, v1, s34
	v_mul_lo_u32 v3, v0, s35
	v_mad_u64_u32 v[0:1], s[16:17], v0, s34, 0
	v_add3_u32 v1, v1, v3, v2
	v_lshl_add_u64 v[0:1], v[0:1], 2, s[10:11]
	global_load_dword v0, v[0:1], off
	s_waitcnt vmcnt(0)
	v_sub_f32_e32 v0, s12, v0
	v_exp_f32_e32 v17, v0
.LBB31_66:
	s_or_b64 exec, exec, s[6:7]
	s_add_u32 s6, s8, s28
	v_or_b32_e32 v4, s36, v45
	s_addc_u32 s7, s9, s29
	s_add_u32 s8, s14, s28
	v_ashrrev_i32_e32 v5, 31, v4
	v_accvgpr_read_b32 v0, a12
	s_addc_u32 s9, s15, s29
	v_lshlrev_b64 v[4:5], 1, v[4:5]
	v_accvgpr_read_b32 v1, a13
	v_accvgpr_read_b32 v2, a14
	;; [unrolled: 1-line block ×3, first 2 shown]
	v_lshl_add_u64 v[6:7], s[6:7], 0, v[4:5]
	v_lshl_add_u64 v[4:5], s[8:9], 0, v[4:5]
	v_mov_b32_e32 v11, 0
	v_lshlrev_b32_e32 v8, 8, v21
	v_mov_b32_e32 v9, 0
	s_and_saveexec_b64 s[6:7], vcc
	s_cbranch_execz .LBB31_68
; %bb.67:
	v_mov_b32_e32 v9, 0
	v_lshl_add_u64 v[26:27], v[6:7], 0, v[8:9]
	global_load_ushort v13, v[26:27], off
	v_lshl_add_u64 v[26:27], v[4:5], 0, v[8:9]
	s_waitcnt vmcnt(0)
	v_lshlrev_b32_e32 v9, 16, v13
	v_sub_f32_e32 v0, v9, v0
	global_store_short_d16_hi v[26:27], v0, off
	v_mul_f32_e32 v0, v18, v0
	v_lshrrev_b32_e32 v9, 16, v0
.LBB31_68:
	s_or_b64 exec, exec, s[6:7]
	v_lshlrev_b32_e32 v10, 8, v10
	s_and_saveexec_b64 s[6:7], s[2:3]
	s_cbranch_execz .LBB31_70
; %bb.69:
	v_mov_b32_e32 v11, 0
	v_lshl_add_u64 v[26:27], v[6:7], 0, v[10:11]
	global_load_ushort v0, v[26:27], off
	v_lshl_add_u64 v[26:27], v[4:5], 0, v[10:11]
	s_waitcnt vmcnt(0)
	v_lshlrev_b32_e32 v0, 16, v0
	v_sub_f32_e32 v0, v0, v1
	global_store_short_d16_hi v[26:27], v0, off
	v_mul_f32_e32 v0, v16, v0
	v_lshrrev_b32_e32 v11, 16, v0
.LBB31_70:
	s_or_b64 exec, exec, s[6:7]
	v_mov_b32_e32 v15, 0
	v_lshlrev_b32_e32 v12, 8, v12
	v_mov_b32_e32 v13, 0
	s_and_saveexec_b64 s[6:7], s[0:1]
	s_cbranch_execz .LBB31_72
; %bb.71:
	v_mov_b32_e32 v13, 0
	v_lshl_add_u64 v[0:1], v[6:7], 0, v[12:13]
	global_load_ushort v25, v[0:1], off
	v_lshl_add_u64 v[0:1], v[4:5], 0, v[12:13]
	s_waitcnt vmcnt(0)
	v_lshlrev_b32_e32 v13, 16, v25
	v_sub_f32_e32 v2, v13, v2
	global_store_short_d16_hi v[0:1], v2, off
	v_mul_f32_e32 v0, v20, v2
	v_lshrrev_b32_e32 v13, 16, v0
.LBB31_72:
	s_or_b64 exec, exec, s[6:7]
	v_lshlrev_b32_e32 v14, 8, v14
	s_and_saveexec_b64 s[6:7], s[4:5]
	s_cbranch_execz .LBB31_74
; %bb.73:
	v_mov_b32_e32 v15, 0
	v_lshl_add_u64 v[0:1], v[6:7], 0, v[14:15]
	global_load_ushort v2, v[0:1], off
	v_lshl_add_u64 v[0:1], v[4:5], 0, v[14:15]
	s_waitcnt vmcnt(0)
	v_lshlrev_b32_e32 v2, 16, v2
	v_sub_f32_e32 v2, v2, v3
	global_store_short_d16_hi v[0:1], v2, off
	v_mul_f32_e32 v0, v17, v2
	v_lshrrev_b32_e32 v15, 16, v0
.LBB31_74:
	s_or_b64 exec, exec, s[6:7]
	v_lshlrev_b32_e32 v21, 6, v21
	s_mov_b32 s6, 0x5040100
	v_perm_b32 v26, v11, v9, s6
	v_or_b32_e32 v9, v21, v24
	v_accvgpr_read_b32 v0, a8
	v_perm_b32 v27, v15, v13, s6
	v_lshlrev_b32_e32 v9, 1, v9
	v_accvgpr_read_b32 v1, a9
	v_accvgpr_read_b32 v2, a10
	;; [unrolled: 1-line block ×3, first 2 shown]
	ds_write_b64 v9, v[26:27] offset:24576
	v_mov_b32_e32 v11, 0
	v_mov_b32_e32 v9, 0
	s_and_saveexec_b64 s[6:7], vcc
	s_cbranch_execz .LBB31_76
; %bb.75:
	v_mov_b32_e32 v9, 0
	v_lshl_add_u64 v[24:25], v[6:7], 0, v[8:9]
	global_load_ushort v13, v[24:25], off offset:32
	v_lshl_add_u64 v[24:25], v[4:5], 0, v[8:9]
	s_waitcnt vmcnt(0)
	v_lshlrev_b32_e32 v9, 16, v13
	v_sub_f32_e32 v0, v9, v0
	global_store_short_d16_hi v[24:25], v0, off offset:32
	v_mul_f32_e32 v0, v18, v0
	v_lshrrev_b32_e32 v9, 16, v0
.LBB31_76:
	s_or_b64 exec, exec, s[6:7]
	s_and_saveexec_b64 s[6:7], s[2:3]
	s_cbranch_execz .LBB31_78
; %bb.77:
	v_mov_b32_e32 v11, 0
	v_lshl_add_u64 v[24:25], v[6:7], 0, v[10:11]
	global_load_ushort v0, v[24:25], off offset:32
	v_lshl_add_u64 v[24:25], v[4:5], 0, v[10:11]
	s_waitcnt vmcnt(0)
	v_lshlrev_b32_e32 v0, 16, v0
	v_sub_f32_e32 v0, v0, v1
	global_store_short_d16_hi v[24:25], v0, off offset:32
	v_mul_f32_e32 v0, v16, v0
	v_lshrrev_b32_e32 v11, 16, v0
.LBB31_78:
	s_or_b64 exec, exec, s[6:7]
	v_mov_b32_e32 v15, 0
	v_mov_b32_e32 v13, 0
	s_and_saveexec_b64 s[6:7], s[0:1]
	s_cbranch_execz .LBB31_80
; %bb.79:
	v_mov_b32_e32 v13, 0
	v_lshl_add_u64 v[0:1], v[6:7], 0, v[12:13]
	global_load_ushort v24, v[0:1], off offset:32
	v_lshl_add_u64 v[0:1], v[4:5], 0, v[12:13]
	s_waitcnt vmcnt(0)
	v_lshlrev_b32_e32 v13, 16, v24
	v_sub_f32_e32 v2, v13, v2
	global_store_short_d16_hi v[0:1], v2, off offset:32
	v_mul_f32_e32 v0, v20, v2
	v_lshrrev_b32_e32 v13, 16, v0
.LBB31_80:
	s_or_b64 exec, exec, s[6:7]
	s_and_saveexec_b64 s[6:7], s[4:5]
	s_cbranch_execz .LBB31_82
; %bb.81:
	v_mov_b32_e32 v15, 0
	v_lshl_add_u64 v[0:1], v[6:7], 0, v[14:15]
	global_load_ushort v2, v[0:1], off offset:32
	v_lshl_add_u64 v[0:1], v[4:5], 0, v[14:15]
	s_waitcnt vmcnt(0)
	v_lshlrev_b32_e32 v2, 16, v2
	v_sub_f32_e32 v2, v2, v3
	global_store_short_d16_hi v[0:1], v2, off offset:32
	v_mul_f32_e32 v0, v17, v2
	v_lshrrev_b32_e32 v15, 16, v0
.LBB31_82:
	s_or_b64 exec, exec, s[6:7]
	s_mov_b32 s6, 0x5040100
	v_perm_b32 v24, v11, v9, s6
	v_or_b32_e32 v9, v21, v23
	v_accvgpr_read_b32 v0, a4
	v_perm_b32 v25, v15, v13, s6
	v_lshlrev_b32_e32 v9, 1, v9
	v_accvgpr_read_b32 v1, a5
	v_accvgpr_read_b32 v2, a6
	;; [unrolled: 1-line block ×3, first 2 shown]
	ds_write_b64 v9, v[24:25] offset:24576
	v_mov_b32_e32 v11, 0
	v_mov_b32_e32 v9, 0
	s_and_saveexec_b64 s[6:7], vcc
	s_cbranch_execz .LBB31_84
; %bb.83:
	v_mov_b32_e32 v9, 0
	v_lshl_add_u64 v[24:25], v[6:7], 0, v[8:9]
	global_load_ushort v13, v[24:25], off offset:64
	v_lshl_add_u64 v[24:25], v[4:5], 0, v[8:9]
	s_waitcnt vmcnt(0)
	v_lshlrev_b32_e32 v9, 16, v13
	v_sub_f32_e32 v0, v9, v0
	global_store_short_d16_hi v[24:25], v0, off offset:64
	v_mul_f32_e32 v0, v18, v0
	v_lshrrev_b32_e32 v9, 16, v0
.LBB31_84:
	s_or_b64 exec, exec, s[6:7]
	s_and_saveexec_b64 s[6:7], s[2:3]
	s_cbranch_execz .LBB31_86
; %bb.85:
	v_mov_b32_e32 v11, 0
	v_lshl_add_u64 v[24:25], v[6:7], 0, v[10:11]
	global_load_ushort v0, v[24:25], off offset:64
	v_lshl_add_u64 v[24:25], v[4:5], 0, v[10:11]
	s_waitcnt vmcnt(0)
	v_lshlrev_b32_e32 v0, 16, v0
	v_sub_f32_e32 v0, v0, v1
	global_store_short_d16_hi v[24:25], v0, off offset:64
	v_mul_f32_e32 v0, v16, v0
	v_lshrrev_b32_e32 v11, 16, v0
.LBB31_86:
	s_or_b64 exec, exec, s[6:7]
	v_mov_b32_e32 v15, 0
	v_mov_b32_e32 v13, 0
	s_and_saveexec_b64 s[6:7], s[0:1]
	s_cbranch_execz .LBB31_88
; %bb.87:
	v_mov_b32_e32 v13, 0
	v_lshl_add_u64 v[0:1], v[6:7], 0, v[12:13]
	global_load_ushort v23, v[0:1], off offset:64
	v_lshl_add_u64 v[0:1], v[4:5], 0, v[12:13]
	s_waitcnt vmcnt(0)
	v_lshlrev_b32_e32 v13, 16, v23
	v_sub_f32_e32 v2, v13, v2
	global_store_short_d16_hi v[0:1], v2, off offset:64
	v_mul_f32_e32 v0, v20, v2
	v_lshrrev_b32_e32 v13, 16, v0
.LBB31_88:
	s_or_b64 exec, exec, s[6:7]
	s_and_saveexec_b64 s[6:7], s[4:5]
	s_cbranch_execz .LBB31_90
; %bb.89:
	v_mov_b32_e32 v15, 0
	v_lshl_add_u64 v[0:1], v[6:7], 0, v[14:15]
	global_load_ushort v2, v[0:1], off offset:64
	v_lshl_add_u64 v[0:1], v[4:5], 0, v[14:15]
	s_waitcnt vmcnt(0)
	v_lshlrev_b32_e32 v2, 16, v2
	v_sub_f32_e32 v2, v2, v3
	global_store_short_d16_hi v[0:1], v2, off offset:64
	v_mul_f32_e32 v0, v17, v2
	v_lshrrev_b32_e32 v15, 16, v0
.LBB31_90:
	s_or_b64 exec, exec, s[6:7]
	s_mov_b32 s6, 0x5040100
	v_perm_b32 v24, v11, v9, s6
	v_or_b32_e32 v9, v21, v22
	v_accvgpr_read_b32 v0, a0
	v_perm_b32 v25, v15, v13, s6
	v_lshlrev_b32_e32 v9, 1, v9
	v_accvgpr_read_b32 v1, a1
	v_accvgpr_read_b32 v2, a2
	;; [unrolled: 1-line block ×3, first 2 shown]
	ds_write_b64 v9, v[24:25] offset:24576
	v_mov_b32_e32 v11, 0
	v_mov_b32_e32 v9, 0
	s_and_saveexec_b64 s[6:7], vcc
	s_cbranch_execz .LBB31_92
; %bb.91:
	v_mov_b32_e32 v9, 0
	v_lshl_add_u64 v[22:23], v[6:7], 0, v[8:9]
	global_load_ushort v13, v[22:23], off offset:96
	v_lshl_add_u64 v[8:9], v[4:5], 0, v[8:9]
	s_waitcnt vmcnt(0)
	v_lshlrev_b32_e32 v13, 16, v13
	v_sub_f32_e32 v0, v13, v0
	global_store_short_d16_hi v[8:9], v0, off offset:96
	v_mul_f32_e32 v0, v18, v0
	v_lshrrev_b32_e32 v9, 16, v0
.LBB31_92:
	s_or_b64 exec, exec, s[6:7]
	s_and_saveexec_b64 s[6:7], s[2:3]
	s_cbranch_execz .LBB31_94
; %bb.93:
	v_mov_b32_e32 v11, 0
	v_lshl_add_u64 v[22:23], v[6:7], 0, v[10:11]
	global_load_ushort v0, v[22:23], off offset:96
	v_lshl_add_u64 v[10:11], v[4:5], 0, v[10:11]
	s_waitcnt vmcnt(0)
	v_lshlrev_b32_e32 v0, 16, v0
	v_sub_f32_e32 v0, v0, v1
	global_store_short_d16_hi v[10:11], v0, off offset:96
	v_mul_f32_e32 v0, v16, v0
	v_lshrrev_b32_e32 v11, 16, v0
.LBB31_94:
	s_or_b64 exec, exec, s[6:7]
	v_mov_b32_e32 v0, 0
	v_mov_b32_e32 v1, 0
	s_and_saveexec_b64 s[2:3], s[0:1]
	s_cbranch_execz .LBB31_96
; %bb.95:
	v_mov_b32_e32 v13, 0
	v_lshl_add_u64 v[22:23], v[6:7], 0, v[12:13]
	global_load_ushort v1, v[22:23], off offset:96
	v_lshl_add_u64 v[12:13], v[4:5], 0, v[12:13]
	s_waitcnt vmcnt(0)
	v_lshlrev_b32_e32 v1, 16, v1
	v_sub_f32_e32 v1, v1, v2
	global_store_short_d16_hi v[12:13], v1, off offset:96
	v_mul_f32_e32 v1, v20, v1
	v_lshrrev_b32_e32 v1, 16, v1
.LBB31_96:
	s_or_b64 exec, exec, s[2:3]
	s_and_saveexec_b64 s[0:1], s[4:5]
	s_cbranch_execz .LBB31_98
; %bb.97:
	v_mov_b32_e32 v15, 0
	v_lshl_add_u64 v[6:7], v[6:7], 0, v[14:15]
	global_load_ushort v0, v[6:7], off offset:96
	v_lshl_add_u64 v[4:5], v[4:5], 0, v[14:15]
	s_waitcnt vmcnt(0)
	v_lshlrev_b32_e32 v0, 16, v0
	v_sub_f32_e32 v0, v0, v3
	global_store_short_d16_hi v[4:5], v0, off offset:96
	v_mul_f32_e32 v0, v17, v0
	v_lshrrev_b32_e32 v0, 16, v0
.LBB31_98:
	s_or_b64 exec, exec, s[0:1]
	s_mov_b32 s0, 0x5040100
	v_or_b32_e32 v2, v21, v19
	v_perm_b32 v1, v0, v1, s0
	v_perm_b32 v0, v11, v9, s0
	v_lshlrev_b32_e32 v2, 1, v2
	ds_write_b64 v2, v[0:1] offset:24576
	s_waitcnt lgkmcnt(0)
	s_barrier
.LBB31_99:
	s_endpgm
	.section	.rodata,"a",@progbits
	.p2align	6, 0x0
	.amdhsa_kernel _ZN12_GLOBAL__N_139chunk_gated_delta_rule_fwd_h_hip_kernelILi64ELb0ELb0ELb1ELb0ELb1ELb1ELb0ELb1EEEvPK12hip_bfloat16S3_S3_PKfS5_PKvPS1_S8_PvPKiSB_iiiiilll
		.amdhsa_group_segment_fixed_size 65536
		.amdhsa_private_segment_fixed_size 0
		.amdhsa_kernarg_size 136
		.amdhsa_user_sgpr_count 2
		.amdhsa_user_sgpr_dispatch_ptr 0
		.amdhsa_user_sgpr_queue_ptr 0
		.amdhsa_user_sgpr_kernarg_segment_ptr 1
		.amdhsa_user_sgpr_dispatch_id 0
		.amdhsa_user_sgpr_kernarg_preload_length 0
		.amdhsa_user_sgpr_kernarg_preload_offset 0
		.amdhsa_user_sgpr_private_segment_size 0
		.amdhsa_uses_dynamic_stack 0
		.amdhsa_enable_private_segment 0
		.amdhsa_system_sgpr_workgroup_id_x 1
		.amdhsa_system_sgpr_workgroup_id_y 1
		.amdhsa_system_sgpr_workgroup_id_z 0
		.amdhsa_system_sgpr_workgroup_info 0
		.amdhsa_system_vgpr_workitem_id 0
		.amdhsa_next_free_vgpr 232
		.amdhsa_next_free_sgpr 68
		.amdhsa_accum_offset 192
		.amdhsa_reserve_vcc 1
		.amdhsa_float_round_mode_32 0
		.amdhsa_float_round_mode_16_64 0
		.amdhsa_float_denorm_mode_32 3
		.amdhsa_float_denorm_mode_16_64 3
		.amdhsa_dx10_clamp 1
		.amdhsa_ieee_mode 1
		.amdhsa_fp16_overflow 0
		.amdhsa_tg_split 0
		.amdhsa_exception_fp_ieee_invalid_op 0
		.amdhsa_exception_fp_denorm_src 0
		.amdhsa_exception_fp_ieee_div_zero 0
		.amdhsa_exception_fp_ieee_overflow 0
		.amdhsa_exception_fp_ieee_underflow 0
		.amdhsa_exception_fp_ieee_inexact 0
		.amdhsa_exception_int_div_zero 0
	.end_amdhsa_kernel
	.section	.text._ZN12_GLOBAL__N_139chunk_gated_delta_rule_fwd_h_hip_kernelILi64ELb0ELb0ELb1ELb0ELb1ELb1ELb0ELb1EEEvPK12hip_bfloat16S3_S3_PKfS5_PKvPS1_S8_PvPKiSB_iiiiilll,"axG",@progbits,_ZN12_GLOBAL__N_139chunk_gated_delta_rule_fwd_h_hip_kernelILi64ELb0ELb0ELb1ELb0ELb1ELb1ELb0ELb1EEEvPK12hip_bfloat16S3_S3_PKfS5_PKvPS1_S8_PvPKiSB_iiiiilll,comdat
.Lfunc_end31:
	.size	_ZN12_GLOBAL__N_139chunk_gated_delta_rule_fwd_h_hip_kernelILi64ELb0ELb0ELb1ELb0ELb1ELb1ELb0ELb1EEEvPK12hip_bfloat16S3_S3_PKfS5_PKvPS1_S8_PvPKiSB_iiiiilll, .Lfunc_end31-_ZN12_GLOBAL__N_139chunk_gated_delta_rule_fwd_h_hip_kernelILi64ELb0ELb0ELb1ELb0ELb1ELb1ELb0ELb1EEEvPK12hip_bfloat16S3_S3_PKfS5_PKvPS1_S8_PvPKiSB_iiiiilll
                                        ; -- End function
	.section	.AMDGPU.csdata,"",@progbits
; Kernel info:
; codeLenInByte = 11468
; NumSgprs: 74
; NumVgprs: 190
; NumAgprs: 40
; TotalNumVgprs: 232
; ScratchSize: 0
; MemoryBound: 0
; FloatMode: 240
; IeeeMode: 1
; LDSByteSize: 65536 bytes/workgroup (compile time only)
; SGPRBlocks: 9
; VGPRBlocks: 28
; NumSGPRsForWavesPerEU: 74
; NumVGPRsForWavesPerEU: 232
; AccumOffset: 192
; Occupancy: 1
; WaveLimiterHint : 1
; COMPUTE_PGM_RSRC2:SCRATCH_EN: 0
; COMPUTE_PGM_RSRC2:USER_SGPR: 2
; COMPUTE_PGM_RSRC2:TRAP_HANDLER: 0
; COMPUTE_PGM_RSRC2:TGID_X_EN: 1
; COMPUTE_PGM_RSRC2:TGID_Y_EN: 1
; COMPUTE_PGM_RSRC2:TGID_Z_EN: 0
; COMPUTE_PGM_RSRC2:TIDIG_COMP_CNT: 0
; COMPUTE_PGM_RSRC3_GFX90A:ACCUM_OFFSET: 47
; COMPUTE_PGM_RSRC3_GFX90A:TG_SPLIT: 0
	.section	.text._ZN12_GLOBAL__N_139chunk_gated_delta_rule_fwd_h_hip_kernelILi64ELb0ELb0ELb0ELb0ELb1ELb1ELb0ELb1EEEvPK12hip_bfloat16S3_S3_PKfS5_PKvPS1_S8_PvPKiSB_iiiiilll,"axG",@progbits,_ZN12_GLOBAL__N_139chunk_gated_delta_rule_fwd_h_hip_kernelILi64ELb0ELb0ELb0ELb0ELb1ELb1ELb0ELb1EEEvPK12hip_bfloat16S3_S3_PKfS5_PKvPS1_S8_PvPKiSB_iiiiilll,comdat
	.globl	_ZN12_GLOBAL__N_139chunk_gated_delta_rule_fwd_h_hip_kernelILi64ELb0ELb0ELb0ELb0ELb1ELb1ELb0ELb1EEEvPK12hip_bfloat16S3_S3_PKfS5_PKvPS1_S8_PvPKiSB_iiiiilll ; -- Begin function _ZN12_GLOBAL__N_139chunk_gated_delta_rule_fwd_h_hip_kernelILi64ELb0ELb0ELb0ELb0ELb1ELb1ELb0ELb1EEEvPK12hip_bfloat16S3_S3_PKfS5_PKvPS1_S8_PvPKiSB_iiiiilll
	.p2align	8
	.type	_ZN12_GLOBAL__N_139chunk_gated_delta_rule_fwd_h_hip_kernelILi64ELb0ELb0ELb0ELb0ELb1ELb1ELb0ELb1EEEvPK12hip_bfloat16S3_S3_PKfS5_PKvPS1_S8_PvPKiSB_iiiiilll,@function
_ZN12_GLOBAL__N_139chunk_gated_delta_rule_fwd_h_hip_kernelILi64ELb0ELb0ELb0ELb0ELb1ELb1ELb0ELb1EEEvPK12hip_bfloat16S3_S3_PKfS5_PKvPS1_S8_PvPKiSB_iiiiilll: ; @_ZN12_GLOBAL__N_139chunk_gated_delta_rule_fwd_h_hip_kernelILi64ELb0ELb0ELb0ELb0ELb1ELb1ELb0ELb1EEEvPK12hip_bfloat16S3_S3_PKfS5_PKvPS1_S8_PvPKiSB_iiiiilll
; %bb.0:
	s_load_dwordx4 s[12:15], s[0:1], 0x5c
	s_load_dwordx2 s[36:37], s[0:1], 0x30
	s_abs_i32 s18, s3
	s_ashr_i32 s17, s3, 31
	s_load_dwordx8 s[4:11], s[0:1], 0x0
	s_waitcnt lgkmcnt(0)
	s_abs_i32 s16, s13
	v_cvt_f32_u32_e32 v1, s16
	s_sub_i32 s20, 0, s16
	s_ashr_i32 s19, s13, 31
	s_xor_b32 s17, s17, s19
	v_rcp_iflag_f32_e32 v1, v1
	v_lshrrev_b32_e32 v85, 6, v0
	v_bfe_u32 v86, v0, 4, 2
	v_lshlrev_b32_e32 v2, 2, v86
	v_mul_f32_e32 v1, 0x4f7ffffe, v1
	v_cvt_u32_f32_e32 v1, v1
	v_and_b32_e32 v84, 63, v0
	v_mov_b32_e32 v47, 0
	v_and_b32_e32 v45, 15, v0
	v_readfirstlane_b32 s21, v1
	s_mul_i32 s20, s20, s21
	s_mul_hi_u32 s20, s21, s20
	s_add_i32 s21, s21, s20
	s_mul_hi_u32 s20, s18, s21
	s_mul_i32 s21, s20, s16
	s_sub_i32 s18, s18, s21
	s_add_i32 s22, s20, 1
	s_sub_i32 s21, s18, s16
	s_cmp_ge_u32 s18, s16
	s_cselect_b32 s20, s22, s20
	s_cselect_b32 s18, s21, s18
	s_add_i32 s21, s20, 1
	s_cmp_ge_u32 s18, s16
	s_cselect_b32 s18, s21, s20
	s_abs_i32 s20, s14
	v_cvt_f32_u32_e32 v1, s20
	s_xor_b32 s18, s18, s17
	s_ashr_i32 s46, s12, 31
	s_sub_i32 s48, s18, s17
	v_rcp_iflag_f32_e32 v1, v1
	s_lshr_b32 s17, s46, 26
	s_add_i32 s17, s12, s17
	s_ashr_i32 s49, s14, 31
	v_mul_f32_e32 v1, 0x4f7ffffe, v1
	v_cvt_u32_f32_e32 v1, v1
	s_ashr_i32 s47, s17, 6
	s_xor_b32 s17, s19, s49
	s_sub_i32 s18, 0, s20
	v_readfirstlane_b32 s19, v1
	s_mul_i32 s18, s18, s19
	s_mul_hi_u32 s18, s19, s18
	s_add_i32 s19, s19, s18
	s_mul_hi_u32 s18, s16, s19
	s_mul_i32 s19, s18, s20
	s_mul_i32 s45, s48, s13
	s_sub_i32 s16, s16, s19
	s_sub_i32 s33, s3, s45
	s_add_i32 s3, s12, 63
	s_add_i32 s19, s18, 1
	s_sub_i32 s21, s16, s20
	s_cmp_ge_u32 s16, s20
	s_cselect_b32 s18, s19, s18
	s_cselect_b32 s16, s21, s16
	s_add_i32 s19, s18, 1
	s_cmp_ge_u32 s16, s20
	s_cselect_b32 s16, s19, s18
	s_xor_b32 s16, s16, s17
	s_sub_i32 s20, s16, s17
	s_abs_i32 s21, s20
	v_cvt_f32_u32_e32 v1, s21
	s_sub_i32 s23, 0, s21
	s_abs_i32 s22, s33
	s_xor_b32 s20, s33, s20
	v_rcp_iflag_f32_e32 v1, v1
	s_ashr_i32 s20, s20, 31
	s_load_dwordx2 s[28:29], s[0:1], 0x80
	s_load_dwordx4 s[16:19], s[0:1], 0x70
	s_mul_hi_i32 s51, s48, s13
	v_mul_f32_e32 v1, 0x4f7ffffe, v1
	v_cvt_u32_f32_e32 v1, v1
	v_lshrrev_b32_e32 v88, 3, v84
	v_lshlrev_b32_e32 v87, 3, v0
	s_waitcnt lgkmcnt(0)
	s_mul_i32 s17, s48, s17
	v_readfirstlane_b32 s24, v1
	s_mul_i32 s23, s23, s24
	s_mul_hi_u32 s23, s24, s23
	s_add_i32 s24, s24, s23
	s_mul_hi_u32 s23, s22, s24
	s_mul_i32 s24, s23, s21
	s_sub_i32 s22, s22, s24
	s_add_i32 s24, s23, 1
	s_sub_i32 s25, s22, s21
	s_cmp_ge_u32 s22, s21
	s_cselect_b32 s23, s24, s23
	s_cselect_b32 s22, s25, s22
	s_add_i32 s24, s23, 1
	s_cmp_ge_u32 s22, s21
	s_cselect_b32 s21, s24, s23
	s_xor_b32 s21, s21, s20
	s_sub_i32 s52, s21, s20
	s_ashr_i32 s20, s3, 31
	s_lshr_b32 s20, s20, 26
	v_lshlrev_b32_e32 v1, 4, v85
	s_add_i32 s3, s3, s20
	v_or_b32_e32 v89, v2, v1
	s_ashr_i32 s3, s3, 6
	s_lshl_b32 s30, s2, 6
	s_mul_i32 s50, s48, s3
	v_or_b32_e32 v90, 64, v89
	s_cmp_lt_i32 s12, 64
	s_mul_hi_u32 s44, s48, s16
	s_mul_i32 s34, s48, s16
	v_mov_b32_e32 v46, v47
	v_mov_b32_e32 v53, v47
	;; [unrolled: 1-line block ×31, first 2 shown]
	s_cbranch_scc1 .LBB32_18
; %bb.1:
	s_ashr_i32 s24, s48, 31
	s_ashr_i32 s54, s33, 31
	s_add_u32 s2, s45, s33
	s_addc_u32 s3, s51, s54
	s_mul_i32 s3, s12, s3
	s_mul_hi_u32 s20, s12, s2
	s_add_i32 s39, s20, s3
	s_mul_i32 s38, s12, s2
	s_lshl_b64 s[2:3], s[38:39], 8
	v_and_b32_e32 v92, 56, v87
	s_add_u32 s20, s6, s2
	v_lshl_or_b32 v91, v85, 3, v88
	v_lshlrev_b32_e32 v3, 1, v92
	s_addc_u32 s2, s7, s3
	v_lshl_or_b32 v93, v91, 8, v3
	s_and_b32 s21, s2, 0xffff
	s_mov_b32 s23, 0x20000
	s_movk_i32 s22, 0x4000
	s_movk_i32 s2, 0x80
	v_or_b32_e32 v94, 0x2000, v93
	buffer_load_dwordx4 v[4:7], v93, s[20:23], 0 offen
	buffer_load_dwordx4 v[8:11], v93, s[20:23], s2 offen
	;; [unrolled: 1-line block ×4, first 2 shown]
	v_lshlrev_b32_e32 v20, 3, v91
	v_and_or_b32 v22, v0, 7, v20
	v_and_b32_e32 v20, 0x78, v20
	v_lshlrev_b32_e32 v22, 4, v22
	v_xor_b32_e32 v95, v22, v20
	v_mul_lo_u32 v21, v91, s15
	v_or_b32_e32 v96, 0x1000, v95
	s_cmpk_eq_i32 s15, 0x80
	s_mov_b32 s53, s14
	v_xor_b32_e32 v20, 8, v95
	v_xor_b32_e32 v22, 8, v96
	s_cselect_b64 s[2:3], -1, 0
	s_cmpk_lg_i32 s15, 0x80
	s_waitcnt vmcnt(3)
	ds_write_b64 v95, v[4:5] offset:49152
	ds_write_b64 v20, v[6:7] offset:49152
	s_waitcnt vmcnt(2)
	ds_write_b64 v95, v[8:9] offset:57344
	ds_write_b64 v20, v[10:11] offset:57344
	s_waitcnt vmcnt(1)
	ds_write_b64 v95, v[12:13] offset:53248
	ds_write_b64 v22, v[14:15] offset:49152
	s_waitcnt vmcnt(0)
	ds_write_b64 v95, v[16:17] offset:61440
	ds_write_b64 v22, v[18:19] offset:57344
	v_lshl_add_u32 v4, v21, 1, v92
	s_cbranch_scc0 .LBB32_3
; %bb.2:
	v_lshlrev_b32_e32 v6, 1, v4
	v_add_lshl_u32 v5, v4, s15, 1
	s_lshl_b32 s22, s15, 7
	s_load_dwordx2 s[40:41], s[0:1], 0x20
	v_lshl_or_b32 v3, v91, 9, v3
	s_cbranch_execz .LBB32_4
	s_branch .LBB32_5
.LBB32_3:
                                        ; implicit-def: $vgpr5
                                        ; implicit-def: $vgpr6
                                        ; implicit-def: $sgpr22
	s_load_dwordx2 s[40:41], s[0:1], 0x20
	v_lshl_or_b32 v3, v91, 9, v3
.LBB32_4:
	v_or_b32_e32 v5, 0x100, v3
	s_movk_i32 s22, 0x4000
	v_mov_b32_e32 v6, v3
.LBB32_5:
	s_mul_hi_u32 s0, s14, s12
	s_mul_i32 s1, s49, s12
	s_add_i32 s0, s0, s1
	s_mul_i32 s1, s14, s12
	s_mul_i32 s20, s1, s24
	s_mul_hi_u32 s21, s1, s48
	s_add_i32 s20, s21, s20
	s_mul_i32 s0, s0, s48
	s_add_i32 s20, s20, s0
	s_mul_i32 s1, s1, s48
	s_ashr_i32 s55, s52, 31
	s_add_u32 s0, s1, s52
	s_addc_u32 s1, s20, s55
	s_lshl_b64 s[0:1], s[0:1], 8
	s_add_u32 s20, s4, s0
	s_addc_u32 s0, s5, s1
	s_and_b32 s21, s0, 0xffff
	s_movk_i32 s56, 0x80
	buffer_load_dwordx4 v[8:11], v6, s[20:23], 0 offen
	buffer_load_dwordx4 v[12:15], v6, s[20:23], s56 offen
	;; [unrolled: 1-line block ×4, first 2 shown]
	v_and_b32_e32 v5, 6, v0
	v_lshlrev_b32_e32 v6, 7, v89
	v_xor_b32_e32 v27, v91, v5
	v_and_b32_e32 v7, 1, v0
	v_lshl_or_b32 v30, v45, 3, v6
	v_lshlrev_b32_e32 v27, 2, v27
	v_or_b32_e32 v97, 0x4000, v30
	v_or_b32_e32 v98, 0x6000, v30
	v_xor_b32_e32 v30, 0x440, v27
	v_cmp_eq_u32_e32 vcc, 0, v7
	v_lshlrev_b32_e32 v24, 2, v45
	s_mov_b32 s59, 0x1000504
	v_cndmask_b32_e32 v7, v30, v27, vcc
	v_xor_b32_e32 v28, v89, v24
	v_xor_b32_e32 v29, v90, v24
	v_lshl_or_b32 v5, v5, 10, v7
	s_mov_b32 s60, 0x3020706
	s_mul_i32 s0, s24, s12
	s_mul_hi_u32 s1, s48, s12
	v_lshlrev_b32_e32 v25, 8, v45
	v_or_b32_e32 v26, 16, v45
	v_lshlrev_b32_e32 v28, 1, v28
	v_lshlrev_b32_e32 v29, 1, v29
	v_xor_b32_e32 v7, 8, v5
	v_xor_b32_e32 v27, 24, v5
	;; [unrolled: 1-line block ×4, first 2 shown]
	v_or_b32_e32 v100, v25, v28
	v_or_b32_e32 v101, v25, v29
	v_xor_b32_e32 v25, 16, v5
	v_xor_b32_e32 v30, 32, v5
	;; [unrolled: 1-line block ×3, first 2 shown]
	v_add_u32_e32 v7, 0x80, v7
	v_add_u32_e32 v27, 0x80, v27
	;; [unrolled: 1-line block ×4, first 2 shown]
	s_add_i32 s61, s1, s0
	s_add_i32 s0, s44, s17
	s_mul_i32 s24, s24, s16
	s_add_i32 s35, s0, s24
	s_mul_i32 s0, s33, s19
	s_mul_hi_u32 s1, s33, s18
	s_add_i32 s0, s1, s0
	s_mul_i32 s1, s54, s18
	s_add_i32 s1, s0, s1
	s_lshl_b64 s[20:21], s[34:35], 2
	s_mul_i32 s0, s33, s18
	s_add_u32 s20, s10, s20
	s_addc_u32 s21, s11, s21
	s_lshl_b64 s[0:1], s[0:1], 2
	s_add_u32 s42, s20, s0
	s_movk_i32 s0, 0xf8
	s_addc_u32 s43, s21, s1
	s_ashr_i32 s31, s30, 31
	s_lshl_b32 s26, s15, 7
	v_mov_b32_e32 v79, 0
	s_movk_i32 s20, 0x100
	v_lshlrev_b32_e32 v78, 4, v45
	s_mul_i32 s57, s48, s12
	v_lshl_or_b32 v31, v26, 3, v6
	s_mov_b32 s58, 0
	v_or_b32_e32 v99, 0x4000, v31
	s_movk_i32 s22, 0x4000
	v_or_b32_e32 v102, 0x6000, v31
	v_add_u32_e32 v134, v1, v2
	s_mov_b32 s35, 0x7060302
	s_movk_i32 s62, 0x2000
	s_movk_i32 s63, 0x3000
	s_mov_b32 s65, 0
	v_mov_b32_e32 v70, v79
	v_mov_b32_e32 v71, v79
	;; [unrolled: 1-line block ×9, first 2 shown]
	s_waitcnt vmcnt(1)
	v_perm_b32 v35, v8, v16, s59
	s_waitcnt vmcnt(0)
	v_perm_b32 v36, v12, v20, s59
	v_perm_b32 v8, v8, v16, s60
	;; [unrolled: 1-line block ×15, first 2 shown]
	ds_write2st64_b32 v5, v35, v36 offset0:128 offset1:160
	ds_write2st64_b32 v7, v8, v12 offset0:128 offset1:160
	;; [unrolled: 1-line block ×8, first 2 shown]
	v_lshlrev_b32_e32 v5, 8, v26
	v_or_b32_e32 v103, v5, v28
	v_or_b32_e32 v104, v5, v29
	;; [unrolled: 1-line block ×3, first 2 shown]
	v_lshl_or_b32 v7, v5, 3, v6
	v_lshlrev_b32_e32 v5, 8, v5
	v_or_b32_e32 v107, v5, v28
	v_or_b32_e32 v108, v5, v29
	;; [unrolled: 1-line block ×5, first 2 shown]
	v_lshl_or_b32 v7, v5, 3, v6
	v_lshlrev_b32_e32 v5, 8, v5
	v_or_b32_e32 v111, v5, v28
	v_or_b32_e32 v112, v5, v29
	;; [unrolled: 1-line block ×3, first 2 shown]
	v_lshlrev_b32_e32 v5, 3, v5
	v_lshrrev_b32_e32 v9, 5, v84
	v_and_or_b32 v9, v5, s0, v9
	v_lshlrev_b32_e32 v9, 4, v9
	v_lshlrev_b32_e32 v11, 11, v85
	v_and_b32_e32 v5, 0x78, v5
	v_or_b32_e32 v14, 32, v9
	v_and_b32_e32 v8, 0x1000, v11
	v_xor_b32_e32 v10, v9, v5
	v_lshrrev_b32_e32 v12, 1, v84
	v_xor_b32_e32 v14, v14, v5
	v_or_b32_e32 v10, v10, v8
	v_and_b32_e32 v12, 8, v12
	v_or_b32_e32 v14, v14, v8
	v_xor_b32_e32 v113, v10, v12
	v_lshlrev_b32_e32 v10, 8, v86
	v_xor_b32_e32 v115, v14, v12
	v_or_b32_e32 v14, 64, v9
	v_or_b32_e32 v9, 0x60, v9
	;; [unrolled: 1-line block ×3, first 2 shown]
	v_xor_b32_e32 v14, v14, v5
	v_xor_b32_e32 v5, v9, v5
	v_lshlrev_b32_e32 v13, 1, v13
	v_or_b32_e32 v14, v14, v8
	v_or_b32_e32 v5, v5, v8
	s_lshl_b64 s[0:1], s[30:31], 8
	v_or_b32_e32 v114, 0x4000, v13
	v_or_b32_e32 v116, 0x4080, v13
	;; [unrolled: 1-line block ×4, first 2 shown]
	v_xor_b32_e32 v119, v14, v12
	v_xor_b32_e32 v120, v5, v12
	v_or_b32_e32 v121, 0x6000, v13
	v_or_b32_e32 v122, 0x6080, v13
	;; [unrolled: 1-line block ×4, first 2 shown]
	v_lshlrev_b32_e32 v12, 1, v4
	v_add_lshl_u32 v13, v4, s15, 1
	s_add_u32 s0, s36, s0
	v_lshlrev_b32_e32 v4, 1, v45
	v_lshrrev_b32_e32 v15, 4, v0
	s_addc_u32 s1, s37, s1
	v_or_b32_e32 v5, 1, v4
	v_lshlrev_b32_e32 v18, 2, v0
	v_or_b32_e32 v14, 0x100, v3
	v_xor_b32_e32 v16, v15, v4
	v_xor_b32_e32 v17, v5, v15
	v_lshl_add_u64 v[4:5], s[0:1], 0, v[78:79]
	v_lshlrev_b32_e32 v78, 8, v15
	v_lshrrev_b32_e32 v19, 1, v0
	v_and_or_b32 v10, v18, 60, v10
	v_cndmask_b32_e64 v131, v12, v3, s[2:3]
	v_mov_b32_e32 v3, 0xa000
	v_mov_b32_e32 v12, 0x8000
	v_cmp_gt_u32_e64 s[0:1], s20, v0
	v_lshl_or_b32 v125, v16, 3, v78
	v_and_b32_e32 v16, 8, v0
	v_and_b32_e32 v19, 24, v19
	v_lshlrev_b32_e32 v10, 1, v10
	v_cndmask_b32_e64 v3, v3, v12, s[0:1]
	v_lshlrev_b32_e32 v12, 3, v85
	v_or_b32_e32 v127, 0x6000, v10
	v_or_b32_e32 v128, 0x6080, v10
	;; [unrolled: 1-line block ×4, first 2 shown]
	v_mov_b32_e32 v10, 0x400
	v_cmp_eq_u32_e32 vcc, 0, v16
	v_cndmask_b32_e64 v132, v13, v14, s[2:3]
	v_xor_b32_e32 v13, v12, v19
	v_and_b32_e32 v15, 7, v0
	v_cndmask_b32_e64 v16, v10, 64, vcc
	v_or_b32_e32 v14, 0x440, v13
	v_lshl_or_b32 v126, v17, 3, v78
	v_lshlrev_b32_e32 v17, 3, v15
	v_or_b32_e32 v18, 32, v19
	v_or_b32_e32 v20, 0x60, v19
	v_cndmask_b32_e32 v14, v14, v13, vcc
	v_or3_b32 v13, v11, v16, v13
	v_lshlrev_b32_e32 v15, 7, v15
	v_xor_b32_e32 v18, v12, v18
	v_xor_b32_e32 v13, v13, v17
	v_xor_b32_e32 v12, v12, v20
	v_or_b32_e32 v21, 0x440, v18
	v_or_b32_e32 v133, v13, v15
	v_xor_b32_e32 v13, 0x440, v12
	v_cndmask_b32_e32 v18, v21, v18, vcc
	v_cndmask_b32_e32 v12, v13, v12, vcc
	v_or_b32_e32 v109, 0x4000, v7
	v_or_b32_e32 v110, 0x6000, v7
	v_lshrrev_b32_e32 v7, 2, v84
	v_or_b32_e32 v14, v14, v11
	v_or_b32_e32 v18, v18, v11
	;; [unrolled: 1-line block ×3, first 2 shown]
	v_and_b32_e32 v7, 12, v7
	v_or_b32_e32 v8, s30, v45
	v_xor_b32_e32 v14, v14, v17
	v_xor_b32_e32 v18, v18, v17
	;; [unrolled: 1-line block ×3, first 2 shown]
	v_ashrrev_i32_e32 v9, 31, v8
	v_or_b32_e32 v10, v1, v7
	v_add_u32_e32 v19, v3, v14
	v_add_u32_e32 v21, v3, v18
	;; [unrolled: 1-line block ×3, first 2 shown]
	v_or3_b32 v12, v1, v7, 64
	v_add_u32_e32 v7, 0xa000, v14
	v_add_u32_e32 v14, 0xa000, v18
	;; [unrolled: 1-line block ×3, first 2 shown]
	v_lshl_add_u64 v[80:81], v[8:9], 1, s[8:9]
	v_lshl_add_u64 v[82:83], v[4:5], 0, v[78:79]
	s_add_i32 s31, s57, 63
	v_lshlrev_b32_e32 v78, 1, v6
	v_lshlrev_b32_e32 v135, 2, v10
	v_add_u32_e32 v136, v19, v15
	v_add_u32_e32 v137, v21, v15
	v_add_u32_e32 v138, v3, v133
	v_add_u32_e32 v139, v13, v15
	v_lshlrev_b32_e32 v140, 2, v12
	v_add_u32_e32 v141, v7, v15
	v_add_u32_e32 v142, v14, v15
	v_add_u32_e32 v143, v11, v15
	v_mov_b32_e32 v63, v79
	v_mov_b32_e32 v64, v79
	;; [unrolled: 1-line block ×23, first 2 shown]
	s_waitcnt lgkmcnt(0)
	s_barrier
.LBB32_6:                               ; =>This Inner Loop Header: Depth=1
	s_add_i32 s64, s65, 1
	s_cmp_lt_i32 s64, s47
	s_mov_b64 s[24:25], 0
	s_cselect_b64 s[2:3], -1, 0
	s_cmp_ge_i32 s64, s47
	s_mov_b64 s[20:21], 0
	s_cbranch_scc1 .LBB32_8
; %bb.7:                                ;   in Loop: Header=BB32_6 Depth=1
	s_add_i32 s0, s58, 64
	s_add_u32 s0, s38, s0
	s_addc_u32 s1, s39, 0
	s_lshl_b64 s[0:1], s[0:1], 8
	s_add_u32 s20, s6, s0
	s_addc_u32 s21, s7, s1
.LBB32_8:                               ;   in Loop: Header=BB32_6 Depth=1
	v_cndmask_b32_e64 v2, 0, 1, s[2:3]
	v_cmp_ne_u32_e64 s[0:1], 1, v2
	s_andn2_b64 vcc, exec, s[2:3]
	s_cbranch_vccnz .LBB32_10
; %bb.9:                                ;   in Loop: Header=BB32_6 Depth=1
	s_add_i32 s2, s58, 64
	s_add_u32 s2, s57, s2
	s_addc_u32 s3, s61, 0
	s_mul_i32 s24, s2, s49
	s_mul_hi_u32 s25, s2, s53
	s_add_i32 s24, s25, s24
	s_mul_i32 s3, s3, s53
	s_add_i32 s24, s24, s3
	s_mul_i32 s2, s2, s53
	s_add_u32 s2, s2, s52
	s_addc_u32 s3, s24, s55
	s_lshl_b64 s[2:3], s[2:3], 8
	s_add_u32 s24, s4, s2
	s_addc_u32 s25, s5, s3
.LBB32_10:                              ;   in Loop: Header=BB32_6 Depth=1
	v_perm_b32 v3, v77, v76, s35
	v_perm_b32 v2, v75, v74, s35
	v_perm_b32 v5, v73, v72, s35
	v_perm_b32 v4, v71, v70, s35
	ds_write_b64 v97, v[2:3]
	ds_write_b64 v98, v[4:5]
	ds_write_b64 v100, v[2:3]
	ds_write_b64 v101, v[4:5]
	v_perm_b32 v3, v69, v68, s35
	v_perm_b32 v2, v67, v66, s35
	v_perm_b32 v5, v65, v64, s35
	v_perm_b32 v4, v63, v62, s35
	ds_write_b64 v99, v[2:3]
	ds_write_b64 v102, v[4:5]
	ds_write_b64 v103, v[2:3]
	ds_write_b64 v104, v[4:5]
	;; [unrolled: 8-line block ×4, first 2 shown]
	s_waitcnt lgkmcnt(0)
	s_barrier
	ds_read_b64 v[6:7], v113 offset:49152
	ds_read2_b64 v[2:5], v114 offset1:16
	ds_read_b64 v[18:19], v116 offset:6144
	ds_read_b64 v[20:21], v114 offset:6144
	s_waitcnt lgkmcnt(2)
	v_mfma_f32_16x16x16_bf16 a[0:3], v[6:7], v[2:3], 0
	ds_read_b64 v[22:23], v115 offset:49152
	ds_read2st64_b64 v[10:13], v117 offset0:4 offset1:8
	ds_read2st64_b64 v[14:17], v118 offset0:4 offset1:8
	v_mfma_f32_16x16x16_bf16 a[4:7], v[6:7], v[4:5], 0
	ds_read2_b64 v[2:5], v114 offset0:32 offset1:48
	s_add_i32 s2, s58, 63
	s_mul_i32 s3, s2, s29
	s_waitcnt lgkmcnt(0)
	v_mfma_f32_16x16x16_bf16 a[8:11], v[6:7], v[2:3], 0
	s_mul_hi_u32 s27, s2, s28
	s_add_i32 s3, s27, s3
	s_mul_i32 s2, s2, s28
	v_mfma_f32_16x16x16_bf16 a[12:15], v[6:7], v[4:5], 0
	ds_read2st64_b64 v[2:5], v114 offset0:4 offset1:8
	ds_read2st64_b64 v[6:9], v116 offset0:4 offset1:8
	s_lshl_b64 s[2:3], s[2:3], 2
	s_waitcnt lgkmcnt(1)
	v_mfma_f32_16x16x16_bf16 a[0:3], v[22:23], v[2:3], a[0:3]
	s_add_u32 s2, s42, s2
	s_addc_u32 s3, s43, s3
	s_and_b64 vcc, exec, s[0:1]
	s_waitcnt lgkmcnt(0)
	v_mfma_f32_16x16x16_bf16 a[4:7], v[22:23], v[6:7], a[4:7]
	v_mov_b32_e32 v146, 0
	v_mov_b32_e32 v145, 0
	;; [unrolled: 1-line block ×3, first 2 shown]
	v_mfma_f32_16x16x16_bf16 a[8:11], v[22:23], v[10:11], a[8:11]
	ds_read_b64 v[2:3], v119 offset:49152
	ds_read_b64 v[6:7], v120 offset:49152
	;; [unrolled: 1-line block ×3, first 2 shown]
	v_mfma_f32_16x16x16_bf16 a[12:15], v[22:23], v[14:15], a[12:15]
	v_mov_b32_e32 v14, 0
	v_mov_b32_e32 v15, 0
	s_waitcnt lgkmcnt(2)
	v_mfma_f32_16x16x16_bf16 a[0:3], v[2:3], v[4:5], a[0:3]
	v_mov_b32_e32 v4, 0
	v_mov_b32_e32 v5, 0
	v_mfma_f32_16x16x16_bf16 a[16:19], v[2:3], v[8:9], a[4:7]
	v_mov_b32_e32 v8, 0
	v_mov_b32_e32 v9, 0
	;; [unrolled: 3-line block ×3, first 2 shown]
	v_mfma_f32_16x16x16_bf16 a[24:27], v[2:3], v[16:17], a[12:15]
	ds_read_b64 v[2:3], v117 offset:6144
	v_mov_b32_e32 v16, 0
	v_mov_b32_e32 v17, 0
	s_waitcnt lgkmcnt(2)
	v_mfma_f32_16x16x16_bf16 a[4:7], v[6:7], v[20:21], a[0:3]
	v_mfma_f32_16x16x16_bf16 a[8:11], v[6:7], v[18:19], a[16:19]
	s_waitcnt lgkmcnt(0)
	v_mfma_f32_16x16x16_bf16 a[12:15], v[6:7], v[2:3], a[20:23]
	v_mov_b32_e32 v2, 0
	v_mov_b32_e32 v3, 0
	v_mfma_f32_16x16x16_bf16 a[0:3], v[6:7], v[10:11], a[24:27]
	v_mov_b32_e32 v6, 0
	v_mov_b32_e32 v7, 0
	;; [unrolled: 1-line block ×4, first 2 shown]
	s_cbranch_vccnz .LBB32_12
; %bb.11:                               ;   in Loop: Header=BB32_6 Depth=1
	s_and_b32 s21, s21, 0xffff
	buffer_load_dwordx4 v[14:17], v93, s[20:23], 0 offen
	buffer_load_dwordx4 v[10:13], v93, s[20:23], s56 offen
	;; [unrolled: 1-line block ×4, first 2 shown]
	v_mov_b32_e32 v145, v95
	v_mov_b32_e32 v144, v96
.LBB32_12:                              ;   in Loop: Header=BB32_6 Depth=1
	ds_read_b64 v[34:35], v113 offset:57344
	ds_read2_b64 v[18:21], v121 offset1:16
	ds_read_b64 v[36:37], v115 offset:57344
	ds_read_b64 v[38:39], v119 offset:57344
	;; [unrolled: 1-line block ×3, first 2 shown]
	v_add_u32_e32 v42, s58, v134
	s_waitcnt lgkmcnt(3)
	v_mfma_f32_16x16x16_bf16 a[4:7], v[34:35], v[18:19], a[4:7]
	v_mfma_f32_16x16x16_bf16 a[8:11], v[34:35], v[20:21], a[8:11]
	ds_read2_b64 v[18:21], v121 offset0:32 offset1:48
	ds_read2st64_b64 v[22:25], v121 offset0:4 offset1:8
	ds_read2st64_b64 v[26:29], v122 offset0:4 offset1:8
	ds_read2st64_b64 v[30:33], v123 offset0:4 offset1:8
	s_waitcnt lgkmcnt(3)
	v_mfma_f32_16x16x16_bf16 a[12:15], v[34:35], v[18:19], a[12:15]
	v_ashrrev_i32_e32 v18, 31, v42
	v_mfma_f32_16x16x16_bf16 a[0:3], v[34:35], v[20:21], a[0:3]
	v_mul_lo_u32 v20, v18, s28
	v_mul_lo_u32 v21, v42, s29
	v_mad_u64_u32 v[18:19], s[20:21], v42, s28, 0
	v_add3_u32 v19, v19, v21, v20
	v_add_u32_e32 v20, 1, v42
	v_ashrrev_i32_e32 v21, 31, v20
	s_waitcnt lgkmcnt(2)
	v_mfma_f32_16x16x16_bf16 a[4:7], v[36:37], v[22:23], a[4:7]
	v_mul_lo_u32 v22, v21, s28
	v_mul_lo_u32 v23, v20, s29
	v_mad_u64_u32 v[20:21], s[20:21], v20, s28, 0
	v_add3_u32 v21, v21, v23, v22
	v_add_u32_e32 v22, 2, v42
	v_ashrrev_i32_e32 v23, 31, v22
	s_waitcnt lgkmcnt(1)
	v_mfma_f32_16x16x16_bf16 a[8:11], v[36:37], v[26:27], a[8:11]
	v_mul_lo_u32 v26, v23, s28
	v_mul_lo_u32 v27, v22, s29
	v_mad_u64_u32 v[22:23], s[20:21], v22, s28, 0
	v_add3_u32 v23, v23, v27, v26
	v_add_u32_e32 v26, 3, v42
	v_ashrrev_i32_e32 v27, 31, v26
	v_mul_lo_u32 v34, v27, s28
	v_mul_lo_u32 v35, v26, s29
	v_mad_u64_u32 v[26:27], s[20:21], v26, s28, 0
	s_add_u32 s20, s38, s58
	s_addc_u32 s21, s39, 0
	v_lshl_add_u64 v[18:19], v[18:19], 2, s[42:43]
	v_add3_u32 v27, v27, v35, v34
	s_lshl_b64 s[20:21], s[20:21], 8
	v_lshl_add_u64 v[20:21], v[20:21], 2, s[42:43]
	v_lshl_add_u64 v[22:23], v[22:23], 2, s[42:43]
	;; [unrolled: 1-line block ×3, first 2 shown]
	global_load_dword v34, v[18:19], off
	global_load_dword v35, v[20:21], off
	;; [unrolled: 1-line block ×4, first 2 shown]
	v_lshl_add_u64 v[18:19], v[80:81], 0, s[20:21]
	v_lshl_add_u64 v[22:23], v[18:19], 0, v[78:79]
	global_load_ushort v44, v[22:23], off offset:256
	global_load_ushort v147, v[22:23], off
	ds_read2st64_b64 v[18:21], v124 offset0:4 offset1:8
	global_load_ushort v148, v[22:23], off offset:768
	global_load_ushort v149, v[22:23], off offset:512
	s_waitcnt lgkmcnt(1)
	v_mfma_f32_16x16x16_bf16 a[12:15], v[36:37], v[30:31], a[12:15]
	s_and_b64 vcc, exec, s[0:1]
	s_waitcnt vmcnt(3)
	v_lshlrev_b32_e32 v31, 16, v44
	s_waitcnt lgkmcnt(0)
	v_mfma_f32_16x16x16_bf16 a[0:3], v[36:37], v[18:19], a[0:3]
	global_load_ushort v36, v[22:23], off offset:288
	global_load_ushort v37, v[22:23], off offset:32
	;; [unrolled: 1-line block ×8, first 2 shown]
	v_mfma_f32_16x16x16_bf16 a[4:7], v[38:39], v[24:25], a[4:7]
	ds_read_b64 v[18:19], v121 offset:6144
	s_waitcnt vmcnt(10)
	v_lshlrev_b32_e32 v30, 16, v147
	v_mov_b32_e32 v147, 0
	v_mfma_f32_16x16x16_bf16 a[8:11], v[38:39], v[28:29], a[8:11]
	v_mfma_f32_16x16x16_bf16 a[12:15], v[38:39], v[32:33], a[12:15]
	;; [unrolled: 1-line block ×3, first 2 shown]
	global_load_ushort v38, v[22:23], off offset:352
	global_load_ushort v39, v[22:23], off offset:96
	ds_read_b64 v[20:21], v122 offset:6144
	ds_read_b64 v[24:25], v123 offset:6144
	;; [unrolled: 1-line block ×3, first 2 shown]
	global_load_ushort v156, v[22:23], off offset:864
	global_load_ushort v157, v[22:23], off offset:608
	s_load_dword s2, s[2:3], 0x0
	s_waitcnt lgkmcnt(0)
	v_mfma_f32_16x16x16_bf16 a[4:7], v[40:41], v[18:19], a[4:7]
	v_sub_f32_e32 v28, s2, v42
	v_mfma_f32_16x16x16_bf16 a[0:3], v[40:41], v[26:27], a[0:3]
	v_sub_f32_e32 v26, s2, v34
	v_sub_f32_e32 v27, s2, v35
	;; [unrolled: 1-line block ×3, first 2 shown]
	v_mfma_f32_16x16x16_bf16 a[8:11], v[40:41], v[20:21], a[8:11]
	v_exp_f32_e32 v26, v26
	v_exp_f32_e32 v27, v27
	;; [unrolled: 1-line block ×4, first 2 shown]
	v_accvgpr_read_b32 v33, a5
	v_accvgpr_read_b32 v32, a4
	;; [unrolled: 1-line block ×4, first 2 shown]
	v_pk_add_f32 v[30:31], v[30:31], v[32:33] neg_lo:[0,1] neg_hi:[0,1]
	s_waitcnt vmcnt(13)
	v_lshlrev_b32_e32 v33, 16, v148
	s_waitcnt vmcnt(12)
	v_lshlrev_b32_e32 v32, 16, v149
	v_pk_add_f32 v[18:19], v[32:33], v[18:19] neg_lo:[0,1] neg_hi:[0,1]
	v_pk_mul_f32 v[30:31], v[26:27], v[30:31]
	v_pk_mul_f32 v[18:19], v[28:29], v[18:19]
	v_accvgpr_read_b32 v33, a9
	v_perm_b32 v19, v19, v18, s35
	v_perm_b32 v18, v31, v30, s35
	v_accvgpr_read_b32 v32, a8
	v_accvgpr_read_b32 v21, a11
	v_mfma_f32_16x16x16_bf16 a[12:15], v[40:41], v[24:25], a[12:15]
	v_accvgpr_read_b32 v20, a10
	v_accvgpr_read_b32 v25, a3
	;; [unrolled: 1-line block ×3, first 2 shown]
	s_waitcnt vmcnt(11)
	v_lshlrev_b32_e32 v31, 16, v36
	s_waitcnt vmcnt(10)
	v_lshlrev_b32_e32 v30, 16, v37
	v_pk_add_f32 v[30:31], v[30:31], v[32:33] neg_lo:[0,1] neg_hi:[0,1]
	s_waitcnt vmcnt(9)
	v_lshlrev_b32_e32 v33, 16, v150
	s_waitcnt vmcnt(8)
	v_lshlrev_b32_e32 v32, 16, v151
	v_pk_add_f32 v[20:21], v[32:33], v[20:21] neg_lo:[0,1] neg_hi:[0,1]
	v_pk_mul_f32 v[30:31], v[26:27], v[30:31]
	v_pk_mul_f32 v[20:21], v[28:29], v[20:21]
	v_accvgpr_read_b32 v23, a15
	v_perm_b32 v21, v21, v20, s35
	v_perm_b32 v20, v31, v30, s35
	ds_write2_b64 v98, v[18:19], v[20:21] offset1:16
	v_accvgpr_read_b32 v21, a13
	s_waitcnt vmcnt(7)
	v_lshlrev_b32_e32 v19, 16, v152
	s_waitcnt vmcnt(6)
	v_lshlrev_b32_e32 v18, 16, v153
	v_accvgpr_read_b32 v20, a12
	v_accvgpr_read_b32 v22, a14
	v_pk_add_f32 v[18:19], v[18:19], v[20:21] neg_lo:[0,1] neg_hi:[0,1]
	s_waitcnt vmcnt(5)
	v_lshlrev_b32_e32 v21, 16, v154
	s_waitcnt vmcnt(4)
	v_lshlrev_b32_e32 v20, 16, v155
	v_pk_add_f32 v[20:21], v[20:21], v[22:23] neg_lo:[0,1] neg_hi:[0,1]
	v_pk_mul_f32 v[18:19], v[26:27], v[18:19]
	v_pk_mul_f32 v[20:21], v[28:29], v[20:21]
	v_accvgpr_read_b32 v23, a1
	v_perm_b32 v21, v21, v20, s35
	v_perm_b32 v20, v19, v18, s35
	s_waitcnt vmcnt(3)
	v_lshlrev_b32_e32 v19, 16, v38
	s_waitcnt vmcnt(2)
	v_lshlrev_b32_e32 v18, 16, v39
	v_accvgpr_read_b32 v22, a0
	v_pk_add_f32 v[18:19], v[18:19], v[22:23] neg_lo:[0,1] neg_hi:[0,1]
	s_waitcnt vmcnt(1)
	v_lshlrev_b32_e32 v23, 16, v156
	s_waitcnt vmcnt(0)
	v_lshlrev_b32_e32 v22, 16, v157
	v_pk_add_f32 v[22:23], v[22:23], v[24:25] neg_lo:[0,1] neg_hi:[0,1]
	v_pk_mul_f32 v[18:19], v[26:27], v[18:19]
	v_pk_mul_f32 v[22:23], v[28:29], v[22:23]
	v_mov_b32_e32 v24, 0
	v_perm_b32 v23, v23, v22, s35
	v_perm_b32 v22, v19, v18, s35
	ds_write2_b64 v98, v[20:21], v[22:23] offset0:32 offset1:48
	v_mov_b32_e32 v18, 0
	v_mov_b32_e32 v19, 0
	;; [unrolled: 1-line block ×15, first 2 shown]
	s_cbranch_vccnz .LBB32_14
; %bb.13:                               ;   in Loop: Header=BB32_6 Depth=1
	s_and_b32 s25, s25, 0xffff
	s_mov_b32 s27, s23
	buffer_load_dwordx4 v[30:33], v131, s[24:27], 0 offen
	buffer_load_dwordx4 v[22:25], v131, s[24:27], s56 offen
	;; [unrolled: 1-line block ×4, first 2 shown]
	v_mov_b32_e32 v146, v92
	v_mov_b32_e32 v147, v91
.LBB32_14:                              ;   in Loop: Header=BB32_6 Depth=1
	s_waitcnt lgkmcnt(0)
	s_barrier
	ds_read_b64 v[42:43], v136
	ds_read2_b64 v[34:37], v127 offset1:16
	ds_read_b64 v[164:165], v137
	ds_read_b64 v[166:167], v138
	;; [unrolled: 1-line block ×3, first 2 shown]
	ds_read2_b64 v[38:41], v127 offset0:32 offset1:48
	ds_read2st64_b64 v[148:151], v127 offset0:4 offset1:8
	ds_read2st64_b64 v[152:155], v128 offset0:4 offset1:8
	;; [unrolled: 1-line block ×4, first 2 shown]
	s_waitcnt lgkmcnt(8)
	v_mfma_f32_16x16x16_bf16 a[0:3], v[42:43], v[34:35], 0
	s_add_i32 s3, s50, s65
	s_mul_hi_i32 s21, s3, s13
	s_mul_i32 s3, s3, s13
	v_mfma_f32_16x16x16_bf16 a[4:7], v[42:43], v[36:37], 0
	s_add_u32 s20, s3, s33
	s_addc_u32 s21, s21, s54
	s_add_i32 s3, s31, s58
	s_waitcnt lgkmcnt(4)
	v_mfma_f32_16x16x16_bf16 a[8:11], v[42:43], v[38:39], 0
	s_lshl_b64 s[20:21], s[20:21], 15
	s_mul_hi_i32 s25, s3, s13
	s_mul_i32 s3, s3, s13
	v_mfma_f32_16x16x16_bf16 a[12:15], v[42:43], v[40:41], 0
	ds_read_b64 v[42:43], v127 offset:6144
	ds_read_b64 v[176:177], v128 offset:6144
	;; [unrolled: 1-line block ×4, first 2 shown]
	s_add_u32 s24, s3, s33
	s_waitcnt lgkmcnt(7)
	v_mfma_f32_16x16x16_bf16 a[0:3], v[164:165], v[148:149], a[0:3]
	s_addc_u32 s25, s25, s54
	s_lshl_b64 s[24:25], s[24:25], 9
	s_add_u32 s24, s40, s24
	s_waitcnt lgkmcnt(6)
	v_mfma_f32_16x16x16_bf16 a[4:7], v[164:165], v[152:153], a[4:7]
	s_addc_u32 s25, s41, s25
	v_lshl_add_u64 v[186:187], v[82:83], 0, s[20:21]
	s_waitcnt lgkmcnt(5)
	v_mfma_f32_16x16x16_bf16 a[8:11], v[164:165], v[156:157], a[8:11]
	s_waitcnt lgkmcnt(4)
	v_mfma_f32_16x16x16_bf16 a[12:15], v[164:165], v[160:161], a[12:15]
	ds_read_b64 v[164:165], v141
	ds_read_b64 v[174:175], v142
	;; [unrolled: 1-line block ×3, first 2 shown]
	s_waitcnt lgkmcnt(2)
	v_mfma_f32_16x16x16_bf16 a[16:19], v[164:165], v[34:35], 0
	v_mfma_f32_16x16x16_bf16 a[20:23], v[164:165], v[36:37], 0
	global_load_dwordx4 v[34:37], v140, s[24:25]
	v_mfma_f32_16x16x16_bf16 a[24:27], v[164:165], v[38:39], 0
	v_mfma_f32_16x16x16_bf16 a[28:31], v[164:165], v[40:41], 0
	global_load_dwordx4 v[38:41], v135, s[24:25]
	v_mfma_f32_16x16x16_bf16 a[0:3], v[166:167], v[150:151], a[0:3]
	v_mfma_f32_16x16x16_bf16 a[4:7], v[166:167], v[154:155], a[4:7]
	v_mfma_f32_16x16x16_bf16 a[8:11], v[166:167], v[158:159], a[8:11]
	v_mfma_f32_16x16x16_bf16 a[12:15], v[166:167], v[162:163], a[12:15]
	v_mfma_f32_16x16x16_bf16 a[0:3], v[168:169], v[42:43], a[0:3]
	v_mfma_f32_16x16x16_bf16 a[4:7], v[168:169], v[176:177], a[4:7]
	v_mfma_f32_16x16x16_bf16 a[8:11], v[168:169], v[178:179], a[8:11]
	v_mfma_f32_16x16x16_bf16 a[12:15], v[168:169], v[180:181], a[12:15]
	ds_read2st64_b64 v[164:167], v125 offset1:8
	ds_read2st64_b64 v[168:171], v126 offset1:8
	ds_read_b64 v[184:185], v133 offset:40960
	s_waitcnt lgkmcnt(2)
	v_mov_b32_e32 v172, v164
	v_mfma_f32_16x16x16_bf16 a[16:19], v[174:175], v[148:149], a[16:19]
	v_mov_b32_e32 v173, v165
	v_mfma_f32_16x16x16_bf16 a[20:23], v[174:175], v[152:153], a[20:23]
	v_mfma_f32_16x16x16_bf16 a[24:27], v[174:175], v[156:157], a[24:27]
	;; [unrolled: 1-line block ×3, first 2 shown]
	v_add_co_u32_e32 v160, vcc, s62, v186
	s_waitcnt lgkmcnt(1)
	v_mov_b32_e32 v174, v168
	s_waitcnt lgkmcnt(0)
	v_mfma_f32_16x16x16_bf16 a[16:19], v[184:185], v[150:151], a[16:19]
	ds_read2st64_b64 v[148:151], v125 offset0:16 offset1:24
	v_addc_co_u32_e32 v161, vcc, 0, v187, vcc
	v_mfma_f32_16x16x16_bf16 a[20:23], v[184:185], v[154:155], a[20:23]
	ds_read2st64_b64 v[152:155], v126 offset0:16 offset1:24
	v_mov_b32_e32 v175, v169
	v_mov_b32_e32 v168, v166
	v_mfma_f32_16x16x16_bf16 a[32:35], v[184:185], v[158:159], a[24:27]
	v_mov_b32_e32 v169, v167
	s_waitcnt lgkmcnt(0)
	v_mov_b32_e32 v158, v152
	v_mov_b32_e32 v159, v153
	v_mfma_f32_16x16x16_bf16 a[36:39], v[184:185], v[162:163], a[28:31]
	v_mov_b32_e32 v152, v150
	v_mov_b32_e32 v153, v151
	;; [unrolled: 1-line block ×3, first 2 shown]
	v_mfma_f32_16x16x16_bf16 a[24:27], v[182:183], v[42:43], a[16:19]
	v_add_co_u32_e32 v42, vcc, s63, v186
	v_mov_b32_e32 v157, v149
	v_mfma_f32_16x16x16_bf16 a[28:31], v[182:183], v[176:177], a[20:23]
	v_addc_co_u32_e32 v43, vcc, 0, v187, vcc
	global_store_dwordx4 v[42:43], v[152:155], off
	v_mfma_f32_16x16x16_bf16 a[16:19], v[182:183], v[178:179], a[32:35]
	s_waitcnt vmcnt(2)
	v_mov_b32_e32 v44, v37
	v_mov_b32_e32 v43, v36
	;; [unrolled: 1-line block ×3, first 2 shown]
	v_mfma_f32_16x16x16_bf16 a[20:23], v[182:183], v[180:181], a[36:39]
	s_and_b64 vcc, exec, s[0:1]
	global_store_dwordx4 v[186:187], v[172:175], off
	global_store_dwordx4 v[160:161], v[168:171], off offset:-4096
	global_store_dwordx4 v[160:161], v[156:159], off
	s_cbranch_vccnz .LBB32_16
; %bb.15:                               ;   in Loop: Header=BB32_6 Depth=1
	v_lshrrev_b32_e32 v35, 3, v146
	v_and_b32_e32 v35, 6, v35
	v_xor_b32_e32 v36, v35, v147
	v_lshlrev_b32_e32 v36, 2, v36
	v_and_b32_e32 v37, 8, v146
	v_xor_b32_e32 v146, 0x440, v36
	v_cmp_eq_u32_e32 vcc, 0, v37
	v_perm_b32 v37, v22, v18, s59
	s_nop 0
	v_cndmask_b32_e32 v36, v146, v36, vcc
	v_lshl_or_b32 v35, v35, 10, v36
	v_perm_b32 v36, v30, v26, s59
	s_barrier
	ds_write2st64_b32 v35, v36, v37 offset0:128 offset1:160
	v_xor_b32_e32 v36, 8, v35
	v_perm_b32 v26, v30, v26, s60
	v_perm_b32 v18, v22, v18, s60
	v_add_u32_e32 v22, 0x80, v36
	ds_write2st64_b32 v22, v26, v18 offset0:128 offset1:160
	v_xor_b32_e32 v18, 16, v35
	v_perm_b32 v22, v31, v27, s59
	v_perm_b32 v26, v23, v19, s59
	ds_write2st64_b32 v18, v22, v26 offset0:129 offset1:161
	v_xor_b32_e32 v18, 24, v35
	v_perm_b32 v22, v31, v27, s60
	v_perm_b32 v19, v23, v19, s60
	v_add_u32_e32 v18, 0x80, v18
	ds_write2st64_b32 v18, v22, v19 offset0:129 offset1:161
	v_xor_b32_e32 v18, 32, v35
	v_perm_b32 v19, v32, v28, s59
	v_perm_b32 v22, v24, v20, s59
	;; [unrolled: 9-line block ×3, first 2 shown]
	ds_write2st64_b32 v18, v19, v20 offset0:131 offset1:163
	v_xor_b32_e32 v18, 56, v35
	v_perm_b32 v19, v33, v29, s60
	v_perm_b32 v20, v25, v21, s60
	v_add_u32_e32 v18, 0x80, v18
	ds_write2st64_b32 v18, v19, v20 offset0:131 offset1:163
	ds_write_b64 v145, v[14:15] offset:49152
	v_xor_b32_e32 v14, 8, v145
	ds_write_b64 v14, v[16:17] offset:49152
	ds_write_b64 v145, v[10:11] offset:57344
	;; [unrolled: 1-line block ×4, first 2 shown]
	v_xor_b32_e32 v6, 8, v144
	ds_write_b64 v6, v[8:9] offset:49152
	ds_write_b64 v144, v[2:3] offset:57344
	;; [unrolled: 1-line block ×3, first 2 shown]
.LBB32_16:                              ;   in Loop: Header=BB32_6 Depth=1
	v_exp_f32_e32 v36, s2
	s_waitcnt vmcnt(4)
	v_exp_f32_e32 v38, v38
	v_exp_f32_e32 v39, v39
	;; [unrolled: 1-line block ×4, first 2 shown]
	v_accvgpr_read_b32 v5, a3
	v_accvgpr_read_b32 v4, a2
	;; [unrolled: 1-line block ×4, first 2 shown]
	v_pk_mul_f32 v[38:39], v[36:37], v[38:39] op_sel_hi:[0,1]
	v_pk_mul_f32 v[40:41], v[36:37], v[40:41] op_sel_hi:[0,1]
	v_pk_fma_f32 v[74:75], v[74:75], v[38:39], v[2:3]
	v_pk_fma_f32 v[76:77], v[76:77], v[40:41], v[4:5]
	v_exp_f32_e32 v2, v34
	v_exp_f32_e32 v3, v42
	;; [unrolled: 1-line block ×4, first 2 shown]
	v_accvgpr_read_b32 v9, a7
	v_accvgpr_read_b32 v13, a11
	;; [unrolled: 1-line block ×28, first 2 shown]
	v_pk_mul_f32 v[2:3], v[36:37], v[2:3] op_sel_hi:[0,1]
	v_pk_mul_f32 v[4:5], v[36:37], v[4:5] op_sel_hi:[0,1]
	s_add_i32 s58, s58, 64
	v_pk_fma_f32 v[66:67], v[38:39], v[66:67], v[6:7]
	v_pk_fma_f32 v[68:69], v[40:41], v[68:69], v[8:9]
	;; [unrolled: 1-line block ×13, first 2 shown]
	s_cmp_eq_u32 s47, s64
	v_pk_fma_f32 v[50:51], v[4:5], v[50:51], v[32:33]
	s_cbranch_scc1 .LBB32_18
; %bb.17:                               ;   in Loop: Header=BB32_6 Depth=1
	s_mov_b32 s65, s64
	s_branch .LBB32_6
.LBB32_18:
	s_lshl_b32 s40, s47, 6
	s_sub_i32 s41, s12, s40
	s_cmp_gt_i32 s41, 0
	s_cbranch_scc0 .LBB32_99
; %bb.19:
	s_ashr_i32 s35, s48, 31
	s_ashr_i32 s2, s40, 31
	s_cmpk_lg_i32 s15, 0x80
	s_cselect_b64 s[26:27], -1, 0
	s_and_b64 vcc, exec, s[26:27]
	s_cbranch_vccz .LBB32_21
; %bb.20:
	s_mul_i32 s1, s48, s12
	s_mul_hi_i32 s0, s48, s12
	s_add_u32 s1, s1, s40
	s_addc_u32 s0, s0, s2
	s_mul_i32 s3, s1, s49
	s_mul_hi_u32 s20, s1, s14
	s_add_i32 s3, s20, s3
	s_mul_i32 s0, s0, s14
	s_add_i32 s3, s3, s0
	s_mul_i32 s1, s1, s14
	s_ashr_i32 s0, s52, 31
	s_add_u32 s38, s1, s52
	s_addc_u32 s39, s3, s0
	s_cbranch_execz .LBB32_22
	s_branch .LBB32_23
.LBB32_21:
                                        ; implicit-def: $sgpr38_sgpr39
.LBB32_22:
	s_mul_hi_i32 s0, s48, s14
	s_mul_i32 s48, s48, s14
	s_ashr_i32 s1, s52, 31
	s_add_u32 s3, s48, s52
	s_addc_u32 s0, s0, s1
	s_mul_i32 s1, s3, s46
	s_mul_hi_u32 s14, s3, s12
	s_add_i32 s1, s14, s1
	s_mul_i32 s0, s0, s12
	s_add_i32 s1, s1, s0
	s_mul_i32 s3, s3, s12
	s_add_u32 s38, s3, s40
	s_addc_u32 s39, s1, s2
.LBB32_23:
	s_add_i32 s3, s50, s47
	s_ashr_i32 s14, s33, 31
	s_add_u32 s0, s45, s33
	s_addc_u32 s1, s51, s14
	s_mul_i32 s20, s0, s46
	s_mul_hi_u32 s21, s0, s12
	s_add_i32 s20, s21, s20
	s_mul_i32 s1, s1, s12
	s_add_i32 s20, s20, s1
	s_mul_i32 s0, s0, s12
	s_add_u32 s0, s0, s40
	v_lshlrev_b32_e32 v6, 6, v89
	v_lshlrev_b32_e32 v24, 2, v45
	s_addc_u32 s1, s20, s2
	s_mov_b32 s2, 0x7060302
	v_or_b32_e32 v9, v6, v24
	v_xor_b32_e32 v7, v89, v24
	v_perm_b32 v3, v77, v76, s2
	v_perm_b32 v2, v75, v74, s2
	;; [unrolled: 1-line block ×4, first 2 shown]
	v_lshlrev_b32_e32 v9, 1, v9
	v_xor_b32_e32 v8, v90, v24
	ds_write2st64_b64 v9, v[2:3], v[4:5] offset0:32 offset1:48
	v_lshlrev_b32_e32 v7, 1, v7
	v_lshlrev_b32_e32 v9, 8, v45
	v_or_b32_e32 v10, v7, v9
	v_lshlrev_b32_e32 v8, 1, v8
	ds_write_b64 v10, v[2:3]
	v_or_b32_e32 v2, v8, v9
	v_or_b32_e32 v9, 16, v45
	v_lshlrev_b32_e32 v23, 2, v9
	v_or_b32_e32 v10, v6, v23
	ds_write_b64 v2, v[4:5]
	v_perm_b32 v3, v69, v68, s2
	v_perm_b32 v2, v67, v66, s2
	v_perm_b32 v5, v65, v64, s2
	v_perm_b32 v4, v63, v62, s2
	v_lshlrev_b32_e32 v10, 1, v10
	v_lshlrev_b32_e32 v9, 8, v9
	ds_write2st64_b64 v10, v[2:3], v[4:5] offset0:32 offset1:48
	v_or_b32_e32 v10, v7, v9
	ds_write_b64 v10, v[2:3]
	v_or_b32_e32 v2, v8, v9
	v_or_b32_e32 v9, 32, v45
	v_lshlrev_b32_e32 v22, 2, v9
	v_or_b32_e32 v10, v6, v22
	s_lshl_b64 s[24:25], s[0:1], 8
	ds_write_b64 v2, v[4:5]
	v_perm_b32 v3, v61, v60, s2
	v_perm_b32 v2, v59, v58, s2
	;; [unrolled: 1-line block ×4, first 2 shown]
	v_lshlrev_b32_e32 v10, 1, v10
	v_lshlrev_b32_e32 v9, 8, v9
	s_add_u32 s0, s6, s24
	ds_write2st64_b64 v10, v[2:3], v[4:5] offset0:32 offset1:48
	v_or_b32_e32 v10, v7, v9
	s_addc_u32 s1, s7, s25
	ds_write_b64 v10, v[2:3]
	v_or_b32_e32 v2, v8, v9
	v_or_b32_e32 v9, 48, v45
	s_mul_hi_i32 s6, s3, s13
	s_mul_i32 s3, s3, s13
	ds_write_b64 v2, v[4:5]
	v_perm_b32 v3, v47, v46, s2
	v_perm_b32 v2, v53, v52, s2
	;; [unrolled: 1-line block ×4, first 2 shown]
	v_lshlrev_b32_e32 v19, 2, v9
	s_add_u32 s2, s3, s33
	v_or_b32_e32 v6, v6, v19
	s_addc_u32 s3, s6, s14
	v_lshlrev_b32_e32 v6, 1, v6
	s_ashr_i32 s31, s30, 31
	s_lshl_b64 s[2:3], s[2:3], 15
	ds_write2st64_b64 v6, v[2:3], v[4:5] offset0:32 offset1:48
	v_lshlrev_b32_e32 v6, 8, v9
	s_add_u32 s6, s36, s2
	v_or_b32_e32 v7, v7, v6
	s_addc_u32 s7, s37, s3
	s_lshl_b64 s[2:3], s[30:31], 8
	ds_write_b64 v7, v[2:3]
	v_or_b32_e32 v2, v8, v6
	s_add_u32 s2, s6, s2
	v_lshlrev_b32_e32 v3, 1, v45
	ds_write_b64 v2, v[4:5]
	v_lshrrev_b32_e32 v2, 4, v0
	s_addc_u32 s3, s7, s3
	v_or_b32_e32 v4, 1, v3
	v_lshlrev_b32_e32 v10, 4, v45
	v_mov_b32_e32 v11, 0
	v_xor_b32_e32 v3, v2, v3
	v_xor_b32_e32 v6, v4, v2
	v_lshl_add_u64 v[12:13], s[2:3], 0, v[10:11]
	v_lshlrev_b32_e32 v10, 8, v2
	v_lshl_or_b32 v16, v3, 3, v10
	v_lshl_or_b32 v17, v6, 3, v10
	s_waitcnt lgkmcnt(0)
	s_barrier
	ds_read2st64_b64 v[2:5], v16 offset1:8
	ds_read2st64_b64 v[6:9], v17 offset1:8
	v_lshl_add_u64 v[14:15], v[12:13], 0, v[10:11]
	s_movk_i32 s2, 0x2000
	s_cmp_lg_u32 s41, 64
	s_waitcnt lgkmcnt(1)
	v_mov_b32_e32 v10, v2
	v_mov_b32_e32 v11, v3
	s_waitcnt lgkmcnt(0)
	v_mov_b32_e32 v12, v6
	v_mov_b32_e32 v13, v7
	global_store_dwordx4 v[14:15], v[10:13], off
	v_mov_b32_e32 v6, v4
	v_mov_b32_e32 v7, v5
	ds_read2st64_b64 v[2:5], v16 offset0:16 offset1:24
	ds_read2st64_b64 v[10:13], v17 offset0:16 offset1:24
	v_add_co_u32_e32 v16, vcc, s2, v14
	s_cselect_b64 s[6:7], -1, 0
	s_nop 0
	v_addc_co_u32_e32 v17, vcc, 0, v15, vcc
	global_store_dwordx4 v[16:17], v[6:9], off offset:-4096
	v_lshl_or_b32 v25, v85, 3, v88
	s_mov_b32 s20, 0
	s_waitcnt lgkmcnt(1)
	v_mov_b32_e32 v6, v2
	v_add_co_u32_e32 v2, vcc, 0x3000, v14
	v_mov_b32_e32 v7, v3
	s_nop 0
	v_addc_co_u32_e32 v3, vcc, 0, v15, vcc
	s_waitcnt lgkmcnt(0)
	v_mov_b32_e32 v8, v10
	v_mov_b32_e32 v9, v11
	;; [unrolled: 1-line block ×4, first 2 shown]
	v_or_b32_e32 v20, 32, v25
	v_and_b32_e32 v18, 56, v87
	s_and_b64 vcc, exec, s[6:7]
	global_store_dwordx4 v[16:17], v[6:9], off
	global_store_dwordx4 v[2:3], v[10:13], off
	s_cbranch_vccz .LBB32_29
; %bb.24:
	s_mov_b32 s21, s20
	s_mov_b32 s22, s20
	;; [unrolled: 1-line block ×3, first 2 shown]
	v_mov_b64_e32 v[6:7], s[20:21]
	v_mov_b64_e32 v[8:9], s[22:23]
	;; [unrolled: 1-line block ×3, first 2 shown]
	v_cmp_gt_i32_e32 vcc, s41, v25
	v_mov_b64_e32 v[4:5], v[8:9]
	s_and_saveexec_b64 s[2:3], vcc
	s_cbranch_execz .LBB32_26
; %bb.25:
	v_lshlrev_b32_e32 v2, 8, v25
	v_mov_b32_e32 v3, 0
	v_lshl_add_u64 v[4:5], s[0:1], 0, v[2:3]
	v_lshlrev_b32_e32 v2, 1, v18
	v_lshl_add_u64 v[10:11], v[4:5], 0, v[2:3]
	global_load_dwordx4 v[6:9], v[10:11], off
	global_load_dwordx4 v[2:5], v[10:11], off offset:128
.LBB32_26:
	s_or_b64 exec, exec, s[2:3]
	s_mov_b32 s21, s20
	s_mov_b32 s22, s20
	;; [unrolled: 1-line block ×3, first 2 shown]
	v_mov_b64_e32 v[14:15], s[20:21]
	v_mov_b64_e32 v[16:17], s[22:23]
	;; [unrolled: 1-line block ×3, first 2 shown]
	v_cmp_gt_i32_e32 vcc, s41, v20
	v_lshlrev_b32_e32 v21, 7, v20
	v_mov_b64_e32 v[12:13], v[16:17]
	s_and_saveexec_b64 s[2:3], vcc
	s_cbranch_execz .LBB32_28
; %bb.27:
	v_lshlrev_b32_e32 v10, 1, v21
	v_mov_b32_e32 v11, 0
	v_lshl_add_u64 v[12:13], s[0:1], 0, v[10:11]
	v_lshlrev_b32_e32 v10, 1, v18
	v_lshl_add_u64 v[26:27], v[12:13], 0, v[10:11]
	global_load_dwordx4 v[14:17], v[26:27], off
	global_load_dwordx4 v[10:13], v[26:27], off offset:128
.LBB32_28:
	s_or_b64 exec, exec, s[2:3]
	v_lshrrev_b32_e32 v26, 3, v18
	v_lshlrev_b32_e32 v27, 3, v25
	v_or_b32_e32 v26, v27, v26
	v_lshlrev_b32_e32 v26, 4, v26
	v_and_b32_e32 v27, 0x78, v27
	v_xor_b32_e32 v26, v26, v27
	s_branch .LBB32_31
.LBB32_29:
                                        ; implicit-def: $vgpr26
                                        ; implicit-def: $vgpr21
                                        ; implicit-def: $vgpr6_vgpr7_vgpr8_vgpr9
                                        ; implicit-def: $vgpr2_vgpr3_vgpr4_vgpr5
                                        ; implicit-def: $vgpr14_vgpr15_vgpr16_vgpr17
                                        ; implicit-def: $vgpr10_vgpr11_vgpr12_vgpr13
	s_cbranch_execz .LBB32_31
; %bb.30:
	s_waitcnt vmcnt(0)
	v_lshlrev_b32_e32 v2, 1, v18
	v_lshl_or_b32 v21, v25, 8, v2
	s_and_b32 s1, s1, 0xffff
	s_mov_b32 s3, 0x20000
	s_movk_i32 s2, 0x4000
	v_lshl_or_b32 v26, v20, 8, v2
	s_movk_i32 s13, 0x80
	buffer_load_dwordx4 v[6:9], v21, s[0:3], 0 offen
	buffer_load_dwordx4 v[2:5], v21, s[0:3], s13 offen
	;; [unrolled: 1-line block ×4, first 2 shown]
	v_lshrrev_b32_e32 v21, 3, v18
	v_lshlrev_b32_e32 v26, 3, v25
	v_or_b32_e32 v21, v26, v21
	v_lshlrev_b32_e32 v21, 4, v21
	v_and_b32_e32 v26, 0x78, v26
	v_xor_b32_e32 v26, v21, v26
	v_lshlrev_b32_e32 v21, 7, v20
.LBB32_31:
	s_movk_i32 s0, 0x1000
	v_and_or_b32 v20, v21, s0, v26
	s_waitcnt vmcnt(1)
	ds_write_b64 v26, v[6:7] offset:49152
	v_xor_b32_e32 v6, 8, v26
	ds_write_b64 v6, v[8:9] offset:49152
	s_waitcnt vmcnt(0)
	ds_write_b64 v26, v[2:3] offset:57344
	ds_write_b64 v6, v[4:5] offset:57344
	;; [unrolled: 1-line block ×3, first 2 shown]
	v_xor_b32_e32 v2, 8, v20
	ds_write_b64 v2, v[16:17] offset:49152
	ds_write_b64 v20, v[10:11] offset:57344
	;; [unrolled: 1-line block ×3, first 2 shown]
	v_or_b32_e32 v2, v1, v45
	v_lshlrev_b32_e32 v3, 11, v85
	v_lshlrev_b32_e32 v2, 3, v2
	v_and_b32_e32 v6, 0x1000, v3
	v_lshrrev_b32_e32 v3, 5, v84
	s_movk_i32 s0, 0xf8
	v_and_or_b32 v3, v2, s0, v3
	v_lshlrev_b32_e32 v7, 4, v3
	v_and_b32_e32 v8, 0x78, v2
	v_or_b32_e32 v10, 32, v7
	v_lshrrev_b32_e32 v3, 1, v84
	v_xor_b32_e32 v10, v10, v8
	v_xor_b32_e32 v2, v7, v8
	v_and_b32_e32 v9, 8, v3
	v_or_b32_e32 v10, v10, v6
	v_or_b32_e32 v2, v2, v6
	v_xor_b32_e32 v28, v10, v9
	v_or_b32_e32 v10, 64, v7
	v_xor_b32_e32 v27, v2, v9
	v_xor_b32_e32 v10, v10, v8
	s_waitcnt lgkmcnt(0)
	s_barrier
	v_or_b32_e32 v13, v10, v6
	ds_read_b64 v[10:11], v27 offset:49152
	v_lshl_or_b32 v14, v86, 8, v24
	v_lshlrev_b32_e32 v26, 1, v14
	v_add_u32_e32 v12, 0x4000, v26
	ds_read2_b64 v[2:5], v12 offset1:16
	v_or_b32_e32 v7, 0x60, v7
	v_xor_b32_e32 v7, v7, v8
	v_or_b32_e32 v6, v7, v6
	v_xor_b32_e32 v29, v13, v9
	v_xor_b32_e32 v30, v6, v9
	ds_read_b64 v[20:21], v28 offset:49152
	ds_read_b64 v[34:35], v29 offset:49152
	;; [unrolled: 1-line block ×3, first 2 shown]
	s_waitcnt lgkmcnt(3)
	v_mfma_f32_16x16x16_bf16 a[0:3], v[10:11], v[2:3], 0
	ds_read2_b64 v[6:9], v12 offset0:32 offset1:48
	s_lshl_b64 s[0:1], s[38:39], 8
	s_add_u32 s4, s4, s0
	v_mfma_f32_16x16x16_bf16 a[4:7], v[10:11], v[4:5], 0
	ds_read2st64_b64 v[2:5], v26 offset0:36 offset1:40
	s_addc_u32 s5, s5, s1
	s_add_i32 s2, s12, -1
	s_waitcnt lgkmcnt(1)
	v_mfma_f32_16x16x16_bf16 a[8:11], v[10:11], v[6:7], 0
	v_or_b32_e32 v6, 64, v14
	v_lshlrev_b32_e32 v31, 1, v6
	s_add_i32 s0, s44, s17
	s_waitcnt lgkmcnt(0)
	v_mfma_f32_16x16x16_bf16 a[0:3], v[20:21], v[2:3], a[0:3]
	v_or_b32_e32 v2, 0x80, v14
	v_lshlrev_b32_e32 v32, 1, v2
	v_or_b32_e32 v2, 0xc0, v14
	v_mfma_f32_16x16x16_bf16 a[12:15], v[10:11], v[8:9], 0
	ds_read2st64_b64 v[6:9], v31 offset0:36 offset1:40
	v_lshlrev_b32_e32 v33, 1, v2
	ds_read2st64_b64 v[10:13], v32 offset0:36 offset1:40
	ds_read2st64_b64 v[14:17], v33 offset0:36 offset1:40
	s_mul_i32 s35, s35, s16
	s_add_i32 s35, s0, s35
	s_mul_i32 s0, s33, s19
	s_mul_hi_u32 s1, s33, s18
	s_ashr_i32 s3, s2, 31
	s_mul_i32 s12, s2, s29
	s_mul_hi_u32 s13, s2, s28
	s_waitcnt lgkmcnt(2)
	v_mfma_f32_16x16x16_bf16 a[4:7], v[20:21], v[6:7], a[4:7]
	s_add_i32 s0, s1, s0
	s_mul_i32 s1, s14, s18
	s_add_i32 s12, s13, s12
	s_mul_i32 s3, s3, s28
	s_waitcnt lgkmcnt(1)
	v_mfma_f32_16x16x16_bf16 a[8:11], v[20:21], v[10:11], a[8:11]
	s_add_i32 s1, s0, s1
	s_add_i32 s3, s12, s3
	s_lshl_b64 s[12:13], s[34:35], 2
	s_waitcnt lgkmcnt(0)
	v_mfma_f32_16x16x16_bf16 a[12:15], v[20:21], v[14:15], a[12:15]
	s_mul_i32 s0, s33, s18
	s_add_u32 s10, s10, s12
	s_addc_u32 s11, s11, s13
	s_lshl_b64 s[0:1], s[0:1], 2
	v_mfma_f32_16x16x16_bf16 a[0:3], v[34:35], v[4:5], a[0:3]
	s_mul_i32 s2, s2, s28
	ds_read_b64 v[2:3], v26 offset:22528
	s_add_u32 s10, s10, s0
	v_mfma_f32_16x16x16_bf16 a[4:7], v[34:35], v[8:9], a[4:7]
	ds_read_b64 v[4:5], v31 offset:22528
	ds_read_b64 v[6:7], v32 offset:22528
	;; [unrolled: 1-line block ×3, first 2 shown]
	s_addc_u32 s11, s11, s1
	s_lshl_b64 s[0:1], s[2:3], 2
	v_mfma_f32_16x16x16_bf16 a[8:11], v[34:35], v[12:13], a[8:11]
	s_add_u32 s0, s10, s0
	s_addc_u32 s1, s11, s1
	s_load_dword s12, s[0:1], 0x0
	v_mfma_f32_16x16x16_bf16 a[12:15], v[34:35], v[16:17], a[12:15]
	s_and_b64 vcc, exec, s[26:27]
	s_waitcnt lgkmcnt(0)
	v_mfma_f32_16x16x16_bf16 a[0:3], v[36:37], v[2:3], a[0:3]
	v_mfma_f32_16x16x16_bf16 a[4:7], v[36:37], v[4:5], a[4:7]
	v_mfma_f32_16x16x16_bf16 a[8:11], v[36:37], v[6:7], a[8:11]
	v_mfma_f32_16x16x16_bf16 a[12:15], v[36:37], v[8:9], a[12:15]
	s_cbranch_vccz .LBB32_42
; %bb.32:
	v_lshlrev_b32_e32 v20, 1, v25
	s_and_b64 vcc, exec, s[6:7]
	s_cbranch_vccz .LBB32_43
; %bb.33:
	v_cmp_gt_i32_e32 vcc, s41, v20
	v_mov_b32_e32 v6, 0
	v_mov_b32_e32 v2, 0
	v_mov_b32_e32 v3, 0
	v_mov_b32_e32 v4, 0
	v_mov_b32_e32 v5, 0
	s_and_saveexec_b64 s[0:1], vcc
	s_cbranch_execz .LBB32_35
; %bb.34:
	v_mad_i64_i32 v[2:3], s[2:3], s15, v20, 0
	v_lshl_add_u64 v[2:3], v[2:3], 1, s[4:5]
	v_lshlrev_b32_e32 v4, 1, v18
	v_mov_b32_e32 v5, 0
	v_lshl_add_u64 v[2:3], v[2:3], 0, v[4:5]
	global_load_dwordx4 v[2:5], v[2:3], off
.LBB32_35:
	s_or_b64 exec, exec, s[0:1]
	v_or_b32_e32 v21, 1, v20
	v_cmp_gt_i32_e64 s[0:1], s41, v21
	v_mov_b32_e32 v7, 0
	v_mov_b32_e32 v8, 0
	;; [unrolled: 1-line block ×3, first 2 shown]
	s_and_saveexec_b64 s[2:3], s[0:1]
	s_cbranch_execz .LBB32_37
; %bb.36:
	v_mad_i64_i32 v[6:7], s[16:17], s15, v21, 0
	v_lshl_add_u64 v[6:7], v[6:7], 1, s[4:5]
	v_lshlrev_b32_e32 v8, 1, v18
	v_mov_b32_e32 v9, 0
	v_lshl_add_u64 v[6:7], v[6:7], 0, v[8:9]
	global_load_dwordx4 v[6:9], v[6:7], off
.LBB32_37:
	s_or_b64 exec, exec, s[2:3]
	v_mov_b32_e32 v17, 0
	v_mov_b32_e32 v10, 0
	;; [unrolled: 1-line block ×5, first 2 shown]
	s_and_saveexec_b64 s[2:3], vcc
	s_cbranch_execz .LBB32_39
; %bb.38:
	v_mad_i64_i32 v[10:11], s[16:17], s15, v20, 0
	v_lshl_add_u64 v[10:11], v[10:11], 1, s[4:5]
	v_lshlrev_b32_e32 v12, 1, v18
	v_mov_b32_e32 v13, 0
	v_lshl_add_u64 v[10:11], v[10:11], 0, v[12:13]
	global_load_dwordx4 v[10:13], v[10:11], off offset:128
.LBB32_39:
	s_or_b64 exec, exec, s[2:3]
	v_mov_b32_e32 v16, 0
	v_mov_b32_e32 v15, 0
	;; [unrolled: 1-line block ×3, first 2 shown]
	s_and_saveexec_b64 s[2:3], s[0:1]
	s_cbranch_execz .LBB32_41
; %bb.40:
	v_mad_i64_i32 v[14:15], s[0:1], s15, v21, 0
	v_lshl_add_u64 v[14:15], v[14:15], 1, s[4:5]
	v_lshlrev_b32_e32 v16, 1, v18
	v_mov_b32_e32 v17, 0
	v_lshl_add_u64 v[14:15], v[14:15], 0, v[16:17]
	global_load_dwordx4 v[14:17], v[14:15], off offset:128
.LBB32_41:
	s_or_b64 exec, exec, s[2:3]
	s_branch .LBB32_45
.LBB32_42:
                                        ; implicit-def: $vgpr5
                                        ; implicit-def: $vgpr9
                                        ; implicit-def: $vgpr13
                                        ; implicit-def: $vgpr17
	v_lshrrev_b32_e32 v34, 2, v84
	s_branch .LBB32_46
.LBB32_43:
                                        ; implicit-def: $vgpr5
                                        ; implicit-def: $vgpr9
                                        ; implicit-def: $vgpr13
                                        ; implicit-def: $vgpr17
	s_cbranch_execz .LBB32_45
; %bb.44:
	s_waitcnt vmcnt(0)
	v_mad_u64_u32 v[2:3], s[0:1], v20, s15, v[18:19]
	v_lshlrev_b32_e32 v20, 1, v2
	s_lshl_b32 s2, s15, 7
	s_and_b32 s1, s5, 0xffff
	s_mov_b32 s3, 0x20000
	s_mov_b32 s0, s4
	v_add_lshl_u32 v21, v2, s15, 1
	s_movk_i32 s13, 0x80
	buffer_load_dwordx4 v[2:5], v20, s[0:3], 0 offen
	buffer_load_dwordx4 v[10:13], v20, s[0:3], s13 offen
	;; [unrolled: 1-line block ×4, first 2 shown]
.LBB32_45:
	v_lshrrev_b32_e32 v34, 2, v84
	s_cbranch_execnz .LBB32_58
.LBB32_46:
	s_and_b64 vcc, exec, s[6:7]
	s_cbranch_vccz .LBB32_56
; %bb.47:
	s_waitcnt vmcnt(0)
	v_lshlrev_b32_e32 v7, 1, v25
	v_cmp_gt_i32_e32 vcc, s41, v7
	v_mov_b32_e32 v6, 0
	v_lshlrev_b32_e32 v14, 9, v25
	v_mov_b32_e32 v2, 0
	v_mov_b32_e32 v3, 0
	;; [unrolled: 1-line block ×4, first 2 shown]
	s_and_saveexec_b64 s[0:1], vcc
	s_cbranch_execz .LBB32_49
; %bb.48:
	v_mov_b32_e32 v15, 0
	v_lshl_add_u64 v[2:3], s[4:5], 0, v[14:15]
	v_lshlrev_b32_e32 v4, 1, v18
	v_mov_b32_e32 v5, v15
	v_lshl_add_u64 v[2:3], v[2:3], 0, v[4:5]
	global_load_dwordx4 v[2:5], v[2:3], off
.LBB32_49:
	s_or_b64 exec, exec, s[0:1]
	v_or_b32_e32 v7, 1, v7
	v_cmp_gt_i32_e64 s[0:1], s41, v7
	v_lshlrev_b32_e32 v20, 8, v7
	v_mov_b32_e32 v7, 0
	v_mov_b32_e32 v8, 0
	;; [unrolled: 1-line block ×3, first 2 shown]
	s_and_saveexec_b64 s[2:3], s[0:1]
	s_cbranch_execz .LBB32_51
; %bb.50:
	v_mov_b32_e32 v21, 0
	v_lshl_add_u64 v[6:7], s[4:5], 0, v[20:21]
	v_lshlrev_b32_e32 v8, 1, v18
	v_mov_b32_e32 v9, v21
	v_lshl_add_u64 v[6:7], v[6:7], 0, v[8:9]
	global_load_dwordx4 v[6:9], v[6:7], off
.LBB32_51:
	s_or_b64 exec, exec, s[2:3]
	v_mov_b32_e32 v17, 0
	v_mov_b32_e32 v10, 0
	;; [unrolled: 1-line block ×5, first 2 shown]
	s_and_saveexec_b64 s[2:3], vcc
	s_cbranch_execz .LBB32_53
; %bb.52:
	v_mov_b32_e32 v15, 0
	v_lshl_add_u64 v[10:11], s[4:5], 0, v[14:15]
	v_lshlrev_b32_e32 v14, 1, v18
	v_lshl_add_u64 v[10:11], v[10:11], 0, v[14:15]
	global_load_dwordx4 v[10:13], v[10:11], off offset:128
.LBB32_53:
	s_or_b64 exec, exec, s[2:3]
	v_mov_b32_e32 v16, 0
	v_mov_b32_e32 v15, 0
	;; [unrolled: 1-line block ×3, first 2 shown]
	s_and_saveexec_b64 s[2:3], s[0:1]
	s_cbranch_execz .LBB32_55
; %bb.54:
	v_mov_b32_e32 v21, 0
	v_lshl_add_u64 v[14:15], s[4:5], 0, v[20:21]
	v_lshlrev_b32_e32 v20, 1, v18
	v_lshl_add_u64 v[14:15], v[14:15], 0, v[20:21]
	global_load_dwordx4 v[14:17], v[14:15], off offset:128
.LBB32_55:
	s_or_b64 exec, exec, s[2:3]
	s_branch .LBB32_58
.LBB32_56:
                                        ; implicit-def: $vgpr5
                                        ; implicit-def: $vgpr9
                                        ; implicit-def: $vgpr13
                                        ; implicit-def: $vgpr17
	s_cbranch_execz .LBB32_58
; %bb.57:
	s_waitcnt vmcnt(0)
	v_lshlrev_b32_e32 v2, 1, v18
	v_lshl_or_b32 v18, v25, 9, v2
	s_and_b32 s5, s5, 0xffff
	s_mov_b32 s7, 0x20000
	s_movk_i32 s6, 0x4000
	s_movk_i32 s0, 0x80
	buffer_load_dwordx4 v[2:5], v18, s[4:7], 0 offen
	buffer_load_dwordx4 v[6:9], v18, s[4:7], 0 offen offset:256
	buffer_load_dwordx4 v[10:13], v18, s[4:7], s0 offen
	buffer_load_dwordx4 v[14:17], v18, s[4:7], s0 offen offset:256
.LBB32_58:
	ds_read_b64 v[20:21], v27 offset:57344
	v_add_u32_e32 v18, 0x6000, v26
	ds_read2_b64 v[36:39], v18 offset1:16
	ds_read_b64 v[54:55], v28 offset:57344
	ds_read_b64 v[28:29], v29 offset:57344
	;; [unrolled: 1-line block ×3, first 2 shown]
	ds_read2st64_b64 v[40:43], v26 offset0:52 offset1:56
	s_mov_b32 s0, 0x1000504
	s_mov_b32 s1, 0x3020706
	s_waitcnt lgkmcnt(4)
	v_mfma_f32_16x16x16_bf16 a[0:3], v[20:21], v[36:37], a[0:3]
	v_mfma_f32_16x16x16_bf16 a[4:7], v[20:21], v[38:39], a[4:7]
	ds_read2_b64 v[36:39], v18 offset0:32 offset1:48
	v_and_b32_e32 v18, 6, v0
	v_xor_b32_e32 v25, v25, v18
	s_waitcnt lgkmcnt(0)
	v_mfma_f32_16x16x16_bf16 a[8:11], v[20:21], v[36:37], a[8:11]
	v_lshlrev_b32_e32 v25, 2, v25
	v_and_b32_e32 v0, 1, v0
	v_xor_b32_e32 v35, 0x440, v25
	v_mfma_f32_16x16x16_bf16 a[12:15], v[20:21], v[38:39], a[12:15]
	ds_read2st64_b64 v[36:39], v31 offset0:52 offset1:56
	ds_read2st64_b64 v[46:49], v32 offset0:52 offset1:56
	;; [unrolled: 1-line block ×3, first 2 shown]
	v_cmp_eq_u32_e32 vcc, 0, v0
	ds_read_b64 v[20:21], v26 offset:30720
	ds_read_b64 v[26:27], v31 offset:30720
	ds_read_b64 v[30:31], v32 offset:30720
	ds_read_b64 v[32:33], v33 offset:30720
	v_mfma_f32_16x16x16_bf16 a[0:3], v[54:55], v[40:41], a[0:3]
	v_cndmask_b32_e32 v0, v35, v25, vcc
	v_lshl_or_b32 v0, v18, 10, v0
	s_waitcnt vmcnt(0)
	v_perm_b32 v18, v2, v6, s0
	s_waitcnt lgkmcnt(6)
	v_mfma_f32_16x16x16_bf16 a[4:7], v[54:55], v[36:37], a[4:7]
	v_perm_b32 v25, v10, v14, s0
	ds_write2st64_b32 v0, v18, v25 offset0:128 offset1:160
	v_xor_b32_e32 v18, 8, v0
	s_waitcnt lgkmcnt(6)
	v_mfma_f32_16x16x16_bf16 a[8:11], v[54:55], v[46:47], a[8:11]
	v_perm_b32 v2, v2, v6, s1
	v_perm_b32 v6, v10, v14, s1
	v_add_u32_e32 v10, 0x80, v18
	s_waitcnt lgkmcnt(5)
	v_mfma_f32_16x16x16_bf16 a[12:15], v[54:55], v[50:51], a[12:15]
	ds_write2st64_b32 v10, v2, v6 offset0:128 offset1:160
	v_xor_b32_e32 v2, 16, v0
	v_perm_b32 v6, v3, v7, s0
	v_mfma_f32_16x16x16_bf16 a[0:3], v[28:29], v[42:43], a[0:3]
	v_perm_b32 v10, v11, v15, s0
	ds_write2st64_b32 v2, v6, v10 offset0:129 offset1:161
	v_xor_b32_e32 v2, 24, v0
	v_mfma_f32_16x16x16_bf16 a[4:7], v[28:29], v[38:39], a[4:7]
	v_perm_b32 v3, v3, v7, s1
	v_perm_b32 v6, v11, v15, s1
	v_add_u32_e32 v2, 0x80, v2
	v_mfma_f32_16x16x16_bf16 a[16:19], v[28:29], v[48:49], a[8:11]
	ds_write2st64_b32 v2, v3, v6 offset0:129 offset1:161
	v_xor_b32_e32 v2, 32, v0
	v_perm_b32 v3, v4, v8, s0
	v_mfma_f32_16x16x16_bf16 a[20:23], v[28:29], v[52:53], a[12:15]
	v_perm_b32 v6, v12, v16, s0
	ds_write2st64_b32 v2, v3, v6 offset0:130 offset1:162
	v_xor_b32_e32 v2, 40, v0
	s_waitcnt lgkmcnt(8)
	v_mfma_f32_16x16x16_bf16 a[12:15], v[56:57], v[20:21], a[0:3]
	v_perm_b32 v3, v4, v8, s1
	v_perm_b32 v4, v12, v16, s1
	v_add_u32_e32 v2, 0x80, v2
	s_waitcnt lgkmcnt(7)
	v_mfma_f32_16x16x16_bf16 a[8:11], v[56:57], v[26:27], a[4:7]
	ds_write2st64_b32 v2, v3, v4 offset0:130 offset1:162
	v_xor_b32_e32 v2, 48, v0
	v_perm_b32 v3, v5, v9, s0
	s_waitcnt lgkmcnt(7)
	v_mfma_f32_16x16x16_bf16 a[4:7], v[56:57], v[30:31], a[16:19]
	v_perm_b32 v4, v13, v17, s0
	v_xor_b32_e32 v0, 56, v0
	v_and_or_b32 v18, v34, 12, v1
	s_waitcnt lgkmcnt(6)
	v_mfma_f32_16x16x16_bf16 a[0:3], v[56:57], v[32:33], a[20:23]
	ds_write2st64_b32 v2, v3, v4 offset0:131 offset1:163
	v_perm_b32 v2, v5, v9, s1
	v_perm_b32 v3, v13, v17, s1
	v_add_u32_e32 v0, 0x80, v0
	v_cmp_gt_i32_e32 vcc, s41, v18
	v_mov_b32_e32 v14, 0
	v_mov_b32_e32 v16, 0
	ds_write2st64_b32 v0, v2, v3 offset0:131 offset1:163
	s_and_saveexec_b64 s[0:1], vcc
	s_cbranch_execz .LBB32_60
; %bb.59:
	v_add_u32_e32 v0, s40, v18
	v_ashrrev_i32_e32 v1, 31, v0
	v_mul_lo_u32 v2, v1, s28
	v_mul_lo_u32 v3, v0, s29
	v_mad_u64_u32 v[0:1], s[2:3], v0, s28, 0
	v_add3_u32 v1, v1, v3, v2
	v_lshl_add_u64 v[0:1], v[0:1], 2, s[10:11]
	global_load_dword v0, v[0:1], off
	s_waitcnt vmcnt(0)
	v_sub_f32_e32 v0, s12, v0
	v_exp_f32_e32 v16, v0
.LBB32_60:
	s_or_b64 exec, exec, s[0:1]
	v_or_b32_e32 v8, 1, v18
	v_cmp_gt_i32_e64 s[0:1], s41, v8
	s_and_saveexec_b64 s[2:3], s[0:1]
	s_cbranch_execz .LBB32_62
; %bb.61:
	v_add_u32_e32 v0, s40, v8
	v_ashrrev_i32_e32 v1, 31, v0
	v_mul_lo_u32 v2, v1, s28
	v_mul_lo_u32 v3, v0, s29
	v_mad_u64_u32 v[0:1], s[4:5], v0, s28, 0
	v_add3_u32 v1, v1, v3, v2
	v_lshl_add_u64 v[0:1], v[0:1], 2, s[10:11]
	global_load_dword v0, v[0:1], off
	s_waitcnt vmcnt(0)
	v_sub_f32_e32 v0, s12, v0
	v_exp_f32_e32 v14, v0
.LBB32_62:
	s_or_b64 exec, exec, s[2:3]
	v_or_b32_e32 v10, 2, v18
	v_cmp_gt_i32_e64 s[2:3], s41, v10
	v_mov_b32_e32 v15, 0
	v_mov_b32_e32 v17, 0
	s_and_saveexec_b64 s[4:5], s[2:3]
	s_cbranch_execz .LBB32_64
; %bb.63:
	v_add_u32_e32 v0, s40, v10
	v_ashrrev_i32_e32 v1, 31, v0
	v_mul_lo_u32 v2, v1, s28
	v_mul_lo_u32 v3, v0, s29
	v_mad_u64_u32 v[0:1], s[6:7], v0, s28, 0
	v_add3_u32 v1, v1, v3, v2
	v_lshl_add_u64 v[0:1], v[0:1], 2, s[10:11]
	global_load_dword v0, v[0:1], off
	s_waitcnt vmcnt(0)
	v_sub_f32_e32 v0, s12, v0
	v_exp_f32_e32 v17, v0
.LBB32_64:
	s_or_b64 exec, exec, s[4:5]
	v_or_b32_e32 v12, 3, v18
	v_cmp_gt_i32_e64 s[4:5], s41, v12
	s_and_saveexec_b64 s[6:7], s[4:5]
	s_cbranch_execz .LBB32_66
; %bb.65:
	v_add_u32_e32 v0, s40, v12
	v_ashrrev_i32_e32 v1, 31, v0
	v_mul_lo_u32 v2, v1, s28
	v_mul_lo_u32 v3, v0, s29
	v_mad_u64_u32 v[0:1], s[14:15], v0, s28, 0
	v_add3_u32 v1, v1, v3, v2
	v_lshl_add_u64 v[0:1], v[0:1], 2, s[10:11]
	global_load_dword v0, v[0:1], off
	s_waitcnt vmcnt(0)
	v_sub_f32_e32 v0, s12, v0
	v_exp_f32_e32 v15, v0
.LBB32_66:
	s_or_b64 exec, exec, s[6:7]
	v_or_b32_e32 v4, s30, v45
	s_add_u32 s6, s8, s24
	v_accvgpr_read_b32 v0, a12
	s_addc_u32 s7, s9, s25
	v_ashrrev_i32_e32 v5, 31, v4
	v_accvgpr_read_b32 v1, a13
	v_accvgpr_read_b32 v2, a14
	;; [unrolled: 1-line block ×3, first 2 shown]
	v_lshl_add_u64 v[4:5], v[4:5], 1, s[6:7]
	v_mov_b32_e32 v9, 0
	v_lshlrev_b32_e32 v6, 8, v18
	v_mov_b32_e32 v7, 0
	s_and_saveexec_b64 s[6:7], vcc
	s_cbranch_execz .LBB32_68
; %bb.67:
	v_mov_b32_e32 v7, 0
	v_lshl_add_u64 v[20:21], v[4:5], 0, v[6:7]
	global_load_ushort v7, v[20:21], off
	s_waitcnt vmcnt(0)
	v_lshlrev_b32_e32 v7, 16, v7
	v_sub_f32_e32 v0, v7, v0
	v_mul_f32_e32 v0, v16, v0
	v_lshrrev_b32_e32 v7, 16, v0
.LBB32_68:
	s_or_b64 exec, exec, s[6:7]
	v_lshlrev_b32_e32 v8, 8, v8
	s_and_saveexec_b64 s[6:7], s[0:1]
	s_cbranch_execz .LBB32_70
; %bb.69:
	v_mov_b32_e32 v9, 0
	v_lshl_add_u64 v[20:21], v[4:5], 0, v[8:9]
	global_load_ushort v0, v[20:21], off
	s_waitcnt vmcnt(0)
	v_lshlrev_b32_e32 v0, 16, v0
	v_sub_f32_e32 v0, v0, v1
	v_mul_f32_e32 v0, v14, v0
	v_lshrrev_b32_e32 v9, 16, v0
.LBB32_70:
	s_or_b64 exec, exec, s[6:7]
	v_mov_b32_e32 v13, 0
	v_lshlrev_b32_e32 v10, 8, v10
	v_mov_b32_e32 v11, 0
	s_and_saveexec_b64 s[6:7], s[2:3]
	s_cbranch_execz .LBB32_72
; %bb.71:
	v_mov_b32_e32 v11, 0
	v_lshl_add_u64 v[0:1], v[4:5], 0, v[10:11]
	global_load_ushort v0, v[0:1], off
	s_waitcnt vmcnt(0)
	v_lshlrev_b32_e32 v0, 16, v0
	v_sub_f32_e32 v0, v0, v2
	v_mul_f32_e32 v0, v17, v0
	v_lshrrev_b32_e32 v11, 16, v0
.LBB32_72:
	s_or_b64 exec, exec, s[6:7]
	v_lshlrev_b32_e32 v12, 8, v12
	s_and_saveexec_b64 s[6:7], s[4:5]
	s_cbranch_execz .LBB32_74
; %bb.73:
	v_mov_b32_e32 v13, 0
	v_lshl_add_u64 v[0:1], v[4:5], 0, v[12:13]
	global_load_ushort v0, v[0:1], off
	s_waitcnt vmcnt(0)
	v_lshlrev_b32_e32 v0, 16, v0
	v_sub_f32_e32 v0, v0, v3
	v_mul_f32_e32 v0, v15, v0
	v_lshrrev_b32_e32 v13, 16, v0
.LBB32_74:
	s_or_b64 exec, exec, s[6:7]
	v_lshlrev_b32_e32 v18, 6, v18
	s_mov_b32 s6, 0x5040100
	v_perm_b32 v20, v9, v7, s6
	v_or_b32_e32 v7, v18, v24
	v_accvgpr_read_b32 v0, a8
	v_perm_b32 v21, v13, v11, s6
	v_lshlrev_b32_e32 v7, 1, v7
	v_accvgpr_read_b32 v1, a9
	v_accvgpr_read_b32 v2, a10
	;; [unrolled: 1-line block ×3, first 2 shown]
	ds_write_b64 v7, v[20:21] offset:24576
	v_mov_b32_e32 v9, 0
	v_mov_b32_e32 v7, 0
	s_and_saveexec_b64 s[6:7], vcc
	s_cbranch_execz .LBB32_76
; %bb.75:
	v_mov_b32_e32 v7, 0
	v_lshl_add_u64 v[20:21], v[4:5], 0, v[6:7]
	global_load_ushort v7, v[20:21], off offset:32
	s_waitcnt vmcnt(0)
	v_lshlrev_b32_e32 v7, 16, v7
	v_sub_f32_e32 v0, v7, v0
	v_mul_f32_e32 v0, v16, v0
	v_lshrrev_b32_e32 v7, 16, v0
.LBB32_76:
	s_or_b64 exec, exec, s[6:7]
	s_and_saveexec_b64 s[6:7], s[0:1]
	s_cbranch_execz .LBB32_78
; %bb.77:
	v_mov_b32_e32 v9, 0
	v_lshl_add_u64 v[20:21], v[4:5], 0, v[8:9]
	global_load_ushort v0, v[20:21], off offset:32
	s_waitcnt vmcnt(0)
	v_lshlrev_b32_e32 v0, 16, v0
	v_sub_f32_e32 v0, v0, v1
	v_mul_f32_e32 v0, v14, v0
	v_lshrrev_b32_e32 v9, 16, v0
.LBB32_78:
	s_or_b64 exec, exec, s[6:7]
	v_mov_b32_e32 v13, 0
	v_mov_b32_e32 v11, 0
	s_and_saveexec_b64 s[6:7], s[2:3]
	s_cbranch_execz .LBB32_80
; %bb.79:
	v_mov_b32_e32 v11, 0
	v_lshl_add_u64 v[0:1], v[4:5], 0, v[10:11]
	global_load_ushort v0, v[0:1], off offset:32
	s_waitcnt vmcnt(0)
	v_lshlrev_b32_e32 v0, 16, v0
	v_sub_f32_e32 v0, v0, v2
	v_mul_f32_e32 v0, v17, v0
	v_lshrrev_b32_e32 v11, 16, v0
.LBB32_80:
	s_or_b64 exec, exec, s[6:7]
	s_and_saveexec_b64 s[6:7], s[4:5]
	s_cbranch_execz .LBB32_82
; %bb.81:
	v_mov_b32_e32 v13, 0
	v_lshl_add_u64 v[0:1], v[4:5], 0, v[12:13]
	global_load_ushort v0, v[0:1], off offset:32
	s_waitcnt vmcnt(0)
	v_lshlrev_b32_e32 v0, 16, v0
	v_sub_f32_e32 v0, v0, v3
	v_mul_f32_e32 v0, v15, v0
	v_lshrrev_b32_e32 v13, 16, v0
.LBB32_82:
	s_or_b64 exec, exec, s[6:7]
	s_mov_b32 s6, 0x5040100
	v_perm_b32 v20, v9, v7, s6
	v_or_b32_e32 v7, v18, v23
	v_accvgpr_read_b32 v0, a4
	v_perm_b32 v21, v13, v11, s6
	v_lshlrev_b32_e32 v7, 1, v7
	v_accvgpr_read_b32 v1, a5
	v_accvgpr_read_b32 v2, a6
	;; [unrolled: 1-line block ×3, first 2 shown]
	ds_write_b64 v7, v[20:21] offset:24576
	v_mov_b32_e32 v9, 0
	v_mov_b32_e32 v7, 0
	s_and_saveexec_b64 s[6:7], vcc
	s_cbranch_execz .LBB32_84
; %bb.83:
	v_mov_b32_e32 v7, 0
	v_lshl_add_u64 v[20:21], v[4:5], 0, v[6:7]
	global_load_ushort v7, v[20:21], off offset:64
	s_waitcnt vmcnt(0)
	v_lshlrev_b32_e32 v7, 16, v7
	v_sub_f32_e32 v0, v7, v0
	v_mul_f32_e32 v0, v16, v0
	v_lshrrev_b32_e32 v7, 16, v0
.LBB32_84:
	s_or_b64 exec, exec, s[6:7]
	s_and_saveexec_b64 s[6:7], s[0:1]
	s_cbranch_execz .LBB32_86
; %bb.85:
	v_mov_b32_e32 v9, 0
	v_lshl_add_u64 v[20:21], v[4:5], 0, v[8:9]
	global_load_ushort v0, v[20:21], off offset:64
	s_waitcnt vmcnt(0)
	v_lshlrev_b32_e32 v0, 16, v0
	v_sub_f32_e32 v0, v0, v1
	v_mul_f32_e32 v0, v14, v0
	v_lshrrev_b32_e32 v9, 16, v0
.LBB32_86:
	s_or_b64 exec, exec, s[6:7]
	v_mov_b32_e32 v13, 0
	v_mov_b32_e32 v11, 0
	s_and_saveexec_b64 s[6:7], s[2:3]
	s_cbranch_execz .LBB32_88
; %bb.87:
	v_mov_b32_e32 v11, 0
	v_lshl_add_u64 v[0:1], v[4:5], 0, v[10:11]
	global_load_ushort v0, v[0:1], off offset:64
	s_waitcnt vmcnt(0)
	v_lshlrev_b32_e32 v0, 16, v0
	v_sub_f32_e32 v0, v0, v2
	v_mul_f32_e32 v0, v17, v0
	v_lshrrev_b32_e32 v11, 16, v0
.LBB32_88:
	s_or_b64 exec, exec, s[6:7]
	s_and_saveexec_b64 s[6:7], s[4:5]
	s_cbranch_execz .LBB32_90
; %bb.89:
	v_mov_b32_e32 v13, 0
	v_lshl_add_u64 v[0:1], v[4:5], 0, v[12:13]
	global_load_ushort v0, v[0:1], off offset:64
	s_waitcnt vmcnt(0)
	v_lshlrev_b32_e32 v0, 16, v0
	v_sub_f32_e32 v0, v0, v3
	v_mul_f32_e32 v0, v15, v0
	v_lshrrev_b32_e32 v13, 16, v0
.LBB32_90:
	s_or_b64 exec, exec, s[6:7]
	s_mov_b32 s6, 0x5040100
	v_perm_b32 v20, v9, v7, s6
	v_or_b32_e32 v7, v18, v22
	v_accvgpr_read_b32 v0, a0
	v_perm_b32 v21, v13, v11, s6
	v_lshlrev_b32_e32 v7, 1, v7
	v_accvgpr_read_b32 v1, a1
	v_accvgpr_read_b32 v2, a2
	;; [unrolled: 1-line block ×3, first 2 shown]
	ds_write_b64 v7, v[20:21] offset:24576
	v_mov_b32_e32 v9, 0
	v_mov_b32_e32 v7, 0
	s_and_saveexec_b64 s[6:7], vcc
	s_cbranch_execz .LBB32_92
; %bb.91:
	v_mov_b32_e32 v7, 0
	v_lshl_add_u64 v[6:7], v[4:5], 0, v[6:7]
	global_load_ushort v6, v[6:7], off offset:96
	s_waitcnt vmcnt(0)
	v_lshlrev_b32_e32 v6, 16, v6
	v_sub_f32_e32 v0, v6, v0
	v_mul_f32_e32 v0, v16, v0
	v_lshrrev_b32_e32 v7, 16, v0
.LBB32_92:
	s_or_b64 exec, exec, s[6:7]
	s_and_saveexec_b64 s[6:7], s[0:1]
	s_cbranch_execz .LBB32_94
; %bb.93:
	v_mov_b32_e32 v9, 0
	v_lshl_add_u64 v[8:9], v[4:5], 0, v[8:9]
	global_load_ushort v0, v[8:9], off offset:96
	s_waitcnt vmcnt(0)
	v_lshlrev_b32_e32 v0, 16, v0
	v_sub_f32_e32 v0, v0, v1
	v_mul_f32_e32 v0, v14, v0
	v_lshrrev_b32_e32 v9, 16, v0
.LBB32_94:
	s_or_b64 exec, exec, s[6:7]
	v_mov_b32_e32 v0, 0
	v_mov_b32_e32 v1, 0
	s_and_saveexec_b64 s[0:1], s[2:3]
	s_cbranch_execz .LBB32_96
; %bb.95:
	v_mov_b32_e32 v11, 0
	v_lshl_add_u64 v[10:11], v[4:5], 0, v[10:11]
	global_load_ushort v1, v[10:11], off offset:96
	s_waitcnt vmcnt(0)
	v_lshlrev_b32_e32 v1, 16, v1
	v_sub_f32_e32 v1, v1, v2
	v_mul_f32_e32 v1, v17, v1
	v_lshrrev_b32_e32 v1, 16, v1
.LBB32_96:
	s_or_b64 exec, exec, s[0:1]
	s_and_saveexec_b64 s[0:1], s[4:5]
	s_cbranch_execz .LBB32_98
; %bb.97:
	v_mov_b32_e32 v13, 0
	v_lshl_add_u64 v[4:5], v[4:5], 0, v[12:13]
	global_load_ushort v0, v[4:5], off offset:96
	s_waitcnt vmcnt(0)
	v_lshlrev_b32_e32 v0, 16, v0
	v_sub_f32_e32 v0, v0, v3
	v_mul_f32_e32 v0, v15, v0
	v_lshrrev_b32_e32 v0, 16, v0
.LBB32_98:
	s_or_b64 exec, exec, s[0:1]
	s_mov_b32 s0, 0x5040100
	v_or_b32_e32 v2, v18, v19
	v_perm_b32 v1, v0, v1, s0
	v_perm_b32 v0, v9, v7, s0
	v_lshlrev_b32_e32 v2, 1, v2
	ds_write_b64 v2, v[0:1] offset:24576
	s_waitcnt lgkmcnt(0)
	s_barrier
.LBB32_99:
	s_endpgm
	.section	.rodata,"a",@progbits
	.p2align	6, 0x0
	.amdhsa_kernel _ZN12_GLOBAL__N_139chunk_gated_delta_rule_fwd_h_hip_kernelILi64ELb0ELb0ELb0ELb0ELb1ELb1ELb0ELb1EEEvPK12hip_bfloat16S3_S3_PKfS5_PKvPS1_S8_PvPKiSB_iiiiilll
		.amdhsa_group_segment_fixed_size 65536
		.amdhsa_private_segment_fixed_size 0
		.amdhsa_kernarg_size 136
		.amdhsa_user_sgpr_count 2
		.amdhsa_user_sgpr_dispatch_ptr 0
		.amdhsa_user_sgpr_queue_ptr 0
		.amdhsa_user_sgpr_kernarg_segment_ptr 1
		.amdhsa_user_sgpr_dispatch_id 0
		.amdhsa_user_sgpr_kernarg_preload_length 0
		.amdhsa_user_sgpr_kernarg_preload_offset 0
		.amdhsa_user_sgpr_private_segment_size 0
		.amdhsa_uses_dynamic_stack 0
		.amdhsa_enable_private_segment 0
		.amdhsa_system_sgpr_workgroup_id_x 1
		.amdhsa_system_sgpr_workgroup_id_y 1
		.amdhsa_system_sgpr_workgroup_id_z 0
		.amdhsa_system_sgpr_workgroup_info 0
		.amdhsa_system_vgpr_workitem_id 0
		.amdhsa_next_free_vgpr 228
		.amdhsa_next_free_sgpr 66
		.amdhsa_accum_offset 188
		.amdhsa_reserve_vcc 1
		.amdhsa_float_round_mode_32 0
		.amdhsa_float_round_mode_16_64 0
		.amdhsa_float_denorm_mode_32 3
		.amdhsa_float_denorm_mode_16_64 3
		.amdhsa_dx10_clamp 1
		.amdhsa_ieee_mode 1
		.amdhsa_fp16_overflow 0
		.amdhsa_tg_split 0
		.amdhsa_exception_fp_ieee_invalid_op 0
		.amdhsa_exception_fp_denorm_src 0
		.amdhsa_exception_fp_ieee_div_zero 0
		.amdhsa_exception_fp_ieee_overflow 0
		.amdhsa_exception_fp_ieee_underflow 0
		.amdhsa_exception_fp_ieee_inexact 0
		.amdhsa_exception_int_div_zero 0
	.end_amdhsa_kernel
	.section	.text._ZN12_GLOBAL__N_139chunk_gated_delta_rule_fwd_h_hip_kernelILi64ELb0ELb0ELb0ELb0ELb1ELb1ELb0ELb1EEEvPK12hip_bfloat16S3_S3_PKfS5_PKvPS1_S8_PvPKiSB_iiiiilll,"axG",@progbits,_ZN12_GLOBAL__N_139chunk_gated_delta_rule_fwd_h_hip_kernelILi64ELb0ELb0ELb0ELb0ELb1ELb1ELb0ELb1EEEvPK12hip_bfloat16S3_S3_PKfS5_PKvPS1_S8_PvPKiSB_iiiiilll,comdat
.Lfunc_end32:
	.size	_ZN12_GLOBAL__N_139chunk_gated_delta_rule_fwd_h_hip_kernelILi64ELb0ELb0ELb0ELb0ELb1ELb1ELb0ELb1EEEvPK12hip_bfloat16S3_S3_PKfS5_PKvPS1_S8_PvPKiSB_iiiiilll, .Lfunc_end32-_ZN12_GLOBAL__N_139chunk_gated_delta_rule_fwd_h_hip_kernelILi64ELb0ELb0ELb0ELb0ELb1ELb1ELb0ELb1EEEvPK12hip_bfloat16S3_S3_PKfS5_PKvPS1_S8_PvPKiSB_iiiiilll
                                        ; -- End function
	.section	.AMDGPU.csdata,"",@progbits
; Kernel info:
; codeLenInByte = 11020
; NumSgprs: 72
; NumVgprs: 188
; NumAgprs: 40
; TotalNumVgprs: 228
; ScratchSize: 0
; MemoryBound: 0
; FloatMode: 240
; IeeeMode: 1
; LDSByteSize: 65536 bytes/workgroup (compile time only)
; SGPRBlocks: 8
; VGPRBlocks: 28
; NumSGPRsForWavesPerEU: 72
; NumVGPRsForWavesPerEU: 228
; AccumOffset: 188
; Occupancy: 1
; WaveLimiterHint : 1
; COMPUTE_PGM_RSRC2:SCRATCH_EN: 0
; COMPUTE_PGM_RSRC2:USER_SGPR: 2
; COMPUTE_PGM_RSRC2:TRAP_HANDLER: 0
; COMPUTE_PGM_RSRC2:TGID_X_EN: 1
; COMPUTE_PGM_RSRC2:TGID_Y_EN: 1
; COMPUTE_PGM_RSRC2:TGID_Z_EN: 0
; COMPUTE_PGM_RSRC2:TIDIG_COMP_CNT: 0
; COMPUTE_PGM_RSRC3_GFX90A:ACCUM_OFFSET: 46
; COMPUTE_PGM_RSRC3_GFX90A:TG_SPLIT: 0
	.section	.text._ZN12_GLOBAL__N_139chunk_gated_delta_rule_fwd_h_hip_kernelILi64ELb1ELb1ELb1ELb1ELb1ELb0ELb1ELb1EEEvPK12hip_bfloat16S3_S3_PKfS5_PKvPS1_S8_PvPKiSB_iiiiilll,"axG",@progbits,_ZN12_GLOBAL__N_139chunk_gated_delta_rule_fwd_h_hip_kernelILi64ELb1ELb1ELb1ELb1ELb1ELb0ELb1ELb1EEEvPK12hip_bfloat16S3_S3_PKfS5_PKvPS1_S8_PvPKiSB_iiiiilll,comdat
	.globl	_ZN12_GLOBAL__N_139chunk_gated_delta_rule_fwd_h_hip_kernelILi64ELb1ELb1ELb1ELb1ELb1ELb0ELb1ELb1EEEvPK12hip_bfloat16S3_S3_PKfS5_PKvPS1_S8_PvPKiSB_iiiiilll ; -- Begin function _ZN12_GLOBAL__N_139chunk_gated_delta_rule_fwd_h_hip_kernelILi64ELb1ELb1ELb1ELb1ELb1ELb0ELb1ELb1EEEvPK12hip_bfloat16S3_S3_PKfS5_PKvPS1_S8_PvPKiSB_iiiiilll
	.p2align	8
	.type	_ZN12_GLOBAL__N_139chunk_gated_delta_rule_fwd_h_hip_kernelILi64ELb1ELb1ELb1ELb1ELb1ELb0ELb1ELb1EEEvPK12hip_bfloat16S3_S3_PKfS5_PKvPS1_S8_PvPKiSB_iiiiilll,@function
_ZN12_GLOBAL__N_139chunk_gated_delta_rule_fwd_h_hip_kernelILi64ELb1ELb1ELb1ELb1ELb1ELb0ELb1ELb1EEEvPK12hip_bfloat16S3_S3_PKfS5_PKvPS1_S8_PvPKiSB_iiiiilll: ; @_ZN12_GLOBAL__N_139chunk_gated_delta_rule_fwd_h_hip_kernelILi64ELb1ELb1ELb1ELb1ELb1ELb0ELb1ELb1EEEvPK12hip_bfloat16S3_S3_PKfS5_PKvPS1_S8_PvPKiSB_iiiiilll
; %bb.0:
	s_load_dwordx4 s[20:23], s[0:1], 0x5c
	s_load_dwordx4 s[4:7], s[0:1], 0x48
	s_abs_i32 s9, s3
	s_ashr_i32 s8, s3, 31
	v_and_b32_e32 v88, 15, v0
	s_waitcnt lgkmcnt(0)
	s_abs_i32 s10, s21
	v_cvt_f32_u32_e32 v1, s10
	s_sub_i32 s12, 0, s10
	s_ashr_i32 s11, s21, 31
	s_xor_b32 s8, s8, s11
	v_rcp_iflag_f32_e32 v1, v1
	v_bfe_u32 v87, v0, 4, 2
	v_mov_b32_e32 v35, 0
	v_lshlrev_b32_e32 v89, 3, v0
	v_mul_f32_e32 v1, 0x4f7ffffe, v1
	v_cvt_u32_f32_e32 v1, v1
	s_nop 0
	v_readfirstlane_b32 s13, v1
	s_mul_i32 s12, s12, s13
	s_mul_hi_u32 s12, s13, s12
	s_add_i32 s13, s13, s12
	s_mul_hi_u32 s12, s9, s13
	s_mul_i32 s13, s12, s10
	s_sub_i32 s9, s9, s13
	s_add_i32 s14, s12, 1
	s_sub_i32 s13, s9, s10
	s_cmp_ge_u32 s9, s10
	s_cselect_b32 s12, s14, s12
	s_cselect_b32 s9, s13, s9
	s_add_i32 s13, s12, 1
	s_cmp_ge_u32 s9, s10
	s_cselect_b32 s9, s13, s12
	s_xor_b32 s9, s9, s8
	s_sub_i32 s28, s9, s8
	s_mul_i32 s12, s28, s21
	s_ashr_i32 s29, s28, 31
	s_sub_i32 s51, s3, s12
	s_lshl_b64 s[8:9], s[28:29], 2
	s_add_u32 s4, s4, s8
	s_addc_u32 s5, s5, s9
	s_add_u32 s30, s6, s8
	s_addc_u32 s31, s7, s9
	s_abs_i32 s3, s22
	v_cvt_f32_u32_e32 v1, s3
	s_load_dwordx2 s[38:39], s[4:5], 0x0
	s_sub_i32 s5, 0, s3
	s_lshl_b32 s2, s2, 6
	v_rcp_iflag_f32_e32 v1, v1
	v_or_b32_e32 v76, s2, v88
	s_waitcnt lgkmcnt(0)
	s_sub_i32 s54, s39, s38
	s_ashr_i32 s4, s54, 31
	v_mul_f32_e32 v1, 0x4f7ffffe, v1
	v_cvt_u32_f32_e32 v1, v1
	s_lshr_b32 s4, s4, 26
	s_add_i32 s4, s54, s4
	s_ashr_i32 s53, s4, 6
	v_readfirstlane_b32 s6, v1
	s_mul_i32 s5, s5, s6
	s_mul_hi_u32 s5, s6, s5
	s_add_i32 s6, s6, s5
	s_mul_hi_u32 s5, s10, s6
	s_mul_i32 s6, s5, s3
	s_ashr_i32 s4, s22, 31
	s_sub_i32 s6, s10, s6
	s_xor_b32 s4, s11, s4
	s_add_i32 s7, s5, 1
	s_sub_i32 s8, s6, s3
	s_cmp_ge_u32 s6, s3
	s_cselect_b32 s5, s7, s5
	s_cselect_b32 s6, s8, s6
	s_add_i32 s7, s5, 1
	s_cmp_ge_u32 s6, s3
	s_cselect_b32 s3, s7, s5
	s_xor_b32 s3, s3, s4
	s_sub_i32 s3, s3, s4
	s_abs_i32 s13, s3
	v_cvt_f32_u32_e32 v1, s13
	s_sub_i32 s15, 0, s13
	s_abs_i32 s14, s51
	s_xor_b32 s3, s51, s3
	v_rcp_iflag_f32_e32 v2, v1
	s_ashr_i32 s3, s3, 31
	s_load_dwordx8 s[4:11], s[0:1], 0x28
	v_lshrrev_b32_e32 v1, 6, v0
	v_mul_f32_e32 v2, 0x4f7ffffe, v2
	v_cvt_u32_f32_e32 v2, v2
	v_lshlrev_b32_e32 v36, 7, v76
	v_lshlrev_b32_e32 v86, 4, v1
	v_or_b32_e32 v38, 0x800, v36
	v_readfirstlane_b32 s16, v2
	s_mul_i32 s15, s15, s16
	s_mul_hi_u32 s15, s16, s15
	s_add_i32 s16, s16, s15
	s_mul_hi_u32 s15, s14, s16
	s_mul_i32 s16, s15, s13
	s_sub_i32 s14, s14, s16
	s_add_i32 s16, s15, 1
	s_sub_i32 s17, s14, s13
	s_cmp_ge_u32 s14, s13
	s_cselect_b32 s15, s16, s15
	s_cselect_b32 s14, s17, s14
	s_add_i32 s16, s15, 1
	s_cmp_ge_u32 s14, s13
	s_cselect_b32 s13, s16, s15
	s_xor_b32 s13, s13, s3
	s_sub_i32 s55, s13, s3
	s_ashr_i32 s52, s51, 31
	s_mul_hi_i32 s3, s28, s21
	s_add_u32 s12, s12, s51
	s_addc_u32 s13, s3, s52
	s_lshl_b64 s[34:35], s[12:13], 15
	s_waitcnt lgkmcnt(0)
	s_add_u32 s4, s4, s34
	v_lshl_or_b32 v91, v87, 2, v86
	s_addc_u32 s5, s5, s35
	v_ashrrev_i32_e32 v37, 31, v36
	v_ashrrev_i32_e32 v39, 31, v38
	v_lshl_add_u64 v[2:3], v[36:37], 1, s[4:5]
	v_lshlrev_b32_e32 v34, 1, v91
	v_lshl_add_u64 v[6:7], v[38:39], 1, s[4:5]
	v_or_b32_e32 v40, 0x1000, v36
	v_or_b32_e32 v42, 0x1800, v36
	v_lshl_add_u64 v[2:3], v[2:3], 0, v[34:35]
	v_lshl_add_u64 v[6:7], v[6:7], 0, v[34:35]
	v_ashrrev_i32_e32 v41, 31, v40
	v_ashrrev_i32_e32 v43, 31, v42
	global_load_dwordx2 v[4:5], v[2:3], off
	v_lshl_add_u64 v[14:15], v[42:43], 1, s[4:5]
	global_load_dwordx2 v[2:3], v[2:3], off offset:128
	s_nop 0
	global_load_dwordx2 v[8:9], v[6:7], off
	global_load_dwordx2 v[10:11], v[6:7], off offset:128
	v_lshl_add_u64 v[6:7], v[40:41], 1, s[4:5]
	v_lshl_add_u64 v[6:7], v[6:7], 0, v[34:35]
	;; [unrolled: 1-line block ×3, first 2 shown]
	global_load_dwordx2 v[12:13], v[6:7], off
	v_and_b32_e32 v35, 63, v0
	global_load_dwordx2 v[6:7], v[6:7], off offset:128
	s_nop 0
	global_load_dwordx2 v[16:17], v[14:15], off
	global_load_dwordx2 v[18:19], v[14:15], off offset:128
	s_load_dwordx8 s[12:19], s[0:1], 0x0
	s_load_dwordx2 s[36:37], s[0:1], 0x80
	s_load_dwordx4 s[24:27], s[0:1], 0x70
	s_load_dword s58, s[30:31], 0x0
	v_lshrrev_b32_e32 v90, 3, v35
	v_or_b32_e32 v92, 64, v91
	s_mul_hi_i32 s56, s51, s20
	s_waitcnt lgkmcnt(0)
	s_mul_i32 s33, s28, s25
	s_mul_hi_u32 s47, s28, s24
	s_mul_i32 s46, s29, s24
	s_mul_i32 s57, s51, s20
	s_cmp_lt_i32 s54, 64
	s_mul_i32 s42, s28, s24
	s_mul_i32 s48, s51, s27
	s_mul_hi_u32 s49, s51, s26
	s_mul_i32 s50, s52, s26
	s_mul_i32 s40, s51, s26
	s_waitcnt vmcnt(7)
	v_and_b32_e32 v71, 0xffff0000, v4
	v_lshlrev_b32_e32 v70, 16, v4
	v_and_b32_e32 v75, 0xffff0000, v5
	v_lshlrev_b32_e32 v74, 16, v5
	s_waitcnt vmcnt(6)
	v_and_b32_e32 v69, 0xffff0000, v2
	v_lshlrev_b32_e32 v68, 16, v2
	v_and_b32_e32 v73, 0xffff0000, v3
	v_lshlrev_b32_e32 v72, 16, v3
	;; [unrolled: 5-line block ×8, first 2 shown]
	s_cbranch_scc1 .LBB33_18
; %bb.1:
	s_ashr_i32 s1, s38, 31
	s_add_u32 s0, s57, s38
	s_addc_u32 s1, s56, s1
	s_lshl_b64 s[0:1], s[0:1], 8
	v_and_b32_e32 v94, 56, v89
	s_add_u32 s24, s14, s0
	v_lshl_or_b32 v93, v1, 3, v90
	v_lshlrev_b32_e32 v2, 1, v94
	s_addc_u32 s0, s15, s1
	v_lshl_or_b32 v95, v93, 8, v2
	s_and_b32 s25, s0, 0xffff
	s_mov_b32 s27, 0x20000
	s_movk_i32 s26, 0x4000
	s_movk_i32 s0, 0x80
	v_or_b32_e32 v96, 0x2000, v95
	buffer_load_dwordx4 v[4:7], v95, s[24:27], 0 offen
	buffer_load_dwordx4 v[8:11], v95, s[24:27], s0 offen
	;; [unrolled: 1-line block ×4, first 2 shown]
	v_lshlrev_b32_e32 v3, 3, v93
	v_and_or_b32 v21, v0, 7, v3
	v_and_b32_e32 v3, 0x78, v3
	v_lshlrev_b32_e32 v21, 4, v21
	v_xor_b32_e32 v97, v21, v3
	v_mul_lo_u32 v20, v93, s23
	v_or_b32_e32 v98, 0x1000, v97
	v_xor_b32_e32 v3, 8, v97
	s_cmpk_eq_i32 s23, 0x80
	s_mov_b32 s59, s38
	v_xor_b32_e32 v21, 8, v98
	s_cselect_b64 s[0:1], -1, 0
	s_cmpk_lg_i32 s23, 0x80
	s_waitcnt vmcnt(3)
	ds_write_b64 v97, v[4:5] offset:49152
	ds_write_b64 v3, v[6:7] offset:49152
	s_waitcnt vmcnt(2)
	ds_write_b64 v97, v[8:9] offset:57344
	ds_write_b64 v3, v[10:11] offset:57344
	;; [unrolled: 3-line block ×4, first 2 shown]
	v_lshl_add_u32 v3, v20, 1, v94
	s_cbranch_scc0 .LBB33_3
; %bb.2:
	v_lshlrev_b32_e32 v5, 1, v3
	v_add_lshl_u32 v4, v3, s23, 1
	s_lshl_b32 s26, s23, 7
	v_lshl_or_b32 v2, v93, 9, v2
	s_cbranch_execz .LBB33_4
	s_branch .LBB33_5
.LBB33_3:
                                        ; implicit-def: $vgpr4
                                        ; implicit-def: $vgpr5
                                        ; implicit-def: $sgpr26
	v_lshl_or_b32 v2, v93, 9, v2
.LBB33_4:
	v_or_b32_e32 v4, 0x100, v2
	s_movk_i32 s26, 0x4000
	v_mov_b32_e32 v5, v2
.LBB33_5:
	s_mul_i32 s4, s38, s22
	s_ashr_i32 s60, s55, 31
	s_mul_hi_i32 s3, s38, s22
	s_add_u32 s4, s4, s55
	s_addc_u32 s5, s3, s60
	s_lshl_b64 s[4:5], s[4:5], 8
	s_add_u32 s24, s12, s4
	s_addc_u32 s3, s13, s5
	s_and_b32 s25, s3, 0xffff
	s_movk_i32 s61, 0x80
	buffer_load_dwordx4 v[6:9], v5, s[24:27], 0 offen
	buffer_load_dwordx4 v[10:13], v5, s[24:27], s61 offen
	;; [unrolled: 1-line block ×4, first 2 shown]
	v_and_b32_e32 v5, 6, v0
	v_lshlrev_b32_e32 v4, 7, v91
	v_xor_b32_e32 v27, v93, v5
	v_and_b32_e32 v22, 1, v0
	v_lshl_or_b32 v30, v88, 3, v4
	v_lshlrev_b32_e32 v27, 2, v27
	v_lshlrev_b32_e32 v23, 2, v88
	v_or_b32_e32 v99, 0x4000, v30
	v_or_b32_e32 v100, 0x6000, v30
	v_xor_b32_e32 v30, 0x440, v27
	v_cmp_eq_u32_e32 vcc, 0, v22
	v_or_b32_e32 v25, 16, v88
	v_or_b32_e32 v26, 32, v88
	v_xor_b32_e32 v28, v91, v23
	v_xor_b32_e32 v29, v92, v23
	v_cndmask_b32_e32 v22, v30, v27, vcc
	s_mov_b32 s62, 0x1000504
	v_lshl_or_b32 v31, v25, 3, v4
	v_lshlrev_b32_e32 v25, 8, v25
	v_lshl_or_b32 v32, v26, 3, v4
	v_lshlrev_b32_e32 v28, 1, v28
	v_lshlrev_b32_e32 v29, 1, v29
	v_lshl_or_b32 v5, v5, 10, v22
	s_add_i32 s3, s47, s33
	s_mov_b32 s63, 0x3020706
	v_lshlrev_b32_e32 v24, 8, v88
	v_or_b32_e32 v103, 0x4000, v32
	v_or_b32_e32 v104, 0x6000, v32
	;; [unrolled: 1-line block ×4, first 2 shown]
	v_xor_b32_e32 v22, 8, v5
	v_xor_b32_e32 v25, 24, v5
	;; [unrolled: 1-line block ×4, first 2 shown]
	s_add_i32 s43, s3, s46
	s_add_i32 s3, s49, s48
	v_or_b32_e32 v101, 0x4000, v31
	v_or_b32_e32 v102, 0x6000, v31
	;; [unrolled: 1-line block ×4, first 2 shown]
	v_xor_b32_e32 v24, 16, v5
	v_xor_b32_e32 v27, 32, v5
	;; [unrolled: 1-line block ×3, first 2 shown]
	v_add_u32_e32 v22, 0x80, v22
	v_add_u32_e32 v25, 0x80, v25
	;; [unrolled: 1-line block ×4, first 2 shown]
	s_add_i32 s41, s3, s50
	s_lshl_b64 s[4:5], s[42:43], 2
	s_add_u32 s3, s18, s4
	s_addc_u32 s24, s19, s5
	s_lshl_b64 s[4:5], s[40:41], 2
	s_add_u32 s4, s3, s4
	s_movk_i32 s3, 0xf8
	s_addc_u32 s5, s24, s5
	s_lshl_b32 s30, s23, 7
	s_movk_i32 s28, 0x100
	v_mov_b32_e32 v79, 0
	v_lshlrev_b32_e32 v78, 4, v88
	v_cmp_gt_u32_e32 vcc, s28, v0
	v_lshlrev_b32_e32 v26, 8, v26
	s_mov_b32 s64, 0
	s_movk_i32 s26, 0x4000
	v_or_b32_e32 v109, v26, v28
	v_or_b32_e32 v110, v26, v29
	s_movk_i32 s41, 0x2000
	s_movk_i32 s43, 0x3000
	s_waitcnt vmcnt(1)
	v_perm_b32 v33, v6, v14, s62
	s_waitcnt vmcnt(0)
	v_perm_b32 v77, v10, v18, s62
	v_perm_b32 v6, v6, v14, s63
	;; [unrolled: 1-line block ×15, first 2 shown]
	ds_write2st64_b32 v5, v33, v77 offset0:128 offset1:160
	ds_write2st64_b32 v22, v6, v10 offset0:128 offset1:160
	;; [unrolled: 1-line block ×8, first 2 shown]
	v_or_b32_e32 v5, 48, v88
	v_lshl_or_b32 v6, v5, 3, v4
	v_lshlrev_b32_e32 v5, 8, v5
	v_or_b32_e32 v113, v5, v28
	v_or_b32_e32 v114, v5, v29
	;; [unrolled: 1-line block ×3, first 2 shown]
	v_lshlrev_b32_e32 v5, 3, v5
	v_lshrrev_b32_e32 v7, 5, v35
	v_and_or_b32 v7, v5, s3, v7
	v_lshlrev_b32_e32 v7, 4, v7
	v_lshlrev_b32_e32 v8, 11, v1
	v_and_b32_e32 v5, 0x78, v5
	v_or_b32_e32 v13, 32, v7
	v_or_b32_e32 v111, 0x4000, v6
	;; [unrolled: 1-line block ×3, first 2 shown]
	v_and_b32_e32 v6, 0x1000, v8
	v_xor_b32_e32 v9, v7, v5
	v_lshrrev_b32_e32 v10, 1, v0
	v_xor_b32_e32 v13, v13, v5
	v_or_b32_e32 v9, v9, v6
	v_and_b32_e32 v11, 8, v10
	v_or_b32_e32 v13, v13, v6
	v_xor_b32_e32 v115, v9, v11
	v_lshlrev_b32_e32 v9, 8, v87
	v_xor_b32_e32 v117, v13, v11
	v_or_b32_e32 v13, 64, v7
	v_or_b32_e32 v7, 0x60, v7
	s_ashr_i32 s3, s2, 31
	v_or_b32_e32 v12, v9, v23
	v_xor_b32_e32 v13, v13, v5
	v_xor_b32_e32 v5, v7, v5
	s_lshl_b64 s[24:25], s[2:3], 8
	v_lshlrev_b32_e32 v12, 1, v12
	v_or_b32_e32 v13, v13, v6
	v_or_b32_e32 v5, v5, v6
	s_add_u32 s24, s6, s24
	v_lshlrev_b32_e32 v6, 1, v88
	v_or_b32_e32 v116, 0x4000, v12
	v_or_b32_e32 v118, 0x4080, v12
	;; [unrolled: 1-line block ×8, first 2 shown]
	v_lshrrev_b32_e32 v12, 4, v0
	s_addc_u32 s25, s7, s25
	v_or_b32_e32 v7, 1, v6
	v_mov_b32_e32 v16, 0xa000
	v_mov_b32_e32 v17, 0x8000
	v_xor_b32_e32 v121, v13, v11
	v_xor_b32_e32 v13, v12, v6
	;; [unrolled: 1-line block ×3, first 2 shown]
	v_lshl_add_u64 v[6:7], s[24:25], 0, v[78:79]
	v_lshlrev_b32_e32 v78, 8, v12
	v_cndmask_b32_e32 v16, v16, v17, vcc
	v_lshlrev_b32_e32 v17, 3, v1
	v_and_b32_e32 v10, 24, v10
	v_lshl_or_b32 v127, v13, 3, v78
	v_and_b32_e32 v13, 8, v0
	v_xor_b32_e32 v18, v17, v10
	v_or_b32_e32 v19, 0x440, v18
	v_cmp_eq_u32_e32 vcc, 0, v13
	v_and_b32_e32 v12, 7, v0
	v_lshl_or_b32 v128, v14, 3, v78
	v_cndmask_b32_e32 v13, v19, v18, vcc
	v_lshlrev_b32_e32 v14, 3, v12
	v_lshlrev_b32_e32 v12, 7, v12
	v_or_b32_e32 v13, v13, v8
	v_lshlrev_b32_e32 v15, 2, v0
	v_xad_u32 v129, v13, v14, v12
	v_or_b32_e32 v13, 32, v10
	v_and_or_b32 v9, v15, 60, v9
	v_xor_b32_e32 v13, v17, v13
	v_lshlrev_b32_e32 v9, 1, v9
	v_or_b32_e32 v15, 0x440, v13
	v_or_b32_e32 v130, 0x6000, v9
	v_cndmask_b32_e32 v13, v15, v13, vcc
	v_or_b32_e32 v132, 0x6080, v9
	v_or_b32_e32 v133, 0x6100, v9
	;; [unrolled: 1-line block ×5, first 2 shown]
	v_xor_b32_e32 v9, v17, v9
	v_xad_u32 v131, v13, v14, v12
	v_xor_b32_e32 v13, 0x440, v9
	v_cndmask_b32_e32 v9, v13, v9, vcc
	v_or_b32_e32 v9, v9, v8
	v_xad_u32 v135, v9, v14, v12
	v_or_b32_e32 v9, 0x60, v10
	v_xor_b32_e32 v9, v17, v9
	v_xor_b32_e32 v10, 0x440, v9
	v_cndmask_b32_e32 v9, v10, v9, vcc
	v_xor_b32_e32 v122, v5, v11
	v_ashrrev_i32_e32 v77, 31, v76
	v_lshlrev_b32_e32 v5, 1, v3
	v_add_lshl_u32 v3, v3, s23, 1
	v_or_b32_e32 v11, 0x100, v2
	v_or_b32_e32 v8, v9, v8
	v_xad_u32 v136, v8, v14, v12
	v_cndmask_b32_e64 v137, v5, v2, s[0:1]
	v_cndmask_b32_e64 v138, v3, v11, s[0:1]
	v_lshlrev_b64 v[2:3], 1, v[76:77]
	v_lshl_add_u64 v[80:81], s[16:17], 0, v[2:3]
	v_lshl_add_u64 v[82:83], s[8:9], 0, v[2:3]
	;; [unrolled: 1-line block ×3, first 2 shown]
	s_mov_b32 s3, 0x7060302
	v_lshlrev_b32_e32 v78, 1, v4
	v_add_u32_e32 v77, v16, v129
	v_add_u32_e32 v139, v16, v131
	;; [unrolled: 1-line block ×4, first 2 shown]
	s_waitcnt lgkmcnt(0)
	s_barrier
.LBB33_6:                               ; =>This Inner Loop Header: Depth=1
	s_add_i32 s65, s64, 1
	s_cmp_lt_i32 s65, s53
	s_mov_b64 s[28:29], 0
	s_cselect_b64 s[44:45], -1, 0
	s_cmp_ge_i32 s65, s53
	s_mov_b64 s[24:25], 0
	s_cbranch_scc1 .LBB33_8
; %bb.7:                                ;   in Loop: Header=BB33_6 Depth=1
	s_add_i32 s0, s59, 64
	s_ashr_i32 s1, s0, 31
	s_add_u32 s0, s57, s0
	s_addc_u32 s1, s56, s1
	s_lshl_b64 s[0:1], s[0:1], 8
	s_add_u32 s24, s14, s0
	s_addc_u32 s25, s15, s1
.LBB33_8:                               ;   in Loop: Header=BB33_6 Depth=1
	v_cndmask_b32_e64 v2, 0, 1, s[44:45]
	v_cmp_ne_u32_e64 s[0:1], 1, v2
	s_andn2_b64 vcc, exec, s[44:45]
	s_cbranch_vccnz .LBB33_10
; %bb.9:                                ;   in Loop: Header=BB33_6 Depth=1
	s_add_i32 s28, s59, 64
	s_mul_hi_i32 s29, s28, s22
	s_mul_i32 s28, s28, s22
	s_add_u32 s28, s28, s55
	s_addc_u32 s29, s29, s60
	s_lshl_b64 s[28:29], s[28:29], 8
	s_add_u32 s28, s12, s28
	s_addc_u32 s29, s13, s29
.LBB33_10:                              ;   in Loop: Header=BB33_6 Depth=1
	v_perm_b32 v3, v75, v74, s3
	v_perm_b32 v2, v71, v70, s3
	v_perm_b32 v5, v73, v72, s3
	v_perm_b32 v4, v69, v68, s3
	ds_write_b64 v99, v[2:3]
	ds_write_b64 v100, v[4:5]
	ds_write_b64 v105, v[2:3]
	ds_write_b64 v106, v[4:5]
	v_perm_b32 v3, v67, v66, s3
	v_perm_b32 v2, v63, v62, s3
	v_perm_b32 v5, v65, v64, s3
	v_perm_b32 v4, v61, v60, s3
	ds_write_b64 v101, v[2:3]
	ds_write_b64 v102, v[4:5]
	ds_write_b64 v107, v[2:3]
	ds_write_b64 v108, v[4:5]
	v_perm_b32 v3, v59, v58, s3
	v_perm_b32 v2, v55, v54, s3
	v_perm_b32 v5, v57, v56, s3
	v_perm_b32 v4, v51, v50, s3
	ds_write_b64 v103, v[2:3]
	ds_write_b64 v104, v[4:5]
	ds_write_b64 v109, v[2:3]
	ds_write_b64 v110, v[4:5]
	v_perm_b32 v3, v53, v52, s3
	v_perm_b32 v2, v47, v46, s3
	v_perm_b32 v5, v49, v48, s3
	v_perm_b32 v4, v45, v44, s3
	ds_write_b64 v111, v[2:3]
	ds_write_b64 v112, v[4:5]
	ds_write_b64 v113, v[2:3]
	ds_write_b64 v114, v[4:5]
	s_waitcnt lgkmcnt(0)
	s_barrier
	ds_read_b64 v[6:7], v115 offset:49152
	ds_read2_b64 v[2:5], v116 offset1:16
	ds_read_b64 v[18:19], v118 offset:6144
	ds_read_b64 v[20:21], v116 offset:6144
	s_waitcnt lgkmcnt(2)
	v_mfma_f32_16x16x16_bf16 a[0:3], v[6:7], v[2:3], 0
	ds_read_b64 v[22:23], v117 offset:49152
	ds_read2st64_b64 v[10:13], v119 offset0:4 offset1:8
	ds_read2st64_b64 v[14:17], v120 offset0:4 offset1:8
	v_mfma_f32_16x16x16_bf16 a[4:7], v[6:7], v[4:5], 0
	ds_read2_b64 v[2:5], v116 offset0:32 offset1:48
	s_add_i32 s31, s59, 63
	s_ashr_i32 s44, s31, 31
	s_waitcnt lgkmcnt(0)
	v_mfma_f32_16x16x16_bf16 a[8:11], v[6:7], v[2:3], 0
	s_mul_i32 s45, s31, s37
	s_mul_hi_u32 s66, s31, s36
	s_add_i32 s45, s66, s45
	v_mfma_f32_16x16x16_bf16 a[12:15], v[6:7], v[4:5], 0
	ds_read2st64_b64 v[2:5], v116 offset0:4 offset1:8
	ds_read2st64_b64 v[6:9], v118 offset0:4 offset1:8
	s_mul_i32 s44, s44, s36
	s_waitcnt lgkmcnt(1)
	v_mfma_f32_16x16x16_bf16 a[0:3], v[22:23], v[2:3], a[0:3]
	s_add_i32 s45, s45, s44
	s_mul_i32 s44, s31, s36
	s_lshl_b64 s[44:45], s[44:45], 2
	s_waitcnt lgkmcnt(0)
	v_mfma_f32_16x16x16_bf16 a[4:7], v[22:23], v[6:7], a[4:7]
	s_add_u32 s44, s4, s44
	s_addc_u32 s45, s5, s45
	s_and_b64 vcc, exec, s[0:1]
	v_mfma_f32_16x16x16_bf16 a[8:11], v[22:23], v[10:11], a[8:11]
	ds_read_b64 v[2:3], v121 offset:49152
	ds_read_b64 v[6:7], v122 offset:49152
	;; [unrolled: 1-line block ×3, first 2 shown]
	v_mov_b32_e32 v144, 0
	v_mov_b32_e32 v143, 0
	v_mfma_f32_16x16x16_bf16 a[12:15], v[22:23], v[14:15], a[12:15]
	v_mov_b32_e32 v142, 0
	v_mov_b32_e32 v14, 0
	;; [unrolled: 1-line block ×3, first 2 shown]
	s_waitcnt lgkmcnt(2)
	v_mfma_f32_16x16x16_bf16 a[0:3], v[2:3], v[4:5], a[0:3]
	v_mov_b32_e32 v4, 0
	v_mov_b32_e32 v5, 0
	v_mfma_f32_16x16x16_bf16 a[16:19], v[2:3], v[8:9], a[4:7]
	v_mov_b32_e32 v8, 0
	v_mov_b32_e32 v9, 0
	;; [unrolled: 3-line block ×3, first 2 shown]
	v_mfma_f32_16x16x16_bf16 a[24:27], v[2:3], v[16:17], a[12:15]
	ds_read_b64 v[2:3], v119 offset:6144
	v_mov_b32_e32 v16, 0
	v_mov_b32_e32 v17, 0
	s_waitcnt lgkmcnt(2)
	v_mfma_f32_16x16x16_bf16 a[4:7], v[6:7], v[20:21], a[0:3]
	v_mfma_f32_16x16x16_bf16 a[8:11], v[6:7], v[18:19], a[16:19]
	s_waitcnt lgkmcnt(0)
	v_mfma_f32_16x16x16_bf16 a[12:15], v[6:7], v[2:3], a[20:23]
	v_mov_b32_e32 v2, 0
	v_mov_b32_e32 v3, 0
	v_mfma_f32_16x16x16_bf16 a[0:3], v[6:7], v[10:11], a[24:27]
	v_mov_b32_e32 v6, 0
	v_mov_b32_e32 v7, 0
	;; [unrolled: 1-line block ×4, first 2 shown]
	s_cbranch_vccnz .LBB33_12
; %bb.11:                               ;   in Loop: Header=BB33_6 Depth=1
	s_and_b32 s25, s25, 0xffff
	buffer_load_dwordx4 v[14:17], v95, s[24:27], 0 offen
	buffer_load_dwordx4 v[10:13], v95, s[24:27], s61 offen
	;; [unrolled: 1-line block ×4, first 2 shown]
	v_mov_b32_e32 v143, v97
	v_mov_b32_e32 v142, v98
.LBB33_12:                              ;   in Loop: Header=BB33_6 Depth=1
	ds_read_b64 v[30:31], v115 offset:57344
	ds_read2_b64 v[18:21], v123 offset1:16
	ds_read_b64 v[146:147], v117 offset:57344
	ds_read_b64 v[148:149], v121 offset:57344
	;; [unrolled: 1-line block ×3, first 2 shown]
	v_add_u32_e32 v32, s59, v91
	s_waitcnt lgkmcnt(3)
	v_mfma_f32_16x16x16_bf16 a[4:7], v[30:31], v[18:19], a[4:7]
	v_mfma_f32_16x16x16_bf16 a[8:11], v[30:31], v[20:21], a[8:11]
	ds_read2_b64 v[18:21], v123 offset0:32 offset1:48
	ds_read2st64_b64 v[22:25], v123 offset0:4 offset1:8
	ds_read2st64_b64 v[26:29], v124 offset0:4 offset1:8
	s_waitcnt lgkmcnt(2)
	v_mfma_f32_16x16x16_bf16 a[12:15], v[30:31], v[18:19], a[12:15]
	v_ashrrev_i32_e32 v18, 31, v32
	v_mul_lo_u32 v33, v18, s36
	v_mad_u64_u32 v[18:19], s[24:25], v32, s36, 0
	v_mfma_f32_16x16x16_bf16 a[0:3], v[30:31], v[20:21], a[0:3]
	v_mul_lo_u32 v20, v32, s37
	v_add3_u32 v19, v19, v20, v33
	v_add_u32_e32 v20, 1, v32
	v_ashrrev_i32_e32 v21, 31, v20
	s_waitcnt lgkmcnt(1)
	v_mfma_f32_16x16x16_bf16 a[4:7], v[146:147], v[22:23], a[4:7]
	v_mul_lo_u32 v22, v21, s36
	v_mul_lo_u32 v23, v20, s37
	v_mad_u64_u32 v[20:21], s[24:25], v20, s36, 0
	v_add3_u32 v21, v21, v23, v22
	v_add_u32_e32 v22, 2, v32
	v_ashrrev_i32_e32 v23, 31, v22
	v_mul_lo_u32 v30, v23, s36
	v_mul_lo_u32 v31, v22, s37
	v_mad_u64_u32 v[22:23], s[24:25], v22, s36, 0
	v_add3_u32 v23, v23, v31, v30
	v_add_u32_e32 v30, 3, v32
	v_ashrrev_i32_e32 v31, 31, v30
	v_mul_lo_u32 v32, v31, s36
	v_mul_lo_u32 v33, v30, s37
	v_mad_u64_u32 v[30:31], s[24:25], v30, s36, 0
	s_ashr_i32 s25, s59, 31
	s_add_u32 s24, s57, s59
	s_addc_u32 s25, s56, s25
	v_lshl_add_u64 v[18:19], v[18:19], 2, s[4:5]
	v_add3_u32 v31, v31, v33, v32
	s_lshl_b64 s[24:25], s[24:25], 8
	v_lshl_add_u64 v[20:21], v[20:21], 2, s[4:5]
	v_lshl_add_u64 v[22:23], v[22:23], 2, s[4:5]
	;; [unrolled: 1-line block ×3, first 2 shown]
	global_load_dword v145, v[18:19], off
	global_load_dword v152, v[20:21], off
	;; [unrolled: 1-line block ×4, first 2 shown]
	v_lshl_add_u64 v[18:19], v[80:81], 0, s[24:25]
	v_lshl_add_u64 v[22:23], v[18:19], 0, v[78:79]
	global_load_ushort v155, v[22:23], off offset:256
	global_load_ushort v156, v[22:23], off
	ds_read2st64_b64 v[18:21], v125 offset0:4 offset1:8
	global_load_ushort v157, v[22:23], off offset:768
	global_load_ushort v158, v[22:23], off offset:512
	ds_read2st64_b64 v[30:33], v126 offset0:4 offset1:8
	global_load_ushort v159, v[22:23], off offset:288
	global_load_ushort v160, v[22:23], off offset:32
	global_load_ushort v161, v[22:23], off offset:800
	global_load_ushort v162, v[22:23], off offset:544
	s_waitcnt lgkmcnt(2)
	v_mfma_f32_16x16x16_bf16 a[8:11], v[146:147], v[26:27], a[8:11]
	global_load_ushort v163, v[22:23], off offset:320
	global_load_ushort v164, v[22:23], off offset:64
	global_load_ushort v165, v[22:23], off offset:832
	global_load_ushort v166, v[22:23], off offset:576
	s_and_b64 vcc, exec, s[0:1]
	s_waitcnt lgkmcnt(1)
	v_mfma_f32_16x16x16_bf16 a[12:15], v[146:147], v[18:19], a[12:15]
	ds_read_b64 v[18:19], v123 offset:6144
	s_waitcnt lgkmcnt(1)
	v_mfma_f32_16x16x16_bf16 a[0:3], v[146:147], v[30:31], a[0:3]
	v_lshl_add_u64 v[30:31], v[82:83], 0, s[24:25]
	v_lshl_add_u64 v[30:31], v[30:31], 0, v[78:79]
	v_mfma_f32_16x16x16_bf16 a[4:7], v[148:149], v[24:25], a[4:7]
	v_mfma_f32_16x16x16_bf16 a[8:11], v[148:149], v[28:29], a[8:11]
	;; [unrolled: 1-line block ×4, first 2 shown]
	global_load_ushort v148, v[22:23], off offset:352
	global_load_ushort v149, v[22:23], off offset:96
	ds_read_b64 v[20:21], v124 offset:6144
	ds_read_b64 v[24:25], v125 offset:6144
	;; [unrolled: 1-line block ×3, first 2 shown]
	s_load_dword s44, s[44:45], 0x0
	global_load_ushort v167, v[22:23], off offset:864
	global_load_ushort v168, v[22:23], off offset:608
	s_waitcnt lgkmcnt(0)
	v_mfma_f32_16x16x16_bf16 a[4:7], v[150:151], v[18:19], a[4:7]
	s_waitcnt vmcnt(17)
	v_sub_f32_e32 v28, s44, v153
	v_mfma_f32_16x16x16_bf16 a[0:3], v[150:151], v[26:27], a[0:3]
	v_sub_f32_e32 v26, s44, v145
	v_sub_f32_e32 v27, s44, v152
	s_waitcnt vmcnt(16)
	v_sub_f32_e32 v29, s44, v154
	v_mfma_f32_16x16x16_bf16 a[8:11], v[150:151], v[20:21], a[8:11]
	v_exp_f32_e32 v26, v26
	v_exp_f32_e32 v27, v27
	;; [unrolled: 1-line block ×4, first 2 shown]
	v_accvgpr_read_b32 v147, a5
	s_waitcnt vmcnt(15)
	v_lshlrev_b32_e32 v33, 16, v155
	s_waitcnt vmcnt(14)
	v_lshlrev_b32_e32 v32, 16, v156
	v_accvgpr_read_b32 v146, a4
	v_accvgpr_read_b32 v19, a7
	;; [unrolled: 1-line block ×3, first 2 shown]
	v_pk_add_f32 v[32:33], v[32:33], v[146:147] neg_lo:[0,1] neg_hi:[0,1]
	s_waitcnt vmcnt(13)
	v_lshlrev_b32_e32 v147, 16, v157
	s_waitcnt vmcnt(12)
	v_lshlrev_b32_e32 v146, 16, v158
	v_pk_add_f32 v[18:19], v[146:147], v[18:19] neg_lo:[0,1] neg_hi:[0,1]
	global_store_short_d16_hi v[30:31], v32, off
	global_store_short_d16_hi v[30:31], v33, off offset:256
	global_store_short_d16_hi v[30:31], v18, off offset:512
	;; [unrolled: 1-line block ×3, first 2 shown]
	v_pk_mul_f32 v[32:33], v[26:27], v[32:33]
	v_pk_mul_f32 v[18:19], v[28:29], v[18:19]
	v_accvgpr_read_b32 v147, a9
	v_perm_b32 v32, v33, v32, s3
	v_perm_b32 v33, v19, v18, s3
	s_waitcnt vmcnt(15)
	v_lshlrev_b32_e32 v19, 16, v159
	s_waitcnt vmcnt(14)
	v_lshlrev_b32_e32 v18, 16, v160
	v_accvgpr_read_b32 v146, a8
	v_accvgpr_read_b32 v21, a11
	v_mfma_f32_16x16x16_bf16 a[12:15], v[150:151], v[24:25], a[12:15]
	v_accvgpr_read_b32 v20, a10
	v_pk_add_f32 v[18:19], v[18:19], v[146:147] neg_lo:[0,1] neg_hi:[0,1]
	s_waitcnt vmcnt(13)
	v_lshlrev_b32_e32 v147, 16, v161
	s_waitcnt vmcnt(12)
	v_lshlrev_b32_e32 v146, 16, v162
	v_pk_add_f32 v[20:21], v[146:147], v[20:21] neg_lo:[0,1] neg_hi:[0,1]
	global_store_short_d16_hi v[30:31], v18, off offset:32
	global_store_short_d16_hi v[30:31], v19, off offset:288
	;; [unrolled: 1-line block ×4, first 2 shown]
	v_pk_mul_f32 v[18:19], v[26:27], v[18:19]
	v_pk_mul_f32 v[20:21], v[28:29], v[20:21]
	v_accvgpr_read_b32 v23, a15
	v_perm_b32 v21, v21, v20, s3
	v_perm_b32 v20, v19, v18, s3
	ds_write2_b64 v100, v[32:33], v[20:21] offset1:16
	v_accvgpr_read_b32 v21, a13
	s_waitcnt vmcnt(15)
	v_lshlrev_b32_e32 v19, 16, v163
	s_waitcnt vmcnt(14)
	v_lshlrev_b32_e32 v18, 16, v164
	v_accvgpr_read_b32 v20, a12
	v_accvgpr_read_b32 v22, a14
	v_pk_add_f32 v[18:19], v[18:19], v[20:21] neg_lo:[0,1] neg_hi:[0,1]
	s_waitcnt vmcnt(13)
	v_lshlrev_b32_e32 v21, 16, v165
	s_waitcnt vmcnt(12)
	v_lshlrev_b32_e32 v20, 16, v166
	v_pk_add_f32 v[20:21], v[20:21], v[22:23] neg_lo:[0,1] neg_hi:[0,1]
	global_store_short_d16_hi v[30:31], v18, off offset:64
	global_store_short_d16_hi v[30:31], v19, off offset:320
	;; [unrolled: 1-line block ×4, first 2 shown]
	v_pk_mul_f32 v[18:19], v[26:27], v[18:19]
	v_pk_mul_f32 v[20:21], v[28:29], v[20:21]
	v_accvgpr_read_b32 v23, a1
	v_perm_b32 v18, v19, v18, s3
	v_perm_b32 v19, v21, v20, s3
	s_waitcnt vmcnt(15)
	v_lshlrev_b32_e32 v21, 16, v148
	s_waitcnt vmcnt(14)
	v_lshlrev_b32_e32 v20, 16, v149
	v_accvgpr_read_b32 v22, a0
	v_accvgpr_read_b32 v25, a3
	v_accvgpr_read_b32 v24, a2
	v_pk_add_f32 v[20:21], v[20:21], v[22:23] neg_lo:[0,1] neg_hi:[0,1]
	s_waitcnt vmcnt(13)
	v_lshlrev_b32_e32 v23, 16, v167
	s_waitcnt vmcnt(12)
	v_lshlrev_b32_e32 v22, 16, v168
	v_pk_add_f32 v[22:23], v[22:23], v[24:25] neg_lo:[0,1] neg_hi:[0,1]
	global_store_short_d16_hi v[30:31], v20, off offset:96
	global_store_short_d16_hi v[30:31], v21, off offset:352
	global_store_short_d16_hi v[30:31], v22, off offset:608
	global_store_short_d16_hi v[30:31], v23, off offset:864
	v_pk_mul_f32 v[20:21], v[26:27], v[20:21]
	v_pk_mul_f32 v[22:23], v[28:29], v[22:23]
	v_mov_b32_e32 v145, 0
	v_perm_b32 v23, v23, v22, s3
	v_perm_b32 v22, v21, v20, s3
	ds_write2_b64 v100, v[18:19], v[22:23] offset0:32 offset1:48
	v_mov_b32_e32 v18, 0
	v_mov_b32_e32 v19, 0
	v_mov_b32_e32 v20, 0
	v_mov_b32_e32 v21, 0
	v_mov_b32_e32 v22, 0
	v_mov_b32_e32 v23, 0
	v_mov_b32_e32 v24, 0
	v_mov_b32_e32 v25, 0
	v_mov_b32_e32 v26, 0
	v_mov_b32_e32 v27, 0
	v_mov_b32_e32 v28, 0
	v_mov_b32_e32 v29, 0
	v_mov_b32_e32 v30, 0
	v_mov_b32_e32 v31, 0
	v_mov_b32_e32 v32, 0
	v_mov_b32_e32 v33, 0
	s_cbranch_vccnz .LBB33_14
; %bb.13:                               ;   in Loop: Header=BB33_6 Depth=1
	s_and_b32 s29, s29, 0xffff
	s_mov_b32 s31, s27
	buffer_load_dwordx4 v[30:33], v137, s[28:31], 0 offen
	buffer_load_dwordx4 v[22:25], v137, s[28:31], s61 offen
	;; [unrolled: 1-line block ×4, first 2 shown]
	v_mov_b32_e32 v144, v94
	v_mov_b32_e32 v145, v93
.LBB33_14:                              ;   in Loop: Header=BB33_6 Depth=1
	s_waitcnt lgkmcnt(0)
	s_barrier
	ds_read_b64 v[154:155], v77
	ds_read2_b64 v[146:149], v130 offset1:16
	ds_read_b64 v[170:171], v139
	ds_read_b64 v[172:173], v140
	;; [unrolled: 1-line block ×3, first 2 shown]
	ds_read2_b64 v[150:153], v130 offset0:32 offset1:48
	s_waitcnt lgkmcnt(4)
	v_mfma_f32_16x16x16_bf16 a[0:3], v[154:155], v[146:147], 0
	ds_read2st64_b64 v[158:161], v132 offset0:4 offset1:8
	ds_read2st64_b64 v[162:165], v133 offset0:4 offset1:8
	;; [unrolled: 1-line block ×3, first 2 shown]
	v_mfma_f32_16x16x16_bf16 a[4:7], v[154:155], v[148:149], 0
	s_add_i32 s24, s58, s64
	s_mul_hi_i32 s25, s24, s21
	s_mul_i32 s24, s24, s21
	s_waitcnt lgkmcnt(3)
	v_mfma_f32_16x16x16_bf16 a[8:11], v[154:155], v[150:151], 0
	s_add_u32 s24, s24, s51
	s_addc_u32 s25, s25, s52
	s_lshl_b64 s[24:25], s[24:25], 15
	v_mfma_f32_16x16x16_bf16 a[12:15], v[154:155], v[152:153], 0
	ds_read2st64_b64 v[154:157], v130 offset0:4 offset1:8
	s_waitcnt lgkmcnt(0)
	v_mfma_f32_16x16x16_bf16 a[0:3], v[170:171], v[154:155], a[0:3]
	v_mfma_f32_16x16x16_bf16 a[4:7], v[170:171], v[158:159], a[4:7]
	;; [unrolled: 1-line block ×8, first 2 shown]
	ds_read_b64 v[170:171], v130 offset:6144
	ds_read_b64 v[172:173], v131 offset:40960
	;; [unrolled: 1-line block ×8, first 2 shown]
	s_waitcnt lgkmcnt(5)
	v_mfma_f32_16x16x16_bf16 a[16:19], v[176:177], v[146:147], 0
	v_mfma_f32_16x16x16_bf16 a[20:23], v[176:177], v[148:149], 0
	ds_read2st64_b64 v[146:149], v127 offset1:8
	v_mfma_f32_16x16x16_bf16 a[24:27], v[176:177], v[150:151], 0
	v_mfma_f32_16x16x16_bf16 a[28:31], v[176:177], v[152:153], 0
	ds_read2st64_b64 v[150:153], v128 offset1:8
	v_mfma_f32_16x16x16_bf16 a[16:19], v[172:173], v[154:155], a[16:19]
	s_waitcnt lgkmcnt(1)
	v_mov_b32_e32 v154, v146
	v_mov_b32_e32 v155, v147
	v_mfma_f32_16x16x16_bf16 a[20:23], v[172:173], v[158:159], a[20:23]
	v_lshl_add_u64 v[158:159], v[84:85], 0, s[24:25]
	v_mfma_f32_16x16x16_bf16 a[24:27], v[172:173], v[162:163], a[24:27]
	v_mfma_f32_16x16x16_bf16 a[28:31], v[172:173], v[166:167], a[28:31]
	;; [unrolled: 1-line block ×3, first 2 shown]
	s_waitcnt lgkmcnt(0)
	v_mov_b32_e32 v156, v150
	v_mov_b32_e32 v157, v151
	;; [unrolled: 1-line block ×3, first 2 shown]
	v_mfma_f32_16x16x16_bf16 a[32:35], v[184:185], v[160:161], a[20:23]
	v_mov_b32_e32 v151, v149
	ds_read2st64_b64 v[146:149], v127 offset0:16 offset1:24
	global_store_dwordx4 v[158:159], v[154:157], off
	v_mfma_f32_16x16x16_bf16 a[24:27], v[184:185], v[164:165], a[24:27]
	ds_read2st64_b64 v[154:157], v128 offset0:16 offset1:24
	v_add_co_u32_e32 v160, vcc, s41, v158
	v_mfma_f32_16x16x16_bf16 a[28:31], v[184:185], v[168:169], a[28:31]
	s_nop 0
	v_addc_co_u32_e32 v161, vcc, 0, v159, vcc
	global_store_dwordx4 v[160:161], v[150:153], off offset:-4096
	v_mfma_f32_16x16x16_bf16 a[0:3], v[174:175], v[170:171], a[0:3]
	s_waitcnt lgkmcnt(1)
	v_mov_b32_e32 v150, v146
	v_add_co_u32_e32 v146, vcc, s43, v158
	v_mfma_f32_16x16x16_bf16 a[4:7], v[174:175], v[178:179], a[4:7]
	v_mov_b32_e32 v151, v147
	v_addc_co_u32_e32 v147, vcc, 0, v159, vcc
	v_mfma_f32_16x16x16_bf16 a[8:11], v[174:175], v[180:181], a[8:11]
	s_waitcnt lgkmcnt(0)
	v_mov_b32_e32 v152, v154
	v_mov_b32_e32 v153, v155
	;; [unrolled: 1-line block ×3, first 2 shown]
	v_mfma_f32_16x16x16_bf16 a[12:15], v[174:175], v[182:183], a[12:15]
	v_mov_b32_e32 v155, v149
	s_and_b64 vcc, exec, s[0:1]
	global_store_dwordx4 v[160:161], v[150:153], off
	v_mfma_f32_16x16x16_bf16 a[20:23], v[186:187], v[170:171], a[16:19]
	global_store_dwordx4 v[146:147], v[154:157], off
	v_mfma_f32_16x16x16_bf16 a[16:19], v[186:187], v[178:179], a[32:35]
	v_mfma_f32_16x16x16_bf16 a[24:27], v[186:187], v[180:181], a[24:27]
	;; [unrolled: 1-line block ×3, first 2 shown]
	s_cbranch_vccnz .LBB33_16
; %bb.15:                               ;   in Loop: Header=BB33_6 Depth=1
	v_lshrrev_b32_e32 v146, 3, v144
	v_and_b32_e32 v146, 6, v146
	v_xor_b32_e32 v145, v146, v145
	v_lshlrev_b32_e32 v145, 2, v145
	v_and_b32_e32 v144, 8, v144
	v_xor_b32_e32 v147, 0x440, v145
	v_cmp_eq_u32_e32 vcc, 0, v144
	s_barrier
	s_nop 0
	v_cndmask_b32_e32 v144, v147, v145, vcc
	v_lshl_or_b32 v144, v146, 10, v144
	s_waitcnt vmcnt(5)
	v_perm_b32 v145, v30, v26, s62
	s_waitcnt vmcnt(4)
	v_perm_b32 v146, v22, v18, s62
	ds_write2st64_b32 v144, v145, v146 offset0:128 offset1:160
	v_xor_b32_e32 v145, 8, v144
	v_perm_b32 v26, v30, v26, s63
	v_perm_b32 v18, v22, v18, s63
	v_add_u32_e32 v22, 0x80, v145
	ds_write2st64_b32 v22, v26, v18 offset0:128 offset1:160
	v_xor_b32_e32 v18, 16, v144
	v_perm_b32 v22, v31, v27, s62
	v_perm_b32 v26, v23, v19, s62
	ds_write2st64_b32 v18, v22, v26 offset0:129 offset1:161
	v_xor_b32_e32 v18, 24, v144
	v_perm_b32 v22, v31, v27, s63
	v_perm_b32 v19, v23, v19, s63
	v_add_u32_e32 v18, 0x80, v18
	ds_write2st64_b32 v18, v22, v19 offset0:129 offset1:161
	v_xor_b32_e32 v18, 32, v144
	v_perm_b32 v19, v32, v28, s62
	;; [unrolled: 9-line block ×3, first 2 shown]
	v_perm_b32 v20, v25, v21, s62
	ds_write2st64_b32 v18, v19, v20 offset0:131 offset1:163
	v_xor_b32_e32 v18, 56, v144
	v_perm_b32 v19, v33, v29, s63
	v_perm_b32 v20, v25, v21, s63
	v_add_u32_e32 v18, 0x80, v18
	ds_write2st64_b32 v18, v19, v20 offset0:131 offset1:163
	ds_write_b64 v143, v[14:15] offset:49152
	v_xor_b32_e32 v14, 8, v143
	ds_write_b64 v14, v[16:17] offset:49152
	ds_write_b64 v143, v[10:11] offset:57344
	;; [unrolled: 1-line block ×4, first 2 shown]
	v_xor_b32_e32 v6, 8, v142
	ds_write_b64 v6, v[8:9] offset:49152
	ds_write_b64 v142, v[2:3] offset:57344
	;; [unrolled: 1-line block ×3, first 2 shown]
.LBB33_16:                              ;   in Loop: Header=BB33_6 Depth=1
	v_exp_f32_e32 v142, s44
	v_accvgpr_read_b32 v5, a3
	v_accvgpr_read_b32 v9, a7
	;; [unrolled: 1-line block ×4, first 2 shown]
	s_waitcnt vmcnt(4)
	v_accvgpr_read_b32 v18, a20
	v_accvgpr_read_b32 v25, a19
	;; [unrolled: 1-line block ×28, first 2 shown]
	s_add_i32 s59, s59, 64
	v_pk_fma_f32 v[70:71], v[70:71], v[142:143], v[2:3] op_sel_hi:[1,0,1]
	v_pk_fma_f32 v[74:75], v[74:75], v[142:143], v[4:5] op_sel_hi:[1,0,1]
	;; [unrolled: 1-line block ×15, first 2 shown]
	s_cmp_eq_u32 s53, s65
	v_pk_fma_f32 v[48:49], v[48:49], v[142:143], v[32:33] op_sel_hi:[1,0,1]
	s_cbranch_scc1 .LBB33_18
; %bb.17:                               ;   in Loop: Header=BB33_6 Depth=1
	s_mov_b32 s64, s65
	s_branch .LBB33_6
.LBB33_18:
	s_lshl_b32 s30, s53, 6
	s_sub_i32 s31, s54, s30
	s_cmp_gt_i32 s31, 0
	s_cbranch_scc0 .LBB33_99
; %bb.19:
	s_add_i32 s30, s30, s38
	s_ashr_i32 s3, s30, 31
	s_cmpk_lg_i32 s23, 0x80
	s_cselect_b64 s[26:27], -1, 0
	s_and_b64 vcc, exec, s[26:27]
	s_cbranch_vccz .LBB33_21
; %bb.20:
	s_mul_i32 s1, s30, s22
	s_ashr_i32 s4, s55, 31
	s_mul_hi_i32 s0, s30, s22
	s_add_u32 s28, s1, s55
	s_addc_u32 s29, s0, s4
	s_cbranch_execz .LBB33_22
	s_branch .LBB33_23
.LBB33_21:
                                        ; implicit-def: $sgpr28_sgpr29
.LBB33_22:
	s_mul_i32 s1, s55, s20
	s_mul_hi_i32 s0, s55, s20
	s_add_u32 s28, s1, s30
	s_addc_u32 s29, s0, s3
.LBB33_23:
	s_add_i32 s4, s53, s58
	s_add_u32 s0, s57, s30
	v_lshlrev_b32_e32 v6, 6, v91
	v_lshlrev_b32_e32 v24, 2, v88
	s_addc_u32 s1, s56, s3
	s_mov_b32 s3, 0x7060302
	v_or_b32_e32 v9, v6, v24
	v_xor_b32_e32 v7, v91, v24
	v_perm_b32 v3, v75, v74, s3
	v_perm_b32 v2, v71, v70, s3
	;; [unrolled: 1-line block ×4, first 2 shown]
	v_lshlrev_b32_e32 v9, 1, v9
	v_xor_b32_e32 v8, v92, v24
	ds_write2st64_b64 v9, v[2:3], v[4:5] offset0:32 offset1:48
	v_lshlrev_b32_e32 v7, 1, v7
	v_lshlrev_b32_e32 v9, 8, v88
	v_or_b32_e32 v10, v7, v9
	v_lshlrev_b32_e32 v8, 1, v8
	ds_write_b64 v10, v[2:3]
	v_or_b32_e32 v2, v8, v9
	v_or_b32_e32 v9, 16, v88
	v_lshlrev_b32_e32 v23, 2, v9
	v_or_b32_e32 v10, v6, v23
	ds_write_b64 v2, v[4:5]
	v_perm_b32 v3, v67, v66, s3
	v_perm_b32 v2, v63, v62, s3
	;; [unrolled: 1-line block ×4, first 2 shown]
	v_lshlrev_b32_e32 v10, 1, v10
	v_lshlrev_b32_e32 v9, 8, v9
	ds_write2st64_b64 v10, v[2:3], v[4:5] offset0:32 offset1:48
	v_or_b32_e32 v10, v7, v9
	ds_write_b64 v10, v[2:3]
	v_or_b32_e32 v2, v8, v9
	v_or_b32_e32 v9, 32, v88
	v_lshlrev_b32_e32 v22, 2, v9
	v_or_b32_e32 v10, v6, v22
	ds_write_b64 v2, v[4:5]
	v_perm_b32 v3, v59, v58, s3
	v_perm_b32 v2, v55, v54, s3
	;; [unrolled: 1-line block ×4, first 2 shown]
	v_lshlrev_b32_e32 v10, 1, v10
	v_lshlrev_b32_e32 v9, 8, v9
	s_lshl_b64 s[24:25], s[0:1], 8
	ds_write2st64_b64 v10, v[2:3], v[4:5] offset0:32 offset1:48
	v_or_b32_e32 v10, v7, v9
	s_add_u32 s0, s14, s24
	ds_write_b64 v10, v[2:3]
	v_or_b32_e32 v2, v8, v9
	s_addc_u32 s1, s15, s25
	ds_write_b64 v2, v[4:5]
	v_perm_b32 v3, v53, v52, s3
	v_perm_b32 v2, v47, v46, s3
	;; [unrolled: 1-line block ×4, first 2 shown]
	v_or_b32_e32 v9, 48, v88
	s_mul_hi_i32 s3, s4, s21
	s_mul_i32 s4, s4, s21
	v_lshlrev_b32_e32 v19, 2, v9
	s_add_u32 s4, s4, s51
	v_or_b32_e32 v6, v6, v19
	s_addc_u32 s5, s3, s52
	v_lshlrev_b32_e32 v6, 1, v6
	s_ashr_i32 s3, s2, 31
	s_lshl_b64 s[4:5], s[4:5], 15
	ds_write2st64_b64 v6, v[2:3], v[4:5] offset0:32 offset1:48
	v_lshlrev_b32_e32 v6, 8, v9
	s_add_u32 s4, s6, s4
	v_or_b32_e32 v7, v7, v6
	s_addc_u32 s5, s7, s5
	s_lshl_b64 s[2:3], s[2:3], 8
	ds_write_b64 v7, v[2:3]
	v_or_b32_e32 v2, v8, v6
	s_add_u32 s2, s4, s2
	v_lshlrev_b32_e32 v3, 1, v88
	ds_write_b64 v2, v[4:5]
	v_lshrrev_b32_e32 v2, 4, v0
	s_addc_u32 s3, s5, s3
	v_or_b32_e32 v4, 1, v3
	v_lshlrev_b32_e32 v10, 4, v88
	v_mov_b32_e32 v11, 0
	v_xor_b32_e32 v3, v2, v3
	v_xor_b32_e32 v6, v4, v2
	v_lshl_add_u64 v[12:13], s[2:3], 0, v[10:11]
	v_lshlrev_b32_e32 v10, 8, v2
	v_lshl_or_b32 v16, v3, 3, v10
	v_lshl_or_b32 v17, v6, 3, v10
	s_waitcnt lgkmcnt(0)
	s_barrier
	ds_read2st64_b64 v[2:5], v16 offset1:8
	ds_read2st64_b64 v[6:9], v17 offset1:8
	v_lshl_add_u64 v[14:15], v[12:13], 0, v[10:11]
	s_movk_i32 s2, 0x2000
	s_cmp_lg_u32 s31, 64
	s_waitcnt lgkmcnt(1)
	v_mov_b32_e32 v10, v2
	v_mov_b32_e32 v11, v3
	s_waitcnt lgkmcnt(0)
	v_mov_b32_e32 v12, v6
	v_mov_b32_e32 v13, v7
	global_store_dwordx4 v[14:15], v[10:13], off
	v_mov_b32_e32 v6, v4
	v_mov_b32_e32 v7, v5
	ds_read2st64_b64 v[2:5], v16 offset0:16 offset1:24
	ds_read2st64_b64 v[10:13], v17 offset0:16 offset1:24
	v_add_co_u32_e32 v16, vcc, s2, v14
	s_cselect_b64 s[14:15], -1, 0
	s_nop 0
	v_addc_co_u32_e32 v17, vcc, 0, v15, vcc
	global_store_dwordx4 v[16:17], v[6:9], off offset:-4096
	v_lshl_or_b32 v30, v1, 3, v90
	s_mov_b32 s4, 0
	s_waitcnt lgkmcnt(1)
	v_mov_b32_e32 v6, v2
	v_add_co_u32_e32 v2, vcc, 0x3000, v14
	v_mov_b32_e32 v7, v3
	s_nop 0
	v_addc_co_u32_e32 v3, vcc, 0, v15, vcc
	s_waitcnt lgkmcnt(0)
	v_mov_b32_e32 v8, v10
	v_mov_b32_e32 v9, v11
	;; [unrolled: 1-line block ×4, first 2 shown]
	v_or_b32_e32 v20, 32, v30
	v_and_b32_e32 v18, 56, v89
	s_and_b64 vcc, exec, s[14:15]
	global_store_dwordx4 v[16:17], v[6:9], off
	global_store_dwordx4 v[2:3], v[10:13], off
	s_cbranch_vccz .LBB33_29
; %bb.24:
	s_mov_b32 s6, s4
	s_mov_b32 s7, s4
	;; [unrolled: 1-line block ×3, first 2 shown]
	v_mov_b64_e32 v[8:9], s[6:7]
	v_mov_b64_e32 v[6:7], s[4:5]
	;; [unrolled: 1-line block ×3, first 2 shown]
	v_cmp_gt_i32_e32 vcc, s31, v30
	v_mov_b64_e32 v[4:5], v[8:9]
	s_and_saveexec_b64 s[2:3], vcc
	s_cbranch_execz .LBB33_26
; %bb.25:
	v_lshlrev_b32_e32 v2, 8, v30
	v_mov_b32_e32 v3, 0
	v_lshl_add_u64 v[4:5], s[0:1], 0, v[2:3]
	v_lshlrev_b32_e32 v2, 1, v18
	v_lshl_add_u64 v[10:11], v[4:5], 0, v[2:3]
	global_load_dwordx4 v[6:9], v[10:11], off
	global_load_dwordx4 v[2:5], v[10:11], off offset:128
.LBB33_26:
	s_or_b64 exec, exec, s[2:3]
	s_mov_b32 s6, s4
	s_mov_b32 s7, s4
	;; [unrolled: 1-line block ×3, first 2 shown]
	v_mov_b64_e32 v[16:17], s[6:7]
	v_mov_b64_e32 v[14:15], s[4:5]
	;; [unrolled: 1-line block ×3, first 2 shown]
	v_cmp_gt_i32_e32 vcc, s31, v20
	v_lshlrev_b32_e32 v21, 7, v20
	v_mov_b64_e32 v[12:13], v[16:17]
	s_and_saveexec_b64 s[2:3], vcc
	s_cbranch_execz .LBB33_28
; %bb.27:
	v_lshlrev_b32_e32 v10, 1, v21
	v_mov_b32_e32 v11, 0
	v_lshl_add_u64 v[12:13], s[0:1], 0, v[10:11]
	v_lshlrev_b32_e32 v10, 1, v18
	v_lshl_add_u64 v[26:27], v[12:13], 0, v[10:11]
	global_load_dwordx4 v[14:17], v[26:27], off
	global_load_dwordx4 v[10:13], v[26:27], off offset:128
.LBB33_28:
	s_or_b64 exec, exec, s[2:3]
	v_lshrrev_b32_e32 v25, 3, v18
	v_lshlrev_b32_e32 v26, 3, v30
	v_or_b32_e32 v25, v26, v25
	v_lshlrev_b32_e32 v25, 4, v25
	v_and_b32_e32 v26, 0x78, v26
	v_xor_b32_e32 v25, v25, v26
	s_branch .LBB33_31
.LBB33_29:
                                        ; implicit-def: $vgpr25
                                        ; implicit-def: $vgpr21
                                        ; implicit-def: $vgpr6_vgpr7_vgpr8_vgpr9
                                        ; implicit-def: $vgpr2_vgpr3_vgpr4_vgpr5
                                        ; implicit-def: $vgpr14_vgpr15_vgpr16_vgpr17
                                        ; implicit-def: $vgpr10_vgpr11_vgpr12_vgpr13
	s_cbranch_execz .LBB33_31
; %bb.30:
	s_waitcnt vmcnt(0)
	v_lshlrev_b32_e32 v2, 1, v18
	v_lshl_or_b32 v21, v30, 8, v2
	s_and_b32 s1, s1, 0xffff
	s_mov_b32 s3, 0x20000
	s_movk_i32 s2, 0x4000
	v_lshl_or_b32 v25, v20, 8, v2
	s_movk_i32 s4, 0x80
	buffer_load_dwordx4 v[6:9], v21, s[0:3], 0 offen
	buffer_load_dwordx4 v[2:5], v21, s[0:3], s4 offen
	;; [unrolled: 1-line block ×4, first 2 shown]
	v_lshrrev_b32_e32 v21, 3, v18
	v_lshlrev_b32_e32 v25, 3, v30
	v_or_b32_e32 v21, v25, v21
	v_lshlrev_b32_e32 v21, 4, v21
	v_and_b32_e32 v25, 0x78, v25
	v_xor_b32_e32 v25, v21, v25
	v_lshlrev_b32_e32 v21, 7, v20
.LBB33_31:
	s_movk_i32 s0, 0x1000
	v_and_or_b32 v20, v21, s0, v25
	s_waitcnt vmcnt(1)
	ds_write_b64 v25, v[6:7] offset:49152
	v_xor_b32_e32 v6, 8, v25
	ds_write_b64 v6, v[8:9] offset:49152
	s_waitcnt vmcnt(0)
	ds_write_b64 v25, v[2:3] offset:57344
	ds_write_b64 v6, v[4:5] offset:57344
	ds_write_b64 v20, v[14:15] offset:49152
	v_xor_b32_e32 v2, 8, v20
	ds_write_b64 v2, v[16:17] offset:49152
	ds_write_b64 v20, v[10:11] offset:57344
	;; [unrolled: 1-line block ×3, first 2 shown]
	v_or_b32_e32 v2, v86, v88
	v_lshlrev_b32_e32 v2, 3, v2
	v_lshrrev_b32_e32 v3, 5, v35
	s_movk_i32 s0, 0xf8
	v_and_or_b32 v3, v2, s0, v3
	v_lshlrev_b32_e32 v7, 4, v3
	v_lshlrev_b32_e32 v25, 11, v1
	v_and_b32_e32 v8, 0x78, v2
	v_or_b32_e32 v10, 32, v7
	v_and_b32_e32 v6, 0x1000, v25
	v_lshrrev_b32_e32 v3, 1, v35
	v_xor_b32_e32 v10, v10, v8
	v_xor_b32_e32 v2, v7, v8
	v_and_b32_e32 v9, 8, v3
	v_or_b32_e32 v10, v10, v6
	v_or_b32_e32 v2, v2, v6
	v_xor_b32_e32 v32, v10, v9
	v_or_b32_e32 v10, 64, v7
	v_xor_b32_e32 v31, v2, v9
	v_xor_b32_e32 v10, v10, v8
	s_waitcnt lgkmcnt(0)
	s_barrier
	v_or_b32_e32 v13, v10, v6
	ds_read_b64 v[10:11], v31 offset:49152
	v_lshl_or_b32 v14, v87, 8, v24
	v_lshlrev_b32_e32 v26, 1, v14
	v_add_u32_e32 v12, 0x4000, v26
	ds_read2_b64 v[2:5], v12 offset1:16
	v_or_b32_e32 v7, 0x60, v7
	v_xor_b32_e32 v7, v7, v8
	v_or_b32_e32 v6, v7, v6
	v_xor_b32_e32 v33, v13, v9
	v_xor_b32_e32 v77, v6, v9
	ds_read_b64 v[20:21], v32 offset:49152
	ds_read_b64 v[78:79], v33 offset:49152
	;; [unrolled: 1-line block ×3, first 2 shown]
	s_waitcnt lgkmcnt(3)
	v_mfma_f32_16x16x16_bf16 a[0:3], v[10:11], v[2:3], 0
	ds_read2st64_b64 v[6:9], v26 offset0:36 offset1:40
	s_lshl_b64 s[0:1], s[28:29], 8
	s_add_u32 s4, s12, s0
	v_mfma_f32_16x16x16_bf16 a[4:7], v[10:11], v[4:5], 0
	ds_read2_b64 v[2:5], v12 offset0:32 offset1:48
	s_addc_u32 s5, s13, s1
	s_add_i32 s1, s47, s33
	s_waitcnt lgkmcnt(0)
	v_mfma_f32_16x16x16_bf16 a[8:11], v[10:11], v[2:3], 0
	v_or_b32_e32 v2, 64, v14
	v_lshlrev_b32_e32 v27, 1, v2
	s_add_i32 s0, s39, -1
	v_mfma_f32_16x16x16_bf16 a[12:15], v[10:11], v[4:5], 0
	ds_read2st64_b64 v[2:5], v27 offset0:36 offset1:40
	s_add_i32 s43, s1, s46
	s_add_i32 s1, s49, s48
	v_mfma_f32_16x16x16_bf16 a[0:3], v[20:21], v[6:7], a[0:3]
	v_or_b32_e32 v6, 0x80, v14
	v_lshlrev_b32_e32 v28, 1, v6
	ds_read2st64_b64 v[10:13], v28 offset0:36 offset1:40
	s_waitcnt lgkmcnt(1)
	v_mfma_f32_16x16x16_bf16 a[4:7], v[20:21], v[2:3], a[4:7]
	v_or_b32_e32 v2, 0xc0, v14
	v_lshlrev_b32_e32 v29, 1, v2
	ds_read2st64_b64 v[14:17], v29 offset0:36 offset1:40
	s_add_i32 s41, s1, s50
	s_ashr_i32 s1, s0, 31
	s_mul_i32 s2, s0, s37
	s_mul_hi_u32 s3, s0, s36
	s_add_i32 s2, s3, s2
	s_mul_i32 s1, s1, s36
	s_waitcnt lgkmcnt(1)
	v_mfma_f32_16x16x16_bf16 a[8:11], v[20:21], v[10:11], a[8:11]
	s_add_i32 s1, s2, s1
	s_lshl_b64 s[2:3], s[42:43], 2
	s_add_u32 s6, s18, s2
	s_waitcnt lgkmcnt(0)
	v_mfma_f32_16x16x16_bf16 a[12:15], v[20:21], v[14:15], a[12:15]
	s_addc_u32 s7, s19, s3
	s_lshl_b64 s[2:3], s[40:41], 2
	s_mul_i32 s0, s0, s36
	v_mfma_f32_16x16x16_bf16 a[0:3], v[78:79], v[8:9], a[0:3]
	ds_read_b64 v[2:3], v26 offset:22528
	s_add_u32 s12, s6, s2
	s_addc_u32 s13, s7, s3
	v_mfma_f32_16x16x16_bf16 a[4:7], v[78:79], v[4:5], a[4:7]
	ds_read_b64 v[4:5], v27 offset:22528
	ds_read_b64 v[6:7], v28 offset:22528
	;; [unrolled: 1-line block ×3, first 2 shown]
	s_lshl_b64 s[0:1], s[0:1], 2
	s_add_u32 s0, s12, s0
	v_mfma_f32_16x16x16_bf16 a[8:11], v[78:79], v[12:13], a[8:11]
	s_addc_u32 s1, s13, s1
	s_load_dword s18, s[0:1], 0x0
	s_and_b64 vcc, exec, s[26:27]
	v_mfma_f32_16x16x16_bf16 a[12:15], v[78:79], v[16:17], a[12:15]
	s_waitcnt lgkmcnt(0)
	v_mfma_f32_16x16x16_bf16 a[0:3], v[80:81], v[2:3], a[0:3]
	v_mfma_f32_16x16x16_bf16 a[4:7], v[80:81], v[4:5], a[4:7]
	;; [unrolled: 1-line block ×4, first 2 shown]
	s_cbranch_vccz .LBB33_42
; %bb.32:
	v_lshlrev_b32_e32 v20, 1, v30
	s_and_b64 vcc, exec, s[14:15]
	s_cbranch_vccz .LBB33_43
; %bb.33:
	v_cmp_gt_i32_e32 vcc, s31, v20
	v_mov_b32_e32 v6, 0
	v_mov_b32_e32 v2, 0
	;; [unrolled: 1-line block ×5, first 2 shown]
	s_and_saveexec_b64 s[0:1], vcc
	s_cbranch_execz .LBB33_35
; %bb.34:
	v_mad_i64_i32 v[2:3], s[2:3], s23, v20, 0
	v_lshl_add_u64 v[2:3], v[2:3], 1, s[4:5]
	v_lshlrev_b32_e32 v4, 1, v18
	v_mov_b32_e32 v5, 0
	v_lshl_add_u64 v[2:3], v[2:3], 0, v[4:5]
	global_load_dwordx4 v[2:5], v[2:3], off
.LBB33_35:
	s_or_b64 exec, exec, s[0:1]
	v_or_b32_e32 v21, 1, v20
	v_cmp_gt_i32_e64 s[0:1], s31, v21
	v_mov_b32_e32 v7, 0
	v_mov_b32_e32 v8, 0
	;; [unrolled: 1-line block ×3, first 2 shown]
	s_and_saveexec_b64 s[2:3], s[0:1]
	s_cbranch_execz .LBB33_37
; %bb.36:
	v_mad_i64_i32 v[6:7], s[6:7], s23, v21, 0
	v_lshl_add_u64 v[6:7], v[6:7], 1, s[4:5]
	v_lshlrev_b32_e32 v8, 1, v18
	v_mov_b32_e32 v9, 0
	v_lshl_add_u64 v[6:7], v[6:7], 0, v[8:9]
	global_load_dwordx4 v[6:9], v[6:7], off
.LBB33_37:
	s_or_b64 exec, exec, s[2:3]
	v_mov_b32_e32 v17, 0
	v_mov_b32_e32 v10, 0
	;; [unrolled: 1-line block ×5, first 2 shown]
	s_and_saveexec_b64 s[2:3], vcc
	s_cbranch_execz .LBB33_39
; %bb.38:
	v_mad_i64_i32 v[10:11], s[6:7], s23, v20, 0
	v_lshl_add_u64 v[10:11], v[10:11], 1, s[4:5]
	v_lshlrev_b32_e32 v12, 1, v18
	v_mov_b32_e32 v13, 0
	v_lshl_add_u64 v[10:11], v[10:11], 0, v[12:13]
	global_load_dwordx4 v[10:13], v[10:11], off offset:128
.LBB33_39:
	s_or_b64 exec, exec, s[2:3]
	v_mov_b32_e32 v16, 0
	v_mov_b32_e32 v15, 0
	;; [unrolled: 1-line block ×3, first 2 shown]
	s_and_saveexec_b64 s[2:3], s[0:1]
	s_cbranch_execz .LBB33_41
; %bb.40:
	v_mad_i64_i32 v[14:15], s[0:1], s23, v21, 0
	v_lshl_add_u64 v[14:15], v[14:15], 1, s[4:5]
	v_lshlrev_b32_e32 v16, 1, v18
	v_mov_b32_e32 v17, 0
	v_lshl_add_u64 v[14:15], v[14:15], 0, v[16:17]
	global_load_dwordx4 v[14:17], v[14:15], off offset:128
.LBB33_41:
	s_or_b64 exec, exec, s[2:3]
	s_branch .LBB33_45
.LBB33_42:
                                        ; implicit-def: $vgpr5
                                        ; implicit-def: $vgpr9
                                        ; implicit-def: $vgpr13
                                        ; implicit-def: $vgpr17
	v_lshrrev_b32_e32 v35, 2, v35
	s_branch .LBB33_46
.LBB33_43:
                                        ; implicit-def: $vgpr5
                                        ; implicit-def: $vgpr9
                                        ; implicit-def: $vgpr13
                                        ; implicit-def: $vgpr17
	s_cbranch_execz .LBB33_45
; %bb.44:
	s_waitcnt vmcnt(0)
	v_mad_u64_u32 v[2:3], s[0:1], v20, s23, v[18:19]
	v_lshlrev_b32_e32 v20, 1, v2
	s_lshl_b32 s2, s23, 7
	s_and_b32 s1, s5, 0xffff
	s_mov_b32 s3, 0x20000
	s_mov_b32 s0, s4
	v_add_lshl_u32 v21, v2, s23, 1
	s_movk_i32 s6, 0x80
	buffer_load_dwordx4 v[2:5], v20, s[0:3], 0 offen
	buffer_load_dwordx4 v[10:13], v20, s[0:3], s6 offen
	;; [unrolled: 1-line block ×4, first 2 shown]
.LBB33_45:
	v_lshrrev_b32_e32 v35, 2, v35
	s_cbranch_execnz .LBB33_58
.LBB33_46:
	s_and_b64 vcc, exec, s[14:15]
	s_cbranch_vccz .LBB33_56
; %bb.47:
	s_waitcnt vmcnt(0)
	v_lshlrev_b32_e32 v7, 1, v30
	v_cmp_gt_i32_e32 vcc, s31, v7
	v_mov_b32_e32 v6, 0
	v_lshlrev_b32_e32 v14, 9, v30
	v_mov_b32_e32 v2, 0
	v_mov_b32_e32 v3, 0
	;; [unrolled: 1-line block ×4, first 2 shown]
	s_and_saveexec_b64 s[0:1], vcc
	s_cbranch_execz .LBB33_49
; %bb.48:
	v_mov_b32_e32 v15, 0
	v_lshl_add_u64 v[2:3], s[4:5], 0, v[14:15]
	v_lshlrev_b32_e32 v4, 1, v18
	v_mov_b32_e32 v5, v15
	v_lshl_add_u64 v[2:3], v[2:3], 0, v[4:5]
	global_load_dwordx4 v[2:5], v[2:3], off
.LBB33_49:
	s_or_b64 exec, exec, s[0:1]
	v_or_b32_e32 v7, 1, v7
	v_cmp_gt_i32_e64 s[0:1], s31, v7
	v_lshlrev_b32_e32 v20, 8, v7
	v_mov_b32_e32 v7, 0
	v_mov_b32_e32 v8, 0
	;; [unrolled: 1-line block ×3, first 2 shown]
	s_and_saveexec_b64 s[2:3], s[0:1]
	s_cbranch_execz .LBB33_51
; %bb.50:
	v_mov_b32_e32 v21, 0
	v_lshl_add_u64 v[6:7], s[4:5], 0, v[20:21]
	v_lshlrev_b32_e32 v8, 1, v18
	v_mov_b32_e32 v9, v21
	v_lshl_add_u64 v[6:7], v[6:7], 0, v[8:9]
	global_load_dwordx4 v[6:9], v[6:7], off
.LBB33_51:
	s_or_b64 exec, exec, s[2:3]
	v_mov_b32_e32 v17, 0
	v_mov_b32_e32 v10, 0
	;; [unrolled: 1-line block ×5, first 2 shown]
	s_and_saveexec_b64 s[2:3], vcc
	s_cbranch_execz .LBB33_53
; %bb.52:
	v_mov_b32_e32 v15, 0
	v_lshl_add_u64 v[10:11], s[4:5], 0, v[14:15]
	v_lshlrev_b32_e32 v14, 1, v18
	v_lshl_add_u64 v[10:11], v[10:11], 0, v[14:15]
	global_load_dwordx4 v[10:13], v[10:11], off offset:128
.LBB33_53:
	s_or_b64 exec, exec, s[2:3]
	v_mov_b32_e32 v16, 0
	v_mov_b32_e32 v15, 0
	;; [unrolled: 1-line block ×3, first 2 shown]
	s_and_saveexec_b64 s[2:3], s[0:1]
	s_cbranch_execz .LBB33_55
; %bb.54:
	v_mov_b32_e32 v21, 0
	v_lshl_add_u64 v[14:15], s[4:5], 0, v[20:21]
	v_lshlrev_b32_e32 v20, 1, v18
	v_lshl_add_u64 v[14:15], v[14:15], 0, v[20:21]
	global_load_dwordx4 v[14:17], v[14:15], off offset:128
.LBB33_55:
	s_or_b64 exec, exec, s[2:3]
	s_branch .LBB33_58
.LBB33_56:
                                        ; implicit-def: $vgpr5
                                        ; implicit-def: $vgpr9
                                        ; implicit-def: $vgpr13
                                        ; implicit-def: $vgpr17
	s_cbranch_execz .LBB33_58
; %bb.57:
	s_waitcnt vmcnt(0)
	v_lshlrev_b32_e32 v2, 1, v18
	v_lshl_or_b32 v18, v30, 9, v2
	s_and_b32 s5, s5, 0xffff
	s_mov_b32 s7, 0x20000
	s_movk_i32 s6, 0x4000
	s_movk_i32 s0, 0x80
	buffer_load_dwordx4 v[2:5], v18, s[4:7], 0 offen
	buffer_load_dwordx4 v[6:9], v18, s[4:7], 0 offen offset:256
	buffer_load_dwordx4 v[10:13], v18, s[4:7], s0 offen
	buffer_load_dwordx4 v[14:17], v18, s[4:7], s0 offen offset:256
.LBB33_58:
	ds_read_b64 v[20:21], v31 offset:57344
	v_add_u32_e32 v18, 0x6000, v26
	ds_read2_b64 v[78:81], v18 offset1:16
	ds_read_b64 v[96:97], v32 offset:57344
	ds_read_b64 v[32:33], v33 offset:57344
	;; [unrolled: 1-line block ×3, first 2 shown]
	ds_read2st64_b64 v[82:85], v26 offset0:52 offset1:56
	v_and_b32_e32 v31, 1, v0
	v_cmp_eq_u32_e32 vcc, 0, v31
	s_mov_b32 s0, 0x1000504
	s_waitcnt vmcnt(0)
	v_perm_b32 v31, v10, v14, s0
	s_mov_b32 s1, 0x3020706
	s_waitcnt lgkmcnt(4)
	v_mfma_f32_16x16x16_bf16 a[0:3], v[20:21], v[78:79], a[0:3]
	v_mfma_f32_16x16x16_bf16 a[4:7], v[20:21], v[80:81], a[4:7]
	ds_read2_b64 v[78:81], v18 offset0:32 offset1:48
	v_and_b32_e32 v18, 6, v0
	v_xor_b32_e32 v30, v30, v18
	s_waitcnt lgkmcnt(0)
	v_mfma_f32_16x16x16_bf16 a[8:11], v[20:21], v[78:79], a[8:11]
	v_lshlrev_b32_e32 v30, 2, v30
	v_xor_b32_e32 v77, 0x440, v30
	v_cndmask_b32_e32 v30, v77, v30, vcc
	v_mfma_f32_16x16x16_bf16 a[12:15], v[20:21], v[80:81], a[12:15]
	ds_read2st64_b64 v[78:81], v27 offset0:52 offset1:56
	ds_read2st64_b64 v[88:91], v28 offset0:52 offset1:56
	;; [unrolled: 1-line block ×3, first 2 shown]
	v_lshl_or_b32 v18, v18, 10, v30
	v_perm_b32 v30, v2, v6, s0
	v_mfma_f32_16x16x16_bf16 a[0:3], v[96:97], v[82:83], a[0:3]
	ds_read_b64 v[20:21], v26 offset:30720
	ds_read_b64 v[82:83], v27 offset:30720
	;; [unrolled: 1-line block ×4, first 2 shown]
	ds_write2st64_b32 v18, v30, v31 offset0:128 offset1:160
	v_xor_b32_e32 v30, 8, v18
	s_waitcnt lgkmcnt(7)
	v_mfma_f32_16x16x16_bf16 a[4:7], v[96:97], v[78:79], a[4:7]
	v_perm_b32 v2, v2, v6, s1
	v_perm_b32 v6, v10, v14, s1
	v_add_u32_e32 v10, 0x80, v30
	s_waitcnt lgkmcnt(6)
	v_mfma_f32_16x16x16_bf16 a[8:11], v[96:97], v[88:89], a[8:11]
	ds_write2st64_b32 v10, v2, v6 offset0:128 offset1:160
	v_xor_b32_e32 v2, 16, v18
	v_perm_b32 v6, v3, v7, s0
	s_waitcnt lgkmcnt(6)
	v_mfma_f32_16x16x16_bf16 a[12:15], v[96:97], v[92:93], a[12:15]
	v_perm_b32 v10, v11, v15, s0
	ds_write2st64_b32 v2, v6, v10 offset0:129 offset1:161
	v_xor_b32_e32 v2, 24, v18
	v_mfma_f32_16x16x16_bf16 a[0:3], v[32:33], v[84:85], a[0:3]
	v_perm_b32 v3, v3, v7, s1
	v_perm_b32 v6, v11, v15, s1
	v_add_u32_e32 v2, 0x80, v2
	v_mfma_f32_16x16x16_bf16 a[4:7], v[32:33], v[80:81], a[4:7]
	ds_write2st64_b32 v2, v3, v6 offset0:129 offset1:161
	v_xor_b32_e32 v2, 32, v18
	v_perm_b32 v3, v4, v8, s0
	v_mfma_f32_16x16x16_bf16 a[16:19], v[32:33], v[90:91], a[8:11]
	v_perm_b32 v6, v12, v16, s0
	ds_write2st64_b32 v2, v3, v6 offset0:130 offset1:162
	v_xor_b32_e32 v2, 40, v18
	v_mfma_f32_16x16x16_bf16 a[20:23], v[32:33], v[94:95], a[12:15]
	v_perm_b32 v3, v4, v8, s1
	v_perm_b32 v4, v12, v16, s1
	v_add_u32_e32 v2, 0x80, v2
	s_waitcnt lgkmcnt(8)
	v_mfma_f32_16x16x16_bf16 a[12:15], v[98:99], v[20:21], a[0:3]
	ds_write2st64_b32 v2, v3, v4 offset0:130 offset1:162
	v_xor_b32_e32 v2, 48, v18
	v_perm_b32 v3, v5, v9, s0
	s_waitcnt lgkmcnt(8)
	v_mfma_f32_16x16x16_bf16 a[8:11], v[98:99], v[82:83], a[4:7]
	v_perm_b32 v4, v13, v17, s0
	ds_write2st64_b32 v2, v3, v4 offset0:131 offset1:163
	v_xor_b32_e32 v2, 56, v18
	s_waitcnt lgkmcnt(8)
	v_mfma_f32_16x16x16_bf16 a[4:7], v[98:99], v[100:101], a[16:19]
	v_and_or_b32 v31, v35, 12, v86
	v_perm_b32 v3, v5, v9, s1
	v_perm_b32 v4, v13, v17, s1
	s_waitcnt lgkmcnt(7)
	v_mfma_f32_16x16x16_bf16 a[0:3], v[98:99], v[102:103], a[20:23]
	v_add_u32_e32 v2, 0x80, v2
	v_cmp_gt_i32_e64 s[0:1], s31, v31
	v_mov_b32_e32 v20, 0
	v_mov_b32_e32 v21, 0
	ds_write2st64_b32 v2, v3, v4 offset0:131 offset1:163
	s_and_saveexec_b64 s[2:3], s[0:1]
	s_cbranch_execz .LBB33_60
; %bb.59:
	v_add_u32_e32 v2, s30, v31
	v_ashrrev_i32_e32 v3, 31, v2
	v_mul_lo_u32 v4, v3, s36
	v_mul_lo_u32 v5, v2, s37
	v_mad_u64_u32 v[2:3], s[4:5], v2, s36, 0
	v_add3_u32 v3, v3, v5, v4
	v_lshl_add_u64 v[2:3], v[2:3], 2, s[12:13]
	global_load_dword v2, v[2:3], off
	s_waitcnt vmcnt(0)
	v_sub_f32_e32 v2, s18, v2
	v_exp_f32_e32 v21, v2
.LBB33_60:
	s_or_b64 exec, exec, s[2:3]
	v_or_b32_e32 v14, 1, v31
	v_cmp_gt_i32_e64 s[4:5], s31, v14
	s_and_saveexec_b64 s[2:3], s[4:5]
	s_cbranch_execz .LBB33_62
; %bb.61:
	v_add_u32_e32 v2, s30, v14
	v_ashrrev_i32_e32 v3, 31, v2
	v_mul_lo_u32 v4, v3, s36
	v_mul_lo_u32 v5, v2, s37
	v_mad_u64_u32 v[2:3], s[6:7], v2, s36, 0
	v_add3_u32 v3, v3, v5, v4
	v_lshl_add_u64 v[2:3], v[2:3], 2, s[12:13]
	global_load_dword v2, v[2:3], off
	s_waitcnt vmcnt(0)
	v_sub_f32_e32 v2, s18, v2
	v_exp_f32_e32 v20, v2
.LBB33_62:
	s_or_b64 exec, exec, s[2:3]
	v_or_b32_e32 v10, 2, v31
	v_cmp_gt_i32_e64 s[2:3], s31, v10
	v_mov_b32_e32 v18, 0
	v_mov_b32_e32 v30, 0
	s_and_saveexec_b64 s[6:7], s[2:3]
	s_cbranch_execz .LBB33_64
; %bb.63:
	v_add_u32_e32 v2, s30, v10
	v_ashrrev_i32_e32 v3, 31, v2
	v_mul_lo_u32 v4, v3, s36
	v_mul_lo_u32 v5, v2, s37
	v_mad_u64_u32 v[2:3], s[14:15], v2, s36, 0
	v_add3_u32 v3, v3, v5, v4
	v_lshl_add_u64 v[2:3], v[2:3], 2, s[12:13]
	global_load_dword v2, v[2:3], off
	s_waitcnt vmcnt(0)
	v_sub_f32_e32 v2, s18, v2
	v_exp_f32_e32 v30, v2
.LBB33_64:
	s_or_b64 exec, exec, s[6:7]
	v_or_b32_e32 v11, 3, v31
	v_cmp_gt_i32_e32 vcc, s31, v11
	s_and_saveexec_b64 s[6:7], vcc
	s_cbranch_execz .LBB33_66
; %bb.65:
	v_add_u32_e32 v2, s30, v11
	v_ashrrev_i32_e32 v3, 31, v2
	v_mul_lo_u32 v4, v3, s36
	v_mul_lo_u32 v5, v2, s37
	v_mad_u64_u32 v[2:3], s[14:15], v2, s36, 0
	v_add3_u32 v3, v3, v5, v4
	v_lshl_add_u64 v[2:3], v[2:3], 2, s[12:13]
	global_load_dword v2, v[2:3], off
	s_waitcnt vmcnt(0)
	v_sub_f32_e32 v2, s18, v2
	v_exp_f32_e32 v18, v2
.LBB33_66:
	s_or_b64 exec, exec, s[6:7]
	s_add_u32 s6, s16, s24
	s_addc_u32 s7, s17, s25
	s_add_u32 s8, s8, s24
	v_ashrrev_i32_e32 v77, 31, v76
	v_accvgpr_read_b32 v2, a12
	s_addc_u32 s9, s9, s25
	v_lshlrev_b64 v[6:7], 1, v[76:77]
	v_accvgpr_read_b32 v3, a13
	v_accvgpr_read_b32 v4, a14
	;; [unrolled: 1-line block ×3, first 2 shown]
	v_lshl_add_u64 v[8:9], s[6:7], 0, v[6:7]
	v_lshl_add_u64 v[6:7], s[8:9], 0, v[6:7]
	v_mov_b32_e32 v15, 0
	v_lshlrev_b32_e32 v12, 8, v31
	v_mov_b32_e32 v13, 0
	s_and_saveexec_b64 s[6:7], s[0:1]
	s_cbranch_execz .LBB33_68
; %bb.67:
	v_mov_b32_e32 v13, 0
	v_lshl_add_u64 v[16:17], v[8:9], 0, v[12:13]
	global_load_ushort v32, v[16:17], off
	v_lshl_add_u64 v[16:17], v[6:7], 0, v[12:13]
	s_waitcnt vmcnt(0)
	v_lshlrev_b32_e32 v13, 16, v32
	v_sub_f32_e32 v2, v13, v2
	global_store_short_d16_hi v[16:17], v2, off
	v_mul_f32_e32 v2, v21, v2
	v_lshrrev_b32_e32 v13, 16, v2
.LBB33_68:
	s_or_b64 exec, exec, s[6:7]
	v_lshlrev_b32_e32 v14, 8, v14
	s_and_saveexec_b64 s[6:7], s[4:5]
	s_cbranch_execz .LBB33_70
; %bb.69:
	v_mov_b32_e32 v15, 0
	v_lshl_add_u64 v[16:17], v[8:9], 0, v[14:15]
	global_load_ushort v2, v[16:17], off
	v_lshl_add_u64 v[16:17], v[6:7], 0, v[14:15]
	s_waitcnt vmcnt(0)
	v_lshlrev_b32_e32 v2, 16, v2
	v_sub_f32_e32 v2, v2, v3
	global_store_short_d16_hi v[16:17], v2, off
	v_mul_f32_e32 v2, v20, v2
	v_lshrrev_b32_e32 v15, 16, v2
.LBB33_70:
	s_or_b64 exec, exec, s[6:7]
	v_mov_b32_e32 v32, 0
	v_lshlrev_b32_e32 v16, 8, v10
	v_mov_b32_e32 v17, 0
	s_and_saveexec_b64 s[6:7], s[2:3]
	s_cbranch_execz .LBB33_72
; %bb.71:
	v_mov_b32_e32 v17, 0
	v_lshl_add_u64 v[2:3], v[8:9], 0, v[16:17]
	global_load_ushort v10, v[2:3], off
	v_lshl_add_u64 v[2:3], v[6:7], 0, v[16:17]
	s_waitcnt vmcnt(0)
	v_lshlrev_b32_e32 v10, 16, v10
	v_sub_f32_e32 v4, v10, v4
	global_store_short_d16_hi v[2:3], v4, off
	v_mul_f32_e32 v2, v30, v4
	v_lshrrev_b32_e32 v17, 16, v2
.LBB33_72:
	s_or_b64 exec, exec, s[6:7]
	v_lshlrev_b32_e32 v10, 8, v11
	s_and_saveexec_b64 s[6:7], vcc
	s_cbranch_execz .LBB33_74
; %bb.73:
	v_mov_b32_e32 v11, 0
	v_lshl_add_u64 v[2:3], v[8:9], 0, v[10:11]
	global_load_ushort v4, v[2:3], off
	v_lshl_add_u64 v[2:3], v[6:7], 0, v[10:11]
	s_waitcnt vmcnt(0)
	v_lshlrev_b32_e32 v4, 16, v4
	v_sub_f32_e32 v4, v4, v5
	global_store_short_d16_hi v[2:3], v4, off
	v_mul_f32_e32 v2, v18, v4
	v_lshrrev_b32_e32 v32, 16, v2
.LBB33_74:
	s_or_b64 exec, exec, s[6:7]
	v_lshlrev_b32_e32 v31, 6, v31
	v_accvgpr_read_b32 v2, a8
	s_mov_b32 s6, 0x5040100
	v_or_b32_e32 v11, v31, v24
	v_accvgpr_read_b32 v3, a9
	v_accvgpr_read_b32 v4, a10
	;; [unrolled: 1-line block ×3, first 2 shown]
	v_perm_b32 v33, v32, v17, s6
	v_perm_b32 v32, v15, v13, s6
	v_lshlrev_b32_e32 v11, 1, v11
	v_mov_b32_e32 v15, 0
	v_mov_b32_e32 v13, 0
	ds_write_b64 v11, v[32:33] offset:24576
	s_and_saveexec_b64 s[6:7], s[0:1]
	s_cbranch_execz .LBB33_76
; %bb.75:
	v_mov_b32_e32 v13, 0
	v_lshl_add_u64 v[32:33], v[8:9], 0, v[12:13]
	global_load_ushort v11, v[32:33], off offset:32
	v_lshl_add_u64 v[32:33], v[6:7], 0, v[12:13]
	s_waitcnt vmcnt(0)
	v_lshlrev_b32_e32 v11, 16, v11
	v_sub_f32_e32 v2, v11, v2
	global_store_short_d16_hi v[32:33], v2, off offset:32
	v_mul_f32_e32 v2, v21, v2
	v_lshrrev_b32_e32 v13, 16, v2
.LBB33_76:
	s_or_b64 exec, exec, s[6:7]
	s_and_saveexec_b64 s[6:7], s[4:5]
	s_cbranch_execz .LBB33_78
; %bb.77:
	v_mov_b32_e32 v15, 0
	v_lshl_add_u64 v[32:33], v[8:9], 0, v[14:15]
	global_load_ushort v2, v[32:33], off offset:32
	v_lshl_add_u64 v[32:33], v[6:7], 0, v[14:15]
	s_waitcnt vmcnt(0)
	v_lshlrev_b32_e32 v2, 16, v2
	v_sub_f32_e32 v2, v2, v3
	global_store_short_d16_hi v[32:33], v2, off offset:32
	v_mul_f32_e32 v2, v20, v2
	v_lshrrev_b32_e32 v15, 16, v2
.LBB33_78:
	s_or_b64 exec, exec, s[6:7]
	v_mov_b32_e32 v11, 0
	v_mov_b32_e32 v17, 0
	s_and_saveexec_b64 s[6:7], s[2:3]
	s_cbranch_execz .LBB33_80
; %bb.79:
	v_mov_b32_e32 v17, 0
	v_lshl_add_u64 v[2:3], v[8:9], 0, v[16:17]
	global_load_ushort v24, v[2:3], off offset:32
	v_lshl_add_u64 v[2:3], v[6:7], 0, v[16:17]
	s_waitcnt vmcnt(0)
	v_lshlrev_b32_e32 v17, 16, v24
	v_sub_f32_e32 v4, v17, v4
	global_store_short_d16_hi v[2:3], v4, off offset:32
	v_mul_f32_e32 v2, v30, v4
	v_lshrrev_b32_e32 v17, 16, v2
.LBB33_80:
	s_or_b64 exec, exec, s[6:7]
	s_and_saveexec_b64 s[6:7], vcc
	s_cbranch_execz .LBB33_82
; %bb.81:
	v_mov_b32_e32 v11, 0
	v_lshl_add_u64 v[2:3], v[8:9], 0, v[10:11]
	global_load_ushort v4, v[2:3], off offset:32
	v_lshl_add_u64 v[2:3], v[6:7], 0, v[10:11]
	s_waitcnt vmcnt(0)
	v_lshlrev_b32_e32 v4, 16, v4
	v_sub_f32_e32 v4, v4, v5
	global_store_short_d16_hi v[2:3], v4, off offset:32
	v_mul_f32_e32 v2, v18, v4
	v_lshrrev_b32_e32 v11, 16, v2
.LBB33_82:
	s_or_b64 exec, exec, s[6:7]
	s_mov_b32 s6, 0x5040100
	v_accvgpr_read_b32 v2, a4
	v_perm_b32 v33, v11, v17, s6
	v_or_b32_e32 v11, v31, v23
	v_accvgpr_read_b32 v3, a5
	v_accvgpr_read_b32 v4, a6
	;; [unrolled: 1-line block ×3, first 2 shown]
	v_perm_b32 v32, v15, v13, s6
	v_lshlrev_b32_e32 v11, 1, v11
	v_mov_b32_e32 v15, 0
	v_mov_b32_e32 v13, 0
	ds_write_b64 v11, v[32:33] offset:24576
	s_and_saveexec_b64 s[6:7], s[0:1]
	s_cbranch_execz .LBB33_84
; %bb.83:
	v_mov_b32_e32 v13, 0
	v_lshl_add_u64 v[32:33], v[8:9], 0, v[12:13]
	global_load_ushort v11, v[32:33], off offset:64
	v_lshl_add_u64 v[32:33], v[6:7], 0, v[12:13]
	s_waitcnt vmcnt(0)
	v_lshlrev_b32_e32 v11, 16, v11
	v_sub_f32_e32 v2, v11, v2
	global_store_short_d16_hi v[32:33], v2, off offset:64
	v_mul_f32_e32 v2, v21, v2
	v_lshrrev_b32_e32 v13, 16, v2
.LBB33_84:
	s_or_b64 exec, exec, s[6:7]
	s_and_saveexec_b64 s[6:7], s[4:5]
	s_cbranch_execz .LBB33_86
; %bb.85:
	v_mov_b32_e32 v15, 0
	v_lshl_add_u64 v[32:33], v[8:9], 0, v[14:15]
	global_load_ushort v2, v[32:33], off offset:64
	v_lshl_add_u64 v[32:33], v[6:7], 0, v[14:15]
	s_waitcnt vmcnt(0)
	v_lshlrev_b32_e32 v2, 16, v2
	v_sub_f32_e32 v2, v2, v3
	global_store_short_d16_hi v[32:33], v2, off offset:64
	v_mul_f32_e32 v2, v20, v2
	v_lshrrev_b32_e32 v15, 16, v2
.LBB33_86:
	s_or_b64 exec, exec, s[6:7]
	v_mov_b32_e32 v11, 0
	v_mov_b32_e32 v17, 0
	s_and_saveexec_b64 s[6:7], s[2:3]
	s_cbranch_execz .LBB33_88
; %bb.87:
	v_mov_b32_e32 v17, 0
	v_lshl_add_u64 v[2:3], v[8:9], 0, v[16:17]
	global_load_ushort v23, v[2:3], off offset:64
	v_lshl_add_u64 v[2:3], v[6:7], 0, v[16:17]
	s_waitcnt vmcnt(0)
	v_lshlrev_b32_e32 v17, 16, v23
	v_sub_f32_e32 v4, v17, v4
	global_store_short_d16_hi v[2:3], v4, off offset:64
	v_mul_f32_e32 v2, v30, v4
	v_lshrrev_b32_e32 v17, 16, v2
.LBB33_88:
	s_or_b64 exec, exec, s[6:7]
	s_and_saveexec_b64 s[6:7], vcc
	s_cbranch_execz .LBB33_90
; %bb.89:
	v_mov_b32_e32 v11, 0
	v_lshl_add_u64 v[2:3], v[8:9], 0, v[10:11]
	global_load_ushort v4, v[2:3], off offset:64
	v_lshl_add_u64 v[2:3], v[6:7], 0, v[10:11]
	s_waitcnt vmcnt(0)
	v_lshlrev_b32_e32 v4, 16, v4
	v_sub_f32_e32 v4, v4, v5
	global_store_short_d16_hi v[2:3], v4, off offset:64
	v_mul_f32_e32 v2, v18, v4
	v_lshrrev_b32_e32 v11, 16, v2
.LBB33_90:
	s_or_b64 exec, exec, s[6:7]
	s_mov_b32 s6, 0x5040100
	v_accvgpr_read_b32 v5, a3
	v_perm_b32 v33, v11, v17, s6
	v_or_b32_e32 v11, v31, v22
	v_accvgpr_read_b32 v4, a2
	v_accvgpr_read_b32 v3, a1
	;; [unrolled: 1-line block ×3, first 2 shown]
	v_perm_b32 v32, v15, v13, s6
	v_lshlrev_b32_e32 v11, 1, v11
	v_mov_b32_e32 v15, 0
	v_mov_b32_e32 v13, 0
	ds_write_b64 v11, v[32:33] offset:24576
	s_and_saveexec_b64 s[6:7], s[0:1]
	s_cbranch_execz .LBB33_92
; %bb.91:
	v_mov_b32_e32 v13, 0
	v_lshl_add_u64 v[22:23], v[8:9], 0, v[12:13]
	global_load_ushort v11, v[22:23], off offset:96
	v_lshl_add_u64 v[12:13], v[6:7], 0, v[12:13]
	s_waitcnt vmcnt(0)
	v_lshlrev_b32_e32 v11, 16, v11
	v_sub_f32_e32 v2, v11, v2
	global_store_short_d16_hi v[12:13], v2, off offset:96
	v_mul_f32_e32 v2, v21, v2
	v_lshrrev_b32_e32 v13, 16, v2
.LBB33_92:
	s_or_b64 exec, exec, s[6:7]
	s_and_saveexec_b64 s[0:1], s[4:5]
	s_cbranch_execz .LBB33_94
; %bb.93:
	v_mov_b32_e32 v15, 0
	v_lshl_add_u64 v[22:23], v[8:9], 0, v[14:15]
	global_load_ushort v2, v[22:23], off offset:96
	v_lshl_add_u64 v[14:15], v[6:7], 0, v[14:15]
	s_waitcnt vmcnt(0)
	v_lshlrev_b32_e32 v2, 16, v2
	v_sub_f32_e32 v2, v2, v3
	global_store_short_d16_hi v[14:15], v2, off offset:96
	v_mul_f32_e32 v2, v20, v2
	v_lshrrev_b32_e32 v15, 16, v2
.LBB33_94:
	s_or_b64 exec, exec, s[0:1]
	v_mov_b32_e32 v11, 0
	v_mov_b32_e32 v14, 0
	s_and_saveexec_b64 s[0:1], s[2:3]
	s_cbranch_execz .LBB33_96
; %bb.95:
	v_mov_b32_e32 v17, 0
	v_lshl_add_u64 v[2:3], v[8:9], 0, v[16:17]
	global_load_ushort v12, v[2:3], off offset:96
	v_lshl_add_u64 v[2:3], v[6:7], 0, v[16:17]
	s_waitcnt vmcnt(0)
	v_lshlrev_b32_e32 v12, 16, v12
	v_sub_f32_e32 v4, v12, v4
	global_store_short_d16_hi v[2:3], v4, off offset:96
	v_mul_f32_e32 v2, v30, v4
	v_lshrrev_b32_e32 v14, 16, v2
.LBB33_96:
	s_or_b64 exec, exec, s[0:1]
	v_or_b32_e32 v12, 0x6000, v26
	v_or_b32_e32 v4, 0x6000, v27
	;; [unrolled: 1-line block ×4, first 2 shown]
	s_and_saveexec_b64 s[0:1], vcc
	s_cbranch_execz .LBB33_98
; %bb.97:
	v_mov_b32_e32 v11, 0
	v_lshl_add_u64 v[8:9], v[8:9], 0, v[10:11]
	global_load_ushort v8, v[8:9], off offset:96
	v_lshl_add_u64 v[6:7], v[6:7], 0, v[10:11]
	s_waitcnt vmcnt(0)
	v_lshlrev_b32_e32 v8, 16, v8
	v_sub_f32_e32 v5, v8, v5
	global_store_short_d16_hi v[6:7], v5, off offset:96
	v_mul_f32_e32 v5, v18, v5
	v_lshrrev_b32_e32 v11, 16, v5
.LBB33_98:
	s_or_b64 exec, exec, s[0:1]
	s_mov_b32 s0, 0x5040100
	v_or_b32_e32 v5, v31, v19
	v_perm_b32 v7, v11, v14, s0
	v_perm_b32 v6, v15, v13, s0
	v_lshlrev_b32_e32 v5, 1, v5
	s_movk_i32 s0, 0x100
	ds_write_b64 v5, v[6:7] offset:24576
	v_and_b32_e32 v5, 7, v0
	v_and_b32_e32 v6, 8, v0
	v_cmp_gt_u32_e32 vcc, s0, v0
	v_lshrrev_b32_e32 v0, 1, v0
	v_lshlrev_b32_e32 v23, 3, v1
	v_and_b32_e32 v24, 24, v0
	v_mov_b32_e32 v7, 0xa000
	v_mov_b32_e32 v8, 0x8000
	v_xor_b32_e32 v0, v23, v24
	v_cndmask_b32_e32 v22, v7, v8, vcc
	v_or_b32_e32 v1, 0x440, v0
	v_cmp_eq_u32_e32 vcc, 0, v6
	v_lshlrev_b32_e32 v13, 3, v5
	v_lshlrev_b32_e32 v5, 7, v5
	v_cndmask_b32_e32 v0, v1, v0, vcc
	v_or_b32_e32 v0, v0, v25
	v_xad_u32 v35, v0, v13, v5
	v_or_b32_e32 v10, 32, v24
	v_add_u32_e32 v0, v22, v35
	v_xor_b32_e32 v10, v23, v10
	s_waitcnt lgkmcnt(0)
	s_barrier
	ds_read_b64 v[0:1], v0
	ds_read2_b64 v[6:9], v12 offset1:16
	ds_read2_b64 v[14:17], v12 offset0:32 offset1:48
	v_or_b32_e32 v11, 0x440, v10
	v_cndmask_b32_e32 v10, v11, v10, vcc
	v_or_b32_e32 v10, v10, v25
	v_xad_u32 v80, v10, v13, v5
	v_add_u32_e32 v10, v22, v80
	s_waitcnt lgkmcnt(1)
	v_mfma_f32_16x16x16_bf16 a[0:3], v[0:1], v[6:7], 0
	ds_read_b64 v[10:11], v10
	ds_read2st64_b64 v[18:21], v12 offset0:4 offset1:8
	ds_read2st64_b64 v[26:29], v4 offset0:4 offset1:8
	v_mfma_f32_16x16x16_bf16 a[4:7], v[0:1], v[8:9], 0
	ds_read2st64_b64 v[30:33], v3 offset0:4 offset1:8
	ds_read2st64_b64 v[76:79], v2 offset0:4 offset1:8
	s_waitcnt lgkmcnt(5)
	v_mfma_f32_16x16x16_bf16 a[8:11], v[0:1], v[14:15], 0
	v_mfma_f32_16x16x16_bf16 a[12:15], v[0:1], v[16:17], 0
	v_or_b32_e32 v0, 64, v24
	v_xor_b32_e32 v0, v23, v0
	v_xor_b32_e32 v1, 0x440, v0
	v_cndmask_b32_e32 v0, v1, v0, vcc
	v_or_b32_e32 v0, v0, v25
	v_xad_u32 v81, v0, v13, v5
	v_add_u32_e32 v0, v22, v81
	ds_read_b64 v[0:1], v0
	s_waitcnt lgkmcnt(4)
	v_mfma_f32_16x16x16_bf16 a[0:3], v[10:11], v[18:19], a[0:3]
	s_waitcnt lgkmcnt(3)
	v_mfma_f32_16x16x16_bf16 a[4:7], v[10:11], v[26:27], a[4:7]
	s_waitcnt lgkmcnt(2)
	v_mfma_f32_16x16x16_bf16 a[8:11], v[10:11], v[30:31], a[8:11]
	s_waitcnt lgkmcnt(1)
	v_mfma_f32_16x16x16_bf16 a[12:15], v[10:11], v[76:77], a[12:15]
	v_or_b32_e32 v10, 0x60, v24
	v_xor_b32_e32 v10, v23, v10
	v_xor_b32_e32 v11, 0x440, v10
	v_cndmask_b32_e32 v10, v11, v10, vcc
	v_or_b32_e32 v10, v10, v25
	v_xad_u32 v23, v10, v13, v5
	v_add_u32_e32 v5, v22, v23
	s_waitcnt lgkmcnt(0)
	v_mfma_f32_16x16x16_bf16 a[0:3], v[0:1], v[20:21], a[0:3]
	ds_read_b64 v[10:11], v5
	ds_read_b64 v[12:13], v12 offset:6144
	v_mfma_f32_16x16x16_bf16 a[4:7], v[0:1], v[28:29], a[4:7]
	v_mfma_f32_16x16x16_bf16 a[8:11], v[0:1], v[32:33], a[8:11]
	;; [unrolled: 1-line block ×3, first 2 shown]
	ds_read_b64 v[0:1], v4 offset:6144
	ds_read_b64 v[4:5], v3 offset:6144
	;; [unrolled: 1-line block ×3, first 2 shown]
	s_waitcnt lgkmcnt(3)
	v_mfma_f32_16x16x16_bf16 a[0:3], v[10:11], v[12:13], a[0:3]
	s_waitcnt lgkmcnt(2)
	v_mfma_f32_16x16x16_bf16 a[4:7], v[10:11], v[0:1], a[4:7]
	;; [unrolled: 2-line block ×4, first 2 shown]
	ds_read_b64 v[10:11], v35 offset:40960
	s_waitcnt lgkmcnt(0)
	v_mfma_f32_16x16x16_bf16 a[16:19], v[10:11], v[6:7], 0
	ds_read_b64 v[6:7], v80 offset:40960
	v_mfma_f32_16x16x16_bf16 a[20:23], v[10:11], v[8:9], 0
	v_exp_f32_e32 v8, s18
	v_mfma_f32_16x16x16_bf16 a[24:27], v[10:11], v[14:15], 0
	v_accvgpr_read_b32 v15, a3
	v_accvgpr_read_b32 v14, a2
	v_pk_fma_f32 v[74:75], v[74:75], v[8:9], v[14:15] op_sel_hi:[1,0,1]
	v_mfma_f32_16x16x16_bf16 a[28:31], v[10:11], v[16:17], 0
	ds_read_b64 v[10:11], v81 offset:40960
	ds_read_b64 v[14:15], v23 offset:40960
	v_accvgpr_read_b32 v17, a7
	s_waitcnt lgkmcnt(2)
	v_mfma_f32_16x16x16_bf16 a[16:19], v[6:7], v[18:19], a[16:19]
	v_accvgpr_read_b32 v16, a6
	v_accvgpr_read_b32 v19, a15
	v_accvgpr_read_b32 v18, a14
	v_mfma_f32_16x16x16_bf16 a[20:23], v[6:7], v[26:27], a[20:23]
	v_pk_fma_f32 v[66:67], v[66:67], v[8:9], v[16:17] op_sel_hi:[1,0,1]
	v_pk_fma_f32 v[52:53], v[52:53], v[8:9], v[18:19] op_sel_hi:[1,0,1]
	v_mfma_f32_16x16x16_bf16 a[24:27], v[6:7], v[30:31], a[24:27]
	v_mfma_f32_16x16x16_bf16 a[28:31], v[6:7], v[76:77], a[28:31]
	v_accvgpr_read_b32 v7, a11
	v_accvgpr_read_b32 v6, a10
	v_pk_fma_f32 v[58:59], v[58:59], v[8:9], v[6:7] op_sel_hi:[1,0,1]
	s_waitcnt lgkmcnt(1)
	v_mfma_f32_16x16x16_bf16 a[16:19], v[10:11], v[20:21], a[16:19]
	v_accvgpr_read_b32 v21, a1
	v_accvgpr_read_b32 v20, a0
	v_pk_fma_f32 v[70:71], v[70:71], v[8:9], v[20:21] op_sel_hi:[1,0,1]
	v_mfma_f32_16x16x16_bf16 a[0:3], v[10:11], v[28:29], a[20:23]
	v_accvgpr_read_b32 v21, a5
	v_accvgpr_read_b32 v20, a4
	;; [unrolled: 1-line block ×3, first 2 shown]
	v_mfma_f32_16x16x16_bf16 a[20:23], v[10:11], v[32:33], a[24:27]
	v_accvgpr_read_b32 v7, a13
	v_pk_fma_f32 v[46:47], v[46:47], v[8:9], v[6:7] op_sel_hi:[1,0,1]
	v_pk_fma_f32 v[62:63], v[62:63], v[8:9], v[20:21] op_sel_hi:[1,0,1]
	v_mfma_f32_16x16x16_bf16 a[4:7], v[10:11], v[78:79], a[28:31]
	v_accvgpr_read_b32 v11, a9
	v_accvgpr_read_b32 v10, a8
	v_pk_fma_f32 v[54:55], v[54:55], v[8:9], v[10:11] op_sel_hi:[1,0,1]
	s_waitcnt lgkmcnt(0)
	v_mfma_f32_16x16x16_bf16 a[8:11], v[14:15], v[12:13], a[16:19]
	v_mfma_f32_16x16x16_bf16 a[0:3], v[14:15], v[0:1], a[0:3]
	s_nop 5
	v_accvgpr_read_b32 v1, a11
	v_accvgpr_read_b32 v0, a10
	v_mfma_f32_16x16x16_bf16 a[10:13], v[14:15], v[4:5], a[20:23]
	v_pk_fma_f32 v[72:73], v[72:73], v[8:9], v[0:1] op_sel_hi:[1,0,1]
	v_accvgpr_read_b32 v7, a3
	v_accvgpr_read_b32 v6, a2
	v_mfma_f32_16x16x16_bf16 a[2:5], v[14:15], v[2:3], a[4:7]
	v_accvgpr_read_b32 v0, a0
	v_accvgpr_read_b32 v1, a1
	v_pk_fma_f32 v[60:61], v[60:61], v[8:9], v[0:1] op_sel_hi:[1,0,1]
	v_accvgpr_read_b32 v0, a10
	v_accvgpr_read_b32 v1, a11
	;; [unrolled: 1-line block ×3, first 2 shown]
	v_pk_fma_f32 v[50:51], v[50:51], v[8:9], v[0:1] op_sel_hi:[1,0,1]
	v_accvgpr_read_b32 v0, a2
	v_accvgpr_read_b32 v5, a13
	v_accvgpr_read_b32 v4, a12
	v_accvgpr_read_b32 v3, a5
	v_accvgpr_read_b32 v2, a4
	v_accvgpr_read_b32 v10, a8
	v_accvgpr_read_b32 v1, a3
	v_pk_fma_f32 v[68:69], v[68:69], v[8:9], v[10:11] op_sel_hi:[1,0,1]
	v_pk_fma_f32 v[64:65], v[64:65], v[8:9], v[6:7] op_sel_hi:[1,0,1]
	;; [unrolled: 1-line block ×5, first 2 shown]
.LBB33_99:
	s_add_u32 s0, s10, s34
	s_addc_u32 s1, s11, s35
	v_lshl_add_u64 v[0:1], v[36:37], 1, s[0:1]
	v_mov_b32_e32 v35, 0
	s_mov_b32 s2, 0x7060302
	v_lshl_add_u64 v[0:1], v[0:1], 0, v[34:35]
	v_perm_b32 v3, v75, v74, s2
	v_perm_b32 v2, v71, v70, s2
	global_store_dwordx2 v[0:1], v[2:3], off
	v_perm_b32 v3, v73, v72, s2
	v_perm_b32 v2, v69, v68, s2
	global_store_dwordx2 v[0:1], v[2:3], off offset:128
	v_lshl_add_u64 v[0:1], v[38:39], 1, s[0:1]
	v_lshl_add_u64 v[0:1], v[0:1], 0, v[34:35]
	v_perm_b32 v3, v67, v66, s2
	v_perm_b32 v2, v63, v62, s2
	global_store_dwordx2 v[0:1], v[2:3], off
	v_perm_b32 v3, v65, v64, s2
	v_perm_b32 v2, v61, v60, s2
	global_store_dwordx2 v[0:1], v[2:3], off offset:128
	v_lshl_add_u64 v[0:1], v[40:41], 1, s[0:1]
	;; [unrolled: 8-line block ×3, first 2 shown]
	v_lshl_add_u64 v[0:1], v[0:1], 0, v[34:35]
	v_perm_b32 v3, v53, v52, s2
	v_perm_b32 v2, v47, v46, s2
	global_store_dwordx2 v[0:1], v[2:3], off
	v_perm_b32 v3, v49, v48, s2
	v_perm_b32 v2, v45, v44, s2
	global_store_dwordx2 v[0:1], v[2:3], off offset:128
	s_endpgm
	.section	.rodata,"a",@progbits
	.p2align	6, 0x0
	.amdhsa_kernel _ZN12_GLOBAL__N_139chunk_gated_delta_rule_fwd_h_hip_kernelILi64ELb1ELb1ELb1ELb1ELb1ELb0ELb1ELb1EEEvPK12hip_bfloat16S3_S3_PKfS5_PKvPS1_S8_PvPKiSB_iiiiilll
		.amdhsa_group_segment_fixed_size 65536
		.amdhsa_private_segment_fixed_size 0
		.amdhsa_kernarg_size 136
		.amdhsa_user_sgpr_count 2
		.amdhsa_user_sgpr_dispatch_ptr 0
		.amdhsa_user_sgpr_queue_ptr 0
		.amdhsa_user_sgpr_kernarg_segment_ptr 1
		.amdhsa_user_sgpr_dispatch_id 0
		.amdhsa_user_sgpr_kernarg_preload_length 0
		.amdhsa_user_sgpr_kernarg_preload_offset 0
		.amdhsa_user_sgpr_private_segment_size 0
		.amdhsa_uses_dynamic_stack 0
		.amdhsa_enable_private_segment 0
		.amdhsa_system_sgpr_workgroup_id_x 1
		.amdhsa_system_sgpr_workgroup_id_y 1
		.amdhsa_system_sgpr_workgroup_id_z 0
		.amdhsa_system_sgpr_workgroup_info 0
		.amdhsa_system_vgpr_workitem_id 0
		.amdhsa_next_free_vgpr 224
		.amdhsa_next_free_sgpr 67
		.amdhsa_accum_offset 188
		.amdhsa_reserve_vcc 1
		.amdhsa_float_round_mode_32 0
		.amdhsa_float_round_mode_16_64 0
		.amdhsa_float_denorm_mode_32 3
		.amdhsa_float_denorm_mode_16_64 3
		.amdhsa_dx10_clamp 1
		.amdhsa_ieee_mode 1
		.amdhsa_fp16_overflow 0
		.amdhsa_tg_split 0
		.amdhsa_exception_fp_ieee_invalid_op 0
		.amdhsa_exception_fp_denorm_src 0
		.amdhsa_exception_fp_ieee_div_zero 0
		.amdhsa_exception_fp_ieee_overflow 0
		.amdhsa_exception_fp_ieee_underflow 0
		.amdhsa_exception_fp_ieee_inexact 0
		.amdhsa_exception_int_div_zero 0
	.end_amdhsa_kernel
	.section	.text._ZN12_GLOBAL__N_139chunk_gated_delta_rule_fwd_h_hip_kernelILi64ELb1ELb1ELb1ELb1ELb1ELb0ELb1ELb1EEEvPK12hip_bfloat16S3_S3_PKfS5_PKvPS1_S8_PvPKiSB_iiiiilll,"axG",@progbits,_ZN12_GLOBAL__N_139chunk_gated_delta_rule_fwd_h_hip_kernelILi64ELb1ELb1ELb1ELb1ELb1ELb0ELb1ELb1EEEvPK12hip_bfloat16S3_S3_PKfS5_PKvPS1_S8_PvPKiSB_iiiiilll,comdat
.Lfunc_end33:
	.size	_ZN12_GLOBAL__N_139chunk_gated_delta_rule_fwd_h_hip_kernelILi64ELb1ELb1ELb1ELb1ELb1ELb0ELb1ELb1EEEvPK12hip_bfloat16S3_S3_PKfS5_PKvPS1_S8_PvPKiSB_iiiiilll, .Lfunc_end33-_ZN12_GLOBAL__N_139chunk_gated_delta_rule_fwd_h_hip_kernelILi64ELb1ELb1ELb1ELb1ELb1ELb0ELb1ELb1EEEvPK12hip_bfloat16S3_S3_PKfS5_PKvPS1_S8_PvPKiSB_iiiiilll
                                        ; -- End function
	.section	.AMDGPU.csdata,"",@progbits
; Kernel info:
; codeLenInByte = 12624
; NumSgprs: 73
; NumVgprs: 188
; NumAgprs: 36
; TotalNumVgprs: 224
; ScratchSize: 0
; MemoryBound: 0
; FloatMode: 240
; IeeeMode: 1
; LDSByteSize: 65536 bytes/workgroup (compile time only)
; SGPRBlocks: 9
; VGPRBlocks: 27
; NumSGPRsForWavesPerEU: 73
; NumVGPRsForWavesPerEU: 224
; AccumOffset: 188
; Occupancy: 1
; WaveLimiterHint : 1
; COMPUTE_PGM_RSRC2:SCRATCH_EN: 0
; COMPUTE_PGM_RSRC2:USER_SGPR: 2
; COMPUTE_PGM_RSRC2:TRAP_HANDLER: 0
; COMPUTE_PGM_RSRC2:TGID_X_EN: 1
; COMPUTE_PGM_RSRC2:TGID_Y_EN: 1
; COMPUTE_PGM_RSRC2:TGID_Z_EN: 0
; COMPUTE_PGM_RSRC2:TIDIG_COMP_CNT: 0
; COMPUTE_PGM_RSRC3_GFX90A:ACCUM_OFFSET: 46
; COMPUTE_PGM_RSRC3_GFX90A:TG_SPLIT: 0
	.section	.text._ZN12_GLOBAL__N_139chunk_gated_delta_rule_fwd_h_hip_kernelILi64ELb1ELb1ELb0ELb1ELb1ELb0ELb1ELb1EEEvPK12hip_bfloat16S3_S3_PKfS5_PKvPS1_S8_PvPKiSB_iiiiilll,"axG",@progbits,_ZN12_GLOBAL__N_139chunk_gated_delta_rule_fwd_h_hip_kernelILi64ELb1ELb1ELb0ELb1ELb1ELb0ELb1ELb1EEEvPK12hip_bfloat16S3_S3_PKfS5_PKvPS1_S8_PvPKiSB_iiiiilll,comdat
	.globl	_ZN12_GLOBAL__N_139chunk_gated_delta_rule_fwd_h_hip_kernelILi64ELb1ELb1ELb0ELb1ELb1ELb0ELb1ELb1EEEvPK12hip_bfloat16S3_S3_PKfS5_PKvPS1_S8_PvPKiSB_iiiiilll ; -- Begin function _ZN12_GLOBAL__N_139chunk_gated_delta_rule_fwd_h_hip_kernelILi64ELb1ELb1ELb0ELb1ELb1ELb0ELb1ELb1EEEvPK12hip_bfloat16S3_S3_PKfS5_PKvPS1_S8_PvPKiSB_iiiiilll
	.p2align	8
	.type	_ZN12_GLOBAL__N_139chunk_gated_delta_rule_fwd_h_hip_kernelILi64ELb1ELb1ELb0ELb1ELb1ELb0ELb1ELb1EEEvPK12hip_bfloat16S3_S3_PKfS5_PKvPS1_S8_PvPKiSB_iiiiilll,@function
_ZN12_GLOBAL__N_139chunk_gated_delta_rule_fwd_h_hip_kernelILi64ELb1ELb1ELb0ELb1ELb1ELb0ELb1ELb1EEEvPK12hip_bfloat16S3_S3_PKfS5_PKvPS1_S8_PvPKiSB_iiiiilll: ; @_ZN12_GLOBAL__N_139chunk_gated_delta_rule_fwd_h_hip_kernelILi64ELb1ELb1ELb0ELb1ELb1ELb0ELb1ELb1EEEvPK12hip_bfloat16S3_S3_PKfS5_PKvPS1_S8_PvPKiSB_iiiiilll
; %bb.0:
	s_load_dwordx4 s[16:19], s[0:1], 0x5c
	s_load_dwordx2 s[4:5], s[0:1], 0x50
	s_abs_i32 s7, s3
	s_ashr_i32 s6, s3, 31
	s_load_dwordx4 s[12:15], s[0:1], 0x40
	s_load_dwordx4 s[20:23], s[0:1], 0x28
	s_waitcnt lgkmcnt(0)
	s_abs_i32 s10, s17
	v_cvt_f32_u32_e32 v1, s10
	s_sub_i32 s8, 0, s10
	s_ashr_i32 s11, s17, 31
	s_xor_b32 s6, s6, s11
	v_rcp_iflag_f32_e32 v1, v1
	v_and_b32_e32 v86, 15, v0
	v_bfe_u32 v85, v0, 4, 2
	v_mov_b32_e32 v35, 0
	v_mul_f32_e32 v1, 0x4f7ffffe, v1
	v_cvt_u32_f32_e32 v1, v1
	v_lshlrev_b32_e32 v87, 3, v0
	v_readfirstlane_b32 s9, v1
	s_mul_i32 s8, s8, s9
	s_mul_hi_u32 s8, s9, s8
	s_add_i32 s9, s9, s8
	s_mul_hi_u32 s8, s7, s9
	s_mul_i32 s9, s8, s10
	s_sub_i32 s7, s7, s9
	s_add_i32 s24, s8, 1
	s_sub_i32 s9, s7, s10
	s_cmp_ge_u32 s7, s10
	s_cselect_b32 s8, s24, s8
	s_cselect_b32 s7, s9, s7
	s_add_i32 s9, s8, 1
	s_cmp_ge_u32 s7, s10
	s_cselect_b32 s7, s9, s8
	s_xor_b32 s7, s7, s6
	s_sub_i32 s28, s7, s6
	s_mul_i32 s24, s28, s17
	s_ashr_i32 s29, s28, 31
	s_sub_i32 s49, s3, s24
	s_lshl_b64 s[6:7], s[28:29], 2
	s_add_u32 s8, s14, s6
	s_addc_u32 s9, s15, s7
	s_add_u32 s30, s4, s6
	s_addc_u32 s31, s5, s7
	s_abs_i32 s3, s18
	v_cvt_f32_u32_e32 v1, s3
	s_load_dwordx2 s[36:37], s[8:9], 0x0
	s_sub_i32 s5, 0, s3
	s_lshl_b32 s2, s2, 6
	v_rcp_iflag_f32_e32 v1, v1
	v_or_b32_e32 v76, s2, v86
	s_waitcnt lgkmcnt(0)
	s_sub_i32 s52, s37, s36
	s_ashr_i32 s4, s52, 31
	v_mul_f32_e32 v1, 0x4f7ffffe, v1
	v_cvt_u32_f32_e32 v1, v1
	s_lshr_b32 s4, s4, 26
	s_add_i32 s4, s52, s4
	s_ashr_i32 s51, s4, 6
	v_readfirstlane_b32 s6, v1
	s_mul_i32 s5, s5, s6
	s_mul_hi_u32 s5, s6, s5
	s_add_i32 s6, s6, s5
	s_mul_hi_u32 s5, s10, s6
	s_mul_i32 s6, s5, s3
	s_ashr_i32 s4, s18, 31
	s_sub_i32 s6, s10, s6
	s_xor_b32 s4, s11, s4
	s_add_i32 s7, s5, 1
	s_sub_i32 s8, s6, s3
	s_cmp_ge_u32 s6, s3
	s_cselect_b32 s5, s7, s5
	s_cselect_b32 s6, s8, s6
	s_add_i32 s7, s5, 1
	s_cmp_ge_u32 s6, s3
	s_cselect_b32 s3, s7, s5
	s_xor_b32 s3, s3, s4
	s_sub_i32 s3, s3, s4
	s_abs_i32 s4, s3
	v_cvt_f32_u32_e32 v1, s4
	s_sub_i32 s6, 0, s4
	s_abs_i32 s5, s49
	s_xor_b32 s3, s49, s3
	v_rcp_iflag_f32_e32 v2, v1
	s_ashr_i32 s3, s3, 31
	v_lshrrev_b32_e32 v1, 6, v0
	v_lshlrev_b32_e32 v36, 7, v76
	v_mul_f32_e32 v2, 0x4f7ffffe, v2
	v_cvt_u32_f32_e32 v2, v2
	v_lshlrev_b32_e32 v84, 4, v1
	v_or_b32_e32 v38, 0x800, v36
	v_lshl_or_b32 v89, v85, 2, v84
	v_readfirstlane_b32 s7, v2
	s_mul_i32 s6, s6, s7
	s_mul_hi_u32 s6, s7, s6
	s_add_i32 s7, s7, s6
	s_mul_hi_u32 s6, s5, s7
	s_mul_i32 s7, s6, s4
	s_sub_i32 s5, s5, s7
	s_add_i32 s7, s6, 1
	s_sub_i32 s8, s5, s4
	s_cmp_ge_u32 s5, s4
	s_cselect_b32 s6, s7, s6
	s_cselect_b32 s5, s8, s5
	s_add_i32 s7, s6, 1
	s_cmp_ge_u32 s5, s4
	s_cselect_b32 s4, s7, s6
	s_xor_b32 s4, s4, s3
	s_sub_i32 s53, s4, s3
	s_ashr_i32 s50, s49, 31
	s_mul_hi_i32 s3, s28, s17
	s_add_u32 s4, s24, s49
	s_addc_u32 s5, s3, s50
	s_lshl_b64 s[14:15], s[4:5], 15
	s_add_u32 s4, s20, s14
	s_addc_u32 s5, s21, s15
	v_ashrrev_i32_e32 v37, 31, v36
	v_ashrrev_i32_e32 v39, 31, v38
	v_lshl_add_u64 v[2:3], v[36:37], 1, s[4:5]
	v_lshlrev_b32_e32 v34, 1, v89
	v_lshl_add_u64 v[6:7], v[38:39], 1, s[4:5]
	v_or_b32_e32 v40, 0x1000, v36
	v_or_b32_e32 v42, 0x1800, v36
	v_lshl_add_u64 v[2:3], v[2:3], 0, v[34:35]
	v_lshl_add_u64 v[6:7], v[6:7], 0, v[34:35]
	v_ashrrev_i32_e32 v41, 31, v40
	v_ashrrev_i32_e32 v43, 31, v42
	global_load_dwordx2 v[4:5], v[2:3], off
	v_lshl_add_u64 v[14:15], v[42:43], 1, s[4:5]
	global_load_dwordx2 v[2:3], v[2:3], off offset:128
	s_nop 0
	global_load_dwordx2 v[8:9], v[6:7], off
	global_load_dwordx2 v[10:11], v[6:7], off offset:128
	v_lshl_add_u64 v[6:7], v[40:41], 1, s[4:5]
	v_lshl_add_u64 v[6:7], v[6:7], 0, v[34:35]
	;; [unrolled: 1-line block ×3, first 2 shown]
	global_load_dwordx2 v[12:13], v[6:7], off
	v_and_b32_e32 v35, 63, v0
	global_load_dwordx2 v[6:7], v[6:7], off offset:128
	s_nop 0
	global_load_dwordx2 v[16:17], v[14:15], off
	global_load_dwordx2 v[18:19], v[14:15], off offset:128
	s_load_dwordx8 s[4:11], s[0:1], 0x0
	s_load_dwordx2 s[34:35], s[0:1], 0x80
	s_load_dwordx4 s[24:27], s[0:1], 0x70
	s_load_dword s56, s[30:31], 0x0
	v_lshrrev_b32_e32 v88, 3, v35
	v_or_b32_e32 v90, 64, v89
	s_mul_hi_i32 s54, s49, s16
	s_waitcnt lgkmcnt(0)
	s_mul_i32 s33, s28, s25
	s_mul_hi_u32 s44, s28, s24
	s_mul_i32 s55, s49, s16
	s_cmp_lt_i32 s52, 64
	s_mul_i32 s45, s29, s24
	s_mul_i32 s40, s28, s24
	;; [unrolled: 1-line block ×3, first 2 shown]
	s_mul_hi_u32 s47, s49, s26
	s_mul_i32 s48, s50, s26
	s_mul_i32 s38, s49, s26
	s_waitcnt vmcnt(7)
	v_and_b32_e32 v71, 0xffff0000, v4
	v_lshlrev_b32_e32 v70, 16, v4
	v_and_b32_e32 v75, 0xffff0000, v5
	v_lshlrev_b32_e32 v74, 16, v5
	s_waitcnt vmcnt(6)
	v_and_b32_e32 v69, 0xffff0000, v2
	v_lshlrev_b32_e32 v68, 16, v2
	v_and_b32_e32 v73, 0xffff0000, v3
	v_lshlrev_b32_e32 v72, 16, v3
	;; [unrolled: 5-line block ×8, first 2 shown]
	s_cbranch_scc1 .LBB34_18
; %bb.1:
	s_ashr_i32 s1, s36, 31
	s_add_u32 s0, s55, s36
	s_addc_u32 s1, s54, s1
	s_lshl_b64 s[0:1], s[0:1], 8
	v_and_b32_e32 v92, 56, v87
	s_add_u32 s24, s6, s0
	v_lshl_or_b32 v91, v1, 3, v88
	v_lshlrev_b32_e32 v2, 1, v92
	s_addc_u32 s0, s7, s1
	v_lshl_or_b32 v93, v91, 8, v2
	s_and_b32 s25, s0, 0xffff
	s_mov_b32 s27, 0x20000
	s_movk_i32 s26, 0x4000
	s_movk_i32 s0, 0x80
	v_or_b32_e32 v94, 0x2000, v93
	buffer_load_dwordx4 v[4:7], v93, s[24:27], 0 offen
	buffer_load_dwordx4 v[8:11], v93, s[24:27], s0 offen
	;; [unrolled: 1-line block ×4, first 2 shown]
	v_lshlrev_b32_e32 v3, 3, v91
	v_and_or_b32 v21, v0, 7, v3
	v_and_b32_e32 v3, 0x78, v3
	v_lshlrev_b32_e32 v21, 4, v21
	v_xor_b32_e32 v95, v21, v3
	v_mul_lo_u32 v20, v91, s19
	v_or_b32_e32 v96, 0x1000, v95
	v_xor_b32_e32 v3, 8, v95
	s_cmpk_eq_i32 s19, 0x80
	s_mov_b32 s57, s36
	v_xor_b32_e32 v21, 8, v96
	s_cselect_b64 s[0:1], -1, 0
	s_cmpk_lg_i32 s19, 0x80
	s_waitcnt vmcnt(3)
	ds_write_b64 v95, v[4:5] offset:49152
	ds_write_b64 v3, v[6:7] offset:49152
	s_waitcnt vmcnt(2)
	ds_write_b64 v95, v[8:9] offset:57344
	ds_write_b64 v3, v[10:11] offset:57344
	;; [unrolled: 3-line block ×4, first 2 shown]
	v_lshl_add_u32 v3, v20, 1, v92
	s_cbranch_scc0 .LBB34_3
; %bb.2:
	v_lshlrev_b32_e32 v5, 1, v3
	v_add_lshl_u32 v4, v3, s19, 1
	s_lshl_b32 s26, s19, 7
	v_lshl_or_b32 v2, v91, 9, v2
	s_cbranch_execz .LBB34_4
	s_branch .LBB34_5
.LBB34_3:
                                        ; implicit-def: $vgpr4
                                        ; implicit-def: $vgpr5
                                        ; implicit-def: $sgpr26
	v_lshl_or_b32 v2, v91, 9, v2
.LBB34_4:
	v_or_b32_e32 v4, 0x100, v2
	s_movk_i32 s26, 0x4000
	v_mov_b32_e32 v5, v2
.LBB34_5:
	s_mul_i32 s20, s36, s18
	s_ashr_i32 s58, s53, 31
	s_mul_hi_i32 s3, s36, s18
	s_add_u32 s20, s20, s53
	s_addc_u32 s21, s3, s58
	s_lshl_b64 s[20:21], s[20:21], 8
	s_add_u32 s24, s4, s20
	s_addc_u32 s3, s5, s21
	s_and_b32 s25, s3, 0xffff
	s_movk_i32 s59, 0x80
	buffer_load_dwordx4 v[6:9], v5, s[24:27], 0 offen
	buffer_load_dwordx4 v[10:13], v5, s[24:27], s59 offen
	;; [unrolled: 1-line block ×4, first 2 shown]
	v_and_b32_e32 v5, 6, v0
	v_lshlrev_b32_e32 v4, 7, v89
	v_xor_b32_e32 v27, v91, v5
	v_and_b32_e32 v22, 1, v0
	v_lshl_or_b32 v30, v86, 3, v4
	v_lshlrev_b32_e32 v27, 2, v27
	v_lshlrev_b32_e32 v23, 2, v86
	v_or_b32_e32 v97, 0x4000, v30
	v_or_b32_e32 v98, 0x6000, v30
	v_xor_b32_e32 v30, 0x440, v27
	v_cmp_eq_u32_e32 vcc, 0, v22
	v_or_b32_e32 v25, 16, v86
	v_or_b32_e32 v26, 32, v86
	v_xor_b32_e32 v28, v89, v23
	v_xor_b32_e32 v29, v90, v23
	v_cndmask_b32_e32 v22, v30, v27, vcc
	s_mov_b32 s60, 0x1000504
	v_lshl_or_b32 v31, v25, 3, v4
	v_lshlrev_b32_e32 v25, 8, v25
	v_lshl_or_b32 v32, v26, 3, v4
	v_lshlrev_b32_e32 v28, 1, v28
	v_lshlrev_b32_e32 v29, 1, v29
	v_lshl_or_b32 v5, v5, 10, v22
	s_add_i32 s3, s44, s33
	s_mov_b32 s61, 0x3020706
	v_lshlrev_b32_e32 v24, 8, v86
	v_or_b32_e32 v101, 0x4000, v32
	v_or_b32_e32 v102, 0x6000, v32
	;; [unrolled: 1-line block ×4, first 2 shown]
	v_xor_b32_e32 v22, 8, v5
	v_xor_b32_e32 v25, 24, v5
	;; [unrolled: 1-line block ×4, first 2 shown]
	s_add_i32 s41, s3, s45
	s_add_i32 s3, s47, s46
	v_or_b32_e32 v99, 0x4000, v31
	v_or_b32_e32 v100, 0x6000, v31
	v_or_b32_e32 v103, v24, v28
	v_or_b32_e32 v104, v24, v29
	v_xor_b32_e32 v24, 16, v5
	v_xor_b32_e32 v27, 32, v5
	v_xor_b32_e32 v31, 48, v5
	v_add_u32_e32 v22, 0x80, v22
	v_add_u32_e32 v25, 0x80, v25
	;; [unrolled: 1-line block ×4, first 2 shown]
	s_add_i32 s39, s3, s48
	s_lshl_b64 s[20:21], s[40:41], 2
	s_add_u32 s3, s10, s20
	s_addc_u32 s24, s11, s21
	s_lshl_b64 s[20:21], s[38:39], 2
	s_add_u32 s20, s3, s20
	s_movk_i32 s3, 0xf8
	s_addc_u32 s21, s24, s21
	s_lshl_b32 s30, s19, 7
	s_movk_i32 s28, 0x100
	v_mov_b32_e32 v79, 0
	v_lshlrev_b32_e32 v78, 4, v86
	v_cmp_gt_u32_e32 vcc, s28, v0
	v_lshlrev_b32_e32 v26, 8, v26
	s_mov_b32 s62, 0
	s_movk_i32 s26, 0x4000
	v_or_b32_e32 v107, v26, v28
	v_or_b32_e32 v108, v26, v29
	s_movk_i32 s39, 0x2000
	s_movk_i32 s41, 0x3000
	s_waitcnt vmcnt(1)
	v_perm_b32 v33, v6, v14, s60
	s_waitcnt vmcnt(0)
	v_perm_b32 v77, v10, v18, s60
	v_perm_b32 v6, v6, v14, s61
	;; [unrolled: 1-line block ×15, first 2 shown]
	ds_write2st64_b32 v5, v33, v77 offset0:128 offset1:160
	ds_write2st64_b32 v22, v6, v10 offset0:128 offset1:160
	;; [unrolled: 1-line block ×8, first 2 shown]
	v_or_b32_e32 v5, 48, v86
	v_lshl_or_b32 v6, v5, 3, v4
	v_lshlrev_b32_e32 v5, 8, v5
	v_or_b32_e32 v111, v5, v28
	v_or_b32_e32 v112, v5, v29
	;; [unrolled: 1-line block ×3, first 2 shown]
	v_lshlrev_b32_e32 v5, 3, v5
	v_lshrrev_b32_e32 v7, 5, v35
	v_and_or_b32 v7, v5, s3, v7
	v_lshlrev_b32_e32 v7, 4, v7
	v_lshlrev_b32_e32 v8, 11, v1
	v_and_b32_e32 v5, 0x78, v5
	v_or_b32_e32 v13, 32, v7
	v_or_b32_e32 v109, 0x4000, v6
	;; [unrolled: 1-line block ×3, first 2 shown]
	v_and_b32_e32 v6, 0x1000, v8
	v_xor_b32_e32 v9, v7, v5
	v_lshrrev_b32_e32 v10, 1, v0
	v_xor_b32_e32 v13, v13, v5
	v_or_b32_e32 v9, v9, v6
	v_and_b32_e32 v11, 8, v10
	v_or_b32_e32 v13, v13, v6
	v_xor_b32_e32 v113, v9, v11
	v_lshlrev_b32_e32 v9, 8, v85
	v_xor_b32_e32 v115, v13, v11
	v_or_b32_e32 v13, 64, v7
	v_or_b32_e32 v7, 0x60, v7
	s_ashr_i32 s3, s2, 31
	v_or_b32_e32 v12, v9, v23
	v_xor_b32_e32 v13, v13, v5
	v_xor_b32_e32 v5, v7, v5
	s_lshl_b64 s[24:25], s[2:3], 8
	v_lshlrev_b32_e32 v12, 1, v12
	v_or_b32_e32 v13, v13, v6
	v_or_b32_e32 v5, v5, v6
	s_add_u32 s24, s22, s24
	v_lshlrev_b32_e32 v6, 1, v86
	v_or_b32_e32 v114, 0x4000, v12
	v_or_b32_e32 v116, 0x4080, v12
	;; [unrolled: 1-line block ×8, first 2 shown]
	v_lshrrev_b32_e32 v12, 4, v0
	s_addc_u32 s25, s23, s25
	v_or_b32_e32 v7, 1, v6
	v_mov_b32_e32 v16, 0xa000
	v_mov_b32_e32 v17, 0x8000
	v_xor_b32_e32 v119, v13, v11
	v_xor_b32_e32 v13, v12, v6
	;; [unrolled: 1-line block ×3, first 2 shown]
	v_lshl_add_u64 v[6:7], s[24:25], 0, v[78:79]
	v_lshlrev_b32_e32 v78, 8, v12
	v_cndmask_b32_e32 v16, v16, v17, vcc
	v_lshlrev_b32_e32 v17, 3, v1
	v_and_b32_e32 v10, 24, v10
	v_lshl_or_b32 v125, v13, 3, v78
	v_and_b32_e32 v13, 8, v0
	v_xor_b32_e32 v18, v17, v10
	v_or_b32_e32 v19, 0x440, v18
	v_cmp_eq_u32_e32 vcc, 0, v13
	v_and_b32_e32 v12, 7, v0
	v_lshl_or_b32 v126, v14, 3, v78
	v_cndmask_b32_e32 v13, v19, v18, vcc
	v_lshlrev_b32_e32 v14, 3, v12
	v_lshlrev_b32_e32 v12, 7, v12
	v_or_b32_e32 v13, v13, v8
	v_lshlrev_b32_e32 v15, 2, v0
	v_xad_u32 v127, v13, v14, v12
	v_or_b32_e32 v13, 32, v10
	v_and_or_b32 v9, v15, 60, v9
	v_xor_b32_e32 v13, v17, v13
	v_lshlrev_b32_e32 v9, 1, v9
	v_or_b32_e32 v15, 0x440, v13
	v_or_b32_e32 v128, 0x6000, v9
	v_cndmask_b32_e32 v13, v15, v13, vcc
	v_or_b32_e32 v130, 0x6080, v9
	v_or_b32_e32 v131, 0x6100, v9
	;; [unrolled: 1-line block ×5, first 2 shown]
	v_xor_b32_e32 v9, v17, v9
	v_xad_u32 v129, v13, v14, v12
	v_xor_b32_e32 v13, 0x440, v9
	v_cndmask_b32_e32 v9, v13, v9, vcc
	v_or_b32_e32 v9, v9, v8
	v_xad_u32 v133, v9, v14, v12
	v_or_b32_e32 v9, 0x60, v10
	v_xor_b32_e32 v9, v17, v9
	v_xor_b32_e32 v10, 0x440, v9
	v_cndmask_b32_e32 v9, v10, v9, vcc
	v_or_b32_e32 v8, v9, v8
	v_xor_b32_e32 v120, v5, v11
	v_ashrrev_i32_e32 v77, 31, v76
	v_lshlrev_b32_e32 v5, 1, v3
	v_add_lshl_u32 v3, v3, s19, 1
	v_or_b32_e32 v11, 0x100, v2
	v_xad_u32 v134, v8, v14, v12
	v_cndmask_b32_e64 v135, v5, v2, s[0:1]
	v_cndmask_b32_e64 v136, v3, v11, s[0:1]
	v_lshl_add_u64 v[80:81], v[76:77], 1, s[8:9]
	v_lshl_add_u64 v[82:83], v[6:7], 0, v[78:79]
	s_mov_b32 s3, 0x7060302
	v_lshlrev_b32_e32 v78, 1, v4
	v_add_u32_e32 v77, v16, v127
	v_add_u32_e32 v137, v16, v129
	;; [unrolled: 1-line block ×4, first 2 shown]
	s_waitcnt lgkmcnt(0)
	s_barrier
.LBB34_6:                               ; =>This Inner Loop Header: Depth=1
	s_add_i32 s63, s62, 1
	s_cmp_lt_i32 s63, s51
	s_mov_b64 s[28:29], 0
	s_cselect_b64 s[42:43], -1, 0
	s_cmp_ge_i32 s63, s51
	s_mov_b64 s[24:25], 0
	s_cbranch_scc1 .LBB34_8
; %bb.7:                                ;   in Loop: Header=BB34_6 Depth=1
	s_add_i32 s0, s57, 64
	s_ashr_i32 s1, s0, 31
	s_add_u32 s0, s55, s0
	s_addc_u32 s1, s54, s1
	s_lshl_b64 s[0:1], s[0:1], 8
	s_add_u32 s24, s6, s0
	s_addc_u32 s25, s7, s1
.LBB34_8:                               ;   in Loop: Header=BB34_6 Depth=1
	v_cndmask_b32_e64 v2, 0, 1, s[42:43]
	v_cmp_ne_u32_e64 s[0:1], 1, v2
	s_andn2_b64 vcc, exec, s[42:43]
	s_cbranch_vccnz .LBB34_10
; %bb.9:                                ;   in Loop: Header=BB34_6 Depth=1
	s_add_i32 s28, s57, 64
	s_mul_hi_i32 s29, s28, s18
	s_mul_i32 s28, s28, s18
	s_add_u32 s28, s28, s53
	s_addc_u32 s29, s29, s58
	s_lshl_b64 s[28:29], s[28:29], 8
	s_add_u32 s28, s4, s28
	s_addc_u32 s29, s5, s29
.LBB34_10:                              ;   in Loop: Header=BB34_6 Depth=1
	v_perm_b32 v3, v75, v74, s3
	v_perm_b32 v2, v71, v70, s3
	v_perm_b32 v5, v73, v72, s3
	v_perm_b32 v4, v69, v68, s3
	ds_write_b64 v97, v[2:3]
	ds_write_b64 v98, v[4:5]
	ds_write_b64 v103, v[2:3]
	ds_write_b64 v104, v[4:5]
	v_perm_b32 v3, v67, v66, s3
	v_perm_b32 v2, v63, v62, s3
	v_perm_b32 v5, v65, v64, s3
	v_perm_b32 v4, v61, v60, s3
	ds_write_b64 v99, v[2:3]
	ds_write_b64 v100, v[4:5]
	ds_write_b64 v105, v[2:3]
	ds_write_b64 v106, v[4:5]
	v_perm_b32 v3, v59, v58, s3
	v_perm_b32 v2, v55, v54, s3
	v_perm_b32 v5, v57, v56, s3
	v_perm_b32 v4, v51, v50, s3
	ds_write_b64 v101, v[2:3]
	ds_write_b64 v102, v[4:5]
	ds_write_b64 v107, v[2:3]
	ds_write_b64 v108, v[4:5]
	v_perm_b32 v3, v53, v52, s3
	v_perm_b32 v2, v47, v46, s3
	v_perm_b32 v5, v49, v48, s3
	v_perm_b32 v4, v45, v44, s3
	ds_write_b64 v109, v[2:3]
	ds_write_b64 v110, v[4:5]
	ds_write_b64 v111, v[2:3]
	ds_write_b64 v112, v[4:5]
	s_waitcnt lgkmcnt(0)
	s_barrier
	ds_read_b64 v[6:7], v113 offset:49152
	ds_read2_b64 v[2:5], v114 offset1:16
	ds_read_b64 v[18:19], v116 offset:6144
	ds_read_b64 v[20:21], v114 offset:6144
	s_waitcnt lgkmcnt(2)
	v_mfma_f32_16x16x16_bf16 a[0:3], v[6:7], v[2:3], 0
	ds_read_b64 v[22:23], v115 offset:49152
	ds_read2st64_b64 v[10:13], v117 offset0:4 offset1:8
	ds_read2st64_b64 v[14:17], v118 offset0:4 offset1:8
	v_mfma_f32_16x16x16_bf16 a[4:7], v[6:7], v[4:5], 0
	ds_read2_b64 v[2:5], v114 offset0:32 offset1:48
	s_add_i32 s31, s57, 63
	s_ashr_i32 s42, s31, 31
	s_waitcnt lgkmcnt(0)
	v_mfma_f32_16x16x16_bf16 a[8:11], v[6:7], v[2:3], 0
	s_mul_i32 s43, s31, s35
	s_mul_hi_u32 s64, s31, s34
	s_add_i32 s43, s64, s43
	v_mfma_f32_16x16x16_bf16 a[12:15], v[6:7], v[4:5], 0
	ds_read2st64_b64 v[2:5], v114 offset0:4 offset1:8
	ds_read2st64_b64 v[6:9], v116 offset0:4 offset1:8
	s_mul_i32 s42, s42, s34
	s_waitcnt lgkmcnt(1)
	v_mfma_f32_16x16x16_bf16 a[0:3], v[22:23], v[2:3], a[0:3]
	s_add_i32 s43, s43, s42
	s_mul_i32 s42, s31, s34
	s_lshl_b64 s[42:43], s[42:43], 2
	s_waitcnt lgkmcnt(0)
	v_mfma_f32_16x16x16_bf16 a[4:7], v[22:23], v[6:7], a[4:7]
	s_add_u32 s42, s20, s42
	s_addc_u32 s43, s21, s43
	s_and_b64 vcc, exec, s[0:1]
	v_mfma_f32_16x16x16_bf16 a[8:11], v[22:23], v[10:11], a[8:11]
	ds_read_b64 v[2:3], v119 offset:49152
	ds_read_b64 v[6:7], v120 offset:49152
	;; [unrolled: 1-line block ×3, first 2 shown]
	v_mov_b32_e32 v142, 0
	v_mov_b32_e32 v141, 0
	v_mfma_f32_16x16x16_bf16 a[12:15], v[22:23], v[14:15], a[12:15]
	v_mov_b32_e32 v140, 0
	v_mov_b32_e32 v14, 0
	;; [unrolled: 1-line block ×3, first 2 shown]
	s_waitcnt lgkmcnt(2)
	v_mfma_f32_16x16x16_bf16 a[0:3], v[2:3], v[4:5], a[0:3]
	v_mov_b32_e32 v4, 0
	v_mov_b32_e32 v5, 0
	v_mfma_f32_16x16x16_bf16 a[16:19], v[2:3], v[8:9], a[4:7]
	v_mov_b32_e32 v8, 0
	v_mov_b32_e32 v9, 0
	;; [unrolled: 3-line block ×3, first 2 shown]
	v_mfma_f32_16x16x16_bf16 a[24:27], v[2:3], v[16:17], a[12:15]
	ds_read_b64 v[2:3], v117 offset:6144
	v_mov_b32_e32 v16, 0
	v_mov_b32_e32 v17, 0
	s_waitcnt lgkmcnt(2)
	v_mfma_f32_16x16x16_bf16 a[4:7], v[6:7], v[20:21], a[0:3]
	v_mfma_f32_16x16x16_bf16 a[8:11], v[6:7], v[18:19], a[16:19]
	s_waitcnt lgkmcnt(0)
	v_mfma_f32_16x16x16_bf16 a[12:15], v[6:7], v[2:3], a[20:23]
	v_mov_b32_e32 v2, 0
	v_mov_b32_e32 v3, 0
	v_mfma_f32_16x16x16_bf16 a[0:3], v[6:7], v[10:11], a[24:27]
	v_mov_b32_e32 v6, 0
	v_mov_b32_e32 v7, 0
	;; [unrolled: 1-line block ×4, first 2 shown]
	s_cbranch_vccnz .LBB34_12
; %bb.11:                               ;   in Loop: Header=BB34_6 Depth=1
	s_and_b32 s25, s25, 0xffff
	buffer_load_dwordx4 v[14:17], v93, s[24:27], 0 offen
	buffer_load_dwordx4 v[10:13], v93, s[24:27], s59 offen
	;; [unrolled: 1-line block ×4, first 2 shown]
	v_mov_b32_e32 v141, v95
	v_mov_b32_e32 v140, v96
.LBB34_12:                              ;   in Loop: Header=BB34_6 Depth=1
	ds_read_b64 v[144:145], v113 offset:57344
	ds_read2_b64 v[18:21], v121 offset1:16
	ds_read_b64 v[146:147], v115 offset:57344
	ds_read_b64 v[148:149], v119 offset:57344
	;; [unrolled: 1-line block ×3, first 2 shown]
	v_add_u32_e32 v143, s57, v89
	s_waitcnt lgkmcnt(3)
	v_mfma_f32_16x16x16_bf16 a[4:7], v[144:145], v[18:19], a[4:7]
	v_mfma_f32_16x16x16_bf16 a[8:11], v[144:145], v[20:21], a[8:11]
	ds_read2_b64 v[18:21], v121 offset0:32 offset1:48
	ds_read2st64_b64 v[22:25], v121 offset0:4 offset1:8
	ds_read2st64_b64 v[26:29], v122 offset0:4 offset1:8
	;; [unrolled: 1-line block ×3, first 2 shown]
	s_waitcnt lgkmcnt(3)
	v_mfma_f32_16x16x16_bf16 a[12:15], v[144:145], v[18:19], a[12:15]
	v_ashrrev_i32_e32 v18, 31, v143
	v_mfma_f32_16x16x16_bf16 a[0:3], v[144:145], v[20:21], a[0:3]
	v_mul_lo_u32 v20, v18, s34
	v_mul_lo_u32 v21, v143, s35
	v_mad_u64_u32 v[18:19], s[24:25], v143, s34, 0
	v_add3_u32 v19, v19, v21, v20
	v_add_u32_e32 v20, 1, v143
	v_ashrrev_i32_e32 v21, 31, v20
	s_waitcnt lgkmcnt(2)
	v_mfma_f32_16x16x16_bf16 a[4:7], v[146:147], v[22:23], a[4:7]
	v_mul_lo_u32 v22, v21, s34
	v_mul_lo_u32 v23, v20, s35
	v_mad_u64_u32 v[20:21], s[24:25], v20, s34, 0
	v_add3_u32 v21, v21, v23, v22
	v_add_u32_e32 v22, 2, v143
	v_ashrrev_i32_e32 v23, 31, v22
	s_waitcnt lgkmcnt(1)
	v_mfma_f32_16x16x16_bf16 a[8:11], v[146:147], v[26:27], a[8:11]
	v_mul_lo_u32 v26, v23, s34
	v_mul_lo_u32 v27, v22, s35
	v_mad_u64_u32 v[22:23], s[24:25], v22, s34, 0
	v_add3_u32 v23, v23, v27, v26
	v_add_u32_e32 v26, 3, v143
	v_ashrrev_i32_e32 v27, 31, v26
	v_mul_lo_u32 v143, v27, s34
	v_mul_lo_u32 v144, v26, s35
	v_mad_u64_u32 v[26:27], s[24:25], v26, s34, 0
	s_ashr_i32 s25, s57, 31
	s_add_u32 s24, s55, s57
	s_addc_u32 s25, s54, s25
	v_lshl_add_u64 v[18:19], v[18:19], 2, s[20:21]
	v_add3_u32 v27, v27, v144, v143
	s_lshl_b64 s[24:25], s[24:25], 8
	v_lshl_add_u64 v[20:21], v[20:21], 2, s[20:21]
	v_lshl_add_u64 v[22:23], v[22:23], 2, s[20:21]
	v_lshl_add_u64 v[26:27], v[26:27], 2, s[20:21]
	global_load_dword v143, v[18:19], off
	global_load_dword v144, v[20:21], off
	;; [unrolled: 1-line block ×4, first 2 shown]
	v_lshl_add_u64 v[18:19], v[80:81], 0, s[24:25]
	v_lshl_add_u64 v[22:23], v[18:19], 0, v[78:79]
	global_load_ushort v153, v[22:23], off offset:256
	global_load_ushort v154, v[22:23], off
	ds_read2st64_b64 v[18:21], v124 offset0:4 offset1:8
	global_load_ushort v155, v[22:23], off offset:768
	global_load_ushort v156, v[22:23], off offset:512
	s_waitcnt lgkmcnt(1)
	v_mfma_f32_16x16x16_bf16 a[12:15], v[146:147], v[30:31], a[12:15]
	s_and_b64 vcc, exec, s[0:1]
	s_waitcnt vmcnt(3)
	v_lshlrev_b32_e32 v31, 16, v153
	s_waitcnt lgkmcnt(0)
	v_mfma_f32_16x16x16_bf16 a[0:3], v[146:147], v[18:19], a[0:3]
	global_load_ushort v146, v[22:23], off offset:288
	global_load_ushort v147, v[22:23], off offset:32
	;; [unrolled: 1-line block ×8, first 2 shown]
	v_mfma_f32_16x16x16_bf16 a[4:7], v[148:149], v[24:25], a[4:7]
	ds_read_b64 v[18:19], v121 offset:6144
	s_waitcnt vmcnt(10)
	v_lshlrev_b32_e32 v30, 16, v154
	v_mfma_f32_16x16x16_bf16 a[8:11], v[148:149], v[28:29], a[8:11]
	v_mfma_f32_16x16x16_bf16 a[12:15], v[148:149], v[32:33], a[12:15]
	;; [unrolled: 1-line block ×3, first 2 shown]
	global_load_ushort v148, v[22:23], off offset:352
	global_load_ushort v149, v[22:23], off offset:96
	ds_read_b64 v[20:21], v122 offset:6144
	ds_read_b64 v[24:25], v123 offset:6144
	;; [unrolled: 1-line block ×3, first 2 shown]
	global_load_ushort v163, v[22:23], off offset:864
	global_load_ushort v164, v[22:23], off offset:608
	s_load_dword s24, s[42:43], 0x0
	s_waitcnt lgkmcnt(0)
	v_mfma_f32_16x16x16_bf16 a[4:7], v[150:151], v[18:19], a[4:7]
	v_sub_f32_e32 v28, s24, v145
	v_mfma_f32_16x16x16_bf16 a[0:3], v[150:151], v[26:27], a[0:3]
	v_sub_f32_e32 v26, s24, v143
	v_sub_f32_e32 v27, s24, v144
	;; [unrolled: 1-line block ×3, first 2 shown]
	v_mfma_f32_16x16x16_bf16 a[8:11], v[150:151], v[20:21], a[8:11]
	v_exp_f32_e32 v26, v26
	v_exp_f32_e32 v27, v27
	;; [unrolled: 1-line block ×4, first 2 shown]
	v_accvgpr_read_b32 v33, a5
	v_accvgpr_read_b32 v32, a4
	;; [unrolled: 1-line block ×4, first 2 shown]
	v_pk_add_f32 v[30:31], v[30:31], v[32:33] neg_lo:[0,1] neg_hi:[0,1]
	s_waitcnt vmcnt(13)
	v_lshlrev_b32_e32 v33, 16, v155
	s_waitcnt vmcnt(12)
	v_lshlrev_b32_e32 v32, 16, v156
	v_pk_add_f32 v[18:19], v[32:33], v[18:19] neg_lo:[0,1] neg_hi:[0,1]
	v_pk_mul_f32 v[30:31], v[26:27], v[30:31]
	v_pk_mul_f32 v[18:19], v[28:29], v[18:19]
	v_accvgpr_read_b32 v33, a9
	v_perm_b32 v19, v19, v18, s3
	v_perm_b32 v18, v31, v30, s3
	v_accvgpr_read_b32 v32, a8
	v_accvgpr_read_b32 v21, a11
	v_mfma_f32_16x16x16_bf16 a[12:15], v[150:151], v[24:25], a[12:15]
	v_accvgpr_read_b32 v20, a10
	v_accvgpr_read_b32 v25, a3
	;; [unrolled: 1-line block ×3, first 2 shown]
	v_mov_b32_e32 v143, 0
	s_waitcnt vmcnt(11)
	v_lshlrev_b32_e32 v31, 16, v146
	s_waitcnt vmcnt(10)
	v_lshlrev_b32_e32 v30, 16, v147
	v_pk_add_f32 v[30:31], v[30:31], v[32:33] neg_lo:[0,1] neg_hi:[0,1]
	s_waitcnt vmcnt(9)
	v_lshlrev_b32_e32 v33, 16, v157
	s_waitcnt vmcnt(8)
	v_lshlrev_b32_e32 v32, 16, v158
	v_pk_add_f32 v[20:21], v[32:33], v[20:21] neg_lo:[0,1] neg_hi:[0,1]
	v_pk_mul_f32 v[30:31], v[26:27], v[30:31]
	v_pk_mul_f32 v[20:21], v[28:29], v[20:21]
	v_accvgpr_read_b32 v23, a15
	v_perm_b32 v21, v21, v20, s3
	v_perm_b32 v20, v31, v30, s3
	ds_write2_b64 v98, v[18:19], v[20:21] offset1:16
	v_accvgpr_read_b32 v21, a13
	s_waitcnt vmcnt(7)
	v_lshlrev_b32_e32 v19, 16, v159
	s_waitcnt vmcnt(6)
	v_lshlrev_b32_e32 v18, 16, v160
	v_accvgpr_read_b32 v20, a12
	v_accvgpr_read_b32 v22, a14
	v_pk_add_f32 v[18:19], v[18:19], v[20:21] neg_lo:[0,1] neg_hi:[0,1]
	s_waitcnt vmcnt(5)
	v_lshlrev_b32_e32 v21, 16, v161
	s_waitcnt vmcnt(4)
	v_lshlrev_b32_e32 v20, 16, v162
	v_pk_add_f32 v[20:21], v[20:21], v[22:23] neg_lo:[0,1] neg_hi:[0,1]
	v_pk_mul_f32 v[18:19], v[26:27], v[18:19]
	v_pk_mul_f32 v[20:21], v[28:29], v[20:21]
	v_accvgpr_read_b32 v23, a1
	v_perm_b32 v21, v21, v20, s3
	v_perm_b32 v20, v19, v18, s3
	s_waitcnt vmcnt(3)
	v_lshlrev_b32_e32 v19, 16, v148
	s_waitcnt vmcnt(2)
	v_lshlrev_b32_e32 v18, 16, v149
	v_accvgpr_read_b32 v22, a0
	v_pk_add_f32 v[18:19], v[18:19], v[22:23] neg_lo:[0,1] neg_hi:[0,1]
	s_waitcnt vmcnt(1)
	v_lshlrev_b32_e32 v23, 16, v163
	s_waitcnt vmcnt(0)
	v_lshlrev_b32_e32 v22, 16, v164
	v_pk_add_f32 v[22:23], v[22:23], v[24:25] neg_lo:[0,1] neg_hi:[0,1]
	v_pk_mul_f32 v[18:19], v[26:27], v[18:19]
	v_pk_mul_f32 v[22:23], v[28:29], v[22:23]
	v_mov_b32_e32 v24, 0
	v_perm_b32 v23, v23, v22, s3
	v_perm_b32 v22, v19, v18, s3
	ds_write2_b64 v98, v[20:21], v[22:23] offset0:32 offset1:48
	v_mov_b32_e32 v18, 0
	v_mov_b32_e32 v19, 0
	v_mov_b32_e32 v20, 0
	v_mov_b32_e32 v21, 0
	v_mov_b32_e32 v22, 0
	v_mov_b32_e32 v23, 0
	v_mov_b32_e32 v25, 0
	v_mov_b32_e32 v26, 0
	v_mov_b32_e32 v27, 0
	v_mov_b32_e32 v28, 0
	v_mov_b32_e32 v29, 0
	v_mov_b32_e32 v30, 0
	v_mov_b32_e32 v31, 0
	v_mov_b32_e32 v32, 0
	v_mov_b32_e32 v33, 0
	s_cbranch_vccnz .LBB34_14
; %bb.13:                               ;   in Loop: Header=BB34_6 Depth=1
	s_and_b32 s29, s29, 0xffff
	s_mov_b32 s31, s27
	buffer_load_dwordx4 v[30:33], v135, s[28:31], 0 offen
	buffer_load_dwordx4 v[22:25], v135, s[28:31], s59 offen
	;; [unrolled: 1-line block ×4, first 2 shown]
	v_mov_b32_e32 v142, v92
	v_mov_b32_e32 v143, v91
.LBB34_14:                              ;   in Loop: Header=BB34_6 Depth=1
	s_waitcnt lgkmcnt(0)
	s_barrier
	ds_read_b64 v[152:153], v77
	ds_read2_b64 v[144:147], v128 offset1:16
	ds_read_b64 v[168:169], v137
	ds_read_b64 v[170:171], v138
	;; [unrolled: 1-line block ×3, first 2 shown]
	ds_read2_b64 v[148:151], v128 offset0:32 offset1:48
	s_waitcnt lgkmcnt(4)
	v_mfma_f32_16x16x16_bf16 a[0:3], v[152:153], v[144:145], 0
	ds_read2st64_b64 v[156:159], v130 offset0:4 offset1:8
	ds_read2st64_b64 v[160:163], v131 offset0:4 offset1:8
	;; [unrolled: 1-line block ×3, first 2 shown]
	v_mfma_f32_16x16x16_bf16 a[4:7], v[152:153], v[146:147], 0
	s_add_i32 s25, s56, s62
	s_mul_hi_i32 s29, s25, s17
	s_mul_i32 s25, s25, s17
	s_waitcnt lgkmcnt(3)
	v_mfma_f32_16x16x16_bf16 a[8:11], v[152:153], v[148:149], 0
	s_add_u32 s28, s25, s49
	s_addc_u32 s29, s29, s50
	s_lshl_b64 s[28:29], s[28:29], 15
	v_mfma_f32_16x16x16_bf16 a[12:15], v[152:153], v[150:151], 0
	ds_read2st64_b64 v[152:155], v128 offset0:4 offset1:8
	s_waitcnt lgkmcnt(0)
	v_mfma_f32_16x16x16_bf16 a[0:3], v[168:169], v[152:153], a[0:3]
	v_mfma_f32_16x16x16_bf16 a[4:7], v[168:169], v[156:157], a[4:7]
	;; [unrolled: 1-line block ×8, first 2 shown]
	ds_read_b64 v[168:169], v128 offset:6144
	ds_read_b64 v[170:171], v129 offset:40960
	;; [unrolled: 1-line block ×8, first 2 shown]
	s_waitcnt lgkmcnt(5)
	v_mfma_f32_16x16x16_bf16 a[16:19], v[174:175], v[144:145], 0
	v_mfma_f32_16x16x16_bf16 a[20:23], v[174:175], v[146:147], 0
	ds_read2st64_b64 v[144:147], v125 offset1:8
	v_mfma_f32_16x16x16_bf16 a[24:27], v[174:175], v[148:149], 0
	v_mfma_f32_16x16x16_bf16 a[28:31], v[174:175], v[150:151], 0
	ds_read2st64_b64 v[148:151], v126 offset1:8
	v_mfma_f32_16x16x16_bf16 a[16:19], v[170:171], v[152:153], a[16:19]
	s_waitcnt lgkmcnt(1)
	v_mov_b32_e32 v152, v144
	v_mov_b32_e32 v153, v145
	v_mfma_f32_16x16x16_bf16 a[20:23], v[170:171], v[156:157], a[20:23]
	v_lshl_add_u64 v[156:157], v[82:83], 0, s[28:29]
	v_mfma_f32_16x16x16_bf16 a[24:27], v[170:171], v[160:161], a[24:27]
	v_mfma_f32_16x16x16_bf16 a[28:31], v[170:171], v[164:165], a[28:31]
	;; [unrolled: 1-line block ×3, first 2 shown]
	s_waitcnt lgkmcnt(0)
	v_mov_b32_e32 v154, v148
	v_mov_b32_e32 v155, v149
	;; [unrolled: 1-line block ×3, first 2 shown]
	v_mfma_f32_16x16x16_bf16 a[32:35], v[182:183], v[158:159], a[20:23]
	v_mov_b32_e32 v149, v147
	ds_read2st64_b64 v[144:147], v125 offset0:16 offset1:24
	global_store_dwordx4 v[156:157], v[152:155], off
	v_mfma_f32_16x16x16_bf16 a[24:27], v[182:183], v[162:163], a[24:27]
	ds_read2st64_b64 v[152:155], v126 offset0:16 offset1:24
	v_add_co_u32_e32 v158, vcc, s39, v156
	v_mfma_f32_16x16x16_bf16 a[28:31], v[182:183], v[166:167], a[28:31]
	s_nop 0
	v_addc_co_u32_e32 v159, vcc, 0, v157, vcc
	global_store_dwordx4 v[158:159], v[148:151], off offset:-4096
	v_mfma_f32_16x16x16_bf16 a[0:3], v[172:173], v[168:169], a[0:3]
	s_waitcnt lgkmcnt(1)
	v_mov_b32_e32 v148, v144
	v_add_co_u32_e32 v144, vcc, s41, v156
	v_mfma_f32_16x16x16_bf16 a[4:7], v[172:173], v[176:177], a[4:7]
	v_mov_b32_e32 v149, v145
	v_addc_co_u32_e32 v145, vcc, 0, v157, vcc
	v_mfma_f32_16x16x16_bf16 a[8:11], v[172:173], v[178:179], a[8:11]
	s_waitcnt lgkmcnt(0)
	v_mov_b32_e32 v150, v152
	v_mov_b32_e32 v151, v153
	;; [unrolled: 1-line block ×3, first 2 shown]
	v_mfma_f32_16x16x16_bf16 a[12:15], v[172:173], v[180:181], a[12:15]
	v_mov_b32_e32 v153, v147
	s_and_b64 vcc, exec, s[0:1]
	global_store_dwordx4 v[158:159], v[148:151], off
	v_mfma_f32_16x16x16_bf16 a[20:23], v[184:185], v[168:169], a[16:19]
	global_store_dwordx4 v[144:145], v[152:155], off
	v_mfma_f32_16x16x16_bf16 a[16:19], v[184:185], v[176:177], a[32:35]
	v_mfma_f32_16x16x16_bf16 a[24:27], v[184:185], v[178:179], a[24:27]
	;; [unrolled: 1-line block ×3, first 2 shown]
	s_cbranch_vccnz .LBB34_16
; %bb.15:                               ;   in Loop: Header=BB34_6 Depth=1
	v_lshrrev_b32_e32 v144, 3, v142
	v_and_b32_e32 v144, 6, v144
	v_xor_b32_e32 v143, v144, v143
	v_lshlrev_b32_e32 v143, 2, v143
	v_and_b32_e32 v142, 8, v142
	v_xor_b32_e32 v145, 0x440, v143
	v_cmp_eq_u32_e32 vcc, 0, v142
	s_barrier
	s_nop 0
	v_cndmask_b32_e32 v142, v145, v143, vcc
	v_lshl_or_b32 v142, v144, 10, v142
	s_waitcnt vmcnt(5)
	v_perm_b32 v143, v30, v26, s60
	s_waitcnt vmcnt(4)
	v_perm_b32 v144, v22, v18, s60
	ds_write2st64_b32 v142, v143, v144 offset0:128 offset1:160
	v_xor_b32_e32 v143, 8, v142
	v_perm_b32 v26, v30, v26, s61
	v_perm_b32 v18, v22, v18, s61
	v_add_u32_e32 v22, 0x80, v143
	ds_write2st64_b32 v22, v26, v18 offset0:128 offset1:160
	v_xor_b32_e32 v18, 16, v142
	v_perm_b32 v22, v31, v27, s60
	v_perm_b32 v26, v23, v19, s60
	ds_write2st64_b32 v18, v22, v26 offset0:129 offset1:161
	v_xor_b32_e32 v18, 24, v142
	v_perm_b32 v22, v31, v27, s61
	v_perm_b32 v19, v23, v19, s61
	v_add_u32_e32 v18, 0x80, v18
	ds_write2st64_b32 v18, v22, v19 offset0:129 offset1:161
	v_xor_b32_e32 v18, 32, v142
	v_perm_b32 v19, v32, v28, s60
	;; [unrolled: 9-line block ×3, first 2 shown]
	v_perm_b32 v20, v25, v21, s60
	ds_write2st64_b32 v18, v19, v20 offset0:131 offset1:163
	v_xor_b32_e32 v18, 56, v142
	v_perm_b32 v19, v33, v29, s61
	v_perm_b32 v20, v25, v21, s61
	v_add_u32_e32 v18, 0x80, v18
	ds_write2st64_b32 v18, v19, v20 offset0:131 offset1:163
	ds_write_b64 v141, v[14:15] offset:49152
	v_xor_b32_e32 v14, 8, v141
	ds_write_b64 v14, v[16:17] offset:49152
	ds_write_b64 v141, v[10:11] offset:57344
	;; [unrolled: 1-line block ×4, first 2 shown]
	v_xor_b32_e32 v6, 8, v140
	ds_write_b64 v6, v[8:9] offset:49152
	ds_write_b64 v140, v[2:3] offset:57344
	;; [unrolled: 1-line block ×3, first 2 shown]
.LBB34_16:                              ;   in Loop: Header=BB34_6 Depth=1
	v_exp_f32_e32 v140, s24
	v_accvgpr_read_b32 v5, a3
	v_accvgpr_read_b32 v9, a7
	;; [unrolled: 1-line block ×4, first 2 shown]
	s_waitcnt vmcnt(4)
	v_accvgpr_read_b32 v18, a20
	v_accvgpr_read_b32 v25, a19
	;; [unrolled: 1-line block ×28, first 2 shown]
	s_add_i32 s57, s57, 64
	v_pk_fma_f32 v[70:71], v[70:71], v[140:141], v[2:3] op_sel_hi:[1,0,1]
	v_pk_fma_f32 v[74:75], v[74:75], v[140:141], v[4:5] op_sel_hi:[1,0,1]
	;; [unrolled: 1-line block ×15, first 2 shown]
	s_cmp_eq_u32 s51, s63
	v_pk_fma_f32 v[48:49], v[48:49], v[140:141], v[32:33] op_sel_hi:[1,0,1]
	s_cbranch_scc1 .LBB34_18
; %bb.17:                               ;   in Loop: Header=BB34_6 Depth=1
	s_mov_b32 s62, s63
	s_branch .LBB34_6
.LBB34_18:
	s_lshl_b32 s30, s51, 6
	s_sub_i32 s31, s52, s30
	s_cmp_gt_i32 s31, 0
	s_cbranch_scc0 .LBB34_99
; %bb.19:
	s_add_i32 s30, s30, s36
	s_ashr_i32 s3, s30, 31
	s_cmpk_lg_i32 s19, 0x80
	s_cselect_b64 s[26:27], -1, 0
	s_and_b64 vcc, exec, s[26:27]
	s_cbranch_vccz .LBB34_21
; %bb.20:
	s_mul_hi_i32 s0, s30, s18
	s_mul_i32 s1, s30, s18
	s_ashr_i32 s18, s53, 31
	s_add_u32 s28, s1, s53
	s_addc_u32 s29, s0, s18
	s_cbranch_execz .LBB34_22
	s_branch .LBB34_23
.LBB34_21:
                                        ; implicit-def: $sgpr28_sgpr29
.LBB34_22:
	s_mul_i32 s1, s53, s16
	s_mul_hi_i32 s0, s53, s16
	s_add_u32 s28, s1, s30
	s_addc_u32 s29, s0, s3
.LBB34_23:
	s_add_i32 s16, s51, s56
	s_add_u32 s0, s55, s30
	v_lshlrev_b32_e32 v6, 6, v89
	v_lshlrev_b32_e32 v24, 2, v86
	s_addc_u32 s1, s54, s3
	s_mov_b32 s3, 0x7060302
	v_or_b32_e32 v9, v6, v24
	v_xor_b32_e32 v7, v89, v24
	v_perm_b32 v3, v75, v74, s3
	v_perm_b32 v2, v71, v70, s3
	;; [unrolled: 1-line block ×4, first 2 shown]
	v_lshlrev_b32_e32 v9, 1, v9
	v_xor_b32_e32 v8, v90, v24
	ds_write2st64_b64 v9, v[2:3], v[4:5] offset0:32 offset1:48
	v_lshlrev_b32_e32 v7, 1, v7
	v_lshlrev_b32_e32 v9, 8, v86
	v_or_b32_e32 v10, v7, v9
	v_lshlrev_b32_e32 v8, 1, v8
	ds_write_b64 v10, v[2:3]
	v_or_b32_e32 v2, v8, v9
	v_or_b32_e32 v9, 16, v86
	v_lshlrev_b32_e32 v23, 2, v9
	v_or_b32_e32 v10, v6, v23
	ds_write_b64 v2, v[4:5]
	v_perm_b32 v3, v67, v66, s3
	v_perm_b32 v2, v63, v62, s3
	;; [unrolled: 1-line block ×4, first 2 shown]
	v_lshlrev_b32_e32 v10, 1, v10
	v_lshlrev_b32_e32 v9, 8, v9
	ds_write2st64_b64 v10, v[2:3], v[4:5] offset0:32 offset1:48
	v_or_b32_e32 v10, v7, v9
	ds_write_b64 v10, v[2:3]
	v_or_b32_e32 v2, v8, v9
	v_or_b32_e32 v9, 32, v86
	v_lshlrev_b32_e32 v22, 2, v9
	v_or_b32_e32 v10, v6, v22
	ds_write_b64 v2, v[4:5]
	v_perm_b32 v3, v59, v58, s3
	v_perm_b32 v2, v55, v54, s3
	;; [unrolled: 1-line block ×4, first 2 shown]
	v_lshlrev_b32_e32 v10, 1, v10
	v_lshlrev_b32_e32 v9, 8, v9
	s_lshl_b64 s[24:25], s[0:1], 8
	ds_write2st64_b64 v10, v[2:3], v[4:5] offset0:32 offset1:48
	v_or_b32_e32 v10, v7, v9
	s_add_u32 s0, s6, s24
	ds_write_b64 v10, v[2:3]
	v_or_b32_e32 v2, v8, v9
	s_addc_u32 s1, s7, s25
	ds_write_b64 v2, v[4:5]
	v_perm_b32 v3, v53, v52, s3
	v_perm_b32 v2, v47, v46, s3
	v_perm_b32 v5, v49, v48, s3
	v_perm_b32 v4, v45, v44, s3
	v_or_b32_e32 v9, 48, v86
	s_mul_hi_i32 s3, s16, s17
	s_mul_i32 s16, s16, s17
	v_lshlrev_b32_e32 v19, 2, v9
	s_add_u32 s6, s16, s49
	v_or_b32_e32 v6, v6, v19
	s_addc_u32 s7, s3, s50
	v_lshlrev_b32_e32 v6, 1, v6
	s_ashr_i32 s3, s2, 31
	s_lshl_b64 s[6:7], s[6:7], 15
	ds_write2st64_b64 v6, v[2:3], v[4:5] offset0:32 offset1:48
	v_lshlrev_b32_e32 v6, 8, v9
	s_add_u32 s6, s22, s6
	v_or_b32_e32 v7, v7, v6
	s_addc_u32 s7, s23, s7
	s_lshl_b64 s[2:3], s[2:3], 8
	ds_write_b64 v7, v[2:3]
	v_or_b32_e32 v2, v8, v6
	s_add_u32 s2, s6, s2
	v_lshlrev_b32_e32 v3, 1, v86
	ds_write_b64 v2, v[4:5]
	v_lshrrev_b32_e32 v2, 4, v0
	s_addc_u32 s3, s7, s3
	v_or_b32_e32 v4, 1, v3
	v_lshlrev_b32_e32 v10, 4, v86
	v_mov_b32_e32 v11, 0
	v_xor_b32_e32 v3, v2, v3
	v_xor_b32_e32 v6, v4, v2
	v_lshl_add_u64 v[12:13], s[2:3], 0, v[10:11]
	v_lshlrev_b32_e32 v10, 8, v2
	v_lshl_or_b32 v16, v3, 3, v10
	v_lshl_or_b32 v17, v6, 3, v10
	s_waitcnt lgkmcnt(0)
	s_barrier
	ds_read2st64_b64 v[2:5], v16 offset1:8
	ds_read2st64_b64 v[6:9], v17 offset1:8
	v_lshl_add_u64 v[14:15], v[12:13], 0, v[10:11]
	s_movk_i32 s2, 0x2000
	s_cmp_lg_u32 s31, 64
	s_waitcnt lgkmcnt(1)
	v_mov_b32_e32 v10, v2
	v_mov_b32_e32 v11, v3
	s_waitcnt lgkmcnt(0)
	v_mov_b32_e32 v12, v6
	v_mov_b32_e32 v13, v7
	global_store_dwordx4 v[14:15], v[10:13], off
	v_mov_b32_e32 v6, v4
	v_mov_b32_e32 v7, v5
	ds_read2st64_b64 v[2:5], v16 offset0:16 offset1:24
	ds_read2st64_b64 v[10:13], v17 offset0:16 offset1:24
	v_add_co_u32_e32 v16, vcc, s2, v14
	s_cselect_b64 s[6:7], -1, 0
	s_nop 0
	v_addc_co_u32_e32 v17, vcc, 0, v15, vcc
	global_store_dwordx4 v[16:17], v[6:9], off offset:-4096
	v_lshl_or_b32 v30, v1, 3, v88
	s_mov_b32 s20, 0
	s_waitcnt lgkmcnt(1)
	v_mov_b32_e32 v6, v2
	v_add_co_u32_e32 v2, vcc, 0x3000, v14
	v_mov_b32_e32 v7, v3
	s_nop 0
	v_addc_co_u32_e32 v3, vcc, 0, v15, vcc
	s_waitcnt lgkmcnt(0)
	v_mov_b32_e32 v8, v10
	v_mov_b32_e32 v9, v11
	;; [unrolled: 1-line block ×4, first 2 shown]
	v_or_b32_e32 v20, 32, v30
	v_and_b32_e32 v18, 56, v87
	s_and_b64 vcc, exec, s[6:7]
	global_store_dwordx4 v[16:17], v[6:9], off
	global_store_dwordx4 v[2:3], v[10:13], off
	s_cbranch_vccz .LBB34_29
; %bb.24:
	s_mov_b32 s21, s20
	s_mov_b32 s22, s20
	;; [unrolled: 1-line block ×3, first 2 shown]
	v_mov_b64_e32 v[6:7], s[20:21]
	v_mov_b64_e32 v[8:9], s[22:23]
	;; [unrolled: 1-line block ×3, first 2 shown]
	v_cmp_gt_i32_e32 vcc, s31, v30
	v_mov_b64_e32 v[4:5], v[8:9]
	s_and_saveexec_b64 s[2:3], vcc
	s_cbranch_execz .LBB34_26
; %bb.25:
	v_lshlrev_b32_e32 v2, 8, v30
	v_mov_b32_e32 v3, 0
	v_lshl_add_u64 v[4:5], s[0:1], 0, v[2:3]
	v_lshlrev_b32_e32 v2, 1, v18
	v_lshl_add_u64 v[10:11], v[4:5], 0, v[2:3]
	global_load_dwordx4 v[6:9], v[10:11], off
	global_load_dwordx4 v[2:5], v[10:11], off offset:128
.LBB34_26:
	s_or_b64 exec, exec, s[2:3]
	s_mov_b32 s21, s20
	s_mov_b32 s22, s20
	;; [unrolled: 1-line block ×3, first 2 shown]
	v_mov_b64_e32 v[14:15], s[20:21]
	v_mov_b64_e32 v[16:17], s[22:23]
	;; [unrolled: 1-line block ×3, first 2 shown]
	v_cmp_gt_i32_e32 vcc, s31, v20
	v_lshlrev_b32_e32 v21, 7, v20
	v_mov_b64_e32 v[12:13], v[16:17]
	s_and_saveexec_b64 s[2:3], vcc
	s_cbranch_execz .LBB34_28
; %bb.27:
	v_lshlrev_b32_e32 v10, 1, v21
	v_mov_b32_e32 v11, 0
	v_lshl_add_u64 v[12:13], s[0:1], 0, v[10:11]
	v_lshlrev_b32_e32 v10, 1, v18
	v_lshl_add_u64 v[26:27], v[12:13], 0, v[10:11]
	global_load_dwordx4 v[14:17], v[26:27], off
	global_load_dwordx4 v[10:13], v[26:27], off offset:128
.LBB34_28:
	s_or_b64 exec, exec, s[2:3]
	v_lshrrev_b32_e32 v25, 3, v18
	v_lshlrev_b32_e32 v26, 3, v30
	v_or_b32_e32 v25, v26, v25
	v_lshlrev_b32_e32 v25, 4, v25
	v_and_b32_e32 v26, 0x78, v26
	v_xor_b32_e32 v25, v25, v26
	s_branch .LBB34_31
.LBB34_29:
                                        ; implicit-def: $vgpr25
                                        ; implicit-def: $vgpr21
                                        ; implicit-def: $vgpr6_vgpr7_vgpr8_vgpr9
                                        ; implicit-def: $vgpr2_vgpr3_vgpr4_vgpr5
                                        ; implicit-def: $vgpr14_vgpr15_vgpr16_vgpr17
                                        ; implicit-def: $vgpr10_vgpr11_vgpr12_vgpr13
	s_cbranch_execz .LBB34_31
; %bb.30:
	s_waitcnt vmcnt(0)
	v_lshlrev_b32_e32 v2, 1, v18
	v_lshl_or_b32 v21, v30, 8, v2
	s_and_b32 s1, s1, 0xffff
	s_mov_b32 s3, 0x20000
	s_movk_i32 s2, 0x4000
	v_lshl_or_b32 v25, v20, 8, v2
	s_movk_i32 s16, 0x80
	buffer_load_dwordx4 v[6:9], v21, s[0:3], 0 offen
	buffer_load_dwordx4 v[2:5], v21, s[0:3], s16 offen
	;; [unrolled: 1-line block ×4, first 2 shown]
	v_lshrrev_b32_e32 v21, 3, v18
	v_lshlrev_b32_e32 v25, 3, v30
	v_or_b32_e32 v21, v25, v21
	v_lshlrev_b32_e32 v21, 4, v21
	v_and_b32_e32 v25, 0x78, v25
	v_xor_b32_e32 v25, v21, v25
	v_lshlrev_b32_e32 v21, 7, v20
.LBB34_31:
	s_movk_i32 s0, 0x1000
	v_and_or_b32 v20, v21, s0, v25
	s_waitcnt vmcnt(1)
	ds_write_b64 v25, v[6:7] offset:49152
	v_xor_b32_e32 v6, 8, v25
	ds_write_b64 v6, v[8:9] offset:49152
	s_waitcnt vmcnt(0)
	ds_write_b64 v25, v[2:3] offset:57344
	ds_write_b64 v6, v[4:5] offset:57344
	;; [unrolled: 1-line block ×3, first 2 shown]
	v_xor_b32_e32 v2, 8, v20
	ds_write_b64 v2, v[16:17] offset:49152
	ds_write_b64 v20, v[10:11] offset:57344
	;; [unrolled: 1-line block ×3, first 2 shown]
	v_or_b32_e32 v2, v84, v86
	v_lshlrev_b32_e32 v2, 3, v2
	v_lshrrev_b32_e32 v3, 5, v35
	s_movk_i32 s0, 0xf8
	v_and_or_b32 v3, v2, s0, v3
	v_lshlrev_b32_e32 v7, 4, v3
	v_lshlrev_b32_e32 v25, 11, v1
	v_and_b32_e32 v8, 0x78, v2
	v_or_b32_e32 v10, 32, v7
	v_and_b32_e32 v6, 0x1000, v25
	v_lshrrev_b32_e32 v3, 1, v35
	v_xor_b32_e32 v10, v10, v8
	v_xor_b32_e32 v2, v7, v8
	v_and_b32_e32 v9, 8, v3
	v_or_b32_e32 v10, v10, v6
	v_or_b32_e32 v2, v2, v6
	v_xor_b32_e32 v32, v10, v9
	v_or_b32_e32 v10, 64, v7
	v_xor_b32_e32 v31, v2, v9
	v_xor_b32_e32 v10, v10, v8
	s_waitcnt lgkmcnt(0)
	s_barrier
	v_or_b32_e32 v13, v10, v6
	ds_read_b64 v[10:11], v31 offset:49152
	v_lshl_or_b32 v14, v85, 8, v24
	v_lshlrev_b32_e32 v26, 1, v14
	v_add_u32_e32 v12, 0x4000, v26
	ds_read2_b64 v[2:5], v12 offset1:16
	v_or_b32_e32 v7, 0x60, v7
	v_xor_b32_e32 v7, v7, v8
	v_or_b32_e32 v6, v7, v6
	v_xor_b32_e32 v33, v13, v9
	v_xor_b32_e32 v77, v6, v9
	ds_read_b64 v[20:21], v32 offset:49152
	ds_read_b64 v[78:79], v33 offset:49152
	;; [unrolled: 1-line block ×3, first 2 shown]
	s_waitcnt lgkmcnt(3)
	v_mfma_f32_16x16x16_bf16 a[0:3], v[10:11], v[2:3], 0
	ds_read2st64_b64 v[6:9], v26 offset0:36 offset1:40
	s_lshl_b64 s[0:1], s[28:29], 8
	s_add_u32 s4, s4, s0
	v_mfma_f32_16x16x16_bf16 a[4:7], v[10:11], v[4:5], 0
	ds_read2_b64 v[2:5], v12 offset0:32 offset1:48
	s_addc_u32 s5, s5, s1
	s_add_i32 s1, s44, s33
	s_waitcnt lgkmcnt(0)
	v_mfma_f32_16x16x16_bf16 a[8:11], v[10:11], v[2:3], 0
	v_or_b32_e32 v2, 64, v14
	v_lshlrev_b32_e32 v27, 1, v2
	s_add_i32 s0, s37, -1
	v_mfma_f32_16x16x16_bf16 a[12:15], v[10:11], v[4:5], 0
	ds_read2st64_b64 v[2:5], v27 offset0:36 offset1:40
	s_add_i32 s41, s1, s45
	s_add_i32 s1, s47, s46
	v_mfma_f32_16x16x16_bf16 a[0:3], v[20:21], v[6:7], a[0:3]
	v_or_b32_e32 v6, 0x80, v14
	v_lshlrev_b32_e32 v28, 1, v6
	ds_read2st64_b64 v[10:13], v28 offset0:36 offset1:40
	s_waitcnt lgkmcnt(1)
	v_mfma_f32_16x16x16_bf16 a[4:7], v[20:21], v[2:3], a[4:7]
	v_or_b32_e32 v2, 0xc0, v14
	v_lshlrev_b32_e32 v29, 1, v2
	ds_read2st64_b64 v[14:17], v29 offset0:36 offset1:40
	s_add_i32 s39, s1, s48
	s_ashr_i32 s1, s0, 31
	s_mul_i32 s2, s0, s35
	s_mul_hi_u32 s3, s0, s34
	s_add_i32 s2, s3, s2
	s_mul_i32 s1, s1, s34
	s_waitcnt lgkmcnt(1)
	v_mfma_f32_16x16x16_bf16 a[8:11], v[20:21], v[10:11], a[8:11]
	s_add_i32 s1, s2, s1
	s_lshl_b64 s[2:3], s[40:41], 2
	s_add_u32 s10, s10, s2
	s_waitcnt lgkmcnt(0)
	v_mfma_f32_16x16x16_bf16 a[12:15], v[20:21], v[14:15], a[12:15]
	s_addc_u32 s11, s11, s3
	s_lshl_b64 s[2:3], s[38:39], 2
	s_mul_i32 s0, s0, s34
	v_mfma_f32_16x16x16_bf16 a[0:3], v[78:79], v[8:9], a[0:3]
	ds_read_b64 v[2:3], v26 offset:22528
	s_add_u32 s10, s10, s2
	s_addc_u32 s11, s11, s3
	v_mfma_f32_16x16x16_bf16 a[4:7], v[78:79], v[4:5], a[4:7]
	ds_read_b64 v[4:5], v27 offset:22528
	ds_read_b64 v[6:7], v28 offset:22528
	;; [unrolled: 1-line block ×3, first 2 shown]
	s_lshl_b64 s[0:1], s[0:1], 2
	s_add_u32 s0, s10, s0
	v_mfma_f32_16x16x16_bf16 a[8:11], v[78:79], v[12:13], a[8:11]
	s_addc_u32 s1, s11, s1
	s_load_dword s16, s[0:1], 0x0
	s_and_b64 vcc, exec, s[26:27]
	v_mfma_f32_16x16x16_bf16 a[12:15], v[78:79], v[16:17], a[12:15]
	s_waitcnt lgkmcnt(0)
	v_mfma_f32_16x16x16_bf16 a[0:3], v[80:81], v[2:3], a[0:3]
	v_mfma_f32_16x16x16_bf16 a[4:7], v[80:81], v[4:5], a[4:7]
	;; [unrolled: 1-line block ×4, first 2 shown]
	s_cbranch_vccz .LBB34_42
; %bb.32:
	v_lshlrev_b32_e32 v20, 1, v30
	s_and_b64 vcc, exec, s[6:7]
	s_cbranch_vccz .LBB34_43
; %bb.33:
	v_cmp_gt_i32_e32 vcc, s31, v20
	v_mov_b32_e32 v6, 0
	v_mov_b32_e32 v2, 0
	;; [unrolled: 1-line block ×5, first 2 shown]
	s_and_saveexec_b64 s[0:1], vcc
	s_cbranch_execz .LBB34_35
; %bb.34:
	v_mad_i64_i32 v[2:3], s[2:3], s19, v20, 0
	v_lshl_add_u64 v[2:3], v[2:3], 1, s[4:5]
	v_lshlrev_b32_e32 v4, 1, v18
	v_mov_b32_e32 v5, 0
	v_lshl_add_u64 v[2:3], v[2:3], 0, v[4:5]
	global_load_dwordx4 v[2:5], v[2:3], off
.LBB34_35:
	s_or_b64 exec, exec, s[0:1]
	v_or_b32_e32 v21, 1, v20
	v_cmp_gt_i32_e64 s[0:1], s31, v21
	v_mov_b32_e32 v7, 0
	v_mov_b32_e32 v8, 0
	;; [unrolled: 1-line block ×3, first 2 shown]
	s_and_saveexec_b64 s[2:3], s[0:1]
	s_cbranch_execz .LBB34_37
; %bb.36:
	v_mad_i64_i32 v[6:7], s[20:21], s19, v21, 0
	v_lshl_add_u64 v[6:7], v[6:7], 1, s[4:5]
	v_lshlrev_b32_e32 v8, 1, v18
	v_mov_b32_e32 v9, 0
	v_lshl_add_u64 v[6:7], v[6:7], 0, v[8:9]
	global_load_dwordx4 v[6:9], v[6:7], off
.LBB34_37:
	s_or_b64 exec, exec, s[2:3]
	v_mov_b32_e32 v17, 0
	v_mov_b32_e32 v10, 0
	;; [unrolled: 1-line block ×5, first 2 shown]
	s_and_saveexec_b64 s[2:3], vcc
	s_cbranch_execz .LBB34_39
; %bb.38:
	v_mad_i64_i32 v[10:11], s[20:21], s19, v20, 0
	v_lshl_add_u64 v[10:11], v[10:11], 1, s[4:5]
	v_lshlrev_b32_e32 v12, 1, v18
	v_mov_b32_e32 v13, 0
	v_lshl_add_u64 v[10:11], v[10:11], 0, v[12:13]
	global_load_dwordx4 v[10:13], v[10:11], off offset:128
.LBB34_39:
	s_or_b64 exec, exec, s[2:3]
	v_mov_b32_e32 v16, 0
	v_mov_b32_e32 v15, 0
	;; [unrolled: 1-line block ×3, first 2 shown]
	s_and_saveexec_b64 s[2:3], s[0:1]
	s_cbranch_execz .LBB34_41
; %bb.40:
	v_mad_i64_i32 v[14:15], s[0:1], s19, v21, 0
	v_lshl_add_u64 v[14:15], v[14:15], 1, s[4:5]
	v_lshlrev_b32_e32 v16, 1, v18
	v_mov_b32_e32 v17, 0
	v_lshl_add_u64 v[14:15], v[14:15], 0, v[16:17]
	global_load_dwordx4 v[14:17], v[14:15], off offset:128
.LBB34_41:
	s_or_b64 exec, exec, s[2:3]
	s_branch .LBB34_45
.LBB34_42:
                                        ; implicit-def: $vgpr5
                                        ; implicit-def: $vgpr9
                                        ; implicit-def: $vgpr13
                                        ; implicit-def: $vgpr17
	v_lshrrev_b32_e32 v35, 2, v35
	s_branch .LBB34_46
.LBB34_43:
                                        ; implicit-def: $vgpr5
                                        ; implicit-def: $vgpr9
                                        ; implicit-def: $vgpr13
                                        ; implicit-def: $vgpr17
	s_cbranch_execz .LBB34_45
; %bb.44:
	s_waitcnt vmcnt(0)
	v_mad_u64_u32 v[2:3], s[0:1], v20, s19, v[18:19]
	v_lshlrev_b32_e32 v20, 1, v2
	s_lshl_b32 s2, s19, 7
	s_and_b32 s1, s5, 0xffff
	s_mov_b32 s3, 0x20000
	s_mov_b32 s0, s4
	v_add_lshl_u32 v21, v2, s19, 1
	s_movk_i32 s17, 0x80
	buffer_load_dwordx4 v[2:5], v20, s[0:3], 0 offen
	buffer_load_dwordx4 v[10:13], v20, s[0:3], s17 offen
	;; [unrolled: 1-line block ×4, first 2 shown]
.LBB34_45:
	v_lshrrev_b32_e32 v35, 2, v35
	s_cbranch_execnz .LBB34_58
.LBB34_46:
	s_and_b64 vcc, exec, s[6:7]
	s_cbranch_vccz .LBB34_56
; %bb.47:
	s_waitcnt vmcnt(0)
	v_lshlrev_b32_e32 v7, 1, v30
	v_cmp_gt_i32_e32 vcc, s31, v7
	v_mov_b32_e32 v6, 0
	v_lshlrev_b32_e32 v14, 9, v30
	v_mov_b32_e32 v2, 0
	v_mov_b32_e32 v3, 0
	;; [unrolled: 1-line block ×4, first 2 shown]
	s_and_saveexec_b64 s[0:1], vcc
	s_cbranch_execz .LBB34_49
; %bb.48:
	v_mov_b32_e32 v15, 0
	v_lshl_add_u64 v[2:3], s[4:5], 0, v[14:15]
	v_lshlrev_b32_e32 v4, 1, v18
	v_mov_b32_e32 v5, v15
	v_lshl_add_u64 v[2:3], v[2:3], 0, v[4:5]
	global_load_dwordx4 v[2:5], v[2:3], off
.LBB34_49:
	s_or_b64 exec, exec, s[0:1]
	v_or_b32_e32 v7, 1, v7
	v_cmp_gt_i32_e64 s[0:1], s31, v7
	v_lshlrev_b32_e32 v20, 8, v7
	v_mov_b32_e32 v7, 0
	v_mov_b32_e32 v8, 0
	;; [unrolled: 1-line block ×3, first 2 shown]
	s_and_saveexec_b64 s[2:3], s[0:1]
	s_cbranch_execz .LBB34_51
; %bb.50:
	v_mov_b32_e32 v21, 0
	v_lshl_add_u64 v[6:7], s[4:5], 0, v[20:21]
	v_lshlrev_b32_e32 v8, 1, v18
	v_mov_b32_e32 v9, v21
	v_lshl_add_u64 v[6:7], v[6:7], 0, v[8:9]
	global_load_dwordx4 v[6:9], v[6:7], off
.LBB34_51:
	s_or_b64 exec, exec, s[2:3]
	v_mov_b32_e32 v17, 0
	v_mov_b32_e32 v10, 0
	;; [unrolled: 1-line block ×5, first 2 shown]
	s_and_saveexec_b64 s[2:3], vcc
	s_cbranch_execz .LBB34_53
; %bb.52:
	v_mov_b32_e32 v15, 0
	v_lshl_add_u64 v[10:11], s[4:5], 0, v[14:15]
	v_lshlrev_b32_e32 v14, 1, v18
	v_lshl_add_u64 v[10:11], v[10:11], 0, v[14:15]
	global_load_dwordx4 v[10:13], v[10:11], off offset:128
.LBB34_53:
	s_or_b64 exec, exec, s[2:3]
	v_mov_b32_e32 v16, 0
	v_mov_b32_e32 v15, 0
	;; [unrolled: 1-line block ×3, first 2 shown]
	s_and_saveexec_b64 s[2:3], s[0:1]
	s_cbranch_execz .LBB34_55
; %bb.54:
	v_mov_b32_e32 v21, 0
	v_lshl_add_u64 v[14:15], s[4:5], 0, v[20:21]
	v_lshlrev_b32_e32 v20, 1, v18
	v_lshl_add_u64 v[14:15], v[14:15], 0, v[20:21]
	global_load_dwordx4 v[14:17], v[14:15], off offset:128
.LBB34_55:
	s_or_b64 exec, exec, s[2:3]
	s_branch .LBB34_58
.LBB34_56:
                                        ; implicit-def: $vgpr5
                                        ; implicit-def: $vgpr9
                                        ; implicit-def: $vgpr13
                                        ; implicit-def: $vgpr17
	s_cbranch_execz .LBB34_58
; %bb.57:
	s_waitcnt vmcnt(0)
	v_lshlrev_b32_e32 v2, 1, v18
	v_lshl_or_b32 v18, v30, 9, v2
	s_and_b32 s5, s5, 0xffff
	s_mov_b32 s7, 0x20000
	s_movk_i32 s6, 0x4000
	s_movk_i32 s0, 0x80
	buffer_load_dwordx4 v[2:5], v18, s[4:7], 0 offen
	buffer_load_dwordx4 v[6:9], v18, s[4:7], 0 offen offset:256
	buffer_load_dwordx4 v[10:13], v18, s[4:7], s0 offen
	buffer_load_dwordx4 v[14:17], v18, s[4:7], s0 offen offset:256
.LBB34_58:
	ds_read_b64 v[20:21], v31 offset:57344
	v_add_u32_e32 v18, 0x6000, v26
	ds_read2_b64 v[78:81], v18 offset1:16
	ds_read_b64 v[82:83], v32 offset:57344
	ds_read_b64 v[32:33], v33 offset:57344
	ds_read_b64 v[98:99], v77 offset:57344
	ds_read2st64_b64 v[86:89], v26 offset0:52 offset1:56
	v_and_b32_e32 v31, 1, v0
	v_cmp_eq_u32_e32 vcc, 0, v31
	s_mov_b32 s0, 0x1000504
	s_waitcnt vmcnt(0)
	v_perm_b32 v31, v10, v14, s0
	s_mov_b32 s1, 0x3020706
	s_waitcnt lgkmcnt(4)
	v_mfma_f32_16x16x16_bf16 a[0:3], v[20:21], v[78:79], a[0:3]
	v_mfma_f32_16x16x16_bf16 a[4:7], v[20:21], v[80:81], a[4:7]
	ds_read2_b64 v[78:81], v18 offset0:32 offset1:48
	v_and_b32_e32 v18, 6, v0
	v_xor_b32_e32 v30, v30, v18
	s_waitcnt lgkmcnt(0)
	v_mfma_f32_16x16x16_bf16 a[8:11], v[20:21], v[78:79], a[8:11]
	v_lshlrev_b32_e32 v30, 2, v30
	v_xor_b32_e32 v77, 0x440, v30
	v_cndmask_b32_e32 v30, v77, v30, vcc
	v_mfma_f32_16x16x16_bf16 a[12:15], v[20:21], v[80:81], a[12:15]
	ds_read2st64_b64 v[78:81], v27 offset0:52 offset1:56
	ds_read2st64_b64 v[90:93], v28 offset0:52 offset1:56
	;; [unrolled: 1-line block ×3, first 2 shown]
	v_lshl_or_b32 v18, v18, 10, v30
	v_perm_b32 v30, v2, v6, s0
	v_mfma_f32_16x16x16_bf16 a[0:3], v[82:83], v[86:87], a[0:3]
	ds_read_b64 v[20:21], v26 offset:30720
	ds_read_b64 v[86:87], v27 offset:30720
	;; [unrolled: 1-line block ×4, first 2 shown]
	ds_write2st64_b32 v18, v30, v31 offset0:128 offset1:160
	v_xor_b32_e32 v30, 8, v18
	s_waitcnt lgkmcnt(7)
	v_mfma_f32_16x16x16_bf16 a[4:7], v[82:83], v[78:79], a[4:7]
	v_perm_b32 v2, v2, v6, s1
	v_perm_b32 v6, v10, v14, s1
	v_add_u32_e32 v10, 0x80, v30
	s_waitcnt lgkmcnt(6)
	v_mfma_f32_16x16x16_bf16 a[8:11], v[82:83], v[90:91], a[8:11]
	ds_write2st64_b32 v10, v2, v6 offset0:128 offset1:160
	v_xor_b32_e32 v2, 16, v18
	v_perm_b32 v6, v3, v7, s0
	s_waitcnt lgkmcnt(6)
	v_mfma_f32_16x16x16_bf16 a[12:15], v[82:83], v[94:95], a[12:15]
	v_perm_b32 v10, v11, v15, s0
	ds_write2st64_b32 v2, v6, v10 offset0:129 offset1:161
	v_xor_b32_e32 v2, 24, v18
	v_mfma_f32_16x16x16_bf16 a[0:3], v[32:33], v[88:89], a[0:3]
	v_perm_b32 v3, v3, v7, s1
	v_perm_b32 v6, v11, v15, s1
	v_add_u32_e32 v2, 0x80, v2
	v_mfma_f32_16x16x16_bf16 a[4:7], v[32:33], v[80:81], a[4:7]
	ds_write2st64_b32 v2, v3, v6 offset0:129 offset1:161
	v_xor_b32_e32 v2, 32, v18
	v_perm_b32 v3, v4, v8, s0
	v_mfma_f32_16x16x16_bf16 a[16:19], v[32:33], v[92:93], a[8:11]
	v_perm_b32 v6, v12, v16, s0
	ds_write2st64_b32 v2, v3, v6 offset0:130 offset1:162
	v_xor_b32_e32 v2, 40, v18
	v_mfma_f32_16x16x16_bf16 a[20:23], v[32:33], v[96:97], a[12:15]
	v_perm_b32 v3, v4, v8, s1
	v_perm_b32 v4, v12, v16, s1
	v_add_u32_e32 v2, 0x80, v2
	s_waitcnt lgkmcnt(8)
	v_mfma_f32_16x16x16_bf16 a[12:15], v[98:99], v[20:21], a[0:3]
	ds_write2st64_b32 v2, v3, v4 offset0:130 offset1:162
	v_xor_b32_e32 v2, 48, v18
	v_perm_b32 v3, v5, v9, s0
	s_waitcnt lgkmcnt(8)
	v_mfma_f32_16x16x16_bf16 a[8:11], v[98:99], v[86:87], a[4:7]
	v_perm_b32 v4, v13, v17, s0
	ds_write2st64_b32 v2, v3, v4 offset0:131 offset1:163
	v_xor_b32_e32 v2, 56, v18
	s_waitcnt lgkmcnt(8)
	v_mfma_f32_16x16x16_bf16 a[4:7], v[98:99], v[100:101], a[16:19]
	v_and_or_b32 v21, v35, 12, v84
	v_perm_b32 v3, v5, v9, s1
	v_perm_b32 v4, v13, v17, s1
	s_waitcnt lgkmcnt(7)
	v_mfma_f32_16x16x16_bf16 a[0:3], v[98:99], v[102:103], a[20:23]
	v_add_u32_e32 v2, 0x80, v2
	v_cmp_gt_i32_e32 vcc, s31, v21
	v_mov_b32_e32 v16, 0
	v_mov_b32_e32 v18, 0
	ds_write2st64_b32 v2, v3, v4 offset0:131 offset1:163
	s_and_saveexec_b64 s[0:1], vcc
	s_cbranch_execz .LBB34_60
; %bb.59:
	v_add_u32_e32 v2, s30, v21
	v_ashrrev_i32_e32 v3, 31, v2
	v_mul_lo_u32 v4, v3, s34
	v_mul_lo_u32 v5, v2, s35
	v_mad_u64_u32 v[2:3], s[2:3], v2, s34, 0
	v_add3_u32 v3, v3, v5, v4
	v_lshl_add_u64 v[2:3], v[2:3], 2, s[10:11]
	global_load_dword v2, v[2:3], off
	s_waitcnt vmcnt(0)
	v_sub_f32_e32 v2, s16, v2
	v_exp_f32_e32 v18, v2
.LBB34_60:
	s_or_b64 exec, exec, s[0:1]
	v_or_b32_e32 v8, 1, v21
	v_cmp_gt_i32_e64 s[0:1], s31, v8
	s_and_saveexec_b64 s[2:3], s[0:1]
	s_cbranch_execz .LBB34_62
; %bb.61:
	v_add_u32_e32 v2, s30, v8
	v_ashrrev_i32_e32 v3, 31, v2
	v_mul_lo_u32 v4, v3, s34
	v_mul_lo_u32 v5, v2, s35
	v_mad_u64_u32 v[2:3], s[4:5], v2, s34, 0
	v_add3_u32 v3, v3, v5, v4
	v_lshl_add_u64 v[2:3], v[2:3], 2, s[10:11]
	global_load_dword v2, v[2:3], off
	s_waitcnt vmcnt(0)
	v_sub_f32_e32 v2, s16, v2
	v_exp_f32_e32 v16, v2
.LBB34_62:
	s_or_b64 exec, exec, s[2:3]
	v_or_b32_e32 v9, 2, v21
	v_cmp_gt_i32_e64 s[2:3], s31, v9
	v_mov_b32_e32 v17, 0
	v_mov_b32_e32 v20, 0
	s_and_saveexec_b64 s[4:5], s[2:3]
	s_cbranch_execz .LBB34_64
; %bb.63:
	v_add_u32_e32 v2, s30, v9
	v_ashrrev_i32_e32 v3, 31, v2
	v_mul_lo_u32 v4, v3, s34
	v_mul_lo_u32 v5, v2, s35
	v_mad_u64_u32 v[2:3], s[6:7], v2, s34, 0
	v_add3_u32 v3, v3, v5, v4
	v_lshl_add_u64 v[2:3], v[2:3], 2, s[10:11]
	global_load_dword v2, v[2:3], off
	s_waitcnt vmcnt(0)
	v_sub_f32_e32 v2, s16, v2
	v_exp_f32_e32 v20, v2
.LBB34_64:
	s_or_b64 exec, exec, s[4:5]
	v_or_b32_e32 v30, 3, v21
	v_cmp_gt_i32_e64 s[4:5], s31, v30
	s_and_saveexec_b64 s[6:7], s[4:5]
	s_cbranch_execz .LBB34_66
; %bb.65:
	v_add_u32_e32 v2, s30, v30
	v_ashrrev_i32_e32 v3, 31, v2
	v_mul_lo_u32 v4, v3, s34
	v_mul_lo_u32 v5, v2, s35
	v_mad_u64_u32 v[2:3], s[18:19], v2, s34, 0
	v_add3_u32 v3, v3, v5, v4
	v_lshl_add_u64 v[2:3], v[2:3], 2, s[10:11]
	global_load_dword v2, v[2:3], off
	s_waitcnt vmcnt(0)
	v_sub_f32_e32 v2, s16, v2
	v_exp_f32_e32 v17, v2
.LBB34_66:
	s_or_b64 exec, exec, s[6:7]
	s_add_u32 s6, s8, s24
	v_accvgpr_read_b32 v2, a12
	s_addc_u32 s7, s9, s25
	v_ashrrev_i32_e32 v77, 31, v76
	v_accvgpr_read_b32 v3, a13
	v_accvgpr_read_b32 v4, a14
	;; [unrolled: 1-line block ×3, first 2 shown]
	v_lshl_add_u64 v[6:7], v[76:77], 1, s[6:7]
	v_mov_b32_e32 v13, 0
	v_lshlrev_b32_e32 v10, 8, v21
	v_mov_b32_e32 v11, 0
	s_and_saveexec_b64 s[6:7], vcc
	s_cbranch_execz .LBB34_68
; %bb.67:
	v_mov_b32_e32 v11, 0
	v_lshl_add_u64 v[14:15], v[6:7], 0, v[10:11]
	global_load_ushort v11, v[14:15], off
	s_waitcnt vmcnt(0)
	v_lshlrev_b32_e32 v11, 16, v11
	v_sub_f32_e32 v2, v11, v2
	v_mul_f32_e32 v2, v18, v2
	v_lshrrev_b32_e32 v11, 16, v2
.LBB34_68:
	s_or_b64 exec, exec, s[6:7]
	v_lshlrev_b32_e32 v12, 8, v8
	s_and_saveexec_b64 s[6:7], s[0:1]
	s_cbranch_execz .LBB34_70
; %bb.69:
	v_mov_b32_e32 v13, 0
	v_lshl_add_u64 v[14:15], v[6:7], 0, v[12:13]
	global_load_ushort v2, v[14:15], off
	s_waitcnt vmcnt(0)
	v_lshlrev_b32_e32 v2, 16, v2
	v_sub_f32_e32 v2, v2, v3
	v_mul_f32_e32 v2, v16, v2
	v_lshrrev_b32_e32 v13, 16, v2
.LBB34_70:
	s_or_b64 exec, exec, s[6:7]
	v_mov_b32_e32 v31, 0
	v_lshlrev_b32_e32 v14, 8, v9
	v_mov_b32_e32 v15, 0
	s_and_saveexec_b64 s[6:7], s[2:3]
	s_cbranch_execz .LBB34_72
; %bb.71:
	v_mov_b32_e32 v15, 0
	v_lshl_add_u64 v[2:3], v[6:7], 0, v[14:15]
	global_load_ushort v2, v[2:3], off
	s_waitcnt vmcnt(0)
	v_lshlrev_b32_e32 v2, 16, v2
	v_sub_f32_e32 v2, v2, v4
	v_mul_f32_e32 v2, v20, v2
	v_lshrrev_b32_e32 v15, 16, v2
.LBB34_72:
	s_or_b64 exec, exec, s[6:7]
	v_lshlrev_b32_e32 v8, 8, v30
	s_and_saveexec_b64 s[6:7], s[4:5]
	s_cbranch_execz .LBB34_74
; %bb.73:
	v_mov_b32_e32 v9, 0
	v_lshl_add_u64 v[2:3], v[6:7], 0, v[8:9]
	global_load_ushort v2, v[2:3], off
	s_waitcnt vmcnt(0)
	v_lshlrev_b32_e32 v2, 16, v2
	v_sub_f32_e32 v2, v2, v5
	v_mul_f32_e32 v2, v17, v2
	v_lshrrev_b32_e32 v31, 16, v2
.LBB34_74:
	s_or_b64 exec, exec, s[6:7]
	v_lshlrev_b32_e32 v21, 6, v21
	v_accvgpr_read_b32 v2, a8
	s_mov_b32 s6, 0x5040100
	v_or_b32_e32 v9, v21, v24
	v_accvgpr_read_b32 v3, a9
	v_accvgpr_read_b32 v4, a10
	;; [unrolled: 1-line block ×3, first 2 shown]
	v_perm_b32 v31, v31, v15, s6
	v_perm_b32 v30, v13, v11, s6
	v_lshlrev_b32_e32 v9, 1, v9
	v_mov_b32_e32 v13, 0
	v_mov_b32_e32 v11, 0
	ds_write_b64 v9, v[30:31] offset:24576
	s_and_saveexec_b64 s[6:7], vcc
	s_cbranch_execz .LBB34_76
; %bb.75:
	v_mov_b32_e32 v11, 0
	v_lshl_add_u64 v[30:31], v[6:7], 0, v[10:11]
	global_load_ushort v9, v[30:31], off offset:32
	s_waitcnt vmcnt(0)
	v_lshlrev_b32_e32 v9, 16, v9
	v_sub_f32_e32 v2, v9, v2
	v_mul_f32_e32 v2, v18, v2
	v_lshrrev_b32_e32 v11, 16, v2
.LBB34_76:
	s_or_b64 exec, exec, s[6:7]
	s_and_saveexec_b64 s[6:7], s[0:1]
	s_cbranch_execz .LBB34_78
; %bb.77:
	v_mov_b32_e32 v13, 0
	v_lshl_add_u64 v[30:31], v[6:7], 0, v[12:13]
	global_load_ushort v2, v[30:31], off offset:32
	s_waitcnt vmcnt(0)
	v_lshlrev_b32_e32 v2, 16, v2
	v_sub_f32_e32 v2, v2, v3
	v_mul_f32_e32 v2, v16, v2
	v_lshrrev_b32_e32 v13, 16, v2
.LBB34_78:
	s_or_b64 exec, exec, s[6:7]
	v_mov_b32_e32 v9, 0
	v_mov_b32_e32 v15, 0
	s_and_saveexec_b64 s[6:7], s[2:3]
	s_cbranch_execz .LBB34_80
; %bb.79:
	v_mov_b32_e32 v15, 0
	v_lshl_add_u64 v[2:3], v[6:7], 0, v[14:15]
	global_load_ushort v2, v[2:3], off offset:32
	s_waitcnt vmcnt(0)
	v_lshlrev_b32_e32 v2, 16, v2
	v_sub_f32_e32 v2, v2, v4
	v_mul_f32_e32 v2, v20, v2
	v_lshrrev_b32_e32 v15, 16, v2
.LBB34_80:
	s_or_b64 exec, exec, s[6:7]
	s_and_saveexec_b64 s[6:7], s[4:5]
	s_cbranch_execz .LBB34_82
; %bb.81:
	v_mov_b32_e32 v9, 0
	v_lshl_add_u64 v[2:3], v[6:7], 0, v[8:9]
	global_load_ushort v2, v[2:3], off offset:32
	s_waitcnt vmcnt(0)
	v_lshlrev_b32_e32 v2, 16, v2
	v_sub_f32_e32 v2, v2, v5
	v_mul_f32_e32 v2, v17, v2
	v_lshrrev_b32_e32 v9, 16, v2
.LBB34_82:
	s_or_b64 exec, exec, s[6:7]
	s_mov_b32 s6, 0x5040100
	v_accvgpr_read_b32 v2, a4
	v_perm_b32 v31, v9, v15, s6
	v_or_b32_e32 v9, v21, v23
	v_accvgpr_read_b32 v3, a5
	v_accvgpr_read_b32 v4, a6
	;; [unrolled: 1-line block ×3, first 2 shown]
	v_perm_b32 v30, v13, v11, s6
	v_lshlrev_b32_e32 v9, 1, v9
	v_mov_b32_e32 v13, 0
	v_mov_b32_e32 v11, 0
	ds_write_b64 v9, v[30:31] offset:24576
	s_and_saveexec_b64 s[6:7], vcc
	s_cbranch_execz .LBB34_84
; %bb.83:
	v_mov_b32_e32 v11, 0
	v_lshl_add_u64 v[30:31], v[6:7], 0, v[10:11]
	global_load_ushort v9, v[30:31], off offset:64
	s_waitcnt vmcnt(0)
	v_lshlrev_b32_e32 v9, 16, v9
	v_sub_f32_e32 v2, v9, v2
	v_mul_f32_e32 v2, v18, v2
	v_lshrrev_b32_e32 v11, 16, v2
.LBB34_84:
	s_or_b64 exec, exec, s[6:7]
	s_and_saveexec_b64 s[6:7], s[0:1]
	s_cbranch_execz .LBB34_86
; %bb.85:
	v_mov_b32_e32 v13, 0
	v_lshl_add_u64 v[30:31], v[6:7], 0, v[12:13]
	global_load_ushort v2, v[30:31], off offset:64
	s_waitcnt vmcnt(0)
	v_lshlrev_b32_e32 v2, 16, v2
	v_sub_f32_e32 v2, v2, v3
	v_mul_f32_e32 v2, v16, v2
	v_lshrrev_b32_e32 v13, 16, v2
.LBB34_86:
	s_or_b64 exec, exec, s[6:7]
	v_mov_b32_e32 v9, 0
	v_mov_b32_e32 v15, 0
	s_and_saveexec_b64 s[6:7], s[2:3]
	s_cbranch_execz .LBB34_88
; %bb.87:
	v_mov_b32_e32 v15, 0
	v_lshl_add_u64 v[2:3], v[6:7], 0, v[14:15]
	global_load_ushort v2, v[2:3], off offset:64
	s_waitcnt vmcnt(0)
	v_lshlrev_b32_e32 v2, 16, v2
	v_sub_f32_e32 v2, v2, v4
	v_mul_f32_e32 v2, v20, v2
	v_lshrrev_b32_e32 v15, 16, v2
.LBB34_88:
	s_or_b64 exec, exec, s[6:7]
	s_and_saveexec_b64 s[6:7], s[4:5]
	s_cbranch_execz .LBB34_90
; %bb.89:
	v_mov_b32_e32 v9, 0
	v_lshl_add_u64 v[2:3], v[6:7], 0, v[8:9]
	global_load_ushort v2, v[2:3], off offset:64
	s_waitcnt vmcnt(0)
	v_lshlrev_b32_e32 v2, 16, v2
	v_sub_f32_e32 v2, v2, v5
	v_mul_f32_e32 v2, v17, v2
	v_lshrrev_b32_e32 v9, 16, v2
.LBB34_90:
	s_or_b64 exec, exec, s[6:7]
	s_mov_b32 s6, 0x5040100
	v_accvgpr_read_b32 v5, a3
	v_perm_b32 v31, v9, v15, s6
	v_or_b32_e32 v9, v21, v22
	v_accvgpr_read_b32 v4, a2
	v_accvgpr_read_b32 v3, a1
	;; [unrolled: 1-line block ×3, first 2 shown]
	v_perm_b32 v30, v13, v11, s6
	v_lshlrev_b32_e32 v9, 1, v9
	v_mov_b32_e32 v13, 0
	v_mov_b32_e32 v11, 0
	ds_write_b64 v9, v[30:31] offset:24576
	s_and_saveexec_b64 s[6:7], vcc
	s_cbranch_execz .LBB34_92
; %bb.91:
	v_mov_b32_e32 v11, 0
	v_lshl_add_u64 v[10:11], v[6:7], 0, v[10:11]
	global_load_ushort v9, v[10:11], off offset:96
	s_waitcnt vmcnt(0)
	v_lshlrev_b32_e32 v9, 16, v9
	v_sub_f32_e32 v2, v9, v2
	v_mul_f32_e32 v2, v18, v2
	v_lshrrev_b32_e32 v11, 16, v2
.LBB34_92:
	s_or_b64 exec, exec, s[6:7]
	s_and_saveexec_b64 s[6:7], s[0:1]
	s_cbranch_execz .LBB34_94
; %bb.93:
	v_mov_b32_e32 v13, 0
	v_lshl_add_u64 v[12:13], v[6:7], 0, v[12:13]
	global_load_ushort v2, v[12:13], off offset:96
	s_waitcnt vmcnt(0)
	v_lshlrev_b32_e32 v2, 16, v2
	v_sub_f32_e32 v2, v2, v3
	v_mul_f32_e32 v2, v16, v2
	v_lshrrev_b32_e32 v13, 16, v2
.LBB34_94:
	s_or_b64 exec, exec, s[6:7]
	v_mov_b32_e32 v9, 0
	v_mov_b32_e32 v12, 0
	s_and_saveexec_b64 s[0:1], s[2:3]
	s_cbranch_execz .LBB34_96
; %bb.95:
	v_mov_b32_e32 v15, 0
	v_lshl_add_u64 v[2:3], v[6:7], 0, v[14:15]
	global_load_ushort v2, v[2:3], off offset:96
	s_waitcnt vmcnt(0)
	v_lshlrev_b32_e32 v2, 16, v2
	v_sub_f32_e32 v2, v2, v4
	v_mul_f32_e32 v2, v20, v2
	v_lshrrev_b32_e32 v12, 16, v2
.LBB34_96:
	s_or_b64 exec, exec, s[0:1]
	v_or_b32_e32 v10, 0x6000, v26
	v_or_b32_e32 v4, 0x6000, v27
	;; [unrolled: 1-line block ×4, first 2 shown]
	s_and_saveexec_b64 s[0:1], s[4:5]
	s_cbranch_execz .LBB34_98
; %bb.97:
	v_mov_b32_e32 v9, 0
	v_lshl_add_u64 v[6:7], v[6:7], 0, v[8:9]
	global_load_ushort v6, v[6:7], off offset:96
	s_waitcnt vmcnt(0)
	v_lshlrev_b32_e32 v6, 16, v6
	v_sub_f32_e32 v5, v6, v5
	v_mul_f32_e32 v5, v17, v5
	v_lshrrev_b32_e32 v9, 16, v5
.LBB34_98:
	s_or_b64 exec, exec, s[0:1]
	s_mov_b32 s0, 0x5040100
	v_or_b32_e32 v5, v21, v19
	v_perm_b32 v7, v9, v12, s0
	v_perm_b32 v6, v13, v11, s0
	v_lshlrev_b32_e32 v5, 1, v5
	s_movk_i32 s0, 0x100
	ds_write_b64 v5, v[6:7] offset:24576
	v_and_b32_e32 v5, 7, v0
	v_and_b32_e32 v6, 8, v0
	v_cmp_gt_u32_e32 vcc, s0, v0
	v_lshrrev_b32_e32 v0, 1, v0
	v_lshlrev_b32_e32 v35, 3, v1
	v_and_b32_e32 v78, 24, v0
	v_mov_b32_e32 v7, 0xa000
	v_mov_b32_e32 v8, 0x8000
	v_xor_b32_e32 v0, v35, v78
	v_or_b32_e32 v16, 32, v78
	v_cndmask_b32_e32 v24, v7, v8, vcc
	v_or_b32_e32 v1, 0x440, v0
	v_cmp_eq_u32_e32 vcc, 0, v6
	v_xor_b32_e32 v16, v35, v16
	v_or_b32_e32 v17, 0x440, v16
	v_cndmask_b32_e32 v0, v1, v0, vcc
	v_lshlrev_b32_e32 v11, 3, v5
	v_lshlrev_b32_e32 v5, 7, v5
	v_or_b32_e32 v0, v0, v25
	v_cndmask_b32_e32 v16, v17, v16, vcc
	v_xad_u32 v79, v0, v11, v5
	v_or_b32_e32 v16, v16, v25
	v_add_u32_e32 v0, v24, v79
	v_xad_u32 v80, v16, v11, v5
	s_waitcnt lgkmcnt(0)
	s_barrier
	ds_read_b64 v[0:1], v0
	ds_read2_b64 v[6:9], v10 offset1:16
	ds_read2_b64 v[12:15], v10 offset0:32 offset1:48
	v_add_u32_e32 v16, v24, v80
	ds_read_b64 v[76:77], v16
	s_waitcnt lgkmcnt(2)
	v_mfma_f32_16x16x16_bf16 a[0:3], v[0:1], v[6:7], 0
	ds_read2st64_b64 v[16:19], v10 offset0:4 offset1:8
	ds_read2st64_b64 v[20:23], v4 offset0:4 offset1:8
	;; [unrolled: 1-line block ×3, first 2 shown]
	v_mfma_f32_16x16x16_bf16 a[4:7], v[0:1], v[8:9], 0
	ds_read2st64_b64 v[30:33], v2 offset0:4 offset1:8
	s_waitcnt lgkmcnt(5)
	v_mfma_f32_16x16x16_bf16 a[8:11], v[0:1], v[12:13], 0
	v_mfma_f32_16x16x16_bf16 a[12:15], v[0:1], v[14:15], 0
	v_or_b32_e32 v0, 64, v78
	v_xor_b32_e32 v0, v35, v0
	v_xor_b32_e32 v1, 0x440, v0
	v_cndmask_b32_e32 v0, v1, v0, vcc
	v_or_b32_e32 v0, v0, v25
	s_waitcnt lgkmcnt(3)
	v_mfma_f32_16x16x16_bf16 a[0:3], v[76:77], v[16:17], a[0:3]
	s_waitcnt lgkmcnt(2)
	v_mfma_f32_16x16x16_bf16 a[4:7], v[76:77], v[20:21], a[4:7]
	s_waitcnt lgkmcnt(1)
	v_mfma_f32_16x16x16_bf16 a[8:11], v[76:77], v[26:27], a[8:11]
	s_waitcnt lgkmcnt(0)
	v_mfma_f32_16x16x16_bf16 a[12:15], v[76:77], v[30:31], a[12:15]
	v_xad_u32 v76, v0, v11, v5
	v_add_u32_e32 v0, v24, v76
	ds_read_b64 v[0:1], v0
	v_or_b32_e32 v77, 0x60, v78
	v_xor_b32_e32 v35, v35, v77
	v_xor_b32_e32 v77, 0x440, v35
	v_cndmask_b32_e32 v35, v77, v35, vcc
	v_or_b32_e32 v25, v35, v25
	v_xad_u32 v35, v25, v11, v5
	v_add_u32_e32 v5, v24, v35
	s_waitcnt lgkmcnt(0)
	v_mfma_f32_16x16x16_bf16 a[0:3], v[0:1], v[18:19], a[0:3]
	ds_read_b64 v[24:25], v5
	ds_read_b64 v[10:11], v10 offset:6144
	v_mfma_f32_16x16x16_bf16 a[4:7], v[0:1], v[22:23], a[4:7]
	v_mfma_f32_16x16x16_bf16 a[8:11], v[0:1], v[28:29], a[8:11]
	;; [unrolled: 1-line block ×3, first 2 shown]
	ds_read_b64 v[0:1], v4 offset:6144
	ds_read_b64 v[4:5], v3 offset:6144
	;; [unrolled: 1-line block ×3, first 2 shown]
	s_waitcnt lgkmcnt(3)
	v_mfma_f32_16x16x16_bf16 a[0:3], v[24:25], v[10:11], a[0:3]
	s_waitcnt lgkmcnt(2)
	v_mfma_f32_16x16x16_bf16 a[4:7], v[24:25], v[0:1], a[4:7]
	;; [unrolled: 2-line block ×4, first 2 shown]
	ds_read_b64 v[24:25], v79 offset:40960
	s_waitcnt lgkmcnt(0)
	v_mfma_f32_16x16x16_bf16 a[16:19], v[24:25], v[6:7], 0
	ds_read_b64 v[6:7], v80 offset:40960
	v_mfma_f32_16x16x16_bf16 a[20:23], v[24:25], v[8:9], 0
	v_exp_f32_e32 v8, s16
	v_mfma_f32_16x16x16_bf16 a[24:27], v[24:25], v[12:13], 0
	ds_read_b64 v[12:13], v76 offset:40960
	v_mfma_f32_16x16x16_bf16 a[28:31], v[24:25], v[14:15], 0
	v_accvgpr_read_b32 v15, a3
	v_accvgpr_read_b32 v14, a2
	v_pk_fma_f32 v[74:75], v[74:75], v[8:9], v[14:15] op_sel_hi:[1,0,1]
	ds_read_b64 v[14:15], v35 offset:40960
	s_waitcnt lgkmcnt(2)
	v_mfma_f32_16x16x16_bf16 a[16:19], v[6:7], v[16:17], a[16:19]
	v_accvgpr_read_b32 v17, a7
	v_accvgpr_read_b32 v16, a6
	v_pk_fma_f32 v[66:67], v[66:67], v[8:9], v[16:17] op_sel_hi:[1,0,1]
	v_mfma_f32_16x16x16_bf16 a[20:23], v[6:7], v[20:21], a[20:23]
	v_accvgpr_read_b32 v21, a1
	v_accvgpr_read_b32 v20, a0
	v_pk_fma_f32 v[70:71], v[70:71], v[8:9], v[20:21] op_sel_hi:[1,0,1]
	;; [unrolled: 4-line block ×4, first 2 shown]
	s_waitcnt lgkmcnt(1)
	v_mfma_f32_16x16x16_bf16 a[16:19], v[12:13], v[18:19], a[16:19]
	v_accvgpr_read_b32 v6, a12
	v_accvgpr_read_b32 v7, a13
	v_pk_fma_f32 v[46:47], v[46:47], v[8:9], v[6:7] op_sel_hi:[1,0,1]
	v_mfma_f32_16x16x16_bf16 a[0:3], v[12:13], v[22:23], a[20:23]
	v_accvgpr_read_b32 v19, a15
	v_accvgpr_read_b32 v18, a14
	v_pk_fma_f32 v[52:53], v[52:53], v[8:9], v[18:19] op_sel_hi:[1,0,1]
	v_mfma_f32_16x16x16_bf16 a[20:23], v[12:13], v[28:29], a[24:27]
	v_mfma_f32_16x16x16_bf16 a[4:7], v[12:13], v[32:33], a[28:31]
	v_accvgpr_read_b32 v13, a9
	v_accvgpr_read_b32 v12, a8
	v_pk_fma_f32 v[54:55], v[54:55], v[8:9], v[12:13] op_sel_hi:[1,0,1]
	s_waitcnt lgkmcnt(0)
	v_mfma_f32_16x16x16_bf16 a[8:11], v[14:15], v[10:11], a[16:19]
	v_mfma_f32_16x16x16_bf16 a[0:3], v[14:15], v[0:1], a[0:3]
	s_nop 5
	v_accvgpr_read_b32 v1, a11
	v_accvgpr_read_b32 v0, a10
	v_mfma_f32_16x16x16_bf16 a[10:13], v[14:15], v[4:5], a[20:23]
	v_pk_fma_f32 v[72:73], v[72:73], v[8:9], v[0:1] op_sel_hi:[1,0,1]
	v_accvgpr_read_b32 v7, a3
	v_accvgpr_read_b32 v6, a2
	v_mfma_f32_16x16x16_bf16 a[2:5], v[14:15], v[2:3], a[4:7]
	v_accvgpr_read_b32 v0, a0
	v_accvgpr_read_b32 v1, a1
	v_pk_fma_f32 v[60:61], v[60:61], v[8:9], v[0:1] op_sel_hi:[1,0,1]
	v_accvgpr_read_b32 v0, a10
	v_accvgpr_read_b32 v1, a11
	;; [unrolled: 1-line block ×3, first 2 shown]
	v_pk_fma_f32 v[50:51], v[50:51], v[8:9], v[0:1] op_sel_hi:[1,0,1]
	v_accvgpr_read_b32 v0, a2
	v_accvgpr_read_b32 v5, a13
	;; [unrolled: 1-line block ×7, first 2 shown]
	v_pk_fma_f32 v[68:69], v[68:69], v[8:9], v[10:11] op_sel_hi:[1,0,1]
	v_pk_fma_f32 v[64:65], v[64:65], v[8:9], v[6:7] op_sel_hi:[1,0,1]
	v_pk_fma_f32 v[56:57], v[56:57], v[8:9], v[4:5] op_sel_hi:[1,0,1]
	v_pk_fma_f32 v[44:45], v[44:45], v[8:9], v[0:1] op_sel_hi:[1,0,1]
	v_pk_fma_f32 v[48:49], v[48:49], v[8:9], v[2:3] op_sel_hi:[1,0,1]
.LBB34_99:
	s_add_u32 s0, s12, s14
	s_addc_u32 s1, s13, s15
	v_lshl_add_u64 v[0:1], v[36:37], 1, s[0:1]
	v_mov_b32_e32 v35, 0
	s_mov_b32 s2, 0x7060302
	v_lshl_add_u64 v[0:1], v[0:1], 0, v[34:35]
	v_perm_b32 v3, v75, v74, s2
	v_perm_b32 v2, v71, v70, s2
	global_store_dwordx2 v[0:1], v[2:3], off
	v_perm_b32 v3, v73, v72, s2
	v_perm_b32 v2, v69, v68, s2
	global_store_dwordx2 v[0:1], v[2:3], off offset:128
	v_lshl_add_u64 v[0:1], v[38:39], 1, s[0:1]
	v_lshl_add_u64 v[0:1], v[0:1], 0, v[34:35]
	v_perm_b32 v3, v67, v66, s2
	v_perm_b32 v2, v63, v62, s2
	global_store_dwordx2 v[0:1], v[2:3], off
	v_perm_b32 v3, v65, v64, s2
	v_perm_b32 v2, v61, v60, s2
	global_store_dwordx2 v[0:1], v[2:3], off offset:128
	v_lshl_add_u64 v[0:1], v[40:41], 1, s[0:1]
	;; [unrolled: 8-line block ×3, first 2 shown]
	v_lshl_add_u64 v[0:1], v[0:1], 0, v[34:35]
	v_perm_b32 v3, v53, v52, s2
	v_perm_b32 v2, v47, v46, s2
	global_store_dwordx2 v[0:1], v[2:3], off
	v_perm_b32 v3, v49, v48, s2
	v_perm_b32 v2, v45, v44, s2
	global_store_dwordx2 v[0:1], v[2:3], off offset:128
	s_endpgm
	.section	.rodata,"a",@progbits
	.p2align	6, 0x0
	.amdhsa_kernel _ZN12_GLOBAL__N_139chunk_gated_delta_rule_fwd_h_hip_kernelILi64ELb1ELb1ELb0ELb1ELb1ELb0ELb1ELb1EEEvPK12hip_bfloat16S3_S3_PKfS5_PKvPS1_S8_PvPKiSB_iiiiilll
		.amdhsa_group_segment_fixed_size 65536
		.amdhsa_private_segment_fixed_size 0
		.amdhsa_kernarg_size 136
		.amdhsa_user_sgpr_count 2
		.amdhsa_user_sgpr_dispatch_ptr 0
		.amdhsa_user_sgpr_queue_ptr 0
		.amdhsa_user_sgpr_kernarg_segment_ptr 1
		.amdhsa_user_sgpr_dispatch_id 0
		.amdhsa_user_sgpr_kernarg_preload_length 0
		.amdhsa_user_sgpr_kernarg_preload_offset 0
		.amdhsa_user_sgpr_private_segment_size 0
		.amdhsa_uses_dynamic_stack 0
		.amdhsa_enable_private_segment 0
		.amdhsa_system_sgpr_workgroup_id_x 1
		.amdhsa_system_sgpr_workgroup_id_y 1
		.amdhsa_system_sgpr_workgroup_id_z 0
		.amdhsa_system_sgpr_workgroup_info 0
		.amdhsa_system_vgpr_workitem_id 0
		.amdhsa_next_free_vgpr 224
		.amdhsa_next_free_sgpr 65
		.amdhsa_accum_offset 188
		.amdhsa_reserve_vcc 1
		.amdhsa_float_round_mode_32 0
		.amdhsa_float_round_mode_16_64 0
		.amdhsa_float_denorm_mode_32 3
		.amdhsa_float_denorm_mode_16_64 3
		.amdhsa_dx10_clamp 1
		.amdhsa_ieee_mode 1
		.amdhsa_fp16_overflow 0
		.amdhsa_tg_split 0
		.amdhsa_exception_fp_ieee_invalid_op 0
		.amdhsa_exception_fp_denorm_src 0
		.amdhsa_exception_fp_ieee_div_zero 0
		.amdhsa_exception_fp_ieee_overflow 0
		.amdhsa_exception_fp_ieee_underflow 0
		.amdhsa_exception_fp_ieee_inexact 0
		.amdhsa_exception_int_div_zero 0
	.end_amdhsa_kernel
	.section	.text._ZN12_GLOBAL__N_139chunk_gated_delta_rule_fwd_h_hip_kernelILi64ELb1ELb1ELb0ELb1ELb1ELb0ELb1ELb1EEEvPK12hip_bfloat16S3_S3_PKfS5_PKvPS1_S8_PvPKiSB_iiiiilll,"axG",@progbits,_ZN12_GLOBAL__N_139chunk_gated_delta_rule_fwd_h_hip_kernelILi64ELb1ELb1ELb0ELb1ELb1ELb0ELb1ELb1EEEvPK12hip_bfloat16S3_S3_PKfS5_PKvPS1_S8_PvPKiSB_iiiiilll,comdat
.Lfunc_end34:
	.size	_ZN12_GLOBAL__N_139chunk_gated_delta_rule_fwd_h_hip_kernelILi64ELb1ELb1ELb0ELb1ELb1ELb0ELb1ELb1EEEvPK12hip_bfloat16S3_S3_PKfS5_PKvPS1_S8_PvPKiSB_iiiiilll, .Lfunc_end34-_ZN12_GLOBAL__N_139chunk_gated_delta_rule_fwd_h_hip_kernelILi64ELb1ELb1ELb0ELb1ELb1ELb0ELb1ELb1EEEvPK12hip_bfloat16S3_S3_PKfS5_PKvPS1_S8_PvPKiSB_iiiiilll
                                        ; -- End function
	.section	.AMDGPU.csdata,"",@progbits
; Kernel info:
; codeLenInByte = 12176
; NumSgprs: 71
; NumVgprs: 186
; NumAgprs: 36
; TotalNumVgprs: 224
; ScratchSize: 0
; MemoryBound: 0
; FloatMode: 240
; IeeeMode: 1
; LDSByteSize: 65536 bytes/workgroup (compile time only)
; SGPRBlocks: 8
; VGPRBlocks: 27
; NumSGPRsForWavesPerEU: 71
; NumVGPRsForWavesPerEU: 224
; AccumOffset: 188
; Occupancy: 1
; WaveLimiterHint : 1
; COMPUTE_PGM_RSRC2:SCRATCH_EN: 0
; COMPUTE_PGM_RSRC2:USER_SGPR: 2
; COMPUTE_PGM_RSRC2:TRAP_HANDLER: 0
; COMPUTE_PGM_RSRC2:TGID_X_EN: 1
; COMPUTE_PGM_RSRC2:TGID_Y_EN: 1
; COMPUTE_PGM_RSRC2:TGID_Z_EN: 0
; COMPUTE_PGM_RSRC2:TIDIG_COMP_CNT: 0
; COMPUTE_PGM_RSRC3_GFX90A:ACCUM_OFFSET: 46
; COMPUTE_PGM_RSRC3_GFX90A:TG_SPLIT: 0
	.section	.text._ZN12_GLOBAL__N_139chunk_gated_delta_rule_fwd_h_hip_kernelILi64ELb1ELb0ELb1ELb1ELb1ELb0ELb1ELb1EEEvPK12hip_bfloat16S3_S3_PKfS5_PKvPS1_S8_PvPKiSB_iiiiilll,"axG",@progbits,_ZN12_GLOBAL__N_139chunk_gated_delta_rule_fwd_h_hip_kernelILi64ELb1ELb0ELb1ELb1ELb1ELb0ELb1ELb1EEEvPK12hip_bfloat16S3_S3_PKfS5_PKvPS1_S8_PvPKiSB_iiiiilll,comdat
	.globl	_ZN12_GLOBAL__N_139chunk_gated_delta_rule_fwd_h_hip_kernelILi64ELb1ELb0ELb1ELb1ELb1ELb0ELb1ELb1EEEvPK12hip_bfloat16S3_S3_PKfS5_PKvPS1_S8_PvPKiSB_iiiiilll ; -- Begin function _ZN12_GLOBAL__N_139chunk_gated_delta_rule_fwd_h_hip_kernelILi64ELb1ELb0ELb1ELb1ELb1ELb0ELb1ELb1EEEvPK12hip_bfloat16S3_S3_PKfS5_PKvPS1_S8_PvPKiSB_iiiiilll
	.p2align	8
	.type	_ZN12_GLOBAL__N_139chunk_gated_delta_rule_fwd_h_hip_kernelILi64ELb1ELb0ELb1ELb1ELb1ELb0ELb1ELb1EEEvPK12hip_bfloat16S3_S3_PKfS5_PKvPS1_S8_PvPKiSB_iiiiilll,@function
_ZN12_GLOBAL__N_139chunk_gated_delta_rule_fwd_h_hip_kernelILi64ELb1ELb0ELb1ELb1ELb1ELb0ELb1ELb1EEEvPK12hip_bfloat16S3_S3_PKfS5_PKvPS1_S8_PvPKiSB_iiiiilll: ; @_ZN12_GLOBAL__N_139chunk_gated_delta_rule_fwd_h_hip_kernelILi64ELb1ELb0ELb1ELb1ELb1ELb0ELb1ELb1EEEvPK12hip_bfloat16S3_S3_PKfS5_PKvPS1_S8_PvPKiSB_iiiiilll
; %bb.0:
	s_load_dwordx4 s[12:15], s[0:1], 0x5c
	s_load_dwordx4 s[4:7], s[0:1], 0x48
	s_abs_i32 s9, s3
	s_ashr_i32 s8, s3, 31
	v_and_b32_e32 v79, 15, v0
	s_waitcnt lgkmcnt(0)
	s_abs_i32 s10, s13
	v_cvt_f32_u32_e32 v1, s10
	s_sub_i32 s16, 0, s10
	s_ashr_i32 s11, s13, 31
	s_xor_b32 s8, s8, s11
	v_rcp_iflag_f32_e32 v1, v1
	v_lshrrev_b32_e32 v77, 6, v0
	v_bfe_u32 v78, v0, 4, 2
	v_mov_b32_e32 v7, 0
	v_mul_f32_e32 v1, 0x4f7ffffe, v1
	v_cvt_u32_f32_e32 v1, v1
	v_and_b32_e32 v76, 63, v0
	v_lshlrev_b32_e32 v80, 3, v0
	v_lshrrev_b32_e32 v81, 3, v76
	v_readfirstlane_b32 s17, v1
	s_mul_i32 s16, s16, s17
	s_mul_hi_u32 s16, s17, s16
	s_add_i32 s17, s17, s16
	s_mul_hi_u32 s16, s9, s17
	s_mul_i32 s17, s16, s10
	s_sub_i32 s9, s9, s17
	s_add_i32 s18, s16, 1
	s_sub_i32 s17, s9, s10
	s_cmp_ge_u32 s9, s10
	s_cselect_b32 s16, s18, s16
	s_cselect_b32 s9, s17, s9
	s_add_i32 s17, s16, 1
	s_cmp_ge_u32 s9, s10
	s_cselect_b32 s9, s17, s16
	s_xor_b32 s9, s9, s8
	s_sub_i32 s24, s9, s8
	s_mul_i32 s20, s24, s13
	s_ashr_i32 s25, s24, 31
	s_sub_i32 s47, s3, s20
	s_lshl_b64 s[8:9], s[24:25], 2
	s_add_u32 s4, s4, s8
	s_addc_u32 s5, s5, s9
	s_add_u32 s26, s6, s8
	s_addc_u32 s27, s7, s9
	s_abs_i32 s3, s14
	v_cvt_f32_u32_e32 v1, s3
	s_load_dwordx2 s[34:35], s[4:5], 0x0
	s_sub_i32 s5, 0, s3
	s_lshl_b32 s2, s2, 6
	v_rcp_iflag_f32_e32 v1, v1
	s_load_dwordx4 s[16:19], s[0:1], 0x28
	s_load_dwordx2 s[28:29], s[0:1], 0x38
	s_waitcnt lgkmcnt(0)
	s_sub_i32 s50, s35, s34
	s_ashr_i32 s4, s50, 31
	v_mul_f32_e32 v1, 0x4f7ffffe, v1
	v_cvt_u32_f32_e32 v1, v1
	s_lshr_b32 s4, s4, 26
	s_add_i32 s4, s50, s4
	s_ashr_i32 s49, s4, 6
	v_readfirstlane_b32 s6, v1
	s_mul_i32 s5, s5, s6
	s_mul_hi_u32 s5, s6, s5
	s_add_i32 s6, s6, s5
	s_mul_hi_u32 s5, s10, s6
	s_mul_i32 s6, s5, s3
	s_ashr_i32 s4, s14, 31
	s_sub_i32 s6, s10, s6
	s_xor_b32 s4, s11, s4
	s_add_i32 s7, s5, 1
	s_sub_i32 s8, s6, s3
	s_cmp_ge_u32 s6, s3
	s_cselect_b32 s5, s7, s5
	s_cselect_b32 s6, s8, s6
	s_add_i32 s7, s5, 1
	s_cmp_ge_u32 s6, s3
	s_cselect_b32 s3, s7, s5
	s_xor_b32 s3, s3, s4
	s_sub_i32 s3, s3, s4
	s_abs_i32 s4, s3
	v_cvt_f32_u32_e32 v1, s4
	s_sub_i32 s6, 0, s4
	s_abs_i32 s5, s47
	s_xor_b32 s3, s47, s3
	v_rcp_iflag_f32_e32 v1, v1
	s_ashr_i32 s3, s3, 31
	v_or_b32_e32 v34, s2, v79
	v_lshlrev_b32_e32 v2, 7, v34
	v_mul_f32_e32 v1, 0x4f7ffffe, v1
	v_cvt_u32_f32_e32 v1, v1
	v_or_b32_e32 v10, 0x800, v2
	v_ashrrev_i32_e32 v3, 31, v2
	v_ashrrev_i32_e32 v11, 31, v10
	v_readfirstlane_b32 s7, v1
	s_mul_i32 s6, s6, s7
	s_mul_hi_u32 s6, s7, s6
	s_add_i32 s7, s7, s6
	s_mul_hi_u32 s6, s5, s7
	s_mul_i32 s7, s6, s4
	s_sub_i32 s5, s5, s7
	s_add_i32 s7, s6, 1
	s_sub_i32 s8, s5, s4
	s_cmp_ge_u32 s5, s4
	s_cselect_b32 s6, s7, s6
	s_cselect_b32 s5, s8, s5
	s_add_i32 s7, s6, 1
	s_cmp_ge_u32 s5, s4
	s_cselect_b32 s4, s7, s6
	s_xor_b32 s4, s4, s3
	s_sub_i32 s51, s4, s3
	s_ashr_i32 s48, s47, 31
	s_mul_hi_i32 s3, s24, s13
	s_add_u32 s4, s20, s47
	s_addc_u32 s5, s3, s48
	s_lshl_b64 s[4:5], s[4:5], 15
	v_lshlrev_b32_e32 v1, 4, v77
	s_add_u32 s4, s16, s4
	v_lshl_or_b32 v82, v78, 2, v1
	s_addc_u32 s5, s17, s5
	v_lshl_add_u64 v[4:5], v[2:3], 1, s[4:5]
	v_lshlrev_b32_e32 v6, 1, v82
	v_lshl_add_u64 v[10:11], v[10:11], 1, s[4:5]
	v_lshl_add_u64 v[4:5], v[4:5], 0, v[6:7]
	;; [unrolled: 1-line block ×3, first 2 shown]
	global_load_dwordx2 v[8:9], v[4:5], off
	v_or_b32_e32 v83, 64, v82
	global_load_dwordx2 v[4:5], v[4:5], off offset:128
	s_nop 0
	global_load_dwordx2 v[12:13], v[10:11], off
	global_load_dwordx2 v[14:15], v[10:11], off offset:128
	v_or_b32_e32 v10, 0x1000, v2
	v_or_b32_e32 v2, 0x1800, v2
	v_ashrrev_i32_e32 v11, 31, v10
	v_ashrrev_i32_e32 v3, 31, v2
	v_lshl_add_u64 v[10:11], v[10:11], 1, s[4:5]
	v_lshl_add_u64 v[2:3], v[2:3], 1, s[4:5]
	;; [unrolled: 1-line block ×4, first 2 shown]
	global_load_dwordx2 v[16:17], v[10:11], off
	s_mul_hi_i32 s52, s47, s12
	global_load_dwordx2 v[10:11], v[10:11], off offset:128
	s_nop 0
	global_load_dwordx2 v[6:7], v[2:3], off
	global_load_dwordx2 v[18:19], v[2:3], off offset:128
	s_load_dwordx8 s[4:11], s[0:1], 0x0
	s_load_dwordx2 s[30:31], s[0:1], 0x80
	s_load_dwordx4 s[20:23], s[0:1], 0x70
	s_load_dword s54, s[26:27], 0x0
	s_mul_i32 s53, s47, s12
	s_cmp_lt_i32 s50, 64
	s_waitcnt lgkmcnt(0)
	s_mul_i32 s33, s24, s21
	s_mul_hi_u32 s42, s24, s20
	s_mul_i32 s43, s25, s20
	s_mul_i32 s38, s24, s20
	s_mul_i32 s44, s47, s23
	s_mul_hi_u32 s45, s47, s22
	s_mul_i32 s46, s48, s22
	s_mul_i32 s36, s47, s22
	s_waitcnt vmcnt(7)
	v_and_b32_e32 v63, 0xffff0000, v8
	v_lshlrev_b32_e32 v62, 16, v8
	v_and_b32_e32 v67, 0xffff0000, v9
	v_lshlrev_b32_e32 v66, 16, v9
	s_waitcnt vmcnt(6)
	v_and_b32_e32 v61, 0xffff0000, v4
	v_lshlrev_b32_e32 v60, 16, v4
	v_and_b32_e32 v65, 0xffff0000, v5
	v_lshlrev_b32_e32 v64, 16, v5
	;; [unrolled: 5-line block ×8, first 2 shown]
	s_cbranch_scc1 .LBB35_18
; %bb.1:
	s_ashr_i32 s1, s34, 31
	s_add_u32 s0, s53, s34
	s_addc_u32 s1, s52, s1
	s_lshl_b64 s[0:1], s[0:1], 8
	v_and_b32_e32 v85, 56, v80
	s_add_u32 s20, s6, s0
	v_lshl_or_b32 v84, v77, 3, v81
	v_lshlrev_b32_e32 v2, 1, v85
	s_addc_u32 s0, s7, s1
	v_lshl_or_b32 v86, v84, 8, v2
	s_and_b32 s21, s0, 0xffff
	s_mov_b32 s23, 0x20000
	s_movk_i32 s22, 0x4000
	s_movk_i32 s0, 0x80
	v_or_b32_e32 v87, 0x2000, v86
	buffer_load_dwordx4 v[4:7], v86, s[20:23], 0 offen
	buffer_load_dwordx4 v[8:11], v86, s[20:23], s0 offen
	;; [unrolled: 1-line block ×4, first 2 shown]
	v_lshlrev_b32_e32 v3, 3, v84
	v_and_or_b32 v21, v0, 7, v3
	v_and_b32_e32 v3, 0x78, v3
	v_lshlrev_b32_e32 v21, 4, v21
	v_xor_b32_e32 v88, v21, v3
	v_mul_lo_u32 v20, v84, s15
	v_or_b32_e32 v89, 0x1000, v88
	v_xor_b32_e32 v3, 8, v88
	s_cmpk_eq_i32 s15, 0x80
	s_mov_b32 s55, s34
	v_xor_b32_e32 v21, 8, v89
	s_cselect_b64 s[0:1], -1, 0
	s_cmpk_lg_i32 s15, 0x80
	s_waitcnt vmcnt(3)
	ds_write_b64 v88, v[4:5] offset:49152
	ds_write_b64 v3, v[6:7] offset:49152
	s_waitcnt vmcnt(2)
	ds_write_b64 v88, v[8:9] offset:57344
	ds_write_b64 v3, v[10:11] offset:57344
	;; [unrolled: 3-line block ×4, first 2 shown]
	v_lshl_add_u32 v3, v20, 1, v85
	s_cbranch_scc0 .LBB35_3
; %bb.2:
	v_lshlrev_b32_e32 v5, 1, v3
	v_add_lshl_u32 v4, v3, s15, 1
	s_lshl_b32 s22, s15, 7
	v_lshl_or_b32 v2, v84, 9, v2
	s_cbranch_execz .LBB35_4
	s_branch .LBB35_5
.LBB35_3:
                                        ; implicit-def: $vgpr4
                                        ; implicit-def: $vgpr5
                                        ; implicit-def: $sgpr22
	v_lshl_or_b32 v2, v84, 9, v2
.LBB35_4:
	v_or_b32_e32 v4, 0x100, v2
	s_movk_i32 s22, 0x4000
	v_mov_b32_e32 v5, v2
.LBB35_5:
	s_mul_i32 s16, s34, s14
	s_ashr_i32 s56, s51, 31
	s_mul_hi_i32 s3, s34, s14
	s_add_u32 s16, s16, s51
	s_addc_u32 s17, s3, s56
	s_lshl_b64 s[16:17], s[16:17], 8
	s_add_u32 s20, s4, s16
	s_addc_u32 s3, s5, s17
	s_and_b32 s21, s3, 0xffff
	s_movk_i32 s57, 0x80
	buffer_load_dwordx4 v[6:9], v5, s[20:23], 0 offen
	buffer_load_dwordx4 v[10:13], v5, s[20:23], s57 offen
	;; [unrolled: 1-line block ×4, first 2 shown]
	v_and_b32_e32 v5, 6, v0
	v_lshlrev_b32_e32 v4, 7, v82
	v_xor_b32_e32 v27, v84, v5
	v_and_b32_e32 v22, 1, v0
	v_lshl_or_b32 v30, v79, 3, v4
	v_lshlrev_b32_e32 v27, 2, v27
	v_lshlrev_b32_e32 v23, 2, v79
	v_or_b32_e32 v90, 0x4000, v30
	v_or_b32_e32 v91, 0x6000, v30
	v_xor_b32_e32 v30, 0x440, v27
	v_cmp_eq_u32_e32 vcc, 0, v22
	v_or_b32_e32 v25, 16, v79
	v_or_b32_e32 v26, 32, v79
	v_xor_b32_e32 v28, v82, v23
	v_xor_b32_e32 v29, v83, v23
	v_cndmask_b32_e32 v22, v30, v27, vcc
	s_mov_b32 s58, 0x1000504
	v_lshl_or_b32 v31, v25, 3, v4
	v_lshlrev_b32_e32 v25, 8, v25
	v_lshl_or_b32 v32, v26, 3, v4
	v_lshlrev_b32_e32 v28, 1, v28
	v_lshlrev_b32_e32 v29, 1, v29
	v_lshl_or_b32 v5, v5, 10, v22
	s_add_i32 s3, s42, s33
	s_mov_b32 s59, 0x3020706
	v_lshlrev_b32_e32 v24, 8, v79
	v_or_b32_e32 v94, 0x4000, v32
	v_or_b32_e32 v95, 0x6000, v32
	;; [unrolled: 1-line block ×4, first 2 shown]
	v_xor_b32_e32 v22, 8, v5
	v_xor_b32_e32 v25, 24, v5
	;; [unrolled: 1-line block ×4, first 2 shown]
	s_add_i32 s39, s3, s43
	s_add_i32 s3, s45, s44
	v_or_b32_e32 v92, 0x4000, v31
	v_or_b32_e32 v93, 0x6000, v31
	;; [unrolled: 1-line block ×4, first 2 shown]
	v_xor_b32_e32 v24, 16, v5
	v_xor_b32_e32 v27, 32, v5
	;; [unrolled: 1-line block ×3, first 2 shown]
	v_add_u32_e32 v22, 0x80, v22
	v_add_u32_e32 v25, 0x80, v25
	;; [unrolled: 1-line block ×4, first 2 shown]
	s_add_i32 s37, s3, s46
	s_lshl_b64 s[16:17], s[38:39], 2
	s_add_u32 s3, s10, s16
	s_addc_u32 s20, s11, s17
	s_lshl_b64 s[16:17], s[36:37], 2
	s_add_u32 s16, s3, s16
	s_movk_i32 s3, 0xf8
	s_addc_u32 s17, s20, s17
	s_lshl_b32 s26, s15, 7
	s_movk_i32 s24, 0x100
	v_mov_b32_e32 v69, 0
	v_lshlrev_b32_e32 v68, 4, v79
	v_cmp_gt_u32_e32 vcc, s24, v0
	v_lshlrev_b32_e32 v26, 8, v26
	s_mov_b32 s60, 0
	s_movk_i32 s22, 0x4000
	v_or_b32_e32 v100, v26, v28
	v_or_b32_e32 v101, v26, v29
	s_movk_i32 s37, 0x2000
	s_movk_i32 s39, 0x3000
	s_waitcnt vmcnt(1)
	v_perm_b32 v33, v6, v14, s58
	s_waitcnt vmcnt(0)
	v_perm_b32 v35, v10, v18, s58
	v_perm_b32 v6, v6, v14, s59
	v_perm_b32 v10, v10, v18, s59
	v_perm_b32 v14, v7, v15, s58
	v_perm_b32 v18, v11, v19, s58
	v_perm_b32 v7, v7, v15, s59
	v_perm_b32 v11, v11, v19, s59
	v_perm_b32 v15, v8, v16, s58
	v_perm_b32 v19, v12, v20, s58
	v_perm_b32 v8, v8, v16, s59
	v_perm_b32 v12, v12, v20, s59
	v_perm_b32 v16, v9, v17, s58
	v_perm_b32 v20, v13, v21, s58
	v_perm_b32 v9, v9, v17, s59
	v_perm_b32 v13, v13, v21, s59
	ds_write2st64_b32 v5, v33, v35 offset0:128 offset1:160
	ds_write2st64_b32 v22, v6, v10 offset0:128 offset1:160
	;; [unrolled: 1-line block ×8, first 2 shown]
	v_or_b32_e32 v5, 48, v79
	v_lshl_or_b32 v6, v5, 3, v4
	v_lshlrev_b32_e32 v5, 8, v5
	v_or_b32_e32 v104, v5, v28
	v_or_b32_e32 v105, v5, v29
	;; [unrolled: 1-line block ×3, first 2 shown]
	v_lshlrev_b32_e32 v5, 3, v5
	v_lshrrev_b32_e32 v7, 5, v76
	v_and_or_b32 v7, v5, s3, v7
	v_lshlrev_b32_e32 v7, 4, v7
	v_lshlrev_b32_e32 v8, 11, v77
	v_and_b32_e32 v5, 0x78, v5
	v_or_b32_e32 v13, 32, v7
	v_or_b32_e32 v102, 0x4000, v6
	;; [unrolled: 1-line block ×3, first 2 shown]
	v_and_b32_e32 v6, 0x1000, v8
	v_xor_b32_e32 v9, v7, v5
	v_lshrrev_b32_e32 v10, 1, v0
	v_xor_b32_e32 v13, v13, v5
	v_or_b32_e32 v9, v9, v6
	v_and_b32_e32 v11, 8, v10
	v_or_b32_e32 v13, v13, v6
	v_xor_b32_e32 v106, v9, v11
	v_lshlrev_b32_e32 v9, 8, v78
	v_xor_b32_e32 v108, v13, v11
	v_or_b32_e32 v13, 64, v7
	v_or_b32_e32 v7, 0x60, v7
	s_ashr_i32 s3, s2, 31
	v_or_b32_e32 v12, v9, v23
	v_xor_b32_e32 v13, v13, v5
	v_xor_b32_e32 v5, v7, v5
	s_lshl_b64 s[20:21], s[2:3], 8
	v_lshlrev_b32_e32 v12, 1, v12
	v_or_b32_e32 v13, v13, v6
	v_or_b32_e32 v5, v5, v6
	s_add_u32 s20, s18, s20
	v_lshlrev_b32_e32 v6, 1, v79
	v_or_b32_e32 v107, 0x4000, v12
	v_or_b32_e32 v109, 0x4080, v12
	v_or_b32_e32 v110, 0x4100, v12
	v_or_b32_e32 v111, 0x4180, v12
	v_or_b32_e32 v114, 0x6000, v12
	v_or_b32_e32 v115, 0x6080, v12
	v_or_b32_e32 v116, 0x6100, v12
	v_or_b32_e32 v117, 0x6180, v12
	v_lshrrev_b32_e32 v12, 4, v0
	s_addc_u32 s21, s19, s21
	v_or_b32_e32 v7, 1, v6
	v_mov_b32_e32 v16, 0xa000
	v_mov_b32_e32 v17, 0x8000
	v_xor_b32_e32 v112, v13, v11
	v_xor_b32_e32 v13, v12, v6
	;; [unrolled: 1-line block ×3, first 2 shown]
	v_lshl_add_u64 v[6:7], s[20:21], 0, v[68:69]
	v_lshlrev_b32_e32 v68, 8, v12
	v_cndmask_b32_e32 v16, v16, v17, vcc
	v_lshlrev_b32_e32 v17, 3, v77
	v_and_b32_e32 v10, 24, v10
	v_lshl_or_b32 v118, v13, 3, v68
	v_and_b32_e32 v13, 8, v0
	v_xor_b32_e32 v18, v17, v10
	v_or_b32_e32 v19, 0x440, v18
	v_cmp_eq_u32_e32 vcc, 0, v13
	v_and_b32_e32 v12, 7, v0
	v_lshl_or_b32 v119, v14, 3, v68
	v_cndmask_b32_e32 v13, v19, v18, vcc
	v_lshlrev_b32_e32 v14, 3, v12
	v_lshlrev_b32_e32 v12, 7, v12
	v_or_b32_e32 v13, v13, v8
	v_lshlrev_b32_e32 v15, 2, v0
	v_xad_u32 v120, v13, v14, v12
	v_or_b32_e32 v13, 32, v10
	v_and_or_b32 v9, v15, 60, v9
	v_xor_b32_e32 v13, v17, v13
	v_lshlrev_b32_e32 v9, 1, v9
	v_or_b32_e32 v15, 0x440, v13
	v_or_b32_e32 v121, 0x6000, v9
	v_cndmask_b32_e32 v13, v15, v13, vcc
	v_or_b32_e32 v123, 0x6080, v9
	v_or_b32_e32 v124, 0x6100, v9
	;; [unrolled: 1-line block ×5, first 2 shown]
	v_xor_b32_e32 v9, v17, v9
	v_xad_u32 v122, v13, v14, v12
	v_xor_b32_e32 v13, 0x440, v9
	v_cndmask_b32_e32 v9, v13, v9, vcc
	v_or_b32_e32 v9, v9, v8
	v_xad_u32 v126, v9, v14, v12
	v_or_b32_e32 v9, 0x60, v10
	v_xor_b32_e32 v9, v17, v9
	v_xor_b32_e32 v10, 0x440, v9
	v_cndmask_b32_e32 v9, v10, v9, vcc
	v_xor_b32_e32 v113, v5, v11
	v_ashrrev_i32_e32 v35, 31, v34
	v_lshlrev_b32_e32 v5, 1, v3
	v_add_lshl_u32 v3, v3, s15, 1
	v_or_b32_e32 v11, 0x100, v2
	v_or_b32_e32 v8, v9, v8
	v_xad_u32 v127, v8, v14, v12
	v_cndmask_b32_e64 v128, v5, v2, s[0:1]
	v_cndmask_b32_e64 v129, v3, v11, s[0:1]
	v_lshlrev_b64 v[2:3], 1, v[34:35]
	v_lshl_add_u64 v[70:71], s[8:9], 0, v[2:3]
	v_lshl_add_u64 v[72:73], s[28:29], 0, v[2:3]
	;; [unrolled: 1-line block ×3, first 2 shown]
	s_mov_b32 s3, 0x7060302
	v_lshlrev_b32_e32 v68, 1, v4
	v_add_u32_e32 v35, v16, v120
	v_add_u32_e32 v130, v16, v122
	;; [unrolled: 1-line block ×4, first 2 shown]
	s_waitcnt lgkmcnt(0)
	s_barrier
.LBB35_6:                               ; =>This Inner Loop Header: Depth=1
	s_add_i32 s61, s60, 1
	s_cmp_lt_i32 s61, s49
	s_mov_b64 s[24:25], 0
	s_cselect_b64 s[40:41], -1, 0
	s_cmp_ge_i32 s61, s49
	s_mov_b64 s[20:21], 0
	s_cbranch_scc1 .LBB35_8
; %bb.7:                                ;   in Loop: Header=BB35_6 Depth=1
	s_add_i32 s0, s55, 64
	s_ashr_i32 s1, s0, 31
	s_add_u32 s0, s53, s0
	s_addc_u32 s1, s52, s1
	s_lshl_b64 s[0:1], s[0:1], 8
	s_add_u32 s20, s6, s0
	s_addc_u32 s21, s7, s1
.LBB35_8:                               ;   in Loop: Header=BB35_6 Depth=1
	v_cndmask_b32_e64 v2, 0, 1, s[40:41]
	v_cmp_ne_u32_e64 s[0:1], 1, v2
	s_andn2_b64 vcc, exec, s[40:41]
	s_cbranch_vccnz .LBB35_10
; %bb.9:                                ;   in Loop: Header=BB35_6 Depth=1
	s_add_i32 s24, s55, 64
	s_mul_hi_i32 s25, s24, s14
	s_mul_i32 s24, s24, s14
	s_add_u32 s24, s24, s51
	s_addc_u32 s25, s25, s56
	s_lshl_b64 s[24:25], s[24:25], 8
	s_add_u32 s24, s4, s24
	s_addc_u32 s25, s5, s25
.LBB35_10:                              ;   in Loop: Header=BB35_6 Depth=1
	v_perm_b32 v3, v67, v66, s3
	v_perm_b32 v2, v63, v62, s3
	v_perm_b32 v5, v65, v64, s3
	v_perm_b32 v4, v61, v60, s3
	ds_write_b64 v90, v[2:3]
	ds_write_b64 v91, v[4:5]
	ds_write_b64 v96, v[2:3]
	ds_write_b64 v97, v[4:5]
	v_perm_b32 v3, v59, v58, s3
	v_perm_b32 v2, v55, v54, s3
	v_perm_b32 v5, v57, v56, s3
	v_perm_b32 v4, v53, v52, s3
	ds_write_b64 v92, v[2:3]
	ds_write_b64 v93, v[4:5]
	ds_write_b64 v98, v[2:3]
	ds_write_b64 v99, v[4:5]
	;; [unrolled: 8-line block ×4, first 2 shown]
	s_waitcnt lgkmcnt(0)
	s_barrier
	ds_read_b64 v[6:7], v106 offset:49152
	ds_read2_b64 v[2:5], v107 offset1:16
	ds_read_b64 v[18:19], v109 offset:6144
	ds_read_b64 v[20:21], v107 offset:6144
	s_waitcnt lgkmcnt(2)
	v_mfma_f32_16x16x16_bf16 a[0:3], v[6:7], v[2:3], 0
	ds_read_b64 v[22:23], v108 offset:49152
	ds_read2st64_b64 v[10:13], v110 offset0:4 offset1:8
	ds_read2st64_b64 v[14:17], v111 offset0:4 offset1:8
	v_mfma_f32_16x16x16_bf16 a[4:7], v[6:7], v[4:5], 0
	ds_read2_b64 v[2:5], v107 offset0:32 offset1:48
	s_add_i32 s27, s55, 63
	s_ashr_i32 s40, s27, 31
	s_waitcnt lgkmcnt(0)
	v_mfma_f32_16x16x16_bf16 a[8:11], v[6:7], v[2:3], 0
	s_mul_i32 s41, s27, s31
	s_mul_hi_u32 s62, s27, s30
	s_add_i32 s41, s62, s41
	v_mfma_f32_16x16x16_bf16 a[12:15], v[6:7], v[4:5], 0
	ds_read2st64_b64 v[2:5], v107 offset0:4 offset1:8
	ds_read2st64_b64 v[6:9], v109 offset0:4 offset1:8
	s_mul_i32 s40, s40, s30
	s_waitcnt lgkmcnt(1)
	v_mfma_f32_16x16x16_bf16 a[0:3], v[22:23], v[2:3], a[0:3]
	s_add_i32 s41, s41, s40
	s_mul_i32 s40, s27, s30
	s_lshl_b64 s[40:41], s[40:41], 2
	s_waitcnt lgkmcnt(0)
	v_mfma_f32_16x16x16_bf16 a[4:7], v[22:23], v[6:7], a[4:7]
	s_add_u32 s40, s16, s40
	s_addc_u32 s41, s17, s41
	s_and_b64 vcc, exec, s[0:1]
	v_mfma_f32_16x16x16_bf16 a[8:11], v[22:23], v[10:11], a[8:11]
	ds_read_b64 v[2:3], v112 offset:49152
	ds_read_b64 v[6:7], v113 offset:49152
	;; [unrolled: 1-line block ×3, first 2 shown]
	v_mov_b32_e32 v135, 0
	v_mov_b32_e32 v134, 0
	v_mfma_f32_16x16x16_bf16 a[12:15], v[22:23], v[14:15], a[12:15]
	v_mov_b32_e32 v133, 0
	v_mov_b32_e32 v14, 0
	;; [unrolled: 1-line block ×3, first 2 shown]
	s_waitcnt lgkmcnt(2)
	v_mfma_f32_16x16x16_bf16 a[0:3], v[2:3], v[4:5], a[0:3]
	v_mov_b32_e32 v4, 0
	v_mov_b32_e32 v5, 0
	v_mfma_f32_16x16x16_bf16 a[16:19], v[2:3], v[8:9], a[4:7]
	v_mov_b32_e32 v8, 0
	v_mov_b32_e32 v9, 0
	v_mfma_f32_16x16x16_bf16 a[20:23], v[2:3], v[12:13], a[8:11]
	v_mov_b32_e32 v12, 0
	v_mov_b32_e32 v13, 0
	v_mfma_f32_16x16x16_bf16 a[24:27], v[2:3], v[16:17], a[12:15]
	ds_read_b64 v[2:3], v110 offset:6144
	v_mov_b32_e32 v16, 0
	v_mov_b32_e32 v17, 0
	s_waitcnt lgkmcnt(2)
	v_mfma_f32_16x16x16_bf16 a[4:7], v[6:7], v[20:21], a[0:3]
	v_mfma_f32_16x16x16_bf16 a[8:11], v[6:7], v[18:19], a[16:19]
	s_waitcnt lgkmcnt(0)
	v_mfma_f32_16x16x16_bf16 a[12:15], v[6:7], v[2:3], a[20:23]
	v_mov_b32_e32 v2, 0
	v_mov_b32_e32 v3, 0
	v_mfma_f32_16x16x16_bf16 a[0:3], v[6:7], v[10:11], a[24:27]
	v_mov_b32_e32 v6, 0
	v_mov_b32_e32 v7, 0
	;; [unrolled: 1-line block ×4, first 2 shown]
	s_cbranch_vccnz .LBB35_12
; %bb.11:                               ;   in Loop: Header=BB35_6 Depth=1
	s_and_b32 s21, s21, 0xffff
	buffer_load_dwordx4 v[14:17], v86, s[20:23], 0 offen
	buffer_load_dwordx4 v[10:13], v86, s[20:23], s57 offen
	;; [unrolled: 1-line block ×4, first 2 shown]
	v_mov_b32_e32 v134, v88
	v_mov_b32_e32 v133, v89
.LBB35_12:                              ;   in Loop: Header=BB35_6 Depth=1
	ds_read_b64 v[30:31], v106 offset:57344
	ds_read2_b64 v[18:21], v114 offset1:16
	ds_read_b64 v[136:137], v108 offset:57344
	ds_read_b64 v[138:139], v112 offset:57344
	;; [unrolled: 1-line block ×3, first 2 shown]
	v_add_u32_e32 v32, s55, v82
	s_waitcnt lgkmcnt(3)
	v_mfma_f32_16x16x16_bf16 a[4:7], v[30:31], v[18:19], a[4:7]
	v_mfma_f32_16x16x16_bf16 a[8:11], v[30:31], v[20:21], a[8:11]
	ds_read2_b64 v[18:21], v114 offset0:32 offset1:48
	ds_read2st64_b64 v[22:25], v114 offset0:4 offset1:8
	ds_read2st64_b64 v[26:29], v115 offset0:4 offset1:8
	s_waitcnt lgkmcnt(2)
	v_mfma_f32_16x16x16_bf16 a[12:15], v[30:31], v[18:19], a[12:15]
	v_ashrrev_i32_e32 v18, 31, v32
	v_mul_lo_u32 v33, v18, s30
	v_mad_u64_u32 v[18:19], s[20:21], v32, s30, 0
	v_mfma_f32_16x16x16_bf16 a[0:3], v[30:31], v[20:21], a[0:3]
	v_mul_lo_u32 v20, v32, s31
	v_add3_u32 v19, v19, v20, v33
	v_add_u32_e32 v20, 1, v32
	v_ashrrev_i32_e32 v21, 31, v20
	s_waitcnt lgkmcnt(1)
	v_mfma_f32_16x16x16_bf16 a[4:7], v[136:137], v[22:23], a[4:7]
	v_mul_lo_u32 v22, v21, s30
	v_mul_lo_u32 v23, v20, s31
	v_mad_u64_u32 v[20:21], s[20:21], v20, s30, 0
	v_add3_u32 v21, v21, v23, v22
	v_add_u32_e32 v22, 2, v32
	v_ashrrev_i32_e32 v23, 31, v22
	v_mul_lo_u32 v30, v23, s30
	v_mul_lo_u32 v31, v22, s31
	v_mad_u64_u32 v[22:23], s[20:21], v22, s30, 0
	v_add3_u32 v23, v23, v31, v30
	v_add_u32_e32 v30, 3, v32
	v_ashrrev_i32_e32 v31, 31, v30
	v_mul_lo_u32 v32, v31, s30
	v_mul_lo_u32 v33, v30, s31
	v_mad_u64_u32 v[30:31], s[20:21], v30, s30, 0
	s_ashr_i32 s21, s55, 31
	s_add_u32 s20, s53, s55
	s_addc_u32 s21, s52, s21
	v_lshl_add_u64 v[18:19], v[18:19], 2, s[16:17]
	v_add3_u32 v31, v31, v33, v32
	s_lshl_b64 s[20:21], s[20:21], 8
	v_lshl_add_u64 v[20:21], v[20:21], 2, s[16:17]
	v_lshl_add_u64 v[22:23], v[22:23], 2, s[16:17]
	v_lshl_add_u64 v[30:31], v[30:31], 2, s[16:17]
	global_load_dword v142, v[18:19], off
	global_load_dword v143, v[20:21], off
	;; [unrolled: 1-line block ×4, first 2 shown]
	v_lshl_add_u64 v[18:19], v[70:71], 0, s[20:21]
	v_lshl_add_u64 v[22:23], v[18:19], 0, v[68:69]
	global_load_ushort v146, v[22:23], off offset:256
	global_load_ushort v147, v[22:23], off
	ds_read2st64_b64 v[18:21], v116 offset0:4 offset1:8
	global_load_ushort v148, v[22:23], off offset:768
	global_load_ushort v149, v[22:23], off offset:512
	ds_read2st64_b64 v[30:33], v117 offset0:4 offset1:8
	global_load_ushort v150, v[22:23], off offset:288
	global_load_ushort v151, v[22:23], off offset:32
	;; [unrolled: 1-line block ×4, first 2 shown]
	s_waitcnt lgkmcnt(2)
	v_mfma_f32_16x16x16_bf16 a[8:11], v[136:137], v[26:27], a[8:11]
	global_load_ushort v154, v[22:23], off offset:320
	global_load_ushort v155, v[22:23], off offset:64
	;; [unrolled: 1-line block ×4, first 2 shown]
	s_and_b64 vcc, exec, s[0:1]
	s_waitcnt lgkmcnt(1)
	v_mfma_f32_16x16x16_bf16 a[12:15], v[136:137], v[18:19], a[12:15]
	ds_read_b64 v[18:19], v114 offset:6144
	s_waitcnt lgkmcnt(1)
	v_mfma_f32_16x16x16_bf16 a[0:3], v[136:137], v[30:31], a[0:3]
	v_lshl_add_u64 v[30:31], v[72:73], 0, s[20:21]
	v_lshl_add_u64 v[30:31], v[30:31], 0, v[68:69]
	v_mfma_f32_16x16x16_bf16 a[4:7], v[138:139], v[24:25], a[4:7]
	v_mfma_f32_16x16x16_bf16 a[8:11], v[138:139], v[28:29], a[8:11]
	;; [unrolled: 1-line block ×4, first 2 shown]
	global_load_ushort v138, v[22:23], off offset:352
	global_load_ushort v139, v[22:23], off offset:96
	ds_read_b64 v[20:21], v115 offset:6144
	ds_read_b64 v[24:25], v116 offset:6144
	;; [unrolled: 1-line block ×3, first 2 shown]
	s_load_dword s40, s[40:41], 0x0
	global_load_ushort v158, v[22:23], off offset:864
	global_load_ushort v159, v[22:23], off offset:608
	s_waitcnt lgkmcnt(0)
	v_mfma_f32_16x16x16_bf16 a[4:7], v[140:141], v[18:19], a[4:7]
	s_waitcnt vmcnt(17)
	v_sub_f32_e32 v28, s40, v144
	v_mfma_f32_16x16x16_bf16 a[0:3], v[140:141], v[26:27], a[0:3]
	v_sub_f32_e32 v26, s40, v142
	v_sub_f32_e32 v27, s40, v143
	s_waitcnt vmcnt(16)
	v_sub_f32_e32 v29, s40, v145
	v_mfma_f32_16x16x16_bf16 a[8:11], v[140:141], v[20:21], a[8:11]
	v_exp_f32_e32 v26, v26
	v_exp_f32_e32 v27, v27
	;; [unrolled: 1-line block ×4, first 2 shown]
	v_accvgpr_read_b32 v137, a5
	s_waitcnt vmcnt(15)
	v_lshlrev_b32_e32 v33, 16, v146
	s_waitcnt vmcnt(14)
	v_lshlrev_b32_e32 v32, 16, v147
	v_accvgpr_read_b32 v136, a4
	v_accvgpr_read_b32 v19, a7
	;; [unrolled: 1-line block ×3, first 2 shown]
	v_pk_add_f32 v[32:33], v[32:33], v[136:137] neg_lo:[0,1] neg_hi:[0,1]
	s_waitcnt vmcnt(13)
	v_lshlrev_b32_e32 v137, 16, v148
	s_waitcnt vmcnt(12)
	v_lshlrev_b32_e32 v136, 16, v149
	v_pk_add_f32 v[18:19], v[136:137], v[18:19] neg_lo:[0,1] neg_hi:[0,1]
	global_store_short_d16_hi v[30:31], v32, off
	global_store_short_d16_hi v[30:31], v33, off offset:256
	global_store_short_d16_hi v[30:31], v18, off offset:512
	;; [unrolled: 1-line block ×3, first 2 shown]
	v_pk_mul_f32 v[32:33], v[26:27], v[32:33]
	v_pk_mul_f32 v[18:19], v[28:29], v[18:19]
	v_accvgpr_read_b32 v137, a9
	v_perm_b32 v32, v33, v32, s3
	v_perm_b32 v33, v19, v18, s3
	s_waitcnt vmcnt(15)
	v_lshlrev_b32_e32 v19, 16, v150
	s_waitcnt vmcnt(14)
	v_lshlrev_b32_e32 v18, 16, v151
	v_accvgpr_read_b32 v136, a8
	v_accvgpr_read_b32 v21, a11
	v_mfma_f32_16x16x16_bf16 a[12:15], v[140:141], v[24:25], a[12:15]
	v_accvgpr_read_b32 v20, a10
	v_pk_add_f32 v[18:19], v[18:19], v[136:137] neg_lo:[0,1] neg_hi:[0,1]
	s_waitcnt vmcnt(13)
	v_lshlrev_b32_e32 v137, 16, v152
	s_waitcnt vmcnt(12)
	v_lshlrev_b32_e32 v136, 16, v153
	v_pk_add_f32 v[20:21], v[136:137], v[20:21] neg_lo:[0,1] neg_hi:[0,1]
	global_store_short_d16_hi v[30:31], v18, off offset:32
	global_store_short_d16_hi v[30:31], v19, off offset:288
	;; [unrolled: 1-line block ×4, first 2 shown]
	v_pk_mul_f32 v[18:19], v[26:27], v[18:19]
	v_pk_mul_f32 v[20:21], v[28:29], v[20:21]
	v_accvgpr_read_b32 v23, a15
	v_perm_b32 v21, v21, v20, s3
	v_perm_b32 v20, v19, v18, s3
	ds_write2_b64 v91, v[32:33], v[20:21] offset1:16
	v_accvgpr_read_b32 v21, a13
	s_waitcnt vmcnt(15)
	v_lshlrev_b32_e32 v19, 16, v154
	s_waitcnt vmcnt(14)
	v_lshlrev_b32_e32 v18, 16, v155
	v_accvgpr_read_b32 v20, a12
	v_accvgpr_read_b32 v22, a14
	v_pk_add_f32 v[18:19], v[18:19], v[20:21] neg_lo:[0,1] neg_hi:[0,1]
	s_waitcnt vmcnt(13)
	v_lshlrev_b32_e32 v21, 16, v156
	s_waitcnt vmcnt(12)
	v_lshlrev_b32_e32 v20, 16, v157
	v_pk_add_f32 v[20:21], v[20:21], v[22:23] neg_lo:[0,1] neg_hi:[0,1]
	global_store_short_d16_hi v[30:31], v18, off offset:64
	global_store_short_d16_hi v[30:31], v19, off offset:320
	;; [unrolled: 1-line block ×4, first 2 shown]
	v_pk_mul_f32 v[18:19], v[26:27], v[18:19]
	v_pk_mul_f32 v[20:21], v[28:29], v[20:21]
	v_accvgpr_read_b32 v23, a1
	v_perm_b32 v18, v19, v18, s3
	v_perm_b32 v19, v21, v20, s3
	s_waitcnt vmcnt(15)
	v_lshlrev_b32_e32 v21, 16, v138
	s_waitcnt vmcnt(14)
	v_lshlrev_b32_e32 v20, 16, v139
	v_accvgpr_read_b32 v22, a0
	v_accvgpr_read_b32 v25, a3
	;; [unrolled: 1-line block ×3, first 2 shown]
	v_pk_add_f32 v[20:21], v[20:21], v[22:23] neg_lo:[0,1] neg_hi:[0,1]
	s_waitcnt vmcnt(13)
	v_lshlrev_b32_e32 v23, 16, v158
	s_waitcnt vmcnt(12)
	v_lshlrev_b32_e32 v22, 16, v159
	v_pk_add_f32 v[22:23], v[22:23], v[24:25] neg_lo:[0,1] neg_hi:[0,1]
	global_store_short_d16_hi v[30:31], v20, off offset:96
	global_store_short_d16_hi v[30:31], v21, off offset:352
	;; [unrolled: 1-line block ×4, first 2 shown]
	v_pk_mul_f32 v[20:21], v[26:27], v[20:21]
	v_pk_mul_f32 v[22:23], v[28:29], v[22:23]
	v_mov_b32_e32 v136, 0
	v_perm_b32 v23, v23, v22, s3
	v_perm_b32 v22, v21, v20, s3
	ds_write2_b64 v91, v[18:19], v[22:23] offset0:32 offset1:48
	v_mov_b32_e32 v18, 0
	v_mov_b32_e32 v19, 0
	;; [unrolled: 1-line block ×16, first 2 shown]
	s_cbranch_vccnz .LBB35_14
; %bb.13:                               ;   in Loop: Header=BB35_6 Depth=1
	s_and_b32 s25, s25, 0xffff
	s_mov_b32 s27, s23
	buffer_load_dwordx4 v[30:33], v128, s[24:27], 0 offen
	buffer_load_dwordx4 v[22:25], v128, s[24:27], s57 offen
	;; [unrolled: 1-line block ×4, first 2 shown]
	v_mov_b32_e32 v135, v85
	v_mov_b32_e32 v136, v84
.LBB35_14:                              ;   in Loop: Header=BB35_6 Depth=1
	s_waitcnt lgkmcnt(0)
	s_barrier
	ds_read_b64 v[146:147], v35
	ds_read2_b64 v[138:141], v121 offset1:16
	ds_read_b64 v[162:163], v130
	ds_read_b64 v[164:165], v131
	;; [unrolled: 1-line block ×3, first 2 shown]
	ds_read2_b64 v[142:145], v121 offset0:32 offset1:48
	s_waitcnt lgkmcnt(4)
	v_mfma_f32_16x16x16_bf16 a[0:3], v[146:147], v[138:139], 0
	ds_read2st64_b64 v[150:153], v123 offset0:4 offset1:8
	ds_read2st64_b64 v[154:157], v124 offset0:4 offset1:8
	;; [unrolled: 1-line block ×3, first 2 shown]
	v_mfma_f32_16x16x16_bf16 a[4:7], v[146:147], v[140:141], 0
	s_add_i32 s20, s54, s60
	s_mul_hi_i32 s21, s20, s13
	s_mul_i32 s20, s20, s13
	s_waitcnt lgkmcnt(3)
	v_mfma_f32_16x16x16_bf16 a[8:11], v[146:147], v[142:143], 0
	s_add_u32 s20, s20, s47
	s_addc_u32 s21, s21, s48
	s_lshl_b64 s[20:21], s[20:21], 15
	v_mfma_f32_16x16x16_bf16 a[12:15], v[146:147], v[144:145], 0
	ds_read2st64_b64 v[146:149], v121 offset0:4 offset1:8
	s_waitcnt lgkmcnt(0)
	v_mfma_f32_16x16x16_bf16 a[0:3], v[162:163], v[146:147], a[0:3]
	v_mfma_f32_16x16x16_bf16 a[4:7], v[162:163], v[150:151], a[4:7]
	;; [unrolled: 1-line block ×8, first 2 shown]
	ds_read_b64 v[162:163], v121 offset:6144
	ds_read_b64 v[164:165], v122 offset:40960
	;; [unrolled: 1-line block ×8, first 2 shown]
	s_waitcnt lgkmcnt(5)
	v_mfma_f32_16x16x16_bf16 a[16:19], v[168:169], v[138:139], 0
	v_mfma_f32_16x16x16_bf16 a[20:23], v[168:169], v[140:141], 0
	ds_read2st64_b64 v[138:141], v118 offset1:8
	v_mfma_f32_16x16x16_bf16 a[24:27], v[168:169], v[142:143], 0
	v_mfma_f32_16x16x16_bf16 a[28:31], v[168:169], v[144:145], 0
	ds_read2st64_b64 v[142:145], v119 offset1:8
	v_mfma_f32_16x16x16_bf16 a[16:19], v[164:165], v[146:147], a[16:19]
	s_waitcnt lgkmcnt(1)
	v_mov_b32_e32 v146, v138
	v_mov_b32_e32 v147, v139
	v_mfma_f32_16x16x16_bf16 a[20:23], v[164:165], v[150:151], a[20:23]
	v_lshl_add_u64 v[150:151], v[74:75], 0, s[20:21]
	v_mfma_f32_16x16x16_bf16 a[24:27], v[164:165], v[154:155], a[24:27]
	v_mfma_f32_16x16x16_bf16 a[28:31], v[164:165], v[158:159], a[28:31]
	;; [unrolled: 1-line block ×3, first 2 shown]
	s_waitcnt lgkmcnt(0)
	v_mov_b32_e32 v148, v142
	v_mov_b32_e32 v149, v143
	;; [unrolled: 1-line block ×3, first 2 shown]
	v_mfma_f32_16x16x16_bf16 a[32:35], v[176:177], v[152:153], a[20:23]
	v_mov_b32_e32 v143, v141
	ds_read2st64_b64 v[138:141], v118 offset0:16 offset1:24
	global_store_dwordx4 v[150:151], v[146:149], off
	v_mfma_f32_16x16x16_bf16 a[24:27], v[176:177], v[156:157], a[24:27]
	ds_read2st64_b64 v[146:149], v119 offset0:16 offset1:24
	v_add_co_u32_e32 v152, vcc, s37, v150
	v_mfma_f32_16x16x16_bf16 a[28:31], v[176:177], v[160:161], a[28:31]
	s_nop 0
	v_addc_co_u32_e32 v153, vcc, 0, v151, vcc
	global_store_dwordx4 v[152:153], v[142:145], off offset:-4096
	v_mfma_f32_16x16x16_bf16 a[0:3], v[166:167], v[162:163], a[0:3]
	s_waitcnt lgkmcnt(1)
	v_mov_b32_e32 v142, v138
	v_add_co_u32_e32 v138, vcc, s39, v150
	v_mfma_f32_16x16x16_bf16 a[4:7], v[166:167], v[170:171], a[4:7]
	v_mov_b32_e32 v143, v139
	v_addc_co_u32_e32 v139, vcc, 0, v151, vcc
	v_mfma_f32_16x16x16_bf16 a[8:11], v[166:167], v[172:173], a[8:11]
	s_waitcnt lgkmcnt(0)
	v_mov_b32_e32 v144, v146
	v_mov_b32_e32 v145, v147
	;; [unrolled: 1-line block ×3, first 2 shown]
	v_mfma_f32_16x16x16_bf16 a[12:15], v[166:167], v[174:175], a[12:15]
	v_mov_b32_e32 v147, v141
	s_and_b64 vcc, exec, s[0:1]
	global_store_dwordx4 v[152:153], v[142:145], off
	v_mfma_f32_16x16x16_bf16 a[20:23], v[178:179], v[162:163], a[16:19]
	global_store_dwordx4 v[138:139], v[146:149], off
	v_mfma_f32_16x16x16_bf16 a[16:19], v[178:179], v[170:171], a[32:35]
	v_mfma_f32_16x16x16_bf16 a[24:27], v[178:179], v[172:173], a[24:27]
	;; [unrolled: 1-line block ×3, first 2 shown]
	s_cbranch_vccnz .LBB35_16
; %bb.15:                               ;   in Loop: Header=BB35_6 Depth=1
	v_lshrrev_b32_e32 v137, 3, v135
	v_and_b32_e32 v137, 6, v137
	v_xor_b32_e32 v136, v137, v136
	v_lshlrev_b32_e32 v136, 2, v136
	v_and_b32_e32 v135, 8, v135
	v_xor_b32_e32 v138, 0x440, v136
	v_cmp_eq_u32_e32 vcc, 0, v135
	s_barrier
	s_nop 0
	v_cndmask_b32_e32 v135, v138, v136, vcc
	v_lshl_or_b32 v135, v137, 10, v135
	s_waitcnt vmcnt(5)
	v_perm_b32 v136, v30, v26, s58
	s_waitcnt vmcnt(4)
	v_perm_b32 v137, v22, v18, s58
	ds_write2st64_b32 v135, v136, v137 offset0:128 offset1:160
	v_xor_b32_e32 v136, 8, v135
	v_perm_b32 v26, v30, v26, s59
	v_perm_b32 v18, v22, v18, s59
	v_add_u32_e32 v22, 0x80, v136
	ds_write2st64_b32 v22, v26, v18 offset0:128 offset1:160
	v_xor_b32_e32 v18, 16, v135
	v_perm_b32 v22, v31, v27, s58
	v_perm_b32 v26, v23, v19, s58
	ds_write2st64_b32 v18, v22, v26 offset0:129 offset1:161
	v_xor_b32_e32 v18, 24, v135
	v_perm_b32 v22, v31, v27, s59
	v_perm_b32 v19, v23, v19, s59
	v_add_u32_e32 v18, 0x80, v18
	ds_write2st64_b32 v18, v22, v19 offset0:129 offset1:161
	v_xor_b32_e32 v18, 32, v135
	v_perm_b32 v19, v32, v28, s58
	;; [unrolled: 9-line block ×3, first 2 shown]
	v_perm_b32 v20, v25, v21, s58
	ds_write2st64_b32 v18, v19, v20 offset0:131 offset1:163
	v_xor_b32_e32 v18, 56, v135
	v_perm_b32 v19, v33, v29, s59
	v_perm_b32 v20, v25, v21, s59
	v_add_u32_e32 v18, 0x80, v18
	ds_write2st64_b32 v18, v19, v20 offset0:131 offset1:163
	ds_write_b64 v134, v[14:15] offset:49152
	v_xor_b32_e32 v14, 8, v134
	ds_write_b64 v14, v[16:17] offset:49152
	ds_write_b64 v134, v[10:11] offset:57344
	;; [unrolled: 1-line block ×4, first 2 shown]
	v_xor_b32_e32 v6, 8, v133
	ds_write_b64 v6, v[8:9] offset:49152
	ds_write_b64 v133, v[2:3] offset:57344
	;; [unrolled: 1-line block ×3, first 2 shown]
.LBB35_16:                              ;   in Loop: Header=BB35_6 Depth=1
	v_exp_f32_e32 v134, s40
	v_accvgpr_read_b32 v5, a3
	v_accvgpr_read_b32 v9, a7
	;; [unrolled: 1-line block ×4, first 2 shown]
	s_waitcnt vmcnt(4)
	v_accvgpr_read_b32 v18, a20
	v_accvgpr_read_b32 v25, a19
	;; [unrolled: 1-line block ×28, first 2 shown]
	s_add_i32 s55, s55, 64
	v_pk_fma_f32 v[62:63], v[62:63], v[134:135], v[2:3] op_sel_hi:[1,0,1]
	v_pk_fma_f32 v[66:67], v[66:67], v[134:135], v[4:5] op_sel_hi:[1,0,1]
	v_pk_fma_f32 v[54:55], v[54:55], v[134:135], v[6:7] op_sel_hi:[1,0,1]
	v_pk_fma_f32 v[58:59], v[58:59], v[134:135], v[8:9] op_sel_hi:[1,0,1]
	v_pk_fma_f32 v[46:47], v[46:47], v[134:135], v[10:11] op_sel_hi:[1,0,1]
	v_pk_fma_f32 v[50:51], v[50:51], v[134:135], v[12:13] op_sel_hi:[1,0,1]
	v_pk_fma_f32 v[38:39], v[38:39], v[134:135], v[14:15] op_sel_hi:[1,0,1]
	v_pk_fma_f32 v[42:43], v[42:43], v[134:135], v[16:17] op_sel_hi:[1,0,1]
	v_pk_fma_f32 v[60:61], v[60:61], v[134:135], v[18:19] op_sel_hi:[1,0,1]
	v_pk_fma_f32 v[64:65], v[64:65], v[134:135], v[20:21] op_sel_hi:[1,0,1]
	v_pk_fma_f32 v[52:53], v[52:53], v[134:135], v[22:23] op_sel_hi:[1,0,1]
	v_pk_fma_f32 v[56:57], v[56:57], v[134:135], v[24:25] op_sel_hi:[1,0,1]
	v_pk_fma_f32 v[44:45], v[44:45], v[134:135], v[26:27] op_sel_hi:[1,0,1]
	v_pk_fma_f32 v[48:49], v[48:49], v[134:135], v[28:29] op_sel_hi:[1,0,1]
	v_pk_fma_f32 v[36:37], v[36:37], v[134:135], v[30:31] op_sel_hi:[1,0,1]
	s_cmp_eq_u32 s49, s61
	v_pk_fma_f32 v[40:41], v[40:41], v[134:135], v[32:33] op_sel_hi:[1,0,1]
	s_cbranch_scc1 .LBB35_18
; %bb.17:                               ;   in Loop: Header=BB35_6 Depth=1
	s_mov_b32 s60, s61
	s_branch .LBB35_6
.LBB35_18:
	s_lshl_b32 s26, s49, 6
	s_sub_i32 s27, s50, s26
	s_cmp_gt_i32 s27, 0
	s_cbranch_scc0 .LBB35_99
; %bb.19:
	s_add_i32 s26, s26, s34
	s_ashr_i32 s3, s26, 31
	s_cmpk_lg_i32 s15, 0x80
	s_cselect_b64 s[22:23], -1, 0
	s_and_b64 vcc, exec, s[22:23]
	s_cbranch_vccz .LBB35_21
; %bb.20:
	s_mul_hi_i32 s0, s26, s14
	s_mul_i32 s1, s26, s14
	s_ashr_i32 s14, s51, 31
	s_add_u32 s24, s1, s51
	s_addc_u32 s25, s0, s14
	s_cbranch_execz .LBB35_22
	s_branch .LBB35_23
.LBB35_21:
                                        ; implicit-def: $sgpr24_sgpr25
.LBB35_22:
	s_mul_i32 s1, s51, s12
	s_mul_hi_i32 s0, s51, s12
	s_add_u32 s24, s1, s26
	s_addc_u32 s25, s0, s3
.LBB35_23:
	s_add_i32 s12, s49, s54
	s_add_u32 s0, s53, s26
	v_lshlrev_b32_e32 v6, 6, v82
	v_lshlrev_b32_e32 v24, 2, v79
	s_addc_u32 s1, s52, s3
	s_mov_b32 s3, 0x7060302
	v_or_b32_e32 v9, v6, v24
	v_xor_b32_e32 v7, v82, v24
	v_perm_b32 v3, v67, v66, s3
	v_perm_b32 v2, v63, v62, s3
	;; [unrolled: 1-line block ×4, first 2 shown]
	v_lshlrev_b32_e32 v9, 1, v9
	v_xor_b32_e32 v8, v83, v24
	ds_write2st64_b64 v9, v[2:3], v[4:5] offset0:32 offset1:48
	v_lshlrev_b32_e32 v7, 1, v7
	v_lshlrev_b32_e32 v9, 8, v79
	v_or_b32_e32 v10, v7, v9
	v_lshlrev_b32_e32 v8, 1, v8
	ds_write_b64 v10, v[2:3]
	v_or_b32_e32 v2, v8, v9
	v_or_b32_e32 v9, 16, v79
	v_lshlrev_b32_e32 v23, 2, v9
	v_or_b32_e32 v10, v6, v23
	ds_write_b64 v2, v[4:5]
	v_perm_b32 v3, v59, v58, s3
	v_perm_b32 v2, v55, v54, s3
	;; [unrolled: 1-line block ×4, first 2 shown]
	v_lshlrev_b32_e32 v10, 1, v10
	v_lshlrev_b32_e32 v9, 8, v9
	ds_write2st64_b64 v10, v[2:3], v[4:5] offset0:32 offset1:48
	v_or_b32_e32 v10, v7, v9
	ds_write_b64 v10, v[2:3]
	v_or_b32_e32 v2, v8, v9
	v_or_b32_e32 v9, 32, v79
	v_lshlrev_b32_e32 v22, 2, v9
	v_or_b32_e32 v10, v6, v22
	ds_write_b64 v2, v[4:5]
	v_perm_b32 v3, v51, v50, s3
	v_perm_b32 v2, v47, v46, s3
	;; [unrolled: 1-line block ×4, first 2 shown]
	v_lshlrev_b32_e32 v10, 1, v10
	v_lshlrev_b32_e32 v9, 8, v9
	s_lshl_b64 s[20:21], s[0:1], 8
	ds_write2st64_b64 v10, v[2:3], v[4:5] offset0:32 offset1:48
	v_or_b32_e32 v10, v7, v9
	s_add_u32 s0, s6, s20
	ds_write_b64 v10, v[2:3]
	v_or_b32_e32 v2, v8, v9
	s_addc_u32 s1, s7, s21
	ds_write_b64 v2, v[4:5]
	v_perm_b32 v3, v43, v42, s3
	v_perm_b32 v2, v39, v38, s3
	;; [unrolled: 1-line block ×4, first 2 shown]
	v_or_b32_e32 v9, 48, v79
	s_mul_hi_i32 s3, s12, s13
	s_mul_i32 s12, s12, s13
	v_lshlrev_b32_e32 v19, 2, v9
	s_add_u32 s6, s12, s47
	v_or_b32_e32 v6, v6, v19
	s_addc_u32 s7, s3, s48
	v_lshlrev_b32_e32 v6, 1, v6
	s_ashr_i32 s3, s2, 31
	s_lshl_b64 s[6:7], s[6:7], 15
	ds_write2st64_b64 v6, v[2:3], v[4:5] offset0:32 offset1:48
	v_lshlrev_b32_e32 v6, 8, v9
	s_add_u32 s6, s18, s6
	v_or_b32_e32 v7, v7, v6
	s_addc_u32 s7, s19, s7
	s_lshl_b64 s[2:3], s[2:3], 8
	ds_write_b64 v7, v[2:3]
	v_or_b32_e32 v2, v8, v6
	s_add_u32 s2, s6, s2
	v_lshlrev_b32_e32 v3, 1, v79
	ds_write_b64 v2, v[4:5]
	v_lshrrev_b32_e32 v2, 4, v0
	s_addc_u32 s3, s7, s3
	v_or_b32_e32 v4, 1, v3
	v_lshlrev_b32_e32 v10, 4, v79
	v_mov_b32_e32 v11, 0
	v_xor_b32_e32 v3, v2, v3
	v_xor_b32_e32 v6, v4, v2
	v_lshl_add_u64 v[12:13], s[2:3], 0, v[10:11]
	v_lshlrev_b32_e32 v10, 8, v2
	v_lshl_or_b32 v16, v3, 3, v10
	v_lshl_or_b32 v17, v6, 3, v10
	s_waitcnt lgkmcnt(0)
	s_barrier
	ds_read2st64_b64 v[2:5], v16 offset1:8
	ds_read2st64_b64 v[6:9], v17 offset1:8
	v_lshl_add_u64 v[14:15], v[12:13], 0, v[10:11]
	s_movk_i32 s2, 0x2000
	s_cmp_lg_u32 s27, 64
	s_waitcnt lgkmcnt(1)
	v_mov_b32_e32 v10, v2
	v_mov_b32_e32 v11, v3
	s_waitcnt lgkmcnt(0)
	v_mov_b32_e32 v12, v6
	v_mov_b32_e32 v13, v7
	global_store_dwordx4 v[14:15], v[10:13], off
	v_mov_b32_e32 v6, v4
	v_mov_b32_e32 v7, v5
	ds_read2st64_b64 v[2:5], v16 offset0:16 offset1:24
	ds_read2st64_b64 v[10:13], v17 offset0:16 offset1:24
	v_add_co_u32_e32 v16, vcc, s2, v14
	s_cselect_b64 s[6:7], -1, 0
	s_nop 0
	v_addc_co_u32_e32 v17, vcc, 0, v15, vcc
	global_store_dwordx4 v[16:17], v[6:9], off offset:-4096
	v_lshl_or_b32 v25, v77, 3, v81
	s_mov_b32 s16, 0
	s_waitcnt lgkmcnt(1)
	v_mov_b32_e32 v6, v2
	v_add_co_u32_e32 v2, vcc, 0x3000, v14
	v_mov_b32_e32 v7, v3
	s_nop 0
	v_addc_co_u32_e32 v3, vcc, 0, v15, vcc
	s_waitcnt lgkmcnt(0)
	v_mov_b32_e32 v8, v10
	v_mov_b32_e32 v9, v11
	;; [unrolled: 1-line block ×4, first 2 shown]
	v_or_b32_e32 v20, 32, v25
	v_and_b32_e32 v18, 56, v80
	s_and_b64 vcc, exec, s[6:7]
	global_store_dwordx4 v[16:17], v[6:9], off
	global_store_dwordx4 v[2:3], v[10:13], off
	s_cbranch_vccz .LBB35_29
; %bb.24:
	s_mov_b32 s17, s16
	s_mov_b32 s18, s16
	s_mov_b32 s19, s16
	v_mov_b64_e32 v[6:7], s[16:17]
	v_mov_b64_e32 v[8:9], s[18:19]
	;; [unrolled: 1-line block ×3, first 2 shown]
	v_cmp_gt_i32_e32 vcc, s27, v25
	v_mov_b64_e32 v[4:5], v[8:9]
	s_and_saveexec_b64 s[2:3], vcc
	s_cbranch_execz .LBB35_26
; %bb.25:
	v_lshlrev_b32_e32 v2, 8, v25
	v_mov_b32_e32 v3, 0
	v_lshl_add_u64 v[4:5], s[0:1], 0, v[2:3]
	v_lshlrev_b32_e32 v2, 1, v18
	v_lshl_add_u64 v[10:11], v[4:5], 0, v[2:3]
	global_load_dwordx4 v[6:9], v[10:11], off
	global_load_dwordx4 v[2:5], v[10:11], off offset:128
.LBB35_26:
	s_or_b64 exec, exec, s[2:3]
	s_mov_b32 s17, s16
	s_mov_b32 s18, s16
	;; [unrolled: 1-line block ×3, first 2 shown]
	v_mov_b64_e32 v[14:15], s[16:17]
	v_mov_b64_e32 v[16:17], s[18:19]
	;; [unrolled: 1-line block ×3, first 2 shown]
	v_cmp_gt_i32_e32 vcc, s27, v20
	v_lshlrev_b32_e32 v21, 7, v20
	v_mov_b64_e32 v[12:13], v[16:17]
	s_and_saveexec_b64 s[2:3], vcc
	s_cbranch_execz .LBB35_28
; %bb.27:
	v_lshlrev_b32_e32 v10, 1, v21
	v_mov_b32_e32 v11, 0
	v_lshl_add_u64 v[12:13], s[0:1], 0, v[10:11]
	v_lshlrev_b32_e32 v10, 1, v18
	v_lshl_add_u64 v[26:27], v[12:13], 0, v[10:11]
	global_load_dwordx4 v[14:17], v[26:27], off
	global_load_dwordx4 v[10:13], v[26:27], off offset:128
.LBB35_28:
	s_or_b64 exec, exec, s[2:3]
	v_lshrrev_b32_e32 v26, 3, v18
	v_lshlrev_b32_e32 v27, 3, v25
	v_or_b32_e32 v26, v27, v26
	v_lshlrev_b32_e32 v26, 4, v26
	v_and_b32_e32 v27, 0x78, v27
	v_xor_b32_e32 v26, v26, v27
	s_branch .LBB35_31
.LBB35_29:
                                        ; implicit-def: $vgpr26
                                        ; implicit-def: $vgpr21
                                        ; implicit-def: $vgpr6_vgpr7_vgpr8_vgpr9
                                        ; implicit-def: $vgpr2_vgpr3_vgpr4_vgpr5
                                        ; implicit-def: $vgpr14_vgpr15_vgpr16_vgpr17
                                        ; implicit-def: $vgpr10_vgpr11_vgpr12_vgpr13
	s_cbranch_execz .LBB35_31
; %bb.30:
	s_waitcnt vmcnt(0)
	v_lshlrev_b32_e32 v2, 1, v18
	v_lshl_or_b32 v21, v25, 8, v2
	s_and_b32 s1, s1, 0xffff
	s_mov_b32 s3, 0x20000
	s_movk_i32 s2, 0x4000
	v_lshl_or_b32 v26, v20, 8, v2
	s_movk_i32 s12, 0x80
	buffer_load_dwordx4 v[6:9], v21, s[0:3], 0 offen
	buffer_load_dwordx4 v[2:5], v21, s[0:3], s12 offen
	;; [unrolled: 1-line block ×4, first 2 shown]
	v_lshrrev_b32_e32 v21, 3, v18
	v_lshlrev_b32_e32 v26, 3, v25
	v_or_b32_e32 v21, v26, v21
	v_lshlrev_b32_e32 v21, 4, v21
	v_and_b32_e32 v26, 0x78, v26
	v_xor_b32_e32 v26, v21, v26
	v_lshlrev_b32_e32 v21, 7, v20
.LBB35_31:
	s_movk_i32 s0, 0x1000
	v_and_or_b32 v20, v21, s0, v26
	s_waitcnt vmcnt(1)
	ds_write_b64 v26, v[6:7] offset:49152
	v_xor_b32_e32 v6, 8, v26
	ds_write_b64 v6, v[8:9] offset:49152
	s_waitcnt vmcnt(0)
	ds_write_b64 v26, v[2:3] offset:57344
	ds_write_b64 v6, v[4:5] offset:57344
	;; [unrolled: 1-line block ×3, first 2 shown]
	v_xor_b32_e32 v2, 8, v20
	ds_write_b64 v2, v[16:17] offset:49152
	ds_write_b64 v20, v[10:11] offset:57344
	;; [unrolled: 1-line block ×3, first 2 shown]
	v_or_b32_e32 v2, v1, v79
	v_lshlrev_b32_e32 v3, 11, v77
	v_lshlrev_b32_e32 v2, 3, v2
	v_and_b32_e32 v6, 0x1000, v3
	v_lshrrev_b32_e32 v3, 5, v76
	s_movk_i32 s0, 0xf8
	v_and_or_b32 v3, v2, s0, v3
	v_lshlrev_b32_e32 v7, 4, v3
	v_and_b32_e32 v8, 0x78, v2
	v_or_b32_e32 v10, 32, v7
	v_lshrrev_b32_e32 v3, 1, v76
	v_xor_b32_e32 v10, v10, v8
	v_xor_b32_e32 v2, v7, v8
	v_and_b32_e32 v9, 8, v3
	v_or_b32_e32 v10, v10, v6
	v_or_b32_e32 v2, v2, v6
	v_xor_b32_e32 v28, v10, v9
	v_or_b32_e32 v10, 64, v7
	v_xor_b32_e32 v27, v2, v9
	v_xor_b32_e32 v10, v10, v8
	s_waitcnt lgkmcnt(0)
	s_barrier
	v_or_b32_e32 v13, v10, v6
	ds_read_b64 v[10:11], v27 offset:49152
	v_lshl_or_b32 v14, v78, 8, v24
	v_lshlrev_b32_e32 v26, 1, v14
	v_add_u32_e32 v12, 0x4000, v26
	ds_read2_b64 v[2:5], v12 offset1:16
	v_or_b32_e32 v7, 0x60, v7
	v_xor_b32_e32 v7, v7, v8
	v_or_b32_e32 v6, v7, v6
	v_xor_b32_e32 v29, v13, v9
	v_xor_b32_e32 v30, v6, v9
	ds_read_b64 v[20:21], v28 offset:49152
	ds_read_b64 v[36:37], v29 offset:49152
	ds_read_b64 v[38:39], v30 offset:49152
	s_waitcnt lgkmcnt(3)
	v_mfma_f32_16x16x16_bf16 a[0:3], v[10:11], v[2:3], 0
	ds_read2st64_b64 v[6:9], v26 offset0:36 offset1:40
	s_lshl_b64 s[0:1], s[24:25], 8
	s_add_u32 s4, s4, s0
	v_mfma_f32_16x16x16_bf16 a[4:7], v[10:11], v[4:5], 0
	ds_read2_b64 v[2:5], v12 offset0:32 offset1:48
	s_addc_u32 s5, s5, s1
	s_add_i32 s1, s42, s33
	s_waitcnt lgkmcnt(0)
	v_mfma_f32_16x16x16_bf16 a[8:11], v[10:11], v[2:3], 0
	v_or_b32_e32 v2, 64, v14
	v_lshlrev_b32_e32 v31, 1, v2
	s_add_i32 s0, s35, -1
	v_mfma_f32_16x16x16_bf16 a[12:15], v[10:11], v[4:5], 0
	ds_read2st64_b64 v[2:5], v31 offset0:36 offset1:40
	s_add_i32 s39, s1, s43
	s_add_i32 s1, s45, s44
	v_mfma_f32_16x16x16_bf16 a[0:3], v[20:21], v[6:7], a[0:3]
	v_or_b32_e32 v6, 0x80, v14
	v_lshlrev_b32_e32 v32, 1, v6
	ds_read2st64_b64 v[10:13], v32 offset0:36 offset1:40
	s_waitcnt lgkmcnt(1)
	v_mfma_f32_16x16x16_bf16 a[4:7], v[20:21], v[2:3], a[4:7]
	v_or_b32_e32 v2, 0xc0, v14
	v_lshlrev_b32_e32 v33, 1, v2
	ds_read2st64_b64 v[14:17], v33 offset0:36 offset1:40
	s_add_i32 s37, s1, s46
	s_ashr_i32 s1, s0, 31
	s_mul_i32 s2, s0, s31
	s_mul_hi_u32 s3, s0, s30
	s_add_i32 s2, s3, s2
	s_mul_i32 s1, s1, s30
	s_waitcnt lgkmcnt(1)
	v_mfma_f32_16x16x16_bf16 a[8:11], v[20:21], v[10:11], a[8:11]
	s_add_i32 s1, s2, s1
	s_lshl_b64 s[2:3], s[38:39], 2
	s_add_u32 s10, s10, s2
	s_waitcnt lgkmcnt(0)
	v_mfma_f32_16x16x16_bf16 a[12:15], v[20:21], v[14:15], a[12:15]
	s_addc_u32 s11, s11, s3
	s_lshl_b64 s[2:3], s[36:37], 2
	s_mul_i32 s0, s0, s30
	v_mfma_f32_16x16x16_bf16 a[0:3], v[36:37], v[8:9], a[0:3]
	ds_read_b64 v[2:3], v26 offset:22528
	s_add_u32 s10, s10, s2
	s_addc_u32 s11, s11, s3
	v_mfma_f32_16x16x16_bf16 a[4:7], v[36:37], v[4:5], a[4:7]
	ds_read_b64 v[4:5], v31 offset:22528
	ds_read_b64 v[6:7], v32 offset:22528
	;; [unrolled: 1-line block ×3, first 2 shown]
	s_lshl_b64 s[0:1], s[0:1], 2
	s_add_u32 s0, s10, s0
	v_mfma_f32_16x16x16_bf16 a[8:11], v[36:37], v[12:13], a[8:11]
	s_addc_u32 s1, s11, s1
	s_load_dword s12, s[0:1], 0x0
	s_and_b64 vcc, exec, s[22:23]
	v_mfma_f32_16x16x16_bf16 a[12:15], v[36:37], v[16:17], a[12:15]
	s_waitcnt lgkmcnt(0)
	v_mfma_f32_16x16x16_bf16 a[0:3], v[38:39], v[2:3], a[0:3]
	v_mfma_f32_16x16x16_bf16 a[4:7], v[38:39], v[4:5], a[4:7]
	;; [unrolled: 1-line block ×4, first 2 shown]
	s_cbranch_vccz .LBB35_42
; %bb.32:
	v_lshlrev_b32_e32 v20, 1, v25
	s_and_b64 vcc, exec, s[6:7]
	s_cbranch_vccz .LBB35_43
; %bb.33:
	v_cmp_gt_i32_e32 vcc, s27, v20
	v_mov_b32_e32 v6, 0
	v_mov_b32_e32 v2, 0
	;; [unrolled: 1-line block ×5, first 2 shown]
	s_and_saveexec_b64 s[0:1], vcc
	s_cbranch_execz .LBB35_35
; %bb.34:
	v_mad_i64_i32 v[2:3], s[2:3], s15, v20, 0
	v_lshl_add_u64 v[2:3], v[2:3], 1, s[4:5]
	v_lshlrev_b32_e32 v4, 1, v18
	v_mov_b32_e32 v5, 0
	v_lshl_add_u64 v[2:3], v[2:3], 0, v[4:5]
	global_load_dwordx4 v[2:5], v[2:3], off
.LBB35_35:
	s_or_b64 exec, exec, s[0:1]
	v_or_b32_e32 v21, 1, v20
	v_cmp_gt_i32_e64 s[0:1], s27, v21
	v_mov_b32_e32 v7, 0
	v_mov_b32_e32 v8, 0
	;; [unrolled: 1-line block ×3, first 2 shown]
	s_and_saveexec_b64 s[2:3], s[0:1]
	s_cbranch_execz .LBB35_37
; %bb.36:
	v_mad_i64_i32 v[6:7], s[16:17], s15, v21, 0
	v_lshl_add_u64 v[6:7], v[6:7], 1, s[4:5]
	v_lshlrev_b32_e32 v8, 1, v18
	v_mov_b32_e32 v9, 0
	v_lshl_add_u64 v[6:7], v[6:7], 0, v[8:9]
	global_load_dwordx4 v[6:9], v[6:7], off
.LBB35_37:
	s_or_b64 exec, exec, s[2:3]
	v_mov_b32_e32 v17, 0
	v_mov_b32_e32 v10, 0
	;; [unrolled: 1-line block ×5, first 2 shown]
	s_and_saveexec_b64 s[2:3], vcc
	s_cbranch_execz .LBB35_39
; %bb.38:
	v_mad_i64_i32 v[10:11], s[16:17], s15, v20, 0
	v_lshl_add_u64 v[10:11], v[10:11], 1, s[4:5]
	v_lshlrev_b32_e32 v12, 1, v18
	v_mov_b32_e32 v13, 0
	v_lshl_add_u64 v[10:11], v[10:11], 0, v[12:13]
	global_load_dwordx4 v[10:13], v[10:11], off offset:128
.LBB35_39:
	s_or_b64 exec, exec, s[2:3]
	v_mov_b32_e32 v16, 0
	v_mov_b32_e32 v15, 0
	;; [unrolled: 1-line block ×3, first 2 shown]
	s_and_saveexec_b64 s[2:3], s[0:1]
	s_cbranch_execz .LBB35_41
; %bb.40:
	v_mad_i64_i32 v[14:15], s[0:1], s15, v21, 0
	v_lshl_add_u64 v[14:15], v[14:15], 1, s[4:5]
	v_lshlrev_b32_e32 v16, 1, v18
	v_mov_b32_e32 v17, 0
	v_lshl_add_u64 v[14:15], v[14:15], 0, v[16:17]
	global_load_dwordx4 v[14:17], v[14:15], off offset:128
.LBB35_41:
	s_or_b64 exec, exec, s[2:3]
	s_branch .LBB35_45
.LBB35_42:
                                        ; implicit-def: $vgpr5
                                        ; implicit-def: $vgpr9
                                        ; implicit-def: $vgpr13
                                        ; implicit-def: $vgpr17
	v_lshrrev_b32_e32 v35, 2, v76
	s_branch .LBB35_46
.LBB35_43:
                                        ; implicit-def: $vgpr5
                                        ; implicit-def: $vgpr9
                                        ; implicit-def: $vgpr13
                                        ; implicit-def: $vgpr17
	s_cbranch_execz .LBB35_45
; %bb.44:
	s_waitcnt vmcnt(0)
	v_mad_u64_u32 v[2:3], s[0:1], v20, s15, v[18:19]
	v_lshlrev_b32_e32 v20, 1, v2
	s_lshl_b32 s2, s15, 7
	s_and_b32 s1, s5, 0xffff
	s_mov_b32 s3, 0x20000
	s_mov_b32 s0, s4
	v_add_lshl_u32 v21, v2, s15, 1
	s_movk_i32 s13, 0x80
	buffer_load_dwordx4 v[2:5], v20, s[0:3], 0 offen
	buffer_load_dwordx4 v[10:13], v20, s[0:3], s13 offen
	;; [unrolled: 1-line block ×4, first 2 shown]
.LBB35_45:
	v_lshrrev_b32_e32 v35, 2, v76
	s_cbranch_execnz .LBB35_58
.LBB35_46:
	s_and_b64 vcc, exec, s[6:7]
	s_cbranch_vccz .LBB35_56
; %bb.47:
	s_waitcnt vmcnt(0)
	v_lshlrev_b32_e32 v7, 1, v25
	v_cmp_gt_i32_e32 vcc, s27, v7
	v_mov_b32_e32 v6, 0
	v_lshlrev_b32_e32 v14, 9, v25
	v_mov_b32_e32 v2, 0
	v_mov_b32_e32 v3, 0
	;; [unrolled: 1-line block ×4, first 2 shown]
	s_and_saveexec_b64 s[0:1], vcc
	s_cbranch_execz .LBB35_49
; %bb.48:
	v_mov_b32_e32 v15, 0
	v_lshl_add_u64 v[2:3], s[4:5], 0, v[14:15]
	v_lshlrev_b32_e32 v4, 1, v18
	v_mov_b32_e32 v5, v15
	v_lshl_add_u64 v[2:3], v[2:3], 0, v[4:5]
	global_load_dwordx4 v[2:5], v[2:3], off
.LBB35_49:
	s_or_b64 exec, exec, s[0:1]
	v_or_b32_e32 v7, 1, v7
	v_cmp_gt_i32_e64 s[0:1], s27, v7
	v_lshlrev_b32_e32 v20, 8, v7
	v_mov_b32_e32 v7, 0
	v_mov_b32_e32 v8, 0
	;; [unrolled: 1-line block ×3, first 2 shown]
	s_and_saveexec_b64 s[2:3], s[0:1]
	s_cbranch_execz .LBB35_51
; %bb.50:
	v_mov_b32_e32 v21, 0
	v_lshl_add_u64 v[6:7], s[4:5], 0, v[20:21]
	v_lshlrev_b32_e32 v8, 1, v18
	v_mov_b32_e32 v9, v21
	v_lshl_add_u64 v[6:7], v[6:7], 0, v[8:9]
	global_load_dwordx4 v[6:9], v[6:7], off
.LBB35_51:
	s_or_b64 exec, exec, s[2:3]
	v_mov_b32_e32 v17, 0
	v_mov_b32_e32 v10, 0
	;; [unrolled: 1-line block ×5, first 2 shown]
	s_and_saveexec_b64 s[2:3], vcc
	s_cbranch_execz .LBB35_53
; %bb.52:
	v_mov_b32_e32 v15, 0
	v_lshl_add_u64 v[10:11], s[4:5], 0, v[14:15]
	v_lshlrev_b32_e32 v14, 1, v18
	v_lshl_add_u64 v[10:11], v[10:11], 0, v[14:15]
	global_load_dwordx4 v[10:13], v[10:11], off offset:128
.LBB35_53:
	s_or_b64 exec, exec, s[2:3]
	v_mov_b32_e32 v16, 0
	v_mov_b32_e32 v15, 0
	;; [unrolled: 1-line block ×3, first 2 shown]
	s_and_saveexec_b64 s[2:3], s[0:1]
	s_cbranch_execz .LBB35_55
; %bb.54:
	v_mov_b32_e32 v21, 0
	v_lshl_add_u64 v[14:15], s[4:5], 0, v[20:21]
	v_lshlrev_b32_e32 v20, 1, v18
	v_lshl_add_u64 v[14:15], v[14:15], 0, v[20:21]
	global_load_dwordx4 v[14:17], v[14:15], off offset:128
.LBB35_55:
	s_or_b64 exec, exec, s[2:3]
	s_branch .LBB35_58
.LBB35_56:
                                        ; implicit-def: $vgpr5
                                        ; implicit-def: $vgpr9
                                        ; implicit-def: $vgpr13
                                        ; implicit-def: $vgpr17
	s_cbranch_execz .LBB35_58
; %bb.57:
	s_waitcnt vmcnt(0)
	v_lshlrev_b32_e32 v2, 1, v18
	v_lshl_or_b32 v18, v25, 9, v2
	s_and_b32 s5, s5, 0xffff
	s_mov_b32 s7, 0x20000
	s_movk_i32 s6, 0x4000
	s_movk_i32 s0, 0x80
	buffer_load_dwordx4 v[2:5], v18, s[4:7], 0 offen
	buffer_load_dwordx4 v[6:9], v18, s[4:7], 0 offen offset:256
	buffer_load_dwordx4 v[10:13], v18, s[4:7], s0 offen
	buffer_load_dwordx4 v[14:17], v18, s[4:7], s0 offen offset:256
.LBB35_58:
	ds_read_b64 v[20:21], v27 offset:57344
	v_add_u32_e32 v18, 0x6000, v26
	ds_read2_b64 v[36:39], v18 offset1:16
	ds_read_b64 v[52:53], v28 offset:57344
	ds_read_b64 v[28:29], v29 offset:57344
	;; [unrolled: 1-line block ×3, first 2 shown]
	ds_read2st64_b64 v[40:43], v26 offset0:52 offset1:56
	s_mov_b32 s0, 0x1000504
	s_mov_b32 s1, 0x3020706
	s_waitcnt lgkmcnt(4)
	v_mfma_f32_16x16x16_bf16 a[0:3], v[20:21], v[36:37], a[0:3]
	v_mfma_f32_16x16x16_bf16 a[4:7], v[20:21], v[38:39], a[4:7]
	ds_read2_b64 v[36:39], v18 offset0:32 offset1:48
	v_and_b32_e32 v18, 6, v0
	v_xor_b32_e32 v25, v25, v18
	s_waitcnt lgkmcnt(0)
	v_mfma_f32_16x16x16_bf16 a[8:11], v[20:21], v[36:37], a[8:11]
	v_lshlrev_b32_e32 v25, 2, v25
	v_and_b32_e32 v0, 1, v0
	v_cmp_eq_u32_e32 vcc, 0, v0
	v_mfma_f32_16x16x16_bf16 a[12:15], v[20:21], v[38:39], a[12:15]
	ds_read2st64_b64 v[36:39], v31 offset0:52 offset1:56
	ds_read2st64_b64 v[44:47], v32 offset0:52 offset1:56
	;; [unrolled: 1-line block ×3, first 2 shown]
	ds_read_b64 v[20:21], v26 offset:30720
	ds_read_b64 v[26:27], v31 offset:30720
	;; [unrolled: 1-line block ×4, first 2 shown]
	s_waitcnt lgkmcnt(6)
	v_mfma_f32_16x16x16_bf16 a[4:7], v[52:53], v[36:37], a[4:7]
	v_xor_b32_e32 v36, 0x440, v25
	v_cndmask_b32_e32 v0, v36, v25, vcc
	v_lshl_or_b32 v0, v18, 10, v0
	v_mfma_f32_16x16x16_bf16 a[0:3], v[52:53], v[40:41], a[0:3]
	s_waitcnt vmcnt(0)
	v_perm_b32 v18, v2, v6, s0
	v_perm_b32 v25, v10, v14, s0
	ds_write2st64_b32 v0, v18, v25 offset0:128 offset1:160
	s_waitcnt lgkmcnt(6)
	v_mfma_f32_16x16x16_bf16 a[8:11], v[52:53], v[44:45], a[8:11]
	v_xor_b32_e32 v18, 8, v0
	v_perm_b32 v2, v2, v6, s1
	v_perm_b32 v6, v10, v14, s1
	s_waitcnt lgkmcnt(5)
	v_mfma_f32_16x16x16_bf16 a[12:15], v[52:53], v[48:49], a[12:15]
	v_add_u32_e32 v10, 0x80, v18
	ds_write2st64_b32 v10, v2, v6 offset0:128 offset1:160
	v_xor_b32_e32 v2, 16, v0
	v_mfma_f32_16x16x16_bf16 a[0:3], v[28:29], v[42:43], a[0:3]
	v_perm_b32 v6, v3, v7, s0
	v_perm_b32 v10, v11, v15, s0
	ds_write2st64_b32 v2, v6, v10 offset0:129 offset1:161
	v_mfma_f32_16x16x16_bf16 a[4:7], v[28:29], v[38:39], a[4:7]
	v_xor_b32_e32 v2, 24, v0
	v_perm_b32 v3, v3, v7, s1
	v_perm_b32 v6, v11, v15, s1
	v_mfma_f32_16x16x16_bf16 a[16:19], v[28:29], v[46:47], a[8:11]
	v_add_u32_e32 v2, 0x80, v2
	ds_write2st64_b32 v2, v3, v6 offset0:129 offset1:161
	v_xor_b32_e32 v2, 32, v0
	v_mfma_f32_16x16x16_bf16 a[20:23], v[28:29], v[50:51], a[12:15]
	v_perm_b32 v3, v4, v8, s0
	v_perm_b32 v6, v12, v16, s0
	ds_write2st64_b32 v2, v3, v6 offset0:130 offset1:162
	s_waitcnt lgkmcnt(8)
	v_mfma_f32_16x16x16_bf16 a[12:15], v[54:55], v[20:21], a[0:3]
	v_xor_b32_e32 v2, 40, v0
	v_perm_b32 v3, v4, v8, s1
	v_perm_b32 v4, v12, v16, s1
	s_waitcnt lgkmcnt(7)
	v_mfma_f32_16x16x16_bf16 a[8:11], v[54:55], v[26:27], a[4:7]
	v_add_u32_e32 v2, 0x80, v2
	ds_write2st64_b32 v2, v3, v4 offset0:130 offset1:162
	v_xor_b32_e32 v2, 48, v0
	s_waitcnt lgkmcnt(7)
	v_mfma_f32_16x16x16_bf16 a[4:7], v[54:55], v[30:31], a[16:19]
	v_perm_b32 v3, v5, v9, s0
	v_perm_b32 v4, v13, v17, s0
	v_xor_b32_e32 v0, 56, v0
	s_waitcnt lgkmcnt(6)
	v_mfma_f32_16x16x16_bf16 a[0:3], v[54:55], v[32:33], a[20:23]
	v_and_or_b32 v21, v35, 12, v1
	ds_write2st64_b32 v2, v3, v4 offset0:131 offset1:163
	v_perm_b32 v2, v5, v9, s1
	v_perm_b32 v3, v13, v17, s1
	v_add_u32_e32 v0, 0x80, v0
	v_cmp_gt_i32_e32 vcc, s27, v21
	v_mov_b32_e32 v16, 0
	v_mov_b32_e32 v18, 0
	ds_write2st64_b32 v0, v2, v3 offset0:131 offset1:163
	s_and_saveexec_b64 s[0:1], vcc
	s_cbranch_execz .LBB35_60
; %bb.59:
	v_add_u32_e32 v0, s26, v21
	v_ashrrev_i32_e32 v1, 31, v0
	v_mul_lo_u32 v2, v1, s30
	v_mul_lo_u32 v3, v0, s31
	v_mad_u64_u32 v[0:1], s[2:3], v0, s30, 0
	v_add3_u32 v1, v1, v3, v2
	v_lshl_add_u64 v[0:1], v[0:1], 2, s[10:11]
	global_load_dword v0, v[0:1], off
	s_waitcnt vmcnt(0)
	v_sub_f32_e32 v0, s12, v0
	v_exp_f32_e32 v18, v0
.LBB35_60:
	s_or_b64 exec, exec, s[0:1]
	v_or_b32_e32 v10, 1, v21
	v_cmp_gt_i32_e64 s[2:3], s27, v10
	s_and_saveexec_b64 s[0:1], s[2:3]
	s_cbranch_execz .LBB35_62
; %bb.61:
	v_add_u32_e32 v0, s26, v10
	v_ashrrev_i32_e32 v1, 31, v0
	v_mul_lo_u32 v2, v1, s30
	v_mul_lo_u32 v3, v0, s31
	v_mad_u64_u32 v[0:1], s[4:5], v0, s30, 0
	v_add3_u32 v1, v1, v3, v2
	v_lshl_add_u64 v[0:1], v[0:1], 2, s[10:11]
	global_load_dword v0, v[0:1], off
	s_waitcnt vmcnt(0)
	v_sub_f32_e32 v0, s12, v0
	v_exp_f32_e32 v16, v0
.LBB35_62:
	s_or_b64 exec, exec, s[0:1]
	v_or_b32_e32 v12, 2, v21
	v_cmp_gt_i32_e64 s[0:1], s27, v12
	v_mov_b32_e32 v17, 0
	v_mov_b32_e32 v20, 0
	s_and_saveexec_b64 s[4:5], s[0:1]
	s_cbranch_execz .LBB35_64
; %bb.63:
	v_add_u32_e32 v0, s26, v12
	v_ashrrev_i32_e32 v1, 31, v0
	v_mul_lo_u32 v2, v1, s30
	v_mul_lo_u32 v3, v0, s31
	v_mad_u64_u32 v[0:1], s[6:7], v0, s30, 0
	v_add3_u32 v1, v1, v3, v2
	v_lshl_add_u64 v[0:1], v[0:1], 2, s[10:11]
	global_load_dword v0, v[0:1], off
	s_waitcnt vmcnt(0)
	v_sub_f32_e32 v0, s12, v0
	v_exp_f32_e32 v20, v0
.LBB35_64:
	s_or_b64 exec, exec, s[4:5]
	v_or_b32_e32 v14, 3, v21
	v_cmp_gt_i32_e64 s[4:5], s27, v14
	s_and_saveexec_b64 s[6:7], s[4:5]
	s_cbranch_execz .LBB35_66
; %bb.65:
	v_add_u32_e32 v0, s26, v14
	v_ashrrev_i32_e32 v1, 31, v0
	v_mul_lo_u32 v2, v1, s30
	v_mul_lo_u32 v3, v0, s31
	v_mad_u64_u32 v[0:1], s[14:15], v0, s30, 0
	v_add3_u32 v1, v1, v3, v2
	v_lshl_add_u64 v[0:1], v[0:1], 2, s[10:11]
	global_load_dword v0, v[0:1], off
	s_waitcnt vmcnt(0)
	v_sub_f32_e32 v0, s12, v0
	v_exp_f32_e32 v17, v0
.LBB35_66:
	s_or_b64 exec, exec, s[6:7]
	s_add_u32 s6, s8, s20
	s_addc_u32 s7, s9, s21
	s_add_u32 s8, s28, s20
	v_ashrrev_i32_e32 v35, 31, v34
	v_accvgpr_read_b32 v0, a12
	s_addc_u32 s9, s29, s21
	v_lshlrev_b64 v[4:5], 1, v[34:35]
	v_accvgpr_read_b32 v1, a13
	v_accvgpr_read_b32 v2, a14
	;; [unrolled: 1-line block ×3, first 2 shown]
	v_lshl_add_u64 v[6:7], s[6:7], 0, v[4:5]
	v_lshl_add_u64 v[4:5], s[8:9], 0, v[4:5]
	v_mov_b32_e32 v11, 0
	v_lshlrev_b32_e32 v8, 8, v21
	v_mov_b32_e32 v9, 0
	s_and_saveexec_b64 s[6:7], vcc
	s_cbranch_execz .LBB35_68
; %bb.67:
	v_mov_b32_e32 v9, 0
	v_lshl_add_u64 v[26:27], v[6:7], 0, v[8:9]
	global_load_ushort v13, v[26:27], off
	v_lshl_add_u64 v[26:27], v[4:5], 0, v[8:9]
	s_waitcnt vmcnt(0)
	v_lshlrev_b32_e32 v9, 16, v13
	v_sub_f32_e32 v0, v9, v0
	global_store_short_d16_hi v[26:27], v0, off
	v_mul_f32_e32 v0, v18, v0
	v_lshrrev_b32_e32 v9, 16, v0
.LBB35_68:
	s_or_b64 exec, exec, s[6:7]
	v_lshlrev_b32_e32 v10, 8, v10
	s_and_saveexec_b64 s[6:7], s[2:3]
	s_cbranch_execz .LBB35_70
; %bb.69:
	v_mov_b32_e32 v11, 0
	v_lshl_add_u64 v[26:27], v[6:7], 0, v[10:11]
	global_load_ushort v0, v[26:27], off
	v_lshl_add_u64 v[26:27], v[4:5], 0, v[10:11]
	s_waitcnt vmcnt(0)
	v_lshlrev_b32_e32 v0, 16, v0
	v_sub_f32_e32 v0, v0, v1
	global_store_short_d16_hi v[26:27], v0, off
	v_mul_f32_e32 v0, v16, v0
	v_lshrrev_b32_e32 v11, 16, v0
.LBB35_70:
	s_or_b64 exec, exec, s[6:7]
	v_mov_b32_e32 v15, 0
	v_lshlrev_b32_e32 v12, 8, v12
	v_mov_b32_e32 v13, 0
	s_and_saveexec_b64 s[6:7], s[0:1]
	s_cbranch_execz .LBB35_72
; %bb.71:
	v_mov_b32_e32 v13, 0
	v_lshl_add_u64 v[0:1], v[6:7], 0, v[12:13]
	global_load_ushort v25, v[0:1], off
	v_lshl_add_u64 v[0:1], v[4:5], 0, v[12:13]
	s_waitcnt vmcnt(0)
	v_lshlrev_b32_e32 v13, 16, v25
	v_sub_f32_e32 v2, v13, v2
	global_store_short_d16_hi v[0:1], v2, off
	v_mul_f32_e32 v0, v20, v2
	v_lshrrev_b32_e32 v13, 16, v0
.LBB35_72:
	s_or_b64 exec, exec, s[6:7]
	v_lshlrev_b32_e32 v14, 8, v14
	s_and_saveexec_b64 s[6:7], s[4:5]
	s_cbranch_execz .LBB35_74
; %bb.73:
	v_mov_b32_e32 v15, 0
	v_lshl_add_u64 v[0:1], v[6:7], 0, v[14:15]
	global_load_ushort v2, v[0:1], off
	v_lshl_add_u64 v[0:1], v[4:5], 0, v[14:15]
	s_waitcnt vmcnt(0)
	v_lshlrev_b32_e32 v2, 16, v2
	v_sub_f32_e32 v2, v2, v3
	global_store_short_d16_hi v[0:1], v2, off
	v_mul_f32_e32 v0, v17, v2
	v_lshrrev_b32_e32 v15, 16, v0
.LBB35_74:
	s_or_b64 exec, exec, s[6:7]
	v_lshlrev_b32_e32 v21, 6, v21
	s_mov_b32 s6, 0x5040100
	v_perm_b32 v26, v11, v9, s6
	v_or_b32_e32 v9, v21, v24
	v_accvgpr_read_b32 v0, a8
	v_perm_b32 v27, v15, v13, s6
	v_lshlrev_b32_e32 v9, 1, v9
	v_accvgpr_read_b32 v1, a9
	v_accvgpr_read_b32 v2, a10
	v_accvgpr_read_b32 v3, a11
	ds_write_b64 v9, v[26:27] offset:24576
	v_mov_b32_e32 v11, 0
	v_mov_b32_e32 v9, 0
	s_and_saveexec_b64 s[6:7], vcc
	s_cbranch_execz .LBB35_76
; %bb.75:
	v_mov_b32_e32 v9, 0
	v_lshl_add_u64 v[24:25], v[6:7], 0, v[8:9]
	global_load_ushort v13, v[24:25], off offset:32
	v_lshl_add_u64 v[24:25], v[4:5], 0, v[8:9]
	s_waitcnt vmcnt(0)
	v_lshlrev_b32_e32 v9, 16, v13
	v_sub_f32_e32 v0, v9, v0
	global_store_short_d16_hi v[24:25], v0, off offset:32
	v_mul_f32_e32 v0, v18, v0
	v_lshrrev_b32_e32 v9, 16, v0
.LBB35_76:
	s_or_b64 exec, exec, s[6:7]
	s_and_saveexec_b64 s[6:7], s[2:3]
	s_cbranch_execz .LBB35_78
; %bb.77:
	v_mov_b32_e32 v11, 0
	v_lshl_add_u64 v[24:25], v[6:7], 0, v[10:11]
	global_load_ushort v0, v[24:25], off offset:32
	v_lshl_add_u64 v[24:25], v[4:5], 0, v[10:11]
	s_waitcnt vmcnt(0)
	v_lshlrev_b32_e32 v0, 16, v0
	v_sub_f32_e32 v0, v0, v1
	global_store_short_d16_hi v[24:25], v0, off offset:32
	v_mul_f32_e32 v0, v16, v0
	v_lshrrev_b32_e32 v11, 16, v0
.LBB35_78:
	s_or_b64 exec, exec, s[6:7]
	v_mov_b32_e32 v15, 0
	v_mov_b32_e32 v13, 0
	s_and_saveexec_b64 s[6:7], s[0:1]
	s_cbranch_execz .LBB35_80
; %bb.79:
	v_mov_b32_e32 v13, 0
	v_lshl_add_u64 v[0:1], v[6:7], 0, v[12:13]
	global_load_ushort v24, v[0:1], off offset:32
	v_lshl_add_u64 v[0:1], v[4:5], 0, v[12:13]
	s_waitcnt vmcnt(0)
	v_lshlrev_b32_e32 v13, 16, v24
	v_sub_f32_e32 v2, v13, v2
	global_store_short_d16_hi v[0:1], v2, off offset:32
	v_mul_f32_e32 v0, v20, v2
	v_lshrrev_b32_e32 v13, 16, v0
.LBB35_80:
	s_or_b64 exec, exec, s[6:7]
	s_and_saveexec_b64 s[6:7], s[4:5]
	s_cbranch_execz .LBB35_82
; %bb.81:
	v_mov_b32_e32 v15, 0
	v_lshl_add_u64 v[0:1], v[6:7], 0, v[14:15]
	global_load_ushort v2, v[0:1], off offset:32
	v_lshl_add_u64 v[0:1], v[4:5], 0, v[14:15]
	s_waitcnt vmcnt(0)
	v_lshlrev_b32_e32 v2, 16, v2
	v_sub_f32_e32 v2, v2, v3
	global_store_short_d16_hi v[0:1], v2, off offset:32
	v_mul_f32_e32 v0, v17, v2
	v_lshrrev_b32_e32 v15, 16, v0
.LBB35_82:
	s_or_b64 exec, exec, s[6:7]
	s_mov_b32 s6, 0x5040100
	v_perm_b32 v24, v11, v9, s6
	v_or_b32_e32 v9, v21, v23
	v_accvgpr_read_b32 v0, a4
	v_perm_b32 v25, v15, v13, s6
	v_lshlrev_b32_e32 v9, 1, v9
	v_accvgpr_read_b32 v1, a5
	v_accvgpr_read_b32 v2, a6
	;; [unrolled: 1-line block ×3, first 2 shown]
	ds_write_b64 v9, v[24:25] offset:24576
	v_mov_b32_e32 v11, 0
	v_mov_b32_e32 v9, 0
	s_and_saveexec_b64 s[6:7], vcc
	s_cbranch_execz .LBB35_84
; %bb.83:
	v_mov_b32_e32 v9, 0
	v_lshl_add_u64 v[24:25], v[6:7], 0, v[8:9]
	global_load_ushort v13, v[24:25], off offset:64
	v_lshl_add_u64 v[24:25], v[4:5], 0, v[8:9]
	s_waitcnt vmcnt(0)
	v_lshlrev_b32_e32 v9, 16, v13
	v_sub_f32_e32 v0, v9, v0
	global_store_short_d16_hi v[24:25], v0, off offset:64
	v_mul_f32_e32 v0, v18, v0
	v_lshrrev_b32_e32 v9, 16, v0
.LBB35_84:
	s_or_b64 exec, exec, s[6:7]
	s_and_saveexec_b64 s[6:7], s[2:3]
	s_cbranch_execz .LBB35_86
; %bb.85:
	v_mov_b32_e32 v11, 0
	v_lshl_add_u64 v[24:25], v[6:7], 0, v[10:11]
	global_load_ushort v0, v[24:25], off offset:64
	v_lshl_add_u64 v[24:25], v[4:5], 0, v[10:11]
	s_waitcnt vmcnt(0)
	v_lshlrev_b32_e32 v0, 16, v0
	v_sub_f32_e32 v0, v0, v1
	global_store_short_d16_hi v[24:25], v0, off offset:64
	v_mul_f32_e32 v0, v16, v0
	v_lshrrev_b32_e32 v11, 16, v0
.LBB35_86:
	s_or_b64 exec, exec, s[6:7]
	v_mov_b32_e32 v15, 0
	v_mov_b32_e32 v13, 0
	s_and_saveexec_b64 s[6:7], s[0:1]
	s_cbranch_execz .LBB35_88
; %bb.87:
	v_mov_b32_e32 v13, 0
	v_lshl_add_u64 v[0:1], v[6:7], 0, v[12:13]
	global_load_ushort v23, v[0:1], off offset:64
	v_lshl_add_u64 v[0:1], v[4:5], 0, v[12:13]
	s_waitcnt vmcnt(0)
	v_lshlrev_b32_e32 v13, 16, v23
	v_sub_f32_e32 v2, v13, v2
	global_store_short_d16_hi v[0:1], v2, off offset:64
	v_mul_f32_e32 v0, v20, v2
	v_lshrrev_b32_e32 v13, 16, v0
.LBB35_88:
	s_or_b64 exec, exec, s[6:7]
	s_and_saveexec_b64 s[6:7], s[4:5]
	s_cbranch_execz .LBB35_90
; %bb.89:
	v_mov_b32_e32 v15, 0
	v_lshl_add_u64 v[0:1], v[6:7], 0, v[14:15]
	global_load_ushort v2, v[0:1], off offset:64
	v_lshl_add_u64 v[0:1], v[4:5], 0, v[14:15]
	s_waitcnt vmcnt(0)
	v_lshlrev_b32_e32 v2, 16, v2
	v_sub_f32_e32 v2, v2, v3
	global_store_short_d16_hi v[0:1], v2, off offset:64
	v_mul_f32_e32 v0, v17, v2
	v_lshrrev_b32_e32 v15, 16, v0
.LBB35_90:
	s_or_b64 exec, exec, s[6:7]
	s_mov_b32 s6, 0x5040100
	v_perm_b32 v24, v11, v9, s6
	v_or_b32_e32 v9, v21, v22
	v_accvgpr_read_b32 v0, a0
	v_perm_b32 v25, v15, v13, s6
	v_lshlrev_b32_e32 v9, 1, v9
	v_accvgpr_read_b32 v1, a1
	v_accvgpr_read_b32 v2, a2
	;; [unrolled: 1-line block ×3, first 2 shown]
	ds_write_b64 v9, v[24:25] offset:24576
	v_mov_b32_e32 v11, 0
	v_mov_b32_e32 v9, 0
	s_and_saveexec_b64 s[6:7], vcc
	s_cbranch_execz .LBB35_92
; %bb.91:
	v_mov_b32_e32 v9, 0
	v_lshl_add_u64 v[22:23], v[6:7], 0, v[8:9]
	global_load_ushort v13, v[22:23], off offset:96
	v_lshl_add_u64 v[8:9], v[4:5], 0, v[8:9]
	s_waitcnt vmcnt(0)
	v_lshlrev_b32_e32 v13, 16, v13
	v_sub_f32_e32 v0, v13, v0
	global_store_short_d16_hi v[8:9], v0, off offset:96
	v_mul_f32_e32 v0, v18, v0
	v_lshrrev_b32_e32 v9, 16, v0
.LBB35_92:
	s_or_b64 exec, exec, s[6:7]
	s_and_saveexec_b64 s[6:7], s[2:3]
	s_cbranch_execz .LBB35_94
; %bb.93:
	v_mov_b32_e32 v11, 0
	v_lshl_add_u64 v[22:23], v[6:7], 0, v[10:11]
	global_load_ushort v0, v[22:23], off offset:96
	v_lshl_add_u64 v[10:11], v[4:5], 0, v[10:11]
	s_waitcnt vmcnt(0)
	v_lshlrev_b32_e32 v0, 16, v0
	v_sub_f32_e32 v0, v0, v1
	global_store_short_d16_hi v[10:11], v0, off offset:96
	v_mul_f32_e32 v0, v16, v0
	v_lshrrev_b32_e32 v11, 16, v0
.LBB35_94:
	s_or_b64 exec, exec, s[6:7]
	v_mov_b32_e32 v0, 0
	v_mov_b32_e32 v1, 0
	s_and_saveexec_b64 s[2:3], s[0:1]
	s_cbranch_execz .LBB35_96
; %bb.95:
	v_mov_b32_e32 v13, 0
	v_lshl_add_u64 v[22:23], v[6:7], 0, v[12:13]
	global_load_ushort v1, v[22:23], off offset:96
	v_lshl_add_u64 v[12:13], v[4:5], 0, v[12:13]
	s_waitcnt vmcnt(0)
	v_lshlrev_b32_e32 v1, 16, v1
	v_sub_f32_e32 v1, v1, v2
	global_store_short_d16_hi v[12:13], v1, off offset:96
	v_mul_f32_e32 v1, v20, v1
	v_lshrrev_b32_e32 v1, 16, v1
.LBB35_96:
	s_or_b64 exec, exec, s[2:3]
	s_and_saveexec_b64 s[0:1], s[4:5]
	s_cbranch_execz .LBB35_98
; %bb.97:
	v_mov_b32_e32 v15, 0
	v_lshl_add_u64 v[6:7], v[6:7], 0, v[14:15]
	global_load_ushort v0, v[6:7], off offset:96
	v_lshl_add_u64 v[4:5], v[4:5], 0, v[14:15]
	s_waitcnt vmcnt(0)
	v_lshlrev_b32_e32 v0, 16, v0
	v_sub_f32_e32 v0, v0, v3
	global_store_short_d16_hi v[4:5], v0, off offset:96
	v_mul_f32_e32 v0, v17, v0
	v_lshrrev_b32_e32 v0, 16, v0
.LBB35_98:
	s_or_b64 exec, exec, s[0:1]
	s_mov_b32 s0, 0x5040100
	v_or_b32_e32 v2, v21, v19
	v_perm_b32 v1, v0, v1, s0
	v_perm_b32 v0, v11, v9, s0
	v_lshlrev_b32_e32 v2, 1, v2
	ds_write_b64 v2, v[0:1] offset:24576
	s_waitcnt lgkmcnt(0)
	s_barrier
.LBB35_99:
	s_endpgm
	.section	.rodata,"a",@progbits
	.p2align	6, 0x0
	.amdhsa_kernel _ZN12_GLOBAL__N_139chunk_gated_delta_rule_fwd_h_hip_kernelILi64ELb1ELb0ELb1ELb1ELb1ELb0ELb1ELb1EEEvPK12hip_bfloat16S3_S3_PKfS5_PKvPS1_S8_PvPKiSB_iiiiilll
		.amdhsa_group_segment_fixed_size 65536
		.amdhsa_private_segment_fixed_size 0
		.amdhsa_kernarg_size 136
		.amdhsa_user_sgpr_count 2
		.amdhsa_user_sgpr_dispatch_ptr 0
		.amdhsa_user_sgpr_queue_ptr 0
		.amdhsa_user_sgpr_kernarg_segment_ptr 1
		.amdhsa_user_sgpr_dispatch_id 0
		.amdhsa_user_sgpr_kernarg_preload_length 0
		.amdhsa_user_sgpr_kernarg_preload_offset 0
		.amdhsa_user_sgpr_private_segment_size 0
		.amdhsa_uses_dynamic_stack 0
		.amdhsa_enable_private_segment 0
		.amdhsa_system_sgpr_workgroup_id_x 1
		.amdhsa_system_sgpr_workgroup_id_y 1
		.amdhsa_system_sgpr_workgroup_id_z 0
		.amdhsa_system_sgpr_workgroup_info 0
		.amdhsa_system_vgpr_workitem_id 0
		.amdhsa_next_free_vgpr 216
		.amdhsa_next_free_sgpr 63
		.amdhsa_accum_offset 180
		.amdhsa_reserve_vcc 1
		.amdhsa_float_round_mode_32 0
		.amdhsa_float_round_mode_16_64 0
		.amdhsa_float_denorm_mode_32 3
		.amdhsa_float_denorm_mode_16_64 3
		.amdhsa_dx10_clamp 1
		.amdhsa_ieee_mode 1
		.amdhsa_fp16_overflow 0
		.amdhsa_tg_split 0
		.amdhsa_exception_fp_ieee_invalid_op 0
		.amdhsa_exception_fp_denorm_src 0
		.amdhsa_exception_fp_ieee_div_zero 0
		.amdhsa_exception_fp_ieee_overflow 0
		.amdhsa_exception_fp_ieee_underflow 0
		.amdhsa_exception_fp_ieee_inexact 0
		.amdhsa_exception_int_div_zero 0
	.end_amdhsa_kernel
	.section	.text._ZN12_GLOBAL__N_139chunk_gated_delta_rule_fwd_h_hip_kernelILi64ELb1ELb0ELb1ELb1ELb1ELb0ELb1ELb1EEEvPK12hip_bfloat16S3_S3_PKfS5_PKvPS1_S8_PvPKiSB_iiiiilll,"axG",@progbits,_ZN12_GLOBAL__N_139chunk_gated_delta_rule_fwd_h_hip_kernelILi64ELb1ELb0ELb1ELb1ELb1ELb0ELb1ELb1EEEvPK12hip_bfloat16S3_S3_PKfS5_PKvPS1_S8_PvPKiSB_iiiiilll,comdat
.Lfunc_end35:
	.size	_ZN12_GLOBAL__N_139chunk_gated_delta_rule_fwd_h_hip_kernelILi64ELb1ELb0ELb1ELb1ELb1ELb0ELb1ELb1EEEvPK12hip_bfloat16S3_S3_PKfS5_PKvPS1_S8_PvPKiSB_iiiiilll, .Lfunc_end35-_ZN12_GLOBAL__N_139chunk_gated_delta_rule_fwd_h_hip_kernelILi64ELb1ELb0ELb1ELb1ELb1ELb0ELb1ELb1EEEvPK12hip_bfloat16S3_S3_PKfS5_PKvPS1_S8_PvPKiSB_iiiiilll
                                        ; -- End function
	.section	.AMDGPU.csdata,"",@progbits
; Kernel info:
; codeLenInByte = 11260
; NumSgprs: 69
; NumVgprs: 180
; NumAgprs: 36
; TotalNumVgprs: 216
; ScratchSize: 0
; MemoryBound: 0
; FloatMode: 240
; IeeeMode: 1
; LDSByteSize: 65536 bytes/workgroup (compile time only)
; SGPRBlocks: 8
; VGPRBlocks: 26
; NumSGPRsForWavesPerEU: 69
; NumVGPRsForWavesPerEU: 216
; AccumOffset: 180
; Occupancy: 1
; WaveLimiterHint : 1
; COMPUTE_PGM_RSRC2:SCRATCH_EN: 0
; COMPUTE_PGM_RSRC2:USER_SGPR: 2
; COMPUTE_PGM_RSRC2:TRAP_HANDLER: 0
; COMPUTE_PGM_RSRC2:TGID_X_EN: 1
; COMPUTE_PGM_RSRC2:TGID_Y_EN: 1
; COMPUTE_PGM_RSRC2:TGID_Z_EN: 0
; COMPUTE_PGM_RSRC2:TIDIG_COMP_CNT: 0
; COMPUTE_PGM_RSRC3_GFX90A:ACCUM_OFFSET: 44
; COMPUTE_PGM_RSRC3_GFX90A:TG_SPLIT: 0
	.section	.text._ZN12_GLOBAL__N_139chunk_gated_delta_rule_fwd_h_hip_kernelILi64ELb1ELb0ELb0ELb1ELb1ELb0ELb1ELb1EEEvPK12hip_bfloat16S3_S3_PKfS5_PKvPS1_S8_PvPKiSB_iiiiilll,"axG",@progbits,_ZN12_GLOBAL__N_139chunk_gated_delta_rule_fwd_h_hip_kernelILi64ELb1ELb0ELb0ELb1ELb1ELb0ELb1ELb1EEEvPK12hip_bfloat16S3_S3_PKfS5_PKvPS1_S8_PvPKiSB_iiiiilll,comdat
	.globl	_ZN12_GLOBAL__N_139chunk_gated_delta_rule_fwd_h_hip_kernelILi64ELb1ELb0ELb0ELb1ELb1ELb0ELb1ELb1EEEvPK12hip_bfloat16S3_S3_PKfS5_PKvPS1_S8_PvPKiSB_iiiiilll ; -- Begin function _ZN12_GLOBAL__N_139chunk_gated_delta_rule_fwd_h_hip_kernelILi64ELb1ELb0ELb0ELb1ELb1ELb0ELb1ELb1EEEvPK12hip_bfloat16S3_S3_PKfS5_PKvPS1_S8_PvPKiSB_iiiiilll
	.p2align	8
	.type	_ZN12_GLOBAL__N_139chunk_gated_delta_rule_fwd_h_hip_kernelILi64ELb1ELb0ELb0ELb1ELb1ELb0ELb1ELb1EEEvPK12hip_bfloat16S3_S3_PKfS5_PKvPS1_S8_PvPKiSB_iiiiilll,@function
_ZN12_GLOBAL__N_139chunk_gated_delta_rule_fwd_h_hip_kernelILi64ELb1ELb0ELb0ELb1ELb1ELb0ELb1ELb1EEEvPK12hip_bfloat16S3_S3_PKfS5_PKvPS1_S8_PvPKiSB_iiiiilll: ; @_ZN12_GLOBAL__N_139chunk_gated_delta_rule_fwd_h_hip_kernelILi64ELb1ELb0ELb0ELb1ELb1ELb0ELb1ELb1EEEvPK12hip_bfloat16S3_S3_PKfS5_PKvPS1_S8_PvPKiSB_iiiiilll
; %bb.0:
	s_load_dwordx4 s[12:15], s[0:1], 0x5c
	s_load_dwordx4 s[20:23], s[0:1], 0x70
	s_abs_i32 s9, s3
	s_ashr_i32 s8, s3, 31
	s_load_dwordx4 s[4:7], s[0:1], 0x48
	s_waitcnt lgkmcnt(0)
	s_abs_i32 s10, s13
	v_cvt_f32_u32_e32 v1, s10
	s_sub_i32 s16, 0, s10
	s_ashr_i32 s11, s13, 31
	s_xor_b32 s8, s8, s11
	v_rcp_iflag_f32_e32 v1, v1
	v_and_b32_e32 v77, 15, v0
	v_lshrrev_b32_e32 v75, 6, v0
	v_bfe_u32 v76, v0, 4, 2
	v_mul_f32_e32 v1, 0x4f7ffffe, v1
	v_cvt_u32_f32_e32 v1, v1
	v_mov_b32_e32 v7, 0
	v_and_b32_e32 v74, 63, v0
	v_lshlrev_b32_e32 v78, 3, v0
	v_readfirstlane_b32 s17, v1
	s_mul_i32 s16, s16, s17
	s_mul_hi_u32 s16, s17, s16
	s_add_i32 s17, s17, s16
	s_mul_hi_u32 s16, s9, s17
	s_mul_i32 s17, s16, s10
	s_sub_i32 s9, s9, s17
	s_add_i32 s18, s16, 1
	s_sub_i32 s17, s9, s10
	s_cmp_ge_u32 s9, s10
	s_cselect_b32 s16, s18, s16
	s_cselect_b32 s9, s17, s9
	s_add_i32 s17, s16, 1
	s_cmp_ge_u32 s9, s10
	s_cselect_b32 s9, s17, s16
	s_load_dwordx4 s[16:19], s[0:1], 0x28
	s_xor_b32 s9, s9, s8
	s_sub_i32 s24, s9, s8
	s_mul_i32 s28, s24, s13
	s_ashr_i32 s25, s24, 31
	s_sub_i32 s45, s3, s28
	s_lshl_b64 s[8:9], s[24:25], 2
	s_add_u32 s4, s4, s8
	s_addc_u32 s5, s5, s9
	s_add_u32 s26, s6, s8
	s_addc_u32 s27, s7, s9
	s_abs_i32 s3, s14
	v_cvt_f32_u32_e32 v1, s3
	s_load_dwordx2 s[30:31], s[4:5], 0x0
	s_sub_i32 s5, 0, s3
	s_lshl_b32 s2, s2, 6
	v_rcp_iflag_f32_e32 v1, v1
	v_or_b32_e32 v34, s2, v77
	s_waitcnt lgkmcnt(0)
	s_sub_i32 s48, s31, s30
	s_ashr_i32 s4, s48, 31
	v_mul_f32_e32 v1, 0x4f7ffffe, v1
	v_cvt_u32_f32_e32 v1, v1
	s_lshr_b32 s4, s4, 26
	s_add_i32 s4, s48, s4
	s_ashr_i32 s47, s4, 6
	v_readfirstlane_b32 s6, v1
	s_mul_i32 s5, s5, s6
	s_mul_hi_u32 s5, s6, s5
	s_add_i32 s6, s6, s5
	s_mul_hi_u32 s5, s10, s6
	s_mul_i32 s6, s5, s3
	s_ashr_i32 s4, s14, 31
	s_sub_i32 s6, s10, s6
	s_xor_b32 s4, s11, s4
	s_add_i32 s7, s5, 1
	s_sub_i32 s8, s6, s3
	s_cmp_ge_u32 s6, s3
	s_cselect_b32 s5, s7, s5
	s_cselect_b32 s6, s8, s6
	s_add_i32 s7, s5, 1
	s_cmp_ge_u32 s6, s3
	s_cselect_b32 s3, s7, s5
	s_xor_b32 s3, s3, s4
	s_sub_i32 s3, s3, s4
	s_abs_i32 s4, s3
	v_cvt_f32_u32_e32 v1, s4
	s_sub_i32 s6, 0, s4
	s_abs_i32 s5, s45
	s_xor_b32 s3, s45, s3
	v_rcp_iflag_f32_e32 v1, v1
	s_ashr_i32 s3, s3, 31
	v_lshlrev_b32_e32 v2, 7, v34
	v_or_b32_e32 v10, 0x800, v2
	v_mul_f32_e32 v1, 0x4f7ffffe, v1
	v_cvt_u32_f32_e32 v1, v1
	v_ashrrev_i32_e32 v3, 31, v2
	v_ashrrev_i32_e32 v11, 31, v10
	v_lshrrev_b32_e32 v79, 3, v74
	v_readfirstlane_b32 s7, v1
	s_mul_i32 s6, s6, s7
	s_mul_hi_u32 s6, s7, s6
	s_add_i32 s7, s7, s6
	s_mul_hi_u32 s6, s5, s7
	s_mul_i32 s7, s6, s4
	s_sub_i32 s5, s5, s7
	s_add_i32 s7, s6, 1
	s_sub_i32 s8, s5, s4
	s_cmp_ge_u32 s5, s4
	s_cselect_b32 s6, s7, s6
	s_cselect_b32 s5, s8, s5
	s_add_i32 s7, s6, 1
	s_cmp_ge_u32 s5, s4
	s_cselect_b32 s4, s7, s6
	s_xor_b32 s4, s4, s3
	s_sub_i32 s49, s4, s3
	s_ashr_i32 s46, s45, 31
	s_mul_hi_i32 s3, s24, s13
	s_add_u32 s4, s28, s45
	s_addc_u32 s5, s3, s46
	s_lshl_b64 s[4:5], s[4:5], 15
	v_lshlrev_b32_e32 v1, 4, v75
	s_add_u32 s4, s16, s4
	v_lshl_or_b32 v80, v76, 2, v1
	s_addc_u32 s5, s17, s5
	v_lshl_add_u64 v[4:5], v[2:3], 1, s[4:5]
	v_lshlrev_b32_e32 v6, 1, v80
	v_lshl_add_u64 v[10:11], v[10:11], 1, s[4:5]
	v_lshl_add_u64 v[4:5], v[4:5], 0, v[6:7]
	;; [unrolled: 1-line block ×3, first 2 shown]
	global_load_dwordx2 v[8:9], v[4:5], off
	v_or_b32_e32 v81, 64, v80
	global_load_dwordx2 v[4:5], v[4:5], off offset:128
	s_nop 0
	global_load_dwordx2 v[12:13], v[10:11], off
	global_load_dwordx2 v[14:15], v[10:11], off offset:128
	v_or_b32_e32 v10, 0x1000, v2
	v_or_b32_e32 v2, 0x1800, v2
	v_ashrrev_i32_e32 v11, 31, v10
	v_ashrrev_i32_e32 v3, 31, v2
	v_lshl_add_u64 v[10:11], v[10:11], 1, s[4:5]
	v_lshl_add_u64 v[2:3], v[2:3], 1, s[4:5]
	;; [unrolled: 1-line block ×4, first 2 shown]
	global_load_dwordx2 v[16:17], v[10:11], off
	s_mul_i32 s33, s24, s21
	global_load_dwordx2 v[10:11], v[10:11], off offset:128
	s_nop 0
	global_load_dwordx2 v[6:7], v[2:3], off
	global_load_dwordx2 v[18:19], v[2:3], off offset:128
	s_load_dwordx8 s[4:11], s[0:1], 0x0
	s_load_dwordx2 s[28:29], s[0:1], 0x80
	s_load_dword s52, s[26:27], 0x0
	s_mul_hi_u32 s41, s24, s20
	s_mul_i32 s40, s25, s20
	s_mul_hi_i32 s50, s45, s12
	s_mul_i32 s51, s45, s12
	s_cmp_lt_i32 s48, 64
	s_mul_i32 s36, s24, s20
	s_mul_i32 s42, s45, s23
	s_mul_hi_u32 s43, s45, s22
	s_mul_i32 s44, s46, s22
	s_mul_i32 s34, s45, s22
	s_waitcnt vmcnt(7)
	v_and_b32_e32 v63, 0xffff0000, v8
	v_lshlrev_b32_e32 v62, 16, v8
	v_and_b32_e32 v67, 0xffff0000, v9
	v_lshlrev_b32_e32 v66, 16, v9
	s_waitcnt vmcnt(6)
	v_and_b32_e32 v61, 0xffff0000, v4
	v_lshlrev_b32_e32 v60, 16, v4
	v_and_b32_e32 v65, 0xffff0000, v5
	v_lshlrev_b32_e32 v64, 16, v5
	;; [unrolled: 5-line block ×8, first 2 shown]
	s_cbranch_scc1 .LBB36_18
; %bb.1:
	s_ashr_i32 s1, s30, 31
	s_add_u32 s0, s51, s30
	s_addc_u32 s1, s50, s1
	s_lshl_b64 s[0:1], s[0:1], 8
	v_and_b32_e32 v83, 56, v78
	s_waitcnt lgkmcnt(0)
	s_add_u32 s20, s6, s0
	v_lshl_or_b32 v82, v75, 3, v79
	v_lshlrev_b32_e32 v2, 1, v83
	s_addc_u32 s0, s7, s1
	v_lshl_or_b32 v84, v82, 8, v2
	s_and_b32 s21, s0, 0xffff
	s_mov_b32 s23, 0x20000
	s_movk_i32 s22, 0x4000
	s_movk_i32 s0, 0x80
	v_or_b32_e32 v85, 0x2000, v84
	buffer_load_dwordx4 v[4:7], v84, s[20:23], 0 offen
	buffer_load_dwordx4 v[8:11], v84, s[20:23], s0 offen
	;; [unrolled: 1-line block ×4, first 2 shown]
	v_lshlrev_b32_e32 v3, 3, v82
	v_and_or_b32 v21, v0, 7, v3
	v_and_b32_e32 v3, 0x78, v3
	v_lshlrev_b32_e32 v21, 4, v21
	v_xor_b32_e32 v86, v21, v3
	v_mul_lo_u32 v20, v82, s15
	v_or_b32_e32 v87, 0x1000, v86
	v_xor_b32_e32 v3, 8, v86
	s_cmpk_eq_i32 s15, 0x80
	s_mov_b32 s53, s30
	v_xor_b32_e32 v21, 8, v87
	s_cselect_b64 s[0:1], -1, 0
	s_cmpk_lg_i32 s15, 0x80
	s_waitcnt vmcnt(3)
	ds_write_b64 v86, v[4:5] offset:49152
	ds_write_b64 v3, v[6:7] offset:49152
	s_waitcnt vmcnt(2)
	ds_write_b64 v86, v[8:9] offset:57344
	ds_write_b64 v3, v[10:11] offset:57344
	;; [unrolled: 3-line block ×4, first 2 shown]
	v_lshl_add_u32 v3, v20, 1, v83
	s_cbranch_scc0 .LBB36_3
; %bb.2:
	v_lshlrev_b32_e32 v5, 1, v3
	v_add_lshl_u32 v4, v3, s15, 1
	s_lshl_b32 s22, s15, 7
	v_lshl_or_b32 v2, v82, 9, v2
	s_cbranch_execz .LBB36_4
	s_branch .LBB36_5
.LBB36_3:
                                        ; implicit-def: $vgpr4
                                        ; implicit-def: $vgpr5
                                        ; implicit-def: $sgpr22
	v_lshl_or_b32 v2, v82, 9, v2
.LBB36_4:
	v_or_b32_e32 v4, 0x100, v2
	s_movk_i32 s22, 0x4000
	v_mov_b32_e32 v5, v2
.LBB36_5:
	s_mul_i32 s16, s30, s14
	s_ashr_i32 s54, s49, 31
	s_mul_hi_i32 s3, s30, s14
	s_add_u32 s16, s16, s49
	s_addc_u32 s17, s3, s54
	s_lshl_b64 s[16:17], s[16:17], 8
	s_add_u32 s20, s4, s16
	s_addc_u32 s3, s5, s17
	s_and_b32 s21, s3, 0xffff
	s_movk_i32 s55, 0x80
	buffer_load_dwordx4 v[6:9], v5, s[20:23], 0 offen
	buffer_load_dwordx4 v[10:13], v5, s[20:23], s55 offen
	;; [unrolled: 1-line block ×4, first 2 shown]
	v_and_b32_e32 v5, 6, v0
	v_lshlrev_b32_e32 v4, 7, v80
	v_xor_b32_e32 v27, v82, v5
	v_and_b32_e32 v22, 1, v0
	v_lshl_or_b32 v30, v77, 3, v4
	v_lshlrev_b32_e32 v27, 2, v27
	v_lshlrev_b32_e32 v23, 2, v77
	v_or_b32_e32 v88, 0x4000, v30
	v_or_b32_e32 v89, 0x6000, v30
	v_xor_b32_e32 v30, 0x440, v27
	v_cmp_eq_u32_e32 vcc, 0, v22
	v_or_b32_e32 v25, 16, v77
	v_or_b32_e32 v26, 32, v77
	v_xor_b32_e32 v28, v80, v23
	v_xor_b32_e32 v29, v81, v23
	v_cndmask_b32_e32 v22, v30, v27, vcc
	s_mov_b32 s56, 0x1000504
	v_lshl_or_b32 v31, v25, 3, v4
	v_lshlrev_b32_e32 v25, 8, v25
	v_lshl_or_b32 v32, v26, 3, v4
	v_lshlrev_b32_e32 v28, 1, v28
	v_lshlrev_b32_e32 v29, 1, v29
	v_lshl_or_b32 v5, v5, 10, v22
	s_add_i32 s3, s41, s33
	s_mov_b32 s57, 0x3020706
	v_lshlrev_b32_e32 v24, 8, v77
	v_or_b32_e32 v92, 0x4000, v32
	v_or_b32_e32 v93, 0x6000, v32
	;; [unrolled: 1-line block ×4, first 2 shown]
	v_xor_b32_e32 v22, 8, v5
	v_xor_b32_e32 v25, 24, v5
	;; [unrolled: 1-line block ×4, first 2 shown]
	s_add_i32 s37, s3, s40
	s_add_i32 s3, s43, s42
	v_or_b32_e32 v90, 0x4000, v31
	v_or_b32_e32 v91, 0x6000, v31
	v_or_b32_e32 v94, v24, v28
	v_or_b32_e32 v95, v24, v29
	v_xor_b32_e32 v24, 16, v5
	v_xor_b32_e32 v27, 32, v5
	;; [unrolled: 1-line block ×3, first 2 shown]
	v_add_u32_e32 v22, 0x80, v22
	v_add_u32_e32 v25, 0x80, v25
	;; [unrolled: 1-line block ×4, first 2 shown]
	s_add_i32 s35, s3, s44
	s_lshl_b64 s[16:17], s[36:37], 2
	s_add_u32 s3, s10, s16
	s_addc_u32 s20, s11, s17
	s_lshl_b64 s[16:17], s[34:35], 2
	s_add_u32 s16, s3, s16
	s_movk_i32 s3, 0xf8
	s_addc_u32 s17, s20, s17
	s_lshl_b32 s26, s15, 7
	s_movk_i32 s24, 0x100
	v_mov_b32_e32 v69, 0
	v_lshlrev_b32_e32 v68, 4, v77
	v_cmp_gt_u32_e32 vcc, s24, v0
	v_lshlrev_b32_e32 v26, 8, v26
	s_mov_b32 s58, 0
	s_movk_i32 s22, 0x4000
	v_or_b32_e32 v98, v26, v28
	v_or_b32_e32 v99, v26, v29
	s_movk_i32 s35, 0x2000
	s_movk_i32 s37, 0x3000
	s_waitcnt vmcnt(1)
	v_perm_b32 v33, v6, v14, s56
	s_waitcnt vmcnt(0)
	v_perm_b32 v35, v10, v18, s56
	v_perm_b32 v6, v6, v14, s57
	;; [unrolled: 1-line block ×15, first 2 shown]
	ds_write2st64_b32 v5, v33, v35 offset0:128 offset1:160
	ds_write2st64_b32 v22, v6, v10 offset0:128 offset1:160
	;; [unrolled: 1-line block ×8, first 2 shown]
	v_or_b32_e32 v5, 48, v77
	v_lshl_or_b32 v6, v5, 3, v4
	v_lshlrev_b32_e32 v5, 8, v5
	v_or_b32_e32 v102, v5, v28
	v_or_b32_e32 v103, v5, v29
	;; [unrolled: 1-line block ×3, first 2 shown]
	v_lshlrev_b32_e32 v5, 3, v5
	v_lshrrev_b32_e32 v7, 5, v74
	v_and_or_b32 v7, v5, s3, v7
	v_lshlrev_b32_e32 v7, 4, v7
	v_lshlrev_b32_e32 v8, 11, v75
	v_and_b32_e32 v5, 0x78, v5
	v_or_b32_e32 v13, 32, v7
	v_or_b32_e32 v100, 0x4000, v6
	;; [unrolled: 1-line block ×3, first 2 shown]
	v_and_b32_e32 v6, 0x1000, v8
	v_xor_b32_e32 v9, v7, v5
	v_lshrrev_b32_e32 v10, 1, v0
	v_xor_b32_e32 v13, v13, v5
	v_or_b32_e32 v9, v9, v6
	v_and_b32_e32 v11, 8, v10
	v_or_b32_e32 v13, v13, v6
	v_xor_b32_e32 v104, v9, v11
	v_lshlrev_b32_e32 v9, 8, v76
	v_xor_b32_e32 v106, v13, v11
	v_or_b32_e32 v13, 64, v7
	v_or_b32_e32 v7, 0x60, v7
	s_ashr_i32 s3, s2, 31
	v_or_b32_e32 v12, v9, v23
	v_xor_b32_e32 v13, v13, v5
	v_xor_b32_e32 v5, v7, v5
	s_lshl_b64 s[20:21], s[2:3], 8
	v_lshlrev_b32_e32 v12, 1, v12
	v_or_b32_e32 v13, v13, v6
	v_or_b32_e32 v5, v5, v6
	s_add_u32 s20, s18, s20
	v_lshlrev_b32_e32 v6, 1, v77
	v_or_b32_e32 v105, 0x4000, v12
	v_or_b32_e32 v107, 0x4080, v12
	;; [unrolled: 1-line block ×8, first 2 shown]
	v_lshrrev_b32_e32 v12, 4, v0
	s_addc_u32 s21, s19, s21
	v_or_b32_e32 v7, 1, v6
	v_mov_b32_e32 v16, 0xa000
	v_mov_b32_e32 v17, 0x8000
	v_xor_b32_e32 v110, v13, v11
	v_xor_b32_e32 v13, v12, v6
	v_xor_b32_e32 v14, v7, v12
	v_lshl_add_u64 v[6:7], s[20:21], 0, v[68:69]
	v_lshlrev_b32_e32 v68, 8, v12
	v_cndmask_b32_e32 v16, v16, v17, vcc
	v_lshlrev_b32_e32 v17, 3, v75
	v_and_b32_e32 v10, 24, v10
	v_lshl_or_b32 v116, v13, 3, v68
	v_and_b32_e32 v13, 8, v0
	v_xor_b32_e32 v18, v17, v10
	v_or_b32_e32 v19, 0x440, v18
	v_cmp_eq_u32_e32 vcc, 0, v13
	v_and_b32_e32 v12, 7, v0
	v_lshl_or_b32 v117, v14, 3, v68
	v_cndmask_b32_e32 v13, v19, v18, vcc
	v_lshlrev_b32_e32 v14, 3, v12
	v_lshlrev_b32_e32 v12, 7, v12
	v_or_b32_e32 v13, v13, v8
	v_lshlrev_b32_e32 v15, 2, v0
	v_xad_u32 v118, v13, v14, v12
	v_or_b32_e32 v13, 32, v10
	v_and_or_b32 v9, v15, 60, v9
	v_xor_b32_e32 v13, v17, v13
	v_lshlrev_b32_e32 v9, 1, v9
	v_or_b32_e32 v15, 0x440, v13
	v_or_b32_e32 v119, 0x6000, v9
	v_cndmask_b32_e32 v13, v15, v13, vcc
	v_or_b32_e32 v121, 0x6080, v9
	v_or_b32_e32 v122, 0x6100, v9
	v_or_b32_e32 v123, 0x6180, v9
	v_or_b32_e32 v9, 64, v10
	v_or_b32_e32 v13, v13, v8
	v_xor_b32_e32 v9, v17, v9
	v_xad_u32 v120, v13, v14, v12
	v_xor_b32_e32 v13, 0x440, v9
	v_cndmask_b32_e32 v9, v13, v9, vcc
	v_or_b32_e32 v9, v9, v8
	v_xad_u32 v124, v9, v14, v12
	v_or_b32_e32 v9, 0x60, v10
	v_xor_b32_e32 v9, v17, v9
	v_xor_b32_e32 v10, 0x440, v9
	v_cndmask_b32_e32 v9, v10, v9, vcc
	v_or_b32_e32 v8, v9, v8
	v_xor_b32_e32 v111, v5, v11
	v_ashrrev_i32_e32 v35, 31, v34
	v_lshlrev_b32_e32 v5, 1, v3
	v_add_lshl_u32 v3, v3, s15, 1
	v_or_b32_e32 v11, 0x100, v2
	v_xad_u32 v125, v8, v14, v12
	v_cndmask_b32_e64 v126, v5, v2, s[0:1]
	v_cndmask_b32_e64 v127, v3, v11, s[0:1]
	v_lshl_add_u64 v[70:71], v[34:35], 1, s[8:9]
	v_lshl_add_u64 v[72:73], v[6:7], 0, v[68:69]
	s_mov_b32 s3, 0x7060302
	v_lshlrev_b32_e32 v68, 1, v4
	v_add_u32_e32 v35, v16, v118
	v_add_u32_e32 v128, v16, v120
	;; [unrolled: 1-line block ×4, first 2 shown]
	s_waitcnt lgkmcnt(0)
	s_barrier
.LBB36_6:                               ; =>This Inner Loop Header: Depth=1
	s_add_i32 s59, s58, 1
	s_cmp_lt_i32 s59, s47
	s_mov_b64 s[24:25], 0
	s_cselect_b64 s[38:39], -1, 0
	s_cmp_ge_i32 s59, s47
	s_mov_b64 s[20:21], 0
	s_cbranch_scc1 .LBB36_8
; %bb.7:                                ;   in Loop: Header=BB36_6 Depth=1
	s_add_i32 s0, s53, 64
	s_ashr_i32 s1, s0, 31
	s_add_u32 s0, s51, s0
	s_addc_u32 s1, s50, s1
	s_lshl_b64 s[0:1], s[0:1], 8
	s_add_u32 s20, s6, s0
	s_addc_u32 s21, s7, s1
.LBB36_8:                               ;   in Loop: Header=BB36_6 Depth=1
	v_cndmask_b32_e64 v2, 0, 1, s[38:39]
	v_cmp_ne_u32_e64 s[0:1], 1, v2
	s_andn2_b64 vcc, exec, s[38:39]
	s_cbranch_vccnz .LBB36_10
; %bb.9:                                ;   in Loop: Header=BB36_6 Depth=1
	s_add_i32 s24, s53, 64
	s_mul_hi_i32 s25, s24, s14
	s_mul_i32 s24, s24, s14
	s_add_u32 s24, s24, s49
	s_addc_u32 s25, s25, s54
	s_lshl_b64 s[24:25], s[24:25], 8
	s_add_u32 s24, s4, s24
	s_addc_u32 s25, s5, s25
.LBB36_10:                              ;   in Loop: Header=BB36_6 Depth=1
	v_perm_b32 v3, v67, v66, s3
	v_perm_b32 v2, v63, v62, s3
	v_perm_b32 v5, v65, v64, s3
	v_perm_b32 v4, v61, v60, s3
	ds_write_b64 v88, v[2:3]
	ds_write_b64 v89, v[4:5]
	ds_write_b64 v94, v[2:3]
	ds_write_b64 v95, v[4:5]
	v_perm_b32 v3, v59, v58, s3
	v_perm_b32 v2, v55, v54, s3
	v_perm_b32 v5, v57, v56, s3
	v_perm_b32 v4, v53, v52, s3
	ds_write_b64 v90, v[2:3]
	ds_write_b64 v91, v[4:5]
	ds_write_b64 v96, v[2:3]
	ds_write_b64 v97, v[4:5]
	;; [unrolled: 8-line block ×4, first 2 shown]
	s_waitcnt lgkmcnt(0)
	s_barrier
	ds_read_b64 v[6:7], v104 offset:49152
	ds_read2_b64 v[2:5], v105 offset1:16
	ds_read_b64 v[18:19], v107 offset:6144
	ds_read_b64 v[20:21], v105 offset:6144
	s_waitcnt lgkmcnt(2)
	v_mfma_f32_16x16x16_bf16 a[0:3], v[6:7], v[2:3], 0
	ds_read_b64 v[22:23], v106 offset:49152
	ds_read2st64_b64 v[10:13], v108 offset0:4 offset1:8
	ds_read2st64_b64 v[14:17], v109 offset0:4 offset1:8
	v_mfma_f32_16x16x16_bf16 a[4:7], v[6:7], v[4:5], 0
	ds_read2_b64 v[2:5], v105 offset0:32 offset1:48
	s_add_i32 s27, s53, 63
	s_ashr_i32 s38, s27, 31
	s_waitcnt lgkmcnt(0)
	v_mfma_f32_16x16x16_bf16 a[8:11], v[6:7], v[2:3], 0
	s_mul_i32 s39, s27, s29
	s_mul_hi_u32 s60, s27, s28
	s_add_i32 s39, s60, s39
	v_mfma_f32_16x16x16_bf16 a[12:15], v[6:7], v[4:5], 0
	ds_read2st64_b64 v[2:5], v105 offset0:4 offset1:8
	ds_read2st64_b64 v[6:9], v107 offset0:4 offset1:8
	s_mul_i32 s38, s38, s28
	s_waitcnt lgkmcnt(1)
	v_mfma_f32_16x16x16_bf16 a[0:3], v[22:23], v[2:3], a[0:3]
	s_add_i32 s39, s39, s38
	s_mul_i32 s38, s27, s28
	s_lshl_b64 s[38:39], s[38:39], 2
	s_waitcnt lgkmcnt(0)
	v_mfma_f32_16x16x16_bf16 a[4:7], v[22:23], v[6:7], a[4:7]
	s_add_u32 s38, s16, s38
	s_addc_u32 s39, s17, s39
	s_and_b64 vcc, exec, s[0:1]
	v_mfma_f32_16x16x16_bf16 a[8:11], v[22:23], v[10:11], a[8:11]
	ds_read_b64 v[2:3], v110 offset:49152
	ds_read_b64 v[6:7], v111 offset:49152
	ds_read_b64 v[10:11], v109 offset:6144
	v_mov_b32_e32 v133, 0
	v_mov_b32_e32 v132, 0
	v_mfma_f32_16x16x16_bf16 a[12:15], v[22:23], v[14:15], a[12:15]
	v_mov_b32_e32 v131, 0
	v_mov_b32_e32 v14, 0
	;; [unrolled: 1-line block ×3, first 2 shown]
	s_waitcnt lgkmcnt(2)
	v_mfma_f32_16x16x16_bf16 a[0:3], v[2:3], v[4:5], a[0:3]
	v_mov_b32_e32 v4, 0
	v_mov_b32_e32 v5, 0
	v_mfma_f32_16x16x16_bf16 a[16:19], v[2:3], v[8:9], a[4:7]
	v_mov_b32_e32 v8, 0
	v_mov_b32_e32 v9, 0
	;; [unrolled: 3-line block ×3, first 2 shown]
	v_mfma_f32_16x16x16_bf16 a[24:27], v[2:3], v[16:17], a[12:15]
	ds_read_b64 v[2:3], v108 offset:6144
	v_mov_b32_e32 v16, 0
	v_mov_b32_e32 v17, 0
	s_waitcnt lgkmcnt(2)
	v_mfma_f32_16x16x16_bf16 a[4:7], v[6:7], v[20:21], a[0:3]
	v_mfma_f32_16x16x16_bf16 a[8:11], v[6:7], v[18:19], a[16:19]
	s_waitcnt lgkmcnt(0)
	v_mfma_f32_16x16x16_bf16 a[12:15], v[6:7], v[2:3], a[20:23]
	v_mov_b32_e32 v2, 0
	v_mov_b32_e32 v3, 0
	v_mfma_f32_16x16x16_bf16 a[0:3], v[6:7], v[10:11], a[24:27]
	v_mov_b32_e32 v6, 0
	v_mov_b32_e32 v7, 0
	v_mov_b32_e32 v10, 0
	v_mov_b32_e32 v11, 0
	s_cbranch_vccnz .LBB36_12
; %bb.11:                               ;   in Loop: Header=BB36_6 Depth=1
	s_and_b32 s21, s21, 0xffff
	buffer_load_dwordx4 v[14:17], v84, s[20:23], 0 offen
	buffer_load_dwordx4 v[10:13], v84, s[20:23], s55 offen
	;; [unrolled: 1-line block ×4, first 2 shown]
	v_mov_b32_e32 v132, v86
	v_mov_b32_e32 v131, v87
.LBB36_12:                              ;   in Loop: Header=BB36_6 Depth=1
	ds_read_b64 v[134:135], v104 offset:57344
	ds_read2_b64 v[18:21], v112 offset1:16
	ds_read_b64 v[136:137], v106 offset:57344
	ds_read_b64 v[138:139], v110 offset:57344
	;; [unrolled: 1-line block ×3, first 2 shown]
	v_add_u32_e32 v142, s53, v80
	s_waitcnt lgkmcnt(3)
	v_mfma_f32_16x16x16_bf16 a[4:7], v[134:135], v[18:19], a[4:7]
	v_mfma_f32_16x16x16_bf16 a[8:11], v[134:135], v[20:21], a[8:11]
	ds_read2_b64 v[18:21], v112 offset0:32 offset1:48
	ds_read2st64_b64 v[22:25], v112 offset0:4 offset1:8
	ds_read2st64_b64 v[26:29], v113 offset0:4 offset1:8
	;; [unrolled: 1-line block ×3, first 2 shown]
	s_waitcnt lgkmcnt(3)
	v_mfma_f32_16x16x16_bf16 a[12:15], v[134:135], v[18:19], a[12:15]
	v_ashrrev_i32_e32 v18, 31, v142
	v_mfma_f32_16x16x16_bf16 a[0:3], v[134:135], v[20:21], a[0:3]
	v_mul_lo_u32 v20, v18, s28
	v_mul_lo_u32 v21, v142, s29
	v_mad_u64_u32 v[18:19], s[20:21], v142, s28, 0
	v_add3_u32 v19, v19, v21, v20
	v_add_u32_e32 v20, 1, v142
	v_ashrrev_i32_e32 v21, 31, v20
	s_waitcnt lgkmcnt(2)
	v_mfma_f32_16x16x16_bf16 a[4:7], v[136:137], v[22:23], a[4:7]
	v_mul_lo_u32 v22, v21, s28
	v_mul_lo_u32 v23, v20, s29
	v_mad_u64_u32 v[20:21], s[20:21], v20, s28, 0
	v_add3_u32 v21, v21, v23, v22
	v_add_u32_e32 v22, 2, v142
	v_ashrrev_i32_e32 v23, 31, v22
	s_waitcnt lgkmcnt(1)
	v_mfma_f32_16x16x16_bf16 a[8:11], v[136:137], v[26:27], a[8:11]
	v_mul_lo_u32 v26, v23, s28
	v_mul_lo_u32 v27, v22, s29
	v_mad_u64_u32 v[22:23], s[20:21], v22, s28, 0
	v_add3_u32 v23, v23, v27, v26
	v_add_u32_e32 v26, 3, v142
	v_ashrrev_i32_e32 v27, 31, v26
	v_mul_lo_u32 v134, v27, s28
	v_mul_lo_u32 v135, v26, s29
	v_mad_u64_u32 v[26:27], s[20:21], v26, s28, 0
	s_ashr_i32 s21, s53, 31
	s_add_u32 s20, s51, s53
	s_addc_u32 s21, s50, s21
	v_lshl_add_u64 v[18:19], v[18:19], 2, s[16:17]
	v_add3_u32 v27, v27, v135, v134
	s_lshl_b64 s[20:21], s[20:21], 8
	v_lshl_add_u64 v[20:21], v[20:21], 2, s[16:17]
	v_lshl_add_u64 v[22:23], v[22:23], 2, s[16:17]
	;; [unrolled: 1-line block ×3, first 2 shown]
	global_load_dword v134, v[18:19], off
	global_load_dword v135, v[20:21], off
	;; [unrolled: 1-line block ×4, first 2 shown]
	v_lshl_add_u64 v[18:19], v[70:71], 0, s[20:21]
	v_lshl_add_u64 v[22:23], v[18:19], 0, v[68:69]
	global_load_ushort v144, v[22:23], off offset:256
	global_load_ushort v145, v[22:23], off
	ds_read2st64_b64 v[18:21], v115 offset0:4 offset1:8
	global_load_ushort v146, v[22:23], off offset:768
	global_load_ushort v147, v[22:23], off offset:512
	s_waitcnt lgkmcnt(1)
	v_mfma_f32_16x16x16_bf16 a[12:15], v[136:137], v[30:31], a[12:15]
	s_and_b64 vcc, exec, s[0:1]
	s_waitcnt vmcnt(3)
	v_lshlrev_b32_e32 v31, 16, v144
	s_waitcnt lgkmcnt(0)
	v_mfma_f32_16x16x16_bf16 a[0:3], v[136:137], v[18:19], a[0:3]
	global_load_ushort v136, v[22:23], off offset:288
	global_load_ushort v137, v[22:23], off offset:32
	;; [unrolled: 1-line block ×8, first 2 shown]
	v_mfma_f32_16x16x16_bf16 a[4:7], v[138:139], v[24:25], a[4:7]
	ds_read_b64 v[18:19], v112 offset:6144
	s_waitcnt vmcnt(10)
	v_lshlrev_b32_e32 v30, 16, v145
	v_mfma_f32_16x16x16_bf16 a[8:11], v[138:139], v[28:29], a[8:11]
	v_mfma_f32_16x16x16_bf16 a[12:15], v[138:139], v[32:33], a[12:15]
	;; [unrolled: 1-line block ×3, first 2 shown]
	global_load_ushort v138, v[22:23], off offset:352
	global_load_ushort v139, v[22:23], off offset:96
	ds_read_b64 v[20:21], v113 offset:6144
	ds_read_b64 v[24:25], v114 offset:6144
	;; [unrolled: 1-line block ×3, first 2 shown]
	global_load_ushort v154, v[22:23], off offset:864
	global_load_ushort v155, v[22:23], off offset:608
	s_load_dword s20, s[38:39], 0x0
	s_waitcnt lgkmcnt(0)
	v_mfma_f32_16x16x16_bf16 a[4:7], v[140:141], v[18:19], a[4:7]
	v_sub_f32_e32 v28, s20, v142
	v_mfma_f32_16x16x16_bf16 a[0:3], v[140:141], v[26:27], a[0:3]
	v_sub_f32_e32 v26, s20, v134
	v_sub_f32_e32 v27, s20, v135
	;; [unrolled: 1-line block ×3, first 2 shown]
	v_mfma_f32_16x16x16_bf16 a[8:11], v[140:141], v[20:21], a[8:11]
	v_exp_f32_e32 v26, v26
	v_exp_f32_e32 v27, v27
	;; [unrolled: 1-line block ×4, first 2 shown]
	v_accvgpr_read_b32 v33, a5
	v_accvgpr_read_b32 v32, a4
	;; [unrolled: 1-line block ×4, first 2 shown]
	v_pk_add_f32 v[30:31], v[30:31], v[32:33] neg_lo:[0,1] neg_hi:[0,1]
	s_waitcnt vmcnt(13)
	v_lshlrev_b32_e32 v33, 16, v146
	s_waitcnt vmcnt(12)
	v_lshlrev_b32_e32 v32, 16, v147
	v_pk_add_f32 v[18:19], v[32:33], v[18:19] neg_lo:[0,1] neg_hi:[0,1]
	v_pk_mul_f32 v[30:31], v[26:27], v[30:31]
	v_pk_mul_f32 v[18:19], v[28:29], v[18:19]
	v_accvgpr_read_b32 v33, a9
	v_perm_b32 v19, v19, v18, s3
	v_perm_b32 v18, v31, v30, s3
	v_accvgpr_read_b32 v32, a8
	v_accvgpr_read_b32 v21, a11
	v_mfma_f32_16x16x16_bf16 a[12:15], v[140:141], v[24:25], a[12:15]
	v_accvgpr_read_b32 v20, a10
	v_accvgpr_read_b32 v25, a3
	;; [unrolled: 1-line block ×3, first 2 shown]
	v_mov_b32_e32 v134, 0
	s_waitcnt vmcnt(11)
	v_lshlrev_b32_e32 v31, 16, v136
	s_waitcnt vmcnt(10)
	v_lshlrev_b32_e32 v30, 16, v137
	v_pk_add_f32 v[30:31], v[30:31], v[32:33] neg_lo:[0,1] neg_hi:[0,1]
	s_waitcnt vmcnt(9)
	v_lshlrev_b32_e32 v33, 16, v148
	s_waitcnt vmcnt(8)
	v_lshlrev_b32_e32 v32, 16, v149
	v_pk_add_f32 v[20:21], v[32:33], v[20:21] neg_lo:[0,1] neg_hi:[0,1]
	v_pk_mul_f32 v[30:31], v[26:27], v[30:31]
	v_pk_mul_f32 v[20:21], v[28:29], v[20:21]
	v_accvgpr_read_b32 v23, a15
	v_perm_b32 v21, v21, v20, s3
	v_perm_b32 v20, v31, v30, s3
	ds_write2_b64 v89, v[18:19], v[20:21] offset1:16
	v_accvgpr_read_b32 v21, a13
	s_waitcnt vmcnt(7)
	v_lshlrev_b32_e32 v19, 16, v150
	s_waitcnt vmcnt(6)
	v_lshlrev_b32_e32 v18, 16, v151
	v_accvgpr_read_b32 v20, a12
	v_accvgpr_read_b32 v22, a14
	v_pk_add_f32 v[18:19], v[18:19], v[20:21] neg_lo:[0,1] neg_hi:[0,1]
	s_waitcnt vmcnt(5)
	v_lshlrev_b32_e32 v21, 16, v152
	s_waitcnt vmcnt(4)
	v_lshlrev_b32_e32 v20, 16, v153
	v_pk_add_f32 v[20:21], v[20:21], v[22:23] neg_lo:[0,1] neg_hi:[0,1]
	v_pk_mul_f32 v[18:19], v[26:27], v[18:19]
	v_pk_mul_f32 v[20:21], v[28:29], v[20:21]
	v_accvgpr_read_b32 v23, a1
	v_perm_b32 v21, v21, v20, s3
	v_perm_b32 v20, v19, v18, s3
	s_waitcnt vmcnt(3)
	v_lshlrev_b32_e32 v19, 16, v138
	s_waitcnt vmcnt(2)
	v_lshlrev_b32_e32 v18, 16, v139
	v_accvgpr_read_b32 v22, a0
	v_pk_add_f32 v[18:19], v[18:19], v[22:23] neg_lo:[0,1] neg_hi:[0,1]
	s_waitcnt vmcnt(1)
	v_lshlrev_b32_e32 v23, 16, v154
	s_waitcnt vmcnt(0)
	v_lshlrev_b32_e32 v22, 16, v155
	v_pk_add_f32 v[22:23], v[22:23], v[24:25] neg_lo:[0,1] neg_hi:[0,1]
	v_pk_mul_f32 v[18:19], v[26:27], v[18:19]
	v_pk_mul_f32 v[22:23], v[28:29], v[22:23]
	v_mov_b32_e32 v24, 0
	v_perm_b32 v23, v23, v22, s3
	v_perm_b32 v22, v19, v18, s3
	ds_write2_b64 v89, v[20:21], v[22:23] offset0:32 offset1:48
	v_mov_b32_e32 v18, 0
	v_mov_b32_e32 v19, 0
	;; [unrolled: 1-line block ×15, first 2 shown]
	s_cbranch_vccnz .LBB36_14
; %bb.13:                               ;   in Loop: Header=BB36_6 Depth=1
	s_and_b32 s25, s25, 0xffff
	s_mov_b32 s27, s23
	buffer_load_dwordx4 v[30:33], v126, s[24:27], 0 offen
	buffer_load_dwordx4 v[22:25], v126, s[24:27], s55 offen
	;; [unrolled: 1-line block ×4, first 2 shown]
	v_mov_b32_e32 v133, v83
	v_mov_b32_e32 v134, v82
.LBB36_14:                              ;   in Loop: Header=BB36_6 Depth=1
	s_waitcnt lgkmcnt(0)
	s_barrier
	ds_read_b64 v[144:145], v35
	ds_read2_b64 v[136:139], v119 offset1:16
	ds_read_b64 v[160:161], v128
	ds_read_b64 v[162:163], v129
	;; [unrolled: 1-line block ×3, first 2 shown]
	ds_read2_b64 v[140:143], v119 offset0:32 offset1:48
	s_waitcnt lgkmcnt(4)
	v_mfma_f32_16x16x16_bf16 a[0:3], v[144:145], v[136:137], 0
	ds_read2st64_b64 v[148:151], v121 offset0:4 offset1:8
	ds_read2st64_b64 v[152:155], v122 offset0:4 offset1:8
	;; [unrolled: 1-line block ×3, first 2 shown]
	v_mfma_f32_16x16x16_bf16 a[4:7], v[144:145], v[138:139], 0
	s_add_i32 s21, s52, s58
	s_mul_hi_i32 s25, s21, s13
	s_mul_i32 s21, s21, s13
	s_waitcnt lgkmcnt(3)
	v_mfma_f32_16x16x16_bf16 a[8:11], v[144:145], v[140:141], 0
	s_add_u32 s24, s21, s45
	s_addc_u32 s25, s25, s46
	s_lshl_b64 s[24:25], s[24:25], 15
	v_mfma_f32_16x16x16_bf16 a[12:15], v[144:145], v[142:143], 0
	ds_read2st64_b64 v[144:147], v119 offset0:4 offset1:8
	s_waitcnt lgkmcnt(0)
	v_mfma_f32_16x16x16_bf16 a[0:3], v[160:161], v[144:145], a[0:3]
	v_mfma_f32_16x16x16_bf16 a[4:7], v[160:161], v[148:149], a[4:7]
	;; [unrolled: 1-line block ×8, first 2 shown]
	ds_read_b64 v[160:161], v119 offset:6144
	ds_read_b64 v[162:163], v120 offset:40960
	;; [unrolled: 1-line block ×8, first 2 shown]
	s_waitcnt lgkmcnt(5)
	v_mfma_f32_16x16x16_bf16 a[16:19], v[166:167], v[136:137], 0
	v_mfma_f32_16x16x16_bf16 a[20:23], v[166:167], v[138:139], 0
	ds_read2st64_b64 v[136:139], v116 offset1:8
	v_mfma_f32_16x16x16_bf16 a[24:27], v[166:167], v[140:141], 0
	v_mfma_f32_16x16x16_bf16 a[28:31], v[166:167], v[142:143], 0
	ds_read2st64_b64 v[140:143], v117 offset1:8
	v_mfma_f32_16x16x16_bf16 a[16:19], v[162:163], v[144:145], a[16:19]
	s_waitcnt lgkmcnt(1)
	v_mov_b32_e32 v144, v136
	v_mov_b32_e32 v145, v137
	v_mfma_f32_16x16x16_bf16 a[20:23], v[162:163], v[148:149], a[20:23]
	v_lshl_add_u64 v[148:149], v[72:73], 0, s[24:25]
	v_mfma_f32_16x16x16_bf16 a[24:27], v[162:163], v[152:153], a[24:27]
	v_mfma_f32_16x16x16_bf16 a[28:31], v[162:163], v[156:157], a[28:31]
	;; [unrolled: 1-line block ×3, first 2 shown]
	s_waitcnt lgkmcnt(0)
	v_mov_b32_e32 v146, v140
	v_mov_b32_e32 v147, v141
	v_mov_b32_e32 v140, v138
	v_mfma_f32_16x16x16_bf16 a[32:35], v[174:175], v[150:151], a[20:23]
	v_mov_b32_e32 v141, v139
	ds_read2st64_b64 v[136:139], v116 offset0:16 offset1:24
	global_store_dwordx4 v[148:149], v[144:147], off
	v_mfma_f32_16x16x16_bf16 a[24:27], v[174:175], v[154:155], a[24:27]
	ds_read2st64_b64 v[144:147], v117 offset0:16 offset1:24
	v_add_co_u32_e32 v150, vcc, s35, v148
	v_mfma_f32_16x16x16_bf16 a[28:31], v[174:175], v[158:159], a[28:31]
	s_nop 0
	v_addc_co_u32_e32 v151, vcc, 0, v149, vcc
	global_store_dwordx4 v[150:151], v[140:143], off offset:-4096
	v_mfma_f32_16x16x16_bf16 a[0:3], v[164:165], v[160:161], a[0:3]
	s_waitcnt lgkmcnt(1)
	v_mov_b32_e32 v140, v136
	v_add_co_u32_e32 v136, vcc, s37, v148
	v_mfma_f32_16x16x16_bf16 a[4:7], v[164:165], v[168:169], a[4:7]
	v_mov_b32_e32 v141, v137
	v_addc_co_u32_e32 v137, vcc, 0, v149, vcc
	v_mfma_f32_16x16x16_bf16 a[8:11], v[164:165], v[170:171], a[8:11]
	s_waitcnt lgkmcnt(0)
	v_mov_b32_e32 v142, v144
	v_mov_b32_e32 v143, v145
	;; [unrolled: 1-line block ×3, first 2 shown]
	v_mfma_f32_16x16x16_bf16 a[12:15], v[164:165], v[172:173], a[12:15]
	v_mov_b32_e32 v145, v139
	s_and_b64 vcc, exec, s[0:1]
	global_store_dwordx4 v[150:151], v[140:143], off
	v_mfma_f32_16x16x16_bf16 a[20:23], v[176:177], v[160:161], a[16:19]
	global_store_dwordx4 v[136:137], v[144:147], off
	v_mfma_f32_16x16x16_bf16 a[16:19], v[176:177], v[168:169], a[32:35]
	v_mfma_f32_16x16x16_bf16 a[24:27], v[176:177], v[170:171], a[24:27]
	;; [unrolled: 1-line block ×3, first 2 shown]
	s_cbranch_vccnz .LBB36_16
; %bb.15:                               ;   in Loop: Header=BB36_6 Depth=1
	v_lshrrev_b32_e32 v135, 3, v133
	v_and_b32_e32 v135, 6, v135
	v_xor_b32_e32 v134, v135, v134
	v_lshlrev_b32_e32 v134, 2, v134
	v_and_b32_e32 v133, 8, v133
	v_xor_b32_e32 v136, 0x440, v134
	v_cmp_eq_u32_e32 vcc, 0, v133
	s_barrier
	s_nop 0
	v_cndmask_b32_e32 v133, v136, v134, vcc
	v_lshl_or_b32 v133, v135, 10, v133
	s_waitcnt vmcnt(5)
	v_perm_b32 v134, v30, v26, s56
	s_waitcnt vmcnt(4)
	v_perm_b32 v135, v22, v18, s56
	ds_write2st64_b32 v133, v134, v135 offset0:128 offset1:160
	v_xor_b32_e32 v134, 8, v133
	v_perm_b32 v26, v30, v26, s57
	v_perm_b32 v18, v22, v18, s57
	v_add_u32_e32 v22, 0x80, v134
	ds_write2st64_b32 v22, v26, v18 offset0:128 offset1:160
	v_xor_b32_e32 v18, 16, v133
	v_perm_b32 v22, v31, v27, s56
	v_perm_b32 v26, v23, v19, s56
	ds_write2st64_b32 v18, v22, v26 offset0:129 offset1:161
	v_xor_b32_e32 v18, 24, v133
	v_perm_b32 v22, v31, v27, s57
	v_perm_b32 v19, v23, v19, s57
	v_add_u32_e32 v18, 0x80, v18
	ds_write2st64_b32 v18, v22, v19 offset0:129 offset1:161
	v_xor_b32_e32 v18, 32, v133
	v_perm_b32 v19, v32, v28, s56
	;; [unrolled: 9-line block ×3, first 2 shown]
	v_perm_b32 v20, v25, v21, s56
	ds_write2st64_b32 v18, v19, v20 offset0:131 offset1:163
	v_xor_b32_e32 v18, 56, v133
	v_perm_b32 v19, v33, v29, s57
	v_perm_b32 v20, v25, v21, s57
	v_add_u32_e32 v18, 0x80, v18
	ds_write2st64_b32 v18, v19, v20 offset0:131 offset1:163
	ds_write_b64 v132, v[14:15] offset:49152
	v_xor_b32_e32 v14, 8, v132
	ds_write_b64 v14, v[16:17] offset:49152
	ds_write_b64 v132, v[10:11] offset:57344
	;; [unrolled: 1-line block ×4, first 2 shown]
	v_xor_b32_e32 v6, 8, v131
	ds_write_b64 v6, v[8:9] offset:49152
	ds_write_b64 v131, v[2:3] offset:57344
	;; [unrolled: 1-line block ×3, first 2 shown]
.LBB36_16:                              ;   in Loop: Header=BB36_6 Depth=1
	v_exp_f32_e32 v132, s20
	v_accvgpr_read_b32 v5, a3
	v_accvgpr_read_b32 v9, a7
	v_accvgpr_read_b32 v13, a11
	v_accvgpr_read_b32 v17, a15
	s_waitcnt vmcnt(4)
	v_accvgpr_read_b32 v18, a20
	v_accvgpr_read_b32 v25, a19
	;; [unrolled: 1-line block ×28, first 2 shown]
	s_add_i32 s53, s53, 64
	v_pk_fma_f32 v[62:63], v[62:63], v[132:133], v[2:3] op_sel_hi:[1,0,1]
	v_pk_fma_f32 v[66:67], v[66:67], v[132:133], v[4:5] op_sel_hi:[1,0,1]
	;; [unrolled: 1-line block ×15, first 2 shown]
	s_cmp_eq_u32 s47, s59
	v_pk_fma_f32 v[40:41], v[40:41], v[132:133], v[32:33] op_sel_hi:[1,0,1]
	s_cbranch_scc1 .LBB36_18
; %bb.17:                               ;   in Loop: Header=BB36_6 Depth=1
	s_mov_b32 s58, s59
	s_branch .LBB36_6
.LBB36_18:
	s_lshl_b32 s26, s47, 6
	s_sub_i32 s27, s48, s26
	s_cmp_gt_i32 s27, 0
	s_cbranch_scc0 .LBB36_99
; %bb.19:
	s_add_i32 s26, s26, s30
	s_ashr_i32 s3, s26, 31
	s_cmpk_lg_i32 s15, 0x80
	s_cselect_b64 s[22:23], -1, 0
	s_and_b64 vcc, exec, s[22:23]
	s_cbranch_vccz .LBB36_21
; %bb.20:
	s_mul_hi_i32 s0, s26, s14
	s_mul_i32 s1, s26, s14
	s_ashr_i32 s14, s49, 31
	s_add_u32 s24, s1, s49
	s_addc_u32 s25, s0, s14
	s_cbranch_execz .LBB36_22
	s_branch .LBB36_23
.LBB36_21:
                                        ; implicit-def: $sgpr24_sgpr25
.LBB36_22:
	s_mul_i32 s1, s49, s12
	s_mul_hi_i32 s0, s49, s12
	s_add_u32 s24, s1, s26
	s_addc_u32 s25, s0, s3
.LBB36_23:
	s_waitcnt lgkmcnt(0)
	s_add_i32 s12, s47, s52
	s_add_u32 s0, s51, s26
	v_lshlrev_b32_e32 v6, 6, v80
	v_lshlrev_b32_e32 v24, 2, v77
	s_addc_u32 s1, s50, s3
	s_mov_b32 s3, 0x7060302
	v_or_b32_e32 v9, v6, v24
	v_xor_b32_e32 v7, v80, v24
	v_perm_b32 v3, v67, v66, s3
	v_perm_b32 v2, v63, v62, s3
	;; [unrolled: 1-line block ×4, first 2 shown]
	v_lshlrev_b32_e32 v9, 1, v9
	v_xor_b32_e32 v8, v81, v24
	ds_write2st64_b64 v9, v[2:3], v[4:5] offset0:32 offset1:48
	v_lshlrev_b32_e32 v7, 1, v7
	v_lshlrev_b32_e32 v9, 8, v77
	v_or_b32_e32 v10, v7, v9
	v_lshlrev_b32_e32 v8, 1, v8
	ds_write_b64 v10, v[2:3]
	v_or_b32_e32 v2, v8, v9
	v_or_b32_e32 v9, 16, v77
	v_lshlrev_b32_e32 v23, 2, v9
	v_or_b32_e32 v10, v6, v23
	ds_write_b64 v2, v[4:5]
	v_perm_b32 v3, v59, v58, s3
	v_perm_b32 v2, v55, v54, s3
	;; [unrolled: 1-line block ×4, first 2 shown]
	v_lshlrev_b32_e32 v10, 1, v10
	v_lshlrev_b32_e32 v9, 8, v9
	ds_write2st64_b64 v10, v[2:3], v[4:5] offset0:32 offset1:48
	v_or_b32_e32 v10, v7, v9
	ds_write_b64 v10, v[2:3]
	v_or_b32_e32 v2, v8, v9
	v_or_b32_e32 v9, 32, v77
	v_lshlrev_b32_e32 v22, 2, v9
	v_or_b32_e32 v10, v6, v22
	ds_write_b64 v2, v[4:5]
	v_perm_b32 v3, v51, v50, s3
	v_perm_b32 v2, v47, v46, s3
	v_perm_b32 v5, v49, v48, s3
	v_perm_b32 v4, v45, v44, s3
	v_lshlrev_b32_e32 v10, 1, v10
	v_lshlrev_b32_e32 v9, 8, v9
	s_lshl_b64 s[20:21], s[0:1], 8
	ds_write2st64_b64 v10, v[2:3], v[4:5] offset0:32 offset1:48
	v_or_b32_e32 v10, v7, v9
	s_add_u32 s0, s6, s20
	ds_write_b64 v10, v[2:3]
	v_or_b32_e32 v2, v8, v9
	s_addc_u32 s1, s7, s21
	ds_write_b64 v2, v[4:5]
	v_perm_b32 v3, v43, v42, s3
	v_perm_b32 v2, v39, v38, s3
	;; [unrolled: 1-line block ×4, first 2 shown]
	v_or_b32_e32 v9, 48, v77
	s_mul_hi_i32 s3, s12, s13
	s_mul_i32 s12, s12, s13
	v_lshlrev_b32_e32 v19, 2, v9
	s_add_u32 s6, s12, s45
	v_or_b32_e32 v6, v6, v19
	s_addc_u32 s7, s3, s46
	v_lshlrev_b32_e32 v6, 1, v6
	s_ashr_i32 s3, s2, 31
	s_lshl_b64 s[6:7], s[6:7], 15
	ds_write2st64_b64 v6, v[2:3], v[4:5] offset0:32 offset1:48
	v_lshlrev_b32_e32 v6, 8, v9
	s_add_u32 s6, s18, s6
	v_or_b32_e32 v7, v7, v6
	s_addc_u32 s7, s19, s7
	s_lshl_b64 s[2:3], s[2:3], 8
	ds_write_b64 v7, v[2:3]
	v_or_b32_e32 v2, v8, v6
	s_add_u32 s2, s6, s2
	v_lshlrev_b32_e32 v3, 1, v77
	ds_write_b64 v2, v[4:5]
	v_lshrrev_b32_e32 v2, 4, v0
	s_addc_u32 s3, s7, s3
	v_or_b32_e32 v4, 1, v3
	v_lshlrev_b32_e32 v10, 4, v77
	v_mov_b32_e32 v11, 0
	v_xor_b32_e32 v3, v2, v3
	v_xor_b32_e32 v6, v4, v2
	v_lshl_add_u64 v[12:13], s[2:3], 0, v[10:11]
	v_lshlrev_b32_e32 v10, 8, v2
	v_lshl_or_b32 v16, v3, 3, v10
	v_lshl_or_b32 v17, v6, 3, v10
	s_waitcnt lgkmcnt(0)
	s_barrier
	ds_read2st64_b64 v[2:5], v16 offset1:8
	ds_read2st64_b64 v[6:9], v17 offset1:8
	v_lshl_add_u64 v[14:15], v[12:13], 0, v[10:11]
	s_movk_i32 s2, 0x2000
	s_cmp_lg_u32 s27, 64
	s_waitcnt lgkmcnt(1)
	v_mov_b32_e32 v10, v2
	v_mov_b32_e32 v11, v3
	s_waitcnt lgkmcnt(0)
	v_mov_b32_e32 v12, v6
	v_mov_b32_e32 v13, v7
	global_store_dwordx4 v[14:15], v[10:13], off
	v_mov_b32_e32 v6, v4
	v_mov_b32_e32 v7, v5
	ds_read2st64_b64 v[2:5], v16 offset0:16 offset1:24
	ds_read2st64_b64 v[10:13], v17 offset0:16 offset1:24
	v_add_co_u32_e32 v16, vcc, s2, v14
	s_cselect_b64 s[6:7], -1, 0
	s_nop 0
	v_addc_co_u32_e32 v17, vcc, 0, v15, vcc
	global_store_dwordx4 v[16:17], v[6:9], off offset:-4096
	v_lshl_or_b32 v25, v75, 3, v79
	s_mov_b32 s16, 0
	s_waitcnt lgkmcnt(1)
	v_mov_b32_e32 v6, v2
	v_add_co_u32_e32 v2, vcc, 0x3000, v14
	v_mov_b32_e32 v7, v3
	s_nop 0
	v_addc_co_u32_e32 v3, vcc, 0, v15, vcc
	s_waitcnt lgkmcnt(0)
	v_mov_b32_e32 v8, v10
	v_mov_b32_e32 v9, v11
	;; [unrolled: 1-line block ×4, first 2 shown]
	v_or_b32_e32 v20, 32, v25
	v_and_b32_e32 v18, 56, v78
	s_and_b64 vcc, exec, s[6:7]
	global_store_dwordx4 v[16:17], v[6:9], off
	global_store_dwordx4 v[2:3], v[10:13], off
	s_cbranch_vccz .LBB36_29
; %bb.24:
	s_mov_b32 s17, s16
	s_mov_b32 s18, s16
	;; [unrolled: 1-line block ×3, first 2 shown]
	v_mov_b64_e32 v[6:7], s[16:17]
	v_mov_b64_e32 v[8:9], s[18:19]
	;; [unrolled: 1-line block ×3, first 2 shown]
	v_cmp_gt_i32_e32 vcc, s27, v25
	v_mov_b64_e32 v[4:5], v[8:9]
	s_and_saveexec_b64 s[2:3], vcc
	s_cbranch_execz .LBB36_26
; %bb.25:
	v_lshlrev_b32_e32 v2, 8, v25
	v_mov_b32_e32 v3, 0
	v_lshl_add_u64 v[4:5], s[0:1], 0, v[2:3]
	v_lshlrev_b32_e32 v2, 1, v18
	v_lshl_add_u64 v[10:11], v[4:5], 0, v[2:3]
	global_load_dwordx4 v[6:9], v[10:11], off
	global_load_dwordx4 v[2:5], v[10:11], off offset:128
.LBB36_26:
	s_or_b64 exec, exec, s[2:3]
	s_mov_b32 s17, s16
	s_mov_b32 s18, s16
	;; [unrolled: 1-line block ×3, first 2 shown]
	v_mov_b64_e32 v[14:15], s[16:17]
	v_mov_b64_e32 v[16:17], s[18:19]
	;; [unrolled: 1-line block ×3, first 2 shown]
	v_cmp_gt_i32_e32 vcc, s27, v20
	v_lshlrev_b32_e32 v21, 7, v20
	v_mov_b64_e32 v[12:13], v[16:17]
	s_and_saveexec_b64 s[2:3], vcc
	s_cbranch_execz .LBB36_28
; %bb.27:
	v_lshlrev_b32_e32 v10, 1, v21
	v_mov_b32_e32 v11, 0
	v_lshl_add_u64 v[12:13], s[0:1], 0, v[10:11]
	v_lshlrev_b32_e32 v10, 1, v18
	v_lshl_add_u64 v[26:27], v[12:13], 0, v[10:11]
	global_load_dwordx4 v[14:17], v[26:27], off
	global_load_dwordx4 v[10:13], v[26:27], off offset:128
.LBB36_28:
	s_or_b64 exec, exec, s[2:3]
	v_lshrrev_b32_e32 v26, 3, v18
	v_lshlrev_b32_e32 v27, 3, v25
	v_or_b32_e32 v26, v27, v26
	v_lshlrev_b32_e32 v26, 4, v26
	v_and_b32_e32 v27, 0x78, v27
	v_xor_b32_e32 v26, v26, v27
	s_branch .LBB36_31
.LBB36_29:
                                        ; implicit-def: $vgpr26
                                        ; implicit-def: $vgpr21
                                        ; implicit-def: $vgpr6_vgpr7_vgpr8_vgpr9
                                        ; implicit-def: $vgpr2_vgpr3_vgpr4_vgpr5
                                        ; implicit-def: $vgpr14_vgpr15_vgpr16_vgpr17
                                        ; implicit-def: $vgpr10_vgpr11_vgpr12_vgpr13
	s_cbranch_execz .LBB36_31
; %bb.30:
	s_waitcnt vmcnt(0)
	v_lshlrev_b32_e32 v2, 1, v18
	v_lshl_or_b32 v21, v25, 8, v2
	s_and_b32 s1, s1, 0xffff
	s_mov_b32 s3, 0x20000
	s_movk_i32 s2, 0x4000
	v_lshl_or_b32 v26, v20, 8, v2
	s_movk_i32 s12, 0x80
	buffer_load_dwordx4 v[6:9], v21, s[0:3], 0 offen
	buffer_load_dwordx4 v[2:5], v21, s[0:3], s12 offen
	;; [unrolled: 1-line block ×4, first 2 shown]
	v_lshrrev_b32_e32 v21, 3, v18
	v_lshlrev_b32_e32 v26, 3, v25
	v_or_b32_e32 v21, v26, v21
	v_lshlrev_b32_e32 v21, 4, v21
	v_and_b32_e32 v26, 0x78, v26
	v_xor_b32_e32 v26, v21, v26
	v_lshlrev_b32_e32 v21, 7, v20
.LBB36_31:
	s_movk_i32 s0, 0x1000
	v_and_or_b32 v20, v21, s0, v26
	s_waitcnt vmcnt(1)
	ds_write_b64 v26, v[6:7] offset:49152
	v_xor_b32_e32 v6, 8, v26
	ds_write_b64 v6, v[8:9] offset:49152
	s_waitcnt vmcnt(0)
	ds_write_b64 v26, v[2:3] offset:57344
	ds_write_b64 v6, v[4:5] offset:57344
	;; [unrolled: 1-line block ×3, first 2 shown]
	v_xor_b32_e32 v2, 8, v20
	ds_write_b64 v2, v[16:17] offset:49152
	ds_write_b64 v20, v[10:11] offset:57344
	;; [unrolled: 1-line block ×3, first 2 shown]
	v_or_b32_e32 v2, v1, v77
	v_lshlrev_b32_e32 v3, 11, v75
	v_lshlrev_b32_e32 v2, 3, v2
	v_and_b32_e32 v6, 0x1000, v3
	v_lshrrev_b32_e32 v3, 5, v74
	s_movk_i32 s0, 0xf8
	v_and_or_b32 v3, v2, s0, v3
	v_lshlrev_b32_e32 v7, 4, v3
	v_and_b32_e32 v8, 0x78, v2
	v_or_b32_e32 v10, 32, v7
	v_lshrrev_b32_e32 v3, 1, v74
	v_xor_b32_e32 v10, v10, v8
	v_xor_b32_e32 v2, v7, v8
	v_and_b32_e32 v9, 8, v3
	v_or_b32_e32 v10, v10, v6
	v_or_b32_e32 v2, v2, v6
	v_xor_b32_e32 v28, v10, v9
	v_or_b32_e32 v10, 64, v7
	v_xor_b32_e32 v27, v2, v9
	v_xor_b32_e32 v10, v10, v8
	s_waitcnt lgkmcnt(0)
	s_barrier
	v_or_b32_e32 v13, v10, v6
	ds_read_b64 v[10:11], v27 offset:49152
	v_lshl_or_b32 v14, v76, 8, v24
	v_lshlrev_b32_e32 v26, 1, v14
	v_add_u32_e32 v12, 0x4000, v26
	ds_read2_b64 v[2:5], v12 offset1:16
	v_or_b32_e32 v7, 0x60, v7
	v_xor_b32_e32 v7, v7, v8
	v_or_b32_e32 v6, v7, v6
	v_xor_b32_e32 v29, v13, v9
	v_xor_b32_e32 v30, v6, v9
	ds_read_b64 v[20:21], v28 offset:49152
	ds_read_b64 v[36:37], v29 offset:49152
	;; [unrolled: 1-line block ×3, first 2 shown]
	s_waitcnt lgkmcnt(3)
	v_mfma_f32_16x16x16_bf16 a[0:3], v[10:11], v[2:3], 0
	ds_read2st64_b64 v[6:9], v26 offset0:36 offset1:40
	s_lshl_b64 s[0:1], s[24:25], 8
	s_add_u32 s4, s4, s0
	v_mfma_f32_16x16x16_bf16 a[4:7], v[10:11], v[4:5], 0
	ds_read2_b64 v[2:5], v12 offset0:32 offset1:48
	s_addc_u32 s5, s5, s1
	s_add_i32 s1, s41, s33
	s_waitcnt lgkmcnt(0)
	v_mfma_f32_16x16x16_bf16 a[8:11], v[10:11], v[2:3], 0
	v_or_b32_e32 v2, 64, v14
	v_lshlrev_b32_e32 v31, 1, v2
	s_add_i32 s0, s31, -1
	v_mfma_f32_16x16x16_bf16 a[12:15], v[10:11], v[4:5], 0
	ds_read2st64_b64 v[2:5], v31 offset0:36 offset1:40
	s_add_i32 s37, s1, s40
	s_add_i32 s1, s43, s42
	v_mfma_f32_16x16x16_bf16 a[0:3], v[20:21], v[6:7], a[0:3]
	v_or_b32_e32 v6, 0x80, v14
	v_lshlrev_b32_e32 v32, 1, v6
	ds_read2st64_b64 v[10:13], v32 offset0:36 offset1:40
	s_waitcnt lgkmcnt(1)
	v_mfma_f32_16x16x16_bf16 a[4:7], v[20:21], v[2:3], a[4:7]
	v_or_b32_e32 v2, 0xc0, v14
	v_lshlrev_b32_e32 v33, 1, v2
	ds_read2st64_b64 v[14:17], v33 offset0:36 offset1:40
	s_add_i32 s35, s1, s44
	s_ashr_i32 s1, s0, 31
	s_mul_i32 s2, s0, s29
	s_mul_hi_u32 s3, s0, s28
	s_add_i32 s2, s3, s2
	s_mul_i32 s1, s1, s28
	s_waitcnt lgkmcnt(1)
	v_mfma_f32_16x16x16_bf16 a[8:11], v[20:21], v[10:11], a[8:11]
	s_add_i32 s1, s2, s1
	s_lshl_b64 s[2:3], s[36:37], 2
	s_add_u32 s10, s10, s2
	s_waitcnt lgkmcnt(0)
	v_mfma_f32_16x16x16_bf16 a[12:15], v[20:21], v[14:15], a[12:15]
	s_addc_u32 s11, s11, s3
	s_lshl_b64 s[2:3], s[34:35], 2
	s_mul_i32 s0, s0, s28
	v_mfma_f32_16x16x16_bf16 a[0:3], v[36:37], v[8:9], a[0:3]
	ds_read_b64 v[2:3], v26 offset:22528
	s_add_u32 s10, s10, s2
	s_addc_u32 s11, s11, s3
	v_mfma_f32_16x16x16_bf16 a[4:7], v[36:37], v[4:5], a[4:7]
	ds_read_b64 v[4:5], v31 offset:22528
	ds_read_b64 v[6:7], v32 offset:22528
	;; [unrolled: 1-line block ×3, first 2 shown]
	s_lshl_b64 s[0:1], s[0:1], 2
	s_add_u32 s0, s10, s0
	v_mfma_f32_16x16x16_bf16 a[8:11], v[36:37], v[12:13], a[8:11]
	s_addc_u32 s1, s11, s1
	s_load_dword s12, s[0:1], 0x0
	s_and_b64 vcc, exec, s[22:23]
	v_mfma_f32_16x16x16_bf16 a[12:15], v[36:37], v[16:17], a[12:15]
	s_waitcnt lgkmcnt(0)
	v_mfma_f32_16x16x16_bf16 a[0:3], v[38:39], v[2:3], a[0:3]
	v_mfma_f32_16x16x16_bf16 a[4:7], v[38:39], v[4:5], a[4:7]
	;; [unrolled: 1-line block ×4, first 2 shown]
	s_cbranch_vccz .LBB36_42
; %bb.32:
	v_lshlrev_b32_e32 v20, 1, v25
	s_and_b64 vcc, exec, s[6:7]
	s_cbranch_vccz .LBB36_43
; %bb.33:
	v_cmp_gt_i32_e32 vcc, s27, v20
	v_mov_b32_e32 v6, 0
	v_mov_b32_e32 v2, 0
	;; [unrolled: 1-line block ×5, first 2 shown]
	s_and_saveexec_b64 s[0:1], vcc
	s_cbranch_execz .LBB36_35
; %bb.34:
	v_mad_i64_i32 v[2:3], s[2:3], s15, v20, 0
	v_lshl_add_u64 v[2:3], v[2:3], 1, s[4:5]
	v_lshlrev_b32_e32 v4, 1, v18
	v_mov_b32_e32 v5, 0
	v_lshl_add_u64 v[2:3], v[2:3], 0, v[4:5]
	global_load_dwordx4 v[2:5], v[2:3], off
.LBB36_35:
	s_or_b64 exec, exec, s[0:1]
	v_or_b32_e32 v21, 1, v20
	v_cmp_gt_i32_e64 s[0:1], s27, v21
	v_mov_b32_e32 v7, 0
	v_mov_b32_e32 v8, 0
	;; [unrolled: 1-line block ×3, first 2 shown]
	s_and_saveexec_b64 s[2:3], s[0:1]
	s_cbranch_execz .LBB36_37
; %bb.36:
	v_mad_i64_i32 v[6:7], s[16:17], s15, v21, 0
	v_lshl_add_u64 v[6:7], v[6:7], 1, s[4:5]
	v_lshlrev_b32_e32 v8, 1, v18
	v_mov_b32_e32 v9, 0
	v_lshl_add_u64 v[6:7], v[6:7], 0, v[8:9]
	global_load_dwordx4 v[6:9], v[6:7], off
.LBB36_37:
	s_or_b64 exec, exec, s[2:3]
	v_mov_b32_e32 v17, 0
	v_mov_b32_e32 v10, 0
	;; [unrolled: 1-line block ×5, first 2 shown]
	s_and_saveexec_b64 s[2:3], vcc
	s_cbranch_execz .LBB36_39
; %bb.38:
	v_mad_i64_i32 v[10:11], s[16:17], s15, v20, 0
	v_lshl_add_u64 v[10:11], v[10:11], 1, s[4:5]
	v_lshlrev_b32_e32 v12, 1, v18
	v_mov_b32_e32 v13, 0
	v_lshl_add_u64 v[10:11], v[10:11], 0, v[12:13]
	global_load_dwordx4 v[10:13], v[10:11], off offset:128
.LBB36_39:
	s_or_b64 exec, exec, s[2:3]
	v_mov_b32_e32 v16, 0
	v_mov_b32_e32 v15, 0
	;; [unrolled: 1-line block ×3, first 2 shown]
	s_and_saveexec_b64 s[2:3], s[0:1]
	s_cbranch_execz .LBB36_41
; %bb.40:
	v_mad_i64_i32 v[14:15], s[0:1], s15, v21, 0
	v_lshl_add_u64 v[14:15], v[14:15], 1, s[4:5]
	v_lshlrev_b32_e32 v16, 1, v18
	v_mov_b32_e32 v17, 0
	v_lshl_add_u64 v[14:15], v[14:15], 0, v[16:17]
	global_load_dwordx4 v[14:17], v[14:15], off offset:128
.LBB36_41:
	s_or_b64 exec, exec, s[2:3]
	s_branch .LBB36_45
.LBB36_42:
                                        ; implicit-def: $vgpr5
                                        ; implicit-def: $vgpr9
                                        ; implicit-def: $vgpr13
                                        ; implicit-def: $vgpr17
	v_lshrrev_b32_e32 v35, 2, v74
	s_branch .LBB36_46
.LBB36_43:
                                        ; implicit-def: $vgpr5
                                        ; implicit-def: $vgpr9
                                        ; implicit-def: $vgpr13
                                        ; implicit-def: $vgpr17
	s_cbranch_execz .LBB36_45
; %bb.44:
	s_waitcnt vmcnt(0)
	v_mad_u64_u32 v[2:3], s[0:1], v20, s15, v[18:19]
	v_lshlrev_b32_e32 v20, 1, v2
	s_lshl_b32 s2, s15, 7
	s_and_b32 s1, s5, 0xffff
	s_mov_b32 s3, 0x20000
	s_mov_b32 s0, s4
	v_add_lshl_u32 v21, v2, s15, 1
	s_movk_i32 s13, 0x80
	buffer_load_dwordx4 v[2:5], v20, s[0:3], 0 offen
	buffer_load_dwordx4 v[10:13], v20, s[0:3], s13 offen
	;; [unrolled: 1-line block ×4, first 2 shown]
.LBB36_45:
	v_lshrrev_b32_e32 v35, 2, v74
	s_cbranch_execnz .LBB36_58
.LBB36_46:
	s_and_b64 vcc, exec, s[6:7]
	s_cbranch_vccz .LBB36_56
; %bb.47:
	s_waitcnt vmcnt(0)
	v_lshlrev_b32_e32 v7, 1, v25
	v_cmp_gt_i32_e32 vcc, s27, v7
	v_mov_b32_e32 v6, 0
	v_lshlrev_b32_e32 v14, 9, v25
	v_mov_b32_e32 v2, 0
	v_mov_b32_e32 v3, 0
	;; [unrolled: 1-line block ×4, first 2 shown]
	s_and_saveexec_b64 s[0:1], vcc
	s_cbranch_execz .LBB36_49
; %bb.48:
	v_mov_b32_e32 v15, 0
	v_lshl_add_u64 v[2:3], s[4:5], 0, v[14:15]
	v_lshlrev_b32_e32 v4, 1, v18
	v_mov_b32_e32 v5, v15
	v_lshl_add_u64 v[2:3], v[2:3], 0, v[4:5]
	global_load_dwordx4 v[2:5], v[2:3], off
.LBB36_49:
	s_or_b64 exec, exec, s[0:1]
	v_or_b32_e32 v7, 1, v7
	v_cmp_gt_i32_e64 s[0:1], s27, v7
	v_lshlrev_b32_e32 v20, 8, v7
	v_mov_b32_e32 v7, 0
	v_mov_b32_e32 v8, 0
	;; [unrolled: 1-line block ×3, first 2 shown]
	s_and_saveexec_b64 s[2:3], s[0:1]
	s_cbranch_execz .LBB36_51
; %bb.50:
	v_mov_b32_e32 v21, 0
	v_lshl_add_u64 v[6:7], s[4:5], 0, v[20:21]
	v_lshlrev_b32_e32 v8, 1, v18
	v_mov_b32_e32 v9, v21
	v_lshl_add_u64 v[6:7], v[6:7], 0, v[8:9]
	global_load_dwordx4 v[6:9], v[6:7], off
.LBB36_51:
	s_or_b64 exec, exec, s[2:3]
	v_mov_b32_e32 v17, 0
	v_mov_b32_e32 v10, 0
	;; [unrolled: 1-line block ×5, first 2 shown]
	s_and_saveexec_b64 s[2:3], vcc
	s_cbranch_execz .LBB36_53
; %bb.52:
	v_mov_b32_e32 v15, 0
	v_lshl_add_u64 v[10:11], s[4:5], 0, v[14:15]
	v_lshlrev_b32_e32 v14, 1, v18
	v_lshl_add_u64 v[10:11], v[10:11], 0, v[14:15]
	global_load_dwordx4 v[10:13], v[10:11], off offset:128
.LBB36_53:
	s_or_b64 exec, exec, s[2:3]
	v_mov_b32_e32 v16, 0
	v_mov_b32_e32 v15, 0
	;; [unrolled: 1-line block ×3, first 2 shown]
	s_and_saveexec_b64 s[2:3], s[0:1]
	s_cbranch_execz .LBB36_55
; %bb.54:
	v_mov_b32_e32 v21, 0
	v_lshl_add_u64 v[14:15], s[4:5], 0, v[20:21]
	v_lshlrev_b32_e32 v20, 1, v18
	v_lshl_add_u64 v[14:15], v[14:15], 0, v[20:21]
	global_load_dwordx4 v[14:17], v[14:15], off offset:128
.LBB36_55:
	s_or_b64 exec, exec, s[2:3]
	s_branch .LBB36_58
.LBB36_56:
                                        ; implicit-def: $vgpr5
                                        ; implicit-def: $vgpr9
                                        ; implicit-def: $vgpr13
                                        ; implicit-def: $vgpr17
	s_cbranch_execz .LBB36_58
; %bb.57:
	s_waitcnt vmcnt(0)
	v_lshlrev_b32_e32 v2, 1, v18
	v_lshl_or_b32 v18, v25, 9, v2
	s_and_b32 s5, s5, 0xffff
	s_mov_b32 s7, 0x20000
	s_movk_i32 s6, 0x4000
	s_movk_i32 s0, 0x80
	buffer_load_dwordx4 v[2:5], v18, s[4:7], 0 offen
	buffer_load_dwordx4 v[6:9], v18, s[4:7], 0 offen offset:256
	buffer_load_dwordx4 v[10:13], v18, s[4:7], s0 offen
	buffer_load_dwordx4 v[14:17], v18, s[4:7], s0 offen offset:256
.LBB36_58:
	ds_read_b64 v[20:21], v27 offset:57344
	v_add_u32_e32 v18, 0x6000, v26
	ds_read2_b64 v[36:39], v18 offset1:16
	ds_read_b64 v[52:53], v28 offset:57344
	ds_read_b64 v[28:29], v29 offset:57344
	;; [unrolled: 1-line block ×3, first 2 shown]
	ds_read2st64_b64 v[40:43], v26 offset0:52 offset1:56
	s_mov_b32 s0, 0x1000504
	s_mov_b32 s1, 0x3020706
	s_waitcnt lgkmcnt(4)
	v_mfma_f32_16x16x16_bf16 a[0:3], v[20:21], v[36:37], a[0:3]
	v_mfma_f32_16x16x16_bf16 a[4:7], v[20:21], v[38:39], a[4:7]
	ds_read2_b64 v[36:39], v18 offset0:32 offset1:48
	v_and_b32_e32 v18, 6, v0
	v_xor_b32_e32 v25, v25, v18
	s_waitcnt lgkmcnt(0)
	v_mfma_f32_16x16x16_bf16 a[8:11], v[20:21], v[36:37], a[8:11]
	v_lshlrev_b32_e32 v25, 2, v25
	v_and_b32_e32 v0, 1, v0
	v_cmp_eq_u32_e32 vcc, 0, v0
	v_mfma_f32_16x16x16_bf16 a[12:15], v[20:21], v[38:39], a[12:15]
	ds_read2st64_b64 v[36:39], v31 offset0:52 offset1:56
	ds_read2st64_b64 v[44:47], v32 offset0:52 offset1:56
	;; [unrolled: 1-line block ×3, first 2 shown]
	ds_read_b64 v[20:21], v26 offset:30720
	ds_read_b64 v[26:27], v31 offset:30720
	;; [unrolled: 1-line block ×4, first 2 shown]
	s_waitcnt lgkmcnt(6)
	v_mfma_f32_16x16x16_bf16 a[4:7], v[52:53], v[36:37], a[4:7]
	v_xor_b32_e32 v36, 0x440, v25
	v_cndmask_b32_e32 v0, v36, v25, vcc
	v_lshl_or_b32 v0, v18, 10, v0
	v_mfma_f32_16x16x16_bf16 a[0:3], v[52:53], v[40:41], a[0:3]
	s_waitcnt vmcnt(0)
	v_perm_b32 v18, v2, v6, s0
	v_perm_b32 v25, v10, v14, s0
	ds_write2st64_b32 v0, v18, v25 offset0:128 offset1:160
	s_waitcnt lgkmcnt(6)
	v_mfma_f32_16x16x16_bf16 a[8:11], v[52:53], v[44:45], a[8:11]
	v_xor_b32_e32 v18, 8, v0
	v_perm_b32 v2, v2, v6, s1
	v_perm_b32 v6, v10, v14, s1
	s_waitcnt lgkmcnt(5)
	v_mfma_f32_16x16x16_bf16 a[12:15], v[52:53], v[48:49], a[12:15]
	v_add_u32_e32 v10, 0x80, v18
	ds_write2st64_b32 v10, v2, v6 offset0:128 offset1:160
	v_xor_b32_e32 v2, 16, v0
	v_mfma_f32_16x16x16_bf16 a[0:3], v[28:29], v[42:43], a[0:3]
	v_perm_b32 v6, v3, v7, s0
	v_perm_b32 v10, v11, v15, s0
	ds_write2st64_b32 v2, v6, v10 offset0:129 offset1:161
	v_mfma_f32_16x16x16_bf16 a[4:7], v[28:29], v[38:39], a[4:7]
	v_xor_b32_e32 v2, 24, v0
	v_perm_b32 v3, v3, v7, s1
	v_perm_b32 v6, v11, v15, s1
	v_mfma_f32_16x16x16_bf16 a[16:19], v[28:29], v[46:47], a[8:11]
	v_add_u32_e32 v2, 0x80, v2
	ds_write2st64_b32 v2, v3, v6 offset0:129 offset1:161
	v_xor_b32_e32 v2, 32, v0
	v_mfma_f32_16x16x16_bf16 a[20:23], v[28:29], v[50:51], a[12:15]
	v_perm_b32 v3, v4, v8, s0
	v_perm_b32 v6, v12, v16, s0
	ds_write2st64_b32 v2, v3, v6 offset0:130 offset1:162
	s_waitcnt lgkmcnt(8)
	v_mfma_f32_16x16x16_bf16 a[12:15], v[54:55], v[20:21], a[0:3]
	v_xor_b32_e32 v2, 40, v0
	v_perm_b32 v3, v4, v8, s1
	v_perm_b32 v4, v12, v16, s1
	s_waitcnt lgkmcnt(7)
	v_mfma_f32_16x16x16_bf16 a[8:11], v[54:55], v[26:27], a[4:7]
	v_add_u32_e32 v2, 0x80, v2
	ds_write2st64_b32 v2, v3, v4 offset0:130 offset1:162
	v_xor_b32_e32 v2, 48, v0
	s_waitcnt lgkmcnt(7)
	v_mfma_f32_16x16x16_bf16 a[4:7], v[54:55], v[30:31], a[16:19]
	v_perm_b32 v3, v5, v9, s0
	v_perm_b32 v4, v13, v17, s0
	v_xor_b32_e32 v0, 56, v0
	s_waitcnt lgkmcnt(6)
	v_mfma_f32_16x16x16_bf16 a[0:3], v[54:55], v[32:33], a[20:23]
	v_and_or_b32 v18, v35, 12, v1
	ds_write2st64_b32 v2, v3, v4 offset0:131 offset1:163
	v_perm_b32 v2, v5, v9, s1
	v_perm_b32 v3, v13, v17, s1
	v_add_u32_e32 v0, 0x80, v0
	v_cmp_gt_i32_e32 vcc, s27, v18
	v_mov_b32_e32 v14, 0
	v_mov_b32_e32 v16, 0
	ds_write2st64_b32 v0, v2, v3 offset0:131 offset1:163
	s_and_saveexec_b64 s[0:1], vcc
	s_cbranch_execz .LBB36_60
; %bb.59:
	v_add_u32_e32 v0, s26, v18
	v_ashrrev_i32_e32 v1, 31, v0
	v_mul_lo_u32 v2, v1, s28
	v_mul_lo_u32 v3, v0, s29
	v_mad_u64_u32 v[0:1], s[2:3], v0, s28, 0
	v_add3_u32 v1, v1, v3, v2
	v_lshl_add_u64 v[0:1], v[0:1], 2, s[10:11]
	global_load_dword v0, v[0:1], off
	s_waitcnt vmcnt(0)
	v_sub_f32_e32 v0, s12, v0
	v_exp_f32_e32 v16, v0
.LBB36_60:
	s_or_b64 exec, exec, s[0:1]
	v_or_b32_e32 v8, 1, v18
	v_cmp_gt_i32_e64 s[0:1], s27, v8
	s_and_saveexec_b64 s[2:3], s[0:1]
	s_cbranch_execz .LBB36_62
; %bb.61:
	v_add_u32_e32 v0, s26, v8
	v_ashrrev_i32_e32 v1, 31, v0
	v_mul_lo_u32 v2, v1, s28
	v_mul_lo_u32 v3, v0, s29
	v_mad_u64_u32 v[0:1], s[4:5], v0, s28, 0
	v_add3_u32 v1, v1, v3, v2
	v_lshl_add_u64 v[0:1], v[0:1], 2, s[10:11]
	global_load_dword v0, v[0:1], off
	s_waitcnt vmcnt(0)
	v_sub_f32_e32 v0, s12, v0
	v_exp_f32_e32 v14, v0
.LBB36_62:
	s_or_b64 exec, exec, s[2:3]
	v_or_b32_e32 v10, 2, v18
	v_cmp_gt_i32_e64 s[2:3], s27, v10
	v_mov_b32_e32 v15, 0
	v_mov_b32_e32 v17, 0
	s_and_saveexec_b64 s[4:5], s[2:3]
	s_cbranch_execz .LBB36_64
; %bb.63:
	v_add_u32_e32 v0, s26, v10
	v_ashrrev_i32_e32 v1, 31, v0
	v_mul_lo_u32 v2, v1, s28
	v_mul_lo_u32 v3, v0, s29
	v_mad_u64_u32 v[0:1], s[6:7], v0, s28, 0
	v_add3_u32 v1, v1, v3, v2
	v_lshl_add_u64 v[0:1], v[0:1], 2, s[10:11]
	global_load_dword v0, v[0:1], off
	s_waitcnt vmcnt(0)
	v_sub_f32_e32 v0, s12, v0
	v_exp_f32_e32 v17, v0
.LBB36_64:
	s_or_b64 exec, exec, s[4:5]
	v_or_b32_e32 v12, 3, v18
	v_cmp_gt_i32_e64 s[4:5], s27, v12
	s_and_saveexec_b64 s[6:7], s[4:5]
	s_cbranch_execz .LBB36_66
; %bb.65:
	v_add_u32_e32 v0, s26, v12
	v_ashrrev_i32_e32 v1, 31, v0
	v_mul_lo_u32 v2, v1, s28
	v_mul_lo_u32 v3, v0, s29
	v_mad_u64_u32 v[0:1], s[14:15], v0, s28, 0
	v_add3_u32 v1, v1, v3, v2
	v_lshl_add_u64 v[0:1], v[0:1], 2, s[10:11]
	global_load_dword v0, v[0:1], off
	s_waitcnt vmcnt(0)
	v_sub_f32_e32 v0, s12, v0
	v_exp_f32_e32 v15, v0
.LBB36_66:
	s_or_b64 exec, exec, s[6:7]
	s_add_u32 s6, s8, s20
	v_accvgpr_read_b32 v0, a12
	s_addc_u32 s7, s9, s21
	v_ashrrev_i32_e32 v35, 31, v34
	v_accvgpr_read_b32 v1, a13
	v_accvgpr_read_b32 v2, a14
	;; [unrolled: 1-line block ×3, first 2 shown]
	v_lshl_add_u64 v[4:5], v[34:35], 1, s[6:7]
	v_mov_b32_e32 v9, 0
	v_lshlrev_b32_e32 v6, 8, v18
	v_mov_b32_e32 v7, 0
	s_and_saveexec_b64 s[6:7], vcc
	s_cbranch_execz .LBB36_68
; %bb.67:
	v_mov_b32_e32 v7, 0
	v_lshl_add_u64 v[20:21], v[4:5], 0, v[6:7]
	global_load_ushort v7, v[20:21], off
	s_waitcnt vmcnt(0)
	v_lshlrev_b32_e32 v7, 16, v7
	v_sub_f32_e32 v0, v7, v0
	v_mul_f32_e32 v0, v16, v0
	v_lshrrev_b32_e32 v7, 16, v0
.LBB36_68:
	s_or_b64 exec, exec, s[6:7]
	v_lshlrev_b32_e32 v8, 8, v8
	s_and_saveexec_b64 s[6:7], s[0:1]
	s_cbranch_execz .LBB36_70
; %bb.69:
	v_mov_b32_e32 v9, 0
	v_lshl_add_u64 v[20:21], v[4:5], 0, v[8:9]
	global_load_ushort v0, v[20:21], off
	s_waitcnt vmcnt(0)
	v_lshlrev_b32_e32 v0, 16, v0
	v_sub_f32_e32 v0, v0, v1
	v_mul_f32_e32 v0, v14, v0
	v_lshrrev_b32_e32 v9, 16, v0
.LBB36_70:
	s_or_b64 exec, exec, s[6:7]
	v_mov_b32_e32 v13, 0
	v_lshlrev_b32_e32 v10, 8, v10
	v_mov_b32_e32 v11, 0
	s_and_saveexec_b64 s[6:7], s[2:3]
	s_cbranch_execz .LBB36_72
; %bb.71:
	v_mov_b32_e32 v11, 0
	v_lshl_add_u64 v[0:1], v[4:5], 0, v[10:11]
	global_load_ushort v0, v[0:1], off
	s_waitcnt vmcnt(0)
	v_lshlrev_b32_e32 v0, 16, v0
	v_sub_f32_e32 v0, v0, v2
	v_mul_f32_e32 v0, v17, v0
	v_lshrrev_b32_e32 v11, 16, v0
.LBB36_72:
	s_or_b64 exec, exec, s[6:7]
	v_lshlrev_b32_e32 v12, 8, v12
	s_and_saveexec_b64 s[6:7], s[4:5]
	s_cbranch_execz .LBB36_74
; %bb.73:
	v_mov_b32_e32 v13, 0
	v_lshl_add_u64 v[0:1], v[4:5], 0, v[12:13]
	global_load_ushort v0, v[0:1], off
	s_waitcnt vmcnt(0)
	v_lshlrev_b32_e32 v0, 16, v0
	v_sub_f32_e32 v0, v0, v3
	v_mul_f32_e32 v0, v15, v0
	v_lshrrev_b32_e32 v13, 16, v0
.LBB36_74:
	s_or_b64 exec, exec, s[6:7]
	v_lshlrev_b32_e32 v18, 6, v18
	s_mov_b32 s6, 0x5040100
	v_perm_b32 v20, v9, v7, s6
	v_or_b32_e32 v7, v18, v24
	v_accvgpr_read_b32 v0, a8
	v_perm_b32 v21, v13, v11, s6
	v_lshlrev_b32_e32 v7, 1, v7
	v_accvgpr_read_b32 v1, a9
	v_accvgpr_read_b32 v2, a10
	;; [unrolled: 1-line block ×3, first 2 shown]
	ds_write_b64 v7, v[20:21] offset:24576
	v_mov_b32_e32 v9, 0
	v_mov_b32_e32 v7, 0
	s_and_saveexec_b64 s[6:7], vcc
	s_cbranch_execz .LBB36_76
; %bb.75:
	v_mov_b32_e32 v7, 0
	v_lshl_add_u64 v[20:21], v[4:5], 0, v[6:7]
	global_load_ushort v7, v[20:21], off offset:32
	s_waitcnt vmcnt(0)
	v_lshlrev_b32_e32 v7, 16, v7
	v_sub_f32_e32 v0, v7, v0
	v_mul_f32_e32 v0, v16, v0
	v_lshrrev_b32_e32 v7, 16, v0
.LBB36_76:
	s_or_b64 exec, exec, s[6:7]
	s_and_saveexec_b64 s[6:7], s[0:1]
	s_cbranch_execz .LBB36_78
; %bb.77:
	v_mov_b32_e32 v9, 0
	v_lshl_add_u64 v[20:21], v[4:5], 0, v[8:9]
	global_load_ushort v0, v[20:21], off offset:32
	s_waitcnt vmcnt(0)
	v_lshlrev_b32_e32 v0, 16, v0
	v_sub_f32_e32 v0, v0, v1
	v_mul_f32_e32 v0, v14, v0
	v_lshrrev_b32_e32 v9, 16, v0
.LBB36_78:
	s_or_b64 exec, exec, s[6:7]
	v_mov_b32_e32 v13, 0
	v_mov_b32_e32 v11, 0
	s_and_saveexec_b64 s[6:7], s[2:3]
	s_cbranch_execz .LBB36_80
; %bb.79:
	v_mov_b32_e32 v11, 0
	v_lshl_add_u64 v[0:1], v[4:5], 0, v[10:11]
	global_load_ushort v0, v[0:1], off offset:32
	s_waitcnt vmcnt(0)
	v_lshlrev_b32_e32 v0, 16, v0
	v_sub_f32_e32 v0, v0, v2
	v_mul_f32_e32 v0, v17, v0
	v_lshrrev_b32_e32 v11, 16, v0
.LBB36_80:
	s_or_b64 exec, exec, s[6:7]
	s_and_saveexec_b64 s[6:7], s[4:5]
	s_cbranch_execz .LBB36_82
; %bb.81:
	v_mov_b32_e32 v13, 0
	v_lshl_add_u64 v[0:1], v[4:5], 0, v[12:13]
	global_load_ushort v0, v[0:1], off offset:32
	s_waitcnt vmcnt(0)
	v_lshlrev_b32_e32 v0, 16, v0
	v_sub_f32_e32 v0, v0, v3
	v_mul_f32_e32 v0, v15, v0
	v_lshrrev_b32_e32 v13, 16, v0
.LBB36_82:
	s_or_b64 exec, exec, s[6:7]
	s_mov_b32 s6, 0x5040100
	v_perm_b32 v20, v9, v7, s6
	v_or_b32_e32 v7, v18, v23
	v_accvgpr_read_b32 v0, a4
	v_perm_b32 v21, v13, v11, s6
	v_lshlrev_b32_e32 v7, 1, v7
	v_accvgpr_read_b32 v1, a5
	v_accvgpr_read_b32 v2, a6
	;; [unrolled: 1-line block ×3, first 2 shown]
	ds_write_b64 v7, v[20:21] offset:24576
	v_mov_b32_e32 v9, 0
	v_mov_b32_e32 v7, 0
	s_and_saveexec_b64 s[6:7], vcc
	s_cbranch_execz .LBB36_84
; %bb.83:
	v_mov_b32_e32 v7, 0
	v_lshl_add_u64 v[20:21], v[4:5], 0, v[6:7]
	global_load_ushort v7, v[20:21], off offset:64
	s_waitcnt vmcnt(0)
	v_lshlrev_b32_e32 v7, 16, v7
	v_sub_f32_e32 v0, v7, v0
	v_mul_f32_e32 v0, v16, v0
	v_lshrrev_b32_e32 v7, 16, v0
.LBB36_84:
	s_or_b64 exec, exec, s[6:7]
	s_and_saveexec_b64 s[6:7], s[0:1]
	s_cbranch_execz .LBB36_86
; %bb.85:
	v_mov_b32_e32 v9, 0
	v_lshl_add_u64 v[20:21], v[4:5], 0, v[8:9]
	global_load_ushort v0, v[20:21], off offset:64
	s_waitcnt vmcnt(0)
	v_lshlrev_b32_e32 v0, 16, v0
	v_sub_f32_e32 v0, v0, v1
	v_mul_f32_e32 v0, v14, v0
	v_lshrrev_b32_e32 v9, 16, v0
.LBB36_86:
	s_or_b64 exec, exec, s[6:7]
	v_mov_b32_e32 v13, 0
	v_mov_b32_e32 v11, 0
	s_and_saveexec_b64 s[6:7], s[2:3]
	s_cbranch_execz .LBB36_88
; %bb.87:
	v_mov_b32_e32 v11, 0
	v_lshl_add_u64 v[0:1], v[4:5], 0, v[10:11]
	global_load_ushort v0, v[0:1], off offset:64
	s_waitcnt vmcnt(0)
	v_lshlrev_b32_e32 v0, 16, v0
	v_sub_f32_e32 v0, v0, v2
	v_mul_f32_e32 v0, v17, v0
	v_lshrrev_b32_e32 v11, 16, v0
.LBB36_88:
	s_or_b64 exec, exec, s[6:7]
	s_and_saveexec_b64 s[6:7], s[4:5]
	s_cbranch_execz .LBB36_90
; %bb.89:
	v_mov_b32_e32 v13, 0
	v_lshl_add_u64 v[0:1], v[4:5], 0, v[12:13]
	global_load_ushort v0, v[0:1], off offset:64
	s_waitcnt vmcnt(0)
	v_lshlrev_b32_e32 v0, 16, v0
	v_sub_f32_e32 v0, v0, v3
	v_mul_f32_e32 v0, v15, v0
	v_lshrrev_b32_e32 v13, 16, v0
.LBB36_90:
	s_or_b64 exec, exec, s[6:7]
	s_mov_b32 s6, 0x5040100
	v_perm_b32 v20, v9, v7, s6
	v_or_b32_e32 v7, v18, v22
	v_accvgpr_read_b32 v0, a0
	v_perm_b32 v21, v13, v11, s6
	v_lshlrev_b32_e32 v7, 1, v7
	v_accvgpr_read_b32 v1, a1
	v_accvgpr_read_b32 v2, a2
	;; [unrolled: 1-line block ×3, first 2 shown]
	ds_write_b64 v7, v[20:21] offset:24576
	v_mov_b32_e32 v9, 0
	v_mov_b32_e32 v7, 0
	s_and_saveexec_b64 s[6:7], vcc
	s_cbranch_execz .LBB36_92
; %bb.91:
	v_mov_b32_e32 v7, 0
	v_lshl_add_u64 v[6:7], v[4:5], 0, v[6:7]
	global_load_ushort v6, v[6:7], off offset:96
	s_waitcnt vmcnt(0)
	v_lshlrev_b32_e32 v6, 16, v6
	v_sub_f32_e32 v0, v6, v0
	v_mul_f32_e32 v0, v16, v0
	v_lshrrev_b32_e32 v7, 16, v0
.LBB36_92:
	s_or_b64 exec, exec, s[6:7]
	s_and_saveexec_b64 s[6:7], s[0:1]
	s_cbranch_execz .LBB36_94
; %bb.93:
	v_mov_b32_e32 v9, 0
	v_lshl_add_u64 v[8:9], v[4:5], 0, v[8:9]
	global_load_ushort v0, v[8:9], off offset:96
	s_waitcnt vmcnt(0)
	v_lshlrev_b32_e32 v0, 16, v0
	v_sub_f32_e32 v0, v0, v1
	v_mul_f32_e32 v0, v14, v0
	v_lshrrev_b32_e32 v9, 16, v0
.LBB36_94:
	s_or_b64 exec, exec, s[6:7]
	v_mov_b32_e32 v0, 0
	v_mov_b32_e32 v1, 0
	s_and_saveexec_b64 s[0:1], s[2:3]
	s_cbranch_execz .LBB36_96
; %bb.95:
	v_mov_b32_e32 v11, 0
	v_lshl_add_u64 v[10:11], v[4:5], 0, v[10:11]
	global_load_ushort v1, v[10:11], off offset:96
	s_waitcnt vmcnt(0)
	v_lshlrev_b32_e32 v1, 16, v1
	v_sub_f32_e32 v1, v1, v2
	v_mul_f32_e32 v1, v17, v1
	v_lshrrev_b32_e32 v1, 16, v1
.LBB36_96:
	s_or_b64 exec, exec, s[0:1]
	s_and_saveexec_b64 s[0:1], s[4:5]
	s_cbranch_execz .LBB36_98
; %bb.97:
	v_mov_b32_e32 v13, 0
	v_lshl_add_u64 v[4:5], v[4:5], 0, v[12:13]
	global_load_ushort v0, v[4:5], off offset:96
	s_waitcnt vmcnt(0)
	v_lshlrev_b32_e32 v0, 16, v0
	v_sub_f32_e32 v0, v0, v3
	v_mul_f32_e32 v0, v15, v0
	v_lshrrev_b32_e32 v0, 16, v0
.LBB36_98:
	s_or_b64 exec, exec, s[0:1]
	s_mov_b32 s0, 0x5040100
	v_or_b32_e32 v2, v18, v19
	v_perm_b32 v1, v0, v1, s0
	v_perm_b32 v0, v9, v7, s0
	v_lshlrev_b32_e32 v2, 1, v2
	ds_write_b64 v2, v[0:1] offset:24576
	s_waitcnt lgkmcnt(0)
	s_barrier
.LBB36_99:
	s_endpgm
	.section	.rodata,"a",@progbits
	.p2align	6, 0x0
	.amdhsa_kernel _ZN12_GLOBAL__N_139chunk_gated_delta_rule_fwd_h_hip_kernelILi64ELb1ELb0ELb0ELb1ELb1ELb0ELb1ELb1EEEvPK12hip_bfloat16S3_S3_PKfS5_PKvPS1_S8_PvPKiSB_iiiiilll
		.amdhsa_group_segment_fixed_size 65536
		.amdhsa_private_segment_fixed_size 0
		.amdhsa_kernarg_size 136
		.amdhsa_user_sgpr_count 2
		.amdhsa_user_sgpr_dispatch_ptr 0
		.amdhsa_user_sgpr_queue_ptr 0
		.amdhsa_user_sgpr_kernarg_segment_ptr 1
		.amdhsa_user_sgpr_dispatch_id 0
		.amdhsa_user_sgpr_kernarg_preload_length 0
		.amdhsa_user_sgpr_kernarg_preload_offset 0
		.amdhsa_user_sgpr_private_segment_size 0
		.amdhsa_uses_dynamic_stack 0
		.amdhsa_enable_private_segment 0
		.amdhsa_system_sgpr_workgroup_id_x 1
		.amdhsa_system_sgpr_workgroup_id_y 1
		.amdhsa_system_sgpr_workgroup_id_z 0
		.amdhsa_system_sgpr_workgroup_info 0
		.amdhsa_system_vgpr_workitem_id 0
		.amdhsa_next_free_vgpr 216
		.amdhsa_next_free_sgpr 61
		.amdhsa_accum_offset 180
		.amdhsa_reserve_vcc 1
		.amdhsa_float_round_mode_32 0
		.amdhsa_float_round_mode_16_64 0
		.amdhsa_float_denorm_mode_32 3
		.amdhsa_float_denorm_mode_16_64 3
		.amdhsa_dx10_clamp 1
		.amdhsa_ieee_mode 1
		.amdhsa_fp16_overflow 0
		.amdhsa_tg_split 0
		.amdhsa_exception_fp_ieee_invalid_op 0
		.amdhsa_exception_fp_denorm_src 0
		.amdhsa_exception_fp_ieee_div_zero 0
		.amdhsa_exception_fp_ieee_overflow 0
		.amdhsa_exception_fp_ieee_underflow 0
		.amdhsa_exception_fp_ieee_inexact 0
		.amdhsa_exception_int_div_zero 0
	.end_amdhsa_kernel
	.section	.text._ZN12_GLOBAL__N_139chunk_gated_delta_rule_fwd_h_hip_kernelILi64ELb1ELb0ELb0ELb1ELb1ELb0ELb1ELb1EEEvPK12hip_bfloat16S3_S3_PKfS5_PKvPS1_S8_PvPKiSB_iiiiilll,"axG",@progbits,_ZN12_GLOBAL__N_139chunk_gated_delta_rule_fwd_h_hip_kernelILi64ELb1ELb0ELb0ELb1ELb1ELb0ELb1ELb1EEEvPK12hip_bfloat16S3_S3_PKfS5_PKvPS1_S8_PvPKiSB_iiiiilll,comdat
.Lfunc_end36:
	.size	_ZN12_GLOBAL__N_139chunk_gated_delta_rule_fwd_h_hip_kernelILi64ELb1ELb0ELb0ELb1ELb1ELb0ELb1ELb1EEEvPK12hip_bfloat16S3_S3_PKfS5_PKvPS1_S8_PvPKiSB_iiiiilll, .Lfunc_end36-_ZN12_GLOBAL__N_139chunk_gated_delta_rule_fwd_h_hip_kernelILi64ELb1ELb0ELb0ELb1ELb1ELb0ELb1ELb1EEEvPK12hip_bfloat16S3_S3_PKfS5_PKvPS1_S8_PvPKiSB_iiiiilll
                                        ; -- End function
	.section	.AMDGPU.csdata,"",@progbits
; Kernel info:
; codeLenInByte = 10808
; NumSgprs: 67
; NumVgprs: 178
; NumAgprs: 36
; TotalNumVgprs: 216
; ScratchSize: 0
; MemoryBound: 0
; FloatMode: 240
; IeeeMode: 1
; LDSByteSize: 65536 bytes/workgroup (compile time only)
; SGPRBlocks: 8
; VGPRBlocks: 26
; NumSGPRsForWavesPerEU: 67
; NumVGPRsForWavesPerEU: 216
; AccumOffset: 180
; Occupancy: 1
; WaveLimiterHint : 1
; COMPUTE_PGM_RSRC2:SCRATCH_EN: 0
; COMPUTE_PGM_RSRC2:USER_SGPR: 2
; COMPUTE_PGM_RSRC2:TRAP_HANDLER: 0
; COMPUTE_PGM_RSRC2:TGID_X_EN: 1
; COMPUTE_PGM_RSRC2:TGID_Y_EN: 1
; COMPUTE_PGM_RSRC2:TGID_Z_EN: 0
; COMPUTE_PGM_RSRC2:TIDIG_COMP_CNT: 0
; COMPUTE_PGM_RSRC3_GFX90A:ACCUM_OFFSET: 44
; COMPUTE_PGM_RSRC3_GFX90A:TG_SPLIT: 0
	.section	.text._ZN12_GLOBAL__N_139chunk_gated_delta_rule_fwd_h_hip_kernelILi64ELb0ELb1ELb1ELb1ELb1ELb0ELb1ELb1EEEvPK12hip_bfloat16S3_S3_PKfS5_PKvPS1_S8_PvPKiSB_iiiiilll,"axG",@progbits,_ZN12_GLOBAL__N_139chunk_gated_delta_rule_fwd_h_hip_kernelILi64ELb0ELb1ELb1ELb1ELb1ELb0ELb1ELb1EEEvPK12hip_bfloat16S3_S3_PKfS5_PKvPS1_S8_PvPKiSB_iiiiilll,comdat
	.globl	_ZN12_GLOBAL__N_139chunk_gated_delta_rule_fwd_h_hip_kernelILi64ELb0ELb1ELb1ELb1ELb1ELb0ELb1ELb1EEEvPK12hip_bfloat16S3_S3_PKfS5_PKvPS1_S8_PvPKiSB_iiiiilll ; -- Begin function _ZN12_GLOBAL__N_139chunk_gated_delta_rule_fwd_h_hip_kernelILi64ELb0ELb1ELb1ELb1ELb1ELb0ELb1ELb1EEEvPK12hip_bfloat16S3_S3_PKfS5_PKvPS1_S8_PvPKiSB_iiiiilll
	.p2align	8
	.type	_ZN12_GLOBAL__N_139chunk_gated_delta_rule_fwd_h_hip_kernelILi64ELb0ELb1ELb1ELb1ELb1ELb0ELb1ELb1EEEvPK12hip_bfloat16S3_S3_PKfS5_PKvPS1_S8_PvPKiSB_iiiiilll,@function
_ZN12_GLOBAL__N_139chunk_gated_delta_rule_fwd_h_hip_kernelILi64ELb0ELb1ELb1ELb1ELb1ELb0ELb1ELb1EEEvPK12hip_bfloat16S3_S3_PKfS5_PKvPS1_S8_PvPKiSB_iiiiilll: ; @_ZN12_GLOBAL__N_139chunk_gated_delta_rule_fwd_h_hip_kernelILi64ELb0ELb1ELb1ELb1ELb1ELb0ELb1ELb1EEEvPK12hip_bfloat16S3_S3_PKfS5_PKvPS1_S8_PvPKiSB_iiiiilll
; %bb.0:
	s_load_dwordx4 s[20:23], s[0:1], 0x5c
	s_abs_i32 s27, s3
	s_ashr_i32 s26, s3, 31
	s_load_dwordx2 s[24:25], s[0:1], 0x50
	s_load_dwordx8 s[4:11], s[0:1], 0x30
	s_load_dwordx8 s[12:19], s[0:1], 0x0
	v_lshrrev_b32_e32 v74, 6, v0
	s_waitcnt lgkmcnt(0)
	s_abs_i32 s30, s21
	v_cvt_f32_u32_e32 v1, s30
	s_sub_i32 s28, 0, s30
	s_ashr_i32 s46, s21, 31
	s_xor_b32 s26, s26, s46
	v_rcp_iflag_f32_e32 v1, v1
	v_bfe_u32 v77, v0, 4, 2
	v_lshlrev_b32_e32 v75, 4, v74
	v_lshlrev_b32_e32 v2, 2, v77
	v_mul_f32_e32 v1, 0x4f7ffffe, v1
	v_cvt_u32_f32_e32 v1, v1
	v_and_b32_e32 v76, 63, v0
	s_mov_b32 s33, s21
	v_and_b32_e32 v78, 15, v0
	v_readfirstlane_b32 s29, v1
	s_mul_i32 s28, s28, s29
	s_mul_hi_u32 s28, s29, s28
	s_add_i32 s29, s29, s28
	s_mul_hi_u32 s28, s27, s29
	s_mul_i32 s29, s28, s30
	s_sub_i32 s27, s27, s29
	s_add_i32 s31, s28, 1
	s_sub_i32 s29, s27, s30
	s_cmp_ge_u32 s27, s30
	s_cselect_b32 s28, s31, s28
	s_cselect_b32 s27, s29, s27
	s_add_i32 s29, s28, 1
	s_cmp_ge_u32 s27, s30
	s_cselect_b32 s27, s29, s28
	s_xor_b32 s27, s27, s26
	s_sub_i32 s34, s27, s26
	s_mul_i32 s26, s34, s21
	s_ashr_i32 s35, s34, 31
	s_sub_i32 s47, s3, s26
	s_lshl_b64 s[26:27], s[34:35], 2
	s_add_u32 s10, s10, s26
	s_addc_u32 s11, s11, s27
	s_add_u32 s28, s24, s26
	s_addc_u32 s29, s25, s27
	s_abs_i32 s3, s22
	v_cvt_f32_u32_e32 v1, s3
	s_load_dwordx2 s[40:41], s[10:11], 0x0
	s_nop 0
	s_load_dwordx2 s[10:11], s[0:1], 0x80
	s_load_dwordx4 s[24:27], s[0:1], 0x70
	s_sub_i32 s1, 0, s3
	v_rcp_iflag_f32_e32 v1, v1
	s_load_dword s52, s[28:29], 0x0
	s_waitcnt lgkmcnt(0)
	s_sub_i32 s56, s41, s40
	s_ashr_i32 s0, s56, 31
	v_mul_f32_e32 v1, 0x4f7ffffe, v1
	v_cvt_u32_f32_e32 v1, v1
	s_lshr_b32 s0, s0, 26
	s_add_i32 s0, s56, s0
	s_ashr_i32 s51, s0, 6
	v_readfirstlane_b32 s31, v1
	s_mul_i32 s1, s1, s31
	s_mul_hi_u32 s1, s31, s1
	s_add_i32 s31, s31, s1
	s_mul_hi_u32 s1, s30, s31
	s_mul_i32 s31, s1, s3
	s_ashr_i32 s0, s22, 31
	s_sub_i32 s30, s30, s31
	s_xor_b32 s0, s46, s0
	s_add_i32 s31, s1, 1
	s_sub_i32 s36, s30, s3
	s_cmp_ge_u32 s30, s3
	s_cselect_b32 s1, s31, s1
	s_cselect_b32 s30, s36, s30
	s_add_i32 s31, s1, 1
	s_cmp_ge_u32 s30, s3
	s_cselect_b32 s1, s31, s1
	s_xor_b32 s1, s1, s0
	s_sub_i32 s1, s1, s0
	s_abs_i32 s3, s1
	v_cvt_f32_u32_e32 v1, s3
	s_sub_i32 s29, 0, s3
	s_abs_i32 s28, s47
	s_xor_b32 s1, s47, s1
	v_rcp_iflag_f32_e32 v1, v1
	s_ashr_i32 s1, s1, 31
	s_mov_b32 s0, 0
	s_mul_hi_i32 s53, s47, s20
	v_mul_f32_e32 v1, 0x4f7ffffe, v1
	v_cvt_u32_f32_e32 v1, v1
	s_mul_i32 s54, s47, s20
	v_lshrrev_b32_e32 v80, 3, v76
	v_lshlrev_b32_e32 v79, 3, v0
	v_readfirstlane_b32 s30, v1
	s_mul_i32 s29, s29, s30
	s_mul_hi_u32 s29, s30, s29
	s_add_i32 s30, s30, s29
	s_mul_hi_u32 s29, s28, s30
	s_mul_i32 s30, s29, s3
	s_sub_i32 s28, s28, s30
	s_add_i32 s30, s29, 1
	s_sub_i32 s31, s28, s3
	s_cmp_ge_u32 s28, s3
	s_cselect_b32 s29, s30, s29
	s_cselect_b32 s28, s31, s28
	s_add_i32 s30, s29, 1
	s_cmp_ge_u32 s28, s3
	s_cselect_b32 s3, s30, s29
	s_xor_b32 s3, s3, s1
	s_sub_i32 s55, s3, s1
	v_or_b32_e32 v1, v2, v75
	s_lshl_b32 s2, s2, 6
	s_mov_b32 s1, s0
	v_or_b32_e32 v81, 64, v1
	s_cmp_lt_i32 s56, 64
	v_mov_b64_e32 v[34:35], s[0:1]
	s_mul_i32 s48, s34, s25
	s_mul_hi_u32 s49, s34, s24
	s_mul_i32 s50, s35, s24
	s_mul_i32 s24, s34, s24
	v_mov_b64_e32 v[36:37], s[0:1]
	v_mov_b64_e32 v[40:41], s[0:1]
	;; [unrolled: 1-line block ×15, first 2 shown]
	s_cbranch_scc1 .LBB37_17
; %bb.1:
	s_ashr_i32 s58, s47, 31
	s_ashr_i32 s1, s40, 31
	s_add_u32 s0, s54, s40
	s_addc_u32 s1, s53, s1
	s_lshl_b64 s[0:1], s[0:1], 8
	v_and_b32_e32 v83, 56, v79
	s_add_u32 s28, s14, s0
	v_lshl_or_b32 v82, v74, 3, v80
	v_lshlrev_b32_e32 v3, 1, v83
	s_addc_u32 s0, s15, s1
	v_lshl_or_b32 v84, v82, 8, v3
	s_and_b32 s29, s0, 0xffff
	s_mov_b32 s31, 0x20000
	s_movk_i32 s30, 0x4000
	s_movk_i32 s0, 0x80
	v_or_b32_e32 v85, 0x2000, v84
	buffer_load_dwordx4 v[4:7], v84, s[28:31], 0 offen
	buffer_load_dwordx4 v[8:11], v84, s[28:31], s0 offen
	;; [unrolled: 1-line block ×4, first 2 shown]
	v_lshlrev_b32_e32 v20, 3, v82
	v_and_or_b32 v22, v0, 7, v20
	v_and_b32_e32 v20, 0x78, v20
	v_lshlrev_b32_e32 v22, 4, v22
	v_xor_b32_e32 v86, v22, v20
	v_mul_lo_u32 v21, v82, s23
	v_or_b32_e32 v87, 0x1000, v86
	s_cmpk_eq_i32 s23, 0x80
	s_mov_b32 s57, s40
	v_xor_b32_e32 v20, 8, v86
	v_xor_b32_e32 v22, 8, v87
	s_cselect_b64 s[0:1], -1, 0
	s_cmpk_lg_i32 s23, 0x80
	s_waitcnt vmcnt(3)
	ds_write_b64 v86, v[4:5] offset:49152
	ds_write_b64 v20, v[6:7] offset:49152
	s_waitcnt vmcnt(2)
	ds_write_b64 v86, v[8:9] offset:57344
	ds_write_b64 v20, v[10:11] offset:57344
	;; [unrolled: 3-line block ×4, first 2 shown]
	v_lshl_add_u32 v4, v21, 1, v83
	s_cbranch_scc0 .LBB37_3
; %bb.2:
	v_lshlrev_b32_e32 v6, 1, v4
	v_add_lshl_u32 v5, v4, s23, 1
	s_lshl_b32 s30, s23, 7
	v_lshl_or_b32 v3, v82, 9, v3
	s_cbranch_execz .LBB37_4
	s_branch .LBB37_5
.LBB37_3:
                                        ; implicit-def: $vgpr5
                                        ; implicit-def: $vgpr6
                                        ; implicit-def: $sgpr30
	v_lshl_or_b32 v3, v82, 9, v3
.LBB37_4:
	v_or_b32_e32 v5, 0x100, v3
	s_movk_i32 s30, 0x4000
	v_mov_b32_e32 v6, v3
.LBB37_5:
	s_mul_i32 s25, s40, s22
	s_ashr_i32 s59, s55, 31
	s_mul_hi_i32 s3, s40, s22
	s_add_u32 s28, s25, s55
	s_addc_u32 s29, s3, s59
	s_lshl_b64 s[28:29], s[28:29], 8
	s_add_u32 s28, s12, s28
	s_addc_u32 s3, s13, s29
	s_and_b32 s29, s3, 0xffff
	s_movk_i32 s60, 0x80
	buffer_load_dwordx4 v[8:11], v6, s[28:31], 0 offen
	buffer_load_dwordx4 v[12:15], v6, s[28:31], s60 offen
	;; [unrolled: 1-line block ×4, first 2 shown]
	v_and_b32_e32 v5, 6, v0
	v_lshlrev_b32_e32 v6, 7, v1
	v_xor_b32_e32 v28, v82, v5
	v_and_b32_e32 v7, 1, v0
	v_lshl_or_b32 v31, v78, 3, v6
	v_lshlrev_b32_e32 v28, 2, v28
	v_lshlrev_b32_e32 v24, 2, v78
	v_or_b32_e32 v88, 0x4000, v31
	v_or_b32_e32 v89, 0x6000, v31
	v_xor_b32_e32 v31, 0x440, v28
	v_cmp_eq_u32_e32 vcc, 0, v7
	v_or_b32_e32 v26, 16, v78
	v_or_b32_e32 v27, 32, v78
	v_xor_b32_e32 v29, v1, v24
	v_xor_b32_e32 v30, v81, v24
	v_cndmask_b32_e32 v7, v31, v28, vcc
	s_add_i32 s3, s49, s48
	s_mov_b32 s61, 0x1000504
	v_lshl_or_b32 v32, v26, 3, v6
	v_lshlrev_b32_e32 v26, 8, v26
	v_lshl_or_b32 v33, v27, 3, v6
	v_lshlrev_b32_e32 v29, 1, v29
	v_lshlrev_b32_e32 v30, 1, v30
	v_lshl_or_b32 v5, v5, 10, v7
	s_add_i32 s25, s3, s50
	s_mul_i32 s3, s47, s27
	s_mul_hi_u32 s28, s47, s26
	s_mov_b32 s62, 0x3020706
	v_lshlrev_b32_e32 v25, 8, v78
	v_or_b32_e32 v92, 0x4000, v33
	v_or_b32_e32 v93, 0x6000, v33
	;; [unrolled: 1-line block ×4, first 2 shown]
	v_xor_b32_e32 v7, 8, v5
	v_xor_b32_e32 v26, 24, v5
	;; [unrolled: 1-line block ×4, first 2 shown]
	s_add_i32 s3, s28, s3
	s_mul_i32 s28, s58, s26
	v_or_b32_e32 v90, 0x4000, v32
	v_or_b32_e32 v91, 0x6000, v32
	;; [unrolled: 1-line block ×4, first 2 shown]
	v_xor_b32_e32 v25, 16, v5
	v_xor_b32_e32 v28, 32, v5
	;; [unrolled: 1-line block ×3, first 2 shown]
	v_add_u32_e32 v7, 0x80, v7
	v_add_u32_e32 v26, 0x80, v26
	;; [unrolled: 1-line block ×4, first 2 shown]
	s_add_i32 s29, s3, s28
	s_lshl_b64 s[36:37], s[24:25], 2
	s_mul_i32 s28, s47, s26
	s_add_u32 s3, s18, s36
	s_addc_u32 s25, s19, s37
	s_lshl_b64 s[28:29], s[28:29], 2
	s_add_u32 s42, s3, s28
	s_movk_i32 s3, 0xf8
	s_addc_u32 s43, s25, s29
	s_lshl_b32 s38, s23, 7
	s_movk_i32 s25, 0x100
	v_mov_b32_e32 v67, 0
	v_lshlrev_b32_e32 v66, 4, v78
	v_cmp_gt_u32_e32 vcc, s25, v0
	v_lshlrev_b32_e32 v27, 8, v27
	s_mov_b32 s63, 0
	s_movk_i32 s30, 0x4000
	v_or_b32_e32 v98, v27, v29
	v_or_b32_e32 v99, v27, v30
	v_add_u32_e32 v128, v75, v2
	s_movk_i32 s25, 0x2000
	s_movk_i32 s64, 0x3000
	v_mov_b32_e32 v62, v67
	v_mov_b32_e32 v63, v67
	v_mov_b32_e32 v64, v67
	v_mov_b32_e32 v65, v67
	v_mov_b32_e32 v58, v67
	v_mov_b32_e32 v59, v67
	s_waitcnt vmcnt(1)
	v_perm_b32 v34, v8, v16, s61
	s_waitcnt vmcnt(0)
	v_perm_b32 v35, v12, v20, s61
	v_perm_b32 v8, v8, v16, s62
	v_perm_b32 v12, v12, v20, s62
	v_perm_b32 v16, v9, v17, s61
	v_perm_b32 v20, v13, v21, s61
	v_perm_b32 v9, v9, v17, s62
	v_perm_b32 v13, v13, v21, s62
	v_perm_b32 v17, v10, v18, s61
	v_perm_b32 v21, v14, v22, s61
	v_perm_b32 v10, v10, v18, s62
	v_perm_b32 v14, v14, v22, s62
	v_perm_b32 v18, v11, v19, s61
	v_perm_b32 v22, v15, v23, s61
	v_perm_b32 v11, v11, v19, s62
	v_perm_b32 v15, v15, v23, s62
	ds_write2st64_b32 v5, v34, v35 offset0:128 offset1:160
	ds_write2st64_b32 v7, v8, v12 offset0:128 offset1:160
	;; [unrolled: 1-line block ×8, first 2 shown]
	v_or_b32_e32 v5, 48, v78
	v_lshl_or_b32 v7, v5, 3, v6
	v_lshlrev_b32_e32 v5, 8, v5
	v_or_b32_e32 v102, v5, v29
	v_or_b32_e32 v103, v5, v30
	;; [unrolled: 1-line block ×3, first 2 shown]
	v_lshlrev_b32_e32 v5, 3, v5
	v_lshrrev_b32_e32 v9, 5, v76
	v_and_or_b32 v9, v5, s3, v9
	v_lshlrev_b32_e32 v9, 4, v9
	v_or_b32_e32 v100, 0x4000, v7
	v_or_b32_e32 v101, 0x6000, v7
	v_lshlrev_b32_e32 v7, 11, v74
	v_and_b32_e32 v5, 0x78, v5
	v_or_b32_e32 v14, 32, v9
	v_and_b32_e32 v8, 0x1000, v7
	v_xor_b32_e32 v10, v9, v5
	v_lshrrev_b32_e32 v11, 1, v0
	v_xor_b32_e32 v14, v14, v5
	v_or_b32_e32 v10, v10, v8
	v_and_b32_e32 v12, 8, v11
	v_or_b32_e32 v14, v14, v8
	v_xor_b32_e32 v104, v10, v12
	v_lshlrev_b32_e32 v10, 8, v77
	v_xor_b32_e32 v106, v14, v12
	v_or_b32_e32 v14, 64, v9
	v_or_b32_e32 v9, 0x60, v9
	;; [unrolled: 1-line block ×3, first 2 shown]
	v_xor_b32_e32 v14, v14, v5
	v_xor_b32_e32 v5, v9, v5
	s_ashr_i32 s3, s2, 31
	v_lshlrev_b32_e32 v13, 1, v13
	v_or_b32_e32 v14, v14, v8
	v_or_b32_e32 v5, v5, v8
	s_lshl_b64 s[28:29], s[2:3], 8
	v_or_b32_e32 v105, 0x4000, v13
	v_or_b32_e32 v107, 0x4080, v13
	;; [unrolled: 1-line block ×4, first 2 shown]
	v_xor_b32_e32 v110, v14, v12
	v_xor_b32_e32 v111, v5, v12
	v_or_b32_e32 v112, 0x6000, v13
	v_or_b32_e32 v113, 0x6080, v13
	;; [unrolled: 1-line block ×4, first 2 shown]
	v_lshlrev_b32_e32 v12, 1, v4
	v_add_lshl_u32 v13, v4, s23, 1
	s_add_u32 s28, s4, s28
	v_lshlrev_b32_e32 v4, 1, v78
	v_lshrrev_b32_e32 v15, 4, v0
	s_addc_u32 s29, s5, s29
	v_or_b32_e32 v5, 1, v4
	v_mov_b32_e32 v19, 0xa000
	v_mov_b32_e32 v20, 0x8000
	v_xor_b32_e32 v16, v15, v4
	v_xor_b32_e32 v17, v5, v15
	v_lshl_add_u64 v[4:5], s[28:29], 0, v[66:67]
	v_lshlrev_b32_e32 v66, 8, v15
	v_cndmask_b32_e32 v19, v19, v20, vcc
	v_lshlrev_b32_e32 v20, 3, v74
	v_and_b32_e32 v11, 24, v11
	v_lshl_or_b32 v116, v16, 3, v66
	v_and_b32_e32 v16, 8, v0
	v_xor_b32_e32 v21, v20, v11
	v_or_b32_e32 v22, 0x440, v21
	v_cmp_eq_u32_e32 vcc, 0, v16
	v_and_b32_e32 v15, 7, v0
	v_lshl_or_b32 v117, v17, 3, v66
	v_cndmask_b32_e32 v16, v22, v21, vcc
	v_lshlrev_b32_e32 v17, 3, v15
	v_lshlrev_b32_e32 v15, 7, v15
	v_or_b32_e32 v16, v16, v7
	v_lshlrev_b32_e32 v18, 2, v0
	v_xad_u32 v118, v16, v17, v15
	v_or_b32_e32 v16, 32, v11
	v_and_or_b32 v10, v18, 60, v10
	v_xor_b32_e32 v16, v20, v16
	v_lshlrev_b32_e32 v10, 1, v10
	v_or_b32_e32 v18, 0x440, v16
	v_or_b32_e32 v119, 0x6000, v10
	v_cndmask_b32_e32 v16, v18, v16, vcc
	v_or_b32_e32 v121, 0x6080, v10
	v_or_b32_e32 v122, 0x6100, v10
	;; [unrolled: 1-line block ×5, first 2 shown]
	v_xor_b32_e32 v10, v20, v10
	v_xad_u32 v120, v16, v17, v15
	v_xor_b32_e32 v16, 0x440, v10
	v_cndmask_b32_e32 v10, v16, v10, vcc
	v_or_b32_e32 v10, v10, v7
	v_xad_u32 v124, v10, v17, v15
	v_or_b32_e32 v10, 0x60, v11
	v_xor_b32_e32 v10, v20, v10
	v_xor_b32_e32 v11, 0x440, v10
	v_or_b32_e32 v8, s2, v78
	v_cndmask_b32_e32 v10, v11, v10, vcc
	v_ashrrev_i32_e32 v9, 31, v8
	v_or_b32_e32 v7, v10, v7
	v_or_b32_e32 v14, 0x100, v3
	v_xad_u32 v125, v7, v17, v15
	v_lshlrev_b64 v[8:9], 1, v[8:9]
	v_cndmask_b32_e64 v126, v12, v3, s[0:1]
	v_cndmask_b32_e64 v127, v13, v14, s[0:1]
	v_lshl_add_u64 v[68:69], s[16:17], 0, v[8:9]
	v_lshl_add_u64 v[70:71], s[6:7], 0, v[8:9]
	;; [unrolled: 1-line block ×3, first 2 shown]
	s_mov_b32 s3, 0x7060302
	v_lshlrev_b32_e32 v66, 1, v6
	v_add_u32_e32 v129, v19, v118
	v_add_u32_e32 v130, v19, v120
	;; [unrolled: 1-line block ×4, first 2 shown]
	v_mov_b32_e32 v60, v67
	v_mov_b32_e32 v61, v67
	;; [unrolled: 1-line block ×26, first 2 shown]
	s_waitcnt lgkmcnt(0)
	s_barrier
	s_branch .LBB37_7
.LBB37_6:                               ;   in Loop: Header=BB37_7 Depth=1
	v_exp_f32_e32 v134, s44
	v_accvgpr_read_b32 v5, a3
	v_accvgpr_read_b32 v9, a7
	;; [unrolled: 1-line block ×4, first 2 shown]
	s_waitcnt vmcnt(4)
	v_accvgpr_read_b32 v18, a20
	v_accvgpr_read_b32 v25, a19
	;; [unrolled: 1-line block ×28, first 2 shown]
	s_add_i32 s57, s57, 64
	v_pk_fma_f32 v[62:63], v[134:135], v[62:63], v[2:3] op_sel_hi:[0,1,1]
	v_pk_fma_f32 v[64:65], v[134:135], v[64:65], v[4:5] op_sel_hi:[0,1,1]
	;; [unrolled: 1-line block ×16, first 2 shown]
	s_cmp_eq_u32 s51, s65
	s_mov_b32 s63, s65
	s_cbranch_scc1 .LBB37_17
.LBB37_7:                               ; =>This Inner Loop Header: Depth=1
	s_add_i32 s65, s63, 1
	s_cmp_lt_i32 s65, s51
	s_mov_b64 s[36:37], 0
	s_cselect_b64 s[44:45], -1, 0
	s_cmp_ge_i32 s65, s51
	s_mov_b64 s[28:29], 0
	s_cbranch_scc1 .LBB37_9
; %bb.8:                                ;   in Loop: Header=BB37_7 Depth=1
	s_add_i32 s0, s57, 64
	s_ashr_i32 s1, s0, 31
	s_add_u32 s0, s54, s0
	s_addc_u32 s1, s53, s1
	s_lshl_b64 s[0:1], s[0:1], 8
	s_add_u32 s28, s14, s0
	s_addc_u32 s29, s15, s1
.LBB37_9:                               ;   in Loop: Header=BB37_7 Depth=1
	v_cndmask_b32_e64 v2, 0, 1, s[44:45]
	v_cmp_ne_u32_e64 s[0:1], 1, v2
	s_andn2_b64 vcc, exec, s[44:45]
	s_cbranch_vccnz .LBB37_11
; %bb.10:                               ;   in Loop: Header=BB37_7 Depth=1
	s_add_i32 s36, s57, 64
	s_mul_hi_i32 s37, s36, s22
	s_mul_i32 s36, s36, s22
	s_add_u32 s36, s36, s55
	s_addc_u32 s37, s37, s59
	s_lshl_b64 s[36:37], s[36:37], 8
	s_add_u32 s36, s12, s36
	s_addc_u32 s37, s13, s37
.LBB37_11:                              ;   in Loop: Header=BB37_7 Depth=1
	v_perm_b32 v3, v65, v64, s3
	v_perm_b32 v2, v63, v62, s3
	v_perm_b32 v5, v61, v60, s3
	v_perm_b32 v4, v59, v58, s3
	ds_write_b64 v88, v[2:3]
	ds_write_b64 v89, v[4:5]
	ds_write_b64 v94, v[2:3]
	ds_write_b64 v95, v[4:5]
	v_perm_b32 v3, v57, v56, s3
	v_perm_b32 v2, v55, v54, s3
	v_perm_b32 v5, v53, v52, s3
	v_perm_b32 v4, v51, v50, s3
	ds_write_b64 v90, v[2:3]
	ds_write_b64 v91, v[4:5]
	ds_write_b64 v96, v[2:3]
	ds_write_b64 v97, v[4:5]
	;; [unrolled: 8-line block ×4, first 2 shown]
	s_waitcnt lgkmcnt(0)
	s_barrier
	ds_read_b64 v[6:7], v104 offset:49152
	ds_read2_b64 v[2:5], v105 offset1:16
	ds_read_b64 v[18:19], v107 offset:6144
	ds_read_b64 v[20:21], v105 offset:6144
	s_waitcnt lgkmcnt(2)
	v_mfma_f32_16x16x16_bf16 a[0:3], v[6:7], v[2:3], 0
	ds_read_b64 v[22:23], v106 offset:49152
	ds_read2st64_b64 v[10:13], v108 offset0:4 offset1:8
	ds_read2st64_b64 v[14:17], v109 offset0:4 offset1:8
	v_mfma_f32_16x16x16_bf16 a[4:7], v[6:7], v[4:5], 0
	ds_read2_b64 v[2:5], v105 offset0:32 offset1:48
	s_add_i32 s39, s57, 63
	s_ashr_i32 s44, s39, 31
	s_waitcnt lgkmcnt(0)
	v_mfma_f32_16x16x16_bf16 a[8:11], v[6:7], v[2:3], 0
	s_mul_i32 s45, s39, s11
	s_mul_hi_u32 s66, s39, s10
	s_add_i32 s45, s66, s45
	v_mfma_f32_16x16x16_bf16 a[12:15], v[6:7], v[4:5], 0
	ds_read2st64_b64 v[2:5], v105 offset0:4 offset1:8
	ds_read2st64_b64 v[6:9], v107 offset0:4 offset1:8
	s_mul_i32 s44, s44, s10
	s_waitcnt lgkmcnt(1)
	v_mfma_f32_16x16x16_bf16 a[0:3], v[22:23], v[2:3], a[0:3]
	s_add_i32 s45, s45, s44
	s_mul_i32 s44, s39, s10
	s_lshl_b64 s[44:45], s[44:45], 2
	s_waitcnt lgkmcnt(0)
	v_mfma_f32_16x16x16_bf16 a[4:7], v[22:23], v[6:7], a[4:7]
	s_add_u32 s44, s42, s44
	s_addc_u32 s45, s43, s45
	s_and_b64 vcc, exec, s[0:1]
	v_mfma_f32_16x16x16_bf16 a[8:11], v[22:23], v[10:11], a[8:11]
	ds_read_b64 v[2:3], v110 offset:49152
	ds_read_b64 v[6:7], v111 offset:49152
	;; [unrolled: 1-line block ×3, first 2 shown]
	v_mov_b32_e32 v135, 0
	v_mov_b32_e32 v134, 0
	v_mfma_f32_16x16x16_bf16 a[12:15], v[22:23], v[14:15], a[12:15]
	v_mov_b32_e32 v133, 0
	v_mov_b32_e32 v14, 0
	;; [unrolled: 1-line block ×3, first 2 shown]
	s_waitcnt lgkmcnt(2)
	v_mfma_f32_16x16x16_bf16 a[0:3], v[2:3], v[4:5], a[0:3]
	v_mov_b32_e32 v4, 0
	v_mov_b32_e32 v5, 0
	v_mfma_f32_16x16x16_bf16 a[16:19], v[2:3], v[8:9], a[4:7]
	v_mov_b32_e32 v8, 0
	v_mov_b32_e32 v9, 0
	;; [unrolled: 3-line block ×3, first 2 shown]
	v_mfma_f32_16x16x16_bf16 a[24:27], v[2:3], v[16:17], a[12:15]
	ds_read_b64 v[2:3], v108 offset:6144
	v_mov_b32_e32 v16, 0
	v_mov_b32_e32 v17, 0
	s_waitcnt lgkmcnt(2)
	v_mfma_f32_16x16x16_bf16 a[4:7], v[6:7], v[20:21], a[0:3]
	v_mfma_f32_16x16x16_bf16 a[8:11], v[6:7], v[18:19], a[16:19]
	s_waitcnt lgkmcnt(0)
	v_mfma_f32_16x16x16_bf16 a[12:15], v[6:7], v[2:3], a[20:23]
	v_mov_b32_e32 v2, 0
	v_mov_b32_e32 v3, 0
	v_mfma_f32_16x16x16_bf16 a[0:3], v[6:7], v[10:11], a[24:27]
	v_mov_b32_e32 v6, 0
	v_mov_b32_e32 v7, 0
	v_mov_b32_e32 v10, 0
	v_mov_b32_e32 v11, 0
	s_cbranch_vccnz .LBB37_13
; %bb.12:                               ;   in Loop: Header=BB37_7 Depth=1
	s_and_b32 s29, s29, 0xffff
	buffer_load_dwordx4 v[14:17], v84, s[28:31], 0 offen
	buffer_load_dwordx4 v[10:13], v84, s[28:31], s60 offen
	;; [unrolled: 1-line block ×4, first 2 shown]
	v_mov_b32_e32 v134, v86
	v_mov_b32_e32 v133, v87
.LBB37_13:                              ;   in Loop: Header=BB37_7 Depth=1
	ds_read_b64 v[30:31], v104 offset:57344
	ds_read2_b64 v[18:21], v112 offset1:16
	ds_read_b64 v[136:137], v106 offset:57344
	ds_read_b64 v[138:139], v110 offset:57344
	;; [unrolled: 1-line block ×3, first 2 shown]
	v_add_u32_e32 v32, s57, v128
	s_waitcnt lgkmcnt(3)
	v_mfma_f32_16x16x16_bf16 a[4:7], v[30:31], v[18:19], a[4:7]
	v_mfma_f32_16x16x16_bf16 a[8:11], v[30:31], v[20:21], a[8:11]
	ds_read2_b64 v[18:21], v112 offset0:32 offset1:48
	ds_read2st64_b64 v[22:25], v112 offset0:4 offset1:8
	ds_read2st64_b64 v[26:29], v113 offset0:4 offset1:8
	s_waitcnt lgkmcnt(2)
	v_mfma_f32_16x16x16_bf16 a[12:15], v[30:31], v[18:19], a[12:15]
	v_ashrrev_i32_e32 v18, 31, v32
	v_mul_lo_u32 v33, v18, s10
	v_mad_u64_u32 v[18:19], s[28:29], v32, s10, 0
	v_mfma_f32_16x16x16_bf16 a[0:3], v[30:31], v[20:21], a[0:3]
	v_mul_lo_u32 v20, v32, s11
	v_add3_u32 v19, v19, v20, v33
	v_add_u32_e32 v20, 1, v32
	v_ashrrev_i32_e32 v21, 31, v20
	s_waitcnt lgkmcnt(1)
	v_mfma_f32_16x16x16_bf16 a[4:7], v[136:137], v[22:23], a[4:7]
	v_mul_lo_u32 v22, v21, s10
	v_mul_lo_u32 v23, v20, s11
	v_mad_u64_u32 v[20:21], s[28:29], v20, s10, 0
	v_add3_u32 v21, v21, v23, v22
	v_add_u32_e32 v22, 2, v32
	v_ashrrev_i32_e32 v23, 31, v22
	v_mul_lo_u32 v30, v23, s10
	v_mul_lo_u32 v31, v22, s11
	v_mad_u64_u32 v[22:23], s[28:29], v22, s10, 0
	v_add3_u32 v23, v23, v31, v30
	v_add_u32_e32 v30, 3, v32
	v_ashrrev_i32_e32 v31, 31, v30
	v_mul_lo_u32 v32, v31, s10
	v_mul_lo_u32 v33, v30, s11
	v_mad_u64_u32 v[30:31], s[28:29], v30, s10, 0
	s_ashr_i32 s29, s57, 31
	s_add_u32 s28, s54, s57
	s_addc_u32 s29, s53, s29
	v_lshl_add_u64 v[18:19], v[18:19], 2, s[42:43]
	v_add3_u32 v31, v31, v33, v32
	s_lshl_b64 s[28:29], s[28:29], 8
	v_lshl_add_u64 v[20:21], v[20:21], 2, s[42:43]
	v_lshl_add_u64 v[22:23], v[22:23], 2, s[42:43]
	;; [unrolled: 1-line block ×3, first 2 shown]
	global_load_dword v142, v[18:19], off
	global_load_dword v143, v[20:21], off
	;; [unrolled: 1-line block ×4, first 2 shown]
	v_lshl_add_u64 v[18:19], v[68:69], 0, s[28:29]
	v_lshl_add_u64 v[22:23], v[18:19], 0, v[66:67]
	global_load_ushort v146, v[22:23], off offset:256
	global_load_ushort v147, v[22:23], off
	ds_read2st64_b64 v[18:21], v114 offset0:4 offset1:8
	global_load_ushort v148, v[22:23], off offset:768
	global_load_ushort v149, v[22:23], off offset:512
	ds_read2st64_b64 v[30:33], v115 offset0:4 offset1:8
	global_load_ushort v150, v[22:23], off offset:288
	global_load_ushort v151, v[22:23], off offset:32
	;; [unrolled: 1-line block ×4, first 2 shown]
	s_waitcnt lgkmcnt(2)
	v_mfma_f32_16x16x16_bf16 a[8:11], v[136:137], v[26:27], a[8:11]
	global_load_ushort v154, v[22:23], off offset:320
	global_load_ushort v155, v[22:23], off offset:64
	;; [unrolled: 1-line block ×4, first 2 shown]
	s_and_b64 vcc, exec, s[0:1]
	s_waitcnt lgkmcnt(1)
	v_mfma_f32_16x16x16_bf16 a[12:15], v[136:137], v[18:19], a[12:15]
	ds_read_b64 v[18:19], v112 offset:6144
	s_waitcnt lgkmcnt(1)
	v_mfma_f32_16x16x16_bf16 a[0:3], v[136:137], v[30:31], a[0:3]
	v_lshl_add_u64 v[30:31], v[70:71], 0, s[28:29]
	v_lshl_add_u64 v[30:31], v[30:31], 0, v[66:67]
	v_mfma_f32_16x16x16_bf16 a[4:7], v[138:139], v[24:25], a[4:7]
	v_mfma_f32_16x16x16_bf16 a[8:11], v[138:139], v[28:29], a[8:11]
	;; [unrolled: 1-line block ×4, first 2 shown]
	global_load_ushort v138, v[22:23], off offset:352
	global_load_ushort v139, v[22:23], off offset:96
	ds_read_b64 v[20:21], v113 offset:6144
	ds_read_b64 v[24:25], v114 offset:6144
	;; [unrolled: 1-line block ×3, first 2 shown]
	s_load_dword s44, s[44:45], 0x0
	global_load_ushort v158, v[22:23], off offset:864
	global_load_ushort v159, v[22:23], off offset:608
	s_waitcnt lgkmcnt(0)
	v_mfma_f32_16x16x16_bf16 a[4:7], v[140:141], v[18:19], a[4:7]
	s_waitcnt vmcnt(17)
	v_sub_f32_e32 v28, s44, v144
	v_mfma_f32_16x16x16_bf16 a[0:3], v[140:141], v[26:27], a[0:3]
	v_sub_f32_e32 v26, s44, v142
	v_sub_f32_e32 v27, s44, v143
	s_waitcnt vmcnt(16)
	v_sub_f32_e32 v29, s44, v145
	v_mfma_f32_16x16x16_bf16 a[8:11], v[140:141], v[20:21], a[8:11]
	v_exp_f32_e32 v26, v26
	v_exp_f32_e32 v27, v27
	;; [unrolled: 1-line block ×4, first 2 shown]
	v_accvgpr_read_b32 v137, a5
	s_waitcnt vmcnt(15)
	v_lshlrev_b32_e32 v33, 16, v146
	s_waitcnt vmcnt(14)
	v_lshlrev_b32_e32 v32, 16, v147
	v_accvgpr_read_b32 v136, a4
	v_accvgpr_read_b32 v19, a7
	;; [unrolled: 1-line block ×3, first 2 shown]
	v_pk_add_f32 v[32:33], v[32:33], v[136:137] neg_lo:[0,1] neg_hi:[0,1]
	s_waitcnt vmcnt(13)
	v_lshlrev_b32_e32 v137, 16, v148
	s_waitcnt vmcnt(12)
	v_lshlrev_b32_e32 v136, 16, v149
	v_pk_add_f32 v[18:19], v[136:137], v[18:19] neg_lo:[0,1] neg_hi:[0,1]
	global_store_short_d16_hi v[30:31], v32, off
	global_store_short_d16_hi v[30:31], v33, off offset:256
	global_store_short_d16_hi v[30:31], v18, off offset:512
	;; [unrolled: 1-line block ×3, first 2 shown]
	v_pk_mul_f32 v[32:33], v[26:27], v[32:33]
	v_pk_mul_f32 v[18:19], v[28:29], v[18:19]
	v_accvgpr_read_b32 v137, a9
	v_perm_b32 v32, v33, v32, s3
	v_perm_b32 v33, v19, v18, s3
	s_waitcnt vmcnt(15)
	v_lshlrev_b32_e32 v19, 16, v150
	s_waitcnt vmcnt(14)
	v_lshlrev_b32_e32 v18, 16, v151
	v_accvgpr_read_b32 v136, a8
	v_accvgpr_read_b32 v21, a11
	v_mfma_f32_16x16x16_bf16 a[12:15], v[140:141], v[24:25], a[12:15]
	v_accvgpr_read_b32 v20, a10
	v_pk_add_f32 v[18:19], v[18:19], v[136:137] neg_lo:[0,1] neg_hi:[0,1]
	s_waitcnt vmcnt(13)
	v_lshlrev_b32_e32 v137, 16, v152
	s_waitcnt vmcnt(12)
	v_lshlrev_b32_e32 v136, 16, v153
	v_pk_add_f32 v[20:21], v[136:137], v[20:21] neg_lo:[0,1] neg_hi:[0,1]
	global_store_short_d16_hi v[30:31], v18, off offset:32
	global_store_short_d16_hi v[30:31], v19, off offset:288
	;; [unrolled: 1-line block ×4, first 2 shown]
	v_pk_mul_f32 v[18:19], v[26:27], v[18:19]
	v_pk_mul_f32 v[20:21], v[28:29], v[20:21]
	v_accvgpr_read_b32 v23, a15
	v_perm_b32 v21, v21, v20, s3
	v_perm_b32 v20, v19, v18, s3
	ds_write2_b64 v89, v[32:33], v[20:21] offset1:16
	v_accvgpr_read_b32 v21, a13
	s_waitcnt vmcnt(15)
	v_lshlrev_b32_e32 v19, 16, v154
	s_waitcnt vmcnt(14)
	v_lshlrev_b32_e32 v18, 16, v155
	v_accvgpr_read_b32 v20, a12
	v_accvgpr_read_b32 v22, a14
	v_pk_add_f32 v[18:19], v[18:19], v[20:21] neg_lo:[0,1] neg_hi:[0,1]
	s_waitcnt vmcnt(13)
	v_lshlrev_b32_e32 v21, 16, v156
	s_waitcnt vmcnt(12)
	v_lshlrev_b32_e32 v20, 16, v157
	v_pk_add_f32 v[20:21], v[20:21], v[22:23] neg_lo:[0,1] neg_hi:[0,1]
	global_store_short_d16_hi v[30:31], v18, off offset:64
	global_store_short_d16_hi v[30:31], v19, off offset:320
	;; [unrolled: 1-line block ×4, first 2 shown]
	v_pk_mul_f32 v[18:19], v[26:27], v[18:19]
	v_pk_mul_f32 v[20:21], v[28:29], v[20:21]
	v_accvgpr_read_b32 v23, a1
	v_perm_b32 v18, v19, v18, s3
	v_perm_b32 v19, v21, v20, s3
	s_waitcnt vmcnt(15)
	v_lshlrev_b32_e32 v21, 16, v138
	s_waitcnt vmcnt(14)
	v_lshlrev_b32_e32 v20, 16, v139
	v_accvgpr_read_b32 v22, a0
	v_accvgpr_read_b32 v25, a3
	;; [unrolled: 1-line block ×3, first 2 shown]
	v_pk_add_f32 v[20:21], v[20:21], v[22:23] neg_lo:[0,1] neg_hi:[0,1]
	s_waitcnt vmcnt(13)
	v_lshlrev_b32_e32 v23, 16, v158
	s_waitcnt vmcnt(12)
	v_lshlrev_b32_e32 v22, 16, v159
	v_pk_add_f32 v[22:23], v[22:23], v[24:25] neg_lo:[0,1] neg_hi:[0,1]
	global_store_short_d16_hi v[30:31], v20, off offset:96
	global_store_short_d16_hi v[30:31], v21, off offset:352
	global_store_short_d16_hi v[30:31], v22, off offset:608
	global_store_short_d16_hi v[30:31], v23, off offset:864
	v_pk_mul_f32 v[20:21], v[26:27], v[20:21]
	v_pk_mul_f32 v[22:23], v[28:29], v[22:23]
	v_mov_b32_e32 v136, 0
	v_perm_b32 v23, v23, v22, s3
	v_perm_b32 v22, v21, v20, s3
	ds_write2_b64 v89, v[18:19], v[22:23] offset0:32 offset1:48
	v_mov_b32_e32 v18, 0
	v_mov_b32_e32 v19, 0
	;; [unrolled: 1-line block ×16, first 2 shown]
	s_cbranch_vccnz .LBB37_15
; %bb.14:                               ;   in Loop: Header=BB37_7 Depth=1
	s_and_b32 s37, s37, 0xffff
	s_mov_b32 s39, s31
	buffer_load_dwordx4 v[30:33], v126, s[36:39], 0 offen
	buffer_load_dwordx4 v[22:25], v126, s[36:39], s60 offen
	;; [unrolled: 1-line block ×4, first 2 shown]
	v_mov_b32_e32 v135, v83
	v_mov_b32_e32 v136, v82
.LBB37_15:                              ;   in Loop: Header=BB37_7 Depth=1
	s_waitcnt lgkmcnt(0)
	s_barrier
	ds_read_b64 v[146:147], v129
	ds_read2_b64 v[138:141], v119 offset1:16
	ds_read_b64 v[162:163], v130
	ds_read_b64 v[164:165], v131
	;; [unrolled: 1-line block ×3, first 2 shown]
	ds_read2_b64 v[142:145], v119 offset0:32 offset1:48
	s_waitcnt lgkmcnt(4)
	v_mfma_f32_16x16x16_bf16 a[0:3], v[146:147], v[138:139], 0
	ds_read2st64_b64 v[150:153], v121 offset0:4 offset1:8
	ds_read2st64_b64 v[154:157], v122 offset0:4 offset1:8
	;; [unrolled: 1-line block ×3, first 2 shown]
	v_mfma_f32_16x16x16_bf16 a[4:7], v[146:147], v[140:141], 0
	s_add_i32 s28, s52, s63
	s_mul_hi_i32 s29, s28, s33
	s_mul_i32 s28, s28, s33
	s_waitcnt lgkmcnt(3)
	v_mfma_f32_16x16x16_bf16 a[8:11], v[146:147], v[142:143], 0
	s_add_u32 s28, s28, s47
	s_addc_u32 s29, s29, s58
	s_lshl_b64 s[28:29], s[28:29], 15
	v_mfma_f32_16x16x16_bf16 a[12:15], v[146:147], v[144:145], 0
	ds_read2st64_b64 v[146:149], v119 offset0:4 offset1:8
	s_waitcnt lgkmcnt(0)
	v_mfma_f32_16x16x16_bf16 a[0:3], v[162:163], v[146:147], a[0:3]
	v_mfma_f32_16x16x16_bf16 a[4:7], v[162:163], v[150:151], a[4:7]
	;; [unrolled: 1-line block ×8, first 2 shown]
	ds_read_b64 v[162:163], v119 offset:6144
	ds_read_b64 v[164:165], v120 offset:40960
	;; [unrolled: 1-line block ×8, first 2 shown]
	s_waitcnt lgkmcnt(5)
	v_mfma_f32_16x16x16_bf16 a[16:19], v[168:169], v[138:139], 0
	v_mfma_f32_16x16x16_bf16 a[20:23], v[168:169], v[140:141], 0
	ds_read2st64_b64 v[138:141], v116 offset1:8
	v_mfma_f32_16x16x16_bf16 a[24:27], v[168:169], v[142:143], 0
	v_mfma_f32_16x16x16_bf16 a[28:31], v[168:169], v[144:145], 0
	ds_read2st64_b64 v[142:145], v117 offset1:8
	v_mfma_f32_16x16x16_bf16 a[16:19], v[164:165], v[146:147], a[16:19]
	s_waitcnt lgkmcnt(1)
	v_mov_b32_e32 v146, v138
	v_mov_b32_e32 v147, v139
	v_mfma_f32_16x16x16_bf16 a[20:23], v[164:165], v[150:151], a[20:23]
	v_lshl_add_u64 v[150:151], v[72:73], 0, s[28:29]
	v_mfma_f32_16x16x16_bf16 a[24:27], v[164:165], v[154:155], a[24:27]
	v_mfma_f32_16x16x16_bf16 a[28:31], v[164:165], v[158:159], a[28:31]
	;; [unrolled: 1-line block ×3, first 2 shown]
	s_waitcnt lgkmcnt(0)
	v_mov_b32_e32 v148, v142
	v_mov_b32_e32 v149, v143
	;; [unrolled: 1-line block ×3, first 2 shown]
	v_mfma_f32_16x16x16_bf16 a[32:35], v[176:177], v[152:153], a[20:23]
	v_mov_b32_e32 v143, v141
	ds_read2st64_b64 v[138:141], v116 offset0:16 offset1:24
	global_store_dwordx4 v[150:151], v[146:149], off
	v_mfma_f32_16x16x16_bf16 a[24:27], v[176:177], v[156:157], a[24:27]
	ds_read2st64_b64 v[146:149], v117 offset0:16 offset1:24
	v_add_co_u32_e32 v152, vcc, s25, v150
	v_mfma_f32_16x16x16_bf16 a[28:31], v[176:177], v[160:161], a[28:31]
	s_nop 0
	v_addc_co_u32_e32 v153, vcc, 0, v151, vcc
	global_store_dwordx4 v[152:153], v[142:145], off offset:-4096
	v_mfma_f32_16x16x16_bf16 a[0:3], v[166:167], v[162:163], a[0:3]
	s_waitcnt lgkmcnt(1)
	v_mov_b32_e32 v142, v138
	v_add_co_u32_e32 v138, vcc, s64, v150
	v_mfma_f32_16x16x16_bf16 a[4:7], v[166:167], v[170:171], a[4:7]
	v_mov_b32_e32 v143, v139
	v_addc_co_u32_e32 v139, vcc, 0, v151, vcc
	v_mfma_f32_16x16x16_bf16 a[8:11], v[166:167], v[172:173], a[8:11]
	s_waitcnt lgkmcnt(0)
	v_mov_b32_e32 v144, v146
	v_mov_b32_e32 v145, v147
	v_mov_b32_e32 v146, v140
	v_mfma_f32_16x16x16_bf16 a[12:15], v[166:167], v[174:175], a[12:15]
	v_mov_b32_e32 v147, v141
	s_and_b64 vcc, exec, s[0:1]
	global_store_dwordx4 v[152:153], v[142:145], off
	v_mfma_f32_16x16x16_bf16 a[20:23], v[178:179], v[162:163], a[16:19]
	global_store_dwordx4 v[138:139], v[146:149], off
	v_mfma_f32_16x16x16_bf16 a[16:19], v[178:179], v[170:171], a[32:35]
	v_mfma_f32_16x16x16_bf16 a[24:27], v[178:179], v[172:173], a[24:27]
	;; [unrolled: 1-line block ×3, first 2 shown]
	s_cbranch_vccnz .LBB37_6
; %bb.16:                               ;   in Loop: Header=BB37_7 Depth=1
	v_lshrrev_b32_e32 v137, 3, v135
	v_and_b32_e32 v137, 6, v137
	v_xor_b32_e32 v136, v137, v136
	v_lshlrev_b32_e32 v136, 2, v136
	v_and_b32_e32 v135, 8, v135
	v_xor_b32_e32 v138, 0x440, v136
	v_cmp_eq_u32_e32 vcc, 0, v135
	s_barrier
	s_nop 0
	v_cndmask_b32_e32 v135, v138, v136, vcc
	v_lshl_or_b32 v135, v137, 10, v135
	s_waitcnt vmcnt(5)
	v_perm_b32 v136, v30, v26, s61
	s_waitcnt vmcnt(4)
	v_perm_b32 v137, v22, v18, s61
	ds_write2st64_b32 v135, v136, v137 offset0:128 offset1:160
	v_xor_b32_e32 v136, 8, v135
	v_perm_b32 v26, v30, v26, s62
	v_perm_b32 v18, v22, v18, s62
	v_add_u32_e32 v22, 0x80, v136
	ds_write2st64_b32 v22, v26, v18 offset0:128 offset1:160
	v_xor_b32_e32 v18, 16, v135
	v_perm_b32 v22, v31, v27, s61
	v_perm_b32 v26, v23, v19, s61
	ds_write2st64_b32 v18, v22, v26 offset0:129 offset1:161
	v_xor_b32_e32 v18, 24, v135
	v_perm_b32 v22, v31, v27, s62
	v_perm_b32 v19, v23, v19, s62
	v_add_u32_e32 v18, 0x80, v18
	ds_write2st64_b32 v18, v22, v19 offset0:129 offset1:161
	v_xor_b32_e32 v18, 32, v135
	v_perm_b32 v19, v32, v28, s61
	;; [unrolled: 9-line block ×3, first 2 shown]
	v_perm_b32 v20, v25, v21, s61
	ds_write2st64_b32 v18, v19, v20 offset0:131 offset1:163
	v_xor_b32_e32 v18, 56, v135
	v_perm_b32 v19, v33, v29, s62
	v_perm_b32 v20, v25, v21, s62
	v_add_u32_e32 v18, 0x80, v18
	ds_write2st64_b32 v18, v19, v20 offset0:131 offset1:163
	ds_write_b64 v134, v[14:15] offset:49152
	v_xor_b32_e32 v14, 8, v134
	ds_write_b64 v14, v[16:17] offset:49152
	ds_write_b64 v134, v[10:11] offset:57344
	;; [unrolled: 1-line block ×4, first 2 shown]
	v_xor_b32_e32 v6, 8, v133
	ds_write_b64 v6, v[8:9] offset:49152
	ds_write_b64 v133, v[2:3] offset:57344
	;; [unrolled: 1-line block ×3, first 2 shown]
	s_branch .LBB37_6
.LBB37_17:
	s_lshl_b32 s3, s51, 6
	s_sub_i32 s56, s56, s3
	s_cmp_gt_i32 s56, 0
	v_or_b32_e32 v18, s2, v78
	s_cbranch_scc1 .LBB37_19
; %bb.18:
	s_ashr_i32 s37, s47, 31
	v_or_b32_e32 v2, s2, v78
	s_cbranch_execz .LBB37_20
	s_branch .LBB37_100
.LBB37_19:
                                        ; implicit-def: $vgpr2
                                        ; implicit-def: $sgpr36_sgpr37
.LBB37_20:
	s_add_i32 s36, s3, s40
	s_ashr_i32 s3, s36, 31
	s_cmpk_lg_i32 s23, 0x80
	s_cselect_b64 s[42:43], -1, 0
	s_and_b64 vcc, exec, s[42:43]
	s_cbranch_vccz .LBB37_22
; %bb.21:
	s_mul_hi_i32 s0, s36, s22
	s_mul_i32 s1, s36, s22
	s_ashr_i32 s22, s55, 31
	s_add_u32 s44, s1, s55
	s_addc_u32 s45, s0, s22
	s_cbranch_execz .LBB37_23
	s_branch .LBB37_24
.LBB37_22:
                                        ; implicit-def: $sgpr44_sgpr45
.LBB37_23:
	s_mul_i32 s1, s55, s20
	s_mul_hi_i32 s0, s55, s20
	s_add_u32 s44, s1, s36
	s_addc_u32 s45, s0, s3
.LBB37_24:
	s_add_i32 s20, s51, s52
	s_ashr_i32 s37, s47, 31
	s_add_u32 s0, s54, s36
	v_lshlrev_b32_e32 v6, 6, v1
	v_lshlrev_b32_e32 v26, 2, v78
	s_addc_u32 s1, s53, s3
	s_mov_b32 s3, 0x7060302
	v_or_b32_e32 v9, v6, v26
	v_xor_b32_e32 v7, v1, v26
	v_perm_b32 v3, v65, v64, s3
	v_perm_b32 v2, v63, v62, s3
	;; [unrolled: 1-line block ×4, first 2 shown]
	v_lshlrev_b32_e32 v9, 1, v9
	v_xor_b32_e32 v8, v81, v26
	ds_write2st64_b64 v9, v[2:3], v[4:5] offset0:32 offset1:48
	v_lshlrev_b32_e32 v7, 1, v7
	v_lshlrev_b32_e32 v9, 8, v78
	v_or_b32_e32 v10, v7, v9
	v_lshlrev_b32_e32 v8, 1, v8
	ds_write_b64 v10, v[2:3]
	v_or_b32_e32 v2, v8, v9
	v_or_b32_e32 v9, 16, v78
	v_lshlrev_b32_e32 v25, 2, v9
	v_or_b32_e32 v10, v6, v25
	ds_write_b64 v2, v[4:5]
	v_perm_b32 v3, v57, v56, s3
	v_perm_b32 v2, v55, v54, s3
	;; [unrolled: 1-line block ×4, first 2 shown]
	v_lshlrev_b32_e32 v10, 1, v10
	v_lshlrev_b32_e32 v9, 8, v9
	ds_write2st64_b64 v10, v[2:3], v[4:5] offset0:32 offset1:48
	v_or_b32_e32 v10, v7, v9
	ds_write_b64 v10, v[2:3]
	v_or_b32_e32 v2, v8, v9
	v_or_b32_e32 v9, 32, v78
	v_lshlrev_b32_e32 v24, 2, v9
	v_or_b32_e32 v10, v6, v24
	ds_write_b64 v2, v[4:5]
	v_perm_b32 v3, v49, v48, s3
	v_perm_b32 v2, v47, v46, s3
	;; [unrolled: 1-line block ×4, first 2 shown]
	v_lshlrev_b32_e32 v10, 1, v10
	v_lshlrev_b32_e32 v9, 8, v9
	s_lshl_b64 s[38:39], s[0:1], 8
	ds_write2st64_b64 v10, v[2:3], v[4:5] offset0:32 offset1:48
	v_or_b32_e32 v10, v7, v9
	s_add_u32 s0, s14, s38
	ds_write_b64 v10, v[2:3]
	v_or_b32_e32 v2, v8, v9
	s_addc_u32 s1, s15, s39
	ds_write_b64 v2, v[4:5]
	v_perm_b32 v3, v41, v40, s3
	v_perm_b32 v2, v39, v38, s3
	;; [unrolled: 1-line block ×4, first 2 shown]
	v_or_b32_e32 v9, 48, v78
	s_mul_hi_i32 s3, s20, s21
	s_mul_i32 s20, s20, s21
	v_lshlrev_b32_e32 v21, 2, v9
	s_add_u32 s14, s20, s47
	v_or_b32_e32 v6, v6, v21
	s_addc_u32 s15, s3, s37
	v_lshlrev_b32_e32 v6, 1, v6
	s_ashr_i32 s3, s2, 31
	s_lshl_b64 s[14:15], s[14:15], 15
	ds_write2st64_b64 v6, v[2:3], v[4:5] offset0:32 offset1:48
	v_lshlrev_b32_e32 v6, 8, v9
	s_add_u32 s4, s4, s14
	v_or_b32_e32 v7, v7, v6
	s_addc_u32 s5, s5, s15
	s_lshl_b64 s[2:3], s[2:3], 8
	ds_write_b64 v7, v[2:3]
	v_or_b32_e32 v2, v8, v6
	s_add_u32 s2, s4, s2
	v_lshlrev_b32_e32 v3, 1, v78
	ds_write_b64 v2, v[4:5]
	v_lshrrev_b32_e32 v2, 4, v0
	s_addc_u32 s3, s5, s3
	v_or_b32_e32 v4, 1, v3
	v_lshlrev_b32_e32 v10, 4, v78
	v_mov_b32_e32 v11, 0
	v_xor_b32_e32 v3, v2, v3
	v_xor_b32_e32 v6, v4, v2
	v_lshl_add_u64 v[12:13], s[2:3], 0, v[10:11]
	v_lshlrev_b32_e32 v10, 8, v2
	v_lshl_or_b32 v16, v3, 3, v10
	v_lshl_or_b32 v17, v6, 3, v10
	s_waitcnt lgkmcnt(0)
	s_barrier
	ds_read2st64_b64 v[2:5], v16 offset1:8
	ds_read2st64_b64 v[6:9], v17 offset1:8
	v_lshl_add_u64 v[14:15], v[12:13], 0, v[10:11]
	s_movk_i32 s2, 0x2000
	s_cmp_lg_u32 s56, 64
	s_waitcnt lgkmcnt(1)
	v_mov_b32_e32 v10, v2
	v_mov_b32_e32 v11, v3
	s_waitcnt lgkmcnt(0)
	v_mov_b32_e32 v12, v6
	v_mov_b32_e32 v13, v7
	global_store_dwordx4 v[14:15], v[10:13], off
	v_mov_b32_e32 v6, v4
	v_mov_b32_e32 v7, v5
	ds_read2st64_b64 v[2:5], v16 offset0:16 offset1:24
	ds_read2st64_b64 v[10:13], v17 offset0:16 offset1:24
	v_add_co_u32_e32 v16, vcc, s2, v14
	s_cselect_b64 s[4:5], -1, 0
	s_nop 0
	v_addc_co_u32_e32 v17, vcc, 0, v15, vcc
	global_store_dwordx4 v[16:17], v[6:9], off offset:-4096
	v_lshl_or_b32 v19, v74, 3, v80
	s_mov_b32 s28, 0
	s_waitcnt lgkmcnt(1)
	v_mov_b32_e32 v6, v2
	v_add_co_u32_e32 v2, vcc, 0x3000, v14
	v_mov_b32_e32 v7, v3
	s_nop 0
	v_addc_co_u32_e32 v3, vcc, 0, v15, vcc
	s_waitcnt lgkmcnt(0)
	v_mov_b32_e32 v8, v10
	v_mov_b32_e32 v9, v11
	;; [unrolled: 1-line block ×4, first 2 shown]
	v_or_b32_e32 v22, 32, v19
	v_and_b32_e32 v20, 56, v79
	s_and_b64 vcc, exec, s[4:5]
	global_store_dwordx4 v[16:17], v[6:9], off
	global_store_dwordx4 v[2:3], v[10:13], off
	s_cbranch_vccz .LBB37_30
; %bb.25:
	s_mov_b32 s29, s28
	s_mov_b32 s30, s28
	;; [unrolled: 1-line block ×3, first 2 shown]
	v_mov_b64_e32 v[6:7], s[28:29]
	v_mov_b64_e32 v[8:9], s[30:31]
	;; [unrolled: 1-line block ×3, first 2 shown]
	v_cmp_gt_i32_e32 vcc, s56, v19
	v_mov_b64_e32 v[4:5], v[8:9]
	s_and_saveexec_b64 s[2:3], vcc
	s_cbranch_execz .LBB37_27
; %bb.26:
	v_lshlrev_b32_e32 v2, 8, v19
	v_mov_b32_e32 v3, 0
	v_lshl_add_u64 v[4:5], s[0:1], 0, v[2:3]
	v_lshlrev_b32_e32 v2, 1, v20
	v_lshl_add_u64 v[10:11], v[4:5], 0, v[2:3]
	global_load_dwordx4 v[6:9], v[10:11], off
	global_load_dwordx4 v[2:5], v[10:11], off offset:128
.LBB37_27:
	s_or_b64 exec, exec, s[2:3]
	s_mov_b32 s29, s28
	s_mov_b32 s30, s28
	;; [unrolled: 1-line block ×3, first 2 shown]
	v_mov_b64_e32 v[14:15], s[28:29]
	v_mov_b64_e32 v[16:17], s[30:31]
	;; [unrolled: 1-line block ×3, first 2 shown]
	v_cmp_gt_i32_e32 vcc, s56, v22
	v_lshlrev_b32_e32 v23, 7, v22
	v_mov_b64_e32 v[12:13], v[16:17]
	s_and_saveexec_b64 s[2:3], vcc
	s_cbranch_execz .LBB37_29
; %bb.28:
	v_lshlrev_b32_e32 v10, 1, v23
	v_mov_b32_e32 v11, 0
	v_lshl_add_u64 v[12:13], s[0:1], 0, v[10:11]
	v_lshlrev_b32_e32 v10, 1, v20
	v_lshl_add_u64 v[28:29], v[12:13], 0, v[10:11]
	global_load_dwordx4 v[14:17], v[28:29], off
	global_load_dwordx4 v[10:13], v[28:29], off offset:128
.LBB37_29:
	s_or_b64 exec, exec, s[2:3]
	v_lshrrev_b32_e32 v27, 3, v20
	v_lshlrev_b32_e32 v28, 3, v19
	v_or_b32_e32 v27, v28, v27
	v_lshlrev_b32_e32 v27, 4, v27
	v_and_b32_e32 v28, 0x78, v28
	v_xor_b32_e32 v27, v27, v28
	s_branch .LBB37_32
.LBB37_30:
                                        ; implicit-def: $vgpr27
                                        ; implicit-def: $vgpr23
                                        ; implicit-def: $vgpr6_vgpr7_vgpr8_vgpr9
                                        ; implicit-def: $vgpr2_vgpr3_vgpr4_vgpr5
                                        ; implicit-def: $vgpr14_vgpr15_vgpr16_vgpr17
                                        ; implicit-def: $vgpr10_vgpr11_vgpr12_vgpr13
	s_cbranch_execz .LBB37_32
; %bb.31:
	s_waitcnt vmcnt(0)
	v_lshlrev_b32_e32 v2, 1, v20
	v_lshl_or_b32 v23, v19, 8, v2
	s_and_b32 s1, s1, 0xffff
	s_mov_b32 s3, 0x20000
	s_movk_i32 s2, 0x4000
	v_lshl_or_b32 v27, v22, 8, v2
	s_movk_i32 s14, 0x80
	buffer_load_dwordx4 v[6:9], v23, s[0:3], 0 offen
	buffer_load_dwordx4 v[2:5], v23, s[0:3], s14 offen
	;; [unrolled: 1-line block ×4, first 2 shown]
	v_lshrrev_b32_e32 v23, 3, v20
	v_lshlrev_b32_e32 v27, 3, v19
	v_or_b32_e32 v23, v27, v23
	v_lshlrev_b32_e32 v23, 4, v23
	v_and_b32_e32 v27, 0x78, v27
	v_xor_b32_e32 v27, v23, v27
	v_lshlrev_b32_e32 v23, 7, v22
.LBB37_32:
	s_movk_i32 s0, 0x1000
	v_and_or_b32 v22, v23, s0, v27
	s_waitcnt vmcnt(1)
	ds_write_b64 v27, v[6:7] offset:49152
	v_xor_b32_e32 v6, 8, v27
	ds_write_b64 v6, v[8:9] offset:49152
	s_waitcnt vmcnt(0)
	ds_write_b64 v27, v[2:3] offset:57344
	ds_write_b64 v6, v[4:5] offset:57344
	;; [unrolled: 1-line block ×3, first 2 shown]
	v_xor_b32_e32 v2, 8, v22
	ds_write_b64 v2, v[16:17] offset:49152
	ds_write_b64 v22, v[10:11] offset:57344
	;; [unrolled: 1-line block ×3, first 2 shown]
	v_or_b32_e32 v2, v75, v78
	v_lshlrev_b32_e32 v2, 3, v2
	v_lshrrev_b32_e32 v3, 5, v76
	s_movk_i32 s0, 0xf8
	v_and_or_b32 v3, v2, s0, v3
	v_lshlrev_b32_e32 v7, 4, v3
	v_lshlrev_b32_e32 v27, 11, v74
	v_and_b32_e32 v8, 0x78, v2
	v_or_b32_e32 v10, 32, v7
	v_and_b32_e32 v6, 0x1000, v27
	v_lshrrev_b32_e32 v3, 1, v76
	v_xor_b32_e32 v10, v10, v8
	v_xor_b32_e32 v2, v7, v8
	v_and_b32_e32 v9, 8, v3
	v_or_b32_e32 v10, v10, v6
	v_or_b32_e32 v2, v2, v6
	v_xor_b32_e32 v33, v10, v9
	v_or_b32_e32 v10, 64, v7
	v_xor_b32_e32 v32, v2, v9
	v_xor_b32_e32 v10, v10, v8
	s_waitcnt lgkmcnt(0)
	s_barrier
	v_or_b32_e32 v13, v10, v6
	ds_read_b64 v[10:11], v32 offset:49152
	v_lshl_or_b32 v14, v77, 8, v26
	v_lshlrev_b32_e32 v28, 1, v14
	v_add_u32_e32 v12, 0x4000, v28
	ds_read2_b64 v[2:5], v12 offset1:16
	v_or_b32_e32 v7, 0x60, v7
	v_xor_b32_e32 v7, v7, v8
	v_or_b32_e32 v6, v7, v6
	v_xor_b32_e32 v66, v13, v9
	v_xor_b32_e32 v67, v6, v9
	ds_read_b64 v[22:23], v33 offset:49152
	ds_read_b64 v[68:69], v66 offset:49152
	;; [unrolled: 1-line block ×3, first 2 shown]
	s_waitcnt lgkmcnt(3)
	v_mfma_f32_16x16x16_bf16 a[0:3], v[10:11], v[2:3], 0
	ds_read2_b64 v[6:9], v12 offset0:32 offset1:48
	s_lshl_b64 s[0:1], s[44:45], 8
	s_add_u32 s12, s12, s0
	v_mfma_f32_16x16x16_bf16 a[4:7], v[10:11], v[4:5], 0
	ds_read2st64_b64 v[2:5], v28 offset0:36 offset1:40
	s_addc_u32 s13, s13, s1
	s_add_i32 s2, s41, -1
	s_waitcnt lgkmcnt(1)
	v_mfma_f32_16x16x16_bf16 a[8:11], v[10:11], v[6:7], 0
	v_or_b32_e32 v6, 64, v14
	v_lshlrev_b32_e32 v29, 1, v6
	s_add_i32 s0, s49, s48
	s_waitcnt lgkmcnt(0)
	v_mfma_f32_16x16x16_bf16 a[0:3], v[22:23], v[2:3], a[0:3]
	v_or_b32_e32 v2, 0x80, v14
	v_lshlrev_b32_e32 v30, 1, v2
	v_or_b32_e32 v2, 0xc0, v14
	v_mfma_f32_16x16x16_bf16 a[12:15], v[10:11], v[8:9], 0
	ds_read2st64_b64 v[6:9], v29 offset0:36 offset1:40
	v_lshlrev_b32_e32 v31, 1, v2
	ds_read2st64_b64 v[10:13], v30 offset0:36 offset1:40
	ds_read2st64_b64 v[14:17], v31 offset0:36 offset1:40
	s_add_i32 s25, s0, s50
	s_mul_i32 s0, s47, s27
	s_mul_hi_u32 s1, s47, s26
	s_ashr_i32 s3, s2, 31
	s_mul_i32 s14, s2, s11
	s_mul_hi_u32 s15, s2, s10
	s_waitcnt lgkmcnt(2)
	v_mfma_f32_16x16x16_bf16 a[4:7], v[22:23], v[6:7], a[4:7]
	s_add_i32 s0, s1, s0
	s_mul_i32 s1, s37, s26
	s_add_i32 s14, s15, s14
	s_mul_i32 s3, s3, s10
	s_waitcnt lgkmcnt(1)
	v_mfma_f32_16x16x16_bf16 a[8:11], v[22:23], v[10:11], a[8:11]
	s_add_i32 s1, s0, s1
	s_add_i32 s3, s14, s3
	s_lshl_b64 s[14:15], s[24:25], 2
	s_waitcnt lgkmcnt(0)
	v_mfma_f32_16x16x16_bf16 a[12:15], v[22:23], v[14:15], a[12:15]
	s_mul_i32 s0, s47, s26
	s_add_u32 s14, s18, s14
	s_addc_u32 s15, s19, s15
	s_lshl_b64 s[0:1], s[0:1], 2
	v_mfma_f32_16x16x16_bf16 a[0:3], v[68:69], v[4:5], a[0:3]
	s_mul_i32 s2, s2, s10
	ds_read_b64 v[2:3], v28 offset:22528
	s_add_u32 s18, s14, s0
	v_mfma_f32_16x16x16_bf16 a[4:7], v[68:69], v[8:9], a[4:7]
	ds_read_b64 v[4:5], v29 offset:22528
	ds_read_b64 v[6:7], v30 offset:22528
	;; [unrolled: 1-line block ×3, first 2 shown]
	s_addc_u32 s19, s15, s1
	s_lshl_b64 s[0:1], s[2:3], 2
	v_mfma_f32_16x16x16_bf16 a[8:11], v[68:69], v[12:13], a[8:11]
	s_add_u32 s0, s18, s0
	s_addc_u32 s1, s19, s1
	s_load_dword s20, s[0:1], 0x0
	v_mfma_f32_16x16x16_bf16 a[12:15], v[68:69], v[16:17], a[12:15]
	s_and_b64 vcc, exec, s[42:43]
	s_waitcnt lgkmcnt(0)
	v_mfma_f32_16x16x16_bf16 a[0:3], v[70:71], v[2:3], a[0:3]
	v_mfma_f32_16x16x16_bf16 a[4:7], v[70:71], v[4:5], a[4:7]
	;; [unrolled: 1-line block ×4, first 2 shown]
	s_cbranch_vccz .LBB37_43
; %bb.33:
	v_lshlrev_b32_e32 v22, 1, v19
	s_and_b64 vcc, exec, s[4:5]
	s_cbranch_vccz .LBB37_44
; %bb.34:
	v_cmp_gt_i32_e32 vcc, s56, v22
	v_mov_b32_e32 v6, 0
	v_mov_b32_e32 v2, 0
	;; [unrolled: 1-line block ×5, first 2 shown]
	s_and_saveexec_b64 s[0:1], vcc
	s_cbranch_execz .LBB37_36
; %bb.35:
	v_mad_i64_i32 v[2:3], s[2:3], s23, v22, 0
	v_lshl_add_u64 v[2:3], v[2:3], 1, s[12:13]
	v_lshlrev_b32_e32 v4, 1, v20
	v_mov_b32_e32 v5, 0
	v_lshl_add_u64 v[2:3], v[2:3], 0, v[4:5]
	global_load_dwordx4 v[2:5], v[2:3], off
.LBB37_36:
	s_or_b64 exec, exec, s[0:1]
	v_or_b32_e32 v23, 1, v22
	v_cmp_gt_i32_e64 s[0:1], s56, v23
	v_mov_b32_e32 v7, 0
	v_mov_b32_e32 v8, 0
	v_mov_b32_e32 v9, 0
	s_and_saveexec_b64 s[2:3], s[0:1]
	s_cbranch_execz .LBB37_38
; %bb.37:
	v_mad_i64_i32 v[6:7], s[14:15], s23, v23, 0
	v_lshl_add_u64 v[6:7], v[6:7], 1, s[12:13]
	v_lshlrev_b32_e32 v8, 1, v20
	v_mov_b32_e32 v9, 0
	v_lshl_add_u64 v[6:7], v[6:7], 0, v[8:9]
	global_load_dwordx4 v[6:9], v[6:7], off
.LBB37_38:
	s_or_b64 exec, exec, s[2:3]
	v_mov_b32_e32 v17, 0
	v_mov_b32_e32 v10, 0
	;; [unrolled: 1-line block ×5, first 2 shown]
	s_and_saveexec_b64 s[2:3], vcc
	s_cbranch_execz .LBB37_40
; %bb.39:
	v_mad_i64_i32 v[10:11], s[14:15], s23, v22, 0
	v_lshl_add_u64 v[10:11], v[10:11], 1, s[12:13]
	v_lshlrev_b32_e32 v12, 1, v20
	v_mov_b32_e32 v13, 0
	v_lshl_add_u64 v[10:11], v[10:11], 0, v[12:13]
	global_load_dwordx4 v[10:13], v[10:11], off offset:128
.LBB37_40:
	s_or_b64 exec, exec, s[2:3]
	v_mov_b32_e32 v16, 0
	v_mov_b32_e32 v15, 0
	;; [unrolled: 1-line block ×3, first 2 shown]
	s_and_saveexec_b64 s[2:3], s[0:1]
	s_cbranch_execz .LBB37_42
; %bb.41:
	v_mad_i64_i32 v[14:15], s[0:1], s23, v23, 0
	v_lshl_add_u64 v[14:15], v[14:15], 1, s[12:13]
	v_lshlrev_b32_e32 v16, 1, v20
	v_mov_b32_e32 v17, 0
	v_lshl_add_u64 v[14:15], v[14:15], 0, v[16:17]
	global_load_dwordx4 v[14:17], v[14:15], off offset:128
.LBB37_42:
	s_or_b64 exec, exec, s[2:3]
	s_branch .LBB37_46
.LBB37_43:
                                        ; implicit-def: $vgpr5
                                        ; implicit-def: $vgpr9
                                        ; implicit-def: $vgpr13
                                        ; implicit-def: $vgpr17
	v_lshrrev_b32_e32 v68, 2, v76
	s_branch .LBB37_47
.LBB37_44:
                                        ; implicit-def: $vgpr5
                                        ; implicit-def: $vgpr9
                                        ; implicit-def: $vgpr13
                                        ; implicit-def: $vgpr17
	s_cbranch_execz .LBB37_46
; %bb.45:
	s_waitcnt vmcnt(0)
	v_mad_u64_u32 v[2:3], s[0:1], v22, s23, v[20:21]
	v_lshlrev_b32_e32 v22, 1, v2
	s_lshl_b32 s2, s23, 7
	s_and_b32 s1, s13, 0xffff
	s_mov_b32 s3, 0x20000
	s_mov_b32 s0, s12
	v_add_lshl_u32 v23, v2, s23, 1
	s_movk_i32 s14, 0x80
	buffer_load_dwordx4 v[2:5], v22, s[0:3], 0 offen
	buffer_load_dwordx4 v[10:13], v22, s[0:3], s14 offen
	;; [unrolled: 1-line block ×4, first 2 shown]
.LBB37_46:
	v_lshrrev_b32_e32 v68, 2, v76
	s_cbranch_execnz .LBB37_59
.LBB37_47:
	s_and_b64 vcc, exec, s[4:5]
	s_cbranch_vccz .LBB37_57
; %bb.48:
	s_waitcnt vmcnt(0)
	v_lshlrev_b32_e32 v7, 1, v19
	v_cmp_gt_i32_e32 vcc, s56, v7
	v_mov_b32_e32 v6, 0
	v_lshlrev_b32_e32 v14, 9, v19
	v_mov_b32_e32 v2, 0
	v_mov_b32_e32 v3, 0
	;; [unrolled: 1-line block ×4, first 2 shown]
	s_and_saveexec_b64 s[0:1], vcc
	s_cbranch_execz .LBB37_50
; %bb.49:
	v_mov_b32_e32 v15, 0
	v_lshl_add_u64 v[2:3], s[12:13], 0, v[14:15]
	v_lshlrev_b32_e32 v4, 1, v20
	v_mov_b32_e32 v5, v15
	v_lshl_add_u64 v[2:3], v[2:3], 0, v[4:5]
	global_load_dwordx4 v[2:5], v[2:3], off
.LBB37_50:
	s_or_b64 exec, exec, s[0:1]
	v_or_b32_e32 v7, 1, v7
	v_cmp_gt_i32_e64 s[0:1], s56, v7
	v_lshlrev_b32_e32 v22, 8, v7
	v_mov_b32_e32 v7, 0
	v_mov_b32_e32 v8, 0
	;; [unrolled: 1-line block ×3, first 2 shown]
	s_and_saveexec_b64 s[2:3], s[0:1]
	s_cbranch_execz .LBB37_52
; %bb.51:
	v_mov_b32_e32 v23, 0
	v_lshl_add_u64 v[6:7], s[12:13], 0, v[22:23]
	v_lshlrev_b32_e32 v8, 1, v20
	v_mov_b32_e32 v9, v23
	v_lshl_add_u64 v[6:7], v[6:7], 0, v[8:9]
	global_load_dwordx4 v[6:9], v[6:7], off
.LBB37_52:
	s_or_b64 exec, exec, s[2:3]
	v_mov_b32_e32 v17, 0
	v_mov_b32_e32 v10, 0
	;; [unrolled: 1-line block ×5, first 2 shown]
	s_and_saveexec_b64 s[2:3], vcc
	s_cbranch_execz .LBB37_54
; %bb.53:
	v_mov_b32_e32 v15, 0
	v_lshl_add_u64 v[10:11], s[12:13], 0, v[14:15]
	v_lshlrev_b32_e32 v14, 1, v20
	v_lshl_add_u64 v[10:11], v[10:11], 0, v[14:15]
	global_load_dwordx4 v[10:13], v[10:11], off offset:128
.LBB37_54:
	s_or_b64 exec, exec, s[2:3]
	v_mov_b32_e32 v16, 0
	v_mov_b32_e32 v15, 0
	;; [unrolled: 1-line block ×3, first 2 shown]
	s_and_saveexec_b64 s[2:3], s[0:1]
	s_cbranch_execz .LBB37_56
; %bb.55:
	v_mov_b32_e32 v23, 0
	v_lshl_add_u64 v[14:15], s[12:13], 0, v[22:23]
	v_lshlrev_b32_e32 v22, 1, v20
	v_lshl_add_u64 v[14:15], v[14:15], 0, v[22:23]
	global_load_dwordx4 v[14:17], v[14:15], off offset:128
.LBB37_56:
	s_or_b64 exec, exec, s[2:3]
	s_branch .LBB37_59
.LBB37_57:
                                        ; implicit-def: $vgpr5
                                        ; implicit-def: $vgpr9
                                        ; implicit-def: $vgpr13
                                        ; implicit-def: $vgpr17
	s_cbranch_execz .LBB37_59
; %bb.58:
	s_waitcnt vmcnt(0)
	v_lshlrev_b32_e32 v2, 1, v20
	v_lshl_or_b32 v20, v19, 9, v2
	s_and_b32 s13, s13, 0xffff
	s_mov_b32 s15, 0x20000
	s_movk_i32 s14, 0x4000
	s_movk_i32 s0, 0x80
	buffer_load_dwordx4 v[2:5], v20, s[12:15], 0 offen
	buffer_load_dwordx4 v[6:9], v20, s[12:15], 0 offen offset:256
	buffer_load_dwordx4 v[10:13], v20, s[12:15], s0 offen
	buffer_load_dwordx4 v[14:17], v20, s[12:15], s0 offen offset:256
.LBB37_59:
	ds_read_b64 v[22:23], v32 offset:57344
	v_add_u32_e32 v20, 0x6000, v28
	ds_read2_b64 v[70:73], v20 offset1:16
	ds_read_b64 v[32:33], v33 offset:57344
	ds_read_b64 v[88:89], v66 offset:57344
	;; [unrolled: 1-line block ×3, first 2 shown]
	ds_read2st64_b64 v[76:79], v28 offset0:52 offset1:56
	v_and_b32_e32 v69, 1, v0
	v_cmp_eq_u32_e32 vcc, 0, v69
	s_mov_b32 s0, 0x1000504
	s_mov_b32 s1, 0x3020706
	s_waitcnt lgkmcnt(4)
	v_mfma_f32_16x16x16_bf16 a[0:3], v[22:23], v[70:71], a[0:3]
	v_mfma_f32_16x16x16_bf16 a[4:7], v[22:23], v[72:73], a[4:7]
	ds_read2_b64 v[70:73], v20 offset0:32 offset1:48
	v_and_b32_e32 v20, 6, v0
	v_xor_b32_e32 v19, v19, v20
	s_waitcnt lgkmcnt(0)
	v_mfma_f32_16x16x16_bf16 a[8:11], v[22:23], v[70:71], a[8:11]
	v_lshlrev_b32_e32 v19, 2, v19
	v_mfma_f32_16x16x16_bf16 a[12:15], v[22:23], v[72:73], a[12:15]
	ds_read2st64_b64 v[70:73], v29 offset0:52 offset1:56
	ds_read2st64_b64 v[80:83], v30 offset0:52 offset1:56
	;; [unrolled: 1-line block ×3, first 2 shown]
	s_waitcnt lgkmcnt(2)
	v_mfma_f32_16x16x16_bf16 a[4:7], v[32:33], v[70:71], a[4:7]
	v_xor_b32_e32 v70, 0x440, v19
	v_cndmask_b32_e32 v19, v70, v19, vcc
	v_lshl_or_b32 v19, v20, 10, v19
	v_mfma_f32_16x16x16_bf16 a[0:3], v[32:33], v[76:77], a[0:3]
	s_waitcnt vmcnt(0)
	v_perm_b32 v20, v2, v6, s0
	ds_read_b64 v[22:23], v28 offset:30720
	ds_read_b64 v[76:77], v29 offset:30720
	;; [unrolled: 1-line block ×4, first 2 shown]
	v_perm_b32 v2, v2, v6, s1
	s_waitcnt lgkmcnt(5)
	v_mfma_f32_16x16x16_bf16 a[8:11], v[32:33], v[80:81], a[8:11]
	v_perm_b32 v6, v10, v14, s1
	s_waitcnt lgkmcnt(4)
	v_mfma_f32_16x16x16_bf16 a[12:15], v[32:33], v[84:85], a[12:15]
	v_perm_b32 v32, v10, v14, s0
	ds_write2st64_b32 v19, v20, v32 offset0:128 offset1:160
	v_xor_b32_e32 v20, 8, v19
	v_add_u32_e32 v10, 0x80, v20
	ds_write2st64_b32 v10, v2, v6 offset0:128 offset1:160
	v_xor_b32_e32 v2, 16, v19
	v_perm_b32 v6, v3, v7, s0
	v_perm_b32 v10, v11, v15, s0
	v_mfma_f32_16x16x16_bf16 a[0:3], v[88:89], v[78:79], a[0:3]
	ds_write2st64_b32 v2, v6, v10 offset0:129 offset1:161
	v_xor_b32_e32 v2, 24, v19
	v_perm_b32 v3, v3, v7, s1
	v_mfma_f32_16x16x16_bf16 a[4:7], v[88:89], v[72:73], a[4:7]
	v_perm_b32 v6, v11, v15, s1
	v_add_u32_e32 v2, 0x80, v2
	ds_write2st64_b32 v2, v3, v6 offset0:129 offset1:161
	v_mfma_f32_16x16x16_bf16 a[16:19], v[88:89], v[82:83], a[8:11]
	v_xor_b32_e32 v2, 32, v19
	v_perm_b32 v3, v4, v8, s0
	v_perm_b32 v6, v12, v16, s0
	v_mfma_f32_16x16x16_bf16 a[20:23], v[88:89], v[86:87], a[12:15]
	ds_write2st64_b32 v2, v3, v6 offset0:130 offset1:162
	v_xor_b32_e32 v2, 40, v19
	v_perm_b32 v3, v4, v8, s1
	s_waitcnt lgkmcnt(8)
	v_mfma_f32_16x16x16_bf16 a[12:15], v[66:67], v[22:23], a[0:3]
	v_perm_b32 v4, v12, v16, s1
	v_add_u32_e32 v2, 0x80, v2
	ds_write2st64_b32 v2, v3, v4 offset0:130 offset1:162
	s_waitcnt lgkmcnt(8)
	v_mfma_f32_16x16x16_bf16 a[8:11], v[66:67], v[76:77], a[4:7]
	v_xor_b32_e32 v2, 48, v19
	v_perm_b32 v3, v5, v9, s0
	v_perm_b32 v4, v13, v17, s0
	s_waitcnt lgkmcnt(7)
	v_mfma_f32_16x16x16_bf16 a[4:7], v[66:67], v[90:91], a[16:19]
	ds_write2st64_b32 v2, v3, v4 offset0:131 offset1:163
	v_xor_b32_e32 v2, 56, v19
	v_and_or_b32 v33, v68, 12, v75
	s_waitcnt lgkmcnt(7)
	v_mfma_f32_16x16x16_bf16 a[0:3], v[66:67], v[92:93], a[20:23]
	v_perm_b32 v3, v5, v9, s1
	v_perm_b32 v4, v13, v17, s1
	v_add_u32_e32 v2, 0x80, v2
	v_cmp_gt_i32_e64 s[0:1], s56, v33
	v_mov_b32_e32 v22, 0
	v_mov_b32_e32 v23, 0
	ds_write2st64_b32 v2, v3, v4 offset0:131 offset1:163
	s_and_saveexec_b64 s[2:3], s[0:1]
	s_cbranch_execz .LBB37_61
; %bb.60:
	v_add_u32_e32 v2, s36, v33
	v_ashrrev_i32_e32 v3, 31, v2
	v_mul_lo_u32 v4, v3, s10
	v_mul_lo_u32 v5, v2, s11
	v_mad_u64_u32 v[2:3], s[4:5], v2, s10, 0
	v_add3_u32 v3, v3, v5, v4
	v_lshl_add_u64 v[2:3], v[2:3], 2, s[18:19]
	global_load_dword v2, v[2:3], off
	s_waitcnt vmcnt(0)
	v_sub_f32_e32 v2, s20, v2
	v_exp_f32_e32 v23, v2
.LBB37_61:
	s_or_b64 exec, exec, s[2:3]
	v_or_b32_e32 v14, 1, v33
	v_cmp_gt_i32_e64 s[4:5], s56, v14
	s_and_saveexec_b64 s[2:3], s[4:5]
	s_cbranch_execz .LBB37_63
; %bb.62:
	v_add_u32_e32 v2, s36, v14
	v_ashrrev_i32_e32 v3, 31, v2
	v_mul_lo_u32 v4, v3, s10
	v_mul_lo_u32 v5, v2, s11
	v_mad_u64_u32 v[2:3], s[12:13], v2, s10, 0
	v_add3_u32 v3, v3, v5, v4
	v_lshl_add_u64 v[2:3], v[2:3], 2, s[18:19]
	global_load_dword v2, v[2:3], off
	s_waitcnt vmcnt(0)
	v_sub_f32_e32 v2, s20, v2
	v_exp_f32_e32 v22, v2
.LBB37_63:
	s_or_b64 exec, exec, s[2:3]
	v_or_b32_e32 v10, 2, v33
	v_cmp_gt_i32_e64 s[2:3], s56, v10
	v_mov_b32_e32 v20, 0
	v_mov_b32_e32 v32, 0
	s_and_saveexec_b64 s[12:13], s[2:3]
	s_cbranch_execz .LBB37_65
; %bb.64:
	v_add_u32_e32 v2, s36, v10
	v_ashrrev_i32_e32 v3, 31, v2
	v_mul_lo_u32 v4, v3, s10
	v_mul_lo_u32 v5, v2, s11
	v_mad_u64_u32 v[2:3], s[14:15], v2, s10, 0
	v_add3_u32 v3, v3, v5, v4
	v_lshl_add_u64 v[2:3], v[2:3], 2, s[18:19]
	global_load_dword v2, v[2:3], off
	s_waitcnt vmcnt(0)
	v_sub_f32_e32 v2, s20, v2
	v_exp_f32_e32 v32, v2
.LBB37_65:
	s_or_b64 exec, exec, s[12:13]
	v_or_b32_e32 v11, 3, v33
	v_cmp_gt_i32_e32 vcc, s56, v11
	s_and_saveexec_b64 s[12:13], vcc
	s_cbranch_execz .LBB37_67
; %bb.66:
	v_add_u32_e32 v2, s36, v11
	v_ashrrev_i32_e32 v3, 31, v2
	v_mul_lo_u32 v4, v3, s10
	v_mul_lo_u32 v5, v2, s11
	v_mad_u64_u32 v[2:3], s[10:11], v2, s10, 0
	v_add3_u32 v3, v3, v5, v4
	v_lshl_add_u64 v[2:3], v[2:3], 2, s[18:19]
	global_load_dword v2, v[2:3], off
	s_waitcnt vmcnt(0)
	v_sub_f32_e32 v2, s20, v2
	v_exp_f32_e32 v20, v2
.LBB37_67:
	s_or_b64 exec, exec, s[12:13]
	s_add_u32 s10, s16, s38
	s_addc_u32 s11, s17, s39
	s_add_u32 s6, s6, s38
	v_ashrrev_i32_e32 v19, 31, v18
	v_accvgpr_read_b32 v2, a12
	s_addc_u32 s7, s7, s39
	v_lshlrev_b64 v[6:7], 1, v[18:19]
	v_accvgpr_read_b32 v3, a13
	v_accvgpr_read_b32 v4, a14
	;; [unrolled: 1-line block ×3, first 2 shown]
	v_lshl_add_u64 v[8:9], s[10:11], 0, v[6:7]
	v_lshl_add_u64 v[6:7], s[6:7], 0, v[6:7]
	v_mov_b32_e32 v15, 0
	v_lshlrev_b32_e32 v12, 8, v33
	v_mov_b32_e32 v13, 0
	s_and_saveexec_b64 s[6:7], s[0:1]
	s_cbranch_execz .LBB37_69
; %bb.68:
	v_mov_b32_e32 v13, 0
	v_lshl_add_u64 v[16:17], v[8:9], 0, v[12:13]
	global_load_ushort v19, v[16:17], off
	v_lshl_add_u64 v[16:17], v[6:7], 0, v[12:13]
	s_waitcnt vmcnt(0)
	v_lshlrev_b32_e32 v13, 16, v19
	v_sub_f32_e32 v2, v13, v2
	global_store_short_d16_hi v[16:17], v2, off
	v_mul_f32_e32 v2, v23, v2
	v_lshrrev_b32_e32 v13, 16, v2
.LBB37_69:
	s_or_b64 exec, exec, s[6:7]
	v_lshlrev_b32_e32 v14, 8, v14
	s_and_saveexec_b64 s[6:7], s[4:5]
	s_cbranch_execz .LBB37_71
; %bb.70:
	v_mov_b32_e32 v15, 0
	v_lshl_add_u64 v[16:17], v[8:9], 0, v[14:15]
	global_load_ushort v2, v[16:17], off
	v_lshl_add_u64 v[16:17], v[6:7], 0, v[14:15]
	s_waitcnt vmcnt(0)
	v_lshlrev_b32_e32 v2, 16, v2
	v_sub_f32_e32 v2, v2, v3
	global_store_short_d16_hi v[16:17], v2, off
	v_mul_f32_e32 v2, v22, v2
	v_lshrrev_b32_e32 v15, 16, v2
.LBB37_71:
	s_or_b64 exec, exec, s[6:7]
	v_mov_b32_e32 v66, 0
	v_lshlrev_b32_e32 v16, 8, v10
	v_mov_b32_e32 v17, 0
	s_and_saveexec_b64 s[6:7], s[2:3]
	s_cbranch_execz .LBB37_73
; %bb.72:
	v_mov_b32_e32 v17, 0
	v_lshl_add_u64 v[2:3], v[8:9], 0, v[16:17]
	global_load_ushort v10, v[2:3], off
	v_lshl_add_u64 v[2:3], v[6:7], 0, v[16:17]
	s_waitcnt vmcnt(0)
	v_lshlrev_b32_e32 v10, 16, v10
	v_sub_f32_e32 v4, v10, v4
	global_store_short_d16_hi v[2:3], v4, off
	v_mul_f32_e32 v2, v32, v4
	v_lshrrev_b32_e32 v17, 16, v2
.LBB37_73:
	s_or_b64 exec, exec, s[6:7]
	v_lshlrev_b32_e32 v10, 8, v11
	s_and_saveexec_b64 s[6:7], vcc
	s_cbranch_execz .LBB37_75
; %bb.74:
	v_mov_b32_e32 v11, 0
	v_lshl_add_u64 v[2:3], v[8:9], 0, v[10:11]
	global_load_ushort v4, v[2:3], off
	v_lshl_add_u64 v[2:3], v[6:7], 0, v[10:11]
	s_waitcnt vmcnt(0)
	v_lshlrev_b32_e32 v4, 16, v4
	v_sub_f32_e32 v4, v4, v5
	global_store_short_d16_hi v[2:3], v4, off
	v_mul_f32_e32 v2, v20, v4
	v_lshrrev_b32_e32 v66, 16, v2
.LBB37_75:
	s_or_b64 exec, exec, s[6:7]
	v_lshlrev_b32_e32 v19, 6, v33
	v_accvgpr_read_b32 v2, a8
	s_mov_b32 s6, 0x5040100
	v_or_b32_e32 v11, v19, v26
	v_accvgpr_read_b32 v3, a9
	v_accvgpr_read_b32 v4, a10
	;; [unrolled: 1-line block ×3, first 2 shown]
	v_perm_b32 v67, v66, v17, s6
	v_perm_b32 v66, v15, v13, s6
	v_lshlrev_b32_e32 v11, 1, v11
	v_mov_b32_e32 v15, 0
	v_mov_b32_e32 v13, 0
	ds_write_b64 v11, v[66:67] offset:24576
	s_and_saveexec_b64 s[6:7], s[0:1]
	s_cbranch_execz .LBB37_77
; %bb.76:
	v_mov_b32_e32 v13, 0
	v_lshl_add_u64 v[66:67], v[8:9], 0, v[12:13]
	global_load_ushort v11, v[66:67], off offset:32
	v_lshl_add_u64 v[66:67], v[6:7], 0, v[12:13]
	s_waitcnt vmcnt(0)
	v_lshlrev_b32_e32 v11, 16, v11
	v_sub_f32_e32 v2, v11, v2
	global_store_short_d16_hi v[66:67], v2, off offset:32
	v_mul_f32_e32 v2, v23, v2
	v_lshrrev_b32_e32 v13, 16, v2
.LBB37_77:
	s_or_b64 exec, exec, s[6:7]
	s_and_saveexec_b64 s[6:7], s[4:5]
	s_cbranch_execz .LBB37_79
; %bb.78:
	v_mov_b32_e32 v15, 0
	v_lshl_add_u64 v[66:67], v[8:9], 0, v[14:15]
	global_load_ushort v2, v[66:67], off offset:32
	v_lshl_add_u64 v[66:67], v[6:7], 0, v[14:15]
	s_waitcnt vmcnt(0)
	v_lshlrev_b32_e32 v2, 16, v2
	v_sub_f32_e32 v2, v2, v3
	global_store_short_d16_hi v[66:67], v2, off offset:32
	v_mul_f32_e32 v2, v22, v2
	v_lshrrev_b32_e32 v15, 16, v2
.LBB37_79:
	s_or_b64 exec, exec, s[6:7]
	v_mov_b32_e32 v11, 0
	v_mov_b32_e32 v17, 0
	s_and_saveexec_b64 s[6:7], s[2:3]
	s_cbranch_execz .LBB37_81
; %bb.80:
	v_mov_b32_e32 v17, 0
	v_lshl_add_u64 v[2:3], v[8:9], 0, v[16:17]
	global_load_ushort v26, v[2:3], off offset:32
	v_lshl_add_u64 v[2:3], v[6:7], 0, v[16:17]
	s_waitcnt vmcnt(0)
	v_lshlrev_b32_e32 v17, 16, v26
	v_sub_f32_e32 v4, v17, v4
	global_store_short_d16_hi v[2:3], v4, off offset:32
	v_mul_f32_e32 v2, v32, v4
	v_lshrrev_b32_e32 v17, 16, v2
.LBB37_81:
	s_or_b64 exec, exec, s[6:7]
	s_and_saveexec_b64 s[6:7], vcc
	s_cbranch_execz .LBB37_83
; %bb.82:
	v_mov_b32_e32 v11, 0
	v_lshl_add_u64 v[2:3], v[8:9], 0, v[10:11]
	global_load_ushort v4, v[2:3], off offset:32
	v_lshl_add_u64 v[2:3], v[6:7], 0, v[10:11]
	s_waitcnt vmcnt(0)
	v_lshlrev_b32_e32 v4, 16, v4
	v_sub_f32_e32 v4, v4, v5
	global_store_short_d16_hi v[2:3], v4, off offset:32
	v_mul_f32_e32 v2, v20, v4
	v_lshrrev_b32_e32 v11, 16, v2
.LBB37_83:
	s_or_b64 exec, exec, s[6:7]
	s_mov_b32 s6, 0x5040100
	v_accvgpr_read_b32 v2, a4
	v_perm_b32 v67, v11, v17, s6
	v_or_b32_e32 v11, v19, v25
	v_accvgpr_read_b32 v3, a5
	v_accvgpr_read_b32 v4, a6
	;; [unrolled: 1-line block ×3, first 2 shown]
	v_perm_b32 v66, v15, v13, s6
	v_lshlrev_b32_e32 v11, 1, v11
	v_mov_b32_e32 v15, 0
	v_mov_b32_e32 v13, 0
	ds_write_b64 v11, v[66:67] offset:24576
	s_and_saveexec_b64 s[6:7], s[0:1]
	s_cbranch_execz .LBB37_85
; %bb.84:
	v_mov_b32_e32 v13, 0
	v_lshl_add_u64 v[66:67], v[8:9], 0, v[12:13]
	global_load_ushort v11, v[66:67], off offset:64
	v_lshl_add_u64 v[66:67], v[6:7], 0, v[12:13]
	s_waitcnt vmcnt(0)
	v_lshlrev_b32_e32 v11, 16, v11
	v_sub_f32_e32 v2, v11, v2
	global_store_short_d16_hi v[66:67], v2, off offset:64
	v_mul_f32_e32 v2, v23, v2
	v_lshrrev_b32_e32 v13, 16, v2
.LBB37_85:
	s_or_b64 exec, exec, s[6:7]
	s_and_saveexec_b64 s[6:7], s[4:5]
	s_cbranch_execz .LBB37_87
; %bb.86:
	v_mov_b32_e32 v15, 0
	v_lshl_add_u64 v[66:67], v[8:9], 0, v[14:15]
	global_load_ushort v2, v[66:67], off offset:64
	v_lshl_add_u64 v[66:67], v[6:7], 0, v[14:15]
	s_waitcnt vmcnt(0)
	v_lshlrev_b32_e32 v2, 16, v2
	v_sub_f32_e32 v2, v2, v3
	global_store_short_d16_hi v[66:67], v2, off offset:64
	v_mul_f32_e32 v2, v22, v2
	v_lshrrev_b32_e32 v15, 16, v2
.LBB37_87:
	s_or_b64 exec, exec, s[6:7]
	v_mov_b32_e32 v11, 0
	v_mov_b32_e32 v17, 0
	s_and_saveexec_b64 s[6:7], s[2:3]
	s_cbranch_execz .LBB37_89
; %bb.88:
	v_mov_b32_e32 v17, 0
	v_lshl_add_u64 v[2:3], v[8:9], 0, v[16:17]
	global_load_ushort v25, v[2:3], off offset:64
	v_lshl_add_u64 v[2:3], v[6:7], 0, v[16:17]
	s_waitcnt vmcnt(0)
	v_lshlrev_b32_e32 v17, 16, v25
	v_sub_f32_e32 v4, v17, v4
	global_store_short_d16_hi v[2:3], v4, off offset:64
	v_mul_f32_e32 v2, v32, v4
	v_lshrrev_b32_e32 v17, 16, v2
.LBB37_89:
	s_or_b64 exec, exec, s[6:7]
	s_and_saveexec_b64 s[6:7], vcc
	s_cbranch_execz .LBB37_91
; %bb.90:
	v_mov_b32_e32 v11, 0
	v_lshl_add_u64 v[2:3], v[8:9], 0, v[10:11]
	global_load_ushort v4, v[2:3], off offset:64
	v_lshl_add_u64 v[2:3], v[6:7], 0, v[10:11]
	s_waitcnt vmcnt(0)
	v_lshlrev_b32_e32 v4, 16, v4
	v_sub_f32_e32 v4, v4, v5
	global_store_short_d16_hi v[2:3], v4, off offset:64
	v_mul_f32_e32 v2, v20, v4
	v_lshrrev_b32_e32 v11, 16, v2
.LBB37_91:
	s_or_b64 exec, exec, s[6:7]
	s_mov_b32 s6, 0x5040100
	v_accvgpr_read_b32 v5, a3
	v_perm_b32 v67, v11, v17, s6
	v_or_b32_e32 v11, v19, v24
	v_accvgpr_read_b32 v4, a2
	v_accvgpr_read_b32 v3, a1
	;; [unrolled: 1-line block ×3, first 2 shown]
	v_perm_b32 v66, v15, v13, s6
	v_lshlrev_b32_e32 v11, 1, v11
	v_mov_b32_e32 v15, 0
	v_mov_b32_e32 v13, 0
	ds_write_b64 v11, v[66:67] offset:24576
	s_and_saveexec_b64 s[6:7], s[0:1]
	s_cbranch_execz .LBB37_93
; %bb.92:
	v_mov_b32_e32 v13, 0
	v_lshl_add_u64 v[24:25], v[8:9], 0, v[12:13]
	global_load_ushort v11, v[24:25], off offset:96
	v_lshl_add_u64 v[12:13], v[6:7], 0, v[12:13]
	s_waitcnt vmcnt(0)
	v_lshlrev_b32_e32 v11, 16, v11
	v_sub_f32_e32 v2, v11, v2
	global_store_short_d16_hi v[12:13], v2, off offset:96
	v_mul_f32_e32 v2, v23, v2
	v_lshrrev_b32_e32 v13, 16, v2
.LBB37_93:
	s_or_b64 exec, exec, s[6:7]
	s_and_saveexec_b64 s[0:1], s[4:5]
	s_cbranch_execz .LBB37_95
; %bb.94:
	v_mov_b32_e32 v15, 0
	v_lshl_add_u64 v[24:25], v[8:9], 0, v[14:15]
	global_load_ushort v2, v[24:25], off offset:96
	v_lshl_add_u64 v[14:15], v[6:7], 0, v[14:15]
	s_waitcnt vmcnt(0)
	v_lshlrev_b32_e32 v2, 16, v2
	v_sub_f32_e32 v2, v2, v3
	global_store_short_d16_hi v[14:15], v2, off offset:96
	v_mul_f32_e32 v2, v22, v2
	v_lshrrev_b32_e32 v15, 16, v2
.LBB37_95:
	s_or_b64 exec, exec, s[0:1]
	v_mov_b32_e32 v11, 0
	v_mov_b32_e32 v14, 0
	s_and_saveexec_b64 s[0:1], s[2:3]
	s_cbranch_execz .LBB37_97
; %bb.96:
	v_mov_b32_e32 v17, 0
	v_lshl_add_u64 v[2:3], v[8:9], 0, v[16:17]
	global_load_ushort v12, v[2:3], off offset:96
	v_lshl_add_u64 v[2:3], v[6:7], 0, v[16:17]
	s_waitcnt vmcnt(0)
	v_lshlrev_b32_e32 v12, 16, v12
	v_sub_f32_e32 v4, v12, v4
	global_store_short_d16_hi v[2:3], v4, off offset:96
	v_mul_f32_e32 v2, v32, v4
	v_lshrrev_b32_e32 v14, 16, v2
.LBB37_97:
	s_or_b64 exec, exec, s[0:1]
	v_or_b32_e32 v12, 0x6000, v28
	v_or_b32_e32 v4, 0x6000, v29
	;; [unrolled: 1-line block ×4, first 2 shown]
	s_and_saveexec_b64 s[0:1], vcc
	s_cbranch_execz .LBB37_99
; %bb.98:
	v_mov_b32_e32 v11, 0
	v_lshl_add_u64 v[8:9], v[8:9], 0, v[10:11]
	global_load_ushort v8, v[8:9], off offset:96
	v_lshl_add_u64 v[6:7], v[6:7], 0, v[10:11]
	s_waitcnt vmcnt(0)
	v_lshlrev_b32_e32 v8, 16, v8
	v_sub_f32_e32 v5, v8, v5
	global_store_short_d16_hi v[6:7], v5, off offset:96
	v_mul_f32_e32 v5, v20, v5
	v_lshrrev_b32_e32 v11, 16, v5
.LBB37_99:
	s_or_b64 exec, exec, s[0:1]
	s_mov_b32 s0, 0x5040100
	v_or_b32_e32 v5, v19, v21
	v_perm_b32 v7, v11, v14, s0
	v_perm_b32 v6, v15, v13, s0
	v_lshlrev_b32_e32 v5, 1, v5
	s_movk_i32 s0, 0x100
	ds_write_b64 v5, v[6:7] offset:24576
	v_and_b32_e32 v5, 7, v0
	v_and_b32_e32 v6, 8, v0
	v_cmp_gt_u32_e32 vcc, s0, v0
	v_lshrrev_b32_e32 v0, 1, v0
	v_mov_b32_e32 v7, 0xa000
	v_mov_b32_e32 v8, 0x8000
	v_lshlrev_b32_e32 v26, 3, v74
	v_and_b32_e32 v0, 24, v0
	v_cndmask_b32_e32 v19, v7, v8, vcc
	v_xor_b32_e32 v7, v26, v0
	v_or_b32_e32 v8, 0x440, v7
	v_cmp_eq_u32_e32 vcc, 0, v6
	v_lshlrev_b32_e32 v13, 3, v5
	v_lshlrev_b32_e32 v5, 7, v5
	v_cndmask_b32_e32 v6, v8, v7, vcc
	v_or_b32_e32 v6, v6, v27
	v_xad_u32 v32, v6, v13, v5
	v_add_u32_e32 v6, v19, v32
	s_waitcnt lgkmcnt(0)
	s_barrier
	ds_read_b64 v[10:11], v6
	ds_read2_b64 v[6:9], v12 offset1:16
	ds_read2_b64 v[14:17], v12 offset0:32 offset1:48
	v_or_b32_e32 v20, 32, v0
	v_xor_b32_e32 v20, v26, v20
	v_or_b32_e32 v21, 0x440, v20
	v_cndmask_b32_e32 v20, v21, v20, vcc
	s_waitcnt lgkmcnt(1)
	v_mfma_f32_16x16x16_bf16 a[0:3], v[10:11], v[6:7], 0
	v_or_b32_e32 v20, v20, v27
	v_xad_u32 v33, v20, v13, v5
	v_add_u32_e32 v20, v19, v33
	v_mfma_f32_16x16x16_bf16 a[4:7], v[10:11], v[8:9], 0
	ds_read_b64 v[24:25], v20
	ds_read2st64_b64 v[28:31], v4 offset0:4 offset1:8
	ds_read2st64_b64 v[66:69], v3 offset0:4 offset1:8
	s_waitcnt lgkmcnt(3)
	v_mfma_f32_16x16x16_bf16 a[8:11], v[10:11], v[14:15], 0
	ds_read2st64_b64 v[70:73], v2 offset0:4 offset1:8
	v_mfma_f32_16x16x16_bf16 a[12:15], v[10:11], v[16:17], 0
	v_or_b32_e32 v10, 64, v0
	v_xor_b32_e32 v10, v26, v10
	v_xor_b32_e32 v11, 0x440, v10
	v_cndmask_b32_e32 v10, v11, v10, vcc
	v_or_b32_e32 v10, v10, v27
	v_xad_u32 v74, v10, v13, v5
	v_add_u32_e32 v10, v19, v74
	ds_read_b64 v[10:11], v10
	ds_read2st64_b64 v[20:23], v12 offset0:4 offset1:8
	v_or_b32_e32 v0, 0x60, v0
	v_xor_b32_e32 v0, v26, v0
	s_waitcnt lgkmcnt(0)
	v_mfma_f32_16x16x16_bf16 a[0:3], v[24:25], v[20:21], a[0:3]
	v_mfma_f32_16x16x16_bf16 a[4:7], v[24:25], v[28:29], a[4:7]
	;; [unrolled: 1-line block ×4, first 2 shown]
	v_xor_b32_e32 v24, 0x440, v0
	v_cndmask_b32_e32 v0, v24, v0, vcc
	v_or_b32_e32 v0, v0, v27
	v_xad_u32 v26, v0, v13, v5
	v_add_u32_e32 v0, v19, v26
	v_mfma_f32_16x16x16_bf16 a[0:3], v[10:11], v[22:23], a[0:3]
	ds_read_b64 v[24:25], v0
	ds_read_b64 v[12:13], v12 offset:6144
	v_exp_f32_e32 v0, s20
	v_mfma_f32_16x16x16_bf16 a[4:7], v[10:11], v[30:31], a[4:7]
	v_mfma_f32_16x16x16_bf16 a[8:11], v[10:11], v[68:69], a[8:11]
	;; [unrolled: 1-line block ×3, first 2 shown]
	ds_read_b64 v[4:5], v4 offset:6144
	ds_read_b64 v[10:11], v3 offset:6144
	;; [unrolled: 1-line block ×3, first 2 shown]
	s_waitcnt lgkmcnt(3)
	v_mfma_f32_16x16x16_bf16 a[0:3], v[24:25], v[12:13], a[0:3]
	s_waitcnt lgkmcnt(2)
	v_mfma_f32_16x16x16_bf16 a[4:7], v[24:25], v[4:5], a[4:7]
	;; [unrolled: 2-line block ×4, first 2 shown]
	ds_read_b64 v[24:25], v32 offset:40960
	s_waitcnt lgkmcnt(0)
	v_mfma_f32_16x16x16_bf16 a[16:19], v[24:25], v[6:7], 0
	ds_read_b64 v[6:7], v33 offset:40960
	v_mfma_f32_16x16x16_bf16 a[20:23], v[24:25], v[8:9], 0
	ds_read_b64 v[8:9], v74 offset:40960
	v_mfma_f32_16x16x16_bf16 a[24:27], v[24:25], v[14:15], 0
	v_accvgpr_read_b32 v15, a3
	v_accvgpr_read_b32 v14, a2
	v_pk_fma_f32 v[64:65], v[0:1], v[64:65], v[14:15] op_sel_hi:[0,1,1]
	v_mfma_f32_16x16x16_bf16 a[28:31], v[24:25], v[16:17], 0
	ds_read_b64 v[14:15], v26 offset:40960
	v_accvgpr_read_b32 v17, a7
	v_accvgpr_read_b32 v16, a6
	s_waitcnt lgkmcnt(2)
	v_mfma_f32_16x16x16_bf16 a[16:19], v[6:7], v[20:21], a[16:19]
	v_accvgpr_read_b32 v21, a15
	v_accvgpr_read_b32 v20, a14
	v_pk_fma_f32 v[56:57], v[0:1], v[56:57], v[16:17] op_sel_hi:[0,1,1]
	v_mfma_f32_16x16x16_bf16 a[20:23], v[6:7], v[28:29], a[20:23]
	v_pk_fma_f32 v[40:41], v[0:1], v[40:41], v[20:21] op_sel_hi:[0,1,1]
	v_mfma_f32_16x16x16_bf16 a[24:27], v[6:7], v[66:67], a[24:27]
	v_mfma_f32_16x16x16_bf16 a[28:31], v[6:7], v[70:71], a[28:31]
	v_accvgpr_read_b32 v7, a11
	v_accvgpr_read_b32 v6, a10
	v_pk_fma_f32 v[48:49], v[0:1], v[48:49], v[6:7] op_sel_hi:[0,1,1]
	s_waitcnt lgkmcnt(1)
	v_mfma_f32_16x16x16_bf16 a[16:19], v[8:9], v[22:23], a[16:19]
	v_accvgpr_read_b32 v23, a1
	v_accvgpr_read_b32 v22, a0
	v_pk_fma_f32 v[62:63], v[0:1], v[62:63], v[22:23] op_sel_hi:[0,1,1]
	v_mfma_f32_16x16x16_bf16 a[0:3], v[8:9], v[30:31], a[20:23]
	v_accvgpr_read_b32 v23, a5
	v_accvgpr_read_b32 v22, a4
	;; [unrolled: 1-line block ×3, first 2 shown]
	v_mfma_f32_16x16x16_bf16 a[20:23], v[8:9], v[68:69], a[24:27]
	v_accvgpr_read_b32 v7, a13
	v_pk_fma_f32 v[38:39], v[0:1], v[38:39], v[6:7] op_sel_hi:[0,1,1]
	v_pk_fma_f32 v[54:55], v[0:1], v[54:55], v[22:23] op_sel_hi:[0,1,1]
	v_mfma_f32_16x16x16_bf16 a[4:7], v[8:9], v[72:73], a[28:31]
	v_accvgpr_read_b32 v8, a8
	v_accvgpr_read_b32 v9, a9
	v_pk_fma_f32 v[46:47], v[0:1], v[46:47], v[8:9] op_sel_hi:[0,1,1]
	s_waitcnt lgkmcnt(0)
	v_mfma_f32_16x16x16_bf16 a[8:11], v[14:15], v[12:13], a[16:19]
	v_mfma_f32_16x16x16_bf16 a[0:3], v[14:15], v[4:5], a[0:3]
	s_nop 5
	v_accvgpr_read_b32 v5, a11
	v_accvgpr_read_b32 v4, a10
	v_mfma_f32_16x16x16_bf16 a[10:13], v[14:15], v[10:11], a[20:23]
	v_pk_fma_f32 v[60:61], v[0:1], v[60:61], v[4:5] op_sel_hi:[0,1,1]
	v_accvgpr_read_b32 v7, a3
	v_accvgpr_read_b32 v6, a2
	v_mfma_f32_16x16x16_bf16 a[2:5], v[14:15], v[2:3], a[4:7]
	v_accvgpr_read_b32 v5, a1
	v_accvgpr_read_b32 v4, a0
	v_pk_fma_f32 v[50:51], v[0:1], v[50:51], v[4:5] op_sel_hi:[0,1,1]
	v_accvgpr_read_b32 v4, a10
	v_accvgpr_read_b32 v5, a11
	;; [unrolled: 1-line block ×3, first 2 shown]
	v_pk_fma_f32 v[42:43], v[0:1], v[42:43], v[4:5] op_sel_hi:[0,1,1]
	v_accvgpr_read_b32 v5, a3
	v_accvgpr_read_b32 v9, a13
	;; [unrolled: 1-line block ×7, first 2 shown]
	v_pk_fma_f32 v[58:59], v[0:1], v[58:59], v[10:11] op_sel_hi:[0,1,1]
	v_pk_fma_f32 v[52:53], v[0:1], v[52:53], v[6:7] op_sel_hi:[0,1,1]
	v_pk_fma_f32 v[44:45], v[0:1], v[44:45], v[8:9] op_sel_hi:[0,1,1]
	v_pk_fma_f32 v[36:37], v[0:1], v[36:37], v[4:5] op_sel_hi:[0,1,1]
	v_pk_fma_f32 v[34:35], v[0:1], v[34:35], v[2:3] op_sel_hi:[0,1,1]
	v_mov_b32_e32 v2, v18
.LBB37_100:
	s_mul_i32 s0, s33, s35
	s_mul_hi_u32 s1, s33, s34
	s_add_i32 s0, s1, s0
	s_mul_i32 s1, s46, s34
	s_add_i32 s1, s0, s1
	s_mul_i32 s0, s33, s34
	s_add_u32 s0, s0, s47
	s_addc_u32 s1, s1, s37
	s_lshl_b64 s[0:1], s[0:1], 15
	s_add_u32 s0, s8, s0
	v_lshlrev_b32_e32 v2, 7, v2
	s_addc_u32 s1, s9, s1
	v_ashrrev_i32_e32 v3, 31, v2
	v_lshl_add_u64 v[4:5], v[2:3], 1, s[0:1]
	v_lshlrev_b32_e32 v0, 1, v1
	v_mov_b32_e32 v1, 0
	s_mov_b32 s2, 0x7060302
	v_lshl_add_u64 v[4:5], v[4:5], 0, v[0:1]
	v_perm_b32 v7, v65, v64, s2
	v_perm_b32 v6, v63, v62, s2
	global_store_dwordx2 v[4:5], v[6:7], off
	v_perm_b32 v7, v61, v60, s2
	v_perm_b32 v6, v59, v58, s2
	global_store_dwordx2 v[4:5], v[6:7], off offset:128
	v_or_b32_e32 v4, 0x800, v2
	v_ashrrev_i32_e32 v5, 31, v4
	v_lshl_add_u64 v[4:5], v[4:5], 1, s[0:1]
	v_lshl_add_u64 v[4:5], v[4:5], 0, v[0:1]
	v_perm_b32 v7, v57, v56, s2
	v_perm_b32 v6, v55, v54, s2
	global_store_dwordx2 v[4:5], v[6:7], off
	v_perm_b32 v7, v53, v52, s2
	v_perm_b32 v6, v51, v50, s2
	global_store_dwordx2 v[4:5], v[6:7], off offset:128
	v_or_b32_e32 v4, 0x1000, v2
	v_or_b32_e32 v2, 0x1800, v2
	v_ashrrev_i32_e32 v5, 31, v4
	v_ashrrev_i32_e32 v3, 31, v2
	v_lshl_add_u64 v[4:5], v[4:5], 1, s[0:1]
	v_lshl_add_u64 v[2:3], v[2:3], 1, s[0:1]
	;; [unrolled: 1-line block ×3, first 2 shown]
	v_perm_b32 v7, v49, v48, s2
	v_perm_b32 v6, v47, v46, s2
	v_lshl_add_u64 v[0:1], v[2:3], 0, v[0:1]
	v_perm_b32 v3, v41, v40, s2
	v_perm_b32 v2, v39, v38, s2
	global_store_dwordx2 v[4:5], v[6:7], off
	v_perm_b32 v7, v45, v44, s2
	v_perm_b32 v6, v43, v42, s2
	global_store_dwordx2 v[0:1], v[2:3], off
	v_perm_b32 v3, v35, v34, s2
	v_perm_b32 v2, v37, v36, s2
	global_store_dwordx2 v[4:5], v[6:7], off offset:128
	global_store_dwordx2 v[0:1], v[2:3], off offset:128
	s_endpgm
	.section	.rodata,"a",@progbits
	.p2align	6, 0x0
	.amdhsa_kernel _ZN12_GLOBAL__N_139chunk_gated_delta_rule_fwd_h_hip_kernelILi64ELb0ELb1ELb1ELb1ELb1ELb0ELb1ELb1EEEvPK12hip_bfloat16S3_S3_PKfS5_PKvPS1_S8_PvPKiSB_iiiiilll
		.amdhsa_group_segment_fixed_size 65536
		.amdhsa_private_segment_fixed_size 0
		.amdhsa_kernarg_size 136
		.amdhsa_user_sgpr_count 2
		.amdhsa_user_sgpr_dispatch_ptr 0
		.amdhsa_user_sgpr_queue_ptr 0
		.amdhsa_user_sgpr_kernarg_segment_ptr 1
		.amdhsa_user_sgpr_dispatch_id 0
		.amdhsa_user_sgpr_kernarg_preload_length 0
		.amdhsa_user_sgpr_kernarg_preload_offset 0
		.amdhsa_user_sgpr_private_segment_size 0
		.amdhsa_uses_dynamic_stack 0
		.amdhsa_enable_private_segment 0
		.amdhsa_system_sgpr_workgroup_id_x 1
		.amdhsa_system_sgpr_workgroup_id_y 1
		.amdhsa_system_sgpr_workgroup_id_z 0
		.amdhsa_system_sgpr_workgroup_info 0
		.amdhsa_system_vgpr_workitem_id 0
		.amdhsa_next_free_vgpr 216
		.amdhsa_next_free_sgpr 67
		.amdhsa_accum_offset 180
		.amdhsa_reserve_vcc 1
		.amdhsa_float_round_mode_32 0
		.amdhsa_float_round_mode_16_64 0
		.amdhsa_float_denorm_mode_32 3
		.amdhsa_float_denorm_mode_16_64 3
		.amdhsa_dx10_clamp 1
		.amdhsa_ieee_mode 1
		.amdhsa_fp16_overflow 0
		.amdhsa_tg_split 0
		.amdhsa_exception_fp_ieee_invalid_op 0
		.amdhsa_exception_fp_denorm_src 0
		.amdhsa_exception_fp_ieee_div_zero 0
		.amdhsa_exception_fp_ieee_overflow 0
		.amdhsa_exception_fp_ieee_underflow 0
		.amdhsa_exception_fp_ieee_inexact 0
		.amdhsa_exception_int_div_zero 0
	.end_amdhsa_kernel
	.section	.text._ZN12_GLOBAL__N_139chunk_gated_delta_rule_fwd_h_hip_kernelILi64ELb0ELb1ELb1ELb1ELb1ELb0ELb1ELb1EEEvPK12hip_bfloat16S3_S3_PKfS5_PKvPS1_S8_PvPKiSB_iiiiilll,"axG",@progbits,_ZN12_GLOBAL__N_139chunk_gated_delta_rule_fwd_h_hip_kernelILi64ELb0ELb1ELb1ELb1ELb1ELb0ELb1ELb1EEEvPK12hip_bfloat16S3_S3_PKfS5_PKvPS1_S8_PvPKiSB_iiiiilll,comdat
.Lfunc_end37:
	.size	_ZN12_GLOBAL__N_139chunk_gated_delta_rule_fwd_h_hip_kernelILi64ELb0ELb1ELb1ELb1ELb1ELb0ELb1ELb1EEEvPK12hip_bfloat16S3_S3_PKfS5_PKvPS1_S8_PvPKiSB_iiiiilll, .Lfunc_end37-_ZN12_GLOBAL__N_139chunk_gated_delta_rule_fwd_h_hip_kernelILi64ELb0ELb1ELb1ELb1ELb1ELb0ELb1ELb1EEEvPK12hip_bfloat16S3_S3_PKfS5_PKvPS1_S8_PvPKiSB_iiiiilll
                                        ; -- End function
	.section	.AMDGPU.csdata,"",@progbits
; Kernel info:
; codeLenInByte = 12508
; NumSgprs: 73
; NumVgprs: 180
; NumAgprs: 36
; TotalNumVgprs: 216
; ScratchSize: 0
; MemoryBound: 0
; FloatMode: 240
; IeeeMode: 1
; LDSByteSize: 65536 bytes/workgroup (compile time only)
; SGPRBlocks: 9
; VGPRBlocks: 26
; NumSGPRsForWavesPerEU: 73
; NumVGPRsForWavesPerEU: 216
; AccumOffset: 180
; Occupancy: 1
; WaveLimiterHint : 1
; COMPUTE_PGM_RSRC2:SCRATCH_EN: 0
; COMPUTE_PGM_RSRC2:USER_SGPR: 2
; COMPUTE_PGM_RSRC2:TRAP_HANDLER: 0
; COMPUTE_PGM_RSRC2:TGID_X_EN: 1
; COMPUTE_PGM_RSRC2:TGID_Y_EN: 1
; COMPUTE_PGM_RSRC2:TGID_Z_EN: 0
; COMPUTE_PGM_RSRC2:TIDIG_COMP_CNT: 0
; COMPUTE_PGM_RSRC3_GFX90A:ACCUM_OFFSET: 44
; COMPUTE_PGM_RSRC3_GFX90A:TG_SPLIT: 0
	.section	.text._ZN12_GLOBAL__N_139chunk_gated_delta_rule_fwd_h_hip_kernelILi64ELb0ELb1ELb0ELb1ELb1ELb0ELb1ELb1EEEvPK12hip_bfloat16S3_S3_PKfS5_PKvPS1_S8_PvPKiSB_iiiiilll,"axG",@progbits,_ZN12_GLOBAL__N_139chunk_gated_delta_rule_fwd_h_hip_kernelILi64ELb0ELb1ELb0ELb1ELb1ELb0ELb1ELb1EEEvPK12hip_bfloat16S3_S3_PKfS5_PKvPS1_S8_PvPKiSB_iiiiilll,comdat
	.globl	_ZN12_GLOBAL__N_139chunk_gated_delta_rule_fwd_h_hip_kernelILi64ELb0ELb1ELb0ELb1ELb1ELb0ELb1ELb1EEEvPK12hip_bfloat16S3_S3_PKfS5_PKvPS1_S8_PvPKiSB_iiiiilll ; -- Begin function _ZN12_GLOBAL__N_139chunk_gated_delta_rule_fwd_h_hip_kernelILi64ELb0ELb1ELb0ELb1ELb1ELb0ELb1ELb1EEEvPK12hip_bfloat16S3_S3_PKfS5_PKvPS1_S8_PvPKiSB_iiiiilll
	.p2align	8
	.type	_ZN12_GLOBAL__N_139chunk_gated_delta_rule_fwd_h_hip_kernelILi64ELb0ELb1ELb0ELb1ELb1ELb0ELb1ELb1EEEvPK12hip_bfloat16S3_S3_PKfS5_PKvPS1_S8_PvPKiSB_iiiiilll,@function
_ZN12_GLOBAL__N_139chunk_gated_delta_rule_fwd_h_hip_kernelILi64ELb0ELb1ELb0ELb1ELb1ELb0ELb1ELb1EEEvPK12hip_bfloat16S3_S3_PKfS5_PKvPS1_S8_PvPKiSB_iiiiilll: ; @_ZN12_GLOBAL__N_139chunk_gated_delta_rule_fwd_h_hip_kernelILi64ELb0ELb1ELb0ELb1ELb1ELb0ELb1ELb1EEEvPK12hip_bfloat16S3_S3_PKfS5_PKvPS1_S8_PvPKiSB_iiiiilll
; %bb.0:
	s_load_dwordx4 s[16:19], s[0:1], 0x5c
	s_load_dwordx2 s[20:21], s[0:1], 0x50
	s_abs_i32 s23, s3
	s_ashr_i32 s22, s3, 31
	s_load_dwordx8 s[4:11], s[0:1], 0x0
	s_load_dwordx4 s[12:15], s[0:1], 0x40
	s_load_dwordx2 s[38:39], s[0:1], 0x30
	s_waitcnt lgkmcnt(0)
	s_abs_i32 s26, s17
	v_cvt_f32_u32_e32 v1, s26
	s_sub_i32 s24, 0, s26
	s_ashr_i32 s44, s17, 31
	s_xor_b32 s22, s22, s44
	v_rcp_iflag_f32_e32 v1, v1
	v_lshrrev_b32_e32 v72, 6, v0
	v_bfe_u32 v75, v0, 4, 2
	v_lshlrev_b32_e32 v73, 4, v72
	v_mul_f32_e32 v1, 0x4f7ffffe, v1
	v_cvt_u32_f32_e32 v1, v1
	v_lshlrev_b32_e32 v2, 2, v75
	v_and_b32_e32 v74, 63, v0
	s_mov_b32 s33, s17
	v_readfirstlane_b32 s25, v1
	s_mul_i32 s24, s24, s25
	s_mul_hi_u32 s24, s25, s24
	s_add_i32 s25, s25, s24
	s_mul_hi_u32 s24, s23, s25
	s_mul_i32 s25, s24, s26
	s_sub_i32 s23, s23, s25
	s_add_i32 s25, s24, 1
	s_sub_i32 s27, s23, s26
	s_cmp_ge_u32 s23, s26
	s_cselect_b32 s24, s25, s24
	s_cselect_b32 s23, s27, s23
	s_add_i32 s25, s24, 1
	s_cmp_ge_u32 s23, s26
	s_cselect_b32 s23, s25, s24
	s_xor_b32 s23, s23, s22
	s_sub_i32 s34, s23, s22
	s_mul_i32 s22, s34, s17
	s_ashr_i32 s35, s34, 31
	s_sub_i32 s45, s3, s22
	s_lshl_b64 s[22:23], s[34:35], 2
	s_add_u32 s14, s14, s22
	s_addc_u32 s15, s15, s23
	s_add_u32 s24, s20, s22
	s_addc_u32 s25, s21, s23
	s_abs_i32 s3, s18
	v_cvt_f32_u32_e32 v1, s3
	s_load_dwordx2 s[36:37], s[14:15], 0x0
	s_nop 0
	s_load_dwordx2 s[14:15], s[0:1], 0x80
	s_load_dwordx4 s[20:23], s[0:1], 0x70
	s_sub_i32 s1, 0, s3
	v_rcp_iflag_f32_e32 v1, v1
	s_load_dword s50, s[24:25], 0x0
	s_waitcnt lgkmcnt(0)
	s_sub_i32 s54, s37, s36
	s_ashr_i32 s0, s54, 31
	v_mul_f32_e32 v1, 0x4f7ffffe, v1
	v_cvt_u32_f32_e32 v1, v1
	s_lshr_b32 s0, s0, 26
	s_add_i32 s0, s54, s0
	s_ashr_i32 s49, s0, 6
	v_readfirstlane_b32 s27, v1
	s_mul_i32 s1, s1, s27
	s_mul_hi_u32 s1, s27, s1
	s_add_i32 s27, s27, s1
	s_mul_hi_u32 s1, s26, s27
	s_mul_i32 s27, s1, s3
	s_ashr_i32 s0, s18, 31
	s_sub_i32 s26, s26, s27
	s_xor_b32 s0, s44, s0
	s_add_i32 s27, s1, 1
	s_sub_i32 s28, s26, s3
	s_cmp_ge_u32 s26, s3
	s_cselect_b32 s1, s27, s1
	s_cselect_b32 s26, s28, s26
	s_add_i32 s27, s1, 1
	s_cmp_ge_u32 s26, s3
	s_cselect_b32 s1, s27, s1
	s_xor_b32 s1, s1, s0
	s_sub_i32 s1, s1, s0
	s_abs_i32 s3, s1
	v_cvt_f32_u32_e32 v1, s3
	s_sub_i32 s25, 0, s3
	s_abs_i32 s24, s45
	s_xor_b32 s1, s45, s1
	v_rcp_iflag_f32_e32 v1, v1
	s_ashr_i32 s1, s1, 31
	s_mov_b32 s0, 0
	v_and_b32_e32 v76, 15, v0
	v_mul_f32_e32 v1, 0x4f7ffffe, v1
	v_cvt_u32_f32_e32 v1, v1
	s_mul_hi_i32 s51, s45, s16
	s_mul_i32 s52, s45, s16
	v_lshrrev_b32_e32 v78, 3, v74
	v_readfirstlane_b32 s26, v1
	s_mul_i32 s25, s25, s26
	s_mul_hi_u32 s25, s26, s25
	s_add_i32 s26, s26, s25
	s_mul_hi_u32 s25, s24, s26
	s_mul_i32 s26, s25, s3
	s_sub_i32 s24, s24, s26
	s_add_i32 s26, s25, 1
	s_sub_i32 s27, s24, s3
	s_cmp_ge_u32 s24, s3
	s_cselect_b32 s25, s26, s25
	s_cselect_b32 s24, s27, s24
	s_add_i32 s26, s25, 1
	s_cmp_ge_u32 s24, s3
	s_cselect_b32 s3, s26, s25
	s_xor_b32 s3, s3, s1
	s_sub_i32 s53, s3, s1
	v_or_b32_e32 v1, v2, v73
	s_lshl_b32 s2, s2, 6
	s_mov_b32 s1, s0
	v_or_b32_e32 v79, 64, v1
	s_cmp_lt_i32 s54, 64
	v_mov_b64_e32 v[34:35], s[0:1]
	v_lshlrev_b32_e32 v77, 3, v0
	s_mul_i32 s46, s34, s21
	s_mul_hi_u32 s47, s34, s20
	s_mul_i32 s48, s35, s20
	s_mul_i32 s20, s34, s20
	v_mov_b64_e32 v[36:37], s[0:1]
	v_mov_b64_e32 v[40:41], s[0:1]
	;; [unrolled: 1-line block ×15, first 2 shown]
	s_cbranch_scc1 .LBB38_17
; %bb.1:
	s_ashr_i32 s56, s45, 31
	s_ashr_i32 s1, s36, 31
	s_add_u32 s0, s52, s36
	s_addc_u32 s1, s51, s1
	s_lshl_b64 s[0:1], s[0:1], 8
	v_and_b32_e32 v81, 56, v77
	s_add_u32 s24, s6, s0
	v_lshl_or_b32 v80, v72, 3, v78
	v_lshlrev_b32_e32 v3, 1, v81
	s_addc_u32 s0, s7, s1
	v_lshl_or_b32 v82, v80, 8, v3
	s_and_b32 s25, s0, 0xffff
	s_mov_b32 s27, 0x20000
	s_movk_i32 s26, 0x4000
	s_movk_i32 s0, 0x80
	v_or_b32_e32 v83, 0x2000, v82
	buffer_load_dwordx4 v[4:7], v82, s[24:27], 0 offen
	buffer_load_dwordx4 v[8:11], v82, s[24:27], s0 offen
	;; [unrolled: 1-line block ×4, first 2 shown]
	v_lshlrev_b32_e32 v20, 3, v80
	v_and_or_b32 v22, v0, 7, v20
	v_and_b32_e32 v20, 0x78, v20
	v_lshlrev_b32_e32 v22, 4, v22
	v_xor_b32_e32 v84, v22, v20
	v_mul_lo_u32 v21, v80, s19
	v_or_b32_e32 v85, 0x1000, v84
	s_cmpk_eq_i32 s19, 0x80
	s_mov_b32 s55, s36
	v_xor_b32_e32 v20, 8, v84
	v_xor_b32_e32 v22, 8, v85
	s_cselect_b64 s[0:1], -1, 0
	s_cmpk_lg_i32 s19, 0x80
	s_waitcnt vmcnt(3)
	ds_write_b64 v84, v[4:5] offset:49152
	ds_write_b64 v20, v[6:7] offset:49152
	s_waitcnt vmcnt(2)
	ds_write_b64 v84, v[8:9] offset:57344
	ds_write_b64 v20, v[10:11] offset:57344
	;; [unrolled: 3-line block ×4, first 2 shown]
	v_lshl_add_u32 v4, v21, 1, v81
	s_cbranch_scc0 .LBB38_3
; %bb.2:
	v_lshlrev_b32_e32 v6, 1, v4
	v_add_lshl_u32 v5, v4, s19, 1
	s_lshl_b32 s26, s19, 7
	v_lshl_or_b32 v3, v80, 9, v3
	s_cbranch_execz .LBB38_4
	s_branch .LBB38_5
.LBB38_3:
                                        ; implicit-def: $vgpr5
                                        ; implicit-def: $vgpr6
                                        ; implicit-def: $sgpr26
	v_lshl_or_b32 v3, v80, 9, v3
.LBB38_4:
	v_or_b32_e32 v5, 0x100, v3
	s_movk_i32 s26, 0x4000
	v_mov_b32_e32 v6, v3
.LBB38_5:
	s_mul_i32 s21, s36, s18
	s_ashr_i32 s57, s53, 31
	s_mul_hi_i32 s3, s36, s18
	s_add_u32 s24, s21, s53
	s_addc_u32 s25, s3, s57
	s_lshl_b64 s[24:25], s[24:25], 8
	s_add_u32 s24, s4, s24
	s_addc_u32 s3, s5, s25
	s_and_b32 s25, s3, 0xffff
	s_movk_i32 s58, 0x80
	buffer_load_dwordx4 v[8:11], v6, s[24:27], 0 offen
	buffer_load_dwordx4 v[12:15], v6, s[24:27], s58 offen
	;; [unrolled: 1-line block ×4, first 2 shown]
	v_and_b32_e32 v5, 6, v0
	v_lshlrev_b32_e32 v6, 7, v1
	v_xor_b32_e32 v28, v80, v5
	v_and_b32_e32 v7, 1, v0
	v_lshl_or_b32 v31, v76, 3, v6
	v_lshlrev_b32_e32 v28, 2, v28
	v_lshlrev_b32_e32 v24, 2, v76
	v_or_b32_e32 v86, 0x4000, v31
	v_or_b32_e32 v87, 0x6000, v31
	v_xor_b32_e32 v31, 0x440, v28
	v_cmp_eq_u32_e32 vcc, 0, v7
	v_or_b32_e32 v26, 16, v76
	v_or_b32_e32 v27, 32, v76
	v_xor_b32_e32 v29, v1, v24
	v_xor_b32_e32 v30, v79, v24
	v_cndmask_b32_e32 v7, v31, v28, vcc
	s_add_i32 s3, s47, s46
	s_mov_b32 s59, 0x1000504
	v_lshl_or_b32 v32, v26, 3, v6
	v_lshlrev_b32_e32 v26, 8, v26
	v_lshl_or_b32 v33, v27, 3, v6
	v_lshlrev_b32_e32 v29, 1, v29
	v_lshlrev_b32_e32 v30, 1, v30
	v_lshl_or_b32 v5, v5, 10, v7
	s_add_i32 s21, s3, s48
	s_mul_i32 s3, s45, s23
	s_mul_hi_u32 s24, s45, s22
	s_mov_b32 s60, 0x3020706
	v_lshlrev_b32_e32 v25, 8, v76
	v_or_b32_e32 v90, 0x4000, v33
	v_or_b32_e32 v91, 0x6000, v33
	;; [unrolled: 1-line block ×4, first 2 shown]
	v_xor_b32_e32 v7, 8, v5
	v_xor_b32_e32 v26, 24, v5
	;; [unrolled: 1-line block ×4, first 2 shown]
	s_add_i32 s3, s24, s3
	s_mul_i32 s24, s56, s22
	v_or_b32_e32 v88, 0x4000, v32
	v_or_b32_e32 v89, 0x6000, v32
	;; [unrolled: 1-line block ×4, first 2 shown]
	v_xor_b32_e32 v25, 16, v5
	v_xor_b32_e32 v28, 32, v5
	;; [unrolled: 1-line block ×3, first 2 shown]
	v_add_u32_e32 v7, 0x80, v7
	v_add_u32_e32 v26, 0x80, v26
	;; [unrolled: 1-line block ×4, first 2 shown]
	s_add_i32 s25, s3, s24
	s_lshl_b64 s[28:29], s[20:21], 2
	s_mul_i32 s24, s45, s22
	s_add_u32 s3, s10, s28
	s_addc_u32 s21, s11, s29
	s_lshl_b64 s[24:25], s[24:25], 2
	s_add_u32 s40, s3, s24
	s_movk_i32 s3, 0xf8
	s_addc_u32 s41, s21, s25
	s_lshl_b32 s30, s19, 7
	s_movk_i32 s21, 0x100
	v_mov_b32_e32 v67, 0
	v_lshlrev_b32_e32 v66, 4, v76
	v_cmp_gt_u32_e32 vcc, s21, v0
	v_lshlrev_b32_e32 v27, 8, v27
	s_mov_b32 s61, 0
	s_movk_i32 s26, 0x4000
	v_or_b32_e32 v96, v27, v29
	v_or_b32_e32 v97, v27, v30
	v_add_u32_e32 v126, v73, v2
	s_movk_i32 s21, 0x2000
	s_movk_i32 s62, 0x3000
	v_mov_b32_e32 v62, v67
	v_mov_b32_e32 v63, v67
	;; [unrolled: 1-line block ×6, first 2 shown]
	s_waitcnt vmcnt(1)
	v_perm_b32 v34, v8, v16, s59
	s_waitcnt vmcnt(0)
	v_perm_b32 v35, v12, v20, s59
	v_perm_b32 v8, v8, v16, s60
	;; [unrolled: 1-line block ×15, first 2 shown]
	ds_write2st64_b32 v5, v34, v35 offset0:128 offset1:160
	ds_write2st64_b32 v7, v8, v12 offset0:128 offset1:160
	ds_write2st64_b32 v25, v16, v20 offset0:129 offset1:161
	ds_write2st64_b32 v26, v9, v13 offset0:129 offset1:161
	ds_write2st64_b32 v28, v17, v21 offset0:130 offset1:162
	ds_write2st64_b32 v31, v10, v14 offset0:130 offset1:162
	ds_write2st64_b32 v32, v18, v22 offset0:131 offset1:163
	ds_write2st64_b32 v33, v11, v15 offset0:131 offset1:163
	v_or_b32_e32 v5, 48, v76
	v_lshl_or_b32 v7, v5, 3, v6
	v_lshlrev_b32_e32 v5, 8, v5
	v_or_b32_e32 v100, v5, v29
	v_or_b32_e32 v101, v5, v30
	v_or_b32_e32 v5, v73, v76
	v_lshlrev_b32_e32 v5, 3, v5
	v_lshrrev_b32_e32 v9, 5, v74
	v_and_or_b32 v9, v5, s3, v9
	v_lshlrev_b32_e32 v9, 4, v9
	v_or_b32_e32 v98, 0x4000, v7
	v_or_b32_e32 v99, 0x6000, v7
	v_lshlrev_b32_e32 v7, 11, v72
	v_and_b32_e32 v5, 0x78, v5
	v_or_b32_e32 v14, 32, v9
	v_and_b32_e32 v8, 0x1000, v7
	v_xor_b32_e32 v10, v9, v5
	v_lshrrev_b32_e32 v11, 1, v0
	v_xor_b32_e32 v14, v14, v5
	v_or_b32_e32 v10, v10, v8
	v_and_b32_e32 v12, 8, v11
	v_or_b32_e32 v14, v14, v8
	v_xor_b32_e32 v102, v10, v12
	v_lshlrev_b32_e32 v10, 8, v75
	v_xor_b32_e32 v104, v14, v12
	v_or_b32_e32 v14, 64, v9
	v_or_b32_e32 v9, 0x60, v9
	;; [unrolled: 1-line block ×3, first 2 shown]
	v_xor_b32_e32 v14, v14, v5
	v_xor_b32_e32 v5, v9, v5
	s_ashr_i32 s3, s2, 31
	v_lshlrev_b32_e32 v13, 1, v13
	v_or_b32_e32 v14, v14, v8
	v_or_b32_e32 v5, v5, v8
	s_lshl_b64 s[24:25], s[2:3], 8
	v_or_b32_e32 v103, 0x4000, v13
	v_or_b32_e32 v105, 0x4080, v13
	;; [unrolled: 1-line block ×4, first 2 shown]
	v_xor_b32_e32 v108, v14, v12
	v_xor_b32_e32 v109, v5, v12
	v_or_b32_e32 v110, 0x6000, v13
	v_or_b32_e32 v111, 0x6080, v13
	;; [unrolled: 1-line block ×4, first 2 shown]
	v_lshlrev_b32_e32 v12, 1, v4
	v_add_lshl_u32 v13, v4, s19, 1
	s_add_u32 s24, s38, s24
	v_lshlrev_b32_e32 v4, 1, v76
	v_lshrrev_b32_e32 v15, 4, v0
	s_addc_u32 s25, s39, s25
	v_or_b32_e32 v5, 1, v4
	v_mov_b32_e32 v19, 0xa000
	v_mov_b32_e32 v20, 0x8000
	v_xor_b32_e32 v16, v15, v4
	v_xor_b32_e32 v17, v5, v15
	v_lshl_add_u64 v[4:5], s[24:25], 0, v[66:67]
	v_lshlrev_b32_e32 v66, 8, v15
	v_cndmask_b32_e32 v19, v19, v20, vcc
	v_lshlrev_b32_e32 v20, 3, v72
	v_and_b32_e32 v11, 24, v11
	v_lshl_or_b32 v114, v16, 3, v66
	v_and_b32_e32 v16, 8, v0
	v_xor_b32_e32 v21, v20, v11
	v_or_b32_e32 v22, 0x440, v21
	v_cmp_eq_u32_e32 vcc, 0, v16
	v_and_b32_e32 v15, 7, v0
	v_lshl_or_b32 v115, v17, 3, v66
	v_cndmask_b32_e32 v16, v22, v21, vcc
	v_lshlrev_b32_e32 v17, 3, v15
	v_lshlrev_b32_e32 v15, 7, v15
	v_or_b32_e32 v16, v16, v7
	v_lshlrev_b32_e32 v18, 2, v0
	v_xad_u32 v116, v16, v17, v15
	v_or_b32_e32 v16, 32, v11
	v_and_or_b32 v10, v18, 60, v10
	v_xor_b32_e32 v16, v20, v16
	v_lshlrev_b32_e32 v10, 1, v10
	v_or_b32_e32 v18, 0x440, v16
	v_or_b32_e32 v117, 0x6000, v10
	v_cndmask_b32_e32 v16, v18, v16, vcc
	v_or_b32_e32 v119, 0x6080, v10
	v_or_b32_e32 v120, 0x6100, v10
	;; [unrolled: 1-line block ×5, first 2 shown]
	v_xor_b32_e32 v10, v20, v10
	v_xad_u32 v118, v16, v17, v15
	v_xor_b32_e32 v16, 0x440, v10
	v_cndmask_b32_e32 v10, v16, v10, vcc
	v_or_b32_e32 v10, v10, v7
	v_xad_u32 v122, v10, v17, v15
	v_or_b32_e32 v10, 0x60, v11
	v_xor_b32_e32 v10, v20, v10
	v_xor_b32_e32 v11, 0x440, v10
	v_cndmask_b32_e32 v10, v11, v10, vcc
	v_or_b32_e32 v8, s2, v76
	v_or_b32_e32 v7, v10, v7
	v_ashrrev_i32_e32 v9, 31, v8
	v_or_b32_e32 v14, 0x100, v3
	v_xad_u32 v123, v7, v17, v15
	v_cndmask_b32_e64 v124, v12, v3, s[0:1]
	v_cndmask_b32_e64 v125, v13, v14, s[0:1]
	v_lshl_add_u64 v[68:69], v[8:9], 1, s[8:9]
	v_lshl_add_u64 v[70:71], v[4:5], 0, v[66:67]
	s_mov_b32 s3, 0x7060302
	v_lshlrev_b32_e32 v66, 1, v6
	v_add_u32_e32 v127, v19, v116
	v_add_u32_e32 v128, v19, v118
	;; [unrolled: 1-line block ×4, first 2 shown]
	v_mov_b32_e32 v60, v67
	v_mov_b32_e32 v61, v67
	v_mov_b32_e32 v54, v67
	v_mov_b32_e32 v55, v67
	v_mov_b32_e32 v56, v67
	v_mov_b32_e32 v57, v67
	v_mov_b32_e32 v50, v67
	v_mov_b32_e32 v51, v67
	v_mov_b32_e32 v52, v67
	v_mov_b32_e32 v53, v67
	v_mov_b32_e32 v46, v67
	v_mov_b32_e32 v47, v67
	v_mov_b32_e32 v48, v67
	v_mov_b32_e32 v49, v67
	v_mov_b32_e32 v42, v67
	v_mov_b32_e32 v43, v67
	v_mov_b32_e32 v44, v67
	v_mov_b32_e32 v45, v67
	v_mov_b32_e32 v38, v67
	v_mov_b32_e32 v39, v67
	v_mov_b32_e32 v40, v67
	v_mov_b32_e32 v41, v67
	v_mov_b32_e32 v36, v67
	v_mov_b32_e32 v37, v67
	v_mov_b32_e32 v34, v67
	v_mov_b32_e32 v35, v67
	s_waitcnt lgkmcnt(0)
	s_barrier
	s_branch .LBB38_7
.LBB38_6:                               ;   in Loop: Header=BB38_7 Depth=1
	v_exp_f32_e32 v132, s24
	v_accvgpr_read_b32 v5, a3
	v_accvgpr_read_b32 v9, a7
	;; [unrolled: 1-line block ×4, first 2 shown]
	s_waitcnt vmcnt(4)
	v_accvgpr_read_b32 v18, a20
	v_accvgpr_read_b32 v25, a19
	;; [unrolled: 1-line block ×28, first 2 shown]
	s_add_i32 s55, s55, 64
	v_pk_fma_f32 v[62:63], v[132:133], v[62:63], v[2:3] op_sel_hi:[0,1,1]
	v_pk_fma_f32 v[64:65], v[132:133], v[64:65], v[4:5] op_sel_hi:[0,1,1]
	;; [unrolled: 1-line block ×16, first 2 shown]
	s_cmp_eq_u32 s49, s63
	s_mov_b32 s61, s63
	s_cbranch_scc1 .LBB38_17
.LBB38_7:                               ; =>This Inner Loop Header: Depth=1
	s_add_i32 s63, s61, 1
	s_cmp_lt_i32 s63, s49
	s_mov_b64 s[28:29], 0
	s_cselect_b64 s[42:43], -1, 0
	s_cmp_ge_i32 s63, s49
	s_mov_b64 s[24:25], 0
	s_cbranch_scc1 .LBB38_9
; %bb.8:                                ;   in Loop: Header=BB38_7 Depth=1
	s_add_i32 s0, s55, 64
	s_ashr_i32 s1, s0, 31
	s_add_u32 s0, s52, s0
	s_addc_u32 s1, s51, s1
	s_lshl_b64 s[0:1], s[0:1], 8
	s_add_u32 s24, s6, s0
	s_addc_u32 s25, s7, s1
.LBB38_9:                               ;   in Loop: Header=BB38_7 Depth=1
	v_cndmask_b32_e64 v2, 0, 1, s[42:43]
	v_cmp_ne_u32_e64 s[0:1], 1, v2
	s_andn2_b64 vcc, exec, s[42:43]
	s_cbranch_vccnz .LBB38_11
; %bb.10:                               ;   in Loop: Header=BB38_7 Depth=1
	s_add_i32 s28, s55, 64
	s_mul_hi_i32 s29, s28, s18
	s_mul_i32 s28, s28, s18
	s_add_u32 s28, s28, s53
	s_addc_u32 s29, s29, s57
	s_lshl_b64 s[28:29], s[28:29], 8
	s_add_u32 s28, s4, s28
	s_addc_u32 s29, s5, s29
.LBB38_11:                              ;   in Loop: Header=BB38_7 Depth=1
	v_perm_b32 v3, v65, v64, s3
	v_perm_b32 v2, v63, v62, s3
	v_perm_b32 v5, v61, v60, s3
	v_perm_b32 v4, v59, v58, s3
	ds_write_b64 v86, v[2:3]
	ds_write_b64 v87, v[4:5]
	ds_write_b64 v92, v[2:3]
	ds_write_b64 v93, v[4:5]
	v_perm_b32 v3, v57, v56, s3
	v_perm_b32 v2, v55, v54, s3
	v_perm_b32 v5, v53, v52, s3
	v_perm_b32 v4, v51, v50, s3
	ds_write_b64 v88, v[2:3]
	ds_write_b64 v89, v[4:5]
	ds_write_b64 v94, v[2:3]
	ds_write_b64 v95, v[4:5]
	;; [unrolled: 8-line block ×4, first 2 shown]
	s_waitcnt lgkmcnt(0)
	s_barrier
	ds_read_b64 v[6:7], v102 offset:49152
	ds_read2_b64 v[2:5], v103 offset1:16
	ds_read_b64 v[18:19], v105 offset:6144
	ds_read_b64 v[20:21], v103 offset:6144
	s_waitcnt lgkmcnt(2)
	v_mfma_f32_16x16x16_bf16 a[0:3], v[6:7], v[2:3], 0
	ds_read_b64 v[22:23], v104 offset:49152
	ds_read2st64_b64 v[10:13], v106 offset0:4 offset1:8
	ds_read2st64_b64 v[14:17], v107 offset0:4 offset1:8
	v_mfma_f32_16x16x16_bf16 a[4:7], v[6:7], v[4:5], 0
	ds_read2_b64 v[2:5], v103 offset0:32 offset1:48
	s_add_i32 s31, s55, 63
	s_ashr_i32 s42, s31, 31
	s_waitcnt lgkmcnt(0)
	v_mfma_f32_16x16x16_bf16 a[8:11], v[6:7], v[2:3], 0
	s_mul_i32 s43, s31, s15
	s_mul_hi_u32 s64, s31, s14
	s_add_i32 s43, s64, s43
	v_mfma_f32_16x16x16_bf16 a[12:15], v[6:7], v[4:5], 0
	ds_read2st64_b64 v[2:5], v103 offset0:4 offset1:8
	ds_read2st64_b64 v[6:9], v105 offset0:4 offset1:8
	s_mul_i32 s42, s42, s14
	s_waitcnt lgkmcnt(1)
	v_mfma_f32_16x16x16_bf16 a[0:3], v[22:23], v[2:3], a[0:3]
	s_add_i32 s43, s43, s42
	s_mul_i32 s42, s31, s14
	s_lshl_b64 s[42:43], s[42:43], 2
	s_waitcnt lgkmcnt(0)
	v_mfma_f32_16x16x16_bf16 a[4:7], v[22:23], v[6:7], a[4:7]
	s_add_u32 s42, s40, s42
	s_addc_u32 s43, s41, s43
	s_and_b64 vcc, exec, s[0:1]
	v_mfma_f32_16x16x16_bf16 a[8:11], v[22:23], v[10:11], a[8:11]
	ds_read_b64 v[2:3], v108 offset:49152
	ds_read_b64 v[6:7], v109 offset:49152
	;; [unrolled: 1-line block ×3, first 2 shown]
	v_mov_b32_e32 v133, 0
	v_mov_b32_e32 v132, 0
	v_mfma_f32_16x16x16_bf16 a[12:15], v[22:23], v[14:15], a[12:15]
	v_mov_b32_e32 v131, 0
	v_mov_b32_e32 v14, 0
	;; [unrolled: 1-line block ×3, first 2 shown]
	s_waitcnt lgkmcnt(2)
	v_mfma_f32_16x16x16_bf16 a[0:3], v[2:3], v[4:5], a[0:3]
	v_mov_b32_e32 v4, 0
	v_mov_b32_e32 v5, 0
	v_mfma_f32_16x16x16_bf16 a[16:19], v[2:3], v[8:9], a[4:7]
	v_mov_b32_e32 v8, 0
	v_mov_b32_e32 v9, 0
	;; [unrolled: 3-line block ×3, first 2 shown]
	v_mfma_f32_16x16x16_bf16 a[24:27], v[2:3], v[16:17], a[12:15]
	ds_read_b64 v[2:3], v106 offset:6144
	v_mov_b32_e32 v16, 0
	v_mov_b32_e32 v17, 0
	s_waitcnt lgkmcnt(2)
	v_mfma_f32_16x16x16_bf16 a[4:7], v[6:7], v[20:21], a[0:3]
	v_mfma_f32_16x16x16_bf16 a[8:11], v[6:7], v[18:19], a[16:19]
	s_waitcnt lgkmcnt(0)
	v_mfma_f32_16x16x16_bf16 a[12:15], v[6:7], v[2:3], a[20:23]
	v_mov_b32_e32 v2, 0
	v_mov_b32_e32 v3, 0
	v_mfma_f32_16x16x16_bf16 a[0:3], v[6:7], v[10:11], a[24:27]
	v_mov_b32_e32 v6, 0
	v_mov_b32_e32 v7, 0
	;; [unrolled: 1-line block ×4, first 2 shown]
	s_cbranch_vccnz .LBB38_13
; %bb.12:                               ;   in Loop: Header=BB38_7 Depth=1
	s_and_b32 s25, s25, 0xffff
	buffer_load_dwordx4 v[14:17], v82, s[24:27], 0 offen
	buffer_load_dwordx4 v[10:13], v82, s[24:27], s58 offen
	;; [unrolled: 1-line block ×4, first 2 shown]
	v_mov_b32_e32 v132, v84
	v_mov_b32_e32 v131, v85
.LBB38_13:                              ;   in Loop: Header=BB38_7 Depth=1
	ds_read_b64 v[134:135], v102 offset:57344
	ds_read2_b64 v[18:21], v110 offset1:16
	ds_read_b64 v[136:137], v104 offset:57344
	ds_read_b64 v[138:139], v108 offset:57344
	;; [unrolled: 1-line block ×3, first 2 shown]
	v_add_u32_e32 v142, s55, v126
	s_waitcnt lgkmcnt(3)
	v_mfma_f32_16x16x16_bf16 a[4:7], v[134:135], v[18:19], a[4:7]
	v_mfma_f32_16x16x16_bf16 a[8:11], v[134:135], v[20:21], a[8:11]
	ds_read2_b64 v[18:21], v110 offset0:32 offset1:48
	ds_read2st64_b64 v[22:25], v110 offset0:4 offset1:8
	ds_read2st64_b64 v[26:29], v111 offset0:4 offset1:8
	;; [unrolled: 1-line block ×3, first 2 shown]
	s_waitcnt lgkmcnt(3)
	v_mfma_f32_16x16x16_bf16 a[12:15], v[134:135], v[18:19], a[12:15]
	v_ashrrev_i32_e32 v18, 31, v142
	v_mfma_f32_16x16x16_bf16 a[0:3], v[134:135], v[20:21], a[0:3]
	v_mul_lo_u32 v20, v18, s14
	v_mul_lo_u32 v21, v142, s15
	v_mad_u64_u32 v[18:19], s[24:25], v142, s14, 0
	v_add3_u32 v19, v19, v21, v20
	v_add_u32_e32 v20, 1, v142
	v_ashrrev_i32_e32 v21, 31, v20
	s_waitcnt lgkmcnt(2)
	v_mfma_f32_16x16x16_bf16 a[4:7], v[136:137], v[22:23], a[4:7]
	v_mul_lo_u32 v22, v21, s14
	v_mul_lo_u32 v23, v20, s15
	v_mad_u64_u32 v[20:21], s[24:25], v20, s14, 0
	v_add3_u32 v21, v21, v23, v22
	v_add_u32_e32 v22, 2, v142
	v_ashrrev_i32_e32 v23, 31, v22
	s_waitcnt lgkmcnt(1)
	v_mfma_f32_16x16x16_bf16 a[8:11], v[136:137], v[26:27], a[8:11]
	v_mul_lo_u32 v26, v23, s14
	v_mul_lo_u32 v27, v22, s15
	v_mad_u64_u32 v[22:23], s[24:25], v22, s14, 0
	v_add3_u32 v23, v23, v27, v26
	v_add_u32_e32 v26, 3, v142
	v_ashrrev_i32_e32 v27, 31, v26
	v_mul_lo_u32 v134, v27, s14
	v_mul_lo_u32 v135, v26, s15
	v_mad_u64_u32 v[26:27], s[24:25], v26, s14, 0
	s_ashr_i32 s25, s55, 31
	s_add_u32 s24, s52, s55
	s_addc_u32 s25, s51, s25
	v_lshl_add_u64 v[18:19], v[18:19], 2, s[40:41]
	v_add3_u32 v27, v27, v135, v134
	s_lshl_b64 s[24:25], s[24:25], 8
	v_lshl_add_u64 v[20:21], v[20:21], 2, s[40:41]
	v_lshl_add_u64 v[22:23], v[22:23], 2, s[40:41]
	;; [unrolled: 1-line block ×3, first 2 shown]
	global_load_dword v134, v[18:19], off
	global_load_dword v135, v[20:21], off
	;; [unrolled: 1-line block ×4, first 2 shown]
	v_lshl_add_u64 v[18:19], v[68:69], 0, s[24:25]
	v_lshl_add_u64 v[22:23], v[18:19], 0, v[66:67]
	global_load_ushort v144, v[22:23], off offset:256
	global_load_ushort v145, v[22:23], off
	ds_read2st64_b64 v[18:21], v113 offset0:4 offset1:8
	global_load_ushort v146, v[22:23], off offset:768
	global_load_ushort v147, v[22:23], off offset:512
	s_waitcnt lgkmcnt(1)
	v_mfma_f32_16x16x16_bf16 a[12:15], v[136:137], v[30:31], a[12:15]
	s_and_b64 vcc, exec, s[0:1]
	s_waitcnt vmcnt(3)
	v_lshlrev_b32_e32 v31, 16, v144
	s_waitcnt lgkmcnt(0)
	v_mfma_f32_16x16x16_bf16 a[0:3], v[136:137], v[18:19], a[0:3]
	global_load_ushort v136, v[22:23], off offset:288
	global_load_ushort v137, v[22:23], off offset:32
	;; [unrolled: 1-line block ×8, first 2 shown]
	v_mfma_f32_16x16x16_bf16 a[4:7], v[138:139], v[24:25], a[4:7]
	ds_read_b64 v[18:19], v110 offset:6144
	s_waitcnt vmcnt(10)
	v_lshlrev_b32_e32 v30, 16, v145
	v_mfma_f32_16x16x16_bf16 a[8:11], v[138:139], v[28:29], a[8:11]
	v_mfma_f32_16x16x16_bf16 a[12:15], v[138:139], v[32:33], a[12:15]
	;; [unrolled: 1-line block ×3, first 2 shown]
	global_load_ushort v138, v[22:23], off offset:352
	global_load_ushort v139, v[22:23], off offset:96
	ds_read_b64 v[20:21], v111 offset:6144
	ds_read_b64 v[24:25], v112 offset:6144
	;; [unrolled: 1-line block ×3, first 2 shown]
	global_load_ushort v154, v[22:23], off offset:864
	global_load_ushort v155, v[22:23], off offset:608
	s_load_dword s24, s[42:43], 0x0
	s_waitcnt lgkmcnt(0)
	v_mfma_f32_16x16x16_bf16 a[4:7], v[140:141], v[18:19], a[4:7]
	v_sub_f32_e32 v28, s24, v142
	v_mfma_f32_16x16x16_bf16 a[0:3], v[140:141], v[26:27], a[0:3]
	v_sub_f32_e32 v26, s24, v134
	v_sub_f32_e32 v27, s24, v135
	;; [unrolled: 1-line block ×3, first 2 shown]
	v_mfma_f32_16x16x16_bf16 a[8:11], v[140:141], v[20:21], a[8:11]
	v_exp_f32_e32 v26, v26
	v_exp_f32_e32 v27, v27
	;; [unrolled: 1-line block ×4, first 2 shown]
	v_accvgpr_read_b32 v33, a5
	v_accvgpr_read_b32 v32, a4
	;; [unrolled: 1-line block ×4, first 2 shown]
	v_pk_add_f32 v[30:31], v[30:31], v[32:33] neg_lo:[0,1] neg_hi:[0,1]
	s_waitcnt vmcnt(13)
	v_lshlrev_b32_e32 v33, 16, v146
	s_waitcnt vmcnt(12)
	v_lshlrev_b32_e32 v32, 16, v147
	v_pk_add_f32 v[18:19], v[32:33], v[18:19] neg_lo:[0,1] neg_hi:[0,1]
	v_pk_mul_f32 v[30:31], v[26:27], v[30:31]
	v_pk_mul_f32 v[18:19], v[28:29], v[18:19]
	v_accvgpr_read_b32 v33, a9
	v_perm_b32 v19, v19, v18, s3
	v_perm_b32 v18, v31, v30, s3
	v_accvgpr_read_b32 v32, a8
	v_accvgpr_read_b32 v21, a11
	v_mfma_f32_16x16x16_bf16 a[12:15], v[140:141], v[24:25], a[12:15]
	v_accvgpr_read_b32 v20, a10
	v_accvgpr_read_b32 v25, a3
	v_accvgpr_read_b32 v24, a2
	v_mov_b32_e32 v134, 0
	s_waitcnt vmcnt(11)
	v_lshlrev_b32_e32 v31, 16, v136
	s_waitcnt vmcnt(10)
	v_lshlrev_b32_e32 v30, 16, v137
	v_pk_add_f32 v[30:31], v[30:31], v[32:33] neg_lo:[0,1] neg_hi:[0,1]
	s_waitcnt vmcnt(9)
	v_lshlrev_b32_e32 v33, 16, v148
	s_waitcnt vmcnt(8)
	v_lshlrev_b32_e32 v32, 16, v149
	v_pk_add_f32 v[20:21], v[32:33], v[20:21] neg_lo:[0,1] neg_hi:[0,1]
	v_pk_mul_f32 v[30:31], v[26:27], v[30:31]
	v_pk_mul_f32 v[20:21], v[28:29], v[20:21]
	v_accvgpr_read_b32 v23, a15
	v_perm_b32 v21, v21, v20, s3
	v_perm_b32 v20, v31, v30, s3
	ds_write2_b64 v87, v[18:19], v[20:21] offset1:16
	v_accvgpr_read_b32 v21, a13
	s_waitcnt vmcnt(7)
	v_lshlrev_b32_e32 v19, 16, v150
	s_waitcnt vmcnt(6)
	v_lshlrev_b32_e32 v18, 16, v151
	v_accvgpr_read_b32 v20, a12
	v_accvgpr_read_b32 v22, a14
	v_pk_add_f32 v[18:19], v[18:19], v[20:21] neg_lo:[0,1] neg_hi:[0,1]
	s_waitcnt vmcnt(5)
	v_lshlrev_b32_e32 v21, 16, v152
	s_waitcnt vmcnt(4)
	v_lshlrev_b32_e32 v20, 16, v153
	v_pk_add_f32 v[20:21], v[20:21], v[22:23] neg_lo:[0,1] neg_hi:[0,1]
	v_pk_mul_f32 v[18:19], v[26:27], v[18:19]
	v_pk_mul_f32 v[20:21], v[28:29], v[20:21]
	v_accvgpr_read_b32 v23, a1
	v_perm_b32 v21, v21, v20, s3
	v_perm_b32 v20, v19, v18, s3
	s_waitcnt vmcnt(3)
	v_lshlrev_b32_e32 v19, 16, v138
	s_waitcnt vmcnt(2)
	v_lshlrev_b32_e32 v18, 16, v139
	v_accvgpr_read_b32 v22, a0
	v_pk_add_f32 v[18:19], v[18:19], v[22:23] neg_lo:[0,1] neg_hi:[0,1]
	s_waitcnt vmcnt(1)
	v_lshlrev_b32_e32 v23, 16, v154
	s_waitcnt vmcnt(0)
	v_lshlrev_b32_e32 v22, 16, v155
	v_pk_add_f32 v[22:23], v[22:23], v[24:25] neg_lo:[0,1] neg_hi:[0,1]
	v_pk_mul_f32 v[18:19], v[26:27], v[18:19]
	v_pk_mul_f32 v[22:23], v[28:29], v[22:23]
	v_mov_b32_e32 v24, 0
	v_perm_b32 v23, v23, v22, s3
	v_perm_b32 v22, v19, v18, s3
	ds_write2_b64 v87, v[20:21], v[22:23] offset0:32 offset1:48
	v_mov_b32_e32 v18, 0
	v_mov_b32_e32 v19, 0
	;; [unrolled: 1-line block ×15, first 2 shown]
	s_cbranch_vccnz .LBB38_15
; %bb.14:                               ;   in Loop: Header=BB38_7 Depth=1
	s_and_b32 s29, s29, 0xffff
	s_mov_b32 s31, s27
	buffer_load_dwordx4 v[30:33], v124, s[28:31], 0 offen
	buffer_load_dwordx4 v[22:25], v124, s[28:31], s58 offen
	;; [unrolled: 1-line block ×4, first 2 shown]
	v_mov_b32_e32 v133, v81
	v_mov_b32_e32 v134, v80
.LBB38_15:                              ;   in Loop: Header=BB38_7 Depth=1
	s_waitcnt lgkmcnt(0)
	s_barrier
	ds_read_b64 v[144:145], v127
	ds_read2_b64 v[136:139], v117 offset1:16
	ds_read_b64 v[160:161], v128
	ds_read_b64 v[162:163], v129
	;; [unrolled: 1-line block ×3, first 2 shown]
	ds_read2_b64 v[140:143], v117 offset0:32 offset1:48
	s_waitcnt lgkmcnt(4)
	v_mfma_f32_16x16x16_bf16 a[0:3], v[144:145], v[136:137], 0
	ds_read2st64_b64 v[148:151], v119 offset0:4 offset1:8
	ds_read2st64_b64 v[152:155], v120 offset0:4 offset1:8
	;; [unrolled: 1-line block ×3, first 2 shown]
	v_mfma_f32_16x16x16_bf16 a[4:7], v[144:145], v[138:139], 0
	s_add_i32 s25, s50, s61
	s_mul_hi_i32 s29, s25, s33
	s_mul_i32 s25, s25, s33
	s_waitcnt lgkmcnt(3)
	v_mfma_f32_16x16x16_bf16 a[8:11], v[144:145], v[140:141], 0
	s_add_u32 s28, s25, s45
	s_addc_u32 s29, s29, s56
	s_lshl_b64 s[28:29], s[28:29], 15
	v_mfma_f32_16x16x16_bf16 a[12:15], v[144:145], v[142:143], 0
	ds_read2st64_b64 v[144:147], v117 offset0:4 offset1:8
	s_waitcnt lgkmcnt(0)
	v_mfma_f32_16x16x16_bf16 a[0:3], v[160:161], v[144:145], a[0:3]
	v_mfma_f32_16x16x16_bf16 a[4:7], v[160:161], v[148:149], a[4:7]
	;; [unrolled: 1-line block ×8, first 2 shown]
	ds_read_b64 v[160:161], v117 offset:6144
	ds_read_b64 v[162:163], v118 offset:40960
	;; [unrolled: 1-line block ×8, first 2 shown]
	s_waitcnt lgkmcnt(5)
	v_mfma_f32_16x16x16_bf16 a[16:19], v[166:167], v[136:137], 0
	v_mfma_f32_16x16x16_bf16 a[20:23], v[166:167], v[138:139], 0
	ds_read2st64_b64 v[136:139], v114 offset1:8
	v_mfma_f32_16x16x16_bf16 a[24:27], v[166:167], v[140:141], 0
	v_mfma_f32_16x16x16_bf16 a[28:31], v[166:167], v[142:143], 0
	ds_read2st64_b64 v[140:143], v115 offset1:8
	v_mfma_f32_16x16x16_bf16 a[16:19], v[162:163], v[144:145], a[16:19]
	s_waitcnt lgkmcnt(1)
	v_mov_b32_e32 v144, v136
	v_mov_b32_e32 v145, v137
	v_mfma_f32_16x16x16_bf16 a[20:23], v[162:163], v[148:149], a[20:23]
	v_lshl_add_u64 v[148:149], v[70:71], 0, s[28:29]
	v_mfma_f32_16x16x16_bf16 a[24:27], v[162:163], v[152:153], a[24:27]
	v_mfma_f32_16x16x16_bf16 a[28:31], v[162:163], v[156:157], a[28:31]
	;; [unrolled: 1-line block ×3, first 2 shown]
	s_waitcnt lgkmcnt(0)
	v_mov_b32_e32 v146, v140
	v_mov_b32_e32 v147, v141
	;; [unrolled: 1-line block ×3, first 2 shown]
	v_mfma_f32_16x16x16_bf16 a[32:35], v[174:175], v[150:151], a[20:23]
	v_mov_b32_e32 v141, v139
	ds_read2st64_b64 v[136:139], v114 offset0:16 offset1:24
	global_store_dwordx4 v[148:149], v[144:147], off
	v_mfma_f32_16x16x16_bf16 a[24:27], v[174:175], v[154:155], a[24:27]
	ds_read2st64_b64 v[144:147], v115 offset0:16 offset1:24
	v_add_co_u32_e32 v150, vcc, s21, v148
	v_mfma_f32_16x16x16_bf16 a[28:31], v[174:175], v[158:159], a[28:31]
	s_nop 0
	v_addc_co_u32_e32 v151, vcc, 0, v149, vcc
	global_store_dwordx4 v[150:151], v[140:143], off offset:-4096
	v_mfma_f32_16x16x16_bf16 a[0:3], v[164:165], v[160:161], a[0:3]
	s_waitcnt lgkmcnt(1)
	v_mov_b32_e32 v140, v136
	v_add_co_u32_e32 v136, vcc, s62, v148
	v_mfma_f32_16x16x16_bf16 a[4:7], v[164:165], v[168:169], a[4:7]
	v_mov_b32_e32 v141, v137
	v_addc_co_u32_e32 v137, vcc, 0, v149, vcc
	v_mfma_f32_16x16x16_bf16 a[8:11], v[164:165], v[170:171], a[8:11]
	s_waitcnt lgkmcnt(0)
	v_mov_b32_e32 v142, v144
	v_mov_b32_e32 v143, v145
	;; [unrolled: 1-line block ×3, first 2 shown]
	v_mfma_f32_16x16x16_bf16 a[12:15], v[164:165], v[172:173], a[12:15]
	v_mov_b32_e32 v145, v139
	s_and_b64 vcc, exec, s[0:1]
	global_store_dwordx4 v[150:151], v[140:143], off
	v_mfma_f32_16x16x16_bf16 a[20:23], v[176:177], v[160:161], a[16:19]
	global_store_dwordx4 v[136:137], v[144:147], off
	v_mfma_f32_16x16x16_bf16 a[16:19], v[176:177], v[168:169], a[32:35]
	v_mfma_f32_16x16x16_bf16 a[24:27], v[176:177], v[170:171], a[24:27]
	;; [unrolled: 1-line block ×3, first 2 shown]
	s_cbranch_vccnz .LBB38_6
; %bb.16:                               ;   in Loop: Header=BB38_7 Depth=1
	v_lshrrev_b32_e32 v135, 3, v133
	v_and_b32_e32 v135, 6, v135
	v_xor_b32_e32 v134, v135, v134
	v_lshlrev_b32_e32 v134, 2, v134
	v_and_b32_e32 v133, 8, v133
	v_xor_b32_e32 v136, 0x440, v134
	v_cmp_eq_u32_e32 vcc, 0, v133
	s_barrier
	s_nop 0
	v_cndmask_b32_e32 v133, v136, v134, vcc
	v_lshl_or_b32 v133, v135, 10, v133
	s_waitcnt vmcnt(5)
	v_perm_b32 v134, v30, v26, s59
	s_waitcnt vmcnt(4)
	v_perm_b32 v135, v22, v18, s59
	ds_write2st64_b32 v133, v134, v135 offset0:128 offset1:160
	v_xor_b32_e32 v134, 8, v133
	v_perm_b32 v26, v30, v26, s60
	v_perm_b32 v18, v22, v18, s60
	v_add_u32_e32 v22, 0x80, v134
	ds_write2st64_b32 v22, v26, v18 offset0:128 offset1:160
	v_xor_b32_e32 v18, 16, v133
	v_perm_b32 v22, v31, v27, s59
	v_perm_b32 v26, v23, v19, s59
	ds_write2st64_b32 v18, v22, v26 offset0:129 offset1:161
	v_xor_b32_e32 v18, 24, v133
	v_perm_b32 v22, v31, v27, s60
	v_perm_b32 v19, v23, v19, s60
	v_add_u32_e32 v18, 0x80, v18
	ds_write2st64_b32 v18, v22, v19 offset0:129 offset1:161
	v_xor_b32_e32 v18, 32, v133
	v_perm_b32 v19, v32, v28, s59
	;; [unrolled: 9-line block ×3, first 2 shown]
	v_perm_b32 v20, v25, v21, s59
	ds_write2st64_b32 v18, v19, v20 offset0:131 offset1:163
	v_xor_b32_e32 v18, 56, v133
	v_perm_b32 v19, v33, v29, s60
	v_perm_b32 v20, v25, v21, s60
	v_add_u32_e32 v18, 0x80, v18
	ds_write2st64_b32 v18, v19, v20 offset0:131 offset1:163
	ds_write_b64 v132, v[14:15] offset:49152
	v_xor_b32_e32 v14, 8, v132
	ds_write_b64 v14, v[16:17] offset:49152
	ds_write_b64 v132, v[10:11] offset:57344
	;; [unrolled: 1-line block ×4, first 2 shown]
	v_xor_b32_e32 v6, 8, v131
	ds_write_b64 v6, v[8:9] offset:49152
	ds_write_b64 v131, v[2:3] offset:57344
	;; [unrolled: 1-line block ×3, first 2 shown]
	s_branch .LBB38_6
.LBB38_17:
	s_lshl_b32 s3, s49, 6
	s_sub_i32 s54, s54, s3
	s_cmp_gt_i32 s54, 0
	v_or_b32_e32 v18, s2, v76
	s_cbranch_scc1 .LBB38_19
; %bb.18:
	s_ashr_i32 s29, s45, 31
	v_or_b32_e32 v2, s2, v76
	s_cbranch_execz .LBB38_20
	s_branch .LBB38_100
.LBB38_19:
                                        ; implicit-def: $vgpr2
                                        ; implicit-def: $sgpr28_sgpr29
.LBB38_20:
	s_add_i32 s28, s3, s36
	s_ashr_i32 s3, s28, 31
	s_cmpk_lg_i32 s19, 0x80
	s_cselect_b64 s[40:41], -1, 0
	s_and_b64 vcc, exec, s[40:41]
	s_cbranch_vccz .LBB38_22
; %bb.21:
	s_mul_hi_i32 s0, s28, s18
	s_mul_i32 s1, s28, s18
	s_ashr_i32 s18, s53, 31
	s_add_u32 s42, s1, s53
	s_addc_u32 s43, s0, s18
	s_cbranch_execz .LBB38_23
	s_branch .LBB38_24
.LBB38_22:
                                        ; implicit-def: $sgpr42_sgpr43
.LBB38_23:
	s_mul_i32 s1, s53, s16
	s_mul_hi_i32 s0, s53, s16
	s_add_u32 s42, s1, s28
	s_addc_u32 s43, s0, s3
.LBB38_24:
	s_add_i32 s16, s49, s50
	s_ashr_i32 s29, s45, 31
	s_add_u32 s0, s52, s28
	v_lshlrev_b32_e32 v6, 6, v1
	v_lshlrev_b32_e32 v26, 2, v76
	s_addc_u32 s1, s51, s3
	s_mov_b32 s3, 0x7060302
	v_or_b32_e32 v9, v6, v26
	v_xor_b32_e32 v7, v1, v26
	v_perm_b32 v3, v65, v64, s3
	v_perm_b32 v2, v63, v62, s3
	;; [unrolled: 1-line block ×4, first 2 shown]
	v_lshlrev_b32_e32 v9, 1, v9
	v_xor_b32_e32 v8, v79, v26
	ds_write2st64_b64 v9, v[2:3], v[4:5] offset0:32 offset1:48
	v_lshlrev_b32_e32 v7, 1, v7
	v_lshlrev_b32_e32 v9, 8, v76
	v_or_b32_e32 v10, v7, v9
	v_lshlrev_b32_e32 v8, 1, v8
	ds_write_b64 v10, v[2:3]
	v_or_b32_e32 v2, v8, v9
	v_or_b32_e32 v9, 16, v76
	v_lshlrev_b32_e32 v25, 2, v9
	v_or_b32_e32 v10, v6, v25
	ds_write_b64 v2, v[4:5]
	v_perm_b32 v3, v57, v56, s3
	v_perm_b32 v2, v55, v54, s3
	;; [unrolled: 1-line block ×4, first 2 shown]
	v_lshlrev_b32_e32 v10, 1, v10
	v_lshlrev_b32_e32 v9, 8, v9
	ds_write2st64_b64 v10, v[2:3], v[4:5] offset0:32 offset1:48
	v_or_b32_e32 v10, v7, v9
	ds_write_b64 v10, v[2:3]
	v_or_b32_e32 v2, v8, v9
	v_or_b32_e32 v9, 32, v76
	v_lshlrev_b32_e32 v24, 2, v9
	v_or_b32_e32 v10, v6, v24
	ds_write_b64 v2, v[4:5]
	v_perm_b32 v3, v49, v48, s3
	v_perm_b32 v2, v47, v46, s3
	;; [unrolled: 1-line block ×4, first 2 shown]
	v_lshlrev_b32_e32 v10, 1, v10
	v_lshlrev_b32_e32 v9, 8, v9
	s_lshl_b64 s[30:31], s[0:1], 8
	ds_write2st64_b64 v10, v[2:3], v[4:5] offset0:32 offset1:48
	v_or_b32_e32 v10, v7, v9
	s_add_u32 s0, s6, s30
	ds_write_b64 v10, v[2:3]
	v_or_b32_e32 v2, v8, v9
	s_addc_u32 s1, s7, s31
	ds_write_b64 v2, v[4:5]
	v_perm_b32 v3, v41, v40, s3
	v_perm_b32 v2, v39, v38, s3
	;; [unrolled: 1-line block ×4, first 2 shown]
	v_or_b32_e32 v9, 48, v76
	s_mul_hi_i32 s3, s16, s17
	s_mul_i32 s16, s16, s17
	v_lshlrev_b32_e32 v21, 2, v9
	s_add_u32 s6, s16, s45
	v_or_b32_e32 v6, v6, v21
	s_addc_u32 s7, s3, s29
	v_lshlrev_b32_e32 v6, 1, v6
	s_ashr_i32 s3, s2, 31
	s_lshl_b64 s[6:7], s[6:7], 15
	ds_write2st64_b64 v6, v[2:3], v[4:5] offset0:32 offset1:48
	v_lshlrev_b32_e32 v6, 8, v9
	s_add_u32 s6, s38, s6
	v_or_b32_e32 v7, v7, v6
	s_addc_u32 s7, s39, s7
	s_lshl_b64 s[2:3], s[2:3], 8
	ds_write_b64 v7, v[2:3]
	v_or_b32_e32 v2, v8, v6
	s_add_u32 s2, s6, s2
	v_lshlrev_b32_e32 v3, 1, v76
	ds_write_b64 v2, v[4:5]
	v_lshrrev_b32_e32 v2, 4, v0
	s_addc_u32 s3, s7, s3
	v_or_b32_e32 v4, 1, v3
	v_lshlrev_b32_e32 v10, 4, v76
	v_mov_b32_e32 v11, 0
	v_xor_b32_e32 v3, v2, v3
	v_xor_b32_e32 v6, v4, v2
	v_lshl_add_u64 v[12:13], s[2:3], 0, v[10:11]
	v_lshlrev_b32_e32 v10, 8, v2
	v_lshl_or_b32 v16, v3, 3, v10
	v_lshl_or_b32 v17, v6, 3, v10
	s_waitcnt lgkmcnt(0)
	s_barrier
	ds_read2st64_b64 v[2:5], v16 offset1:8
	ds_read2st64_b64 v[6:9], v17 offset1:8
	v_lshl_add_u64 v[14:15], v[12:13], 0, v[10:11]
	s_movk_i32 s2, 0x2000
	s_cmp_lg_u32 s54, 64
	s_waitcnt lgkmcnt(1)
	v_mov_b32_e32 v10, v2
	v_mov_b32_e32 v11, v3
	s_waitcnt lgkmcnt(0)
	v_mov_b32_e32 v12, v6
	v_mov_b32_e32 v13, v7
	global_store_dwordx4 v[14:15], v[10:13], off
	v_mov_b32_e32 v6, v4
	v_mov_b32_e32 v7, v5
	ds_read2st64_b64 v[2:5], v16 offset0:16 offset1:24
	ds_read2st64_b64 v[10:13], v17 offset0:16 offset1:24
	v_add_co_u32_e32 v16, vcc, s2, v14
	s_cselect_b64 s[6:7], -1, 0
	s_nop 0
	v_addc_co_u32_e32 v17, vcc, 0, v15, vcc
	global_store_dwordx4 v[16:17], v[6:9], off offset:-4096
	v_lshl_or_b32 v19, v72, 3, v78
	s_mov_b32 s24, 0
	s_waitcnt lgkmcnt(1)
	v_mov_b32_e32 v6, v2
	v_add_co_u32_e32 v2, vcc, 0x3000, v14
	v_mov_b32_e32 v7, v3
	s_nop 0
	v_addc_co_u32_e32 v3, vcc, 0, v15, vcc
	s_waitcnt lgkmcnt(0)
	v_mov_b32_e32 v8, v10
	v_mov_b32_e32 v9, v11
	;; [unrolled: 1-line block ×4, first 2 shown]
	v_or_b32_e32 v22, 32, v19
	v_and_b32_e32 v20, 56, v77
	s_and_b64 vcc, exec, s[6:7]
	global_store_dwordx4 v[16:17], v[6:9], off
	global_store_dwordx4 v[2:3], v[10:13], off
	s_cbranch_vccz .LBB38_30
; %bb.25:
	s_mov_b32 s25, s24
	s_mov_b32 s26, s24
	;; [unrolled: 1-line block ×3, first 2 shown]
	v_mov_b64_e32 v[6:7], s[24:25]
	v_mov_b64_e32 v[8:9], s[26:27]
	;; [unrolled: 1-line block ×3, first 2 shown]
	v_cmp_gt_i32_e32 vcc, s54, v19
	v_mov_b64_e32 v[4:5], v[8:9]
	s_and_saveexec_b64 s[2:3], vcc
	s_cbranch_execz .LBB38_27
; %bb.26:
	v_lshlrev_b32_e32 v2, 8, v19
	v_mov_b32_e32 v3, 0
	v_lshl_add_u64 v[4:5], s[0:1], 0, v[2:3]
	v_lshlrev_b32_e32 v2, 1, v20
	v_lshl_add_u64 v[10:11], v[4:5], 0, v[2:3]
	global_load_dwordx4 v[6:9], v[10:11], off
	global_load_dwordx4 v[2:5], v[10:11], off offset:128
.LBB38_27:
	s_or_b64 exec, exec, s[2:3]
	s_mov_b32 s25, s24
	s_mov_b32 s26, s24
	;; [unrolled: 1-line block ×3, first 2 shown]
	v_mov_b64_e32 v[14:15], s[24:25]
	v_mov_b64_e32 v[16:17], s[26:27]
	v_mov_b64_e32 v[10:11], v[14:15]
	v_cmp_gt_i32_e32 vcc, s54, v22
	v_lshlrev_b32_e32 v23, 7, v22
	v_mov_b64_e32 v[12:13], v[16:17]
	s_and_saveexec_b64 s[2:3], vcc
	s_cbranch_execz .LBB38_29
; %bb.28:
	v_lshlrev_b32_e32 v10, 1, v23
	v_mov_b32_e32 v11, 0
	v_lshl_add_u64 v[12:13], s[0:1], 0, v[10:11]
	v_lshlrev_b32_e32 v10, 1, v20
	v_lshl_add_u64 v[28:29], v[12:13], 0, v[10:11]
	global_load_dwordx4 v[14:17], v[28:29], off
	global_load_dwordx4 v[10:13], v[28:29], off offset:128
.LBB38_29:
	s_or_b64 exec, exec, s[2:3]
	v_lshrrev_b32_e32 v27, 3, v20
	v_lshlrev_b32_e32 v28, 3, v19
	v_or_b32_e32 v27, v28, v27
	v_lshlrev_b32_e32 v27, 4, v27
	v_and_b32_e32 v28, 0x78, v28
	v_xor_b32_e32 v27, v27, v28
	s_branch .LBB38_32
.LBB38_30:
                                        ; implicit-def: $vgpr27
                                        ; implicit-def: $vgpr23
                                        ; implicit-def: $vgpr6_vgpr7_vgpr8_vgpr9
                                        ; implicit-def: $vgpr2_vgpr3_vgpr4_vgpr5
                                        ; implicit-def: $vgpr14_vgpr15_vgpr16_vgpr17
                                        ; implicit-def: $vgpr10_vgpr11_vgpr12_vgpr13
	s_cbranch_execz .LBB38_32
; %bb.31:
	s_waitcnt vmcnt(0)
	v_lshlrev_b32_e32 v2, 1, v20
	v_lshl_or_b32 v23, v19, 8, v2
	s_and_b32 s1, s1, 0xffff
	s_mov_b32 s3, 0x20000
	s_movk_i32 s2, 0x4000
	v_lshl_or_b32 v27, v22, 8, v2
	s_movk_i32 s16, 0x80
	buffer_load_dwordx4 v[6:9], v23, s[0:3], 0 offen
	buffer_load_dwordx4 v[2:5], v23, s[0:3], s16 offen
	;; [unrolled: 1-line block ×4, first 2 shown]
	v_lshrrev_b32_e32 v23, 3, v20
	v_lshlrev_b32_e32 v27, 3, v19
	v_or_b32_e32 v23, v27, v23
	v_lshlrev_b32_e32 v23, 4, v23
	v_and_b32_e32 v27, 0x78, v27
	v_xor_b32_e32 v27, v23, v27
	v_lshlrev_b32_e32 v23, 7, v22
.LBB38_32:
	s_movk_i32 s0, 0x1000
	v_and_or_b32 v22, v23, s0, v27
	s_waitcnt vmcnt(1)
	ds_write_b64 v27, v[6:7] offset:49152
	v_xor_b32_e32 v6, 8, v27
	ds_write_b64 v6, v[8:9] offset:49152
	s_waitcnt vmcnt(0)
	ds_write_b64 v27, v[2:3] offset:57344
	ds_write_b64 v6, v[4:5] offset:57344
	;; [unrolled: 1-line block ×3, first 2 shown]
	v_xor_b32_e32 v2, 8, v22
	ds_write_b64 v2, v[16:17] offset:49152
	ds_write_b64 v22, v[10:11] offset:57344
	;; [unrolled: 1-line block ×3, first 2 shown]
	v_or_b32_e32 v2, v73, v76
	v_lshlrev_b32_e32 v2, 3, v2
	v_lshrrev_b32_e32 v3, 5, v74
	s_movk_i32 s0, 0xf8
	v_and_or_b32 v3, v2, s0, v3
	v_lshlrev_b32_e32 v7, 4, v3
	v_lshlrev_b32_e32 v27, 11, v72
	v_and_b32_e32 v8, 0x78, v2
	v_or_b32_e32 v10, 32, v7
	v_and_b32_e32 v6, 0x1000, v27
	v_lshrrev_b32_e32 v3, 1, v74
	v_xor_b32_e32 v10, v10, v8
	v_xor_b32_e32 v2, v7, v8
	v_and_b32_e32 v9, 8, v3
	v_or_b32_e32 v10, v10, v6
	v_or_b32_e32 v2, v2, v6
	v_xor_b32_e32 v33, v10, v9
	v_or_b32_e32 v10, 64, v7
	v_xor_b32_e32 v32, v2, v9
	v_xor_b32_e32 v10, v10, v8
	s_waitcnt lgkmcnt(0)
	s_barrier
	v_or_b32_e32 v13, v10, v6
	ds_read_b64 v[10:11], v32 offset:49152
	v_lshl_or_b32 v14, v75, 8, v26
	v_lshlrev_b32_e32 v28, 1, v14
	v_add_u32_e32 v12, 0x4000, v28
	ds_read2_b64 v[2:5], v12 offset1:16
	v_or_b32_e32 v7, 0x60, v7
	v_xor_b32_e32 v7, v7, v8
	v_or_b32_e32 v6, v7, v6
	v_xor_b32_e32 v66, v13, v9
	v_xor_b32_e32 v67, v6, v9
	ds_read_b64 v[22:23], v33 offset:49152
	ds_read_b64 v[68:69], v66 offset:49152
	;; [unrolled: 1-line block ×3, first 2 shown]
	s_waitcnt lgkmcnt(3)
	v_mfma_f32_16x16x16_bf16 a[0:3], v[10:11], v[2:3], 0
	ds_read2_b64 v[6:9], v12 offset0:32 offset1:48
	s_lshl_b64 s[0:1], s[42:43], 8
	s_add_u32 s4, s4, s0
	v_mfma_f32_16x16x16_bf16 a[4:7], v[10:11], v[4:5], 0
	ds_read2st64_b64 v[2:5], v28 offset0:36 offset1:40
	s_addc_u32 s5, s5, s1
	s_add_i32 s2, s37, -1
	s_waitcnt lgkmcnt(1)
	v_mfma_f32_16x16x16_bf16 a[8:11], v[10:11], v[6:7], 0
	v_or_b32_e32 v6, 64, v14
	v_lshlrev_b32_e32 v29, 1, v6
	s_add_i32 s0, s47, s46
	s_waitcnt lgkmcnt(0)
	v_mfma_f32_16x16x16_bf16 a[0:3], v[22:23], v[2:3], a[0:3]
	v_or_b32_e32 v2, 0x80, v14
	v_lshlrev_b32_e32 v30, 1, v2
	v_or_b32_e32 v2, 0xc0, v14
	v_mfma_f32_16x16x16_bf16 a[12:15], v[10:11], v[8:9], 0
	ds_read2st64_b64 v[6:9], v29 offset0:36 offset1:40
	v_lshlrev_b32_e32 v31, 1, v2
	ds_read2st64_b64 v[10:13], v30 offset0:36 offset1:40
	ds_read2st64_b64 v[14:17], v31 offset0:36 offset1:40
	s_add_i32 s21, s0, s48
	s_mul_i32 s0, s45, s23
	s_mul_hi_u32 s1, s45, s22
	s_ashr_i32 s3, s2, 31
	s_mul_i32 s16, s2, s15
	s_mul_hi_u32 s17, s2, s14
	s_waitcnt lgkmcnt(2)
	v_mfma_f32_16x16x16_bf16 a[4:7], v[22:23], v[6:7], a[4:7]
	s_add_i32 s0, s1, s0
	s_mul_i32 s1, s29, s22
	s_add_i32 s16, s17, s16
	s_mul_i32 s3, s3, s14
	s_waitcnt lgkmcnt(1)
	v_mfma_f32_16x16x16_bf16 a[8:11], v[22:23], v[10:11], a[8:11]
	s_add_i32 s1, s0, s1
	s_add_i32 s3, s16, s3
	s_lshl_b64 s[16:17], s[20:21], 2
	s_waitcnt lgkmcnt(0)
	v_mfma_f32_16x16x16_bf16 a[12:15], v[22:23], v[14:15], a[12:15]
	s_mul_i32 s0, s45, s22
	s_add_u32 s10, s10, s16
	s_addc_u32 s11, s11, s17
	s_lshl_b64 s[0:1], s[0:1], 2
	v_mfma_f32_16x16x16_bf16 a[0:3], v[68:69], v[4:5], a[0:3]
	s_mul_i32 s2, s2, s14
	ds_read_b64 v[2:3], v28 offset:22528
	s_add_u32 s10, s10, s0
	v_mfma_f32_16x16x16_bf16 a[4:7], v[68:69], v[8:9], a[4:7]
	ds_read_b64 v[4:5], v29 offset:22528
	ds_read_b64 v[6:7], v30 offset:22528
	;; [unrolled: 1-line block ×3, first 2 shown]
	s_addc_u32 s11, s11, s1
	s_lshl_b64 s[0:1], s[2:3], 2
	v_mfma_f32_16x16x16_bf16 a[8:11], v[68:69], v[12:13], a[8:11]
	s_add_u32 s0, s10, s0
	s_addc_u32 s1, s11, s1
	s_load_dword s16, s[0:1], 0x0
	v_mfma_f32_16x16x16_bf16 a[12:15], v[68:69], v[16:17], a[12:15]
	s_and_b64 vcc, exec, s[40:41]
	s_waitcnt lgkmcnt(0)
	v_mfma_f32_16x16x16_bf16 a[0:3], v[70:71], v[2:3], a[0:3]
	v_mfma_f32_16x16x16_bf16 a[4:7], v[70:71], v[4:5], a[4:7]
	;; [unrolled: 1-line block ×4, first 2 shown]
	s_cbranch_vccz .LBB38_43
; %bb.33:
	v_lshlrev_b32_e32 v22, 1, v19
	s_and_b64 vcc, exec, s[6:7]
	s_cbranch_vccz .LBB38_44
; %bb.34:
	v_cmp_gt_i32_e32 vcc, s54, v22
	v_mov_b32_e32 v6, 0
	v_mov_b32_e32 v2, 0
	;; [unrolled: 1-line block ×5, first 2 shown]
	s_and_saveexec_b64 s[0:1], vcc
	s_cbranch_execz .LBB38_36
; %bb.35:
	v_mad_i64_i32 v[2:3], s[2:3], s19, v22, 0
	v_lshl_add_u64 v[2:3], v[2:3], 1, s[4:5]
	v_lshlrev_b32_e32 v4, 1, v20
	v_mov_b32_e32 v5, 0
	v_lshl_add_u64 v[2:3], v[2:3], 0, v[4:5]
	global_load_dwordx4 v[2:5], v[2:3], off
.LBB38_36:
	s_or_b64 exec, exec, s[0:1]
	v_or_b32_e32 v23, 1, v22
	v_cmp_gt_i32_e64 s[0:1], s54, v23
	v_mov_b32_e32 v7, 0
	v_mov_b32_e32 v8, 0
	;; [unrolled: 1-line block ×3, first 2 shown]
	s_and_saveexec_b64 s[2:3], s[0:1]
	s_cbranch_execz .LBB38_38
; %bb.37:
	v_mad_i64_i32 v[6:7], s[20:21], s19, v23, 0
	v_lshl_add_u64 v[6:7], v[6:7], 1, s[4:5]
	v_lshlrev_b32_e32 v8, 1, v20
	v_mov_b32_e32 v9, 0
	v_lshl_add_u64 v[6:7], v[6:7], 0, v[8:9]
	global_load_dwordx4 v[6:9], v[6:7], off
.LBB38_38:
	s_or_b64 exec, exec, s[2:3]
	v_mov_b32_e32 v17, 0
	v_mov_b32_e32 v10, 0
	;; [unrolled: 1-line block ×5, first 2 shown]
	s_and_saveexec_b64 s[2:3], vcc
	s_cbranch_execz .LBB38_40
; %bb.39:
	v_mad_i64_i32 v[10:11], s[20:21], s19, v22, 0
	v_lshl_add_u64 v[10:11], v[10:11], 1, s[4:5]
	v_lshlrev_b32_e32 v12, 1, v20
	v_mov_b32_e32 v13, 0
	v_lshl_add_u64 v[10:11], v[10:11], 0, v[12:13]
	global_load_dwordx4 v[10:13], v[10:11], off offset:128
.LBB38_40:
	s_or_b64 exec, exec, s[2:3]
	v_mov_b32_e32 v16, 0
	v_mov_b32_e32 v15, 0
	;; [unrolled: 1-line block ×3, first 2 shown]
	s_and_saveexec_b64 s[2:3], s[0:1]
	s_cbranch_execz .LBB38_42
; %bb.41:
	v_mad_i64_i32 v[14:15], s[0:1], s19, v23, 0
	v_lshl_add_u64 v[14:15], v[14:15], 1, s[4:5]
	v_lshlrev_b32_e32 v16, 1, v20
	v_mov_b32_e32 v17, 0
	v_lshl_add_u64 v[14:15], v[14:15], 0, v[16:17]
	global_load_dwordx4 v[14:17], v[14:15], off offset:128
.LBB38_42:
	s_or_b64 exec, exec, s[2:3]
	s_branch .LBB38_46
.LBB38_43:
                                        ; implicit-def: $vgpr5
                                        ; implicit-def: $vgpr9
                                        ; implicit-def: $vgpr13
                                        ; implicit-def: $vgpr17
	v_lshrrev_b32_e32 v68, 2, v74
	s_branch .LBB38_47
.LBB38_44:
                                        ; implicit-def: $vgpr5
                                        ; implicit-def: $vgpr9
                                        ; implicit-def: $vgpr13
                                        ; implicit-def: $vgpr17
	s_cbranch_execz .LBB38_46
; %bb.45:
	s_waitcnt vmcnt(0)
	v_mad_u64_u32 v[2:3], s[0:1], v22, s19, v[20:21]
	v_lshlrev_b32_e32 v22, 1, v2
	s_lshl_b32 s2, s19, 7
	s_and_b32 s1, s5, 0xffff
	s_mov_b32 s3, 0x20000
	s_mov_b32 s0, s4
	v_add_lshl_u32 v23, v2, s19, 1
	s_movk_i32 s17, 0x80
	buffer_load_dwordx4 v[2:5], v22, s[0:3], 0 offen
	buffer_load_dwordx4 v[10:13], v22, s[0:3], s17 offen
	;; [unrolled: 1-line block ×4, first 2 shown]
.LBB38_46:
	v_lshrrev_b32_e32 v68, 2, v74
	s_cbranch_execnz .LBB38_59
.LBB38_47:
	s_and_b64 vcc, exec, s[6:7]
	s_cbranch_vccz .LBB38_57
; %bb.48:
	s_waitcnt vmcnt(0)
	v_lshlrev_b32_e32 v7, 1, v19
	v_cmp_gt_i32_e32 vcc, s54, v7
	v_mov_b32_e32 v6, 0
	v_lshlrev_b32_e32 v14, 9, v19
	v_mov_b32_e32 v2, 0
	v_mov_b32_e32 v3, 0
	;; [unrolled: 1-line block ×4, first 2 shown]
	s_and_saveexec_b64 s[0:1], vcc
	s_cbranch_execz .LBB38_50
; %bb.49:
	v_mov_b32_e32 v15, 0
	v_lshl_add_u64 v[2:3], s[4:5], 0, v[14:15]
	v_lshlrev_b32_e32 v4, 1, v20
	v_mov_b32_e32 v5, v15
	v_lshl_add_u64 v[2:3], v[2:3], 0, v[4:5]
	global_load_dwordx4 v[2:5], v[2:3], off
.LBB38_50:
	s_or_b64 exec, exec, s[0:1]
	v_or_b32_e32 v7, 1, v7
	v_cmp_gt_i32_e64 s[0:1], s54, v7
	v_lshlrev_b32_e32 v22, 8, v7
	v_mov_b32_e32 v7, 0
	v_mov_b32_e32 v8, 0
	;; [unrolled: 1-line block ×3, first 2 shown]
	s_and_saveexec_b64 s[2:3], s[0:1]
	s_cbranch_execz .LBB38_52
; %bb.51:
	v_mov_b32_e32 v23, 0
	v_lshl_add_u64 v[6:7], s[4:5], 0, v[22:23]
	v_lshlrev_b32_e32 v8, 1, v20
	v_mov_b32_e32 v9, v23
	v_lshl_add_u64 v[6:7], v[6:7], 0, v[8:9]
	global_load_dwordx4 v[6:9], v[6:7], off
.LBB38_52:
	s_or_b64 exec, exec, s[2:3]
	v_mov_b32_e32 v17, 0
	v_mov_b32_e32 v10, 0
	;; [unrolled: 1-line block ×5, first 2 shown]
	s_and_saveexec_b64 s[2:3], vcc
	s_cbranch_execz .LBB38_54
; %bb.53:
	v_mov_b32_e32 v15, 0
	v_lshl_add_u64 v[10:11], s[4:5], 0, v[14:15]
	v_lshlrev_b32_e32 v14, 1, v20
	v_lshl_add_u64 v[10:11], v[10:11], 0, v[14:15]
	global_load_dwordx4 v[10:13], v[10:11], off offset:128
.LBB38_54:
	s_or_b64 exec, exec, s[2:3]
	v_mov_b32_e32 v16, 0
	v_mov_b32_e32 v15, 0
	;; [unrolled: 1-line block ×3, first 2 shown]
	s_and_saveexec_b64 s[2:3], s[0:1]
	s_cbranch_execz .LBB38_56
; %bb.55:
	v_mov_b32_e32 v23, 0
	v_lshl_add_u64 v[14:15], s[4:5], 0, v[22:23]
	v_lshlrev_b32_e32 v22, 1, v20
	v_lshl_add_u64 v[14:15], v[14:15], 0, v[22:23]
	global_load_dwordx4 v[14:17], v[14:15], off offset:128
.LBB38_56:
	s_or_b64 exec, exec, s[2:3]
	s_branch .LBB38_59
.LBB38_57:
                                        ; implicit-def: $vgpr5
                                        ; implicit-def: $vgpr9
                                        ; implicit-def: $vgpr13
                                        ; implicit-def: $vgpr17
	s_cbranch_execz .LBB38_59
; %bb.58:
	s_waitcnt vmcnt(0)
	v_lshlrev_b32_e32 v2, 1, v20
	v_lshl_or_b32 v20, v19, 9, v2
	s_and_b32 s5, s5, 0xffff
	s_mov_b32 s7, 0x20000
	s_movk_i32 s6, 0x4000
	s_movk_i32 s0, 0x80
	buffer_load_dwordx4 v[2:5], v20, s[4:7], 0 offen
	buffer_load_dwordx4 v[6:9], v20, s[4:7], 0 offen offset:256
	buffer_load_dwordx4 v[10:13], v20, s[4:7], s0 offen
	buffer_load_dwordx4 v[14:17], v20, s[4:7], s0 offen offset:256
.LBB38_59:
	ds_read_b64 v[22:23], v32 offset:57344
	v_add_u32_e32 v20, 0x6000, v28
	ds_read2_b64 v[74:77], v20 offset1:16
	ds_read_b64 v[32:33], v33 offset:57344
	ds_read_b64 v[70:71], v66 offset:57344
	;; [unrolled: 1-line block ×3, first 2 shown]
	ds_read2st64_b64 v[78:81], v28 offset0:52 offset1:56
	v_and_b32_e32 v69, 1, v0
	v_cmp_eq_u32_e32 vcc, 0, v69
	s_mov_b32 s0, 0x1000504
	s_mov_b32 s1, 0x3020706
	s_waitcnt lgkmcnt(4)
	v_mfma_f32_16x16x16_bf16 a[0:3], v[22:23], v[74:75], a[0:3]
	v_mfma_f32_16x16x16_bf16 a[4:7], v[22:23], v[76:77], a[4:7]
	ds_read2_b64 v[74:77], v20 offset0:32 offset1:48
	v_and_b32_e32 v20, 6, v0
	v_xor_b32_e32 v19, v19, v20
	s_waitcnt lgkmcnt(0)
	v_mfma_f32_16x16x16_bf16 a[8:11], v[22:23], v[74:75], a[8:11]
	v_lshlrev_b32_e32 v19, 2, v19
	v_mfma_f32_16x16x16_bf16 a[12:15], v[22:23], v[76:77], a[12:15]
	ds_read2st64_b64 v[74:77], v29 offset0:52 offset1:56
	ds_read2st64_b64 v[82:85], v30 offset0:52 offset1:56
	;; [unrolled: 1-line block ×3, first 2 shown]
	s_waitcnt lgkmcnt(2)
	v_mfma_f32_16x16x16_bf16 a[4:7], v[32:33], v[74:75], a[4:7]
	v_xor_b32_e32 v74, 0x440, v19
	v_cndmask_b32_e32 v19, v74, v19, vcc
	v_lshl_or_b32 v19, v20, 10, v19
	v_mfma_f32_16x16x16_bf16 a[0:3], v[32:33], v[78:79], a[0:3]
	s_waitcnt vmcnt(0)
	v_perm_b32 v20, v2, v6, s0
	ds_read_b64 v[22:23], v28 offset:30720
	ds_read_b64 v[78:79], v29 offset:30720
	;; [unrolled: 1-line block ×4, first 2 shown]
	v_perm_b32 v2, v2, v6, s1
	s_waitcnt lgkmcnt(5)
	v_mfma_f32_16x16x16_bf16 a[8:11], v[32:33], v[82:83], a[8:11]
	v_perm_b32 v6, v10, v14, s1
	s_waitcnt lgkmcnt(4)
	v_mfma_f32_16x16x16_bf16 a[12:15], v[32:33], v[86:87], a[12:15]
	v_perm_b32 v32, v10, v14, s0
	ds_write2st64_b32 v19, v20, v32 offset0:128 offset1:160
	v_xor_b32_e32 v20, 8, v19
	v_add_u32_e32 v10, 0x80, v20
	ds_write2st64_b32 v10, v2, v6 offset0:128 offset1:160
	v_xor_b32_e32 v2, 16, v19
	v_perm_b32 v6, v3, v7, s0
	v_perm_b32 v10, v11, v15, s0
	v_mfma_f32_16x16x16_bf16 a[0:3], v[70:71], v[80:81], a[0:3]
	ds_write2st64_b32 v2, v6, v10 offset0:129 offset1:161
	v_xor_b32_e32 v2, 24, v19
	v_perm_b32 v3, v3, v7, s1
	v_mfma_f32_16x16x16_bf16 a[4:7], v[70:71], v[76:77], a[4:7]
	v_perm_b32 v6, v11, v15, s1
	v_add_u32_e32 v2, 0x80, v2
	ds_write2st64_b32 v2, v3, v6 offset0:129 offset1:161
	v_mfma_f32_16x16x16_bf16 a[16:19], v[70:71], v[84:85], a[8:11]
	v_xor_b32_e32 v2, 32, v19
	v_perm_b32 v3, v4, v8, s0
	v_perm_b32 v6, v12, v16, s0
	v_mfma_f32_16x16x16_bf16 a[20:23], v[70:71], v[88:89], a[12:15]
	ds_write2st64_b32 v2, v3, v6 offset0:130 offset1:162
	v_xor_b32_e32 v2, 40, v19
	v_perm_b32 v3, v4, v8, s1
	s_waitcnt lgkmcnt(8)
	v_mfma_f32_16x16x16_bf16 a[12:15], v[66:67], v[22:23], a[0:3]
	v_perm_b32 v4, v12, v16, s1
	v_add_u32_e32 v2, 0x80, v2
	ds_write2st64_b32 v2, v3, v4 offset0:130 offset1:162
	s_waitcnt lgkmcnt(8)
	v_mfma_f32_16x16x16_bf16 a[8:11], v[66:67], v[78:79], a[4:7]
	v_xor_b32_e32 v2, 48, v19
	v_perm_b32 v3, v5, v9, s0
	v_perm_b32 v4, v13, v17, s0
	s_waitcnt lgkmcnt(7)
	v_mfma_f32_16x16x16_bf16 a[4:7], v[66:67], v[90:91], a[16:19]
	ds_write2st64_b32 v2, v3, v4 offset0:131 offset1:163
	v_xor_b32_e32 v2, 56, v19
	v_and_or_b32 v23, v68, 12, v73
	s_waitcnt lgkmcnt(7)
	v_mfma_f32_16x16x16_bf16 a[0:3], v[66:67], v[92:93], a[20:23]
	v_perm_b32 v3, v5, v9, s1
	v_perm_b32 v4, v13, v17, s1
	v_add_u32_e32 v2, 0x80, v2
	v_cmp_gt_i32_e32 vcc, s54, v23
	v_mov_b32_e32 v16, 0
	v_mov_b32_e32 v20, 0
	ds_write2st64_b32 v2, v3, v4 offset0:131 offset1:163
	s_and_saveexec_b64 s[0:1], vcc
	s_cbranch_execz .LBB38_61
; %bb.60:
	v_add_u32_e32 v2, s28, v23
	v_ashrrev_i32_e32 v3, 31, v2
	v_mul_lo_u32 v4, v3, s14
	v_mul_lo_u32 v5, v2, s15
	v_mad_u64_u32 v[2:3], s[2:3], v2, s14, 0
	v_add3_u32 v3, v3, v5, v4
	v_lshl_add_u64 v[2:3], v[2:3], 2, s[10:11]
	global_load_dword v2, v[2:3], off
	s_waitcnt vmcnt(0)
	v_sub_f32_e32 v2, s16, v2
	v_exp_f32_e32 v20, v2
.LBB38_61:
	s_or_b64 exec, exec, s[0:1]
	v_or_b32_e32 v8, 1, v23
	v_cmp_gt_i32_e64 s[0:1], s54, v8
	s_and_saveexec_b64 s[2:3], s[0:1]
	s_cbranch_execz .LBB38_63
; %bb.62:
	v_add_u32_e32 v2, s28, v8
	v_ashrrev_i32_e32 v3, 31, v2
	v_mul_lo_u32 v4, v3, s14
	v_mul_lo_u32 v5, v2, s15
	v_mad_u64_u32 v[2:3], s[4:5], v2, s14, 0
	v_add3_u32 v3, v3, v5, v4
	v_lshl_add_u64 v[2:3], v[2:3], 2, s[10:11]
	global_load_dword v2, v[2:3], off
	s_waitcnt vmcnt(0)
	v_sub_f32_e32 v2, s16, v2
	v_exp_f32_e32 v16, v2
.LBB38_63:
	s_or_b64 exec, exec, s[2:3]
	v_or_b32_e32 v9, 2, v23
	v_cmp_gt_i32_e64 s[2:3], s54, v9
	v_mov_b32_e32 v17, 0
	v_mov_b32_e32 v22, 0
	s_and_saveexec_b64 s[4:5], s[2:3]
	s_cbranch_execz .LBB38_65
; %bb.64:
	v_add_u32_e32 v2, s28, v9
	v_ashrrev_i32_e32 v3, 31, v2
	v_mul_lo_u32 v4, v3, s14
	v_mul_lo_u32 v5, v2, s15
	v_mad_u64_u32 v[2:3], s[6:7], v2, s14, 0
	v_add3_u32 v3, v3, v5, v4
	v_lshl_add_u64 v[2:3], v[2:3], 2, s[10:11]
	global_load_dword v2, v[2:3], off
	s_waitcnt vmcnt(0)
	v_sub_f32_e32 v2, s16, v2
	v_exp_f32_e32 v22, v2
.LBB38_65:
	s_or_b64 exec, exec, s[4:5]
	v_or_b32_e32 v32, 3, v23
	v_cmp_gt_i32_e64 s[4:5], s54, v32
	s_and_saveexec_b64 s[6:7], s[4:5]
	s_cbranch_execz .LBB38_67
; %bb.66:
	v_add_u32_e32 v2, s28, v32
	v_ashrrev_i32_e32 v3, 31, v2
	v_mul_lo_u32 v4, v3, s14
	v_mul_lo_u32 v5, v2, s15
	v_mad_u64_u32 v[2:3], s[14:15], v2, s14, 0
	v_add3_u32 v3, v3, v5, v4
	v_lshl_add_u64 v[2:3], v[2:3], 2, s[10:11]
	global_load_dword v2, v[2:3], off
	s_waitcnt vmcnt(0)
	v_sub_f32_e32 v2, s16, v2
	v_exp_f32_e32 v17, v2
.LBB38_67:
	s_or_b64 exec, exec, s[6:7]
	s_add_u32 s6, s8, s30
	v_accvgpr_read_b32 v2, a12
	s_addc_u32 s7, s9, s31
	v_ashrrev_i32_e32 v19, 31, v18
	v_accvgpr_read_b32 v3, a13
	v_accvgpr_read_b32 v4, a14
	;; [unrolled: 1-line block ×3, first 2 shown]
	v_lshl_add_u64 v[6:7], v[18:19], 1, s[6:7]
	v_mov_b32_e32 v13, 0
	v_lshlrev_b32_e32 v10, 8, v23
	v_mov_b32_e32 v11, 0
	s_and_saveexec_b64 s[6:7], vcc
	s_cbranch_execz .LBB38_69
; %bb.68:
	v_mov_b32_e32 v11, 0
	v_lshl_add_u64 v[14:15], v[6:7], 0, v[10:11]
	global_load_ushort v11, v[14:15], off
	s_waitcnt vmcnt(0)
	v_lshlrev_b32_e32 v11, 16, v11
	v_sub_f32_e32 v2, v11, v2
	v_mul_f32_e32 v2, v20, v2
	v_lshrrev_b32_e32 v11, 16, v2
.LBB38_69:
	s_or_b64 exec, exec, s[6:7]
	v_lshlrev_b32_e32 v12, 8, v8
	s_and_saveexec_b64 s[6:7], s[0:1]
	s_cbranch_execz .LBB38_71
; %bb.70:
	v_mov_b32_e32 v13, 0
	v_lshl_add_u64 v[14:15], v[6:7], 0, v[12:13]
	global_load_ushort v2, v[14:15], off
	s_waitcnt vmcnt(0)
	v_lshlrev_b32_e32 v2, 16, v2
	v_sub_f32_e32 v2, v2, v3
	v_mul_f32_e32 v2, v16, v2
	v_lshrrev_b32_e32 v13, 16, v2
.LBB38_71:
	s_or_b64 exec, exec, s[6:7]
	v_mov_b32_e32 v33, 0
	v_lshlrev_b32_e32 v14, 8, v9
	v_mov_b32_e32 v15, 0
	s_and_saveexec_b64 s[6:7], s[2:3]
	s_cbranch_execz .LBB38_73
; %bb.72:
	v_mov_b32_e32 v15, 0
	v_lshl_add_u64 v[2:3], v[6:7], 0, v[14:15]
	global_load_ushort v2, v[2:3], off
	s_waitcnt vmcnt(0)
	v_lshlrev_b32_e32 v2, 16, v2
	v_sub_f32_e32 v2, v2, v4
	v_mul_f32_e32 v2, v22, v2
	v_lshrrev_b32_e32 v15, 16, v2
.LBB38_73:
	s_or_b64 exec, exec, s[6:7]
	v_lshlrev_b32_e32 v8, 8, v32
	s_and_saveexec_b64 s[6:7], s[4:5]
	s_cbranch_execz .LBB38_75
; %bb.74:
	v_mov_b32_e32 v9, 0
	v_lshl_add_u64 v[2:3], v[6:7], 0, v[8:9]
	global_load_ushort v2, v[2:3], off
	s_waitcnt vmcnt(0)
	v_lshlrev_b32_e32 v2, 16, v2
	v_sub_f32_e32 v2, v2, v5
	v_mul_f32_e32 v2, v17, v2
	v_lshrrev_b32_e32 v33, 16, v2
.LBB38_75:
	s_or_b64 exec, exec, s[6:7]
	v_lshlrev_b32_e32 v19, 6, v23
	v_accvgpr_read_b32 v2, a8
	s_mov_b32 s6, 0x5040100
	v_or_b32_e32 v9, v19, v26
	v_accvgpr_read_b32 v3, a9
	v_accvgpr_read_b32 v4, a10
	;; [unrolled: 1-line block ×3, first 2 shown]
	v_perm_b32 v33, v33, v15, s6
	v_perm_b32 v32, v13, v11, s6
	v_lshlrev_b32_e32 v9, 1, v9
	v_mov_b32_e32 v13, 0
	v_mov_b32_e32 v11, 0
	ds_write_b64 v9, v[32:33] offset:24576
	s_and_saveexec_b64 s[6:7], vcc
	s_cbranch_execz .LBB38_77
; %bb.76:
	v_mov_b32_e32 v11, 0
	v_lshl_add_u64 v[32:33], v[6:7], 0, v[10:11]
	global_load_ushort v9, v[32:33], off offset:32
	s_waitcnt vmcnt(0)
	v_lshlrev_b32_e32 v9, 16, v9
	v_sub_f32_e32 v2, v9, v2
	v_mul_f32_e32 v2, v20, v2
	v_lshrrev_b32_e32 v11, 16, v2
.LBB38_77:
	s_or_b64 exec, exec, s[6:7]
	s_and_saveexec_b64 s[6:7], s[0:1]
	s_cbranch_execz .LBB38_79
; %bb.78:
	v_mov_b32_e32 v13, 0
	v_lshl_add_u64 v[32:33], v[6:7], 0, v[12:13]
	global_load_ushort v2, v[32:33], off offset:32
	s_waitcnt vmcnt(0)
	v_lshlrev_b32_e32 v2, 16, v2
	v_sub_f32_e32 v2, v2, v3
	v_mul_f32_e32 v2, v16, v2
	v_lshrrev_b32_e32 v13, 16, v2
.LBB38_79:
	s_or_b64 exec, exec, s[6:7]
	v_mov_b32_e32 v9, 0
	v_mov_b32_e32 v15, 0
	s_and_saveexec_b64 s[6:7], s[2:3]
	s_cbranch_execz .LBB38_81
; %bb.80:
	v_mov_b32_e32 v15, 0
	v_lshl_add_u64 v[2:3], v[6:7], 0, v[14:15]
	global_load_ushort v2, v[2:3], off offset:32
	s_waitcnt vmcnt(0)
	v_lshlrev_b32_e32 v2, 16, v2
	v_sub_f32_e32 v2, v2, v4
	v_mul_f32_e32 v2, v22, v2
	v_lshrrev_b32_e32 v15, 16, v2
.LBB38_81:
	s_or_b64 exec, exec, s[6:7]
	s_and_saveexec_b64 s[6:7], s[4:5]
	s_cbranch_execz .LBB38_83
; %bb.82:
	v_mov_b32_e32 v9, 0
	v_lshl_add_u64 v[2:3], v[6:7], 0, v[8:9]
	global_load_ushort v2, v[2:3], off offset:32
	s_waitcnt vmcnt(0)
	v_lshlrev_b32_e32 v2, 16, v2
	v_sub_f32_e32 v2, v2, v5
	v_mul_f32_e32 v2, v17, v2
	v_lshrrev_b32_e32 v9, 16, v2
.LBB38_83:
	s_or_b64 exec, exec, s[6:7]
	s_mov_b32 s6, 0x5040100
	v_accvgpr_read_b32 v2, a4
	v_perm_b32 v33, v9, v15, s6
	v_or_b32_e32 v9, v19, v25
	v_accvgpr_read_b32 v3, a5
	v_accvgpr_read_b32 v4, a6
	;; [unrolled: 1-line block ×3, first 2 shown]
	v_perm_b32 v32, v13, v11, s6
	v_lshlrev_b32_e32 v9, 1, v9
	v_mov_b32_e32 v13, 0
	v_mov_b32_e32 v11, 0
	ds_write_b64 v9, v[32:33] offset:24576
	s_and_saveexec_b64 s[6:7], vcc
	s_cbranch_execz .LBB38_85
; %bb.84:
	v_mov_b32_e32 v11, 0
	v_lshl_add_u64 v[32:33], v[6:7], 0, v[10:11]
	global_load_ushort v9, v[32:33], off offset:64
	s_waitcnt vmcnt(0)
	v_lshlrev_b32_e32 v9, 16, v9
	v_sub_f32_e32 v2, v9, v2
	v_mul_f32_e32 v2, v20, v2
	v_lshrrev_b32_e32 v11, 16, v2
.LBB38_85:
	s_or_b64 exec, exec, s[6:7]
	s_and_saveexec_b64 s[6:7], s[0:1]
	s_cbranch_execz .LBB38_87
; %bb.86:
	v_mov_b32_e32 v13, 0
	v_lshl_add_u64 v[32:33], v[6:7], 0, v[12:13]
	global_load_ushort v2, v[32:33], off offset:64
	s_waitcnt vmcnt(0)
	v_lshlrev_b32_e32 v2, 16, v2
	v_sub_f32_e32 v2, v2, v3
	v_mul_f32_e32 v2, v16, v2
	v_lshrrev_b32_e32 v13, 16, v2
.LBB38_87:
	s_or_b64 exec, exec, s[6:7]
	v_mov_b32_e32 v9, 0
	v_mov_b32_e32 v15, 0
	s_and_saveexec_b64 s[6:7], s[2:3]
	s_cbranch_execz .LBB38_89
; %bb.88:
	v_mov_b32_e32 v15, 0
	v_lshl_add_u64 v[2:3], v[6:7], 0, v[14:15]
	global_load_ushort v2, v[2:3], off offset:64
	s_waitcnt vmcnt(0)
	v_lshlrev_b32_e32 v2, 16, v2
	v_sub_f32_e32 v2, v2, v4
	v_mul_f32_e32 v2, v22, v2
	v_lshrrev_b32_e32 v15, 16, v2
.LBB38_89:
	s_or_b64 exec, exec, s[6:7]
	s_and_saveexec_b64 s[6:7], s[4:5]
	s_cbranch_execz .LBB38_91
; %bb.90:
	v_mov_b32_e32 v9, 0
	v_lshl_add_u64 v[2:3], v[6:7], 0, v[8:9]
	global_load_ushort v2, v[2:3], off offset:64
	s_waitcnt vmcnt(0)
	v_lshlrev_b32_e32 v2, 16, v2
	v_sub_f32_e32 v2, v2, v5
	v_mul_f32_e32 v2, v17, v2
	v_lshrrev_b32_e32 v9, 16, v2
.LBB38_91:
	s_or_b64 exec, exec, s[6:7]
	s_mov_b32 s6, 0x5040100
	v_accvgpr_read_b32 v5, a3
	v_perm_b32 v33, v9, v15, s6
	v_or_b32_e32 v9, v19, v24
	v_accvgpr_read_b32 v4, a2
	v_accvgpr_read_b32 v3, a1
	;; [unrolled: 1-line block ×3, first 2 shown]
	v_perm_b32 v32, v13, v11, s6
	v_lshlrev_b32_e32 v9, 1, v9
	v_mov_b32_e32 v13, 0
	v_mov_b32_e32 v11, 0
	ds_write_b64 v9, v[32:33] offset:24576
	s_and_saveexec_b64 s[6:7], vcc
	s_cbranch_execz .LBB38_93
; %bb.92:
	v_mov_b32_e32 v11, 0
	v_lshl_add_u64 v[10:11], v[6:7], 0, v[10:11]
	global_load_ushort v9, v[10:11], off offset:96
	s_waitcnt vmcnt(0)
	v_lshlrev_b32_e32 v9, 16, v9
	v_sub_f32_e32 v2, v9, v2
	v_mul_f32_e32 v2, v20, v2
	v_lshrrev_b32_e32 v11, 16, v2
.LBB38_93:
	s_or_b64 exec, exec, s[6:7]
	s_and_saveexec_b64 s[6:7], s[0:1]
	s_cbranch_execz .LBB38_95
; %bb.94:
	v_mov_b32_e32 v13, 0
	v_lshl_add_u64 v[12:13], v[6:7], 0, v[12:13]
	global_load_ushort v2, v[12:13], off offset:96
	s_waitcnt vmcnt(0)
	v_lshlrev_b32_e32 v2, 16, v2
	v_sub_f32_e32 v2, v2, v3
	v_mul_f32_e32 v2, v16, v2
	v_lshrrev_b32_e32 v13, 16, v2
.LBB38_95:
	s_or_b64 exec, exec, s[6:7]
	v_mov_b32_e32 v9, 0
	v_mov_b32_e32 v12, 0
	s_and_saveexec_b64 s[0:1], s[2:3]
	s_cbranch_execz .LBB38_97
; %bb.96:
	v_mov_b32_e32 v15, 0
	v_lshl_add_u64 v[2:3], v[6:7], 0, v[14:15]
	global_load_ushort v2, v[2:3], off offset:96
	s_waitcnt vmcnt(0)
	v_lshlrev_b32_e32 v2, 16, v2
	v_sub_f32_e32 v2, v2, v4
	v_mul_f32_e32 v2, v22, v2
	v_lshrrev_b32_e32 v12, 16, v2
.LBB38_97:
	s_or_b64 exec, exec, s[0:1]
	v_or_b32_e32 v10, 0x6000, v28
	v_or_b32_e32 v4, 0x6000, v29
	;; [unrolled: 1-line block ×4, first 2 shown]
	s_and_saveexec_b64 s[0:1], s[4:5]
	s_cbranch_execz .LBB38_99
; %bb.98:
	v_mov_b32_e32 v9, 0
	v_lshl_add_u64 v[6:7], v[6:7], 0, v[8:9]
	global_load_ushort v6, v[6:7], off offset:96
	s_waitcnt vmcnt(0)
	v_lshlrev_b32_e32 v6, 16, v6
	v_sub_f32_e32 v5, v6, v5
	v_mul_f32_e32 v5, v17, v5
	v_lshrrev_b32_e32 v9, 16, v5
.LBB38_99:
	s_or_b64 exec, exec, s[0:1]
	s_mov_b32 s0, 0x5040100
	v_or_b32_e32 v5, v19, v21
	v_perm_b32 v7, v9, v12, s0
	v_perm_b32 v6, v13, v11, s0
	v_lshlrev_b32_e32 v5, 1, v5
	s_movk_i32 s0, 0x100
	ds_write_b64 v5, v[6:7] offset:24576
	v_and_b32_e32 v5, 7, v0
	v_and_b32_e32 v6, 8, v0
	v_cmp_gt_u32_e32 vcc, s0, v0
	v_lshrrev_b32_e32 v0, 1, v0
	v_mov_b32_e32 v7, 0xa000
	v_mov_b32_e32 v8, 0x8000
	v_lshlrev_b32_e32 v26, 3, v72
	v_and_b32_e32 v0, 24, v0
	v_cndmask_b32_e32 v19, v7, v8, vcc
	v_xor_b32_e32 v7, v26, v0
	v_or_b32_e32 v8, 0x440, v7
	v_cmp_eq_u32_e32 vcc, 0, v6
	v_lshlrev_b32_e32 v11, 3, v5
	v_lshlrev_b32_e32 v5, 7, v5
	v_cndmask_b32_e32 v6, v8, v7, vcc
	v_or_b32_e32 v6, v6, v27
	v_xad_u32 v32, v6, v11, v5
	v_add_u32_e32 v6, v19, v32
	s_waitcnt lgkmcnt(0)
	s_barrier
	ds_read_b64 v[16:17], v6
	ds_read2_b64 v[6:9], v10 offset1:16
	ds_read2_b64 v[12:15], v10 offset0:32 offset1:48
	v_or_b32_e32 v20, 32, v0
	v_xor_b32_e32 v20, v26, v20
	v_or_b32_e32 v21, 0x440, v20
	v_cndmask_b32_e32 v20, v21, v20, vcc
	s_waitcnt lgkmcnt(1)
	v_mfma_f32_16x16x16_bf16 a[0:3], v[16:17], v[6:7], 0
	v_or_b32_e32 v20, v20, v27
	v_xad_u32 v33, v20, v11, v5
	v_add_u32_e32 v20, v19, v33
	v_mfma_f32_16x16x16_bf16 a[4:7], v[16:17], v[8:9], 0
	ds_read_b64 v[24:25], v20
	ds_read2st64_b64 v[28:31], v4 offset0:4 offset1:8
	ds_read2st64_b64 v[66:69], v3 offset0:4 offset1:8
	s_waitcnt lgkmcnt(3)
	v_mfma_f32_16x16x16_bf16 a[8:11], v[16:17], v[12:13], 0
	ds_read2st64_b64 v[70:73], v2 offset0:4 offset1:8
	v_mfma_f32_16x16x16_bf16 a[12:15], v[16:17], v[14:15], 0
	v_or_b32_e32 v16, 64, v0
	v_xor_b32_e32 v16, v26, v16
	v_xor_b32_e32 v17, 0x440, v16
	v_cndmask_b32_e32 v16, v17, v16, vcc
	v_or_b32_e32 v16, v16, v27
	v_xad_u32 v74, v16, v11, v5
	v_add_u32_e32 v16, v19, v74
	ds_read_b64 v[16:17], v16
	ds_read2st64_b64 v[20:23], v10 offset0:4 offset1:8
	v_or_b32_e32 v0, 0x60, v0
	v_xor_b32_e32 v0, v26, v0
	s_waitcnt lgkmcnt(0)
	v_mfma_f32_16x16x16_bf16 a[0:3], v[24:25], v[20:21], a[0:3]
	v_mfma_f32_16x16x16_bf16 a[4:7], v[24:25], v[28:29], a[4:7]
	;; [unrolled: 1-line block ×4, first 2 shown]
	v_xor_b32_e32 v24, 0x440, v0
	v_cndmask_b32_e32 v0, v24, v0, vcc
	v_or_b32_e32 v0, v0, v27
	v_xad_u32 v26, v0, v11, v5
	v_add_u32_e32 v0, v19, v26
	v_mfma_f32_16x16x16_bf16 a[0:3], v[16:17], v[22:23], a[0:3]
	ds_read_b64 v[24:25], v0
	ds_read_b64 v[10:11], v10 offset:6144
	v_exp_f32_e32 v0, s16
	v_mfma_f32_16x16x16_bf16 a[4:7], v[16:17], v[30:31], a[4:7]
	v_mfma_f32_16x16x16_bf16 a[8:11], v[16:17], v[68:69], a[8:11]
	;; [unrolled: 1-line block ×3, first 2 shown]
	ds_read_b64 v[4:5], v4 offset:6144
	ds_read_b64 v[16:17], v3 offset:6144
	;; [unrolled: 1-line block ×3, first 2 shown]
	s_waitcnt lgkmcnt(3)
	v_mfma_f32_16x16x16_bf16 a[0:3], v[24:25], v[10:11], a[0:3]
	s_waitcnt lgkmcnt(2)
	v_mfma_f32_16x16x16_bf16 a[4:7], v[24:25], v[4:5], a[4:7]
	s_waitcnt lgkmcnt(1)
	v_mfma_f32_16x16x16_bf16 a[8:11], v[24:25], v[16:17], a[8:11]
	s_waitcnt lgkmcnt(0)
	v_mfma_f32_16x16x16_bf16 a[12:15], v[24:25], v[2:3], a[12:15]
	ds_read_b64 v[24:25], v32 offset:40960
	s_waitcnt lgkmcnt(0)
	v_mfma_f32_16x16x16_bf16 a[16:19], v[24:25], v[6:7], 0
	ds_read_b64 v[6:7], v33 offset:40960
	v_mfma_f32_16x16x16_bf16 a[20:23], v[24:25], v[8:9], 0
	ds_read_b64 v[8:9], v74 offset:40960
	v_mfma_f32_16x16x16_bf16 a[24:27], v[24:25], v[12:13], 0
	v_accvgpr_read_b32 v13, a3
	v_accvgpr_read_b32 v12, a2
	v_pk_fma_f32 v[64:65], v[0:1], v[64:65], v[12:13] op_sel_hi:[0,1,1]
	v_mfma_f32_16x16x16_bf16 a[28:31], v[24:25], v[14:15], 0
	ds_read_b64 v[12:13], v26 offset:40960
	v_accvgpr_read_b32 v15, a7
	v_accvgpr_read_b32 v14, a6
	s_waitcnt lgkmcnt(2)
	v_mfma_f32_16x16x16_bf16 a[16:19], v[6:7], v[20:21], a[16:19]
	v_accvgpr_read_b32 v21, a15
	v_accvgpr_read_b32 v20, a14
	v_pk_fma_f32 v[56:57], v[0:1], v[56:57], v[14:15] op_sel_hi:[0,1,1]
	v_mfma_f32_16x16x16_bf16 a[20:23], v[6:7], v[28:29], a[20:23]
	v_pk_fma_f32 v[40:41], v[0:1], v[40:41], v[20:21] op_sel_hi:[0,1,1]
	v_mfma_f32_16x16x16_bf16 a[24:27], v[6:7], v[66:67], a[24:27]
	v_mfma_f32_16x16x16_bf16 a[28:31], v[6:7], v[70:71], a[28:31]
	v_accvgpr_read_b32 v7, a11
	v_accvgpr_read_b32 v6, a10
	v_pk_fma_f32 v[48:49], v[0:1], v[48:49], v[6:7] op_sel_hi:[0,1,1]
	s_waitcnt lgkmcnt(1)
	v_mfma_f32_16x16x16_bf16 a[16:19], v[8:9], v[22:23], a[16:19]
	v_accvgpr_read_b32 v23, a1
	v_accvgpr_read_b32 v22, a0
	v_pk_fma_f32 v[62:63], v[0:1], v[62:63], v[22:23] op_sel_hi:[0,1,1]
	v_mfma_f32_16x16x16_bf16 a[0:3], v[8:9], v[30:31], a[20:23]
	v_accvgpr_read_b32 v23, a5
	v_accvgpr_read_b32 v22, a4
	v_accvgpr_read_b32 v6, a12
	v_mfma_f32_16x16x16_bf16 a[20:23], v[8:9], v[68:69], a[24:27]
	v_accvgpr_read_b32 v7, a13
	v_pk_fma_f32 v[38:39], v[0:1], v[38:39], v[6:7] op_sel_hi:[0,1,1]
	v_pk_fma_f32 v[54:55], v[0:1], v[54:55], v[22:23] op_sel_hi:[0,1,1]
	v_mfma_f32_16x16x16_bf16 a[4:7], v[8:9], v[72:73], a[28:31]
	v_accvgpr_read_b32 v8, a8
	v_accvgpr_read_b32 v9, a9
	v_pk_fma_f32 v[46:47], v[0:1], v[46:47], v[8:9] op_sel_hi:[0,1,1]
	s_waitcnt lgkmcnt(0)
	v_mfma_f32_16x16x16_bf16 a[8:11], v[12:13], v[10:11], a[16:19]
	v_mfma_f32_16x16x16_bf16 a[0:3], v[12:13], v[4:5], a[0:3]
	s_nop 5
	v_accvgpr_read_b32 v5, a11
	v_accvgpr_read_b32 v4, a10
	v_mfma_f32_16x16x16_bf16 a[10:13], v[12:13], v[16:17], a[20:23]
	v_pk_fma_f32 v[60:61], v[0:1], v[60:61], v[4:5] op_sel_hi:[0,1,1]
	v_accvgpr_read_b32 v7, a3
	v_accvgpr_read_b32 v6, a2
	v_mfma_f32_16x16x16_bf16 a[2:5], v[12:13], v[2:3], a[4:7]
	v_accvgpr_read_b32 v5, a1
	v_accvgpr_read_b32 v4, a0
	v_pk_fma_f32 v[50:51], v[0:1], v[50:51], v[4:5] op_sel_hi:[0,1,1]
	v_accvgpr_read_b32 v4, a10
	v_accvgpr_read_b32 v5, a11
	;; [unrolled: 1-line block ×3, first 2 shown]
	v_pk_fma_f32 v[42:43], v[0:1], v[42:43], v[4:5] op_sel_hi:[0,1,1]
	v_accvgpr_read_b32 v5, a3
	v_accvgpr_read_b32 v9, a13
	;; [unrolled: 1-line block ×7, first 2 shown]
	v_pk_fma_f32 v[58:59], v[0:1], v[58:59], v[10:11] op_sel_hi:[0,1,1]
	v_pk_fma_f32 v[52:53], v[0:1], v[52:53], v[6:7] op_sel_hi:[0,1,1]
	;; [unrolled: 1-line block ×5, first 2 shown]
	v_mov_b32_e32 v2, v18
.LBB38_100:
	s_mul_i32 s0, s33, s35
	s_mul_hi_u32 s1, s33, s34
	s_add_i32 s0, s1, s0
	s_mul_i32 s1, s44, s34
	s_add_i32 s1, s0, s1
	s_mul_i32 s0, s33, s34
	s_add_u32 s0, s0, s45
	s_addc_u32 s1, s1, s29
	s_lshl_b64 s[0:1], s[0:1], 15
	s_add_u32 s0, s12, s0
	v_lshlrev_b32_e32 v2, 7, v2
	s_addc_u32 s1, s13, s1
	v_ashrrev_i32_e32 v3, 31, v2
	v_lshl_add_u64 v[4:5], v[2:3], 1, s[0:1]
	v_lshlrev_b32_e32 v0, 1, v1
	v_mov_b32_e32 v1, 0
	s_mov_b32 s2, 0x7060302
	v_lshl_add_u64 v[4:5], v[4:5], 0, v[0:1]
	v_perm_b32 v7, v65, v64, s2
	v_perm_b32 v6, v63, v62, s2
	global_store_dwordx2 v[4:5], v[6:7], off
	v_perm_b32 v7, v61, v60, s2
	v_perm_b32 v6, v59, v58, s2
	global_store_dwordx2 v[4:5], v[6:7], off offset:128
	v_or_b32_e32 v4, 0x800, v2
	v_ashrrev_i32_e32 v5, 31, v4
	v_lshl_add_u64 v[4:5], v[4:5], 1, s[0:1]
	v_lshl_add_u64 v[4:5], v[4:5], 0, v[0:1]
	v_perm_b32 v7, v57, v56, s2
	v_perm_b32 v6, v55, v54, s2
	global_store_dwordx2 v[4:5], v[6:7], off
	v_perm_b32 v7, v53, v52, s2
	v_perm_b32 v6, v51, v50, s2
	global_store_dwordx2 v[4:5], v[6:7], off offset:128
	v_or_b32_e32 v4, 0x1000, v2
	v_or_b32_e32 v2, 0x1800, v2
	v_ashrrev_i32_e32 v5, 31, v4
	v_ashrrev_i32_e32 v3, 31, v2
	v_lshl_add_u64 v[4:5], v[4:5], 1, s[0:1]
	v_lshl_add_u64 v[2:3], v[2:3], 1, s[0:1]
	;; [unrolled: 1-line block ×3, first 2 shown]
	v_perm_b32 v7, v49, v48, s2
	v_perm_b32 v6, v47, v46, s2
	v_lshl_add_u64 v[0:1], v[2:3], 0, v[0:1]
	v_perm_b32 v3, v41, v40, s2
	v_perm_b32 v2, v39, v38, s2
	global_store_dwordx2 v[4:5], v[6:7], off
	v_perm_b32 v7, v45, v44, s2
	v_perm_b32 v6, v43, v42, s2
	global_store_dwordx2 v[0:1], v[2:3], off
	v_perm_b32 v3, v35, v34, s2
	v_perm_b32 v2, v37, v36, s2
	global_store_dwordx2 v[4:5], v[6:7], off offset:128
	global_store_dwordx2 v[0:1], v[2:3], off offset:128
	s_endpgm
	.section	.rodata,"a",@progbits
	.p2align	6, 0x0
	.amdhsa_kernel _ZN12_GLOBAL__N_139chunk_gated_delta_rule_fwd_h_hip_kernelILi64ELb0ELb1ELb0ELb1ELb1ELb0ELb1ELb1EEEvPK12hip_bfloat16S3_S3_PKfS5_PKvPS1_S8_PvPKiSB_iiiiilll
		.amdhsa_group_segment_fixed_size 65536
		.amdhsa_private_segment_fixed_size 0
		.amdhsa_kernarg_size 136
		.amdhsa_user_sgpr_count 2
		.amdhsa_user_sgpr_dispatch_ptr 0
		.amdhsa_user_sgpr_queue_ptr 0
		.amdhsa_user_sgpr_kernarg_segment_ptr 1
		.amdhsa_user_sgpr_dispatch_id 0
		.amdhsa_user_sgpr_kernarg_preload_length 0
		.amdhsa_user_sgpr_kernarg_preload_offset 0
		.amdhsa_user_sgpr_private_segment_size 0
		.amdhsa_uses_dynamic_stack 0
		.amdhsa_enable_private_segment 0
		.amdhsa_system_sgpr_workgroup_id_x 1
		.amdhsa_system_sgpr_workgroup_id_y 1
		.amdhsa_system_sgpr_workgroup_id_z 0
		.amdhsa_system_sgpr_workgroup_info 0
		.amdhsa_system_vgpr_workitem_id 0
		.amdhsa_next_free_vgpr 216
		.amdhsa_next_free_sgpr 65
		.amdhsa_accum_offset 180
		.amdhsa_reserve_vcc 1
		.amdhsa_float_round_mode_32 0
		.amdhsa_float_round_mode_16_64 0
		.amdhsa_float_denorm_mode_32 3
		.amdhsa_float_denorm_mode_16_64 3
		.amdhsa_dx10_clamp 1
		.amdhsa_ieee_mode 1
		.amdhsa_fp16_overflow 0
		.amdhsa_tg_split 0
		.amdhsa_exception_fp_ieee_invalid_op 0
		.amdhsa_exception_fp_denorm_src 0
		.amdhsa_exception_fp_ieee_div_zero 0
		.amdhsa_exception_fp_ieee_overflow 0
		.amdhsa_exception_fp_ieee_underflow 0
		.amdhsa_exception_fp_ieee_inexact 0
		.amdhsa_exception_int_div_zero 0
	.end_amdhsa_kernel
	.section	.text._ZN12_GLOBAL__N_139chunk_gated_delta_rule_fwd_h_hip_kernelILi64ELb0ELb1ELb0ELb1ELb1ELb0ELb1ELb1EEEvPK12hip_bfloat16S3_S3_PKfS5_PKvPS1_S8_PvPKiSB_iiiiilll,"axG",@progbits,_ZN12_GLOBAL__N_139chunk_gated_delta_rule_fwd_h_hip_kernelILi64ELb0ELb1ELb0ELb1ELb1ELb0ELb1ELb1EEEvPK12hip_bfloat16S3_S3_PKfS5_PKvPS1_S8_PvPKiSB_iiiiilll,comdat
.Lfunc_end38:
	.size	_ZN12_GLOBAL__N_139chunk_gated_delta_rule_fwd_h_hip_kernelILi64ELb0ELb1ELb0ELb1ELb1ELb0ELb1ELb1EEEvPK12hip_bfloat16S3_S3_PKfS5_PKvPS1_S8_PvPKiSB_iiiiilll, .Lfunc_end38-_ZN12_GLOBAL__N_139chunk_gated_delta_rule_fwd_h_hip_kernelILi64ELb0ELb1ELb0ELb1ELb1ELb0ELb1ELb1EEEvPK12hip_bfloat16S3_S3_PKfS5_PKvPS1_S8_PvPKiSB_iiiiilll
                                        ; -- End function
	.section	.AMDGPU.csdata,"",@progbits
; Kernel info:
; codeLenInByte = 12068
; NumSgprs: 71
; NumVgprs: 178
; NumAgprs: 36
; TotalNumVgprs: 216
; ScratchSize: 0
; MemoryBound: 0
; FloatMode: 240
; IeeeMode: 1
; LDSByteSize: 65536 bytes/workgroup (compile time only)
; SGPRBlocks: 8
; VGPRBlocks: 26
; NumSGPRsForWavesPerEU: 71
; NumVGPRsForWavesPerEU: 216
; AccumOffset: 180
; Occupancy: 1
; WaveLimiterHint : 1
; COMPUTE_PGM_RSRC2:SCRATCH_EN: 0
; COMPUTE_PGM_RSRC2:USER_SGPR: 2
; COMPUTE_PGM_RSRC2:TRAP_HANDLER: 0
; COMPUTE_PGM_RSRC2:TGID_X_EN: 1
; COMPUTE_PGM_RSRC2:TGID_Y_EN: 1
; COMPUTE_PGM_RSRC2:TGID_Z_EN: 0
; COMPUTE_PGM_RSRC2:TIDIG_COMP_CNT: 0
; COMPUTE_PGM_RSRC3_GFX90A:ACCUM_OFFSET: 44
; COMPUTE_PGM_RSRC3_GFX90A:TG_SPLIT: 0
	.section	.text._ZN12_GLOBAL__N_139chunk_gated_delta_rule_fwd_h_hip_kernelILi64ELb0ELb0ELb1ELb1ELb1ELb0ELb1ELb1EEEvPK12hip_bfloat16S3_S3_PKfS5_PKvPS1_S8_PvPKiSB_iiiiilll,"axG",@progbits,_ZN12_GLOBAL__N_139chunk_gated_delta_rule_fwd_h_hip_kernelILi64ELb0ELb0ELb1ELb1ELb1ELb0ELb1ELb1EEEvPK12hip_bfloat16S3_S3_PKfS5_PKvPS1_S8_PvPKiSB_iiiiilll,comdat
	.globl	_ZN12_GLOBAL__N_139chunk_gated_delta_rule_fwd_h_hip_kernelILi64ELb0ELb0ELb1ELb1ELb1ELb0ELb1ELb1EEEvPK12hip_bfloat16S3_S3_PKfS5_PKvPS1_S8_PvPKiSB_iiiiilll ; -- Begin function _ZN12_GLOBAL__N_139chunk_gated_delta_rule_fwd_h_hip_kernelILi64ELb0ELb0ELb1ELb1ELb1ELb0ELb1ELb1EEEvPK12hip_bfloat16S3_S3_PKfS5_PKvPS1_S8_PvPKiSB_iiiiilll
	.p2align	8
	.type	_ZN12_GLOBAL__N_139chunk_gated_delta_rule_fwd_h_hip_kernelILi64ELb0ELb0ELb1ELb1ELb1ELb0ELb1ELb1EEEvPK12hip_bfloat16S3_S3_PKfS5_PKvPS1_S8_PvPKiSB_iiiiilll,@function
_ZN12_GLOBAL__N_139chunk_gated_delta_rule_fwd_h_hip_kernelILi64ELb0ELb0ELb1ELb1ELb1ELb0ELb1ELb1EEEvPK12hip_bfloat16S3_S3_PKfS5_PKvPS1_S8_PvPKiSB_iiiiilll: ; @_ZN12_GLOBAL__N_139chunk_gated_delta_rule_fwd_h_hip_kernelILi64ELb0ELb0ELb1ELb1ELb1ELb0ELb1ELb1EEEvPK12hip_bfloat16S3_S3_PKfS5_PKvPS1_S8_PvPKiSB_iiiiilll
; %bb.0:
	s_load_dwordx4 s[16:19], s[0:1], 0x5c
	s_load_dwordx4 s[20:23], s[0:1], 0x70
	s_abs_i32 s25, s3
	s_ashr_i32 s24, s3, 31
	s_load_dwordx4 s[12:15], s[0:1], 0x30
	s_load_dwordx4 s[28:31], s[0:1], 0x48
	s_waitcnt lgkmcnt(0)
	s_abs_i32 s34, s17
	v_cvt_f32_u32_e32 v1, s34
	s_sub_i32 s26, 0, s34
	s_ashr_i32 s35, s17, 31
	s_xor_b32 s24, s24, s35
	v_rcp_iflag_f32_e32 v1, v1
	s_load_dwordx8 s[4:11], s[0:1], 0x0
	v_lshrrev_b32_e32 v76, 6, v0
	v_bfe_u32 v77, v0, 4, 2
	v_mul_f32_e32 v1, 0x4f7ffffe, v1
	v_cvt_u32_f32_e32 v1, v1
	v_lshlrev_b32_e32 v2, 2, v77
	v_and_b32_e32 v75, 63, v0
	v_mov_b32_e32 v35, 0
	v_readfirstlane_b32 s27, v1
	s_mul_i32 s26, s26, s27
	s_mul_hi_u32 s26, s27, s26
	s_add_i32 s27, s27, s26
	s_mul_hi_u32 s26, s25, s27
	s_mul_i32 s27, s26, s34
	s_sub_i32 s25, s25, s27
	s_add_i32 s33, s26, 1
	s_sub_i32 s27, s25, s34
	s_cmp_ge_u32 s25, s34
	s_cselect_b32 s26, s33, s26
	s_cselect_b32 s25, s27, s25
	s_add_i32 s27, s26, 1
	s_cmp_ge_u32 s25, s34
	s_cselect_b32 s25, s27, s26
	s_xor_b32 s25, s25, s24
	s_sub_i32 s24, s25, s24
	s_mul_i32 s25, s24, s17
	s_sub_i32 s33, s3, s25
	s_ashr_i32 s25, s24, 31
	s_lshl_b64 s[26:27], s[24:25], 2
	s_add_u32 s28, s28, s26
	s_addc_u32 s29, s29, s27
	s_add_u32 s26, s30, s26
	s_addc_u32 s27, s31, s27
	s_abs_i32 s3, s18
	v_cvt_f32_u32_e32 v1, s3
	s_load_dwordx2 s[38:39], s[28:29], 0x0
	s_sub_i32 s29, 0, s3
	s_load_dword s46, s[26:27], 0x0
	v_rcp_iflag_f32_e32 v1, v1
	v_and_b32_e32 v74, 15, v0
	s_waitcnt lgkmcnt(0)
	s_sub_i32 s47, s39, s38
	s_ashr_i32 s28, s47, 31
	v_mul_f32_e32 v1, 0x4f7ffffe, v1
	v_cvt_u32_f32_e32 v1, v1
	s_lshr_b32 s28, s28, 26
	s_add_i32 s28, s47, s28
	s_ashr_i32 s45, s28, 6
	v_readfirstlane_b32 s30, v1
	s_mul_i32 s29, s29, s30
	s_mul_hi_u32 s29, s30, s29
	s_add_i32 s30, s30, s29
	s_mul_hi_u32 s29, s34, s30
	s_mul_i32 s30, s29, s3
	s_ashr_i32 s28, s18, 31
	s_sub_i32 s30, s34, s30
	s_xor_b32 s28, s35, s28
	s_add_i32 s31, s29, 1
	s_sub_i32 s34, s30, s3
	s_cmp_ge_u32 s30, s3
	s_cselect_b32 s29, s31, s29
	s_cselect_b32 s30, s34, s30
	s_add_i32 s31, s29, 1
	s_cmp_ge_u32 s30, s3
	s_cselect_b32 s3, s31, s29
	s_xor_b32 s3, s3, s28
	s_sub_i32 s3, s3, s28
	s_abs_i32 s28, s3
	v_cvt_f32_u32_e32 v1, s28
	s_load_dwordx2 s[34:35], s[0:1], 0x80
	s_xor_b32 s0, s33, s3
	s_sub_i32 s3, 0, s28
	v_rcp_iflag_f32_e32 v1, v1
	s_abs_i32 s1, s33
	s_ashr_i32 s0, s0, 31
	s_mul_hi_i32 s48, s33, s16
	v_mul_f32_e32 v1, 0x4f7ffffe, v1
	v_cvt_u32_f32_e32 v1, v1
	s_mul_i32 s49, s33, s16
	v_lshrrev_b32_e32 v79, 3, v75
	v_lshlrev_b32_e32 v78, 3, v0
	v_readfirstlane_b32 s26, v1
	s_mul_i32 s3, s3, s26
	s_mul_hi_u32 s3, s26, s3
	s_add_i32 s26, s26, s3
	s_mul_hi_u32 s3, s1, s26
	s_mul_i32 s26, s3, s28
	s_sub_i32 s1, s1, s26
	s_add_i32 s26, s3, 1
	s_sub_i32 s27, s1, s28
	s_cmp_ge_u32 s1, s28
	s_cselect_b32 s3, s26, s3
	s_cselect_b32 s1, s27, s1
	s_add_i32 s26, s3, 1
	s_cmp_ge_u32 s1, s28
	s_cselect_b32 s1, s26, s3
	s_xor_b32 s1, s1, s0
	v_lshlrev_b32_e32 v1, 4, v76
	s_sub_i32 s50, s1, s0
	v_or_b32_e32 v80, v2, v1
	s_lshl_b32 s36, s2, 6
	v_or_b32_e32 v81, 64, v80
	s_cmp_lt_i32 s47, 64
	s_mul_i32 s42, s24, s21
	s_mul_hi_u32 s43, s24, s20
	s_mul_i32 s44, s25, s20
	s_mul_i32 s20, s24, s20
	v_mov_b32_e32 v34, v35
	v_mov_b32_e32 v41, v35
	;; [unrolled: 1-line block ×31, first 2 shown]
	s_cbranch_scc1 .LBB39_18
; %bb.1:
	s_ashr_i32 s53, s33, 31
	s_ashr_i32 s1, s38, 31
	s_add_u32 s0, s49, s38
	s_addc_u32 s1, s48, s1
	s_lshl_b64 s[0:1], s[0:1], 8
	v_and_b32_e32 v83, 56, v78
	s_add_u32 s0, s6, s0
	v_lshl_or_b32 v82, v76, 3, v79
	v_lshlrev_b32_e32 v3, 1, v83
	s_addc_u32 s1, s7, s1
	v_lshl_or_b32 v84, v82, 8, v3
	s_and_b32 s1, s1, 0xffff
	s_mov_b32 s3, 0x20000
	s_movk_i32 s2, 0x4000
	s_movk_i32 s21, 0x80
	v_or_b32_e32 v85, 0x2000, v84
	buffer_load_dwordx4 v[4:7], v84, s[0:3], 0 offen
	buffer_load_dwordx4 v[8:11], v84, s[0:3], s21 offen
	;; [unrolled: 1-line block ×4, first 2 shown]
	v_lshlrev_b32_e32 v20, 3, v82
	v_and_or_b32 v22, v0, 7, v20
	v_and_b32_e32 v20, 0x78, v20
	v_lshlrev_b32_e32 v22, 4, v22
	v_xor_b32_e32 v86, v22, v20
	v_mul_lo_u32 v21, v82, s19
	v_or_b32_e32 v87, 0x1000, v86
	s_cmpk_eq_i32 s19, 0x80
	s_mov_b32 s51, s17
	s_mov_b32 s52, s38
	v_xor_b32_e32 v20, 8, v86
	v_xor_b32_e32 v22, 8, v87
	s_cselect_b64 s[0:1], -1, 0
	s_cmpk_lg_i32 s19, 0x80
	s_waitcnt vmcnt(3)
	ds_write_b64 v86, v[4:5] offset:49152
	ds_write_b64 v20, v[6:7] offset:49152
	s_waitcnt vmcnt(2)
	ds_write_b64 v86, v[8:9] offset:57344
	ds_write_b64 v20, v[10:11] offset:57344
	;; [unrolled: 3-line block ×4, first 2 shown]
	v_lshl_add_u32 v4, v21, 1, v83
	s_cbranch_scc0 .LBB39_3
; %bb.2:
	v_lshlrev_b32_e32 v6, 1, v4
	v_add_lshl_u32 v5, v4, s19, 1
	s_lshl_b32 s26, s19, 7
	v_lshl_or_b32 v3, v82, 9, v3
	s_cbranch_execz .LBB39_4
	s_branch .LBB39_5
.LBB39_3:
                                        ; implicit-def: $vgpr5
                                        ; implicit-def: $vgpr6
                                        ; implicit-def: $sgpr26
	v_lshl_or_b32 v3, v82, 9, v3
.LBB39_4:
	v_or_b32_e32 v5, 0x100, v3
	s_movk_i32 s26, 0x4000
	v_mov_b32_e32 v6, v3
.LBB39_5:
	s_mul_i32 s2, s38, s18
	s_ashr_i32 s54, s50, 31
	s_mul_hi_i32 s3, s38, s18
	s_add_u32 s2, s2, s50
	s_addc_u32 s3, s3, s54
	s_lshl_b64 s[2:3], s[2:3], 8
	s_add_u32 s24, s4, s2
	s_addc_u32 s2, s5, s3
	s_and_b32 s25, s2, 0xffff
	s_mov_b32 s27, 0x20000
	s_movk_i32 s55, 0x80
	buffer_load_dwordx4 v[8:11], v6, s[24:27], 0 offen
	buffer_load_dwordx4 v[12:15], v6, s[24:27], s55 offen
	;; [unrolled: 1-line block ×4, first 2 shown]
	v_and_b32_e32 v5, 6, v0
	v_lshlrev_b32_e32 v6, 7, v80
	v_xor_b32_e32 v28, v82, v5
	v_and_b32_e32 v7, 1, v0
	v_lshl_or_b32 v31, v74, 3, v6
	v_lshlrev_b32_e32 v28, 2, v28
	v_lshlrev_b32_e32 v24, 2, v74
	v_or_b32_e32 v88, 0x4000, v31
	v_or_b32_e32 v89, 0x6000, v31
	v_xor_b32_e32 v31, 0x440, v28
	v_cmp_eq_u32_e32 vcc, 0, v7
	v_or_b32_e32 v26, 16, v74
	v_or_b32_e32 v27, 32, v74
	v_xor_b32_e32 v29, v80, v24
	v_xor_b32_e32 v30, v81, v24
	v_cndmask_b32_e32 v7, v31, v28, vcc
	s_add_i32 s2, s43, s42
	s_mov_b32 s56, 0x1000504
	v_lshl_or_b32 v32, v26, 3, v6
	v_lshlrev_b32_e32 v26, 8, v26
	v_lshl_or_b32 v33, v27, 3, v6
	v_lshlrev_b32_e32 v29, 1, v29
	v_lshlrev_b32_e32 v30, 1, v30
	v_lshl_or_b32 v5, v5, 10, v7
	s_add_i32 s21, s2, s44
	s_mul_i32 s2, s33, s23
	s_mul_hi_u32 s3, s33, s22
	s_mov_b32 s57, 0x3020706
	v_lshlrev_b32_e32 v25, 8, v74
	v_or_b32_e32 v92, 0x4000, v33
	v_or_b32_e32 v93, 0x6000, v33
	;; [unrolled: 1-line block ×4, first 2 shown]
	v_xor_b32_e32 v7, 8, v5
	v_xor_b32_e32 v26, 24, v5
	;; [unrolled: 1-line block ×4, first 2 shown]
	s_add_i32 s2, s3, s2
	s_mul_i32 s3, s53, s22
	v_or_b32_e32 v90, 0x4000, v32
	v_or_b32_e32 v91, 0x6000, v32
	;; [unrolled: 1-line block ×4, first 2 shown]
	v_xor_b32_e32 v25, 16, v5
	v_xor_b32_e32 v28, 32, v5
	;; [unrolled: 1-line block ×3, first 2 shown]
	v_add_u32_e32 v7, 0x80, v7
	v_add_u32_e32 v26, 0x80, v26
	;; [unrolled: 1-line block ×4, first 2 shown]
	s_add_i32 s3, s2, s3
	s_lshl_b64 s[24:25], s[20:21], 2
	s_mul_i32 s2, s33, s22
	s_add_u32 s21, s10, s24
	s_addc_u32 s24, s11, s25
	s_lshl_b64 s[2:3], s[2:3], 2
	s_add_u32 s2, s21, s2
	s_movk_i32 s21, 0xf8
	s_addc_u32 s3, s24, s3
	s_ashr_i32 s37, s36, 31
	s_lshl_b32 s30, s19, 7
	s_lshl_b64 s[24:25], s[36:37], 8
	s_add_u32 s24, s12, s24
	v_mov_b32_e32 v67, 0
	s_addc_u32 s25, s13, s25
	v_lshlrev_b32_e32 v66, 4, v74
	v_lshlrev_b32_e32 v27, 8, v27
	s_mov_b32 s58, 0
	s_movk_i32 s26, 0x4000
	v_or_b32_e32 v98, v27, v29
	v_or_b32_e32 v99, v27, v30
	v_add_u32_e32 v128, v1, v2
	s_movk_i32 s37, 0x2000
	s_movk_i32 s59, 0x3000
	v_mov_b32_e32 v58, v67
	v_mov_b32_e32 v59, v67
	;; [unrolled: 1-line block ×4, first 2 shown]
	s_waitcnt vmcnt(1)
	v_perm_b32 v34, v8, v16, s56
	s_waitcnt vmcnt(0)
	v_perm_b32 v35, v12, v20, s56
	v_perm_b32 v8, v8, v16, s57
	;; [unrolled: 1-line block ×15, first 2 shown]
	ds_write2st64_b32 v5, v34, v35 offset0:128 offset1:160
	ds_write2st64_b32 v7, v8, v12 offset0:128 offset1:160
	;; [unrolled: 1-line block ×8, first 2 shown]
	v_or_b32_e32 v5, 48, v74
	v_lshl_or_b32 v7, v5, 3, v6
	v_lshlrev_b32_e32 v5, 8, v5
	v_or_b32_e32 v102, v5, v29
	v_or_b32_e32 v103, v5, v30
	;; [unrolled: 1-line block ×3, first 2 shown]
	v_lshlrev_b32_e32 v5, 3, v5
	v_lshrrev_b32_e32 v9, 5, v75
	v_and_or_b32 v9, v5, s21, v9
	v_lshlrev_b32_e32 v9, 4, v9
	v_or_b32_e32 v100, 0x4000, v7
	v_or_b32_e32 v101, 0x6000, v7
	v_lshlrev_b32_e32 v7, 11, v76
	v_and_b32_e32 v5, 0x78, v5
	v_or_b32_e32 v14, 32, v9
	v_and_b32_e32 v8, 0x1000, v7
	v_xor_b32_e32 v10, v9, v5
	v_lshrrev_b32_e32 v11, 1, v0
	v_xor_b32_e32 v14, v14, v5
	v_or_b32_e32 v10, v10, v8
	v_and_b32_e32 v12, 8, v11
	v_or_b32_e32 v14, v14, v8
	v_xor_b32_e32 v104, v10, v12
	v_lshlrev_b32_e32 v10, 8, v77
	v_xor_b32_e32 v106, v14, v12
	v_or_b32_e32 v14, 64, v9
	v_or_b32_e32 v9, 0x60, v9
	v_or_b32_e32 v13, v10, v24
	v_xor_b32_e32 v14, v14, v5
	v_xor_b32_e32 v5, v9, v5
	v_lshlrev_b32_e32 v13, 1, v13
	v_or_b32_e32 v14, v14, v8
	v_or_b32_e32 v5, v5, v8
	;; [unrolled: 1-line block ×6, first 2 shown]
	v_xor_b32_e32 v110, v14, v12
	v_xor_b32_e32 v111, v5, v12
	v_or_b32_e32 v112, 0x6000, v13
	v_or_b32_e32 v113, 0x6080, v13
	;; [unrolled: 1-line block ×4, first 2 shown]
	v_lshlrev_b32_e32 v12, 1, v4
	v_add_lshl_u32 v13, v4, s19, 1
	s_movk_i32 s21, 0x100
	v_lshlrev_b32_e32 v4, 1, v74
	v_lshrrev_b32_e32 v15, 4, v0
	v_or_b32_e32 v5, 1, v4
	v_mov_b32_e32 v19, 0xa000
	v_mov_b32_e32 v20, 0x8000
	v_cmp_gt_u32_e32 vcc, s21, v0
	v_xor_b32_e32 v16, v15, v4
	v_xor_b32_e32 v17, v5, v15
	v_lshl_add_u64 v[4:5], s[24:25], 0, v[66:67]
	v_lshlrev_b32_e32 v66, 8, v15
	v_cndmask_b32_e32 v19, v19, v20, vcc
	v_lshlrev_b32_e32 v20, 3, v76
	v_and_b32_e32 v11, 24, v11
	v_lshl_or_b32 v116, v16, 3, v66
	v_and_b32_e32 v16, 8, v0
	v_xor_b32_e32 v21, v20, v11
	v_or_b32_e32 v22, 0x440, v21
	v_cmp_eq_u32_e32 vcc, 0, v16
	v_and_b32_e32 v15, 7, v0
	v_lshl_or_b32 v117, v17, 3, v66
	v_cndmask_b32_e32 v16, v22, v21, vcc
	v_lshlrev_b32_e32 v17, 3, v15
	v_lshlrev_b32_e32 v15, 7, v15
	v_or_b32_e32 v16, v16, v7
	v_lshlrev_b32_e32 v18, 2, v0
	v_xad_u32 v118, v16, v17, v15
	v_or_b32_e32 v16, 32, v11
	v_and_or_b32 v10, v18, 60, v10
	v_xor_b32_e32 v16, v20, v16
	v_lshlrev_b32_e32 v10, 1, v10
	v_or_b32_e32 v18, 0x440, v16
	v_or_b32_e32 v119, 0x6000, v10
	v_cndmask_b32_e32 v16, v18, v16, vcc
	v_or_b32_e32 v121, 0x6080, v10
	v_or_b32_e32 v122, 0x6100, v10
	;; [unrolled: 1-line block ×5, first 2 shown]
	v_xor_b32_e32 v10, v20, v10
	v_xad_u32 v120, v16, v17, v15
	v_xor_b32_e32 v16, 0x440, v10
	v_cndmask_b32_e32 v10, v16, v10, vcc
	v_or_b32_e32 v10, v10, v7
	v_xad_u32 v124, v10, v17, v15
	v_or_b32_e32 v10, 0x60, v11
	v_xor_b32_e32 v10, v20, v10
	v_xor_b32_e32 v11, 0x440, v10
	v_or_b32_e32 v8, s36, v74
	v_cndmask_b32_e32 v10, v11, v10, vcc
	v_ashrrev_i32_e32 v9, 31, v8
	v_or_b32_e32 v7, v10, v7
	v_or_b32_e32 v14, 0x100, v3
	v_xad_u32 v125, v7, v17, v15
	v_lshlrev_b64 v[8:9], 1, v[8:9]
	v_cndmask_b32_e64 v126, v12, v3, s[0:1]
	v_cndmask_b32_e64 v127, v13, v14, s[0:1]
	v_lshl_add_u64 v[68:69], s[8:9], 0, v[8:9]
	v_lshl_add_u64 v[70:71], s[14:15], 0, v[8:9]
	;; [unrolled: 1-line block ×3, first 2 shown]
	s_mov_b32 s21, 0x7060302
	v_lshlrev_b32_e32 v66, 1, v6
	v_add_u32_e32 v129, v19, v118
	v_add_u32_e32 v130, v19, v120
	;; [unrolled: 1-line block ×4, first 2 shown]
	v_mov_b32_e32 v62, v67
	v_mov_b32_e32 v63, v67
	;; [unrolled: 1-line block ×28, first 2 shown]
	s_waitcnt lgkmcnt(0)
	s_barrier
.LBB39_6:                               ; =>This Inner Loop Header: Depth=1
	s_add_i32 s60, s58, 1
	s_cmp_lt_i32 s60, s45
	s_mov_b64 s[28:29], 0
	s_cselect_b64 s[40:41], -1, 0
	s_cmp_ge_i32 s60, s45
	s_mov_b64 s[24:25], 0
	s_cbranch_scc1 .LBB39_8
; %bb.7:                                ;   in Loop: Header=BB39_6 Depth=1
	s_add_i32 s0, s52, 64
	s_ashr_i32 s1, s0, 31
	s_add_u32 s0, s49, s0
	s_addc_u32 s1, s48, s1
	s_lshl_b64 s[0:1], s[0:1], 8
	s_add_u32 s24, s6, s0
	s_addc_u32 s25, s7, s1
.LBB39_8:                               ;   in Loop: Header=BB39_6 Depth=1
	v_cndmask_b32_e64 v2, 0, 1, s[40:41]
	v_cmp_ne_u32_e64 s[0:1], 1, v2
	s_andn2_b64 vcc, exec, s[40:41]
	s_cbranch_vccnz .LBB39_10
; %bb.9:                                ;   in Loop: Header=BB39_6 Depth=1
	s_add_i32 s28, s52, 64
	s_mul_hi_i32 s29, s28, s18
	s_mul_i32 s28, s28, s18
	s_add_u32 s28, s28, s50
	s_addc_u32 s29, s29, s54
	s_lshl_b64 s[28:29], s[28:29], 8
	s_add_u32 s28, s4, s28
	s_addc_u32 s29, s5, s29
.LBB39_10:                              ;   in Loop: Header=BB39_6 Depth=1
	v_perm_b32 v3, v65, v64, s21
	v_perm_b32 v2, v63, v62, s21
	v_perm_b32 v5, v61, v60, s21
	v_perm_b32 v4, v59, v58, s21
	ds_write_b64 v88, v[2:3]
	ds_write_b64 v89, v[4:5]
	ds_write_b64 v94, v[2:3]
	ds_write_b64 v95, v[4:5]
	v_perm_b32 v3, v57, v56, s21
	v_perm_b32 v2, v55, v54, s21
	v_perm_b32 v5, v53, v52, s21
	v_perm_b32 v4, v51, v50, s21
	ds_write_b64 v90, v[2:3]
	ds_write_b64 v91, v[4:5]
	ds_write_b64 v96, v[2:3]
	ds_write_b64 v97, v[4:5]
	;; [unrolled: 8-line block ×4, first 2 shown]
	s_waitcnt lgkmcnt(0)
	s_barrier
	ds_read_b64 v[6:7], v104 offset:49152
	ds_read2_b64 v[2:5], v105 offset1:16
	ds_read_b64 v[18:19], v107 offset:6144
	ds_read_b64 v[20:21], v105 offset:6144
	s_waitcnt lgkmcnt(2)
	v_mfma_f32_16x16x16_bf16 a[0:3], v[6:7], v[2:3], 0
	ds_read_b64 v[22:23], v106 offset:49152
	ds_read2st64_b64 v[10:13], v108 offset0:4 offset1:8
	ds_read2st64_b64 v[14:17], v109 offset0:4 offset1:8
	v_mfma_f32_16x16x16_bf16 a[4:7], v[6:7], v[4:5], 0
	ds_read2_b64 v[2:5], v105 offset0:32 offset1:48
	s_add_i32 s31, s52, 63
	s_ashr_i32 s40, s31, 31
	s_waitcnt lgkmcnt(0)
	v_mfma_f32_16x16x16_bf16 a[8:11], v[6:7], v[2:3], 0
	s_mul_i32 s41, s31, s35
	s_mul_hi_u32 s61, s31, s34
	s_add_i32 s41, s61, s41
	v_mfma_f32_16x16x16_bf16 a[12:15], v[6:7], v[4:5], 0
	ds_read2st64_b64 v[2:5], v105 offset0:4 offset1:8
	ds_read2st64_b64 v[6:9], v107 offset0:4 offset1:8
	s_mul_i32 s40, s40, s34
	s_waitcnt lgkmcnt(1)
	v_mfma_f32_16x16x16_bf16 a[0:3], v[22:23], v[2:3], a[0:3]
	s_add_i32 s41, s41, s40
	s_mul_i32 s40, s31, s34
	s_lshl_b64 s[40:41], s[40:41], 2
	s_waitcnt lgkmcnt(0)
	v_mfma_f32_16x16x16_bf16 a[4:7], v[22:23], v[6:7], a[4:7]
	s_add_u32 s40, s2, s40
	s_addc_u32 s41, s3, s41
	s_and_b64 vcc, exec, s[0:1]
	v_mfma_f32_16x16x16_bf16 a[8:11], v[22:23], v[10:11], a[8:11]
	ds_read_b64 v[2:3], v110 offset:49152
	ds_read_b64 v[6:7], v111 offset:49152
	;; [unrolled: 1-line block ×3, first 2 shown]
	v_mov_b32_e32 v135, 0
	v_mov_b32_e32 v134, 0
	v_mfma_f32_16x16x16_bf16 a[12:15], v[22:23], v[14:15], a[12:15]
	v_mov_b32_e32 v133, 0
	v_mov_b32_e32 v14, 0
	;; [unrolled: 1-line block ×3, first 2 shown]
	s_waitcnt lgkmcnt(2)
	v_mfma_f32_16x16x16_bf16 a[0:3], v[2:3], v[4:5], a[0:3]
	v_mov_b32_e32 v4, 0
	v_mov_b32_e32 v5, 0
	v_mfma_f32_16x16x16_bf16 a[16:19], v[2:3], v[8:9], a[4:7]
	v_mov_b32_e32 v8, 0
	v_mov_b32_e32 v9, 0
	;; [unrolled: 3-line block ×3, first 2 shown]
	v_mfma_f32_16x16x16_bf16 a[24:27], v[2:3], v[16:17], a[12:15]
	ds_read_b64 v[2:3], v108 offset:6144
	v_mov_b32_e32 v16, 0
	v_mov_b32_e32 v17, 0
	s_waitcnt lgkmcnt(2)
	v_mfma_f32_16x16x16_bf16 a[4:7], v[6:7], v[20:21], a[0:3]
	v_mfma_f32_16x16x16_bf16 a[8:11], v[6:7], v[18:19], a[16:19]
	s_waitcnt lgkmcnt(0)
	v_mfma_f32_16x16x16_bf16 a[12:15], v[6:7], v[2:3], a[20:23]
	v_mov_b32_e32 v2, 0
	v_mov_b32_e32 v3, 0
	v_mfma_f32_16x16x16_bf16 a[0:3], v[6:7], v[10:11], a[24:27]
	v_mov_b32_e32 v6, 0
	v_mov_b32_e32 v7, 0
	;; [unrolled: 1-line block ×4, first 2 shown]
	s_cbranch_vccnz .LBB39_12
; %bb.11:                               ;   in Loop: Header=BB39_6 Depth=1
	s_and_b32 s25, s25, 0xffff
	buffer_load_dwordx4 v[14:17], v84, s[24:27], 0 offen
	buffer_load_dwordx4 v[10:13], v84, s[24:27], s55 offen
	;; [unrolled: 1-line block ×4, first 2 shown]
	v_mov_b32_e32 v134, v86
	v_mov_b32_e32 v133, v87
.LBB39_12:                              ;   in Loop: Header=BB39_6 Depth=1
	ds_read_b64 v[30:31], v104 offset:57344
	ds_read2_b64 v[18:21], v112 offset1:16
	ds_read_b64 v[136:137], v106 offset:57344
	ds_read_b64 v[138:139], v110 offset:57344
	;; [unrolled: 1-line block ×3, first 2 shown]
	v_add_u32_e32 v32, s52, v128
	s_waitcnt lgkmcnt(3)
	v_mfma_f32_16x16x16_bf16 a[4:7], v[30:31], v[18:19], a[4:7]
	v_mfma_f32_16x16x16_bf16 a[8:11], v[30:31], v[20:21], a[8:11]
	ds_read2_b64 v[18:21], v112 offset0:32 offset1:48
	ds_read2st64_b64 v[22:25], v112 offset0:4 offset1:8
	ds_read2st64_b64 v[26:29], v113 offset0:4 offset1:8
	s_waitcnt lgkmcnt(2)
	v_mfma_f32_16x16x16_bf16 a[12:15], v[30:31], v[18:19], a[12:15]
	v_ashrrev_i32_e32 v18, 31, v32
	v_mul_lo_u32 v33, v18, s34
	v_mad_u64_u32 v[18:19], s[24:25], v32, s34, 0
	v_mfma_f32_16x16x16_bf16 a[0:3], v[30:31], v[20:21], a[0:3]
	v_mul_lo_u32 v20, v32, s35
	v_add3_u32 v19, v19, v20, v33
	v_add_u32_e32 v20, 1, v32
	v_ashrrev_i32_e32 v21, 31, v20
	s_waitcnt lgkmcnt(1)
	v_mfma_f32_16x16x16_bf16 a[4:7], v[136:137], v[22:23], a[4:7]
	v_mul_lo_u32 v22, v21, s34
	v_mul_lo_u32 v23, v20, s35
	v_mad_u64_u32 v[20:21], s[24:25], v20, s34, 0
	v_add3_u32 v21, v21, v23, v22
	v_add_u32_e32 v22, 2, v32
	v_ashrrev_i32_e32 v23, 31, v22
	v_mul_lo_u32 v30, v23, s34
	v_mul_lo_u32 v31, v22, s35
	v_mad_u64_u32 v[22:23], s[24:25], v22, s34, 0
	v_add3_u32 v23, v23, v31, v30
	v_add_u32_e32 v30, 3, v32
	v_ashrrev_i32_e32 v31, 31, v30
	v_mul_lo_u32 v32, v31, s34
	v_mul_lo_u32 v33, v30, s35
	v_mad_u64_u32 v[30:31], s[24:25], v30, s34, 0
	s_ashr_i32 s25, s52, 31
	s_add_u32 s24, s49, s52
	s_addc_u32 s25, s48, s25
	v_lshl_add_u64 v[18:19], v[18:19], 2, s[2:3]
	v_add3_u32 v31, v31, v33, v32
	s_lshl_b64 s[24:25], s[24:25], 8
	v_lshl_add_u64 v[20:21], v[20:21], 2, s[2:3]
	v_lshl_add_u64 v[22:23], v[22:23], 2, s[2:3]
	;; [unrolled: 1-line block ×3, first 2 shown]
	global_load_dword v142, v[18:19], off
	global_load_dword v143, v[20:21], off
	;; [unrolled: 1-line block ×4, first 2 shown]
	v_lshl_add_u64 v[18:19], v[68:69], 0, s[24:25]
	v_lshl_add_u64 v[22:23], v[18:19], 0, v[66:67]
	global_load_ushort v146, v[22:23], off offset:256
	global_load_ushort v147, v[22:23], off
	ds_read2st64_b64 v[18:21], v114 offset0:4 offset1:8
	global_load_ushort v148, v[22:23], off offset:768
	global_load_ushort v149, v[22:23], off offset:512
	ds_read2st64_b64 v[30:33], v115 offset0:4 offset1:8
	global_load_ushort v150, v[22:23], off offset:288
	global_load_ushort v151, v[22:23], off offset:32
	;; [unrolled: 1-line block ×4, first 2 shown]
	s_waitcnt lgkmcnt(2)
	v_mfma_f32_16x16x16_bf16 a[8:11], v[136:137], v[26:27], a[8:11]
	global_load_ushort v154, v[22:23], off offset:320
	global_load_ushort v155, v[22:23], off offset:64
	;; [unrolled: 1-line block ×4, first 2 shown]
	s_and_b64 vcc, exec, s[0:1]
	s_waitcnt lgkmcnt(1)
	v_mfma_f32_16x16x16_bf16 a[12:15], v[136:137], v[18:19], a[12:15]
	ds_read_b64 v[18:19], v112 offset:6144
	s_waitcnt lgkmcnt(1)
	v_mfma_f32_16x16x16_bf16 a[0:3], v[136:137], v[30:31], a[0:3]
	v_lshl_add_u64 v[30:31], v[70:71], 0, s[24:25]
	v_lshl_add_u64 v[30:31], v[30:31], 0, v[66:67]
	v_mfma_f32_16x16x16_bf16 a[4:7], v[138:139], v[24:25], a[4:7]
	v_mfma_f32_16x16x16_bf16 a[8:11], v[138:139], v[28:29], a[8:11]
	;; [unrolled: 1-line block ×4, first 2 shown]
	global_load_ushort v138, v[22:23], off offset:352
	global_load_ushort v139, v[22:23], off offset:96
	ds_read_b64 v[20:21], v113 offset:6144
	ds_read_b64 v[24:25], v114 offset:6144
	ds_read_b64 v[26:27], v115 offset:6144
	s_load_dword s40, s[40:41], 0x0
	global_load_ushort v158, v[22:23], off offset:864
	global_load_ushort v159, v[22:23], off offset:608
	s_waitcnt lgkmcnt(0)
	v_mfma_f32_16x16x16_bf16 a[4:7], v[140:141], v[18:19], a[4:7]
	s_waitcnt vmcnt(17)
	v_sub_f32_e32 v28, s40, v144
	v_mfma_f32_16x16x16_bf16 a[0:3], v[140:141], v[26:27], a[0:3]
	v_sub_f32_e32 v26, s40, v142
	v_sub_f32_e32 v27, s40, v143
	s_waitcnt vmcnt(16)
	v_sub_f32_e32 v29, s40, v145
	v_mfma_f32_16x16x16_bf16 a[8:11], v[140:141], v[20:21], a[8:11]
	v_exp_f32_e32 v26, v26
	v_exp_f32_e32 v27, v27
	;; [unrolled: 1-line block ×4, first 2 shown]
	v_accvgpr_read_b32 v137, a5
	s_waitcnt vmcnt(15)
	v_lshlrev_b32_e32 v33, 16, v146
	s_waitcnt vmcnt(14)
	v_lshlrev_b32_e32 v32, 16, v147
	v_accvgpr_read_b32 v136, a4
	v_accvgpr_read_b32 v19, a7
	;; [unrolled: 1-line block ×3, first 2 shown]
	v_pk_add_f32 v[32:33], v[32:33], v[136:137] neg_lo:[0,1] neg_hi:[0,1]
	s_waitcnt vmcnt(13)
	v_lshlrev_b32_e32 v137, 16, v148
	s_waitcnt vmcnt(12)
	v_lshlrev_b32_e32 v136, 16, v149
	v_pk_add_f32 v[18:19], v[136:137], v[18:19] neg_lo:[0,1] neg_hi:[0,1]
	global_store_short_d16_hi v[30:31], v32, off
	global_store_short_d16_hi v[30:31], v33, off offset:256
	global_store_short_d16_hi v[30:31], v18, off offset:512
	;; [unrolled: 1-line block ×3, first 2 shown]
	v_pk_mul_f32 v[32:33], v[26:27], v[32:33]
	v_pk_mul_f32 v[18:19], v[28:29], v[18:19]
	v_accvgpr_read_b32 v137, a9
	v_perm_b32 v32, v33, v32, s21
	v_perm_b32 v33, v19, v18, s21
	s_waitcnt vmcnt(15)
	v_lshlrev_b32_e32 v19, 16, v150
	s_waitcnt vmcnt(14)
	v_lshlrev_b32_e32 v18, 16, v151
	v_accvgpr_read_b32 v136, a8
	v_accvgpr_read_b32 v21, a11
	v_mfma_f32_16x16x16_bf16 a[12:15], v[140:141], v[24:25], a[12:15]
	v_accvgpr_read_b32 v20, a10
	v_pk_add_f32 v[18:19], v[18:19], v[136:137] neg_lo:[0,1] neg_hi:[0,1]
	s_waitcnt vmcnt(13)
	v_lshlrev_b32_e32 v137, 16, v152
	s_waitcnt vmcnt(12)
	v_lshlrev_b32_e32 v136, 16, v153
	v_pk_add_f32 v[20:21], v[136:137], v[20:21] neg_lo:[0,1] neg_hi:[0,1]
	global_store_short_d16_hi v[30:31], v18, off offset:32
	global_store_short_d16_hi v[30:31], v19, off offset:288
	;; [unrolled: 1-line block ×4, first 2 shown]
	v_pk_mul_f32 v[18:19], v[26:27], v[18:19]
	v_pk_mul_f32 v[20:21], v[28:29], v[20:21]
	v_accvgpr_read_b32 v23, a15
	v_perm_b32 v21, v21, v20, s21
	v_perm_b32 v20, v19, v18, s21
	ds_write2_b64 v89, v[32:33], v[20:21] offset1:16
	v_accvgpr_read_b32 v21, a13
	s_waitcnt vmcnt(15)
	v_lshlrev_b32_e32 v19, 16, v154
	s_waitcnt vmcnt(14)
	v_lshlrev_b32_e32 v18, 16, v155
	v_accvgpr_read_b32 v20, a12
	v_accvgpr_read_b32 v22, a14
	v_pk_add_f32 v[18:19], v[18:19], v[20:21] neg_lo:[0,1] neg_hi:[0,1]
	s_waitcnt vmcnt(13)
	v_lshlrev_b32_e32 v21, 16, v156
	s_waitcnt vmcnt(12)
	v_lshlrev_b32_e32 v20, 16, v157
	v_pk_add_f32 v[20:21], v[20:21], v[22:23] neg_lo:[0,1] neg_hi:[0,1]
	global_store_short_d16_hi v[30:31], v18, off offset:64
	global_store_short_d16_hi v[30:31], v19, off offset:320
	;; [unrolled: 1-line block ×4, first 2 shown]
	v_pk_mul_f32 v[18:19], v[26:27], v[18:19]
	v_pk_mul_f32 v[20:21], v[28:29], v[20:21]
	v_accvgpr_read_b32 v23, a1
	v_perm_b32 v18, v19, v18, s21
	v_perm_b32 v19, v21, v20, s21
	s_waitcnt vmcnt(15)
	v_lshlrev_b32_e32 v21, 16, v138
	s_waitcnt vmcnt(14)
	v_lshlrev_b32_e32 v20, 16, v139
	v_accvgpr_read_b32 v22, a0
	v_accvgpr_read_b32 v25, a3
	;; [unrolled: 1-line block ×3, first 2 shown]
	v_pk_add_f32 v[20:21], v[20:21], v[22:23] neg_lo:[0,1] neg_hi:[0,1]
	s_waitcnt vmcnt(13)
	v_lshlrev_b32_e32 v23, 16, v158
	s_waitcnt vmcnt(12)
	v_lshlrev_b32_e32 v22, 16, v159
	v_pk_add_f32 v[22:23], v[22:23], v[24:25] neg_lo:[0,1] neg_hi:[0,1]
	global_store_short_d16_hi v[30:31], v20, off offset:96
	global_store_short_d16_hi v[30:31], v21, off offset:352
	;; [unrolled: 1-line block ×4, first 2 shown]
	v_pk_mul_f32 v[20:21], v[26:27], v[20:21]
	v_pk_mul_f32 v[22:23], v[28:29], v[22:23]
	v_mov_b32_e32 v136, 0
	v_perm_b32 v23, v23, v22, s21
	v_perm_b32 v22, v21, v20, s21
	ds_write2_b64 v89, v[18:19], v[22:23] offset0:32 offset1:48
	v_mov_b32_e32 v18, 0
	v_mov_b32_e32 v19, 0
	;; [unrolled: 1-line block ×16, first 2 shown]
	s_cbranch_vccnz .LBB39_14
; %bb.13:                               ;   in Loop: Header=BB39_6 Depth=1
	s_and_b32 s29, s29, 0xffff
	s_mov_b32 s31, s27
	buffer_load_dwordx4 v[30:33], v126, s[28:31], 0 offen
	buffer_load_dwordx4 v[22:25], v126, s[28:31], s55 offen
	;; [unrolled: 1-line block ×4, first 2 shown]
	v_mov_b32_e32 v135, v83
	v_mov_b32_e32 v136, v82
.LBB39_14:                              ;   in Loop: Header=BB39_6 Depth=1
	s_waitcnt lgkmcnt(0)
	s_barrier
	ds_read_b64 v[146:147], v129
	ds_read2_b64 v[138:141], v119 offset1:16
	ds_read_b64 v[162:163], v130
	ds_read_b64 v[164:165], v131
	;; [unrolled: 1-line block ×3, first 2 shown]
	ds_read2_b64 v[142:145], v119 offset0:32 offset1:48
	s_waitcnt lgkmcnt(4)
	v_mfma_f32_16x16x16_bf16 a[0:3], v[146:147], v[138:139], 0
	ds_read2st64_b64 v[150:153], v121 offset0:4 offset1:8
	ds_read2st64_b64 v[154:157], v122 offset0:4 offset1:8
	;; [unrolled: 1-line block ×3, first 2 shown]
	v_mfma_f32_16x16x16_bf16 a[4:7], v[146:147], v[140:141], 0
	s_add_i32 s24, s46, s58
	s_mul_hi_i32 s25, s24, s51
	s_mul_i32 s24, s24, s51
	s_waitcnt lgkmcnt(3)
	v_mfma_f32_16x16x16_bf16 a[8:11], v[146:147], v[142:143], 0
	s_add_u32 s24, s24, s33
	s_addc_u32 s25, s25, s53
	s_lshl_b64 s[24:25], s[24:25], 15
	v_mfma_f32_16x16x16_bf16 a[12:15], v[146:147], v[144:145], 0
	ds_read2st64_b64 v[146:149], v119 offset0:4 offset1:8
	s_waitcnt lgkmcnt(0)
	v_mfma_f32_16x16x16_bf16 a[0:3], v[162:163], v[146:147], a[0:3]
	v_mfma_f32_16x16x16_bf16 a[4:7], v[162:163], v[150:151], a[4:7]
	;; [unrolled: 1-line block ×8, first 2 shown]
	ds_read_b64 v[162:163], v119 offset:6144
	ds_read_b64 v[164:165], v120 offset:40960
	;; [unrolled: 1-line block ×8, first 2 shown]
	s_waitcnt lgkmcnt(5)
	v_mfma_f32_16x16x16_bf16 a[16:19], v[168:169], v[138:139], 0
	v_mfma_f32_16x16x16_bf16 a[20:23], v[168:169], v[140:141], 0
	ds_read2st64_b64 v[138:141], v116 offset1:8
	v_mfma_f32_16x16x16_bf16 a[24:27], v[168:169], v[142:143], 0
	v_mfma_f32_16x16x16_bf16 a[28:31], v[168:169], v[144:145], 0
	ds_read2st64_b64 v[142:145], v117 offset1:8
	v_mfma_f32_16x16x16_bf16 a[16:19], v[164:165], v[146:147], a[16:19]
	s_waitcnt lgkmcnt(1)
	v_mov_b32_e32 v146, v138
	v_mov_b32_e32 v147, v139
	v_mfma_f32_16x16x16_bf16 a[20:23], v[164:165], v[150:151], a[20:23]
	v_lshl_add_u64 v[150:151], v[72:73], 0, s[24:25]
	v_mfma_f32_16x16x16_bf16 a[24:27], v[164:165], v[154:155], a[24:27]
	v_mfma_f32_16x16x16_bf16 a[28:31], v[164:165], v[158:159], a[28:31]
	;; [unrolled: 1-line block ×3, first 2 shown]
	s_waitcnt lgkmcnt(0)
	v_mov_b32_e32 v148, v142
	v_mov_b32_e32 v149, v143
	;; [unrolled: 1-line block ×3, first 2 shown]
	v_mfma_f32_16x16x16_bf16 a[32:35], v[176:177], v[152:153], a[20:23]
	v_mov_b32_e32 v143, v141
	ds_read2st64_b64 v[138:141], v116 offset0:16 offset1:24
	global_store_dwordx4 v[150:151], v[146:149], off
	v_mfma_f32_16x16x16_bf16 a[24:27], v[176:177], v[156:157], a[24:27]
	ds_read2st64_b64 v[146:149], v117 offset0:16 offset1:24
	v_add_co_u32_e32 v152, vcc, s37, v150
	v_mfma_f32_16x16x16_bf16 a[28:31], v[176:177], v[160:161], a[28:31]
	s_nop 0
	v_addc_co_u32_e32 v153, vcc, 0, v151, vcc
	global_store_dwordx4 v[152:153], v[142:145], off offset:-4096
	v_mfma_f32_16x16x16_bf16 a[0:3], v[166:167], v[162:163], a[0:3]
	s_waitcnt lgkmcnt(1)
	v_mov_b32_e32 v142, v138
	v_add_co_u32_e32 v138, vcc, s59, v150
	v_mfma_f32_16x16x16_bf16 a[4:7], v[166:167], v[170:171], a[4:7]
	v_mov_b32_e32 v143, v139
	v_addc_co_u32_e32 v139, vcc, 0, v151, vcc
	v_mfma_f32_16x16x16_bf16 a[8:11], v[166:167], v[172:173], a[8:11]
	s_waitcnt lgkmcnt(0)
	v_mov_b32_e32 v144, v146
	v_mov_b32_e32 v145, v147
	;; [unrolled: 1-line block ×3, first 2 shown]
	v_mfma_f32_16x16x16_bf16 a[12:15], v[166:167], v[174:175], a[12:15]
	v_mov_b32_e32 v147, v141
	s_and_b64 vcc, exec, s[0:1]
	global_store_dwordx4 v[152:153], v[142:145], off
	v_mfma_f32_16x16x16_bf16 a[20:23], v[178:179], v[162:163], a[16:19]
	global_store_dwordx4 v[138:139], v[146:149], off
	v_mfma_f32_16x16x16_bf16 a[16:19], v[178:179], v[170:171], a[32:35]
	v_mfma_f32_16x16x16_bf16 a[24:27], v[178:179], v[172:173], a[24:27]
	;; [unrolled: 1-line block ×3, first 2 shown]
	s_cbranch_vccnz .LBB39_16
; %bb.15:                               ;   in Loop: Header=BB39_6 Depth=1
	v_lshrrev_b32_e32 v137, 3, v135
	v_and_b32_e32 v137, 6, v137
	v_xor_b32_e32 v136, v137, v136
	v_lshlrev_b32_e32 v136, 2, v136
	v_and_b32_e32 v135, 8, v135
	v_xor_b32_e32 v138, 0x440, v136
	v_cmp_eq_u32_e32 vcc, 0, v135
	s_barrier
	s_nop 0
	v_cndmask_b32_e32 v135, v138, v136, vcc
	v_lshl_or_b32 v135, v137, 10, v135
	s_waitcnt vmcnt(5)
	v_perm_b32 v136, v30, v26, s56
	s_waitcnt vmcnt(4)
	v_perm_b32 v137, v22, v18, s56
	ds_write2st64_b32 v135, v136, v137 offset0:128 offset1:160
	v_xor_b32_e32 v136, 8, v135
	v_perm_b32 v26, v30, v26, s57
	v_perm_b32 v18, v22, v18, s57
	v_add_u32_e32 v22, 0x80, v136
	ds_write2st64_b32 v22, v26, v18 offset0:128 offset1:160
	v_xor_b32_e32 v18, 16, v135
	v_perm_b32 v22, v31, v27, s56
	v_perm_b32 v26, v23, v19, s56
	ds_write2st64_b32 v18, v22, v26 offset0:129 offset1:161
	v_xor_b32_e32 v18, 24, v135
	v_perm_b32 v22, v31, v27, s57
	v_perm_b32 v19, v23, v19, s57
	v_add_u32_e32 v18, 0x80, v18
	ds_write2st64_b32 v18, v22, v19 offset0:129 offset1:161
	v_xor_b32_e32 v18, 32, v135
	v_perm_b32 v19, v32, v28, s56
	;; [unrolled: 9-line block ×3, first 2 shown]
	v_perm_b32 v20, v25, v21, s56
	ds_write2st64_b32 v18, v19, v20 offset0:131 offset1:163
	v_xor_b32_e32 v18, 56, v135
	v_perm_b32 v19, v33, v29, s57
	v_perm_b32 v20, v25, v21, s57
	v_add_u32_e32 v18, 0x80, v18
	ds_write2st64_b32 v18, v19, v20 offset0:131 offset1:163
	ds_write_b64 v134, v[14:15] offset:49152
	v_xor_b32_e32 v14, 8, v134
	ds_write_b64 v14, v[16:17] offset:49152
	ds_write_b64 v134, v[10:11] offset:57344
	;; [unrolled: 1-line block ×4, first 2 shown]
	v_xor_b32_e32 v6, 8, v133
	ds_write_b64 v6, v[8:9] offset:49152
	ds_write_b64 v133, v[2:3] offset:57344
	;; [unrolled: 1-line block ×3, first 2 shown]
.LBB39_16:                              ;   in Loop: Header=BB39_6 Depth=1
	v_exp_f32_e32 v134, s40
	v_accvgpr_read_b32 v5, a3
	v_accvgpr_read_b32 v9, a7
	;; [unrolled: 1-line block ×4, first 2 shown]
	s_waitcnt vmcnt(4)
	v_accvgpr_read_b32 v18, a20
	v_accvgpr_read_b32 v25, a19
	;; [unrolled: 1-line block ×28, first 2 shown]
	s_add_i32 s52, s52, 64
	v_pk_fma_f32 v[62:63], v[134:135], v[62:63], v[2:3] op_sel_hi:[0,1,1]
	v_pk_fma_f32 v[64:65], v[134:135], v[64:65], v[4:5] op_sel_hi:[0,1,1]
	;; [unrolled: 1-line block ×15, first 2 shown]
	s_cmp_eq_u32 s45, s60
	v_pk_fma_f32 v[38:39], v[134:135], v[38:39], v[32:33] op_sel_hi:[0,1,1]
	s_cbranch_scc1 .LBB39_18
; %bb.17:                               ;   in Loop: Header=BB39_6 Depth=1
	s_mov_b32 s58, s60
	s_branch .LBB39_6
.LBB39_18:
	s_lshl_b32 s0, s45, 6
	s_sub_i32 s47, s47, s0
	s_cmp_gt_i32 s47, 0
	s_cbranch_scc0 .LBB39_99
; %bb.19:
	s_add_i32 s38, s0, s38
	s_ashr_i32 s2, s38, 31
	s_cmpk_lg_i32 s19, 0x80
	s_cselect_b64 s[30:31], -1, 0
	s_and_b64 vcc, exec, s[30:31]
	s_cbranch_vccz .LBB39_21
; %bb.20:
	s_mul_i32 s1, s38, s18
	s_ashr_i32 s3, s50, 31
	s_mul_hi_i32 s0, s38, s18
	s_add_u32 s40, s1, s50
	s_addc_u32 s41, s0, s3
	s_cbranch_execz .LBB39_22
	s_branch .LBB39_23
.LBB39_21:
                                        ; implicit-def: $sgpr40_sgpr41
.LBB39_22:
	s_mul_i32 s1, s50, s16
	s_mul_hi_i32 s0, s50, s16
	s_add_u32 s40, s1, s38
	s_addc_u32 s41, s0, s2
.LBB39_23:
	s_add_i32 s3, s45, s46
	s_ashr_i32 s16, s33, 31
	s_add_u32 s0, s49, s38
	v_lshlrev_b32_e32 v6, 6, v80
	v_lshlrev_b32_e32 v24, 2, v74
	s_addc_u32 s1, s48, s2
	s_mov_b32 s2, 0x7060302
	v_or_b32_e32 v9, v6, v24
	v_xor_b32_e32 v7, v80, v24
	v_perm_b32 v3, v65, v64, s2
	v_perm_b32 v2, v63, v62, s2
	v_perm_b32 v5, v61, v60, s2
	v_perm_b32 v4, v59, v58, s2
	v_lshlrev_b32_e32 v9, 1, v9
	v_xor_b32_e32 v8, v81, v24
	ds_write2st64_b64 v9, v[2:3], v[4:5] offset0:32 offset1:48
	v_lshlrev_b32_e32 v7, 1, v7
	v_lshlrev_b32_e32 v9, 8, v74
	v_or_b32_e32 v10, v7, v9
	v_lshlrev_b32_e32 v8, 1, v8
	ds_write_b64 v10, v[2:3]
	v_or_b32_e32 v2, v8, v9
	v_or_b32_e32 v9, 16, v74
	v_lshlrev_b32_e32 v23, 2, v9
	v_or_b32_e32 v10, v6, v23
	ds_write_b64 v2, v[4:5]
	v_perm_b32 v3, v57, v56, s2
	v_perm_b32 v2, v55, v54, s2
	;; [unrolled: 1-line block ×4, first 2 shown]
	v_lshlrev_b32_e32 v10, 1, v10
	v_lshlrev_b32_e32 v9, 8, v9
	ds_write2st64_b64 v10, v[2:3], v[4:5] offset0:32 offset1:48
	v_or_b32_e32 v10, v7, v9
	ds_write_b64 v10, v[2:3]
	v_or_b32_e32 v2, v8, v9
	v_or_b32_e32 v9, 32, v74
	v_lshlrev_b32_e32 v22, 2, v9
	v_or_b32_e32 v10, v6, v22
	s_lshl_b64 s[28:29], s[0:1], 8
	ds_write_b64 v2, v[4:5]
	v_perm_b32 v3, v49, v48, s2
	v_perm_b32 v2, v47, v46, s2
	;; [unrolled: 1-line block ×4, first 2 shown]
	v_lshlrev_b32_e32 v10, 1, v10
	v_lshlrev_b32_e32 v9, 8, v9
	s_add_u32 s0, s6, s28
	ds_write2st64_b64 v10, v[2:3], v[4:5] offset0:32 offset1:48
	v_or_b32_e32 v10, v7, v9
	s_addc_u32 s1, s7, s29
	ds_write_b64 v10, v[2:3]
	v_or_b32_e32 v2, v8, v9
	v_or_b32_e32 v9, 48, v74
	s_mul_hi_i32 s6, s3, s17
	s_mul_i32 s3, s3, s17
	ds_write_b64 v2, v[4:5]
	v_perm_b32 v3, v35, v34, s2
	v_perm_b32 v2, v41, v40, s2
	;; [unrolled: 1-line block ×4, first 2 shown]
	v_lshlrev_b32_e32 v19, 2, v9
	s_add_u32 s2, s3, s33
	v_or_b32_e32 v6, v6, v19
	s_addc_u32 s3, s6, s16
	v_lshlrev_b32_e32 v6, 1, v6
	s_ashr_i32 s37, s36, 31
	s_lshl_b64 s[2:3], s[2:3], 15
	ds_write2st64_b64 v6, v[2:3], v[4:5] offset0:32 offset1:48
	v_lshlrev_b32_e32 v6, 8, v9
	s_add_u32 s6, s12, s2
	v_or_b32_e32 v7, v7, v6
	s_addc_u32 s7, s13, s3
	s_lshl_b64 s[2:3], s[36:37], 8
	ds_write_b64 v7, v[2:3]
	v_or_b32_e32 v2, v8, v6
	s_add_u32 s2, s6, s2
	v_lshlrev_b32_e32 v3, 1, v74
	ds_write_b64 v2, v[4:5]
	v_lshrrev_b32_e32 v2, 4, v0
	s_addc_u32 s3, s7, s3
	v_or_b32_e32 v4, 1, v3
	v_lshlrev_b32_e32 v10, 4, v74
	v_mov_b32_e32 v11, 0
	v_xor_b32_e32 v3, v2, v3
	v_xor_b32_e32 v6, v4, v2
	v_lshl_add_u64 v[12:13], s[2:3], 0, v[10:11]
	v_lshlrev_b32_e32 v10, 8, v2
	v_lshl_or_b32 v16, v3, 3, v10
	v_lshl_or_b32 v17, v6, 3, v10
	s_waitcnt lgkmcnt(0)
	s_barrier
	ds_read2st64_b64 v[2:5], v16 offset1:8
	ds_read2st64_b64 v[6:9], v17 offset1:8
	v_lshl_add_u64 v[14:15], v[12:13], 0, v[10:11]
	s_movk_i32 s2, 0x2000
	s_cmp_lg_u32 s47, 64
	s_waitcnt lgkmcnt(1)
	v_mov_b32_e32 v10, v2
	v_mov_b32_e32 v11, v3
	s_waitcnt lgkmcnt(0)
	v_mov_b32_e32 v12, v6
	v_mov_b32_e32 v13, v7
	global_store_dwordx4 v[14:15], v[10:13], off
	v_mov_b32_e32 v6, v4
	v_mov_b32_e32 v7, v5
	ds_read2st64_b64 v[2:5], v16 offset0:16 offset1:24
	ds_read2st64_b64 v[10:13], v17 offset0:16 offset1:24
	v_add_co_u32_e32 v16, vcc, s2, v14
	s_cselect_b64 s[6:7], -1, 0
	s_nop 0
	v_addc_co_u32_e32 v17, vcc, 0, v15, vcc
	global_store_dwordx4 v[16:17], v[6:9], off offset:-4096
	v_lshl_or_b32 v25, v76, 3, v79
	s_mov_b32 s24, 0
	s_waitcnt lgkmcnt(1)
	v_mov_b32_e32 v6, v2
	v_add_co_u32_e32 v2, vcc, 0x3000, v14
	v_mov_b32_e32 v7, v3
	s_nop 0
	v_addc_co_u32_e32 v3, vcc, 0, v15, vcc
	s_waitcnt lgkmcnt(0)
	v_mov_b32_e32 v8, v10
	v_mov_b32_e32 v9, v11
	v_mov_b32_e32 v10, v4
	v_mov_b32_e32 v11, v5
	v_or_b32_e32 v20, 32, v25
	v_and_b32_e32 v18, 56, v78
	s_and_b64 vcc, exec, s[6:7]
	global_store_dwordx4 v[16:17], v[6:9], off
	global_store_dwordx4 v[2:3], v[10:13], off
	s_cbranch_vccz .LBB39_29
; %bb.24:
	s_mov_b32 s25, s24
	s_mov_b32 s26, s24
	;; [unrolled: 1-line block ×3, first 2 shown]
	v_mov_b64_e32 v[6:7], s[24:25]
	v_mov_b64_e32 v[8:9], s[26:27]
	;; [unrolled: 1-line block ×3, first 2 shown]
	v_cmp_gt_i32_e32 vcc, s47, v25
	v_mov_b64_e32 v[4:5], v[8:9]
	s_and_saveexec_b64 s[2:3], vcc
	s_cbranch_execz .LBB39_26
; %bb.25:
	v_lshlrev_b32_e32 v2, 8, v25
	v_mov_b32_e32 v3, 0
	v_lshl_add_u64 v[4:5], s[0:1], 0, v[2:3]
	v_lshlrev_b32_e32 v2, 1, v18
	v_lshl_add_u64 v[10:11], v[4:5], 0, v[2:3]
	global_load_dwordx4 v[6:9], v[10:11], off
	global_load_dwordx4 v[2:5], v[10:11], off offset:128
.LBB39_26:
	s_or_b64 exec, exec, s[2:3]
	s_mov_b32 s25, s24
	s_mov_b32 s26, s24
	;; [unrolled: 1-line block ×3, first 2 shown]
	v_mov_b64_e32 v[14:15], s[24:25]
	v_mov_b64_e32 v[16:17], s[26:27]
	;; [unrolled: 1-line block ×3, first 2 shown]
	v_cmp_gt_i32_e32 vcc, s47, v20
	v_lshlrev_b32_e32 v21, 7, v20
	v_mov_b64_e32 v[12:13], v[16:17]
	s_and_saveexec_b64 s[2:3], vcc
	s_cbranch_execz .LBB39_28
; %bb.27:
	v_lshlrev_b32_e32 v10, 1, v21
	v_mov_b32_e32 v11, 0
	v_lshl_add_u64 v[12:13], s[0:1], 0, v[10:11]
	v_lshlrev_b32_e32 v10, 1, v18
	v_lshl_add_u64 v[26:27], v[12:13], 0, v[10:11]
	global_load_dwordx4 v[14:17], v[26:27], off
	global_load_dwordx4 v[10:13], v[26:27], off offset:128
.LBB39_28:
	s_or_b64 exec, exec, s[2:3]
	v_lshrrev_b32_e32 v26, 3, v18
	v_lshlrev_b32_e32 v27, 3, v25
	v_or_b32_e32 v26, v27, v26
	v_lshlrev_b32_e32 v26, 4, v26
	v_and_b32_e32 v27, 0x78, v27
	v_xor_b32_e32 v26, v26, v27
	s_branch .LBB39_31
.LBB39_29:
                                        ; implicit-def: $vgpr26
                                        ; implicit-def: $vgpr21
                                        ; implicit-def: $vgpr6_vgpr7_vgpr8_vgpr9
                                        ; implicit-def: $vgpr2_vgpr3_vgpr4_vgpr5
                                        ; implicit-def: $vgpr14_vgpr15_vgpr16_vgpr17
                                        ; implicit-def: $vgpr10_vgpr11_vgpr12_vgpr13
	s_cbranch_execz .LBB39_31
; %bb.30:
	s_waitcnt vmcnt(0)
	v_lshlrev_b32_e32 v2, 1, v18
	v_lshl_or_b32 v21, v25, 8, v2
	s_and_b32 s1, s1, 0xffff
	s_mov_b32 s3, 0x20000
	s_movk_i32 s2, 0x4000
	v_lshl_or_b32 v26, v20, 8, v2
	s_movk_i32 s12, 0x80
	buffer_load_dwordx4 v[6:9], v21, s[0:3], 0 offen
	buffer_load_dwordx4 v[2:5], v21, s[0:3], s12 offen
	buffer_load_dwordx4 v[14:17], v26, s[0:3], 0 offen
	buffer_load_dwordx4 v[10:13], v26, s[0:3], s12 offen
	v_lshrrev_b32_e32 v21, 3, v18
	v_lshlrev_b32_e32 v26, 3, v25
	v_or_b32_e32 v21, v26, v21
	v_lshlrev_b32_e32 v21, 4, v21
	v_and_b32_e32 v26, 0x78, v26
	v_xor_b32_e32 v26, v21, v26
	v_lshlrev_b32_e32 v21, 7, v20
.LBB39_31:
	s_movk_i32 s0, 0x1000
	v_and_or_b32 v20, v21, s0, v26
	s_waitcnt vmcnt(1)
	ds_write_b64 v26, v[6:7] offset:49152
	v_xor_b32_e32 v6, 8, v26
	ds_write_b64 v6, v[8:9] offset:49152
	s_waitcnt vmcnt(0)
	ds_write_b64 v26, v[2:3] offset:57344
	ds_write_b64 v6, v[4:5] offset:57344
	;; [unrolled: 1-line block ×3, first 2 shown]
	v_xor_b32_e32 v2, 8, v20
	ds_write_b64 v2, v[16:17] offset:49152
	ds_write_b64 v20, v[10:11] offset:57344
	;; [unrolled: 1-line block ×3, first 2 shown]
	v_or_b32_e32 v2, v1, v74
	v_lshlrev_b32_e32 v3, 11, v76
	v_lshlrev_b32_e32 v2, 3, v2
	v_and_b32_e32 v6, 0x1000, v3
	v_lshrrev_b32_e32 v3, 5, v75
	s_movk_i32 s0, 0xf8
	v_and_or_b32 v3, v2, s0, v3
	v_lshlrev_b32_e32 v7, 4, v3
	v_and_b32_e32 v8, 0x78, v2
	v_or_b32_e32 v10, 32, v7
	v_lshrrev_b32_e32 v3, 1, v75
	v_xor_b32_e32 v10, v10, v8
	v_xor_b32_e32 v2, v7, v8
	v_and_b32_e32 v9, 8, v3
	v_or_b32_e32 v10, v10, v6
	v_or_b32_e32 v2, v2, v6
	v_xor_b32_e32 v28, v10, v9
	v_or_b32_e32 v10, 64, v7
	v_xor_b32_e32 v27, v2, v9
	v_xor_b32_e32 v10, v10, v8
	s_waitcnt lgkmcnt(0)
	s_barrier
	v_or_b32_e32 v13, v10, v6
	ds_read_b64 v[10:11], v27 offset:49152
	v_lshl_or_b32 v14, v77, 8, v24
	v_lshlrev_b32_e32 v26, 1, v14
	v_add_u32_e32 v12, 0x4000, v26
	ds_read2_b64 v[2:5], v12 offset1:16
	v_or_b32_e32 v7, 0x60, v7
	v_xor_b32_e32 v7, v7, v8
	v_or_b32_e32 v6, v7, v6
	v_xor_b32_e32 v29, v13, v9
	v_xor_b32_e32 v30, v6, v9
	ds_read_b64 v[20:21], v28 offset:49152
	ds_read_b64 v[34:35], v29 offset:49152
	ds_read_b64 v[36:37], v30 offset:49152
	s_waitcnt lgkmcnt(3)
	v_mfma_f32_16x16x16_bf16 a[0:3], v[10:11], v[2:3], 0
	ds_read2_b64 v[6:9], v12 offset0:32 offset1:48
	s_lshl_b64 s[0:1], s[40:41], 8
	s_add_u32 s4, s4, s0
	v_mfma_f32_16x16x16_bf16 a[4:7], v[10:11], v[4:5], 0
	ds_read2st64_b64 v[2:5], v26 offset0:36 offset1:40
	s_addc_u32 s5, s5, s1
	s_add_i32 s2, s39, -1
	s_waitcnt lgkmcnt(1)
	v_mfma_f32_16x16x16_bf16 a[8:11], v[10:11], v[6:7], 0
	v_or_b32_e32 v6, 64, v14
	v_lshlrev_b32_e32 v31, 1, v6
	s_add_i32 s0, s43, s42
	s_waitcnt lgkmcnt(0)
	v_mfma_f32_16x16x16_bf16 a[0:3], v[20:21], v[2:3], a[0:3]
	v_or_b32_e32 v2, 0x80, v14
	v_lshlrev_b32_e32 v32, 1, v2
	v_or_b32_e32 v2, 0xc0, v14
	v_mfma_f32_16x16x16_bf16 a[12:15], v[10:11], v[8:9], 0
	ds_read2st64_b64 v[6:9], v31 offset0:36 offset1:40
	v_lshlrev_b32_e32 v33, 1, v2
	ds_read2st64_b64 v[10:13], v32 offset0:36 offset1:40
	ds_read2st64_b64 v[14:17], v33 offset0:36 offset1:40
	s_add_i32 s21, s0, s44
	s_mul_i32 s0, s33, s23
	s_mul_hi_u32 s1, s33, s22
	s_ashr_i32 s3, s2, 31
	s_mul_i32 s12, s2, s35
	s_mul_hi_u32 s13, s2, s34
	s_waitcnt lgkmcnt(2)
	v_mfma_f32_16x16x16_bf16 a[4:7], v[20:21], v[6:7], a[4:7]
	s_add_i32 s0, s1, s0
	s_mul_i32 s1, s16, s22
	s_add_i32 s12, s13, s12
	s_mul_i32 s3, s3, s34
	s_waitcnt lgkmcnt(1)
	v_mfma_f32_16x16x16_bf16 a[8:11], v[20:21], v[10:11], a[8:11]
	s_add_i32 s1, s0, s1
	s_add_i32 s3, s12, s3
	s_lshl_b64 s[12:13], s[20:21], 2
	s_waitcnt lgkmcnt(0)
	v_mfma_f32_16x16x16_bf16 a[12:15], v[20:21], v[14:15], a[12:15]
	s_mul_i32 s0, s33, s22
	s_add_u32 s10, s10, s12
	s_addc_u32 s11, s11, s13
	s_lshl_b64 s[0:1], s[0:1], 2
	v_mfma_f32_16x16x16_bf16 a[0:3], v[34:35], v[4:5], a[0:3]
	s_mul_i32 s2, s2, s34
	ds_read_b64 v[2:3], v26 offset:22528
	s_add_u32 s10, s10, s0
	v_mfma_f32_16x16x16_bf16 a[4:7], v[34:35], v[8:9], a[4:7]
	ds_read_b64 v[4:5], v31 offset:22528
	ds_read_b64 v[6:7], v32 offset:22528
	;; [unrolled: 1-line block ×3, first 2 shown]
	s_addc_u32 s11, s11, s1
	s_lshl_b64 s[0:1], s[2:3], 2
	v_mfma_f32_16x16x16_bf16 a[8:11], v[34:35], v[12:13], a[8:11]
	s_add_u32 s0, s10, s0
	s_addc_u32 s1, s11, s1
	s_load_dword s12, s[0:1], 0x0
	v_mfma_f32_16x16x16_bf16 a[12:15], v[34:35], v[16:17], a[12:15]
	s_and_b64 vcc, exec, s[30:31]
	s_waitcnt lgkmcnt(0)
	v_mfma_f32_16x16x16_bf16 a[0:3], v[36:37], v[2:3], a[0:3]
	v_mfma_f32_16x16x16_bf16 a[4:7], v[36:37], v[4:5], a[4:7]
	;; [unrolled: 1-line block ×4, first 2 shown]
	s_cbranch_vccz .LBB39_42
; %bb.32:
	v_lshlrev_b32_e32 v20, 1, v25
	s_and_b64 vcc, exec, s[6:7]
	s_cbranch_vccz .LBB39_43
; %bb.33:
	v_cmp_gt_i32_e32 vcc, s47, v20
	v_mov_b32_e32 v6, 0
	v_mov_b32_e32 v2, 0
	;; [unrolled: 1-line block ×5, first 2 shown]
	s_and_saveexec_b64 s[0:1], vcc
	s_cbranch_execz .LBB39_35
; %bb.34:
	v_mad_i64_i32 v[2:3], s[2:3], s19, v20, 0
	v_lshl_add_u64 v[2:3], v[2:3], 1, s[4:5]
	v_lshlrev_b32_e32 v4, 1, v18
	v_mov_b32_e32 v5, 0
	v_lshl_add_u64 v[2:3], v[2:3], 0, v[4:5]
	global_load_dwordx4 v[2:5], v[2:3], off
.LBB39_35:
	s_or_b64 exec, exec, s[0:1]
	v_or_b32_e32 v21, 1, v20
	v_cmp_gt_i32_e64 s[0:1], s47, v21
	v_mov_b32_e32 v7, 0
	v_mov_b32_e32 v8, 0
	;; [unrolled: 1-line block ×3, first 2 shown]
	s_and_saveexec_b64 s[2:3], s[0:1]
	s_cbranch_execz .LBB39_37
; %bb.36:
	v_mad_i64_i32 v[6:7], s[16:17], s19, v21, 0
	v_lshl_add_u64 v[6:7], v[6:7], 1, s[4:5]
	v_lshlrev_b32_e32 v8, 1, v18
	v_mov_b32_e32 v9, 0
	v_lshl_add_u64 v[6:7], v[6:7], 0, v[8:9]
	global_load_dwordx4 v[6:9], v[6:7], off
.LBB39_37:
	s_or_b64 exec, exec, s[2:3]
	v_mov_b32_e32 v17, 0
	v_mov_b32_e32 v10, 0
	;; [unrolled: 1-line block ×5, first 2 shown]
	s_and_saveexec_b64 s[2:3], vcc
	s_cbranch_execz .LBB39_39
; %bb.38:
	v_mad_i64_i32 v[10:11], s[16:17], s19, v20, 0
	v_lshl_add_u64 v[10:11], v[10:11], 1, s[4:5]
	v_lshlrev_b32_e32 v12, 1, v18
	v_mov_b32_e32 v13, 0
	v_lshl_add_u64 v[10:11], v[10:11], 0, v[12:13]
	global_load_dwordx4 v[10:13], v[10:11], off offset:128
.LBB39_39:
	s_or_b64 exec, exec, s[2:3]
	v_mov_b32_e32 v16, 0
	v_mov_b32_e32 v15, 0
	;; [unrolled: 1-line block ×3, first 2 shown]
	s_and_saveexec_b64 s[2:3], s[0:1]
	s_cbranch_execz .LBB39_41
; %bb.40:
	v_mad_i64_i32 v[14:15], s[0:1], s19, v21, 0
	v_lshl_add_u64 v[14:15], v[14:15], 1, s[4:5]
	v_lshlrev_b32_e32 v16, 1, v18
	v_mov_b32_e32 v17, 0
	v_lshl_add_u64 v[14:15], v[14:15], 0, v[16:17]
	global_load_dwordx4 v[14:17], v[14:15], off offset:128
.LBB39_41:
	s_or_b64 exec, exec, s[2:3]
	s_branch .LBB39_45
.LBB39_42:
                                        ; implicit-def: $vgpr5
                                        ; implicit-def: $vgpr9
                                        ; implicit-def: $vgpr13
                                        ; implicit-def: $vgpr17
	v_lshrrev_b32_e32 v34, 2, v75
	s_branch .LBB39_46
.LBB39_43:
                                        ; implicit-def: $vgpr5
                                        ; implicit-def: $vgpr9
                                        ; implicit-def: $vgpr13
                                        ; implicit-def: $vgpr17
	s_cbranch_execz .LBB39_45
; %bb.44:
	s_waitcnt vmcnt(0)
	v_mad_u64_u32 v[2:3], s[0:1], v20, s19, v[18:19]
	v_lshlrev_b32_e32 v20, 1, v2
	s_lshl_b32 s2, s19, 7
	s_and_b32 s1, s5, 0xffff
	s_mov_b32 s3, 0x20000
	s_mov_b32 s0, s4
	v_add_lshl_u32 v21, v2, s19, 1
	s_movk_i32 s13, 0x80
	buffer_load_dwordx4 v[2:5], v20, s[0:3], 0 offen
	buffer_load_dwordx4 v[10:13], v20, s[0:3], s13 offen
	;; [unrolled: 1-line block ×4, first 2 shown]
.LBB39_45:
	v_lshrrev_b32_e32 v34, 2, v75
	s_cbranch_execnz .LBB39_58
.LBB39_46:
	s_and_b64 vcc, exec, s[6:7]
	s_cbranch_vccz .LBB39_56
; %bb.47:
	s_waitcnt vmcnt(0)
	v_lshlrev_b32_e32 v7, 1, v25
	v_cmp_gt_i32_e32 vcc, s47, v7
	v_mov_b32_e32 v6, 0
	v_lshlrev_b32_e32 v14, 9, v25
	v_mov_b32_e32 v2, 0
	v_mov_b32_e32 v3, 0
	;; [unrolled: 1-line block ×4, first 2 shown]
	s_and_saveexec_b64 s[0:1], vcc
	s_cbranch_execz .LBB39_49
; %bb.48:
	v_mov_b32_e32 v15, 0
	v_lshl_add_u64 v[2:3], s[4:5], 0, v[14:15]
	v_lshlrev_b32_e32 v4, 1, v18
	v_mov_b32_e32 v5, v15
	v_lshl_add_u64 v[2:3], v[2:3], 0, v[4:5]
	global_load_dwordx4 v[2:5], v[2:3], off
.LBB39_49:
	s_or_b64 exec, exec, s[0:1]
	v_or_b32_e32 v7, 1, v7
	v_cmp_gt_i32_e64 s[0:1], s47, v7
	v_lshlrev_b32_e32 v20, 8, v7
	v_mov_b32_e32 v7, 0
	v_mov_b32_e32 v8, 0
	;; [unrolled: 1-line block ×3, first 2 shown]
	s_and_saveexec_b64 s[2:3], s[0:1]
	s_cbranch_execz .LBB39_51
; %bb.50:
	v_mov_b32_e32 v21, 0
	v_lshl_add_u64 v[6:7], s[4:5], 0, v[20:21]
	v_lshlrev_b32_e32 v8, 1, v18
	v_mov_b32_e32 v9, v21
	v_lshl_add_u64 v[6:7], v[6:7], 0, v[8:9]
	global_load_dwordx4 v[6:9], v[6:7], off
.LBB39_51:
	s_or_b64 exec, exec, s[2:3]
	v_mov_b32_e32 v17, 0
	v_mov_b32_e32 v10, 0
	;; [unrolled: 1-line block ×5, first 2 shown]
	s_and_saveexec_b64 s[2:3], vcc
	s_cbranch_execz .LBB39_53
; %bb.52:
	v_mov_b32_e32 v15, 0
	v_lshl_add_u64 v[10:11], s[4:5], 0, v[14:15]
	v_lshlrev_b32_e32 v14, 1, v18
	v_lshl_add_u64 v[10:11], v[10:11], 0, v[14:15]
	global_load_dwordx4 v[10:13], v[10:11], off offset:128
.LBB39_53:
	s_or_b64 exec, exec, s[2:3]
	v_mov_b32_e32 v16, 0
	v_mov_b32_e32 v15, 0
	;; [unrolled: 1-line block ×3, first 2 shown]
	s_and_saveexec_b64 s[2:3], s[0:1]
	s_cbranch_execz .LBB39_55
; %bb.54:
	v_mov_b32_e32 v21, 0
	v_lshl_add_u64 v[14:15], s[4:5], 0, v[20:21]
	v_lshlrev_b32_e32 v20, 1, v18
	v_lshl_add_u64 v[14:15], v[14:15], 0, v[20:21]
	global_load_dwordx4 v[14:17], v[14:15], off offset:128
.LBB39_55:
	s_or_b64 exec, exec, s[2:3]
	s_branch .LBB39_58
.LBB39_56:
                                        ; implicit-def: $vgpr5
                                        ; implicit-def: $vgpr9
                                        ; implicit-def: $vgpr13
                                        ; implicit-def: $vgpr17
	s_cbranch_execz .LBB39_58
; %bb.57:
	s_waitcnt vmcnt(0)
	v_lshlrev_b32_e32 v2, 1, v18
	v_lshl_or_b32 v18, v25, 9, v2
	s_and_b32 s5, s5, 0xffff
	s_mov_b32 s7, 0x20000
	s_movk_i32 s6, 0x4000
	s_movk_i32 s0, 0x80
	buffer_load_dwordx4 v[2:5], v18, s[4:7], 0 offen
	buffer_load_dwordx4 v[6:9], v18, s[4:7], 0 offen offset:256
	buffer_load_dwordx4 v[10:13], v18, s[4:7], s0 offen
	buffer_load_dwordx4 v[14:17], v18, s[4:7], s0 offen offset:256
.LBB39_58:
	ds_read_b64 v[20:21], v27 offset:57344
	v_add_u32_e32 v18, 0x6000, v26
	ds_read2_b64 v[36:39], v18 offset1:16
	ds_read_b64 v[52:53], v28 offset:57344
	ds_read_b64 v[28:29], v29 offset:57344
	;; [unrolled: 1-line block ×3, first 2 shown]
	ds_read2st64_b64 v[40:43], v26 offset0:52 offset1:56
	s_mov_b32 s0, 0x1000504
	s_mov_b32 s1, 0x3020706
	s_waitcnt lgkmcnt(4)
	v_mfma_f32_16x16x16_bf16 a[0:3], v[20:21], v[36:37], a[0:3]
	v_mfma_f32_16x16x16_bf16 a[4:7], v[20:21], v[38:39], a[4:7]
	ds_read2_b64 v[36:39], v18 offset0:32 offset1:48
	v_and_b32_e32 v18, 6, v0
	v_xor_b32_e32 v25, v25, v18
	s_waitcnt lgkmcnt(0)
	v_mfma_f32_16x16x16_bf16 a[8:11], v[20:21], v[36:37], a[8:11]
	v_lshlrev_b32_e32 v25, 2, v25
	v_and_b32_e32 v0, 1, v0
	v_xor_b32_e32 v35, 0x440, v25
	v_mfma_f32_16x16x16_bf16 a[12:15], v[20:21], v[38:39], a[12:15]
	ds_read2st64_b64 v[36:39], v31 offset0:52 offset1:56
	ds_read2st64_b64 v[44:47], v32 offset0:52 offset1:56
	;; [unrolled: 1-line block ×3, first 2 shown]
	v_cmp_eq_u32_e32 vcc, 0, v0
	ds_read_b64 v[20:21], v26 offset:30720
	ds_read_b64 v[26:27], v31 offset:30720
	ds_read_b64 v[30:31], v32 offset:30720
	ds_read_b64 v[32:33], v33 offset:30720
	v_mfma_f32_16x16x16_bf16 a[0:3], v[52:53], v[40:41], a[0:3]
	v_cndmask_b32_e32 v0, v35, v25, vcc
	v_lshl_or_b32 v0, v18, 10, v0
	s_waitcnt vmcnt(0)
	v_perm_b32 v18, v2, v6, s0
	s_waitcnt lgkmcnt(6)
	v_mfma_f32_16x16x16_bf16 a[4:7], v[52:53], v[36:37], a[4:7]
	v_perm_b32 v25, v10, v14, s0
	ds_write2st64_b32 v0, v18, v25 offset0:128 offset1:160
	v_xor_b32_e32 v18, 8, v0
	s_waitcnt lgkmcnt(6)
	v_mfma_f32_16x16x16_bf16 a[8:11], v[52:53], v[44:45], a[8:11]
	v_perm_b32 v2, v2, v6, s1
	v_perm_b32 v6, v10, v14, s1
	v_add_u32_e32 v10, 0x80, v18
	s_waitcnt lgkmcnt(5)
	v_mfma_f32_16x16x16_bf16 a[12:15], v[52:53], v[48:49], a[12:15]
	ds_write2st64_b32 v10, v2, v6 offset0:128 offset1:160
	v_xor_b32_e32 v2, 16, v0
	v_perm_b32 v6, v3, v7, s0
	v_mfma_f32_16x16x16_bf16 a[0:3], v[28:29], v[42:43], a[0:3]
	v_perm_b32 v10, v11, v15, s0
	ds_write2st64_b32 v2, v6, v10 offset0:129 offset1:161
	v_xor_b32_e32 v2, 24, v0
	v_mfma_f32_16x16x16_bf16 a[4:7], v[28:29], v[38:39], a[4:7]
	v_perm_b32 v3, v3, v7, s1
	v_perm_b32 v6, v11, v15, s1
	v_add_u32_e32 v2, 0x80, v2
	v_mfma_f32_16x16x16_bf16 a[16:19], v[28:29], v[46:47], a[8:11]
	ds_write2st64_b32 v2, v3, v6 offset0:129 offset1:161
	v_xor_b32_e32 v2, 32, v0
	v_perm_b32 v3, v4, v8, s0
	v_mfma_f32_16x16x16_bf16 a[20:23], v[28:29], v[50:51], a[12:15]
	v_perm_b32 v6, v12, v16, s0
	ds_write2st64_b32 v2, v3, v6 offset0:130 offset1:162
	v_xor_b32_e32 v2, 40, v0
	s_waitcnt lgkmcnt(8)
	v_mfma_f32_16x16x16_bf16 a[12:15], v[54:55], v[20:21], a[0:3]
	v_perm_b32 v3, v4, v8, s1
	v_perm_b32 v4, v12, v16, s1
	v_add_u32_e32 v2, 0x80, v2
	s_waitcnt lgkmcnt(7)
	v_mfma_f32_16x16x16_bf16 a[8:11], v[54:55], v[26:27], a[4:7]
	ds_write2st64_b32 v2, v3, v4 offset0:130 offset1:162
	v_xor_b32_e32 v2, 48, v0
	v_perm_b32 v3, v5, v9, s0
	s_waitcnt lgkmcnt(7)
	v_mfma_f32_16x16x16_bf16 a[4:7], v[54:55], v[30:31], a[16:19]
	v_perm_b32 v4, v13, v17, s0
	v_xor_b32_e32 v0, 56, v0
	v_and_or_b32 v21, v34, 12, v1
	s_waitcnt lgkmcnt(6)
	v_mfma_f32_16x16x16_bf16 a[0:3], v[54:55], v[32:33], a[20:23]
	ds_write2st64_b32 v2, v3, v4 offset0:131 offset1:163
	v_perm_b32 v2, v5, v9, s1
	v_perm_b32 v3, v13, v17, s1
	v_add_u32_e32 v0, 0x80, v0
	v_cmp_gt_i32_e32 vcc, s47, v21
	v_mov_b32_e32 v16, 0
	v_mov_b32_e32 v18, 0
	ds_write2st64_b32 v0, v2, v3 offset0:131 offset1:163
	s_and_saveexec_b64 s[0:1], vcc
	s_cbranch_execz .LBB39_60
; %bb.59:
	v_add_u32_e32 v0, s38, v21
	v_ashrrev_i32_e32 v1, 31, v0
	v_mul_lo_u32 v2, v1, s34
	v_mul_lo_u32 v3, v0, s35
	v_mad_u64_u32 v[0:1], s[2:3], v0, s34, 0
	v_add3_u32 v1, v1, v3, v2
	v_lshl_add_u64 v[0:1], v[0:1], 2, s[10:11]
	global_load_dword v0, v[0:1], off
	s_waitcnt vmcnt(0)
	v_sub_f32_e32 v0, s12, v0
	v_exp_f32_e32 v18, v0
.LBB39_60:
	s_or_b64 exec, exec, s[0:1]
	v_or_b32_e32 v10, 1, v21
	v_cmp_gt_i32_e64 s[2:3], s47, v10
	s_and_saveexec_b64 s[0:1], s[2:3]
	s_cbranch_execz .LBB39_62
; %bb.61:
	v_add_u32_e32 v0, s38, v10
	v_ashrrev_i32_e32 v1, 31, v0
	v_mul_lo_u32 v2, v1, s34
	v_mul_lo_u32 v3, v0, s35
	v_mad_u64_u32 v[0:1], s[4:5], v0, s34, 0
	v_add3_u32 v1, v1, v3, v2
	v_lshl_add_u64 v[0:1], v[0:1], 2, s[10:11]
	global_load_dword v0, v[0:1], off
	s_waitcnt vmcnt(0)
	v_sub_f32_e32 v0, s12, v0
	v_exp_f32_e32 v16, v0
.LBB39_62:
	s_or_b64 exec, exec, s[0:1]
	v_or_b32_e32 v12, 2, v21
	v_cmp_gt_i32_e64 s[0:1], s47, v12
	v_mov_b32_e32 v17, 0
	v_mov_b32_e32 v20, 0
	s_and_saveexec_b64 s[4:5], s[0:1]
	s_cbranch_execz .LBB39_64
; %bb.63:
	v_add_u32_e32 v0, s38, v12
	v_ashrrev_i32_e32 v1, 31, v0
	v_mul_lo_u32 v2, v1, s34
	v_mul_lo_u32 v3, v0, s35
	v_mad_u64_u32 v[0:1], s[6:7], v0, s34, 0
	v_add3_u32 v1, v1, v3, v2
	v_lshl_add_u64 v[0:1], v[0:1], 2, s[10:11]
	global_load_dword v0, v[0:1], off
	s_waitcnt vmcnt(0)
	v_sub_f32_e32 v0, s12, v0
	v_exp_f32_e32 v20, v0
.LBB39_64:
	s_or_b64 exec, exec, s[4:5]
	v_or_b32_e32 v14, 3, v21
	v_cmp_gt_i32_e64 s[4:5], s47, v14
	s_and_saveexec_b64 s[6:7], s[4:5]
	s_cbranch_execz .LBB39_66
; %bb.65:
	v_add_u32_e32 v0, s38, v14
	v_ashrrev_i32_e32 v1, 31, v0
	v_mul_lo_u32 v2, v1, s34
	v_mul_lo_u32 v3, v0, s35
	v_mad_u64_u32 v[0:1], s[16:17], v0, s34, 0
	v_add3_u32 v1, v1, v3, v2
	v_lshl_add_u64 v[0:1], v[0:1], 2, s[10:11]
	global_load_dword v0, v[0:1], off
	s_waitcnt vmcnt(0)
	v_sub_f32_e32 v0, s12, v0
	v_exp_f32_e32 v17, v0
.LBB39_66:
	s_or_b64 exec, exec, s[6:7]
	s_add_u32 s6, s8, s28
	v_or_b32_e32 v4, s36, v74
	s_addc_u32 s7, s9, s29
	s_add_u32 s8, s14, s28
	v_ashrrev_i32_e32 v5, 31, v4
	v_accvgpr_read_b32 v0, a12
	s_addc_u32 s9, s15, s29
	v_lshlrev_b64 v[4:5], 1, v[4:5]
	v_accvgpr_read_b32 v1, a13
	v_accvgpr_read_b32 v2, a14
	;; [unrolled: 1-line block ×3, first 2 shown]
	v_lshl_add_u64 v[6:7], s[6:7], 0, v[4:5]
	v_lshl_add_u64 v[4:5], s[8:9], 0, v[4:5]
	v_mov_b32_e32 v11, 0
	v_lshlrev_b32_e32 v8, 8, v21
	v_mov_b32_e32 v9, 0
	s_and_saveexec_b64 s[6:7], vcc
	s_cbranch_execz .LBB39_68
; %bb.67:
	v_mov_b32_e32 v9, 0
	v_lshl_add_u64 v[26:27], v[6:7], 0, v[8:9]
	global_load_ushort v13, v[26:27], off
	v_lshl_add_u64 v[26:27], v[4:5], 0, v[8:9]
	s_waitcnt vmcnt(0)
	v_lshlrev_b32_e32 v9, 16, v13
	v_sub_f32_e32 v0, v9, v0
	global_store_short_d16_hi v[26:27], v0, off
	v_mul_f32_e32 v0, v18, v0
	v_lshrrev_b32_e32 v9, 16, v0
.LBB39_68:
	s_or_b64 exec, exec, s[6:7]
	v_lshlrev_b32_e32 v10, 8, v10
	s_and_saveexec_b64 s[6:7], s[2:3]
	s_cbranch_execz .LBB39_70
; %bb.69:
	v_mov_b32_e32 v11, 0
	v_lshl_add_u64 v[26:27], v[6:7], 0, v[10:11]
	global_load_ushort v0, v[26:27], off
	v_lshl_add_u64 v[26:27], v[4:5], 0, v[10:11]
	s_waitcnt vmcnt(0)
	v_lshlrev_b32_e32 v0, 16, v0
	v_sub_f32_e32 v0, v0, v1
	global_store_short_d16_hi v[26:27], v0, off
	v_mul_f32_e32 v0, v16, v0
	v_lshrrev_b32_e32 v11, 16, v0
.LBB39_70:
	s_or_b64 exec, exec, s[6:7]
	v_mov_b32_e32 v15, 0
	v_lshlrev_b32_e32 v12, 8, v12
	v_mov_b32_e32 v13, 0
	s_and_saveexec_b64 s[6:7], s[0:1]
	s_cbranch_execz .LBB39_72
; %bb.71:
	v_mov_b32_e32 v13, 0
	v_lshl_add_u64 v[0:1], v[6:7], 0, v[12:13]
	global_load_ushort v25, v[0:1], off
	v_lshl_add_u64 v[0:1], v[4:5], 0, v[12:13]
	s_waitcnt vmcnt(0)
	v_lshlrev_b32_e32 v13, 16, v25
	v_sub_f32_e32 v2, v13, v2
	global_store_short_d16_hi v[0:1], v2, off
	v_mul_f32_e32 v0, v20, v2
	v_lshrrev_b32_e32 v13, 16, v0
.LBB39_72:
	s_or_b64 exec, exec, s[6:7]
	v_lshlrev_b32_e32 v14, 8, v14
	s_and_saveexec_b64 s[6:7], s[4:5]
	s_cbranch_execz .LBB39_74
; %bb.73:
	v_mov_b32_e32 v15, 0
	v_lshl_add_u64 v[0:1], v[6:7], 0, v[14:15]
	global_load_ushort v2, v[0:1], off
	v_lshl_add_u64 v[0:1], v[4:5], 0, v[14:15]
	s_waitcnt vmcnt(0)
	v_lshlrev_b32_e32 v2, 16, v2
	v_sub_f32_e32 v2, v2, v3
	global_store_short_d16_hi v[0:1], v2, off
	v_mul_f32_e32 v0, v17, v2
	v_lshrrev_b32_e32 v15, 16, v0
.LBB39_74:
	s_or_b64 exec, exec, s[6:7]
	v_lshlrev_b32_e32 v21, 6, v21
	s_mov_b32 s6, 0x5040100
	v_perm_b32 v26, v11, v9, s6
	v_or_b32_e32 v9, v21, v24
	v_accvgpr_read_b32 v0, a8
	v_perm_b32 v27, v15, v13, s6
	v_lshlrev_b32_e32 v9, 1, v9
	v_accvgpr_read_b32 v1, a9
	v_accvgpr_read_b32 v2, a10
	;; [unrolled: 1-line block ×3, first 2 shown]
	ds_write_b64 v9, v[26:27] offset:24576
	v_mov_b32_e32 v11, 0
	v_mov_b32_e32 v9, 0
	s_and_saveexec_b64 s[6:7], vcc
	s_cbranch_execz .LBB39_76
; %bb.75:
	v_mov_b32_e32 v9, 0
	v_lshl_add_u64 v[24:25], v[6:7], 0, v[8:9]
	global_load_ushort v13, v[24:25], off offset:32
	v_lshl_add_u64 v[24:25], v[4:5], 0, v[8:9]
	s_waitcnt vmcnt(0)
	v_lshlrev_b32_e32 v9, 16, v13
	v_sub_f32_e32 v0, v9, v0
	global_store_short_d16_hi v[24:25], v0, off offset:32
	v_mul_f32_e32 v0, v18, v0
	v_lshrrev_b32_e32 v9, 16, v0
.LBB39_76:
	s_or_b64 exec, exec, s[6:7]
	s_and_saveexec_b64 s[6:7], s[2:3]
	s_cbranch_execz .LBB39_78
; %bb.77:
	v_mov_b32_e32 v11, 0
	v_lshl_add_u64 v[24:25], v[6:7], 0, v[10:11]
	global_load_ushort v0, v[24:25], off offset:32
	v_lshl_add_u64 v[24:25], v[4:5], 0, v[10:11]
	s_waitcnt vmcnt(0)
	v_lshlrev_b32_e32 v0, 16, v0
	v_sub_f32_e32 v0, v0, v1
	global_store_short_d16_hi v[24:25], v0, off offset:32
	v_mul_f32_e32 v0, v16, v0
	v_lshrrev_b32_e32 v11, 16, v0
.LBB39_78:
	s_or_b64 exec, exec, s[6:7]
	v_mov_b32_e32 v15, 0
	v_mov_b32_e32 v13, 0
	s_and_saveexec_b64 s[6:7], s[0:1]
	s_cbranch_execz .LBB39_80
; %bb.79:
	v_mov_b32_e32 v13, 0
	v_lshl_add_u64 v[0:1], v[6:7], 0, v[12:13]
	global_load_ushort v24, v[0:1], off offset:32
	v_lshl_add_u64 v[0:1], v[4:5], 0, v[12:13]
	s_waitcnt vmcnt(0)
	v_lshlrev_b32_e32 v13, 16, v24
	v_sub_f32_e32 v2, v13, v2
	global_store_short_d16_hi v[0:1], v2, off offset:32
	v_mul_f32_e32 v0, v20, v2
	v_lshrrev_b32_e32 v13, 16, v0
.LBB39_80:
	s_or_b64 exec, exec, s[6:7]
	s_and_saveexec_b64 s[6:7], s[4:5]
	s_cbranch_execz .LBB39_82
; %bb.81:
	v_mov_b32_e32 v15, 0
	v_lshl_add_u64 v[0:1], v[6:7], 0, v[14:15]
	global_load_ushort v2, v[0:1], off offset:32
	v_lshl_add_u64 v[0:1], v[4:5], 0, v[14:15]
	s_waitcnt vmcnt(0)
	v_lshlrev_b32_e32 v2, 16, v2
	v_sub_f32_e32 v2, v2, v3
	global_store_short_d16_hi v[0:1], v2, off offset:32
	v_mul_f32_e32 v0, v17, v2
	v_lshrrev_b32_e32 v15, 16, v0
.LBB39_82:
	s_or_b64 exec, exec, s[6:7]
	s_mov_b32 s6, 0x5040100
	v_perm_b32 v24, v11, v9, s6
	v_or_b32_e32 v9, v21, v23
	v_accvgpr_read_b32 v0, a4
	v_perm_b32 v25, v15, v13, s6
	v_lshlrev_b32_e32 v9, 1, v9
	v_accvgpr_read_b32 v1, a5
	v_accvgpr_read_b32 v2, a6
	;; [unrolled: 1-line block ×3, first 2 shown]
	ds_write_b64 v9, v[24:25] offset:24576
	v_mov_b32_e32 v11, 0
	v_mov_b32_e32 v9, 0
	s_and_saveexec_b64 s[6:7], vcc
	s_cbranch_execz .LBB39_84
; %bb.83:
	v_mov_b32_e32 v9, 0
	v_lshl_add_u64 v[24:25], v[6:7], 0, v[8:9]
	global_load_ushort v13, v[24:25], off offset:64
	v_lshl_add_u64 v[24:25], v[4:5], 0, v[8:9]
	s_waitcnt vmcnt(0)
	v_lshlrev_b32_e32 v9, 16, v13
	v_sub_f32_e32 v0, v9, v0
	global_store_short_d16_hi v[24:25], v0, off offset:64
	v_mul_f32_e32 v0, v18, v0
	v_lshrrev_b32_e32 v9, 16, v0
.LBB39_84:
	s_or_b64 exec, exec, s[6:7]
	s_and_saveexec_b64 s[6:7], s[2:3]
	s_cbranch_execz .LBB39_86
; %bb.85:
	v_mov_b32_e32 v11, 0
	v_lshl_add_u64 v[24:25], v[6:7], 0, v[10:11]
	global_load_ushort v0, v[24:25], off offset:64
	v_lshl_add_u64 v[24:25], v[4:5], 0, v[10:11]
	s_waitcnt vmcnt(0)
	v_lshlrev_b32_e32 v0, 16, v0
	v_sub_f32_e32 v0, v0, v1
	global_store_short_d16_hi v[24:25], v0, off offset:64
	v_mul_f32_e32 v0, v16, v0
	v_lshrrev_b32_e32 v11, 16, v0
.LBB39_86:
	s_or_b64 exec, exec, s[6:7]
	v_mov_b32_e32 v15, 0
	v_mov_b32_e32 v13, 0
	s_and_saveexec_b64 s[6:7], s[0:1]
	s_cbranch_execz .LBB39_88
; %bb.87:
	v_mov_b32_e32 v13, 0
	v_lshl_add_u64 v[0:1], v[6:7], 0, v[12:13]
	global_load_ushort v23, v[0:1], off offset:64
	v_lshl_add_u64 v[0:1], v[4:5], 0, v[12:13]
	s_waitcnt vmcnt(0)
	v_lshlrev_b32_e32 v13, 16, v23
	v_sub_f32_e32 v2, v13, v2
	global_store_short_d16_hi v[0:1], v2, off offset:64
	v_mul_f32_e32 v0, v20, v2
	v_lshrrev_b32_e32 v13, 16, v0
.LBB39_88:
	s_or_b64 exec, exec, s[6:7]
	s_and_saveexec_b64 s[6:7], s[4:5]
	s_cbranch_execz .LBB39_90
; %bb.89:
	v_mov_b32_e32 v15, 0
	v_lshl_add_u64 v[0:1], v[6:7], 0, v[14:15]
	global_load_ushort v2, v[0:1], off offset:64
	v_lshl_add_u64 v[0:1], v[4:5], 0, v[14:15]
	s_waitcnt vmcnt(0)
	v_lshlrev_b32_e32 v2, 16, v2
	v_sub_f32_e32 v2, v2, v3
	global_store_short_d16_hi v[0:1], v2, off offset:64
	v_mul_f32_e32 v0, v17, v2
	v_lshrrev_b32_e32 v15, 16, v0
.LBB39_90:
	s_or_b64 exec, exec, s[6:7]
	s_mov_b32 s6, 0x5040100
	v_perm_b32 v24, v11, v9, s6
	v_or_b32_e32 v9, v21, v22
	v_accvgpr_read_b32 v0, a0
	v_perm_b32 v25, v15, v13, s6
	v_lshlrev_b32_e32 v9, 1, v9
	v_accvgpr_read_b32 v1, a1
	v_accvgpr_read_b32 v2, a2
	;; [unrolled: 1-line block ×3, first 2 shown]
	ds_write_b64 v9, v[24:25] offset:24576
	v_mov_b32_e32 v11, 0
	v_mov_b32_e32 v9, 0
	s_and_saveexec_b64 s[6:7], vcc
	s_cbranch_execz .LBB39_92
; %bb.91:
	v_mov_b32_e32 v9, 0
	v_lshl_add_u64 v[22:23], v[6:7], 0, v[8:9]
	global_load_ushort v13, v[22:23], off offset:96
	v_lshl_add_u64 v[8:9], v[4:5], 0, v[8:9]
	s_waitcnt vmcnt(0)
	v_lshlrev_b32_e32 v13, 16, v13
	v_sub_f32_e32 v0, v13, v0
	global_store_short_d16_hi v[8:9], v0, off offset:96
	v_mul_f32_e32 v0, v18, v0
	v_lshrrev_b32_e32 v9, 16, v0
.LBB39_92:
	s_or_b64 exec, exec, s[6:7]
	s_and_saveexec_b64 s[6:7], s[2:3]
	s_cbranch_execz .LBB39_94
; %bb.93:
	v_mov_b32_e32 v11, 0
	v_lshl_add_u64 v[22:23], v[6:7], 0, v[10:11]
	global_load_ushort v0, v[22:23], off offset:96
	v_lshl_add_u64 v[10:11], v[4:5], 0, v[10:11]
	s_waitcnt vmcnt(0)
	v_lshlrev_b32_e32 v0, 16, v0
	v_sub_f32_e32 v0, v0, v1
	global_store_short_d16_hi v[10:11], v0, off offset:96
	v_mul_f32_e32 v0, v16, v0
	v_lshrrev_b32_e32 v11, 16, v0
.LBB39_94:
	s_or_b64 exec, exec, s[6:7]
	v_mov_b32_e32 v0, 0
	v_mov_b32_e32 v1, 0
	s_and_saveexec_b64 s[2:3], s[0:1]
	s_cbranch_execz .LBB39_96
; %bb.95:
	v_mov_b32_e32 v13, 0
	v_lshl_add_u64 v[22:23], v[6:7], 0, v[12:13]
	global_load_ushort v1, v[22:23], off offset:96
	v_lshl_add_u64 v[12:13], v[4:5], 0, v[12:13]
	s_waitcnt vmcnt(0)
	v_lshlrev_b32_e32 v1, 16, v1
	v_sub_f32_e32 v1, v1, v2
	global_store_short_d16_hi v[12:13], v1, off offset:96
	v_mul_f32_e32 v1, v20, v1
	v_lshrrev_b32_e32 v1, 16, v1
.LBB39_96:
	s_or_b64 exec, exec, s[2:3]
	s_and_saveexec_b64 s[0:1], s[4:5]
	s_cbranch_execz .LBB39_98
; %bb.97:
	v_mov_b32_e32 v15, 0
	v_lshl_add_u64 v[6:7], v[6:7], 0, v[14:15]
	global_load_ushort v0, v[6:7], off offset:96
	v_lshl_add_u64 v[4:5], v[4:5], 0, v[14:15]
	s_waitcnt vmcnt(0)
	v_lshlrev_b32_e32 v0, 16, v0
	v_sub_f32_e32 v0, v0, v3
	global_store_short_d16_hi v[4:5], v0, off offset:96
	v_mul_f32_e32 v0, v17, v0
	v_lshrrev_b32_e32 v0, 16, v0
.LBB39_98:
	s_or_b64 exec, exec, s[0:1]
	s_mov_b32 s0, 0x5040100
	v_or_b32_e32 v2, v21, v19
	v_perm_b32 v1, v0, v1, s0
	v_perm_b32 v0, v11, v9, s0
	v_lshlrev_b32_e32 v2, 1, v2
	ds_write_b64 v2, v[0:1] offset:24576
	s_waitcnt lgkmcnt(0)
	s_barrier
.LBB39_99:
	s_endpgm
	.section	.rodata,"a",@progbits
	.p2align	6, 0x0
	.amdhsa_kernel _ZN12_GLOBAL__N_139chunk_gated_delta_rule_fwd_h_hip_kernelILi64ELb0ELb0ELb1ELb1ELb1ELb0ELb1ELb1EEEvPK12hip_bfloat16S3_S3_PKfS5_PKvPS1_S8_PvPKiSB_iiiiilll
		.amdhsa_group_segment_fixed_size 65536
		.amdhsa_private_segment_fixed_size 0
		.amdhsa_kernarg_size 136
		.amdhsa_user_sgpr_count 2
		.amdhsa_user_sgpr_dispatch_ptr 0
		.amdhsa_user_sgpr_queue_ptr 0
		.amdhsa_user_sgpr_kernarg_segment_ptr 1
		.amdhsa_user_sgpr_dispatch_id 0
		.amdhsa_user_sgpr_kernarg_preload_length 0
		.amdhsa_user_sgpr_kernarg_preload_offset 0
		.amdhsa_user_sgpr_private_segment_size 0
		.amdhsa_uses_dynamic_stack 0
		.amdhsa_enable_private_segment 0
		.amdhsa_system_sgpr_workgroup_id_x 1
		.amdhsa_system_sgpr_workgroup_id_y 1
		.amdhsa_system_sgpr_workgroup_id_z 0
		.amdhsa_system_sgpr_workgroup_info 0
		.amdhsa_system_vgpr_workitem_id 0
		.amdhsa_next_free_vgpr 216
		.amdhsa_next_free_sgpr 62
		.amdhsa_accum_offset 180
		.amdhsa_reserve_vcc 1
		.amdhsa_float_round_mode_32 0
		.amdhsa_float_round_mode_16_64 0
		.amdhsa_float_denorm_mode_32 3
		.amdhsa_float_denorm_mode_16_64 3
		.amdhsa_dx10_clamp 1
		.amdhsa_ieee_mode 1
		.amdhsa_fp16_overflow 0
		.amdhsa_tg_split 0
		.amdhsa_exception_fp_ieee_invalid_op 0
		.amdhsa_exception_fp_denorm_src 0
		.amdhsa_exception_fp_ieee_div_zero 0
		.amdhsa_exception_fp_ieee_overflow 0
		.amdhsa_exception_fp_ieee_underflow 0
		.amdhsa_exception_fp_ieee_inexact 0
		.amdhsa_exception_int_div_zero 0
	.end_amdhsa_kernel
	.section	.text._ZN12_GLOBAL__N_139chunk_gated_delta_rule_fwd_h_hip_kernelILi64ELb0ELb0ELb1ELb1ELb1ELb0ELb1ELb1EEEvPK12hip_bfloat16S3_S3_PKfS5_PKvPS1_S8_PvPKiSB_iiiiilll,"axG",@progbits,_ZN12_GLOBAL__N_139chunk_gated_delta_rule_fwd_h_hip_kernelILi64ELb0ELb0ELb1ELb1ELb1ELb0ELb1ELb1EEEvPK12hip_bfloat16S3_S3_PKfS5_PKvPS1_S8_PvPKiSB_iiiiilll,comdat
.Lfunc_end39:
	.size	_ZN12_GLOBAL__N_139chunk_gated_delta_rule_fwd_h_hip_kernelILi64ELb0ELb0ELb1ELb1ELb1ELb0ELb1ELb1EEEvPK12hip_bfloat16S3_S3_PKfS5_PKvPS1_S8_PvPKiSB_iiiiilll, .Lfunc_end39-_ZN12_GLOBAL__N_139chunk_gated_delta_rule_fwd_h_hip_kernelILi64ELb0ELb0ELb1ELb1ELb1ELb0ELb1ELb1EEEvPK12hip_bfloat16S3_S3_PKfS5_PKvPS1_S8_PvPKiSB_iiiiilll
                                        ; -- End function
	.section	.AMDGPU.csdata,"",@progbits
; Kernel info:
; codeLenInByte = 11112
; NumSgprs: 68
; NumVgprs: 180
; NumAgprs: 36
; TotalNumVgprs: 216
; ScratchSize: 0
; MemoryBound: 0
; FloatMode: 240
; IeeeMode: 1
; LDSByteSize: 65536 bytes/workgroup (compile time only)
; SGPRBlocks: 8
; VGPRBlocks: 26
; NumSGPRsForWavesPerEU: 68
; NumVGPRsForWavesPerEU: 216
; AccumOffset: 180
; Occupancy: 1
; WaveLimiterHint : 1
; COMPUTE_PGM_RSRC2:SCRATCH_EN: 0
; COMPUTE_PGM_RSRC2:USER_SGPR: 2
; COMPUTE_PGM_RSRC2:TRAP_HANDLER: 0
; COMPUTE_PGM_RSRC2:TGID_X_EN: 1
; COMPUTE_PGM_RSRC2:TGID_Y_EN: 1
; COMPUTE_PGM_RSRC2:TGID_Z_EN: 0
; COMPUTE_PGM_RSRC2:TIDIG_COMP_CNT: 0
; COMPUTE_PGM_RSRC3_GFX90A:ACCUM_OFFSET: 44
; COMPUTE_PGM_RSRC3_GFX90A:TG_SPLIT: 0
	.section	.text._ZN12_GLOBAL__N_139chunk_gated_delta_rule_fwd_h_hip_kernelILi64ELb0ELb0ELb0ELb1ELb1ELb0ELb1ELb1EEEvPK12hip_bfloat16S3_S3_PKfS5_PKvPS1_S8_PvPKiSB_iiiiilll,"axG",@progbits,_ZN12_GLOBAL__N_139chunk_gated_delta_rule_fwd_h_hip_kernelILi64ELb0ELb0ELb0ELb1ELb1ELb0ELb1ELb1EEEvPK12hip_bfloat16S3_S3_PKfS5_PKvPS1_S8_PvPKiSB_iiiiilll,comdat
	.globl	_ZN12_GLOBAL__N_139chunk_gated_delta_rule_fwd_h_hip_kernelILi64ELb0ELb0ELb0ELb1ELb1ELb0ELb1ELb1EEEvPK12hip_bfloat16S3_S3_PKfS5_PKvPS1_S8_PvPKiSB_iiiiilll ; -- Begin function _ZN12_GLOBAL__N_139chunk_gated_delta_rule_fwd_h_hip_kernelILi64ELb0ELb0ELb0ELb1ELb1ELb0ELb1ELb1EEEvPK12hip_bfloat16S3_S3_PKfS5_PKvPS1_S8_PvPKiSB_iiiiilll
	.p2align	8
	.type	_ZN12_GLOBAL__N_139chunk_gated_delta_rule_fwd_h_hip_kernelILi64ELb0ELb0ELb0ELb1ELb1ELb0ELb1ELb1EEEvPK12hip_bfloat16S3_S3_PKfS5_PKvPS1_S8_PvPKiSB_iiiiilll,@function
_ZN12_GLOBAL__N_139chunk_gated_delta_rule_fwd_h_hip_kernelILi64ELb0ELb0ELb0ELb1ELb1ELb0ELb1ELb1EEEvPK12hip_bfloat16S3_S3_PKfS5_PKvPS1_S8_PvPKiSB_iiiiilll: ; @_ZN12_GLOBAL__N_139chunk_gated_delta_rule_fwd_h_hip_kernelILi64ELb0ELb0ELb0ELb1ELb1ELb0ELb1ELb1EEEvPK12hip_bfloat16S3_S3_PKfS5_PKvPS1_S8_PvPKiSB_iiiiilll
; %bb.0:
	s_load_dwordx4 s[12:15], s[0:1], 0x5c
	s_load_dwordx4 s[16:19], s[0:1], 0x70
	s_abs_i32 s21, s3
	s_ashr_i32 s20, s3, 31
	s_load_dwordx2 s[36:37], s[0:1], 0x30
	s_load_dwordx4 s[24:27], s[0:1], 0x48
	s_waitcnt lgkmcnt(0)
	s_abs_i32 s28, s13
	v_cvt_f32_u32_e32 v1, s28
	s_sub_i32 s22, 0, s28
	s_ashr_i32 s29, s13, 31
	s_xor_b32 s20, s20, s29
	v_rcp_iflag_f32_e32 v1, v1
	s_load_dwordx8 s[4:11], s[0:1], 0x0
	v_lshrrev_b32_e32 v74, 6, v0
	v_bfe_u32 v75, v0, 4, 2
	v_mul_f32_e32 v1, 0x4f7ffffe, v1
	v_cvt_u32_f32_e32 v1, v1
	v_lshlrev_b32_e32 v2, 2, v75
	v_and_b32_e32 v73, 63, v0
	v_mov_b32_e32 v35, 0
	v_readfirstlane_b32 s23, v1
	s_mul_i32 s22, s22, s23
	s_mul_hi_u32 s22, s23, s22
	s_add_i32 s23, s23, s22
	s_mul_hi_u32 s22, s21, s23
	s_mul_i32 s23, s22, s28
	s_sub_i32 s21, s21, s23
	s_add_i32 s30, s22, 1
	s_sub_i32 s23, s21, s28
	s_cmp_ge_u32 s21, s28
	s_cselect_b32 s22, s30, s22
	s_cselect_b32 s21, s23, s21
	s_add_i32 s23, s22, 1
	s_cmp_ge_u32 s21, s28
	s_cselect_b32 s21, s23, s22
	s_xor_b32 s21, s21, s20
	s_sub_i32 s20, s21, s20
	s_mul_i32 s21, s20, s13
	s_sub_i32 s33, s3, s21
	s_ashr_i32 s21, s20, 31
	s_lshl_b64 s[22:23], s[20:21], 2
	s_add_u32 s24, s24, s22
	s_addc_u32 s25, s25, s23
	s_add_u32 s22, s26, s22
	s_addc_u32 s23, s27, s23
	s_abs_i32 s3, s14
	v_cvt_f32_u32_e32 v1, s3
	s_load_dwordx2 s[34:35], s[24:25], 0x0
	s_sub_i32 s25, 0, s3
	s_load_dword s44, s[22:23], 0x0
	v_rcp_iflag_f32_e32 v1, v1
	v_and_b32_e32 v72, 15, v0
	s_waitcnt lgkmcnt(0)
	s_sub_i32 s45, s35, s34
	s_ashr_i32 s24, s45, 31
	v_mul_f32_e32 v1, 0x4f7ffffe, v1
	v_cvt_u32_f32_e32 v1, v1
	s_lshr_b32 s24, s24, 26
	s_add_i32 s24, s45, s24
	s_ashr_i32 s43, s24, 6
	v_readfirstlane_b32 s26, v1
	s_mul_i32 s25, s25, s26
	s_mul_hi_u32 s25, s26, s25
	s_add_i32 s26, s26, s25
	s_mul_hi_u32 s25, s28, s26
	s_mul_i32 s26, s25, s3
	s_ashr_i32 s24, s14, 31
	s_sub_i32 s26, s28, s26
	s_xor_b32 s24, s29, s24
	s_add_i32 s27, s25, 1
	s_sub_i32 s28, s26, s3
	s_cmp_ge_u32 s26, s3
	s_cselect_b32 s25, s27, s25
	s_cselect_b32 s26, s28, s26
	s_add_i32 s27, s25, 1
	s_cmp_ge_u32 s26, s3
	s_cselect_b32 s3, s27, s25
	s_xor_b32 s3, s3, s24
	s_sub_i32 s3, s3, s24
	s_abs_i32 s24, s3
	v_cvt_f32_u32_e32 v1, s24
	s_load_dwordx2 s[28:29], s[0:1], 0x80
	s_xor_b32 s0, s33, s3
	s_sub_i32 s3, 0, s24
	v_rcp_iflag_f32_e32 v1, v1
	s_abs_i32 s1, s33
	s_ashr_i32 s0, s0, 31
	s_mul_hi_i32 s46, s33, s12
	v_mul_f32_e32 v1, 0x4f7ffffe, v1
	v_cvt_u32_f32_e32 v1, v1
	s_mul_i32 s47, s33, s12
	v_lshrrev_b32_e32 v77, 3, v73
	v_lshlrev_b32_e32 v76, 3, v0
	v_readfirstlane_b32 s22, v1
	s_mul_i32 s3, s3, s22
	s_mul_hi_u32 s3, s22, s3
	s_add_i32 s22, s22, s3
	s_mul_hi_u32 s3, s1, s22
	s_mul_i32 s22, s3, s24
	s_sub_i32 s1, s1, s22
	s_add_i32 s22, s3, 1
	s_sub_i32 s23, s1, s24
	s_cmp_ge_u32 s1, s24
	s_cselect_b32 s3, s22, s3
	s_cselect_b32 s1, s23, s1
	s_add_i32 s22, s3, 1
	s_cmp_ge_u32 s1, s24
	s_cselect_b32 s1, s22, s3
	s_xor_b32 s1, s1, s0
	v_lshlrev_b32_e32 v1, 4, v74
	s_sub_i32 s48, s1, s0
	v_or_b32_e32 v78, v2, v1
	s_lshl_b32 s30, s2, 6
	v_or_b32_e32 v79, 64, v78
	s_cmp_lt_i32 s45, 64
	s_mul_i32 s40, s20, s17
	s_mul_hi_u32 s41, s20, s16
	s_mul_i32 s42, s21, s16
	s_mul_i32 s16, s20, s16
	v_mov_b32_e32 v34, v35
	v_mov_b32_e32 v41, v35
	;; [unrolled: 1-line block ×31, first 2 shown]
	s_cbranch_scc1 .LBB40_18
; %bb.1:
	s_ashr_i32 s51, s33, 31
	s_ashr_i32 s1, s34, 31
	s_add_u32 s0, s47, s34
	s_addc_u32 s1, s46, s1
	s_lshl_b64 s[0:1], s[0:1], 8
	v_and_b32_e32 v81, 56, v76
	s_add_u32 s0, s6, s0
	v_lshl_or_b32 v80, v74, 3, v77
	v_lshlrev_b32_e32 v3, 1, v81
	s_addc_u32 s1, s7, s1
	v_lshl_or_b32 v82, v80, 8, v3
	s_and_b32 s1, s1, 0xffff
	s_mov_b32 s3, 0x20000
	s_movk_i32 s2, 0x4000
	s_movk_i32 s17, 0x80
	v_or_b32_e32 v83, 0x2000, v82
	buffer_load_dwordx4 v[4:7], v82, s[0:3], 0 offen
	buffer_load_dwordx4 v[8:11], v82, s[0:3], s17 offen
	;; [unrolled: 1-line block ×4, first 2 shown]
	v_lshlrev_b32_e32 v20, 3, v80
	v_and_or_b32 v22, v0, 7, v20
	v_and_b32_e32 v20, 0x78, v20
	v_lshlrev_b32_e32 v22, 4, v22
	v_xor_b32_e32 v84, v22, v20
	v_mul_lo_u32 v21, v80, s15
	v_or_b32_e32 v85, 0x1000, v84
	s_cmpk_eq_i32 s15, 0x80
	s_mov_b32 s49, s13
	s_mov_b32 s50, s34
	v_xor_b32_e32 v20, 8, v84
	v_xor_b32_e32 v22, 8, v85
	s_cselect_b64 s[0:1], -1, 0
	s_cmpk_lg_i32 s15, 0x80
	s_waitcnt vmcnt(3)
	ds_write_b64 v84, v[4:5] offset:49152
	ds_write_b64 v20, v[6:7] offset:49152
	s_waitcnt vmcnt(2)
	ds_write_b64 v84, v[8:9] offset:57344
	ds_write_b64 v20, v[10:11] offset:57344
	;; [unrolled: 3-line block ×4, first 2 shown]
	v_lshl_add_u32 v4, v21, 1, v81
	s_cbranch_scc0 .LBB40_3
; %bb.2:
	v_lshlrev_b32_e32 v6, 1, v4
	v_add_lshl_u32 v5, v4, s15, 1
	s_lshl_b32 s22, s15, 7
	v_lshl_or_b32 v3, v80, 9, v3
	s_cbranch_execz .LBB40_4
	s_branch .LBB40_5
.LBB40_3:
                                        ; implicit-def: $vgpr5
                                        ; implicit-def: $vgpr6
                                        ; implicit-def: $sgpr22
	v_lshl_or_b32 v3, v80, 9, v3
.LBB40_4:
	v_or_b32_e32 v5, 0x100, v3
	s_movk_i32 s22, 0x4000
	v_mov_b32_e32 v6, v3
.LBB40_5:
	s_mul_i32 s2, s34, s14
	s_ashr_i32 s52, s48, 31
	s_mul_hi_i32 s3, s34, s14
	s_add_u32 s2, s2, s48
	s_addc_u32 s3, s3, s52
	s_lshl_b64 s[2:3], s[2:3], 8
	s_add_u32 s20, s4, s2
	s_addc_u32 s2, s5, s3
	s_and_b32 s21, s2, 0xffff
	s_mov_b32 s23, 0x20000
	s_movk_i32 s53, 0x80
	buffer_load_dwordx4 v[8:11], v6, s[20:23], 0 offen
	buffer_load_dwordx4 v[12:15], v6, s[20:23], s53 offen
	;; [unrolled: 1-line block ×4, first 2 shown]
	v_and_b32_e32 v5, 6, v0
	v_lshlrev_b32_e32 v6, 7, v78
	v_xor_b32_e32 v28, v80, v5
	v_and_b32_e32 v7, 1, v0
	v_lshl_or_b32 v31, v72, 3, v6
	v_lshlrev_b32_e32 v28, 2, v28
	v_lshlrev_b32_e32 v24, 2, v72
	v_or_b32_e32 v86, 0x4000, v31
	v_or_b32_e32 v87, 0x6000, v31
	v_xor_b32_e32 v31, 0x440, v28
	v_cmp_eq_u32_e32 vcc, 0, v7
	v_or_b32_e32 v26, 16, v72
	v_or_b32_e32 v27, 32, v72
	v_xor_b32_e32 v29, v78, v24
	v_xor_b32_e32 v30, v79, v24
	v_cndmask_b32_e32 v7, v31, v28, vcc
	s_add_i32 s2, s41, s40
	s_mov_b32 s54, 0x1000504
	v_lshl_or_b32 v32, v26, 3, v6
	v_lshlrev_b32_e32 v26, 8, v26
	v_lshl_or_b32 v33, v27, 3, v6
	v_lshlrev_b32_e32 v29, 1, v29
	v_lshlrev_b32_e32 v30, 1, v30
	v_lshl_or_b32 v5, v5, 10, v7
	s_add_i32 s17, s2, s42
	s_mul_i32 s2, s33, s19
	s_mul_hi_u32 s3, s33, s18
	s_mov_b32 s55, 0x3020706
	v_lshlrev_b32_e32 v25, 8, v72
	v_or_b32_e32 v90, 0x4000, v33
	v_or_b32_e32 v91, 0x6000, v33
	v_or_b32_e32 v94, v26, v29
	v_or_b32_e32 v95, v26, v30
	v_xor_b32_e32 v7, 8, v5
	v_xor_b32_e32 v26, 24, v5
	;; [unrolled: 1-line block ×4, first 2 shown]
	s_add_i32 s2, s3, s2
	s_mul_i32 s3, s51, s18
	v_or_b32_e32 v88, 0x4000, v32
	v_or_b32_e32 v89, 0x6000, v32
	;; [unrolled: 1-line block ×4, first 2 shown]
	v_xor_b32_e32 v25, 16, v5
	v_xor_b32_e32 v28, 32, v5
	;; [unrolled: 1-line block ×3, first 2 shown]
	v_add_u32_e32 v7, 0x80, v7
	v_add_u32_e32 v26, 0x80, v26
	;; [unrolled: 1-line block ×4, first 2 shown]
	s_add_i32 s3, s2, s3
	s_lshl_b64 s[20:21], s[16:17], 2
	s_mul_i32 s2, s33, s18
	s_add_u32 s17, s10, s20
	s_addc_u32 s20, s11, s21
	s_lshl_b64 s[2:3], s[2:3], 2
	s_add_u32 s2, s17, s2
	s_movk_i32 s17, 0xf8
	s_addc_u32 s3, s20, s3
	s_ashr_i32 s31, s30, 31
	s_lshl_b32 s26, s15, 7
	s_lshl_b64 s[20:21], s[30:31], 8
	s_add_u32 s20, s36, s20
	v_mov_b32_e32 v67, 0
	s_addc_u32 s21, s37, s21
	v_lshlrev_b32_e32 v66, 4, v72
	v_lshlrev_b32_e32 v27, 8, v27
	s_mov_b32 s56, 0
	s_movk_i32 s22, 0x4000
	v_or_b32_e32 v96, v27, v29
	v_or_b32_e32 v97, v27, v30
	v_add_u32_e32 v126, v1, v2
	s_movk_i32 s31, 0x2000
	s_movk_i32 s57, 0x3000
	v_mov_b32_e32 v58, v67
	v_mov_b32_e32 v59, v67
	;; [unrolled: 1-line block ×4, first 2 shown]
	s_waitcnt vmcnt(1)
	v_perm_b32 v34, v8, v16, s54
	s_waitcnt vmcnt(0)
	v_perm_b32 v35, v12, v20, s54
	v_perm_b32 v8, v8, v16, s55
	v_perm_b32 v12, v12, v20, s55
	v_perm_b32 v16, v9, v17, s54
	v_perm_b32 v20, v13, v21, s54
	v_perm_b32 v9, v9, v17, s55
	v_perm_b32 v13, v13, v21, s55
	v_perm_b32 v17, v10, v18, s54
	v_perm_b32 v21, v14, v22, s54
	v_perm_b32 v10, v10, v18, s55
	v_perm_b32 v14, v14, v22, s55
	v_perm_b32 v18, v11, v19, s54
	v_perm_b32 v22, v15, v23, s54
	v_perm_b32 v11, v11, v19, s55
	v_perm_b32 v15, v15, v23, s55
	ds_write2st64_b32 v5, v34, v35 offset0:128 offset1:160
	ds_write2st64_b32 v7, v8, v12 offset0:128 offset1:160
	;; [unrolled: 1-line block ×8, first 2 shown]
	v_or_b32_e32 v5, 48, v72
	v_lshl_or_b32 v7, v5, 3, v6
	v_lshlrev_b32_e32 v5, 8, v5
	v_or_b32_e32 v100, v5, v29
	v_or_b32_e32 v101, v5, v30
	;; [unrolled: 1-line block ×3, first 2 shown]
	v_lshlrev_b32_e32 v5, 3, v5
	v_lshrrev_b32_e32 v9, 5, v73
	v_and_or_b32 v9, v5, s17, v9
	v_lshlrev_b32_e32 v9, 4, v9
	v_or_b32_e32 v98, 0x4000, v7
	v_or_b32_e32 v99, 0x6000, v7
	v_lshlrev_b32_e32 v7, 11, v74
	v_and_b32_e32 v5, 0x78, v5
	v_or_b32_e32 v14, 32, v9
	v_and_b32_e32 v8, 0x1000, v7
	v_xor_b32_e32 v10, v9, v5
	v_lshrrev_b32_e32 v11, 1, v0
	v_xor_b32_e32 v14, v14, v5
	v_or_b32_e32 v10, v10, v8
	v_and_b32_e32 v12, 8, v11
	v_or_b32_e32 v14, v14, v8
	v_xor_b32_e32 v102, v10, v12
	v_lshlrev_b32_e32 v10, 8, v75
	v_xor_b32_e32 v104, v14, v12
	v_or_b32_e32 v14, 64, v9
	v_or_b32_e32 v9, 0x60, v9
	;; [unrolled: 1-line block ×3, first 2 shown]
	v_xor_b32_e32 v14, v14, v5
	v_xor_b32_e32 v5, v9, v5
	v_lshlrev_b32_e32 v13, 1, v13
	v_or_b32_e32 v14, v14, v8
	v_or_b32_e32 v5, v5, v8
	;; [unrolled: 1-line block ×6, first 2 shown]
	v_xor_b32_e32 v108, v14, v12
	v_xor_b32_e32 v109, v5, v12
	v_or_b32_e32 v110, 0x6000, v13
	v_or_b32_e32 v111, 0x6080, v13
	;; [unrolled: 1-line block ×4, first 2 shown]
	v_lshlrev_b32_e32 v12, 1, v4
	v_add_lshl_u32 v13, v4, s15, 1
	s_movk_i32 s17, 0x100
	v_lshlrev_b32_e32 v4, 1, v72
	v_lshrrev_b32_e32 v15, 4, v0
	v_or_b32_e32 v5, 1, v4
	v_mov_b32_e32 v19, 0xa000
	v_mov_b32_e32 v20, 0x8000
	v_cmp_gt_u32_e32 vcc, s17, v0
	v_xor_b32_e32 v16, v15, v4
	v_xor_b32_e32 v17, v5, v15
	v_lshl_add_u64 v[4:5], s[20:21], 0, v[66:67]
	v_lshlrev_b32_e32 v66, 8, v15
	v_cndmask_b32_e32 v19, v19, v20, vcc
	v_lshlrev_b32_e32 v20, 3, v74
	v_and_b32_e32 v11, 24, v11
	v_lshl_or_b32 v114, v16, 3, v66
	v_and_b32_e32 v16, 8, v0
	v_xor_b32_e32 v21, v20, v11
	v_or_b32_e32 v22, 0x440, v21
	v_cmp_eq_u32_e32 vcc, 0, v16
	v_and_b32_e32 v15, 7, v0
	v_lshl_or_b32 v115, v17, 3, v66
	v_cndmask_b32_e32 v16, v22, v21, vcc
	v_lshlrev_b32_e32 v17, 3, v15
	v_lshlrev_b32_e32 v15, 7, v15
	v_or_b32_e32 v16, v16, v7
	v_lshlrev_b32_e32 v18, 2, v0
	v_xad_u32 v116, v16, v17, v15
	v_or_b32_e32 v16, 32, v11
	v_and_or_b32 v10, v18, 60, v10
	v_xor_b32_e32 v16, v20, v16
	v_lshlrev_b32_e32 v10, 1, v10
	v_or_b32_e32 v18, 0x440, v16
	v_or_b32_e32 v117, 0x6000, v10
	v_cndmask_b32_e32 v16, v18, v16, vcc
	v_or_b32_e32 v119, 0x6080, v10
	v_or_b32_e32 v120, 0x6100, v10
	;; [unrolled: 1-line block ×5, first 2 shown]
	v_xor_b32_e32 v10, v20, v10
	v_xad_u32 v118, v16, v17, v15
	v_xor_b32_e32 v16, 0x440, v10
	v_cndmask_b32_e32 v10, v16, v10, vcc
	v_or_b32_e32 v10, v10, v7
	v_xad_u32 v122, v10, v17, v15
	v_or_b32_e32 v10, 0x60, v11
	v_xor_b32_e32 v10, v20, v10
	v_xor_b32_e32 v11, 0x440, v10
	v_cndmask_b32_e32 v10, v11, v10, vcc
	v_or_b32_e32 v8, s30, v72
	v_or_b32_e32 v7, v10, v7
	v_ashrrev_i32_e32 v9, 31, v8
	v_or_b32_e32 v14, 0x100, v3
	v_xad_u32 v123, v7, v17, v15
	v_cndmask_b32_e64 v124, v12, v3, s[0:1]
	v_cndmask_b32_e64 v125, v13, v14, s[0:1]
	v_lshl_add_u64 v[68:69], v[8:9], 1, s[8:9]
	v_lshl_add_u64 v[70:71], v[4:5], 0, v[66:67]
	s_mov_b32 s17, 0x7060302
	v_lshlrev_b32_e32 v66, 1, v6
	v_add_u32_e32 v127, v19, v116
	v_add_u32_e32 v128, v19, v118
	;; [unrolled: 1-line block ×4, first 2 shown]
	v_mov_b32_e32 v62, v67
	v_mov_b32_e32 v63, v67
	;; [unrolled: 1-line block ×28, first 2 shown]
	s_waitcnt lgkmcnt(0)
	s_barrier
.LBB40_6:                               ; =>This Inner Loop Header: Depth=1
	s_add_i32 s58, s56, 1
	s_cmp_lt_i32 s58, s43
	s_mov_b64 s[24:25], 0
	s_cselect_b64 s[38:39], -1, 0
	s_cmp_ge_i32 s58, s43
	s_mov_b64 s[20:21], 0
	s_cbranch_scc1 .LBB40_8
; %bb.7:                                ;   in Loop: Header=BB40_6 Depth=1
	s_add_i32 s0, s50, 64
	s_ashr_i32 s1, s0, 31
	s_add_u32 s0, s47, s0
	s_addc_u32 s1, s46, s1
	s_lshl_b64 s[0:1], s[0:1], 8
	s_add_u32 s20, s6, s0
	s_addc_u32 s21, s7, s1
.LBB40_8:                               ;   in Loop: Header=BB40_6 Depth=1
	v_cndmask_b32_e64 v2, 0, 1, s[38:39]
	v_cmp_ne_u32_e64 s[0:1], 1, v2
	s_andn2_b64 vcc, exec, s[38:39]
	s_cbranch_vccnz .LBB40_10
; %bb.9:                                ;   in Loop: Header=BB40_6 Depth=1
	s_add_i32 s24, s50, 64
	s_mul_hi_i32 s25, s24, s14
	s_mul_i32 s24, s24, s14
	s_add_u32 s24, s24, s48
	s_addc_u32 s25, s25, s52
	s_lshl_b64 s[24:25], s[24:25], 8
	s_add_u32 s24, s4, s24
	s_addc_u32 s25, s5, s25
.LBB40_10:                              ;   in Loop: Header=BB40_6 Depth=1
	v_perm_b32 v3, v65, v64, s17
	v_perm_b32 v2, v63, v62, s17
	v_perm_b32 v5, v61, v60, s17
	v_perm_b32 v4, v59, v58, s17
	ds_write_b64 v86, v[2:3]
	ds_write_b64 v87, v[4:5]
	ds_write_b64 v92, v[2:3]
	ds_write_b64 v93, v[4:5]
	v_perm_b32 v3, v57, v56, s17
	v_perm_b32 v2, v55, v54, s17
	v_perm_b32 v5, v53, v52, s17
	v_perm_b32 v4, v51, v50, s17
	ds_write_b64 v88, v[2:3]
	ds_write_b64 v89, v[4:5]
	ds_write_b64 v94, v[2:3]
	ds_write_b64 v95, v[4:5]
	;; [unrolled: 8-line block ×4, first 2 shown]
	s_waitcnt lgkmcnt(0)
	s_barrier
	ds_read_b64 v[6:7], v102 offset:49152
	ds_read2_b64 v[2:5], v103 offset1:16
	ds_read_b64 v[18:19], v105 offset:6144
	ds_read_b64 v[20:21], v103 offset:6144
	s_waitcnt lgkmcnt(2)
	v_mfma_f32_16x16x16_bf16 a[0:3], v[6:7], v[2:3], 0
	ds_read_b64 v[22:23], v104 offset:49152
	ds_read2st64_b64 v[10:13], v106 offset0:4 offset1:8
	ds_read2st64_b64 v[14:17], v107 offset0:4 offset1:8
	v_mfma_f32_16x16x16_bf16 a[4:7], v[6:7], v[4:5], 0
	ds_read2_b64 v[2:5], v103 offset0:32 offset1:48
	s_add_i32 s27, s50, 63
	s_ashr_i32 s38, s27, 31
	s_waitcnt lgkmcnt(0)
	v_mfma_f32_16x16x16_bf16 a[8:11], v[6:7], v[2:3], 0
	s_mul_i32 s39, s27, s29
	s_mul_hi_u32 s59, s27, s28
	s_add_i32 s39, s59, s39
	v_mfma_f32_16x16x16_bf16 a[12:15], v[6:7], v[4:5], 0
	ds_read2st64_b64 v[2:5], v103 offset0:4 offset1:8
	ds_read2st64_b64 v[6:9], v105 offset0:4 offset1:8
	s_mul_i32 s38, s38, s28
	s_waitcnt lgkmcnt(1)
	v_mfma_f32_16x16x16_bf16 a[0:3], v[22:23], v[2:3], a[0:3]
	s_add_i32 s39, s39, s38
	s_mul_i32 s38, s27, s28
	s_lshl_b64 s[38:39], s[38:39], 2
	s_waitcnt lgkmcnt(0)
	v_mfma_f32_16x16x16_bf16 a[4:7], v[22:23], v[6:7], a[4:7]
	s_add_u32 s38, s2, s38
	s_addc_u32 s39, s3, s39
	s_and_b64 vcc, exec, s[0:1]
	v_mfma_f32_16x16x16_bf16 a[8:11], v[22:23], v[10:11], a[8:11]
	ds_read_b64 v[2:3], v108 offset:49152
	ds_read_b64 v[6:7], v109 offset:49152
	;; [unrolled: 1-line block ×3, first 2 shown]
	v_mov_b32_e32 v133, 0
	v_mov_b32_e32 v132, 0
	v_mfma_f32_16x16x16_bf16 a[12:15], v[22:23], v[14:15], a[12:15]
	v_mov_b32_e32 v131, 0
	v_mov_b32_e32 v14, 0
	;; [unrolled: 1-line block ×3, first 2 shown]
	s_waitcnt lgkmcnt(2)
	v_mfma_f32_16x16x16_bf16 a[0:3], v[2:3], v[4:5], a[0:3]
	v_mov_b32_e32 v4, 0
	v_mov_b32_e32 v5, 0
	v_mfma_f32_16x16x16_bf16 a[16:19], v[2:3], v[8:9], a[4:7]
	v_mov_b32_e32 v8, 0
	v_mov_b32_e32 v9, 0
	;; [unrolled: 3-line block ×3, first 2 shown]
	v_mfma_f32_16x16x16_bf16 a[24:27], v[2:3], v[16:17], a[12:15]
	ds_read_b64 v[2:3], v106 offset:6144
	v_mov_b32_e32 v16, 0
	v_mov_b32_e32 v17, 0
	s_waitcnt lgkmcnt(2)
	v_mfma_f32_16x16x16_bf16 a[4:7], v[6:7], v[20:21], a[0:3]
	v_mfma_f32_16x16x16_bf16 a[8:11], v[6:7], v[18:19], a[16:19]
	s_waitcnt lgkmcnt(0)
	v_mfma_f32_16x16x16_bf16 a[12:15], v[6:7], v[2:3], a[20:23]
	v_mov_b32_e32 v2, 0
	v_mov_b32_e32 v3, 0
	v_mfma_f32_16x16x16_bf16 a[0:3], v[6:7], v[10:11], a[24:27]
	v_mov_b32_e32 v6, 0
	v_mov_b32_e32 v7, 0
	;; [unrolled: 1-line block ×4, first 2 shown]
	s_cbranch_vccnz .LBB40_12
; %bb.11:                               ;   in Loop: Header=BB40_6 Depth=1
	s_and_b32 s21, s21, 0xffff
	buffer_load_dwordx4 v[14:17], v82, s[20:23], 0 offen
	buffer_load_dwordx4 v[10:13], v82, s[20:23], s53 offen
	buffer_load_dwordx4 v[6:9], v83, s[20:23], 0 offen
	buffer_load_dwordx4 v[2:5], v83, s[20:23], s53 offen
	v_mov_b32_e32 v132, v84
	v_mov_b32_e32 v131, v85
.LBB40_12:                              ;   in Loop: Header=BB40_6 Depth=1
	ds_read_b64 v[134:135], v102 offset:57344
	ds_read2_b64 v[18:21], v110 offset1:16
	ds_read_b64 v[136:137], v104 offset:57344
	ds_read_b64 v[138:139], v108 offset:57344
	;; [unrolled: 1-line block ×3, first 2 shown]
	v_add_u32_e32 v142, s50, v126
	s_waitcnt lgkmcnt(3)
	v_mfma_f32_16x16x16_bf16 a[4:7], v[134:135], v[18:19], a[4:7]
	v_mfma_f32_16x16x16_bf16 a[8:11], v[134:135], v[20:21], a[8:11]
	ds_read2_b64 v[18:21], v110 offset0:32 offset1:48
	ds_read2st64_b64 v[22:25], v110 offset0:4 offset1:8
	ds_read2st64_b64 v[26:29], v111 offset0:4 offset1:8
	;; [unrolled: 1-line block ×3, first 2 shown]
	s_waitcnt lgkmcnt(3)
	v_mfma_f32_16x16x16_bf16 a[12:15], v[134:135], v[18:19], a[12:15]
	v_ashrrev_i32_e32 v18, 31, v142
	v_mfma_f32_16x16x16_bf16 a[0:3], v[134:135], v[20:21], a[0:3]
	v_mul_lo_u32 v20, v18, s28
	v_mul_lo_u32 v21, v142, s29
	v_mad_u64_u32 v[18:19], s[20:21], v142, s28, 0
	v_add3_u32 v19, v19, v21, v20
	v_add_u32_e32 v20, 1, v142
	v_ashrrev_i32_e32 v21, 31, v20
	s_waitcnt lgkmcnt(2)
	v_mfma_f32_16x16x16_bf16 a[4:7], v[136:137], v[22:23], a[4:7]
	v_mul_lo_u32 v22, v21, s28
	v_mul_lo_u32 v23, v20, s29
	v_mad_u64_u32 v[20:21], s[20:21], v20, s28, 0
	v_add3_u32 v21, v21, v23, v22
	v_add_u32_e32 v22, 2, v142
	v_ashrrev_i32_e32 v23, 31, v22
	s_waitcnt lgkmcnt(1)
	v_mfma_f32_16x16x16_bf16 a[8:11], v[136:137], v[26:27], a[8:11]
	v_mul_lo_u32 v26, v23, s28
	v_mul_lo_u32 v27, v22, s29
	v_mad_u64_u32 v[22:23], s[20:21], v22, s28, 0
	v_add3_u32 v23, v23, v27, v26
	v_add_u32_e32 v26, 3, v142
	v_ashrrev_i32_e32 v27, 31, v26
	v_mul_lo_u32 v134, v27, s28
	v_mul_lo_u32 v135, v26, s29
	v_mad_u64_u32 v[26:27], s[20:21], v26, s28, 0
	s_ashr_i32 s21, s50, 31
	s_add_u32 s20, s47, s50
	s_addc_u32 s21, s46, s21
	v_lshl_add_u64 v[18:19], v[18:19], 2, s[2:3]
	v_add3_u32 v27, v27, v135, v134
	s_lshl_b64 s[20:21], s[20:21], 8
	v_lshl_add_u64 v[20:21], v[20:21], 2, s[2:3]
	v_lshl_add_u64 v[22:23], v[22:23], 2, s[2:3]
	;; [unrolled: 1-line block ×3, first 2 shown]
	global_load_dword v134, v[18:19], off
	global_load_dword v135, v[20:21], off
	;; [unrolled: 1-line block ×4, first 2 shown]
	v_lshl_add_u64 v[18:19], v[68:69], 0, s[20:21]
	v_lshl_add_u64 v[22:23], v[18:19], 0, v[66:67]
	global_load_ushort v144, v[22:23], off offset:256
	global_load_ushort v145, v[22:23], off
	ds_read2st64_b64 v[18:21], v113 offset0:4 offset1:8
	global_load_ushort v146, v[22:23], off offset:768
	global_load_ushort v147, v[22:23], off offset:512
	s_waitcnt lgkmcnt(1)
	v_mfma_f32_16x16x16_bf16 a[12:15], v[136:137], v[30:31], a[12:15]
	s_and_b64 vcc, exec, s[0:1]
	s_waitcnt vmcnt(3)
	v_lshlrev_b32_e32 v31, 16, v144
	s_waitcnt lgkmcnt(0)
	v_mfma_f32_16x16x16_bf16 a[0:3], v[136:137], v[18:19], a[0:3]
	global_load_ushort v136, v[22:23], off offset:288
	global_load_ushort v137, v[22:23], off offset:32
	;; [unrolled: 1-line block ×8, first 2 shown]
	v_mfma_f32_16x16x16_bf16 a[4:7], v[138:139], v[24:25], a[4:7]
	ds_read_b64 v[18:19], v110 offset:6144
	s_waitcnt vmcnt(10)
	v_lshlrev_b32_e32 v30, 16, v145
	v_mfma_f32_16x16x16_bf16 a[8:11], v[138:139], v[28:29], a[8:11]
	v_mfma_f32_16x16x16_bf16 a[12:15], v[138:139], v[32:33], a[12:15]
	;; [unrolled: 1-line block ×3, first 2 shown]
	global_load_ushort v138, v[22:23], off offset:352
	global_load_ushort v139, v[22:23], off offset:96
	ds_read_b64 v[20:21], v111 offset:6144
	ds_read_b64 v[24:25], v112 offset:6144
	;; [unrolled: 1-line block ×3, first 2 shown]
	global_load_ushort v154, v[22:23], off offset:864
	global_load_ushort v155, v[22:23], off offset:608
	s_load_dword s20, s[38:39], 0x0
	s_waitcnt lgkmcnt(0)
	v_mfma_f32_16x16x16_bf16 a[4:7], v[140:141], v[18:19], a[4:7]
	v_sub_f32_e32 v28, s20, v142
	v_mfma_f32_16x16x16_bf16 a[0:3], v[140:141], v[26:27], a[0:3]
	v_sub_f32_e32 v26, s20, v134
	v_sub_f32_e32 v27, s20, v135
	;; [unrolled: 1-line block ×3, first 2 shown]
	v_mfma_f32_16x16x16_bf16 a[8:11], v[140:141], v[20:21], a[8:11]
	v_exp_f32_e32 v26, v26
	v_exp_f32_e32 v27, v27
	;; [unrolled: 1-line block ×4, first 2 shown]
	v_accvgpr_read_b32 v33, a5
	v_accvgpr_read_b32 v32, a4
	;; [unrolled: 1-line block ×4, first 2 shown]
	v_pk_add_f32 v[30:31], v[30:31], v[32:33] neg_lo:[0,1] neg_hi:[0,1]
	s_waitcnt vmcnt(13)
	v_lshlrev_b32_e32 v33, 16, v146
	s_waitcnt vmcnt(12)
	v_lshlrev_b32_e32 v32, 16, v147
	v_pk_add_f32 v[18:19], v[32:33], v[18:19] neg_lo:[0,1] neg_hi:[0,1]
	v_pk_mul_f32 v[30:31], v[26:27], v[30:31]
	v_pk_mul_f32 v[18:19], v[28:29], v[18:19]
	v_accvgpr_read_b32 v33, a9
	v_perm_b32 v19, v19, v18, s17
	v_perm_b32 v18, v31, v30, s17
	v_accvgpr_read_b32 v32, a8
	v_accvgpr_read_b32 v21, a11
	v_mfma_f32_16x16x16_bf16 a[12:15], v[140:141], v[24:25], a[12:15]
	v_accvgpr_read_b32 v20, a10
	v_accvgpr_read_b32 v25, a3
	;; [unrolled: 1-line block ×3, first 2 shown]
	v_mov_b32_e32 v134, 0
	s_waitcnt vmcnt(11)
	v_lshlrev_b32_e32 v31, 16, v136
	s_waitcnt vmcnt(10)
	v_lshlrev_b32_e32 v30, 16, v137
	v_pk_add_f32 v[30:31], v[30:31], v[32:33] neg_lo:[0,1] neg_hi:[0,1]
	s_waitcnt vmcnt(9)
	v_lshlrev_b32_e32 v33, 16, v148
	s_waitcnt vmcnt(8)
	v_lshlrev_b32_e32 v32, 16, v149
	v_pk_add_f32 v[20:21], v[32:33], v[20:21] neg_lo:[0,1] neg_hi:[0,1]
	v_pk_mul_f32 v[30:31], v[26:27], v[30:31]
	v_pk_mul_f32 v[20:21], v[28:29], v[20:21]
	v_accvgpr_read_b32 v23, a15
	v_perm_b32 v21, v21, v20, s17
	v_perm_b32 v20, v31, v30, s17
	ds_write2_b64 v87, v[18:19], v[20:21] offset1:16
	v_accvgpr_read_b32 v21, a13
	s_waitcnt vmcnt(7)
	v_lshlrev_b32_e32 v19, 16, v150
	s_waitcnt vmcnt(6)
	v_lshlrev_b32_e32 v18, 16, v151
	v_accvgpr_read_b32 v20, a12
	v_accvgpr_read_b32 v22, a14
	v_pk_add_f32 v[18:19], v[18:19], v[20:21] neg_lo:[0,1] neg_hi:[0,1]
	s_waitcnt vmcnt(5)
	v_lshlrev_b32_e32 v21, 16, v152
	s_waitcnt vmcnt(4)
	v_lshlrev_b32_e32 v20, 16, v153
	v_pk_add_f32 v[20:21], v[20:21], v[22:23] neg_lo:[0,1] neg_hi:[0,1]
	v_pk_mul_f32 v[18:19], v[26:27], v[18:19]
	v_pk_mul_f32 v[20:21], v[28:29], v[20:21]
	v_accvgpr_read_b32 v23, a1
	v_perm_b32 v21, v21, v20, s17
	v_perm_b32 v20, v19, v18, s17
	s_waitcnt vmcnt(3)
	v_lshlrev_b32_e32 v19, 16, v138
	s_waitcnt vmcnt(2)
	v_lshlrev_b32_e32 v18, 16, v139
	v_accvgpr_read_b32 v22, a0
	v_pk_add_f32 v[18:19], v[18:19], v[22:23] neg_lo:[0,1] neg_hi:[0,1]
	s_waitcnt vmcnt(1)
	v_lshlrev_b32_e32 v23, 16, v154
	s_waitcnt vmcnt(0)
	v_lshlrev_b32_e32 v22, 16, v155
	v_pk_add_f32 v[22:23], v[22:23], v[24:25] neg_lo:[0,1] neg_hi:[0,1]
	v_pk_mul_f32 v[18:19], v[26:27], v[18:19]
	v_pk_mul_f32 v[22:23], v[28:29], v[22:23]
	v_mov_b32_e32 v24, 0
	v_perm_b32 v23, v23, v22, s17
	v_perm_b32 v22, v19, v18, s17
	ds_write2_b64 v87, v[20:21], v[22:23] offset0:32 offset1:48
	v_mov_b32_e32 v18, 0
	v_mov_b32_e32 v19, 0
	;; [unrolled: 1-line block ×15, first 2 shown]
	s_cbranch_vccnz .LBB40_14
; %bb.13:                               ;   in Loop: Header=BB40_6 Depth=1
	s_and_b32 s25, s25, 0xffff
	s_mov_b32 s27, s23
	buffer_load_dwordx4 v[30:33], v124, s[24:27], 0 offen
	buffer_load_dwordx4 v[22:25], v124, s[24:27], s53 offen
	;; [unrolled: 1-line block ×4, first 2 shown]
	v_mov_b32_e32 v133, v81
	v_mov_b32_e32 v134, v80
.LBB40_14:                              ;   in Loop: Header=BB40_6 Depth=1
	s_waitcnt lgkmcnt(0)
	s_barrier
	ds_read_b64 v[144:145], v127
	ds_read2_b64 v[136:139], v117 offset1:16
	ds_read_b64 v[160:161], v128
	ds_read_b64 v[162:163], v129
	;; [unrolled: 1-line block ×3, first 2 shown]
	ds_read2_b64 v[140:143], v117 offset0:32 offset1:48
	s_waitcnt lgkmcnt(4)
	v_mfma_f32_16x16x16_bf16 a[0:3], v[144:145], v[136:137], 0
	ds_read2st64_b64 v[148:151], v119 offset0:4 offset1:8
	ds_read2st64_b64 v[152:155], v120 offset0:4 offset1:8
	;; [unrolled: 1-line block ×3, first 2 shown]
	v_mfma_f32_16x16x16_bf16 a[4:7], v[144:145], v[138:139], 0
	s_add_i32 s21, s44, s56
	s_mul_hi_i32 s25, s21, s49
	s_mul_i32 s21, s21, s49
	s_waitcnt lgkmcnt(3)
	v_mfma_f32_16x16x16_bf16 a[8:11], v[144:145], v[140:141], 0
	s_add_u32 s24, s21, s33
	s_addc_u32 s25, s25, s51
	s_lshl_b64 s[24:25], s[24:25], 15
	v_mfma_f32_16x16x16_bf16 a[12:15], v[144:145], v[142:143], 0
	ds_read2st64_b64 v[144:147], v117 offset0:4 offset1:8
	s_waitcnt lgkmcnt(0)
	v_mfma_f32_16x16x16_bf16 a[0:3], v[160:161], v[144:145], a[0:3]
	v_mfma_f32_16x16x16_bf16 a[4:7], v[160:161], v[148:149], a[4:7]
	;; [unrolled: 1-line block ×8, first 2 shown]
	ds_read_b64 v[160:161], v117 offset:6144
	ds_read_b64 v[162:163], v118 offset:40960
	;; [unrolled: 1-line block ×8, first 2 shown]
	s_waitcnt lgkmcnt(5)
	v_mfma_f32_16x16x16_bf16 a[16:19], v[166:167], v[136:137], 0
	v_mfma_f32_16x16x16_bf16 a[20:23], v[166:167], v[138:139], 0
	ds_read2st64_b64 v[136:139], v114 offset1:8
	v_mfma_f32_16x16x16_bf16 a[24:27], v[166:167], v[140:141], 0
	v_mfma_f32_16x16x16_bf16 a[28:31], v[166:167], v[142:143], 0
	ds_read2st64_b64 v[140:143], v115 offset1:8
	v_mfma_f32_16x16x16_bf16 a[16:19], v[162:163], v[144:145], a[16:19]
	s_waitcnt lgkmcnt(1)
	v_mov_b32_e32 v144, v136
	v_mov_b32_e32 v145, v137
	v_mfma_f32_16x16x16_bf16 a[20:23], v[162:163], v[148:149], a[20:23]
	v_lshl_add_u64 v[148:149], v[70:71], 0, s[24:25]
	v_mfma_f32_16x16x16_bf16 a[24:27], v[162:163], v[152:153], a[24:27]
	v_mfma_f32_16x16x16_bf16 a[28:31], v[162:163], v[156:157], a[28:31]
	v_mfma_f32_16x16x16_bf16 a[16:19], v[174:175], v[146:147], a[16:19]
	s_waitcnt lgkmcnt(0)
	v_mov_b32_e32 v146, v140
	v_mov_b32_e32 v147, v141
	;; [unrolled: 1-line block ×3, first 2 shown]
	v_mfma_f32_16x16x16_bf16 a[32:35], v[174:175], v[150:151], a[20:23]
	v_mov_b32_e32 v141, v139
	ds_read2st64_b64 v[136:139], v114 offset0:16 offset1:24
	global_store_dwordx4 v[148:149], v[144:147], off
	v_mfma_f32_16x16x16_bf16 a[24:27], v[174:175], v[154:155], a[24:27]
	ds_read2st64_b64 v[144:147], v115 offset0:16 offset1:24
	v_add_co_u32_e32 v150, vcc, s31, v148
	v_mfma_f32_16x16x16_bf16 a[28:31], v[174:175], v[158:159], a[28:31]
	s_nop 0
	v_addc_co_u32_e32 v151, vcc, 0, v149, vcc
	global_store_dwordx4 v[150:151], v[140:143], off offset:-4096
	v_mfma_f32_16x16x16_bf16 a[0:3], v[164:165], v[160:161], a[0:3]
	s_waitcnt lgkmcnt(1)
	v_mov_b32_e32 v140, v136
	v_add_co_u32_e32 v136, vcc, s57, v148
	v_mfma_f32_16x16x16_bf16 a[4:7], v[164:165], v[168:169], a[4:7]
	v_mov_b32_e32 v141, v137
	v_addc_co_u32_e32 v137, vcc, 0, v149, vcc
	v_mfma_f32_16x16x16_bf16 a[8:11], v[164:165], v[170:171], a[8:11]
	s_waitcnt lgkmcnt(0)
	v_mov_b32_e32 v142, v144
	v_mov_b32_e32 v143, v145
	;; [unrolled: 1-line block ×3, first 2 shown]
	v_mfma_f32_16x16x16_bf16 a[12:15], v[164:165], v[172:173], a[12:15]
	v_mov_b32_e32 v145, v139
	s_and_b64 vcc, exec, s[0:1]
	global_store_dwordx4 v[150:151], v[140:143], off
	v_mfma_f32_16x16x16_bf16 a[20:23], v[176:177], v[160:161], a[16:19]
	global_store_dwordx4 v[136:137], v[144:147], off
	v_mfma_f32_16x16x16_bf16 a[16:19], v[176:177], v[168:169], a[32:35]
	v_mfma_f32_16x16x16_bf16 a[24:27], v[176:177], v[170:171], a[24:27]
	;; [unrolled: 1-line block ×3, first 2 shown]
	s_cbranch_vccnz .LBB40_16
; %bb.15:                               ;   in Loop: Header=BB40_6 Depth=1
	v_lshrrev_b32_e32 v135, 3, v133
	v_and_b32_e32 v135, 6, v135
	v_xor_b32_e32 v134, v135, v134
	v_lshlrev_b32_e32 v134, 2, v134
	v_and_b32_e32 v133, 8, v133
	v_xor_b32_e32 v136, 0x440, v134
	v_cmp_eq_u32_e32 vcc, 0, v133
	s_barrier
	s_nop 0
	v_cndmask_b32_e32 v133, v136, v134, vcc
	v_lshl_or_b32 v133, v135, 10, v133
	s_waitcnt vmcnt(5)
	v_perm_b32 v134, v30, v26, s54
	s_waitcnt vmcnt(4)
	v_perm_b32 v135, v22, v18, s54
	ds_write2st64_b32 v133, v134, v135 offset0:128 offset1:160
	v_xor_b32_e32 v134, 8, v133
	v_perm_b32 v26, v30, v26, s55
	v_perm_b32 v18, v22, v18, s55
	v_add_u32_e32 v22, 0x80, v134
	ds_write2st64_b32 v22, v26, v18 offset0:128 offset1:160
	v_xor_b32_e32 v18, 16, v133
	v_perm_b32 v22, v31, v27, s54
	v_perm_b32 v26, v23, v19, s54
	ds_write2st64_b32 v18, v22, v26 offset0:129 offset1:161
	v_xor_b32_e32 v18, 24, v133
	v_perm_b32 v22, v31, v27, s55
	v_perm_b32 v19, v23, v19, s55
	v_add_u32_e32 v18, 0x80, v18
	ds_write2st64_b32 v18, v22, v19 offset0:129 offset1:161
	v_xor_b32_e32 v18, 32, v133
	v_perm_b32 v19, v32, v28, s54
	;; [unrolled: 9-line block ×3, first 2 shown]
	v_perm_b32 v20, v25, v21, s54
	ds_write2st64_b32 v18, v19, v20 offset0:131 offset1:163
	v_xor_b32_e32 v18, 56, v133
	v_perm_b32 v19, v33, v29, s55
	v_perm_b32 v20, v25, v21, s55
	v_add_u32_e32 v18, 0x80, v18
	ds_write2st64_b32 v18, v19, v20 offset0:131 offset1:163
	ds_write_b64 v132, v[14:15] offset:49152
	v_xor_b32_e32 v14, 8, v132
	ds_write_b64 v14, v[16:17] offset:49152
	ds_write_b64 v132, v[10:11] offset:57344
	;; [unrolled: 1-line block ×4, first 2 shown]
	v_xor_b32_e32 v6, 8, v131
	ds_write_b64 v6, v[8:9] offset:49152
	ds_write_b64 v131, v[2:3] offset:57344
	;; [unrolled: 1-line block ×3, first 2 shown]
.LBB40_16:                              ;   in Loop: Header=BB40_6 Depth=1
	v_exp_f32_e32 v132, s20
	v_accvgpr_read_b32 v5, a3
	v_accvgpr_read_b32 v9, a7
	;; [unrolled: 1-line block ×4, first 2 shown]
	s_waitcnt vmcnt(4)
	v_accvgpr_read_b32 v18, a20
	v_accvgpr_read_b32 v25, a19
	;; [unrolled: 1-line block ×28, first 2 shown]
	s_add_i32 s50, s50, 64
	v_pk_fma_f32 v[62:63], v[132:133], v[62:63], v[2:3] op_sel_hi:[0,1,1]
	v_pk_fma_f32 v[64:65], v[132:133], v[64:65], v[4:5] op_sel_hi:[0,1,1]
	;; [unrolled: 1-line block ×15, first 2 shown]
	s_cmp_eq_u32 s43, s58
	v_pk_fma_f32 v[38:39], v[132:133], v[38:39], v[32:33] op_sel_hi:[0,1,1]
	s_cbranch_scc1 .LBB40_18
; %bb.17:                               ;   in Loop: Header=BB40_6 Depth=1
	s_mov_b32 s56, s58
	s_branch .LBB40_6
.LBB40_18:
	s_lshl_b32 s0, s43, 6
	s_sub_i32 s45, s45, s0
	s_cmp_gt_i32 s45, 0
	s_cbranch_scc0 .LBB40_99
; %bb.19:
	s_add_i32 s34, s0, s34
	s_ashr_i32 s2, s34, 31
	s_cmpk_lg_i32 s15, 0x80
	s_cselect_b64 s[26:27], -1, 0
	s_and_b64 vcc, exec, s[26:27]
	s_cbranch_vccz .LBB40_21
; %bb.20:
	s_mul_i32 s1, s34, s14
	s_ashr_i32 s3, s48, 31
	s_mul_hi_i32 s0, s34, s14
	s_add_u32 s38, s1, s48
	s_addc_u32 s39, s0, s3
	s_cbranch_execz .LBB40_22
	s_branch .LBB40_23
.LBB40_21:
                                        ; implicit-def: $sgpr38_sgpr39
.LBB40_22:
	s_mul_i32 s1, s48, s12
	s_mul_hi_i32 s0, s48, s12
	s_add_u32 s38, s1, s34
	s_addc_u32 s39, s0, s2
.LBB40_23:
	s_add_i32 s3, s43, s44
	s_ashr_i32 s12, s33, 31
	s_add_u32 s0, s47, s34
	v_lshlrev_b32_e32 v6, 6, v78
	v_lshlrev_b32_e32 v24, 2, v72
	s_addc_u32 s1, s46, s2
	s_mov_b32 s2, 0x7060302
	v_or_b32_e32 v9, v6, v24
	v_xor_b32_e32 v7, v78, v24
	v_perm_b32 v3, v65, v64, s2
	v_perm_b32 v2, v63, v62, s2
	;; [unrolled: 1-line block ×4, first 2 shown]
	v_lshlrev_b32_e32 v9, 1, v9
	v_xor_b32_e32 v8, v79, v24
	ds_write2st64_b64 v9, v[2:3], v[4:5] offset0:32 offset1:48
	v_lshlrev_b32_e32 v7, 1, v7
	v_lshlrev_b32_e32 v9, 8, v72
	v_or_b32_e32 v10, v7, v9
	v_lshlrev_b32_e32 v8, 1, v8
	ds_write_b64 v10, v[2:3]
	v_or_b32_e32 v2, v8, v9
	v_or_b32_e32 v9, 16, v72
	v_lshlrev_b32_e32 v23, 2, v9
	v_or_b32_e32 v10, v6, v23
	ds_write_b64 v2, v[4:5]
	v_perm_b32 v3, v57, v56, s2
	v_perm_b32 v2, v55, v54, s2
	;; [unrolled: 1-line block ×4, first 2 shown]
	v_lshlrev_b32_e32 v10, 1, v10
	v_lshlrev_b32_e32 v9, 8, v9
	ds_write2st64_b64 v10, v[2:3], v[4:5] offset0:32 offset1:48
	v_or_b32_e32 v10, v7, v9
	ds_write_b64 v10, v[2:3]
	v_or_b32_e32 v2, v8, v9
	v_or_b32_e32 v9, 32, v72
	v_lshlrev_b32_e32 v22, 2, v9
	v_or_b32_e32 v10, v6, v22
	s_lshl_b64 s[24:25], s[0:1], 8
	ds_write_b64 v2, v[4:5]
	v_perm_b32 v3, v49, v48, s2
	v_perm_b32 v2, v47, v46, s2
	;; [unrolled: 1-line block ×4, first 2 shown]
	v_lshlrev_b32_e32 v10, 1, v10
	v_lshlrev_b32_e32 v9, 8, v9
	s_add_u32 s0, s6, s24
	ds_write2st64_b64 v10, v[2:3], v[4:5] offset0:32 offset1:48
	v_or_b32_e32 v10, v7, v9
	s_addc_u32 s1, s7, s25
	ds_write_b64 v10, v[2:3]
	v_or_b32_e32 v2, v8, v9
	v_or_b32_e32 v9, 48, v72
	s_mul_hi_i32 s6, s3, s13
	s_mul_i32 s3, s3, s13
	ds_write_b64 v2, v[4:5]
	v_perm_b32 v3, v35, v34, s2
	v_perm_b32 v2, v41, v40, s2
	;; [unrolled: 1-line block ×4, first 2 shown]
	v_lshlrev_b32_e32 v19, 2, v9
	s_add_u32 s2, s3, s33
	v_or_b32_e32 v6, v6, v19
	s_addc_u32 s3, s6, s12
	v_lshlrev_b32_e32 v6, 1, v6
	s_ashr_i32 s31, s30, 31
	s_lshl_b64 s[2:3], s[2:3], 15
	ds_write2st64_b64 v6, v[2:3], v[4:5] offset0:32 offset1:48
	v_lshlrev_b32_e32 v6, 8, v9
	s_add_u32 s6, s36, s2
	v_or_b32_e32 v7, v7, v6
	s_addc_u32 s7, s37, s3
	s_lshl_b64 s[2:3], s[30:31], 8
	ds_write_b64 v7, v[2:3]
	v_or_b32_e32 v2, v8, v6
	s_add_u32 s2, s6, s2
	v_lshlrev_b32_e32 v3, 1, v72
	ds_write_b64 v2, v[4:5]
	v_lshrrev_b32_e32 v2, 4, v0
	s_addc_u32 s3, s7, s3
	v_or_b32_e32 v4, 1, v3
	v_lshlrev_b32_e32 v10, 4, v72
	v_mov_b32_e32 v11, 0
	v_xor_b32_e32 v3, v2, v3
	v_xor_b32_e32 v6, v4, v2
	v_lshl_add_u64 v[12:13], s[2:3], 0, v[10:11]
	v_lshlrev_b32_e32 v10, 8, v2
	v_lshl_or_b32 v16, v3, 3, v10
	v_lshl_or_b32 v17, v6, 3, v10
	s_waitcnt lgkmcnt(0)
	s_barrier
	ds_read2st64_b64 v[2:5], v16 offset1:8
	ds_read2st64_b64 v[6:9], v17 offset1:8
	v_lshl_add_u64 v[14:15], v[12:13], 0, v[10:11]
	s_movk_i32 s2, 0x2000
	s_cmp_lg_u32 s45, 64
	s_waitcnt lgkmcnt(1)
	v_mov_b32_e32 v10, v2
	v_mov_b32_e32 v11, v3
	s_waitcnt lgkmcnt(0)
	v_mov_b32_e32 v12, v6
	v_mov_b32_e32 v13, v7
	global_store_dwordx4 v[14:15], v[10:13], off
	v_mov_b32_e32 v6, v4
	v_mov_b32_e32 v7, v5
	ds_read2st64_b64 v[2:5], v16 offset0:16 offset1:24
	ds_read2st64_b64 v[10:13], v17 offset0:16 offset1:24
	v_add_co_u32_e32 v16, vcc, s2, v14
	s_cselect_b64 s[6:7], -1, 0
	s_nop 0
	v_addc_co_u32_e32 v17, vcc, 0, v15, vcc
	global_store_dwordx4 v[16:17], v[6:9], off offset:-4096
	v_lshl_or_b32 v25, v74, 3, v77
	s_mov_b32 s20, 0
	s_waitcnt lgkmcnt(1)
	v_mov_b32_e32 v6, v2
	v_add_co_u32_e32 v2, vcc, 0x3000, v14
	v_mov_b32_e32 v7, v3
	s_nop 0
	v_addc_co_u32_e32 v3, vcc, 0, v15, vcc
	s_waitcnt lgkmcnt(0)
	v_mov_b32_e32 v8, v10
	v_mov_b32_e32 v9, v11
	v_mov_b32_e32 v10, v4
	v_mov_b32_e32 v11, v5
	v_or_b32_e32 v20, 32, v25
	v_and_b32_e32 v18, 56, v76
	s_and_b64 vcc, exec, s[6:7]
	global_store_dwordx4 v[16:17], v[6:9], off
	global_store_dwordx4 v[2:3], v[10:13], off
	s_cbranch_vccz .LBB40_29
; %bb.24:
	s_mov_b32 s21, s20
	s_mov_b32 s22, s20
	;; [unrolled: 1-line block ×3, first 2 shown]
	v_mov_b64_e32 v[6:7], s[20:21]
	v_mov_b64_e32 v[8:9], s[22:23]
	;; [unrolled: 1-line block ×3, first 2 shown]
	v_cmp_gt_i32_e32 vcc, s45, v25
	v_mov_b64_e32 v[4:5], v[8:9]
	s_and_saveexec_b64 s[2:3], vcc
	s_cbranch_execz .LBB40_26
; %bb.25:
	v_lshlrev_b32_e32 v2, 8, v25
	v_mov_b32_e32 v3, 0
	v_lshl_add_u64 v[4:5], s[0:1], 0, v[2:3]
	v_lshlrev_b32_e32 v2, 1, v18
	v_lshl_add_u64 v[10:11], v[4:5], 0, v[2:3]
	global_load_dwordx4 v[6:9], v[10:11], off
	global_load_dwordx4 v[2:5], v[10:11], off offset:128
.LBB40_26:
	s_or_b64 exec, exec, s[2:3]
	s_mov_b32 s21, s20
	s_mov_b32 s22, s20
	;; [unrolled: 1-line block ×3, first 2 shown]
	v_mov_b64_e32 v[14:15], s[20:21]
	v_mov_b64_e32 v[16:17], s[22:23]
	;; [unrolled: 1-line block ×3, first 2 shown]
	v_cmp_gt_i32_e32 vcc, s45, v20
	v_lshlrev_b32_e32 v21, 7, v20
	v_mov_b64_e32 v[12:13], v[16:17]
	s_and_saveexec_b64 s[2:3], vcc
	s_cbranch_execz .LBB40_28
; %bb.27:
	v_lshlrev_b32_e32 v10, 1, v21
	v_mov_b32_e32 v11, 0
	v_lshl_add_u64 v[12:13], s[0:1], 0, v[10:11]
	v_lshlrev_b32_e32 v10, 1, v18
	v_lshl_add_u64 v[26:27], v[12:13], 0, v[10:11]
	global_load_dwordx4 v[14:17], v[26:27], off
	global_load_dwordx4 v[10:13], v[26:27], off offset:128
.LBB40_28:
	s_or_b64 exec, exec, s[2:3]
	v_lshrrev_b32_e32 v26, 3, v18
	v_lshlrev_b32_e32 v27, 3, v25
	v_or_b32_e32 v26, v27, v26
	v_lshlrev_b32_e32 v26, 4, v26
	v_and_b32_e32 v27, 0x78, v27
	v_xor_b32_e32 v26, v26, v27
	s_branch .LBB40_31
.LBB40_29:
                                        ; implicit-def: $vgpr26
                                        ; implicit-def: $vgpr21
                                        ; implicit-def: $vgpr6_vgpr7_vgpr8_vgpr9
                                        ; implicit-def: $vgpr2_vgpr3_vgpr4_vgpr5
                                        ; implicit-def: $vgpr14_vgpr15_vgpr16_vgpr17
                                        ; implicit-def: $vgpr10_vgpr11_vgpr12_vgpr13
	s_cbranch_execz .LBB40_31
; %bb.30:
	s_waitcnt vmcnt(0)
	v_lshlrev_b32_e32 v2, 1, v18
	v_lshl_or_b32 v21, v25, 8, v2
	s_and_b32 s1, s1, 0xffff
	s_mov_b32 s3, 0x20000
	s_movk_i32 s2, 0x4000
	v_lshl_or_b32 v26, v20, 8, v2
	s_movk_i32 s13, 0x80
	buffer_load_dwordx4 v[6:9], v21, s[0:3], 0 offen
	buffer_load_dwordx4 v[2:5], v21, s[0:3], s13 offen
	;; [unrolled: 1-line block ×4, first 2 shown]
	v_lshrrev_b32_e32 v21, 3, v18
	v_lshlrev_b32_e32 v26, 3, v25
	v_or_b32_e32 v21, v26, v21
	v_lshlrev_b32_e32 v21, 4, v21
	v_and_b32_e32 v26, 0x78, v26
	v_xor_b32_e32 v26, v21, v26
	v_lshlrev_b32_e32 v21, 7, v20
.LBB40_31:
	s_movk_i32 s0, 0x1000
	v_and_or_b32 v20, v21, s0, v26
	s_waitcnt vmcnt(1)
	ds_write_b64 v26, v[6:7] offset:49152
	v_xor_b32_e32 v6, 8, v26
	ds_write_b64 v6, v[8:9] offset:49152
	s_waitcnt vmcnt(0)
	ds_write_b64 v26, v[2:3] offset:57344
	ds_write_b64 v6, v[4:5] offset:57344
	;; [unrolled: 1-line block ×3, first 2 shown]
	v_xor_b32_e32 v2, 8, v20
	ds_write_b64 v2, v[16:17] offset:49152
	ds_write_b64 v20, v[10:11] offset:57344
	;; [unrolled: 1-line block ×3, first 2 shown]
	v_or_b32_e32 v2, v1, v72
	v_lshlrev_b32_e32 v3, 11, v74
	v_lshlrev_b32_e32 v2, 3, v2
	v_and_b32_e32 v6, 0x1000, v3
	v_lshrrev_b32_e32 v3, 5, v73
	s_movk_i32 s0, 0xf8
	v_and_or_b32 v3, v2, s0, v3
	v_lshlrev_b32_e32 v7, 4, v3
	v_and_b32_e32 v8, 0x78, v2
	v_or_b32_e32 v10, 32, v7
	v_lshrrev_b32_e32 v3, 1, v73
	v_xor_b32_e32 v10, v10, v8
	v_xor_b32_e32 v2, v7, v8
	v_and_b32_e32 v9, 8, v3
	v_or_b32_e32 v10, v10, v6
	v_or_b32_e32 v2, v2, v6
	v_xor_b32_e32 v28, v10, v9
	v_or_b32_e32 v10, 64, v7
	v_xor_b32_e32 v27, v2, v9
	v_xor_b32_e32 v10, v10, v8
	s_waitcnt lgkmcnt(0)
	s_barrier
	v_or_b32_e32 v13, v10, v6
	ds_read_b64 v[10:11], v27 offset:49152
	v_lshl_or_b32 v14, v75, 8, v24
	v_lshlrev_b32_e32 v26, 1, v14
	v_add_u32_e32 v12, 0x4000, v26
	ds_read2_b64 v[2:5], v12 offset1:16
	v_or_b32_e32 v7, 0x60, v7
	v_xor_b32_e32 v7, v7, v8
	v_or_b32_e32 v6, v7, v6
	v_xor_b32_e32 v29, v13, v9
	v_xor_b32_e32 v30, v6, v9
	ds_read_b64 v[20:21], v28 offset:49152
	ds_read_b64 v[34:35], v29 offset:49152
	;; [unrolled: 1-line block ×3, first 2 shown]
	s_waitcnt lgkmcnt(3)
	v_mfma_f32_16x16x16_bf16 a[0:3], v[10:11], v[2:3], 0
	ds_read2_b64 v[6:9], v12 offset0:32 offset1:48
	s_lshl_b64 s[0:1], s[38:39], 8
	s_add_u32 s4, s4, s0
	v_mfma_f32_16x16x16_bf16 a[4:7], v[10:11], v[4:5], 0
	ds_read2st64_b64 v[2:5], v26 offset0:36 offset1:40
	s_addc_u32 s5, s5, s1
	s_add_i32 s0, s41, s40
	s_waitcnt lgkmcnt(1)
	v_mfma_f32_16x16x16_bf16 a[8:11], v[10:11], v[6:7], 0
	v_or_b32_e32 v6, 64, v14
	v_lshlrev_b32_e32 v31, 1, v6
	s_add_i32 s2, s35, -1
	s_waitcnt lgkmcnt(0)
	v_mfma_f32_16x16x16_bf16 a[0:3], v[20:21], v[2:3], a[0:3]
	v_or_b32_e32 v2, 0x80, v14
	v_lshlrev_b32_e32 v32, 1, v2
	v_or_b32_e32 v2, 0xc0, v14
	v_mfma_f32_16x16x16_bf16 a[12:15], v[10:11], v[8:9], 0
	ds_read2st64_b64 v[6:9], v31 offset0:36 offset1:40
	v_lshlrev_b32_e32 v33, 1, v2
	ds_read2st64_b64 v[10:13], v32 offset0:36 offset1:40
	ds_read2st64_b64 v[14:17], v33 offset0:36 offset1:40
	s_add_i32 s17, s0, s42
	s_mul_i32 s0, s33, s19
	s_mul_hi_u32 s1, s33, s18
	s_add_i32 s0, s1, s0
	s_mul_i32 s1, s12, s18
	s_ashr_i32 s3, s2, 31
	s_mul_i32 s12, s2, s29
	s_mul_hi_u32 s13, s2, s28
	s_waitcnt lgkmcnt(2)
	v_mfma_f32_16x16x16_bf16 a[4:7], v[20:21], v[6:7], a[4:7]
	s_add_i32 s12, s13, s12
	s_mul_i32 s3, s3, s28
	s_add_i32 s1, s0, s1
	s_waitcnt lgkmcnt(1)
	v_mfma_f32_16x16x16_bf16 a[8:11], v[20:21], v[10:11], a[8:11]
	s_add_i32 s3, s12, s3
	s_lshl_b64 s[12:13], s[16:17], 2
	s_mul_i32 s0, s33, s18
	s_waitcnt lgkmcnt(0)
	v_mfma_f32_16x16x16_bf16 a[12:15], v[20:21], v[14:15], a[12:15]
	s_add_u32 s10, s10, s12
	s_addc_u32 s11, s11, s13
	s_lshl_b64 s[0:1], s[0:1], 2
	v_mfma_f32_16x16x16_bf16 a[0:3], v[34:35], v[4:5], a[0:3]
	s_mul_i32 s2, s2, s28
	ds_read_b64 v[2:3], v26 offset:22528
	s_add_u32 s10, s10, s0
	v_mfma_f32_16x16x16_bf16 a[4:7], v[34:35], v[8:9], a[4:7]
	ds_read_b64 v[4:5], v31 offset:22528
	ds_read_b64 v[6:7], v32 offset:22528
	;; [unrolled: 1-line block ×3, first 2 shown]
	s_addc_u32 s11, s11, s1
	s_lshl_b64 s[0:1], s[2:3], 2
	v_mfma_f32_16x16x16_bf16 a[8:11], v[34:35], v[12:13], a[8:11]
	s_add_u32 s0, s10, s0
	s_addc_u32 s1, s11, s1
	s_load_dword s12, s[0:1], 0x0
	v_mfma_f32_16x16x16_bf16 a[12:15], v[34:35], v[16:17], a[12:15]
	s_and_b64 vcc, exec, s[26:27]
	s_waitcnt lgkmcnt(0)
	v_mfma_f32_16x16x16_bf16 a[0:3], v[36:37], v[2:3], a[0:3]
	v_mfma_f32_16x16x16_bf16 a[4:7], v[36:37], v[4:5], a[4:7]
	;; [unrolled: 1-line block ×4, first 2 shown]
	s_cbranch_vccz .LBB40_42
; %bb.32:
	v_lshlrev_b32_e32 v20, 1, v25
	s_and_b64 vcc, exec, s[6:7]
	s_cbranch_vccz .LBB40_43
; %bb.33:
	v_cmp_gt_i32_e32 vcc, s45, v20
	v_mov_b32_e32 v6, 0
	v_mov_b32_e32 v2, 0
	;; [unrolled: 1-line block ×5, first 2 shown]
	s_and_saveexec_b64 s[0:1], vcc
	s_cbranch_execz .LBB40_35
; %bb.34:
	v_mad_i64_i32 v[2:3], s[2:3], s15, v20, 0
	v_lshl_add_u64 v[2:3], v[2:3], 1, s[4:5]
	v_lshlrev_b32_e32 v4, 1, v18
	v_mov_b32_e32 v5, 0
	v_lshl_add_u64 v[2:3], v[2:3], 0, v[4:5]
	global_load_dwordx4 v[2:5], v[2:3], off
.LBB40_35:
	s_or_b64 exec, exec, s[0:1]
	v_or_b32_e32 v21, 1, v20
	v_cmp_gt_i32_e64 s[0:1], s45, v21
	v_mov_b32_e32 v7, 0
	v_mov_b32_e32 v8, 0
	;; [unrolled: 1-line block ×3, first 2 shown]
	s_and_saveexec_b64 s[2:3], s[0:1]
	s_cbranch_execz .LBB40_37
; %bb.36:
	v_mad_i64_i32 v[6:7], s[16:17], s15, v21, 0
	v_lshl_add_u64 v[6:7], v[6:7], 1, s[4:5]
	v_lshlrev_b32_e32 v8, 1, v18
	v_mov_b32_e32 v9, 0
	v_lshl_add_u64 v[6:7], v[6:7], 0, v[8:9]
	global_load_dwordx4 v[6:9], v[6:7], off
.LBB40_37:
	s_or_b64 exec, exec, s[2:3]
	v_mov_b32_e32 v17, 0
	v_mov_b32_e32 v10, 0
	;; [unrolled: 1-line block ×5, first 2 shown]
	s_and_saveexec_b64 s[2:3], vcc
	s_cbranch_execz .LBB40_39
; %bb.38:
	v_mad_i64_i32 v[10:11], s[16:17], s15, v20, 0
	v_lshl_add_u64 v[10:11], v[10:11], 1, s[4:5]
	v_lshlrev_b32_e32 v12, 1, v18
	v_mov_b32_e32 v13, 0
	v_lshl_add_u64 v[10:11], v[10:11], 0, v[12:13]
	global_load_dwordx4 v[10:13], v[10:11], off offset:128
.LBB40_39:
	s_or_b64 exec, exec, s[2:3]
	v_mov_b32_e32 v16, 0
	v_mov_b32_e32 v15, 0
	;; [unrolled: 1-line block ×3, first 2 shown]
	s_and_saveexec_b64 s[2:3], s[0:1]
	s_cbranch_execz .LBB40_41
; %bb.40:
	v_mad_i64_i32 v[14:15], s[0:1], s15, v21, 0
	v_lshl_add_u64 v[14:15], v[14:15], 1, s[4:5]
	v_lshlrev_b32_e32 v16, 1, v18
	v_mov_b32_e32 v17, 0
	v_lshl_add_u64 v[14:15], v[14:15], 0, v[16:17]
	global_load_dwordx4 v[14:17], v[14:15], off offset:128
.LBB40_41:
	s_or_b64 exec, exec, s[2:3]
	s_branch .LBB40_45
.LBB40_42:
                                        ; implicit-def: $vgpr5
                                        ; implicit-def: $vgpr9
                                        ; implicit-def: $vgpr13
                                        ; implicit-def: $vgpr17
	v_lshrrev_b32_e32 v34, 2, v73
	s_branch .LBB40_46
.LBB40_43:
                                        ; implicit-def: $vgpr5
                                        ; implicit-def: $vgpr9
                                        ; implicit-def: $vgpr13
                                        ; implicit-def: $vgpr17
	s_cbranch_execz .LBB40_45
; %bb.44:
	s_waitcnt vmcnt(0)
	v_mad_u64_u32 v[2:3], s[0:1], v20, s15, v[18:19]
	v_lshlrev_b32_e32 v20, 1, v2
	s_lshl_b32 s2, s15, 7
	s_and_b32 s1, s5, 0xffff
	s_mov_b32 s3, 0x20000
	s_mov_b32 s0, s4
	v_add_lshl_u32 v21, v2, s15, 1
	s_movk_i32 s13, 0x80
	buffer_load_dwordx4 v[2:5], v20, s[0:3], 0 offen
	buffer_load_dwordx4 v[10:13], v20, s[0:3], s13 offen
	;; [unrolled: 1-line block ×4, first 2 shown]
.LBB40_45:
	v_lshrrev_b32_e32 v34, 2, v73
	s_cbranch_execnz .LBB40_58
.LBB40_46:
	s_and_b64 vcc, exec, s[6:7]
	s_cbranch_vccz .LBB40_56
; %bb.47:
	s_waitcnt vmcnt(0)
	v_lshlrev_b32_e32 v7, 1, v25
	v_cmp_gt_i32_e32 vcc, s45, v7
	v_mov_b32_e32 v6, 0
	v_lshlrev_b32_e32 v14, 9, v25
	v_mov_b32_e32 v2, 0
	v_mov_b32_e32 v3, 0
	;; [unrolled: 1-line block ×4, first 2 shown]
	s_and_saveexec_b64 s[0:1], vcc
	s_cbranch_execz .LBB40_49
; %bb.48:
	v_mov_b32_e32 v15, 0
	v_lshl_add_u64 v[2:3], s[4:5], 0, v[14:15]
	v_lshlrev_b32_e32 v4, 1, v18
	v_mov_b32_e32 v5, v15
	v_lshl_add_u64 v[2:3], v[2:3], 0, v[4:5]
	global_load_dwordx4 v[2:5], v[2:3], off
.LBB40_49:
	s_or_b64 exec, exec, s[0:1]
	v_or_b32_e32 v7, 1, v7
	v_cmp_gt_i32_e64 s[0:1], s45, v7
	v_lshlrev_b32_e32 v20, 8, v7
	v_mov_b32_e32 v7, 0
	v_mov_b32_e32 v8, 0
	;; [unrolled: 1-line block ×3, first 2 shown]
	s_and_saveexec_b64 s[2:3], s[0:1]
	s_cbranch_execz .LBB40_51
; %bb.50:
	v_mov_b32_e32 v21, 0
	v_lshl_add_u64 v[6:7], s[4:5], 0, v[20:21]
	v_lshlrev_b32_e32 v8, 1, v18
	v_mov_b32_e32 v9, v21
	v_lshl_add_u64 v[6:7], v[6:7], 0, v[8:9]
	global_load_dwordx4 v[6:9], v[6:7], off
.LBB40_51:
	s_or_b64 exec, exec, s[2:3]
	v_mov_b32_e32 v17, 0
	v_mov_b32_e32 v10, 0
	;; [unrolled: 1-line block ×5, first 2 shown]
	s_and_saveexec_b64 s[2:3], vcc
	s_cbranch_execz .LBB40_53
; %bb.52:
	v_mov_b32_e32 v15, 0
	v_lshl_add_u64 v[10:11], s[4:5], 0, v[14:15]
	v_lshlrev_b32_e32 v14, 1, v18
	v_lshl_add_u64 v[10:11], v[10:11], 0, v[14:15]
	global_load_dwordx4 v[10:13], v[10:11], off offset:128
.LBB40_53:
	s_or_b64 exec, exec, s[2:3]
	v_mov_b32_e32 v16, 0
	v_mov_b32_e32 v15, 0
	;; [unrolled: 1-line block ×3, first 2 shown]
	s_and_saveexec_b64 s[2:3], s[0:1]
	s_cbranch_execz .LBB40_55
; %bb.54:
	v_mov_b32_e32 v21, 0
	v_lshl_add_u64 v[14:15], s[4:5], 0, v[20:21]
	v_lshlrev_b32_e32 v20, 1, v18
	v_lshl_add_u64 v[14:15], v[14:15], 0, v[20:21]
	global_load_dwordx4 v[14:17], v[14:15], off offset:128
.LBB40_55:
	s_or_b64 exec, exec, s[2:3]
	s_branch .LBB40_58
.LBB40_56:
                                        ; implicit-def: $vgpr5
                                        ; implicit-def: $vgpr9
                                        ; implicit-def: $vgpr13
                                        ; implicit-def: $vgpr17
	s_cbranch_execz .LBB40_58
; %bb.57:
	s_waitcnt vmcnt(0)
	v_lshlrev_b32_e32 v2, 1, v18
	v_lshl_or_b32 v18, v25, 9, v2
	s_and_b32 s5, s5, 0xffff
	s_mov_b32 s7, 0x20000
	s_movk_i32 s6, 0x4000
	s_movk_i32 s0, 0x80
	buffer_load_dwordx4 v[2:5], v18, s[4:7], 0 offen
	buffer_load_dwordx4 v[6:9], v18, s[4:7], 0 offen offset:256
	buffer_load_dwordx4 v[10:13], v18, s[4:7], s0 offen
	buffer_load_dwordx4 v[14:17], v18, s[4:7], s0 offen offset:256
.LBB40_58:
	ds_read_b64 v[20:21], v27 offset:57344
	v_add_u32_e32 v18, 0x6000, v26
	ds_read2_b64 v[36:39], v18 offset1:16
	ds_read_b64 v[52:53], v28 offset:57344
	ds_read_b64 v[28:29], v29 offset:57344
	;; [unrolled: 1-line block ×3, first 2 shown]
	ds_read2st64_b64 v[40:43], v26 offset0:52 offset1:56
	s_mov_b32 s0, 0x1000504
	s_mov_b32 s1, 0x3020706
	s_waitcnt lgkmcnt(4)
	v_mfma_f32_16x16x16_bf16 a[0:3], v[20:21], v[36:37], a[0:3]
	v_mfma_f32_16x16x16_bf16 a[4:7], v[20:21], v[38:39], a[4:7]
	ds_read2_b64 v[36:39], v18 offset0:32 offset1:48
	v_and_b32_e32 v18, 6, v0
	v_xor_b32_e32 v25, v25, v18
	s_waitcnt lgkmcnt(0)
	v_mfma_f32_16x16x16_bf16 a[8:11], v[20:21], v[36:37], a[8:11]
	v_lshlrev_b32_e32 v25, 2, v25
	v_and_b32_e32 v0, 1, v0
	v_xor_b32_e32 v35, 0x440, v25
	v_mfma_f32_16x16x16_bf16 a[12:15], v[20:21], v[38:39], a[12:15]
	ds_read2st64_b64 v[36:39], v31 offset0:52 offset1:56
	ds_read2st64_b64 v[44:47], v32 offset0:52 offset1:56
	;; [unrolled: 1-line block ×3, first 2 shown]
	v_cmp_eq_u32_e32 vcc, 0, v0
	ds_read_b64 v[20:21], v26 offset:30720
	ds_read_b64 v[26:27], v31 offset:30720
	;; [unrolled: 1-line block ×4, first 2 shown]
	v_mfma_f32_16x16x16_bf16 a[0:3], v[52:53], v[40:41], a[0:3]
	v_cndmask_b32_e32 v0, v35, v25, vcc
	v_lshl_or_b32 v0, v18, 10, v0
	s_waitcnt vmcnt(0)
	v_perm_b32 v18, v2, v6, s0
	s_waitcnt lgkmcnt(6)
	v_mfma_f32_16x16x16_bf16 a[4:7], v[52:53], v[36:37], a[4:7]
	v_perm_b32 v25, v10, v14, s0
	ds_write2st64_b32 v0, v18, v25 offset0:128 offset1:160
	v_xor_b32_e32 v18, 8, v0
	s_waitcnt lgkmcnt(6)
	v_mfma_f32_16x16x16_bf16 a[8:11], v[52:53], v[44:45], a[8:11]
	v_perm_b32 v2, v2, v6, s1
	v_perm_b32 v6, v10, v14, s1
	v_add_u32_e32 v10, 0x80, v18
	s_waitcnt lgkmcnt(5)
	v_mfma_f32_16x16x16_bf16 a[12:15], v[52:53], v[48:49], a[12:15]
	ds_write2st64_b32 v10, v2, v6 offset0:128 offset1:160
	v_xor_b32_e32 v2, 16, v0
	v_perm_b32 v6, v3, v7, s0
	v_mfma_f32_16x16x16_bf16 a[0:3], v[28:29], v[42:43], a[0:3]
	v_perm_b32 v10, v11, v15, s0
	ds_write2st64_b32 v2, v6, v10 offset0:129 offset1:161
	v_xor_b32_e32 v2, 24, v0
	v_mfma_f32_16x16x16_bf16 a[4:7], v[28:29], v[38:39], a[4:7]
	v_perm_b32 v3, v3, v7, s1
	v_perm_b32 v6, v11, v15, s1
	v_add_u32_e32 v2, 0x80, v2
	v_mfma_f32_16x16x16_bf16 a[16:19], v[28:29], v[46:47], a[8:11]
	ds_write2st64_b32 v2, v3, v6 offset0:129 offset1:161
	v_xor_b32_e32 v2, 32, v0
	v_perm_b32 v3, v4, v8, s0
	v_mfma_f32_16x16x16_bf16 a[20:23], v[28:29], v[50:51], a[12:15]
	v_perm_b32 v6, v12, v16, s0
	ds_write2st64_b32 v2, v3, v6 offset0:130 offset1:162
	v_xor_b32_e32 v2, 40, v0
	s_waitcnt lgkmcnt(8)
	v_mfma_f32_16x16x16_bf16 a[12:15], v[54:55], v[20:21], a[0:3]
	v_perm_b32 v3, v4, v8, s1
	v_perm_b32 v4, v12, v16, s1
	v_add_u32_e32 v2, 0x80, v2
	s_waitcnt lgkmcnt(7)
	v_mfma_f32_16x16x16_bf16 a[8:11], v[54:55], v[26:27], a[4:7]
	ds_write2st64_b32 v2, v3, v4 offset0:130 offset1:162
	v_xor_b32_e32 v2, 48, v0
	v_perm_b32 v3, v5, v9, s0
	s_waitcnt lgkmcnt(7)
	v_mfma_f32_16x16x16_bf16 a[4:7], v[54:55], v[30:31], a[16:19]
	v_perm_b32 v4, v13, v17, s0
	v_xor_b32_e32 v0, 56, v0
	v_and_or_b32 v18, v34, 12, v1
	s_waitcnt lgkmcnt(6)
	v_mfma_f32_16x16x16_bf16 a[0:3], v[54:55], v[32:33], a[20:23]
	ds_write2st64_b32 v2, v3, v4 offset0:131 offset1:163
	v_perm_b32 v2, v5, v9, s1
	v_perm_b32 v3, v13, v17, s1
	v_add_u32_e32 v0, 0x80, v0
	v_cmp_gt_i32_e32 vcc, s45, v18
	v_mov_b32_e32 v14, 0
	v_mov_b32_e32 v16, 0
	ds_write2st64_b32 v0, v2, v3 offset0:131 offset1:163
	s_and_saveexec_b64 s[0:1], vcc
	s_cbranch_execz .LBB40_60
; %bb.59:
	v_add_u32_e32 v0, s34, v18
	v_ashrrev_i32_e32 v1, 31, v0
	v_mul_lo_u32 v2, v1, s28
	v_mul_lo_u32 v3, v0, s29
	v_mad_u64_u32 v[0:1], s[2:3], v0, s28, 0
	v_add3_u32 v1, v1, v3, v2
	v_lshl_add_u64 v[0:1], v[0:1], 2, s[10:11]
	global_load_dword v0, v[0:1], off
	s_waitcnt vmcnt(0)
	v_sub_f32_e32 v0, s12, v0
	v_exp_f32_e32 v16, v0
.LBB40_60:
	s_or_b64 exec, exec, s[0:1]
	v_or_b32_e32 v8, 1, v18
	v_cmp_gt_i32_e64 s[0:1], s45, v8
	s_and_saveexec_b64 s[2:3], s[0:1]
	s_cbranch_execz .LBB40_62
; %bb.61:
	v_add_u32_e32 v0, s34, v8
	v_ashrrev_i32_e32 v1, 31, v0
	v_mul_lo_u32 v2, v1, s28
	v_mul_lo_u32 v3, v0, s29
	v_mad_u64_u32 v[0:1], s[4:5], v0, s28, 0
	v_add3_u32 v1, v1, v3, v2
	v_lshl_add_u64 v[0:1], v[0:1], 2, s[10:11]
	global_load_dword v0, v[0:1], off
	s_waitcnt vmcnt(0)
	v_sub_f32_e32 v0, s12, v0
	v_exp_f32_e32 v14, v0
.LBB40_62:
	s_or_b64 exec, exec, s[2:3]
	v_or_b32_e32 v10, 2, v18
	v_cmp_gt_i32_e64 s[2:3], s45, v10
	v_mov_b32_e32 v15, 0
	v_mov_b32_e32 v17, 0
	s_and_saveexec_b64 s[4:5], s[2:3]
	s_cbranch_execz .LBB40_64
; %bb.63:
	v_add_u32_e32 v0, s34, v10
	v_ashrrev_i32_e32 v1, 31, v0
	v_mul_lo_u32 v2, v1, s28
	v_mul_lo_u32 v3, v0, s29
	v_mad_u64_u32 v[0:1], s[6:7], v0, s28, 0
	v_add3_u32 v1, v1, v3, v2
	v_lshl_add_u64 v[0:1], v[0:1], 2, s[10:11]
	global_load_dword v0, v[0:1], off
	s_waitcnt vmcnt(0)
	v_sub_f32_e32 v0, s12, v0
	v_exp_f32_e32 v17, v0
.LBB40_64:
	s_or_b64 exec, exec, s[4:5]
	v_or_b32_e32 v12, 3, v18
	v_cmp_gt_i32_e64 s[4:5], s45, v12
	s_and_saveexec_b64 s[6:7], s[4:5]
	s_cbranch_execz .LBB40_66
; %bb.65:
	v_add_u32_e32 v0, s34, v12
	v_ashrrev_i32_e32 v1, 31, v0
	v_mul_lo_u32 v2, v1, s28
	v_mul_lo_u32 v3, v0, s29
	v_mad_u64_u32 v[0:1], s[14:15], v0, s28, 0
	v_add3_u32 v1, v1, v3, v2
	v_lshl_add_u64 v[0:1], v[0:1], 2, s[10:11]
	global_load_dword v0, v[0:1], off
	s_waitcnt vmcnt(0)
	v_sub_f32_e32 v0, s12, v0
	v_exp_f32_e32 v15, v0
.LBB40_66:
	s_or_b64 exec, exec, s[6:7]
	v_or_b32_e32 v4, s30, v72
	s_add_u32 s6, s8, s24
	v_accvgpr_read_b32 v0, a12
	s_addc_u32 s7, s9, s25
	v_ashrrev_i32_e32 v5, 31, v4
	v_accvgpr_read_b32 v1, a13
	v_accvgpr_read_b32 v2, a14
	;; [unrolled: 1-line block ×3, first 2 shown]
	v_lshl_add_u64 v[4:5], v[4:5], 1, s[6:7]
	v_mov_b32_e32 v9, 0
	v_lshlrev_b32_e32 v6, 8, v18
	v_mov_b32_e32 v7, 0
	s_and_saveexec_b64 s[6:7], vcc
	s_cbranch_execz .LBB40_68
; %bb.67:
	v_mov_b32_e32 v7, 0
	v_lshl_add_u64 v[20:21], v[4:5], 0, v[6:7]
	global_load_ushort v7, v[20:21], off
	s_waitcnt vmcnt(0)
	v_lshlrev_b32_e32 v7, 16, v7
	v_sub_f32_e32 v0, v7, v0
	v_mul_f32_e32 v0, v16, v0
	v_lshrrev_b32_e32 v7, 16, v0
.LBB40_68:
	s_or_b64 exec, exec, s[6:7]
	v_lshlrev_b32_e32 v8, 8, v8
	s_and_saveexec_b64 s[6:7], s[0:1]
	s_cbranch_execz .LBB40_70
; %bb.69:
	v_mov_b32_e32 v9, 0
	v_lshl_add_u64 v[20:21], v[4:5], 0, v[8:9]
	global_load_ushort v0, v[20:21], off
	s_waitcnt vmcnt(0)
	v_lshlrev_b32_e32 v0, 16, v0
	v_sub_f32_e32 v0, v0, v1
	v_mul_f32_e32 v0, v14, v0
	v_lshrrev_b32_e32 v9, 16, v0
.LBB40_70:
	s_or_b64 exec, exec, s[6:7]
	v_mov_b32_e32 v13, 0
	v_lshlrev_b32_e32 v10, 8, v10
	v_mov_b32_e32 v11, 0
	s_and_saveexec_b64 s[6:7], s[2:3]
	s_cbranch_execz .LBB40_72
; %bb.71:
	v_mov_b32_e32 v11, 0
	v_lshl_add_u64 v[0:1], v[4:5], 0, v[10:11]
	global_load_ushort v0, v[0:1], off
	s_waitcnt vmcnt(0)
	v_lshlrev_b32_e32 v0, 16, v0
	v_sub_f32_e32 v0, v0, v2
	v_mul_f32_e32 v0, v17, v0
	v_lshrrev_b32_e32 v11, 16, v0
.LBB40_72:
	s_or_b64 exec, exec, s[6:7]
	v_lshlrev_b32_e32 v12, 8, v12
	s_and_saveexec_b64 s[6:7], s[4:5]
	s_cbranch_execz .LBB40_74
; %bb.73:
	v_mov_b32_e32 v13, 0
	v_lshl_add_u64 v[0:1], v[4:5], 0, v[12:13]
	global_load_ushort v0, v[0:1], off
	s_waitcnt vmcnt(0)
	v_lshlrev_b32_e32 v0, 16, v0
	v_sub_f32_e32 v0, v0, v3
	v_mul_f32_e32 v0, v15, v0
	v_lshrrev_b32_e32 v13, 16, v0
.LBB40_74:
	s_or_b64 exec, exec, s[6:7]
	v_lshlrev_b32_e32 v18, 6, v18
	s_mov_b32 s6, 0x5040100
	v_perm_b32 v20, v9, v7, s6
	v_or_b32_e32 v7, v18, v24
	v_accvgpr_read_b32 v0, a8
	v_perm_b32 v21, v13, v11, s6
	v_lshlrev_b32_e32 v7, 1, v7
	v_accvgpr_read_b32 v1, a9
	v_accvgpr_read_b32 v2, a10
	v_accvgpr_read_b32 v3, a11
	ds_write_b64 v7, v[20:21] offset:24576
	v_mov_b32_e32 v9, 0
	v_mov_b32_e32 v7, 0
	s_and_saveexec_b64 s[6:7], vcc
	s_cbranch_execz .LBB40_76
; %bb.75:
	v_mov_b32_e32 v7, 0
	v_lshl_add_u64 v[20:21], v[4:5], 0, v[6:7]
	global_load_ushort v7, v[20:21], off offset:32
	s_waitcnt vmcnt(0)
	v_lshlrev_b32_e32 v7, 16, v7
	v_sub_f32_e32 v0, v7, v0
	v_mul_f32_e32 v0, v16, v0
	v_lshrrev_b32_e32 v7, 16, v0
.LBB40_76:
	s_or_b64 exec, exec, s[6:7]
	s_and_saveexec_b64 s[6:7], s[0:1]
	s_cbranch_execz .LBB40_78
; %bb.77:
	v_mov_b32_e32 v9, 0
	v_lshl_add_u64 v[20:21], v[4:5], 0, v[8:9]
	global_load_ushort v0, v[20:21], off offset:32
	s_waitcnt vmcnt(0)
	v_lshlrev_b32_e32 v0, 16, v0
	v_sub_f32_e32 v0, v0, v1
	v_mul_f32_e32 v0, v14, v0
	v_lshrrev_b32_e32 v9, 16, v0
.LBB40_78:
	s_or_b64 exec, exec, s[6:7]
	v_mov_b32_e32 v13, 0
	v_mov_b32_e32 v11, 0
	s_and_saveexec_b64 s[6:7], s[2:3]
	s_cbranch_execz .LBB40_80
; %bb.79:
	v_mov_b32_e32 v11, 0
	v_lshl_add_u64 v[0:1], v[4:5], 0, v[10:11]
	global_load_ushort v0, v[0:1], off offset:32
	s_waitcnt vmcnt(0)
	v_lshlrev_b32_e32 v0, 16, v0
	v_sub_f32_e32 v0, v0, v2
	v_mul_f32_e32 v0, v17, v0
	v_lshrrev_b32_e32 v11, 16, v0
.LBB40_80:
	s_or_b64 exec, exec, s[6:7]
	s_and_saveexec_b64 s[6:7], s[4:5]
	s_cbranch_execz .LBB40_82
; %bb.81:
	v_mov_b32_e32 v13, 0
	v_lshl_add_u64 v[0:1], v[4:5], 0, v[12:13]
	global_load_ushort v0, v[0:1], off offset:32
	s_waitcnt vmcnt(0)
	v_lshlrev_b32_e32 v0, 16, v0
	v_sub_f32_e32 v0, v0, v3
	v_mul_f32_e32 v0, v15, v0
	v_lshrrev_b32_e32 v13, 16, v0
.LBB40_82:
	s_or_b64 exec, exec, s[6:7]
	s_mov_b32 s6, 0x5040100
	v_perm_b32 v20, v9, v7, s6
	v_or_b32_e32 v7, v18, v23
	v_accvgpr_read_b32 v0, a4
	v_perm_b32 v21, v13, v11, s6
	v_lshlrev_b32_e32 v7, 1, v7
	v_accvgpr_read_b32 v1, a5
	v_accvgpr_read_b32 v2, a6
	;; [unrolled: 1-line block ×3, first 2 shown]
	ds_write_b64 v7, v[20:21] offset:24576
	v_mov_b32_e32 v9, 0
	v_mov_b32_e32 v7, 0
	s_and_saveexec_b64 s[6:7], vcc
	s_cbranch_execz .LBB40_84
; %bb.83:
	v_mov_b32_e32 v7, 0
	v_lshl_add_u64 v[20:21], v[4:5], 0, v[6:7]
	global_load_ushort v7, v[20:21], off offset:64
	s_waitcnt vmcnt(0)
	v_lshlrev_b32_e32 v7, 16, v7
	v_sub_f32_e32 v0, v7, v0
	v_mul_f32_e32 v0, v16, v0
	v_lshrrev_b32_e32 v7, 16, v0
.LBB40_84:
	s_or_b64 exec, exec, s[6:7]
	s_and_saveexec_b64 s[6:7], s[0:1]
	s_cbranch_execz .LBB40_86
; %bb.85:
	v_mov_b32_e32 v9, 0
	v_lshl_add_u64 v[20:21], v[4:5], 0, v[8:9]
	global_load_ushort v0, v[20:21], off offset:64
	s_waitcnt vmcnt(0)
	v_lshlrev_b32_e32 v0, 16, v0
	v_sub_f32_e32 v0, v0, v1
	v_mul_f32_e32 v0, v14, v0
	v_lshrrev_b32_e32 v9, 16, v0
.LBB40_86:
	s_or_b64 exec, exec, s[6:7]
	v_mov_b32_e32 v13, 0
	v_mov_b32_e32 v11, 0
	s_and_saveexec_b64 s[6:7], s[2:3]
	s_cbranch_execz .LBB40_88
; %bb.87:
	v_mov_b32_e32 v11, 0
	v_lshl_add_u64 v[0:1], v[4:5], 0, v[10:11]
	global_load_ushort v0, v[0:1], off offset:64
	s_waitcnt vmcnt(0)
	v_lshlrev_b32_e32 v0, 16, v0
	v_sub_f32_e32 v0, v0, v2
	v_mul_f32_e32 v0, v17, v0
	v_lshrrev_b32_e32 v11, 16, v0
.LBB40_88:
	s_or_b64 exec, exec, s[6:7]
	s_and_saveexec_b64 s[6:7], s[4:5]
	s_cbranch_execz .LBB40_90
; %bb.89:
	v_mov_b32_e32 v13, 0
	v_lshl_add_u64 v[0:1], v[4:5], 0, v[12:13]
	global_load_ushort v0, v[0:1], off offset:64
	s_waitcnt vmcnt(0)
	v_lshlrev_b32_e32 v0, 16, v0
	v_sub_f32_e32 v0, v0, v3
	v_mul_f32_e32 v0, v15, v0
	v_lshrrev_b32_e32 v13, 16, v0
.LBB40_90:
	s_or_b64 exec, exec, s[6:7]
	s_mov_b32 s6, 0x5040100
	v_perm_b32 v20, v9, v7, s6
	v_or_b32_e32 v7, v18, v22
	v_accvgpr_read_b32 v0, a0
	v_perm_b32 v21, v13, v11, s6
	v_lshlrev_b32_e32 v7, 1, v7
	v_accvgpr_read_b32 v1, a1
	v_accvgpr_read_b32 v2, a2
	;; [unrolled: 1-line block ×3, first 2 shown]
	ds_write_b64 v7, v[20:21] offset:24576
	v_mov_b32_e32 v9, 0
	v_mov_b32_e32 v7, 0
	s_and_saveexec_b64 s[6:7], vcc
	s_cbranch_execz .LBB40_92
; %bb.91:
	v_mov_b32_e32 v7, 0
	v_lshl_add_u64 v[6:7], v[4:5], 0, v[6:7]
	global_load_ushort v6, v[6:7], off offset:96
	s_waitcnt vmcnt(0)
	v_lshlrev_b32_e32 v6, 16, v6
	v_sub_f32_e32 v0, v6, v0
	v_mul_f32_e32 v0, v16, v0
	v_lshrrev_b32_e32 v7, 16, v0
.LBB40_92:
	s_or_b64 exec, exec, s[6:7]
	s_and_saveexec_b64 s[6:7], s[0:1]
	s_cbranch_execz .LBB40_94
; %bb.93:
	v_mov_b32_e32 v9, 0
	v_lshl_add_u64 v[8:9], v[4:5], 0, v[8:9]
	global_load_ushort v0, v[8:9], off offset:96
	s_waitcnt vmcnt(0)
	v_lshlrev_b32_e32 v0, 16, v0
	v_sub_f32_e32 v0, v0, v1
	v_mul_f32_e32 v0, v14, v0
	v_lshrrev_b32_e32 v9, 16, v0
.LBB40_94:
	s_or_b64 exec, exec, s[6:7]
	v_mov_b32_e32 v0, 0
	v_mov_b32_e32 v1, 0
	s_and_saveexec_b64 s[0:1], s[2:3]
	s_cbranch_execz .LBB40_96
; %bb.95:
	v_mov_b32_e32 v11, 0
	v_lshl_add_u64 v[10:11], v[4:5], 0, v[10:11]
	global_load_ushort v1, v[10:11], off offset:96
	s_waitcnt vmcnt(0)
	v_lshlrev_b32_e32 v1, 16, v1
	v_sub_f32_e32 v1, v1, v2
	v_mul_f32_e32 v1, v17, v1
	v_lshrrev_b32_e32 v1, 16, v1
.LBB40_96:
	s_or_b64 exec, exec, s[0:1]
	s_and_saveexec_b64 s[0:1], s[4:5]
	s_cbranch_execz .LBB40_98
; %bb.97:
	v_mov_b32_e32 v13, 0
	v_lshl_add_u64 v[4:5], v[4:5], 0, v[12:13]
	global_load_ushort v0, v[4:5], off offset:96
	s_waitcnt vmcnt(0)
	v_lshlrev_b32_e32 v0, 16, v0
	v_sub_f32_e32 v0, v0, v3
	v_mul_f32_e32 v0, v15, v0
	v_lshrrev_b32_e32 v0, 16, v0
.LBB40_98:
	s_or_b64 exec, exec, s[0:1]
	s_mov_b32 s0, 0x5040100
	v_or_b32_e32 v2, v18, v19
	v_perm_b32 v1, v0, v1, s0
	v_perm_b32 v0, v9, v7, s0
	v_lshlrev_b32_e32 v2, 1, v2
	ds_write_b64 v2, v[0:1] offset:24576
	s_waitcnt lgkmcnt(0)
	s_barrier
.LBB40_99:
	s_endpgm
	.section	.rodata,"a",@progbits
	.p2align	6, 0x0
	.amdhsa_kernel _ZN12_GLOBAL__N_139chunk_gated_delta_rule_fwd_h_hip_kernelILi64ELb0ELb0ELb0ELb1ELb1ELb0ELb1ELb1EEEvPK12hip_bfloat16S3_S3_PKfS5_PKvPS1_S8_PvPKiSB_iiiiilll
		.amdhsa_group_segment_fixed_size 65536
		.amdhsa_private_segment_fixed_size 0
		.amdhsa_kernarg_size 136
		.amdhsa_user_sgpr_count 2
		.amdhsa_user_sgpr_dispatch_ptr 0
		.amdhsa_user_sgpr_queue_ptr 0
		.amdhsa_user_sgpr_kernarg_segment_ptr 1
		.amdhsa_user_sgpr_dispatch_id 0
		.amdhsa_user_sgpr_kernarg_preload_length 0
		.amdhsa_user_sgpr_kernarg_preload_offset 0
		.amdhsa_user_sgpr_private_segment_size 0
		.amdhsa_uses_dynamic_stack 0
		.amdhsa_enable_private_segment 0
		.amdhsa_system_sgpr_workgroup_id_x 1
		.amdhsa_system_sgpr_workgroup_id_y 1
		.amdhsa_system_sgpr_workgroup_id_z 0
		.amdhsa_system_sgpr_workgroup_info 0
		.amdhsa_system_vgpr_workitem_id 0
		.amdhsa_next_free_vgpr 216
		.amdhsa_next_free_sgpr 60
		.amdhsa_accum_offset 180
		.amdhsa_reserve_vcc 1
		.amdhsa_float_round_mode_32 0
		.amdhsa_float_round_mode_16_64 0
		.amdhsa_float_denorm_mode_32 3
		.amdhsa_float_denorm_mode_16_64 3
		.amdhsa_dx10_clamp 1
		.amdhsa_ieee_mode 1
		.amdhsa_fp16_overflow 0
		.amdhsa_tg_split 0
		.amdhsa_exception_fp_ieee_invalid_op 0
		.amdhsa_exception_fp_denorm_src 0
		.amdhsa_exception_fp_ieee_div_zero 0
		.amdhsa_exception_fp_ieee_overflow 0
		.amdhsa_exception_fp_ieee_underflow 0
		.amdhsa_exception_fp_ieee_inexact 0
		.amdhsa_exception_int_div_zero 0
	.end_amdhsa_kernel
	.section	.text._ZN12_GLOBAL__N_139chunk_gated_delta_rule_fwd_h_hip_kernelILi64ELb0ELb0ELb0ELb1ELb1ELb0ELb1ELb1EEEvPK12hip_bfloat16S3_S3_PKfS5_PKvPS1_S8_PvPKiSB_iiiiilll,"axG",@progbits,_ZN12_GLOBAL__N_139chunk_gated_delta_rule_fwd_h_hip_kernelILi64ELb0ELb0ELb0ELb1ELb1ELb0ELb1ELb1EEEvPK12hip_bfloat16S3_S3_PKfS5_PKvPS1_S8_PvPKiSB_iiiiilll,comdat
.Lfunc_end40:
	.size	_ZN12_GLOBAL__N_139chunk_gated_delta_rule_fwd_h_hip_kernelILi64ELb0ELb0ELb0ELb1ELb1ELb0ELb1ELb1EEEvPK12hip_bfloat16S3_S3_PKfS5_PKvPS1_S8_PvPKiSB_iiiiilll, .Lfunc_end40-_ZN12_GLOBAL__N_139chunk_gated_delta_rule_fwd_h_hip_kernelILi64ELb0ELb0ELb0ELb1ELb1ELb0ELb1ELb1EEEvPK12hip_bfloat16S3_S3_PKfS5_PKvPS1_S8_PvPKiSB_iiiiilll
                                        ; -- End function
	.section	.AMDGPU.csdata,"",@progbits
; Kernel info:
; codeLenInByte = 10664
; NumSgprs: 66
; NumVgprs: 178
; NumAgprs: 36
; TotalNumVgprs: 216
; ScratchSize: 0
; MemoryBound: 0
; FloatMode: 240
; IeeeMode: 1
; LDSByteSize: 65536 bytes/workgroup (compile time only)
; SGPRBlocks: 8
; VGPRBlocks: 26
; NumSGPRsForWavesPerEU: 66
; NumVGPRsForWavesPerEU: 216
; AccumOffset: 180
; Occupancy: 1
; WaveLimiterHint : 1
; COMPUTE_PGM_RSRC2:SCRATCH_EN: 0
; COMPUTE_PGM_RSRC2:USER_SGPR: 2
; COMPUTE_PGM_RSRC2:TRAP_HANDLER: 0
; COMPUTE_PGM_RSRC2:TGID_X_EN: 1
; COMPUTE_PGM_RSRC2:TGID_Y_EN: 1
; COMPUTE_PGM_RSRC2:TGID_Z_EN: 0
; COMPUTE_PGM_RSRC2:TIDIG_COMP_CNT: 0
; COMPUTE_PGM_RSRC3_GFX90A:ACCUM_OFFSET: 44
; COMPUTE_PGM_RSRC3_GFX90A:TG_SPLIT: 0
	.section	.text._ZN12_GLOBAL__N_139chunk_gated_delta_rule_fwd_h_hip_kernelILi64ELb1ELb1ELb1ELb0ELb1ELb0ELb1ELb1EEEvPK12hip_bfloat16S3_S3_PKfS5_PKvPS1_S8_PvPKiSB_iiiiilll,"axG",@progbits,_ZN12_GLOBAL__N_139chunk_gated_delta_rule_fwd_h_hip_kernelILi64ELb1ELb1ELb1ELb0ELb1ELb0ELb1ELb1EEEvPK12hip_bfloat16S3_S3_PKfS5_PKvPS1_S8_PvPKiSB_iiiiilll,comdat
	.globl	_ZN12_GLOBAL__N_139chunk_gated_delta_rule_fwd_h_hip_kernelILi64ELb1ELb1ELb1ELb0ELb1ELb0ELb1ELb1EEEvPK12hip_bfloat16S3_S3_PKfS5_PKvPS1_S8_PvPKiSB_iiiiilll ; -- Begin function _ZN12_GLOBAL__N_139chunk_gated_delta_rule_fwd_h_hip_kernelILi64ELb1ELb1ELb1ELb0ELb1ELb0ELb1ELb1EEEvPK12hip_bfloat16S3_S3_PKfS5_PKvPS1_S8_PvPKiSB_iiiiilll
	.p2align	8
	.type	_ZN12_GLOBAL__N_139chunk_gated_delta_rule_fwd_h_hip_kernelILi64ELb1ELb1ELb1ELb0ELb1ELb0ELb1ELb1EEEvPK12hip_bfloat16S3_S3_PKfS5_PKvPS1_S8_PvPKiSB_iiiiilll,@function
_ZN12_GLOBAL__N_139chunk_gated_delta_rule_fwd_h_hip_kernelILi64ELb1ELb1ELb1ELb0ELb1ELb0ELb1ELb1EEEvPK12hip_bfloat16S3_S3_PKfS5_PKvPS1_S8_PvPKiSB_iiiiilll: ; @_ZN12_GLOBAL__N_139chunk_gated_delta_rule_fwd_h_hip_kernelILi64ELb1ELb1ELb1ELb0ELb1ELb0ELb1ELb1EEEvPK12hip_bfloat16S3_S3_PKfS5_PKvPS1_S8_PvPKiSB_iiiiilll
; %bb.0:
	s_load_dwordx4 s[20:23], s[0:1], 0x5c
	s_load_dwordx4 s[24:27], s[0:1], 0x70
	s_abs_i32 s6, s3
	s_ashr_i32 s5, s3, 31
	v_and_b32_e32 v88, 15, v0
	s_waitcnt lgkmcnt(0)
	s_abs_i32 s4, s21
	v_cvt_f32_u32_e32 v1, s4
	s_sub_i32 s8, 0, s4
	s_ashr_i32 s7, s21, 31
	s_xor_b32 s5, s5, s7
	v_rcp_iflag_f32_e32 v1, v1
	v_bfe_u32 v87, v0, 4, 2
	v_mov_b32_e32 v35, 0
	v_lshlrev_b32_e32 v89, 3, v0
	v_mul_f32_e32 v1, 0x4f7ffffe, v1
	v_cvt_u32_f32_e32 v1, v1
	s_nop 0
	v_readfirstlane_b32 s9, v1
	s_mul_i32 s8, s8, s9
	s_mul_hi_u32 s8, s9, s8
	s_add_i32 s9, s9, s8
	s_mul_hi_u32 s8, s6, s9
	s_mul_i32 s9, s8, s4
	s_sub_i32 s6, s6, s9
	s_add_i32 s10, s8, 1
	s_sub_i32 s9, s6, s4
	s_cmp_ge_u32 s6, s4
	s_cselect_b32 s8, s10, s8
	s_cselect_b32 s6, s9, s6
	s_add_i32 s9, s8, 1
	s_cmp_ge_u32 s6, s4
	s_cselect_b32 s6, s9, s8
	s_xor_b32 s6, s6, s5
	s_add_i32 s8, s20, 63
	s_sub_i32 s55, s6, s5
	s_ashr_i32 s9, s8, 31
	s_mul_i32 s12, s55, s21
	s_sub_i32 s52, s3, s12
	s_lshr_b32 s3, s9, 26
	s_add_i32 s8, s8, s3
	s_abs_i32 s3, s22
	v_cvt_f32_u32_e32 v1, s3
	s_ashr_i32 s54, s20, 31
	s_lshr_b32 s5, s54, 26
	s_add_i32 s5, s20, s5
	v_rcp_iflag_f32_e32 v1, v1
	s_ashr_i32 s57, s22, 31
	s_ashr_i32 s56, s5, 6
	s_xor_b32 s5, s7, s57
	v_mul_f32_e32 v1, 0x4f7ffffe, v1
	v_cvt_u32_f32_e32 v1, v1
	s_sub_i32 s6, 0, s3
	s_ashr_i32 s28, s8, 6
	s_lshl_b32 s2, s2, 6
	v_readfirstlane_b32 s7, v1
	s_mul_i32 s6, s6, s7
	s_mul_hi_u32 s6, s7, s6
	s_add_i32 s7, s7, s6
	s_mul_hi_u32 s6, s4, s7
	s_mul_i32 s7, s6, s3
	s_sub_i32 s4, s4, s7
	s_add_i32 s7, s6, 1
	s_sub_i32 s8, s4, s3
	s_cmp_ge_u32 s4, s3
	s_cselect_b32 s6, s7, s6
	s_cselect_b32 s4, s8, s4
	s_add_i32 s7, s6, 1
	s_cmp_ge_u32 s4, s3
	s_cselect_b32 s3, s7, s6
	s_xor_b32 s3, s3, s5
	s_sub_i32 s3, s3, s5
	s_abs_i32 s13, s3
	v_cvt_f32_u32_e32 v1, s13
	s_sub_i32 s15, 0, s13
	s_abs_i32 s14, s52
	s_xor_b32 s3, s52, s3
	v_rcp_iflag_f32_e32 v2, v1
	s_ashr_i32 s3, s3, 31
	s_load_dwordx8 s[4:11], s[0:1], 0x28
	v_or_b32_e32 v76, s2, v88
	v_mul_f32_e32 v2, 0x4f7ffffe, v2
	v_cvt_u32_f32_e32 v2, v2
	v_lshrrev_b32_e32 v1, 6, v0
	v_lshlrev_b32_e32 v36, 7, v76
	v_lshlrev_b32_e32 v86, 4, v1
	v_readfirstlane_b32 s16, v2
	s_mul_i32 s15, s15, s16
	s_mul_hi_u32 s15, s16, s15
	s_add_i32 s16, s16, s15
	s_mul_hi_u32 s15, s14, s16
	s_mul_i32 s16, s15, s13
	s_sub_i32 s14, s14, s16
	s_add_i32 s16, s15, 1
	s_sub_i32 s17, s14, s13
	s_cmp_ge_u32 s14, s13
	s_cselect_b32 s15, s16, s15
	s_cselect_b32 s14, s17, s14
	s_add_i32 s16, s15, 1
	s_cmp_ge_u32 s14, s13
	s_cselect_b32 s13, s16, s15
	s_xor_b32 s13, s13, s3
	s_sub_i32 s58, s13, s3
	s_ashr_i32 s3, s55, 31
	s_ashr_i32 s53, s52, 31
	s_mul_hi_i32 s13, s55, s21
	s_add_u32 s42, s12, s52
	s_addc_u32 s43, s13, s53
	s_lshl_b64 s[34:35], s[42:43], 15
	s_waitcnt lgkmcnt(0)
	s_add_u32 s4, s4, s34
	v_or_b32_e32 v38, 0x800, v36
	v_lshl_or_b32 v91, v87, 2, v86
	s_addc_u32 s5, s5, s35
	v_ashrrev_i32_e32 v37, 31, v36
	v_ashrrev_i32_e32 v39, 31, v38
	v_lshl_add_u64 v[2:3], v[36:37], 1, s[4:5]
	v_lshlrev_b32_e32 v34, 1, v91
	v_lshl_add_u64 v[6:7], v[38:39], 1, s[4:5]
	v_or_b32_e32 v40, 0x1000, v36
	v_or_b32_e32 v42, 0x1800, v36
	v_lshl_add_u64 v[2:3], v[2:3], 0, v[34:35]
	v_lshl_add_u64 v[6:7], v[6:7], 0, v[34:35]
	v_ashrrev_i32_e32 v41, 31, v40
	v_ashrrev_i32_e32 v43, 31, v42
	global_load_dwordx2 v[4:5], v[2:3], off
	v_lshl_add_u64 v[14:15], v[42:43], 1, s[4:5]
	global_load_dwordx2 v[2:3], v[2:3], off offset:128
	s_nop 0
	global_load_dwordx2 v[8:9], v[6:7], off
	global_load_dwordx2 v[10:11], v[6:7], off offset:128
	v_lshl_add_u64 v[6:7], v[40:41], 1, s[4:5]
	v_lshl_add_u64 v[6:7], v[6:7], 0, v[34:35]
	;; [unrolled: 1-line block ×3, first 2 shown]
	global_load_dwordx2 v[12:13], v[6:7], off
	v_and_b32_e32 v35, 63, v0
	global_load_dwordx2 v[6:7], v[6:7], off offset:128
	s_nop 0
	global_load_dwordx2 v[16:17], v[14:15], off
	global_load_dwordx2 v[18:19], v[14:15], off offset:128
	s_load_dwordx8 s[12:19], s[0:1], 0x0
	s_load_dwordx2 s[36:37], s[0:1], 0x80
	v_lshrrev_b32_e32 v90, 3, v35
	v_or_b32_e32 v92, 64, v91
	s_mul_i32 s59, s55, s28
	s_cmp_lt_i32 s20, 64
	s_mul_i32 s60, s43, s20
	s_mul_hi_u32 s61, s42, s20
	s_mul_i32 s4, s42, s20
	s_mul_i32 s33, s55, s25
	s_mul_hi_u32 s48, s55, s24
	s_mul_i32 s43, s3, s24
	s_mul_i32 s40, s55, s24
	;; [unrolled: 1-line block ×3, first 2 shown]
	s_mul_hi_u32 s50, s52, s26
	s_mul_i32 s51, s53, s26
	s_mul_i32 s38, s52, s26
	s_waitcnt vmcnt(7)
	v_and_b32_e32 v71, 0xffff0000, v4
	v_lshlrev_b32_e32 v70, 16, v4
	v_and_b32_e32 v75, 0xffff0000, v5
	v_lshlrev_b32_e32 v74, 16, v5
	s_waitcnt vmcnt(6)
	v_and_b32_e32 v69, 0xffff0000, v2
	v_lshlrev_b32_e32 v68, 16, v2
	v_and_b32_e32 v73, 0xffff0000, v3
	v_lshlrev_b32_e32 v72, 16, v3
	;; [unrolled: 5-line block ×8, first 2 shown]
	s_cbranch_scc1 .LBB41_18
; %bb.1:
	s_add_i32 s5, s61, s60
	s_lshl_b64 s[0:1], s[4:5], 8
	v_and_b32_e32 v94, 56, v89
	s_waitcnt lgkmcnt(0)
	s_add_u32 s24, s14, s0
	v_lshl_or_b32 v93, v1, 3, v90
	v_lshlrev_b32_e32 v2, 1, v94
	s_addc_u32 s0, s15, s1
	v_lshl_or_b32 v95, v93, 8, v2
	s_and_b32 s25, s0, 0xffff
	s_mov_b32 s27, 0x20000
	s_movk_i32 s26, 0x4000
	s_movk_i32 s0, 0x80
	v_or_b32_e32 v96, 0x2000, v95
	buffer_load_dwordx4 v[4:7], v95, s[24:27], 0 offen
	buffer_load_dwordx4 v[8:11], v95, s[24:27], s0 offen
	;; [unrolled: 1-line block ×4, first 2 shown]
	v_lshlrev_b32_e32 v3, 3, v93
	v_and_or_b32 v21, v0, 7, v3
	v_and_b32_e32 v3, 0x78, v3
	v_lshlrev_b32_e32 v21, 4, v21
	v_xor_b32_e32 v97, v21, v3
	v_mul_lo_u32 v20, v93, s23
	v_or_b32_e32 v98, 0x1000, v97
	v_xor_b32_e32 v3, 8, v97
	s_cmpk_eq_i32 s23, 0x80
	s_mov_b32 s62, s22
	v_xor_b32_e32 v21, 8, v98
	s_cselect_b64 s[0:1], -1, 0
	s_cmpk_lg_i32 s23, 0x80
	s_waitcnt vmcnt(3)
	ds_write_b64 v97, v[4:5] offset:49152
	ds_write_b64 v3, v[6:7] offset:49152
	s_waitcnt vmcnt(2)
	ds_write_b64 v97, v[8:9] offset:57344
	ds_write_b64 v3, v[10:11] offset:57344
	;; [unrolled: 3-line block ×4, first 2 shown]
	v_lshl_add_u32 v3, v20, 1, v94
	s_cbranch_scc0 .LBB41_3
; %bb.2:
	v_lshlrev_b32_e32 v5, 1, v3
	v_add_lshl_u32 v4, v3, s23, 1
	s_lshl_b32 s26, s23, 7
	v_lshl_or_b32 v2, v93, 9, v2
	s_cbranch_execz .LBB41_4
	s_branch .LBB41_5
.LBB41_3:
                                        ; implicit-def: $vgpr4
                                        ; implicit-def: $vgpr5
                                        ; implicit-def: $sgpr26
	v_lshl_or_b32 v2, v93, 9, v2
.LBB41_4:
	v_or_b32_e32 v4, 0x100, v2
	s_movk_i32 s26, 0x4000
	v_mov_b32_e32 v5, v2
.LBB41_5:
	s_mul_hi_u32 s24, s22, s20
	s_mul_i32 s25, s57, s20
	s_add_i32 s24, s24, s25
	s_mul_i32 s25, s22, s20
	s_mul_i32 s27, s25, s3
	s_mul_hi_u32 s28, s25, s55
	s_add_i32 s27, s28, s27
	s_mul_i32 s24, s24, s55
	s_add_i32 s27, s27, s24
	s_mul_i32 s25, s25, s55
	s_ashr_i32 s63, s58, 31
	s_add_u32 s24, s25, s58
	s_addc_u32 s25, s27, s63
	s_lshl_b64 s[24:25], s[24:25], 8
	s_add_u32 s24, s12, s24
	s_addc_u32 s25, s13, s25
	s_and_b32 s25, s25, 0xffff
	s_mov_b32 s27, 0x20000
	s_movk_i32 s64, 0x80
	buffer_load_dwordx4 v[6:9], v5, s[24:27], 0 offen
	buffer_load_dwordx4 v[10:13], v5, s[24:27], s64 offen
	;; [unrolled: 1-line block ×4, first 2 shown]
	v_and_b32_e32 v5, 6, v0
	v_lshlrev_b32_e32 v4, 7, v91
	v_xor_b32_e32 v26, v93, v5
	v_and_b32_e32 v22, 1, v0
	v_lshl_or_b32 v29, v88, 3, v4
	v_lshlrev_b32_e32 v26, 2, v26
	v_or_b32_e32 v99, 0x4000, v29
	v_or_b32_e32 v100, 0x6000, v29
	v_xor_b32_e32 v29, 0x440, v26
	v_cmp_eq_u32_e32 vcc, 0, v22
	v_lshlrev_b32_e32 v23, 2, v88
	s_mov_b32 s66, 0x1000504
	v_cndmask_b32_e32 v22, v29, v26, vcc
	v_xor_b32_e32 v27, v91, v23
	v_xor_b32_e32 v28, v92, v23
	v_lshl_or_b32 v5, v5, 10, v22
	s_mov_b32 s67, 0x3020706
	v_lshlrev_b32_e32 v24, 8, v88
	v_or_b32_e32 v25, 16, v88
	v_lshlrev_b32_e32 v27, 1, v27
	v_lshlrev_b32_e32 v28, 1, v28
	v_xor_b32_e32 v22, 8, v5
	v_xor_b32_e32 v26, 24, v5
	;; [unrolled: 1-line block ×4, first 2 shown]
	s_mul_i32 s3, s3, s20
	s_mul_hi_u32 s24, s55, s20
	v_or_b32_e32 v102, v24, v27
	v_or_b32_e32 v103, v24, v28
	v_xor_b32_e32 v24, 16, v5
	v_xor_b32_e32 v29, 32, v5
	;; [unrolled: 1-line block ×3, first 2 shown]
	v_add_u32_e32 v22, 0x80, v22
	v_add_u32_e32 v26, 0x80, v26
	;; [unrolled: 1-line block ×4, first 2 shown]
	s_add_i32 s69, s24, s3
	s_add_i32 s3, s48, s33
	;; [unrolled: 1-line block ×5, first 2 shown]
	s_lshl_b64 s[24:25], s[40:41], 2
	s_add_u32 s3, s18, s24
	s_addc_u32 s28, s19, s25
	s_lshl_b64 s[24:25], s[38:39], 2
	s_add_u32 s44, s3, s24
	s_movk_i32 s3, 0xf8
	s_addc_u32 s45, s28, s25
	s_lshl_b32 s30, s23, 7
	s_movk_i32 s28, 0x100
	v_mov_b32_e32 v79, 0
	v_cmp_gt_u32_e32 vcc, s28, v0
	v_lshl_or_b32 v30, v25, 3, v4
	s_mov_b32 s65, 0
	s_mul_i32 s68, s55, s20
	v_or_b32_e32 v101, 0x4000, v30
	s_movk_i32 s26, 0x4000
	v_or_b32_e32 v104, 0x6000, v30
	s_movk_i32 s39, 0x2000
	s_movk_i32 s41, 0x3000
	s_mov_b32 s71, 0
	s_waitcnt vmcnt(1)
	v_perm_b32 v77, v6, v14, s66
	s_waitcnt vmcnt(0)
	v_perm_b32 v78, v10, v18, s66
	v_perm_b32 v6, v6, v14, s67
	;; [unrolled: 1-line block ×15, first 2 shown]
	ds_write2st64_b32 v5, v77, v78 offset0:128 offset1:160
	ds_write2st64_b32 v22, v6, v10 offset0:128 offset1:160
	;; [unrolled: 1-line block ×8, first 2 shown]
	v_lshlrev_b32_e32 v5, 8, v25
	v_or_b32_e32 v105, v5, v27
	v_or_b32_e32 v106, v5, v28
	;; [unrolled: 1-line block ×3, first 2 shown]
	v_lshl_or_b32 v6, v5, 3, v4
	v_lshlrev_b32_e32 v5, 8, v5
	v_or_b32_e32 v109, v5, v27
	v_or_b32_e32 v110, v5, v28
	;; [unrolled: 1-line block ×5, first 2 shown]
	v_lshl_or_b32 v6, v5, 3, v4
	v_lshlrev_b32_e32 v5, 8, v5
	v_or_b32_e32 v113, v5, v27
	v_or_b32_e32 v114, v5, v28
	;; [unrolled: 1-line block ×3, first 2 shown]
	v_lshlrev_b32_e32 v5, 3, v5
	v_lshrrev_b32_e32 v7, 5, v35
	v_and_or_b32 v7, v5, s3, v7
	v_lshlrev_b32_e32 v7, 4, v7
	v_lshlrev_b32_e32 v8, 11, v1
	v_and_b32_e32 v5, 0x78, v5
	v_or_b32_e32 v13, 32, v7
	v_or_b32_e32 v111, 0x4000, v6
	;; [unrolled: 1-line block ×3, first 2 shown]
	v_and_b32_e32 v6, 0x1000, v8
	v_xor_b32_e32 v9, v7, v5
	v_lshrrev_b32_e32 v10, 1, v0
	v_xor_b32_e32 v13, v13, v5
	v_or_b32_e32 v9, v9, v6
	v_and_b32_e32 v11, 8, v10
	v_or_b32_e32 v13, v13, v6
	v_xor_b32_e32 v115, v9, v11
	v_lshlrev_b32_e32 v9, 8, v87
	v_xor_b32_e32 v117, v13, v11
	v_or_b32_e32 v13, 64, v7
	v_or_b32_e32 v7, 0x60, v7
	s_ashr_i32 s3, s2, 31
	v_or_b32_e32 v12, v9, v23
	v_xor_b32_e32 v13, v13, v5
	v_xor_b32_e32 v5, v7, v5
	s_lshl_b64 s[24:25], s[2:3], 8
	v_lshlrev_b32_e32 v12, 1, v12
	v_or_b32_e32 v13, v13, v6
	v_or_b32_e32 v5, v5, v6
	s_add_u32 s24, s6, s24
	v_lshlrev_b32_e32 v6, 1, v88
	v_or_b32_e32 v116, 0x4000, v12
	v_or_b32_e32 v118, 0x4080, v12
	;; [unrolled: 1-line block ×8, first 2 shown]
	v_lshrrev_b32_e32 v12, 4, v0
	s_addc_u32 s25, s7, s25
	v_or_b32_e32 v7, 1, v6
	v_lshlrev_b32_e32 v78, 4, v88
	v_mov_b32_e32 v16, 0xa000
	v_mov_b32_e32 v17, 0x8000
	v_xor_b32_e32 v121, v13, v11
	v_xor_b32_e32 v13, v12, v6
	;; [unrolled: 1-line block ×3, first 2 shown]
	v_lshl_add_u64 v[6:7], s[24:25], 0, v[78:79]
	v_lshlrev_b32_e32 v78, 8, v12
	v_cndmask_b32_e32 v16, v16, v17, vcc
	v_lshlrev_b32_e32 v17, 3, v1
	v_and_b32_e32 v10, 24, v10
	v_lshl_or_b32 v127, v13, 3, v78
	v_and_b32_e32 v13, 8, v0
	v_xor_b32_e32 v18, v17, v10
	v_or_b32_e32 v19, 0x440, v18
	v_cmp_eq_u32_e32 vcc, 0, v13
	v_and_b32_e32 v12, 7, v0
	v_lshl_or_b32 v128, v14, 3, v78
	v_cndmask_b32_e32 v13, v19, v18, vcc
	v_lshlrev_b32_e32 v14, 3, v12
	v_lshlrev_b32_e32 v12, 7, v12
	v_or_b32_e32 v13, v13, v8
	v_lshlrev_b32_e32 v15, 2, v0
	v_xad_u32 v129, v13, v14, v12
	v_or_b32_e32 v13, 32, v10
	v_and_or_b32 v9, v15, 60, v9
	v_xor_b32_e32 v13, v17, v13
	v_lshlrev_b32_e32 v9, 1, v9
	v_or_b32_e32 v15, 0x440, v13
	v_or_b32_e32 v130, 0x6000, v9
	v_cndmask_b32_e32 v13, v15, v13, vcc
	v_or_b32_e32 v132, 0x6080, v9
	v_or_b32_e32 v133, 0x6100, v9
	;; [unrolled: 1-line block ×5, first 2 shown]
	v_xor_b32_e32 v9, v17, v9
	v_xad_u32 v131, v13, v14, v12
	v_xor_b32_e32 v13, 0x440, v9
	v_cndmask_b32_e32 v9, v13, v9, vcc
	v_or_b32_e32 v9, v9, v8
	v_xad_u32 v135, v9, v14, v12
	v_or_b32_e32 v9, 0x60, v10
	v_xor_b32_e32 v9, v17, v9
	v_xor_b32_e32 v10, 0x440, v9
	v_cndmask_b32_e32 v9, v10, v9, vcc
	v_xor_b32_e32 v122, v5, v11
	v_ashrrev_i32_e32 v77, 31, v76
	v_lshlrev_b32_e32 v5, 1, v3
	v_add_lshl_u32 v3, v3, s23, 1
	v_or_b32_e32 v11, 0x100, v2
	v_or_b32_e32 v8, v9, v8
	v_xad_u32 v136, v8, v14, v12
	v_cndmask_b32_e64 v137, v5, v2, s[0:1]
	v_cndmask_b32_e64 v138, v3, v11, s[0:1]
	v_lshlrev_b64 v[2:3], 1, v[76:77]
	v_lshl_add_u64 v[80:81], s[16:17], 0, v[2:3]
	v_lshl_add_u64 v[82:83], s[8:9], 0, v[2:3]
	;; [unrolled: 1-line block ×3, first 2 shown]
	s_mov_b32 s3, 0x7060302
	v_lshlrev_b32_e32 v78, 1, v4
	v_add_u32_e32 v77, v16, v129
	v_add_u32_e32 v139, v16, v131
	;; [unrolled: 1-line block ×4, first 2 shown]
	s_waitcnt lgkmcnt(0)
	s_barrier
.LBB41_6:                               ; =>This Inner Loop Header: Depth=1
	s_add_i32 s70, s71, 1
	s_cmp_lt_i32 s70, s56
	s_mov_b64 s[28:29], 0
	s_cselect_b64 s[46:47], -1, 0
	s_cmp_ge_i32 s70, s56
	s_mov_b64 s[24:25], 0
	s_cbranch_scc1 .LBB41_8
; %bb.7:                                ;   in Loop: Header=BB41_6 Depth=1
	s_add_i32 s0, s65, 64
	s_add_u32 s0, s4, s0
	s_addc_u32 s1, s5, 0
	s_lshl_b64 s[0:1], s[0:1], 8
	s_add_u32 s24, s14, s0
	s_addc_u32 s25, s15, s1
.LBB41_8:                               ;   in Loop: Header=BB41_6 Depth=1
	v_cndmask_b32_e64 v2, 0, 1, s[46:47]
	v_cmp_ne_u32_e64 s[0:1], 1, v2
	s_andn2_b64 vcc, exec, s[46:47]
	s_cbranch_vccnz .LBB41_10
; %bb.9:                                ;   in Loop: Header=BB41_6 Depth=1
	s_add_i32 s28, s65, 64
	s_add_u32 s28, s68, s28
	s_addc_u32 s29, s69, 0
	s_mul_i32 s31, s28, s57
	s_mul_hi_u32 s46, s28, s62
	s_add_i32 s31, s46, s31
	s_mul_i32 s29, s29, s62
	s_add_i32 s31, s31, s29
	s_mul_i32 s28, s28, s62
	s_add_u32 s28, s28, s58
	s_addc_u32 s29, s31, s63
	s_lshl_b64 s[28:29], s[28:29], 8
	s_add_u32 s28, s12, s28
	s_addc_u32 s29, s13, s29
.LBB41_10:                              ;   in Loop: Header=BB41_6 Depth=1
	v_perm_b32 v3, v75, v74, s3
	v_perm_b32 v2, v71, v70, s3
	v_perm_b32 v5, v73, v72, s3
	v_perm_b32 v4, v69, v68, s3
	ds_write_b64 v99, v[2:3]
	ds_write_b64 v100, v[4:5]
	ds_write_b64 v102, v[2:3]
	ds_write_b64 v103, v[4:5]
	v_perm_b32 v3, v67, v66, s3
	v_perm_b32 v2, v63, v62, s3
	v_perm_b32 v5, v65, v64, s3
	v_perm_b32 v4, v61, v60, s3
	ds_write_b64 v101, v[2:3]
	ds_write_b64 v104, v[4:5]
	ds_write_b64 v105, v[2:3]
	ds_write_b64 v106, v[4:5]
	;; [unrolled: 8-line block ×4, first 2 shown]
	s_waitcnt lgkmcnt(0)
	s_barrier
	ds_read_b64 v[6:7], v115 offset:49152
	ds_read2_b64 v[2:5], v116 offset1:16
	ds_read_b64 v[18:19], v118 offset:6144
	ds_read_b64 v[20:21], v116 offset:6144
	s_waitcnt lgkmcnt(2)
	v_mfma_f32_16x16x16_bf16 a[0:3], v[6:7], v[2:3], 0
	ds_read_b64 v[22:23], v117 offset:49152
	ds_read2st64_b64 v[10:13], v119 offset0:4 offset1:8
	ds_read2st64_b64 v[14:17], v120 offset0:4 offset1:8
	v_mfma_f32_16x16x16_bf16 a[4:7], v[6:7], v[4:5], 0
	ds_read2_b64 v[2:5], v116 offset0:32 offset1:48
	s_add_i32 s31, s65, 63
	s_mul_i32 s46, s31, s37
	s_waitcnt lgkmcnt(0)
	v_mfma_f32_16x16x16_bf16 a[8:11], v[6:7], v[2:3], 0
	s_mul_hi_u32 s47, s31, s36
	s_add_i32 s47, s47, s46
	s_mul_i32 s46, s31, s36
	v_mfma_f32_16x16x16_bf16 a[12:15], v[6:7], v[4:5], 0
	ds_read2st64_b64 v[2:5], v116 offset0:4 offset1:8
	ds_read2st64_b64 v[6:9], v118 offset0:4 offset1:8
	s_lshl_b64 s[46:47], s[46:47], 2
	s_waitcnt lgkmcnt(1)
	v_mfma_f32_16x16x16_bf16 a[0:3], v[22:23], v[2:3], a[0:3]
	s_add_u32 s46, s44, s46
	s_addc_u32 s47, s45, s47
	s_and_b64 vcc, exec, s[0:1]
	s_waitcnt lgkmcnt(0)
	v_mfma_f32_16x16x16_bf16 a[4:7], v[22:23], v[6:7], a[4:7]
	v_mov_b32_e32 v144, 0
	v_mov_b32_e32 v143, 0
	;; [unrolled: 1-line block ×3, first 2 shown]
	v_mfma_f32_16x16x16_bf16 a[8:11], v[22:23], v[10:11], a[8:11]
	ds_read_b64 v[2:3], v121 offset:49152
	ds_read_b64 v[6:7], v122 offset:49152
	ds_read_b64 v[10:11], v120 offset:6144
	v_mfma_f32_16x16x16_bf16 a[12:15], v[22:23], v[14:15], a[12:15]
	v_mov_b32_e32 v14, 0
	v_mov_b32_e32 v15, 0
	s_waitcnt lgkmcnt(2)
	v_mfma_f32_16x16x16_bf16 a[0:3], v[2:3], v[4:5], a[0:3]
	v_mov_b32_e32 v4, 0
	v_mov_b32_e32 v5, 0
	v_mfma_f32_16x16x16_bf16 a[16:19], v[2:3], v[8:9], a[4:7]
	v_mov_b32_e32 v8, 0
	v_mov_b32_e32 v9, 0
	;; [unrolled: 3-line block ×3, first 2 shown]
	v_mfma_f32_16x16x16_bf16 a[24:27], v[2:3], v[16:17], a[12:15]
	ds_read_b64 v[2:3], v119 offset:6144
	v_mov_b32_e32 v16, 0
	v_mov_b32_e32 v17, 0
	s_waitcnt lgkmcnt(2)
	v_mfma_f32_16x16x16_bf16 a[4:7], v[6:7], v[20:21], a[0:3]
	v_mfma_f32_16x16x16_bf16 a[8:11], v[6:7], v[18:19], a[16:19]
	s_waitcnt lgkmcnt(0)
	v_mfma_f32_16x16x16_bf16 a[12:15], v[6:7], v[2:3], a[20:23]
	v_mov_b32_e32 v2, 0
	v_mov_b32_e32 v3, 0
	v_mfma_f32_16x16x16_bf16 a[0:3], v[6:7], v[10:11], a[24:27]
	v_mov_b32_e32 v6, 0
	v_mov_b32_e32 v7, 0
	v_mov_b32_e32 v10, 0
	v_mov_b32_e32 v11, 0
	s_cbranch_vccnz .LBB41_12
; %bb.11:                               ;   in Loop: Header=BB41_6 Depth=1
	s_and_b32 s25, s25, 0xffff
	buffer_load_dwordx4 v[14:17], v95, s[24:27], 0 offen
	buffer_load_dwordx4 v[10:13], v95, s[24:27], s64 offen
	;; [unrolled: 1-line block ×4, first 2 shown]
	v_mov_b32_e32 v143, v97
	v_mov_b32_e32 v142, v98
.LBB41_12:                              ;   in Loop: Header=BB41_6 Depth=1
	ds_read_b64 v[30:31], v115 offset:57344
	ds_read2_b64 v[18:21], v123 offset1:16
	ds_read_b64 v[146:147], v117 offset:57344
	ds_read_b64 v[148:149], v121 offset:57344
	;; [unrolled: 1-line block ×3, first 2 shown]
	v_add_u32_e32 v32, s65, v91
	s_waitcnt lgkmcnt(3)
	v_mfma_f32_16x16x16_bf16 a[4:7], v[30:31], v[18:19], a[4:7]
	v_mfma_f32_16x16x16_bf16 a[8:11], v[30:31], v[20:21], a[8:11]
	ds_read2_b64 v[18:21], v123 offset0:32 offset1:48
	ds_read2st64_b64 v[22:25], v123 offset0:4 offset1:8
	ds_read2st64_b64 v[26:29], v124 offset0:4 offset1:8
	s_waitcnt lgkmcnt(2)
	v_mfma_f32_16x16x16_bf16 a[12:15], v[30:31], v[18:19], a[12:15]
	v_ashrrev_i32_e32 v18, 31, v32
	v_mul_lo_u32 v33, v18, s36
	v_mad_u64_u32 v[18:19], s[24:25], v32, s36, 0
	v_mfma_f32_16x16x16_bf16 a[0:3], v[30:31], v[20:21], a[0:3]
	v_mul_lo_u32 v20, v32, s37
	v_add3_u32 v19, v19, v20, v33
	v_add_u32_e32 v20, 1, v32
	v_ashrrev_i32_e32 v21, 31, v20
	s_waitcnt lgkmcnt(1)
	v_mfma_f32_16x16x16_bf16 a[4:7], v[146:147], v[22:23], a[4:7]
	v_mul_lo_u32 v22, v21, s36
	v_mul_lo_u32 v23, v20, s37
	v_mad_u64_u32 v[20:21], s[24:25], v20, s36, 0
	v_add3_u32 v21, v21, v23, v22
	v_add_u32_e32 v22, 2, v32
	v_ashrrev_i32_e32 v23, 31, v22
	v_mul_lo_u32 v30, v23, s36
	v_mul_lo_u32 v31, v22, s37
	v_mad_u64_u32 v[22:23], s[24:25], v22, s36, 0
	v_add3_u32 v23, v23, v31, v30
	v_add_u32_e32 v30, 3, v32
	v_ashrrev_i32_e32 v31, 31, v30
	v_mul_lo_u32 v32, v31, s36
	v_mul_lo_u32 v33, v30, s37
	v_mad_u64_u32 v[30:31], s[24:25], v30, s36, 0
	s_add_u32 s24, s4, s65
	v_lshl_add_u64 v[18:19], v[18:19], 2, s[44:45]
	v_add3_u32 v31, v31, v33, v32
	s_addc_u32 s25, s5, 0
	v_lshl_add_u64 v[20:21], v[20:21], 2, s[44:45]
	global_load_dword v145, v[18:19], off
	v_lshl_add_u64 v[18:19], v[30:31], 2, s[44:45]
	s_lshl_b64 s[24:25], s[24:25], 8
	v_lshl_add_u64 v[22:23], v[22:23], 2, s[44:45]
	global_load_dword v152, v[20:21], off
	global_load_dword v153, v[22:23], off
	;; [unrolled: 1-line block ×3, first 2 shown]
	v_lshl_add_u64 v[18:19], v[80:81], 0, s[24:25]
	v_lshl_add_u64 v[22:23], v[18:19], 0, v[78:79]
	global_load_ushort v155, v[22:23], off offset:256
	global_load_ushort v156, v[22:23], off
	ds_read2st64_b64 v[18:21], v125 offset0:4 offset1:8
	global_load_ushort v157, v[22:23], off offset:768
	global_load_ushort v158, v[22:23], off offset:512
	ds_read2st64_b64 v[30:33], v126 offset0:4 offset1:8
	global_load_ushort v159, v[22:23], off offset:288
	global_load_ushort v160, v[22:23], off offset:32
	;; [unrolled: 1-line block ×4, first 2 shown]
	s_waitcnt lgkmcnt(2)
	v_mfma_f32_16x16x16_bf16 a[8:11], v[146:147], v[26:27], a[8:11]
	global_load_ushort v163, v[22:23], off offset:320
	global_load_ushort v164, v[22:23], off offset:64
	;; [unrolled: 1-line block ×4, first 2 shown]
	s_and_b64 vcc, exec, s[0:1]
	s_waitcnt lgkmcnt(1)
	v_mfma_f32_16x16x16_bf16 a[12:15], v[146:147], v[18:19], a[12:15]
	ds_read_b64 v[18:19], v123 offset:6144
	s_waitcnt lgkmcnt(1)
	v_mfma_f32_16x16x16_bf16 a[0:3], v[146:147], v[30:31], a[0:3]
	v_lshl_add_u64 v[30:31], v[82:83], 0, s[24:25]
	v_lshl_add_u64 v[30:31], v[30:31], 0, v[78:79]
	v_mfma_f32_16x16x16_bf16 a[4:7], v[148:149], v[24:25], a[4:7]
	v_mfma_f32_16x16x16_bf16 a[8:11], v[148:149], v[28:29], a[8:11]
	;; [unrolled: 1-line block ×4, first 2 shown]
	global_load_ushort v148, v[22:23], off offset:352
	global_load_ushort v149, v[22:23], off offset:96
	ds_read_b64 v[20:21], v124 offset:6144
	ds_read_b64 v[24:25], v125 offset:6144
	;; [unrolled: 1-line block ×3, first 2 shown]
	s_load_dword s46, s[46:47], 0x0
	global_load_ushort v167, v[22:23], off offset:864
	global_load_ushort v168, v[22:23], off offset:608
	s_waitcnt lgkmcnt(0)
	v_mfma_f32_16x16x16_bf16 a[4:7], v[150:151], v[18:19], a[4:7]
	s_waitcnt vmcnt(17)
	v_sub_f32_e32 v28, s46, v153
	v_mfma_f32_16x16x16_bf16 a[0:3], v[150:151], v[26:27], a[0:3]
	v_sub_f32_e32 v26, s46, v145
	v_sub_f32_e32 v27, s46, v152
	s_waitcnt vmcnt(16)
	v_sub_f32_e32 v29, s46, v154
	v_mfma_f32_16x16x16_bf16 a[8:11], v[150:151], v[20:21], a[8:11]
	v_exp_f32_e32 v26, v26
	v_exp_f32_e32 v27, v27
	;; [unrolled: 1-line block ×4, first 2 shown]
	v_accvgpr_read_b32 v147, a5
	s_waitcnt vmcnt(15)
	v_lshlrev_b32_e32 v33, 16, v155
	s_waitcnt vmcnt(14)
	v_lshlrev_b32_e32 v32, 16, v156
	v_accvgpr_read_b32 v146, a4
	v_accvgpr_read_b32 v19, a7
	;; [unrolled: 1-line block ×3, first 2 shown]
	v_pk_add_f32 v[32:33], v[32:33], v[146:147] neg_lo:[0,1] neg_hi:[0,1]
	s_waitcnt vmcnt(13)
	v_lshlrev_b32_e32 v147, 16, v157
	s_waitcnt vmcnt(12)
	v_lshlrev_b32_e32 v146, 16, v158
	v_pk_add_f32 v[18:19], v[146:147], v[18:19] neg_lo:[0,1] neg_hi:[0,1]
	global_store_short_d16_hi v[30:31], v32, off
	global_store_short_d16_hi v[30:31], v33, off offset:256
	global_store_short_d16_hi v[30:31], v18, off offset:512
	;; [unrolled: 1-line block ×3, first 2 shown]
	v_pk_mul_f32 v[32:33], v[26:27], v[32:33]
	v_pk_mul_f32 v[18:19], v[28:29], v[18:19]
	v_accvgpr_read_b32 v147, a9
	v_perm_b32 v32, v33, v32, s3
	v_perm_b32 v33, v19, v18, s3
	s_waitcnt vmcnt(15)
	v_lshlrev_b32_e32 v19, 16, v159
	s_waitcnt vmcnt(14)
	v_lshlrev_b32_e32 v18, 16, v160
	v_accvgpr_read_b32 v146, a8
	v_accvgpr_read_b32 v21, a11
	v_mfma_f32_16x16x16_bf16 a[12:15], v[150:151], v[24:25], a[12:15]
	v_accvgpr_read_b32 v20, a10
	v_pk_add_f32 v[18:19], v[18:19], v[146:147] neg_lo:[0,1] neg_hi:[0,1]
	s_waitcnt vmcnt(13)
	v_lshlrev_b32_e32 v147, 16, v161
	s_waitcnt vmcnt(12)
	v_lshlrev_b32_e32 v146, 16, v162
	v_pk_add_f32 v[20:21], v[146:147], v[20:21] neg_lo:[0,1] neg_hi:[0,1]
	global_store_short_d16_hi v[30:31], v18, off offset:32
	global_store_short_d16_hi v[30:31], v19, off offset:288
	;; [unrolled: 1-line block ×4, first 2 shown]
	v_pk_mul_f32 v[18:19], v[26:27], v[18:19]
	v_pk_mul_f32 v[20:21], v[28:29], v[20:21]
	v_accvgpr_read_b32 v23, a15
	v_perm_b32 v21, v21, v20, s3
	v_perm_b32 v20, v19, v18, s3
	ds_write2_b64 v100, v[32:33], v[20:21] offset1:16
	v_accvgpr_read_b32 v21, a13
	s_waitcnt vmcnt(15)
	v_lshlrev_b32_e32 v19, 16, v163
	s_waitcnt vmcnt(14)
	v_lshlrev_b32_e32 v18, 16, v164
	v_accvgpr_read_b32 v20, a12
	v_accvgpr_read_b32 v22, a14
	v_pk_add_f32 v[18:19], v[18:19], v[20:21] neg_lo:[0,1] neg_hi:[0,1]
	s_waitcnt vmcnt(13)
	v_lshlrev_b32_e32 v21, 16, v165
	s_waitcnt vmcnt(12)
	v_lshlrev_b32_e32 v20, 16, v166
	v_pk_add_f32 v[20:21], v[20:21], v[22:23] neg_lo:[0,1] neg_hi:[0,1]
	global_store_short_d16_hi v[30:31], v18, off offset:64
	global_store_short_d16_hi v[30:31], v19, off offset:320
	;; [unrolled: 1-line block ×4, first 2 shown]
	v_pk_mul_f32 v[18:19], v[26:27], v[18:19]
	v_pk_mul_f32 v[20:21], v[28:29], v[20:21]
	v_accvgpr_read_b32 v23, a1
	v_perm_b32 v18, v19, v18, s3
	v_perm_b32 v19, v21, v20, s3
	s_waitcnt vmcnt(15)
	v_lshlrev_b32_e32 v21, 16, v148
	s_waitcnt vmcnt(14)
	v_lshlrev_b32_e32 v20, 16, v149
	v_accvgpr_read_b32 v22, a0
	v_accvgpr_read_b32 v25, a3
	;; [unrolled: 1-line block ×3, first 2 shown]
	v_pk_add_f32 v[20:21], v[20:21], v[22:23] neg_lo:[0,1] neg_hi:[0,1]
	s_waitcnt vmcnt(13)
	v_lshlrev_b32_e32 v23, 16, v167
	s_waitcnt vmcnt(12)
	v_lshlrev_b32_e32 v22, 16, v168
	v_pk_add_f32 v[22:23], v[22:23], v[24:25] neg_lo:[0,1] neg_hi:[0,1]
	global_store_short_d16_hi v[30:31], v20, off offset:96
	global_store_short_d16_hi v[30:31], v21, off offset:352
	;; [unrolled: 1-line block ×4, first 2 shown]
	v_pk_mul_f32 v[20:21], v[26:27], v[20:21]
	v_pk_mul_f32 v[22:23], v[28:29], v[22:23]
	v_mov_b32_e32 v145, 0
	v_perm_b32 v23, v23, v22, s3
	v_perm_b32 v22, v21, v20, s3
	ds_write2_b64 v100, v[18:19], v[22:23] offset0:32 offset1:48
	v_mov_b32_e32 v18, 0
	v_mov_b32_e32 v19, 0
	;; [unrolled: 1-line block ×16, first 2 shown]
	s_cbranch_vccnz .LBB41_14
; %bb.13:                               ;   in Loop: Header=BB41_6 Depth=1
	s_and_b32 s29, s29, 0xffff
	s_mov_b32 s31, s27
	buffer_load_dwordx4 v[30:33], v137, s[28:31], 0 offen
	buffer_load_dwordx4 v[22:25], v137, s[28:31], s64 offen
	;; [unrolled: 1-line block ×4, first 2 shown]
	v_mov_b32_e32 v144, v94
	v_mov_b32_e32 v145, v93
.LBB41_14:                              ;   in Loop: Header=BB41_6 Depth=1
	s_waitcnt lgkmcnt(0)
	s_barrier
	ds_read_b64 v[154:155], v77
	ds_read2_b64 v[146:149], v130 offset1:16
	ds_read_b64 v[170:171], v139
	ds_read_b64 v[172:173], v140
	;; [unrolled: 1-line block ×3, first 2 shown]
	ds_read2_b64 v[150:153], v130 offset0:32 offset1:48
	s_waitcnt lgkmcnt(4)
	v_mfma_f32_16x16x16_bf16 a[0:3], v[154:155], v[146:147], 0
	ds_read2st64_b64 v[158:161], v132 offset0:4 offset1:8
	ds_read2st64_b64 v[162:165], v133 offset0:4 offset1:8
	;; [unrolled: 1-line block ×3, first 2 shown]
	v_mfma_f32_16x16x16_bf16 a[4:7], v[154:155], v[148:149], 0
	s_add_i32 s24, s59, s71
	s_mul_hi_i32 s25, s24, s21
	s_mul_i32 s24, s24, s21
	s_waitcnt lgkmcnt(3)
	v_mfma_f32_16x16x16_bf16 a[8:11], v[154:155], v[150:151], 0
	s_add_u32 s24, s24, s52
	s_addc_u32 s25, s25, s53
	s_lshl_b64 s[24:25], s[24:25], 15
	v_mfma_f32_16x16x16_bf16 a[12:15], v[154:155], v[152:153], 0
	ds_read2st64_b64 v[154:157], v130 offset0:4 offset1:8
	s_waitcnt lgkmcnt(0)
	v_mfma_f32_16x16x16_bf16 a[0:3], v[170:171], v[154:155], a[0:3]
	v_mfma_f32_16x16x16_bf16 a[4:7], v[170:171], v[158:159], a[4:7]
	;; [unrolled: 1-line block ×8, first 2 shown]
	ds_read_b64 v[170:171], v130 offset:6144
	ds_read_b64 v[172:173], v131 offset:40960
	ds_read_b64 v[176:177], v129 offset:40960
	ds_read_b64 v[178:179], v132 offset:6144
	ds_read_b64 v[180:181], v133 offset:6144
	ds_read_b64 v[182:183], v134 offset:6144
	ds_read_b64 v[184:185], v135 offset:40960
	ds_read_b64 v[186:187], v136 offset:40960
	s_waitcnt lgkmcnt(5)
	v_mfma_f32_16x16x16_bf16 a[16:19], v[176:177], v[146:147], 0
	v_mfma_f32_16x16x16_bf16 a[20:23], v[176:177], v[148:149], 0
	ds_read2st64_b64 v[146:149], v127 offset1:8
	v_mfma_f32_16x16x16_bf16 a[24:27], v[176:177], v[150:151], 0
	v_mfma_f32_16x16x16_bf16 a[28:31], v[176:177], v[152:153], 0
	ds_read2st64_b64 v[150:153], v128 offset1:8
	v_mfma_f32_16x16x16_bf16 a[16:19], v[172:173], v[154:155], a[16:19]
	s_waitcnt lgkmcnt(1)
	v_mov_b32_e32 v154, v146
	v_mov_b32_e32 v155, v147
	v_mfma_f32_16x16x16_bf16 a[20:23], v[172:173], v[158:159], a[20:23]
	v_lshl_add_u64 v[158:159], v[84:85], 0, s[24:25]
	v_mfma_f32_16x16x16_bf16 a[24:27], v[172:173], v[162:163], a[24:27]
	v_mfma_f32_16x16x16_bf16 a[28:31], v[172:173], v[166:167], a[28:31]
	;; [unrolled: 1-line block ×3, first 2 shown]
	s_waitcnt lgkmcnt(0)
	v_mov_b32_e32 v156, v150
	v_mov_b32_e32 v157, v151
	;; [unrolled: 1-line block ×3, first 2 shown]
	v_mfma_f32_16x16x16_bf16 a[32:35], v[184:185], v[160:161], a[20:23]
	v_mov_b32_e32 v151, v149
	ds_read2st64_b64 v[146:149], v127 offset0:16 offset1:24
	global_store_dwordx4 v[158:159], v[154:157], off
	v_mfma_f32_16x16x16_bf16 a[24:27], v[184:185], v[164:165], a[24:27]
	ds_read2st64_b64 v[154:157], v128 offset0:16 offset1:24
	v_add_co_u32_e32 v160, vcc, s39, v158
	v_mfma_f32_16x16x16_bf16 a[28:31], v[184:185], v[168:169], a[28:31]
	s_nop 0
	v_addc_co_u32_e32 v161, vcc, 0, v159, vcc
	global_store_dwordx4 v[160:161], v[150:153], off offset:-4096
	v_mfma_f32_16x16x16_bf16 a[0:3], v[174:175], v[170:171], a[0:3]
	s_waitcnt lgkmcnt(1)
	v_mov_b32_e32 v150, v146
	v_add_co_u32_e32 v146, vcc, s41, v158
	v_mfma_f32_16x16x16_bf16 a[4:7], v[174:175], v[178:179], a[4:7]
	v_mov_b32_e32 v151, v147
	v_addc_co_u32_e32 v147, vcc, 0, v159, vcc
	v_mfma_f32_16x16x16_bf16 a[8:11], v[174:175], v[180:181], a[8:11]
	s_waitcnt lgkmcnt(0)
	v_mov_b32_e32 v152, v154
	v_mov_b32_e32 v153, v155
	;; [unrolled: 1-line block ×3, first 2 shown]
	v_mfma_f32_16x16x16_bf16 a[12:15], v[174:175], v[182:183], a[12:15]
	v_mov_b32_e32 v155, v149
	s_and_b64 vcc, exec, s[0:1]
	global_store_dwordx4 v[160:161], v[150:153], off
	v_mfma_f32_16x16x16_bf16 a[20:23], v[186:187], v[170:171], a[16:19]
	global_store_dwordx4 v[146:147], v[154:157], off
	v_mfma_f32_16x16x16_bf16 a[16:19], v[186:187], v[178:179], a[32:35]
	v_mfma_f32_16x16x16_bf16 a[24:27], v[186:187], v[180:181], a[24:27]
	;; [unrolled: 1-line block ×3, first 2 shown]
	s_cbranch_vccnz .LBB41_16
; %bb.15:                               ;   in Loop: Header=BB41_6 Depth=1
	v_lshrrev_b32_e32 v146, 3, v144
	v_and_b32_e32 v146, 6, v146
	v_xor_b32_e32 v145, v146, v145
	v_lshlrev_b32_e32 v145, 2, v145
	v_and_b32_e32 v144, 8, v144
	v_xor_b32_e32 v147, 0x440, v145
	v_cmp_eq_u32_e32 vcc, 0, v144
	s_barrier
	s_nop 0
	v_cndmask_b32_e32 v144, v147, v145, vcc
	v_lshl_or_b32 v144, v146, 10, v144
	s_waitcnt vmcnt(5)
	v_perm_b32 v145, v30, v26, s66
	s_waitcnt vmcnt(4)
	v_perm_b32 v146, v22, v18, s66
	ds_write2st64_b32 v144, v145, v146 offset0:128 offset1:160
	v_xor_b32_e32 v145, 8, v144
	v_perm_b32 v26, v30, v26, s67
	v_perm_b32 v18, v22, v18, s67
	v_add_u32_e32 v22, 0x80, v145
	ds_write2st64_b32 v22, v26, v18 offset0:128 offset1:160
	v_xor_b32_e32 v18, 16, v144
	v_perm_b32 v22, v31, v27, s66
	v_perm_b32 v26, v23, v19, s66
	ds_write2st64_b32 v18, v22, v26 offset0:129 offset1:161
	v_xor_b32_e32 v18, 24, v144
	v_perm_b32 v22, v31, v27, s67
	v_perm_b32 v19, v23, v19, s67
	v_add_u32_e32 v18, 0x80, v18
	ds_write2st64_b32 v18, v22, v19 offset0:129 offset1:161
	v_xor_b32_e32 v18, 32, v144
	v_perm_b32 v19, v32, v28, s66
	;; [unrolled: 9-line block ×3, first 2 shown]
	v_perm_b32 v20, v25, v21, s66
	ds_write2st64_b32 v18, v19, v20 offset0:131 offset1:163
	v_xor_b32_e32 v18, 56, v144
	v_perm_b32 v19, v33, v29, s67
	v_perm_b32 v20, v25, v21, s67
	v_add_u32_e32 v18, 0x80, v18
	ds_write2st64_b32 v18, v19, v20 offset0:131 offset1:163
	ds_write_b64 v143, v[14:15] offset:49152
	v_xor_b32_e32 v14, 8, v143
	ds_write_b64 v14, v[16:17] offset:49152
	ds_write_b64 v143, v[10:11] offset:57344
	;; [unrolled: 1-line block ×4, first 2 shown]
	v_xor_b32_e32 v6, 8, v142
	ds_write_b64 v6, v[8:9] offset:49152
	ds_write_b64 v142, v[2:3] offset:57344
	;; [unrolled: 1-line block ×3, first 2 shown]
.LBB41_16:                              ;   in Loop: Header=BB41_6 Depth=1
	v_exp_f32_e32 v142, s46
	v_accvgpr_read_b32 v5, a3
	v_accvgpr_read_b32 v9, a7
	;; [unrolled: 1-line block ×4, first 2 shown]
	s_waitcnt vmcnt(4)
	v_accvgpr_read_b32 v18, a20
	v_accvgpr_read_b32 v25, a19
	;; [unrolled: 1-line block ×28, first 2 shown]
	s_add_i32 s65, s65, 64
	v_pk_fma_f32 v[70:71], v[70:71], v[142:143], v[2:3] op_sel_hi:[1,0,1]
	v_pk_fma_f32 v[74:75], v[74:75], v[142:143], v[4:5] op_sel_hi:[1,0,1]
	;; [unrolled: 1-line block ×15, first 2 shown]
	s_cmp_eq_u32 s56, s70
	v_pk_fma_f32 v[48:49], v[48:49], v[142:143], v[32:33] op_sel_hi:[1,0,1]
	s_cbranch_scc1 .LBB41_18
; %bb.17:                               ;   in Loop: Header=BB41_6 Depth=1
	s_mov_b32 s71, s70
	s_branch .LBB41_6
.LBB41_18:
	s_lshl_b32 s30, s56, 6
	s_sub_i32 s31, s20, s30
	s_cmp_gt_i32 s31, 0
	s_cbranch_scc0 .LBB41_99
; %bb.19:
	s_ashr_i32 s3, s30, 31
	s_cmpk_lg_i32 s23, 0x80
	s_cselect_b64 s[26:27], -1, 0
	s_and_b64 vcc, exec, s[26:27]
	s_cbranch_vccz .LBB41_21
; %bb.20:
	s_mul_i32 s1, s55, s20
	s_mul_hi_i32 s0, s55, s20
	s_add_u32 s1, s1, s30
	s_addc_u32 s0, s0, s3
	s_mul_i32 s5, s1, s57
	s_mul_hi_u32 s24, s1, s22
	s_add_i32 s5, s24, s5
	s_mul_i32 s0, s0, s22
	s_add_i32 s5, s5, s0
	s_mul_i32 s1, s1, s22
	s_ashr_i32 s0, s58, 31
	s_add_u32 s28, s1, s58
	s_addc_u32 s29, s5, s0
	s_cbranch_execz .LBB41_22
	s_branch .LBB41_23
.LBB41_21:
                                        ; implicit-def: $sgpr28_sgpr29
.LBB41_22:
	s_mul_hi_i32 s0, s55, s22
	s_mul_i32 s55, s55, s22
	s_ashr_i32 s1, s58, 31
	s_add_u32 s5, s55, s58
	s_addc_u32 s0, s0, s1
	s_mul_i32 s1, s5, s54
	s_mul_hi_u32 s22, s5, s20
	s_add_i32 s1, s22, s1
	s_mul_i32 s0, s0, s20
	s_add_i32 s1, s1, s0
	s_mul_i32 s5, s5, s20
	s_add_u32 s28, s5, s30
	s_addc_u32 s29, s1, s3
.LBB41_23:
	s_mul_i32 s0, s42, s54
	s_add_i32 s0, s61, s0
	s_add_i32 s5, s59, s56
	s_add_i32 s1, s0, s60
	s_add_u32 s0, s4, s30
	v_lshlrev_b32_e32 v6, 6, v91
	v_lshlrev_b32_e32 v24, 2, v88
	s_addc_u32 s1, s1, s3
	s_mov_b32 s3, 0x7060302
	v_or_b32_e32 v9, v6, v24
	v_xor_b32_e32 v7, v91, v24
	v_perm_b32 v3, v75, v74, s3
	v_perm_b32 v2, v71, v70, s3
	;; [unrolled: 1-line block ×4, first 2 shown]
	v_lshlrev_b32_e32 v9, 1, v9
	v_xor_b32_e32 v8, v92, v24
	ds_write2st64_b64 v9, v[2:3], v[4:5] offset0:32 offset1:48
	v_lshlrev_b32_e32 v7, 1, v7
	v_lshlrev_b32_e32 v9, 8, v88
	v_or_b32_e32 v10, v7, v9
	v_lshlrev_b32_e32 v8, 1, v8
	ds_write_b64 v10, v[2:3]
	v_or_b32_e32 v2, v8, v9
	v_or_b32_e32 v9, 16, v88
	v_lshlrev_b32_e32 v23, 2, v9
	v_or_b32_e32 v10, v6, v23
	ds_write_b64 v2, v[4:5]
	v_perm_b32 v3, v67, v66, s3
	v_perm_b32 v2, v63, v62, s3
	;; [unrolled: 1-line block ×4, first 2 shown]
	v_lshlrev_b32_e32 v10, 1, v10
	v_lshlrev_b32_e32 v9, 8, v9
	ds_write2st64_b64 v10, v[2:3], v[4:5] offset0:32 offset1:48
	v_or_b32_e32 v10, v7, v9
	ds_write_b64 v10, v[2:3]
	v_or_b32_e32 v2, v8, v9
	v_or_b32_e32 v9, 32, v88
	v_lshlrev_b32_e32 v22, 2, v9
	v_or_b32_e32 v10, v6, v22
	ds_write_b64 v2, v[4:5]
	v_perm_b32 v3, v59, v58, s3
	v_perm_b32 v2, v55, v54, s3
	;; [unrolled: 1-line block ×4, first 2 shown]
	v_lshlrev_b32_e32 v10, 1, v10
	v_lshlrev_b32_e32 v9, 8, v9
	s_lshl_b64 s[24:25], s[0:1], 8
	ds_write2st64_b64 v10, v[2:3], v[4:5] offset0:32 offset1:48
	v_or_b32_e32 v10, v7, v9
	s_waitcnt lgkmcnt(0)
	s_add_u32 s0, s14, s24
	ds_write_b64 v10, v[2:3]
	v_or_b32_e32 v2, v8, v9
	s_addc_u32 s1, s15, s25
	ds_write_b64 v2, v[4:5]
	v_perm_b32 v3, v53, v52, s3
	v_perm_b32 v2, v47, v46, s3
	;; [unrolled: 1-line block ×4, first 2 shown]
	v_or_b32_e32 v9, 48, v88
	s_mul_hi_i32 s3, s5, s21
	s_mul_i32 s5, s5, s21
	v_lshlrev_b32_e32 v19, 2, v9
	s_add_u32 s4, s5, s52
	v_or_b32_e32 v6, v6, v19
	s_addc_u32 s5, s3, s53
	v_lshlrev_b32_e32 v6, 1, v6
	s_ashr_i32 s3, s2, 31
	s_lshl_b64 s[4:5], s[4:5], 15
	ds_write2st64_b64 v6, v[2:3], v[4:5] offset0:32 offset1:48
	v_lshlrev_b32_e32 v6, 8, v9
	s_add_u32 s4, s6, s4
	v_or_b32_e32 v7, v7, v6
	s_addc_u32 s5, s7, s5
	s_lshl_b64 s[2:3], s[2:3], 8
	ds_write_b64 v7, v[2:3]
	v_or_b32_e32 v2, v8, v6
	s_add_u32 s2, s4, s2
	v_lshlrev_b32_e32 v3, 1, v88
	ds_write_b64 v2, v[4:5]
	v_lshrrev_b32_e32 v2, 4, v0
	s_addc_u32 s3, s5, s3
	v_or_b32_e32 v4, 1, v3
	v_lshlrev_b32_e32 v10, 4, v88
	v_mov_b32_e32 v11, 0
	v_xor_b32_e32 v3, v2, v3
	v_xor_b32_e32 v6, v4, v2
	v_lshl_add_u64 v[12:13], s[2:3], 0, v[10:11]
	v_lshlrev_b32_e32 v10, 8, v2
	v_lshl_or_b32 v16, v3, 3, v10
	v_lshl_or_b32 v17, v6, 3, v10
	s_waitcnt lgkmcnt(0)
	s_barrier
	ds_read2st64_b64 v[2:5], v16 offset1:8
	ds_read2st64_b64 v[6:9], v17 offset1:8
	v_lshl_add_u64 v[14:15], v[12:13], 0, v[10:11]
	s_movk_i32 s2, 0x2000
	s_cmp_lg_u32 s31, 64
	s_waitcnt lgkmcnt(1)
	v_mov_b32_e32 v10, v2
	v_mov_b32_e32 v11, v3
	s_waitcnt lgkmcnt(0)
	v_mov_b32_e32 v12, v6
	v_mov_b32_e32 v13, v7
	global_store_dwordx4 v[14:15], v[10:13], off
	v_mov_b32_e32 v6, v4
	v_mov_b32_e32 v7, v5
	ds_read2st64_b64 v[2:5], v16 offset0:16 offset1:24
	ds_read2st64_b64 v[10:13], v17 offset0:16 offset1:24
	v_add_co_u32_e32 v16, vcc, s2, v14
	s_cselect_b64 s[14:15], -1, 0
	s_nop 0
	v_addc_co_u32_e32 v17, vcc, 0, v15, vcc
	global_store_dwordx4 v[16:17], v[6:9], off offset:-4096
	v_lshl_or_b32 v30, v1, 3, v90
	s_mov_b32 s4, 0
	s_waitcnt lgkmcnt(1)
	v_mov_b32_e32 v6, v2
	v_add_co_u32_e32 v2, vcc, 0x3000, v14
	v_mov_b32_e32 v7, v3
	s_nop 0
	v_addc_co_u32_e32 v3, vcc, 0, v15, vcc
	s_waitcnt lgkmcnt(0)
	v_mov_b32_e32 v8, v10
	v_mov_b32_e32 v9, v11
	;; [unrolled: 1-line block ×4, first 2 shown]
	v_or_b32_e32 v20, 32, v30
	v_and_b32_e32 v18, 56, v89
	s_and_b64 vcc, exec, s[14:15]
	global_store_dwordx4 v[16:17], v[6:9], off
	global_store_dwordx4 v[2:3], v[10:13], off
	s_cbranch_vccz .LBB41_29
; %bb.24:
	s_mov_b32 s6, s4
	s_mov_b32 s7, s4
	;; [unrolled: 1-line block ×3, first 2 shown]
	v_mov_b64_e32 v[8:9], s[6:7]
	v_mov_b64_e32 v[6:7], s[4:5]
	;; [unrolled: 1-line block ×3, first 2 shown]
	v_cmp_gt_i32_e32 vcc, s31, v30
	v_mov_b64_e32 v[4:5], v[8:9]
	s_and_saveexec_b64 s[2:3], vcc
	s_cbranch_execz .LBB41_26
; %bb.25:
	v_lshlrev_b32_e32 v2, 8, v30
	v_mov_b32_e32 v3, 0
	v_lshl_add_u64 v[4:5], s[0:1], 0, v[2:3]
	v_lshlrev_b32_e32 v2, 1, v18
	v_lshl_add_u64 v[10:11], v[4:5], 0, v[2:3]
	global_load_dwordx4 v[6:9], v[10:11], off
	global_load_dwordx4 v[2:5], v[10:11], off offset:128
.LBB41_26:
	s_or_b64 exec, exec, s[2:3]
	s_mov_b32 s6, s4
	s_mov_b32 s7, s4
	;; [unrolled: 1-line block ×3, first 2 shown]
	v_mov_b64_e32 v[16:17], s[6:7]
	v_mov_b64_e32 v[14:15], s[4:5]
	;; [unrolled: 1-line block ×3, first 2 shown]
	v_cmp_gt_i32_e32 vcc, s31, v20
	v_lshlrev_b32_e32 v21, 7, v20
	v_mov_b64_e32 v[12:13], v[16:17]
	s_and_saveexec_b64 s[2:3], vcc
	s_cbranch_execz .LBB41_28
; %bb.27:
	v_lshlrev_b32_e32 v10, 1, v21
	v_mov_b32_e32 v11, 0
	v_lshl_add_u64 v[12:13], s[0:1], 0, v[10:11]
	v_lshlrev_b32_e32 v10, 1, v18
	v_lshl_add_u64 v[26:27], v[12:13], 0, v[10:11]
	global_load_dwordx4 v[14:17], v[26:27], off
	global_load_dwordx4 v[10:13], v[26:27], off offset:128
.LBB41_28:
	s_or_b64 exec, exec, s[2:3]
	v_lshrrev_b32_e32 v25, 3, v18
	v_lshlrev_b32_e32 v26, 3, v30
	v_or_b32_e32 v25, v26, v25
	v_lshlrev_b32_e32 v25, 4, v25
	v_and_b32_e32 v26, 0x78, v26
	v_xor_b32_e32 v25, v25, v26
	s_branch .LBB41_31
.LBB41_29:
                                        ; implicit-def: $vgpr25
                                        ; implicit-def: $vgpr21
                                        ; implicit-def: $vgpr6_vgpr7_vgpr8_vgpr9
                                        ; implicit-def: $vgpr2_vgpr3_vgpr4_vgpr5
                                        ; implicit-def: $vgpr14_vgpr15_vgpr16_vgpr17
                                        ; implicit-def: $vgpr10_vgpr11_vgpr12_vgpr13
	s_cbranch_execz .LBB41_31
; %bb.30:
	s_waitcnt vmcnt(0)
	v_lshlrev_b32_e32 v2, 1, v18
	v_lshl_or_b32 v21, v30, 8, v2
	s_and_b32 s1, s1, 0xffff
	s_mov_b32 s3, 0x20000
	s_movk_i32 s2, 0x4000
	v_lshl_or_b32 v25, v20, 8, v2
	s_movk_i32 s4, 0x80
	buffer_load_dwordx4 v[6:9], v21, s[0:3], 0 offen
	buffer_load_dwordx4 v[2:5], v21, s[0:3], s4 offen
	;; [unrolled: 1-line block ×4, first 2 shown]
	v_lshrrev_b32_e32 v21, 3, v18
	v_lshlrev_b32_e32 v25, 3, v30
	v_or_b32_e32 v21, v25, v21
	v_lshlrev_b32_e32 v21, 4, v21
	v_and_b32_e32 v25, 0x78, v25
	v_xor_b32_e32 v25, v21, v25
	v_lshlrev_b32_e32 v21, 7, v20
.LBB41_31:
	s_movk_i32 s0, 0x1000
	v_and_or_b32 v20, v21, s0, v25
	s_waitcnt vmcnt(1)
	ds_write_b64 v25, v[6:7] offset:49152
	v_xor_b32_e32 v6, 8, v25
	ds_write_b64 v6, v[8:9] offset:49152
	s_waitcnt vmcnt(0)
	ds_write_b64 v25, v[2:3] offset:57344
	ds_write_b64 v6, v[4:5] offset:57344
	ds_write_b64 v20, v[14:15] offset:49152
	v_xor_b32_e32 v2, 8, v20
	ds_write_b64 v2, v[16:17] offset:49152
	ds_write_b64 v20, v[10:11] offset:57344
	;; [unrolled: 1-line block ×3, first 2 shown]
	v_or_b32_e32 v2, v86, v88
	v_lshlrev_b32_e32 v2, 3, v2
	v_lshrrev_b32_e32 v3, 5, v35
	s_movk_i32 s0, 0xf8
	v_and_or_b32 v3, v2, s0, v3
	v_lshlrev_b32_e32 v7, 4, v3
	v_lshlrev_b32_e32 v25, 11, v1
	v_and_b32_e32 v8, 0x78, v2
	v_or_b32_e32 v10, 32, v7
	v_and_b32_e32 v6, 0x1000, v25
	v_lshrrev_b32_e32 v3, 1, v35
	v_xor_b32_e32 v10, v10, v8
	v_xor_b32_e32 v2, v7, v8
	v_and_b32_e32 v9, 8, v3
	v_or_b32_e32 v10, v10, v6
	v_or_b32_e32 v2, v2, v6
	v_xor_b32_e32 v32, v10, v9
	v_or_b32_e32 v10, 64, v7
	v_xor_b32_e32 v31, v2, v9
	v_xor_b32_e32 v10, v10, v8
	s_waitcnt lgkmcnt(0)
	s_barrier
	v_or_b32_e32 v13, v10, v6
	ds_read_b64 v[10:11], v31 offset:49152
	v_lshl_or_b32 v14, v87, 8, v24
	v_lshlrev_b32_e32 v26, 1, v14
	v_add_u32_e32 v12, 0x4000, v26
	ds_read2_b64 v[2:5], v12 offset1:16
	v_or_b32_e32 v7, 0x60, v7
	v_xor_b32_e32 v7, v7, v8
	v_or_b32_e32 v6, v7, v6
	v_xor_b32_e32 v33, v13, v9
	v_xor_b32_e32 v77, v6, v9
	ds_read_b64 v[20:21], v32 offset:49152
	ds_read_b64 v[78:79], v33 offset:49152
	;; [unrolled: 1-line block ×3, first 2 shown]
	s_waitcnt lgkmcnt(3)
	v_mfma_f32_16x16x16_bf16 a[0:3], v[10:11], v[2:3], 0
	ds_read2st64_b64 v[6:9], v26 offset0:36 offset1:40
	s_lshl_b64 s[0:1], s[28:29], 8
	s_add_u32 s4, s12, s0
	v_mfma_f32_16x16x16_bf16 a[4:7], v[10:11], v[4:5], 0
	ds_read2_b64 v[2:5], v12 offset0:32 offset1:48
	s_addc_u32 s5, s13, s1
	s_add_i32 s1, s48, s33
	s_waitcnt lgkmcnt(0)
	v_mfma_f32_16x16x16_bf16 a[8:11], v[10:11], v[2:3], 0
	v_or_b32_e32 v2, 64, v14
	v_lshlrev_b32_e32 v27, 1, v2
	s_add_i32 s0, s20, -1
	v_mfma_f32_16x16x16_bf16 a[12:15], v[10:11], v[4:5], 0
	ds_read2st64_b64 v[2:5], v27 offset0:36 offset1:40
	s_add_i32 s41, s1, s43
	s_add_i32 s1, s50, s49
	v_mfma_f32_16x16x16_bf16 a[0:3], v[20:21], v[6:7], a[0:3]
	v_or_b32_e32 v6, 0x80, v14
	v_lshlrev_b32_e32 v28, 1, v6
	ds_read2st64_b64 v[10:13], v28 offset0:36 offset1:40
	s_waitcnt lgkmcnt(1)
	v_mfma_f32_16x16x16_bf16 a[4:7], v[20:21], v[2:3], a[4:7]
	v_or_b32_e32 v2, 0xc0, v14
	v_lshlrev_b32_e32 v29, 1, v2
	ds_read2st64_b64 v[14:17], v29 offset0:36 offset1:40
	s_add_i32 s39, s1, s51
	s_ashr_i32 s1, s0, 31
	s_mul_i32 s2, s0, s37
	s_mul_hi_u32 s3, s0, s36
	s_add_i32 s2, s3, s2
	s_mul_i32 s1, s1, s36
	s_waitcnt lgkmcnt(1)
	v_mfma_f32_16x16x16_bf16 a[8:11], v[20:21], v[10:11], a[8:11]
	s_add_i32 s1, s2, s1
	s_lshl_b64 s[2:3], s[40:41], 2
	s_add_u32 s6, s18, s2
	s_waitcnt lgkmcnt(0)
	v_mfma_f32_16x16x16_bf16 a[12:15], v[20:21], v[14:15], a[12:15]
	s_addc_u32 s7, s19, s3
	s_lshl_b64 s[2:3], s[38:39], 2
	s_mul_i32 s0, s0, s36
	v_mfma_f32_16x16x16_bf16 a[0:3], v[78:79], v[8:9], a[0:3]
	ds_read_b64 v[2:3], v26 offset:22528
	s_add_u32 s12, s6, s2
	s_addc_u32 s13, s7, s3
	v_mfma_f32_16x16x16_bf16 a[4:7], v[78:79], v[4:5], a[4:7]
	ds_read_b64 v[4:5], v27 offset:22528
	ds_read_b64 v[6:7], v28 offset:22528
	;; [unrolled: 1-line block ×3, first 2 shown]
	s_lshl_b64 s[0:1], s[0:1], 2
	s_add_u32 s0, s12, s0
	v_mfma_f32_16x16x16_bf16 a[8:11], v[78:79], v[12:13], a[8:11]
	s_addc_u32 s1, s13, s1
	s_load_dword s18, s[0:1], 0x0
	s_and_b64 vcc, exec, s[26:27]
	v_mfma_f32_16x16x16_bf16 a[12:15], v[78:79], v[16:17], a[12:15]
	s_waitcnt lgkmcnt(0)
	v_mfma_f32_16x16x16_bf16 a[0:3], v[80:81], v[2:3], a[0:3]
	v_mfma_f32_16x16x16_bf16 a[4:7], v[80:81], v[4:5], a[4:7]
	;; [unrolled: 1-line block ×4, first 2 shown]
	s_cbranch_vccz .LBB41_42
; %bb.32:
	v_lshlrev_b32_e32 v20, 1, v30
	s_and_b64 vcc, exec, s[14:15]
	s_cbranch_vccz .LBB41_43
; %bb.33:
	v_cmp_gt_i32_e32 vcc, s31, v20
	v_mov_b32_e32 v6, 0
	v_mov_b32_e32 v2, 0
	v_mov_b32_e32 v3, 0
	v_mov_b32_e32 v4, 0
	v_mov_b32_e32 v5, 0
	s_and_saveexec_b64 s[0:1], vcc
	s_cbranch_execz .LBB41_35
; %bb.34:
	v_mad_i64_i32 v[2:3], s[2:3], s23, v20, 0
	v_lshl_add_u64 v[2:3], v[2:3], 1, s[4:5]
	v_lshlrev_b32_e32 v4, 1, v18
	v_mov_b32_e32 v5, 0
	v_lshl_add_u64 v[2:3], v[2:3], 0, v[4:5]
	global_load_dwordx4 v[2:5], v[2:3], off
.LBB41_35:
	s_or_b64 exec, exec, s[0:1]
	v_or_b32_e32 v21, 1, v20
	v_cmp_gt_i32_e64 s[0:1], s31, v21
	v_mov_b32_e32 v7, 0
	v_mov_b32_e32 v8, 0
	;; [unrolled: 1-line block ×3, first 2 shown]
	s_and_saveexec_b64 s[2:3], s[0:1]
	s_cbranch_execz .LBB41_37
; %bb.36:
	v_mad_i64_i32 v[6:7], s[6:7], s23, v21, 0
	v_lshl_add_u64 v[6:7], v[6:7], 1, s[4:5]
	v_lshlrev_b32_e32 v8, 1, v18
	v_mov_b32_e32 v9, 0
	v_lshl_add_u64 v[6:7], v[6:7], 0, v[8:9]
	global_load_dwordx4 v[6:9], v[6:7], off
.LBB41_37:
	s_or_b64 exec, exec, s[2:3]
	v_mov_b32_e32 v17, 0
	v_mov_b32_e32 v10, 0
	;; [unrolled: 1-line block ×5, first 2 shown]
	s_and_saveexec_b64 s[2:3], vcc
	s_cbranch_execz .LBB41_39
; %bb.38:
	v_mad_i64_i32 v[10:11], s[6:7], s23, v20, 0
	v_lshl_add_u64 v[10:11], v[10:11], 1, s[4:5]
	v_lshlrev_b32_e32 v12, 1, v18
	v_mov_b32_e32 v13, 0
	v_lshl_add_u64 v[10:11], v[10:11], 0, v[12:13]
	global_load_dwordx4 v[10:13], v[10:11], off offset:128
.LBB41_39:
	s_or_b64 exec, exec, s[2:3]
	v_mov_b32_e32 v16, 0
	v_mov_b32_e32 v15, 0
	;; [unrolled: 1-line block ×3, first 2 shown]
	s_and_saveexec_b64 s[2:3], s[0:1]
	s_cbranch_execz .LBB41_41
; %bb.40:
	v_mad_i64_i32 v[14:15], s[0:1], s23, v21, 0
	v_lshl_add_u64 v[14:15], v[14:15], 1, s[4:5]
	v_lshlrev_b32_e32 v16, 1, v18
	v_mov_b32_e32 v17, 0
	v_lshl_add_u64 v[14:15], v[14:15], 0, v[16:17]
	global_load_dwordx4 v[14:17], v[14:15], off offset:128
.LBB41_41:
	s_or_b64 exec, exec, s[2:3]
	s_branch .LBB41_45
.LBB41_42:
                                        ; implicit-def: $vgpr5
                                        ; implicit-def: $vgpr9
                                        ; implicit-def: $vgpr13
                                        ; implicit-def: $vgpr17
	v_lshrrev_b32_e32 v35, 2, v35
	s_branch .LBB41_46
.LBB41_43:
                                        ; implicit-def: $vgpr5
                                        ; implicit-def: $vgpr9
                                        ; implicit-def: $vgpr13
                                        ; implicit-def: $vgpr17
	s_cbranch_execz .LBB41_45
; %bb.44:
	s_waitcnt vmcnt(0)
	v_mad_u64_u32 v[2:3], s[0:1], v20, s23, v[18:19]
	v_lshlrev_b32_e32 v20, 1, v2
	s_lshl_b32 s2, s23, 7
	s_and_b32 s1, s5, 0xffff
	s_mov_b32 s3, 0x20000
	s_mov_b32 s0, s4
	v_add_lshl_u32 v21, v2, s23, 1
	s_movk_i32 s6, 0x80
	buffer_load_dwordx4 v[2:5], v20, s[0:3], 0 offen
	buffer_load_dwordx4 v[10:13], v20, s[0:3], s6 offen
	;; [unrolled: 1-line block ×4, first 2 shown]
.LBB41_45:
	v_lshrrev_b32_e32 v35, 2, v35
	s_cbranch_execnz .LBB41_58
.LBB41_46:
	s_and_b64 vcc, exec, s[14:15]
	s_cbranch_vccz .LBB41_56
; %bb.47:
	s_waitcnt vmcnt(0)
	v_lshlrev_b32_e32 v7, 1, v30
	v_cmp_gt_i32_e32 vcc, s31, v7
	v_mov_b32_e32 v6, 0
	v_lshlrev_b32_e32 v14, 9, v30
	v_mov_b32_e32 v2, 0
	v_mov_b32_e32 v3, 0
	;; [unrolled: 1-line block ×4, first 2 shown]
	s_and_saveexec_b64 s[0:1], vcc
	s_cbranch_execz .LBB41_49
; %bb.48:
	v_mov_b32_e32 v15, 0
	v_lshl_add_u64 v[2:3], s[4:5], 0, v[14:15]
	v_lshlrev_b32_e32 v4, 1, v18
	v_mov_b32_e32 v5, v15
	v_lshl_add_u64 v[2:3], v[2:3], 0, v[4:5]
	global_load_dwordx4 v[2:5], v[2:3], off
.LBB41_49:
	s_or_b64 exec, exec, s[0:1]
	v_or_b32_e32 v7, 1, v7
	v_cmp_gt_i32_e64 s[0:1], s31, v7
	v_lshlrev_b32_e32 v20, 8, v7
	v_mov_b32_e32 v7, 0
	v_mov_b32_e32 v8, 0
	;; [unrolled: 1-line block ×3, first 2 shown]
	s_and_saveexec_b64 s[2:3], s[0:1]
	s_cbranch_execz .LBB41_51
; %bb.50:
	v_mov_b32_e32 v21, 0
	v_lshl_add_u64 v[6:7], s[4:5], 0, v[20:21]
	v_lshlrev_b32_e32 v8, 1, v18
	v_mov_b32_e32 v9, v21
	v_lshl_add_u64 v[6:7], v[6:7], 0, v[8:9]
	global_load_dwordx4 v[6:9], v[6:7], off
.LBB41_51:
	s_or_b64 exec, exec, s[2:3]
	v_mov_b32_e32 v17, 0
	v_mov_b32_e32 v10, 0
	;; [unrolled: 1-line block ×5, first 2 shown]
	s_and_saveexec_b64 s[2:3], vcc
	s_cbranch_execz .LBB41_53
; %bb.52:
	v_mov_b32_e32 v15, 0
	v_lshl_add_u64 v[10:11], s[4:5], 0, v[14:15]
	v_lshlrev_b32_e32 v14, 1, v18
	v_lshl_add_u64 v[10:11], v[10:11], 0, v[14:15]
	global_load_dwordx4 v[10:13], v[10:11], off offset:128
.LBB41_53:
	s_or_b64 exec, exec, s[2:3]
	v_mov_b32_e32 v16, 0
	v_mov_b32_e32 v15, 0
	;; [unrolled: 1-line block ×3, first 2 shown]
	s_and_saveexec_b64 s[2:3], s[0:1]
	s_cbranch_execz .LBB41_55
; %bb.54:
	v_mov_b32_e32 v21, 0
	v_lshl_add_u64 v[14:15], s[4:5], 0, v[20:21]
	v_lshlrev_b32_e32 v20, 1, v18
	v_lshl_add_u64 v[14:15], v[14:15], 0, v[20:21]
	global_load_dwordx4 v[14:17], v[14:15], off offset:128
.LBB41_55:
	s_or_b64 exec, exec, s[2:3]
	s_branch .LBB41_58
.LBB41_56:
                                        ; implicit-def: $vgpr5
                                        ; implicit-def: $vgpr9
                                        ; implicit-def: $vgpr13
                                        ; implicit-def: $vgpr17
	s_cbranch_execz .LBB41_58
; %bb.57:
	s_waitcnt vmcnt(0)
	v_lshlrev_b32_e32 v2, 1, v18
	v_lshl_or_b32 v18, v30, 9, v2
	s_and_b32 s5, s5, 0xffff
	s_mov_b32 s7, 0x20000
	s_movk_i32 s6, 0x4000
	s_movk_i32 s0, 0x80
	buffer_load_dwordx4 v[2:5], v18, s[4:7], 0 offen
	buffer_load_dwordx4 v[6:9], v18, s[4:7], 0 offen offset:256
	buffer_load_dwordx4 v[10:13], v18, s[4:7], s0 offen
	buffer_load_dwordx4 v[14:17], v18, s[4:7], s0 offen offset:256
.LBB41_58:
	ds_read_b64 v[20:21], v31 offset:57344
	v_add_u32_e32 v18, 0x6000, v26
	ds_read2_b64 v[78:81], v18 offset1:16
	ds_read_b64 v[96:97], v32 offset:57344
	ds_read_b64 v[32:33], v33 offset:57344
	ds_read_b64 v[98:99], v77 offset:57344
	ds_read2st64_b64 v[82:85], v26 offset0:52 offset1:56
	v_and_b32_e32 v31, 1, v0
	v_cmp_eq_u32_e32 vcc, 0, v31
	s_mov_b32 s0, 0x1000504
	s_waitcnt vmcnt(0)
	v_perm_b32 v31, v10, v14, s0
	s_mov_b32 s1, 0x3020706
	s_waitcnt lgkmcnt(4)
	v_mfma_f32_16x16x16_bf16 a[0:3], v[20:21], v[78:79], a[0:3]
	v_mfma_f32_16x16x16_bf16 a[4:7], v[20:21], v[80:81], a[4:7]
	ds_read2_b64 v[78:81], v18 offset0:32 offset1:48
	v_and_b32_e32 v18, 6, v0
	v_xor_b32_e32 v30, v30, v18
	s_waitcnt lgkmcnt(0)
	v_mfma_f32_16x16x16_bf16 a[8:11], v[20:21], v[78:79], a[8:11]
	v_lshlrev_b32_e32 v30, 2, v30
	v_xor_b32_e32 v77, 0x440, v30
	v_cndmask_b32_e32 v30, v77, v30, vcc
	v_mfma_f32_16x16x16_bf16 a[12:15], v[20:21], v[80:81], a[12:15]
	ds_read2st64_b64 v[78:81], v27 offset0:52 offset1:56
	ds_read2st64_b64 v[88:91], v28 offset0:52 offset1:56
	;; [unrolled: 1-line block ×3, first 2 shown]
	v_lshl_or_b32 v18, v18, 10, v30
	v_perm_b32 v30, v2, v6, s0
	v_mfma_f32_16x16x16_bf16 a[0:3], v[96:97], v[82:83], a[0:3]
	ds_read_b64 v[20:21], v26 offset:30720
	ds_read_b64 v[82:83], v27 offset:30720
	;; [unrolled: 1-line block ×4, first 2 shown]
	ds_write2st64_b32 v18, v30, v31 offset0:128 offset1:160
	v_xor_b32_e32 v30, 8, v18
	s_waitcnt lgkmcnt(7)
	v_mfma_f32_16x16x16_bf16 a[4:7], v[96:97], v[78:79], a[4:7]
	v_perm_b32 v2, v2, v6, s1
	v_perm_b32 v6, v10, v14, s1
	v_add_u32_e32 v10, 0x80, v30
	s_waitcnt lgkmcnt(6)
	v_mfma_f32_16x16x16_bf16 a[8:11], v[96:97], v[88:89], a[8:11]
	ds_write2st64_b32 v10, v2, v6 offset0:128 offset1:160
	v_xor_b32_e32 v2, 16, v18
	v_perm_b32 v6, v3, v7, s0
	s_waitcnt lgkmcnt(6)
	v_mfma_f32_16x16x16_bf16 a[12:15], v[96:97], v[92:93], a[12:15]
	v_perm_b32 v10, v11, v15, s0
	ds_write2st64_b32 v2, v6, v10 offset0:129 offset1:161
	v_xor_b32_e32 v2, 24, v18
	v_mfma_f32_16x16x16_bf16 a[0:3], v[32:33], v[84:85], a[0:3]
	v_perm_b32 v3, v3, v7, s1
	v_perm_b32 v6, v11, v15, s1
	v_add_u32_e32 v2, 0x80, v2
	v_mfma_f32_16x16x16_bf16 a[4:7], v[32:33], v[80:81], a[4:7]
	ds_write2st64_b32 v2, v3, v6 offset0:129 offset1:161
	v_xor_b32_e32 v2, 32, v18
	v_perm_b32 v3, v4, v8, s0
	v_mfma_f32_16x16x16_bf16 a[16:19], v[32:33], v[90:91], a[8:11]
	v_perm_b32 v6, v12, v16, s0
	ds_write2st64_b32 v2, v3, v6 offset0:130 offset1:162
	v_xor_b32_e32 v2, 40, v18
	v_mfma_f32_16x16x16_bf16 a[20:23], v[32:33], v[94:95], a[12:15]
	v_perm_b32 v3, v4, v8, s1
	v_perm_b32 v4, v12, v16, s1
	v_add_u32_e32 v2, 0x80, v2
	s_waitcnt lgkmcnt(8)
	v_mfma_f32_16x16x16_bf16 a[12:15], v[98:99], v[20:21], a[0:3]
	ds_write2st64_b32 v2, v3, v4 offset0:130 offset1:162
	v_xor_b32_e32 v2, 48, v18
	v_perm_b32 v3, v5, v9, s0
	s_waitcnt lgkmcnt(8)
	v_mfma_f32_16x16x16_bf16 a[8:11], v[98:99], v[82:83], a[4:7]
	v_perm_b32 v4, v13, v17, s0
	ds_write2st64_b32 v2, v3, v4 offset0:131 offset1:163
	v_xor_b32_e32 v2, 56, v18
	s_waitcnt lgkmcnt(8)
	v_mfma_f32_16x16x16_bf16 a[4:7], v[98:99], v[100:101], a[16:19]
	v_and_or_b32 v31, v35, 12, v86
	v_perm_b32 v3, v5, v9, s1
	v_perm_b32 v4, v13, v17, s1
	s_waitcnt lgkmcnt(7)
	v_mfma_f32_16x16x16_bf16 a[0:3], v[98:99], v[102:103], a[20:23]
	v_add_u32_e32 v2, 0x80, v2
	v_cmp_gt_i32_e64 s[0:1], s31, v31
	v_mov_b32_e32 v20, 0
	v_mov_b32_e32 v21, 0
	ds_write2st64_b32 v2, v3, v4 offset0:131 offset1:163
	s_and_saveexec_b64 s[2:3], s[0:1]
	s_cbranch_execz .LBB41_60
; %bb.59:
	v_add_u32_e32 v2, s30, v31
	v_ashrrev_i32_e32 v3, 31, v2
	v_mul_lo_u32 v4, v3, s36
	v_mul_lo_u32 v5, v2, s37
	v_mad_u64_u32 v[2:3], s[4:5], v2, s36, 0
	v_add3_u32 v3, v3, v5, v4
	v_lshl_add_u64 v[2:3], v[2:3], 2, s[12:13]
	global_load_dword v2, v[2:3], off
	s_waitcnt vmcnt(0)
	v_sub_f32_e32 v2, s18, v2
	v_exp_f32_e32 v21, v2
.LBB41_60:
	s_or_b64 exec, exec, s[2:3]
	v_or_b32_e32 v14, 1, v31
	v_cmp_gt_i32_e64 s[4:5], s31, v14
	s_and_saveexec_b64 s[2:3], s[4:5]
	s_cbranch_execz .LBB41_62
; %bb.61:
	v_add_u32_e32 v2, s30, v14
	v_ashrrev_i32_e32 v3, 31, v2
	v_mul_lo_u32 v4, v3, s36
	v_mul_lo_u32 v5, v2, s37
	v_mad_u64_u32 v[2:3], s[6:7], v2, s36, 0
	v_add3_u32 v3, v3, v5, v4
	v_lshl_add_u64 v[2:3], v[2:3], 2, s[12:13]
	global_load_dword v2, v[2:3], off
	s_waitcnt vmcnt(0)
	v_sub_f32_e32 v2, s18, v2
	v_exp_f32_e32 v20, v2
.LBB41_62:
	s_or_b64 exec, exec, s[2:3]
	v_or_b32_e32 v10, 2, v31
	v_cmp_gt_i32_e64 s[2:3], s31, v10
	v_mov_b32_e32 v18, 0
	v_mov_b32_e32 v30, 0
	s_and_saveexec_b64 s[6:7], s[2:3]
	s_cbranch_execz .LBB41_64
; %bb.63:
	v_add_u32_e32 v2, s30, v10
	v_ashrrev_i32_e32 v3, 31, v2
	v_mul_lo_u32 v4, v3, s36
	v_mul_lo_u32 v5, v2, s37
	v_mad_u64_u32 v[2:3], s[14:15], v2, s36, 0
	v_add3_u32 v3, v3, v5, v4
	v_lshl_add_u64 v[2:3], v[2:3], 2, s[12:13]
	global_load_dword v2, v[2:3], off
	s_waitcnt vmcnt(0)
	v_sub_f32_e32 v2, s18, v2
	v_exp_f32_e32 v30, v2
.LBB41_64:
	s_or_b64 exec, exec, s[6:7]
	v_or_b32_e32 v11, 3, v31
	v_cmp_gt_i32_e32 vcc, s31, v11
	s_and_saveexec_b64 s[6:7], vcc
	s_cbranch_execz .LBB41_66
; %bb.65:
	v_add_u32_e32 v2, s30, v11
	v_ashrrev_i32_e32 v3, 31, v2
	v_mul_lo_u32 v4, v3, s36
	v_mul_lo_u32 v5, v2, s37
	v_mad_u64_u32 v[2:3], s[14:15], v2, s36, 0
	v_add3_u32 v3, v3, v5, v4
	v_lshl_add_u64 v[2:3], v[2:3], 2, s[12:13]
	global_load_dword v2, v[2:3], off
	s_waitcnt vmcnt(0)
	v_sub_f32_e32 v2, s18, v2
	v_exp_f32_e32 v18, v2
.LBB41_66:
	s_or_b64 exec, exec, s[6:7]
	s_add_u32 s6, s16, s24
	s_addc_u32 s7, s17, s25
	s_add_u32 s8, s8, s24
	v_ashrrev_i32_e32 v77, 31, v76
	v_accvgpr_read_b32 v2, a12
	s_addc_u32 s9, s9, s25
	v_lshlrev_b64 v[6:7], 1, v[76:77]
	v_accvgpr_read_b32 v3, a13
	v_accvgpr_read_b32 v4, a14
	;; [unrolled: 1-line block ×3, first 2 shown]
	v_lshl_add_u64 v[8:9], s[6:7], 0, v[6:7]
	v_lshl_add_u64 v[6:7], s[8:9], 0, v[6:7]
	v_mov_b32_e32 v15, 0
	v_lshlrev_b32_e32 v12, 8, v31
	v_mov_b32_e32 v13, 0
	s_and_saveexec_b64 s[6:7], s[0:1]
	s_cbranch_execz .LBB41_68
; %bb.67:
	v_mov_b32_e32 v13, 0
	v_lshl_add_u64 v[16:17], v[8:9], 0, v[12:13]
	global_load_ushort v32, v[16:17], off
	v_lshl_add_u64 v[16:17], v[6:7], 0, v[12:13]
	s_waitcnt vmcnt(0)
	v_lshlrev_b32_e32 v13, 16, v32
	v_sub_f32_e32 v2, v13, v2
	global_store_short_d16_hi v[16:17], v2, off
	v_mul_f32_e32 v2, v21, v2
	v_lshrrev_b32_e32 v13, 16, v2
.LBB41_68:
	s_or_b64 exec, exec, s[6:7]
	v_lshlrev_b32_e32 v14, 8, v14
	s_and_saveexec_b64 s[6:7], s[4:5]
	s_cbranch_execz .LBB41_70
; %bb.69:
	v_mov_b32_e32 v15, 0
	v_lshl_add_u64 v[16:17], v[8:9], 0, v[14:15]
	global_load_ushort v2, v[16:17], off
	v_lshl_add_u64 v[16:17], v[6:7], 0, v[14:15]
	s_waitcnt vmcnt(0)
	v_lshlrev_b32_e32 v2, 16, v2
	v_sub_f32_e32 v2, v2, v3
	global_store_short_d16_hi v[16:17], v2, off
	v_mul_f32_e32 v2, v20, v2
	v_lshrrev_b32_e32 v15, 16, v2
.LBB41_70:
	s_or_b64 exec, exec, s[6:7]
	v_mov_b32_e32 v32, 0
	v_lshlrev_b32_e32 v16, 8, v10
	v_mov_b32_e32 v17, 0
	s_and_saveexec_b64 s[6:7], s[2:3]
	s_cbranch_execz .LBB41_72
; %bb.71:
	v_mov_b32_e32 v17, 0
	v_lshl_add_u64 v[2:3], v[8:9], 0, v[16:17]
	global_load_ushort v10, v[2:3], off
	v_lshl_add_u64 v[2:3], v[6:7], 0, v[16:17]
	s_waitcnt vmcnt(0)
	v_lshlrev_b32_e32 v10, 16, v10
	v_sub_f32_e32 v4, v10, v4
	global_store_short_d16_hi v[2:3], v4, off
	v_mul_f32_e32 v2, v30, v4
	v_lshrrev_b32_e32 v17, 16, v2
.LBB41_72:
	s_or_b64 exec, exec, s[6:7]
	v_lshlrev_b32_e32 v10, 8, v11
	s_and_saveexec_b64 s[6:7], vcc
	s_cbranch_execz .LBB41_74
; %bb.73:
	v_mov_b32_e32 v11, 0
	v_lshl_add_u64 v[2:3], v[8:9], 0, v[10:11]
	global_load_ushort v4, v[2:3], off
	v_lshl_add_u64 v[2:3], v[6:7], 0, v[10:11]
	s_waitcnt vmcnt(0)
	v_lshlrev_b32_e32 v4, 16, v4
	v_sub_f32_e32 v4, v4, v5
	global_store_short_d16_hi v[2:3], v4, off
	v_mul_f32_e32 v2, v18, v4
	v_lshrrev_b32_e32 v32, 16, v2
.LBB41_74:
	s_or_b64 exec, exec, s[6:7]
	v_lshlrev_b32_e32 v31, 6, v31
	v_accvgpr_read_b32 v2, a8
	s_mov_b32 s6, 0x5040100
	v_or_b32_e32 v11, v31, v24
	v_accvgpr_read_b32 v3, a9
	v_accvgpr_read_b32 v4, a10
	;; [unrolled: 1-line block ×3, first 2 shown]
	v_perm_b32 v33, v32, v17, s6
	v_perm_b32 v32, v15, v13, s6
	v_lshlrev_b32_e32 v11, 1, v11
	v_mov_b32_e32 v15, 0
	v_mov_b32_e32 v13, 0
	ds_write_b64 v11, v[32:33] offset:24576
	s_and_saveexec_b64 s[6:7], s[0:1]
	s_cbranch_execz .LBB41_76
; %bb.75:
	v_mov_b32_e32 v13, 0
	v_lshl_add_u64 v[32:33], v[8:9], 0, v[12:13]
	global_load_ushort v11, v[32:33], off offset:32
	v_lshl_add_u64 v[32:33], v[6:7], 0, v[12:13]
	s_waitcnt vmcnt(0)
	v_lshlrev_b32_e32 v11, 16, v11
	v_sub_f32_e32 v2, v11, v2
	global_store_short_d16_hi v[32:33], v2, off offset:32
	v_mul_f32_e32 v2, v21, v2
	v_lshrrev_b32_e32 v13, 16, v2
.LBB41_76:
	s_or_b64 exec, exec, s[6:7]
	s_and_saveexec_b64 s[6:7], s[4:5]
	s_cbranch_execz .LBB41_78
; %bb.77:
	v_mov_b32_e32 v15, 0
	v_lshl_add_u64 v[32:33], v[8:9], 0, v[14:15]
	global_load_ushort v2, v[32:33], off offset:32
	v_lshl_add_u64 v[32:33], v[6:7], 0, v[14:15]
	s_waitcnt vmcnt(0)
	v_lshlrev_b32_e32 v2, 16, v2
	v_sub_f32_e32 v2, v2, v3
	global_store_short_d16_hi v[32:33], v2, off offset:32
	v_mul_f32_e32 v2, v20, v2
	v_lshrrev_b32_e32 v15, 16, v2
.LBB41_78:
	s_or_b64 exec, exec, s[6:7]
	v_mov_b32_e32 v11, 0
	v_mov_b32_e32 v17, 0
	s_and_saveexec_b64 s[6:7], s[2:3]
	s_cbranch_execz .LBB41_80
; %bb.79:
	v_mov_b32_e32 v17, 0
	v_lshl_add_u64 v[2:3], v[8:9], 0, v[16:17]
	global_load_ushort v24, v[2:3], off offset:32
	v_lshl_add_u64 v[2:3], v[6:7], 0, v[16:17]
	s_waitcnt vmcnt(0)
	v_lshlrev_b32_e32 v17, 16, v24
	v_sub_f32_e32 v4, v17, v4
	global_store_short_d16_hi v[2:3], v4, off offset:32
	v_mul_f32_e32 v2, v30, v4
	v_lshrrev_b32_e32 v17, 16, v2
.LBB41_80:
	s_or_b64 exec, exec, s[6:7]
	s_and_saveexec_b64 s[6:7], vcc
	s_cbranch_execz .LBB41_82
; %bb.81:
	v_mov_b32_e32 v11, 0
	v_lshl_add_u64 v[2:3], v[8:9], 0, v[10:11]
	global_load_ushort v4, v[2:3], off offset:32
	v_lshl_add_u64 v[2:3], v[6:7], 0, v[10:11]
	s_waitcnt vmcnt(0)
	v_lshlrev_b32_e32 v4, 16, v4
	v_sub_f32_e32 v4, v4, v5
	global_store_short_d16_hi v[2:3], v4, off offset:32
	v_mul_f32_e32 v2, v18, v4
	v_lshrrev_b32_e32 v11, 16, v2
.LBB41_82:
	s_or_b64 exec, exec, s[6:7]
	s_mov_b32 s6, 0x5040100
	v_accvgpr_read_b32 v2, a4
	v_perm_b32 v33, v11, v17, s6
	v_or_b32_e32 v11, v31, v23
	v_accvgpr_read_b32 v3, a5
	v_accvgpr_read_b32 v4, a6
	;; [unrolled: 1-line block ×3, first 2 shown]
	v_perm_b32 v32, v15, v13, s6
	v_lshlrev_b32_e32 v11, 1, v11
	v_mov_b32_e32 v15, 0
	v_mov_b32_e32 v13, 0
	ds_write_b64 v11, v[32:33] offset:24576
	s_and_saveexec_b64 s[6:7], s[0:1]
	s_cbranch_execz .LBB41_84
; %bb.83:
	v_mov_b32_e32 v13, 0
	v_lshl_add_u64 v[32:33], v[8:9], 0, v[12:13]
	global_load_ushort v11, v[32:33], off offset:64
	v_lshl_add_u64 v[32:33], v[6:7], 0, v[12:13]
	s_waitcnt vmcnt(0)
	v_lshlrev_b32_e32 v11, 16, v11
	v_sub_f32_e32 v2, v11, v2
	global_store_short_d16_hi v[32:33], v2, off offset:64
	v_mul_f32_e32 v2, v21, v2
	v_lshrrev_b32_e32 v13, 16, v2
.LBB41_84:
	s_or_b64 exec, exec, s[6:7]
	s_and_saveexec_b64 s[6:7], s[4:5]
	s_cbranch_execz .LBB41_86
; %bb.85:
	v_mov_b32_e32 v15, 0
	v_lshl_add_u64 v[32:33], v[8:9], 0, v[14:15]
	global_load_ushort v2, v[32:33], off offset:64
	v_lshl_add_u64 v[32:33], v[6:7], 0, v[14:15]
	s_waitcnt vmcnt(0)
	v_lshlrev_b32_e32 v2, 16, v2
	v_sub_f32_e32 v2, v2, v3
	global_store_short_d16_hi v[32:33], v2, off offset:64
	v_mul_f32_e32 v2, v20, v2
	v_lshrrev_b32_e32 v15, 16, v2
.LBB41_86:
	s_or_b64 exec, exec, s[6:7]
	v_mov_b32_e32 v11, 0
	v_mov_b32_e32 v17, 0
	s_and_saveexec_b64 s[6:7], s[2:3]
	s_cbranch_execz .LBB41_88
; %bb.87:
	v_mov_b32_e32 v17, 0
	v_lshl_add_u64 v[2:3], v[8:9], 0, v[16:17]
	global_load_ushort v23, v[2:3], off offset:64
	v_lshl_add_u64 v[2:3], v[6:7], 0, v[16:17]
	s_waitcnt vmcnt(0)
	v_lshlrev_b32_e32 v17, 16, v23
	v_sub_f32_e32 v4, v17, v4
	global_store_short_d16_hi v[2:3], v4, off offset:64
	v_mul_f32_e32 v2, v30, v4
	v_lshrrev_b32_e32 v17, 16, v2
.LBB41_88:
	s_or_b64 exec, exec, s[6:7]
	s_and_saveexec_b64 s[6:7], vcc
	s_cbranch_execz .LBB41_90
; %bb.89:
	v_mov_b32_e32 v11, 0
	v_lshl_add_u64 v[2:3], v[8:9], 0, v[10:11]
	global_load_ushort v4, v[2:3], off offset:64
	v_lshl_add_u64 v[2:3], v[6:7], 0, v[10:11]
	s_waitcnt vmcnt(0)
	v_lshlrev_b32_e32 v4, 16, v4
	v_sub_f32_e32 v4, v4, v5
	global_store_short_d16_hi v[2:3], v4, off offset:64
	v_mul_f32_e32 v2, v18, v4
	v_lshrrev_b32_e32 v11, 16, v2
.LBB41_90:
	s_or_b64 exec, exec, s[6:7]
	s_mov_b32 s6, 0x5040100
	v_accvgpr_read_b32 v5, a3
	v_perm_b32 v33, v11, v17, s6
	v_or_b32_e32 v11, v31, v22
	v_accvgpr_read_b32 v4, a2
	v_accvgpr_read_b32 v3, a1
	;; [unrolled: 1-line block ×3, first 2 shown]
	v_perm_b32 v32, v15, v13, s6
	v_lshlrev_b32_e32 v11, 1, v11
	v_mov_b32_e32 v15, 0
	v_mov_b32_e32 v13, 0
	ds_write_b64 v11, v[32:33] offset:24576
	s_and_saveexec_b64 s[6:7], s[0:1]
	s_cbranch_execz .LBB41_92
; %bb.91:
	v_mov_b32_e32 v13, 0
	v_lshl_add_u64 v[22:23], v[8:9], 0, v[12:13]
	global_load_ushort v11, v[22:23], off offset:96
	v_lshl_add_u64 v[12:13], v[6:7], 0, v[12:13]
	s_waitcnt vmcnt(0)
	v_lshlrev_b32_e32 v11, 16, v11
	v_sub_f32_e32 v2, v11, v2
	global_store_short_d16_hi v[12:13], v2, off offset:96
	v_mul_f32_e32 v2, v21, v2
	v_lshrrev_b32_e32 v13, 16, v2
.LBB41_92:
	s_or_b64 exec, exec, s[6:7]
	s_and_saveexec_b64 s[0:1], s[4:5]
	s_cbranch_execz .LBB41_94
; %bb.93:
	v_mov_b32_e32 v15, 0
	v_lshl_add_u64 v[22:23], v[8:9], 0, v[14:15]
	global_load_ushort v2, v[22:23], off offset:96
	v_lshl_add_u64 v[14:15], v[6:7], 0, v[14:15]
	s_waitcnt vmcnt(0)
	v_lshlrev_b32_e32 v2, 16, v2
	v_sub_f32_e32 v2, v2, v3
	global_store_short_d16_hi v[14:15], v2, off offset:96
	v_mul_f32_e32 v2, v20, v2
	v_lshrrev_b32_e32 v15, 16, v2
.LBB41_94:
	s_or_b64 exec, exec, s[0:1]
	v_mov_b32_e32 v11, 0
	v_mov_b32_e32 v14, 0
	s_and_saveexec_b64 s[0:1], s[2:3]
	s_cbranch_execz .LBB41_96
; %bb.95:
	v_mov_b32_e32 v17, 0
	v_lshl_add_u64 v[2:3], v[8:9], 0, v[16:17]
	global_load_ushort v12, v[2:3], off offset:96
	v_lshl_add_u64 v[2:3], v[6:7], 0, v[16:17]
	s_waitcnt vmcnt(0)
	v_lshlrev_b32_e32 v12, 16, v12
	v_sub_f32_e32 v4, v12, v4
	global_store_short_d16_hi v[2:3], v4, off offset:96
	v_mul_f32_e32 v2, v30, v4
	v_lshrrev_b32_e32 v14, 16, v2
.LBB41_96:
	s_or_b64 exec, exec, s[0:1]
	v_or_b32_e32 v12, 0x6000, v26
	v_or_b32_e32 v4, 0x6000, v27
	;; [unrolled: 1-line block ×4, first 2 shown]
	s_and_saveexec_b64 s[0:1], vcc
	s_cbranch_execz .LBB41_98
; %bb.97:
	v_mov_b32_e32 v11, 0
	v_lshl_add_u64 v[8:9], v[8:9], 0, v[10:11]
	global_load_ushort v8, v[8:9], off offset:96
	v_lshl_add_u64 v[6:7], v[6:7], 0, v[10:11]
	s_waitcnt vmcnt(0)
	v_lshlrev_b32_e32 v8, 16, v8
	v_sub_f32_e32 v5, v8, v5
	global_store_short_d16_hi v[6:7], v5, off offset:96
	v_mul_f32_e32 v5, v18, v5
	v_lshrrev_b32_e32 v11, 16, v5
.LBB41_98:
	s_or_b64 exec, exec, s[0:1]
	s_mov_b32 s0, 0x5040100
	v_or_b32_e32 v5, v31, v19
	v_perm_b32 v7, v11, v14, s0
	v_perm_b32 v6, v15, v13, s0
	v_lshlrev_b32_e32 v5, 1, v5
	s_movk_i32 s0, 0x100
	ds_write_b64 v5, v[6:7] offset:24576
	v_and_b32_e32 v5, 7, v0
	v_and_b32_e32 v6, 8, v0
	v_cmp_gt_u32_e32 vcc, s0, v0
	v_lshrrev_b32_e32 v0, 1, v0
	v_lshlrev_b32_e32 v23, 3, v1
	v_and_b32_e32 v24, 24, v0
	v_mov_b32_e32 v7, 0xa000
	v_mov_b32_e32 v8, 0x8000
	v_xor_b32_e32 v0, v23, v24
	v_cndmask_b32_e32 v22, v7, v8, vcc
	v_or_b32_e32 v1, 0x440, v0
	v_cmp_eq_u32_e32 vcc, 0, v6
	v_lshlrev_b32_e32 v13, 3, v5
	v_lshlrev_b32_e32 v5, 7, v5
	v_cndmask_b32_e32 v0, v1, v0, vcc
	v_or_b32_e32 v0, v0, v25
	v_xad_u32 v35, v0, v13, v5
	v_or_b32_e32 v10, 32, v24
	v_add_u32_e32 v0, v22, v35
	v_xor_b32_e32 v10, v23, v10
	s_waitcnt lgkmcnt(0)
	s_barrier
	ds_read_b64 v[0:1], v0
	ds_read2_b64 v[6:9], v12 offset1:16
	ds_read2_b64 v[14:17], v12 offset0:32 offset1:48
	v_or_b32_e32 v11, 0x440, v10
	v_cndmask_b32_e32 v10, v11, v10, vcc
	v_or_b32_e32 v10, v10, v25
	v_xad_u32 v80, v10, v13, v5
	v_add_u32_e32 v10, v22, v80
	s_waitcnt lgkmcnt(1)
	v_mfma_f32_16x16x16_bf16 a[0:3], v[0:1], v[6:7], 0
	ds_read_b64 v[10:11], v10
	ds_read2st64_b64 v[18:21], v12 offset0:4 offset1:8
	ds_read2st64_b64 v[26:29], v4 offset0:4 offset1:8
	v_mfma_f32_16x16x16_bf16 a[4:7], v[0:1], v[8:9], 0
	ds_read2st64_b64 v[30:33], v3 offset0:4 offset1:8
	ds_read2st64_b64 v[76:79], v2 offset0:4 offset1:8
	s_waitcnt lgkmcnt(5)
	v_mfma_f32_16x16x16_bf16 a[8:11], v[0:1], v[14:15], 0
	v_mfma_f32_16x16x16_bf16 a[12:15], v[0:1], v[16:17], 0
	v_or_b32_e32 v0, 64, v24
	v_xor_b32_e32 v0, v23, v0
	v_xor_b32_e32 v1, 0x440, v0
	v_cndmask_b32_e32 v0, v1, v0, vcc
	v_or_b32_e32 v0, v0, v25
	v_xad_u32 v81, v0, v13, v5
	v_add_u32_e32 v0, v22, v81
	ds_read_b64 v[0:1], v0
	s_waitcnt lgkmcnt(4)
	v_mfma_f32_16x16x16_bf16 a[0:3], v[10:11], v[18:19], a[0:3]
	s_waitcnt lgkmcnt(3)
	v_mfma_f32_16x16x16_bf16 a[4:7], v[10:11], v[26:27], a[4:7]
	;; [unrolled: 2-line block ×4, first 2 shown]
	v_or_b32_e32 v10, 0x60, v24
	v_xor_b32_e32 v10, v23, v10
	v_xor_b32_e32 v11, 0x440, v10
	v_cndmask_b32_e32 v10, v11, v10, vcc
	v_or_b32_e32 v10, v10, v25
	v_xad_u32 v23, v10, v13, v5
	v_add_u32_e32 v5, v22, v23
	s_waitcnt lgkmcnt(0)
	v_mfma_f32_16x16x16_bf16 a[0:3], v[0:1], v[20:21], a[0:3]
	ds_read_b64 v[10:11], v5
	ds_read_b64 v[12:13], v12 offset:6144
	v_mfma_f32_16x16x16_bf16 a[4:7], v[0:1], v[28:29], a[4:7]
	v_mfma_f32_16x16x16_bf16 a[8:11], v[0:1], v[32:33], a[8:11]
	;; [unrolled: 1-line block ×3, first 2 shown]
	ds_read_b64 v[0:1], v4 offset:6144
	ds_read_b64 v[4:5], v3 offset:6144
	;; [unrolled: 1-line block ×3, first 2 shown]
	s_waitcnt lgkmcnt(3)
	v_mfma_f32_16x16x16_bf16 a[0:3], v[10:11], v[12:13], a[0:3]
	s_waitcnt lgkmcnt(2)
	v_mfma_f32_16x16x16_bf16 a[4:7], v[10:11], v[0:1], a[4:7]
	;; [unrolled: 2-line block ×4, first 2 shown]
	ds_read_b64 v[10:11], v35 offset:40960
	s_waitcnt lgkmcnt(0)
	v_mfma_f32_16x16x16_bf16 a[16:19], v[10:11], v[6:7], 0
	ds_read_b64 v[6:7], v80 offset:40960
	v_mfma_f32_16x16x16_bf16 a[20:23], v[10:11], v[8:9], 0
	v_exp_f32_e32 v8, s18
	v_mfma_f32_16x16x16_bf16 a[24:27], v[10:11], v[14:15], 0
	v_accvgpr_read_b32 v15, a3
	v_accvgpr_read_b32 v14, a2
	v_pk_fma_f32 v[74:75], v[74:75], v[8:9], v[14:15] op_sel_hi:[1,0,1]
	v_mfma_f32_16x16x16_bf16 a[28:31], v[10:11], v[16:17], 0
	ds_read_b64 v[10:11], v81 offset:40960
	ds_read_b64 v[14:15], v23 offset:40960
	v_accvgpr_read_b32 v17, a7
	s_waitcnt lgkmcnt(2)
	v_mfma_f32_16x16x16_bf16 a[16:19], v[6:7], v[18:19], a[16:19]
	v_accvgpr_read_b32 v16, a6
	v_accvgpr_read_b32 v19, a15
	;; [unrolled: 1-line block ×3, first 2 shown]
	v_mfma_f32_16x16x16_bf16 a[20:23], v[6:7], v[26:27], a[20:23]
	v_pk_fma_f32 v[66:67], v[66:67], v[8:9], v[16:17] op_sel_hi:[1,0,1]
	v_pk_fma_f32 v[52:53], v[52:53], v[8:9], v[18:19] op_sel_hi:[1,0,1]
	v_mfma_f32_16x16x16_bf16 a[24:27], v[6:7], v[30:31], a[24:27]
	v_mfma_f32_16x16x16_bf16 a[28:31], v[6:7], v[76:77], a[28:31]
	v_accvgpr_read_b32 v7, a11
	v_accvgpr_read_b32 v6, a10
	v_pk_fma_f32 v[58:59], v[58:59], v[8:9], v[6:7] op_sel_hi:[1,0,1]
	s_waitcnt lgkmcnt(1)
	v_mfma_f32_16x16x16_bf16 a[16:19], v[10:11], v[20:21], a[16:19]
	v_accvgpr_read_b32 v21, a1
	v_accvgpr_read_b32 v20, a0
	v_pk_fma_f32 v[70:71], v[70:71], v[8:9], v[20:21] op_sel_hi:[1,0,1]
	v_mfma_f32_16x16x16_bf16 a[0:3], v[10:11], v[28:29], a[20:23]
	v_accvgpr_read_b32 v21, a5
	v_accvgpr_read_b32 v20, a4
	;; [unrolled: 1-line block ×3, first 2 shown]
	v_mfma_f32_16x16x16_bf16 a[20:23], v[10:11], v[32:33], a[24:27]
	v_accvgpr_read_b32 v7, a13
	v_pk_fma_f32 v[46:47], v[46:47], v[8:9], v[6:7] op_sel_hi:[1,0,1]
	v_pk_fma_f32 v[62:63], v[62:63], v[8:9], v[20:21] op_sel_hi:[1,0,1]
	v_mfma_f32_16x16x16_bf16 a[4:7], v[10:11], v[78:79], a[28:31]
	v_accvgpr_read_b32 v11, a9
	v_accvgpr_read_b32 v10, a8
	v_pk_fma_f32 v[54:55], v[54:55], v[8:9], v[10:11] op_sel_hi:[1,0,1]
	s_waitcnt lgkmcnt(0)
	v_mfma_f32_16x16x16_bf16 a[8:11], v[14:15], v[12:13], a[16:19]
	v_mfma_f32_16x16x16_bf16 a[0:3], v[14:15], v[0:1], a[0:3]
	s_nop 5
	v_accvgpr_read_b32 v1, a11
	v_accvgpr_read_b32 v0, a10
	v_mfma_f32_16x16x16_bf16 a[10:13], v[14:15], v[4:5], a[20:23]
	v_pk_fma_f32 v[72:73], v[72:73], v[8:9], v[0:1] op_sel_hi:[1,0,1]
	v_accvgpr_read_b32 v7, a3
	v_accvgpr_read_b32 v6, a2
	v_mfma_f32_16x16x16_bf16 a[2:5], v[14:15], v[2:3], a[4:7]
	v_accvgpr_read_b32 v0, a0
	v_accvgpr_read_b32 v1, a1
	v_pk_fma_f32 v[60:61], v[60:61], v[8:9], v[0:1] op_sel_hi:[1,0,1]
	v_accvgpr_read_b32 v0, a10
	v_accvgpr_read_b32 v1, a11
	;; [unrolled: 1-line block ×3, first 2 shown]
	v_pk_fma_f32 v[50:51], v[50:51], v[8:9], v[0:1] op_sel_hi:[1,0,1]
	v_accvgpr_read_b32 v0, a2
	v_accvgpr_read_b32 v5, a13
	;; [unrolled: 1-line block ×7, first 2 shown]
	v_pk_fma_f32 v[68:69], v[68:69], v[8:9], v[10:11] op_sel_hi:[1,0,1]
	v_pk_fma_f32 v[64:65], v[64:65], v[8:9], v[6:7] op_sel_hi:[1,0,1]
	;; [unrolled: 1-line block ×5, first 2 shown]
.LBB41_99:
	s_add_u32 s0, s10, s34
	s_addc_u32 s1, s11, s35
	v_lshl_add_u64 v[0:1], v[36:37], 1, s[0:1]
	v_mov_b32_e32 v35, 0
	s_mov_b32 s2, 0x7060302
	v_lshl_add_u64 v[0:1], v[0:1], 0, v[34:35]
	v_perm_b32 v3, v75, v74, s2
	v_perm_b32 v2, v71, v70, s2
	global_store_dwordx2 v[0:1], v[2:3], off
	v_perm_b32 v3, v73, v72, s2
	v_perm_b32 v2, v69, v68, s2
	global_store_dwordx2 v[0:1], v[2:3], off offset:128
	v_lshl_add_u64 v[0:1], v[38:39], 1, s[0:1]
	v_lshl_add_u64 v[0:1], v[0:1], 0, v[34:35]
	v_perm_b32 v3, v67, v66, s2
	v_perm_b32 v2, v63, v62, s2
	global_store_dwordx2 v[0:1], v[2:3], off
	v_perm_b32 v3, v65, v64, s2
	v_perm_b32 v2, v61, v60, s2
	global_store_dwordx2 v[0:1], v[2:3], off offset:128
	v_lshl_add_u64 v[0:1], v[40:41], 1, s[0:1]
	;; [unrolled: 8-line block ×3, first 2 shown]
	v_lshl_add_u64 v[0:1], v[0:1], 0, v[34:35]
	v_perm_b32 v3, v53, v52, s2
	v_perm_b32 v2, v47, v46, s2
	global_store_dwordx2 v[0:1], v[2:3], off
	v_perm_b32 v3, v49, v48, s2
	v_perm_b32 v2, v45, v44, s2
	global_store_dwordx2 v[0:1], v[2:3], off offset:128
	s_endpgm
	.section	.rodata,"a",@progbits
	.p2align	6, 0x0
	.amdhsa_kernel _ZN12_GLOBAL__N_139chunk_gated_delta_rule_fwd_h_hip_kernelILi64ELb1ELb1ELb1ELb0ELb1ELb0ELb1ELb1EEEvPK12hip_bfloat16S3_S3_PKfS5_PKvPS1_S8_PvPKiSB_iiiiilll
		.amdhsa_group_segment_fixed_size 65536
		.amdhsa_private_segment_fixed_size 0
		.amdhsa_kernarg_size 136
		.amdhsa_user_sgpr_count 2
		.amdhsa_user_sgpr_dispatch_ptr 0
		.amdhsa_user_sgpr_queue_ptr 0
		.amdhsa_user_sgpr_kernarg_segment_ptr 1
		.amdhsa_user_sgpr_dispatch_id 0
		.amdhsa_user_sgpr_kernarg_preload_length 0
		.amdhsa_user_sgpr_kernarg_preload_offset 0
		.amdhsa_user_sgpr_private_segment_size 0
		.amdhsa_uses_dynamic_stack 0
		.amdhsa_enable_private_segment 0
		.amdhsa_system_sgpr_workgroup_id_x 1
		.amdhsa_system_sgpr_workgroup_id_y 1
		.amdhsa_system_sgpr_workgroup_id_z 0
		.amdhsa_system_sgpr_workgroup_info 0
		.amdhsa_system_vgpr_workitem_id 0
		.amdhsa_next_free_vgpr 224
		.amdhsa_next_free_sgpr 72
		.amdhsa_accum_offset 188
		.amdhsa_reserve_vcc 1
		.amdhsa_float_round_mode_32 0
		.amdhsa_float_round_mode_16_64 0
		.amdhsa_float_denorm_mode_32 3
		.amdhsa_float_denorm_mode_16_64 3
		.amdhsa_dx10_clamp 1
		.amdhsa_ieee_mode 1
		.amdhsa_fp16_overflow 0
		.amdhsa_tg_split 0
		.amdhsa_exception_fp_ieee_invalid_op 0
		.amdhsa_exception_fp_denorm_src 0
		.amdhsa_exception_fp_ieee_div_zero 0
		.amdhsa_exception_fp_ieee_overflow 0
		.amdhsa_exception_fp_ieee_underflow 0
		.amdhsa_exception_fp_ieee_inexact 0
		.amdhsa_exception_int_div_zero 0
	.end_amdhsa_kernel
	.section	.text._ZN12_GLOBAL__N_139chunk_gated_delta_rule_fwd_h_hip_kernelILi64ELb1ELb1ELb1ELb0ELb1ELb0ELb1ELb1EEEvPK12hip_bfloat16S3_S3_PKfS5_PKvPS1_S8_PvPKiSB_iiiiilll,"axG",@progbits,_ZN12_GLOBAL__N_139chunk_gated_delta_rule_fwd_h_hip_kernelILi64ELb1ELb1ELb1ELb0ELb1ELb0ELb1ELb1EEEvPK12hip_bfloat16S3_S3_PKfS5_PKvPS1_S8_PvPKiSB_iiiiilll,comdat
.Lfunc_end41:
	.size	_ZN12_GLOBAL__N_139chunk_gated_delta_rule_fwd_h_hip_kernelILi64ELb1ELb1ELb1ELb0ELb1ELb0ELb1ELb1EEEvPK12hip_bfloat16S3_S3_PKfS5_PKvPS1_S8_PvPKiSB_iiiiilll, .Lfunc_end41-_ZN12_GLOBAL__N_139chunk_gated_delta_rule_fwd_h_hip_kernelILi64ELb1ELb1ELb1ELb0ELb1ELb0ELb1ELb1EEEvPK12hip_bfloat16S3_S3_PKfS5_PKvPS1_S8_PvPKiSB_iiiiilll
                                        ; -- End function
	.section	.AMDGPU.csdata,"",@progbits
; Kernel info:
; codeLenInByte = 12736
; NumSgprs: 78
; NumVgprs: 188
; NumAgprs: 36
; TotalNumVgprs: 224
; ScratchSize: 0
; MemoryBound: 0
; FloatMode: 240
; IeeeMode: 1
; LDSByteSize: 65536 bytes/workgroup (compile time only)
; SGPRBlocks: 9
; VGPRBlocks: 27
; NumSGPRsForWavesPerEU: 78
; NumVGPRsForWavesPerEU: 224
; AccumOffset: 188
; Occupancy: 1
; WaveLimiterHint : 1
; COMPUTE_PGM_RSRC2:SCRATCH_EN: 0
; COMPUTE_PGM_RSRC2:USER_SGPR: 2
; COMPUTE_PGM_RSRC2:TRAP_HANDLER: 0
; COMPUTE_PGM_RSRC2:TGID_X_EN: 1
; COMPUTE_PGM_RSRC2:TGID_Y_EN: 1
; COMPUTE_PGM_RSRC2:TGID_Z_EN: 0
; COMPUTE_PGM_RSRC2:TIDIG_COMP_CNT: 0
; COMPUTE_PGM_RSRC3_GFX90A:ACCUM_OFFSET: 46
; COMPUTE_PGM_RSRC3_GFX90A:TG_SPLIT: 0
	.section	.text._ZN12_GLOBAL__N_139chunk_gated_delta_rule_fwd_h_hip_kernelILi64ELb1ELb1ELb0ELb0ELb1ELb0ELb1ELb1EEEvPK12hip_bfloat16S3_S3_PKfS5_PKvPS1_S8_PvPKiSB_iiiiilll,"axG",@progbits,_ZN12_GLOBAL__N_139chunk_gated_delta_rule_fwd_h_hip_kernelILi64ELb1ELb1ELb0ELb0ELb1ELb0ELb1ELb1EEEvPK12hip_bfloat16S3_S3_PKfS5_PKvPS1_S8_PvPKiSB_iiiiilll,comdat
	.globl	_ZN12_GLOBAL__N_139chunk_gated_delta_rule_fwd_h_hip_kernelILi64ELb1ELb1ELb0ELb0ELb1ELb0ELb1ELb1EEEvPK12hip_bfloat16S3_S3_PKfS5_PKvPS1_S8_PvPKiSB_iiiiilll ; -- Begin function _ZN12_GLOBAL__N_139chunk_gated_delta_rule_fwd_h_hip_kernelILi64ELb1ELb1ELb0ELb0ELb1ELb0ELb1ELb1EEEvPK12hip_bfloat16S3_S3_PKfS5_PKvPS1_S8_PvPKiSB_iiiiilll
	.p2align	8
	.type	_ZN12_GLOBAL__N_139chunk_gated_delta_rule_fwd_h_hip_kernelILi64ELb1ELb1ELb0ELb0ELb1ELb0ELb1ELb1EEEvPK12hip_bfloat16S3_S3_PKfS5_PKvPS1_S8_PvPKiSB_iiiiilll,@function
_ZN12_GLOBAL__N_139chunk_gated_delta_rule_fwd_h_hip_kernelILi64ELb1ELb1ELb0ELb0ELb1ELb0ELb1ELb1EEEvPK12hip_bfloat16S3_S3_PKfS5_PKvPS1_S8_PvPKiSB_iiiiilll: ; @_ZN12_GLOBAL__N_139chunk_gated_delta_rule_fwd_h_hip_kernelILi64ELb1ELb1ELb0ELb0ELb1ELb0ELb1ELb1EEEvPK12hip_bfloat16S3_S3_PKfS5_PKvPS1_S8_PvPKiSB_iiiiilll
; %bb.0:
	s_load_dwordx4 s[12:15], s[0:1], 0x5c
	s_load_dwordx4 s[20:23], s[0:1], 0x70
	s_abs_i32 s6, s3
	s_ashr_i32 s5, s3, 31
	s_load_dwordx4 s[16:19], s[0:1], 0x28
	s_waitcnt lgkmcnt(0)
	s_abs_i32 s4, s13
	v_cvt_f32_u32_e32 v1, s4
	s_sub_i32 s8, 0, s4
	s_ashr_i32 s7, s13, 31
	s_xor_b32 s5, s5, s7
	v_rcp_iflag_f32_e32 v1, v1
	v_and_b32_e32 v86, 15, v0
	v_bfe_u32 v85, v0, 4, 2
	v_mov_b32_e32 v35, 0
	v_mul_f32_e32 v1, 0x4f7ffffe, v1
	v_cvt_u32_f32_e32 v1, v1
	v_lshlrev_b32_e32 v88, 3, v0
	v_readfirstlane_b32 s9, v1
	s_mul_i32 s8, s8, s9
	s_mul_hi_u32 s8, s9, s8
	s_add_i32 s9, s9, s8
	s_mul_hi_u32 s8, s6, s9
	s_mul_i32 s9, s8, s4
	s_sub_i32 s6, s6, s9
	s_add_i32 s10, s8, 1
	s_sub_i32 s9, s6, s4
	s_cmp_ge_u32 s6, s4
	s_cselect_b32 s8, s10, s8
	s_cselect_b32 s6, s9, s6
	s_add_i32 s9, s8, 1
	s_cmp_ge_u32 s6, s4
	s_cselect_b32 s6, s9, s8
	s_xor_b32 s6, s6, s5
	s_add_i32 s8, s12, 63
	s_sub_i32 s53, s6, s5
	s_ashr_i32 s9, s8, 31
	s_mul_i32 s5, s53, s13
	s_sub_i32 s50, s3, s5
	s_lshr_b32 s3, s9, 26
	s_add_i32 s8, s8, s3
	s_abs_i32 s3, s14
	v_cvt_f32_u32_e32 v1, s3
	s_ashr_i32 s52, s12, 31
	s_lshr_b32 s6, s52, 26
	s_add_i32 s6, s12, s6
	v_rcp_iflag_f32_e32 v1, v1
	s_ashr_i32 s55, s14, 31
	s_ashr_i32 s24, s8, 6
	;; [unrolled: 1-line block ×3, first 2 shown]
	v_mul_f32_e32 v1, 0x4f7ffffe, v1
	v_cvt_u32_f32_e32 v1, v1
	s_xor_b32 s6, s7, s55
	s_sub_i32 s7, 0, s3
	s_lshl_b32 s2, s2, 6
	v_readfirstlane_b32 s8, v1
	s_mul_i32 s7, s7, s8
	s_mul_hi_u32 s7, s8, s7
	s_add_i32 s8, s8, s7
	s_mul_hi_u32 s7, s4, s8
	s_mul_i32 s8, s7, s3
	s_sub_i32 s4, s4, s8
	s_add_i32 s8, s7, 1
	s_sub_i32 s9, s4, s3
	s_cmp_ge_u32 s4, s3
	s_cselect_b32 s7, s8, s7
	s_cselect_b32 s4, s9, s4
	s_add_i32 s8, s7, 1
	s_cmp_ge_u32 s4, s3
	s_cselect_b32 s3, s8, s7
	s_xor_b32 s3, s3, s6
	s_sub_i32 s3, s3, s6
	s_abs_i32 s4, s3
	v_cvt_f32_u32_e32 v1, s4
	s_sub_i32 s7, 0, s4
	s_abs_i32 s6, s50
	s_xor_b32 s3, s50, s3
	v_rcp_iflag_f32_e32 v2, v1
	s_ashr_i32 s3, s3, 31
	v_or_b32_e32 v76, s2, v86
	v_lshrrev_b32_e32 v1, 6, v0
	v_mul_f32_e32 v2, 0x4f7ffffe, v2
	v_cvt_u32_f32_e32 v2, v2
	v_lshlrev_b32_e32 v36, 7, v76
	v_lshlrev_b32_e32 v84, 4, v1
	v_or_b32_e32 v38, 0x800, v36
	v_readfirstlane_b32 s8, v2
	s_mul_i32 s7, s7, s8
	s_mul_hi_u32 s7, s8, s7
	s_add_i32 s8, s8, s7
	s_mul_hi_u32 s7, s6, s8
	s_mul_i32 s8, s7, s4
	s_sub_i32 s6, s6, s8
	s_add_i32 s8, s7, 1
	s_sub_i32 s9, s6, s4
	s_cmp_ge_u32 s6, s4
	s_cselect_b32 s7, s8, s7
	s_cselect_b32 s6, s9, s6
	s_add_i32 s8, s7, 1
	s_cmp_ge_u32 s6, s4
	s_cselect_b32 s4, s8, s7
	s_xor_b32 s4, s4, s3
	s_sub_i32 s56, s4, s3
	s_ashr_i32 s3, s53, 31
	s_ashr_i32 s51, s50, 31
	s_mul_hi_i32 s4, s53, s13
	s_add_u32 s40, s5, s50
	s_addc_u32 s41, s4, s51
	s_lshl_b64 s[28:29], s[40:41], 15
	s_add_u32 s4, s16, s28
	v_lshl_or_b32 v89, v85, 2, v84
	s_addc_u32 s5, s17, s29
	v_ashrrev_i32_e32 v37, 31, v36
	v_ashrrev_i32_e32 v39, 31, v38
	v_lshl_add_u64 v[2:3], v[36:37], 1, s[4:5]
	v_lshlrev_b32_e32 v34, 1, v89
	v_lshl_add_u64 v[6:7], v[38:39], 1, s[4:5]
	v_or_b32_e32 v40, 0x1000, v36
	v_or_b32_e32 v42, 0x1800, v36
	v_lshl_add_u64 v[2:3], v[2:3], 0, v[34:35]
	v_lshl_add_u64 v[6:7], v[6:7], 0, v[34:35]
	v_ashrrev_i32_e32 v41, 31, v40
	v_ashrrev_i32_e32 v43, 31, v42
	global_load_dwordx2 v[4:5], v[2:3], off
	v_lshl_add_u64 v[14:15], v[42:43], 1, s[4:5]
	global_load_dwordx2 v[2:3], v[2:3], off offset:128
	s_nop 0
	global_load_dwordx2 v[8:9], v[6:7], off
	global_load_dwordx2 v[10:11], v[6:7], off offset:128
	v_lshl_add_u64 v[6:7], v[40:41], 1, s[4:5]
	v_lshl_add_u64 v[6:7], v[6:7], 0, v[34:35]
	;; [unrolled: 1-line block ×3, first 2 shown]
	global_load_dwordx2 v[12:13], v[6:7], off
	v_and_b32_e32 v35, 63, v0
	global_load_dwordx2 v[6:7], v[6:7], off offset:128
	s_nop 0
	global_load_dwordx2 v[16:17], v[14:15], off
	global_load_dwordx2 v[18:19], v[14:15], off offset:128
	s_load_dwordx2 s[30:31], s[0:1], 0x40
	s_load_dwordx8 s[4:11], s[0:1], 0x0
	s_load_dwordx2 s[34:35], s[0:1], 0x80
	v_lshrrev_b32_e32 v87, 3, v35
	v_or_b32_e32 v90, 64, v89
	s_mul_i32 s57, s53, s24
	s_cmp_lt_i32 s12, 64
	s_mul_i32 s58, s41, s12
	s_mul_hi_u32 s59, s40, s12
	s_mul_i32 s16, s40, s12
	s_mul_i32 s33, s53, s21
	s_mul_hi_u32 s46, s53, s20
	s_mul_i32 s41, s3, s20
	s_mul_i32 s38, s53, s20
	;; [unrolled: 1-line block ×3, first 2 shown]
	s_mul_hi_u32 s48, s50, s22
	s_mul_i32 s49, s51, s22
	s_mul_i32 s36, s50, s22
	s_waitcnt vmcnt(7)
	v_and_b32_e32 v71, 0xffff0000, v4
	v_lshlrev_b32_e32 v70, 16, v4
	v_and_b32_e32 v75, 0xffff0000, v5
	v_lshlrev_b32_e32 v74, 16, v5
	s_waitcnt vmcnt(6)
	v_and_b32_e32 v69, 0xffff0000, v2
	v_lshlrev_b32_e32 v68, 16, v2
	v_and_b32_e32 v73, 0xffff0000, v3
	v_lshlrev_b32_e32 v72, 16, v3
	;; [unrolled: 5-line block ×8, first 2 shown]
	s_cbranch_scc1 .LBB42_18
; %bb.1:
	s_add_i32 s17, s59, s58
	s_lshl_b64 s[0:1], s[16:17], 8
	v_and_b32_e32 v92, 56, v88
	s_waitcnt lgkmcnt(0)
	s_add_u32 s20, s6, s0
	v_lshl_or_b32 v91, v1, 3, v87
	v_lshlrev_b32_e32 v2, 1, v92
	s_addc_u32 s0, s7, s1
	v_lshl_or_b32 v93, v91, 8, v2
	s_and_b32 s21, s0, 0xffff
	s_mov_b32 s23, 0x20000
	s_movk_i32 s22, 0x4000
	s_movk_i32 s0, 0x80
	v_or_b32_e32 v94, 0x2000, v93
	buffer_load_dwordx4 v[4:7], v93, s[20:23], 0 offen
	buffer_load_dwordx4 v[8:11], v93, s[20:23], s0 offen
	;; [unrolled: 1-line block ×4, first 2 shown]
	v_lshlrev_b32_e32 v3, 3, v91
	v_and_or_b32 v21, v0, 7, v3
	v_and_b32_e32 v3, 0x78, v3
	v_lshlrev_b32_e32 v21, 4, v21
	v_xor_b32_e32 v95, v21, v3
	v_mul_lo_u32 v20, v91, s15
	v_or_b32_e32 v96, 0x1000, v95
	v_xor_b32_e32 v3, 8, v95
	s_cmpk_eq_i32 s15, 0x80
	s_mov_b32 s60, s14
	v_xor_b32_e32 v21, 8, v96
	s_cselect_b64 s[0:1], -1, 0
	s_cmpk_lg_i32 s15, 0x80
	s_waitcnt vmcnt(3)
	ds_write_b64 v95, v[4:5] offset:49152
	ds_write_b64 v3, v[6:7] offset:49152
	s_waitcnt vmcnt(2)
	ds_write_b64 v95, v[8:9] offset:57344
	ds_write_b64 v3, v[10:11] offset:57344
	s_waitcnt vmcnt(1)
	ds_write_b64 v95, v[12:13] offset:53248
	ds_write_b64 v21, v[14:15] offset:49152
	s_waitcnt vmcnt(0)
	ds_write_b64 v95, v[16:17] offset:61440
	ds_write_b64 v21, v[18:19] offset:57344
	v_lshl_add_u32 v3, v20, 1, v92
	s_cbranch_scc0 .LBB42_3
; %bb.2:
	v_lshlrev_b32_e32 v5, 1, v3
	v_add_lshl_u32 v4, v3, s15, 1
	s_lshl_b32 s22, s15, 7
	v_lshl_or_b32 v2, v91, 9, v2
	s_cbranch_execz .LBB42_4
	s_branch .LBB42_5
.LBB42_3:
                                        ; implicit-def: $vgpr4
                                        ; implicit-def: $vgpr5
                                        ; implicit-def: $sgpr22
	v_lshl_or_b32 v2, v91, 9, v2
.LBB42_4:
	v_or_b32_e32 v4, 0x100, v2
	s_movk_i32 s22, 0x4000
	v_mov_b32_e32 v5, v2
.LBB42_5:
	s_mul_hi_u32 s20, s14, s12
	s_mul_i32 s21, s55, s12
	s_add_i32 s20, s20, s21
	s_mul_i32 s21, s14, s12
	s_mul_i32 s23, s21, s3
	s_mul_hi_u32 s24, s21, s53
	s_add_i32 s23, s24, s23
	s_mul_i32 s20, s20, s53
	s_add_i32 s23, s23, s20
	s_mul_i32 s21, s21, s53
	s_ashr_i32 s61, s56, 31
	s_add_u32 s20, s21, s56
	s_addc_u32 s21, s23, s61
	s_lshl_b64 s[20:21], s[20:21], 8
	s_add_u32 s20, s4, s20
	s_addc_u32 s21, s5, s21
	s_and_b32 s21, s21, 0xffff
	s_mov_b32 s23, 0x20000
	s_movk_i32 s62, 0x80
	buffer_load_dwordx4 v[6:9], v5, s[20:23], 0 offen
	buffer_load_dwordx4 v[10:13], v5, s[20:23], s62 offen
	;; [unrolled: 1-line block ×4, first 2 shown]
	v_and_b32_e32 v5, 6, v0
	v_lshlrev_b32_e32 v4, 7, v89
	v_xor_b32_e32 v26, v91, v5
	v_and_b32_e32 v22, 1, v0
	v_lshl_or_b32 v29, v86, 3, v4
	v_lshlrev_b32_e32 v26, 2, v26
	v_or_b32_e32 v97, 0x4000, v29
	v_or_b32_e32 v98, 0x6000, v29
	v_xor_b32_e32 v29, 0x440, v26
	v_cmp_eq_u32_e32 vcc, 0, v22
	v_lshlrev_b32_e32 v23, 2, v86
	s_mov_b32 s64, 0x1000504
	v_cndmask_b32_e32 v22, v29, v26, vcc
	v_xor_b32_e32 v27, v89, v23
	v_xor_b32_e32 v28, v90, v23
	v_lshl_or_b32 v5, v5, 10, v22
	s_mov_b32 s65, 0x3020706
	v_lshlrev_b32_e32 v24, 8, v86
	v_or_b32_e32 v25, 16, v86
	v_lshlrev_b32_e32 v27, 1, v27
	v_lshlrev_b32_e32 v28, 1, v28
	v_xor_b32_e32 v22, 8, v5
	v_xor_b32_e32 v26, 24, v5
	;; [unrolled: 1-line block ×4, first 2 shown]
	s_mul_i32 s3, s3, s12
	s_mul_hi_u32 s20, s53, s12
	v_or_b32_e32 v100, v24, v27
	v_or_b32_e32 v101, v24, v28
	v_xor_b32_e32 v24, 16, v5
	v_xor_b32_e32 v29, 32, v5
	v_xor_b32_e32 v32, 48, v5
	v_add_u32_e32 v22, 0x80, v22
	v_add_u32_e32 v26, 0x80, v26
	;; [unrolled: 1-line block ×4, first 2 shown]
	s_add_i32 s67, s20, s3
	s_add_i32 s3, s46, s33
	s_add_i32 s39, s3, s41
	s_add_i32 s3, s48, s47
	s_add_i32 s37, s3, s49
	s_lshl_b64 s[20:21], s[38:39], 2
	s_add_u32 s3, s10, s20
	s_addc_u32 s24, s11, s21
	s_lshl_b64 s[20:21], s[36:37], 2
	s_add_u32 s42, s3, s20
	s_movk_i32 s3, 0xf8
	s_addc_u32 s43, s24, s21
	s_lshl_b32 s26, s15, 7
	s_movk_i32 s24, 0x100
	v_mov_b32_e32 v79, 0
	v_cmp_gt_u32_e32 vcc, s24, v0
	v_lshl_or_b32 v30, v25, 3, v4
	s_mov_b32 s63, 0
	s_mul_i32 s66, s53, s12
	v_or_b32_e32 v99, 0x4000, v30
	s_movk_i32 s22, 0x4000
	v_or_b32_e32 v102, 0x6000, v30
	s_movk_i32 s37, 0x2000
	s_movk_i32 s39, 0x3000
	s_mov_b32 s69, 0
	s_waitcnt vmcnt(1)
	v_perm_b32 v77, v6, v14, s64
	s_waitcnt vmcnt(0)
	v_perm_b32 v78, v10, v18, s64
	v_perm_b32 v6, v6, v14, s65
	;; [unrolled: 1-line block ×15, first 2 shown]
	ds_write2st64_b32 v5, v77, v78 offset0:128 offset1:160
	ds_write2st64_b32 v22, v6, v10 offset0:128 offset1:160
	;; [unrolled: 1-line block ×8, first 2 shown]
	v_lshlrev_b32_e32 v5, 8, v25
	v_or_b32_e32 v103, v5, v27
	v_or_b32_e32 v104, v5, v28
	;; [unrolled: 1-line block ×3, first 2 shown]
	v_lshl_or_b32 v6, v5, 3, v4
	v_lshlrev_b32_e32 v5, 8, v5
	v_or_b32_e32 v107, v5, v27
	v_or_b32_e32 v108, v5, v28
	;; [unrolled: 1-line block ×5, first 2 shown]
	v_lshl_or_b32 v6, v5, 3, v4
	v_lshlrev_b32_e32 v5, 8, v5
	v_or_b32_e32 v111, v5, v27
	v_or_b32_e32 v112, v5, v28
	;; [unrolled: 1-line block ×3, first 2 shown]
	v_lshlrev_b32_e32 v5, 3, v5
	v_lshrrev_b32_e32 v7, 5, v35
	v_and_or_b32 v7, v5, s3, v7
	v_lshlrev_b32_e32 v7, 4, v7
	v_lshlrev_b32_e32 v8, 11, v1
	v_and_b32_e32 v5, 0x78, v5
	v_or_b32_e32 v13, 32, v7
	v_or_b32_e32 v109, 0x4000, v6
	;; [unrolled: 1-line block ×3, first 2 shown]
	v_and_b32_e32 v6, 0x1000, v8
	v_xor_b32_e32 v9, v7, v5
	v_lshrrev_b32_e32 v10, 1, v0
	v_xor_b32_e32 v13, v13, v5
	v_or_b32_e32 v9, v9, v6
	v_and_b32_e32 v11, 8, v10
	v_or_b32_e32 v13, v13, v6
	v_xor_b32_e32 v113, v9, v11
	v_lshlrev_b32_e32 v9, 8, v85
	v_xor_b32_e32 v115, v13, v11
	v_or_b32_e32 v13, 64, v7
	v_or_b32_e32 v7, 0x60, v7
	s_ashr_i32 s3, s2, 31
	v_or_b32_e32 v12, v9, v23
	v_xor_b32_e32 v13, v13, v5
	v_xor_b32_e32 v5, v7, v5
	s_lshl_b64 s[20:21], s[2:3], 8
	v_lshlrev_b32_e32 v12, 1, v12
	v_or_b32_e32 v13, v13, v6
	v_or_b32_e32 v5, v5, v6
	s_add_u32 s20, s18, s20
	v_lshlrev_b32_e32 v6, 1, v86
	v_or_b32_e32 v114, 0x4000, v12
	v_or_b32_e32 v116, 0x4080, v12
	;; [unrolled: 1-line block ×8, first 2 shown]
	v_lshrrev_b32_e32 v12, 4, v0
	s_addc_u32 s21, s19, s21
	v_or_b32_e32 v7, 1, v6
	v_lshlrev_b32_e32 v78, 4, v86
	v_mov_b32_e32 v16, 0xa000
	v_mov_b32_e32 v17, 0x8000
	v_xor_b32_e32 v119, v13, v11
	v_xor_b32_e32 v13, v12, v6
	;; [unrolled: 1-line block ×3, first 2 shown]
	v_lshl_add_u64 v[6:7], s[20:21], 0, v[78:79]
	v_lshlrev_b32_e32 v78, 8, v12
	v_cndmask_b32_e32 v16, v16, v17, vcc
	v_lshlrev_b32_e32 v17, 3, v1
	v_and_b32_e32 v10, 24, v10
	v_lshl_or_b32 v125, v13, 3, v78
	v_and_b32_e32 v13, 8, v0
	v_xor_b32_e32 v18, v17, v10
	v_or_b32_e32 v19, 0x440, v18
	v_cmp_eq_u32_e32 vcc, 0, v13
	v_and_b32_e32 v12, 7, v0
	v_lshl_or_b32 v126, v14, 3, v78
	v_cndmask_b32_e32 v13, v19, v18, vcc
	v_lshlrev_b32_e32 v14, 3, v12
	v_lshlrev_b32_e32 v12, 7, v12
	v_or_b32_e32 v13, v13, v8
	v_lshlrev_b32_e32 v15, 2, v0
	v_xad_u32 v127, v13, v14, v12
	v_or_b32_e32 v13, 32, v10
	v_and_or_b32 v9, v15, 60, v9
	v_xor_b32_e32 v13, v17, v13
	v_lshlrev_b32_e32 v9, 1, v9
	v_or_b32_e32 v15, 0x440, v13
	v_or_b32_e32 v128, 0x6000, v9
	v_cndmask_b32_e32 v13, v15, v13, vcc
	v_or_b32_e32 v130, 0x6080, v9
	v_or_b32_e32 v131, 0x6100, v9
	;; [unrolled: 1-line block ×5, first 2 shown]
	v_xor_b32_e32 v9, v17, v9
	v_xad_u32 v129, v13, v14, v12
	v_xor_b32_e32 v13, 0x440, v9
	v_cndmask_b32_e32 v9, v13, v9, vcc
	v_or_b32_e32 v9, v9, v8
	v_xad_u32 v133, v9, v14, v12
	v_or_b32_e32 v9, 0x60, v10
	v_xor_b32_e32 v9, v17, v9
	v_xor_b32_e32 v10, 0x440, v9
	v_cndmask_b32_e32 v9, v10, v9, vcc
	v_or_b32_e32 v8, v9, v8
	v_xor_b32_e32 v120, v5, v11
	v_ashrrev_i32_e32 v77, 31, v76
	v_lshlrev_b32_e32 v5, 1, v3
	v_add_lshl_u32 v3, v3, s15, 1
	v_or_b32_e32 v11, 0x100, v2
	v_xad_u32 v134, v8, v14, v12
	v_cndmask_b32_e64 v135, v5, v2, s[0:1]
	v_cndmask_b32_e64 v136, v3, v11, s[0:1]
	v_lshl_add_u64 v[80:81], v[76:77], 1, s[8:9]
	v_lshl_add_u64 v[82:83], v[6:7], 0, v[78:79]
	s_mov_b32 s3, 0x7060302
	v_lshlrev_b32_e32 v78, 1, v4
	v_add_u32_e32 v77, v16, v127
	v_add_u32_e32 v137, v16, v129
	;; [unrolled: 1-line block ×4, first 2 shown]
	s_waitcnt lgkmcnt(0)
	s_barrier
.LBB42_6:                               ; =>This Inner Loop Header: Depth=1
	s_add_i32 s68, s69, 1
	s_cmp_lt_i32 s68, s54
	s_mov_b64 s[24:25], 0
	s_cselect_b64 s[44:45], -1, 0
	s_cmp_ge_i32 s68, s54
	s_mov_b64 s[20:21], 0
	s_cbranch_scc1 .LBB42_8
; %bb.7:                                ;   in Loop: Header=BB42_6 Depth=1
	s_add_i32 s0, s63, 64
	s_add_u32 s0, s16, s0
	s_addc_u32 s1, s17, 0
	s_lshl_b64 s[0:1], s[0:1], 8
	s_add_u32 s20, s6, s0
	s_addc_u32 s21, s7, s1
.LBB42_8:                               ;   in Loop: Header=BB42_6 Depth=1
	v_cndmask_b32_e64 v2, 0, 1, s[44:45]
	v_cmp_ne_u32_e64 s[0:1], 1, v2
	s_andn2_b64 vcc, exec, s[44:45]
	s_cbranch_vccnz .LBB42_10
; %bb.9:                                ;   in Loop: Header=BB42_6 Depth=1
	s_add_i32 s24, s63, 64
	s_add_u32 s24, s66, s24
	s_addc_u32 s25, s67, 0
	s_mul_i32 s27, s24, s55
	s_mul_hi_u32 s44, s24, s60
	s_add_i32 s27, s44, s27
	s_mul_i32 s25, s25, s60
	s_add_i32 s27, s27, s25
	s_mul_i32 s24, s24, s60
	s_add_u32 s24, s24, s56
	s_addc_u32 s25, s27, s61
	s_lshl_b64 s[24:25], s[24:25], 8
	s_add_u32 s24, s4, s24
	s_addc_u32 s25, s5, s25
.LBB42_10:                              ;   in Loop: Header=BB42_6 Depth=1
	v_perm_b32 v3, v75, v74, s3
	v_perm_b32 v2, v71, v70, s3
	v_perm_b32 v5, v73, v72, s3
	v_perm_b32 v4, v69, v68, s3
	ds_write_b64 v97, v[2:3]
	ds_write_b64 v98, v[4:5]
	ds_write_b64 v100, v[2:3]
	ds_write_b64 v101, v[4:5]
	v_perm_b32 v3, v67, v66, s3
	v_perm_b32 v2, v63, v62, s3
	v_perm_b32 v5, v65, v64, s3
	v_perm_b32 v4, v61, v60, s3
	ds_write_b64 v99, v[2:3]
	ds_write_b64 v102, v[4:5]
	ds_write_b64 v103, v[2:3]
	ds_write_b64 v104, v[4:5]
	;; [unrolled: 8-line block ×4, first 2 shown]
	s_waitcnt lgkmcnt(0)
	s_barrier
	ds_read_b64 v[6:7], v113 offset:49152
	ds_read2_b64 v[2:5], v114 offset1:16
	ds_read_b64 v[18:19], v116 offset:6144
	ds_read_b64 v[20:21], v114 offset:6144
	s_waitcnt lgkmcnt(2)
	v_mfma_f32_16x16x16_bf16 a[0:3], v[6:7], v[2:3], 0
	ds_read_b64 v[22:23], v115 offset:49152
	ds_read2st64_b64 v[10:13], v117 offset0:4 offset1:8
	ds_read2st64_b64 v[14:17], v118 offset0:4 offset1:8
	v_mfma_f32_16x16x16_bf16 a[4:7], v[6:7], v[4:5], 0
	ds_read2_b64 v[2:5], v114 offset0:32 offset1:48
	s_add_i32 s27, s63, 63
	s_mul_i32 s44, s27, s35
	s_waitcnt lgkmcnt(0)
	v_mfma_f32_16x16x16_bf16 a[8:11], v[6:7], v[2:3], 0
	s_mul_hi_u32 s45, s27, s34
	s_add_i32 s45, s45, s44
	s_mul_i32 s44, s27, s34
	v_mfma_f32_16x16x16_bf16 a[12:15], v[6:7], v[4:5], 0
	ds_read2st64_b64 v[2:5], v114 offset0:4 offset1:8
	ds_read2st64_b64 v[6:9], v116 offset0:4 offset1:8
	s_lshl_b64 s[44:45], s[44:45], 2
	s_waitcnt lgkmcnt(1)
	v_mfma_f32_16x16x16_bf16 a[0:3], v[22:23], v[2:3], a[0:3]
	s_add_u32 s44, s42, s44
	s_addc_u32 s45, s43, s45
	s_and_b64 vcc, exec, s[0:1]
	s_waitcnt lgkmcnt(0)
	v_mfma_f32_16x16x16_bf16 a[4:7], v[22:23], v[6:7], a[4:7]
	v_mov_b32_e32 v142, 0
	v_mov_b32_e32 v141, 0
	;; [unrolled: 1-line block ×3, first 2 shown]
	v_mfma_f32_16x16x16_bf16 a[8:11], v[22:23], v[10:11], a[8:11]
	ds_read_b64 v[2:3], v119 offset:49152
	ds_read_b64 v[6:7], v120 offset:49152
	;; [unrolled: 1-line block ×3, first 2 shown]
	v_mfma_f32_16x16x16_bf16 a[12:15], v[22:23], v[14:15], a[12:15]
	v_mov_b32_e32 v14, 0
	v_mov_b32_e32 v15, 0
	s_waitcnt lgkmcnt(2)
	v_mfma_f32_16x16x16_bf16 a[0:3], v[2:3], v[4:5], a[0:3]
	v_mov_b32_e32 v4, 0
	v_mov_b32_e32 v5, 0
	v_mfma_f32_16x16x16_bf16 a[16:19], v[2:3], v[8:9], a[4:7]
	v_mov_b32_e32 v8, 0
	v_mov_b32_e32 v9, 0
	;; [unrolled: 3-line block ×3, first 2 shown]
	v_mfma_f32_16x16x16_bf16 a[24:27], v[2:3], v[16:17], a[12:15]
	ds_read_b64 v[2:3], v117 offset:6144
	v_mov_b32_e32 v16, 0
	v_mov_b32_e32 v17, 0
	s_waitcnt lgkmcnt(2)
	v_mfma_f32_16x16x16_bf16 a[4:7], v[6:7], v[20:21], a[0:3]
	v_mfma_f32_16x16x16_bf16 a[8:11], v[6:7], v[18:19], a[16:19]
	s_waitcnt lgkmcnt(0)
	v_mfma_f32_16x16x16_bf16 a[12:15], v[6:7], v[2:3], a[20:23]
	v_mov_b32_e32 v2, 0
	v_mov_b32_e32 v3, 0
	v_mfma_f32_16x16x16_bf16 a[0:3], v[6:7], v[10:11], a[24:27]
	v_mov_b32_e32 v6, 0
	v_mov_b32_e32 v7, 0
	;; [unrolled: 1-line block ×4, first 2 shown]
	s_cbranch_vccnz .LBB42_12
; %bb.11:                               ;   in Loop: Header=BB42_6 Depth=1
	s_and_b32 s21, s21, 0xffff
	buffer_load_dwordx4 v[14:17], v93, s[20:23], 0 offen
	buffer_load_dwordx4 v[10:13], v93, s[20:23], s62 offen
	;; [unrolled: 1-line block ×4, first 2 shown]
	v_mov_b32_e32 v141, v95
	v_mov_b32_e32 v140, v96
.LBB42_12:                              ;   in Loop: Header=BB42_6 Depth=1
	ds_read_b64 v[144:145], v113 offset:57344
	ds_read2_b64 v[18:21], v121 offset1:16
	ds_read_b64 v[146:147], v115 offset:57344
	ds_read_b64 v[148:149], v119 offset:57344
	;; [unrolled: 1-line block ×3, first 2 shown]
	v_add_u32_e32 v143, s63, v89
	s_waitcnt lgkmcnt(3)
	v_mfma_f32_16x16x16_bf16 a[4:7], v[144:145], v[18:19], a[4:7]
	v_mfma_f32_16x16x16_bf16 a[8:11], v[144:145], v[20:21], a[8:11]
	ds_read2_b64 v[18:21], v121 offset0:32 offset1:48
	ds_read2st64_b64 v[22:25], v121 offset0:4 offset1:8
	ds_read2st64_b64 v[26:29], v122 offset0:4 offset1:8
	ds_read2st64_b64 v[30:33], v123 offset0:4 offset1:8
	s_waitcnt lgkmcnt(3)
	v_mfma_f32_16x16x16_bf16 a[12:15], v[144:145], v[18:19], a[12:15]
	v_ashrrev_i32_e32 v18, 31, v143
	v_mfma_f32_16x16x16_bf16 a[0:3], v[144:145], v[20:21], a[0:3]
	v_mul_lo_u32 v20, v18, s34
	v_mul_lo_u32 v21, v143, s35
	v_mad_u64_u32 v[18:19], s[20:21], v143, s34, 0
	v_add3_u32 v19, v19, v21, v20
	v_add_u32_e32 v20, 1, v143
	v_ashrrev_i32_e32 v21, 31, v20
	s_waitcnt lgkmcnt(2)
	v_mfma_f32_16x16x16_bf16 a[4:7], v[146:147], v[22:23], a[4:7]
	v_mul_lo_u32 v22, v21, s34
	v_mul_lo_u32 v23, v20, s35
	v_mad_u64_u32 v[20:21], s[20:21], v20, s34, 0
	v_add3_u32 v21, v21, v23, v22
	v_add_u32_e32 v22, 2, v143
	v_ashrrev_i32_e32 v23, 31, v22
	s_waitcnt lgkmcnt(1)
	v_mfma_f32_16x16x16_bf16 a[8:11], v[146:147], v[26:27], a[8:11]
	v_mul_lo_u32 v26, v23, s34
	v_mul_lo_u32 v27, v22, s35
	v_mad_u64_u32 v[22:23], s[20:21], v22, s34, 0
	v_add3_u32 v23, v23, v27, v26
	v_add_u32_e32 v26, 3, v143
	v_ashrrev_i32_e32 v27, 31, v26
	v_mul_lo_u32 v143, v27, s34
	v_mul_lo_u32 v144, v26, s35
	v_mad_u64_u32 v[26:27], s[20:21], v26, s34, 0
	s_add_u32 s20, s16, s63
	s_addc_u32 s21, s17, 0
	v_lshl_add_u64 v[18:19], v[18:19], 2, s[42:43]
	v_add3_u32 v27, v27, v144, v143
	s_lshl_b64 s[20:21], s[20:21], 8
	v_lshl_add_u64 v[20:21], v[20:21], 2, s[42:43]
	v_lshl_add_u64 v[22:23], v[22:23], 2, s[42:43]
	;; [unrolled: 1-line block ×3, first 2 shown]
	global_load_dword v143, v[18:19], off
	global_load_dword v144, v[20:21], off
	;; [unrolled: 1-line block ×4, first 2 shown]
	v_lshl_add_u64 v[18:19], v[80:81], 0, s[20:21]
	v_lshl_add_u64 v[22:23], v[18:19], 0, v[78:79]
	global_load_ushort v153, v[22:23], off offset:256
	global_load_ushort v154, v[22:23], off
	ds_read2st64_b64 v[18:21], v124 offset0:4 offset1:8
	global_load_ushort v155, v[22:23], off offset:768
	global_load_ushort v156, v[22:23], off offset:512
	s_waitcnt lgkmcnt(1)
	v_mfma_f32_16x16x16_bf16 a[12:15], v[146:147], v[30:31], a[12:15]
	s_and_b64 vcc, exec, s[0:1]
	s_waitcnt vmcnt(3)
	v_lshlrev_b32_e32 v31, 16, v153
	s_waitcnt lgkmcnt(0)
	v_mfma_f32_16x16x16_bf16 a[0:3], v[146:147], v[18:19], a[0:3]
	global_load_ushort v146, v[22:23], off offset:288
	global_load_ushort v147, v[22:23], off offset:32
	;; [unrolled: 1-line block ×8, first 2 shown]
	v_mfma_f32_16x16x16_bf16 a[4:7], v[148:149], v[24:25], a[4:7]
	ds_read_b64 v[18:19], v121 offset:6144
	s_waitcnt vmcnt(10)
	v_lshlrev_b32_e32 v30, 16, v154
	v_mfma_f32_16x16x16_bf16 a[8:11], v[148:149], v[28:29], a[8:11]
	v_mfma_f32_16x16x16_bf16 a[12:15], v[148:149], v[32:33], a[12:15]
	;; [unrolled: 1-line block ×3, first 2 shown]
	global_load_ushort v148, v[22:23], off offset:352
	global_load_ushort v149, v[22:23], off offset:96
	ds_read_b64 v[20:21], v122 offset:6144
	ds_read_b64 v[24:25], v123 offset:6144
	;; [unrolled: 1-line block ×3, first 2 shown]
	global_load_ushort v163, v[22:23], off offset:864
	global_load_ushort v164, v[22:23], off offset:608
	s_load_dword s20, s[44:45], 0x0
	s_waitcnt lgkmcnt(0)
	v_mfma_f32_16x16x16_bf16 a[4:7], v[150:151], v[18:19], a[4:7]
	v_sub_f32_e32 v28, s20, v145
	v_mfma_f32_16x16x16_bf16 a[0:3], v[150:151], v[26:27], a[0:3]
	v_sub_f32_e32 v26, s20, v143
	v_sub_f32_e32 v27, s20, v144
	;; [unrolled: 1-line block ×3, first 2 shown]
	v_mfma_f32_16x16x16_bf16 a[8:11], v[150:151], v[20:21], a[8:11]
	v_exp_f32_e32 v26, v26
	v_exp_f32_e32 v27, v27
	;; [unrolled: 1-line block ×4, first 2 shown]
	v_accvgpr_read_b32 v33, a5
	v_accvgpr_read_b32 v32, a4
	;; [unrolled: 1-line block ×4, first 2 shown]
	v_pk_add_f32 v[30:31], v[30:31], v[32:33] neg_lo:[0,1] neg_hi:[0,1]
	s_waitcnt vmcnt(13)
	v_lshlrev_b32_e32 v33, 16, v155
	s_waitcnt vmcnt(12)
	v_lshlrev_b32_e32 v32, 16, v156
	v_pk_add_f32 v[18:19], v[32:33], v[18:19] neg_lo:[0,1] neg_hi:[0,1]
	v_pk_mul_f32 v[30:31], v[26:27], v[30:31]
	v_pk_mul_f32 v[18:19], v[28:29], v[18:19]
	v_accvgpr_read_b32 v33, a9
	v_perm_b32 v19, v19, v18, s3
	v_perm_b32 v18, v31, v30, s3
	v_accvgpr_read_b32 v32, a8
	v_accvgpr_read_b32 v21, a11
	v_mfma_f32_16x16x16_bf16 a[12:15], v[150:151], v[24:25], a[12:15]
	v_accvgpr_read_b32 v20, a10
	v_accvgpr_read_b32 v25, a3
	;; [unrolled: 1-line block ×3, first 2 shown]
	v_mov_b32_e32 v143, 0
	s_waitcnt vmcnt(11)
	v_lshlrev_b32_e32 v31, 16, v146
	s_waitcnt vmcnt(10)
	v_lshlrev_b32_e32 v30, 16, v147
	v_pk_add_f32 v[30:31], v[30:31], v[32:33] neg_lo:[0,1] neg_hi:[0,1]
	s_waitcnt vmcnt(9)
	v_lshlrev_b32_e32 v33, 16, v157
	s_waitcnt vmcnt(8)
	v_lshlrev_b32_e32 v32, 16, v158
	v_pk_add_f32 v[20:21], v[32:33], v[20:21] neg_lo:[0,1] neg_hi:[0,1]
	v_pk_mul_f32 v[30:31], v[26:27], v[30:31]
	v_pk_mul_f32 v[20:21], v[28:29], v[20:21]
	v_accvgpr_read_b32 v23, a15
	v_perm_b32 v21, v21, v20, s3
	v_perm_b32 v20, v31, v30, s3
	ds_write2_b64 v98, v[18:19], v[20:21] offset1:16
	v_accvgpr_read_b32 v21, a13
	s_waitcnt vmcnt(7)
	v_lshlrev_b32_e32 v19, 16, v159
	s_waitcnt vmcnt(6)
	v_lshlrev_b32_e32 v18, 16, v160
	v_accvgpr_read_b32 v20, a12
	v_accvgpr_read_b32 v22, a14
	v_pk_add_f32 v[18:19], v[18:19], v[20:21] neg_lo:[0,1] neg_hi:[0,1]
	s_waitcnt vmcnt(5)
	v_lshlrev_b32_e32 v21, 16, v161
	s_waitcnt vmcnt(4)
	v_lshlrev_b32_e32 v20, 16, v162
	v_pk_add_f32 v[20:21], v[20:21], v[22:23] neg_lo:[0,1] neg_hi:[0,1]
	v_pk_mul_f32 v[18:19], v[26:27], v[18:19]
	v_pk_mul_f32 v[20:21], v[28:29], v[20:21]
	v_accvgpr_read_b32 v23, a1
	v_perm_b32 v21, v21, v20, s3
	v_perm_b32 v20, v19, v18, s3
	s_waitcnt vmcnt(3)
	v_lshlrev_b32_e32 v19, 16, v148
	s_waitcnt vmcnt(2)
	v_lshlrev_b32_e32 v18, 16, v149
	v_accvgpr_read_b32 v22, a0
	v_pk_add_f32 v[18:19], v[18:19], v[22:23] neg_lo:[0,1] neg_hi:[0,1]
	s_waitcnt vmcnt(1)
	v_lshlrev_b32_e32 v23, 16, v163
	s_waitcnt vmcnt(0)
	v_lshlrev_b32_e32 v22, 16, v164
	v_pk_add_f32 v[22:23], v[22:23], v[24:25] neg_lo:[0,1] neg_hi:[0,1]
	v_pk_mul_f32 v[18:19], v[26:27], v[18:19]
	v_pk_mul_f32 v[22:23], v[28:29], v[22:23]
	v_mov_b32_e32 v24, 0
	v_perm_b32 v23, v23, v22, s3
	v_perm_b32 v22, v19, v18, s3
	ds_write2_b64 v98, v[20:21], v[22:23] offset0:32 offset1:48
	v_mov_b32_e32 v18, 0
	v_mov_b32_e32 v19, 0
	;; [unrolled: 1-line block ×15, first 2 shown]
	s_cbranch_vccnz .LBB42_14
; %bb.13:                               ;   in Loop: Header=BB42_6 Depth=1
	s_and_b32 s25, s25, 0xffff
	s_mov_b32 s27, s23
	buffer_load_dwordx4 v[30:33], v135, s[24:27], 0 offen
	buffer_load_dwordx4 v[22:25], v135, s[24:27], s62 offen
	;; [unrolled: 1-line block ×4, first 2 shown]
	v_mov_b32_e32 v142, v92
	v_mov_b32_e32 v143, v91
.LBB42_14:                              ;   in Loop: Header=BB42_6 Depth=1
	s_waitcnt lgkmcnt(0)
	s_barrier
	ds_read_b64 v[152:153], v77
	ds_read2_b64 v[144:147], v128 offset1:16
	ds_read_b64 v[168:169], v137
	ds_read_b64 v[170:171], v138
	;; [unrolled: 1-line block ×3, first 2 shown]
	ds_read2_b64 v[148:151], v128 offset0:32 offset1:48
	s_waitcnt lgkmcnt(4)
	v_mfma_f32_16x16x16_bf16 a[0:3], v[152:153], v[144:145], 0
	ds_read2st64_b64 v[156:159], v130 offset0:4 offset1:8
	ds_read2st64_b64 v[160:163], v131 offset0:4 offset1:8
	;; [unrolled: 1-line block ×3, first 2 shown]
	v_mfma_f32_16x16x16_bf16 a[4:7], v[152:153], v[146:147], 0
	s_add_i32 s21, s57, s69
	s_mul_hi_i32 s25, s21, s13
	s_mul_i32 s21, s21, s13
	s_waitcnt lgkmcnt(3)
	v_mfma_f32_16x16x16_bf16 a[8:11], v[152:153], v[148:149], 0
	s_add_u32 s24, s21, s50
	s_addc_u32 s25, s25, s51
	s_lshl_b64 s[24:25], s[24:25], 15
	v_mfma_f32_16x16x16_bf16 a[12:15], v[152:153], v[150:151], 0
	ds_read2st64_b64 v[152:155], v128 offset0:4 offset1:8
	s_waitcnt lgkmcnt(0)
	v_mfma_f32_16x16x16_bf16 a[0:3], v[168:169], v[152:153], a[0:3]
	v_mfma_f32_16x16x16_bf16 a[4:7], v[168:169], v[156:157], a[4:7]
	v_mfma_f32_16x16x16_bf16 a[8:11], v[168:169], v[160:161], a[8:11]
	v_mfma_f32_16x16x16_bf16 a[12:15], v[168:169], v[164:165], a[12:15]
	v_mfma_f32_16x16x16_bf16 a[0:3], v[170:171], v[154:155], a[0:3]
	v_mfma_f32_16x16x16_bf16 a[4:7], v[170:171], v[158:159], a[4:7]
	v_mfma_f32_16x16x16_bf16 a[8:11], v[170:171], v[162:163], a[8:11]
	v_mfma_f32_16x16x16_bf16 a[12:15], v[170:171], v[166:167], a[12:15]
	ds_read_b64 v[168:169], v128 offset:6144
	ds_read_b64 v[170:171], v129 offset:40960
	;; [unrolled: 1-line block ×8, first 2 shown]
	s_waitcnt lgkmcnt(5)
	v_mfma_f32_16x16x16_bf16 a[16:19], v[174:175], v[144:145], 0
	v_mfma_f32_16x16x16_bf16 a[20:23], v[174:175], v[146:147], 0
	ds_read2st64_b64 v[144:147], v125 offset1:8
	v_mfma_f32_16x16x16_bf16 a[24:27], v[174:175], v[148:149], 0
	v_mfma_f32_16x16x16_bf16 a[28:31], v[174:175], v[150:151], 0
	ds_read2st64_b64 v[148:151], v126 offset1:8
	v_mfma_f32_16x16x16_bf16 a[16:19], v[170:171], v[152:153], a[16:19]
	s_waitcnt lgkmcnt(1)
	v_mov_b32_e32 v152, v144
	v_mov_b32_e32 v153, v145
	v_mfma_f32_16x16x16_bf16 a[20:23], v[170:171], v[156:157], a[20:23]
	v_lshl_add_u64 v[156:157], v[82:83], 0, s[24:25]
	v_mfma_f32_16x16x16_bf16 a[24:27], v[170:171], v[160:161], a[24:27]
	v_mfma_f32_16x16x16_bf16 a[28:31], v[170:171], v[164:165], a[28:31]
	;; [unrolled: 1-line block ×3, first 2 shown]
	s_waitcnt lgkmcnt(0)
	v_mov_b32_e32 v154, v148
	v_mov_b32_e32 v155, v149
	;; [unrolled: 1-line block ×3, first 2 shown]
	v_mfma_f32_16x16x16_bf16 a[32:35], v[182:183], v[158:159], a[20:23]
	v_mov_b32_e32 v149, v147
	ds_read2st64_b64 v[144:147], v125 offset0:16 offset1:24
	global_store_dwordx4 v[156:157], v[152:155], off
	v_mfma_f32_16x16x16_bf16 a[24:27], v[182:183], v[162:163], a[24:27]
	ds_read2st64_b64 v[152:155], v126 offset0:16 offset1:24
	v_add_co_u32_e32 v158, vcc, s37, v156
	v_mfma_f32_16x16x16_bf16 a[28:31], v[182:183], v[166:167], a[28:31]
	s_nop 0
	v_addc_co_u32_e32 v159, vcc, 0, v157, vcc
	global_store_dwordx4 v[158:159], v[148:151], off offset:-4096
	v_mfma_f32_16x16x16_bf16 a[0:3], v[172:173], v[168:169], a[0:3]
	s_waitcnt lgkmcnt(1)
	v_mov_b32_e32 v148, v144
	v_add_co_u32_e32 v144, vcc, s39, v156
	v_mfma_f32_16x16x16_bf16 a[4:7], v[172:173], v[176:177], a[4:7]
	v_mov_b32_e32 v149, v145
	v_addc_co_u32_e32 v145, vcc, 0, v157, vcc
	v_mfma_f32_16x16x16_bf16 a[8:11], v[172:173], v[178:179], a[8:11]
	s_waitcnt lgkmcnt(0)
	v_mov_b32_e32 v150, v152
	v_mov_b32_e32 v151, v153
	;; [unrolled: 1-line block ×3, first 2 shown]
	v_mfma_f32_16x16x16_bf16 a[12:15], v[172:173], v[180:181], a[12:15]
	v_mov_b32_e32 v153, v147
	s_and_b64 vcc, exec, s[0:1]
	global_store_dwordx4 v[158:159], v[148:151], off
	v_mfma_f32_16x16x16_bf16 a[20:23], v[184:185], v[168:169], a[16:19]
	global_store_dwordx4 v[144:145], v[152:155], off
	v_mfma_f32_16x16x16_bf16 a[16:19], v[184:185], v[176:177], a[32:35]
	v_mfma_f32_16x16x16_bf16 a[24:27], v[184:185], v[178:179], a[24:27]
	;; [unrolled: 1-line block ×3, first 2 shown]
	s_cbranch_vccnz .LBB42_16
; %bb.15:                               ;   in Loop: Header=BB42_6 Depth=1
	v_lshrrev_b32_e32 v144, 3, v142
	v_and_b32_e32 v144, 6, v144
	v_xor_b32_e32 v143, v144, v143
	v_lshlrev_b32_e32 v143, 2, v143
	v_and_b32_e32 v142, 8, v142
	v_xor_b32_e32 v145, 0x440, v143
	v_cmp_eq_u32_e32 vcc, 0, v142
	s_barrier
	s_nop 0
	v_cndmask_b32_e32 v142, v145, v143, vcc
	v_lshl_or_b32 v142, v144, 10, v142
	s_waitcnt vmcnt(5)
	v_perm_b32 v143, v30, v26, s64
	s_waitcnt vmcnt(4)
	v_perm_b32 v144, v22, v18, s64
	ds_write2st64_b32 v142, v143, v144 offset0:128 offset1:160
	v_xor_b32_e32 v143, 8, v142
	v_perm_b32 v26, v30, v26, s65
	v_perm_b32 v18, v22, v18, s65
	v_add_u32_e32 v22, 0x80, v143
	ds_write2st64_b32 v22, v26, v18 offset0:128 offset1:160
	v_xor_b32_e32 v18, 16, v142
	v_perm_b32 v22, v31, v27, s64
	v_perm_b32 v26, v23, v19, s64
	ds_write2st64_b32 v18, v22, v26 offset0:129 offset1:161
	v_xor_b32_e32 v18, 24, v142
	v_perm_b32 v22, v31, v27, s65
	v_perm_b32 v19, v23, v19, s65
	v_add_u32_e32 v18, 0x80, v18
	ds_write2st64_b32 v18, v22, v19 offset0:129 offset1:161
	v_xor_b32_e32 v18, 32, v142
	v_perm_b32 v19, v32, v28, s64
	;; [unrolled: 9-line block ×3, first 2 shown]
	v_perm_b32 v20, v25, v21, s64
	ds_write2st64_b32 v18, v19, v20 offset0:131 offset1:163
	v_xor_b32_e32 v18, 56, v142
	v_perm_b32 v19, v33, v29, s65
	v_perm_b32 v20, v25, v21, s65
	v_add_u32_e32 v18, 0x80, v18
	ds_write2st64_b32 v18, v19, v20 offset0:131 offset1:163
	ds_write_b64 v141, v[14:15] offset:49152
	v_xor_b32_e32 v14, 8, v141
	ds_write_b64 v14, v[16:17] offset:49152
	ds_write_b64 v141, v[10:11] offset:57344
	;; [unrolled: 1-line block ×4, first 2 shown]
	v_xor_b32_e32 v6, 8, v140
	ds_write_b64 v6, v[8:9] offset:49152
	ds_write_b64 v140, v[2:3] offset:57344
	;; [unrolled: 1-line block ×3, first 2 shown]
.LBB42_16:                              ;   in Loop: Header=BB42_6 Depth=1
	v_exp_f32_e32 v140, s20
	v_accvgpr_read_b32 v5, a3
	v_accvgpr_read_b32 v9, a7
	;; [unrolled: 1-line block ×4, first 2 shown]
	s_waitcnt vmcnt(4)
	v_accvgpr_read_b32 v18, a20
	v_accvgpr_read_b32 v25, a19
	;; [unrolled: 1-line block ×28, first 2 shown]
	s_add_i32 s63, s63, 64
	v_pk_fma_f32 v[70:71], v[70:71], v[140:141], v[2:3] op_sel_hi:[1,0,1]
	v_pk_fma_f32 v[74:75], v[74:75], v[140:141], v[4:5] op_sel_hi:[1,0,1]
	;; [unrolled: 1-line block ×15, first 2 shown]
	s_cmp_eq_u32 s54, s68
	v_pk_fma_f32 v[48:49], v[48:49], v[140:141], v[32:33] op_sel_hi:[1,0,1]
	s_cbranch_scc1 .LBB42_18
; %bb.17:                               ;   in Loop: Header=BB42_6 Depth=1
	s_mov_b32 s69, s68
	s_branch .LBB42_6
.LBB42_18:
	s_lshl_b32 s26, s54, 6
	s_sub_i32 s27, s12, s26
	s_cmp_gt_i32 s27, 0
	s_cbranch_scc0 .LBB42_99
; %bb.19:
	s_ashr_i32 s3, s26, 31
	s_cmpk_lg_i32 s15, 0x80
	s_cselect_b64 s[22:23], -1, 0
	s_and_b64 vcc, exec, s[22:23]
	s_cbranch_vccz .LBB42_21
; %bb.20:
	s_mul_i32 s1, s53, s12
	s_mul_hi_i32 s0, s53, s12
	s_add_u32 s1, s1, s26
	s_addc_u32 s0, s0, s3
	s_mul_i32 s17, s1, s55
	s_mul_hi_u32 s20, s1, s14
	s_add_i32 s17, s20, s17
	s_mul_i32 s0, s0, s14
	s_add_i32 s17, s17, s0
	s_mul_i32 s1, s1, s14
	s_ashr_i32 s0, s56, 31
	s_add_u32 s24, s1, s56
	s_addc_u32 s25, s17, s0
	s_cbranch_execz .LBB42_22
	s_branch .LBB42_23
.LBB42_21:
                                        ; implicit-def: $sgpr24_sgpr25
.LBB42_22:
	s_mul_hi_i32 s0, s53, s14
	s_mul_i32 s53, s53, s14
	s_ashr_i32 s1, s56, 31
	s_add_u32 s14, s53, s56
	s_addc_u32 s0, s0, s1
	s_mul_i32 s1, s14, s52
	s_mul_hi_u32 s17, s14, s12
	s_add_i32 s1, s17, s1
	s_mul_i32 s0, s0, s12
	s_add_i32 s1, s1, s0
	s_mul_i32 s14, s14, s12
	s_add_u32 s24, s14, s26
	s_addc_u32 s25, s1, s3
.LBB42_23:
	s_mul_i32 s0, s40, s52
	s_add_i32 s0, s59, s0
	s_add_i32 s14, s57, s54
	;; [unrolled: 1-line block ×3, first 2 shown]
	s_add_u32 s0, s16, s26
	v_lshlrev_b32_e32 v6, 6, v89
	v_lshlrev_b32_e32 v24, 2, v86
	s_addc_u32 s1, s1, s3
	s_mov_b32 s3, 0x7060302
	v_or_b32_e32 v9, v6, v24
	v_xor_b32_e32 v7, v89, v24
	v_perm_b32 v3, v75, v74, s3
	v_perm_b32 v2, v71, v70, s3
	;; [unrolled: 1-line block ×4, first 2 shown]
	v_lshlrev_b32_e32 v9, 1, v9
	v_xor_b32_e32 v8, v90, v24
	ds_write2st64_b64 v9, v[2:3], v[4:5] offset0:32 offset1:48
	v_lshlrev_b32_e32 v7, 1, v7
	v_lshlrev_b32_e32 v9, 8, v86
	v_or_b32_e32 v10, v7, v9
	v_lshlrev_b32_e32 v8, 1, v8
	ds_write_b64 v10, v[2:3]
	v_or_b32_e32 v2, v8, v9
	v_or_b32_e32 v9, 16, v86
	v_lshlrev_b32_e32 v23, 2, v9
	v_or_b32_e32 v10, v6, v23
	ds_write_b64 v2, v[4:5]
	v_perm_b32 v3, v67, v66, s3
	v_perm_b32 v2, v63, v62, s3
	;; [unrolled: 1-line block ×4, first 2 shown]
	v_lshlrev_b32_e32 v10, 1, v10
	v_lshlrev_b32_e32 v9, 8, v9
	ds_write2st64_b64 v10, v[2:3], v[4:5] offset0:32 offset1:48
	v_or_b32_e32 v10, v7, v9
	ds_write_b64 v10, v[2:3]
	v_or_b32_e32 v2, v8, v9
	v_or_b32_e32 v9, 32, v86
	v_lshlrev_b32_e32 v22, 2, v9
	v_or_b32_e32 v10, v6, v22
	ds_write_b64 v2, v[4:5]
	v_perm_b32 v3, v59, v58, s3
	v_perm_b32 v2, v55, v54, s3
	;; [unrolled: 1-line block ×4, first 2 shown]
	v_lshlrev_b32_e32 v10, 1, v10
	v_lshlrev_b32_e32 v9, 8, v9
	s_lshl_b64 s[20:21], s[0:1], 8
	ds_write2st64_b64 v10, v[2:3], v[4:5] offset0:32 offset1:48
	v_or_b32_e32 v10, v7, v9
	s_waitcnt lgkmcnt(0)
	s_add_u32 s0, s6, s20
	ds_write_b64 v10, v[2:3]
	v_or_b32_e32 v2, v8, v9
	s_addc_u32 s1, s7, s21
	ds_write_b64 v2, v[4:5]
	v_perm_b32 v3, v53, v52, s3
	v_perm_b32 v2, v47, v46, s3
	;; [unrolled: 1-line block ×4, first 2 shown]
	v_or_b32_e32 v9, 48, v86
	s_mul_hi_i32 s3, s14, s13
	s_mul_i32 s14, s14, s13
	v_lshlrev_b32_e32 v19, 2, v9
	s_add_u32 s6, s14, s50
	v_or_b32_e32 v6, v6, v19
	s_addc_u32 s7, s3, s51
	v_lshlrev_b32_e32 v6, 1, v6
	s_ashr_i32 s3, s2, 31
	s_lshl_b64 s[6:7], s[6:7], 15
	ds_write2st64_b64 v6, v[2:3], v[4:5] offset0:32 offset1:48
	v_lshlrev_b32_e32 v6, 8, v9
	s_add_u32 s6, s18, s6
	v_or_b32_e32 v7, v7, v6
	s_addc_u32 s7, s19, s7
	s_lshl_b64 s[2:3], s[2:3], 8
	ds_write_b64 v7, v[2:3]
	v_or_b32_e32 v2, v8, v6
	s_add_u32 s2, s6, s2
	v_lshlrev_b32_e32 v3, 1, v86
	ds_write_b64 v2, v[4:5]
	v_lshrrev_b32_e32 v2, 4, v0
	s_addc_u32 s3, s7, s3
	v_or_b32_e32 v4, 1, v3
	v_lshlrev_b32_e32 v10, 4, v86
	v_mov_b32_e32 v11, 0
	v_xor_b32_e32 v3, v2, v3
	v_xor_b32_e32 v6, v4, v2
	v_lshl_add_u64 v[12:13], s[2:3], 0, v[10:11]
	v_lshlrev_b32_e32 v10, 8, v2
	v_lshl_or_b32 v16, v3, 3, v10
	v_lshl_or_b32 v17, v6, 3, v10
	s_waitcnt lgkmcnt(0)
	s_barrier
	ds_read2st64_b64 v[2:5], v16 offset1:8
	ds_read2st64_b64 v[6:9], v17 offset1:8
	v_lshl_add_u64 v[14:15], v[12:13], 0, v[10:11]
	s_movk_i32 s2, 0x2000
	s_cmp_lg_u32 s27, 64
	s_waitcnt lgkmcnt(1)
	v_mov_b32_e32 v10, v2
	v_mov_b32_e32 v11, v3
	s_waitcnt lgkmcnt(0)
	v_mov_b32_e32 v12, v6
	v_mov_b32_e32 v13, v7
	global_store_dwordx4 v[14:15], v[10:13], off
	v_mov_b32_e32 v6, v4
	v_mov_b32_e32 v7, v5
	ds_read2st64_b64 v[2:5], v16 offset0:16 offset1:24
	ds_read2st64_b64 v[10:13], v17 offset0:16 offset1:24
	v_add_co_u32_e32 v16, vcc, s2, v14
	s_cselect_b64 s[6:7], -1, 0
	s_nop 0
	v_addc_co_u32_e32 v17, vcc, 0, v15, vcc
	global_store_dwordx4 v[16:17], v[6:9], off offset:-4096
	v_lshl_or_b32 v30, v1, 3, v87
	s_mov_b32 s16, 0
	s_waitcnt lgkmcnt(1)
	v_mov_b32_e32 v6, v2
	v_add_co_u32_e32 v2, vcc, 0x3000, v14
	v_mov_b32_e32 v7, v3
	s_nop 0
	v_addc_co_u32_e32 v3, vcc, 0, v15, vcc
	s_waitcnt lgkmcnt(0)
	v_mov_b32_e32 v8, v10
	v_mov_b32_e32 v9, v11
	;; [unrolled: 1-line block ×4, first 2 shown]
	v_or_b32_e32 v20, 32, v30
	v_and_b32_e32 v18, 56, v88
	s_and_b64 vcc, exec, s[6:7]
	global_store_dwordx4 v[16:17], v[6:9], off
	global_store_dwordx4 v[2:3], v[10:13], off
	s_cbranch_vccz .LBB42_29
; %bb.24:
	s_mov_b32 s17, s16
	s_mov_b32 s18, s16
	;; [unrolled: 1-line block ×3, first 2 shown]
	v_mov_b64_e32 v[6:7], s[16:17]
	v_mov_b64_e32 v[8:9], s[18:19]
	;; [unrolled: 1-line block ×3, first 2 shown]
	v_cmp_gt_i32_e32 vcc, s27, v30
	v_mov_b64_e32 v[4:5], v[8:9]
	s_and_saveexec_b64 s[2:3], vcc
	s_cbranch_execz .LBB42_26
; %bb.25:
	v_lshlrev_b32_e32 v2, 8, v30
	v_mov_b32_e32 v3, 0
	v_lshl_add_u64 v[4:5], s[0:1], 0, v[2:3]
	v_lshlrev_b32_e32 v2, 1, v18
	v_lshl_add_u64 v[10:11], v[4:5], 0, v[2:3]
	global_load_dwordx4 v[6:9], v[10:11], off
	global_load_dwordx4 v[2:5], v[10:11], off offset:128
.LBB42_26:
	s_or_b64 exec, exec, s[2:3]
	s_mov_b32 s17, s16
	s_mov_b32 s18, s16
	;; [unrolled: 1-line block ×3, first 2 shown]
	v_mov_b64_e32 v[14:15], s[16:17]
	v_mov_b64_e32 v[16:17], s[18:19]
	;; [unrolled: 1-line block ×3, first 2 shown]
	v_cmp_gt_i32_e32 vcc, s27, v20
	v_lshlrev_b32_e32 v21, 7, v20
	v_mov_b64_e32 v[12:13], v[16:17]
	s_and_saveexec_b64 s[2:3], vcc
	s_cbranch_execz .LBB42_28
; %bb.27:
	v_lshlrev_b32_e32 v10, 1, v21
	v_mov_b32_e32 v11, 0
	v_lshl_add_u64 v[12:13], s[0:1], 0, v[10:11]
	v_lshlrev_b32_e32 v10, 1, v18
	v_lshl_add_u64 v[26:27], v[12:13], 0, v[10:11]
	global_load_dwordx4 v[14:17], v[26:27], off
	global_load_dwordx4 v[10:13], v[26:27], off offset:128
.LBB42_28:
	s_or_b64 exec, exec, s[2:3]
	v_lshrrev_b32_e32 v25, 3, v18
	v_lshlrev_b32_e32 v26, 3, v30
	v_or_b32_e32 v25, v26, v25
	v_lshlrev_b32_e32 v25, 4, v25
	v_and_b32_e32 v26, 0x78, v26
	v_xor_b32_e32 v25, v25, v26
	s_branch .LBB42_31
.LBB42_29:
                                        ; implicit-def: $vgpr25
                                        ; implicit-def: $vgpr21
                                        ; implicit-def: $vgpr6_vgpr7_vgpr8_vgpr9
                                        ; implicit-def: $vgpr2_vgpr3_vgpr4_vgpr5
                                        ; implicit-def: $vgpr14_vgpr15_vgpr16_vgpr17
                                        ; implicit-def: $vgpr10_vgpr11_vgpr12_vgpr13
	s_cbranch_execz .LBB42_31
; %bb.30:
	s_waitcnt vmcnt(0)
	v_lshlrev_b32_e32 v2, 1, v18
	v_lshl_or_b32 v21, v30, 8, v2
	s_and_b32 s1, s1, 0xffff
	s_mov_b32 s3, 0x20000
	s_movk_i32 s2, 0x4000
	v_lshl_or_b32 v25, v20, 8, v2
	s_movk_i32 s13, 0x80
	buffer_load_dwordx4 v[6:9], v21, s[0:3], 0 offen
	buffer_load_dwordx4 v[2:5], v21, s[0:3], s13 offen
	;; [unrolled: 1-line block ×4, first 2 shown]
	v_lshrrev_b32_e32 v21, 3, v18
	v_lshlrev_b32_e32 v25, 3, v30
	v_or_b32_e32 v21, v25, v21
	v_lshlrev_b32_e32 v21, 4, v21
	v_and_b32_e32 v25, 0x78, v25
	v_xor_b32_e32 v25, v21, v25
	v_lshlrev_b32_e32 v21, 7, v20
.LBB42_31:
	s_movk_i32 s0, 0x1000
	v_and_or_b32 v20, v21, s0, v25
	s_waitcnt vmcnt(1)
	ds_write_b64 v25, v[6:7] offset:49152
	v_xor_b32_e32 v6, 8, v25
	ds_write_b64 v6, v[8:9] offset:49152
	s_waitcnt vmcnt(0)
	ds_write_b64 v25, v[2:3] offset:57344
	ds_write_b64 v6, v[4:5] offset:57344
	;; [unrolled: 1-line block ×3, first 2 shown]
	v_xor_b32_e32 v2, 8, v20
	ds_write_b64 v2, v[16:17] offset:49152
	ds_write_b64 v20, v[10:11] offset:57344
	;; [unrolled: 1-line block ×3, first 2 shown]
	v_or_b32_e32 v2, v84, v86
	v_lshlrev_b32_e32 v2, 3, v2
	v_lshrrev_b32_e32 v3, 5, v35
	s_movk_i32 s0, 0xf8
	v_and_or_b32 v3, v2, s0, v3
	v_lshlrev_b32_e32 v7, 4, v3
	v_lshlrev_b32_e32 v25, 11, v1
	v_and_b32_e32 v8, 0x78, v2
	v_or_b32_e32 v10, 32, v7
	v_and_b32_e32 v6, 0x1000, v25
	v_lshrrev_b32_e32 v3, 1, v35
	v_xor_b32_e32 v10, v10, v8
	v_xor_b32_e32 v2, v7, v8
	v_and_b32_e32 v9, 8, v3
	v_or_b32_e32 v10, v10, v6
	v_or_b32_e32 v2, v2, v6
	v_xor_b32_e32 v32, v10, v9
	v_or_b32_e32 v10, 64, v7
	v_xor_b32_e32 v31, v2, v9
	v_xor_b32_e32 v10, v10, v8
	s_waitcnt lgkmcnt(0)
	s_barrier
	v_or_b32_e32 v13, v10, v6
	ds_read_b64 v[10:11], v31 offset:49152
	v_lshl_or_b32 v14, v85, 8, v24
	v_lshlrev_b32_e32 v26, 1, v14
	v_add_u32_e32 v12, 0x4000, v26
	ds_read2_b64 v[2:5], v12 offset1:16
	v_or_b32_e32 v7, 0x60, v7
	v_xor_b32_e32 v7, v7, v8
	v_or_b32_e32 v6, v7, v6
	v_xor_b32_e32 v33, v13, v9
	v_xor_b32_e32 v77, v6, v9
	ds_read_b64 v[20:21], v32 offset:49152
	ds_read_b64 v[78:79], v33 offset:49152
	;; [unrolled: 1-line block ×3, first 2 shown]
	s_waitcnt lgkmcnt(3)
	v_mfma_f32_16x16x16_bf16 a[0:3], v[10:11], v[2:3], 0
	ds_read2st64_b64 v[6:9], v26 offset0:36 offset1:40
	s_lshl_b64 s[0:1], s[24:25], 8
	s_add_u32 s4, s4, s0
	v_mfma_f32_16x16x16_bf16 a[4:7], v[10:11], v[4:5], 0
	ds_read2_b64 v[2:5], v12 offset0:32 offset1:48
	s_addc_u32 s5, s5, s1
	s_add_i32 s1, s46, s33
	s_waitcnt lgkmcnt(0)
	v_mfma_f32_16x16x16_bf16 a[8:11], v[10:11], v[2:3], 0
	v_or_b32_e32 v2, 64, v14
	v_lshlrev_b32_e32 v27, 1, v2
	s_add_i32 s0, s12, -1
	v_mfma_f32_16x16x16_bf16 a[12:15], v[10:11], v[4:5], 0
	ds_read2st64_b64 v[2:5], v27 offset0:36 offset1:40
	s_add_i32 s39, s1, s41
	s_add_i32 s1, s48, s47
	v_mfma_f32_16x16x16_bf16 a[0:3], v[20:21], v[6:7], a[0:3]
	v_or_b32_e32 v6, 0x80, v14
	v_lshlrev_b32_e32 v28, 1, v6
	ds_read2st64_b64 v[10:13], v28 offset0:36 offset1:40
	s_waitcnt lgkmcnt(1)
	v_mfma_f32_16x16x16_bf16 a[4:7], v[20:21], v[2:3], a[4:7]
	v_or_b32_e32 v2, 0xc0, v14
	v_lshlrev_b32_e32 v29, 1, v2
	ds_read2st64_b64 v[14:17], v29 offset0:36 offset1:40
	s_add_i32 s37, s1, s49
	s_ashr_i32 s1, s0, 31
	s_mul_i32 s2, s0, s35
	s_mul_hi_u32 s3, s0, s34
	s_add_i32 s2, s3, s2
	s_mul_i32 s1, s1, s34
	s_waitcnt lgkmcnt(1)
	v_mfma_f32_16x16x16_bf16 a[8:11], v[20:21], v[10:11], a[8:11]
	s_add_i32 s1, s2, s1
	s_lshl_b64 s[2:3], s[38:39], 2
	s_add_u32 s10, s10, s2
	s_waitcnt lgkmcnt(0)
	v_mfma_f32_16x16x16_bf16 a[12:15], v[20:21], v[14:15], a[12:15]
	s_addc_u32 s11, s11, s3
	s_lshl_b64 s[2:3], s[36:37], 2
	s_mul_i32 s0, s0, s34
	v_mfma_f32_16x16x16_bf16 a[0:3], v[78:79], v[8:9], a[0:3]
	ds_read_b64 v[2:3], v26 offset:22528
	s_add_u32 s10, s10, s2
	s_addc_u32 s11, s11, s3
	v_mfma_f32_16x16x16_bf16 a[4:7], v[78:79], v[4:5], a[4:7]
	ds_read_b64 v[4:5], v27 offset:22528
	ds_read_b64 v[6:7], v28 offset:22528
	;; [unrolled: 1-line block ×3, first 2 shown]
	s_lshl_b64 s[0:1], s[0:1], 2
	s_add_u32 s0, s10, s0
	v_mfma_f32_16x16x16_bf16 a[8:11], v[78:79], v[12:13], a[8:11]
	s_addc_u32 s1, s11, s1
	s_load_dword s12, s[0:1], 0x0
	s_and_b64 vcc, exec, s[22:23]
	v_mfma_f32_16x16x16_bf16 a[12:15], v[78:79], v[16:17], a[12:15]
	s_waitcnt lgkmcnt(0)
	v_mfma_f32_16x16x16_bf16 a[0:3], v[80:81], v[2:3], a[0:3]
	v_mfma_f32_16x16x16_bf16 a[4:7], v[80:81], v[4:5], a[4:7]
	;; [unrolled: 1-line block ×4, first 2 shown]
	s_cbranch_vccz .LBB42_42
; %bb.32:
	v_lshlrev_b32_e32 v20, 1, v30
	s_and_b64 vcc, exec, s[6:7]
	s_cbranch_vccz .LBB42_43
; %bb.33:
	v_cmp_gt_i32_e32 vcc, s27, v20
	v_mov_b32_e32 v6, 0
	v_mov_b32_e32 v2, 0
	;; [unrolled: 1-line block ×5, first 2 shown]
	s_and_saveexec_b64 s[0:1], vcc
	s_cbranch_execz .LBB42_35
; %bb.34:
	v_mad_i64_i32 v[2:3], s[2:3], s15, v20, 0
	v_lshl_add_u64 v[2:3], v[2:3], 1, s[4:5]
	v_lshlrev_b32_e32 v4, 1, v18
	v_mov_b32_e32 v5, 0
	v_lshl_add_u64 v[2:3], v[2:3], 0, v[4:5]
	global_load_dwordx4 v[2:5], v[2:3], off
.LBB42_35:
	s_or_b64 exec, exec, s[0:1]
	v_or_b32_e32 v21, 1, v20
	v_cmp_gt_i32_e64 s[0:1], s27, v21
	v_mov_b32_e32 v7, 0
	v_mov_b32_e32 v8, 0
	;; [unrolled: 1-line block ×3, first 2 shown]
	s_and_saveexec_b64 s[2:3], s[0:1]
	s_cbranch_execz .LBB42_37
; %bb.36:
	v_mad_i64_i32 v[6:7], s[16:17], s15, v21, 0
	v_lshl_add_u64 v[6:7], v[6:7], 1, s[4:5]
	v_lshlrev_b32_e32 v8, 1, v18
	v_mov_b32_e32 v9, 0
	v_lshl_add_u64 v[6:7], v[6:7], 0, v[8:9]
	global_load_dwordx4 v[6:9], v[6:7], off
.LBB42_37:
	s_or_b64 exec, exec, s[2:3]
	v_mov_b32_e32 v17, 0
	v_mov_b32_e32 v10, 0
	;; [unrolled: 1-line block ×5, first 2 shown]
	s_and_saveexec_b64 s[2:3], vcc
	s_cbranch_execz .LBB42_39
; %bb.38:
	v_mad_i64_i32 v[10:11], s[16:17], s15, v20, 0
	v_lshl_add_u64 v[10:11], v[10:11], 1, s[4:5]
	v_lshlrev_b32_e32 v12, 1, v18
	v_mov_b32_e32 v13, 0
	v_lshl_add_u64 v[10:11], v[10:11], 0, v[12:13]
	global_load_dwordx4 v[10:13], v[10:11], off offset:128
.LBB42_39:
	s_or_b64 exec, exec, s[2:3]
	v_mov_b32_e32 v16, 0
	v_mov_b32_e32 v15, 0
	v_mov_b32_e32 v14, 0
	s_and_saveexec_b64 s[2:3], s[0:1]
	s_cbranch_execz .LBB42_41
; %bb.40:
	v_mad_i64_i32 v[14:15], s[0:1], s15, v21, 0
	v_lshl_add_u64 v[14:15], v[14:15], 1, s[4:5]
	v_lshlrev_b32_e32 v16, 1, v18
	v_mov_b32_e32 v17, 0
	v_lshl_add_u64 v[14:15], v[14:15], 0, v[16:17]
	global_load_dwordx4 v[14:17], v[14:15], off offset:128
.LBB42_41:
	s_or_b64 exec, exec, s[2:3]
	s_branch .LBB42_45
.LBB42_42:
                                        ; implicit-def: $vgpr5
                                        ; implicit-def: $vgpr9
                                        ; implicit-def: $vgpr13
                                        ; implicit-def: $vgpr17
	v_lshrrev_b32_e32 v35, 2, v35
	s_branch .LBB42_46
.LBB42_43:
                                        ; implicit-def: $vgpr5
                                        ; implicit-def: $vgpr9
                                        ; implicit-def: $vgpr13
                                        ; implicit-def: $vgpr17
	s_cbranch_execz .LBB42_45
; %bb.44:
	s_waitcnt vmcnt(0)
	v_mad_u64_u32 v[2:3], s[0:1], v20, s15, v[18:19]
	v_lshlrev_b32_e32 v20, 1, v2
	s_lshl_b32 s2, s15, 7
	s_and_b32 s1, s5, 0xffff
	s_mov_b32 s3, 0x20000
	s_mov_b32 s0, s4
	v_add_lshl_u32 v21, v2, s15, 1
	s_movk_i32 s13, 0x80
	buffer_load_dwordx4 v[2:5], v20, s[0:3], 0 offen
	buffer_load_dwordx4 v[10:13], v20, s[0:3], s13 offen
	;; [unrolled: 1-line block ×4, first 2 shown]
.LBB42_45:
	v_lshrrev_b32_e32 v35, 2, v35
	s_cbranch_execnz .LBB42_58
.LBB42_46:
	s_and_b64 vcc, exec, s[6:7]
	s_cbranch_vccz .LBB42_56
; %bb.47:
	s_waitcnt vmcnt(0)
	v_lshlrev_b32_e32 v7, 1, v30
	v_cmp_gt_i32_e32 vcc, s27, v7
	v_mov_b32_e32 v6, 0
	v_lshlrev_b32_e32 v14, 9, v30
	v_mov_b32_e32 v2, 0
	v_mov_b32_e32 v3, 0
	;; [unrolled: 1-line block ×4, first 2 shown]
	s_and_saveexec_b64 s[0:1], vcc
	s_cbranch_execz .LBB42_49
; %bb.48:
	v_mov_b32_e32 v15, 0
	v_lshl_add_u64 v[2:3], s[4:5], 0, v[14:15]
	v_lshlrev_b32_e32 v4, 1, v18
	v_mov_b32_e32 v5, v15
	v_lshl_add_u64 v[2:3], v[2:3], 0, v[4:5]
	global_load_dwordx4 v[2:5], v[2:3], off
.LBB42_49:
	s_or_b64 exec, exec, s[0:1]
	v_or_b32_e32 v7, 1, v7
	v_cmp_gt_i32_e64 s[0:1], s27, v7
	v_lshlrev_b32_e32 v20, 8, v7
	v_mov_b32_e32 v7, 0
	v_mov_b32_e32 v8, 0
	;; [unrolled: 1-line block ×3, first 2 shown]
	s_and_saveexec_b64 s[2:3], s[0:1]
	s_cbranch_execz .LBB42_51
; %bb.50:
	v_mov_b32_e32 v21, 0
	v_lshl_add_u64 v[6:7], s[4:5], 0, v[20:21]
	v_lshlrev_b32_e32 v8, 1, v18
	v_mov_b32_e32 v9, v21
	v_lshl_add_u64 v[6:7], v[6:7], 0, v[8:9]
	global_load_dwordx4 v[6:9], v[6:7], off
.LBB42_51:
	s_or_b64 exec, exec, s[2:3]
	v_mov_b32_e32 v17, 0
	v_mov_b32_e32 v10, 0
	;; [unrolled: 1-line block ×5, first 2 shown]
	s_and_saveexec_b64 s[2:3], vcc
	s_cbranch_execz .LBB42_53
; %bb.52:
	v_mov_b32_e32 v15, 0
	v_lshl_add_u64 v[10:11], s[4:5], 0, v[14:15]
	v_lshlrev_b32_e32 v14, 1, v18
	v_lshl_add_u64 v[10:11], v[10:11], 0, v[14:15]
	global_load_dwordx4 v[10:13], v[10:11], off offset:128
.LBB42_53:
	s_or_b64 exec, exec, s[2:3]
	v_mov_b32_e32 v16, 0
	v_mov_b32_e32 v15, 0
	;; [unrolled: 1-line block ×3, first 2 shown]
	s_and_saveexec_b64 s[2:3], s[0:1]
	s_cbranch_execz .LBB42_55
; %bb.54:
	v_mov_b32_e32 v21, 0
	v_lshl_add_u64 v[14:15], s[4:5], 0, v[20:21]
	v_lshlrev_b32_e32 v20, 1, v18
	v_lshl_add_u64 v[14:15], v[14:15], 0, v[20:21]
	global_load_dwordx4 v[14:17], v[14:15], off offset:128
.LBB42_55:
	s_or_b64 exec, exec, s[2:3]
	s_branch .LBB42_58
.LBB42_56:
                                        ; implicit-def: $vgpr5
                                        ; implicit-def: $vgpr9
                                        ; implicit-def: $vgpr13
                                        ; implicit-def: $vgpr17
	s_cbranch_execz .LBB42_58
; %bb.57:
	s_waitcnt vmcnt(0)
	v_lshlrev_b32_e32 v2, 1, v18
	v_lshl_or_b32 v18, v30, 9, v2
	s_and_b32 s5, s5, 0xffff
	s_mov_b32 s7, 0x20000
	s_movk_i32 s6, 0x4000
	s_movk_i32 s0, 0x80
	buffer_load_dwordx4 v[2:5], v18, s[4:7], 0 offen
	buffer_load_dwordx4 v[6:9], v18, s[4:7], 0 offen offset:256
	buffer_load_dwordx4 v[10:13], v18, s[4:7], s0 offen
	buffer_load_dwordx4 v[14:17], v18, s[4:7], s0 offen offset:256
.LBB42_58:
	ds_read_b64 v[20:21], v31 offset:57344
	v_add_u32_e32 v18, 0x6000, v26
	ds_read2_b64 v[78:81], v18 offset1:16
	ds_read_b64 v[82:83], v32 offset:57344
	ds_read_b64 v[32:33], v33 offset:57344
	;; [unrolled: 1-line block ×3, first 2 shown]
	ds_read2st64_b64 v[86:89], v26 offset0:52 offset1:56
	v_and_b32_e32 v31, 1, v0
	v_cmp_eq_u32_e32 vcc, 0, v31
	s_mov_b32 s0, 0x1000504
	s_waitcnt vmcnt(0)
	v_perm_b32 v31, v10, v14, s0
	s_mov_b32 s1, 0x3020706
	s_waitcnt lgkmcnt(4)
	v_mfma_f32_16x16x16_bf16 a[0:3], v[20:21], v[78:79], a[0:3]
	v_mfma_f32_16x16x16_bf16 a[4:7], v[20:21], v[80:81], a[4:7]
	ds_read2_b64 v[78:81], v18 offset0:32 offset1:48
	v_and_b32_e32 v18, 6, v0
	v_xor_b32_e32 v30, v30, v18
	s_waitcnt lgkmcnt(0)
	v_mfma_f32_16x16x16_bf16 a[8:11], v[20:21], v[78:79], a[8:11]
	v_lshlrev_b32_e32 v30, 2, v30
	v_xor_b32_e32 v77, 0x440, v30
	v_cndmask_b32_e32 v30, v77, v30, vcc
	v_mfma_f32_16x16x16_bf16 a[12:15], v[20:21], v[80:81], a[12:15]
	ds_read2st64_b64 v[78:81], v27 offset0:52 offset1:56
	ds_read2st64_b64 v[90:93], v28 offset0:52 offset1:56
	;; [unrolled: 1-line block ×3, first 2 shown]
	v_lshl_or_b32 v18, v18, 10, v30
	v_perm_b32 v30, v2, v6, s0
	v_mfma_f32_16x16x16_bf16 a[0:3], v[82:83], v[86:87], a[0:3]
	ds_read_b64 v[20:21], v26 offset:30720
	ds_read_b64 v[86:87], v27 offset:30720
	;; [unrolled: 1-line block ×4, first 2 shown]
	ds_write2st64_b32 v18, v30, v31 offset0:128 offset1:160
	v_xor_b32_e32 v30, 8, v18
	s_waitcnt lgkmcnt(7)
	v_mfma_f32_16x16x16_bf16 a[4:7], v[82:83], v[78:79], a[4:7]
	v_perm_b32 v2, v2, v6, s1
	v_perm_b32 v6, v10, v14, s1
	v_add_u32_e32 v10, 0x80, v30
	s_waitcnt lgkmcnt(6)
	v_mfma_f32_16x16x16_bf16 a[8:11], v[82:83], v[90:91], a[8:11]
	ds_write2st64_b32 v10, v2, v6 offset0:128 offset1:160
	v_xor_b32_e32 v2, 16, v18
	v_perm_b32 v6, v3, v7, s0
	s_waitcnt lgkmcnt(6)
	v_mfma_f32_16x16x16_bf16 a[12:15], v[82:83], v[94:95], a[12:15]
	v_perm_b32 v10, v11, v15, s0
	ds_write2st64_b32 v2, v6, v10 offset0:129 offset1:161
	v_xor_b32_e32 v2, 24, v18
	v_mfma_f32_16x16x16_bf16 a[0:3], v[32:33], v[88:89], a[0:3]
	v_perm_b32 v3, v3, v7, s1
	v_perm_b32 v6, v11, v15, s1
	v_add_u32_e32 v2, 0x80, v2
	v_mfma_f32_16x16x16_bf16 a[4:7], v[32:33], v[80:81], a[4:7]
	ds_write2st64_b32 v2, v3, v6 offset0:129 offset1:161
	v_xor_b32_e32 v2, 32, v18
	v_perm_b32 v3, v4, v8, s0
	v_mfma_f32_16x16x16_bf16 a[16:19], v[32:33], v[92:93], a[8:11]
	v_perm_b32 v6, v12, v16, s0
	ds_write2st64_b32 v2, v3, v6 offset0:130 offset1:162
	v_xor_b32_e32 v2, 40, v18
	v_mfma_f32_16x16x16_bf16 a[20:23], v[32:33], v[96:97], a[12:15]
	v_perm_b32 v3, v4, v8, s1
	v_perm_b32 v4, v12, v16, s1
	v_add_u32_e32 v2, 0x80, v2
	s_waitcnt lgkmcnt(8)
	v_mfma_f32_16x16x16_bf16 a[12:15], v[98:99], v[20:21], a[0:3]
	ds_write2st64_b32 v2, v3, v4 offset0:130 offset1:162
	v_xor_b32_e32 v2, 48, v18
	v_perm_b32 v3, v5, v9, s0
	s_waitcnt lgkmcnt(8)
	v_mfma_f32_16x16x16_bf16 a[8:11], v[98:99], v[86:87], a[4:7]
	v_perm_b32 v4, v13, v17, s0
	ds_write2st64_b32 v2, v3, v4 offset0:131 offset1:163
	v_xor_b32_e32 v2, 56, v18
	s_waitcnt lgkmcnt(8)
	v_mfma_f32_16x16x16_bf16 a[4:7], v[98:99], v[100:101], a[16:19]
	v_and_or_b32 v21, v35, 12, v84
	v_perm_b32 v3, v5, v9, s1
	v_perm_b32 v4, v13, v17, s1
	s_waitcnt lgkmcnt(7)
	v_mfma_f32_16x16x16_bf16 a[0:3], v[98:99], v[102:103], a[20:23]
	v_add_u32_e32 v2, 0x80, v2
	v_cmp_gt_i32_e32 vcc, s27, v21
	v_mov_b32_e32 v16, 0
	v_mov_b32_e32 v18, 0
	ds_write2st64_b32 v2, v3, v4 offset0:131 offset1:163
	s_and_saveexec_b64 s[0:1], vcc
	s_cbranch_execz .LBB42_60
; %bb.59:
	v_add_u32_e32 v2, s26, v21
	v_ashrrev_i32_e32 v3, 31, v2
	v_mul_lo_u32 v4, v3, s34
	v_mul_lo_u32 v5, v2, s35
	v_mad_u64_u32 v[2:3], s[2:3], v2, s34, 0
	v_add3_u32 v3, v3, v5, v4
	v_lshl_add_u64 v[2:3], v[2:3], 2, s[10:11]
	global_load_dword v2, v[2:3], off
	s_waitcnt vmcnt(0)
	v_sub_f32_e32 v2, s12, v2
	v_exp_f32_e32 v18, v2
.LBB42_60:
	s_or_b64 exec, exec, s[0:1]
	v_or_b32_e32 v8, 1, v21
	v_cmp_gt_i32_e64 s[0:1], s27, v8
	s_and_saveexec_b64 s[2:3], s[0:1]
	s_cbranch_execz .LBB42_62
; %bb.61:
	v_add_u32_e32 v2, s26, v8
	v_ashrrev_i32_e32 v3, 31, v2
	v_mul_lo_u32 v4, v3, s34
	v_mul_lo_u32 v5, v2, s35
	v_mad_u64_u32 v[2:3], s[4:5], v2, s34, 0
	v_add3_u32 v3, v3, v5, v4
	v_lshl_add_u64 v[2:3], v[2:3], 2, s[10:11]
	global_load_dword v2, v[2:3], off
	s_waitcnt vmcnt(0)
	v_sub_f32_e32 v2, s12, v2
	v_exp_f32_e32 v16, v2
.LBB42_62:
	s_or_b64 exec, exec, s[2:3]
	v_or_b32_e32 v9, 2, v21
	v_cmp_gt_i32_e64 s[2:3], s27, v9
	v_mov_b32_e32 v17, 0
	v_mov_b32_e32 v20, 0
	s_and_saveexec_b64 s[4:5], s[2:3]
	s_cbranch_execz .LBB42_64
; %bb.63:
	v_add_u32_e32 v2, s26, v9
	v_ashrrev_i32_e32 v3, 31, v2
	v_mul_lo_u32 v4, v3, s34
	v_mul_lo_u32 v5, v2, s35
	v_mad_u64_u32 v[2:3], s[6:7], v2, s34, 0
	v_add3_u32 v3, v3, v5, v4
	v_lshl_add_u64 v[2:3], v[2:3], 2, s[10:11]
	global_load_dword v2, v[2:3], off
	s_waitcnt vmcnt(0)
	v_sub_f32_e32 v2, s12, v2
	v_exp_f32_e32 v20, v2
.LBB42_64:
	s_or_b64 exec, exec, s[4:5]
	v_or_b32_e32 v30, 3, v21
	v_cmp_gt_i32_e64 s[4:5], s27, v30
	s_and_saveexec_b64 s[6:7], s[4:5]
	s_cbranch_execz .LBB42_66
; %bb.65:
	v_add_u32_e32 v2, s26, v30
	v_ashrrev_i32_e32 v3, 31, v2
	v_mul_lo_u32 v4, v3, s34
	v_mul_lo_u32 v5, v2, s35
	v_mad_u64_u32 v[2:3], s[14:15], v2, s34, 0
	v_add3_u32 v3, v3, v5, v4
	v_lshl_add_u64 v[2:3], v[2:3], 2, s[10:11]
	global_load_dword v2, v[2:3], off
	s_waitcnt vmcnt(0)
	v_sub_f32_e32 v2, s12, v2
	v_exp_f32_e32 v17, v2
.LBB42_66:
	s_or_b64 exec, exec, s[6:7]
	s_add_u32 s6, s8, s20
	v_accvgpr_read_b32 v2, a12
	s_addc_u32 s7, s9, s21
	v_ashrrev_i32_e32 v77, 31, v76
	v_accvgpr_read_b32 v3, a13
	v_accvgpr_read_b32 v4, a14
	;; [unrolled: 1-line block ×3, first 2 shown]
	v_lshl_add_u64 v[6:7], v[76:77], 1, s[6:7]
	v_mov_b32_e32 v13, 0
	v_lshlrev_b32_e32 v10, 8, v21
	v_mov_b32_e32 v11, 0
	s_and_saveexec_b64 s[6:7], vcc
	s_cbranch_execz .LBB42_68
; %bb.67:
	v_mov_b32_e32 v11, 0
	v_lshl_add_u64 v[14:15], v[6:7], 0, v[10:11]
	global_load_ushort v11, v[14:15], off
	s_waitcnt vmcnt(0)
	v_lshlrev_b32_e32 v11, 16, v11
	v_sub_f32_e32 v2, v11, v2
	v_mul_f32_e32 v2, v18, v2
	v_lshrrev_b32_e32 v11, 16, v2
.LBB42_68:
	s_or_b64 exec, exec, s[6:7]
	v_lshlrev_b32_e32 v12, 8, v8
	s_and_saveexec_b64 s[6:7], s[0:1]
	s_cbranch_execz .LBB42_70
; %bb.69:
	v_mov_b32_e32 v13, 0
	v_lshl_add_u64 v[14:15], v[6:7], 0, v[12:13]
	global_load_ushort v2, v[14:15], off
	s_waitcnt vmcnt(0)
	v_lshlrev_b32_e32 v2, 16, v2
	v_sub_f32_e32 v2, v2, v3
	v_mul_f32_e32 v2, v16, v2
	v_lshrrev_b32_e32 v13, 16, v2
.LBB42_70:
	s_or_b64 exec, exec, s[6:7]
	v_mov_b32_e32 v31, 0
	v_lshlrev_b32_e32 v14, 8, v9
	v_mov_b32_e32 v15, 0
	s_and_saveexec_b64 s[6:7], s[2:3]
	s_cbranch_execz .LBB42_72
; %bb.71:
	v_mov_b32_e32 v15, 0
	v_lshl_add_u64 v[2:3], v[6:7], 0, v[14:15]
	global_load_ushort v2, v[2:3], off
	s_waitcnt vmcnt(0)
	v_lshlrev_b32_e32 v2, 16, v2
	v_sub_f32_e32 v2, v2, v4
	v_mul_f32_e32 v2, v20, v2
	v_lshrrev_b32_e32 v15, 16, v2
.LBB42_72:
	s_or_b64 exec, exec, s[6:7]
	v_lshlrev_b32_e32 v8, 8, v30
	s_and_saveexec_b64 s[6:7], s[4:5]
	s_cbranch_execz .LBB42_74
; %bb.73:
	v_mov_b32_e32 v9, 0
	v_lshl_add_u64 v[2:3], v[6:7], 0, v[8:9]
	global_load_ushort v2, v[2:3], off
	s_waitcnt vmcnt(0)
	v_lshlrev_b32_e32 v2, 16, v2
	v_sub_f32_e32 v2, v2, v5
	v_mul_f32_e32 v2, v17, v2
	v_lshrrev_b32_e32 v31, 16, v2
.LBB42_74:
	s_or_b64 exec, exec, s[6:7]
	v_lshlrev_b32_e32 v21, 6, v21
	v_accvgpr_read_b32 v2, a8
	s_mov_b32 s6, 0x5040100
	v_or_b32_e32 v9, v21, v24
	v_accvgpr_read_b32 v3, a9
	v_accvgpr_read_b32 v4, a10
	;; [unrolled: 1-line block ×3, first 2 shown]
	v_perm_b32 v31, v31, v15, s6
	v_perm_b32 v30, v13, v11, s6
	v_lshlrev_b32_e32 v9, 1, v9
	v_mov_b32_e32 v13, 0
	v_mov_b32_e32 v11, 0
	ds_write_b64 v9, v[30:31] offset:24576
	s_and_saveexec_b64 s[6:7], vcc
	s_cbranch_execz .LBB42_76
; %bb.75:
	v_mov_b32_e32 v11, 0
	v_lshl_add_u64 v[30:31], v[6:7], 0, v[10:11]
	global_load_ushort v9, v[30:31], off offset:32
	s_waitcnt vmcnt(0)
	v_lshlrev_b32_e32 v9, 16, v9
	v_sub_f32_e32 v2, v9, v2
	v_mul_f32_e32 v2, v18, v2
	v_lshrrev_b32_e32 v11, 16, v2
.LBB42_76:
	s_or_b64 exec, exec, s[6:7]
	s_and_saveexec_b64 s[6:7], s[0:1]
	s_cbranch_execz .LBB42_78
; %bb.77:
	v_mov_b32_e32 v13, 0
	v_lshl_add_u64 v[30:31], v[6:7], 0, v[12:13]
	global_load_ushort v2, v[30:31], off offset:32
	s_waitcnt vmcnt(0)
	v_lshlrev_b32_e32 v2, 16, v2
	v_sub_f32_e32 v2, v2, v3
	v_mul_f32_e32 v2, v16, v2
	v_lshrrev_b32_e32 v13, 16, v2
.LBB42_78:
	s_or_b64 exec, exec, s[6:7]
	v_mov_b32_e32 v9, 0
	v_mov_b32_e32 v15, 0
	s_and_saveexec_b64 s[6:7], s[2:3]
	s_cbranch_execz .LBB42_80
; %bb.79:
	v_mov_b32_e32 v15, 0
	v_lshl_add_u64 v[2:3], v[6:7], 0, v[14:15]
	global_load_ushort v2, v[2:3], off offset:32
	s_waitcnt vmcnt(0)
	v_lshlrev_b32_e32 v2, 16, v2
	v_sub_f32_e32 v2, v2, v4
	v_mul_f32_e32 v2, v20, v2
	v_lshrrev_b32_e32 v15, 16, v2
.LBB42_80:
	s_or_b64 exec, exec, s[6:7]
	s_and_saveexec_b64 s[6:7], s[4:5]
	s_cbranch_execz .LBB42_82
; %bb.81:
	v_mov_b32_e32 v9, 0
	v_lshl_add_u64 v[2:3], v[6:7], 0, v[8:9]
	global_load_ushort v2, v[2:3], off offset:32
	s_waitcnt vmcnt(0)
	v_lshlrev_b32_e32 v2, 16, v2
	v_sub_f32_e32 v2, v2, v5
	v_mul_f32_e32 v2, v17, v2
	v_lshrrev_b32_e32 v9, 16, v2
.LBB42_82:
	s_or_b64 exec, exec, s[6:7]
	s_mov_b32 s6, 0x5040100
	v_accvgpr_read_b32 v2, a4
	v_perm_b32 v31, v9, v15, s6
	v_or_b32_e32 v9, v21, v23
	v_accvgpr_read_b32 v3, a5
	v_accvgpr_read_b32 v4, a6
	v_accvgpr_read_b32 v5, a7
	v_perm_b32 v30, v13, v11, s6
	v_lshlrev_b32_e32 v9, 1, v9
	v_mov_b32_e32 v13, 0
	v_mov_b32_e32 v11, 0
	ds_write_b64 v9, v[30:31] offset:24576
	s_and_saveexec_b64 s[6:7], vcc
	s_cbranch_execz .LBB42_84
; %bb.83:
	v_mov_b32_e32 v11, 0
	v_lshl_add_u64 v[30:31], v[6:7], 0, v[10:11]
	global_load_ushort v9, v[30:31], off offset:64
	s_waitcnt vmcnt(0)
	v_lshlrev_b32_e32 v9, 16, v9
	v_sub_f32_e32 v2, v9, v2
	v_mul_f32_e32 v2, v18, v2
	v_lshrrev_b32_e32 v11, 16, v2
.LBB42_84:
	s_or_b64 exec, exec, s[6:7]
	s_and_saveexec_b64 s[6:7], s[0:1]
	s_cbranch_execz .LBB42_86
; %bb.85:
	v_mov_b32_e32 v13, 0
	v_lshl_add_u64 v[30:31], v[6:7], 0, v[12:13]
	global_load_ushort v2, v[30:31], off offset:64
	s_waitcnt vmcnt(0)
	v_lshlrev_b32_e32 v2, 16, v2
	v_sub_f32_e32 v2, v2, v3
	v_mul_f32_e32 v2, v16, v2
	v_lshrrev_b32_e32 v13, 16, v2
.LBB42_86:
	s_or_b64 exec, exec, s[6:7]
	v_mov_b32_e32 v9, 0
	v_mov_b32_e32 v15, 0
	s_and_saveexec_b64 s[6:7], s[2:3]
	s_cbranch_execz .LBB42_88
; %bb.87:
	v_mov_b32_e32 v15, 0
	v_lshl_add_u64 v[2:3], v[6:7], 0, v[14:15]
	global_load_ushort v2, v[2:3], off offset:64
	s_waitcnt vmcnt(0)
	v_lshlrev_b32_e32 v2, 16, v2
	v_sub_f32_e32 v2, v2, v4
	v_mul_f32_e32 v2, v20, v2
	v_lshrrev_b32_e32 v15, 16, v2
.LBB42_88:
	s_or_b64 exec, exec, s[6:7]
	s_and_saveexec_b64 s[6:7], s[4:5]
	s_cbranch_execz .LBB42_90
; %bb.89:
	v_mov_b32_e32 v9, 0
	v_lshl_add_u64 v[2:3], v[6:7], 0, v[8:9]
	global_load_ushort v2, v[2:3], off offset:64
	s_waitcnt vmcnt(0)
	v_lshlrev_b32_e32 v2, 16, v2
	v_sub_f32_e32 v2, v2, v5
	v_mul_f32_e32 v2, v17, v2
	v_lshrrev_b32_e32 v9, 16, v2
.LBB42_90:
	s_or_b64 exec, exec, s[6:7]
	s_mov_b32 s6, 0x5040100
	v_accvgpr_read_b32 v5, a3
	v_perm_b32 v31, v9, v15, s6
	v_or_b32_e32 v9, v21, v22
	v_accvgpr_read_b32 v4, a2
	v_accvgpr_read_b32 v3, a1
	;; [unrolled: 1-line block ×3, first 2 shown]
	v_perm_b32 v30, v13, v11, s6
	v_lshlrev_b32_e32 v9, 1, v9
	v_mov_b32_e32 v13, 0
	v_mov_b32_e32 v11, 0
	ds_write_b64 v9, v[30:31] offset:24576
	s_and_saveexec_b64 s[6:7], vcc
	s_cbranch_execz .LBB42_92
; %bb.91:
	v_mov_b32_e32 v11, 0
	v_lshl_add_u64 v[10:11], v[6:7], 0, v[10:11]
	global_load_ushort v9, v[10:11], off offset:96
	s_waitcnt vmcnt(0)
	v_lshlrev_b32_e32 v9, 16, v9
	v_sub_f32_e32 v2, v9, v2
	v_mul_f32_e32 v2, v18, v2
	v_lshrrev_b32_e32 v11, 16, v2
.LBB42_92:
	s_or_b64 exec, exec, s[6:7]
	s_and_saveexec_b64 s[6:7], s[0:1]
	s_cbranch_execz .LBB42_94
; %bb.93:
	v_mov_b32_e32 v13, 0
	v_lshl_add_u64 v[12:13], v[6:7], 0, v[12:13]
	global_load_ushort v2, v[12:13], off offset:96
	s_waitcnt vmcnt(0)
	v_lshlrev_b32_e32 v2, 16, v2
	v_sub_f32_e32 v2, v2, v3
	v_mul_f32_e32 v2, v16, v2
	v_lshrrev_b32_e32 v13, 16, v2
.LBB42_94:
	s_or_b64 exec, exec, s[6:7]
	v_mov_b32_e32 v9, 0
	v_mov_b32_e32 v12, 0
	s_and_saveexec_b64 s[0:1], s[2:3]
	s_cbranch_execz .LBB42_96
; %bb.95:
	v_mov_b32_e32 v15, 0
	v_lshl_add_u64 v[2:3], v[6:7], 0, v[14:15]
	global_load_ushort v2, v[2:3], off offset:96
	s_waitcnt vmcnt(0)
	v_lshlrev_b32_e32 v2, 16, v2
	v_sub_f32_e32 v2, v2, v4
	v_mul_f32_e32 v2, v20, v2
	v_lshrrev_b32_e32 v12, 16, v2
.LBB42_96:
	s_or_b64 exec, exec, s[0:1]
	v_or_b32_e32 v10, 0x6000, v26
	v_or_b32_e32 v4, 0x6000, v27
	;; [unrolled: 1-line block ×4, first 2 shown]
	s_and_saveexec_b64 s[0:1], s[4:5]
	s_cbranch_execz .LBB42_98
; %bb.97:
	v_mov_b32_e32 v9, 0
	v_lshl_add_u64 v[6:7], v[6:7], 0, v[8:9]
	global_load_ushort v6, v[6:7], off offset:96
	s_waitcnt vmcnt(0)
	v_lshlrev_b32_e32 v6, 16, v6
	v_sub_f32_e32 v5, v6, v5
	v_mul_f32_e32 v5, v17, v5
	v_lshrrev_b32_e32 v9, 16, v5
.LBB42_98:
	s_or_b64 exec, exec, s[0:1]
	s_mov_b32 s0, 0x5040100
	v_or_b32_e32 v5, v21, v19
	v_perm_b32 v7, v9, v12, s0
	v_perm_b32 v6, v13, v11, s0
	v_lshlrev_b32_e32 v5, 1, v5
	s_movk_i32 s0, 0x100
	ds_write_b64 v5, v[6:7] offset:24576
	v_and_b32_e32 v5, 7, v0
	v_and_b32_e32 v6, 8, v0
	v_cmp_gt_u32_e32 vcc, s0, v0
	v_lshrrev_b32_e32 v0, 1, v0
	v_lshlrev_b32_e32 v35, 3, v1
	v_and_b32_e32 v78, 24, v0
	v_mov_b32_e32 v7, 0xa000
	v_mov_b32_e32 v8, 0x8000
	v_xor_b32_e32 v0, v35, v78
	v_or_b32_e32 v16, 32, v78
	v_cndmask_b32_e32 v24, v7, v8, vcc
	v_or_b32_e32 v1, 0x440, v0
	v_cmp_eq_u32_e32 vcc, 0, v6
	v_xor_b32_e32 v16, v35, v16
	v_or_b32_e32 v17, 0x440, v16
	v_cndmask_b32_e32 v0, v1, v0, vcc
	v_lshlrev_b32_e32 v11, 3, v5
	v_lshlrev_b32_e32 v5, 7, v5
	v_or_b32_e32 v0, v0, v25
	v_cndmask_b32_e32 v16, v17, v16, vcc
	v_xad_u32 v79, v0, v11, v5
	v_or_b32_e32 v16, v16, v25
	v_add_u32_e32 v0, v24, v79
	v_xad_u32 v80, v16, v11, v5
	s_waitcnt lgkmcnt(0)
	s_barrier
	ds_read_b64 v[0:1], v0
	ds_read2_b64 v[6:9], v10 offset1:16
	ds_read2_b64 v[12:15], v10 offset0:32 offset1:48
	v_add_u32_e32 v16, v24, v80
	ds_read_b64 v[76:77], v16
	s_waitcnt lgkmcnt(2)
	v_mfma_f32_16x16x16_bf16 a[0:3], v[0:1], v[6:7], 0
	ds_read2st64_b64 v[16:19], v10 offset0:4 offset1:8
	ds_read2st64_b64 v[20:23], v4 offset0:4 offset1:8
	;; [unrolled: 1-line block ×3, first 2 shown]
	v_mfma_f32_16x16x16_bf16 a[4:7], v[0:1], v[8:9], 0
	ds_read2st64_b64 v[30:33], v2 offset0:4 offset1:8
	s_waitcnt lgkmcnt(5)
	v_mfma_f32_16x16x16_bf16 a[8:11], v[0:1], v[12:13], 0
	v_mfma_f32_16x16x16_bf16 a[12:15], v[0:1], v[14:15], 0
	v_or_b32_e32 v0, 64, v78
	v_xor_b32_e32 v0, v35, v0
	v_xor_b32_e32 v1, 0x440, v0
	v_cndmask_b32_e32 v0, v1, v0, vcc
	v_or_b32_e32 v0, v0, v25
	s_waitcnt lgkmcnt(3)
	v_mfma_f32_16x16x16_bf16 a[0:3], v[76:77], v[16:17], a[0:3]
	s_waitcnt lgkmcnt(2)
	v_mfma_f32_16x16x16_bf16 a[4:7], v[76:77], v[20:21], a[4:7]
	;; [unrolled: 2-line block ×4, first 2 shown]
	v_xad_u32 v76, v0, v11, v5
	v_add_u32_e32 v0, v24, v76
	ds_read_b64 v[0:1], v0
	v_or_b32_e32 v77, 0x60, v78
	v_xor_b32_e32 v35, v35, v77
	v_xor_b32_e32 v77, 0x440, v35
	v_cndmask_b32_e32 v35, v77, v35, vcc
	v_or_b32_e32 v25, v35, v25
	v_xad_u32 v35, v25, v11, v5
	v_add_u32_e32 v5, v24, v35
	s_waitcnt lgkmcnt(0)
	v_mfma_f32_16x16x16_bf16 a[0:3], v[0:1], v[18:19], a[0:3]
	ds_read_b64 v[24:25], v5
	ds_read_b64 v[10:11], v10 offset:6144
	v_mfma_f32_16x16x16_bf16 a[4:7], v[0:1], v[22:23], a[4:7]
	v_mfma_f32_16x16x16_bf16 a[8:11], v[0:1], v[28:29], a[8:11]
	v_mfma_f32_16x16x16_bf16 a[12:15], v[0:1], v[32:33], a[12:15]
	ds_read_b64 v[0:1], v4 offset:6144
	ds_read_b64 v[4:5], v3 offset:6144
	;; [unrolled: 1-line block ×3, first 2 shown]
	s_waitcnt lgkmcnt(3)
	v_mfma_f32_16x16x16_bf16 a[0:3], v[24:25], v[10:11], a[0:3]
	s_waitcnt lgkmcnt(2)
	v_mfma_f32_16x16x16_bf16 a[4:7], v[24:25], v[0:1], a[4:7]
	;; [unrolled: 2-line block ×4, first 2 shown]
	ds_read_b64 v[24:25], v79 offset:40960
	s_waitcnt lgkmcnt(0)
	v_mfma_f32_16x16x16_bf16 a[16:19], v[24:25], v[6:7], 0
	ds_read_b64 v[6:7], v80 offset:40960
	v_mfma_f32_16x16x16_bf16 a[20:23], v[24:25], v[8:9], 0
	v_exp_f32_e32 v8, s12
	v_mfma_f32_16x16x16_bf16 a[24:27], v[24:25], v[12:13], 0
	ds_read_b64 v[12:13], v76 offset:40960
	v_mfma_f32_16x16x16_bf16 a[28:31], v[24:25], v[14:15], 0
	v_accvgpr_read_b32 v15, a3
	v_accvgpr_read_b32 v14, a2
	v_pk_fma_f32 v[74:75], v[74:75], v[8:9], v[14:15] op_sel_hi:[1,0,1]
	ds_read_b64 v[14:15], v35 offset:40960
	s_waitcnt lgkmcnt(2)
	v_mfma_f32_16x16x16_bf16 a[16:19], v[6:7], v[16:17], a[16:19]
	v_accvgpr_read_b32 v17, a7
	v_accvgpr_read_b32 v16, a6
	v_pk_fma_f32 v[66:67], v[66:67], v[8:9], v[16:17] op_sel_hi:[1,0,1]
	v_mfma_f32_16x16x16_bf16 a[20:23], v[6:7], v[20:21], a[20:23]
	v_accvgpr_read_b32 v21, a1
	v_accvgpr_read_b32 v20, a0
	v_pk_fma_f32 v[70:71], v[70:71], v[8:9], v[20:21] op_sel_hi:[1,0,1]
	;; [unrolled: 4-line block ×4, first 2 shown]
	s_waitcnt lgkmcnt(1)
	v_mfma_f32_16x16x16_bf16 a[16:19], v[12:13], v[18:19], a[16:19]
	v_accvgpr_read_b32 v6, a12
	v_accvgpr_read_b32 v7, a13
	v_pk_fma_f32 v[46:47], v[46:47], v[8:9], v[6:7] op_sel_hi:[1,0,1]
	v_mfma_f32_16x16x16_bf16 a[0:3], v[12:13], v[22:23], a[20:23]
	v_accvgpr_read_b32 v19, a15
	v_accvgpr_read_b32 v18, a14
	v_pk_fma_f32 v[52:53], v[52:53], v[8:9], v[18:19] op_sel_hi:[1,0,1]
	v_mfma_f32_16x16x16_bf16 a[20:23], v[12:13], v[28:29], a[24:27]
	v_mfma_f32_16x16x16_bf16 a[4:7], v[12:13], v[32:33], a[28:31]
	v_accvgpr_read_b32 v13, a9
	v_accvgpr_read_b32 v12, a8
	v_pk_fma_f32 v[54:55], v[54:55], v[8:9], v[12:13] op_sel_hi:[1,0,1]
	s_waitcnt lgkmcnt(0)
	v_mfma_f32_16x16x16_bf16 a[8:11], v[14:15], v[10:11], a[16:19]
	v_mfma_f32_16x16x16_bf16 a[0:3], v[14:15], v[0:1], a[0:3]
	s_nop 5
	v_accvgpr_read_b32 v1, a11
	v_accvgpr_read_b32 v0, a10
	v_mfma_f32_16x16x16_bf16 a[10:13], v[14:15], v[4:5], a[20:23]
	v_pk_fma_f32 v[72:73], v[72:73], v[8:9], v[0:1] op_sel_hi:[1,0,1]
	v_accvgpr_read_b32 v7, a3
	v_accvgpr_read_b32 v6, a2
	v_mfma_f32_16x16x16_bf16 a[2:5], v[14:15], v[2:3], a[4:7]
	v_accvgpr_read_b32 v0, a0
	v_accvgpr_read_b32 v1, a1
	v_pk_fma_f32 v[60:61], v[60:61], v[8:9], v[0:1] op_sel_hi:[1,0,1]
	v_accvgpr_read_b32 v0, a10
	v_accvgpr_read_b32 v1, a11
	;; [unrolled: 1-line block ×3, first 2 shown]
	v_pk_fma_f32 v[50:51], v[50:51], v[8:9], v[0:1] op_sel_hi:[1,0,1]
	v_accvgpr_read_b32 v0, a2
	v_accvgpr_read_b32 v5, a13
	;; [unrolled: 1-line block ×7, first 2 shown]
	v_pk_fma_f32 v[68:69], v[68:69], v[8:9], v[10:11] op_sel_hi:[1,0,1]
	v_pk_fma_f32 v[64:65], v[64:65], v[8:9], v[6:7] op_sel_hi:[1,0,1]
	;; [unrolled: 1-line block ×5, first 2 shown]
.LBB42_99:
	s_waitcnt lgkmcnt(0)
	s_add_u32 s0, s30, s28
	s_addc_u32 s1, s31, s29
	v_lshl_add_u64 v[0:1], v[36:37], 1, s[0:1]
	v_mov_b32_e32 v35, 0
	s_mov_b32 s2, 0x7060302
	v_lshl_add_u64 v[0:1], v[0:1], 0, v[34:35]
	v_perm_b32 v3, v75, v74, s2
	v_perm_b32 v2, v71, v70, s2
	global_store_dwordx2 v[0:1], v[2:3], off
	v_perm_b32 v3, v73, v72, s2
	v_perm_b32 v2, v69, v68, s2
	global_store_dwordx2 v[0:1], v[2:3], off offset:128
	v_lshl_add_u64 v[0:1], v[38:39], 1, s[0:1]
	v_lshl_add_u64 v[0:1], v[0:1], 0, v[34:35]
	v_perm_b32 v3, v67, v66, s2
	v_perm_b32 v2, v63, v62, s2
	global_store_dwordx2 v[0:1], v[2:3], off
	v_perm_b32 v3, v65, v64, s2
	v_perm_b32 v2, v61, v60, s2
	global_store_dwordx2 v[0:1], v[2:3], off offset:128
	v_lshl_add_u64 v[0:1], v[40:41], 1, s[0:1]
	;; [unrolled: 8-line block ×3, first 2 shown]
	v_lshl_add_u64 v[0:1], v[0:1], 0, v[34:35]
	v_perm_b32 v3, v53, v52, s2
	v_perm_b32 v2, v47, v46, s2
	global_store_dwordx2 v[0:1], v[2:3], off
	v_perm_b32 v3, v49, v48, s2
	v_perm_b32 v2, v45, v44, s2
	global_store_dwordx2 v[0:1], v[2:3], off offset:128
	s_endpgm
	.section	.rodata,"a",@progbits
	.p2align	6, 0x0
	.amdhsa_kernel _ZN12_GLOBAL__N_139chunk_gated_delta_rule_fwd_h_hip_kernelILi64ELb1ELb1ELb0ELb0ELb1ELb0ELb1ELb1EEEvPK12hip_bfloat16S3_S3_PKfS5_PKvPS1_S8_PvPKiSB_iiiiilll
		.amdhsa_group_segment_fixed_size 65536
		.amdhsa_private_segment_fixed_size 0
		.amdhsa_kernarg_size 136
		.amdhsa_user_sgpr_count 2
		.amdhsa_user_sgpr_dispatch_ptr 0
		.amdhsa_user_sgpr_queue_ptr 0
		.amdhsa_user_sgpr_kernarg_segment_ptr 1
		.amdhsa_user_sgpr_dispatch_id 0
		.amdhsa_user_sgpr_kernarg_preload_length 0
		.amdhsa_user_sgpr_kernarg_preload_offset 0
		.amdhsa_user_sgpr_private_segment_size 0
		.amdhsa_uses_dynamic_stack 0
		.amdhsa_enable_private_segment 0
		.amdhsa_system_sgpr_workgroup_id_x 1
		.amdhsa_system_sgpr_workgroup_id_y 1
		.amdhsa_system_sgpr_workgroup_id_z 0
		.amdhsa_system_sgpr_workgroup_info 0
		.amdhsa_system_vgpr_workitem_id 0
		.amdhsa_next_free_vgpr 224
		.amdhsa_next_free_sgpr 70
		.amdhsa_accum_offset 188
		.amdhsa_reserve_vcc 1
		.amdhsa_float_round_mode_32 0
		.amdhsa_float_round_mode_16_64 0
		.amdhsa_float_denorm_mode_32 3
		.amdhsa_float_denorm_mode_16_64 3
		.amdhsa_dx10_clamp 1
		.amdhsa_ieee_mode 1
		.amdhsa_fp16_overflow 0
		.amdhsa_tg_split 0
		.amdhsa_exception_fp_ieee_invalid_op 0
		.amdhsa_exception_fp_denorm_src 0
		.amdhsa_exception_fp_ieee_div_zero 0
		.amdhsa_exception_fp_ieee_overflow 0
		.amdhsa_exception_fp_ieee_underflow 0
		.amdhsa_exception_fp_ieee_inexact 0
		.amdhsa_exception_int_div_zero 0
	.end_amdhsa_kernel
	.section	.text._ZN12_GLOBAL__N_139chunk_gated_delta_rule_fwd_h_hip_kernelILi64ELb1ELb1ELb0ELb0ELb1ELb0ELb1ELb1EEEvPK12hip_bfloat16S3_S3_PKfS5_PKvPS1_S8_PvPKiSB_iiiiilll,"axG",@progbits,_ZN12_GLOBAL__N_139chunk_gated_delta_rule_fwd_h_hip_kernelILi64ELb1ELb1ELb0ELb0ELb1ELb0ELb1ELb1EEEvPK12hip_bfloat16S3_S3_PKfS5_PKvPS1_S8_PvPKiSB_iiiiilll,comdat
.Lfunc_end42:
	.size	_ZN12_GLOBAL__N_139chunk_gated_delta_rule_fwd_h_hip_kernelILi64ELb1ELb1ELb0ELb0ELb1ELb0ELb1ELb1EEEvPK12hip_bfloat16S3_S3_PKfS5_PKvPS1_S8_PvPKiSB_iiiiilll, .Lfunc_end42-_ZN12_GLOBAL__N_139chunk_gated_delta_rule_fwd_h_hip_kernelILi64ELb1ELb1ELb0ELb0ELb1ELb0ELb1ELb1EEEvPK12hip_bfloat16S3_S3_PKfS5_PKvPS1_S8_PvPKiSB_iiiiilll
                                        ; -- End function
	.section	.AMDGPU.csdata,"",@progbits
; Kernel info:
; codeLenInByte = 12292
; NumSgprs: 76
; NumVgprs: 186
; NumAgprs: 36
; TotalNumVgprs: 224
; ScratchSize: 0
; MemoryBound: 0
; FloatMode: 240
; IeeeMode: 1
; LDSByteSize: 65536 bytes/workgroup (compile time only)
; SGPRBlocks: 9
; VGPRBlocks: 27
; NumSGPRsForWavesPerEU: 76
; NumVGPRsForWavesPerEU: 224
; AccumOffset: 188
; Occupancy: 1
; WaveLimiterHint : 1
; COMPUTE_PGM_RSRC2:SCRATCH_EN: 0
; COMPUTE_PGM_RSRC2:USER_SGPR: 2
; COMPUTE_PGM_RSRC2:TRAP_HANDLER: 0
; COMPUTE_PGM_RSRC2:TGID_X_EN: 1
; COMPUTE_PGM_RSRC2:TGID_Y_EN: 1
; COMPUTE_PGM_RSRC2:TGID_Z_EN: 0
; COMPUTE_PGM_RSRC2:TIDIG_COMP_CNT: 0
; COMPUTE_PGM_RSRC3_GFX90A:ACCUM_OFFSET: 46
; COMPUTE_PGM_RSRC3_GFX90A:TG_SPLIT: 0
	.section	.text._ZN12_GLOBAL__N_139chunk_gated_delta_rule_fwd_h_hip_kernelILi64ELb1ELb0ELb1ELb0ELb1ELb0ELb1ELb1EEEvPK12hip_bfloat16S3_S3_PKfS5_PKvPS1_S8_PvPKiSB_iiiiilll,"axG",@progbits,_ZN12_GLOBAL__N_139chunk_gated_delta_rule_fwd_h_hip_kernelILi64ELb1ELb0ELb1ELb0ELb1ELb0ELb1ELb1EEEvPK12hip_bfloat16S3_S3_PKfS5_PKvPS1_S8_PvPKiSB_iiiiilll,comdat
	.globl	_ZN12_GLOBAL__N_139chunk_gated_delta_rule_fwd_h_hip_kernelILi64ELb1ELb0ELb1ELb0ELb1ELb0ELb1ELb1EEEvPK12hip_bfloat16S3_S3_PKfS5_PKvPS1_S8_PvPKiSB_iiiiilll ; -- Begin function _ZN12_GLOBAL__N_139chunk_gated_delta_rule_fwd_h_hip_kernelILi64ELb1ELb0ELb1ELb0ELb1ELb0ELb1ELb1EEEvPK12hip_bfloat16S3_S3_PKfS5_PKvPS1_S8_PvPKiSB_iiiiilll
	.p2align	8
	.type	_ZN12_GLOBAL__N_139chunk_gated_delta_rule_fwd_h_hip_kernelILi64ELb1ELb0ELb1ELb0ELb1ELb0ELb1ELb1EEEvPK12hip_bfloat16S3_S3_PKfS5_PKvPS1_S8_PvPKiSB_iiiiilll,@function
_ZN12_GLOBAL__N_139chunk_gated_delta_rule_fwd_h_hip_kernelILi64ELb1ELb0ELb1ELb0ELb1ELb0ELb1ELb1EEEvPK12hip_bfloat16S3_S3_PKfS5_PKvPS1_S8_PvPKiSB_iiiiilll: ; @_ZN12_GLOBAL__N_139chunk_gated_delta_rule_fwd_h_hip_kernelILi64ELb1ELb0ELb1ELb0ELb1ELb0ELb1ELb1EEEvPK12hip_bfloat16S3_S3_PKfS5_PKvPS1_S8_PvPKiSB_iiiiilll
; %bb.0:
	s_load_dwordx4 s[12:15], s[0:1], 0x5c
	s_load_dwordx4 s[20:23], s[0:1], 0x70
	s_abs_i32 s6, s3
	s_ashr_i32 s5, s3, 31
	s_load_dwordx4 s[16:19], s[0:1], 0x28
	s_load_dwordx2 s[28:29], s[0:1], 0x38
	s_waitcnt lgkmcnt(0)
	s_abs_i32 s4, s13
	v_cvt_f32_u32_e32 v1, s4
	s_sub_i32 s8, 0, s4
	s_ashr_i32 s7, s13, 31
	s_xor_b32 s5, s5, s7
	v_rcp_iflag_f32_e32 v1, v1
	v_and_b32_e32 v79, 15, v0
	v_lshrrev_b32_e32 v77, 6, v0
	v_bfe_u32 v78, v0, 4, 2
	v_mul_f32_e32 v1, 0x4f7ffffe, v1
	v_cvt_u32_f32_e32 v1, v1
	v_mov_b32_e32 v7, 0
	v_and_b32_e32 v76, 63, v0
	v_lshrrev_b32_e32 v80, 3, v76
	v_readfirstlane_b32 s9, v1
	s_mul_i32 s8, s8, s9
	s_mul_hi_u32 s8, s9, s8
	s_add_i32 s9, s9, s8
	s_mul_hi_u32 s8, s6, s9
	s_mul_i32 s9, s8, s4
	s_sub_i32 s6, s6, s9
	s_add_i32 s10, s8, 1
	s_sub_i32 s9, s6, s4
	s_cmp_ge_u32 s6, s4
	s_cselect_b32 s8, s10, s8
	s_cselect_b32 s6, s9, s6
	s_add_i32 s9, s8, 1
	s_cmp_ge_u32 s6, s4
	s_cselect_b32 s6, s9, s8
	s_xor_b32 s6, s6, s5
	s_add_i32 s8, s12, 63
	s_sub_i32 s51, s6, s5
	s_ashr_i32 s9, s8, 31
	s_mul_i32 s5, s51, s13
	s_sub_i32 s48, s3, s5
	s_lshr_b32 s3, s9, 26
	s_add_i32 s8, s8, s3
	s_abs_i32 s3, s14
	v_cvt_f32_u32_e32 v1, s3
	s_ashr_i32 s50, s12, 31
	s_lshr_b32 s6, s50, 26
	s_add_i32 s6, s12, s6
	v_rcp_iflag_f32_e32 v1, v1
	s_ashr_i32 s53, s14, 31
	s_ashr_i32 s24, s8, 6
	;; [unrolled: 1-line block ×3, first 2 shown]
	v_mul_f32_e32 v1, 0x4f7ffffe, v1
	v_cvt_u32_f32_e32 v1, v1
	s_xor_b32 s6, s7, s53
	s_sub_i32 s7, 0, s3
	s_lshl_b32 s2, s2, 6
	v_readfirstlane_b32 s8, v1
	s_mul_i32 s7, s7, s8
	s_mul_hi_u32 s7, s8, s7
	s_add_i32 s8, s8, s7
	s_mul_hi_u32 s7, s4, s8
	s_mul_i32 s8, s7, s3
	s_sub_i32 s4, s4, s8
	s_add_i32 s8, s7, 1
	s_sub_i32 s9, s4, s3
	s_cmp_ge_u32 s4, s3
	s_cselect_b32 s7, s8, s7
	s_cselect_b32 s4, s9, s4
	s_add_i32 s8, s7, 1
	s_cmp_ge_u32 s4, s3
	s_cselect_b32 s3, s8, s7
	s_xor_b32 s3, s3, s6
	s_sub_i32 s3, s3, s6
	s_abs_i32 s4, s3
	v_cvt_f32_u32_e32 v1, s4
	s_sub_i32 s7, 0, s4
	s_abs_i32 s6, s48
	s_xor_b32 s3, s48, s3
	v_rcp_iflag_f32_e32 v1, v1
	s_ashr_i32 s3, s3, 31
	v_or_b32_e32 v34, s2, v79
	v_lshlrev_b32_e32 v2, 7, v34
	v_mul_f32_e32 v1, 0x4f7ffffe, v1
	v_cvt_u32_f32_e32 v1, v1
	v_or_b32_e32 v10, 0x800, v2
	v_ashrrev_i32_e32 v3, 31, v2
	v_ashrrev_i32_e32 v11, 31, v10
	v_readfirstlane_b32 s8, v1
	s_mul_i32 s7, s7, s8
	s_mul_hi_u32 s7, s8, s7
	s_add_i32 s8, s8, s7
	s_mul_hi_u32 s7, s6, s8
	s_mul_i32 s8, s7, s4
	s_sub_i32 s6, s6, s8
	s_add_i32 s8, s7, 1
	s_sub_i32 s9, s6, s4
	s_cmp_ge_u32 s6, s4
	s_cselect_b32 s7, s8, s7
	s_cselect_b32 s6, s9, s6
	s_add_i32 s8, s7, 1
	s_cmp_ge_u32 s6, s4
	s_cselect_b32 s4, s8, s7
	s_xor_b32 s4, s4, s3
	s_sub_i32 s54, s4, s3
	s_ashr_i32 s3, s51, 31
	s_ashr_i32 s49, s48, 31
	s_mul_hi_i32 s4, s51, s13
	s_add_u32 s38, s5, s48
	s_addc_u32 s39, s4, s49
	s_lshl_b64 s[4:5], s[38:39], 15
	v_lshlrev_b32_e32 v1, 4, v77
	s_add_u32 s4, s16, s4
	v_lshl_or_b32 v82, v78, 2, v1
	s_addc_u32 s5, s17, s5
	v_lshl_add_u64 v[4:5], v[2:3], 1, s[4:5]
	v_lshlrev_b32_e32 v6, 1, v82
	v_lshl_add_u64 v[10:11], v[10:11], 1, s[4:5]
	v_lshl_add_u64 v[4:5], v[4:5], 0, v[6:7]
	;; [unrolled: 1-line block ×3, first 2 shown]
	global_load_dwordx2 v[8:9], v[4:5], off
	v_or_b32_e32 v83, 64, v82
	global_load_dwordx2 v[4:5], v[4:5], off offset:128
	s_nop 0
	global_load_dwordx2 v[12:13], v[10:11], off
	global_load_dwordx2 v[14:15], v[10:11], off offset:128
	v_or_b32_e32 v10, 0x1000, v2
	v_or_b32_e32 v2, 0x1800, v2
	v_ashrrev_i32_e32 v11, 31, v10
	v_ashrrev_i32_e32 v3, 31, v2
	v_lshl_add_u64 v[10:11], v[10:11], 1, s[4:5]
	v_lshl_add_u64 v[2:3], v[2:3], 1, s[4:5]
	;; [unrolled: 1-line block ×4, first 2 shown]
	global_load_dwordx2 v[16:17], v[10:11], off
	s_mul_i32 s55, s51, s24
	global_load_dwordx2 v[10:11], v[10:11], off offset:128
	s_nop 0
	global_load_dwordx2 v[6:7], v[2:3], off
	global_load_dwordx2 v[18:19], v[2:3], off offset:128
	s_load_dwordx8 s[4:11], s[0:1], 0x0
	s_load_dwordx2 s[30:31], s[0:1], 0x80
	s_cmp_lt_i32 s12, 64
	v_lshlrev_b32_e32 v81, 3, v0
	s_mul_i32 s56, s39, s12
	s_mul_hi_u32 s57, s38, s12
	s_mul_i32 s16, s38, s12
	s_mul_i32 s33, s51, s21
	s_mul_hi_u32 s44, s51, s20
	s_mul_i32 s39, s3, s20
	s_mul_i32 s36, s51, s20
	;; [unrolled: 1-line block ×3, first 2 shown]
	s_mul_hi_u32 s46, s48, s22
	s_mul_i32 s47, s49, s22
	s_mul_i32 s34, s48, s22
	s_waitcnt vmcnt(7)
	v_and_b32_e32 v63, 0xffff0000, v8
	v_lshlrev_b32_e32 v62, 16, v8
	v_and_b32_e32 v67, 0xffff0000, v9
	v_lshlrev_b32_e32 v66, 16, v9
	s_waitcnt vmcnt(6)
	v_and_b32_e32 v61, 0xffff0000, v4
	v_lshlrev_b32_e32 v60, 16, v4
	v_and_b32_e32 v65, 0xffff0000, v5
	v_lshlrev_b32_e32 v64, 16, v5
	;; [unrolled: 5-line block ×8, first 2 shown]
	s_cbranch_scc1 .LBB43_18
; %bb.1:
	s_add_i32 s17, s57, s56
	s_lshl_b64 s[0:1], s[16:17], 8
	v_and_b32_e32 v85, 56, v81
	s_waitcnt lgkmcnt(0)
	s_add_u32 s20, s6, s0
	v_lshl_or_b32 v84, v77, 3, v80
	v_lshlrev_b32_e32 v2, 1, v85
	s_addc_u32 s0, s7, s1
	v_lshl_or_b32 v86, v84, 8, v2
	s_and_b32 s21, s0, 0xffff
	s_mov_b32 s23, 0x20000
	s_movk_i32 s22, 0x4000
	s_movk_i32 s0, 0x80
	v_or_b32_e32 v87, 0x2000, v86
	buffer_load_dwordx4 v[4:7], v86, s[20:23], 0 offen
	buffer_load_dwordx4 v[8:11], v86, s[20:23], s0 offen
	;; [unrolled: 1-line block ×4, first 2 shown]
	v_lshlrev_b32_e32 v3, 3, v84
	v_and_or_b32 v21, v0, 7, v3
	v_and_b32_e32 v3, 0x78, v3
	v_lshlrev_b32_e32 v21, 4, v21
	v_xor_b32_e32 v88, v21, v3
	v_mul_lo_u32 v20, v84, s15
	v_or_b32_e32 v89, 0x1000, v88
	v_xor_b32_e32 v3, 8, v88
	s_cmpk_eq_i32 s15, 0x80
	s_mov_b32 s58, s14
	v_xor_b32_e32 v21, 8, v89
	s_cselect_b64 s[0:1], -1, 0
	s_cmpk_lg_i32 s15, 0x80
	s_waitcnt vmcnt(3)
	ds_write_b64 v88, v[4:5] offset:49152
	ds_write_b64 v3, v[6:7] offset:49152
	s_waitcnt vmcnt(2)
	ds_write_b64 v88, v[8:9] offset:57344
	ds_write_b64 v3, v[10:11] offset:57344
	;; [unrolled: 3-line block ×4, first 2 shown]
	v_lshl_add_u32 v3, v20, 1, v85
	s_cbranch_scc0 .LBB43_3
; %bb.2:
	v_lshlrev_b32_e32 v5, 1, v3
	v_add_lshl_u32 v4, v3, s15, 1
	s_lshl_b32 s22, s15, 7
	v_lshl_or_b32 v2, v84, 9, v2
	s_cbranch_execz .LBB43_4
	s_branch .LBB43_5
.LBB43_3:
                                        ; implicit-def: $vgpr4
                                        ; implicit-def: $vgpr5
                                        ; implicit-def: $sgpr22
	v_lshl_or_b32 v2, v84, 9, v2
.LBB43_4:
	v_or_b32_e32 v4, 0x100, v2
	s_movk_i32 s22, 0x4000
	v_mov_b32_e32 v5, v2
.LBB43_5:
	s_mul_hi_u32 s20, s14, s12
	s_mul_i32 s21, s53, s12
	s_add_i32 s20, s20, s21
	s_mul_i32 s21, s14, s12
	s_mul_i32 s23, s21, s3
	s_mul_hi_u32 s24, s21, s51
	s_add_i32 s23, s24, s23
	s_mul_i32 s20, s20, s51
	s_add_i32 s23, s23, s20
	s_mul_i32 s21, s21, s51
	s_ashr_i32 s59, s54, 31
	s_add_u32 s20, s21, s54
	s_addc_u32 s21, s23, s59
	s_lshl_b64 s[20:21], s[20:21], 8
	s_add_u32 s20, s4, s20
	s_addc_u32 s21, s5, s21
	s_and_b32 s21, s21, 0xffff
	s_mov_b32 s23, 0x20000
	s_movk_i32 s60, 0x80
	buffer_load_dwordx4 v[6:9], v5, s[20:23], 0 offen
	buffer_load_dwordx4 v[10:13], v5, s[20:23], s60 offen
	;; [unrolled: 1-line block ×4, first 2 shown]
	v_and_b32_e32 v5, 6, v0
	v_lshlrev_b32_e32 v4, 7, v82
	v_xor_b32_e32 v26, v84, v5
	v_and_b32_e32 v22, 1, v0
	v_lshl_or_b32 v29, v79, 3, v4
	v_lshlrev_b32_e32 v26, 2, v26
	v_or_b32_e32 v90, 0x4000, v29
	v_or_b32_e32 v91, 0x6000, v29
	v_xor_b32_e32 v29, 0x440, v26
	v_cmp_eq_u32_e32 vcc, 0, v22
	v_lshlrev_b32_e32 v23, 2, v79
	s_mov_b32 s62, 0x1000504
	v_cndmask_b32_e32 v22, v29, v26, vcc
	v_xor_b32_e32 v27, v82, v23
	v_xor_b32_e32 v28, v83, v23
	v_lshl_or_b32 v5, v5, 10, v22
	s_mov_b32 s63, 0x3020706
	v_lshlrev_b32_e32 v24, 8, v79
	v_or_b32_e32 v25, 16, v79
	v_lshlrev_b32_e32 v27, 1, v27
	v_lshlrev_b32_e32 v28, 1, v28
	v_xor_b32_e32 v22, 8, v5
	v_xor_b32_e32 v26, 24, v5
	;; [unrolled: 1-line block ×4, first 2 shown]
	s_mul_i32 s3, s3, s12
	s_mul_hi_u32 s20, s51, s12
	v_or_b32_e32 v93, v24, v27
	v_or_b32_e32 v94, v24, v28
	v_xor_b32_e32 v24, 16, v5
	v_xor_b32_e32 v29, 32, v5
	v_xor_b32_e32 v32, 48, v5
	v_add_u32_e32 v22, 0x80, v22
	v_add_u32_e32 v26, 0x80, v26
	;; [unrolled: 1-line block ×4, first 2 shown]
	s_add_i32 s65, s20, s3
	s_add_i32 s3, s44, s33
	s_add_i32 s37, s3, s39
	s_add_i32 s3, s46, s45
	s_add_i32 s35, s3, s47
	s_lshl_b64 s[20:21], s[36:37], 2
	s_add_u32 s3, s10, s20
	s_addc_u32 s24, s11, s21
	s_lshl_b64 s[20:21], s[34:35], 2
	s_add_u32 s40, s3, s20
	s_movk_i32 s3, 0xf8
	s_addc_u32 s41, s24, s21
	s_lshl_b32 s26, s15, 7
	s_movk_i32 s24, 0x100
	v_mov_b32_e32 v69, 0
	v_cmp_gt_u32_e32 vcc, s24, v0
	v_lshl_or_b32 v30, v25, 3, v4
	s_mov_b32 s61, 0
	s_mul_i32 s64, s51, s12
	v_or_b32_e32 v92, 0x4000, v30
	s_movk_i32 s22, 0x4000
	v_or_b32_e32 v95, 0x6000, v30
	s_movk_i32 s35, 0x2000
	s_movk_i32 s37, 0x3000
	s_mov_b32 s67, 0
	s_waitcnt vmcnt(1)
	v_perm_b32 v35, v6, v14, s62
	s_waitcnt vmcnt(0)
	v_perm_b32 v68, v10, v18, s62
	v_perm_b32 v6, v6, v14, s63
	;; [unrolled: 1-line block ×15, first 2 shown]
	ds_write2st64_b32 v5, v35, v68 offset0:128 offset1:160
	ds_write2st64_b32 v22, v6, v10 offset0:128 offset1:160
	;; [unrolled: 1-line block ×8, first 2 shown]
	v_lshlrev_b32_e32 v5, 8, v25
	v_or_b32_e32 v96, v5, v27
	v_or_b32_e32 v97, v5, v28
	;; [unrolled: 1-line block ×3, first 2 shown]
	v_lshl_or_b32 v6, v5, 3, v4
	v_lshlrev_b32_e32 v5, 8, v5
	v_or_b32_e32 v100, v5, v27
	v_or_b32_e32 v101, v5, v28
	;; [unrolled: 1-line block ×5, first 2 shown]
	v_lshl_or_b32 v6, v5, 3, v4
	v_lshlrev_b32_e32 v5, 8, v5
	v_or_b32_e32 v104, v5, v27
	v_or_b32_e32 v105, v5, v28
	;; [unrolled: 1-line block ×3, first 2 shown]
	v_lshlrev_b32_e32 v5, 3, v5
	v_lshrrev_b32_e32 v7, 5, v76
	v_and_or_b32 v7, v5, s3, v7
	v_lshlrev_b32_e32 v7, 4, v7
	v_lshlrev_b32_e32 v8, 11, v77
	v_and_b32_e32 v5, 0x78, v5
	v_or_b32_e32 v13, 32, v7
	v_or_b32_e32 v102, 0x4000, v6
	;; [unrolled: 1-line block ×3, first 2 shown]
	v_and_b32_e32 v6, 0x1000, v8
	v_xor_b32_e32 v9, v7, v5
	v_lshrrev_b32_e32 v10, 1, v0
	v_xor_b32_e32 v13, v13, v5
	v_or_b32_e32 v9, v9, v6
	v_and_b32_e32 v11, 8, v10
	v_or_b32_e32 v13, v13, v6
	v_xor_b32_e32 v106, v9, v11
	v_lshlrev_b32_e32 v9, 8, v78
	v_xor_b32_e32 v108, v13, v11
	v_or_b32_e32 v13, 64, v7
	v_or_b32_e32 v7, 0x60, v7
	s_ashr_i32 s3, s2, 31
	v_or_b32_e32 v12, v9, v23
	v_xor_b32_e32 v13, v13, v5
	v_xor_b32_e32 v5, v7, v5
	s_lshl_b64 s[20:21], s[2:3], 8
	v_lshlrev_b32_e32 v12, 1, v12
	v_or_b32_e32 v13, v13, v6
	v_or_b32_e32 v5, v5, v6
	s_add_u32 s20, s18, s20
	v_lshlrev_b32_e32 v6, 1, v79
	v_or_b32_e32 v107, 0x4000, v12
	v_or_b32_e32 v109, 0x4080, v12
	;; [unrolled: 1-line block ×8, first 2 shown]
	v_lshrrev_b32_e32 v12, 4, v0
	s_addc_u32 s21, s19, s21
	v_or_b32_e32 v7, 1, v6
	v_lshlrev_b32_e32 v68, 4, v79
	v_mov_b32_e32 v16, 0xa000
	v_mov_b32_e32 v17, 0x8000
	v_xor_b32_e32 v112, v13, v11
	v_xor_b32_e32 v13, v12, v6
	;; [unrolled: 1-line block ×3, first 2 shown]
	v_lshl_add_u64 v[6:7], s[20:21], 0, v[68:69]
	v_lshlrev_b32_e32 v68, 8, v12
	v_cndmask_b32_e32 v16, v16, v17, vcc
	v_lshlrev_b32_e32 v17, 3, v77
	v_and_b32_e32 v10, 24, v10
	v_lshl_or_b32 v118, v13, 3, v68
	v_and_b32_e32 v13, 8, v0
	v_xor_b32_e32 v18, v17, v10
	v_or_b32_e32 v19, 0x440, v18
	v_cmp_eq_u32_e32 vcc, 0, v13
	v_and_b32_e32 v12, 7, v0
	v_lshl_or_b32 v119, v14, 3, v68
	v_cndmask_b32_e32 v13, v19, v18, vcc
	v_lshlrev_b32_e32 v14, 3, v12
	v_lshlrev_b32_e32 v12, 7, v12
	v_or_b32_e32 v13, v13, v8
	v_lshlrev_b32_e32 v15, 2, v0
	v_xad_u32 v120, v13, v14, v12
	v_or_b32_e32 v13, 32, v10
	v_and_or_b32 v9, v15, 60, v9
	v_xor_b32_e32 v13, v17, v13
	v_lshlrev_b32_e32 v9, 1, v9
	v_or_b32_e32 v15, 0x440, v13
	v_or_b32_e32 v121, 0x6000, v9
	v_cndmask_b32_e32 v13, v15, v13, vcc
	v_or_b32_e32 v123, 0x6080, v9
	v_or_b32_e32 v124, 0x6100, v9
	;; [unrolled: 1-line block ×5, first 2 shown]
	v_xor_b32_e32 v9, v17, v9
	v_xad_u32 v122, v13, v14, v12
	v_xor_b32_e32 v13, 0x440, v9
	v_cndmask_b32_e32 v9, v13, v9, vcc
	v_or_b32_e32 v9, v9, v8
	v_xad_u32 v126, v9, v14, v12
	v_or_b32_e32 v9, 0x60, v10
	v_xor_b32_e32 v9, v17, v9
	v_xor_b32_e32 v10, 0x440, v9
	v_cndmask_b32_e32 v9, v10, v9, vcc
	v_xor_b32_e32 v113, v5, v11
	v_ashrrev_i32_e32 v35, 31, v34
	v_lshlrev_b32_e32 v5, 1, v3
	v_add_lshl_u32 v3, v3, s15, 1
	v_or_b32_e32 v11, 0x100, v2
	v_or_b32_e32 v8, v9, v8
	v_xad_u32 v127, v8, v14, v12
	v_cndmask_b32_e64 v128, v5, v2, s[0:1]
	v_cndmask_b32_e64 v129, v3, v11, s[0:1]
	v_lshlrev_b64 v[2:3], 1, v[34:35]
	v_lshl_add_u64 v[70:71], s[8:9], 0, v[2:3]
	v_lshl_add_u64 v[72:73], s[28:29], 0, v[2:3]
	;; [unrolled: 1-line block ×3, first 2 shown]
	s_mov_b32 s3, 0x7060302
	v_lshlrev_b32_e32 v68, 1, v4
	v_add_u32_e32 v35, v16, v120
	v_add_u32_e32 v130, v16, v122
	;; [unrolled: 1-line block ×4, first 2 shown]
	s_waitcnt lgkmcnt(0)
	s_barrier
.LBB43_6:                               ; =>This Inner Loop Header: Depth=1
	s_add_i32 s66, s67, 1
	s_cmp_lt_i32 s66, s52
	s_mov_b64 s[24:25], 0
	s_cselect_b64 s[42:43], -1, 0
	s_cmp_ge_i32 s66, s52
	s_mov_b64 s[20:21], 0
	s_cbranch_scc1 .LBB43_8
; %bb.7:                                ;   in Loop: Header=BB43_6 Depth=1
	s_add_i32 s0, s61, 64
	s_add_u32 s0, s16, s0
	s_addc_u32 s1, s17, 0
	s_lshl_b64 s[0:1], s[0:1], 8
	s_add_u32 s20, s6, s0
	s_addc_u32 s21, s7, s1
.LBB43_8:                               ;   in Loop: Header=BB43_6 Depth=1
	v_cndmask_b32_e64 v2, 0, 1, s[42:43]
	v_cmp_ne_u32_e64 s[0:1], 1, v2
	s_andn2_b64 vcc, exec, s[42:43]
	s_cbranch_vccnz .LBB43_10
; %bb.9:                                ;   in Loop: Header=BB43_6 Depth=1
	s_add_i32 s24, s61, 64
	s_add_u32 s24, s64, s24
	s_addc_u32 s25, s65, 0
	s_mul_i32 s27, s24, s53
	s_mul_hi_u32 s42, s24, s58
	s_add_i32 s27, s42, s27
	s_mul_i32 s25, s25, s58
	s_add_i32 s27, s27, s25
	s_mul_i32 s24, s24, s58
	s_add_u32 s24, s24, s54
	s_addc_u32 s25, s27, s59
	s_lshl_b64 s[24:25], s[24:25], 8
	s_add_u32 s24, s4, s24
	s_addc_u32 s25, s5, s25
.LBB43_10:                              ;   in Loop: Header=BB43_6 Depth=1
	v_perm_b32 v3, v67, v66, s3
	v_perm_b32 v2, v63, v62, s3
	v_perm_b32 v5, v65, v64, s3
	v_perm_b32 v4, v61, v60, s3
	ds_write_b64 v90, v[2:3]
	ds_write_b64 v91, v[4:5]
	ds_write_b64 v93, v[2:3]
	ds_write_b64 v94, v[4:5]
	v_perm_b32 v3, v59, v58, s3
	v_perm_b32 v2, v55, v54, s3
	v_perm_b32 v5, v57, v56, s3
	v_perm_b32 v4, v53, v52, s3
	ds_write_b64 v92, v[2:3]
	ds_write_b64 v95, v[4:5]
	ds_write_b64 v96, v[2:3]
	ds_write_b64 v97, v[4:5]
	;; [unrolled: 8-line block ×4, first 2 shown]
	s_waitcnt lgkmcnt(0)
	s_barrier
	ds_read_b64 v[6:7], v106 offset:49152
	ds_read2_b64 v[2:5], v107 offset1:16
	ds_read_b64 v[18:19], v109 offset:6144
	ds_read_b64 v[20:21], v107 offset:6144
	s_waitcnt lgkmcnt(2)
	v_mfma_f32_16x16x16_bf16 a[0:3], v[6:7], v[2:3], 0
	ds_read_b64 v[22:23], v108 offset:49152
	ds_read2st64_b64 v[10:13], v110 offset0:4 offset1:8
	ds_read2st64_b64 v[14:17], v111 offset0:4 offset1:8
	v_mfma_f32_16x16x16_bf16 a[4:7], v[6:7], v[4:5], 0
	ds_read2_b64 v[2:5], v107 offset0:32 offset1:48
	s_add_i32 s27, s61, 63
	s_mul_i32 s42, s27, s31
	s_waitcnt lgkmcnt(0)
	v_mfma_f32_16x16x16_bf16 a[8:11], v[6:7], v[2:3], 0
	s_mul_hi_u32 s43, s27, s30
	s_add_i32 s43, s43, s42
	s_mul_i32 s42, s27, s30
	v_mfma_f32_16x16x16_bf16 a[12:15], v[6:7], v[4:5], 0
	ds_read2st64_b64 v[2:5], v107 offset0:4 offset1:8
	ds_read2st64_b64 v[6:9], v109 offset0:4 offset1:8
	s_lshl_b64 s[42:43], s[42:43], 2
	s_waitcnt lgkmcnt(1)
	v_mfma_f32_16x16x16_bf16 a[0:3], v[22:23], v[2:3], a[0:3]
	s_add_u32 s42, s40, s42
	s_addc_u32 s43, s41, s43
	s_and_b64 vcc, exec, s[0:1]
	s_waitcnt lgkmcnt(0)
	v_mfma_f32_16x16x16_bf16 a[4:7], v[22:23], v[6:7], a[4:7]
	v_mov_b32_e32 v135, 0
	v_mov_b32_e32 v134, 0
	;; [unrolled: 1-line block ×3, first 2 shown]
	v_mfma_f32_16x16x16_bf16 a[8:11], v[22:23], v[10:11], a[8:11]
	ds_read_b64 v[2:3], v112 offset:49152
	ds_read_b64 v[6:7], v113 offset:49152
	;; [unrolled: 1-line block ×3, first 2 shown]
	v_mfma_f32_16x16x16_bf16 a[12:15], v[22:23], v[14:15], a[12:15]
	v_mov_b32_e32 v14, 0
	v_mov_b32_e32 v15, 0
	s_waitcnt lgkmcnt(2)
	v_mfma_f32_16x16x16_bf16 a[0:3], v[2:3], v[4:5], a[0:3]
	v_mov_b32_e32 v4, 0
	v_mov_b32_e32 v5, 0
	v_mfma_f32_16x16x16_bf16 a[16:19], v[2:3], v[8:9], a[4:7]
	v_mov_b32_e32 v8, 0
	v_mov_b32_e32 v9, 0
	;; [unrolled: 3-line block ×3, first 2 shown]
	v_mfma_f32_16x16x16_bf16 a[24:27], v[2:3], v[16:17], a[12:15]
	ds_read_b64 v[2:3], v110 offset:6144
	v_mov_b32_e32 v16, 0
	v_mov_b32_e32 v17, 0
	s_waitcnt lgkmcnt(2)
	v_mfma_f32_16x16x16_bf16 a[4:7], v[6:7], v[20:21], a[0:3]
	v_mfma_f32_16x16x16_bf16 a[8:11], v[6:7], v[18:19], a[16:19]
	s_waitcnt lgkmcnt(0)
	v_mfma_f32_16x16x16_bf16 a[12:15], v[6:7], v[2:3], a[20:23]
	v_mov_b32_e32 v2, 0
	v_mov_b32_e32 v3, 0
	v_mfma_f32_16x16x16_bf16 a[0:3], v[6:7], v[10:11], a[24:27]
	v_mov_b32_e32 v6, 0
	v_mov_b32_e32 v7, 0
	;; [unrolled: 1-line block ×4, first 2 shown]
	s_cbranch_vccnz .LBB43_12
; %bb.11:                               ;   in Loop: Header=BB43_6 Depth=1
	s_and_b32 s21, s21, 0xffff
	buffer_load_dwordx4 v[14:17], v86, s[20:23], 0 offen
	buffer_load_dwordx4 v[10:13], v86, s[20:23], s60 offen
	;; [unrolled: 1-line block ×4, first 2 shown]
	v_mov_b32_e32 v134, v88
	v_mov_b32_e32 v133, v89
.LBB43_12:                              ;   in Loop: Header=BB43_6 Depth=1
	ds_read_b64 v[30:31], v106 offset:57344
	ds_read2_b64 v[18:21], v114 offset1:16
	ds_read_b64 v[136:137], v108 offset:57344
	ds_read_b64 v[138:139], v112 offset:57344
	;; [unrolled: 1-line block ×3, first 2 shown]
	v_add_u32_e32 v32, s61, v82
	s_waitcnt lgkmcnt(3)
	v_mfma_f32_16x16x16_bf16 a[4:7], v[30:31], v[18:19], a[4:7]
	v_mfma_f32_16x16x16_bf16 a[8:11], v[30:31], v[20:21], a[8:11]
	ds_read2_b64 v[18:21], v114 offset0:32 offset1:48
	ds_read2st64_b64 v[22:25], v114 offset0:4 offset1:8
	ds_read2st64_b64 v[26:29], v115 offset0:4 offset1:8
	s_waitcnt lgkmcnt(2)
	v_mfma_f32_16x16x16_bf16 a[12:15], v[30:31], v[18:19], a[12:15]
	v_ashrrev_i32_e32 v18, 31, v32
	v_mul_lo_u32 v33, v18, s30
	v_mad_u64_u32 v[18:19], s[20:21], v32, s30, 0
	v_mfma_f32_16x16x16_bf16 a[0:3], v[30:31], v[20:21], a[0:3]
	v_mul_lo_u32 v20, v32, s31
	v_add3_u32 v19, v19, v20, v33
	v_add_u32_e32 v20, 1, v32
	v_ashrrev_i32_e32 v21, 31, v20
	s_waitcnt lgkmcnt(1)
	v_mfma_f32_16x16x16_bf16 a[4:7], v[136:137], v[22:23], a[4:7]
	v_mul_lo_u32 v22, v21, s30
	v_mul_lo_u32 v23, v20, s31
	v_mad_u64_u32 v[20:21], s[20:21], v20, s30, 0
	v_add3_u32 v21, v21, v23, v22
	v_add_u32_e32 v22, 2, v32
	v_ashrrev_i32_e32 v23, 31, v22
	v_mul_lo_u32 v30, v23, s30
	v_mul_lo_u32 v31, v22, s31
	v_mad_u64_u32 v[22:23], s[20:21], v22, s30, 0
	v_add3_u32 v23, v23, v31, v30
	v_add_u32_e32 v30, 3, v32
	v_ashrrev_i32_e32 v31, 31, v30
	v_mul_lo_u32 v32, v31, s30
	v_mul_lo_u32 v33, v30, s31
	v_mad_u64_u32 v[30:31], s[20:21], v30, s30, 0
	s_add_u32 s20, s16, s61
	v_lshl_add_u64 v[18:19], v[18:19], 2, s[40:41]
	v_add3_u32 v31, v31, v33, v32
	s_addc_u32 s21, s17, 0
	v_lshl_add_u64 v[20:21], v[20:21], 2, s[40:41]
	global_load_dword v142, v[18:19], off
	v_lshl_add_u64 v[18:19], v[30:31], 2, s[40:41]
	s_lshl_b64 s[20:21], s[20:21], 8
	v_lshl_add_u64 v[22:23], v[22:23], 2, s[40:41]
	global_load_dword v143, v[20:21], off
	global_load_dword v144, v[22:23], off
	;; [unrolled: 1-line block ×3, first 2 shown]
	v_lshl_add_u64 v[18:19], v[70:71], 0, s[20:21]
	v_lshl_add_u64 v[22:23], v[18:19], 0, v[68:69]
	global_load_ushort v146, v[22:23], off offset:256
	global_load_ushort v147, v[22:23], off
	ds_read2st64_b64 v[18:21], v116 offset0:4 offset1:8
	global_load_ushort v148, v[22:23], off offset:768
	global_load_ushort v149, v[22:23], off offset:512
	ds_read2st64_b64 v[30:33], v117 offset0:4 offset1:8
	global_load_ushort v150, v[22:23], off offset:288
	global_load_ushort v151, v[22:23], off offset:32
	;; [unrolled: 1-line block ×4, first 2 shown]
	s_waitcnt lgkmcnt(2)
	v_mfma_f32_16x16x16_bf16 a[8:11], v[136:137], v[26:27], a[8:11]
	global_load_ushort v154, v[22:23], off offset:320
	global_load_ushort v155, v[22:23], off offset:64
	;; [unrolled: 1-line block ×4, first 2 shown]
	s_and_b64 vcc, exec, s[0:1]
	s_waitcnt lgkmcnt(1)
	v_mfma_f32_16x16x16_bf16 a[12:15], v[136:137], v[18:19], a[12:15]
	ds_read_b64 v[18:19], v114 offset:6144
	s_waitcnt lgkmcnt(1)
	v_mfma_f32_16x16x16_bf16 a[0:3], v[136:137], v[30:31], a[0:3]
	v_lshl_add_u64 v[30:31], v[72:73], 0, s[20:21]
	v_lshl_add_u64 v[30:31], v[30:31], 0, v[68:69]
	v_mfma_f32_16x16x16_bf16 a[4:7], v[138:139], v[24:25], a[4:7]
	v_mfma_f32_16x16x16_bf16 a[8:11], v[138:139], v[28:29], a[8:11]
	;; [unrolled: 1-line block ×4, first 2 shown]
	global_load_ushort v138, v[22:23], off offset:352
	global_load_ushort v139, v[22:23], off offset:96
	ds_read_b64 v[20:21], v115 offset:6144
	ds_read_b64 v[24:25], v116 offset:6144
	;; [unrolled: 1-line block ×3, first 2 shown]
	s_load_dword s42, s[42:43], 0x0
	global_load_ushort v158, v[22:23], off offset:864
	global_load_ushort v159, v[22:23], off offset:608
	s_waitcnt lgkmcnt(0)
	v_mfma_f32_16x16x16_bf16 a[4:7], v[140:141], v[18:19], a[4:7]
	s_waitcnt vmcnt(17)
	v_sub_f32_e32 v28, s42, v144
	v_mfma_f32_16x16x16_bf16 a[0:3], v[140:141], v[26:27], a[0:3]
	v_sub_f32_e32 v26, s42, v142
	v_sub_f32_e32 v27, s42, v143
	s_waitcnt vmcnt(16)
	v_sub_f32_e32 v29, s42, v145
	v_mfma_f32_16x16x16_bf16 a[8:11], v[140:141], v[20:21], a[8:11]
	v_exp_f32_e32 v26, v26
	v_exp_f32_e32 v27, v27
	;; [unrolled: 1-line block ×4, first 2 shown]
	v_accvgpr_read_b32 v137, a5
	s_waitcnt vmcnt(15)
	v_lshlrev_b32_e32 v33, 16, v146
	s_waitcnt vmcnt(14)
	v_lshlrev_b32_e32 v32, 16, v147
	v_accvgpr_read_b32 v136, a4
	v_accvgpr_read_b32 v19, a7
	;; [unrolled: 1-line block ×3, first 2 shown]
	v_pk_add_f32 v[32:33], v[32:33], v[136:137] neg_lo:[0,1] neg_hi:[0,1]
	s_waitcnt vmcnt(13)
	v_lshlrev_b32_e32 v137, 16, v148
	s_waitcnt vmcnt(12)
	v_lshlrev_b32_e32 v136, 16, v149
	v_pk_add_f32 v[18:19], v[136:137], v[18:19] neg_lo:[0,1] neg_hi:[0,1]
	global_store_short_d16_hi v[30:31], v32, off
	global_store_short_d16_hi v[30:31], v33, off offset:256
	global_store_short_d16_hi v[30:31], v18, off offset:512
	;; [unrolled: 1-line block ×3, first 2 shown]
	v_pk_mul_f32 v[32:33], v[26:27], v[32:33]
	v_pk_mul_f32 v[18:19], v[28:29], v[18:19]
	v_accvgpr_read_b32 v137, a9
	v_perm_b32 v32, v33, v32, s3
	v_perm_b32 v33, v19, v18, s3
	s_waitcnt vmcnt(15)
	v_lshlrev_b32_e32 v19, 16, v150
	s_waitcnt vmcnt(14)
	v_lshlrev_b32_e32 v18, 16, v151
	v_accvgpr_read_b32 v136, a8
	v_accvgpr_read_b32 v21, a11
	v_mfma_f32_16x16x16_bf16 a[12:15], v[140:141], v[24:25], a[12:15]
	v_accvgpr_read_b32 v20, a10
	v_pk_add_f32 v[18:19], v[18:19], v[136:137] neg_lo:[0,1] neg_hi:[0,1]
	s_waitcnt vmcnt(13)
	v_lshlrev_b32_e32 v137, 16, v152
	s_waitcnt vmcnt(12)
	v_lshlrev_b32_e32 v136, 16, v153
	v_pk_add_f32 v[20:21], v[136:137], v[20:21] neg_lo:[0,1] neg_hi:[0,1]
	global_store_short_d16_hi v[30:31], v18, off offset:32
	global_store_short_d16_hi v[30:31], v19, off offset:288
	;; [unrolled: 1-line block ×4, first 2 shown]
	v_pk_mul_f32 v[18:19], v[26:27], v[18:19]
	v_pk_mul_f32 v[20:21], v[28:29], v[20:21]
	v_accvgpr_read_b32 v23, a15
	v_perm_b32 v21, v21, v20, s3
	v_perm_b32 v20, v19, v18, s3
	ds_write2_b64 v91, v[32:33], v[20:21] offset1:16
	v_accvgpr_read_b32 v21, a13
	s_waitcnt vmcnt(15)
	v_lshlrev_b32_e32 v19, 16, v154
	s_waitcnt vmcnt(14)
	v_lshlrev_b32_e32 v18, 16, v155
	v_accvgpr_read_b32 v20, a12
	v_accvgpr_read_b32 v22, a14
	v_pk_add_f32 v[18:19], v[18:19], v[20:21] neg_lo:[0,1] neg_hi:[0,1]
	s_waitcnt vmcnt(13)
	v_lshlrev_b32_e32 v21, 16, v156
	s_waitcnt vmcnt(12)
	v_lshlrev_b32_e32 v20, 16, v157
	v_pk_add_f32 v[20:21], v[20:21], v[22:23] neg_lo:[0,1] neg_hi:[0,1]
	global_store_short_d16_hi v[30:31], v18, off offset:64
	global_store_short_d16_hi v[30:31], v19, off offset:320
	;; [unrolled: 1-line block ×4, first 2 shown]
	v_pk_mul_f32 v[18:19], v[26:27], v[18:19]
	v_pk_mul_f32 v[20:21], v[28:29], v[20:21]
	v_accvgpr_read_b32 v23, a1
	v_perm_b32 v18, v19, v18, s3
	v_perm_b32 v19, v21, v20, s3
	s_waitcnt vmcnt(15)
	v_lshlrev_b32_e32 v21, 16, v138
	s_waitcnt vmcnt(14)
	v_lshlrev_b32_e32 v20, 16, v139
	v_accvgpr_read_b32 v22, a0
	v_accvgpr_read_b32 v25, a3
	;; [unrolled: 1-line block ×3, first 2 shown]
	v_pk_add_f32 v[20:21], v[20:21], v[22:23] neg_lo:[0,1] neg_hi:[0,1]
	s_waitcnt vmcnt(13)
	v_lshlrev_b32_e32 v23, 16, v158
	s_waitcnt vmcnt(12)
	v_lshlrev_b32_e32 v22, 16, v159
	v_pk_add_f32 v[22:23], v[22:23], v[24:25] neg_lo:[0,1] neg_hi:[0,1]
	global_store_short_d16_hi v[30:31], v20, off offset:96
	global_store_short_d16_hi v[30:31], v21, off offset:352
	;; [unrolled: 1-line block ×4, first 2 shown]
	v_pk_mul_f32 v[20:21], v[26:27], v[20:21]
	v_pk_mul_f32 v[22:23], v[28:29], v[22:23]
	v_mov_b32_e32 v136, 0
	v_perm_b32 v23, v23, v22, s3
	v_perm_b32 v22, v21, v20, s3
	ds_write2_b64 v91, v[18:19], v[22:23] offset0:32 offset1:48
	v_mov_b32_e32 v18, 0
	v_mov_b32_e32 v19, 0
	;; [unrolled: 1-line block ×16, first 2 shown]
	s_cbranch_vccnz .LBB43_14
; %bb.13:                               ;   in Loop: Header=BB43_6 Depth=1
	s_and_b32 s25, s25, 0xffff
	s_mov_b32 s27, s23
	buffer_load_dwordx4 v[30:33], v128, s[24:27], 0 offen
	buffer_load_dwordx4 v[22:25], v128, s[24:27], s60 offen
	;; [unrolled: 1-line block ×4, first 2 shown]
	v_mov_b32_e32 v135, v85
	v_mov_b32_e32 v136, v84
.LBB43_14:                              ;   in Loop: Header=BB43_6 Depth=1
	s_waitcnt lgkmcnt(0)
	s_barrier
	ds_read_b64 v[146:147], v35
	ds_read2_b64 v[138:141], v121 offset1:16
	ds_read_b64 v[162:163], v130
	ds_read_b64 v[164:165], v131
	;; [unrolled: 1-line block ×3, first 2 shown]
	ds_read2_b64 v[142:145], v121 offset0:32 offset1:48
	s_waitcnt lgkmcnt(4)
	v_mfma_f32_16x16x16_bf16 a[0:3], v[146:147], v[138:139], 0
	ds_read2st64_b64 v[150:153], v123 offset0:4 offset1:8
	ds_read2st64_b64 v[154:157], v124 offset0:4 offset1:8
	;; [unrolled: 1-line block ×3, first 2 shown]
	v_mfma_f32_16x16x16_bf16 a[4:7], v[146:147], v[140:141], 0
	s_add_i32 s20, s55, s67
	s_mul_hi_i32 s21, s20, s13
	s_mul_i32 s20, s20, s13
	s_waitcnt lgkmcnt(3)
	v_mfma_f32_16x16x16_bf16 a[8:11], v[146:147], v[142:143], 0
	s_add_u32 s20, s20, s48
	s_addc_u32 s21, s21, s49
	s_lshl_b64 s[20:21], s[20:21], 15
	v_mfma_f32_16x16x16_bf16 a[12:15], v[146:147], v[144:145], 0
	ds_read2st64_b64 v[146:149], v121 offset0:4 offset1:8
	s_waitcnt lgkmcnt(0)
	v_mfma_f32_16x16x16_bf16 a[0:3], v[162:163], v[146:147], a[0:3]
	v_mfma_f32_16x16x16_bf16 a[4:7], v[162:163], v[150:151], a[4:7]
	;; [unrolled: 1-line block ×8, first 2 shown]
	ds_read_b64 v[162:163], v121 offset:6144
	ds_read_b64 v[164:165], v122 offset:40960
	;; [unrolled: 1-line block ×8, first 2 shown]
	s_waitcnt lgkmcnt(5)
	v_mfma_f32_16x16x16_bf16 a[16:19], v[168:169], v[138:139], 0
	v_mfma_f32_16x16x16_bf16 a[20:23], v[168:169], v[140:141], 0
	ds_read2st64_b64 v[138:141], v118 offset1:8
	v_mfma_f32_16x16x16_bf16 a[24:27], v[168:169], v[142:143], 0
	v_mfma_f32_16x16x16_bf16 a[28:31], v[168:169], v[144:145], 0
	ds_read2st64_b64 v[142:145], v119 offset1:8
	v_mfma_f32_16x16x16_bf16 a[16:19], v[164:165], v[146:147], a[16:19]
	s_waitcnt lgkmcnt(1)
	v_mov_b32_e32 v146, v138
	v_mov_b32_e32 v147, v139
	v_mfma_f32_16x16x16_bf16 a[20:23], v[164:165], v[150:151], a[20:23]
	v_lshl_add_u64 v[150:151], v[74:75], 0, s[20:21]
	v_mfma_f32_16x16x16_bf16 a[24:27], v[164:165], v[154:155], a[24:27]
	v_mfma_f32_16x16x16_bf16 a[28:31], v[164:165], v[158:159], a[28:31]
	;; [unrolled: 1-line block ×3, first 2 shown]
	s_waitcnt lgkmcnt(0)
	v_mov_b32_e32 v148, v142
	v_mov_b32_e32 v149, v143
	;; [unrolled: 1-line block ×3, first 2 shown]
	v_mfma_f32_16x16x16_bf16 a[32:35], v[176:177], v[152:153], a[20:23]
	v_mov_b32_e32 v143, v141
	ds_read2st64_b64 v[138:141], v118 offset0:16 offset1:24
	global_store_dwordx4 v[150:151], v[146:149], off
	v_mfma_f32_16x16x16_bf16 a[24:27], v[176:177], v[156:157], a[24:27]
	ds_read2st64_b64 v[146:149], v119 offset0:16 offset1:24
	v_add_co_u32_e32 v152, vcc, s35, v150
	v_mfma_f32_16x16x16_bf16 a[28:31], v[176:177], v[160:161], a[28:31]
	s_nop 0
	v_addc_co_u32_e32 v153, vcc, 0, v151, vcc
	global_store_dwordx4 v[152:153], v[142:145], off offset:-4096
	v_mfma_f32_16x16x16_bf16 a[0:3], v[166:167], v[162:163], a[0:3]
	s_waitcnt lgkmcnt(1)
	v_mov_b32_e32 v142, v138
	v_add_co_u32_e32 v138, vcc, s37, v150
	v_mfma_f32_16x16x16_bf16 a[4:7], v[166:167], v[170:171], a[4:7]
	v_mov_b32_e32 v143, v139
	v_addc_co_u32_e32 v139, vcc, 0, v151, vcc
	v_mfma_f32_16x16x16_bf16 a[8:11], v[166:167], v[172:173], a[8:11]
	s_waitcnt lgkmcnt(0)
	v_mov_b32_e32 v144, v146
	v_mov_b32_e32 v145, v147
	;; [unrolled: 1-line block ×3, first 2 shown]
	v_mfma_f32_16x16x16_bf16 a[12:15], v[166:167], v[174:175], a[12:15]
	v_mov_b32_e32 v147, v141
	s_and_b64 vcc, exec, s[0:1]
	global_store_dwordx4 v[152:153], v[142:145], off
	v_mfma_f32_16x16x16_bf16 a[20:23], v[178:179], v[162:163], a[16:19]
	global_store_dwordx4 v[138:139], v[146:149], off
	v_mfma_f32_16x16x16_bf16 a[16:19], v[178:179], v[170:171], a[32:35]
	v_mfma_f32_16x16x16_bf16 a[24:27], v[178:179], v[172:173], a[24:27]
	;; [unrolled: 1-line block ×3, first 2 shown]
	s_cbranch_vccnz .LBB43_16
; %bb.15:                               ;   in Loop: Header=BB43_6 Depth=1
	v_lshrrev_b32_e32 v137, 3, v135
	v_and_b32_e32 v137, 6, v137
	v_xor_b32_e32 v136, v137, v136
	v_lshlrev_b32_e32 v136, 2, v136
	v_and_b32_e32 v135, 8, v135
	v_xor_b32_e32 v138, 0x440, v136
	v_cmp_eq_u32_e32 vcc, 0, v135
	s_barrier
	s_nop 0
	v_cndmask_b32_e32 v135, v138, v136, vcc
	v_lshl_or_b32 v135, v137, 10, v135
	s_waitcnt vmcnt(5)
	v_perm_b32 v136, v30, v26, s62
	s_waitcnt vmcnt(4)
	v_perm_b32 v137, v22, v18, s62
	ds_write2st64_b32 v135, v136, v137 offset0:128 offset1:160
	v_xor_b32_e32 v136, 8, v135
	v_perm_b32 v26, v30, v26, s63
	v_perm_b32 v18, v22, v18, s63
	v_add_u32_e32 v22, 0x80, v136
	ds_write2st64_b32 v22, v26, v18 offset0:128 offset1:160
	v_xor_b32_e32 v18, 16, v135
	v_perm_b32 v22, v31, v27, s62
	v_perm_b32 v26, v23, v19, s62
	ds_write2st64_b32 v18, v22, v26 offset0:129 offset1:161
	v_xor_b32_e32 v18, 24, v135
	v_perm_b32 v22, v31, v27, s63
	v_perm_b32 v19, v23, v19, s63
	v_add_u32_e32 v18, 0x80, v18
	ds_write2st64_b32 v18, v22, v19 offset0:129 offset1:161
	v_xor_b32_e32 v18, 32, v135
	v_perm_b32 v19, v32, v28, s62
	;; [unrolled: 9-line block ×3, first 2 shown]
	v_perm_b32 v20, v25, v21, s62
	ds_write2st64_b32 v18, v19, v20 offset0:131 offset1:163
	v_xor_b32_e32 v18, 56, v135
	v_perm_b32 v19, v33, v29, s63
	v_perm_b32 v20, v25, v21, s63
	v_add_u32_e32 v18, 0x80, v18
	ds_write2st64_b32 v18, v19, v20 offset0:131 offset1:163
	ds_write_b64 v134, v[14:15] offset:49152
	v_xor_b32_e32 v14, 8, v134
	ds_write_b64 v14, v[16:17] offset:49152
	ds_write_b64 v134, v[10:11] offset:57344
	;; [unrolled: 1-line block ×4, first 2 shown]
	v_xor_b32_e32 v6, 8, v133
	ds_write_b64 v6, v[8:9] offset:49152
	ds_write_b64 v133, v[2:3] offset:57344
	;; [unrolled: 1-line block ×3, first 2 shown]
.LBB43_16:                              ;   in Loop: Header=BB43_6 Depth=1
	v_exp_f32_e32 v134, s42
	v_accvgpr_read_b32 v5, a3
	v_accvgpr_read_b32 v9, a7
	;; [unrolled: 1-line block ×4, first 2 shown]
	s_waitcnt vmcnt(4)
	v_accvgpr_read_b32 v18, a20
	v_accvgpr_read_b32 v25, a19
	;; [unrolled: 1-line block ×28, first 2 shown]
	s_add_i32 s61, s61, 64
	v_pk_fma_f32 v[62:63], v[62:63], v[134:135], v[2:3] op_sel_hi:[1,0,1]
	v_pk_fma_f32 v[66:67], v[66:67], v[134:135], v[4:5] op_sel_hi:[1,0,1]
	;; [unrolled: 1-line block ×15, first 2 shown]
	s_cmp_eq_u32 s52, s66
	v_pk_fma_f32 v[40:41], v[40:41], v[134:135], v[32:33] op_sel_hi:[1,0,1]
	s_cbranch_scc1 .LBB43_18
; %bb.17:                               ;   in Loop: Header=BB43_6 Depth=1
	s_mov_b32 s67, s66
	s_branch .LBB43_6
.LBB43_18:
	s_lshl_b32 s26, s52, 6
	s_sub_i32 s27, s12, s26
	s_cmp_gt_i32 s27, 0
	s_cbranch_scc0 .LBB43_99
; %bb.19:
	s_ashr_i32 s3, s26, 31
	s_cmpk_lg_i32 s15, 0x80
	s_cselect_b64 s[22:23], -1, 0
	s_and_b64 vcc, exec, s[22:23]
	s_cbranch_vccz .LBB43_21
; %bb.20:
	s_mul_i32 s1, s51, s12
	s_mul_hi_i32 s0, s51, s12
	s_add_u32 s1, s1, s26
	s_addc_u32 s0, s0, s3
	s_mul_i32 s17, s1, s53
	s_mul_hi_u32 s20, s1, s14
	s_add_i32 s17, s20, s17
	s_mul_i32 s0, s0, s14
	s_add_i32 s17, s17, s0
	s_mul_i32 s1, s1, s14
	s_ashr_i32 s0, s54, 31
	s_add_u32 s24, s1, s54
	s_addc_u32 s25, s17, s0
	s_cbranch_execz .LBB43_22
	s_branch .LBB43_23
.LBB43_21:
                                        ; implicit-def: $sgpr24_sgpr25
.LBB43_22:
	s_mul_hi_i32 s0, s51, s14
	s_mul_i32 s51, s51, s14
	s_ashr_i32 s1, s54, 31
	s_add_u32 s14, s51, s54
	s_addc_u32 s0, s0, s1
	s_mul_i32 s1, s14, s50
	s_mul_hi_u32 s17, s14, s12
	s_add_i32 s1, s17, s1
	s_mul_i32 s0, s0, s12
	s_add_i32 s1, s1, s0
	s_mul_i32 s14, s14, s12
	s_add_u32 s24, s14, s26
	s_addc_u32 s25, s1, s3
.LBB43_23:
	s_mul_i32 s0, s38, s50
	s_add_i32 s0, s57, s0
	s_add_i32 s14, s55, s52
	;; [unrolled: 1-line block ×3, first 2 shown]
	s_add_u32 s0, s16, s26
	v_lshlrev_b32_e32 v6, 6, v82
	v_lshlrev_b32_e32 v24, 2, v79
	s_addc_u32 s1, s1, s3
	s_mov_b32 s3, 0x7060302
	v_or_b32_e32 v9, v6, v24
	v_xor_b32_e32 v7, v82, v24
	v_perm_b32 v3, v67, v66, s3
	v_perm_b32 v2, v63, v62, s3
	;; [unrolled: 1-line block ×4, first 2 shown]
	v_lshlrev_b32_e32 v9, 1, v9
	v_xor_b32_e32 v8, v83, v24
	ds_write2st64_b64 v9, v[2:3], v[4:5] offset0:32 offset1:48
	v_lshlrev_b32_e32 v7, 1, v7
	v_lshlrev_b32_e32 v9, 8, v79
	v_or_b32_e32 v10, v7, v9
	v_lshlrev_b32_e32 v8, 1, v8
	ds_write_b64 v10, v[2:3]
	v_or_b32_e32 v2, v8, v9
	v_or_b32_e32 v9, 16, v79
	v_lshlrev_b32_e32 v23, 2, v9
	v_or_b32_e32 v10, v6, v23
	ds_write_b64 v2, v[4:5]
	v_perm_b32 v3, v59, v58, s3
	v_perm_b32 v2, v55, v54, s3
	;; [unrolled: 1-line block ×4, first 2 shown]
	v_lshlrev_b32_e32 v10, 1, v10
	v_lshlrev_b32_e32 v9, 8, v9
	ds_write2st64_b64 v10, v[2:3], v[4:5] offset0:32 offset1:48
	v_or_b32_e32 v10, v7, v9
	ds_write_b64 v10, v[2:3]
	v_or_b32_e32 v2, v8, v9
	v_or_b32_e32 v9, 32, v79
	v_lshlrev_b32_e32 v22, 2, v9
	v_or_b32_e32 v10, v6, v22
	ds_write_b64 v2, v[4:5]
	v_perm_b32 v3, v51, v50, s3
	v_perm_b32 v2, v47, v46, s3
	;; [unrolled: 1-line block ×4, first 2 shown]
	v_lshlrev_b32_e32 v10, 1, v10
	v_lshlrev_b32_e32 v9, 8, v9
	s_lshl_b64 s[20:21], s[0:1], 8
	ds_write2st64_b64 v10, v[2:3], v[4:5] offset0:32 offset1:48
	v_or_b32_e32 v10, v7, v9
	s_waitcnt lgkmcnt(0)
	s_add_u32 s0, s6, s20
	ds_write_b64 v10, v[2:3]
	v_or_b32_e32 v2, v8, v9
	s_addc_u32 s1, s7, s21
	ds_write_b64 v2, v[4:5]
	v_perm_b32 v3, v43, v42, s3
	v_perm_b32 v2, v39, v38, s3
	;; [unrolled: 1-line block ×4, first 2 shown]
	v_or_b32_e32 v9, 48, v79
	s_mul_hi_i32 s3, s14, s13
	s_mul_i32 s14, s14, s13
	v_lshlrev_b32_e32 v19, 2, v9
	s_add_u32 s6, s14, s48
	v_or_b32_e32 v6, v6, v19
	s_addc_u32 s7, s3, s49
	v_lshlrev_b32_e32 v6, 1, v6
	s_ashr_i32 s3, s2, 31
	s_lshl_b64 s[6:7], s[6:7], 15
	ds_write2st64_b64 v6, v[2:3], v[4:5] offset0:32 offset1:48
	v_lshlrev_b32_e32 v6, 8, v9
	s_add_u32 s6, s18, s6
	v_or_b32_e32 v7, v7, v6
	s_addc_u32 s7, s19, s7
	s_lshl_b64 s[2:3], s[2:3], 8
	ds_write_b64 v7, v[2:3]
	v_or_b32_e32 v2, v8, v6
	s_add_u32 s2, s6, s2
	v_lshlrev_b32_e32 v3, 1, v79
	ds_write_b64 v2, v[4:5]
	v_lshrrev_b32_e32 v2, 4, v0
	s_addc_u32 s3, s7, s3
	v_or_b32_e32 v4, 1, v3
	v_lshlrev_b32_e32 v10, 4, v79
	v_mov_b32_e32 v11, 0
	v_xor_b32_e32 v3, v2, v3
	v_xor_b32_e32 v6, v4, v2
	v_lshl_add_u64 v[12:13], s[2:3], 0, v[10:11]
	v_lshlrev_b32_e32 v10, 8, v2
	v_lshl_or_b32 v16, v3, 3, v10
	v_lshl_or_b32 v17, v6, 3, v10
	s_waitcnt lgkmcnt(0)
	s_barrier
	ds_read2st64_b64 v[2:5], v16 offset1:8
	ds_read2st64_b64 v[6:9], v17 offset1:8
	v_lshl_add_u64 v[14:15], v[12:13], 0, v[10:11]
	s_movk_i32 s2, 0x2000
	s_cmp_lg_u32 s27, 64
	s_waitcnt lgkmcnt(1)
	v_mov_b32_e32 v10, v2
	v_mov_b32_e32 v11, v3
	s_waitcnt lgkmcnt(0)
	v_mov_b32_e32 v12, v6
	v_mov_b32_e32 v13, v7
	global_store_dwordx4 v[14:15], v[10:13], off
	v_mov_b32_e32 v6, v4
	v_mov_b32_e32 v7, v5
	ds_read2st64_b64 v[2:5], v16 offset0:16 offset1:24
	ds_read2st64_b64 v[10:13], v17 offset0:16 offset1:24
	v_add_co_u32_e32 v16, vcc, s2, v14
	s_cselect_b64 s[6:7], -1, 0
	s_nop 0
	v_addc_co_u32_e32 v17, vcc, 0, v15, vcc
	global_store_dwordx4 v[16:17], v[6:9], off offset:-4096
	v_lshl_or_b32 v25, v77, 3, v80
	s_mov_b32 s16, 0
	s_waitcnt lgkmcnt(1)
	v_mov_b32_e32 v6, v2
	v_add_co_u32_e32 v2, vcc, 0x3000, v14
	v_mov_b32_e32 v7, v3
	s_nop 0
	v_addc_co_u32_e32 v3, vcc, 0, v15, vcc
	s_waitcnt lgkmcnt(0)
	v_mov_b32_e32 v8, v10
	v_mov_b32_e32 v9, v11
	;; [unrolled: 1-line block ×4, first 2 shown]
	v_or_b32_e32 v20, 32, v25
	v_and_b32_e32 v18, 56, v81
	s_and_b64 vcc, exec, s[6:7]
	global_store_dwordx4 v[16:17], v[6:9], off
	global_store_dwordx4 v[2:3], v[10:13], off
	s_cbranch_vccz .LBB43_29
; %bb.24:
	s_mov_b32 s17, s16
	s_mov_b32 s18, s16
	;; [unrolled: 1-line block ×3, first 2 shown]
	v_mov_b64_e32 v[6:7], s[16:17]
	v_mov_b64_e32 v[8:9], s[18:19]
	;; [unrolled: 1-line block ×3, first 2 shown]
	v_cmp_gt_i32_e32 vcc, s27, v25
	v_mov_b64_e32 v[4:5], v[8:9]
	s_and_saveexec_b64 s[2:3], vcc
	s_cbranch_execz .LBB43_26
; %bb.25:
	v_lshlrev_b32_e32 v2, 8, v25
	v_mov_b32_e32 v3, 0
	v_lshl_add_u64 v[4:5], s[0:1], 0, v[2:3]
	v_lshlrev_b32_e32 v2, 1, v18
	v_lshl_add_u64 v[10:11], v[4:5], 0, v[2:3]
	global_load_dwordx4 v[6:9], v[10:11], off
	global_load_dwordx4 v[2:5], v[10:11], off offset:128
.LBB43_26:
	s_or_b64 exec, exec, s[2:3]
	s_mov_b32 s17, s16
	s_mov_b32 s18, s16
	;; [unrolled: 1-line block ×3, first 2 shown]
	v_mov_b64_e32 v[14:15], s[16:17]
	v_mov_b64_e32 v[16:17], s[18:19]
	v_mov_b64_e32 v[10:11], v[14:15]
	v_cmp_gt_i32_e32 vcc, s27, v20
	v_lshlrev_b32_e32 v21, 7, v20
	v_mov_b64_e32 v[12:13], v[16:17]
	s_and_saveexec_b64 s[2:3], vcc
	s_cbranch_execz .LBB43_28
; %bb.27:
	v_lshlrev_b32_e32 v10, 1, v21
	v_mov_b32_e32 v11, 0
	v_lshl_add_u64 v[12:13], s[0:1], 0, v[10:11]
	v_lshlrev_b32_e32 v10, 1, v18
	v_lshl_add_u64 v[26:27], v[12:13], 0, v[10:11]
	global_load_dwordx4 v[14:17], v[26:27], off
	global_load_dwordx4 v[10:13], v[26:27], off offset:128
.LBB43_28:
	s_or_b64 exec, exec, s[2:3]
	v_lshrrev_b32_e32 v26, 3, v18
	v_lshlrev_b32_e32 v27, 3, v25
	v_or_b32_e32 v26, v27, v26
	v_lshlrev_b32_e32 v26, 4, v26
	v_and_b32_e32 v27, 0x78, v27
	v_xor_b32_e32 v26, v26, v27
	s_branch .LBB43_31
.LBB43_29:
                                        ; implicit-def: $vgpr26
                                        ; implicit-def: $vgpr21
                                        ; implicit-def: $vgpr6_vgpr7_vgpr8_vgpr9
                                        ; implicit-def: $vgpr2_vgpr3_vgpr4_vgpr5
                                        ; implicit-def: $vgpr14_vgpr15_vgpr16_vgpr17
                                        ; implicit-def: $vgpr10_vgpr11_vgpr12_vgpr13
	s_cbranch_execz .LBB43_31
; %bb.30:
	s_waitcnt vmcnt(0)
	v_lshlrev_b32_e32 v2, 1, v18
	v_lshl_or_b32 v21, v25, 8, v2
	s_and_b32 s1, s1, 0xffff
	s_mov_b32 s3, 0x20000
	s_movk_i32 s2, 0x4000
	v_lshl_or_b32 v26, v20, 8, v2
	s_movk_i32 s13, 0x80
	buffer_load_dwordx4 v[6:9], v21, s[0:3], 0 offen
	buffer_load_dwordx4 v[2:5], v21, s[0:3], s13 offen
	;; [unrolled: 1-line block ×4, first 2 shown]
	v_lshrrev_b32_e32 v21, 3, v18
	v_lshlrev_b32_e32 v26, 3, v25
	v_or_b32_e32 v21, v26, v21
	v_lshlrev_b32_e32 v21, 4, v21
	v_and_b32_e32 v26, 0x78, v26
	v_xor_b32_e32 v26, v21, v26
	v_lshlrev_b32_e32 v21, 7, v20
.LBB43_31:
	s_movk_i32 s0, 0x1000
	v_and_or_b32 v20, v21, s0, v26
	s_waitcnt vmcnt(1)
	ds_write_b64 v26, v[6:7] offset:49152
	v_xor_b32_e32 v6, 8, v26
	ds_write_b64 v6, v[8:9] offset:49152
	s_waitcnt vmcnt(0)
	ds_write_b64 v26, v[2:3] offset:57344
	ds_write_b64 v6, v[4:5] offset:57344
	ds_write_b64 v20, v[14:15] offset:49152
	v_xor_b32_e32 v2, 8, v20
	ds_write_b64 v2, v[16:17] offset:49152
	ds_write_b64 v20, v[10:11] offset:57344
	;; [unrolled: 1-line block ×3, first 2 shown]
	v_or_b32_e32 v2, v1, v79
	v_lshlrev_b32_e32 v3, 11, v77
	v_lshlrev_b32_e32 v2, 3, v2
	v_and_b32_e32 v6, 0x1000, v3
	v_lshrrev_b32_e32 v3, 5, v76
	s_movk_i32 s0, 0xf8
	v_and_or_b32 v3, v2, s0, v3
	v_lshlrev_b32_e32 v7, 4, v3
	v_and_b32_e32 v8, 0x78, v2
	v_or_b32_e32 v10, 32, v7
	v_lshrrev_b32_e32 v3, 1, v76
	v_xor_b32_e32 v10, v10, v8
	v_xor_b32_e32 v2, v7, v8
	v_and_b32_e32 v9, 8, v3
	v_or_b32_e32 v10, v10, v6
	v_or_b32_e32 v2, v2, v6
	v_xor_b32_e32 v28, v10, v9
	v_or_b32_e32 v10, 64, v7
	v_xor_b32_e32 v27, v2, v9
	v_xor_b32_e32 v10, v10, v8
	s_waitcnt lgkmcnt(0)
	s_barrier
	v_or_b32_e32 v13, v10, v6
	ds_read_b64 v[10:11], v27 offset:49152
	v_lshl_or_b32 v14, v78, 8, v24
	v_lshlrev_b32_e32 v26, 1, v14
	v_add_u32_e32 v12, 0x4000, v26
	ds_read2_b64 v[2:5], v12 offset1:16
	v_or_b32_e32 v7, 0x60, v7
	v_xor_b32_e32 v7, v7, v8
	v_or_b32_e32 v6, v7, v6
	v_xor_b32_e32 v29, v13, v9
	v_xor_b32_e32 v30, v6, v9
	ds_read_b64 v[20:21], v28 offset:49152
	ds_read_b64 v[36:37], v29 offset:49152
	;; [unrolled: 1-line block ×3, first 2 shown]
	s_waitcnt lgkmcnt(3)
	v_mfma_f32_16x16x16_bf16 a[0:3], v[10:11], v[2:3], 0
	ds_read2st64_b64 v[6:9], v26 offset0:36 offset1:40
	s_lshl_b64 s[0:1], s[24:25], 8
	s_add_u32 s4, s4, s0
	v_mfma_f32_16x16x16_bf16 a[4:7], v[10:11], v[4:5], 0
	ds_read2_b64 v[2:5], v12 offset0:32 offset1:48
	s_addc_u32 s5, s5, s1
	s_add_i32 s1, s44, s33
	s_waitcnt lgkmcnt(0)
	v_mfma_f32_16x16x16_bf16 a[8:11], v[10:11], v[2:3], 0
	v_or_b32_e32 v2, 64, v14
	v_lshlrev_b32_e32 v31, 1, v2
	s_add_i32 s0, s12, -1
	v_mfma_f32_16x16x16_bf16 a[12:15], v[10:11], v[4:5], 0
	ds_read2st64_b64 v[2:5], v31 offset0:36 offset1:40
	s_add_i32 s37, s1, s39
	s_add_i32 s1, s46, s45
	v_mfma_f32_16x16x16_bf16 a[0:3], v[20:21], v[6:7], a[0:3]
	v_or_b32_e32 v6, 0x80, v14
	v_lshlrev_b32_e32 v32, 1, v6
	ds_read2st64_b64 v[10:13], v32 offset0:36 offset1:40
	s_waitcnt lgkmcnt(1)
	v_mfma_f32_16x16x16_bf16 a[4:7], v[20:21], v[2:3], a[4:7]
	v_or_b32_e32 v2, 0xc0, v14
	v_lshlrev_b32_e32 v33, 1, v2
	ds_read2st64_b64 v[14:17], v33 offset0:36 offset1:40
	s_add_i32 s35, s1, s47
	s_ashr_i32 s1, s0, 31
	s_mul_i32 s2, s0, s31
	s_mul_hi_u32 s3, s0, s30
	s_add_i32 s2, s3, s2
	s_mul_i32 s1, s1, s30
	s_waitcnt lgkmcnt(1)
	v_mfma_f32_16x16x16_bf16 a[8:11], v[20:21], v[10:11], a[8:11]
	s_add_i32 s1, s2, s1
	s_lshl_b64 s[2:3], s[36:37], 2
	s_add_u32 s10, s10, s2
	s_waitcnt lgkmcnt(0)
	v_mfma_f32_16x16x16_bf16 a[12:15], v[20:21], v[14:15], a[12:15]
	s_addc_u32 s11, s11, s3
	s_lshl_b64 s[2:3], s[34:35], 2
	s_mul_i32 s0, s0, s30
	v_mfma_f32_16x16x16_bf16 a[0:3], v[36:37], v[8:9], a[0:3]
	ds_read_b64 v[2:3], v26 offset:22528
	s_add_u32 s10, s10, s2
	s_addc_u32 s11, s11, s3
	v_mfma_f32_16x16x16_bf16 a[4:7], v[36:37], v[4:5], a[4:7]
	ds_read_b64 v[4:5], v31 offset:22528
	ds_read_b64 v[6:7], v32 offset:22528
	;; [unrolled: 1-line block ×3, first 2 shown]
	s_lshl_b64 s[0:1], s[0:1], 2
	s_add_u32 s0, s10, s0
	v_mfma_f32_16x16x16_bf16 a[8:11], v[36:37], v[12:13], a[8:11]
	s_addc_u32 s1, s11, s1
	s_load_dword s12, s[0:1], 0x0
	s_and_b64 vcc, exec, s[22:23]
	v_mfma_f32_16x16x16_bf16 a[12:15], v[36:37], v[16:17], a[12:15]
	s_waitcnt lgkmcnt(0)
	v_mfma_f32_16x16x16_bf16 a[0:3], v[38:39], v[2:3], a[0:3]
	v_mfma_f32_16x16x16_bf16 a[4:7], v[38:39], v[4:5], a[4:7]
	;; [unrolled: 1-line block ×4, first 2 shown]
	s_cbranch_vccz .LBB43_42
; %bb.32:
	v_lshlrev_b32_e32 v20, 1, v25
	s_and_b64 vcc, exec, s[6:7]
	s_cbranch_vccz .LBB43_43
; %bb.33:
	v_cmp_gt_i32_e32 vcc, s27, v20
	v_mov_b32_e32 v6, 0
	v_mov_b32_e32 v2, 0
	;; [unrolled: 1-line block ×5, first 2 shown]
	s_and_saveexec_b64 s[0:1], vcc
	s_cbranch_execz .LBB43_35
; %bb.34:
	v_mad_i64_i32 v[2:3], s[2:3], s15, v20, 0
	v_lshl_add_u64 v[2:3], v[2:3], 1, s[4:5]
	v_lshlrev_b32_e32 v4, 1, v18
	v_mov_b32_e32 v5, 0
	v_lshl_add_u64 v[2:3], v[2:3], 0, v[4:5]
	global_load_dwordx4 v[2:5], v[2:3], off
.LBB43_35:
	s_or_b64 exec, exec, s[0:1]
	v_or_b32_e32 v21, 1, v20
	v_cmp_gt_i32_e64 s[0:1], s27, v21
	v_mov_b32_e32 v7, 0
	v_mov_b32_e32 v8, 0
	;; [unrolled: 1-line block ×3, first 2 shown]
	s_and_saveexec_b64 s[2:3], s[0:1]
	s_cbranch_execz .LBB43_37
; %bb.36:
	v_mad_i64_i32 v[6:7], s[16:17], s15, v21, 0
	v_lshl_add_u64 v[6:7], v[6:7], 1, s[4:5]
	v_lshlrev_b32_e32 v8, 1, v18
	v_mov_b32_e32 v9, 0
	v_lshl_add_u64 v[6:7], v[6:7], 0, v[8:9]
	global_load_dwordx4 v[6:9], v[6:7], off
.LBB43_37:
	s_or_b64 exec, exec, s[2:3]
	v_mov_b32_e32 v17, 0
	v_mov_b32_e32 v10, 0
	;; [unrolled: 1-line block ×5, first 2 shown]
	s_and_saveexec_b64 s[2:3], vcc
	s_cbranch_execz .LBB43_39
; %bb.38:
	v_mad_i64_i32 v[10:11], s[16:17], s15, v20, 0
	v_lshl_add_u64 v[10:11], v[10:11], 1, s[4:5]
	v_lshlrev_b32_e32 v12, 1, v18
	v_mov_b32_e32 v13, 0
	v_lshl_add_u64 v[10:11], v[10:11], 0, v[12:13]
	global_load_dwordx4 v[10:13], v[10:11], off offset:128
.LBB43_39:
	s_or_b64 exec, exec, s[2:3]
	v_mov_b32_e32 v16, 0
	v_mov_b32_e32 v15, 0
	;; [unrolled: 1-line block ×3, first 2 shown]
	s_and_saveexec_b64 s[2:3], s[0:1]
	s_cbranch_execz .LBB43_41
; %bb.40:
	v_mad_i64_i32 v[14:15], s[0:1], s15, v21, 0
	v_lshl_add_u64 v[14:15], v[14:15], 1, s[4:5]
	v_lshlrev_b32_e32 v16, 1, v18
	v_mov_b32_e32 v17, 0
	v_lshl_add_u64 v[14:15], v[14:15], 0, v[16:17]
	global_load_dwordx4 v[14:17], v[14:15], off offset:128
.LBB43_41:
	s_or_b64 exec, exec, s[2:3]
	s_branch .LBB43_45
.LBB43_42:
                                        ; implicit-def: $vgpr5
                                        ; implicit-def: $vgpr9
                                        ; implicit-def: $vgpr13
                                        ; implicit-def: $vgpr17
	v_lshrrev_b32_e32 v35, 2, v76
	s_branch .LBB43_46
.LBB43_43:
                                        ; implicit-def: $vgpr5
                                        ; implicit-def: $vgpr9
                                        ; implicit-def: $vgpr13
                                        ; implicit-def: $vgpr17
	s_cbranch_execz .LBB43_45
; %bb.44:
	s_waitcnt vmcnt(0)
	v_mad_u64_u32 v[2:3], s[0:1], v20, s15, v[18:19]
	v_lshlrev_b32_e32 v20, 1, v2
	s_lshl_b32 s2, s15, 7
	s_and_b32 s1, s5, 0xffff
	s_mov_b32 s3, 0x20000
	s_mov_b32 s0, s4
	v_add_lshl_u32 v21, v2, s15, 1
	s_movk_i32 s13, 0x80
	buffer_load_dwordx4 v[2:5], v20, s[0:3], 0 offen
	buffer_load_dwordx4 v[10:13], v20, s[0:3], s13 offen
	;; [unrolled: 1-line block ×4, first 2 shown]
.LBB43_45:
	v_lshrrev_b32_e32 v35, 2, v76
	s_cbranch_execnz .LBB43_58
.LBB43_46:
	s_and_b64 vcc, exec, s[6:7]
	s_cbranch_vccz .LBB43_56
; %bb.47:
	s_waitcnt vmcnt(0)
	v_lshlrev_b32_e32 v7, 1, v25
	v_cmp_gt_i32_e32 vcc, s27, v7
	v_mov_b32_e32 v6, 0
	v_lshlrev_b32_e32 v14, 9, v25
	v_mov_b32_e32 v2, 0
	v_mov_b32_e32 v3, 0
	;; [unrolled: 1-line block ×4, first 2 shown]
	s_and_saveexec_b64 s[0:1], vcc
	s_cbranch_execz .LBB43_49
; %bb.48:
	v_mov_b32_e32 v15, 0
	v_lshl_add_u64 v[2:3], s[4:5], 0, v[14:15]
	v_lshlrev_b32_e32 v4, 1, v18
	v_mov_b32_e32 v5, v15
	v_lshl_add_u64 v[2:3], v[2:3], 0, v[4:5]
	global_load_dwordx4 v[2:5], v[2:3], off
.LBB43_49:
	s_or_b64 exec, exec, s[0:1]
	v_or_b32_e32 v7, 1, v7
	v_cmp_gt_i32_e64 s[0:1], s27, v7
	v_lshlrev_b32_e32 v20, 8, v7
	v_mov_b32_e32 v7, 0
	v_mov_b32_e32 v8, 0
	;; [unrolled: 1-line block ×3, first 2 shown]
	s_and_saveexec_b64 s[2:3], s[0:1]
	s_cbranch_execz .LBB43_51
; %bb.50:
	v_mov_b32_e32 v21, 0
	v_lshl_add_u64 v[6:7], s[4:5], 0, v[20:21]
	v_lshlrev_b32_e32 v8, 1, v18
	v_mov_b32_e32 v9, v21
	v_lshl_add_u64 v[6:7], v[6:7], 0, v[8:9]
	global_load_dwordx4 v[6:9], v[6:7], off
.LBB43_51:
	s_or_b64 exec, exec, s[2:3]
	v_mov_b32_e32 v17, 0
	v_mov_b32_e32 v10, 0
	;; [unrolled: 1-line block ×5, first 2 shown]
	s_and_saveexec_b64 s[2:3], vcc
	s_cbranch_execz .LBB43_53
; %bb.52:
	v_mov_b32_e32 v15, 0
	v_lshl_add_u64 v[10:11], s[4:5], 0, v[14:15]
	v_lshlrev_b32_e32 v14, 1, v18
	v_lshl_add_u64 v[10:11], v[10:11], 0, v[14:15]
	global_load_dwordx4 v[10:13], v[10:11], off offset:128
.LBB43_53:
	s_or_b64 exec, exec, s[2:3]
	v_mov_b32_e32 v16, 0
	v_mov_b32_e32 v15, 0
	;; [unrolled: 1-line block ×3, first 2 shown]
	s_and_saveexec_b64 s[2:3], s[0:1]
	s_cbranch_execz .LBB43_55
; %bb.54:
	v_mov_b32_e32 v21, 0
	v_lshl_add_u64 v[14:15], s[4:5], 0, v[20:21]
	v_lshlrev_b32_e32 v20, 1, v18
	v_lshl_add_u64 v[14:15], v[14:15], 0, v[20:21]
	global_load_dwordx4 v[14:17], v[14:15], off offset:128
.LBB43_55:
	s_or_b64 exec, exec, s[2:3]
	s_branch .LBB43_58
.LBB43_56:
                                        ; implicit-def: $vgpr5
                                        ; implicit-def: $vgpr9
                                        ; implicit-def: $vgpr13
                                        ; implicit-def: $vgpr17
	s_cbranch_execz .LBB43_58
; %bb.57:
	s_waitcnt vmcnt(0)
	v_lshlrev_b32_e32 v2, 1, v18
	v_lshl_or_b32 v18, v25, 9, v2
	s_and_b32 s5, s5, 0xffff
	s_mov_b32 s7, 0x20000
	s_movk_i32 s6, 0x4000
	s_movk_i32 s0, 0x80
	buffer_load_dwordx4 v[2:5], v18, s[4:7], 0 offen
	buffer_load_dwordx4 v[6:9], v18, s[4:7], 0 offen offset:256
	buffer_load_dwordx4 v[10:13], v18, s[4:7], s0 offen
	buffer_load_dwordx4 v[14:17], v18, s[4:7], s0 offen offset:256
.LBB43_58:
	ds_read_b64 v[20:21], v27 offset:57344
	v_add_u32_e32 v18, 0x6000, v26
	ds_read2_b64 v[36:39], v18 offset1:16
	ds_read_b64 v[52:53], v28 offset:57344
	ds_read_b64 v[28:29], v29 offset:57344
	;; [unrolled: 1-line block ×3, first 2 shown]
	ds_read2st64_b64 v[40:43], v26 offset0:52 offset1:56
	s_mov_b32 s0, 0x1000504
	s_mov_b32 s1, 0x3020706
	s_waitcnt lgkmcnt(4)
	v_mfma_f32_16x16x16_bf16 a[0:3], v[20:21], v[36:37], a[0:3]
	v_mfma_f32_16x16x16_bf16 a[4:7], v[20:21], v[38:39], a[4:7]
	ds_read2_b64 v[36:39], v18 offset0:32 offset1:48
	v_and_b32_e32 v18, 6, v0
	v_xor_b32_e32 v25, v25, v18
	s_waitcnt lgkmcnt(0)
	v_mfma_f32_16x16x16_bf16 a[8:11], v[20:21], v[36:37], a[8:11]
	v_lshlrev_b32_e32 v25, 2, v25
	v_and_b32_e32 v0, 1, v0
	v_cmp_eq_u32_e32 vcc, 0, v0
	v_mfma_f32_16x16x16_bf16 a[12:15], v[20:21], v[38:39], a[12:15]
	ds_read2st64_b64 v[36:39], v31 offset0:52 offset1:56
	ds_read2st64_b64 v[44:47], v32 offset0:52 offset1:56
	;; [unrolled: 1-line block ×3, first 2 shown]
	ds_read_b64 v[20:21], v26 offset:30720
	ds_read_b64 v[26:27], v31 offset:30720
	;; [unrolled: 1-line block ×4, first 2 shown]
	s_waitcnt lgkmcnt(6)
	v_mfma_f32_16x16x16_bf16 a[4:7], v[52:53], v[36:37], a[4:7]
	v_xor_b32_e32 v36, 0x440, v25
	v_cndmask_b32_e32 v0, v36, v25, vcc
	v_lshl_or_b32 v0, v18, 10, v0
	v_mfma_f32_16x16x16_bf16 a[0:3], v[52:53], v[40:41], a[0:3]
	s_waitcnt vmcnt(0)
	v_perm_b32 v18, v2, v6, s0
	v_perm_b32 v25, v10, v14, s0
	ds_write2st64_b32 v0, v18, v25 offset0:128 offset1:160
	s_waitcnt lgkmcnt(6)
	v_mfma_f32_16x16x16_bf16 a[8:11], v[52:53], v[44:45], a[8:11]
	v_xor_b32_e32 v18, 8, v0
	v_perm_b32 v2, v2, v6, s1
	v_perm_b32 v6, v10, v14, s1
	s_waitcnt lgkmcnt(5)
	v_mfma_f32_16x16x16_bf16 a[12:15], v[52:53], v[48:49], a[12:15]
	v_add_u32_e32 v10, 0x80, v18
	ds_write2st64_b32 v10, v2, v6 offset0:128 offset1:160
	v_xor_b32_e32 v2, 16, v0
	v_mfma_f32_16x16x16_bf16 a[0:3], v[28:29], v[42:43], a[0:3]
	v_perm_b32 v6, v3, v7, s0
	v_perm_b32 v10, v11, v15, s0
	ds_write2st64_b32 v2, v6, v10 offset0:129 offset1:161
	v_mfma_f32_16x16x16_bf16 a[4:7], v[28:29], v[38:39], a[4:7]
	v_xor_b32_e32 v2, 24, v0
	v_perm_b32 v3, v3, v7, s1
	v_perm_b32 v6, v11, v15, s1
	v_mfma_f32_16x16x16_bf16 a[16:19], v[28:29], v[46:47], a[8:11]
	v_add_u32_e32 v2, 0x80, v2
	ds_write2st64_b32 v2, v3, v6 offset0:129 offset1:161
	v_xor_b32_e32 v2, 32, v0
	v_mfma_f32_16x16x16_bf16 a[20:23], v[28:29], v[50:51], a[12:15]
	v_perm_b32 v3, v4, v8, s0
	v_perm_b32 v6, v12, v16, s0
	ds_write2st64_b32 v2, v3, v6 offset0:130 offset1:162
	s_waitcnt lgkmcnt(8)
	v_mfma_f32_16x16x16_bf16 a[12:15], v[54:55], v[20:21], a[0:3]
	v_xor_b32_e32 v2, 40, v0
	v_perm_b32 v3, v4, v8, s1
	v_perm_b32 v4, v12, v16, s1
	s_waitcnt lgkmcnt(7)
	v_mfma_f32_16x16x16_bf16 a[8:11], v[54:55], v[26:27], a[4:7]
	v_add_u32_e32 v2, 0x80, v2
	ds_write2st64_b32 v2, v3, v4 offset0:130 offset1:162
	v_xor_b32_e32 v2, 48, v0
	s_waitcnt lgkmcnt(7)
	v_mfma_f32_16x16x16_bf16 a[4:7], v[54:55], v[30:31], a[16:19]
	v_perm_b32 v3, v5, v9, s0
	v_perm_b32 v4, v13, v17, s0
	v_xor_b32_e32 v0, 56, v0
	s_waitcnt lgkmcnt(6)
	v_mfma_f32_16x16x16_bf16 a[0:3], v[54:55], v[32:33], a[20:23]
	v_and_or_b32 v21, v35, 12, v1
	ds_write2st64_b32 v2, v3, v4 offset0:131 offset1:163
	v_perm_b32 v2, v5, v9, s1
	v_perm_b32 v3, v13, v17, s1
	v_add_u32_e32 v0, 0x80, v0
	v_cmp_gt_i32_e32 vcc, s27, v21
	v_mov_b32_e32 v16, 0
	v_mov_b32_e32 v18, 0
	ds_write2st64_b32 v0, v2, v3 offset0:131 offset1:163
	s_and_saveexec_b64 s[0:1], vcc
	s_cbranch_execz .LBB43_60
; %bb.59:
	v_add_u32_e32 v0, s26, v21
	v_ashrrev_i32_e32 v1, 31, v0
	v_mul_lo_u32 v2, v1, s30
	v_mul_lo_u32 v3, v0, s31
	v_mad_u64_u32 v[0:1], s[2:3], v0, s30, 0
	v_add3_u32 v1, v1, v3, v2
	v_lshl_add_u64 v[0:1], v[0:1], 2, s[10:11]
	global_load_dword v0, v[0:1], off
	s_waitcnt vmcnt(0)
	v_sub_f32_e32 v0, s12, v0
	v_exp_f32_e32 v18, v0
.LBB43_60:
	s_or_b64 exec, exec, s[0:1]
	v_or_b32_e32 v10, 1, v21
	v_cmp_gt_i32_e64 s[2:3], s27, v10
	s_and_saveexec_b64 s[0:1], s[2:3]
	s_cbranch_execz .LBB43_62
; %bb.61:
	v_add_u32_e32 v0, s26, v10
	v_ashrrev_i32_e32 v1, 31, v0
	v_mul_lo_u32 v2, v1, s30
	v_mul_lo_u32 v3, v0, s31
	v_mad_u64_u32 v[0:1], s[4:5], v0, s30, 0
	v_add3_u32 v1, v1, v3, v2
	v_lshl_add_u64 v[0:1], v[0:1], 2, s[10:11]
	global_load_dword v0, v[0:1], off
	s_waitcnt vmcnt(0)
	v_sub_f32_e32 v0, s12, v0
	v_exp_f32_e32 v16, v0
.LBB43_62:
	s_or_b64 exec, exec, s[0:1]
	v_or_b32_e32 v12, 2, v21
	v_cmp_gt_i32_e64 s[0:1], s27, v12
	v_mov_b32_e32 v17, 0
	v_mov_b32_e32 v20, 0
	s_and_saveexec_b64 s[4:5], s[0:1]
	s_cbranch_execz .LBB43_64
; %bb.63:
	v_add_u32_e32 v0, s26, v12
	v_ashrrev_i32_e32 v1, 31, v0
	v_mul_lo_u32 v2, v1, s30
	v_mul_lo_u32 v3, v0, s31
	v_mad_u64_u32 v[0:1], s[6:7], v0, s30, 0
	v_add3_u32 v1, v1, v3, v2
	v_lshl_add_u64 v[0:1], v[0:1], 2, s[10:11]
	global_load_dword v0, v[0:1], off
	s_waitcnt vmcnt(0)
	v_sub_f32_e32 v0, s12, v0
	v_exp_f32_e32 v20, v0
.LBB43_64:
	s_or_b64 exec, exec, s[4:5]
	v_or_b32_e32 v14, 3, v21
	v_cmp_gt_i32_e64 s[4:5], s27, v14
	s_and_saveexec_b64 s[6:7], s[4:5]
	s_cbranch_execz .LBB43_66
; %bb.65:
	v_add_u32_e32 v0, s26, v14
	v_ashrrev_i32_e32 v1, 31, v0
	v_mul_lo_u32 v2, v1, s30
	v_mul_lo_u32 v3, v0, s31
	v_mad_u64_u32 v[0:1], s[14:15], v0, s30, 0
	v_add3_u32 v1, v1, v3, v2
	v_lshl_add_u64 v[0:1], v[0:1], 2, s[10:11]
	global_load_dword v0, v[0:1], off
	s_waitcnt vmcnt(0)
	v_sub_f32_e32 v0, s12, v0
	v_exp_f32_e32 v17, v0
.LBB43_66:
	s_or_b64 exec, exec, s[6:7]
	s_add_u32 s6, s8, s20
	s_addc_u32 s7, s9, s21
	s_add_u32 s8, s28, s20
	v_ashrrev_i32_e32 v35, 31, v34
	v_accvgpr_read_b32 v0, a12
	s_addc_u32 s9, s29, s21
	v_lshlrev_b64 v[4:5], 1, v[34:35]
	v_accvgpr_read_b32 v1, a13
	v_accvgpr_read_b32 v2, a14
	;; [unrolled: 1-line block ×3, first 2 shown]
	v_lshl_add_u64 v[6:7], s[6:7], 0, v[4:5]
	v_lshl_add_u64 v[4:5], s[8:9], 0, v[4:5]
	v_mov_b32_e32 v11, 0
	v_lshlrev_b32_e32 v8, 8, v21
	v_mov_b32_e32 v9, 0
	s_and_saveexec_b64 s[6:7], vcc
	s_cbranch_execz .LBB43_68
; %bb.67:
	v_mov_b32_e32 v9, 0
	v_lshl_add_u64 v[26:27], v[6:7], 0, v[8:9]
	global_load_ushort v13, v[26:27], off
	v_lshl_add_u64 v[26:27], v[4:5], 0, v[8:9]
	s_waitcnt vmcnt(0)
	v_lshlrev_b32_e32 v9, 16, v13
	v_sub_f32_e32 v0, v9, v0
	global_store_short_d16_hi v[26:27], v0, off
	v_mul_f32_e32 v0, v18, v0
	v_lshrrev_b32_e32 v9, 16, v0
.LBB43_68:
	s_or_b64 exec, exec, s[6:7]
	v_lshlrev_b32_e32 v10, 8, v10
	s_and_saveexec_b64 s[6:7], s[2:3]
	s_cbranch_execz .LBB43_70
; %bb.69:
	v_mov_b32_e32 v11, 0
	v_lshl_add_u64 v[26:27], v[6:7], 0, v[10:11]
	global_load_ushort v0, v[26:27], off
	v_lshl_add_u64 v[26:27], v[4:5], 0, v[10:11]
	s_waitcnt vmcnt(0)
	v_lshlrev_b32_e32 v0, 16, v0
	v_sub_f32_e32 v0, v0, v1
	global_store_short_d16_hi v[26:27], v0, off
	v_mul_f32_e32 v0, v16, v0
	v_lshrrev_b32_e32 v11, 16, v0
.LBB43_70:
	s_or_b64 exec, exec, s[6:7]
	v_mov_b32_e32 v15, 0
	v_lshlrev_b32_e32 v12, 8, v12
	v_mov_b32_e32 v13, 0
	s_and_saveexec_b64 s[6:7], s[0:1]
	s_cbranch_execz .LBB43_72
; %bb.71:
	v_mov_b32_e32 v13, 0
	v_lshl_add_u64 v[0:1], v[6:7], 0, v[12:13]
	global_load_ushort v25, v[0:1], off
	v_lshl_add_u64 v[0:1], v[4:5], 0, v[12:13]
	s_waitcnt vmcnt(0)
	v_lshlrev_b32_e32 v13, 16, v25
	v_sub_f32_e32 v2, v13, v2
	global_store_short_d16_hi v[0:1], v2, off
	v_mul_f32_e32 v0, v20, v2
	v_lshrrev_b32_e32 v13, 16, v0
.LBB43_72:
	s_or_b64 exec, exec, s[6:7]
	v_lshlrev_b32_e32 v14, 8, v14
	s_and_saveexec_b64 s[6:7], s[4:5]
	s_cbranch_execz .LBB43_74
; %bb.73:
	v_mov_b32_e32 v15, 0
	v_lshl_add_u64 v[0:1], v[6:7], 0, v[14:15]
	global_load_ushort v2, v[0:1], off
	v_lshl_add_u64 v[0:1], v[4:5], 0, v[14:15]
	s_waitcnt vmcnt(0)
	v_lshlrev_b32_e32 v2, 16, v2
	v_sub_f32_e32 v2, v2, v3
	global_store_short_d16_hi v[0:1], v2, off
	v_mul_f32_e32 v0, v17, v2
	v_lshrrev_b32_e32 v15, 16, v0
.LBB43_74:
	s_or_b64 exec, exec, s[6:7]
	v_lshlrev_b32_e32 v21, 6, v21
	s_mov_b32 s6, 0x5040100
	v_perm_b32 v26, v11, v9, s6
	v_or_b32_e32 v9, v21, v24
	v_accvgpr_read_b32 v0, a8
	v_perm_b32 v27, v15, v13, s6
	v_lshlrev_b32_e32 v9, 1, v9
	v_accvgpr_read_b32 v1, a9
	v_accvgpr_read_b32 v2, a10
	;; [unrolled: 1-line block ×3, first 2 shown]
	ds_write_b64 v9, v[26:27] offset:24576
	v_mov_b32_e32 v11, 0
	v_mov_b32_e32 v9, 0
	s_and_saveexec_b64 s[6:7], vcc
	s_cbranch_execz .LBB43_76
; %bb.75:
	v_mov_b32_e32 v9, 0
	v_lshl_add_u64 v[24:25], v[6:7], 0, v[8:9]
	global_load_ushort v13, v[24:25], off offset:32
	v_lshl_add_u64 v[24:25], v[4:5], 0, v[8:9]
	s_waitcnt vmcnt(0)
	v_lshlrev_b32_e32 v9, 16, v13
	v_sub_f32_e32 v0, v9, v0
	global_store_short_d16_hi v[24:25], v0, off offset:32
	v_mul_f32_e32 v0, v18, v0
	v_lshrrev_b32_e32 v9, 16, v0
.LBB43_76:
	s_or_b64 exec, exec, s[6:7]
	s_and_saveexec_b64 s[6:7], s[2:3]
	s_cbranch_execz .LBB43_78
; %bb.77:
	v_mov_b32_e32 v11, 0
	v_lshl_add_u64 v[24:25], v[6:7], 0, v[10:11]
	global_load_ushort v0, v[24:25], off offset:32
	v_lshl_add_u64 v[24:25], v[4:5], 0, v[10:11]
	s_waitcnt vmcnt(0)
	v_lshlrev_b32_e32 v0, 16, v0
	v_sub_f32_e32 v0, v0, v1
	global_store_short_d16_hi v[24:25], v0, off offset:32
	v_mul_f32_e32 v0, v16, v0
	v_lshrrev_b32_e32 v11, 16, v0
.LBB43_78:
	s_or_b64 exec, exec, s[6:7]
	v_mov_b32_e32 v15, 0
	v_mov_b32_e32 v13, 0
	s_and_saveexec_b64 s[6:7], s[0:1]
	s_cbranch_execz .LBB43_80
; %bb.79:
	v_mov_b32_e32 v13, 0
	v_lshl_add_u64 v[0:1], v[6:7], 0, v[12:13]
	global_load_ushort v24, v[0:1], off offset:32
	v_lshl_add_u64 v[0:1], v[4:5], 0, v[12:13]
	s_waitcnt vmcnt(0)
	v_lshlrev_b32_e32 v13, 16, v24
	v_sub_f32_e32 v2, v13, v2
	global_store_short_d16_hi v[0:1], v2, off offset:32
	v_mul_f32_e32 v0, v20, v2
	v_lshrrev_b32_e32 v13, 16, v0
.LBB43_80:
	s_or_b64 exec, exec, s[6:7]
	s_and_saveexec_b64 s[6:7], s[4:5]
	s_cbranch_execz .LBB43_82
; %bb.81:
	v_mov_b32_e32 v15, 0
	v_lshl_add_u64 v[0:1], v[6:7], 0, v[14:15]
	global_load_ushort v2, v[0:1], off offset:32
	v_lshl_add_u64 v[0:1], v[4:5], 0, v[14:15]
	s_waitcnt vmcnt(0)
	v_lshlrev_b32_e32 v2, 16, v2
	v_sub_f32_e32 v2, v2, v3
	global_store_short_d16_hi v[0:1], v2, off offset:32
	v_mul_f32_e32 v0, v17, v2
	v_lshrrev_b32_e32 v15, 16, v0
.LBB43_82:
	s_or_b64 exec, exec, s[6:7]
	s_mov_b32 s6, 0x5040100
	v_perm_b32 v24, v11, v9, s6
	v_or_b32_e32 v9, v21, v23
	v_accvgpr_read_b32 v0, a4
	v_perm_b32 v25, v15, v13, s6
	v_lshlrev_b32_e32 v9, 1, v9
	v_accvgpr_read_b32 v1, a5
	v_accvgpr_read_b32 v2, a6
	;; [unrolled: 1-line block ×3, first 2 shown]
	ds_write_b64 v9, v[24:25] offset:24576
	v_mov_b32_e32 v11, 0
	v_mov_b32_e32 v9, 0
	s_and_saveexec_b64 s[6:7], vcc
	s_cbranch_execz .LBB43_84
; %bb.83:
	v_mov_b32_e32 v9, 0
	v_lshl_add_u64 v[24:25], v[6:7], 0, v[8:9]
	global_load_ushort v13, v[24:25], off offset:64
	v_lshl_add_u64 v[24:25], v[4:5], 0, v[8:9]
	s_waitcnt vmcnt(0)
	v_lshlrev_b32_e32 v9, 16, v13
	v_sub_f32_e32 v0, v9, v0
	global_store_short_d16_hi v[24:25], v0, off offset:64
	v_mul_f32_e32 v0, v18, v0
	v_lshrrev_b32_e32 v9, 16, v0
.LBB43_84:
	s_or_b64 exec, exec, s[6:7]
	s_and_saveexec_b64 s[6:7], s[2:3]
	s_cbranch_execz .LBB43_86
; %bb.85:
	v_mov_b32_e32 v11, 0
	v_lshl_add_u64 v[24:25], v[6:7], 0, v[10:11]
	global_load_ushort v0, v[24:25], off offset:64
	v_lshl_add_u64 v[24:25], v[4:5], 0, v[10:11]
	s_waitcnt vmcnt(0)
	v_lshlrev_b32_e32 v0, 16, v0
	v_sub_f32_e32 v0, v0, v1
	global_store_short_d16_hi v[24:25], v0, off offset:64
	v_mul_f32_e32 v0, v16, v0
	v_lshrrev_b32_e32 v11, 16, v0
.LBB43_86:
	s_or_b64 exec, exec, s[6:7]
	v_mov_b32_e32 v15, 0
	v_mov_b32_e32 v13, 0
	s_and_saveexec_b64 s[6:7], s[0:1]
	s_cbranch_execz .LBB43_88
; %bb.87:
	v_mov_b32_e32 v13, 0
	v_lshl_add_u64 v[0:1], v[6:7], 0, v[12:13]
	global_load_ushort v23, v[0:1], off offset:64
	v_lshl_add_u64 v[0:1], v[4:5], 0, v[12:13]
	s_waitcnt vmcnt(0)
	v_lshlrev_b32_e32 v13, 16, v23
	v_sub_f32_e32 v2, v13, v2
	global_store_short_d16_hi v[0:1], v2, off offset:64
	v_mul_f32_e32 v0, v20, v2
	v_lshrrev_b32_e32 v13, 16, v0
.LBB43_88:
	s_or_b64 exec, exec, s[6:7]
	s_and_saveexec_b64 s[6:7], s[4:5]
	s_cbranch_execz .LBB43_90
; %bb.89:
	v_mov_b32_e32 v15, 0
	v_lshl_add_u64 v[0:1], v[6:7], 0, v[14:15]
	global_load_ushort v2, v[0:1], off offset:64
	v_lshl_add_u64 v[0:1], v[4:5], 0, v[14:15]
	s_waitcnt vmcnt(0)
	v_lshlrev_b32_e32 v2, 16, v2
	v_sub_f32_e32 v2, v2, v3
	global_store_short_d16_hi v[0:1], v2, off offset:64
	v_mul_f32_e32 v0, v17, v2
	v_lshrrev_b32_e32 v15, 16, v0
.LBB43_90:
	s_or_b64 exec, exec, s[6:7]
	s_mov_b32 s6, 0x5040100
	v_perm_b32 v24, v11, v9, s6
	v_or_b32_e32 v9, v21, v22
	v_accvgpr_read_b32 v0, a0
	v_perm_b32 v25, v15, v13, s6
	v_lshlrev_b32_e32 v9, 1, v9
	v_accvgpr_read_b32 v1, a1
	v_accvgpr_read_b32 v2, a2
	;; [unrolled: 1-line block ×3, first 2 shown]
	ds_write_b64 v9, v[24:25] offset:24576
	v_mov_b32_e32 v11, 0
	v_mov_b32_e32 v9, 0
	s_and_saveexec_b64 s[6:7], vcc
	s_cbranch_execz .LBB43_92
; %bb.91:
	v_mov_b32_e32 v9, 0
	v_lshl_add_u64 v[22:23], v[6:7], 0, v[8:9]
	global_load_ushort v13, v[22:23], off offset:96
	v_lshl_add_u64 v[8:9], v[4:5], 0, v[8:9]
	s_waitcnt vmcnt(0)
	v_lshlrev_b32_e32 v13, 16, v13
	v_sub_f32_e32 v0, v13, v0
	global_store_short_d16_hi v[8:9], v0, off offset:96
	v_mul_f32_e32 v0, v18, v0
	v_lshrrev_b32_e32 v9, 16, v0
.LBB43_92:
	s_or_b64 exec, exec, s[6:7]
	s_and_saveexec_b64 s[6:7], s[2:3]
	s_cbranch_execz .LBB43_94
; %bb.93:
	v_mov_b32_e32 v11, 0
	v_lshl_add_u64 v[22:23], v[6:7], 0, v[10:11]
	global_load_ushort v0, v[22:23], off offset:96
	v_lshl_add_u64 v[10:11], v[4:5], 0, v[10:11]
	s_waitcnt vmcnt(0)
	v_lshlrev_b32_e32 v0, 16, v0
	v_sub_f32_e32 v0, v0, v1
	global_store_short_d16_hi v[10:11], v0, off offset:96
	v_mul_f32_e32 v0, v16, v0
	v_lshrrev_b32_e32 v11, 16, v0
.LBB43_94:
	s_or_b64 exec, exec, s[6:7]
	v_mov_b32_e32 v0, 0
	v_mov_b32_e32 v1, 0
	s_and_saveexec_b64 s[2:3], s[0:1]
	s_cbranch_execz .LBB43_96
; %bb.95:
	v_mov_b32_e32 v13, 0
	v_lshl_add_u64 v[22:23], v[6:7], 0, v[12:13]
	global_load_ushort v1, v[22:23], off offset:96
	v_lshl_add_u64 v[12:13], v[4:5], 0, v[12:13]
	s_waitcnt vmcnt(0)
	v_lshlrev_b32_e32 v1, 16, v1
	v_sub_f32_e32 v1, v1, v2
	global_store_short_d16_hi v[12:13], v1, off offset:96
	v_mul_f32_e32 v1, v20, v1
	v_lshrrev_b32_e32 v1, 16, v1
.LBB43_96:
	s_or_b64 exec, exec, s[2:3]
	s_and_saveexec_b64 s[0:1], s[4:5]
	s_cbranch_execz .LBB43_98
; %bb.97:
	v_mov_b32_e32 v15, 0
	v_lshl_add_u64 v[6:7], v[6:7], 0, v[14:15]
	global_load_ushort v0, v[6:7], off offset:96
	v_lshl_add_u64 v[4:5], v[4:5], 0, v[14:15]
	s_waitcnt vmcnt(0)
	v_lshlrev_b32_e32 v0, 16, v0
	v_sub_f32_e32 v0, v0, v3
	global_store_short_d16_hi v[4:5], v0, off offset:96
	v_mul_f32_e32 v0, v17, v0
	v_lshrrev_b32_e32 v0, 16, v0
.LBB43_98:
	s_or_b64 exec, exec, s[0:1]
	s_mov_b32 s0, 0x5040100
	v_or_b32_e32 v2, v21, v19
	v_perm_b32 v1, v0, v1, s0
	v_perm_b32 v0, v11, v9, s0
	v_lshlrev_b32_e32 v2, 1, v2
	ds_write_b64 v2, v[0:1] offset:24576
	s_waitcnt lgkmcnt(0)
	s_barrier
.LBB43_99:
	s_endpgm
	.section	.rodata,"a",@progbits
	.p2align	6, 0x0
	.amdhsa_kernel _ZN12_GLOBAL__N_139chunk_gated_delta_rule_fwd_h_hip_kernelILi64ELb1ELb0ELb1ELb0ELb1ELb0ELb1ELb1EEEvPK12hip_bfloat16S3_S3_PKfS5_PKvPS1_S8_PvPKiSB_iiiiilll
		.amdhsa_group_segment_fixed_size 65536
		.amdhsa_private_segment_fixed_size 0
		.amdhsa_kernarg_size 136
		.amdhsa_user_sgpr_count 2
		.amdhsa_user_sgpr_dispatch_ptr 0
		.amdhsa_user_sgpr_queue_ptr 0
		.amdhsa_user_sgpr_kernarg_segment_ptr 1
		.amdhsa_user_sgpr_dispatch_id 0
		.amdhsa_user_sgpr_kernarg_preload_length 0
		.amdhsa_user_sgpr_kernarg_preload_offset 0
		.amdhsa_user_sgpr_private_segment_size 0
		.amdhsa_uses_dynamic_stack 0
		.amdhsa_enable_private_segment 0
		.amdhsa_system_sgpr_workgroup_id_x 1
		.amdhsa_system_sgpr_workgroup_id_y 1
		.amdhsa_system_sgpr_workgroup_id_z 0
		.amdhsa_system_sgpr_workgroup_info 0
		.amdhsa_system_vgpr_workitem_id 0
		.amdhsa_next_free_vgpr 216
		.amdhsa_next_free_sgpr 68
		.amdhsa_accum_offset 180
		.amdhsa_reserve_vcc 1
		.amdhsa_float_round_mode_32 0
		.amdhsa_float_round_mode_16_64 0
		.amdhsa_float_denorm_mode_32 3
		.amdhsa_float_denorm_mode_16_64 3
		.amdhsa_dx10_clamp 1
		.amdhsa_ieee_mode 1
		.amdhsa_fp16_overflow 0
		.amdhsa_tg_split 0
		.amdhsa_exception_fp_ieee_invalid_op 0
		.amdhsa_exception_fp_denorm_src 0
		.amdhsa_exception_fp_ieee_div_zero 0
		.amdhsa_exception_fp_ieee_overflow 0
		.amdhsa_exception_fp_ieee_underflow 0
		.amdhsa_exception_fp_ieee_inexact 0
		.amdhsa_exception_int_div_zero 0
	.end_amdhsa_kernel
	.section	.text._ZN12_GLOBAL__N_139chunk_gated_delta_rule_fwd_h_hip_kernelILi64ELb1ELb0ELb1ELb0ELb1ELb0ELb1ELb1EEEvPK12hip_bfloat16S3_S3_PKfS5_PKvPS1_S8_PvPKiSB_iiiiilll,"axG",@progbits,_ZN12_GLOBAL__N_139chunk_gated_delta_rule_fwd_h_hip_kernelILi64ELb1ELb0ELb1ELb0ELb1ELb0ELb1ELb1EEEvPK12hip_bfloat16S3_S3_PKfS5_PKvPS1_S8_PvPKiSB_iiiiilll,comdat
.Lfunc_end43:
	.size	_ZN12_GLOBAL__N_139chunk_gated_delta_rule_fwd_h_hip_kernelILi64ELb1ELb0ELb1ELb0ELb1ELb0ELb1ELb1EEEvPK12hip_bfloat16S3_S3_PKfS5_PKvPS1_S8_PvPKiSB_iiiiilll, .Lfunc_end43-_ZN12_GLOBAL__N_139chunk_gated_delta_rule_fwd_h_hip_kernelILi64ELb1ELb0ELb1ELb0ELb1ELb0ELb1ELb1EEEvPK12hip_bfloat16S3_S3_PKfS5_PKvPS1_S8_PvPKiSB_iiiiilll
                                        ; -- End function
	.section	.AMDGPU.csdata,"",@progbits
; Kernel info:
; codeLenInByte = 11372
; NumSgprs: 74
; NumVgprs: 180
; NumAgprs: 36
; TotalNumVgprs: 216
; ScratchSize: 0
; MemoryBound: 0
; FloatMode: 240
; IeeeMode: 1
; LDSByteSize: 65536 bytes/workgroup (compile time only)
; SGPRBlocks: 9
; VGPRBlocks: 26
; NumSGPRsForWavesPerEU: 74
; NumVGPRsForWavesPerEU: 216
; AccumOffset: 180
; Occupancy: 1
; WaveLimiterHint : 1
; COMPUTE_PGM_RSRC2:SCRATCH_EN: 0
; COMPUTE_PGM_RSRC2:USER_SGPR: 2
; COMPUTE_PGM_RSRC2:TRAP_HANDLER: 0
; COMPUTE_PGM_RSRC2:TGID_X_EN: 1
; COMPUTE_PGM_RSRC2:TGID_Y_EN: 1
; COMPUTE_PGM_RSRC2:TGID_Z_EN: 0
; COMPUTE_PGM_RSRC2:TIDIG_COMP_CNT: 0
; COMPUTE_PGM_RSRC3_GFX90A:ACCUM_OFFSET: 44
; COMPUTE_PGM_RSRC3_GFX90A:TG_SPLIT: 0
	.section	.text._ZN12_GLOBAL__N_139chunk_gated_delta_rule_fwd_h_hip_kernelILi64ELb1ELb0ELb0ELb0ELb1ELb0ELb1ELb1EEEvPK12hip_bfloat16S3_S3_PKfS5_PKvPS1_S8_PvPKiSB_iiiiilll,"axG",@progbits,_ZN12_GLOBAL__N_139chunk_gated_delta_rule_fwd_h_hip_kernelILi64ELb1ELb0ELb0ELb0ELb1ELb0ELb1ELb1EEEvPK12hip_bfloat16S3_S3_PKfS5_PKvPS1_S8_PvPKiSB_iiiiilll,comdat
	.globl	_ZN12_GLOBAL__N_139chunk_gated_delta_rule_fwd_h_hip_kernelILi64ELb1ELb0ELb0ELb0ELb1ELb0ELb1ELb1EEEvPK12hip_bfloat16S3_S3_PKfS5_PKvPS1_S8_PvPKiSB_iiiiilll ; -- Begin function _ZN12_GLOBAL__N_139chunk_gated_delta_rule_fwd_h_hip_kernelILi64ELb1ELb0ELb0ELb0ELb1ELb0ELb1ELb1EEEvPK12hip_bfloat16S3_S3_PKfS5_PKvPS1_S8_PvPKiSB_iiiiilll
	.p2align	8
	.type	_ZN12_GLOBAL__N_139chunk_gated_delta_rule_fwd_h_hip_kernelILi64ELb1ELb0ELb0ELb0ELb1ELb0ELb1ELb1EEEvPK12hip_bfloat16S3_S3_PKfS5_PKvPS1_S8_PvPKiSB_iiiiilll,@function
_ZN12_GLOBAL__N_139chunk_gated_delta_rule_fwd_h_hip_kernelILi64ELb1ELb0ELb0ELb0ELb1ELb0ELb1ELb1EEEvPK12hip_bfloat16S3_S3_PKfS5_PKvPS1_S8_PvPKiSB_iiiiilll: ; @_ZN12_GLOBAL__N_139chunk_gated_delta_rule_fwd_h_hip_kernelILi64ELb1ELb0ELb0ELb0ELb1ELb0ELb1ELb1EEEvPK12hip_bfloat16S3_S3_PKfS5_PKvPS1_S8_PvPKiSB_iiiiilll
; %bb.0:
	s_load_dwordx4 s[12:15], s[0:1], 0x5c
	s_load_dwordx4 s[16:19], s[0:1], 0x28
	s_abs_i32 s6, s3
	s_ashr_i32 s5, s3, 31
	v_and_b32_e32 v77, 15, v0
	s_waitcnt lgkmcnt(0)
	s_abs_i32 s4, s13
	v_cvt_f32_u32_e32 v1, s4
	s_sub_i32 s8, 0, s4
	s_ashr_i32 s7, s13, 31
	s_xor_b32 s5, s5, s7
	v_rcp_iflag_f32_e32 v1, v1
	v_lshrrev_b32_e32 v75, 6, v0
	v_bfe_u32 v76, v0, 4, 2
	v_mov_b32_e32 v7, 0
	v_mul_f32_e32 v1, 0x4f7ffffe, v1
	v_cvt_u32_f32_e32 v1, v1
	v_and_b32_e32 v74, 63, v0
	v_lshlrev_b32_e32 v78, 3, v0
	v_lshrrev_b32_e32 v79, 3, v74
	v_readfirstlane_b32 s9, v1
	s_mul_i32 s8, s8, s9
	s_mul_hi_u32 s8, s9, s8
	s_add_i32 s9, s9, s8
	s_mul_hi_u32 s8, s6, s9
	s_mul_i32 s9, s8, s4
	s_sub_i32 s6, s6, s9
	s_add_i32 s10, s8, 1
	s_sub_i32 s9, s6, s4
	s_cmp_ge_u32 s6, s4
	s_cselect_b32 s8, s10, s8
	s_cselect_b32 s6, s9, s6
	s_add_i32 s9, s8, 1
	s_cmp_ge_u32 s6, s4
	s_cselect_b32 s6, s9, s8
	s_xor_b32 s6, s6, s5
	s_sub_i32 s49, s6, s5
	s_mul_i32 s6, s49, s13
	s_sub_i32 s46, s3, s6
	s_abs_i32 s3, s14
	v_cvt_f32_u32_e32 v1, s3
	s_add_i32 s8, s12, 63
	s_ashr_i32 s9, s8, 31
	s_lshr_b32 s5, s9, 26
	v_rcp_iflag_f32_e32 v1, v1
	s_ashr_i32 s48, s12, 31
	s_add_i32 s8, s8, s5
	s_lshr_b32 s5, s48, 26
	v_mul_f32_e32 v1, 0x4f7ffffe, v1
	v_cvt_u32_f32_e32 v1, v1
	s_add_i32 s5, s12, s5
	s_ashr_i32 s51, s14, 31
	s_ashr_i32 s24, s8, 6
	;; [unrolled: 1-line block ×3, first 2 shown]
	s_xor_b32 s5, s7, s51
	s_sub_i32 s7, 0, s3
	v_readfirstlane_b32 s8, v1
	s_mul_i32 s7, s7, s8
	s_mul_hi_u32 s7, s8, s7
	s_add_i32 s8, s8, s7
	s_mul_hi_u32 s7, s4, s8
	s_mul_i32 s8, s7, s3
	s_sub_i32 s4, s4, s8
	s_lshl_b32 s2, s2, 6
	s_add_i32 s8, s7, 1
	s_sub_i32 s9, s4, s3
	s_cmp_ge_u32 s4, s3
	s_cselect_b32 s7, s8, s7
	s_cselect_b32 s4, s9, s4
	s_add_i32 s8, s7, 1
	s_cmp_ge_u32 s4, s3
	s_cselect_b32 s3, s8, s7
	s_xor_b32 s3, s3, s5
	s_sub_i32 s3, s3, s5
	s_abs_i32 s4, s3
	v_cvt_f32_u32_e32 v1, s4
	s_sub_i32 s7, 0, s4
	s_abs_i32 s5, s46
	s_xor_b32 s3, s46, s3
	v_rcp_iflag_f32_e32 v1, v1
	s_ashr_i32 s3, s3, 31
	v_or_b32_e32 v34, s2, v77
	v_lshlrev_b32_e32 v2, 7, v34
	v_mul_f32_e32 v1, 0x4f7ffffe, v1
	v_cvt_u32_f32_e32 v1, v1
	v_or_b32_e32 v10, 0x800, v2
	v_ashrrev_i32_e32 v3, 31, v2
	v_ashrrev_i32_e32 v11, 31, v10
	v_readfirstlane_b32 s8, v1
	s_mul_i32 s7, s7, s8
	s_mul_hi_u32 s7, s8, s7
	s_add_i32 s8, s8, s7
	s_mul_hi_u32 s7, s5, s8
	s_mul_i32 s8, s7, s4
	s_sub_i32 s5, s5, s8
	s_add_i32 s8, s7, 1
	s_sub_i32 s9, s5, s4
	s_cmp_ge_u32 s5, s4
	s_cselect_b32 s7, s8, s7
	s_cselect_b32 s5, s9, s5
	s_add_i32 s8, s7, 1
	s_cmp_ge_u32 s5, s4
	s_cselect_b32 s4, s8, s7
	s_xor_b32 s4, s4, s3
	s_sub_i32 s52, s4, s3
	s_ashr_i32 s3, s49, 31
	s_ashr_i32 s47, s46, 31
	s_mul_hi_i32 s4, s49, s13
	s_add_u32 s36, s6, s46
	s_addc_u32 s37, s4, s47
	s_lshl_b64 s[4:5], s[36:37], 15
	v_lshlrev_b32_e32 v1, 4, v75
	s_add_u32 s4, s16, s4
	v_lshl_or_b32 v80, v76, 2, v1
	s_addc_u32 s5, s17, s5
	v_lshl_add_u64 v[4:5], v[2:3], 1, s[4:5]
	v_lshlrev_b32_e32 v6, 1, v80
	v_lshl_add_u64 v[10:11], v[10:11], 1, s[4:5]
	v_lshl_add_u64 v[4:5], v[4:5], 0, v[6:7]
	;; [unrolled: 1-line block ×3, first 2 shown]
	global_load_dwordx2 v[8:9], v[4:5], off
	v_or_b32_e32 v81, 64, v80
	global_load_dwordx2 v[4:5], v[4:5], off offset:128
	s_nop 0
	global_load_dwordx2 v[12:13], v[10:11], off
	global_load_dwordx2 v[14:15], v[10:11], off offset:128
	v_or_b32_e32 v10, 0x1000, v2
	v_or_b32_e32 v2, 0x1800, v2
	v_ashrrev_i32_e32 v11, 31, v10
	v_ashrrev_i32_e32 v3, 31, v2
	v_lshl_add_u64 v[10:11], v[10:11], 1, s[4:5]
	v_lshl_add_u64 v[2:3], v[2:3], 1, s[4:5]
	;; [unrolled: 1-line block ×4, first 2 shown]
	global_load_dwordx2 v[16:17], v[10:11], off
	s_mul_i32 s53, s49, s24
	global_load_dwordx2 v[10:11], v[10:11], off offset:128
	s_nop 0
	global_load_dwordx2 v[6:7], v[2:3], off
	global_load_dwordx2 v[18:19], v[2:3], off offset:128
	s_load_dwordx8 s[4:11], s[0:1], 0x0
	s_load_dwordx2 s[28:29], s[0:1], 0x80
	s_load_dwordx4 s[20:23], s[0:1], 0x70
	s_cmp_lt_i32 s12, 64
	s_mul_i32 s54, s37, s12
	s_mul_hi_u32 s55, s36, s12
	s_mul_i32 s16, s36, s12
	s_waitcnt lgkmcnt(0)
	s_mul_i32 s33, s49, s21
	s_mul_hi_u32 s42, s49, s20
	s_mul_i32 s37, s3, s20
	s_mul_i32 s34, s49, s20
	;; [unrolled: 1-line block ×3, first 2 shown]
	s_mul_hi_u32 s44, s46, s22
	s_mul_i32 s45, s47, s22
	s_mul_i32 s30, s46, s22
	s_waitcnt vmcnt(7)
	v_and_b32_e32 v63, 0xffff0000, v8
	v_lshlrev_b32_e32 v62, 16, v8
	v_and_b32_e32 v67, 0xffff0000, v9
	v_lshlrev_b32_e32 v66, 16, v9
	s_waitcnt vmcnt(6)
	v_and_b32_e32 v61, 0xffff0000, v4
	v_lshlrev_b32_e32 v60, 16, v4
	v_and_b32_e32 v65, 0xffff0000, v5
	v_lshlrev_b32_e32 v64, 16, v5
	;; [unrolled: 5-line block ×8, first 2 shown]
	s_cbranch_scc1 .LBB44_18
; %bb.1:
	s_add_i32 s17, s55, s54
	s_lshl_b64 s[0:1], s[16:17], 8
	v_and_b32_e32 v83, 56, v78
	s_add_u32 s20, s6, s0
	v_lshl_or_b32 v82, v75, 3, v79
	v_lshlrev_b32_e32 v2, 1, v83
	s_addc_u32 s0, s7, s1
	v_lshl_or_b32 v84, v82, 8, v2
	s_and_b32 s21, s0, 0xffff
	s_mov_b32 s23, 0x20000
	s_movk_i32 s22, 0x4000
	s_movk_i32 s0, 0x80
	v_or_b32_e32 v85, 0x2000, v84
	buffer_load_dwordx4 v[4:7], v84, s[20:23], 0 offen
	buffer_load_dwordx4 v[8:11], v84, s[20:23], s0 offen
	;; [unrolled: 1-line block ×4, first 2 shown]
	v_lshlrev_b32_e32 v3, 3, v82
	v_and_or_b32 v21, v0, 7, v3
	v_and_b32_e32 v3, 0x78, v3
	v_lshlrev_b32_e32 v21, 4, v21
	v_xor_b32_e32 v86, v21, v3
	v_mul_lo_u32 v20, v82, s15
	v_or_b32_e32 v87, 0x1000, v86
	v_xor_b32_e32 v3, 8, v86
	s_cmpk_eq_i32 s15, 0x80
	s_mov_b32 s56, s14
	v_xor_b32_e32 v21, 8, v87
	s_cselect_b64 s[0:1], -1, 0
	s_cmpk_lg_i32 s15, 0x80
	s_waitcnt vmcnt(3)
	ds_write_b64 v86, v[4:5] offset:49152
	ds_write_b64 v3, v[6:7] offset:49152
	s_waitcnt vmcnt(2)
	ds_write_b64 v86, v[8:9] offset:57344
	ds_write_b64 v3, v[10:11] offset:57344
	;; [unrolled: 3-line block ×4, first 2 shown]
	v_lshl_add_u32 v3, v20, 1, v83
	s_cbranch_scc0 .LBB44_3
; %bb.2:
	v_lshlrev_b32_e32 v5, 1, v3
	v_add_lshl_u32 v4, v3, s15, 1
	s_lshl_b32 s22, s15, 7
	v_lshl_or_b32 v2, v82, 9, v2
	s_cbranch_execz .LBB44_4
	s_branch .LBB44_5
.LBB44_3:
                                        ; implicit-def: $vgpr4
                                        ; implicit-def: $vgpr5
                                        ; implicit-def: $sgpr22
	v_lshl_or_b32 v2, v82, 9, v2
.LBB44_4:
	v_or_b32_e32 v4, 0x100, v2
	s_movk_i32 s22, 0x4000
	v_mov_b32_e32 v5, v2
.LBB44_5:
	s_mul_hi_u32 s20, s14, s12
	s_mul_i32 s21, s51, s12
	s_add_i32 s20, s20, s21
	s_mul_i32 s21, s14, s12
	s_mul_i32 s23, s21, s3
	s_mul_hi_u32 s24, s21, s49
	s_add_i32 s23, s24, s23
	s_mul_i32 s20, s20, s49
	s_add_i32 s23, s23, s20
	s_mul_i32 s21, s21, s49
	s_ashr_i32 s57, s52, 31
	s_add_u32 s20, s21, s52
	s_addc_u32 s21, s23, s57
	s_lshl_b64 s[20:21], s[20:21], 8
	s_add_u32 s20, s4, s20
	s_addc_u32 s21, s5, s21
	s_and_b32 s21, s21, 0xffff
	s_mov_b32 s23, 0x20000
	s_movk_i32 s58, 0x80
	buffer_load_dwordx4 v[6:9], v5, s[20:23], 0 offen
	buffer_load_dwordx4 v[10:13], v5, s[20:23], s58 offen
	;; [unrolled: 1-line block ×4, first 2 shown]
	v_and_b32_e32 v5, 6, v0
	v_lshlrev_b32_e32 v4, 7, v80
	v_xor_b32_e32 v26, v82, v5
	v_and_b32_e32 v22, 1, v0
	v_lshl_or_b32 v29, v77, 3, v4
	v_lshlrev_b32_e32 v26, 2, v26
	v_or_b32_e32 v88, 0x4000, v29
	v_or_b32_e32 v89, 0x6000, v29
	v_xor_b32_e32 v29, 0x440, v26
	v_cmp_eq_u32_e32 vcc, 0, v22
	v_lshlrev_b32_e32 v23, 2, v77
	s_mov_b32 s60, 0x1000504
	v_cndmask_b32_e32 v22, v29, v26, vcc
	v_xor_b32_e32 v27, v80, v23
	v_xor_b32_e32 v28, v81, v23
	v_lshl_or_b32 v5, v5, 10, v22
	s_mov_b32 s61, 0x3020706
	v_lshlrev_b32_e32 v24, 8, v77
	v_or_b32_e32 v25, 16, v77
	v_lshlrev_b32_e32 v27, 1, v27
	v_lshlrev_b32_e32 v28, 1, v28
	v_xor_b32_e32 v22, 8, v5
	v_xor_b32_e32 v26, 24, v5
	;; [unrolled: 1-line block ×4, first 2 shown]
	s_mul_i32 s3, s3, s12
	s_mul_hi_u32 s20, s49, s12
	v_or_b32_e32 v91, v24, v27
	v_or_b32_e32 v92, v24, v28
	v_xor_b32_e32 v24, 16, v5
	v_xor_b32_e32 v29, 32, v5
	v_xor_b32_e32 v32, 48, v5
	v_add_u32_e32 v22, 0x80, v22
	v_add_u32_e32 v26, 0x80, v26
	;; [unrolled: 1-line block ×4, first 2 shown]
	s_add_i32 s63, s20, s3
	s_add_i32 s3, s42, s33
	;; [unrolled: 1-line block ×5, first 2 shown]
	s_lshl_b64 s[20:21], s[34:35], 2
	s_add_u32 s3, s10, s20
	s_addc_u32 s24, s11, s21
	s_lshl_b64 s[20:21], s[30:31], 2
	s_add_u32 s38, s3, s20
	s_movk_i32 s3, 0xf8
	s_addc_u32 s39, s24, s21
	s_lshl_b32 s26, s15, 7
	s_movk_i32 s24, 0x100
	v_mov_b32_e32 v69, 0
	v_cmp_gt_u32_e32 vcc, s24, v0
	v_lshl_or_b32 v30, v25, 3, v4
	s_mov_b32 s59, 0
	s_mul_i32 s62, s49, s12
	v_or_b32_e32 v90, 0x4000, v30
	s_movk_i32 s22, 0x4000
	v_or_b32_e32 v93, 0x6000, v30
	s_movk_i32 s31, 0x2000
	s_movk_i32 s35, 0x3000
	s_mov_b32 s65, 0
	s_waitcnt vmcnt(1)
	v_perm_b32 v35, v6, v14, s60
	s_waitcnt vmcnt(0)
	v_perm_b32 v68, v10, v18, s60
	v_perm_b32 v6, v6, v14, s61
	;; [unrolled: 1-line block ×15, first 2 shown]
	ds_write2st64_b32 v5, v35, v68 offset0:128 offset1:160
	ds_write2st64_b32 v22, v6, v10 offset0:128 offset1:160
	ds_write2st64_b32 v24, v14, v18 offset0:129 offset1:161
	ds_write2st64_b32 v26, v7, v11 offset0:129 offset1:161
	ds_write2st64_b32 v29, v15, v19 offset0:130 offset1:162
	ds_write2st64_b32 v31, v8, v12 offset0:130 offset1:162
	ds_write2st64_b32 v32, v16, v20 offset0:131 offset1:163
	ds_write2st64_b32 v33, v9, v13 offset0:131 offset1:163
	v_lshlrev_b32_e32 v5, 8, v25
	v_or_b32_e32 v94, v5, v27
	v_or_b32_e32 v95, v5, v28
	;; [unrolled: 1-line block ×3, first 2 shown]
	v_lshl_or_b32 v6, v5, 3, v4
	v_lshlrev_b32_e32 v5, 8, v5
	v_or_b32_e32 v98, v5, v27
	v_or_b32_e32 v99, v5, v28
	;; [unrolled: 1-line block ×5, first 2 shown]
	v_lshl_or_b32 v6, v5, 3, v4
	v_lshlrev_b32_e32 v5, 8, v5
	v_or_b32_e32 v102, v5, v27
	v_or_b32_e32 v103, v5, v28
	;; [unrolled: 1-line block ×3, first 2 shown]
	v_lshlrev_b32_e32 v5, 3, v5
	v_lshrrev_b32_e32 v7, 5, v74
	v_and_or_b32 v7, v5, s3, v7
	v_lshlrev_b32_e32 v7, 4, v7
	v_lshlrev_b32_e32 v8, 11, v75
	v_and_b32_e32 v5, 0x78, v5
	v_or_b32_e32 v13, 32, v7
	v_or_b32_e32 v100, 0x4000, v6
	;; [unrolled: 1-line block ×3, first 2 shown]
	v_and_b32_e32 v6, 0x1000, v8
	v_xor_b32_e32 v9, v7, v5
	v_lshrrev_b32_e32 v10, 1, v0
	v_xor_b32_e32 v13, v13, v5
	v_or_b32_e32 v9, v9, v6
	v_and_b32_e32 v11, 8, v10
	v_or_b32_e32 v13, v13, v6
	v_xor_b32_e32 v104, v9, v11
	v_lshlrev_b32_e32 v9, 8, v76
	v_xor_b32_e32 v106, v13, v11
	v_or_b32_e32 v13, 64, v7
	v_or_b32_e32 v7, 0x60, v7
	s_ashr_i32 s3, s2, 31
	v_or_b32_e32 v12, v9, v23
	v_xor_b32_e32 v13, v13, v5
	v_xor_b32_e32 v5, v7, v5
	s_lshl_b64 s[20:21], s[2:3], 8
	v_lshlrev_b32_e32 v12, 1, v12
	v_or_b32_e32 v13, v13, v6
	v_or_b32_e32 v5, v5, v6
	s_add_u32 s20, s18, s20
	v_lshlrev_b32_e32 v6, 1, v77
	v_or_b32_e32 v105, 0x4000, v12
	v_or_b32_e32 v107, 0x4080, v12
	;; [unrolled: 1-line block ×8, first 2 shown]
	v_lshrrev_b32_e32 v12, 4, v0
	s_addc_u32 s21, s19, s21
	v_or_b32_e32 v7, 1, v6
	v_lshlrev_b32_e32 v68, 4, v77
	v_mov_b32_e32 v16, 0xa000
	v_mov_b32_e32 v17, 0x8000
	v_xor_b32_e32 v110, v13, v11
	v_xor_b32_e32 v13, v12, v6
	;; [unrolled: 1-line block ×3, first 2 shown]
	v_lshl_add_u64 v[6:7], s[20:21], 0, v[68:69]
	v_lshlrev_b32_e32 v68, 8, v12
	v_cndmask_b32_e32 v16, v16, v17, vcc
	v_lshlrev_b32_e32 v17, 3, v75
	v_and_b32_e32 v10, 24, v10
	v_lshl_or_b32 v116, v13, 3, v68
	v_and_b32_e32 v13, 8, v0
	v_xor_b32_e32 v18, v17, v10
	v_or_b32_e32 v19, 0x440, v18
	v_cmp_eq_u32_e32 vcc, 0, v13
	v_and_b32_e32 v12, 7, v0
	v_lshl_or_b32 v117, v14, 3, v68
	v_cndmask_b32_e32 v13, v19, v18, vcc
	v_lshlrev_b32_e32 v14, 3, v12
	v_lshlrev_b32_e32 v12, 7, v12
	v_or_b32_e32 v13, v13, v8
	v_lshlrev_b32_e32 v15, 2, v0
	v_xad_u32 v118, v13, v14, v12
	v_or_b32_e32 v13, 32, v10
	v_and_or_b32 v9, v15, 60, v9
	v_xor_b32_e32 v13, v17, v13
	v_lshlrev_b32_e32 v9, 1, v9
	v_or_b32_e32 v15, 0x440, v13
	v_or_b32_e32 v119, 0x6000, v9
	v_cndmask_b32_e32 v13, v15, v13, vcc
	v_or_b32_e32 v121, 0x6080, v9
	v_or_b32_e32 v122, 0x6100, v9
	;; [unrolled: 1-line block ×5, first 2 shown]
	v_xor_b32_e32 v9, v17, v9
	v_xad_u32 v120, v13, v14, v12
	v_xor_b32_e32 v13, 0x440, v9
	v_cndmask_b32_e32 v9, v13, v9, vcc
	v_or_b32_e32 v9, v9, v8
	v_xad_u32 v124, v9, v14, v12
	v_or_b32_e32 v9, 0x60, v10
	v_xor_b32_e32 v9, v17, v9
	v_xor_b32_e32 v10, 0x440, v9
	v_cndmask_b32_e32 v9, v10, v9, vcc
	v_or_b32_e32 v8, v9, v8
	v_xor_b32_e32 v111, v5, v11
	v_ashrrev_i32_e32 v35, 31, v34
	v_lshlrev_b32_e32 v5, 1, v3
	v_add_lshl_u32 v3, v3, s15, 1
	v_or_b32_e32 v11, 0x100, v2
	v_xad_u32 v125, v8, v14, v12
	v_cndmask_b32_e64 v126, v5, v2, s[0:1]
	v_cndmask_b32_e64 v127, v3, v11, s[0:1]
	v_lshl_add_u64 v[70:71], v[34:35], 1, s[8:9]
	v_lshl_add_u64 v[72:73], v[6:7], 0, v[68:69]
	s_mov_b32 s3, 0x7060302
	v_lshlrev_b32_e32 v68, 1, v4
	v_add_u32_e32 v35, v16, v118
	v_add_u32_e32 v128, v16, v120
	;; [unrolled: 1-line block ×4, first 2 shown]
	s_waitcnt lgkmcnt(0)
	s_barrier
.LBB44_6:                               ; =>This Inner Loop Header: Depth=1
	s_add_i32 s64, s65, 1
	s_cmp_lt_i32 s64, s50
	s_mov_b64 s[24:25], 0
	s_cselect_b64 s[40:41], -1, 0
	s_cmp_ge_i32 s64, s50
	s_mov_b64 s[20:21], 0
	s_cbranch_scc1 .LBB44_8
; %bb.7:                                ;   in Loop: Header=BB44_6 Depth=1
	s_add_i32 s0, s59, 64
	s_add_u32 s0, s16, s0
	s_addc_u32 s1, s17, 0
	s_lshl_b64 s[0:1], s[0:1], 8
	s_add_u32 s20, s6, s0
	s_addc_u32 s21, s7, s1
.LBB44_8:                               ;   in Loop: Header=BB44_6 Depth=1
	v_cndmask_b32_e64 v2, 0, 1, s[40:41]
	v_cmp_ne_u32_e64 s[0:1], 1, v2
	s_andn2_b64 vcc, exec, s[40:41]
	s_cbranch_vccnz .LBB44_10
; %bb.9:                                ;   in Loop: Header=BB44_6 Depth=1
	s_add_i32 s24, s59, 64
	s_add_u32 s24, s62, s24
	s_addc_u32 s25, s63, 0
	s_mul_i32 s27, s24, s51
	s_mul_hi_u32 s40, s24, s56
	s_add_i32 s27, s40, s27
	s_mul_i32 s25, s25, s56
	s_add_i32 s27, s27, s25
	s_mul_i32 s24, s24, s56
	s_add_u32 s24, s24, s52
	s_addc_u32 s25, s27, s57
	s_lshl_b64 s[24:25], s[24:25], 8
	s_add_u32 s24, s4, s24
	s_addc_u32 s25, s5, s25
.LBB44_10:                              ;   in Loop: Header=BB44_6 Depth=1
	v_perm_b32 v3, v67, v66, s3
	v_perm_b32 v2, v63, v62, s3
	v_perm_b32 v5, v65, v64, s3
	v_perm_b32 v4, v61, v60, s3
	ds_write_b64 v88, v[2:3]
	ds_write_b64 v89, v[4:5]
	ds_write_b64 v91, v[2:3]
	ds_write_b64 v92, v[4:5]
	v_perm_b32 v3, v59, v58, s3
	v_perm_b32 v2, v55, v54, s3
	v_perm_b32 v5, v57, v56, s3
	v_perm_b32 v4, v53, v52, s3
	ds_write_b64 v90, v[2:3]
	ds_write_b64 v93, v[4:5]
	ds_write_b64 v94, v[2:3]
	ds_write_b64 v95, v[4:5]
	;; [unrolled: 8-line block ×4, first 2 shown]
	s_waitcnt lgkmcnt(0)
	s_barrier
	ds_read_b64 v[6:7], v104 offset:49152
	ds_read2_b64 v[2:5], v105 offset1:16
	ds_read_b64 v[18:19], v107 offset:6144
	ds_read_b64 v[20:21], v105 offset:6144
	s_waitcnt lgkmcnt(2)
	v_mfma_f32_16x16x16_bf16 a[0:3], v[6:7], v[2:3], 0
	ds_read_b64 v[22:23], v106 offset:49152
	ds_read2st64_b64 v[10:13], v108 offset0:4 offset1:8
	ds_read2st64_b64 v[14:17], v109 offset0:4 offset1:8
	v_mfma_f32_16x16x16_bf16 a[4:7], v[6:7], v[4:5], 0
	ds_read2_b64 v[2:5], v105 offset0:32 offset1:48
	s_add_i32 s27, s59, 63
	s_mul_i32 s40, s27, s29
	s_waitcnt lgkmcnt(0)
	v_mfma_f32_16x16x16_bf16 a[8:11], v[6:7], v[2:3], 0
	s_mul_hi_u32 s41, s27, s28
	s_add_i32 s41, s41, s40
	s_mul_i32 s40, s27, s28
	v_mfma_f32_16x16x16_bf16 a[12:15], v[6:7], v[4:5], 0
	ds_read2st64_b64 v[2:5], v105 offset0:4 offset1:8
	ds_read2st64_b64 v[6:9], v107 offset0:4 offset1:8
	s_lshl_b64 s[40:41], s[40:41], 2
	s_waitcnt lgkmcnt(1)
	v_mfma_f32_16x16x16_bf16 a[0:3], v[22:23], v[2:3], a[0:3]
	s_add_u32 s40, s38, s40
	s_addc_u32 s41, s39, s41
	s_and_b64 vcc, exec, s[0:1]
	s_waitcnt lgkmcnt(0)
	v_mfma_f32_16x16x16_bf16 a[4:7], v[22:23], v[6:7], a[4:7]
	v_mov_b32_e32 v133, 0
	v_mov_b32_e32 v132, 0
	v_mov_b32_e32 v131, 0
	v_mfma_f32_16x16x16_bf16 a[8:11], v[22:23], v[10:11], a[8:11]
	ds_read_b64 v[2:3], v110 offset:49152
	ds_read_b64 v[6:7], v111 offset:49152
	;; [unrolled: 1-line block ×3, first 2 shown]
	v_mfma_f32_16x16x16_bf16 a[12:15], v[22:23], v[14:15], a[12:15]
	v_mov_b32_e32 v14, 0
	v_mov_b32_e32 v15, 0
	s_waitcnt lgkmcnt(2)
	v_mfma_f32_16x16x16_bf16 a[0:3], v[2:3], v[4:5], a[0:3]
	v_mov_b32_e32 v4, 0
	v_mov_b32_e32 v5, 0
	v_mfma_f32_16x16x16_bf16 a[16:19], v[2:3], v[8:9], a[4:7]
	v_mov_b32_e32 v8, 0
	v_mov_b32_e32 v9, 0
	;; [unrolled: 3-line block ×3, first 2 shown]
	v_mfma_f32_16x16x16_bf16 a[24:27], v[2:3], v[16:17], a[12:15]
	ds_read_b64 v[2:3], v108 offset:6144
	v_mov_b32_e32 v16, 0
	v_mov_b32_e32 v17, 0
	s_waitcnt lgkmcnt(2)
	v_mfma_f32_16x16x16_bf16 a[4:7], v[6:7], v[20:21], a[0:3]
	v_mfma_f32_16x16x16_bf16 a[8:11], v[6:7], v[18:19], a[16:19]
	s_waitcnt lgkmcnt(0)
	v_mfma_f32_16x16x16_bf16 a[12:15], v[6:7], v[2:3], a[20:23]
	v_mov_b32_e32 v2, 0
	v_mov_b32_e32 v3, 0
	v_mfma_f32_16x16x16_bf16 a[0:3], v[6:7], v[10:11], a[24:27]
	v_mov_b32_e32 v6, 0
	v_mov_b32_e32 v7, 0
	;; [unrolled: 1-line block ×4, first 2 shown]
	s_cbranch_vccnz .LBB44_12
; %bb.11:                               ;   in Loop: Header=BB44_6 Depth=1
	s_and_b32 s21, s21, 0xffff
	buffer_load_dwordx4 v[14:17], v84, s[20:23], 0 offen
	buffer_load_dwordx4 v[10:13], v84, s[20:23], s58 offen
	;; [unrolled: 1-line block ×4, first 2 shown]
	v_mov_b32_e32 v132, v86
	v_mov_b32_e32 v131, v87
.LBB44_12:                              ;   in Loop: Header=BB44_6 Depth=1
	ds_read_b64 v[134:135], v104 offset:57344
	ds_read2_b64 v[18:21], v112 offset1:16
	ds_read_b64 v[136:137], v106 offset:57344
	ds_read_b64 v[138:139], v110 offset:57344
	;; [unrolled: 1-line block ×3, first 2 shown]
	v_add_u32_e32 v142, s59, v80
	s_waitcnt lgkmcnt(3)
	v_mfma_f32_16x16x16_bf16 a[4:7], v[134:135], v[18:19], a[4:7]
	v_mfma_f32_16x16x16_bf16 a[8:11], v[134:135], v[20:21], a[8:11]
	ds_read2_b64 v[18:21], v112 offset0:32 offset1:48
	ds_read2st64_b64 v[22:25], v112 offset0:4 offset1:8
	ds_read2st64_b64 v[26:29], v113 offset0:4 offset1:8
	;; [unrolled: 1-line block ×3, first 2 shown]
	s_waitcnt lgkmcnt(3)
	v_mfma_f32_16x16x16_bf16 a[12:15], v[134:135], v[18:19], a[12:15]
	v_ashrrev_i32_e32 v18, 31, v142
	v_mfma_f32_16x16x16_bf16 a[0:3], v[134:135], v[20:21], a[0:3]
	v_mul_lo_u32 v20, v18, s28
	v_mul_lo_u32 v21, v142, s29
	v_mad_u64_u32 v[18:19], s[20:21], v142, s28, 0
	v_add3_u32 v19, v19, v21, v20
	v_add_u32_e32 v20, 1, v142
	v_ashrrev_i32_e32 v21, 31, v20
	s_waitcnt lgkmcnt(2)
	v_mfma_f32_16x16x16_bf16 a[4:7], v[136:137], v[22:23], a[4:7]
	v_mul_lo_u32 v22, v21, s28
	v_mul_lo_u32 v23, v20, s29
	v_mad_u64_u32 v[20:21], s[20:21], v20, s28, 0
	v_add3_u32 v21, v21, v23, v22
	v_add_u32_e32 v22, 2, v142
	v_ashrrev_i32_e32 v23, 31, v22
	s_waitcnt lgkmcnt(1)
	v_mfma_f32_16x16x16_bf16 a[8:11], v[136:137], v[26:27], a[8:11]
	v_mul_lo_u32 v26, v23, s28
	v_mul_lo_u32 v27, v22, s29
	v_mad_u64_u32 v[22:23], s[20:21], v22, s28, 0
	v_add3_u32 v23, v23, v27, v26
	v_add_u32_e32 v26, 3, v142
	v_ashrrev_i32_e32 v27, 31, v26
	v_mul_lo_u32 v134, v27, s28
	v_mul_lo_u32 v135, v26, s29
	v_mad_u64_u32 v[26:27], s[20:21], v26, s28, 0
	s_add_u32 s20, s16, s59
	s_addc_u32 s21, s17, 0
	v_lshl_add_u64 v[18:19], v[18:19], 2, s[38:39]
	v_add3_u32 v27, v27, v135, v134
	s_lshl_b64 s[20:21], s[20:21], 8
	v_lshl_add_u64 v[20:21], v[20:21], 2, s[38:39]
	v_lshl_add_u64 v[22:23], v[22:23], 2, s[38:39]
	;; [unrolled: 1-line block ×3, first 2 shown]
	global_load_dword v134, v[18:19], off
	global_load_dword v135, v[20:21], off
	;; [unrolled: 1-line block ×4, first 2 shown]
	v_lshl_add_u64 v[18:19], v[70:71], 0, s[20:21]
	v_lshl_add_u64 v[22:23], v[18:19], 0, v[68:69]
	global_load_ushort v144, v[22:23], off offset:256
	global_load_ushort v145, v[22:23], off
	ds_read2st64_b64 v[18:21], v115 offset0:4 offset1:8
	global_load_ushort v146, v[22:23], off offset:768
	global_load_ushort v147, v[22:23], off offset:512
	s_waitcnt lgkmcnt(1)
	v_mfma_f32_16x16x16_bf16 a[12:15], v[136:137], v[30:31], a[12:15]
	s_and_b64 vcc, exec, s[0:1]
	s_waitcnt vmcnt(3)
	v_lshlrev_b32_e32 v31, 16, v144
	s_waitcnt lgkmcnt(0)
	v_mfma_f32_16x16x16_bf16 a[0:3], v[136:137], v[18:19], a[0:3]
	global_load_ushort v136, v[22:23], off offset:288
	global_load_ushort v137, v[22:23], off offset:32
	global_load_ushort v148, v[22:23], off offset:800
	global_load_ushort v149, v[22:23], off offset:544
	global_load_ushort v150, v[22:23], off offset:320
	global_load_ushort v151, v[22:23], off offset:64
	global_load_ushort v152, v[22:23], off offset:832
	global_load_ushort v153, v[22:23], off offset:576
	v_mfma_f32_16x16x16_bf16 a[4:7], v[138:139], v[24:25], a[4:7]
	ds_read_b64 v[18:19], v112 offset:6144
	s_waitcnt vmcnt(10)
	v_lshlrev_b32_e32 v30, 16, v145
	v_mfma_f32_16x16x16_bf16 a[8:11], v[138:139], v[28:29], a[8:11]
	v_mfma_f32_16x16x16_bf16 a[12:15], v[138:139], v[32:33], a[12:15]
	;; [unrolled: 1-line block ×3, first 2 shown]
	global_load_ushort v138, v[22:23], off offset:352
	global_load_ushort v139, v[22:23], off offset:96
	ds_read_b64 v[20:21], v113 offset:6144
	ds_read_b64 v[24:25], v114 offset:6144
	;; [unrolled: 1-line block ×3, first 2 shown]
	global_load_ushort v154, v[22:23], off offset:864
	global_load_ushort v155, v[22:23], off offset:608
	s_load_dword s20, s[40:41], 0x0
	s_waitcnt lgkmcnt(0)
	v_mfma_f32_16x16x16_bf16 a[4:7], v[140:141], v[18:19], a[4:7]
	v_sub_f32_e32 v28, s20, v142
	v_mfma_f32_16x16x16_bf16 a[0:3], v[140:141], v[26:27], a[0:3]
	v_sub_f32_e32 v26, s20, v134
	v_sub_f32_e32 v27, s20, v135
	;; [unrolled: 1-line block ×3, first 2 shown]
	v_mfma_f32_16x16x16_bf16 a[8:11], v[140:141], v[20:21], a[8:11]
	v_exp_f32_e32 v26, v26
	v_exp_f32_e32 v27, v27
	;; [unrolled: 1-line block ×4, first 2 shown]
	v_accvgpr_read_b32 v33, a5
	v_accvgpr_read_b32 v32, a4
	;; [unrolled: 1-line block ×4, first 2 shown]
	v_pk_add_f32 v[30:31], v[30:31], v[32:33] neg_lo:[0,1] neg_hi:[0,1]
	s_waitcnt vmcnt(13)
	v_lshlrev_b32_e32 v33, 16, v146
	s_waitcnt vmcnt(12)
	v_lshlrev_b32_e32 v32, 16, v147
	v_pk_add_f32 v[18:19], v[32:33], v[18:19] neg_lo:[0,1] neg_hi:[0,1]
	v_pk_mul_f32 v[30:31], v[26:27], v[30:31]
	v_pk_mul_f32 v[18:19], v[28:29], v[18:19]
	v_accvgpr_read_b32 v33, a9
	v_perm_b32 v19, v19, v18, s3
	v_perm_b32 v18, v31, v30, s3
	v_accvgpr_read_b32 v32, a8
	v_accvgpr_read_b32 v21, a11
	v_mfma_f32_16x16x16_bf16 a[12:15], v[140:141], v[24:25], a[12:15]
	v_accvgpr_read_b32 v20, a10
	v_accvgpr_read_b32 v25, a3
	;; [unrolled: 1-line block ×3, first 2 shown]
	v_mov_b32_e32 v134, 0
	s_waitcnt vmcnt(11)
	v_lshlrev_b32_e32 v31, 16, v136
	s_waitcnt vmcnt(10)
	v_lshlrev_b32_e32 v30, 16, v137
	v_pk_add_f32 v[30:31], v[30:31], v[32:33] neg_lo:[0,1] neg_hi:[0,1]
	s_waitcnt vmcnt(9)
	v_lshlrev_b32_e32 v33, 16, v148
	s_waitcnt vmcnt(8)
	v_lshlrev_b32_e32 v32, 16, v149
	v_pk_add_f32 v[20:21], v[32:33], v[20:21] neg_lo:[0,1] neg_hi:[0,1]
	v_pk_mul_f32 v[30:31], v[26:27], v[30:31]
	v_pk_mul_f32 v[20:21], v[28:29], v[20:21]
	v_accvgpr_read_b32 v23, a15
	v_perm_b32 v21, v21, v20, s3
	v_perm_b32 v20, v31, v30, s3
	ds_write2_b64 v89, v[18:19], v[20:21] offset1:16
	v_accvgpr_read_b32 v21, a13
	s_waitcnt vmcnt(7)
	v_lshlrev_b32_e32 v19, 16, v150
	s_waitcnt vmcnt(6)
	v_lshlrev_b32_e32 v18, 16, v151
	v_accvgpr_read_b32 v20, a12
	v_accvgpr_read_b32 v22, a14
	v_pk_add_f32 v[18:19], v[18:19], v[20:21] neg_lo:[0,1] neg_hi:[0,1]
	s_waitcnt vmcnt(5)
	v_lshlrev_b32_e32 v21, 16, v152
	s_waitcnt vmcnt(4)
	v_lshlrev_b32_e32 v20, 16, v153
	v_pk_add_f32 v[20:21], v[20:21], v[22:23] neg_lo:[0,1] neg_hi:[0,1]
	v_pk_mul_f32 v[18:19], v[26:27], v[18:19]
	v_pk_mul_f32 v[20:21], v[28:29], v[20:21]
	v_accvgpr_read_b32 v23, a1
	v_perm_b32 v21, v21, v20, s3
	v_perm_b32 v20, v19, v18, s3
	s_waitcnt vmcnt(3)
	v_lshlrev_b32_e32 v19, 16, v138
	s_waitcnt vmcnt(2)
	v_lshlrev_b32_e32 v18, 16, v139
	v_accvgpr_read_b32 v22, a0
	v_pk_add_f32 v[18:19], v[18:19], v[22:23] neg_lo:[0,1] neg_hi:[0,1]
	s_waitcnt vmcnt(1)
	v_lshlrev_b32_e32 v23, 16, v154
	s_waitcnt vmcnt(0)
	v_lshlrev_b32_e32 v22, 16, v155
	v_pk_add_f32 v[22:23], v[22:23], v[24:25] neg_lo:[0,1] neg_hi:[0,1]
	v_pk_mul_f32 v[18:19], v[26:27], v[18:19]
	v_pk_mul_f32 v[22:23], v[28:29], v[22:23]
	v_mov_b32_e32 v24, 0
	v_perm_b32 v23, v23, v22, s3
	v_perm_b32 v22, v19, v18, s3
	ds_write2_b64 v89, v[20:21], v[22:23] offset0:32 offset1:48
	v_mov_b32_e32 v18, 0
	v_mov_b32_e32 v19, 0
	;; [unrolled: 1-line block ×15, first 2 shown]
	s_cbranch_vccnz .LBB44_14
; %bb.13:                               ;   in Loop: Header=BB44_6 Depth=1
	s_and_b32 s25, s25, 0xffff
	s_mov_b32 s27, s23
	buffer_load_dwordx4 v[30:33], v126, s[24:27], 0 offen
	buffer_load_dwordx4 v[22:25], v126, s[24:27], s58 offen
	;; [unrolled: 1-line block ×4, first 2 shown]
	v_mov_b32_e32 v133, v83
	v_mov_b32_e32 v134, v82
.LBB44_14:                              ;   in Loop: Header=BB44_6 Depth=1
	s_waitcnt lgkmcnt(0)
	s_barrier
	ds_read_b64 v[144:145], v35
	ds_read2_b64 v[136:139], v119 offset1:16
	ds_read_b64 v[160:161], v128
	ds_read_b64 v[162:163], v129
	;; [unrolled: 1-line block ×3, first 2 shown]
	ds_read2_b64 v[140:143], v119 offset0:32 offset1:48
	s_waitcnt lgkmcnt(4)
	v_mfma_f32_16x16x16_bf16 a[0:3], v[144:145], v[136:137], 0
	ds_read2st64_b64 v[148:151], v121 offset0:4 offset1:8
	ds_read2st64_b64 v[152:155], v122 offset0:4 offset1:8
	;; [unrolled: 1-line block ×3, first 2 shown]
	v_mfma_f32_16x16x16_bf16 a[4:7], v[144:145], v[138:139], 0
	s_add_i32 s21, s53, s65
	s_mul_hi_i32 s25, s21, s13
	s_mul_i32 s21, s21, s13
	s_waitcnt lgkmcnt(3)
	v_mfma_f32_16x16x16_bf16 a[8:11], v[144:145], v[140:141], 0
	s_add_u32 s24, s21, s46
	s_addc_u32 s25, s25, s47
	s_lshl_b64 s[24:25], s[24:25], 15
	v_mfma_f32_16x16x16_bf16 a[12:15], v[144:145], v[142:143], 0
	ds_read2st64_b64 v[144:147], v119 offset0:4 offset1:8
	s_waitcnt lgkmcnt(0)
	v_mfma_f32_16x16x16_bf16 a[0:3], v[160:161], v[144:145], a[0:3]
	v_mfma_f32_16x16x16_bf16 a[4:7], v[160:161], v[148:149], a[4:7]
	;; [unrolled: 1-line block ×8, first 2 shown]
	ds_read_b64 v[160:161], v119 offset:6144
	ds_read_b64 v[162:163], v120 offset:40960
	;; [unrolled: 1-line block ×8, first 2 shown]
	s_waitcnt lgkmcnt(5)
	v_mfma_f32_16x16x16_bf16 a[16:19], v[166:167], v[136:137], 0
	v_mfma_f32_16x16x16_bf16 a[20:23], v[166:167], v[138:139], 0
	ds_read2st64_b64 v[136:139], v116 offset1:8
	v_mfma_f32_16x16x16_bf16 a[24:27], v[166:167], v[140:141], 0
	v_mfma_f32_16x16x16_bf16 a[28:31], v[166:167], v[142:143], 0
	ds_read2st64_b64 v[140:143], v117 offset1:8
	v_mfma_f32_16x16x16_bf16 a[16:19], v[162:163], v[144:145], a[16:19]
	s_waitcnt lgkmcnt(1)
	v_mov_b32_e32 v144, v136
	v_mov_b32_e32 v145, v137
	v_mfma_f32_16x16x16_bf16 a[20:23], v[162:163], v[148:149], a[20:23]
	v_lshl_add_u64 v[148:149], v[72:73], 0, s[24:25]
	v_mfma_f32_16x16x16_bf16 a[24:27], v[162:163], v[152:153], a[24:27]
	v_mfma_f32_16x16x16_bf16 a[28:31], v[162:163], v[156:157], a[28:31]
	;; [unrolled: 1-line block ×3, first 2 shown]
	s_waitcnt lgkmcnt(0)
	v_mov_b32_e32 v146, v140
	v_mov_b32_e32 v147, v141
	;; [unrolled: 1-line block ×3, first 2 shown]
	v_mfma_f32_16x16x16_bf16 a[32:35], v[174:175], v[150:151], a[20:23]
	v_mov_b32_e32 v141, v139
	ds_read2st64_b64 v[136:139], v116 offset0:16 offset1:24
	global_store_dwordx4 v[148:149], v[144:147], off
	v_mfma_f32_16x16x16_bf16 a[24:27], v[174:175], v[154:155], a[24:27]
	ds_read2st64_b64 v[144:147], v117 offset0:16 offset1:24
	v_add_co_u32_e32 v150, vcc, s31, v148
	v_mfma_f32_16x16x16_bf16 a[28:31], v[174:175], v[158:159], a[28:31]
	s_nop 0
	v_addc_co_u32_e32 v151, vcc, 0, v149, vcc
	global_store_dwordx4 v[150:151], v[140:143], off offset:-4096
	v_mfma_f32_16x16x16_bf16 a[0:3], v[164:165], v[160:161], a[0:3]
	s_waitcnt lgkmcnt(1)
	v_mov_b32_e32 v140, v136
	v_add_co_u32_e32 v136, vcc, s35, v148
	v_mfma_f32_16x16x16_bf16 a[4:7], v[164:165], v[168:169], a[4:7]
	v_mov_b32_e32 v141, v137
	v_addc_co_u32_e32 v137, vcc, 0, v149, vcc
	v_mfma_f32_16x16x16_bf16 a[8:11], v[164:165], v[170:171], a[8:11]
	s_waitcnt lgkmcnt(0)
	v_mov_b32_e32 v142, v144
	v_mov_b32_e32 v143, v145
	;; [unrolled: 1-line block ×3, first 2 shown]
	v_mfma_f32_16x16x16_bf16 a[12:15], v[164:165], v[172:173], a[12:15]
	v_mov_b32_e32 v145, v139
	s_and_b64 vcc, exec, s[0:1]
	global_store_dwordx4 v[150:151], v[140:143], off
	v_mfma_f32_16x16x16_bf16 a[20:23], v[176:177], v[160:161], a[16:19]
	global_store_dwordx4 v[136:137], v[144:147], off
	v_mfma_f32_16x16x16_bf16 a[16:19], v[176:177], v[168:169], a[32:35]
	v_mfma_f32_16x16x16_bf16 a[24:27], v[176:177], v[170:171], a[24:27]
	v_mfma_f32_16x16x16_bf16 a[28:31], v[176:177], v[172:173], a[28:31]
	s_cbranch_vccnz .LBB44_16
; %bb.15:                               ;   in Loop: Header=BB44_6 Depth=1
	v_lshrrev_b32_e32 v135, 3, v133
	v_and_b32_e32 v135, 6, v135
	v_xor_b32_e32 v134, v135, v134
	v_lshlrev_b32_e32 v134, 2, v134
	v_and_b32_e32 v133, 8, v133
	v_xor_b32_e32 v136, 0x440, v134
	v_cmp_eq_u32_e32 vcc, 0, v133
	s_barrier
	s_nop 0
	v_cndmask_b32_e32 v133, v136, v134, vcc
	v_lshl_or_b32 v133, v135, 10, v133
	s_waitcnt vmcnt(5)
	v_perm_b32 v134, v30, v26, s60
	s_waitcnt vmcnt(4)
	v_perm_b32 v135, v22, v18, s60
	ds_write2st64_b32 v133, v134, v135 offset0:128 offset1:160
	v_xor_b32_e32 v134, 8, v133
	v_perm_b32 v26, v30, v26, s61
	v_perm_b32 v18, v22, v18, s61
	v_add_u32_e32 v22, 0x80, v134
	ds_write2st64_b32 v22, v26, v18 offset0:128 offset1:160
	v_xor_b32_e32 v18, 16, v133
	v_perm_b32 v22, v31, v27, s60
	v_perm_b32 v26, v23, v19, s60
	ds_write2st64_b32 v18, v22, v26 offset0:129 offset1:161
	v_xor_b32_e32 v18, 24, v133
	v_perm_b32 v22, v31, v27, s61
	v_perm_b32 v19, v23, v19, s61
	v_add_u32_e32 v18, 0x80, v18
	ds_write2st64_b32 v18, v22, v19 offset0:129 offset1:161
	v_xor_b32_e32 v18, 32, v133
	v_perm_b32 v19, v32, v28, s60
	v_perm_b32 v22, v24, v20, s60
	ds_write2st64_b32 v18, v19, v22 offset0:130 offset1:162
	v_xor_b32_e32 v18, 40, v133
	v_perm_b32 v19, v32, v28, s61
	v_perm_b32 v20, v24, v20, s61
	v_add_u32_e32 v18, 0x80, v18
	ds_write2st64_b32 v18, v19, v20 offset0:130 offset1:162
	v_xor_b32_e32 v18, 48, v133
	v_perm_b32 v19, v33, v29, s60
	v_perm_b32 v20, v25, v21, s60
	ds_write2st64_b32 v18, v19, v20 offset0:131 offset1:163
	v_xor_b32_e32 v18, 56, v133
	v_perm_b32 v19, v33, v29, s61
	v_perm_b32 v20, v25, v21, s61
	v_add_u32_e32 v18, 0x80, v18
	ds_write2st64_b32 v18, v19, v20 offset0:131 offset1:163
	ds_write_b64 v132, v[14:15] offset:49152
	v_xor_b32_e32 v14, 8, v132
	ds_write_b64 v14, v[16:17] offset:49152
	ds_write_b64 v132, v[10:11] offset:57344
	;; [unrolled: 1-line block ×4, first 2 shown]
	v_xor_b32_e32 v6, 8, v131
	ds_write_b64 v6, v[8:9] offset:49152
	ds_write_b64 v131, v[2:3] offset:57344
	;; [unrolled: 1-line block ×3, first 2 shown]
.LBB44_16:                              ;   in Loop: Header=BB44_6 Depth=1
	v_exp_f32_e32 v132, s20
	v_accvgpr_read_b32 v5, a3
	v_accvgpr_read_b32 v9, a7
	;; [unrolled: 1-line block ×4, first 2 shown]
	s_waitcnt vmcnt(4)
	v_accvgpr_read_b32 v18, a20
	v_accvgpr_read_b32 v25, a19
	v_accvgpr_read_b32 v29, a27
	v_accvgpr_read_b32 v33, a31
	v_accvgpr_read_b32 v4, a2
	v_accvgpr_read_b32 v3, a1
	v_accvgpr_read_b32 v2, a0
	v_accvgpr_read_b32 v8, a6
	v_accvgpr_read_b32 v7, a5
	v_accvgpr_read_b32 v6, a4
	v_accvgpr_read_b32 v12, a10
	v_accvgpr_read_b32 v11, a9
	v_accvgpr_read_b32 v10, a8
	v_accvgpr_read_b32 v16, a14
	v_accvgpr_read_b32 v15, a13
	v_accvgpr_read_b32 v14, a12
	v_accvgpr_read_b32 v19, a21
	v_accvgpr_read_b32 v20, a22
	v_accvgpr_read_b32 v21, a23
	v_accvgpr_read_b32 v24, a18
	v_accvgpr_read_b32 v23, a17
	v_accvgpr_read_b32 v22, a16
	v_accvgpr_read_b32 v28, a26
	v_accvgpr_read_b32 v27, a25
	v_accvgpr_read_b32 v26, a24
	v_accvgpr_read_b32 v32, a30
	v_accvgpr_read_b32 v31, a29
	v_accvgpr_read_b32 v30, a28
	s_add_i32 s59, s59, 64
	v_pk_fma_f32 v[62:63], v[62:63], v[132:133], v[2:3] op_sel_hi:[1,0,1]
	v_pk_fma_f32 v[66:67], v[66:67], v[132:133], v[4:5] op_sel_hi:[1,0,1]
	;; [unrolled: 1-line block ×15, first 2 shown]
	s_cmp_eq_u32 s50, s64
	v_pk_fma_f32 v[40:41], v[40:41], v[132:133], v[32:33] op_sel_hi:[1,0,1]
	s_cbranch_scc1 .LBB44_18
; %bb.17:                               ;   in Loop: Header=BB44_6 Depth=1
	s_mov_b32 s65, s64
	s_branch .LBB44_6
.LBB44_18:
	s_lshl_b32 s26, s50, 6
	s_sub_i32 s27, s12, s26
	s_cmp_gt_i32 s27, 0
	s_cbranch_scc0 .LBB44_99
; %bb.19:
	s_ashr_i32 s3, s26, 31
	s_cmpk_lg_i32 s15, 0x80
	s_cselect_b64 s[22:23], -1, 0
	s_and_b64 vcc, exec, s[22:23]
	s_cbranch_vccz .LBB44_21
; %bb.20:
	s_mul_i32 s1, s49, s12
	s_mul_hi_i32 s0, s49, s12
	s_add_u32 s1, s1, s26
	s_addc_u32 s0, s0, s3
	s_mul_i32 s17, s1, s51
	s_mul_hi_u32 s20, s1, s14
	s_add_i32 s17, s20, s17
	s_mul_i32 s0, s0, s14
	s_add_i32 s17, s17, s0
	s_mul_i32 s1, s1, s14
	s_ashr_i32 s0, s52, 31
	s_add_u32 s24, s1, s52
	s_addc_u32 s25, s17, s0
	s_cbranch_execz .LBB44_22
	s_branch .LBB44_23
.LBB44_21:
                                        ; implicit-def: $sgpr24_sgpr25
.LBB44_22:
	s_mul_hi_i32 s0, s49, s14
	s_mul_i32 s49, s49, s14
	s_ashr_i32 s1, s52, 31
	s_add_u32 s14, s49, s52
	s_addc_u32 s0, s0, s1
	s_mul_i32 s1, s14, s48
	s_mul_hi_u32 s17, s14, s12
	s_add_i32 s1, s17, s1
	s_mul_i32 s0, s0, s12
	s_add_i32 s1, s1, s0
	s_mul_i32 s14, s14, s12
	s_add_u32 s24, s14, s26
	s_addc_u32 s25, s1, s3
.LBB44_23:
	s_mul_i32 s0, s36, s48
	s_add_i32 s0, s55, s0
	s_add_i32 s14, s53, s50
	;; [unrolled: 1-line block ×3, first 2 shown]
	s_add_u32 s0, s16, s26
	v_lshlrev_b32_e32 v6, 6, v80
	v_lshlrev_b32_e32 v24, 2, v77
	s_addc_u32 s1, s1, s3
	s_mov_b32 s3, 0x7060302
	v_or_b32_e32 v9, v6, v24
	v_xor_b32_e32 v7, v80, v24
	v_perm_b32 v3, v67, v66, s3
	v_perm_b32 v2, v63, v62, s3
	;; [unrolled: 1-line block ×4, first 2 shown]
	v_lshlrev_b32_e32 v9, 1, v9
	v_xor_b32_e32 v8, v81, v24
	ds_write2st64_b64 v9, v[2:3], v[4:5] offset0:32 offset1:48
	v_lshlrev_b32_e32 v7, 1, v7
	v_lshlrev_b32_e32 v9, 8, v77
	v_or_b32_e32 v10, v7, v9
	v_lshlrev_b32_e32 v8, 1, v8
	ds_write_b64 v10, v[2:3]
	v_or_b32_e32 v2, v8, v9
	v_or_b32_e32 v9, 16, v77
	v_lshlrev_b32_e32 v23, 2, v9
	v_or_b32_e32 v10, v6, v23
	ds_write_b64 v2, v[4:5]
	v_perm_b32 v3, v59, v58, s3
	v_perm_b32 v2, v55, v54, s3
	;; [unrolled: 1-line block ×4, first 2 shown]
	v_lshlrev_b32_e32 v10, 1, v10
	v_lshlrev_b32_e32 v9, 8, v9
	ds_write2st64_b64 v10, v[2:3], v[4:5] offset0:32 offset1:48
	v_or_b32_e32 v10, v7, v9
	ds_write_b64 v10, v[2:3]
	v_or_b32_e32 v2, v8, v9
	v_or_b32_e32 v9, 32, v77
	v_lshlrev_b32_e32 v22, 2, v9
	v_or_b32_e32 v10, v6, v22
	ds_write_b64 v2, v[4:5]
	v_perm_b32 v3, v51, v50, s3
	v_perm_b32 v2, v47, v46, s3
	;; [unrolled: 1-line block ×4, first 2 shown]
	v_lshlrev_b32_e32 v10, 1, v10
	v_lshlrev_b32_e32 v9, 8, v9
	s_lshl_b64 s[20:21], s[0:1], 8
	ds_write2st64_b64 v10, v[2:3], v[4:5] offset0:32 offset1:48
	v_or_b32_e32 v10, v7, v9
	s_add_u32 s0, s6, s20
	ds_write_b64 v10, v[2:3]
	v_or_b32_e32 v2, v8, v9
	s_addc_u32 s1, s7, s21
	ds_write_b64 v2, v[4:5]
	v_perm_b32 v3, v43, v42, s3
	v_perm_b32 v2, v39, v38, s3
	;; [unrolled: 1-line block ×4, first 2 shown]
	v_or_b32_e32 v9, 48, v77
	s_mul_hi_i32 s3, s14, s13
	s_mul_i32 s14, s14, s13
	v_lshlrev_b32_e32 v19, 2, v9
	s_add_u32 s6, s14, s46
	v_or_b32_e32 v6, v6, v19
	s_addc_u32 s7, s3, s47
	v_lshlrev_b32_e32 v6, 1, v6
	s_ashr_i32 s3, s2, 31
	s_lshl_b64 s[6:7], s[6:7], 15
	ds_write2st64_b64 v6, v[2:3], v[4:5] offset0:32 offset1:48
	v_lshlrev_b32_e32 v6, 8, v9
	s_add_u32 s6, s18, s6
	v_or_b32_e32 v7, v7, v6
	s_addc_u32 s7, s19, s7
	s_lshl_b64 s[2:3], s[2:3], 8
	ds_write_b64 v7, v[2:3]
	v_or_b32_e32 v2, v8, v6
	s_add_u32 s2, s6, s2
	v_lshlrev_b32_e32 v3, 1, v77
	ds_write_b64 v2, v[4:5]
	v_lshrrev_b32_e32 v2, 4, v0
	s_addc_u32 s3, s7, s3
	v_or_b32_e32 v4, 1, v3
	v_lshlrev_b32_e32 v10, 4, v77
	v_mov_b32_e32 v11, 0
	v_xor_b32_e32 v3, v2, v3
	v_xor_b32_e32 v6, v4, v2
	v_lshl_add_u64 v[12:13], s[2:3], 0, v[10:11]
	v_lshlrev_b32_e32 v10, 8, v2
	v_lshl_or_b32 v16, v3, 3, v10
	v_lshl_or_b32 v17, v6, 3, v10
	s_waitcnt lgkmcnt(0)
	s_barrier
	ds_read2st64_b64 v[2:5], v16 offset1:8
	ds_read2st64_b64 v[6:9], v17 offset1:8
	v_lshl_add_u64 v[14:15], v[12:13], 0, v[10:11]
	s_movk_i32 s2, 0x2000
	s_cmp_lg_u32 s27, 64
	s_waitcnt lgkmcnt(1)
	v_mov_b32_e32 v10, v2
	v_mov_b32_e32 v11, v3
	s_waitcnt lgkmcnt(0)
	v_mov_b32_e32 v12, v6
	v_mov_b32_e32 v13, v7
	global_store_dwordx4 v[14:15], v[10:13], off
	v_mov_b32_e32 v6, v4
	v_mov_b32_e32 v7, v5
	ds_read2st64_b64 v[2:5], v16 offset0:16 offset1:24
	ds_read2st64_b64 v[10:13], v17 offset0:16 offset1:24
	v_add_co_u32_e32 v16, vcc, s2, v14
	s_cselect_b64 s[6:7], -1, 0
	s_nop 0
	v_addc_co_u32_e32 v17, vcc, 0, v15, vcc
	global_store_dwordx4 v[16:17], v[6:9], off offset:-4096
	v_lshl_or_b32 v25, v75, 3, v79
	s_mov_b32 s16, 0
	s_waitcnt lgkmcnt(1)
	v_mov_b32_e32 v6, v2
	v_add_co_u32_e32 v2, vcc, 0x3000, v14
	v_mov_b32_e32 v7, v3
	s_nop 0
	v_addc_co_u32_e32 v3, vcc, 0, v15, vcc
	s_waitcnt lgkmcnt(0)
	v_mov_b32_e32 v8, v10
	v_mov_b32_e32 v9, v11
	;; [unrolled: 1-line block ×4, first 2 shown]
	v_or_b32_e32 v20, 32, v25
	v_and_b32_e32 v18, 56, v78
	s_and_b64 vcc, exec, s[6:7]
	global_store_dwordx4 v[16:17], v[6:9], off
	global_store_dwordx4 v[2:3], v[10:13], off
	s_cbranch_vccz .LBB44_29
; %bb.24:
	s_mov_b32 s17, s16
	s_mov_b32 s18, s16
	;; [unrolled: 1-line block ×3, first 2 shown]
	v_mov_b64_e32 v[6:7], s[16:17]
	v_mov_b64_e32 v[8:9], s[18:19]
	;; [unrolled: 1-line block ×3, first 2 shown]
	v_cmp_gt_i32_e32 vcc, s27, v25
	v_mov_b64_e32 v[4:5], v[8:9]
	s_and_saveexec_b64 s[2:3], vcc
	s_cbranch_execz .LBB44_26
; %bb.25:
	v_lshlrev_b32_e32 v2, 8, v25
	v_mov_b32_e32 v3, 0
	v_lshl_add_u64 v[4:5], s[0:1], 0, v[2:3]
	v_lshlrev_b32_e32 v2, 1, v18
	v_lshl_add_u64 v[10:11], v[4:5], 0, v[2:3]
	global_load_dwordx4 v[6:9], v[10:11], off
	global_load_dwordx4 v[2:5], v[10:11], off offset:128
.LBB44_26:
	s_or_b64 exec, exec, s[2:3]
	s_mov_b32 s17, s16
	s_mov_b32 s18, s16
	;; [unrolled: 1-line block ×3, first 2 shown]
	v_mov_b64_e32 v[14:15], s[16:17]
	v_mov_b64_e32 v[16:17], s[18:19]
	;; [unrolled: 1-line block ×3, first 2 shown]
	v_cmp_gt_i32_e32 vcc, s27, v20
	v_lshlrev_b32_e32 v21, 7, v20
	v_mov_b64_e32 v[12:13], v[16:17]
	s_and_saveexec_b64 s[2:3], vcc
	s_cbranch_execz .LBB44_28
; %bb.27:
	v_lshlrev_b32_e32 v10, 1, v21
	v_mov_b32_e32 v11, 0
	v_lshl_add_u64 v[12:13], s[0:1], 0, v[10:11]
	v_lshlrev_b32_e32 v10, 1, v18
	v_lshl_add_u64 v[26:27], v[12:13], 0, v[10:11]
	global_load_dwordx4 v[14:17], v[26:27], off
	global_load_dwordx4 v[10:13], v[26:27], off offset:128
.LBB44_28:
	s_or_b64 exec, exec, s[2:3]
	v_lshrrev_b32_e32 v26, 3, v18
	v_lshlrev_b32_e32 v27, 3, v25
	v_or_b32_e32 v26, v27, v26
	v_lshlrev_b32_e32 v26, 4, v26
	v_and_b32_e32 v27, 0x78, v27
	v_xor_b32_e32 v26, v26, v27
	s_branch .LBB44_31
.LBB44_29:
                                        ; implicit-def: $vgpr26
                                        ; implicit-def: $vgpr21
                                        ; implicit-def: $vgpr6_vgpr7_vgpr8_vgpr9
                                        ; implicit-def: $vgpr2_vgpr3_vgpr4_vgpr5
                                        ; implicit-def: $vgpr14_vgpr15_vgpr16_vgpr17
                                        ; implicit-def: $vgpr10_vgpr11_vgpr12_vgpr13
	s_cbranch_execz .LBB44_31
; %bb.30:
	s_waitcnt vmcnt(0)
	v_lshlrev_b32_e32 v2, 1, v18
	v_lshl_or_b32 v21, v25, 8, v2
	s_and_b32 s1, s1, 0xffff
	s_mov_b32 s3, 0x20000
	s_movk_i32 s2, 0x4000
	v_lshl_or_b32 v26, v20, 8, v2
	s_movk_i32 s13, 0x80
	buffer_load_dwordx4 v[6:9], v21, s[0:3], 0 offen
	buffer_load_dwordx4 v[2:5], v21, s[0:3], s13 offen
	;; [unrolled: 1-line block ×4, first 2 shown]
	v_lshrrev_b32_e32 v21, 3, v18
	v_lshlrev_b32_e32 v26, 3, v25
	v_or_b32_e32 v21, v26, v21
	v_lshlrev_b32_e32 v21, 4, v21
	v_and_b32_e32 v26, 0x78, v26
	v_xor_b32_e32 v26, v21, v26
	v_lshlrev_b32_e32 v21, 7, v20
.LBB44_31:
	s_movk_i32 s0, 0x1000
	v_and_or_b32 v20, v21, s0, v26
	s_waitcnt vmcnt(1)
	ds_write_b64 v26, v[6:7] offset:49152
	v_xor_b32_e32 v6, 8, v26
	ds_write_b64 v6, v[8:9] offset:49152
	s_waitcnt vmcnt(0)
	ds_write_b64 v26, v[2:3] offset:57344
	ds_write_b64 v6, v[4:5] offset:57344
	;; [unrolled: 1-line block ×3, first 2 shown]
	v_xor_b32_e32 v2, 8, v20
	ds_write_b64 v2, v[16:17] offset:49152
	ds_write_b64 v20, v[10:11] offset:57344
	;; [unrolled: 1-line block ×3, first 2 shown]
	v_or_b32_e32 v2, v1, v77
	v_lshlrev_b32_e32 v3, 11, v75
	v_lshlrev_b32_e32 v2, 3, v2
	v_and_b32_e32 v6, 0x1000, v3
	v_lshrrev_b32_e32 v3, 5, v74
	s_movk_i32 s0, 0xf8
	v_and_or_b32 v3, v2, s0, v3
	v_lshlrev_b32_e32 v7, 4, v3
	v_and_b32_e32 v8, 0x78, v2
	v_or_b32_e32 v10, 32, v7
	v_lshrrev_b32_e32 v3, 1, v74
	v_xor_b32_e32 v10, v10, v8
	v_xor_b32_e32 v2, v7, v8
	v_and_b32_e32 v9, 8, v3
	v_or_b32_e32 v10, v10, v6
	v_or_b32_e32 v2, v2, v6
	v_xor_b32_e32 v28, v10, v9
	v_or_b32_e32 v10, 64, v7
	v_xor_b32_e32 v27, v2, v9
	v_xor_b32_e32 v10, v10, v8
	s_waitcnt lgkmcnt(0)
	s_barrier
	v_or_b32_e32 v13, v10, v6
	ds_read_b64 v[10:11], v27 offset:49152
	v_lshl_or_b32 v14, v76, 8, v24
	v_lshlrev_b32_e32 v26, 1, v14
	v_add_u32_e32 v12, 0x4000, v26
	ds_read2_b64 v[2:5], v12 offset1:16
	v_or_b32_e32 v7, 0x60, v7
	v_xor_b32_e32 v7, v7, v8
	v_or_b32_e32 v6, v7, v6
	v_xor_b32_e32 v29, v13, v9
	v_xor_b32_e32 v30, v6, v9
	ds_read_b64 v[20:21], v28 offset:49152
	ds_read_b64 v[36:37], v29 offset:49152
	;; [unrolled: 1-line block ×3, first 2 shown]
	s_waitcnt lgkmcnt(3)
	v_mfma_f32_16x16x16_bf16 a[0:3], v[10:11], v[2:3], 0
	ds_read2st64_b64 v[6:9], v26 offset0:36 offset1:40
	s_lshl_b64 s[0:1], s[24:25], 8
	s_add_u32 s4, s4, s0
	v_mfma_f32_16x16x16_bf16 a[4:7], v[10:11], v[4:5], 0
	ds_read2_b64 v[2:5], v12 offset0:32 offset1:48
	s_addc_u32 s5, s5, s1
	s_add_i32 s1, s42, s33
	s_waitcnt lgkmcnt(0)
	v_mfma_f32_16x16x16_bf16 a[8:11], v[10:11], v[2:3], 0
	v_or_b32_e32 v2, 64, v14
	v_lshlrev_b32_e32 v31, 1, v2
	s_add_i32 s0, s12, -1
	v_mfma_f32_16x16x16_bf16 a[12:15], v[10:11], v[4:5], 0
	ds_read2st64_b64 v[2:5], v31 offset0:36 offset1:40
	s_add_i32 s35, s1, s37
	s_add_i32 s1, s44, s43
	v_mfma_f32_16x16x16_bf16 a[0:3], v[20:21], v[6:7], a[0:3]
	v_or_b32_e32 v6, 0x80, v14
	v_lshlrev_b32_e32 v32, 1, v6
	ds_read2st64_b64 v[10:13], v32 offset0:36 offset1:40
	s_waitcnt lgkmcnt(1)
	v_mfma_f32_16x16x16_bf16 a[4:7], v[20:21], v[2:3], a[4:7]
	v_or_b32_e32 v2, 0xc0, v14
	v_lshlrev_b32_e32 v33, 1, v2
	ds_read2st64_b64 v[14:17], v33 offset0:36 offset1:40
	s_add_i32 s31, s1, s45
	s_ashr_i32 s1, s0, 31
	s_mul_i32 s2, s0, s29
	s_mul_hi_u32 s3, s0, s28
	s_add_i32 s2, s3, s2
	s_mul_i32 s1, s1, s28
	s_waitcnt lgkmcnt(1)
	v_mfma_f32_16x16x16_bf16 a[8:11], v[20:21], v[10:11], a[8:11]
	s_add_i32 s1, s2, s1
	s_lshl_b64 s[2:3], s[34:35], 2
	s_add_u32 s10, s10, s2
	s_waitcnt lgkmcnt(0)
	v_mfma_f32_16x16x16_bf16 a[12:15], v[20:21], v[14:15], a[12:15]
	s_addc_u32 s11, s11, s3
	s_lshl_b64 s[2:3], s[30:31], 2
	s_mul_i32 s0, s0, s28
	v_mfma_f32_16x16x16_bf16 a[0:3], v[36:37], v[8:9], a[0:3]
	ds_read_b64 v[2:3], v26 offset:22528
	s_add_u32 s10, s10, s2
	s_addc_u32 s11, s11, s3
	v_mfma_f32_16x16x16_bf16 a[4:7], v[36:37], v[4:5], a[4:7]
	ds_read_b64 v[4:5], v31 offset:22528
	ds_read_b64 v[6:7], v32 offset:22528
	;; [unrolled: 1-line block ×3, first 2 shown]
	s_lshl_b64 s[0:1], s[0:1], 2
	s_add_u32 s0, s10, s0
	v_mfma_f32_16x16x16_bf16 a[8:11], v[36:37], v[12:13], a[8:11]
	s_addc_u32 s1, s11, s1
	s_load_dword s12, s[0:1], 0x0
	s_and_b64 vcc, exec, s[22:23]
	v_mfma_f32_16x16x16_bf16 a[12:15], v[36:37], v[16:17], a[12:15]
	s_waitcnt lgkmcnt(0)
	v_mfma_f32_16x16x16_bf16 a[0:3], v[38:39], v[2:3], a[0:3]
	v_mfma_f32_16x16x16_bf16 a[4:7], v[38:39], v[4:5], a[4:7]
	;; [unrolled: 1-line block ×4, first 2 shown]
	s_cbranch_vccz .LBB44_42
; %bb.32:
	v_lshlrev_b32_e32 v20, 1, v25
	s_and_b64 vcc, exec, s[6:7]
	s_cbranch_vccz .LBB44_43
; %bb.33:
	v_cmp_gt_i32_e32 vcc, s27, v20
	v_mov_b32_e32 v6, 0
	v_mov_b32_e32 v2, 0
	;; [unrolled: 1-line block ×5, first 2 shown]
	s_and_saveexec_b64 s[0:1], vcc
	s_cbranch_execz .LBB44_35
; %bb.34:
	v_mad_i64_i32 v[2:3], s[2:3], s15, v20, 0
	v_lshl_add_u64 v[2:3], v[2:3], 1, s[4:5]
	v_lshlrev_b32_e32 v4, 1, v18
	v_mov_b32_e32 v5, 0
	v_lshl_add_u64 v[2:3], v[2:3], 0, v[4:5]
	global_load_dwordx4 v[2:5], v[2:3], off
.LBB44_35:
	s_or_b64 exec, exec, s[0:1]
	v_or_b32_e32 v21, 1, v20
	v_cmp_gt_i32_e64 s[0:1], s27, v21
	v_mov_b32_e32 v7, 0
	v_mov_b32_e32 v8, 0
	;; [unrolled: 1-line block ×3, first 2 shown]
	s_and_saveexec_b64 s[2:3], s[0:1]
	s_cbranch_execz .LBB44_37
; %bb.36:
	v_mad_i64_i32 v[6:7], s[16:17], s15, v21, 0
	v_lshl_add_u64 v[6:7], v[6:7], 1, s[4:5]
	v_lshlrev_b32_e32 v8, 1, v18
	v_mov_b32_e32 v9, 0
	v_lshl_add_u64 v[6:7], v[6:7], 0, v[8:9]
	global_load_dwordx4 v[6:9], v[6:7], off
.LBB44_37:
	s_or_b64 exec, exec, s[2:3]
	v_mov_b32_e32 v17, 0
	v_mov_b32_e32 v10, 0
	;; [unrolled: 1-line block ×5, first 2 shown]
	s_and_saveexec_b64 s[2:3], vcc
	s_cbranch_execz .LBB44_39
; %bb.38:
	v_mad_i64_i32 v[10:11], s[16:17], s15, v20, 0
	v_lshl_add_u64 v[10:11], v[10:11], 1, s[4:5]
	v_lshlrev_b32_e32 v12, 1, v18
	v_mov_b32_e32 v13, 0
	v_lshl_add_u64 v[10:11], v[10:11], 0, v[12:13]
	global_load_dwordx4 v[10:13], v[10:11], off offset:128
.LBB44_39:
	s_or_b64 exec, exec, s[2:3]
	v_mov_b32_e32 v16, 0
	v_mov_b32_e32 v15, 0
	;; [unrolled: 1-line block ×3, first 2 shown]
	s_and_saveexec_b64 s[2:3], s[0:1]
	s_cbranch_execz .LBB44_41
; %bb.40:
	v_mad_i64_i32 v[14:15], s[0:1], s15, v21, 0
	v_lshl_add_u64 v[14:15], v[14:15], 1, s[4:5]
	v_lshlrev_b32_e32 v16, 1, v18
	v_mov_b32_e32 v17, 0
	v_lshl_add_u64 v[14:15], v[14:15], 0, v[16:17]
	global_load_dwordx4 v[14:17], v[14:15], off offset:128
.LBB44_41:
	s_or_b64 exec, exec, s[2:3]
	s_branch .LBB44_45
.LBB44_42:
                                        ; implicit-def: $vgpr5
                                        ; implicit-def: $vgpr9
                                        ; implicit-def: $vgpr13
                                        ; implicit-def: $vgpr17
	v_lshrrev_b32_e32 v35, 2, v74
	s_branch .LBB44_46
.LBB44_43:
                                        ; implicit-def: $vgpr5
                                        ; implicit-def: $vgpr9
                                        ; implicit-def: $vgpr13
                                        ; implicit-def: $vgpr17
	s_cbranch_execz .LBB44_45
; %bb.44:
	s_waitcnt vmcnt(0)
	v_mad_u64_u32 v[2:3], s[0:1], v20, s15, v[18:19]
	v_lshlrev_b32_e32 v20, 1, v2
	s_lshl_b32 s2, s15, 7
	s_and_b32 s1, s5, 0xffff
	s_mov_b32 s3, 0x20000
	s_mov_b32 s0, s4
	v_add_lshl_u32 v21, v2, s15, 1
	s_movk_i32 s13, 0x80
	buffer_load_dwordx4 v[2:5], v20, s[0:3], 0 offen
	buffer_load_dwordx4 v[10:13], v20, s[0:3], s13 offen
	;; [unrolled: 1-line block ×4, first 2 shown]
.LBB44_45:
	v_lshrrev_b32_e32 v35, 2, v74
	s_cbranch_execnz .LBB44_58
.LBB44_46:
	s_and_b64 vcc, exec, s[6:7]
	s_cbranch_vccz .LBB44_56
; %bb.47:
	s_waitcnt vmcnt(0)
	v_lshlrev_b32_e32 v7, 1, v25
	v_cmp_gt_i32_e32 vcc, s27, v7
	v_mov_b32_e32 v6, 0
	v_lshlrev_b32_e32 v14, 9, v25
	v_mov_b32_e32 v2, 0
	v_mov_b32_e32 v3, 0
	;; [unrolled: 1-line block ×4, first 2 shown]
	s_and_saveexec_b64 s[0:1], vcc
	s_cbranch_execz .LBB44_49
; %bb.48:
	v_mov_b32_e32 v15, 0
	v_lshl_add_u64 v[2:3], s[4:5], 0, v[14:15]
	v_lshlrev_b32_e32 v4, 1, v18
	v_mov_b32_e32 v5, v15
	v_lshl_add_u64 v[2:3], v[2:3], 0, v[4:5]
	global_load_dwordx4 v[2:5], v[2:3], off
.LBB44_49:
	s_or_b64 exec, exec, s[0:1]
	v_or_b32_e32 v7, 1, v7
	v_cmp_gt_i32_e64 s[0:1], s27, v7
	v_lshlrev_b32_e32 v20, 8, v7
	v_mov_b32_e32 v7, 0
	v_mov_b32_e32 v8, 0
	;; [unrolled: 1-line block ×3, first 2 shown]
	s_and_saveexec_b64 s[2:3], s[0:1]
	s_cbranch_execz .LBB44_51
; %bb.50:
	v_mov_b32_e32 v21, 0
	v_lshl_add_u64 v[6:7], s[4:5], 0, v[20:21]
	v_lshlrev_b32_e32 v8, 1, v18
	v_mov_b32_e32 v9, v21
	v_lshl_add_u64 v[6:7], v[6:7], 0, v[8:9]
	global_load_dwordx4 v[6:9], v[6:7], off
.LBB44_51:
	s_or_b64 exec, exec, s[2:3]
	v_mov_b32_e32 v17, 0
	v_mov_b32_e32 v10, 0
	;; [unrolled: 1-line block ×5, first 2 shown]
	s_and_saveexec_b64 s[2:3], vcc
	s_cbranch_execz .LBB44_53
; %bb.52:
	v_mov_b32_e32 v15, 0
	v_lshl_add_u64 v[10:11], s[4:5], 0, v[14:15]
	v_lshlrev_b32_e32 v14, 1, v18
	v_lshl_add_u64 v[10:11], v[10:11], 0, v[14:15]
	global_load_dwordx4 v[10:13], v[10:11], off offset:128
.LBB44_53:
	s_or_b64 exec, exec, s[2:3]
	v_mov_b32_e32 v16, 0
	v_mov_b32_e32 v15, 0
	;; [unrolled: 1-line block ×3, first 2 shown]
	s_and_saveexec_b64 s[2:3], s[0:1]
	s_cbranch_execz .LBB44_55
; %bb.54:
	v_mov_b32_e32 v21, 0
	v_lshl_add_u64 v[14:15], s[4:5], 0, v[20:21]
	v_lshlrev_b32_e32 v20, 1, v18
	v_lshl_add_u64 v[14:15], v[14:15], 0, v[20:21]
	global_load_dwordx4 v[14:17], v[14:15], off offset:128
.LBB44_55:
	s_or_b64 exec, exec, s[2:3]
	s_branch .LBB44_58
.LBB44_56:
                                        ; implicit-def: $vgpr5
                                        ; implicit-def: $vgpr9
                                        ; implicit-def: $vgpr13
                                        ; implicit-def: $vgpr17
	s_cbranch_execz .LBB44_58
; %bb.57:
	s_waitcnt vmcnt(0)
	v_lshlrev_b32_e32 v2, 1, v18
	v_lshl_or_b32 v18, v25, 9, v2
	s_and_b32 s5, s5, 0xffff
	s_mov_b32 s7, 0x20000
	s_movk_i32 s6, 0x4000
	s_movk_i32 s0, 0x80
	buffer_load_dwordx4 v[2:5], v18, s[4:7], 0 offen
	buffer_load_dwordx4 v[6:9], v18, s[4:7], 0 offen offset:256
	buffer_load_dwordx4 v[10:13], v18, s[4:7], s0 offen
	buffer_load_dwordx4 v[14:17], v18, s[4:7], s0 offen offset:256
.LBB44_58:
	ds_read_b64 v[20:21], v27 offset:57344
	v_add_u32_e32 v18, 0x6000, v26
	ds_read2_b64 v[36:39], v18 offset1:16
	ds_read_b64 v[52:53], v28 offset:57344
	ds_read_b64 v[28:29], v29 offset:57344
	;; [unrolled: 1-line block ×3, first 2 shown]
	ds_read2st64_b64 v[40:43], v26 offset0:52 offset1:56
	s_mov_b32 s0, 0x1000504
	s_mov_b32 s1, 0x3020706
	s_waitcnt lgkmcnt(4)
	v_mfma_f32_16x16x16_bf16 a[0:3], v[20:21], v[36:37], a[0:3]
	v_mfma_f32_16x16x16_bf16 a[4:7], v[20:21], v[38:39], a[4:7]
	ds_read2_b64 v[36:39], v18 offset0:32 offset1:48
	v_and_b32_e32 v18, 6, v0
	v_xor_b32_e32 v25, v25, v18
	s_waitcnt lgkmcnt(0)
	v_mfma_f32_16x16x16_bf16 a[8:11], v[20:21], v[36:37], a[8:11]
	v_lshlrev_b32_e32 v25, 2, v25
	v_and_b32_e32 v0, 1, v0
	v_cmp_eq_u32_e32 vcc, 0, v0
	v_mfma_f32_16x16x16_bf16 a[12:15], v[20:21], v[38:39], a[12:15]
	ds_read2st64_b64 v[36:39], v31 offset0:52 offset1:56
	ds_read2st64_b64 v[44:47], v32 offset0:52 offset1:56
	;; [unrolled: 1-line block ×3, first 2 shown]
	ds_read_b64 v[20:21], v26 offset:30720
	ds_read_b64 v[26:27], v31 offset:30720
	;; [unrolled: 1-line block ×4, first 2 shown]
	s_waitcnt lgkmcnt(6)
	v_mfma_f32_16x16x16_bf16 a[4:7], v[52:53], v[36:37], a[4:7]
	v_xor_b32_e32 v36, 0x440, v25
	v_cndmask_b32_e32 v0, v36, v25, vcc
	v_lshl_or_b32 v0, v18, 10, v0
	v_mfma_f32_16x16x16_bf16 a[0:3], v[52:53], v[40:41], a[0:3]
	s_waitcnt vmcnt(0)
	v_perm_b32 v18, v2, v6, s0
	v_perm_b32 v25, v10, v14, s0
	ds_write2st64_b32 v0, v18, v25 offset0:128 offset1:160
	s_waitcnt lgkmcnt(6)
	v_mfma_f32_16x16x16_bf16 a[8:11], v[52:53], v[44:45], a[8:11]
	v_xor_b32_e32 v18, 8, v0
	v_perm_b32 v2, v2, v6, s1
	v_perm_b32 v6, v10, v14, s1
	s_waitcnt lgkmcnt(5)
	v_mfma_f32_16x16x16_bf16 a[12:15], v[52:53], v[48:49], a[12:15]
	v_add_u32_e32 v10, 0x80, v18
	ds_write2st64_b32 v10, v2, v6 offset0:128 offset1:160
	v_xor_b32_e32 v2, 16, v0
	v_mfma_f32_16x16x16_bf16 a[0:3], v[28:29], v[42:43], a[0:3]
	v_perm_b32 v6, v3, v7, s0
	v_perm_b32 v10, v11, v15, s0
	ds_write2st64_b32 v2, v6, v10 offset0:129 offset1:161
	v_mfma_f32_16x16x16_bf16 a[4:7], v[28:29], v[38:39], a[4:7]
	v_xor_b32_e32 v2, 24, v0
	v_perm_b32 v3, v3, v7, s1
	v_perm_b32 v6, v11, v15, s1
	v_mfma_f32_16x16x16_bf16 a[16:19], v[28:29], v[46:47], a[8:11]
	v_add_u32_e32 v2, 0x80, v2
	ds_write2st64_b32 v2, v3, v6 offset0:129 offset1:161
	v_xor_b32_e32 v2, 32, v0
	v_mfma_f32_16x16x16_bf16 a[20:23], v[28:29], v[50:51], a[12:15]
	v_perm_b32 v3, v4, v8, s0
	v_perm_b32 v6, v12, v16, s0
	ds_write2st64_b32 v2, v3, v6 offset0:130 offset1:162
	s_waitcnt lgkmcnt(8)
	v_mfma_f32_16x16x16_bf16 a[12:15], v[54:55], v[20:21], a[0:3]
	v_xor_b32_e32 v2, 40, v0
	v_perm_b32 v3, v4, v8, s1
	v_perm_b32 v4, v12, v16, s1
	s_waitcnt lgkmcnt(7)
	v_mfma_f32_16x16x16_bf16 a[8:11], v[54:55], v[26:27], a[4:7]
	v_add_u32_e32 v2, 0x80, v2
	ds_write2st64_b32 v2, v3, v4 offset0:130 offset1:162
	v_xor_b32_e32 v2, 48, v0
	s_waitcnt lgkmcnt(7)
	v_mfma_f32_16x16x16_bf16 a[4:7], v[54:55], v[30:31], a[16:19]
	v_perm_b32 v3, v5, v9, s0
	v_perm_b32 v4, v13, v17, s0
	v_xor_b32_e32 v0, 56, v0
	s_waitcnt lgkmcnt(6)
	v_mfma_f32_16x16x16_bf16 a[0:3], v[54:55], v[32:33], a[20:23]
	v_and_or_b32 v18, v35, 12, v1
	ds_write2st64_b32 v2, v3, v4 offset0:131 offset1:163
	v_perm_b32 v2, v5, v9, s1
	v_perm_b32 v3, v13, v17, s1
	v_add_u32_e32 v0, 0x80, v0
	v_cmp_gt_i32_e32 vcc, s27, v18
	v_mov_b32_e32 v14, 0
	v_mov_b32_e32 v16, 0
	ds_write2st64_b32 v0, v2, v3 offset0:131 offset1:163
	s_and_saveexec_b64 s[0:1], vcc
	s_cbranch_execz .LBB44_60
; %bb.59:
	v_add_u32_e32 v0, s26, v18
	v_ashrrev_i32_e32 v1, 31, v0
	v_mul_lo_u32 v2, v1, s28
	v_mul_lo_u32 v3, v0, s29
	v_mad_u64_u32 v[0:1], s[2:3], v0, s28, 0
	v_add3_u32 v1, v1, v3, v2
	v_lshl_add_u64 v[0:1], v[0:1], 2, s[10:11]
	global_load_dword v0, v[0:1], off
	s_waitcnt vmcnt(0)
	v_sub_f32_e32 v0, s12, v0
	v_exp_f32_e32 v16, v0
.LBB44_60:
	s_or_b64 exec, exec, s[0:1]
	v_or_b32_e32 v8, 1, v18
	v_cmp_gt_i32_e64 s[0:1], s27, v8
	s_and_saveexec_b64 s[2:3], s[0:1]
	s_cbranch_execz .LBB44_62
; %bb.61:
	v_add_u32_e32 v0, s26, v8
	v_ashrrev_i32_e32 v1, 31, v0
	v_mul_lo_u32 v2, v1, s28
	v_mul_lo_u32 v3, v0, s29
	v_mad_u64_u32 v[0:1], s[4:5], v0, s28, 0
	v_add3_u32 v1, v1, v3, v2
	v_lshl_add_u64 v[0:1], v[0:1], 2, s[10:11]
	global_load_dword v0, v[0:1], off
	s_waitcnt vmcnt(0)
	v_sub_f32_e32 v0, s12, v0
	v_exp_f32_e32 v14, v0
.LBB44_62:
	s_or_b64 exec, exec, s[2:3]
	v_or_b32_e32 v10, 2, v18
	v_cmp_gt_i32_e64 s[2:3], s27, v10
	v_mov_b32_e32 v15, 0
	v_mov_b32_e32 v17, 0
	s_and_saveexec_b64 s[4:5], s[2:3]
	s_cbranch_execz .LBB44_64
; %bb.63:
	v_add_u32_e32 v0, s26, v10
	v_ashrrev_i32_e32 v1, 31, v0
	v_mul_lo_u32 v2, v1, s28
	v_mul_lo_u32 v3, v0, s29
	v_mad_u64_u32 v[0:1], s[6:7], v0, s28, 0
	v_add3_u32 v1, v1, v3, v2
	v_lshl_add_u64 v[0:1], v[0:1], 2, s[10:11]
	global_load_dword v0, v[0:1], off
	s_waitcnt vmcnt(0)
	v_sub_f32_e32 v0, s12, v0
	v_exp_f32_e32 v17, v0
.LBB44_64:
	s_or_b64 exec, exec, s[4:5]
	v_or_b32_e32 v12, 3, v18
	v_cmp_gt_i32_e64 s[4:5], s27, v12
	s_and_saveexec_b64 s[6:7], s[4:5]
	s_cbranch_execz .LBB44_66
; %bb.65:
	v_add_u32_e32 v0, s26, v12
	v_ashrrev_i32_e32 v1, 31, v0
	v_mul_lo_u32 v2, v1, s28
	v_mul_lo_u32 v3, v0, s29
	v_mad_u64_u32 v[0:1], s[14:15], v0, s28, 0
	v_add3_u32 v1, v1, v3, v2
	v_lshl_add_u64 v[0:1], v[0:1], 2, s[10:11]
	global_load_dword v0, v[0:1], off
	s_waitcnt vmcnt(0)
	v_sub_f32_e32 v0, s12, v0
	v_exp_f32_e32 v15, v0
.LBB44_66:
	s_or_b64 exec, exec, s[6:7]
	s_add_u32 s6, s8, s20
	v_accvgpr_read_b32 v0, a12
	s_addc_u32 s7, s9, s21
	v_ashrrev_i32_e32 v35, 31, v34
	v_accvgpr_read_b32 v1, a13
	v_accvgpr_read_b32 v2, a14
	;; [unrolled: 1-line block ×3, first 2 shown]
	v_lshl_add_u64 v[4:5], v[34:35], 1, s[6:7]
	v_mov_b32_e32 v9, 0
	v_lshlrev_b32_e32 v6, 8, v18
	v_mov_b32_e32 v7, 0
	s_and_saveexec_b64 s[6:7], vcc
	s_cbranch_execz .LBB44_68
; %bb.67:
	v_mov_b32_e32 v7, 0
	v_lshl_add_u64 v[20:21], v[4:5], 0, v[6:7]
	global_load_ushort v7, v[20:21], off
	s_waitcnt vmcnt(0)
	v_lshlrev_b32_e32 v7, 16, v7
	v_sub_f32_e32 v0, v7, v0
	v_mul_f32_e32 v0, v16, v0
	v_lshrrev_b32_e32 v7, 16, v0
.LBB44_68:
	s_or_b64 exec, exec, s[6:7]
	v_lshlrev_b32_e32 v8, 8, v8
	s_and_saveexec_b64 s[6:7], s[0:1]
	s_cbranch_execz .LBB44_70
; %bb.69:
	v_mov_b32_e32 v9, 0
	v_lshl_add_u64 v[20:21], v[4:5], 0, v[8:9]
	global_load_ushort v0, v[20:21], off
	s_waitcnt vmcnt(0)
	v_lshlrev_b32_e32 v0, 16, v0
	v_sub_f32_e32 v0, v0, v1
	v_mul_f32_e32 v0, v14, v0
	v_lshrrev_b32_e32 v9, 16, v0
.LBB44_70:
	s_or_b64 exec, exec, s[6:7]
	v_mov_b32_e32 v13, 0
	v_lshlrev_b32_e32 v10, 8, v10
	v_mov_b32_e32 v11, 0
	s_and_saveexec_b64 s[6:7], s[2:3]
	s_cbranch_execz .LBB44_72
; %bb.71:
	v_mov_b32_e32 v11, 0
	v_lshl_add_u64 v[0:1], v[4:5], 0, v[10:11]
	global_load_ushort v0, v[0:1], off
	s_waitcnt vmcnt(0)
	v_lshlrev_b32_e32 v0, 16, v0
	v_sub_f32_e32 v0, v0, v2
	v_mul_f32_e32 v0, v17, v0
	v_lshrrev_b32_e32 v11, 16, v0
.LBB44_72:
	s_or_b64 exec, exec, s[6:7]
	v_lshlrev_b32_e32 v12, 8, v12
	s_and_saveexec_b64 s[6:7], s[4:5]
	s_cbranch_execz .LBB44_74
; %bb.73:
	v_mov_b32_e32 v13, 0
	v_lshl_add_u64 v[0:1], v[4:5], 0, v[12:13]
	global_load_ushort v0, v[0:1], off
	s_waitcnt vmcnt(0)
	v_lshlrev_b32_e32 v0, 16, v0
	v_sub_f32_e32 v0, v0, v3
	v_mul_f32_e32 v0, v15, v0
	v_lshrrev_b32_e32 v13, 16, v0
.LBB44_74:
	s_or_b64 exec, exec, s[6:7]
	v_lshlrev_b32_e32 v18, 6, v18
	s_mov_b32 s6, 0x5040100
	v_perm_b32 v20, v9, v7, s6
	v_or_b32_e32 v7, v18, v24
	v_accvgpr_read_b32 v0, a8
	v_perm_b32 v21, v13, v11, s6
	v_lshlrev_b32_e32 v7, 1, v7
	v_accvgpr_read_b32 v1, a9
	v_accvgpr_read_b32 v2, a10
	;; [unrolled: 1-line block ×3, first 2 shown]
	ds_write_b64 v7, v[20:21] offset:24576
	v_mov_b32_e32 v9, 0
	v_mov_b32_e32 v7, 0
	s_and_saveexec_b64 s[6:7], vcc
	s_cbranch_execz .LBB44_76
; %bb.75:
	v_mov_b32_e32 v7, 0
	v_lshl_add_u64 v[20:21], v[4:5], 0, v[6:7]
	global_load_ushort v7, v[20:21], off offset:32
	s_waitcnt vmcnt(0)
	v_lshlrev_b32_e32 v7, 16, v7
	v_sub_f32_e32 v0, v7, v0
	v_mul_f32_e32 v0, v16, v0
	v_lshrrev_b32_e32 v7, 16, v0
.LBB44_76:
	s_or_b64 exec, exec, s[6:7]
	s_and_saveexec_b64 s[6:7], s[0:1]
	s_cbranch_execz .LBB44_78
; %bb.77:
	v_mov_b32_e32 v9, 0
	v_lshl_add_u64 v[20:21], v[4:5], 0, v[8:9]
	global_load_ushort v0, v[20:21], off offset:32
	s_waitcnt vmcnt(0)
	v_lshlrev_b32_e32 v0, 16, v0
	v_sub_f32_e32 v0, v0, v1
	v_mul_f32_e32 v0, v14, v0
	v_lshrrev_b32_e32 v9, 16, v0
.LBB44_78:
	s_or_b64 exec, exec, s[6:7]
	v_mov_b32_e32 v13, 0
	v_mov_b32_e32 v11, 0
	s_and_saveexec_b64 s[6:7], s[2:3]
	s_cbranch_execz .LBB44_80
; %bb.79:
	v_mov_b32_e32 v11, 0
	v_lshl_add_u64 v[0:1], v[4:5], 0, v[10:11]
	global_load_ushort v0, v[0:1], off offset:32
	s_waitcnt vmcnt(0)
	v_lshlrev_b32_e32 v0, 16, v0
	v_sub_f32_e32 v0, v0, v2
	v_mul_f32_e32 v0, v17, v0
	v_lshrrev_b32_e32 v11, 16, v0
.LBB44_80:
	s_or_b64 exec, exec, s[6:7]
	s_and_saveexec_b64 s[6:7], s[4:5]
	s_cbranch_execz .LBB44_82
; %bb.81:
	v_mov_b32_e32 v13, 0
	v_lshl_add_u64 v[0:1], v[4:5], 0, v[12:13]
	global_load_ushort v0, v[0:1], off offset:32
	s_waitcnt vmcnt(0)
	v_lshlrev_b32_e32 v0, 16, v0
	v_sub_f32_e32 v0, v0, v3
	v_mul_f32_e32 v0, v15, v0
	v_lshrrev_b32_e32 v13, 16, v0
.LBB44_82:
	s_or_b64 exec, exec, s[6:7]
	s_mov_b32 s6, 0x5040100
	v_perm_b32 v20, v9, v7, s6
	v_or_b32_e32 v7, v18, v23
	v_accvgpr_read_b32 v0, a4
	v_perm_b32 v21, v13, v11, s6
	v_lshlrev_b32_e32 v7, 1, v7
	v_accvgpr_read_b32 v1, a5
	v_accvgpr_read_b32 v2, a6
	;; [unrolled: 1-line block ×3, first 2 shown]
	ds_write_b64 v7, v[20:21] offset:24576
	v_mov_b32_e32 v9, 0
	v_mov_b32_e32 v7, 0
	s_and_saveexec_b64 s[6:7], vcc
	s_cbranch_execz .LBB44_84
; %bb.83:
	v_mov_b32_e32 v7, 0
	v_lshl_add_u64 v[20:21], v[4:5], 0, v[6:7]
	global_load_ushort v7, v[20:21], off offset:64
	s_waitcnt vmcnt(0)
	v_lshlrev_b32_e32 v7, 16, v7
	v_sub_f32_e32 v0, v7, v0
	v_mul_f32_e32 v0, v16, v0
	v_lshrrev_b32_e32 v7, 16, v0
.LBB44_84:
	s_or_b64 exec, exec, s[6:7]
	s_and_saveexec_b64 s[6:7], s[0:1]
	s_cbranch_execz .LBB44_86
; %bb.85:
	v_mov_b32_e32 v9, 0
	v_lshl_add_u64 v[20:21], v[4:5], 0, v[8:9]
	global_load_ushort v0, v[20:21], off offset:64
	s_waitcnt vmcnt(0)
	v_lshlrev_b32_e32 v0, 16, v0
	v_sub_f32_e32 v0, v0, v1
	v_mul_f32_e32 v0, v14, v0
	v_lshrrev_b32_e32 v9, 16, v0
.LBB44_86:
	s_or_b64 exec, exec, s[6:7]
	v_mov_b32_e32 v13, 0
	v_mov_b32_e32 v11, 0
	s_and_saveexec_b64 s[6:7], s[2:3]
	s_cbranch_execz .LBB44_88
; %bb.87:
	v_mov_b32_e32 v11, 0
	v_lshl_add_u64 v[0:1], v[4:5], 0, v[10:11]
	global_load_ushort v0, v[0:1], off offset:64
	s_waitcnt vmcnt(0)
	v_lshlrev_b32_e32 v0, 16, v0
	v_sub_f32_e32 v0, v0, v2
	v_mul_f32_e32 v0, v17, v0
	v_lshrrev_b32_e32 v11, 16, v0
.LBB44_88:
	s_or_b64 exec, exec, s[6:7]
	s_and_saveexec_b64 s[6:7], s[4:5]
	s_cbranch_execz .LBB44_90
; %bb.89:
	v_mov_b32_e32 v13, 0
	v_lshl_add_u64 v[0:1], v[4:5], 0, v[12:13]
	global_load_ushort v0, v[0:1], off offset:64
	s_waitcnt vmcnt(0)
	v_lshlrev_b32_e32 v0, 16, v0
	v_sub_f32_e32 v0, v0, v3
	v_mul_f32_e32 v0, v15, v0
	v_lshrrev_b32_e32 v13, 16, v0
.LBB44_90:
	s_or_b64 exec, exec, s[6:7]
	s_mov_b32 s6, 0x5040100
	v_perm_b32 v20, v9, v7, s6
	v_or_b32_e32 v7, v18, v22
	v_accvgpr_read_b32 v0, a0
	v_perm_b32 v21, v13, v11, s6
	v_lshlrev_b32_e32 v7, 1, v7
	v_accvgpr_read_b32 v1, a1
	v_accvgpr_read_b32 v2, a2
	;; [unrolled: 1-line block ×3, first 2 shown]
	ds_write_b64 v7, v[20:21] offset:24576
	v_mov_b32_e32 v9, 0
	v_mov_b32_e32 v7, 0
	s_and_saveexec_b64 s[6:7], vcc
	s_cbranch_execz .LBB44_92
; %bb.91:
	v_mov_b32_e32 v7, 0
	v_lshl_add_u64 v[6:7], v[4:5], 0, v[6:7]
	global_load_ushort v6, v[6:7], off offset:96
	s_waitcnt vmcnt(0)
	v_lshlrev_b32_e32 v6, 16, v6
	v_sub_f32_e32 v0, v6, v0
	v_mul_f32_e32 v0, v16, v0
	v_lshrrev_b32_e32 v7, 16, v0
.LBB44_92:
	s_or_b64 exec, exec, s[6:7]
	s_and_saveexec_b64 s[6:7], s[0:1]
	s_cbranch_execz .LBB44_94
; %bb.93:
	v_mov_b32_e32 v9, 0
	v_lshl_add_u64 v[8:9], v[4:5], 0, v[8:9]
	global_load_ushort v0, v[8:9], off offset:96
	s_waitcnt vmcnt(0)
	v_lshlrev_b32_e32 v0, 16, v0
	v_sub_f32_e32 v0, v0, v1
	v_mul_f32_e32 v0, v14, v0
	v_lshrrev_b32_e32 v9, 16, v0
.LBB44_94:
	s_or_b64 exec, exec, s[6:7]
	v_mov_b32_e32 v0, 0
	v_mov_b32_e32 v1, 0
	s_and_saveexec_b64 s[0:1], s[2:3]
	s_cbranch_execz .LBB44_96
; %bb.95:
	v_mov_b32_e32 v11, 0
	v_lshl_add_u64 v[10:11], v[4:5], 0, v[10:11]
	global_load_ushort v1, v[10:11], off offset:96
	s_waitcnt vmcnt(0)
	v_lshlrev_b32_e32 v1, 16, v1
	v_sub_f32_e32 v1, v1, v2
	v_mul_f32_e32 v1, v17, v1
	v_lshrrev_b32_e32 v1, 16, v1
.LBB44_96:
	s_or_b64 exec, exec, s[0:1]
	s_and_saveexec_b64 s[0:1], s[4:5]
	s_cbranch_execz .LBB44_98
; %bb.97:
	v_mov_b32_e32 v13, 0
	v_lshl_add_u64 v[4:5], v[4:5], 0, v[12:13]
	global_load_ushort v0, v[4:5], off offset:96
	s_waitcnt vmcnt(0)
	v_lshlrev_b32_e32 v0, 16, v0
	v_sub_f32_e32 v0, v0, v3
	v_mul_f32_e32 v0, v15, v0
	v_lshrrev_b32_e32 v0, 16, v0
.LBB44_98:
	s_or_b64 exec, exec, s[0:1]
	s_mov_b32 s0, 0x5040100
	v_or_b32_e32 v2, v18, v19
	v_perm_b32 v1, v0, v1, s0
	v_perm_b32 v0, v9, v7, s0
	v_lshlrev_b32_e32 v2, 1, v2
	ds_write_b64 v2, v[0:1] offset:24576
	s_waitcnt lgkmcnt(0)
	s_barrier
.LBB44_99:
	s_endpgm
	.section	.rodata,"a",@progbits
	.p2align	6, 0x0
	.amdhsa_kernel _ZN12_GLOBAL__N_139chunk_gated_delta_rule_fwd_h_hip_kernelILi64ELb1ELb0ELb0ELb0ELb1ELb0ELb1ELb1EEEvPK12hip_bfloat16S3_S3_PKfS5_PKvPS1_S8_PvPKiSB_iiiiilll
		.amdhsa_group_segment_fixed_size 65536
		.amdhsa_private_segment_fixed_size 0
		.amdhsa_kernarg_size 136
		.amdhsa_user_sgpr_count 2
		.amdhsa_user_sgpr_dispatch_ptr 0
		.amdhsa_user_sgpr_queue_ptr 0
		.amdhsa_user_sgpr_kernarg_segment_ptr 1
		.amdhsa_user_sgpr_dispatch_id 0
		.amdhsa_user_sgpr_kernarg_preload_length 0
		.amdhsa_user_sgpr_kernarg_preload_offset 0
		.amdhsa_user_sgpr_private_segment_size 0
		.amdhsa_uses_dynamic_stack 0
		.amdhsa_enable_private_segment 0
		.amdhsa_system_sgpr_workgroup_id_x 1
		.amdhsa_system_sgpr_workgroup_id_y 1
		.amdhsa_system_sgpr_workgroup_id_z 0
		.amdhsa_system_sgpr_workgroup_info 0
		.amdhsa_system_vgpr_workitem_id 0
		.amdhsa_next_free_vgpr 216
		.amdhsa_next_free_sgpr 66
		.amdhsa_accum_offset 180
		.amdhsa_reserve_vcc 1
		.amdhsa_float_round_mode_32 0
		.amdhsa_float_round_mode_16_64 0
		.amdhsa_float_denorm_mode_32 3
		.amdhsa_float_denorm_mode_16_64 3
		.amdhsa_dx10_clamp 1
		.amdhsa_ieee_mode 1
		.amdhsa_fp16_overflow 0
		.amdhsa_tg_split 0
		.amdhsa_exception_fp_ieee_invalid_op 0
		.amdhsa_exception_fp_denorm_src 0
		.amdhsa_exception_fp_ieee_div_zero 0
		.amdhsa_exception_fp_ieee_overflow 0
		.amdhsa_exception_fp_ieee_underflow 0
		.amdhsa_exception_fp_ieee_inexact 0
		.amdhsa_exception_int_div_zero 0
	.end_amdhsa_kernel
	.section	.text._ZN12_GLOBAL__N_139chunk_gated_delta_rule_fwd_h_hip_kernelILi64ELb1ELb0ELb0ELb0ELb1ELb0ELb1ELb1EEEvPK12hip_bfloat16S3_S3_PKfS5_PKvPS1_S8_PvPKiSB_iiiiilll,"axG",@progbits,_ZN12_GLOBAL__N_139chunk_gated_delta_rule_fwd_h_hip_kernelILi64ELb1ELb0ELb0ELb0ELb1ELb0ELb1ELb1EEEvPK12hip_bfloat16S3_S3_PKfS5_PKvPS1_S8_PvPKiSB_iiiiilll,comdat
.Lfunc_end44:
	.size	_ZN12_GLOBAL__N_139chunk_gated_delta_rule_fwd_h_hip_kernelILi64ELb1ELb0ELb0ELb0ELb1ELb0ELb1ELb1EEEvPK12hip_bfloat16S3_S3_PKfS5_PKvPS1_S8_PvPKiSB_iiiiilll, .Lfunc_end44-_ZN12_GLOBAL__N_139chunk_gated_delta_rule_fwd_h_hip_kernelILi64ELb1ELb0ELb0ELb0ELb1ELb0ELb1ELb1EEEvPK12hip_bfloat16S3_S3_PKfS5_PKvPS1_S8_PvPKiSB_iiiiilll
                                        ; -- End function
	.section	.AMDGPU.csdata,"",@progbits
; Kernel info:
; codeLenInByte = 10912
; NumSgprs: 72
; NumVgprs: 178
; NumAgprs: 36
; TotalNumVgprs: 216
; ScratchSize: 0
; MemoryBound: 0
; FloatMode: 240
; IeeeMode: 1
; LDSByteSize: 65536 bytes/workgroup (compile time only)
; SGPRBlocks: 8
; VGPRBlocks: 26
; NumSGPRsForWavesPerEU: 72
; NumVGPRsForWavesPerEU: 216
; AccumOffset: 180
; Occupancy: 1
; WaveLimiterHint : 1
; COMPUTE_PGM_RSRC2:SCRATCH_EN: 0
; COMPUTE_PGM_RSRC2:USER_SGPR: 2
; COMPUTE_PGM_RSRC2:TRAP_HANDLER: 0
; COMPUTE_PGM_RSRC2:TGID_X_EN: 1
; COMPUTE_PGM_RSRC2:TGID_Y_EN: 1
; COMPUTE_PGM_RSRC2:TGID_Z_EN: 0
; COMPUTE_PGM_RSRC2:TIDIG_COMP_CNT: 0
; COMPUTE_PGM_RSRC3_GFX90A:ACCUM_OFFSET: 44
; COMPUTE_PGM_RSRC3_GFX90A:TG_SPLIT: 0
	.section	.text._ZN12_GLOBAL__N_139chunk_gated_delta_rule_fwd_h_hip_kernelILi64ELb0ELb1ELb1ELb0ELb1ELb0ELb1ELb1EEEvPK12hip_bfloat16S3_S3_PKfS5_PKvPS1_S8_PvPKiSB_iiiiilll,"axG",@progbits,_ZN12_GLOBAL__N_139chunk_gated_delta_rule_fwd_h_hip_kernelILi64ELb0ELb1ELb1ELb0ELb1ELb0ELb1ELb1EEEvPK12hip_bfloat16S3_S3_PKfS5_PKvPS1_S8_PvPKiSB_iiiiilll,comdat
	.globl	_ZN12_GLOBAL__N_139chunk_gated_delta_rule_fwd_h_hip_kernelILi64ELb0ELb1ELb1ELb0ELb1ELb0ELb1ELb1EEEvPK12hip_bfloat16S3_S3_PKfS5_PKvPS1_S8_PvPKiSB_iiiiilll ; -- Begin function _ZN12_GLOBAL__N_139chunk_gated_delta_rule_fwd_h_hip_kernelILi64ELb0ELb1ELb1ELb0ELb1ELb0ELb1ELb1EEEvPK12hip_bfloat16S3_S3_PKfS5_PKvPS1_S8_PvPKiSB_iiiiilll
	.p2align	8
	.type	_ZN12_GLOBAL__N_139chunk_gated_delta_rule_fwd_h_hip_kernelILi64ELb0ELb1ELb1ELb0ELb1ELb0ELb1ELb1EEEvPK12hip_bfloat16S3_S3_PKfS5_PKvPS1_S8_PvPKiSB_iiiiilll,@function
_ZN12_GLOBAL__N_139chunk_gated_delta_rule_fwd_h_hip_kernelILi64ELb0ELb1ELb1ELb0ELb1ELb0ELb1ELb1EEEvPK12hip_bfloat16S3_S3_PKfS5_PKvPS1_S8_PvPKiSB_iiiiilll: ; @_ZN12_GLOBAL__N_139chunk_gated_delta_rule_fwd_h_hip_kernelILi64ELb0ELb1ELb1ELb0ELb1ELb0ELb1ELb1EEEvPK12hip_bfloat16S3_S3_PKfS5_PKvPS1_S8_PvPKiSB_iiiiilll
; %bb.0:
	s_load_dwordx4 s[16:19], s[0:1], 0x5c
	s_load_dwordx4 s[20:23], s[0:1], 0x70
	s_abs_i32 s26, s3
	s_ashr_i32 s25, s3, 31
	s_load_dwordx8 s[4:11], s[0:1], 0x0
	s_waitcnt lgkmcnt(0)
	s_abs_i32 s24, s17
	v_cvt_f32_u32_e32 v1, s24
	s_sub_i32 s28, 0, s24
	s_ashr_i32 s27, s17, 31
	s_xor_b32 s25, s25, s27
	v_rcp_iflag_f32_e32 v1, v1
	s_load_dwordx2 s[34:35], s[0:1], 0x40
	s_load_dwordx4 s[12:15], s[0:1], 0x30
	s_load_dwordx2 s[36:37], s[0:1], 0x80
	v_lshrrev_b32_e32 v74, 6, v0
	v_mul_f32_e32 v1, 0x4f7ffffe, v1
	v_cvt_u32_f32_e32 v1, v1
	v_bfe_u32 v77, v0, 4, 2
	s_mov_b32 s0, 0
	v_lshlrev_b32_e32 v75, 4, v74
	v_readfirstlane_b32 s29, v1
	s_mul_i32 s28, s28, s29
	s_mul_hi_u32 s28, s29, s28
	s_add_i32 s29, s29, s28
	s_mul_hi_u32 s28, s26, s29
	s_mul_i32 s29, s28, s24
	s_sub_i32 s26, s26, s29
	s_add_i32 s30, s28, 1
	s_sub_i32 s29, s26, s24
	s_cmp_ge_u32 s26, s24
	s_cselect_b32 s28, s30, s28
	s_cselect_b32 s26, s29, s26
	s_add_i32 s29, s28, 1
	s_cmp_ge_u32 s26, s24
	s_cselect_b32 s26, s29, s28
	s_xor_b32 s26, s26, s25
	s_sub_i32 s49, s26, s25
	s_abs_i32 s26, s18
	v_cvt_f32_u32_e32 v1, s26
	s_mul_i32 s47, s49, s17
	s_sub_i32 s33, s3, s47
	s_add_i32 s3, s16, 63
	v_rcp_iflag_f32_e32 v1, v1
	s_ashr_i32 s25, s3, 31
	s_lshr_b32 s25, s25, 26
	s_ashr_i32 s48, s16, 31
	v_mul_f32_e32 v1, 0x4f7ffffe, v1
	v_cvt_u32_f32_e32 v1, v1
	s_add_i32 s3, s3, s25
	s_lshr_b32 s25, s48, 26
	s_add_i32 s25, s16, s25
	s_ashr_i32 s51, s18, 31
	s_ashr_i32 s50, s25, 6
	s_xor_b32 s25, s27, s51
	s_sub_i32 s27, 0, s26
	v_readfirstlane_b32 s28, v1
	s_mul_i32 s27, s27, s28
	s_mul_hi_u32 s27, s28, s27
	s_add_i32 s28, s28, s27
	s_mul_hi_u32 s27, s24, s28
	s_mul_i32 s28, s27, s26
	s_sub_i32 s24, s24, s28
	s_ashr_i32 s3, s3, 6
	s_add_i32 s28, s27, 1
	s_sub_i32 s29, s24, s26
	s_cmp_ge_u32 s24, s26
	s_cselect_b32 s27, s28, s27
	s_cselect_b32 s24, s29, s24
	s_add_i32 s28, s27, 1
	s_cmp_ge_u32 s24, s26
	s_cselect_b32 s24, s28, s27
	s_xor_b32 s24, s24, s25
	s_sub_i32 s24, s24, s25
	s_abs_i32 s25, s24
	v_cvt_f32_u32_e32 v1, s25
	s_sub_i32 s26, 0, s25
	s_xor_b32 s1, s33, s24
	s_abs_i32 s24, s33
	v_rcp_iflag_f32_e32 v1, v1
	s_ashr_i32 s1, s1, 31
	v_lshlrev_b32_e32 v2, 2, v77
	v_and_b32_e32 v76, 63, v0
	v_mul_f32_e32 v1, 0x4f7ffffe, v1
	v_cvt_u32_f32_e32 v1, v1
	s_mul_i32 s52, s49, s3
	v_and_b32_e32 v78, 15, v0
	s_mul_hi_i32 s53, s49, s17
	v_readfirstlane_b32 s27, v1
	s_mul_i32 s26, s26, s27
	s_mul_hi_u32 s26, s27, s26
	s_add_i32 s27, s27, s26
	s_mul_hi_u32 s26, s24, s27
	s_mul_i32 s27, s26, s25
	s_sub_i32 s24, s24, s27
	s_add_i32 s27, s26, 1
	s_sub_i32 s28, s24, s25
	s_cmp_ge_u32 s24, s25
	s_cselect_b32 s26, s27, s26
	s_cselect_b32 s24, s28, s24
	s_add_i32 s27, s26, 1
	s_cmp_ge_u32 s24, s25
	s_cselect_b32 s24, s27, s26
	s_xor_b32 s24, s24, s1
	s_sub_i32 s54, s24, s1
	v_or_b32_e32 v1, v2, v75
	s_lshl_b32 s2, s2, 6
	s_mov_b32 s1, s0
	v_or_b32_e32 v81, 64, v1
	s_cmp_lt_i32 s16, 64
	v_mov_b64_e32 v[34:35], s[0:1]
	v_lshrrev_b32_e32 v80, 3, v76
	v_lshlrev_b32_e32 v79, 3, v0
	s_mul_i32 s21, s49, s21
	s_mul_hi_u32 s46, s49, s20
	s_mul_i32 s38, s49, s20
	v_mov_b64_e32 v[36:37], s[0:1]
	v_mov_b64_e32 v[40:41], s[0:1]
	;; [unrolled: 1-line block ×15, first 2 shown]
	s_cbranch_scc1 .LBB45_17
; %bb.1:
	s_ashr_i32 s3, s49, 31
	s_ashr_i32 s56, s33, 31
	s_add_u32 s0, s47, s33
	s_addc_u32 s1, s53, s56
	s_mul_i32 s1, s16, s1
	s_mul_hi_u32 s24, s16, s0
	s_add_i32 s41, s24, s1
	s_mul_i32 s40, s16, s0
	s_lshl_b64 s[0:1], s[40:41], 8
	v_and_b32_e32 v83, 56, v79
	s_add_u32 s24, s6, s0
	v_lshl_or_b32 v82, v74, 3, v80
	v_lshlrev_b32_e32 v3, 1, v83
	s_addc_u32 s0, s7, s1
	v_lshl_or_b32 v84, v82, 8, v3
	s_and_b32 s25, s0, 0xffff
	s_mov_b32 s27, 0x20000
	s_movk_i32 s26, 0x4000
	s_movk_i32 s0, 0x80
	v_or_b32_e32 v85, 0x2000, v84
	buffer_load_dwordx4 v[4:7], v84, s[24:27], 0 offen
	buffer_load_dwordx4 v[8:11], v84, s[24:27], s0 offen
	;; [unrolled: 1-line block ×4, first 2 shown]
	v_lshlrev_b32_e32 v20, 3, v82
	v_and_or_b32 v22, v0, 7, v20
	v_and_b32_e32 v20, 0x78, v20
	v_lshlrev_b32_e32 v22, 4, v22
	v_xor_b32_e32 v86, v22, v20
	v_mul_lo_u32 v21, v82, s19
	v_or_b32_e32 v87, 0x1000, v86
	s_cmpk_eq_i32 s19, 0x80
	s_mov_b32 s55, s18
	v_xor_b32_e32 v20, 8, v86
	v_xor_b32_e32 v22, 8, v87
	s_cselect_b64 s[0:1], -1, 0
	s_cmpk_lg_i32 s19, 0x80
	s_waitcnt vmcnt(3)
	ds_write_b64 v86, v[4:5] offset:49152
	ds_write_b64 v20, v[6:7] offset:49152
	s_waitcnt vmcnt(2)
	ds_write_b64 v86, v[8:9] offset:57344
	ds_write_b64 v20, v[10:11] offset:57344
	;; [unrolled: 3-line block ×4, first 2 shown]
	v_lshl_add_u32 v4, v21, 1, v83
	s_cbranch_scc0 .LBB45_3
; %bb.2:
	v_lshlrev_b32_e32 v6, 1, v4
	v_add_lshl_u32 v5, v4, s19, 1
	s_lshl_b32 s26, s19, 7
	v_lshl_or_b32 v3, v82, 9, v3
	s_cbranch_execz .LBB45_4
	s_branch .LBB45_5
.LBB45_3:
                                        ; implicit-def: $vgpr5
                                        ; implicit-def: $vgpr6
                                        ; implicit-def: $sgpr26
	v_lshl_or_b32 v3, v82, 9, v3
.LBB45_4:
	v_or_b32_e32 v5, 0x100, v3
	s_movk_i32 s26, 0x4000
	v_mov_b32_e32 v6, v3
.LBB45_5:
	s_mul_hi_u32 s24, s18, s16
	s_mul_i32 s25, s51, s16
	s_add_i32 s24, s24, s25
	s_mul_i32 s25, s18, s16
	s_mul_i32 s27, s25, s3
	s_mul_hi_u32 s28, s25, s49
	s_add_i32 s27, s28, s27
	s_mul_i32 s24, s24, s49
	s_add_i32 s27, s27, s24
	s_mul_i32 s25, s25, s49
	s_ashr_i32 s57, s54, 31
	s_add_u32 s24, s25, s54
	s_addc_u32 s25, s27, s57
	s_lshl_b64 s[24:25], s[24:25], 8
	s_add_u32 s24, s4, s24
	s_addc_u32 s25, s5, s25
	s_and_b32 s25, s25, 0xffff
	s_mov_b32 s27, 0x20000
	s_movk_i32 s58, 0x80
	buffer_load_dwordx4 v[8:11], v6, s[24:27], 0 offen
	buffer_load_dwordx4 v[12:15], v6, s[24:27], s58 offen
	;; [unrolled: 1-line block ×4, first 2 shown]
	v_and_b32_e32 v5, 6, v0
	v_lshlrev_b32_e32 v6, 7, v1
	v_xor_b32_e32 v27, v82, v5
	v_and_b32_e32 v7, 1, v0
	v_lshl_or_b32 v30, v78, 3, v6
	v_lshlrev_b32_e32 v27, 2, v27
	v_or_b32_e32 v88, 0x4000, v30
	v_or_b32_e32 v89, 0x6000, v30
	v_xor_b32_e32 v30, 0x440, v27
	v_cmp_eq_u32_e32 vcc, 0, v7
	v_lshlrev_b32_e32 v24, 2, v78
	s_mov_b32 s60, 0x1000504
	v_cndmask_b32_e32 v7, v30, v27, vcc
	v_xor_b32_e32 v28, v1, v24
	v_xor_b32_e32 v29, v81, v24
	v_lshl_or_b32 v5, v5, 10, v7
	s_mov_b32 s61, 0x3020706
	s_mul_i32 s24, s3, s16
	s_mul_hi_u32 s25, s49, s16
	v_lshlrev_b32_e32 v25, 8, v78
	v_or_b32_e32 v26, 16, v78
	v_lshlrev_b32_e32 v28, 1, v28
	v_lshlrev_b32_e32 v29, 1, v29
	v_xor_b32_e32 v7, 8, v5
	v_xor_b32_e32 v27, 24, v5
	;; [unrolled: 1-line block ×4, first 2 shown]
	v_or_b32_e32 v91, v25, v28
	v_or_b32_e32 v92, v25, v29
	v_xor_b32_e32 v25, 16, v5
	v_xor_b32_e32 v30, 32, v5
	;; [unrolled: 1-line block ×3, first 2 shown]
	v_add_u32_e32 v7, 0x80, v7
	v_add_u32_e32 v27, 0x80, v27
	;; [unrolled: 1-line block ×4, first 2 shown]
	s_add_i32 s63, s25, s24
	s_add_i32 s24, s46, s21
	s_mul_i32 s3, s3, s20
	s_add_i32 s39, s24, s3
	s_mul_i32 s3, s33, s23
	s_mul_hi_u32 s24, s33, s22
	s_add_i32 s3, s24, s3
	s_mul_i32 s24, s56, s22
	s_add_i32 s25, s3, s24
	s_lshl_b64 s[28:29], s[38:39], 2
	s_mul_i32 s24, s33, s22
	s_add_u32 s3, s10, s28
	s_addc_u32 s28, s11, s29
	s_lshl_b64 s[24:25], s[24:25], 2
	s_add_u32 s42, s3, s24
	s_movk_i32 s3, 0xf8
	s_addc_u32 s43, s28, s25
	s_lshl_b32 s30, s19, 7
	s_movk_i32 s28, 0x100
	v_mov_b32_e32 v67, 0
	v_lshlrev_b32_e32 v66, 4, v78
	v_cmp_gt_u32_e32 vcc, s28, v0
	v_lshl_or_b32 v31, v26, 3, v6
	s_mov_b32 s59, 0
	s_mul_i32 s62, s49, s16
	v_or_b32_e32 v90, 0x4000, v31
	s_movk_i32 s26, 0x4000
	v_or_b32_e32 v93, 0x6000, v31
	v_add_u32_e32 v128, v75, v2
	s_movk_i32 s39, 0x2000
	s_movk_i32 s64, 0x3000
	s_mov_b32 s66, 0
	v_mov_b32_e32 v62, v67
	v_mov_b32_e32 v63, v67
	;; [unrolled: 1-line block ×10, first 2 shown]
	s_waitcnt vmcnt(1)
	v_perm_b32 v35, v8, v16, s60
	s_waitcnt vmcnt(0)
	v_perm_b32 v36, v12, v20, s60
	v_perm_b32 v8, v8, v16, s61
	v_perm_b32 v12, v12, v20, s61
	v_perm_b32 v16, v9, v17, s60
	v_perm_b32 v20, v13, v21, s60
	v_perm_b32 v9, v9, v17, s61
	v_perm_b32 v13, v13, v21, s61
	v_perm_b32 v17, v10, v18, s60
	v_perm_b32 v21, v14, v22, s60
	v_perm_b32 v10, v10, v18, s61
	v_perm_b32 v14, v14, v22, s61
	v_perm_b32 v18, v11, v19, s60
	v_perm_b32 v22, v15, v23, s60
	v_perm_b32 v11, v11, v19, s61
	v_perm_b32 v15, v15, v23, s61
	ds_write2st64_b32 v5, v35, v36 offset0:128 offset1:160
	ds_write2st64_b32 v7, v8, v12 offset0:128 offset1:160
	;; [unrolled: 1-line block ×8, first 2 shown]
	v_lshlrev_b32_e32 v5, 8, v26
	v_or_b32_e32 v94, v5, v28
	v_or_b32_e32 v95, v5, v29
	;; [unrolled: 1-line block ×3, first 2 shown]
	v_lshl_or_b32 v7, v5, 3, v6
	v_lshlrev_b32_e32 v5, 8, v5
	v_or_b32_e32 v98, v5, v28
	v_or_b32_e32 v99, v5, v29
	;; [unrolled: 1-line block ×5, first 2 shown]
	v_lshl_or_b32 v7, v5, 3, v6
	v_lshlrev_b32_e32 v5, 8, v5
	v_or_b32_e32 v102, v5, v28
	v_or_b32_e32 v103, v5, v29
	;; [unrolled: 1-line block ×3, first 2 shown]
	v_lshlrev_b32_e32 v5, 3, v5
	v_lshrrev_b32_e32 v9, 5, v76
	v_and_or_b32 v9, v5, s3, v9
	v_lshlrev_b32_e32 v9, 4, v9
	v_or_b32_e32 v100, 0x4000, v7
	v_or_b32_e32 v101, 0x6000, v7
	v_lshlrev_b32_e32 v7, 11, v74
	v_and_b32_e32 v5, 0x78, v5
	v_or_b32_e32 v14, 32, v9
	v_and_b32_e32 v8, 0x1000, v7
	v_xor_b32_e32 v10, v9, v5
	v_lshrrev_b32_e32 v11, 1, v0
	v_xor_b32_e32 v14, v14, v5
	v_or_b32_e32 v10, v10, v8
	v_and_b32_e32 v12, 8, v11
	v_or_b32_e32 v14, v14, v8
	v_xor_b32_e32 v104, v10, v12
	v_lshlrev_b32_e32 v10, 8, v77
	v_xor_b32_e32 v106, v14, v12
	v_or_b32_e32 v14, 64, v9
	v_or_b32_e32 v9, 0x60, v9
	;; [unrolled: 1-line block ×3, first 2 shown]
	v_xor_b32_e32 v14, v14, v5
	v_xor_b32_e32 v5, v9, v5
	s_ashr_i32 s3, s2, 31
	v_lshlrev_b32_e32 v13, 1, v13
	v_or_b32_e32 v14, v14, v8
	v_or_b32_e32 v5, v5, v8
	s_lshl_b64 s[24:25], s[2:3], 8
	v_or_b32_e32 v105, 0x4000, v13
	v_or_b32_e32 v107, 0x4080, v13
	;; [unrolled: 1-line block ×4, first 2 shown]
	v_xor_b32_e32 v110, v14, v12
	v_xor_b32_e32 v111, v5, v12
	v_or_b32_e32 v112, 0x6000, v13
	v_or_b32_e32 v113, 0x6080, v13
	;; [unrolled: 1-line block ×4, first 2 shown]
	v_lshlrev_b32_e32 v12, 1, v4
	v_add_lshl_u32 v13, v4, s19, 1
	s_waitcnt lgkmcnt(0)
	s_add_u32 s24, s12, s24
	v_lshlrev_b32_e32 v4, 1, v78
	v_lshrrev_b32_e32 v15, 4, v0
	s_addc_u32 s25, s13, s25
	v_or_b32_e32 v5, 1, v4
	v_mov_b32_e32 v19, 0xa000
	v_mov_b32_e32 v20, 0x8000
	v_xor_b32_e32 v16, v15, v4
	v_xor_b32_e32 v17, v5, v15
	v_lshl_add_u64 v[4:5], s[24:25], 0, v[66:67]
	v_lshlrev_b32_e32 v66, 8, v15
	v_cndmask_b32_e32 v19, v19, v20, vcc
	v_lshlrev_b32_e32 v20, 3, v74
	v_and_b32_e32 v11, 24, v11
	v_lshl_or_b32 v116, v16, 3, v66
	v_and_b32_e32 v16, 8, v0
	v_xor_b32_e32 v21, v20, v11
	v_or_b32_e32 v22, 0x440, v21
	v_cmp_eq_u32_e32 vcc, 0, v16
	v_and_b32_e32 v15, 7, v0
	v_lshl_or_b32 v117, v17, 3, v66
	v_cndmask_b32_e32 v16, v22, v21, vcc
	v_lshlrev_b32_e32 v17, 3, v15
	v_lshlrev_b32_e32 v15, 7, v15
	v_or_b32_e32 v16, v16, v7
	v_lshlrev_b32_e32 v18, 2, v0
	v_xad_u32 v118, v16, v17, v15
	v_or_b32_e32 v16, 32, v11
	v_and_or_b32 v10, v18, 60, v10
	v_xor_b32_e32 v16, v20, v16
	v_lshlrev_b32_e32 v10, 1, v10
	v_or_b32_e32 v18, 0x440, v16
	v_or_b32_e32 v119, 0x6000, v10
	v_cndmask_b32_e32 v16, v18, v16, vcc
	v_or_b32_e32 v121, 0x6080, v10
	v_or_b32_e32 v122, 0x6100, v10
	v_or_b32_e32 v123, 0x6180, v10
	v_or_b32_e32 v10, 64, v11
	v_or_b32_e32 v16, v16, v7
	v_xor_b32_e32 v10, v20, v10
	v_xad_u32 v120, v16, v17, v15
	v_xor_b32_e32 v16, 0x440, v10
	v_cndmask_b32_e32 v10, v16, v10, vcc
	v_or_b32_e32 v10, v10, v7
	v_xad_u32 v124, v10, v17, v15
	v_or_b32_e32 v10, 0x60, v11
	v_xor_b32_e32 v10, v20, v10
	v_xor_b32_e32 v11, 0x440, v10
	v_or_b32_e32 v8, s2, v78
	v_cndmask_b32_e32 v10, v11, v10, vcc
	v_ashrrev_i32_e32 v9, 31, v8
	v_or_b32_e32 v7, v10, v7
	v_or_b32_e32 v14, 0x100, v3
	v_xad_u32 v125, v7, v17, v15
	v_lshlrev_b64 v[8:9], 1, v[8:9]
	v_cndmask_b32_e64 v126, v12, v3, s[0:1]
	v_cndmask_b32_e64 v127, v13, v14, s[0:1]
	v_lshl_add_u64 v[68:69], s[8:9], 0, v[8:9]
	v_lshl_add_u64 v[70:71], s[14:15], 0, v[8:9]
	;; [unrolled: 1-line block ×3, first 2 shown]
	s_mov_b32 s3, 0x7060302
	v_lshlrev_b32_e32 v66, 1, v6
	v_add_u32_e32 v129, v19, v118
	v_add_u32_e32 v130, v19, v120
	v_add_u32_e32 v131, v19, v124
	v_add_u32_e32 v132, v19, v125
	v_mov_b32_e32 v56, v67
	v_mov_b32_e32 v57, v67
	;; [unrolled: 1-line block ×22, first 2 shown]
	s_barrier
	s_branch .LBB45_7
.LBB45_6:                               ;   in Loop: Header=BB45_7 Depth=1
	v_exp_f32_e32 v134, s44
	v_accvgpr_read_b32 v5, a3
	v_accvgpr_read_b32 v9, a7
	v_accvgpr_read_b32 v13, a11
	v_accvgpr_read_b32 v17, a15
	s_waitcnt vmcnt(4)
	v_accvgpr_read_b32 v18, a20
	v_accvgpr_read_b32 v25, a19
	;; [unrolled: 1-line block ×28, first 2 shown]
	s_add_i32 s59, s59, 64
	v_pk_fma_f32 v[62:63], v[134:135], v[62:63], v[2:3] op_sel_hi:[0,1,1]
	v_pk_fma_f32 v[64:65], v[134:135], v[64:65], v[4:5] op_sel_hi:[0,1,1]
	v_pk_fma_f32 v[54:55], v[134:135], v[54:55], v[6:7] op_sel_hi:[0,1,1]
	v_pk_fma_f32 v[56:57], v[134:135], v[56:57], v[8:9] op_sel_hi:[0,1,1]
	v_pk_fma_f32 v[46:47], v[134:135], v[46:47], v[10:11] op_sel_hi:[0,1,1]
	v_pk_fma_f32 v[48:49], v[134:135], v[48:49], v[12:13] op_sel_hi:[0,1,1]
	v_pk_fma_f32 v[38:39], v[134:135], v[38:39], v[14:15] op_sel_hi:[0,1,1]
	v_pk_fma_f32 v[40:41], v[134:135], v[40:41], v[16:17] op_sel_hi:[0,1,1]
	v_pk_fma_f32 v[58:59], v[134:135], v[58:59], v[18:19] op_sel_hi:[0,1,1]
	v_pk_fma_f32 v[60:61], v[134:135], v[60:61], v[20:21] op_sel_hi:[0,1,1]
	v_pk_fma_f32 v[50:51], v[134:135], v[50:51], v[22:23] op_sel_hi:[0,1,1]
	v_pk_fma_f32 v[52:53], v[134:135], v[52:53], v[24:25] op_sel_hi:[0,1,1]
	v_pk_fma_f32 v[42:43], v[134:135], v[42:43], v[26:27] op_sel_hi:[0,1,1]
	v_pk_fma_f32 v[44:45], v[134:135], v[44:45], v[28:29] op_sel_hi:[0,1,1]
	v_pk_fma_f32 v[36:37], v[134:135], v[36:37], v[30:31] op_sel_hi:[0,1,1]
	v_pk_fma_f32 v[34:35], v[134:135], v[34:35], v[32:33] op_sel_hi:[0,1,1]
	s_cmp_eq_u32 s50, s65
	s_mov_b32 s66, s65
	s_cbranch_scc1 .LBB45_17
.LBB45_7:                               ; =>This Inner Loop Header: Depth=1
	s_add_i32 s65, s66, 1
	s_cmp_lt_i32 s65, s50
	s_mov_b64 s[28:29], 0
	s_cselect_b64 s[44:45], -1, 0
	s_cmp_ge_i32 s65, s50
	s_mov_b64 s[24:25], 0
	s_cbranch_scc1 .LBB45_9
; %bb.8:                                ;   in Loop: Header=BB45_7 Depth=1
	s_add_i32 s0, s59, 64
	s_add_u32 s0, s40, s0
	s_addc_u32 s1, s41, 0
	s_lshl_b64 s[0:1], s[0:1], 8
	s_add_u32 s24, s6, s0
	s_addc_u32 s25, s7, s1
.LBB45_9:                               ;   in Loop: Header=BB45_7 Depth=1
	v_cndmask_b32_e64 v2, 0, 1, s[44:45]
	v_cmp_ne_u32_e64 s[0:1], 1, v2
	s_andn2_b64 vcc, exec, s[44:45]
	s_cbranch_vccnz .LBB45_11
; %bb.10:                               ;   in Loop: Header=BB45_7 Depth=1
	s_add_i32 s28, s59, 64
	s_add_u32 s28, s62, s28
	s_addc_u32 s29, s63, 0
	s_mul_i32 s31, s28, s51
	s_mul_hi_u32 s44, s28, s55
	s_add_i32 s31, s44, s31
	s_mul_i32 s29, s29, s55
	s_add_i32 s31, s31, s29
	s_mul_i32 s28, s28, s55
	s_add_u32 s28, s28, s54
	s_addc_u32 s29, s31, s57
	s_lshl_b64 s[28:29], s[28:29], 8
	s_add_u32 s28, s4, s28
	s_addc_u32 s29, s5, s29
.LBB45_11:                              ;   in Loop: Header=BB45_7 Depth=1
	v_perm_b32 v3, v65, v64, s3
	v_perm_b32 v2, v63, v62, s3
	v_perm_b32 v5, v61, v60, s3
	v_perm_b32 v4, v59, v58, s3
	ds_write_b64 v88, v[2:3]
	ds_write_b64 v89, v[4:5]
	ds_write_b64 v91, v[2:3]
	ds_write_b64 v92, v[4:5]
	v_perm_b32 v3, v57, v56, s3
	v_perm_b32 v2, v55, v54, s3
	v_perm_b32 v5, v53, v52, s3
	v_perm_b32 v4, v51, v50, s3
	ds_write_b64 v90, v[2:3]
	ds_write_b64 v93, v[4:5]
	ds_write_b64 v94, v[2:3]
	ds_write_b64 v95, v[4:5]
	;; [unrolled: 8-line block ×4, first 2 shown]
	s_waitcnt lgkmcnt(0)
	s_barrier
	ds_read_b64 v[6:7], v104 offset:49152
	ds_read2_b64 v[2:5], v105 offset1:16
	ds_read_b64 v[18:19], v107 offset:6144
	ds_read_b64 v[20:21], v105 offset:6144
	s_waitcnt lgkmcnt(2)
	v_mfma_f32_16x16x16_bf16 a[0:3], v[6:7], v[2:3], 0
	ds_read_b64 v[22:23], v106 offset:49152
	ds_read2st64_b64 v[10:13], v108 offset0:4 offset1:8
	ds_read2st64_b64 v[14:17], v109 offset0:4 offset1:8
	v_mfma_f32_16x16x16_bf16 a[4:7], v[6:7], v[4:5], 0
	ds_read2_b64 v[2:5], v105 offset0:32 offset1:48
	s_add_i32 s31, s59, 63
	s_mul_i32 s44, s31, s37
	s_waitcnt lgkmcnt(0)
	v_mfma_f32_16x16x16_bf16 a[8:11], v[6:7], v[2:3], 0
	s_mul_hi_u32 s45, s31, s36
	s_add_i32 s45, s45, s44
	s_mul_i32 s44, s31, s36
	v_mfma_f32_16x16x16_bf16 a[12:15], v[6:7], v[4:5], 0
	ds_read2st64_b64 v[2:5], v105 offset0:4 offset1:8
	ds_read2st64_b64 v[6:9], v107 offset0:4 offset1:8
	s_lshl_b64 s[44:45], s[44:45], 2
	s_waitcnt lgkmcnt(1)
	v_mfma_f32_16x16x16_bf16 a[0:3], v[22:23], v[2:3], a[0:3]
	s_add_u32 s44, s42, s44
	s_addc_u32 s45, s43, s45
	s_and_b64 vcc, exec, s[0:1]
	s_waitcnt lgkmcnt(0)
	v_mfma_f32_16x16x16_bf16 a[4:7], v[22:23], v[6:7], a[4:7]
	v_mov_b32_e32 v135, 0
	v_mov_b32_e32 v134, 0
	;; [unrolled: 1-line block ×3, first 2 shown]
	v_mfma_f32_16x16x16_bf16 a[8:11], v[22:23], v[10:11], a[8:11]
	ds_read_b64 v[2:3], v110 offset:49152
	ds_read_b64 v[6:7], v111 offset:49152
	;; [unrolled: 1-line block ×3, first 2 shown]
	v_mfma_f32_16x16x16_bf16 a[12:15], v[22:23], v[14:15], a[12:15]
	v_mov_b32_e32 v14, 0
	v_mov_b32_e32 v15, 0
	s_waitcnt lgkmcnt(2)
	v_mfma_f32_16x16x16_bf16 a[0:3], v[2:3], v[4:5], a[0:3]
	v_mov_b32_e32 v4, 0
	v_mov_b32_e32 v5, 0
	v_mfma_f32_16x16x16_bf16 a[16:19], v[2:3], v[8:9], a[4:7]
	v_mov_b32_e32 v8, 0
	v_mov_b32_e32 v9, 0
	;; [unrolled: 3-line block ×3, first 2 shown]
	v_mfma_f32_16x16x16_bf16 a[24:27], v[2:3], v[16:17], a[12:15]
	ds_read_b64 v[2:3], v108 offset:6144
	v_mov_b32_e32 v16, 0
	v_mov_b32_e32 v17, 0
	s_waitcnt lgkmcnt(2)
	v_mfma_f32_16x16x16_bf16 a[4:7], v[6:7], v[20:21], a[0:3]
	v_mfma_f32_16x16x16_bf16 a[8:11], v[6:7], v[18:19], a[16:19]
	s_waitcnt lgkmcnt(0)
	v_mfma_f32_16x16x16_bf16 a[12:15], v[6:7], v[2:3], a[20:23]
	v_mov_b32_e32 v2, 0
	v_mov_b32_e32 v3, 0
	v_mfma_f32_16x16x16_bf16 a[0:3], v[6:7], v[10:11], a[24:27]
	v_mov_b32_e32 v6, 0
	v_mov_b32_e32 v7, 0
	;; [unrolled: 1-line block ×4, first 2 shown]
	s_cbranch_vccnz .LBB45_13
; %bb.12:                               ;   in Loop: Header=BB45_7 Depth=1
	s_and_b32 s25, s25, 0xffff
	buffer_load_dwordx4 v[14:17], v84, s[24:27], 0 offen
	buffer_load_dwordx4 v[10:13], v84, s[24:27], s58 offen
	;; [unrolled: 1-line block ×4, first 2 shown]
	v_mov_b32_e32 v134, v86
	v_mov_b32_e32 v133, v87
.LBB45_13:                              ;   in Loop: Header=BB45_7 Depth=1
	ds_read_b64 v[30:31], v104 offset:57344
	ds_read2_b64 v[18:21], v112 offset1:16
	ds_read_b64 v[136:137], v106 offset:57344
	ds_read_b64 v[138:139], v110 offset:57344
	;; [unrolled: 1-line block ×3, first 2 shown]
	v_add_u32_e32 v32, s59, v128
	s_waitcnt lgkmcnt(3)
	v_mfma_f32_16x16x16_bf16 a[4:7], v[30:31], v[18:19], a[4:7]
	v_mfma_f32_16x16x16_bf16 a[8:11], v[30:31], v[20:21], a[8:11]
	ds_read2_b64 v[18:21], v112 offset0:32 offset1:48
	ds_read2st64_b64 v[22:25], v112 offset0:4 offset1:8
	ds_read2st64_b64 v[26:29], v113 offset0:4 offset1:8
	s_waitcnt lgkmcnt(2)
	v_mfma_f32_16x16x16_bf16 a[12:15], v[30:31], v[18:19], a[12:15]
	v_ashrrev_i32_e32 v18, 31, v32
	v_mul_lo_u32 v33, v18, s36
	v_mad_u64_u32 v[18:19], s[24:25], v32, s36, 0
	v_mfma_f32_16x16x16_bf16 a[0:3], v[30:31], v[20:21], a[0:3]
	v_mul_lo_u32 v20, v32, s37
	v_add3_u32 v19, v19, v20, v33
	v_add_u32_e32 v20, 1, v32
	v_ashrrev_i32_e32 v21, 31, v20
	s_waitcnt lgkmcnt(1)
	v_mfma_f32_16x16x16_bf16 a[4:7], v[136:137], v[22:23], a[4:7]
	v_mul_lo_u32 v22, v21, s36
	v_mul_lo_u32 v23, v20, s37
	v_mad_u64_u32 v[20:21], s[24:25], v20, s36, 0
	v_add3_u32 v21, v21, v23, v22
	v_add_u32_e32 v22, 2, v32
	v_ashrrev_i32_e32 v23, 31, v22
	v_mul_lo_u32 v30, v23, s36
	v_mul_lo_u32 v31, v22, s37
	v_mad_u64_u32 v[22:23], s[24:25], v22, s36, 0
	v_add3_u32 v23, v23, v31, v30
	v_add_u32_e32 v30, 3, v32
	v_ashrrev_i32_e32 v31, 31, v30
	v_mul_lo_u32 v32, v31, s36
	v_mul_lo_u32 v33, v30, s37
	v_mad_u64_u32 v[30:31], s[24:25], v30, s36, 0
	s_add_u32 s24, s40, s59
	v_lshl_add_u64 v[18:19], v[18:19], 2, s[42:43]
	v_add3_u32 v31, v31, v33, v32
	s_addc_u32 s25, s41, 0
	v_lshl_add_u64 v[20:21], v[20:21], 2, s[42:43]
	global_load_dword v142, v[18:19], off
	v_lshl_add_u64 v[18:19], v[30:31], 2, s[42:43]
	s_lshl_b64 s[24:25], s[24:25], 8
	v_lshl_add_u64 v[22:23], v[22:23], 2, s[42:43]
	global_load_dword v143, v[20:21], off
	global_load_dword v144, v[22:23], off
	global_load_dword v145, v[18:19], off
	v_lshl_add_u64 v[18:19], v[68:69], 0, s[24:25]
	v_lshl_add_u64 v[22:23], v[18:19], 0, v[66:67]
	global_load_ushort v146, v[22:23], off offset:256
	global_load_ushort v147, v[22:23], off
	ds_read2st64_b64 v[18:21], v114 offset0:4 offset1:8
	global_load_ushort v148, v[22:23], off offset:768
	global_load_ushort v149, v[22:23], off offset:512
	ds_read2st64_b64 v[30:33], v115 offset0:4 offset1:8
	global_load_ushort v150, v[22:23], off offset:288
	global_load_ushort v151, v[22:23], off offset:32
	;; [unrolled: 1-line block ×4, first 2 shown]
	s_waitcnt lgkmcnt(2)
	v_mfma_f32_16x16x16_bf16 a[8:11], v[136:137], v[26:27], a[8:11]
	global_load_ushort v154, v[22:23], off offset:320
	global_load_ushort v155, v[22:23], off offset:64
	;; [unrolled: 1-line block ×4, first 2 shown]
	s_and_b64 vcc, exec, s[0:1]
	s_waitcnt lgkmcnt(1)
	v_mfma_f32_16x16x16_bf16 a[12:15], v[136:137], v[18:19], a[12:15]
	ds_read_b64 v[18:19], v112 offset:6144
	s_waitcnt lgkmcnt(1)
	v_mfma_f32_16x16x16_bf16 a[0:3], v[136:137], v[30:31], a[0:3]
	v_lshl_add_u64 v[30:31], v[70:71], 0, s[24:25]
	v_lshl_add_u64 v[30:31], v[30:31], 0, v[66:67]
	v_mfma_f32_16x16x16_bf16 a[4:7], v[138:139], v[24:25], a[4:7]
	v_mfma_f32_16x16x16_bf16 a[8:11], v[138:139], v[28:29], a[8:11]
	;; [unrolled: 1-line block ×4, first 2 shown]
	global_load_ushort v138, v[22:23], off offset:352
	global_load_ushort v139, v[22:23], off offset:96
	ds_read_b64 v[20:21], v113 offset:6144
	ds_read_b64 v[24:25], v114 offset:6144
	;; [unrolled: 1-line block ×3, first 2 shown]
	s_load_dword s44, s[44:45], 0x0
	global_load_ushort v158, v[22:23], off offset:864
	global_load_ushort v159, v[22:23], off offset:608
	s_waitcnt lgkmcnt(0)
	v_mfma_f32_16x16x16_bf16 a[4:7], v[140:141], v[18:19], a[4:7]
	s_waitcnt vmcnt(17)
	v_sub_f32_e32 v28, s44, v144
	v_mfma_f32_16x16x16_bf16 a[0:3], v[140:141], v[26:27], a[0:3]
	v_sub_f32_e32 v26, s44, v142
	v_sub_f32_e32 v27, s44, v143
	s_waitcnt vmcnt(16)
	v_sub_f32_e32 v29, s44, v145
	v_mfma_f32_16x16x16_bf16 a[8:11], v[140:141], v[20:21], a[8:11]
	v_exp_f32_e32 v26, v26
	v_exp_f32_e32 v27, v27
	;; [unrolled: 1-line block ×4, first 2 shown]
	v_accvgpr_read_b32 v137, a5
	s_waitcnt vmcnt(15)
	v_lshlrev_b32_e32 v33, 16, v146
	s_waitcnt vmcnt(14)
	v_lshlrev_b32_e32 v32, 16, v147
	v_accvgpr_read_b32 v136, a4
	v_accvgpr_read_b32 v19, a7
	;; [unrolled: 1-line block ×3, first 2 shown]
	v_pk_add_f32 v[32:33], v[32:33], v[136:137] neg_lo:[0,1] neg_hi:[0,1]
	s_waitcnt vmcnt(13)
	v_lshlrev_b32_e32 v137, 16, v148
	s_waitcnt vmcnt(12)
	v_lshlrev_b32_e32 v136, 16, v149
	v_pk_add_f32 v[18:19], v[136:137], v[18:19] neg_lo:[0,1] neg_hi:[0,1]
	global_store_short_d16_hi v[30:31], v32, off
	global_store_short_d16_hi v[30:31], v33, off offset:256
	global_store_short_d16_hi v[30:31], v18, off offset:512
	;; [unrolled: 1-line block ×3, first 2 shown]
	v_pk_mul_f32 v[32:33], v[26:27], v[32:33]
	v_pk_mul_f32 v[18:19], v[28:29], v[18:19]
	v_accvgpr_read_b32 v137, a9
	v_perm_b32 v32, v33, v32, s3
	v_perm_b32 v33, v19, v18, s3
	s_waitcnt vmcnt(15)
	v_lshlrev_b32_e32 v19, 16, v150
	s_waitcnt vmcnt(14)
	v_lshlrev_b32_e32 v18, 16, v151
	v_accvgpr_read_b32 v136, a8
	v_accvgpr_read_b32 v21, a11
	v_mfma_f32_16x16x16_bf16 a[12:15], v[140:141], v[24:25], a[12:15]
	v_accvgpr_read_b32 v20, a10
	v_pk_add_f32 v[18:19], v[18:19], v[136:137] neg_lo:[0,1] neg_hi:[0,1]
	s_waitcnt vmcnt(13)
	v_lshlrev_b32_e32 v137, 16, v152
	s_waitcnt vmcnt(12)
	v_lshlrev_b32_e32 v136, 16, v153
	v_pk_add_f32 v[20:21], v[136:137], v[20:21] neg_lo:[0,1] neg_hi:[0,1]
	global_store_short_d16_hi v[30:31], v18, off offset:32
	global_store_short_d16_hi v[30:31], v19, off offset:288
	;; [unrolled: 1-line block ×4, first 2 shown]
	v_pk_mul_f32 v[18:19], v[26:27], v[18:19]
	v_pk_mul_f32 v[20:21], v[28:29], v[20:21]
	v_accvgpr_read_b32 v23, a15
	v_perm_b32 v21, v21, v20, s3
	v_perm_b32 v20, v19, v18, s3
	ds_write2_b64 v89, v[32:33], v[20:21] offset1:16
	v_accvgpr_read_b32 v21, a13
	s_waitcnt vmcnt(15)
	v_lshlrev_b32_e32 v19, 16, v154
	s_waitcnt vmcnt(14)
	v_lshlrev_b32_e32 v18, 16, v155
	v_accvgpr_read_b32 v20, a12
	v_accvgpr_read_b32 v22, a14
	v_pk_add_f32 v[18:19], v[18:19], v[20:21] neg_lo:[0,1] neg_hi:[0,1]
	s_waitcnt vmcnt(13)
	v_lshlrev_b32_e32 v21, 16, v156
	s_waitcnt vmcnt(12)
	v_lshlrev_b32_e32 v20, 16, v157
	v_pk_add_f32 v[20:21], v[20:21], v[22:23] neg_lo:[0,1] neg_hi:[0,1]
	global_store_short_d16_hi v[30:31], v18, off offset:64
	global_store_short_d16_hi v[30:31], v19, off offset:320
	;; [unrolled: 1-line block ×4, first 2 shown]
	v_pk_mul_f32 v[18:19], v[26:27], v[18:19]
	v_pk_mul_f32 v[20:21], v[28:29], v[20:21]
	v_accvgpr_read_b32 v23, a1
	v_perm_b32 v18, v19, v18, s3
	v_perm_b32 v19, v21, v20, s3
	s_waitcnt vmcnt(15)
	v_lshlrev_b32_e32 v21, 16, v138
	s_waitcnt vmcnt(14)
	v_lshlrev_b32_e32 v20, 16, v139
	v_accvgpr_read_b32 v22, a0
	v_accvgpr_read_b32 v25, a3
	;; [unrolled: 1-line block ×3, first 2 shown]
	v_pk_add_f32 v[20:21], v[20:21], v[22:23] neg_lo:[0,1] neg_hi:[0,1]
	s_waitcnt vmcnt(13)
	v_lshlrev_b32_e32 v23, 16, v158
	s_waitcnt vmcnt(12)
	v_lshlrev_b32_e32 v22, 16, v159
	v_pk_add_f32 v[22:23], v[22:23], v[24:25] neg_lo:[0,1] neg_hi:[0,1]
	global_store_short_d16_hi v[30:31], v20, off offset:96
	global_store_short_d16_hi v[30:31], v21, off offset:352
	;; [unrolled: 1-line block ×4, first 2 shown]
	v_pk_mul_f32 v[20:21], v[26:27], v[20:21]
	v_pk_mul_f32 v[22:23], v[28:29], v[22:23]
	v_mov_b32_e32 v136, 0
	v_perm_b32 v23, v23, v22, s3
	v_perm_b32 v22, v21, v20, s3
	ds_write2_b64 v89, v[18:19], v[22:23] offset0:32 offset1:48
	v_mov_b32_e32 v18, 0
	v_mov_b32_e32 v19, 0
	v_mov_b32_e32 v20, 0
	v_mov_b32_e32 v21, 0
	v_mov_b32_e32 v22, 0
	v_mov_b32_e32 v23, 0
	v_mov_b32_e32 v24, 0
	v_mov_b32_e32 v25, 0
	v_mov_b32_e32 v26, 0
	v_mov_b32_e32 v27, 0
	v_mov_b32_e32 v28, 0
	v_mov_b32_e32 v29, 0
	v_mov_b32_e32 v30, 0
	v_mov_b32_e32 v31, 0
	v_mov_b32_e32 v32, 0
	v_mov_b32_e32 v33, 0
	s_cbranch_vccnz .LBB45_15
; %bb.14:                               ;   in Loop: Header=BB45_7 Depth=1
	s_and_b32 s29, s29, 0xffff
	s_mov_b32 s31, s27
	buffer_load_dwordx4 v[30:33], v126, s[28:31], 0 offen
	buffer_load_dwordx4 v[22:25], v126, s[28:31], s58 offen
	;; [unrolled: 1-line block ×4, first 2 shown]
	v_mov_b32_e32 v135, v83
	v_mov_b32_e32 v136, v82
.LBB45_15:                              ;   in Loop: Header=BB45_7 Depth=1
	s_waitcnt lgkmcnt(0)
	s_barrier
	ds_read_b64 v[146:147], v129
	ds_read2_b64 v[138:141], v119 offset1:16
	ds_read_b64 v[162:163], v130
	ds_read_b64 v[164:165], v131
	;; [unrolled: 1-line block ×3, first 2 shown]
	ds_read2_b64 v[142:145], v119 offset0:32 offset1:48
	s_waitcnt lgkmcnt(4)
	v_mfma_f32_16x16x16_bf16 a[0:3], v[146:147], v[138:139], 0
	ds_read2st64_b64 v[150:153], v121 offset0:4 offset1:8
	ds_read2st64_b64 v[154:157], v122 offset0:4 offset1:8
	;; [unrolled: 1-line block ×3, first 2 shown]
	v_mfma_f32_16x16x16_bf16 a[4:7], v[146:147], v[140:141], 0
	s_add_i32 s24, s52, s66
	s_mul_hi_i32 s25, s24, s17
	s_mul_i32 s24, s24, s17
	s_waitcnt lgkmcnt(3)
	v_mfma_f32_16x16x16_bf16 a[8:11], v[146:147], v[142:143], 0
	s_add_u32 s24, s24, s33
	s_addc_u32 s25, s25, s56
	s_lshl_b64 s[24:25], s[24:25], 15
	v_mfma_f32_16x16x16_bf16 a[12:15], v[146:147], v[144:145], 0
	ds_read2st64_b64 v[146:149], v119 offset0:4 offset1:8
	s_waitcnt lgkmcnt(0)
	v_mfma_f32_16x16x16_bf16 a[0:3], v[162:163], v[146:147], a[0:3]
	v_mfma_f32_16x16x16_bf16 a[4:7], v[162:163], v[150:151], a[4:7]
	;; [unrolled: 1-line block ×8, first 2 shown]
	ds_read_b64 v[162:163], v119 offset:6144
	ds_read_b64 v[164:165], v120 offset:40960
	;; [unrolled: 1-line block ×8, first 2 shown]
	s_waitcnt lgkmcnt(5)
	v_mfma_f32_16x16x16_bf16 a[16:19], v[168:169], v[138:139], 0
	v_mfma_f32_16x16x16_bf16 a[20:23], v[168:169], v[140:141], 0
	ds_read2st64_b64 v[138:141], v116 offset1:8
	v_mfma_f32_16x16x16_bf16 a[24:27], v[168:169], v[142:143], 0
	v_mfma_f32_16x16x16_bf16 a[28:31], v[168:169], v[144:145], 0
	ds_read2st64_b64 v[142:145], v117 offset1:8
	v_mfma_f32_16x16x16_bf16 a[16:19], v[164:165], v[146:147], a[16:19]
	s_waitcnt lgkmcnt(1)
	v_mov_b32_e32 v146, v138
	v_mov_b32_e32 v147, v139
	v_mfma_f32_16x16x16_bf16 a[20:23], v[164:165], v[150:151], a[20:23]
	v_lshl_add_u64 v[150:151], v[72:73], 0, s[24:25]
	v_mfma_f32_16x16x16_bf16 a[24:27], v[164:165], v[154:155], a[24:27]
	v_mfma_f32_16x16x16_bf16 a[28:31], v[164:165], v[158:159], a[28:31]
	;; [unrolled: 1-line block ×3, first 2 shown]
	s_waitcnt lgkmcnt(0)
	v_mov_b32_e32 v148, v142
	v_mov_b32_e32 v149, v143
	;; [unrolled: 1-line block ×3, first 2 shown]
	v_mfma_f32_16x16x16_bf16 a[32:35], v[176:177], v[152:153], a[20:23]
	v_mov_b32_e32 v143, v141
	ds_read2st64_b64 v[138:141], v116 offset0:16 offset1:24
	global_store_dwordx4 v[150:151], v[146:149], off
	v_mfma_f32_16x16x16_bf16 a[24:27], v[176:177], v[156:157], a[24:27]
	ds_read2st64_b64 v[146:149], v117 offset0:16 offset1:24
	v_add_co_u32_e32 v152, vcc, s39, v150
	v_mfma_f32_16x16x16_bf16 a[28:31], v[176:177], v[160:161], a[28:31]
	s_nop 0
	v_addc_co_u32_e32 v153, vcc, 0, v151, vcc
	global_store_dwordx4 v[152:153], v[142:145], off offset:-4096
	v_mfma_f32_16x16x16_bf16 a[0:3], v[166:167], v[162:163], a[0:3]
	s_waitcnt lgkmcnt(1)
	v_mov_b32_e32 v142, v138
	v_add_co_u32_e32 v138, vcc, s64, v150
	v_mfma_f32_16x16x16_bf16 a[4:7], v[166:167], v[170:171], a[4:7]
	v_mov_b32_e32 v143, v139
	v_addc_co_u32_e32 v139, vcc, 0, v151, vcc
	v_mfma_f32_16x16x16_bf16 a[8:11], v[166:167], v[172:173], a[8:11]
	s_waitcnt lgkmcnt(0)
	v_mov_b32_e32 v144, v146
	v_mov_b32_e32 v145, v147
	;; [unrolled: 1-line block ×3, first 2 shown]
	v_mfma_f32_16x16x16_bf16 a[12:15], v[166:167], v[174:175], a[12:15]
	v_mov_b32_e32 v147, v141
	s_and_b64 vcc, exec, s[0:1]
	global_store_dwordx4 v[152:153], v[142:145], off
	v_mfma_f32_16x16x16_bf16 a[20:23], v[178:179], v[162:163], a[16:19]
	global_store_dwordx4 v[138:139], v[146:149], off
	v_mfma_f32_16x16x16_bf16 a[16:19], v[178:179], v[170:171], a[32:35]
	v_mfma_f32_16x16x16_bf16 a[24:27], v[178:179], v[172:173], a[24:27]
	;; [unrolled: 1-line block ×3, first 2 shown]
	s_cbranch_vccnz .LBB45_6
; %bb.16:                               ;   in Loop: Header=BB45_7 Depth=1
	v_lshrrev_b32_e32 v137, 3, v135
	v_and_b32_e32 v137, 6, v137
	v_xor_b32_e32 v136, v137, v136
	v_lshlrev_b32_e32 v136, 2, v136
	v_and_b32_e32 v135, 8, v135
	v_xor_b32_e32 v138, 0x440, v136
	v_cmp_eq_u32_e32 vcc, 0, v135
	s_barrier
	s_nop 0
	v_cndmask_b32_e32 v135, v138, v136, vcc
	v_lshl_or_b32 v135, v137, 10, v135
	s_waitcnt vmcnt(5)
	v_perm_b32 v136, v30, v26, s60
	s_waitcnt vmcnt(4)
	v_perm_b32 v137, v22, v18, s60
	ds_write2st64_b32 v135, v136, v137 offset0:128 offset1:160
	v_xor_b32_e32 v136, 8, v135
	v_perm_b32 v26, v30, v26, s61
	v_perm_b32 v18, v22, v18, s61
	v_add_u32_e32 v22, 0x80, v136
	ds_write2st64_b32 v22, v26, v18 offset0:128 offset1:160
	v_xor_b32_e32 v18, 16, v135
	v_perm_b32 v22, v31, v27, s60
	v_perm_b32 v26, v23, v19, s60
	ds_write2st64_b32 v18, v22, v26 offset0:129 offset1:161
	v_xor_b32_e32 v18, 24, v135
	v_perm_b32 v22, v31, v27, s61
	v_perm_b32 v19, v23, v19, s61
	v_add_u32_e32 v18, 0x80, v18
	ds_write2st64_b32 v18, v22, v19 offset0:129 offset1:161
	v_xor_b32_e32 v18, 32, v135
	v_perm_b32 v19, v32, v28, s60
	v_perm_b32 v22, v24, v20, s60
	ds_write2st64_b32 v18, v19, v22 offset0:130 offset1:162
	v_xor_b32_e32 v18, 40, v135
	v_perm_b32 v19, v32, v28, s61
	v_perm_b32 v20, v24, v20, s61
	v_add_u32_e32 v18, 0x80, v18
	ds_write2st64_b32 v18, v19, v20 offset0:130 offset1:162
	v_xor_b32_e32 v18, 48, v135
	v_perm_b32 v19, v33, v29, s60
	v_perm_b32 v20, v25, v21, s60
	ds_write2st64_b32 v18, v19, v20 offset0:131 offset1:163
	v_xor_b32_e32 v18, 56, v135
	v_perm_b32 v19, v33, v29, s61
	v_perm_b32 v20, v25, v21, s61
	v_add_u32_e32 v18, 0x80, v18
	ds_write2st64_b32 v18, v19, v20 offset0:131 offset1:163
	ds_write_b64 v134, v[14:15] offset:49152
	v_xor_b32_e32 v14, 8, v134
	ds_write_b64 v14, v[16:17] offset:49152
	ds_write_b64 v134, v[10:11] offset:57344
	;; [unrolled: 1-line block ×4, first 2 shown]
	v_xor_b32_e32 v6, 8, v133
	ds_write_b64 v6, v[8:9] offset:49152
	ds_write_b64 v133, v[2:3] offset:57344
	;; [unrolled: 1-line block ×3, first 2 shown]
	s_branch .LBB45_6
.LBB45_17:
	s_lshl_b32 s44, s50, 6
	s_sub_i32 s45, s16, s44
	s_cmp_gt_i32 s45, 0
	v_or_b32_e32 v18, s2, v78
	s_cbranch_scc1 .LBB45_19
; %bb.18:
	s_ashr_i32 s0, s33, 31
	s_add_u32 s28, s47, s33
	s_addc_u32 s29, s53, s0
	v_or_b32_e32 v2, s2, v78
	s_cbranch_execz .LBB45_20
	s_branch .LBB45_100
.LBB45_19:
                                        ; implicit-def: $sgpr28_sgpr29
                                        ; implicit-def: $vgpr2
.LBB45_20:
	s_ashr_i32 s39, s49, 31
	s_ashr_i32 s3, s44, 31
	s_cmpk_lg_i32 s19, 0x80
	s_cselect_b64 s[40:41], -1, 0
	s_and_b64 vcc, exec, s[40:41]
	s_cbranch_vccz .LBB45_22
; %bb.21:
	s_mul_i32 s1, s49, s16
	s_mul_hi_i32 s0, s49, s16
	s_add_u32 s1, s1, s44
	s_addc_u32 s0, s0, s3
	s_mul_i32 s24, s1, s51
	s_mul_hi_u32 s25, s1, s18
	s_add_i32 s24, s25, s24
	s_mul_i32 s0, s0, s18
	s_add_i32 s24, s24, s0
	s_mul_i32 s1, s1, s18
	s_ashr_i32 s0, s54, 31
	s_add_u32 s42, s1, s54
	s_addc_u32 s43, s24, s0
	s_cbranch_execz .LBB45_23
	s_branch .LBB45_24
.LBB45_22:
                                        ; implicit-def: $sgpr42_sgpr43
.LBB45_23:
	s_mul_hi_i32 s0, s49, s18
	s_mul_i32 s49, s49, s18
	s_ashr_i32 s1, s54, 31
	s_add_u32 s18, s49, s54
	s_addc_u32 s0, s0, s1
	s_mul_i32 s1, s18, s48
	s_mul_hi_u32 s24, s18, s16
	s_add_i32 s1, s24, s1
	s_mul_i32 s0, s0, s16
	s_add_i32 s1, s1, s0
	s_mul_i32 s18, s18, s16
	s_add_u32 s42, s18, s44
	s_addc_u32 s43, s1, s3
.LBB45_24:
	s_add_i32 s24, s52, s50
	s_ashr_i32 s18, s33, 31
	s_add_u32 s28, s47, s33
	s_addc_u32 s29, s53, s18
	s_mul_i32 s0, s28, s48
	s_mul_hi_u32 s1, s28, s16
	s_add_i32 s0, s1, s0
	s_mul_i32 s1, s29, s16
	s_add_i32 s1, s0, s1
	s_mul_i32 s0, s28, s16
	s_add_u32 s0, s0, s44
	v_lshlrev_b32_e32 v6, 6, v1
	v_lshlrev_b32_e32 v26, 2, v78
	s_addc_u32 s1, s1, s3
	s_mov_b32 s3, 0x7060302
	v_or_b32_e32 v9, v6, v26
	v_xor_b32_e32 v7, v1, v26
	v_perm_b32 v3, v65, v64, s3
	v_perm_b32 v2, v63, v62, s3
	;; [unrolled: 1-line block ×4, first 2 shown]
	v_lshlrev_b32_e32 v9, 1, v9
	v_xor_b32_e32 v8, v81, v26
	ds_write2st64_b64 v9, v[2:3], v[4:5] offset0:32 offset1:48
	v_lshlrev_b32_e32 v7, 1, v7
	v_lshlrev_b32_e32 v9, 8, v78
	v_or_b32_e32 v10, v7, v9
	v_lshlrev_b32_e32 v8, 1, v8
	ds_write_b64 v10, v[2:3]
	v_or_b32_e32 v2, v8, v9
	v_or_b32_e32 v9, 16, v78
	v_lshlrev_b32_e32 v25, 2, v9
	v_or_b32_e32 v10, v6, v25
	ds_write_b64 v2, v[4:5]
	v_perm_b32 v3, v57, v56, s3
	v_perm_b32 v2, v55, v54, s3
	;; [unrolled: 1-line block ×4, first 2 shown]
	v_lshlrev_b32_e32 v10, 1, v10
	v_lshlrev_b32_e32 v9, 8, v9
	ds_write2st64_b64 v10, v[2:3], v[4:5] offset0:32 offset1:48
	v_or_b32_e32 v10, v7, v9
	ds_write_b64 v10, v[2:3]
	v_or_b32_e32 v2, v8, v9
	v_or_b32_e32 v9, 32, v78
	v_lshlrev_b32_e32 v24, 2, v9
	v_or_b32_e32 v10, v6, v24
	ds_write_b64 v2, v[4:5]
	v_perm_b32 v3, v49, v48, s3
	v_perm_b32 v2, v47, v46, s3
	v_perm_b32 v5, v45, v44, s3
	v_perm_b32 v4, v43, v42, s3
	v_lshlrev_b32_e32 v10, 1, v10
	v_lshlrev_b32_e32 v9, 8, v9
	s_lshl_b64 s[30:31], s[0:1], 8
	ds_write2st64_b64 v10, v[2:3], v[4:5] offset0:32 offset1:48
	v_or_b32_e32 v10, v7, v9
	s_add_u32 s0, s6, s30
	ds_write_b64 v10, v[2:3]
	v_or_b32_e32 v2, v8, v9
	s_addc_u32 s1, s7, s31
	ds_write_b64 v2, v[4:5]
	v_perm_b32 v3, v41, v40, s3
	v_perm_b32 v2, v39, v38, s3
	;; [unrolled: 1-line block ×4, first 2 shown]
	v_or_b32_e32 v9, 48, v78
	s_mul_hi_i32 s3, s24, s17
	s_mul_i32 s24, s24, s17
	v_lshlrev_b32_e32 v21, 2, v9
	s_add_u32 s6, s24, s33
	v_or_b32_e32 v6, v6, v21
	s_addc_u32 s7, s3, s18
	v_lshlrev_b32_e32 v6, 1, v6
	s_ashr_i32 s3, s2, 31
	s_lshl_b64 s[6:7], s[6:7], 15
	ds_write2st64_b64 v6, v[2:3], v[4:5] offset0:32 offset1:48
	v_lshlrev_b32_e32 v6, 8, v9
	s_waitcnt lgkmcnt(0)
	s_add_u32 s6, s12, s6
	v_or_b32_e32 v7, v7, v6
	s_addc_u32 s7, s13, s7
	s_lshl_b64 s[2:3], s[2:3], 8
	ds_write_b64 v7, v[2:3]
	v_or_b32_e32 v2, v8, v6
	s_add_u32 s2, s6, s2
	v_lshlrev_b32_e32 v3, 1, v78
	ds_write_b64 v2, v[4:5]
	v_lshrrev_b32_e32 v2, 4, v0
	s_addc_u32 s3, s7, s3
	v_or_b32_e32 v4, 1, v3
	v_lshlrev_b32_e32 v10, 4, v78
	v_mov_b32_e32 v11, 0
	v_xor_b32_e32 v3, v2, v3
	v_xor_b32_e32 v6, v4, v2
	v_lshl_add_u64 v[12:13], s[2:3], 0, v[10:11]
	v_lshlrev_b32_e32 v10, 8, v2
	v_lshl_or_b32 v16, v3, 3, v10
	v_lshl_or_b32 v17, v6, 3, v10
	s_waitcnt lgkmcnt(0)
	s_barrier
	ds_read2st64_b64 v[2:5], v16 offset1:8
	ds_read2st64_b64 v[6:9], v17 offset1:8
	v_lshl_add_u64 v[14:15], v[12:13], 0, v[10:11]
	s_movk_i32 s2, 0x2000
	s_cmp_lg_u32 s45, 64
	s_waitcnt lgkmcnt(1)
	v_mov_b32_e32 v10, v2
	v_mov_b32_e32 v11, v3
	s_waitcnt lgkmcnt(0)
	v_mov_b32_e32 v12, v6
	v_mov_b32_e32 v13, v7
	global_store_dwordx4 v[14:15], v[10:13], off
	v_mov_b32_e32 v6, v4
	v_mov_b32_e32 v7, v5
	ds_read2st64_b64 v[2:5], v16 offset0:16 offset1:24
	ds_read2st64_b64 v[10:13], v17 offset0:16 offset1:24
	v_add_co_u32_e32 v16, vcc, s2, v14
	s_cselect_b64 s[6:7], -1, 0
	s_nop 0
	v_addc_co_u32_e32 v17, vcc, 0, v15, vcc
	global_store_dwordx4 v[16:17], v[6:9], off offset:-4096
	v_lshl_or_b32 v19, v74, 3, v80
	s_mov_b32 s24, 0
	s_waitcnt lgkmcnt(1)
	v_mov_b32_e32 v6, v2
	v_add_co_u32_e32 v2, vcc, 0x3000, v14
	v_mov_b32_e32 v7, v3
	s_nop 0
	v_addc_co_u32_e32 v3, vcc, 0, v15, vcc
	s_waitcnt lgkmcnt(0)
	v_mov_b32_e32 v8, v10
	v_mov_b32_e32 v9, v11
	;; [unrolled: 1-line block ×4, first 2 shown]
	v_or_b32_e32 v22, 32, v19
	v_and_b32_e32 v20, 56, v79
	s_and_b64 vcc, exec, s[6:7]
	global_store_dwordx4 v[16:17], v[6:9], off
	global_store_dwordx4 v[2:3], v[10:13], off
	s_cbranch_vccz .LBB45_30
; %bb.25:
	s_mov_b32 s25, s24
	s_mov_b32 s26, s24
	;; [unrolled: 1-line block ×3, first 2 shown]
	v_mov_b64_e32 v[6:7], s[24:25]
	v_mov_b64_e32 v[8:9], s[26:27]
	;; [unrolled: 1-line block ×3, first 2 shown]
	v_cmp_gt_i32_e32 vcc, s45, v19
	v_mov_b64_e32 v[4:5], v[8:9]
	s_and_saveexec_b64 s[2:3], vcc
	s_cbranch_execz .LBB45_27
; %bb.26:
	v_lshlrev_b32_e32 v2, 8, v19
	v_mov_b32_e32 v3, 0
	v_lshl_add_u64 v[4:5], s[0:1], 0, v[2:3]
	v_lshlrev_b32_e32 v2, 1, v20
	v_lshl_add_u64 v[10:11], v[4:5], 0, v[2:3]
	global_load_dwordx4 v[6:9], v[10:11], off
	global_load_dwordx4 v[2:5], v[10:11], off offset:128
.LBB45_27:
	s_or_b64 exec, exec, s[2:3]
	s_mov_b32 s25, s24
	s_mov_b32 s26, s24
	;; [unrolled: 1-line block ×3, first 2 shown]
	v_mov_b64_e32 v[14:15], s[24:25]
	v_mov_b64_e32 v[16:17], s[26:27]
	;; [unrolled: 1-line block ×3, first 2 shown]
	v_cmp_gt_i32_e32 vcc, s45, v22
	v_lshlrev_b32_e32 v23, 7, v22
	v_mov_b64_e32 v[12:13], v[16:17]
	s_and_saveexec_b64 s[2:3], vcc
	s_cbranch_execz .LBB45_29
; %bb.28:
	v_lshlrev_b32_e32 v10, 1, v23
	v_mov_b32_e32 v11, 0
	v_lshl_add_u64 v[12:13], s[0:1], 0, v[10:11]
	v_lshlrev_b32_e32 v10, 1, v20
	v_lshl_add_u64 v[28:29], v[12:13], 0, v[10:11]
	global_load_dwordx4 v[14:17], v[28:29], off
	global_load_dwordx4 v[10:13], v[28:29], off offset:128
.LBB45_29:
	s_or_b64 exec, exec, s[2:3]
	v_lshrrev_b32_e32 v27, 3, v20
	v_lshlrev_b32_e32 v28, 3, v19
	v_or_b32_e32 v27, v28, v27
	v_lshlrev_b32_e32 v27, 4, v27
	v_and_b32_e32 v28, 0x78, v28
	v_xor_b32_e32 v27, v27, v28
	s_branch .LBB45_32
.LBB45_30:
                                        ; implicit-def: $vgpr27
                                        ; implicit-def: $vgpr23
                                        ; implicit-def: $vgpr6_vgpr7_vgpr8_vgpr9
                                        ; implicit-def: $vgpr2_vgpr3_vgpr4_vgpr5
                                        ; implicit-def: $vgpr14_vgpr15_vgpr16_vgpr17
                                        ; implicit-def: $vgpr10_vgpr11_vgpr12_vgpr13
	s_cbranch_execz .LBB45_32
; %bb.31:
	s_waitcnt vmcnt(0)
	v_lshlrev_b32_e32 v2, 1, v20
	v_lshl_or_b32 v23, v19, 8, v2
	s_and_b32 s1, s1, 0xffff
	s_mov_b32 s3, 0x20000
	s_movk_i32 s2, 0x4000
	v_lshl_or_b32 v27, v22, 8, v2
	s_movk_i32 s12, 0x80
	buffer_load_dwordx4 v[6:9], v23, s[0:3], 0 offen
	buffer_load_dwordx4 v[2:5], v23, s[0:3], s12 offen
	;; [unrolled: 1-line block ×4, first 2 shown]
	v_lshrrev_b32_e32 v23, 3, v20
	v_lshlrev_b32_e32 v27, 3, v19
	v_or_b32_e32 v23, v27, v23
	v_lshlrev_b32_e32 v23, 4, v23
	v_and_b32_e32 v27, 0x78, v27
	v_xor_b32_e32 v27, v23, v27
	v_lshlrev_b32_e32 v23, 7, v22
.LBB45_32:
	s_movk_i32 s0, 0x1000
	v_and_or_b32 v22, v23, s0, v27
	s_waitcnt vmcnt(1)
	ds_write_b64 v27, v[6:7] offset:49152
	v_xor_b32_e32 v6, 8, v27
	ds_write_b64 v6, v[8:9] offset:49152
	s_waitcnt vmcnt(0)
	ds_write_b64 v27, v[2:3] offset:57344
	ds_write_b64 v6, v[4:5] offset:57344
	;; [unrolled: 1-line block ×3, first 2 shown]
	v_xor_b32_e32 v2, 8, v22
	ds_write_b64 v2, v[16:17] offset:49152
	ds_write_b64 v22, v[10:11] offset:57344
	;; [unrolled: 1-line block ×3, first 2 shown]
	v_or_b32_e32 v2, v75, v78
	v_lshlrev_b32_e32 v2, 3, v2
	v_lshrrev_b32_e32 v3, 5, v76
	s_movk_i32 s0, 0xf8
	v_and_or_b32 v3, v2, s0, v3
	v_lshlrev_b32_e32 v7, 4, v3
	v_lshlrev_b32_e32 v27, 11, v74
	v_and_b32_e32 v8, 0x78, v2
	v_or_b32_e32 v10, 32, v7
	v_and_b32_e32 v6, 0x1000, v27
	v_lshrrev_b32_e32 v3, 1, v76
	v_xor_b32_e32 v10, v10, v8
	v_xor_b32_e32 v2, v7, v8
	v_and_b32_e32 v9, 8, v3
	v_or_b32_e32 v10, v10, v6
	v_or_b32_e32 v2, v2, v6
	v_xor_b32_e32 v33, v10, v9
	v_or_b32_e32 v10, 64, v7
	v_xor_b32_e32 v32, v2, v9
	v_xor_b32_e32 v10, v10, v8
	s_waitcnt lgkmcnt(0)
	s_barrier
	v_or_b32_e32 v13, v10, v6
	ds_read_b64 v[10:11], v32 offset:49152
	v_lshl_or_b32 v14, v77, 8, v26
	v_lshlrev_b32_e32 v28, 1, v14
	v_add_u32_e32 v12, 0x4000, v28
	ds_read2_b64 v[2:5], v12 offset1:16
	v_or_b32_e32 v7, 0x60, v7
	v_xor_b32_e32 v7, v7, v8
	v_or_b32_e32 v6, v7, v6
	v_xor_b32_e32 v66, v13, v9
	v_xor_b32_e32 v67, v6, v9
	ds_read_b64 v[22:23], v33 offset:49152
	ds_read_b64 v[68:69], v66 offset:49152
	;; [unrolled: 1-line block ×3, first 2 shown]
	s_waitcnt lgkmcnt(3)
	v_mfma_f32_16x16x16_bf16 a[0:3], v[10:11], v[2:3], 0
	ds_read2_b64 v[6:9], v12 offset0:32 offset1:48
	s_lshl_b64 s[0:1], s[42:43], 8
	s_add_u32 s4, s4, s0
	v_mfma_f32_16x16x16_bf16 a[4:7], v[10:11], v[4:5], 0
	ds_read2st64_b64 v[2:5], v28 offset0:36 offset1:40
	s_addc_u32 s5, s5, s1
	s_add_i32 s2, s16, -1
	s_waitcnt lgkmcnt(1)
	v_mfma_f32_16x16x16_bf16 a[8:11], v[10:11], v[6:7], 0
	v_or_b32_e32 v6, 64, v14
	v_lshlrev_b32_e32 v29, 1, v6
	s_add_i32 s0, s46, s21
	s_waitcnt lgkmcnt(0)
	v_mfma_f32_16x16x16_bf16 a[0:3], v[22:23], v[2:3], a[0:3]
	v_or_b32_e32 v2, 0x80, v14
	v_lshlrev_b32_e32 v30, 1, v2
	v_or_b32_e32 v2, 0xc0, v14
	v_mfma_f32_16x16x16_bf16 a[12:15], v[10:11], v[8:9], 0
	ds_read2st64_b64 v[6:9], v29 offset0:36 offset1:40
	v_lshlrev_b32_e32 v31, 1, v2
	ds_read2st64_b64 v[10:13], v30 offset0:36 offset1:40
	ds_read2st64_b64 v[14:17], v31 offset0:36 offset1:40
	s_mul_i32 s39, s39, s20
	s_add_i32 s39, s0, s39
	s_mul_i32 s0, s33, s23
	s_mul_hi_u32 s1, s33, s22
	s_ashr_i32 s3, s2, 31
	s_mul_i32 s12, s2, s37
	s_mul_hi_u32 s13, s2, s36
	s_waitcnt lgkmcnt(2)
	v_mfma_f32_16x16x16_bf16 a[4:7], v[22:23], v[6:7], a[4:7]
	s_add_i32 s0, s1, s0
	s_mul_i32 s1, s18, s22
	s_add_i32 s12, s13, s12
	s_mul_i32 s3, s3, s36
	s_waitcnt lgkmcnt(1)
	v_mfma_f32_16x16x16_bf16 a[8:11], v[22:23], v[10:11], a[8:11]
	s_add_i32 s1, s0, s1
	s_add_i32 s3, s12, s3
	s_lshl_b64 s[12:13], s[38:39], 2
	s_waitcnt lgkmcnt(0)
	v_mfma_f32_16x16x16_bf16 a[12:15], v[22:23], v[14:15], a[12:15]
	s_mul_i32 s0, s33, s22
	s_add_u32 s10, s10, s12
	s_addc_u32 s11, s11, s13
	s_lshl_b64 s[0:1], s[0:1], 2
	v_mfma_f32_16x16x16_bf16 a[0:3], v[68:69], v[4:5], a[0:3]
	s_mul_i32 s2, s2, s36
	ds_read_b64 v[2:3], v28 offset:22528
	s_add_u32 s10, s10, s0
	v_mfma_f32_16x16x16_bf16 a[4:7], v[68:69], v[8:9], a[4:7]
	ds_read_b64 v[4:5], v29 offset:22528
	ds_read_b64 v[6:7], v30 offset:22528
	;; [unrolled: 1-line block ×3, first 2 shown]
	s_addc_u32 s11, s11, s1
	s_lshl_b64 s[0:1], s[2:3], 2
	v_mfma_f32_16x16x16_bf16 a[8:11], v[68:69], v[12:13], a[8:11]
	s_add_u32 s0, s10, s0
	s_addc_u32 s1, s11, s1
	s_load_dword s12, s[0:1], 0x0
	v_mfma_f32_16x16x16_bf16 a[12:15], v[68:69], v[16:17], a[12:15]
	s_and_b64 vcc, exec, s[40:41]
	s_waitcnt lgkmcnt(0)
	v_mfma_f32_16x16x16_bf16 a[0:3], v[70:71], v[2:3], a[0:3]
	v_mfma_f32_16x16x16_bf16 a[4:7], v[70:71], v[4:5], a[4:7]
	;; [unrolled: 1-line block ×4, first 2 shown]
	s_cbranch_vccz .LBB45_43
; %bb.33:
	v_lshlrev_b32_e32 v22, 1, v19
	s_and_b64 vcc, exec, s[6:7]
	s_cbranch_vccz .LBB45_44
; %bb.34:
	v_cmp_gt_i32_e32 vcc, s45, v22
	v_mov_b32_e32 v6, 0
	v_mov_b32_e32 v2, 0
	;; [unrolled: 1-line block ×5, first 2 shown]
	s_and_saveexec_b64 s[0:1], vcc
	s_cbranch_execz .LBB45_36
; %bb.35:
	v_mad_i64_i32 v[2:3], s[2:3], s19, v22, 0
	v_lshl_add_u64 v[2:3], v[2:3], 1, s[4:5]
	v_lshlrev_b32_e32 v4, 1, v20
	v_mov_b32_e32 v5, 0
	v_lshl_add_u64 v[2:3], v[2:3], 0, v[4:5]
	global_load_dwordx4 v[2:5], v[2:3], off
.LBB45_36:
	s_or_b64 exec, exec, s[0:1]
	v_or_b32_e32 v23, 1, v22
	v_cmp_gt_i32_e64 s[0:1], s45, v23
	v_mov_b32_e32 v7, 0
	v_mov_b32_e32 v8, 0
	;; [unrolled: 1-line block ×3, first 2 shown]
	s_and_saveexec_b64 s[2:3], s[0:1]
	s_cbranch_execz .LBB45_38
; %bb.37:
	v_mad_i64_i32 v[6:7], s[16:17], s19, v23, 0
	v_lshl_add_u64 v[6:7], v[6:7], 1, s[4:5]
	v_lshlrev_b32_e32 v8, 1, v20
	v_mov_b32_e32 v9, 0
	v_lshl_add_u64 v[6:7], v[6:7], 0, v[8:9]
	global_load_dwordx4 v[6:9], v[6:7], off
.LBB45_38:
	s_or_b64 exec, exec, s[2:3]
	v_mov_b32_e32 v17, 0
	v_mov_b32_e32 v10, 0
	;; [unrolled: 1-line block ×5, first 2 shown]
	s_and_saveexec_b64 s[2:3], vcc
	s_cbranch_execz .LBB45_40
; %bb.39:
	v_mad_i64_i32 v[10:11], s[16:17], s19, v22, 0
	v_lshl_add_u64 v[10:11], v[10:11], 1, s[4:5]
	v_lshlrev_b32_e32 v12, 1, v20
	v_mov_b32_e32 v13, 0
	v_lshl_add_u64 v[10:11], v[10:11], 0, v[12:13]
	global_load_dwordx4 v[10:13], v[10:11], off offset:128
.LBB45_40:
	s_or_b64 exec, exec, s[2:3]
	v_mov_b32_e32 v16, 0
	v_mov_b32_e32 v15, 0
	v_mov_b32_e32 v14, 0
	s_and_saveexec_b64 s[2:3], s[0:1]
	s_cbranch_execz .LBB45_42
; %bb.41:
	v_mad_i64_i32 v[14:15], s[0:1], s19, v23, 0
	v_lshl_add_u64 v[14:15], v[14:15], 1, s[4:5]
	v_lshlrev_b32_e32 v16, 1, v20
	v_mov_b32_e32 v17, 0
	v_lshl_add_u64 v[14:15], v[14:15], 0, v[16:17]
	global_load_dwordx4 v[14:17], v[14:15], off offset:128
.LBB45_42:
	s_or_b64 exec, exec, s[2:3]
	s_branch .LBB45_46
.LBB45_43:
                                        ; implicit-def: $vgpr5
                                        ; implicit-def: $vgpr9
                                        ; implicit-def: $vgpr13
                                        ; implicit-def: $vgpr17
	v_lshrrev_b32_e32 v68, 2, v76
	s_branch .LBB45_47
.LBB45_44:
                                        ; implicit-def: $vgpr5
                                        ; implicit-def: $vgpr9
                                        ; implicit-def: $vgpr13
                                        ; implicit-def: $vgpr17
	s_cbranch_execz .LBB45_46
; %bb.45:
	s_waitcnt vmcnt(0)
	v_mad_u64_u32 v[2:3], s[0:1], v22, s19, v[20:21]
	v_lshlrev_b32_e32 v22, 1, v2
	s_lshl_b32 s2, s19, 7
	s_and_b32 s1, s5, 0xffff
	s_mov_b32 s3, 0x20000
	s_mov_b32 s0, s4
	v_add_lshl_u32 v23, v2, s19, 1
	s_movk_i32 s13, 0x80
	buffer_load_dwordx4 v[2:5], v22, s[0:3], 0 offen
	buffer_load_dwordx4 v[10:13], v22, s[0:3], s13 offen
	;; [unrolled: 1-line block ×4, first 2 shown]
.LBB45_46:
	v_lshrrev_b32_e32 v68, 2, v76
	s_cbranch_execnz .LBB45_59
.LBB45_47:
	s_and_b64 vcc, exec, s[6:7]
	s_cbranch_vccz .LBB45_57
; %bb.48:
	s_waitcnt vmcnt(0)
	v_lshlrev_b32_e32 v7, 1, v19
	v_cmp_gt_i32_e32 vcc, s45, v7
	v_mov_b32_e32 v6, 0
	v_lshlrev_b32_e32 v14, 9, v19
	v_mov_b32_e32 v2, 0
	v_mov_b32_e32 v3, 0
	;; [unrolled: 1-line block ×4, first 2 shown]
	s_and_saveexec_b64 s[0:1], vcc
	s_cbranch_execz .LBB45_50
; %bb.49:
	v_mov_b32_e32 v15, 0
	v_lshl_add_u64 v[2:3], s[4:5], 0, v[14:15]
	v_lshlrev_b32_e32 v4, 1, v20
	v_mov_b32_e32 v5, v15
	v_lshl_add_u64 v[2:3], v[2:3], 0, v[4:5]
	global_load_dwordx4 v[2:5], v[2:3], off
.LBB45_50:
	s_or_b64 exec, exec, s[0:1]
	v_or_b32_e32 v7, 1, v7
	v_cmp_gt_i32_e64 s[0:1], s45, v7
	v_lshlrev_b32_e32 v22, 8, v7
	v_mov_b32_e32 v7, 0
	v_mov_b32_e32 v8, 0
	;; [unrolled: 1-line block ×3, first 2 shown]
	s_and_saveexec_b64 s[2:3], s[0:1]
	s_cbranch_execz .LBB45_52
; %bb.51:
	v_mov_b32_e32 v23, 0
	v_lshl_add_u64 v[6:7], s[4:5], 0, v[22:23]
	v_lshlrev_b32_e32 v8, 1, v20
	v_mov_b32_e32 v9, v23
	v_lshl_add_u64 v[6:7], v[6:7], 0, v[8:9]
	global_load_dwordx4 v[6:9], v[6:7], off
.LBB45_52:
	s_or_b64 exec, exec, s[2:3]
	v_mov_b32_e32 v17, 0
	v_mov_b32_e32 v10, 0
	v_mov_b32_e32 v11, 0
	v_mov_b32_e32 v12, 0
	v_mov_b32_e32 v13, 0
	s_and_saveexec_b64 s[2:3], vcc
	s_cbranch_execz .LBB45_54
; %bb.53:
	v_mov_b32_e32 v15, 0
	v_lshl_add_u64 v[10:11], s[4:5], 0, v[14:15]
	v_lshlrev_b32_e32 v14, 1, v20
	v_lshl_add_u64 v[10:11], v[10:11], 0, v[14:15]
	global_load_dwordx4 v[10:13], v[10:11], off offset:128
.LBB45_54:
	s_or_b64 exec, exec, s[2:3]
	v_mov_b32_e32 v16, 0
	v_mov_b32_e32 v15, 0
	;; [unrolled: 1-line block ×3, first 2 shown]
	s_and_saveexec_b64 s[2:3], s[0:1]
	s_cbranch_execz .LBB45_56
; %bb.55:
	v_mov_b32_e32 v23, 0
	v_lshl_add_u64 v[14:15], s[4:5], 0, v[22:23]
	v_lshlrev_b32_e32 v22, 1, v20
	v_lshl_add_u64 v[14:15], v[14:15], 0, v[22:23]
	global_load_dwordx4 v[14:17], v[14:15], off offset:128
.LBB45_56:
	s_or_b64 exec, exec, s[2:3]
	s_branch .LBB45_59
.LBB45_57:
                                        ; implicit-def: $vgpr5
                                        ; implicit-def: $vgpr9
                                        ; implicit-def: $vgpr13
                                        ; implicit-def: $vgpr17
	s_cbranch_execz .LBB45_59
; %bb.58:
	s_waitcnt vmcnt(0)
	v_lshlrev_b32_e32 v2, 1, v20
	v_lshl_or_b32 v20, v19, 9, v2
	s_and_b32 s5, s5, 0xffff
	s_mov_b32 s7, 0x20000
	s_movk_i32 s6, 0x4000
	s_movk_i32 s0, 0x80
	buffer_load_dwordx4 v[2:5], v20, s[4:7], 0 offen
	buffer_load_dwordx4 v[6:9], v20, s[4:7], 0 offen offset:256
	buffer_load_dwordx4 v[10:13], v20, s[4:7], s0 offen
	buffer_load_dwordx4 v[14:17], v20, s[4:7], s0 offen offset:256
.LBB45_59:
	ds_read_b64 v[22:23], v32 offset:57344
	v_add_u32_e32 v20, 0x6000, v28
	ds_read2_b64 v[70:73], v20 offset1:16
	ds_read_b64 v[32:33], v33 offset:57344
	ds_read_b64 v[88:89], v66 offset:57344
	;; [unrolled: 1-line block ×3, first 2 shown]
	ds_read2st64_b64 v[76:79], v28 offset0:52 offset1:56
	v_and_b32_e32 v69, 1, v0
	v_cmp_eq_u32_e32 vcc, 0, v69
	s_mov_b32 s0, 0x1000504
	s_mov_b32 s1, 0x3020706
	s_waitcnt lgkmcnt(4)
	v_mfma_f32_16x16x16_bf16 a[0:3], v[22:23], v[70:71], a[0:3]
	v_mfma_f32_16x16x16_bf16 a[4:7], v[22:23], v[72:73], a[4:7]
	ds_read2_b64 v[70:73], v20 offset0:32 offset1:48
	v_and_b32_e32 v20, 6, v0
	v_xor_b32_e32 v19, v19, v20
	s_waitcnt lgkmcnt(0)
	v_mfma_f32_16x16x16_bf16 a[8:11], v[22:23], v[70:71], a[8:11]
	v_lshlrev_b32_e32 v19, 2, v19
	v_mfma_f32_16x16x16_bf16 a[12:15], v[22:23], v[72:73], a[12:15]
	ds_read2st64_b64 v[70:73], v29 offset0:52 offset1:56
	ds_read2st64_b64 v[80:83], v30 offset0:52 offset1:56
	ds_read2st64_b64 v[84:87], v31 offset0:52 offset1:56
	s_waitcnt lgkmcnt(2)
	v_mfma_f32_16x16x16_bf16 a[4:7], v[32:33], v[70:71], a[4:7]
	v_xor_b32_e32 v70, 0x440, v19
	v_cndmask_b32_e32 v19, v70, v19, vcc
	v_lshl_or_b32 v19, v20, 10, v19
	v_mfma_f32_16x16x16_bf16 a[0:3], v[32:33], v[76:77], a[0:3]
	s_waitcnt vmcnt(0)
	v_perm_b32 v20, v2, v6, s0
	ds_read_b64 v[22:23], v28 offset:30720
	ds_read_b64 v[76:77], v29 offset:30720
	;; [unrolled: 1-line block ×4, first 2 shown]
	v_perm_b32 v2, v2, v6, s1
	s_waitcnt lgkmcnt(5)
	v_mfma_f32_16x16x16_bf16 a[8:11], v[32:33], v[80:81], a[8:11]
	v_perm_b32 v6, v10, v14, s1
	s_waitcnt lgkmcnt(4)
	v_mfma_f32_16x16x16_bf16 a[12:15], v[32:33], v[84:85], a[12:15]
	v_perm_b32 v32, v10, v14, s0
	ds_write2st64_b32 v19, v20, v32 offset0:128 offset1:160
	v_xor_b32_e32 v20, 8, v19
	v_add_u32_e32 v10, 0x80, v20
	ds_write2st64_b32 v10, v2, v6 offset0:128 offset1:160
	v_xor_b32_e32 v2, 16, v19
	v_perm_b32 v6, v3, v7, s0
	v_perm_b32 v10, v11, v15, s0
	v_mfma_f32_16x16x16_bf16 a[0:3], v[88:89], v[78:79], a[0:3]
	ds_write2st64_b32 v2, v6, v10 offset0:129 offset1:161
	v_xor_b32_e32 v2, 24, v19
	v_perm_b32 v3, v3, v7, s1
	v_mfma_f32_16x16x16_bf16 a[4:7], v[88:89], v[72:73], a[4:7]
	v_perm_b32 v6, v11, v15, s1
	v_add_u32_e32 v2, 0x80, v2
	ds_write2st64_b32 v2, v3, v6 offset0:129 offset1:161
	v_mfma_f32_16x16x16_bf16 a[16:19], v[88:89], v[82:83], a[8:11]
	v_xor_b32_e32 v2, 32, v19
	v_perm_b32 v3, v4, v8, s0
	v_perm_b32 v6, v12, v16, s0
	v_mfma_f32_16x16x16_bf16 a[20:23], v[88:89], v[86:87], a[12:15]
	ds_write2st64_b32 v2, v3, v6 offset0:130 offset1:162
	v_xor_b32_e32 v2, 40, v19
	v_perm_b32 v3, v4, v8, s1
	s_waitcnt lgkmcnt(8)
	v_mfma_f32_16x16x16_bf16 a[12:15], v[66:67], v[22:23], a[0:3]
	v_perm_b32 v4, v12, v16, s1
	v_add_u32_e32 v2, 0x80, v2
	ds_write2st64_b32 v2, v3, v4 offset0:130 offset1:162
	s_waitcnt lgkmcnt(8)
	v_mfma_f32_16x16x16_bf16 a[8:11], v[66:67], v[76:77], a[4:7]
	v_xor_b32_e32 v2, 48, v19
	v_perm_b32 v3, v5, v9, s0
	v_perm_b32 v4, v13, v17, s0
	s_waitcnt lgkmcnt(7)
	v_mfma_f32_16x16x16_bf16 a[4:7], v[66:67], v[90:91], a[16:19]
	ds_write2st64_b32 v2, v3, v4 offset0:131 offset1:163
	v_xor_b32_e32 v2, 56, v19
	v_and_or_b32 v33, v68, 12, v75
	s_waitcnt lgkmcnt(7)
	v_mfma_f32_16x16x16_bf16 a[0:3], v[66:67], v[92:93], a[20:23]
	v_perm_b32 v3, v5, v9, s1
	v_perm_b32 v4, v13, v17, s1
	v_add_u32_e32 v2, 0x80, v2
	v_cmp_gt_i32_e64 s[0:1], s45, v33
	v_mov_b32_e32 v22, 0
	v_mov_b32_e32 v23, 0
	ds_write2st64_b32 v2, v3, v4 offset0:131 offset1:163
	s_and_saveexec_b64 s[2:3], s[0:1]
	s_cbranch_execz .LBB45_61
; %bb.60:
	v_add_u32_e32 v2, s44, v33
	v_ashrrev_i32_e32 v3, 31, v2
	v_mul_lo_u32 v4, v3, s36
	v_mul_lo_u32 v5, v2, s37
	v_mad_u64_u32 v[2:3], s[4:5], v2, s36, 0
	v_add3_u32 v3, v3, v5, v4
	v_lshl_add_u64 v[2:3], v[2:3], 2, s[10:11]
	global_load_dword v2, v[2:3], off
	s_waitcnt vmcnt(0)
	v_sub_f32_e32 v2, s12, v2
	v_exp_f32_e32 v23, v2
.LBB45_61:
	s_or_b64 exec, exec, s[2:3]
	v_or_b32_e32 v14, 1, v33
	v_cmp_gt_i32_e64 s[4:5], s45, v14
	s_and_saveexec_b64 s[2:3], s[4:5]
	s_cbranch_execz .LBB45_63
; %bb.62:
	v_add_u32_e32 v2, s44, v14
	v_ashrrev_i32_e32 v3, 31, v2
	v_mul_lo_u32 v4, v3, s36
	v_mul_lo_u32 v5, v2, s37
	v_mad_u64_u32 v[2:3], s[6:7], v2, s36, 0
	v_add3_u32 v3, v3, v5, v4
	v_lshl_add_u64 v[2:3], v[2:3], 2, s[10:11]
	global_load_dword v2, v[2:3], off
	s_waitcnt vmcnt(0)
	v_sub_f32_e32 v2, s12, v2
	v_exp_f32_e32 v22, v2
.LBB45_63:
	s_or_b64 exec, exec, s[2:3]
	v_or_b32_e32 v10, 2, v33
	v_cmp_gt_i32_e64 s[2:3], s45, v10
	v_mov_b32_e32 v20, 0
	v_mov_b32_e32 v32, 0
	s_and_saveexec_b64 s[6:7], s[2:3]
	s_cbranch_execz .LBB45_65
; %bb.64:
	v_add_u32_e32 v2, s44, v10
	v_ashrrev_i32_e32 v3, 31, v2
	v_mul_lo_u32 v4, v3, s36
	v_mul_lo_u32 v5, v2, s37
	v_mad_u64_u32 v[2:3], s[16:17], v2, s36, 0
	v_add3_u32 v3, v3, v5, v4
	v_lshl_add_u64 v[2:3], v[2:3], 2, s[10:11]
	global_load_dword v2, v[2:3], off
	s_waitcnt vmcnt(0)
	v_sub_f32_e32 v2, s12, v2
	v_exp_f32_e32 v32, v2
.LBB45_65:
	s_or_b64 exec, exec, s[6:7]
	v_or_b32_e32 v11, 3, v33
	v_cmp_gt_i32_e32 vcc, s45, v11
	s_and_saveexec_b64 s[6:7], vcc
	s_cbranch_execz .LBB45_67
; %bb.66:
	v_add_u32_e32 v2, s44, v11
	v_ashrrev_i32_e32 v3, 31, v2
	v_mul_lo_u32 v4, v3, s36
	v_mul_lo_u32 v5, v2, s37
	v_mad_u64_u32 v[2:3], s[16:17], v2, s36, 0
	v_add3_u32 v3, v3, v5, v4
	v_lshl_add_u64 v[2:3], v[2:3], 2, s[10:11]
	global_load_dword v2, v[2:3], off
	s_waitcnt vmcnt(0)
	v_sub_f32_e32 v2, s12, v2
	v_exp_f32_e32 v20, v2
.LBB45_67:
	s_or_b64 exec, exec, s[6:7]
	s_add_u32 s6, s8, s30
	s_addc_u32 s7, s9, s31
	s_add_u32 s8, s14, s30
	v_ashrrev_i32_e32 v19, 31, v18
	v_accvgpr_read_b32 v2, a12
	s_addc_u32 s9, s15, s31
	v_lshlrev_b64 v[6:7], 1, v[18:19]
	v_accvgpr_read_b32 v3, a13
	v_accvgpr_read_b32 v4, a14
	;; [unrolled: 1-line block ×3, first 2 shown]
	v_lshl_add_u64 v[8:9], s[6:7], 0, v[6:7]
	v_lshl_add_u64 v[6:7], s[8:9], 0, v[6:7]
	v_mov_b32_e32 v15, 0
	v_lshlrev_b32_e32 v12, 8, v33
	v_mov_b32_e32 v13, 0
	s_and_saveexec_b64 s[6:7], s[0:1]
	s_cbranch_execz .LBB45_69
; %bb.68:
	v_mov_b32_e32 v13, 0
	v_lshl_add_u64 v[16:17], v[8:9], 0, v[12:13]
	global_load_ushort v19, v[16:17], off
	v_lshl_add_u64 v[16:17], v[6:7], 0, v[12:13]
	s_waitcnt vmcnt(0)
	v_lshlrev_b32_e32 v13, 16, v19
	v_sub_f32_e32 v2, v13, v2
	global_store_short_d16_hi v[16:17], v2, off
	v_mul_f32_e32 v2, v23, v2
	v_lshrrev_b32_e32 v13, 16, v2
.LBB45_69:
	s_or_b64 exec, exec, s[6:7]
	v_lshlrev_b32_e32 v14, 8, v14
	s_and_saveexec_b64 s[6:7], s[4:5]
	s_cbranch_execz .LBB45_71
; %bb.70:
	v_mov_b32_e32 v15, 0
	v_lshl_add_u64 v[16:17], v[8:9], 0, v[14:15]
	global_load_ushort v2, v[16:17], off
	v_lshl_add_u64 v[16:17], v[6:7], 0, v[14:15]
	s_waitcnt vmcnt(0)
	v_lshlrev_b32_e32 v2, 16, v2
	v_sub_f32_e32 v2, v2, v3
	global_store_short_d16_hi v[16:17], v2, off
	v_mul_f32_e32 v2, v22, v2
	v_lshrrev_b32_e32 v15, 16, v2
.LBB45_71:
	s_or_b64 exec, exec, s[6:7]
	v_mov_b32_e32 v66, 0
	v_lshlrev_b32_e32 v16, 8, v10
	v_mov_b32_e32 v17, 0
	s_and_saveexec_b64 s[6:7], s[2:3]
	s_cbranch_execz .LBB45_73
; %bb.72:
	v_mov_b32_e32 v17, 0
	v_lshl_add_u64 v[2:3], v[8:9], 0, v[16:17]
	global_load_ushort v10, v[2:3], off
	v_lshl_add_u64 v[2:3], v[6:7], 0, v[16:17]
	s_waitcnt vmcnt(0)
	v_lshlrev_b32_e32 v10, 16, v10
	v_sub_f32_e32 v4, v10, v4
	global_store_short_d16_hi v[2:3], v4, off
	v_mul_f32_e32 v2, v32, v4
	v_lshrrev_b32_e32 v17, 16, v2
.LBB45_73:
	s_or_b64 exec, exec, s[6:7]
	v_lshlrev_b32_e32 v10, 8, v11
	s_and_saveexec_b64 s[6:7], vcc
	s_cbranch_execz .LBB45_75
; %bb.74:
	v_mov_b32_e32 v11, 0
	v_lshl_add_u64 v[2:3], v[8:9], 0, v[10:11]
	global_load_ushort v4, v[2:3], off
	v_lshl_add_u64 v[2:3], v[6:7], 0, v[10:11]
	s_waitcnt vmcnt(0)
	v_lshlrev_b32_e32 v4, 16, v4
	v_sub_f32_e32 v4, v4, v5
	global_store_short_d16_hi v[2:3], v4, off
	v_mul_f32_e32 v2, v20, v4
	v_lshrrev_b32_e32 v66, 16, v2
.LBB45_75:
	s_or_b64 exec, exec, s[6:7]
	v_lshlrev_b32_e32 v19, 6, v33
	v_accvgpr_read_b32 v2, a8
	s_mov_b32 s6, 0x5040100
	v_or_b32_e32 v11, v19, v26
	v_accvgpr_read_b32 v3, a9
	v_accvgpr_read_b32 v4, a10
	;; [unrolled: 1-line block ×3, first 2 shown]
	v_perm_b32 v67, v66, v17, s6
	v_perm_b32 v66, v15, v13, s6
	v_lshlrev_b32_e32 v11, 1, v11
	v_mov_b32_e32 v15, 0
	v_mov_b32_e32 v13, 0
	ds_write_b64 v11, v[66:67] offset:24576
	s_and_saveexec_b64 s[6:7], s[0:1]
	s_cbranch_execz .LBB45_77
; %bb.76:
	v_mov_b32_e32 v13, 0
	v_lshl_add_u64 v[66:67], v[8:9], 0, v[12:13]
	global_load_ushort v11, v[66:67], off offset:32
	v_lshl_add_u64 v[66:67], v[6:7], 0, v[12:13]
	s_waitcnt vmcnt(0)
	v_lshlrev_b32_e32 v11, 16, v11
	v_sub_f32_e32 v2, v11, v2
	global_store_short_d16_hi v[66:67], v2, off offset:32
	v_mul_f32_e32 v2, v23, v2
	v_lshrrev_b32_e32 v13, 16, v2
.LBB45_77:
	s_or_b64 exec, exec, s[6:7]
	s_and_saveexec_b64 s[6:7], s[4:5]
	s_cbranch_execz .LBB45_79
; %bb.78:
	v_mov_b32_e32 v15, 0
	v_lshl_add_u64 v[66:67], v[8:9], 0, v[14:15]
	global_load_ushort v2, v[66:67], off offset:32
	v_lshl_add_u64 v[66:67], v[6:7], 0, v[14:15]
	s_waitcnt vmcnt(0)
	v_lshlrev_b32_e32 v2, 16, v2
	v_sub_f32_e32 v2, v2, v3
	global_store_short_d16_hi v[66:67], v2, off offset:32
	v_mul_f32_e32 v2, v22, v2
	v_lshrrev_b32_e32 v15, 16, v2
.LBB45_79:
	s_or_b64 exec, exec, s[6:7]
	v_mov_b32_e32 v11, 0
	v_mov_b32_e32 v17, 0
	s_and_saveexec_b64 s[6:7], s[2:3]
	s_cbranch_execz .LBB45_81
; %bb.80:
	v_mov_b32_e32 v17, 0
	v_lshl_add_u64 v[2:3], v[8:9], 0, v[16:17]
	global_load_ushort v26, v[2:3], off offset:32
	v_lshl_add_u64 v[2:3], v[6:7], 0, v[16:17]
	s_waitcnt vmcnt(0)
	v_lshlrev_b32_e32 v17, 16, v26
	v_sub_f32_e32 v4, v17, v4
	global_store_short_d16_hi v[2:3], v4, off offset:32
	v_mul_f32_e32 v2, v32, v4
	v_lshrrev_b32_e32 v17, 16, v2
.LBB45_81:
	s_or_b64 exec, exec, s[6:7]
	s_and_saveexec_b64 s[6:7], vcc
	s_cbranch_execz .LBB45_83
; %bb.82:
	v_mov_b32_e32 v11, 0
	v_lshl_add_u64 v[2:3], v[8:9], 0, v[10:11]
	global_load_ushort v4, v[2:3], off offset:32
	v_lshl_add_u64 v[2:3], v[6:7], 0, v[10:11]
	s_waitcnt vmcnt(0)
	v_lshlrev_b32_e32 v4, 16, v4
	v_sub_f32_e32 v4, v4, v5
	global_store_short_d16_hi v[2:3], v4, off offset:32
	v_mul_f32_e32 v2, v20, v4
	v_lshrrev_b32_e32 v11, 16, v2
.LBB45_83:
	s_or_b64 exec, exec, s[6:7]
	s_mov_b32 s6, 0x5040100
	v_accvgpr_read_b32 v2, a4
	v_perm_b32 v67, v11, v17, s6
	v_or_b32_e32 v11, v19, v25
	v_accvgpr_read_b32 v3, a5
	v_accvgpr_read_b32 v4, a6
	;; [unrolled: 1-line block ×3, first 2 shown]
	v_perm_b32 v66, v15, v13, s6
	v_lshlrev_b32_e32 v11, 1, v11
	v_mov_b32_e32 v15, 0
	v_mov_b32_e32 v13, 0
	ds_write_b64 v11, v[66:67] offset:24576
	s_and_saveexec_b64 s[6:7], s[0:1]
	s_cbranch_execz .LBB45_85
; %bb.84:
	v_mov_b32_e32 v13, 0
	v_lshl_add_u64 v[66:67], v[8:9], 0, v[12:13]
	global_load_ushort v11, v[66:67], off offset:64
	v_lshl_add_u64 v[66:67], v[6:7], 0, v[12:13]
	s_waitcnt vmcnt(0)
	v_lshlrev_b32_e32 v11, 16, v11
	v_sub_f32_e32 v2, v11, v2
	global_store_short_d16_hi v[66:67], v2, off offset:64
	v_mul_f32_e32 v2, v23, v2
	v_lshrrev_b32_e32 v13, 16, v2
.LBB45_85:
	s_or_b64 exec, exec, s[6:7]
	s_and_saveexec_b64 s[6:7], s[4:5]
	s_cbranch_execz .LBB45_87
; %bb.86:
	v_mov_b32_e32 v15, 0
	v_lshl_add_u64 v[66:67], v[8:9], 0, v[14:15]
	global_load_ushort v2, v[66:67], off offset:64
	v_lshl_add_u64 v[66:67], v[6:7], 0, v[14:15]
	s_waitcnt vmcnt(0)
	v_lshlrev_b32_e32 v2, 16, v2
	v_sub_f32_e32 v2, v2, v3
	global_store_short_d16_hi v[66:67], v2, off offset:64
	v_mul_f32_e32 v2, v22, v2
	v_lshrrev_b32_e32 v15, 16, v2
.LBB45_87:
	s_or_b64 exec, exec, s[6:7]
	v_mov_b32_e32 v11, 0
	v_mov_b32_e32 v17, 0
	s_and_saveexec_b64 s[6:7], s[2:3]
	s_cbranch_execz .LBB45_89
; %bb.88:
	v_mov_b32_e32 v17, 0
	v_lshl_add_u64 v[2:3], v[8:9], 0, v[16:17]
	global_load_ushort v25, v[2:3], off offset:64
	v_lshl_add_u64 v[2:3], v[6:7], 0, v[16:17]
	s_waitcnt vmcnt(0)
	v_lshlrev_b32_e32 v17, 16, v25
	v_sub_f32_e32 v4, v17, v4
	global_store_short_d16_hi v[2:3], v4, off offset:64
	v_mul_f32_e32 v2, v32, v4
	v_lshrrev_b32_e32 v17, 16, v2
.LBB45_89:
	s_or_b64 exec, exec, s[6:7]
	s_and_saveexec_b64 s[6:7], vcc
	s_cbranch_execz .LBB45_91
; %bb.90:
	v_mov_b32_e32 v11, 0
	v_lshl_add_u64 v[2:3], v[8:9], 0, v[10:11]
	global_load_ushort v4, v[2:3], off offset:64
	v_lshl_add_u64 v[2:3], v[6:7], 0, v[10:11]
	s_waitcnt vmcnt(0)
	v_lshlrev_b32_e32 v4, 16, v4
	v_sub_f32_e32 v4, v4, v5
	global_store_short_d16_hi v[2:3], v4, off offset:64
	v_mul_f32_e32 v2, v20, v4
	v_lshrrev_b32_e32 v11, 16, v2
.LBB45_91:
	s_or_b64 exec, exec, s[6:7]
	s_mov_b32 s6, 0x5040100
	v_accvgpr_read_b32 v5, a3
	v_perm_b32 v67, v11, v17, s6
	v_or_b32_e32 v11, v19, v24
	v_accvgpr_read_b32 v4, a2
	v_accvgpr_read_b32 v3, a1
	;; [unrolled: 1-line block ×3, first 2 shown]
	v_perm_b32 v66, v15, v13, s6
	v_lshlrev_b32_e32 v11, 1, v11
	v_mov_b32_e32 v15, 0
	v_mov_b32_e32 v13, 0
	ds_write_b64 v11, v[66:67] offset:24576
	s_and_saveexec_b64 s[6:7], s[0:1]
	s_cbranch_execz .LBB45_93
; %bb.92:
	v_mov_b32_e32 v13, 0
	v_lshl_add_u64 v[24:25], v[8:9], 0, v[12:13]
	global_load_ushort v11, v[24:25], off offset:96
	v_lshl_add_u64 v[12:13], v[6:7], 0, v[12:13]
	s_waitcnt vmcnt(0)
	v_lshlrev_b32_e32 v11, 16, v11
	v_sub_f32_e32 v2, v11, v2
	global_store_short_d16_hi v[12:13], v2, off offset:96
	v_mul_f32_e32 v2, v23, v2
	v_lshrrev_b32_e32 v13, 16, v2
.LBB45_93:
	s_or_b64 exec, exec, s[6:7]
	s_and_saveexec_b64 s[0:1], s[4:5]
	s_cbranch_execz .LBB45_95
; %bb.94:
	v_mov_b32_e32 v15, 0
	v_lshl_add_u64 v[24:25], v[8:9], 0, v[14:15]
	global_load_ushort v2, v[24:25], off offset:96
	v_lshl_add_u64 v[14:15], v[6:7], 0, v[14:15]
	s_waitcnt vmcnt(0)
	v_lshlrev_b32_e32 v2, 16, v2
	v_sub_f32_e32 v2, v2, v3
	global_store_short_d16_hi v[14:15], v2, off offset:96
	v_mul_f32_e32 v2, v22, v2
	v_lshrrev_b32_e32 v15, 16, v2
.LBB45_95:
	s_or_b64 exec, exec, s[0:1]
	v_mov_b32_e32 v11, 0
	v_mov_b32_e32 v14, 0
	s_and_saveexec_b64 s[0:1], s[2:3]
	s_cbranch_execz .LBB45_97
; %bb.96:
	v_mov_b32_e32 v17, 0
	v_lshl_add_u64 v[2:3], v[8:9], 0, v[16:17]
	global_load_ushort v12, v[2:3], off offset:96
	v_lshl_add_u64 v[2:3], v[6:7], 0, v[16:17]
	s_waitcnt vmcnt(0)
	v_lshlrev_b32_e32 v12, 16, v12
	v_sub_f32_e32 v4, v12, v4
	global_store_short_d16_hi v[2:3], v4, off offset:96
	v_mul_f32_e32 v2, v32, v4
	v_lshrrev_b32_e32 v14, 16, v2
.LBB45_97:
	s_or_b64 exec, exec, s[0:1]
	v_or_b32_e32 v12, 0x6000, v28
	v_or_b32_e32 v4, 0x6000, v29
	;; [unrolled: 1-line block ×4, first 2 shown]
	s_and_saveexec_b64 s[0:1], vcc
	s_cbranch_execz .LBB45_99
; %bb.98:
	v_mov_b32_e32 v11, 0
	v_lshl_add_u64 v[8:9], v[8:9], 0, v[10:11]
	global_load_ushort v8, v[8:9], off offset:96
	v_lshl_add_u64 v[6:7], v[6:7], 0, v[10:11]
	s_waitcnt vmcnt(0)
	v_lshlrev_b32_e32 v8, 16, v8
	v_sub_f32_e32 v5, v8, v5
	global_store_short_d16_hi v[6:7], v5, off offset:96
	v_mul_f32_e32 v5, v20, v5
	v_lshrrev_b32_e32 v11, 16, v5
.LBB45_99:
	s_or_b64 exec, exec, s[0:1]
	s_mov_b32 s0, 0x5040100
	v_or_b32_e32 v5, v19, v21
	v_perm_b32 v7, v11, v14, s0
	v_perm_b32 v6, v15, v13, s0
	v_lshlrev_b32_e32 v5, 1, v5
	s_movk_i32 s0, 0x100
	ds_write_b64 v5, v[6:7] offset:24576
	v_and_b32_e32 v5, 7, v0
	v_and_b32_e32 v6, 8, v0
	v_cmp_gt_u32_e32 vcc, s0, v0
	v_lshrrev_b32_e32 v0, 1, v0
	v_mov_b32_e32 v7, 0xa000
	v_mov_b32_e32 v8, 0x8000
	v_lshlrev_b32_e32 v26, 3, v74
	v_and_b32_e32 v0, 24, v0
	v_cndmask_b32_e32 v19, v7, v8, vcc
	v_xor_b32_e32 v7, v26, v0
	v_or_b32_e32 v8, 0x440, v7
	v_cmp_eq_u32_e32 vcc, 0, v6
	v_lshlrev_b32_e32 v13, 3, v5
	v_lshlrev_b32_e32 v5, 7, v5
	v_cndmask_b32_e32 v6, v8, v7, vcc
	v_or_b32_e32 v6, v6, v27
	v_xad_u32 v32, v6, v13, v5
	v_add_u32_e32 v6, v19, v32
	s_waitcnt lgkmcnt(0)
	s_barrier
	ds_read_b64 v[10:11], v6
	ds_read2_b64 v[6:9], v12 offset1:16
	ds_read2_b64 v[14:17], v12 offset0:32 offset1:48
	v_or_b32_e32 v20, 32, v0
	v_xor_b32_e32 v20, v26, v20
	v_or_b32_e32 v21, 0x440, v20
	v_cndmask_b32_e32 v20, v21, v20, vcc
	s_waitcnt lgkmcnt(1)
	v_mfma_f32_16x16x16_bf16 a[0:3], v[10:11], v[6:7], 0
	v_or_b32_e32 v20, v20, v27
	v_xad_u32 v33, v20, v13, v5
	v_add_u32_e32 v20, v19, v33
	v_mfma_f32_16x16x16_bf16 a[4:7], v[10:11], v[8:9], 0
	ds_read_b64 v[24:25], v20
	ds_read2st64_b64 v[28:31], v4 offset0:4 offset1:8
	ds_read2st64_b64 v[66:69], v3 offset0:4 offset1:8
	s_waitcnt lgkmcnt(3)
	v_mfma_f32_16x16x16_bf16 a[8:11], v[10:11], v[14:15], 0
	ds_read2st64_b64 v[70:73], v2 offset0:4 offset1:8
	v_mfma_f32_16x16x16_bf16 a[12:15], v[10:11], v[16:17], 0
	v_or_b32_e32 v10, 64, v0
	v_xor_b32_e32 v10, v26, v10
	v_xor_b32_e32 v11, 0x440, v10
	v_cndmask_b32_e32 v10, v11, v10, vcc
	v_or_b32_e32 v10, v10, v27
	v_xad_u32 v74, v10, v13, v5
	v_add_u32_e32 v10, v19, v74
	ds_read_b64 v[10:11], v10
	ds_read2st64_b64 v[20:23], v12 offset0:4 offset1:8
	v_or_b32_e32 v0, 0x60, v0
	v_xor_b32_e32 v0, v26, v0
	s_waitcnt lgkmcnt(0)
	v_mfma_f32_16x16x16_bf16 a[0:3], v[24:25], v[20:21], a[0:3]
	v_mfma_f32_16x16x16_bf16 a[4:7], v[24:25], v[28:29], a[4:7]
	;; [unrolled: 1-line block ×4, first 2 shown]
	v_xor_b32_e32 v24, 0x440, v0
	v_cndmask_b32_e32 v0, v24, v0, vcc
	v_or_b32_e32 v0, v0, v27
	v_xad_u32 v26, v0, v13, v5
	v_add_u32_e32 v0, v19, v26
	v_mfma_f32_16x16x16_bf16 a[0:3], v[10:11], v[22:23], a[0:3]
	ds_read_b64 v[24:25], v0
	ds_read_b64 v[12:13], v12 offset:6144
	v_exp_f32_e32 v0, s12
	v_mfma_f32_16x16x16_bf16 a[4:7], v[10:11], v[30:31], a[4:7]
	v_mfma_f32_16x16x16_bf16 a[8:11], v[10:11], v[68:69], a[8:11]
	;; [unrolled: 1-line block ×3, first 2 shown]
	ds_read_b64 v[4:5], v4 offset:6144
	ds_read_b64 v[10:11], v3 offset:6144
	;; [unrolled: 1-line block ×3, first 2 shown]
	s_waitcnt lgkmcnt(3)
	v_mfma_f32_16x16x16_bf16 a[0:3], v[24:25], v[12:13], a[0:3]
	s_waitcnt lgkmcnt(2)
	v_mfma_f32_16x16x16_bf16 a[4:7], v[24:25], v[4:5], a[4:7]
	;; [unrolled: 2-line block ×4, first 2 shown]
	ds_read_b64 v[24:25], v32 offset:40960
	s_waitcnt lgkmcnt(0)
	v_mfma_f32_16x16x16_bf16 a[16:19], v[24:25], v[6:7], 0
	ds_read_b64 v[6:7], v33 offset:40960
	v_mfma_f32_16x16x16_bf16 a[20:23], v[24:25], v[8:9], 0
	ds_read_b64 v[8:9], v74 offset:40960
	v_mfma_f32_16x16x16_bf16 a[24:27], v[24:25], v[14:15], 0
	v_accvgpr_read_b32 v15, a3
	v_accvgpr_read_b32 v14, a2
	v_pk_fma_f32 v[64:65], v[0:1], v[64:65], v[14:15] op_sel_hi:[0,1,1]
	v_mfma_f32_16x16x16_bf16 a[28:31], v[24:25], v[16:17], 0
	ds_read_b64 v[14:15], v26 offset:40960
	v_accvgpr_read_b32 v17, a7
	v_accvgpr_read_b32 v16, a6
	s_waitcnt lgkmcnt(2)
	v_mfma_f32_16x16x16_bf16 a[16:19], v[6:7], v[20:21], a[16:19]
	v_accvgpr_read_b32 v21, a15
	v_accvgpr_read_b32 v20, a14
	v_pk_fma_f32 v[56:57], v[0:1], v[56:57], v[16:17] op_sel_hi:[0,1,1]
	v_mfma_f32_16x16x16_bf16 a[20:23], v[6:7], v[28:29], a[20:23]
	v_pk_fma_f32 v[40:41], v[0:1], v[40:41], v[20:21] op_sel_hi:[0,1,1]
	v_mfma_f32_16x16x16_bf16 a[24:27], v[6:7], v[66:67], a[24:27]
	v_mfma_f32_16x16x16_bf16 a[28:31], v[6:7], v[70:71], a[28:31]
	v_accvgpr_read_b32 v7, a11
	v_accvgpr_read_b32 v6, a10
	v_pk_fma_f32 v[48:49], v[0:1], v[48:49], v[6:7] op_sel_hi:[0,1,1]
	s_waitcnt lgkmcnt(1)
	v_mfma_f32_16x16x16_bf16 a[16:19], v[8:9], v[22:23], a[16:19]
	v_accvgpr_read_b32 v23, a1
	v_accvgpr_read_b32 v22, a0
	v_pk_fma_f32 v[62:63], v[0:1], v[62:63], v[22:23] op_sel_hi:[0,1,1]
	v_mfma_f32_16x16x16_bf16 a[0:3], v[8:9], v[30:31], a[20:23]
	v_accvgpr_read_b32 v23, a5
	v_accvgpr_read_b32 v22, a4
	;; [unrolled: 1-line block ×3, first 2 shown]
	v_mfma_f32_16x16x16_bf16 a[20:23], v[8:9], v[68:69], a[24:27]
	v_accvgpr_read_b32 v7, a13
	v_pk_fma_f32 v[38:39], v[0:1], v[38:39], v[6:7] op_sel_hi:[0,1,1]
	v_pk_fma_f32 v[54:55], v[0:1], v[54:55], v[22:23] op_sel_hi:[0,1,1]
	v_mfma_f32_16x16x16_bf16 a[4:7], v[8:9], v[72:73], a[28:31]
	v_accvgpr_read_b32 v8, a8
	v_accvgpr_read_b32 v9, a9
	v_pk_fma_f32 v[46:47], v[0:1], v[46:47], v[8:9] op_sel_hi:[0,1,1]
	s_waitcnt lgkmcnt(0)
	v_mfma_f32_16x16x16_bf16 a[8:11], v[14:15], v[12:13], a[16:19]
	v_mfma_f32_16x16x16_bf16 a[0:3], v[14:15], v[4:5], a[0:3]
	s_nop 5
	v_accvgpr_read_b32 v5, a11
	v_accvgpr_read_b32 v4, a10
	v_mfma_f32_16x16x16_bf16 a[10:13], v[14:15], v[10:11], a[20:23]
	v_pk_fma_f32 v[60:61], v[0:1], v[60:61], v[4:5] op_sel_hi:[0,1,1]
	v_accvgpr_read_b32 v7, a3
	v_accvgpr_read_b32 v6, a2
	v_mfma_f32_16x16x16_bf16 a[2:5], v[14:15], v[2:3], a[4:7]
	v_accvgpr_read_b32 v5, a1
	v_accvgpr_read_b32 v4, a0
	v_pk_fma_f32 v[50:51], v[0:1], v[50:51], v[4:5] op_sel_hi:[0,1,1]
	v_accvgpr_read_b32 v4, a10
	v_accvgpr_read_b32 v5, a11
	;; [unrolled: 1-line block ×3, first 2 shown]
	v_pk_fma_f32 v[42:43], v[0:1], v[42:43], v[4:5] op_sel_hi:[0,1,1]
	v_accvgpr_read_b32 v5, a3
	v_accvgpr_read_b32 v9, a13
	;; [unrolled: 1-line block ×7, first 2 shown]
	v_pk_fma_f32 v[58:59], v[0:1], v[58:59], v[10:11] op_sel_hi:[0,1,1]
	v_pk_fma_f32 v[52:53], v[0:1], v[52:53], v[6:7] op_sel_hi:[0,1,1]
	;; [unrolled: 1-line block ×5, first 2 shown]
	v_mov_b32_e32 v2, v18
.LBB45_100:
	s_lshl_b64 s[0:1], s[28:29], 15
	s_waitcnt lgkmcnt(0)
	s_add_u32 s0, s34, s0
	v_lshlrev_b32_e32 v2, 7, v2
	s_addc_u32 s1, s35, s1
	v_ashrrev_i32_e32 v3, 31, v2
	v_lshl_add_u64 v[4:5], v[2:3], 1, s[0:1]
	v_lshlrev_b32_e32 v0, 1, v1
	v_mov_b32_e32 v1, 0
	s_mov_b32 s2, 0x7060302
	v_lshl_add_u64 v[4:5], v[4:5], 0, v[0:1]
	v_perm_b32 v7, v65, v64, s2
	v_perm_b32 v6, v63, v62, s2
	global_store_dwordx2 v[4:5], v[6:7], off
	v_perm_b32 v7, v61, v60, s2
	v_perm_b32 v6, v59, v58, s2
	global_store_dwordx2 v[4:5], v[6:7], off offset:128
	v_or_b32_e32 v4, 0x800, v2
	v_ashrrev_i32_e32 v5, 31, v4
	v_lshl_add_u64 v[4:5], v[4:5], 1, s[0:1]
	v_lshl_add_u64 v[4:5], v[4:5], 0, v[0:1]
	v_perm_b32 v7, v57, v56, s2
	v_perm_b32 v6, v55, v54, s2
	global_store_dwordx2 v[4:5], v[6:7], off
	v_perm_b32 v7, v53, v52, s2
	v_perm_b32 v6, v51, v50, s2
	global_store_dwordx2 v[4:5], v[6:7], off offset:128
	v_or_b32_e32 v4, 0x1000, v2
	v_or_b32_e32 v2, 0x1800, v2
	v_ashrrev_i32_e32 v5, 31, v4
	v_ashrrev_i32_e32 v3, 31, v2
	v_lshl_add_u64 v[4:5], v[4:5], 1, s[0:1]
	v_lshl_add_u64 v[2:3], v[2:3], 1, s[0:1]
	;; [unrolled: 1-line block ×3, first 2 shown]
	v_perm_b32 v7, v49, v48, s2
	v_perm_b32 v6, v47, v46, s2
	v_lshl_add_u64 v[0:1], v[2:3], 0, v[0:1]
	v_perm_b32 v3, v41, v40, s2
	v_perm_b32 v2, v39, v38, s2
	global_store_dwordx2 v[4:5], v[6:7], off
	v_perm_b32 v7, v45, v44, s2
	v_perm_b32 v6, v43, v42, s2
	global_store_dwordx2 v[0:1], v[2:3], off
	v_perm_b32 v3, v35, v34, s2
	v_perm_b32 v2, v37, v36, s2
	global_store_dwordx2 v[4:5], v[6:7], off offset:128
	global_store_dwordx2 v[0:1], v[2:3], off offset:128
	s_endpgm
	.section	.rodata,"a",@progbits
	.p2align	6, 0x0
	.amdhsa_kernel _ZN12_GLOBAL__N_139chunk_gated_delta_rule_fwd_h_hip_kernelILi64ELb0ELb1ELb1ELb0ELb1ELb0ELb1ELb1EEEvPK12hip_bfloat16S3_S3_PKfS5_PKvPS1_S8_PvPKiSB_iiiiilll
		.amdhsa_group_segment_fixed_size 65536
		.amdhsa_private_segment_fixed_size 0
		.amdhsa_kernarg_size 136
		.amdhsa_user_sgpr_count 2
		.amdhsa_user_sgpr_dispatch_ptr 0
		.amdhsa_user_sgpr_queue_ptr 0
		.amdhsa_user_sgpr_kernarg_segment_ptr 1
		.amdhsa_user_sgpr_dispatch_id 0
		.amdhsa_user_sgpr_kernarg_preload_length 0
		.amdhsa_user_sgpr_kernarg_preload_offset 0
		.amdhsa_user_sgpr_private_segment_size 0
		.amdhsa_uses_dynamic_stack 0
		.amdhsa_enable_private_segment 0
		.amdhsa_system_sgpr_workgroup_id_x 1
		.amdhsa_system_sgpr_workgroup_id_y 1
		.amdhsa_system_sgpr_workgroup_id_z 0
		.amdhsa_system_sgpr_workgroup_info 0
		.amdhsa_system_vgpr_workitem_id 0
		.amdhsa_next_free_vgpr 216
		.amdhsa_next_free_sgpr 67
		.amdhsa_accum_offset 180
		.amdhsa_reserve_vcc 1
		.amdhsa_float_round_mode_32 0
		.amdhsa_float_round_mode_16_64 0
		.amdhsa_float_denorm_mode_32 3
		.amdhsa_float_denorm_mode_16_64 3
		.amdhsa_dx10_clamp 1
		.amdhsa_ieee_mode 1
		.amdhsa_fp16_overflow 0
		.amdhsa_tg_split 0
		.amdhsa_exception_fp_ieee_invalid_op 0
		.amdhsa_exception_fp_denorm_src 0
		.amdhsa_exception_fp_ieee_div_zero 0
		.amdhsa_exception_fp_ieee_overflow 0
		.amdhsa_exception_fp_ieee_underflow 0
		.amdhsa_exception_fp_ieee_inexact 0
		.amdhsa_exception_int_div_zero 0
	.end_amdhsa_kernel
	.section	.text._ZN12_GLOBAL__N_139chunk_gated_delta_rule_fwd_h_hip_kernelILi64ELb0ELb1ELb1ELb0ELb1ELb0ELb1ELb1EEEvPK12hip_bfloat16S3_S3_PKfS5_PKvPS1_S8_PvPKiSB_iiiiilll,"axG",@progbits,_ZN12_GLOBAL__N_139chunk_gated_delta_rule_fwd_h_hip_kernelILi64ELb0ELb1ELb1ELb0ELb1ELb0ELb1ELb1EEEvPK12hip_bfloat16S3_S3_PKfS5_PKvPS1_S8_PvPKiSB_iiiiilll,comdat
.Lfunc_end45:
	.size	_ZN12_GLOBAL__N_139chunk_gated_delta_rule_fwd_h_hip_kernelILi64ELb0ELb1ELb1ELb0ELb1ELb0ELb1ELb1EEEvPK12hip_bfloat16S3_S3_PKfS5_PKvPS1_S8_PvPKiSB_iiiiilll, .Lfunc_end45-_ZN12_GLOBAL__N_139chunk_gated_delta_rule_fwd_h_hip_kernelILi64ELb0ELb1ELb1ELb0ELb1ELb0ELb1ELb1EEEvPK12hip_bfloat16S3_S3_PKfS5_PKvPS1_S8_PvPKiSB_iiiiilll
                                        ; -- End function
	.section	.AMDGPU.csdata,"",@progbits
; Kernel info:
; codeLenInByte = 12640
; NumSgprs: 73
; NumVgprs: 180
; NumAgprs: 36
; TotalNumVgprs: 216
; ScratchSize: 0
; MemoryBound: 0
; FloatMode: 240
; IeeeMode: 1
; LDSByteSize: 65536 bytes/workgroup (compile time only)
; SGPRBlocks: 9
; VGPRBlocks: 26
; NumSGPRsForWavesPerEU: 73
; NumVGPRsForWavesPerEU: 216
; AccumOffset: 180
; Occupancy: 1
; WaveLimiterHint : 1
; COMPUTE_PGM_RSRC2:SCRATCH_EN: 0
; COMPUTE_PGM_RSRC2:USER_SGPR: 2
; COMPUTE_PGM_RSRC2:TRAP_HANDLER: 0
; COMPUTE_PGM_RSRC2:TGID_X_EN: 1
; COMPUTE_PGM_RSRC2:TGID_Y_EN: 1
; COMPUTE_PGM_RSRC2:TGID_Z_EN: 0
; COMPUTE_PGM_RSRC2:TIDIG_COMP_CNT: 0
; COMPUTE_PGM_RSRC3_GFX90A:ACCUM_OFFSET: 44
; COMPUTE_PGM_RSRC3_GFX90A:TG_SPLIT: 0
	.section	.text._ZN12_GLOBAL__N_139chunk_gated_delta_rule_fwd_h_hip_kernelILi64ELb0ELb1ELb0ELb0ELb1ELb0ELb1ELb1EEEvPK12hip_bfloat16S3_S3_PKfS5_PKvPS1_S8_PvPKiSB_iiiiilll,"axG",@progbits,_ZN12_GLOBAL__N_139chunk_gated_delta_rule_fwd_h_hip_kernelILi64ELb0ELb1ELb0ELb0ELb1ELb0ELb1ELb1EEEvPK12hip_bfloat16S3_S3_PKfS5_PKvPS1_S8_PvPKiSB_iiiiilll,comdat
	.globl	_ZN12_GLOBAL__N_139chunk_gated_delta_rule_fwd_h_hip_kernelILi64ELb0ELb1ELb0ELb0ELb1ELb0ELb1ELb1EEEvPK12hip_bfloat16S3_S3_PKfS5_PKvPS1_S8_PvPKiSB_iiiiilll ; -- Begin function _ZN12_GLOBAL__N_139chunk_gated_delta_rule_fwd_h_hip_kernelILi64ELb0ELb1ELb0ELb0ELb1ELb0ELb1ELb1EEEvPK12hip_bfloat16S3_S3_PKfS5_PKvPS1_S8_PvPKiSB_iiiiilll
	.p2align	8
	.type	_ZN12_GLOBAL__N_139chunk_gated_delta_rule_fwd_h_hip_kernelILi64ELb0ELb1ELb0ELb0ELb1ELb0ELb1ELb1EEEvPK12hip_bfloat16S3_S3_PKfS5_PKvPS1_S8_PvPKiSB_iiiiilll,@function
_ZN12_GLOBAL__N_139chunk_gated_delta_rule_fwd_h_hip_kernelILi64ELb0ELb1ELb0ELb0ELb1ELb0ELb1ELb1EEEvPK12hip_bfloat16S3_S3_PKfS5_PKvPS1_S8_PvPKiSB_iiiiilll: ; @_ZN12_GLOBAL__N_139chunk_gated_delta_rule_fwd_h_hip_kernelILi64ELb0ELb1ELb0ELb0ELb1ELb0ELb1ELb1EEEvPK12hip_bfloat16S3_S3_PKfS5_PKvPS1_S8_PvPKiSB_iiiiilll
; %bb.0:
	s_load_dwordx4 s[12:15], s[0:1], 0x5c
	s_load_dwordx4 s[16:19], s[0:1], 0x70
	s_abs_i32 s22, s3
	s_ashr_i32 s21, s3, 31
	s_load_dwordx8 s[4:11], s[0:1], 0x0
	s_waitcnt lgkmcnt(0)
	s_abs_i32 s20, s13
	v_cvt_f32_u32_e32 v1, s20
	s_sub_i32 s24, 0, s20
	s_ashr_i32 s23, s13, 31
	s_xor_b32 s21, s21, s23
	v_rcp_iflag_f32_e32 v1, v1
	s_load_dwordx2 s[28:29], s[0:1], 0x40
	s_load_dwordx2 s[36:37], s[0:1], 0x30
	;; [unrolled: 1-line block ×3, first 2 shown]
	v_lshrrev_b32_e32 v72, 6, v0
	v_mul_f32_e32 v1, 0x4f7ffffe, v1
	v_cvt_u32_f32_e32 v1, v1
	v_bfe_u32 v75, v0, 4, 2
	s_mov_b32 s0, 0
	v_lshlrev_b32_e32 v73, 4, v72
	v_readfirstlane_b32 s25, v1
	s_mul_i32 s24, s24, s25
	s_mul_hi_u32 s24, s25, s24
	s_add_i32 s25, s25, s24
	s_mul_hi_u32 s24, s22, s25
	s_mul_i32 s25, s24, s20
	s_sub_i32 s22, s22, s25
	s_add_i32 s26, s24, 1
	s_sub_i32 s25, s22, s20
	s_cmp_ge_u32 s22, s20
	s_cselect_b32 s24, s26, s24
	s_cselect_b32 s22, s25, s22
	s_add_i32 s25, s24, 1
	s_cmp_ge_u32 s22, s20
	s_cselect_b32 s22, s25, s24
	s_xor_b32 s22, s22, s21
	s_sub_i32 s47, s22, s21
	s_abs_i32 s22, s14
	v_cvt_f32_u32_e32 v1, s22
	s_mul_i32 s45, s47, s13
	s_sub_i32 s33, s3, s45
	s_add_i32 s3, s12, 63
	v_rcp_iflag_f32_e32 v1, v1
	s_ashr_i32 s21, s3, 31
	s_lshr_b32 s21, s21, 26
	s_ashr_i32 s46, s12, 31
	v_mul_f32_e32 v1, 0x4f7ffffe, v1
	v_cvt_u32_f32_e32 v1, v1
	s_add_i32 s3, s3, s21
	s_lshr_b32 s21, s46, 26
	s_add_i32 s21, s12, s21
	s_ashr_i32 s49, s14, 31
	s_ashr_i32 s48, s21, 6
	s_xor_b32 s21, s23, s49
	s_sub_i32 s23, 0, s22
	v_readfirstlane_b32 s24, v1
	s_mul_i32 s23, s23, s24
	s_mul_hi_u32 s23, s24, s23
	s_add_i32 s24, s24, s23
	s_mul_hi_u32 s23, s20, s24
	s_mul_i32 s24, s23, s22
	s_sub_i32 s20, s20, s24
	s_ashr_i32 s3, s3, 6
	s_add_i32 s24, s23, 1
	s_sub_i32 s25, s20, s22
	s_cmp_ge_u32 s20, s22
	s_cselect_b32 s23, s24, s23
	s_cselect_b32 s20, s25, s20
	s_add_i32 s24, s23, 1
	s_cmp_ge_u32 s20, s22
	s_cselect_b32 s20, s24, s23
	s_xor_b32 s20, s20, s21
	s_sub_i32 s20, s20, s21
	s_abs_i32 s21, s20
	v_cvt_f32_u32_e32 v1, s21
	s_sub_i32 s22, 0, s21
	s_xor_b32 s1, s33, s20
	s_abs_i32 s20, s33
	v_rcp_iflag_f32_e32 v1, v1
	s_ashr_i32 s1, s1, 31
	v_lshlrev_b32_e32 v2, 2, v75
	v_and_b32_e32 v74, 63, v0
	v_mul_f32_e32 v1, 0x4f7ffffe, v1
	v_cvt_u32_f32_e32 v1, v1
	s_mul_i32 s50, s47, s3
	v_and_b32_e32 v76, 15, v0
	s_mul_hi_i32 s51, s47, s13
	v_readfirstlane_b32 s23, v1
	s_mul_i32 s22, s22, s23
	s_mul_hi_u32 s22, s23, s22
	s_add_i32 s23, s23, s22
	s_mul_hi_u32 s22, s20, s23
	s_mul_i32 s23, s22, s21
	s_sub_i32 s20, s20, s23
	s_add_i32 s23, s22, 1
	s_sub_i32 s24, s20, s21
	s_cmp_ge_u32 s20, s21
	s_cselect_b32 s22, s23, s22
	s_cselect_b32 s20, s24, s20
	s_add_i32 s23, s22, 1
	s_cmp_ge_u32 s20, s21
	s_cselect_b32 s20, s23, s22
	s_xor_b32 s20, s20, s1
	s_sub_i32 s52, s20, s1
	v_or_b32_e32 v1, v2, v73
	s_lshl_b32 s2, s2, 6
	s_mov_b32 s1, s0
	v_or_b32_e32 v79, 64, v1
	s_cmp_lt_i32 s12, 64
	v_mov_b64_e32 v[34:35], s[0:1]
	v_lshrrev_b32_e32 v78, 3, v74
	v_lshlrev_b32_e32 v77, 3, v0
	s_mul_i32 s17, s47, s17
	s_mul_hi_u32 s44, s47, s16
	s_mul_i32 s34, s47, s16
	v_mov_b64_e32 v[36:37], s[0:1]
	v_mov_b64_e32 v[40:41], s[0:1]
	;; [unrolled: 1-line block ×15, first 2 shown]
	s_cbranch_scc1 .LBB46_17
; %bb.1:
	s_ashr_i32 s3, s47, 31
	s_ashr_i32 s54, s33, 31
	s_add_u32 s0, s45, s33
	s_addc_u32 s1, s51, s54
	s_mul_i32 s1, s12, s1
	s_mul_hi_u32 s20, s12, s0
	s_add_i32 s39, s20, s1
	s_mul_i32 s38, s12, s0
	s_lshl_b64 s[0:1], s[38:39], 8
	v_and_b32_e32 v81, 56, v77
	s_add_u32 s20, s6, s0
	v_lshl_or_b32 v80, v72, 3, v78
	v_lshlrev_b32_e32 v3, 1, v81
	s_addc_u32 s0, s7, s1
	v_lshl_or_b32 v82, v80, 8, v3
	s_and_b32 s21, s0, 0xffff
	s_mov_b32 s23, 0x20000
	s_movk_i32 s22, 0x4000
	s_movk_i32 s0, 0x80
	v_or_b32_e32 v83, 0x2000, v82
	buffer_load_dwordx4 v[4:7], v82, s[20:23], 0 offen
	buffer_load_dwordx4 v[8:11], v82, s[20:23], s0 offen
	;; [unrolled: 1-line block ×4, first 2 shown]
	v_lshlrev_b32_e32 v20, 3, v80
	v_and_or_b32 v22, v0, 7, v20
	v_and_b32_e32 v20, 0x78, v20
	v_lshlrev_b32_e32 v22, 4, v22
	v_xor_b32_e32 v84, v22, v20
	v_mul_lo_u32 v21, v80, s15
	v_or_b32_e32 v85, 0x1000, v84
	s_cmpk_eq_i32 s15, 0x80
	s_mov_b32 s53, s14
	v_xor_b32_e32 v20, 8, v84
	v_xor_b32_e32 v22, 8, v85
	s_cselect_b64 s[0:1], -1, 0
	s_cmpk_lg_i32 s15, 0x80
	s_waitcnt vmcnt(3)
	ds_write_b64 v84, v[4:5] offset:49152
	ds_write_b64 v20, v[6:7] offset:49152
	s_waitcnt vmcnt(2)
	ds_write_b64 v84, v[8:9] offset:57344
	ds_write_b64 v20, v[10:11] offset:57344
	;; [unrolled: 3-line block ×4, first 2 shown]
	v_lshl_add_u32 v4, v21, 1, v81
	s_cbranch_scc0 .LBB46_3
; %bb.2:
	v_lshlrev_b32_e32 v6, 1, v4
	v_add_lshl_u32 v5, v4, s15, 1
	s_lshl_b32 s22, s15, 7
	v_lshl_or_b32 v3, v80, 9, v3
	s_cbranch_execz .LBB46_4
	s_branch .LBB46_5
.LBB46_3:
                                        ; implicit-def: $vgpr5
                                        ; implicit-def: $vgpr6
                                        ; implicit-def: $sgpr22
	v_lshl_or_b32 v3, v80, 9, v3
.LBB46_4:
	v_or_b32_e32 v5, 0x100, v3
	s_movk_i32 s22, 0x4000
	v_mov_b32_e32 v6, v3
.LBB46_5:
	s_mul_hi_u32 s20, s14, s12
	s_mul_i32 s21, s49, s12
	s_add_i32 s20, s20, s21
	s_mul_i32 s21, s14, s12
	s_mul_i32 s23, s21, s3
	s_mul_hi_u32 s24, s21, s47
	s_add_i32 s23, s24, s23
	s_mul_i32 s20, s20, s47
	s_add_i32 s23, s23, s20
	s_mul_i32 s21, s21, s47
	s_ashr_i32 s55, s52, 31
	s_add_u32 s20, s21, s52
	s_addc_u32 s21, s23, s55
	s_lshl_b64 s[20:21], s[20:21], 8
	s_add_u32 s20, s4, s20
	s_addc_u32 s21, s5, s21
	s_and_b32 s21, s21, 0xffff
	s_mov_b32 s23, 0x20000
	s_movk_i32 s56, 0x80
	buffer_load_dwordx4 v[8:11], v6, s[20:23], 0 offen
	buffer_load_dwordx4 v[12:15], v6, s[20:23], s56 offen
	;; [unrolled: 1-line block ×4, first 2 shown]
	v_and_b32_e32 v5, 6, v0
	v_lshlrev_b32_e32 v6, 7, v1
	v_xor_b32_e32 v27, v80, v5
	v_and_b32_e32 v7, 1, v0
	v_lshl_or_b32 v30, v76, 3, v6
	v_lshlrev_b32_e32 v27, 2, v27
	v_or_b32_e32 v86, 0x4000, v30
	v_or_b32_e32 v87, 0x6000, v30
	v_xor_b32_e32 v30, 0x440, v27
	v_cmp_eq_u32_e32 vcc, 0, v7
	v_lshlrev_b32_e32 v24, 2, v76
	s_mov_b32 s58, 0x1000504
	v_cndmask_b32_e32 v7, v30, v27, vcc
	v_xor_b32_e32 v28, v1, v24
	v_xor_b32_e32 v29, v79, v24
	v_lshl_or_b32 v5, v5, 10, v7
	s_mov_b32 s59, 0x3020706
	s_mul_i32 s20, s3, s12
	s_mul_hi_u32 s21, s47, s12
	v_lshlrev_b32_e32 v25, 8, v76
	v_or_b32_e32 v26, 16, v76
	v_lshlrev_b32_e32 v28, 1, v28
	v_lshlrev_b32_e32 v29, 1, v29
	v_xor_b32_e32 v7, 8, v5
	v_xor_b32_e32 v27, 24, v5
	;; [unrolled: 1-line block ×4, first 2 shown]
	v_or_b32_e32 v89, v25, v28
	v_or_b32_e32 v90, v25, v29
	v_xor_b32_e32 v25, 16, v5
	v_xor_b32_e32 v30, 32, v5
	;; [unrolled: 1-line block ×3, first 2 shown]
	v_add_u32_e32 v7, 0x80, v7
	v_add_u32_e32 v27, 0x80, v27
	;; [unrolled: 1-line block ×4, first 2 shown]
	s_add_i32 s61, s21, s20
	s_add_i32 s20, s44, s17
	s_mul_i32 s3, s3, s16
	s_add_i32 s35, s20, s3
	s_mul_i32 s3, s33, s19
	s_mul_hi_u32 s20, s33, s18
	s_add_i32 s3, s20, s3
	s_mul_i32 s20, s54, s18
	s_add_i32 s21, s3, s20
	s_lshl_b64 s[24:25], s[34:35], 2
	s_mul_i32 s20, s33, s18
	s_add_u32 s3, s10, s24
	s_addc_u32 s24, s11, s25
	s_lshl_b64 s[20:21], s[20:21], 2
	s_add_u32 s40, s3, s20
	s_movk_i32 s3, 0xf8
	s_addc_u32 s41, s24, s21
	s_lshl_b32 s26, s15, 7
	s_movk_i32 s24, 0x100
	v_mov_b32_e32 v67, 0
	v_lshlrev_b32_e32 v66, 4, v76
	v_cmp_gt_u32_e32 vcc, s24, v0
	v_lshl_or_b32 v31, v26, 3, v6
	s_mov_b32 s57, 0
	s_mul_i32 s60, s47, s12
	v_or_b32_e32 v88, 0x4000, v31
	s_movk_i32 s22, 0x4000
	v_or_b32_e32 v91, 0x6000, v31
	v_add_u32_e32 v126, v73, v2
	s_movk_i32 s35, 0x2000
	s_movk_i32 s62, 0x3000
	s_mov_b32 s64, 0
	v_mov_b32_e32 v62, v67
	v_mov_b32_e32 v63, v67
	;; [unrolled: 1-line block ×10, first 2 shown]
	s_waitcnt vmcnt(1)
	v_perm_b32 v35, v8, v16, s58
	s_waitcnt vmcnt(0)
	v_perm_b32 v36, v12, v20, s58
	v_perm_b32 v8, v8, v16, s59
	;; [unrolled: 1-line block ×15, first 2 shown]
	ds_write2st64_b32 v5, v35, v36 offset0:128 offset1:160
	ds_write2st64_b32 v7, v8, v12 offset0:128 offset1:160
	;; [unrolled: 1-line block ×8, first 2 shown]
	v_lshlrev_b32_e32 v5, 8, v26
	v_or_b32_e32 v92, v5, v28
	v_or_b32_e32 v93, v5, v29
	;; [unrolled: 1-line block ×3, first 2 shown]
	v_lshl_or_b32 v7, v5, 3, v6
	v_lshlrev_b32_e32 v5, 8, v5
	v_or_b32_e32 v96, v5, v28
	v_or_b32_e32 v97, v5, v29
	;; [unrolled: 1-line block ×5, first 2 shown]
	v_lshl_or_b32 v7, v5, 3, v6
	v_lshlrev_b32_e32 v5, 8, v5
	v_or_b32_e32 v100, v5, v28
	v_or_b32_e32 v101, v5, v29
	;; [unrolled: 1-line block ×3, first 2 shown]
	v_lshlrev_b32_e32 v5, 3, v5
	v_lshrrev_b32_e32 v9, 5, v74
	v_and_or_b32 v9, v5, s3, v9
	v_lshlrev_b32_e32 v9, 4, v9
	v_or_b32_e32 v98, 0x4000, v7
	v_or_b32_e32 v99, 0x6000, v7
	v_lshlrev_b32_e32 v7, 11, v72
	v_and_b32_e32 v5, 0x78, v5
	v_or_b32_e32 v14, 32, v9
	v_and_b32_e32 v8, 0x1000, v7
	v_xor_b32_e32 v10, v9, v5
	v_lshrrev_b32_e32 v11, 1, v0
	v_xor_b32_e32 v14, v14, v5
	v_or_b32_e32 v10, v10, v8
	v_and_b32_e32 v12, 8, v11
	v_or_b32_e32 v14, v14, v8
	v_xor_b32_e32 v102, v10, v12
	v_lshlrev_b32_e32 v10, 8, v75
	v_xor_b32_e32 v104, v14, v12
	v_or_b32_e32 v14, 64, v9
	v_or_b32_e32 v9, 0x60, v9
	;; [unrolled: 1-line block ×3, first 2 shown]
	v_xor_b32_e32 v14, v14, v5
	v_xor_b32_e32 v5, v9, v5
	s_ashr_i32 s3, s2, 31
	v_lshlrev_b32_e32 v13, 1, v13
	v_or_b32_e32 v14, v14, v8
	v_or_b32_e32 v5, v5, v8
	s_lshl_b64 s[20:21], s[2:3], 8
	v_or_b32_e32 v103, 0x4000, v13
	v_or_b32_e32 v105, 0x4080, v13
	;; [unrolled: 1-line block ×4, first 2 shown]
	v_xor_b32_e32 v108, v14, v12
	v_xor_b32_e32 v109, v5, v12
	v_or_b32_e32 v110, 0x6000, v13
	v_or_b32_e32 v111, 0x6080, v13
	;; [unrolled: 1-line block ×4, first 2 shown]
	v_lshlrev_b32_e32 v12, 1, v4
	v_add_lshl_u32 v13, v4, s15, 1
	s_waitcnt lgkmcnt(0)
	s_add_u32 s20, s36, s20
	v_lshlrev_b32_e32 v4, 1, v76
	v_lshrrev_b32_e32 v15, 4, v0
	s_addc_u32 s21, s37, s21
	v_or_b32_e32 v5, 1, v4
	v_mov_b32_e32 v19, 0xa000
	v_mov_b32_e32 v20, 0x8000
	v_xor_b32_e32 v16, v15, v4
	v_xor_b32_e32 v17, v5, v15
	v_lshl_add_u64 v[4:5], s[20:21], 0, v[66:67]
	v_lshlrev_b32_e32 v66, 8, v15
	v_cndmask_b32_e32 v19, v19, v20, vcc
	v_lshlrev_b32_e32 v20, 3, v72
	v_and_b32_e32 v11, 24, v11
	v_lshl_or_b32 v114, v16, 3, v66
	v_and_b32_e32 v16, 8, v0
	v_xor_b32_e32 v21, v20, v11
	v_or_b32_e32 v22, 0x440, v21
	v_cmp_eq_u32_e32 vcc, 0, v16
	v_and_b32_e32 v15, 7, v0
	v_lshl_or_b32 v115, v17, 3, v66
	v_cndmask_b32_e32 v16, v22, v21, vcc
	v_lshlrev_b32_e32 v17, 3, v15
	v_lshlrev_b32_e32 v15, 7, v15
	v_or_b32_e32 v16, v16, v7
	v_lshlrev_b32_e32 v18, 2, v0
	v_xad_u32 v116, v16, v17, v15
	v_or_b32_e32 v16, 32, v11
	v_and_or_b32 v10, v18, 60, v10
	v_xor_b32_e32 v16, v20, v16
	v_lshlrev_b32_e32 v10, 1, v10
	v_or_b32_e32 v18, 0x440, v16
	v_or_b32_e32 v117, 0x6000, v10
	v_cndmask_b32_e32 v16, v18, v16, vcc
	v_or_b32_e32 v119, 0x6080, v10
	v_or_b32_e32 v120, 0x6100, v10
	;; [unrolled: 1-line block ×5, first 2 shown]
	v_xor_b32_e32 v10, v20, v10
	v_xad_u32 v118, v16, v17, v15
	v_xor_b32_e32 v16, 0x440, v10
	v_cndmask_b32_e32 v10, v16, v10, vcc
	v_or_b32_e32 v10, v10, v7
	v_xad_u32 v122, v10, v17, v15
	v_or_b32_e32 v10, 0x60, v11
	v_xor_b32_e32 v10, v20, v10
	v_xor_b32_e32 v11, 0x440, v10
	v_cndmask_b32_e32 v10, v11, v10, vcc
	v_or_b32_e32 v8, s2, v76
	v_or_b32_e32 v7, v10, v7
	v_ashrrev_i32_e32 v9, 31, v8
	v_or_b32_e32 v14, 0x100, v3
	v_xad_u32 v123, v7, v17, v15
	v_cndmask_b32_e64 v124, v12, v3, s[0:1]
	v_cndmask_b32_e64 v125, v13, v14, s[0:1]
	v_lshl_add_u64 v[68:69], v[8:9], 1, s[8:9]
	v_lshl_add_u64 v[70:71], v[4:5], 0, v[66:67]
	s_mov_b32 s3, 0x7060302
	v_lshlrev_b32_e32 v66, 1, v6
	v_add_u32_e32 v127, v19, v116
	v_add_u32_e32 v128, v19, v118
	;; [unrolled: 1-line block ×4, first 2 shown]
	v_mov_b32_e32 v56, v67
	v_mov_b32_e32 v57, v67
	;; [unrolled: 1-line block ×22, first 2 shown]
	s_barrier
	s_branch .LBB46_7
.LBB46_6:                               ;   in Loop: Header=BB46_7 Depth=1
	v_exp_f32_e32 v132, s20
	v_accvgpr_read_b32 v5, a3
	v_accvgpr_read_b32 v9, a7
	;; [unrolled: 1-line block ×4, first 2 shown]
	s_waitcnt vmcnt(4)
	v_accvgpr_read_b32 v18, a20
	v_accvgpr_read_b32 v25, a19
	;; [unrolled: 1-line block ×28, first 2 shown]
	s_add_i32 s57, s57, 64
	v_pk_fma_f32 v[62:63], v[132:133], v[62:63], v[2:3] op_sel_hi:[0,1,1]
	v_pk_fma_f32 v[64:65], v[132:133], v[64:65], v[4:5] op_sel_hi:[0,1,1]
	v_pk_fma_f32 v[54:55], v[132:133], v[54:55], v[6:7] op_sel_hi:[0,1,1]
	v_pk_fma_f32 v[56:57], v[132:133], v[56:57], v[8:9] op_sel_hi:[0,1,1]
	v_pk_fma_f32 v[46:47], v[132:133], v[46:47], v[10:11] op_sel_hi:[0,1,1]
	v_pk_fma_f32 v[48:49], v[132:133], v[48:49], v[12:13] op_sel_hi:[0,1,1]
	v_pk_fma_f32 v[38:39], v[132:133], v[38:39], v[14:15] op_sel_hi:[0,1,1]
	v_pk_fma_f32 v[40:41], v[132:133], v[40:41], v[16:17] op_sel_hi:[0,1,1]
	v_pk_fma_f32 v[58:59], v[132:133], v[58:59], v[18:19] op_sel_hi:[0,1,1]
	v_pk_fma_f32 v[60:61], v[132:133], v[60:61], v[20:21] op_sel_hi:[0,1,1]
	v_pk_fma_f32 v[50:51], v[132:133], v[50:51], v[22:23] op_sel_hi:[0,1,1]
	v_pk_fma_f32 v[52:53], v[132:133], v[52:53], v[24:25] op_sel_hi:[0,1,1]
	v_pk_fma_f32 v[42:43], v[132:133], v[42:43], v[26:27] op_sel_hi:[0,1,1]
	v_pk_fma_f32 v[44:45], v[132:133], v[44:45], v[28:29] op_sel_hi:[0,1,1]
	v_pk_fma_f32 v[36:37], v[132:133], v[36:37], v[30:31] op_sel_hi:[0,1,1]
	v_pk_fma_f32 v[34:35], v[132:133], v[34:35], v[32:33] op_sel_hi:[0,1,1]
	s_cmp_eq_u32 s48, s63
	s_mov_b32 s64, s63
	s_cbranch_scc1 .LBB46_17
.LBB46_7:                               ; =>This Inner Loop Header: Depth=1
	s_add_i32 s63, s64, 1
	s_cmp_lt_i32 s63, s48
	s_mov_b64 s[24:25], 0
	s_cselect_b64 s[42:43], -1, 0
	s_cmp_ge_i32 s63, s48
	s_mov_b64 s[20:21], 0
	s_cbranch_scc1 .LBB46_9
; %bb.8:                                ;   in Loop: Header=BB46_7 Depth=1
	s_add_i32 s0, s57, 64
	s_add_u32 s0, s38, s0
	s_addc_u32 s1, s39, 0
	s_lshl_b64 s[0:1], s[0:1], 8
	s_add_u32 s20, s6, s0
	s_addc_u32 s21, s7, s1
.LBB46_9:                               ;   in Loop: Header=BB46_7 Depth=1
	v_cndmask_b32_e64 v2, 0, 1, s[42:43]
	v_cmp_ne_u32_e64 s[0:1], 1, v2
	s_andn2_b64 vcc, exec, s[42:43]
	s_cbranch_vccnz .LBB46_11
; %bb.10:                               ;   in Loop: Header=BB46_7 Depth=1
	s_add_i32 s24, s57, 64
	s_add_u32 s24, s60, s24
	s_addc_u32 s25, s61, 0
	s_mul_i32 s27, s24, s49
	s_mul_hi_u32 s42, s24, s53
	s_add_i32 s27, s42, s27
	s_mul_i32 s25, s25, s53
	s_add_i32 s27, s27, s25
	s_mul_i32 s24, s24, s53
	s_add_u32 s24, s24, s52
	s_addc_u32 s25, s27, s55
	s_lshl_b64 s[24:25], s[24:25], 8
	s_add_u32 s24, s4, s24
	s_addc_u32 s25, s5, s25
.LBB46_11:                              ;   in Loop: Header=BB46_7 Depth=1
	v_perm_b32 v3, v65, v64, s3
	v_perm_b32 v2, v63, v62, s3
	v_perm_b32 v5, v61, v60, s3
	v_perm_b32 v4, v59, v58, s3
	ds_write_b64 v86, v[2:3]
	ds_write_b64 v87, v[4:5]
	ds_write_b64 v89, v[2:3]
	ds_write_b64 v90, v[4:5]
	v_perm_b32 v3, v57, v56, s3
	v_perm_b32 v2, v55, v54, s3
	v_perm_b32 v5, v53, v52, s3
	v_perm_b32 v4, v51, v50, s3
	ds_write_b64 v88, v[2:3]
	ds_write_b64 v91, v[4:5]
	ds_write_b64 v92, v[2:3]
	ds_write_b64 v93, v[4:5]
	;; [unrolled: 8-line block ×4, first 2 shown]
	s_waitcnt lgkmcnt(0)
	s_barrier
	ds_read_b64 v[6:7], v102 offset:49152
	ds_read2_b64 v[2:5], v103 offset1:16
	ds_read_b64 v[18:19], v105 offset:6144
	ds_read_b64 v[20:21], v103 offset:6144
	s_waitcnt lgkmcnt(2)
	v_mfma_f32_16x16x16_bf16 a[0:3], v[6:7], v[2:3], 0
	ds_read_b64 v[22:23], v104 offset:49152
	ds_read2st64_b64 v[10:13], v106 offset0:4 offset1:8
	ds_read2st64_b64 v[14:17], v107 offset0:4 offset1:8
	v_mfma_f32_16x16x16_bf16 a[4:7], v[6:7], v[4:5], 0
	ds_read2_b64 v[2:5], v103 offset0:32 offset1:48
	s_add_i32 s27, s57, 63
	s_mul_i32 s42, s27, s31
	s_waitcnt lgkmcnt(0)
	v_mfma_f32_16x16x16_bf16 a[8:11], v[6:7], v[2:3], 0
	s_mul_hi_u32 s43, s27, s30
	s_add_i32 s43, s43, s42
	s_mul_i32 s42, s27, s30
	v_mfma_f32_16x16x16_bf16 a[12:15], v[6:7], v[4:5], 0
	ds_read2st64_b64 v[2:5], v103 offset0:4 offset1:8
	ds_read2st64_b64 v[6:9], v105 offset0:4 offset1:8
	s_lshl_b64 s[42:43], s[42:43], 2
	s_waitcnt lgkmcnt(1)
	v_mfma_f32_16x16x16_bf16 a[0:3], v[22:23], v[2:3], a[0:3]
	s_add_u32 s42, s40, s42
	s_addc_u32 s43, s41, s43
	s_and_b64 vcc, exec, s[0:1]
	s_waitcnt lgkmcnt(0)
	v_mfma_f32_16x16x16_bf16 a[4:7], v[22:23], v[6:7], a[4:7]
	v_mov_b32_e32 v133, 0
	v_mov_b32_e32 v132, 0
	;; [unrolled: 1-line block ×3, first 2 shown]
	v_mfma_f32_16x16x16_bf16 a[8:11], v[22:23], v[10:11], a[8:11]
	ds_read_b64 v[2:3], v108 offset:49152
	ds_read_b64 v[6:7], v109 offset:49152
	;; [unrolled: 1-line block ×3, first 2 shown]
	v_mfma_f32_16x16x16_bf16 a[12:15], v[22:23], v[14:15], a[12:15]
	v_mov_b32_e32 v14, 0
	v_mov_b32_e32 v15, 0
	s_waitcnt lgkmcnt(2)
	v_mfma_f32_16x16x16_bf16 a[0:3], v[2:3], v[4:5], a[0:3]
	v_mov_b32_e32 v4, 0
	v_mov_b32_e32 v5, 0
	v_mfma_f32_16x16x16_bf16 a[16:19], v[2:3], v[8:9], a[4:7]
	v_mov_b32_e32 v8, 0
	v_mov_b32_e32 v9, 0
	v_mfma_f32_16x16x16_bf16 a[20:23], v[2:3], v[12:13], a[8:11]
	v_mov_b32_e32 v12, 0
	v_mov_b32_e32 v13, 0
	v_mfma_f32_16x16x16_bf16 a[24:27], v[2:3], v[16:17], a[12:15]
	ds_read_b64 v[2:3], v106 offset:6144
	v_mov_b32_e32 v16, 0
	v_mov_b32_e32 v17, 0
	s_waitcnt lgkmcnt(2)
	v_mfma_f32_16x16x16_bf16 a[4:7], v[6:7], v[20:21], a[0:3]
	v_mfma_f32_16x16x16_bf16 a[8:11], v[6:7], v[18:19], a[16:19]
	s_waitcnt lgkmcnt(0)
	v_mfma_f32_16x16x16_bf16 a[12:15], v[6:7], v[2:3], a[20:23]
	v_mov_b32_e32 v2, 0
	v_mov_b32_e32 v3, 0
	v_mfma_f32_16x16x16_bf16 a[0:3], v[6:7], v[10:11], a[24:27]
	v_mov_b32_e32 v6, 0
	v_mov_b32_e32 v7, 0
	;; [unrolled: 1-line block ×4, first 2 shown]
	s_cbranch_vccnz .LBB46_13
; %bb.12:                               ;   in Loop: Header=BB46_7 Depth=1
	s_and_b32 s21, s21, 0xffff
	buffer_load_dwordx4 v[14:17], v82, s[20:23], 0 offen
	buffer_load_dwordx4 v[10:13], v82, s[20:23], s56 offen
	buffer_load_dwordx4 v[6:9], v83, s[20:23], 0 offen
	buffer_load_dwordx4 v[2:5], v83, s[20:23], s56 offen
	v_mov_b32_e32 v132, v84
	v_mov_b32_e32 v131, v85
.LBB46_13:                              ;   in Loop: Header=BB46_7 Depth=1
	ds_read_b64 v[134:135], v102 offset:57344
	ds_read2_b64 v[18:21], v110 offset1:16
	ds_read_b64 v[136:137], v104 offset:57344
	ds_read_b64 v[138:139], v108 offset:57344
	;; [unrolled: 1-line block ×3, first 2 shown]
	v_add_u32_e32 v142, s57, v126
	s_waitcnt lgkmcnt(3)
	v_mfma_f32_16x16x16_bf16 a[4:7], v[134:135], v[18:19], a[4:7]
	v_mfma_f32_16x16x16_bf16 a[8:11], v[134:135], v[20:21], a[8:11]
	ds_read2_b64 v[18:21], v110 offset0:32 offset1:48
	ds_read2st64_b64 v[22:25], v110 offset0:4 offset1:8
	ds_read2st64_b64 v[26:29], v111 offset0:4 offset1:8
	;; [unrolled: 1-line block ×3, first 2 shown]
	s_waitcnt lgkmcnt(3)
	v_mfma_f32_16x16x16_bf16 a[12:15], v[134:135], v[18:19], a[12:15]
	v_ashrrev_i32_e32 v18, 31, v142
	v_mfma_f32_16x16x16_bf16 a[0:3], v[134:135], v[20:21], a[0:3]
	v_mul_lo_u32 v20, v18, s30
	v_mul_lo_u32 v21, v142, s31
	v_mad_u64_u32 v[18:19], s[20:21], v142, s30, 0
	v_add3_u32 v19, v19, v21, v20
	v_add_u32_e32 v20, 1, v142
	v_ashrrev_i32_e32 v21, 31, v20
	s_waitcnt lgkmcnt(2)
	v_mfma_f32_16x16x16_bf16 a[4:7], v[136:137], v[22:23], a[4:7]
	v_mul_lo_u32 v22, v21, s30
	v_mul_lo_u32 v23, v20, s31
	v_mad_u64_u32 v[20:21], s[20:21], v20, s30, 0
	v_add3_u32 v21, v21, v23, v22
	v_add_u32_e32 v22, 2, v142
	v_ashrrev_i32_e32 v23, 31, v22
	s_waitcnt lgkmcnt(1)
	v_mfma_f32_16x16x16_bf16 a[8:11], v[136:137], v[26:27], a[8:11]
	v_mul_lo_u32 v26, v23, s30
	v_mul_lo_u32 v27, v22, s31
	v_mad_u64_u32 v[22:23], s[20:21], v22, s30, 0
	v_add3_u32 v23, v23, v27, v26
	v_add_u32_e32 v26, 3, v142
	v_ashrrev_i32_e32 v27, 31, v26
	v_mul_lo_u32 v134, v27, s30
	v_mul_lo_u32 v135, v26, s31
	v_mad_u64_u32 v[26:27], s[20:21], v26, s30, 0
	s_add_u32 s20, s38, s57
	s_addc_u32 s21, s39, 0
	v_lshl_add_u64 v[18:19], v[18:19], 2, s[40:41]
	v_add3_u32 v27, v27, v135, v134
	s_lshl_b64 s[20:21], s[20:21], 8
	v_lshl_add_u64 v[20:21], v[20:21], 2, s[40:41]
	v_lshl_add_u64 v[22:23], v[22:23], 2, s[40:41]
	;; [unrolled: 1-line block ×3, first 2 shown]
	global_load_dword v134, v[18:19], off
	global_load_dword v135, v[20:21], off
	;; [unrolled: 1-line block ×4, first 2 shown]
	v_lshl_add_u64 v[18:19], v[68:69], 0, s[20:21]
	v_lshl_add_u64 v[22:23], v[18:19], 0, v[66:67]
	global_load_ushort v144, v[22:23], off offset:256
	global_load_ushort v145, v[22:23], off
	ds_read2st64_b64 v[18:21], v113 offset0:4 offset1:8
	global_load_ushort v146, v[22:23], off offset:768
	global_load_ushort v147, v[22:23], off offset:512
	s_waitcnt lgkmcnt(1)
	v_mfma_f32_16x16x16_bf16 a[12:15], v[136:137], v[30:31], a[12:15]
	s_and_b64 vcc, exec, s[0:1]
	s_waitcnt vmcnt(3)
	v_lshlrev_b32_e32 v31, 16, v144
	s_waitcnt lgkmcnt(0)
	v_mfma_f32_16x16x16_bf16 a[0:3], v[136:137], v[18:19], a[0:3]
	global_load_ushort v136, v[22:23], off offset:288
	global_load_ushort v137, v[22:23], off offset:32
	;; [unrolled: 1-line block ×8, first 2 shown]
	v_mfma_f32_16x16x16_bf16 a[4:7], v[138:139], v[24:25], a[4:7]
	ds_read_b64 v[18:19], v110 offset:6144
	s_waitcnt vmcnt(10)
	v_lshlrev_b32_e32 v30, 16, v145
	v_mfma_f32_16x16x16_bf16 a[8:11], v[138:139], v[28:29], a[8:11]
	v_mfma_f32_16x16x16_bf16 a[12:15], v[138:139], v[32:33], a[12:15]
	;; [unrolled: 1-line block ×3, first 2 shown]
	global_load_ushort v138, v[22:23], off offset:352
	global_load_ushort v139, v[22:23], off offset:96
	ds_read_b64 v[20:21], v111 offset:6144
	ds_read_b64 v[24:25], v112 offset:6144
	;; [unrolled: 1-line block ×3, first 2 shown]
	global_load_ushort v154, v[22:23], off offset:864
	global_load_ushort v155, v[22:23], off offset:608
	s_load_dword s20, s[42:43], 0x0
	s_waitcnt lgkmcnt(0)
	v_mfma_f32_16x16x16_bf16 a[4:7], v[140:141], v[18:19], a[4:7]
	v_sub_f32_e32 v28, s20, v142
	v_mfma_f32_16x16x16_bf16 a[0:3], v[140:141], v[26:27], a[0:3]
	v_sub_f32_e32 v26, s20, v134
	v_sub_f32_e32 v27, s20, v135
	;; [unrolled: 1-line block ×3, first 2 shown]
	v_mfma_f32_16x16x16_bf16 a[8:11], v[140:141], v[20:21], a[8:11]
	v_exp_f32_e32 v26, v26
	v_exp_f32_e32 v27, v27
	;; [unrolled: 1-line block ×4, first 2 shown]
	v_accvgpr_read_b32 v33, a5
	v_accvgpr_read_b32 v32, a4
	;; [unrolled: 1-line block ×4, first 2 shown]
	v_pk_add_f32 v[30:31], v[30:31], v[32:33] neg_lo:[0,1] neg_hi:[0,1]
	s_waitcnt vmcnt(13)
	v_lshlrev_b32_e32 v33, 16, v146
	s_waitcnt vmcnt(12)
	v_lshlrev_b32_e32 v32, 16, v147
	v_pk_add_f32 v[18:19], v[32:33], v[18:19] neg_lo:[0,1] neg_hi:[0,1]
	v_pk_mul_f32 v[30:31], v[26:27], v[30:31]
	v_pk_mul_f32 v[18:19], v[28:29], v[18:19]
	v_accvgpr_read_b32 v33, a9
	v_perm_b32 v19, v19, v18, s3
	v_perm_b32 v18, v31, v30, s3
	v_accvgpr_read_b32 v32, a8
	v_accvgpr_read_b32 v21, a11
	v_mfma_f32_16x16x16_bf16 a[12:15], v[140:141], v[24:25], a[12:15]
	v_accvgpr_read_b32 v20, a10
	v_accvgpr_read_b32 v25, a3
	;; [unrolled: 1-line block ×3, first 2 shown]
	v_mov_b32_e32 v134, 0
	s_waitcnt vmcnt(11)
	v_lshlrev_b32_e32 v31, 16, v136
	s_waitcnt vmcnt(10)
	v_lshlrev_b32_e32 v30, 16, v137
	v_pk_add_f32 v[30:31], v[30:31], v[32:33] neg_lo:[0,1] neg_hi:[0,1]
	s_waitcnt vmcnt(9)
	v_lshlrev_b32_e32 v33, 16, v148
	s_waitcnt vmcnt(8)
	v_lshlrev_b32_e32 v32, 16, v149
	v_pk_add_f32 v[20:21], v[32:33], v[20:21] neg_lo:[0,1] neg_hi:[0,1]
	v_pk_mul_f32 v[30:31], v[26:27], v[30:31]
	v_pk_mul_f32 v[20:21], v[28:29], v[20:21]
	v_accvgpr_read_b32 v23, a15
	v_perm_b32 v21, v21, v20, s3
	v_perm_b32 v20, v31, v30, s3
	ds_write2_b64 v87, v[18:19], v[20:21] offset1:16
	v_accvgpr_read_b32 v21, a13
	s_waitcnt vmcnt(7)
	v_lshlrev_b32_e32 v19, 16, v150
	s_waitcnt vmcnt(6)
	v_lshlrev_b32_e32 v18, 16, v151
	v_accvgpr_read_b32 v20, a12
	v_accvgpr_read_b32 v22, a14
	v_pk_add_f32 v[18:19], v[18:19], v[20:21] neg_lo:[0,1] neg_hi:[0,1]
	s_waitcnt vmcnt(5)
	v_lshlrev_b32_e32 v21, 16, v152
	s_waitcnt vmcnt(4)
	v_lshlrev_b32_e32 v20, 16, v153
	v_pk_add_f32 v[20:21], v[20:21], v[22:23] neg_lo:[0,1] neg_hi:[0,1]
	v_pk_mul_f32 v[18:19], v[26:27], v[18:19]
	v_pk_mul_f32 v[20:21], v[28:29], v[20:21]
	v_accvgpr_read_b32 v23, a1
	v_perm_b32 v21, v21, v20, s3
	v_perm_b32 v20, v19, v18, s3
	s_waitcnt vmcnt(3)
	v_lshlrev_b32_e32 v19, 16, v138
	s_waitcnt vmcnt(2)
	v_lshlrev_b32_e32 v18, 16, v139
	v_accvgpr_read_b32 v22, a0
	v_pk_add_f32 v[18:19], v[18:19], v[22:23] neg_lo:[0,1] neg_hi:[0,1]
	s_waitcnt vmcnt(1)
	v_lshlrev_b32_e32 v23, 16, v154
	s_waitcnt vmcnt(0)
	v_lshlrev_b32_e32 v22, 16, v155
	v_pk_add_f32 v[22:23], v[22:23], v[24:25] neg_lo:[0,1] neg_hi:[0,1]
	v_pk_mul_f32 v[18:19], v[26:27], v[18:19]
	v_pk_mul_f32 v[22:23], v[28:29], v[22:23]
	v_mov_b32_e32 v24, 0
	v_perm_b32 v23, v23, v22, s3
	v_perm_b32 v22, v19, v18, s3
	ds_write2_b64 v87, v[20:21], v[22:23] offset0:32 offset1:48
	v_mov_b32_e32 v18, 0
	v_mov_b32_e32 v19, 0
	;; [unrolled: 1-line block ×15, first 2 shown]
	s_cbranch_vccnz .LBB46_15
; %bb.14:                               ;   in Loop: Header=BB46_7 Depth=1
	s_and_b32 s25, s25, 0xffff
	s_mov_b32 s27, s23
	buffer_load_dwordx4 v[30:33], v124, s[24:27], 0 offen
	buffer_load_dwordx4 v[22:25], v124, s[24:27], s56 offen
	;; [unrolled: 1-line block ×4, first 2 shown]
	v_mov_b32_e32 v133, v81
	v_mov_b32_e32 v134, v80
.LBB46_15:                              ;   in Loop: Header=BB46_7 Depth=1
	s_waitcnt lgkmcnt(0)
	s_barrier
	ds_read_b64 v[144:145], v127
	ds_read2_b64 v[136:139], v117 offset1:16
	ds_read_b64 v[160:161], v128
	ds_read_b64 v[162:163], v129
	;; [unrolled: 1-line block ×3, first 2 shown]
	ds_read2_b64 v[140:143], v117 offset0:32 offset1:48
	s_waitcnt lgkmcnt(4)
	v_mfma_f32_16x16x16_bf16 a[0:3], v[144:145], v[136:137], 0
	ds_read2st64_b64 v[148:151], v119 offset0:4 offset1:8
	ds_read2st64_b64 v[152:155], v120 offset0:4 offset1:8
	;; [unrolled: 1-line block ×3, first 2 shown]
	v_mfma_f32_16x16x16_bf16 a[4:7], v[144:145], v[138:139], 0
	s_add_i32 s21, s50, s64
	s_mul_hi_i32 s25, s21, s13
	s_mul_i32 s21, s21, s13
	s_waitcnt lgkmcnt(3)
	v_mfma_f32_16x16x16_bf16 a[8:11], v[144:145], v[140:141], 0
	s_add_u32 s24, s21, s33
	s_addc_u32 s25, s25, s54
	s_lshl_b64 s[24:25], s[24:25], 15
	v_mfma_f32_16x16x16_bf16 a[12:15], v[144:145], v[142:143], 0
	ds_read2st64_b64 v[144:147], v117 offset0:4 offset1:8
	s_waitcnt lgkmcnt(0)
	v_mfma_f32_16x16x16_bf16 a[0:3], v[160:161], v[144:145], a[0:3]
	v_mfma_f32_16x16x16_bf16 a[4:7], v[160:161], v[148:149], a[4:7]
	;; [unrolled: 1-line block ×8, first 2 shown]
	ds_read_b64 v[160:161], v117 offset:6144
	ds_read_b64 v[162:163], v118 offset:40960
	;; [unrolled: 1-line block ×8, first 2 shown]
	s_waitcnt lgkmcnt(5)
	v_mfma_f32_16x16x16_bf16 a[16:19], v[166:167], v[136:137], 0
	v_mfma_f32_16x16x16_bf16 a[20:23], v[166:167], v[138:139], 0
	ds_read2st64_b64 v[136:139], v114 offset1:8
	v_mfma_f32_16x16x16_bf16 a[24:27], v[166:167], v[140:141], 0
	v_mfma_f32_16x16x16_bf16 a[28:31], v[166:167], v[142:143], 0
	ds_read2st64_b64 v[140:143], v115 offset1:8
	v_mfma_f32_16x16x16_bf16 a[16:19], v[162:163], v[144:145], a[16:19]
	s_waitcnt lgkmcnt(1)
	v_mov_b32_e32 v144, v136
	v_mov_b32_e32 v145, v137
	v_mfma_f32_16x16x16_bf16 a[20:23], v[162:163], v[148:149], a[20:23]
	v_lshl_add_u64 v[148:149], v[70:71], 0, s[24:25]
	v_mfma_f32_16x16x16_bf16 a[24:27], v[162:163], v[152:153], a[24:27]
	v_mfma_f32_16x16x16_bf16 a[28:31], v[162:163], v[156:157], a[28:31]
	;; [unrolled: 1-line block ×3, first 2 shown]
	s_waitcnt lgkmcnt(0)
	v_mov_b32_e32 v146, v140
	v_mov_b32_e32 v147, v141
	v_mov_b32_e32 v140, v138
	v_mfma_f32_16x16x16_bf16 a[32:35], v[174:175], v[150:151], a[20:23]
	v_mov_b32_e32 v141, v139
	ds_read2st64_b64 v[136:139], v114 offset0:16 offset1:24
	global_store_dwordx4 v[148:149], v[144:147], off
	v_mfma_f32_16x16x16_bf16 a[24:27], v[174:175], v[154:155], a[24:27]
	ds_read2st64_b64 v[144:147], v115 offset0:16 offset1:24
	v_add_co_u32_e32 v150, vcc, s35, v148
	v_mfma_f32_16x16x16_bf16 a[28:31], v[174:175], v[158:159], a[28:31]
	s_nop 0
	v_addc_co_u32_e32 v151, vcc, 0, v149, vcc
	global_store_dwordx4 v[150:151], v[140:143], off offset:-4096
	v_mfma_f32_16x16x16_bf16 a[0:3], v[164:165], v[160:161], a[0:3]
	s_waitcnt lgkmcnt(1)
	v_mov_b32_e32 v140, v136
	v_add_co_u32_e32 v136, vcc, s62, v148
	v_mfma_f32_16x16x16_bf16 a[4:7], v[164:165], v[168:169], a[4:7]
	v_mov_b32_e32 v141, v137
	v_addc_co_u32_e32 v137, vcc, 0, v149, vcc
	v_mfma_f32_16x16x16_bf16 a[8:11], v[164:165], v[170:171], a[8:11]
	s_waitcnt lgkmcnt(0)
	v_mov_b32_e32 v142, v144
	v_mov_b32_e32 v143, v145
	v_mov_b32_e32 v144, v138
	v_mfma_f32_16x16x16_bf16 a[12:15], v[164:165], v[172:173], a[12:15]
	v_mov_b32_e32 v145, v139
	s_and_b64 vcc, exec, s[0:1]
	global_store_dwordx4 v[150:151], v[140:143], off
	v_mfma_f32_16x16x16_bf16 a[20:23], v[176:177], v[160:161], a[16:19]
	global_store_dwordx4 v[136:137], v[144:147], off
	v_mfma_f32_16x16x16_bf16 a[16:19], v[176:177], v[168:169], a[32:35]
	v_mfma_f32_16x16x16_bf16 a[24:27], v[176:177], v[170:171], a[24:27]
	;; [unrolled: 1-line block ×3, first 2 shown]
	s_cbranch_vccnz .LBB46_6
; %bb.16:                               ;   in Loop: Header=BB46_7 Depth=1
	v_lshrrev_b32_e32 v135, 3, v133
	v_and_b32_e32 v135, 6, v135
	v_xor_b32_e32 v134, v135, v134
	v_lshlrev_b32_e32 v134, 2, v134
	v_and_b32_e32 v133, 8, v133
	v_xor_b32_e32 v136, 0x440, v134
	v_cmp_eq_u32_e32 vcc, 0, v133
	s_barrier
	s_nop 0
	v_cndmask_b32_e32 v133, v136, v134, vcc
	v_lshl_or_b32 v133, v135, 10, v133
	s_waitcnt vmcnt(5)
	v_perm_b32 v134, v30, v26, s58
	s_waitcnt vmcnt(4)
	v_perm_b32 v135, v22, v18, s58
	ds_write2st64_b32 v133, v134, v135 offset0:128 offset1:160
	v_xor_b32_e32 v134, 8, v133
	v_perm_b32 v26, v30, v26, s59
	v_perm_b32 v18, v22, v18, s59
	v_add_u32_e32 v22, 0x80, v134
	ds_write2st64_b32 v22, v26, v18 offset0:128 offset1:160
	v_xor_b32_e32 v18, 16, v133
	v_perm_b32 v22, v31, v27, s58
	v_perm_b32 v26, v23, v19, s58
	ds_write2st64_b32 v18, v22, v26 offset0:129 offset1:161
	v_xor_b32_e32 v18, 24, v133
	v_perm_b32 v22, v31, v27, s59
	v_perm_b32 v19, v23, v19, s59
	v_add_u32_e32 v18, 0x80, v18
	ds_write2st64_b32 v18, v22, v19 offset0:129 offset1:161
	v_xor_b32_e32 v18, 32, v133
	v_perm_b32 v19, v32, v28, s58
	;; [unrolled: 9-line block ×3, first 2 shown]
	v_perm_b32 v20, v25, v21, s58
	ds_write2st64_b32 v18, v19, v20 offset0:131 offset1:163
	v_xor_b32_e32 v18, 56, v133
	v_perm_b32 v19, v33, v29, s59
	v_perm_b32 v20, v25, v21, s59
	v_add_u32_e32 v18, 0x80, v18
	ds_write2st64_b32 v18, v19, v20 offset0:131 offset1:163
	ds_write_b64 v132, v[14:15] offset:49152
	v_xor_b32_e32 v14, 8, v132
	ds_write_b64 v14, v[16:17] offset:49152
	ds_write_b64 v132, v[10:11] offset:57344
	;; [unrolled: 1-line block ×4, first 2 shown]
	v_xor_b32_e32 v6, 8, v131
	ds_write_b64 v6, v[8:9] offset:49152
	ds_write_b64 v131, v[2:3] offset:57344
	ds_write_b64 v6, v[4:5] offset:57344
	s_branch .LBB46_6
.LBB46_17:
	s_lshl_b32 s42, s48, 6
	s_sub_i32 s43, s12, s42
	s_cmp_gt_i32 s43, 0
	v_or_b32_e32 v18, s2, v76
	s_cbranch_scc1 .LBB46_19
; %bb.18:
	s_ashr_i32 s0, s33, 31
	s_add_u32 s24, s45, s33
	s_addc_u32 s25, s51, s0
	v_or_b32_e32 v2, s2, v76
	s_cbranch_execz .LBB46_20
	s_branch .LBB46_100
.LBB46_19:
                                        ; implicit-def: $sgpr24_sgpr25
                                        ; implicit-def: $vgpr2
.LBB46_20:
	s_ashr_i32 s35, s47, 31
	s_ashr_i32 s3, s42, 31
	s_cmpk_lg_i32 s15, 0x80
	s_cselect_b64 s[38:39], -1, 0
	s_and_b64 vcc, exec, s[38:39]
	s_cbranch_vccz .LBB46_22
; %bb.21:
	s_mul_i32 s1, s47, s12
	s_mul_hi_i32 s0, s47, s12
	s_add_u32 s1, s1, s42
	s_addc_u32 s0, s0, s3
	s_mul_i32 s20, s1, s49
	s_mul_hi_u32 s21, s1, s14
	s_add_i32 s20, s21, s20
	s_mul_i32 s0, s0, s14
	s_add_i32 s20, s20, s0
	s_mul_i32 s1, s1, s14
	s_ashr_i32 s0, s52, 31
	s_add_u32 s40, s1, s52
	s_addc_u32 s41, s20, s0
	s_cbranch_execz .LBB46_23
	s_branch .LBB46_24
.LBB46_22:
                                        ; implicit-def: $sgpr40_sgpr41
.LBB46_23:
	s_mul_hi_i32 s0, s47, s14
	s_mul_i32 s47, s47, s14
	s_ashr_i32 s1, s52, 31
	s_add_u32 s14, s47, s52
	s_addc_u32 s0, s0, s1
	s_mul_i32 s1, s14, s46
	s_mul_hi_u32 s20, s14, s12
	s_add_i32 s1, s20, s1
	s_mul_i32 s0, s0, s12
	s_add_i32 s1, s1, s0
	s_mul_i32 s14, s14, s12
	s_add_u32 s40, s14, s42
	s_addc_u32 s41, s1, s3
.LBB46_24:
	s_add_i32 s20, s50, s48
	s_ashr_i32 s14, s33, 31
	s_add_u32 s24, s45, s33
	s_addc_u32 s25, s51, s14
	s_mul_i32 s0, s24, s46
	s_mul_hi_u32 s1, s24, s12
	s_add_i32 s0, s1, s0
	s_mul_i32 s1, s25, s12
	s_add_i32 s1, s0, s1
	s_mul_i32 s0, s24, s12
	s_add_u32 s0, s0, s42
	v_lshlrev_b32_e32 v6, 6, v1
	v_lshlrev_b32_e32 v26, 2, v76
	s_addc_u32 s1, s1, s3
	s_mov_b32 s3, 0x7060302
	v_or_b32_e32 v9, v6, v26
	v_xor_b32_e32 v7, v1, v26
	v_perm_b32 v3, v65, v64, s3
	v_perm_b32 v2, v63, v62, s3
	;; [unrolled: 1-line block ×4, first 2 shown]
	v_lshlrev_b32_e32 v9, 1, v9
	v_xor_b32_e32 v8, v79, v26
	ds_write2st64_b64 v9, v[2:3], v[4:5] offset0:32 offset1:48
	v_lshlrev_b32_e32 v7, 1, v7
	v_lshlrev_b32_e32 v9, 8, v76
	v_or_b32_e32 v10, v7, v9
	v_lshlrev_b32_e32 v8, 1, v8
	ds_write_b64 v10, v[2:3]
	v_or_b32_e32 v2, v8, v9
	v_or_b32_e32 v9, 16, v76
	v_lshlrev_b32_e32 v25, 2, v9
	v_or_b32_e32 v10, v6, v25
	ds_write_b64 v2, v[4:5]
	v_perm_b32 v3, v57, v56, s3
	v_perm_b32 v2, v55, v54, s3
	;; [unrolled: 1-line block ×4, first 2 shown]
	v_lshlrev_b32_e32 v10, 1, v10
	v_lshlrev_b32_e32 v9, 8, v9
	ds_write2st64_b64 v10, v[2:3], v[4:5] offset0:32 offset1:48
	v_or_b32_e32 v10, v7, v9
	ds_write_b64 v10, v[2:3]
	v_or_b32_e32 v2, v8, v9
	v_or_b32_e32 v9, 32, v76
	v_lshlrev_b32_e32 v24, 2, v9
	v_or_b32_e32 v10, v6, v24
	ds_write_b64 v2, v[4:5]
	v_perm_b32 v3, v49, v48, s3
	v_perm_b32 v2, v47, v46, s3
	;; [unrolled: 1-line block ×4, first 2 shown]
	v_lshlrev_b32_e32 v10, 1, v10
	v_lshlrev_b32_e32 v9, 8, v9
	s_lshl_b64 s[26:27], s[0:1], 8
	ds_write2st64_b64 v10, v[2:3], v[4:5] offset0:32 offset1:48
	v_or_b32_e32 v10, v7, v9
	s_add_u32 s0, s6, s26
	ds_write_b64 v10, v[2:3]
	v_or_b32_e32 v2, v8, v9
	s_addc_u32 s1, s7, s27
	ds_write_b64 v2, v[4:5]
	v_perm_b32 v3, v41, v40, s3
	v_perm_b32 v2, v39, v38, s3
	;; [unrolled: 1-line block ×4, first 2 shown]
	v_or_b32_e32 v9, 48, v76
	s_mul_hi_i32 s3, s20, s13
	s_mul_i32 s20, s20, s13
	v_lshlrev_b32_e32 v21, 2, v9
	s_add_u32 s6, s20, s33
	v_or_b32_e32 v6, v6, v21
	s_addc_u32 s7, s3, s14
	v_lshlrev_b32_e32 v6, 1, v6
	s_ashr_i32 s3, s2, 31
	s_lshl_b64 s[6:7], s[6:7], 15
	ds_write2st64_b64 v6, v[2:3], v[4:5] offset0:32 offset1:48
	v_lshlrev_b32_e32 v6, 8, v9
	s_waitcnt lgkmcnt(0)
	s_add_u32 s6, s36, s6
	v_or_b32_e32 v7, v7, v6
	s_addc_u32 s7, s37, s7
	s_lshl_b64 s[2:3], s[2:3], 8
	ds_write_b64 v7, v[2:3]
	v_or_b32_e32 v2, v8, v6
	s_add_u32 s2, s6, s2
	v_lshlrev_b32_e32 v3, 1, v76
	ds_write_b64 v2, v[4:5]
	v_lshrrev_b32_e32 v2, 4, v0
	s_addc_u32 s3, s7, s3
	v_or_b32_e32 v4, 1, v3
	v_lshlrev_b32_e32 v10, 4, v76
	v_mov_b32_e32 v11, 0
	v_xor_b32_e32 v3, v2, v3
	v_xor_b32_e32 v6, v4, v2
	v_lshl_add_u64 v[12:13], s[2:3], 0, v[10:11]
	v_lshlrev_b32_e32 v10, 8, v2
	v_lshl_or_b32 v16, v3, 3, v10
	v_lshl_or_b32 v17, v6, 3, v10
	s_waitcnt lgkmcnt(0)
	s_barrier
	ds_read2st64_b64 v[2:5], v16 offset1:8
	ds_read2st64_b64 v[6:9], v17 offset1:8
	v_lshl_add_u64 v[14:15], v[12:13], 0, v[10:11]
	s_movk_i32 s2, 0x2000
	s_cmp_lg_u32 s43, 64
	s_waitcnt lgkmcnt(1)
	v_mov_b32_e32 v10, v2
	v_mov_b32_e32 v11, v3
	s_waitcnt lgkmcnt(0)
	v_mov_b32_e32 v12, v6
	v_mov_b32_e32 v13, v7
	global_store_dwordx4 v[14:15], v[10:13], off
	v_mov_b32_e32 v6, v4
	v_mov_b32_e32 v7, v5
	ds_read2st64_b64 v[2:5], v16 offset0:16 offset1:24
	ds_read2st64_b64 v[10:13], v17 offset0:16 offset1:24
	v_add_co_u32_e32 v16, vcc, s2, v14
	s_cselect_b64 s[6:7], -1, 0
	s_nop 0
	v_addc_co_u32_e32 v17, vcc, 0, v15, vcc
	global_store_dwordx4 v[16:17], v[6:9], off offset:-4096
	v_lshl_or_b32 v19, v72, 3, v78
	s_mov_b32 s20, 0
	s_waitcnt lgkmcnt(1)
	v_mov_b32_e32 v6, v2
	v_add_co_u32_e32 v2, vcc, 0x3000, v14
	v_mov_b32_e32 v7, v3
	s_nop 0
	v_addc_co_u32_e32 v3, vcc, 0, v15, vcc
	s_waitcnt lgkmcnt(0)
	v_mov_b32_e32 v8, v10
	v_mov_b32_e32 v9, v11
	;; [unrolled: 1-line block ×4, first 2 shown]
	v_or_b32_e32 v22, 32, v19
	v_and_b32_e32 v20, 56, v77
	s_and_b64 vcc, exec, s[6:7]
	global_store_dwordx4 v[16:17], v[6:9], off
	global_store_dwordx4 v[2:3], v[10:13], off
	s_cbranch_vccz .LBB46_30
; %bb.25:
	s_mov_b32 s21, s20
	s_mov_b32 s22, s20
	;; [unrolled: 1-line block ×3, first 2 shown]
	v_mov_b64_e32 v[6:7], s[20:21]
	v_mov_b64_e32 v[8:9], s[22:23]
	;; [unrolled: 1-line block ×3, first 2 shown]
	v_cmp_gt_i32_e32 vcc, s43, v19
	v_mov_b64_e32 v[4:5], v[8:9]
	s_and_saveexec_b64 s[2:3], vcc
	s_cbranch_execz .LBB46_27
; %bb.26:
	v_lshlrev_b32_e32 v2, 8, v19
	v_mov_b32_e32 v3, 0
	v_lshl_add_u64 v[4:5], s[0:1], 0, v[2:3]
	v_lshlrev_b32_e32 v2, 1, v20
	v_lshl_add_u64 v[10:11], v[4:5], 0, v[2:3]
	global_load_dwordx4 v[6:9], v[10:11], off
	global_load_dwordx4 v[2:5], v[10:11], off offset:128
.LBB46_27:
	s_or_b64 exec, exec, s[2:3]
	s_mov_b32 s21, s20
	s_mov_b32 s22, s20
	;; [unrolled: 1-line block ×3, first 2 shown]
	v_mov_b64_e32 v[14:15], s[20:21]
	v_mov_b64_e32 v[16:17], s[22:23]
	;; [unrolled: 1-line block ×3, first 2 shown]
	v_cmp_gt_i32_e32 vcc, s43, v22
	v_lshlrev_b32_e32 v23, 7, v22
	v_mov_b64_e32 v[12:13], v[16:17]
	s_and_saveexec_b64 s[2:3], vcc
	s_cbranch_execz .LBB46_29
; %bb.28:
	v_lshlrev_b32_e32 v10, 1, v23
	v_mov_b32_e32 v11, 0
	v_lshl_add_u64 v[12:13], s[0:1], 0, v[10:11]
	v_lshlrev_b32_e32 v10, 1, v20
	v_lshl_add_u64 v[28:29], v[12:13], 0, v[10:11]
	global_load_dwordx4 v[14:17], v[28:29], off
	global_load_dwordx4 v[10:13], v[28:29], off offset:128
.LBB46_29:
	s_or_b64 exec, exec, s[2:3]
	v_lshrrev_b32_e32 v27, 3, v20
	v_lshlrev_b32_e32 v28, 3, v19
	v_or_b32_e32 v27, v28, v27
	v_lshlrev_b32_e32 v27, 4, v27
	v_and_b32_e32 v28, 0x78, v28
	v_xor_b32_e32 v27, v27, v28
	s_branch .LBB46_32
.LBB46_30:
                                        ; implicit-def: $vgpr27
                                        ; implicit-def: $vgpr23
                                        ; implicit-def: $vgpr6_vgpr7_vgpr8_vgpr9
                                        ; implicit-def: $vgpr2_vgpr3_vgpr4_vgpr5
                                        ; implicit-def: $vgpr14_vgpr15_vgpr16_vgpr17
                                        ; implicit-def: $vgpr10_vgpr11_vgpr12_vgpr13
	s_cbranch_execz .LBB46_32
; %bb.31:
	s_waitcnt vmcnt(0)
	v_lshlrev_b32_e32 v2, 1, v20
	v_lshl_or_b32 v23, v19, 8, v2
	s_and_b32 s1, s1, 0xffff
	s_mov_b32 s3, 0x20000
	s_movk_i32 s2, 0x4000
	v_lshl_or_b32 v27, v22, 8, v2
	s_movk_i32 s13, 0x80
	buffer_load_dwordx4 v[6:9], v23, s[0:3], 0 offen
	buffer_load_dwordx4 v[2:5], v23, s[0:3], s13 offen
	;; [unrolled: 1-line block ×4, first 2 shown]
	v_lshrrev_b32_e32 v23, 3, v20
	v_lshlrev_b32_e32 v27, 3, v19
	v_or_b32_e32 v23, v27, v23
	v_lshlrev_b32_e32 v23, 4, v23
	v_and_b32_e32 v27, 0x78, v27
	v_xor_b32_e32 v27, v23, v27
	v_lshlrev_b32_e32 v23, 7, v22
.LBB46_32:
	s_movk_i32 s0, 0x1000
	v_and_or_b32 v22, v23, s0, v27
	s_waitcnt vmcnt(1)
	ds_write_b64 v27, v[6:7] offset:49152
	v_xor_b32_e32 v6, 8, v27
	ds_write_b64 v6, v[8:9] offset:49152
	s_waitcnt vmcnt(0)
	ds_write_b64 v27, v[2:3] offset:57344
	ds_write_b64 v6, v[4:5] offset:57344
	ds_write_b64 v22, v[14:15] offset:49152
	v_xor_b32_e32 v2, 8, v22
	ds_write_b64 v2, v[16:17] offset:49152
	ds_write_b64 v22, v[10:11] offset:57344
	;; [unrolled: 1-line block ×3, first 2 shown]
	v_or_b32_e32 v2, v73, v76
	v_lshlrev_b32_e32 v2, 3, v2
	v_lshrrev_b32_e32 v3, 5, v74
	s_movk_i32 s0, 0xf8
	v_and_or_b32 v3, v2, s0, v3
	v_lshlrev_b32_e32 v7, 4, v3
	v_lshlrev_b32_e32 v27, 11, v72
	v_and_b32_e32 v8, 0x78, v2
	v_or_b32_e32 v10, 32, v7
	v_and_b32_e32 v6, 0x1000, v27
	v_lshrrev_b32_e32 v3, 1, v74
	v_xor_b32_e32 v10, v10, v8
	v_xor_b32_e32 v2, v7, v8
	v_and_b32_e32 v9, 8, v3
	v_or_b32_e32 v10, v10, v6
	v_or_b32_e32 v2, v2, v6
	v_xor_b32_e32 v33, v10, v9
	v_or_b32_e32 v10, 64, v7
	v_xor_b32_e32 v32, v2, v9
	v_xor_b32_e32 v10, v10, v8
	s_waitcnt lgkmcnt(0)
	s_barrier
	v_or_b32_e32 v13, v10, v6
	ds_read_b64 v[10:11], v32 offset:49152
	v_lshl_or_b32 v14, v75, 8, v26
	v_lshlrev_b32_e32 v28, 1, v14
	v_add_u32_e32 v12, 0x4000, v28
	ds_read2_b64 v[2:5], v12 offset1:16
	v_or_b32_e32 v7, 0x60, v7
	v_xor_b32_e32 v7, v7, v8
	v_or_b32_e32 v6, v7, v6
	v_xor_b32_e32 v66, v13, v9
	v_xor_b32_e32 v67, v6, v9
	ds_read_b64 v[22:23], v33 offset:49152
	ds_read_b64 v[68:69], v66 offset:49152
	;; [unrolled: 1-line block ×3, first 2 shown]
	s_waitcnt lgkmcnt(3)
	v_mfma_f32_16x16x16_bf16 a[0:3], v[10:11], v[2:3], 0
	ds_read2_b64 v[6:9], v12 offset0:32 offset1:48
	s_lshl_b64 s[0:1], s[40:41], 8
	s_add_u32 s4, s4, s0
	v_mfma_f32_16x16x16_bf16 a[4:7], v[10:11], v[4:5], 0
	ds_read2st64_b64 v[2:5], v28 offset0:36 offset1:40
	s_addc_u32 s5, s5, s1
	s_add_i32 s2, s12, -1
	s_waitcnt lgkmcnt(1)
	v_mfma_f32_16x16x16_bf16 a[8:11], v[10:11], v[6:7], 0
	v_or_b32_e32 v6, 64, v14
	v_lshlrev_b32_e32 v29, 1, v6
	s_add_i32 s0, s44, s17
	s_waitcnt lgkmcnt(0)
	v_mfma_f32_16x16x16_bf16 a[0:3], v[22:23], v[2:3], a[0:3]
	v_or_b32_e32 v2, 0x80, v14
	v_lshlrev_b32_e32 v30, 1, v2
	v_or_b32_e32 v2, 0xc0, v14
	v_mfma_f32_16x16x16_bf16 a[12:15], v[10:11], v[8:9], 0
	ds_read2st64_b64 v[6:9], v29 offset0:36 offset1:40
	v_lshlrev_b32_e32 v31, 1, v2
	ds_read2st64_b64 v[10:13], v30 offset0:36 offset1:40
	ds_read2st64_b64 v[14:17], v31 offset0:36 offset1:40
	s_mul_i32 s35, s35, s16
	s_add_i32 s35, s0, s35
	s_mul_i32 s0, s33, s19
	s_mul_hi_u32 s1, s33, s18
	s_ashr_i32 s3, s2, 31
	s_mul_i32 s12, s2, s31
	s_mul_hi_u32 s13, s2, s30
	s_waitcnt lgkmcnt(2)
	v_mfma_f32_16x16x16_bf16 a[4:7], v[22:23], v[6:7], a[4:7]
	s_add_i32 s0, s1, s0
	s_mul_i32 s1, s14, s18
	s_add_i32 s12, s13, s12
	s_mul_i32 s3, s3, s30
	s_waitcnt lgkmcnt(1)
	v_mfma_f32_16x16x16_bf16 a[8:11], v[22:23], v[10:11], a[8:11]
	s_add_i32 s1, s0, s1
	s_add_i32 s3, s12, s3
	s_lshl_b64 s[12:13], s[34:35], 2
	s_waitcnt lgkmcnt(0)
	v_mfma_f32_16x16x16_bf16 a[12:15], v[22:23], v[14:15], a[12:15]
	s_mul_i32 s0, s33, s18
	s_add_u32 s10, s10, s12
	s_addc_u32 s11, s11, s13
	s_lshl_b64 s[0:1], s[0:1], 2
	v_mfma_f32_16x16x16_bf16 a[0:3], v[68:69], v[4:5], a[0:3]
	s_mul_i32 s2, s2, s30
	ds_read_b64 v[2:3], v28 offset:22528
	s_add_u32 s10, s10, s0
	v_mfma_f32_16x16x16_bf16 a[4:7], v[68:69], v[8:9], a[4:7]
	ds_read_b64 v[4:5], v29 offset:22528
	ds_read_b64 v[6:7], v30 offset:22528
	;; [unrolled: 1-line block ×3, first 2 shown]
	s_addc_u32 s11, s11, s1
	s_lshl_b64 s[0:1], s[2:3], 2
	v_mfma_f32_16x16x16_bf16 a[8:11], v[68:69], v[12:13], a[8:11]
	s_add_u32 s0, s10, s0
	s_addc_u32 s1, s11, s1
	s_load_dword s12, s[0:1], 0x0
	v_mfma_f32_16x16x16_bf16 a[12:15], v[68:69], v[16:17], a[12:15]
	s_and_b64 vcc, exec, s[38:39]
	s_waitcnt lgkmcnt(0)
	v_mfma_f32_16x16x16_bf16 a[0:3], v[70:71], v[2:3], a[0:3]
	v_mfma_f32_16x16x16_bf16 a[4:7], v[70:71], v[4:5], a[4:7]
	;; [unrolled: 1-line block ×4, first 2 shown]
	s_cbranch_vccz .LBB46_43
; %bb.33:
	v_lshlrev_b32_e32 v22, 1, v19
	s_and_b64 vcc, exec, s[6:7]
	s_cbranch_vccz .LBB46_44
; %bb.34:
	v_cmp_gt_i32_e32 vcc, s43, v22
	v_mov_b32_e32 v6, 0
	v_mov_b32_e32 v2, 0
	;; [unrolled: 1-line block ×5, first 2 shown]
	s_and_saveexec_b64 s[0:1], vcc
	s_cbranch_execz .LBB46_36
; %bb.35:
	v_mad_i64_i32 v[2:3], s[2:3], s15, v22, 0
	v_lshl_add_u64 v[2:3], v[2:3], 1, s[4:5]
	v_lshlrev_b32_e32 v4, 1, v20
	v_mov_b32_e32 v5, 0
	v_lshl_add_u64 v[2:3], v[2:3], 0, v[4:5]
	global_load_dwordx4 v[2:5], v[2:3], off
.LBB46_36:
	s_or_b64 exec, exec, s[0:1]
	v_or_b32_e32 v23, 1, v22
	v_cmp_gt_i32_e64 s[0:1], s43, v23
	v_mov_b32_e32 v7, 0
	v_mov_b32_e32 v8, 0
	;; [unrolled: 1-line block ×3, first 2 shown]
	s_and_saveexec_b64 s[2:3], s[0:1]
	s_cbranch_execz .LBB46_38
; %bb.37:
	v_mad_i64_i32 v[6:7], s[16:17], s15, v23, 0
	v_lshl_add_u64 v[6:7], v[6:7], 1, s[4:5]
	v_lshlrev_b32_e32 v8, 1, v20
	v_mov_b32_e32 v9, 0
	v_lshl_add_u64 v[6:7], v[6:7], 0, v[8:9]
	global_load_dwordx4 v[6:9], v[6:7], off
.LBB46_38:
	s_or_b64 exec, exec, s[2:3]
	v_mov_b32_e32 v17, 0
	v_mov_b32_e32 v10, 0
	;; [unrolled: 1-line block ×5, first 2 shown]
	s_and_saveexec_b64 s[2:3], vcc
	s_cbranch_execz .LBB46_40
; %bb.39:
	v_mad_i64_i32 v[10:11], s[16:17], s15, v22, 0
	v_lshl_add_u64 v[10:11], v[10:11], 1, s[4:5]
	v_lshlrev_b32_e32 v12, 1, v20
	v_mov_b32_e32 v13, 0
	v_lshl_add_u64 v[10:11], v[10:11], 0, v[12:13]
	global_load_dwordx4 v[10:13], v[10:11], off offset:128
.LBB46_40:
	s_or_b64 exec, exec, s[2:3]
	v_mov_b32_e32 v16, 0
	v_mov_b32_e32 v15, 0
	;; [unrolled: 1-line block ×3, first 2 shown]
	s_and_saveexec_b64 s[2:3], s[0:1]
	s_cbranch_execz .LBB46_42
; %bb.41:
	v_mad_i64_i32 v[14:15], s[0:1], s15, v23, 0
	v_lshl_add_u64 v[14:15], v[14:15], 1, s[4:5]
	v_lshlrev_b32_e32 v16, 1, v20
	v_mov_b32_e32 v17, 0
	v_lshl_add_u64 v[14:15], v[14:15], 0, v[16:17]
	global_load_dwordx4 v[14:17], v[14:15], off offset:128
.LBB46_42:
	s_or_b64 exec, exec, s[2:3]
	s_branch .LBB46_46
.LBB46_43:
                                        ; implicit-def: $vgpr5
                                        ; implicit-def: $vgpr9
                                        ; implicit-def: $vgpr13
                                        ; implicit-def: $vgpr17
	v_lshrrev_b32_e32 v68, 2, v74
	s_branch .LBB46_47
.LBB46_44:
                                        ; implicit-def: $vgpr5
                                        ; implicit-def: $vgpr9
                                        ; implicit-def: $vgpr13
                                        ; implicit-def: $vgpr17
	s_cbranch_execz .LBB46_46
; %bb.45:
	s_waitcnt vmcnt(0)
	v_mad_u64_u32 v[2:3], s[0:1], v22, s15, v[20:21]
	v_lshlrev_b32_e32 v22, 1, v2
	s_lshl_b32 s2, s15, 7
	s_and_b32 s1, s5, 0xffff
	s_mov_b32 s3, 0x20000
	s_mov_b32 s0, s4
	v_add_lshl_u32 v23, v2, s15, 1
	s_movk_i32 s13, 0x80
	buffer_load_dwordx4 v[2:5], v22, s[0:3], 0 offen
	buffer_load_dwordx4 v[10:13], v22, s[0:3], s13 offen
	;; [unrolled: 1-line block ×4, first 2 shown]
.LBB46_46:
	v_lshrrev_b32_e32 v68, 2, v74
	s_cbranch_execnz .LBB46_59
.LBB46_47:
	s_and_b64 vcc, exec, s[6:7]
	s_cbranch_vccz .LBB46_57
; %bb.48:
	s_waitcnt vmcnt(0)
	v_lshlrev_b32_e32 v7, 1, v19
	v_cmp_gt_i32_e32 vcc, s43, v7
	v_mov_b32_e32 v6, 0
	v_lshlrev_b32_e32 v14, 9, v19
	v_mov_b32_e32 v2, 0
	v_mov_b32_e32 v3, 0
	;; [unrolled: 1-line block ×4, first 2 shown]
	s_and_saveexec_b64 s[0:1], vcc
	s_cbranch_execz .LBB46_50
; %bb.49:
	v_mov_b32_e32 v15, 0
	v_lshl_add_u64 v[2:3], s[4:5], 0, v[14:15]
	v_lshlrev_b32_e32 v4, 1, v20
	v_mov_b32_e32 v5, v15
	v_lshl_add_u64 v[2:3], v[2:3], 0, v[4:5]
	global_load_dwordx4 v[2:5], v[2:3], off
.LBB46_50:
	s_or_b64 exec, exec, s[0:1]
	v_or_b32_e32 v7, 1, v7
	v_cmp_gt_i32_e64 s[0:1], s43, v7
	v_lshlrev_b32_e32 v22, 8, v7
	v_mov_b32_e32 v7, 0
	v_mov_b32_e32 v8, 0
	;; [unrolled: 1-line block ×3, first 2 shown]
	s_and_saveexec_b64 s[2:3], s[0:1]
	s_cbranch_execz .LBB46_52
; %bb.51:
	v_mov_b32_e32 v23, 0
	v_lshl_add_u64 v[6:7], s[4:5], 0, v[22:23]
	v_lshlrev_b32_e32 v8, 1, v20
	v_mov_b32_e32 v9, v23
	v_lshl_add_u64 v[6:7], v[6:7], 0, v[8:9]
	global_load_dwordx4 v[6:9], v[6:7], off
.LBB46_52:
	s_or_b64 exec, exec, s[2:3]
	v_mov_b32_e32 v17, 0
	v_mov_b32_e32 v10, 0
	;; [unrolled: 1-line block ×5, first 2 shown]
	s_and_saveexec_b64 s[2:3], vcc
	s_cbranch_execz .LBB46_54
; %bb.53:
	v_mov_b32_e32 v15, 0
	v_lshl_add_u64 v[10:11], s[4:5], 0, v[14:15]
	v_lshlrev_b32_e32 v14, 1, v20
	v_lshl_add_u64 v[10:11], v[10:11], 0, v[14:15]
	global_load_dwordx4 v[10:13], v[10:11], off offset:128
.LBB46_54:
	s_or_b64 exec, exec, s[2:3]
	v_mov_b32_e32 v16, 0
	v_mov_b32_e32 v15, 0
	;; [unrolled: 1-line block ×3, first 2 shown]
	s_and_saveexec_b64 s[2:3], s[0:1]
	s_cbranch_execz .LBB46_56
; %bb.55:
	v_mov_b32_e32 v23, 0
	v_lshl_add_u64 v[14:15], s[4:5], 0, v[22:23]
	v_lshlrev_b32_e32 v22, 1, v20
	v_lshl_add_u64 v[14:15], v[14:15], 0, v[22:23]
	global_load_dwordx4 v[14:17], v[14:15], off offset:128
.LBB46_56:
	s_or_b64 exec, exec, s[2:3]
	s_branch .LBB46_59
.LBB46_57:
                                        ; implicit-def: $vgpr5
                                        ; implicit-def: $vgpr9
                                        ; implicit-def: $vgpr13
                                        ; implicit-def: $vgpr17
	s_cbranch_execz .LBB46_59
; %bb.58:
	s_waitcnt vmcnt(0)
	v_lshlrev_b32_e32 v2, 1, v20
	v_lshl_or_b32 v20, v19, 9, v2
	s_and_b32 s5, s5, 0xffff
	s_mov_b32 s7, 0x20000
	s_movk_i32 s6, 0x4000
	s_movk_i32 s0, 0x80
	buffer_load_dwordx4 v[2:5], v20, s[4:7], 0 offen
	buffer_load_dwordx4 v[6:9], v20, s[4:7], 0 offen offset:256
	buffer_load_dwordx4 v[10:13], v20, s[4:7], s0 offen
	buffer_load_dwordx4 v[14:17], v20, s[4:7], s0 offen offset:256
.LBB46_59:
	ds_read_b64 v[22:23], v32 offset:57344
	v_add_u32_e32 v20, 0x6000, v28
	ds_read2_b64 v[74:77], v20 offset1:16
	ds_read_b64 v[32:33], v33 offset:57344
	ds_read_b64 v[70:71], v66 offset:57344
	;; [unrolled: 1-line block ×3, first 2 shown]
	ds_read2st64_b64 v[78:81], v28 offset0:52 offset1:56
	v_and_b32_e32 v69, 1, v0
	v_cmp_eq_u32_e32 vcc, 0, v69
	s_mov_b32 s0, 0x1000504
	s_mov_b32 s1, 0x3020706
	s_waitcnt lgkmcnt(4)
	v_mfma_f32_16x16x16_bf16 a[0:3], v[22:23], v[74:75], a[0:3]
	v_mfma_f32_16x16x16_bf16 a[4:7], v[22:23], v[76:77], a[4:7]
	ds_read2_b64 v[74:77], v20 offset0:32 offset1:48
	v_and_b32_e32 v20, 6, v0
	v_xor_b32_e32 v19, v19, v20
	s_waitcnt lgkmcnt(0)
	v_mfma_f32_16x16x16_bf16 a[8:11], v[22:23], v[74:75], a[8:11]
	v_lshlrev_b32_e32 v19, 2, v19
	v_mfma_f32_16x16x16_bf16 a[12:15], v[22:23], v[76:77], a[12:15]
	ds_read2st64_b64 v[74:77], v29 offset0:52 offset1:56
	ds_read2st64_b64 v[82:85], v30 offset0:52 offset1:56
	ds_read2st64_b64 v[86:89], v31 offset0:52 offset1:56
	s_waitcnt lgkmcnt(2)
	v_mfma_f32_16x16x16_bf16 a[4:7], v[32:33], v[74:75], a[4:7]
	v_xor_b32_e32 v74, 0x440, v19
	v_cndmask_b32_e32 v19, v74, v19, vcc
	v_lshl_or_b32 v19, v20, 10, v19
	v_mfma_f32_16x16x16_bf16 a[0:3], v[32:33], v[78:79], a[0:3]
	s_waitcnt vmcnt(0)
	v_perm_b32 v20, v2, v6, s0
	ds_read_b64 v[22:23], v28 offset:30720
	ds_read_b64 v[78:79], v29 offset:30720
	;; [unrolled: 1-line block ×4, first 2 shown]
	v_perm_b32 v2, v2, v6, s1
	s_waitcnt lgkmcnt(5)
	v_mfma_f32_16x16x16_bf16 a[8:11], v[32:33], v[82:83], a[8:11]
	v_perm_b32 v6, v10, v14, s1
	s_waitcnt lgkmcnt(4)
	v_mfma_f32_16x16x16_bf16 a[12:15], v[32:33], v[86:87], a[12:15]
	v_perm_b32 v32, v10, v14, s0
	ds_write2st64_b32 v19, v20, v32 offset0:128 offset1:160
	v_xor_b32_e32 v20, 8, v19
	v_add_u32_e32 v10, 0x80, v20
	ds_write2st64_b32 v10, v2, v6 offset0:128 offset1:160
	v_xor_b32_e32 v2, 16, v19
	v_perm_b32 v6, v3, v7, s0
	v_perm_b32 v10, v11, v15, s0
	v_mfma_f32_16x16x16_bf16 a[0:3], v[70:71], v[80:81], a[0:3]
	ds_write2st64_b32 v2, v6, v10 offset0:129 offset1:161
	v_xor_b32_e32 v2, 24, v19
	v_perm_b32 v3, v3, v7, s1
	v_mfma_f32_16x16x16_bf16 a[4:7], v[70:71], v[76:77], a[4:7]
	v_perm_b32 v6, v11, v15, s1
	v_add_u32_e32 v2, 0x80, v2
	ds_write2st64_b32 v2, v3, v6 offset0:129 offset1:161
	v_mfma_f32_16x16x16_bf16 a[16:19], v[70:71], v[84:85], a[8:11]
	v_xor_b32_e32 v2, 32, v19
	v_perm_b32 v3, v4, v8, s0
	v_perm_b32 v6, v12, v16, s0
	v_mfma_f32_16x16x16_bf16 a[20:23], v[70:71], v[88:89], a[12:15]
	ds_write2st64_b32 v2, v3, v6 offset0:130 offset1:162
	v_xor_b32_e32 v2, 40, v19
	v_perm_b32 v3, v4, v8, s1
	s_waitcnt lgkmcnt(8)
	v_mfma_f32_16x16x16_bf16 a[12:15], v[66:67], v[22:23], a[0:3]
	v_perm_b32 v4, v12, v16, s1
	v_add_u32_e32 v2, 0x80, v2
	ds_write2st64_b32 v2, v3, v4 offset0:130 offset1:162
	s_waitcnt lgkmcnt(8)
	v_mfma_f32_16x16x16_bf16 a[8:11], v[66:67], v[78:79], a[4:7]
	v_xor_b32_e32 v2, 48, v19
	v_perm_b32 v3, v5, v9, s0
	v_perm_b32 v4, v13, v17, s0
	s_waitcnt lgkmcnt(7)
	v_mfma_f32_16x16x16_bf16 a[4:7], v[66:67], v[90:91], a[16:19]
	ds_write2st64_b32 v2, v3, v4 offset0:131 offset1:163
	v_xor_b32_e32 v2, 56, v19
	v_and_or_b32 v23, v68, 12, v73
	s_waitcnt lgkmcnt(7)
	v_mfma_f32_16x16x16_bf16 a[0:3], v[66:67], v[92:93], a[20:23]
	v_perm_b32 v3, v5, v9, s1
	v_perm_b32 v4, v13, v17, s1
	v_add_u32_e32 v2, 0x80, v2
	v_cmp_gt_i32_e32 vcc, s43, v23
	v_mov_b32_e32 v16, 0
	v_mov_b32_e32 v20, 0
	ds_write2st64_b32 v2, v3, v4 offset0:131 offset1:163
	s_and_saveexec_b64 s[0:1], vcc
	s_cbranch_execz .LBB46_61
; %bb.60:
	v_add_u32_e32 v2, s42, v23
	v_ashrrev_i32_e32 v3, 31, v2
	v_mul_lo_u32 v4, v3, s30
	v_mul_lo_u32 v5, v2, s31
	v_mad_u64_u32 v[2:3], s[2:3], v2, s30, 0
	v_add3_u32 v3, v3, v5, v4
	v_lshl_add_u64 v[2:3], v[2:3], 2, s[10:11]
	global_load_dword v2, v[2:3], off
	s_waitcnt vmcnt(0)
	v_sub_f32_e32 v2, s12, v2
	v_exp_f32_e32 v20, v2
.LBB46_61:
	s_or_b64 exec, exec, s[0:1]
	v_or_b32_e32 v8, 1, v23
	v_cmp_gt_i32_e64 s[0:1], s43, v8
	s_and_saveexec_b64 s[2:3], s[0:1]
	s_cbranch_execz .LBB46_63
; %bb.62:
	v_add_u32_e32 v2, s42, v8
	v_ashrrev_i32_e32 v3, 31, v2
	v_mul_lo_u32 v4, v3, s30
	v_mul_lo_u32 v5, v2, s31
	v_mad_u64_u32 v[2:3], s[4:5], v2, s30, 0
	v_add3_u32 v3, v3, v5, v4
	v_lshl_add_u64 v[2:3], v[2:3], 2, s[10:11]
	global_load_dword v2, v[2:3], off
	s_waitcnt vmcnt(0)
	v_sub_f32_e32 v2, s12, v2
	v_exp_f32_e32 v16, v2
.LBB46_63:
	s_or_b64 exec, exec, s[2:3]
	v_or_b32_e32 v9, 2, v23
	v_cmp_gt_i32_e64 s[2:3], s43, v9
	v_mov_b32_e32 v17, 0
	v_mov_b32_e32 v22, 0
	s_and_saveexec_b64 s[4:5], s[2:3]
	s_cbranch_execz .LBB46_65
; %bb.64:
	v_add_u32_e32 v2, s42, v9
	v_ashrrev_i32_e32 v3, 31, v2
	v_mul_lo_u32 v4, v3, s30
	v_mul_lo_u32 v5, v2, s31
	v_mad_u64_u32 v[2:3], s[6:7], v2, s30, 0
	v_add3_u32 v3, v3, v5, v4
	v_lshl_add_u64 v[2:3], v[2:3], 2, s[10:11]
	global_load_dword v2, v[2:3], off
	s_waitcnt vmcnt(0)
	v_sub_f32_e32 v2, s12, v2
	v_exp_f32_e32 v22, v2
.LBB46_65:
	s_or_b64 exec, exec, s[4:5]
	v_or_b32_e32 v32, 3, v23
	v_cmp_gt_i32_e64 s[4:5], s43, v32
	s_and_saveexec_b64 s[6:7], s[4:5]
	s_cbranch_execz .LBB46_67
; %bb.66:
	v_add_u32_e32 v2, s42, v32
	v_ashrrev_i32_e32 v3, 31, v2
	v_mul_lo_u32 v4, v3, s30
	v_mul_lo_u32 v5, v2, s31
	v_mad_u64_u32 v[2:3], s[14:15], v2, s30, 0
	v_add3_u32 v3, v3, v5, v4
	v_lshl_add_u64 v[2:3], v[2:3], 2, s[10:11]
	global_load_dword v2, v[2:3], off
	s_waitcnt vmcnt(0)
	v_sub_f32_e32 v2, s12, v2
	v_exp_f32_e32 v17, v2
.LBB46_67:
	s_or_b64 exec, exec, s[6:7]
	s_add_u32 s6, s8, s26
	v_accvgpr_read_b32 v2, a12
	s_addc_u32 s7, s9, s27
	v_ashrrev_i32_e32 v19, 31, v18
	v_accvgpr_read_b32 v3, a13
	v_accvgpr_read_b32 v4, a14
	;; [unrolled: 1-line block ×3, first 2 shown]
	v_lshl_add_u64 v[6:7], v[18:19], 1, s[6:7]
	v_mov_b32_e32 v13, 0
	v_lshlrev_b32_e32 v10, 8, v23
	v_mov_b32_e32 v11, 0
	s_and_saveexec_b64 s[6:7], vcc
	s_cbranch_execz .LBB46_69
; %bb.68:
	v_mov_b32_e32 v11, 0
	v_lshl_add_u64 v[14:15], v[6:7], 0, v[10:11]
	global_load_ushort v11, v[14:15], off
	s_waitcnt vmcnt(0)
	v_lshlrev_b32_e32 v11, 16, v11
	v_sub_f32_e32 v2, v11, v2
	v_mul_f32_e32 v2, v20, v2
	v_lshrrev_b32_e32 v11, 16, v2
.LBB46_69:
	s_or_b64 exec, exec, s[6:7]
	v_lshlrev_b32_e32 v12, 8, v8
	s_and_saveexec_b64 s[6:7], s[0:1]
	s_cbranch_execz .LBB46_71
; %bb.70:
	v_mov_b32_e32 v13, 0
	v_lshl_add_u64 v[14:15], v[6:7], 0, v[12:13]
	global_load_ushort v2, v[14:15], off
	s_waitcnt vmcnt(0)
	v_lshlrev_b32_e32 v2, 16, v2
	v_sub_f32_e32 v2, v2, v3
	v_mul_f32_e32 v2, v16, v2
	v_lshrrev_b32_e32 v13, 16, v2
.LBB46_71:
	s_or_b64 exec, exec, s[6:7]
	v_mov_b32_e32 v33, 0
	v_lshlrev_b32_e32 v14, 8, v9
	v_mov_b32_e32 v15, 0
	s_and_saveexec_b64 s[6:7], s[2:3]
	s_cbranch_execz .LBB46_73
; %bb.72:
	v_mov_b32_e32 v15, 0
	v_lshl_add_u64 v[2:3], v[6:7], 0, v[14:15]
	global_load_ushort v2, v[2:3], off
	s_waitcnt vmcnt(0)
	v_lshlrev_b32_e32 v2, 16, v2
	v_sub_f32_e32 v2, v2, v4
	v_mul_f32_e32 v2, v22, v2
	v_lshrrev_b32_e32 v15, 16, v2
.LBB46_73:
	s_or_b64 exec, exec, s[6:7]
	v_lshlrev_b32_e32 v8, 8, v32
	s_and_saveexec_b64 s[6:7], s[4:5]
	s_cbranch_execz .LBB46_75
; %bb.74:
	v_mov_b32_e32 v9, 0
	v_lshl_add_u64 v[2:3], v[6:7], 0, v[8:9]
	global_load_ushort v2, v[2:3], off
	s_waitcnt vmcnt(0)
	v_lshlrev_b32_e32 v2, 16, v2
	v_sub_f32_e32 v2, v2, v5
	v_mul_f32_e32 v2, v17, v2
	v_lshrrev_b32_e32 v33, 16, v2
.LBB46_75:
	s_or_b64 exec, exec, s[6:7]
	v_lshlrev_b32_e32 v19, 6, v23
	v_accvgpr_read_b32 v2, a8
	s_mov_b32 s6, 0x5040100
	v_or_b32_e32 v9, v19, v26
	v_accvgpr_read_b32 v3, a9
	v_accvgpr_read_b32 v4, a10
	;; [unrolled: 1-line block ×3, first 2 shown]
	v_perm_b32 v33, v33, v15, s6
	v_perm_b32 v32, v13, v11, s6
	v_lshlrev_b32_e32 v9, 1, v9
	v_mov_b32_e32 v13, 0
	v_mov_b32_e32 v11, 0
	ds_write_b64 v9, v[32:33] offset:24576
	s_and_saveexec_b64 s[6:7], vcc
	s_cbranch_execz .LBB46_77
; %bb.76:
	v_mov_b32_e32 v11, 0
	v_lshl_add_u64 v[32:33], v[6:7], 0, v[10:11]
	global_load_ushort v9, v[32:33], off offset:32
	s_waitcnt vmcnt(0)
	v_lshlrev_b32_e32 v9, 16, v9
	v_sub_f32_e32 v2, v9, v2
	v_mul_f32_e32 v2, v20, v2
	v_lshrrev_b32_e32 v11, 16, v2
.LBB46_77:
	s_or_b64 exec, exec, s[6:7]
	s_and_saveexec_b64 s[6:7], s[0:1]
	s_cbranch_execz .LBB46_79
; %bb.78:
	v_mov_b32_e32 v13, 0
	v_lshl_add_u64 v[32:33], v[6:7], 0, v[12:13]
	global_load_ushort v2, v[32:33], off offset:32
	s_waitcnt vmcnt(0)
	v_lshlrev_b32_e32 v2, 16, v2
	v_sub_f32_e32 v2, v2, v3
	v_mul_f32_e32 v2, v16, v2
	v_lshrrev_b32_e32 v13, 16, v2
.LBB46_79:
	s_or_b64 exec, exec, s[6:7]
	v_mov_b32_e32 v9, 0
	v_mov_b32_e32 v15, 0
	s_and_saveexec_b64 s[6:7], s[2:3]
	s_cbranch_execz .LBB46_81
; %bb.80:
	v_mov_b32_e32 v15, 0
	v_lshl_add_u64 v[2:3], v[6:7], 0, v[14:15]
	global_load_ushort v2, v[2:3], off offset:32
	s_waitcnt vmcnt(0)
	v_lshlrev_b32_e32 v2, 16, v2
	v_sub_f32_e32 v2, v2, v4
	v_mul_f32_e32 v2, v22, v2
	v_lshrrev_b32_e32 v15, 16, v2
.LBB46_81:
	s_or_b64 exec, exec, s[6:7]
	s_and_saveexec_b64 s[6:7], s[4:5]
	s_cbranch_execz .LBB46_83
; %bb.82:
	v_mov_b32_e32 v9, 0
	v_lshl_add_u64 v[2:3], v[6:7], 0, v[8:9]
	global_load_ushort v2, v[2:3], off offset:32
	s_waitcnt vmcnt(0)
	v_lshlrev_b32_e32 v2, 16, v2
	v_sub_f32_e32 v2, v2, v5
	v_mul_f32_e32 v2, v17, v2
	v_lshrrev_b32_e32 v9, 16, v2
.LBB46_83:
	s_or_b64 exec, exec, s[6:7]
	s_mov_b32 s6, 0x5040100
	v_accvgpr_read_b32 v2, a4
	v_perm_b32 v33, v9, v15, s6
	v_or_b32_e32 v9, v19, v25
	v_accvgpr_read_b32 v3, a5
	v_accvgpr_read_b32 v4, a6
	;; [unrolled: 1-line block ×3, first 2 shown]
	v_perm_b32 v32, v13, v11, s6
	v_lshlrev_b32_e32 v9, 1, v9
	v_mov_b32_e32 v13, 0
	v_mov_b32_e32 v11, 0
	ds_write_b64 v9, v[32:33] offset:24576
	s_and_saveexec_b64 s[6:7], vcc
	s_cbranch_execz .LBB46_85
; %bb.84:
	v_mov_b32_e32 v11, 0
	v_lshl_add_u64 v[32:33], v[6:7], 0, v[10:11]
	global_load_ushort v9, v[32:33], off offset:64
	s_waitcnt vmcnt(0)
	v_lshlrev_b32_e32 v9, 16, v9
	v_sub_f32_e32 v2, v9, v2
	v_mul_f32_e32 v2, v20, v2
	v_lshrrev_b32_e32 v11, 16, v2
.LBB46_85:
	s_or_b64 exec, exec, s[6:7]
	s_and_saveexec_b64 s[6:7], s[0:1]
	s_cbranch_execz .LBB46_87
; %bb.86:
	v_mov_b32_e32 v13, 0
	v_lshl_add_u64 v[32:33], v[6:7], 0, v[12:13]
	global_load_ushort v2, v[32:33], off offset:64
	s_waitcnt vmcnt(0)
	v_lshlrev_b32_e32 v2, 16, v2
	v_sub_f32_e32 v2, v2, v3
	v_mul_f32_e32 v2, v16, v2
	v_lshrrev_b32_e32 v13, 16, v2
.LBB46_87:
	s_or_b64 exec, exec, s[6:7]
	v_mov_b32_e32 v9, 0
	v_mov_b32_e32 v15, 0
	s_and_saveexec_b64 s[6:7], s[2:3]
	s_cbranch_execz .LBB46_89
; %bb.88:
	v_mov_b32_e32 v15, 0
	v_lshl_add_u64 v[2:3], v[6:7], 0, v[14:15]
	global_load_ushort v2, v[2:3], off offset:64
	s_waitcnt vmcnt(0)
	v_lshlrev_b32_e32 v2, 16, v2
	v_sub_f32_e32 v2, v2, v4
	v_mul_f32_e32 v2, v22, v2
	v_lshrrev_b32_e32 v15, 16, v2
.LBB46_89:
	s_or_b64 exec, exec, s[6:7]
	s_and_saveexec_b64 s[6:7], s[4:5]
	s_cbranch_execz .LBB46_91
; %bb.90:
	v_mov_b32_e32 v9, 0
	v_lshl_add_u64 v[2:3], v[6:7], 0, v[8:9]
	global_load_ushort v2, v[2:3], off offset:64
	s_waitcnt vmcnt(0)
	v_lshlrev_b32_e32 v2, 16, v2
	v_sub_f32_e32 v2, v2, v5
	v_mul_f32_e32 v2, v17, v2
	v_lshrrev_b32_e32 v9, 16, v2
.LBB46_91:
	s_or_b64 exec, exec, s[6:7]
	s_mov_b32 s6, 0x5040100
	v_accvgpr_read_b32 v5, a3
	v_perm_b32 v33, v9, v15, s6
	v_or_b32_e32 v9, v19, v24
	v_accvgpr_read_b32 v4, a2
	v_accvgpr_read_b32 v3, a1
	;; [unrolled: 1-line block ×3, first 2 shown]
	v_perm_b32 v32, v13, v11, s6
	v_lshlrev_b32_e32 v9, 1, v9
	v_mov_b32_e32 v13, 0
	v_mov_b32_e32 v11, 0
	ds_write_b64 v9, v[32:33] offset:24576
	s_and_saveexec_b64 s[6:7], vcc
	s_cbranch_execz .LBB46_93
; %bb.92:
	v_mov_b32_e32 v11, 0
	v_lshl_add_u64 v[10:11], v[6:7], 0, v[10:11]
	global_load_ushort v9, v[10:11], off offset:96
	s_waitcnt vmcnt(0)
	v_lshlrev_b32_e32 v9, 16, v9
	v_sub_f32_e32 v2, v9, v2
	v_mul_f32_e32 v2, v20, v2
	v_lshrrev_b32_e32 v11, 16, v2
.LBB46_93:
	s_or_b64 exec, exec, s[6:7]
	s_and_saveexec_b64 s[6:7], s[0:1]
	s_cbranch_execz .LBB46_95
; %bb.94:
	v_mov_b32_e32 v13, 0
	v_lshl_add_u64 v[12:13], v[6:7], 0, v[12:13]
	global_load_ushort v2, v[12:13], off offset:96
	s_waitcnt vmcnt(0)
	v_lshlrev_b32_e32 v2, 16, v2
	v_sub_f32_e32 v2, v2, v3
	v_mul_f32_e32 v2, v16, v2
	v_lshrrev_b32_e32 v13, 16, v2
.LBB46_95:
	s_or_b64 exec, exec, s[6:7]
	v_mov_b32_e32 v9, 0
	v_mov_b32_e32 v12, 0
	s_and_saveexec_b64 s[0:1], s[2:3]
	s_cbranch_execz .LBB46_97
; %bb.96:
	v_mov_b32_e32 v15, 0
	v_lshl_add_u64 v[2:3], v[6:7], 0, v[14:15]
	global_load_ushort v2, v[2:3], off offset:96
	s_waitcnt vmcnt(0)
	v_lshlrev_b32_e32 v2, 16, v2
	v_sub_f32_e32 v2, v2, v4
	v_mul_f32_e32 v2, v22, v2
	v_lshrrev_b32_e32 v12, 16, v2
.LBB46_97:
	s_or_b64 exec, exec, s[0:1]
	v_or_b32_e32 v10, 0x6000, v28
	v_or_b32_e32 v4, 0x6000, v29
	;; [unrolled: 1-line block ×4, first 2 shown]
	s_and_saveexec_b64 s[0:1], s[4:5]
	s_cbranch_execz .LBB46_99
; %bb.98:
	v_mov_b32_e32 v9, 0
	v_lshl_add_u64 v[6:7], v[6:7], 0, v[8:9]
	global_load_ushort v6, v[6:7], off offset:96
	s_waitcnt vmcnt(0)
	v_lshlrev_b32_e32 v6, 16, v6
	v_sub_f32_e32 v5, v6, v5
	v_mul_f32_e32 v5, v17, v5
	v_lshrrev_b32_e32 v9, 16, v5
.LBB46_99:
	s_or_b64 exec, exec, s[0:1]
	s_mov_b32 s0, 0x5040100
	v_or_b32_e32 v5, v19, v21
	v_perm_b32 v7, v9, v12, s0
	v_perm_b32 v6, v13, v11, s0
	v_lshlrev_b32_e32 v5, 1, v5
	s_movk_i32 s0, 0x100
	ds_write_b64 v5, v[6:7] offset:24576
	v_and_b32_e32 v5, 7, v0
	v_and_b32_e32 v6, 8, v0
	v_cmp_gt_u32_e32 vcc, s0, v0
	v_lshrrev_b32_e32 v0, 1, v0
	v_mov_b32_e32 v7, 0xa000
	v_mov_b32_e32 v8, 0x8000
	v_lshlrev_b32_e32 v26, 3, v72
	v_and_b32_e32 v0, 24, v0
	v_cndmask_b32_e32 v19, v7, v8, vcc
	v_xor_b32_e32 v7, v26, v0
	v_or_b32_e32 v8, 0x440, v7
	v_cmp_eq_u32_e32 vcc, 0, v6
	v_lshlrev_b32_e32 v11, 3, v5
	v_lshlrev_b32_e32 v5, 7, v5
	v_cndmask_b32_e32 v6, v8, v7, vcc
	v_or_b32_e32 v6, v6, v27
	v_xad_u32 v32, v6, v11, v5
	v_add_u32_e32 v6, v19, v32
	s_waitcnt lgkmcnt(0)
	s_barrier
	ds_read_b64 v[16:17], v6
	ds_read2_b64 v[6:9], v10 offset1:16
	ds_read2_b64 v[12:15], v10 offset0:32 offset1:48
	v_or_b32_e32 v20, 32, v0
	v_xor_b32_e32 v20, v26, v20
	v_or_b32_e32 v21, 0x440, v20
	v_cndmask_b32_e32 v20, v21, v20, vcc
	s_waitcnt lgkmcnt(1)
	v_mfma_f32_16x16x16_bf16 a[0:3], v[16:17], v[6:7], 0
	v_or_b32_e32 v20, v20, v27
	v_xad_u32 v33, v20, v11, v5
	v_add_u32_e32 v20, v19, v33
	v_mfma_f32_16x16x16_bf16 a[4:7], v[16:17], v[8:9], 0
	ds_read_b64 v[24:25], v20
	ds_read2st64_b64 v[28:31], v4 offset0:4 offset1:8
	ds_read2st64_b64 v[66:69], v3 offset0:4 offset1:8
	s_waitcnt lgkmcnt(3)
	v_mfma_f32_16x16x16_bf16 a[8:11], v[16:17], v[12:13], 0
	ds_read2st64_b64 v[70:73], v2 offset0:4 offset1:8
	v_mfma_f32_16x16x16_bf16 a[12:15], v[16:17], v[14:15], 0
	v_or_b32_e32 v16, 64, v0
	v_xor_b32_e32 v16, v26, v16
	v_xor_b32_e32 v17, 0x440, v16
	v_cndmask_b32_e32 v16, v17, v16, vcc
	v_or_b32_e32 v16, v16, v27
	v_xad_u32 v74, v16, v11, v5
	v_add_u32_e32 v16, v19, v74
	ds_read_b64 v[16:17], v16
	ds_read2st64_b64 v[20:23], v10 offset0:4 offset1:8
	v_or_b32_e32 v0, 0x60, v0
	v_xor_b32_e32 v0, v26, v0
	s_waitcnt lgkmcnt(0)
	v_mfma_f32_16x16x16_bf16 a[0:3], v[24:25], v[20:21], a[0:3]
	v_mfma_f32_16x16x16_bf16 a[4:7], v[24:25], v[28:29], a[4:7]
	;; [unrolled: 1-line block ×4, first 2 shown]
	v_xor_b32_e32 v24, 0x440, v0
	v_cndmask_b32_e32 v0, v24, v0, vcc
	v_or_b32_e32 v0, v0, v27
	v_xad_u32 v26, v0, v11, v5
	v_add_u32_e32 v0, v19, v26
	v_mfma_f32_16x16x16_bf16 a[0:3], v[16:17], v[22:23], a[0:3]
	ds_read_b64 v[24:25], v0
	ds_read_b64 v[10:11], v10 offset:6144
	v_exp_f32_e32 v0, s12
	v_mfma_f32_16x16x16_bf16 a[4:7], v[16:17], v[30:31], a[4:7]
	v_mfma_f32_16x16x16_bf16 a[8:11], v[16:17], v[68:69], a[8:11]
	;; [unrolled: 1-line block ×3, first 2 shown]
	ds_read_b64 v[4:5], v4 offset:6144
	ds_read_b64 v[16:17], v3 offset:6144
	;; [unrolled: 1-line block ×3, first 2 shown]
	s_waitcnt lgkmcnt(3)
	v_mfma_f32_16x16x16_bf16 a[0:3], v[24:25], v[10:11], a[0:3]
	s_waitcnt lgkmcnt(2)
	v_mfma_f32_16x16x16_bf16 a[4:7], v[24:25], v[4:5], a[4:7]
	;; [unrolled: 2-line block ×4, first 2 shown]
	ds_read_b64 v[24:25], v32 offset:40960
	s_waitcnt lgkmcnt(0)
	v_mfma_f32_16x16x16_bf16 a[16:19], v[24:25], v[6:7], 0
	ds_read_b64 v[6:7], v33 offset:40960
	v_mfma_f32_16x16x16_bf16 a[20:23], v[24:25], v[8:9], 0
	ds_read_b64 v[8:9], v74 offset:40960
	v_mfma_f32_16x16x16_bf16 a[24:27], v[24:25], v[12:13], 0
	v_accvgpr_read_b32 v13, a3
	v_accvgpr_read_b32 v12, a2
	v_pk_fma_f32 v[64:65], v[0:1], v[64:65], v[12:13] op_sel_hi:[0,1,1]
	v_mfma_f32_16x16x16_bf16 a[28:31], v[24:25], v[14:15], 0
	ds_read_b64 v[12:13], v26 offset:40960
	v_accvgpr_read_b32 v15, a7
	v_accvgpr_read_b32 v14, a6
	s_waitcnt lgkmcnt(2)
	v_mfma_f32_16x16x16_bf16 a[16:19], v[6:7], v[20:21], a[16:19]
	v_accvgpr_read_b32 v21, a15
	v_accvgpr_read_b32 v20, a14
	v_pk_fma_f32 v[56:57], v[0:1], v[56:57], v[14:15] op_sel_hi:[0,1,1]
	v_mfma_f32_16x16x16_bf16 a[20:23], v[6:7], v[28:29], a[20:23]
	v_pk_fma_f32 v[40:41], v[0:1], v[40:41], v[20:21] op_sel_hi:[0,1,1]
	v_mfma_f32_16x16x16_bf16 a[24:27], v[6:7], v[66:67], a[24:27]
	v_mfma_f32_16x16x16_bf16 a[28:31], v[6:7], v[70:71], a[28:31]
	v_accvgpr_read_b32 v7, a11
	v_accvgpr_read_b32 v6, a10
	v_pk_fma_f32 v[48:49], v[0:1], v[48:49], v[6:7] op_sel_hi:[0,1,1]
	s_waitcnt lgkmcnt(1)
	v_mfma_f32_16x16x16_bf16 a[16:19], v[8:9], v[22:23], a[16:19]
	v_accvgpr_read_b32 v23, a1
	v_accvgpr_read_b32 v22, a0
	v_pk_fma_f32 v[62:63], v[0:1], v[62:63], v[22:23] op_sel_hi:[0,1,1]
	v_mfma_f32_16x16x16_bf16 a[0:3], v[8:9], v[30:31], a[20:23]
	v_accvgpr_read_b32 v23, a5
	v_accvgpr_read_b32 v22, a4
	;; [unrolled: 1-line block ×3, first 2 shown]
	v_mfma_f32_16x16x16_bf16 a[20:23], v[8:9], v[68:69], a[24:27]
	v_accvgpr_read_b32 v7, a13
	v_pk_fma_f32 v[38:39], v[0:1], v[38:39], v[6:7] op_sel_hi:[0,1,1]
	v_pk_fma_f32 v[54:55], v[0:1], v[54:55], v[22:23] op_sel_hi:[0,1,1]
	v_mfma_f32_16x16x16_bf16 a[4:7], v[8:9], v[72:73], a[28:31]
	v_accvgpr_read_b32 v8, a8
	v_accvgpr_read_b32 v9, a9
	v_pk_fma_f32 v[46:47], v[0:1], v[46:47], v[8:9] op_sel_hi:[0,1,1]
	s_waitcnt lgkmcnt(0)
	v_mfma_f32_16x16x16_bf16 a[8:11], v[12:13], v[10:11], a[16:19]
	v_mfma_f32_16x16x16_bf16 a[0:3], v[12:13], v[4:5], a[0:3]
	s_nop 5
	v_accvgpr_read_b32 v5, a11
	v_accvgpr_read_b32 v4, a10
	v_mfma_f32_16x16x16_bf16 a[10:13], v[12:13], v[16:17], a[20:23]
	v_pk_fma_f32 v[60:61], v[0:1], v[60:61], v[4:5] op_sel_hi:[0,1,1]
	v_accvgpr_read_b32 v7, a3
	v_accvgpr_read_b32 v6, a2
	v_mfma_f32_16x16x16_bf16 a[2:5], v[12:13], v[2:3], a[4:7]
	v_accvgpr_read_b32 v5, a1
	v_accvgpr_read_b32 v4, a0
	v_pk_fma_f32 v[50:51], v[0:1], v[50:51], v[4:5] op_sel_hi:[0,1,1]
	v_accvgpr_read_b32 v4, a10
	v_accvgpr_read_b32 v5, a11
	;; [unrolled: 1-line block ×3, first 2 shown]
	v_pk_fma_f32 v[42:43], v[0:1], v[42:43], v[4:5] op_sel_hi:[0,1,1]
	v_accvgpr_read_b32 v5, a3
	v_accvgpr_read_b32 v9, a13
	;; [unrolled: 1-line block ×7, first 2 shown]
	v_pk_fma_f32 v[58:59], v[0:1], v[58:59], v[10:11] op_sel_hi:[0,1,1]
	v_pk_fma_f32 v[52:53], v[0:1], v[52:53], v[6:7] op_sel_hi:[0,1,1]
	;; [unrolled: 1-line block ×5, first 2 shown]
	v_mov_b32_e32 v2, v18
.LBB46_100:
	s_lshl_b64 s[0:1], s[24:25], 15
	s_waitcnt lgkmcnt(0)
	s_add_u32 s0, s28, s0
	v_lshlrev_b32_e32 v2, 7, v2
	s_addc_u32 s1, s29, s1
	v_ashrrev_i32_e32 v3, 31, v2
	v_lshl_add_u64 v[4:5], v[2:3], 1, s[0:1]
	v_lshlrev_b32_e32 v0, 1, v1
	v_mov_b32_e32 v1, 0
	s_mov_b32 s2, 0x7060302
	v_lshl_add_u64 v[4:5], v[4:5], 0, v[0:1]
	v_perm_b32 v7, v65, v64, s2
	v_perm_b32 v6, v63, v62, s2
	global_store_dwordx2 v[4:5], v[6:7], off
	v_perm_b32 v7, v61, v60, s2
	v_perm_b32 v6, v59, v58, s2
	global_store_dwordx2 v[4:5], v[6:7], off offset:128
	v_or_b32_e32 v4, 0x800, v2
	v_ashrrev_i32_e32 v5, 31, v4
	v_lshl_add_u64 v[4:5], v[4:5], 1, s[0:1]
	v_lshl_add_u64 v[4:5], v[4:5], 0, v[0:1]
	v_perm_b32 v7, v57, v56, s2
	v_perm_b32 v6, v55, v54, s2
	global_store_dwordx2 v[4:5], v[6:7], off
	v_perm_b32 v7, v53, v52, s2
	v_perm_b32 v6, v51, v50, s2
	global_store_dwordx2 v[4:5], v[6:7], off offset:128
	v_or_b32_e32 v4, 0x1000, v2
	v_or_b32_e32 v2, 0x1800, v2
	v_ashrrev_i32_e32 v5, 31, v4
	v_ashrrev_i32_e32 v3, 31, v2
	v_lshl_add_u64 v[4:5], v[4:5], 1, s[0:1]
	v_lshl_add_u64 v[2:3], v[2:3], 1, s[0:1]
	;; [unrolled: 1-line block ×3, first 2 shown]
	v_perm_b32 v7, v49, v48, s2
	v_perm_b32 v6, v47, v46, s2
	v_lshl_add_u64 v[0:1], v[2:3], 0, v[0:1]
	v_perm_b32 v3, v41, v40, s2
	v_perm_b32 v2, v39, v38, s2
	global_store_dwordx2 v[4:5], v[6:7], off
	v_perm_b32 v7, v45, v44, s2
	v_perm_b32 v6, v43, v42, s2
	global_store_dwordx2 v[0:1], v[2:3], off
	v_perm_b32 v3, v35, v34, s2
	v_perm_b32 v2, v37, v36, s2
	global_store_dwordx2 v[4:5], v[6:7], off offset:128
	global_store_dwordx2 v[0:1], v[2:3], off offset:128
	s_endpgm
	.section	.rodata,"a",@progbits
	.p2align	6, 0x0
	.amdhsa_kernel _ZN12_GLOBAL__N_139chunk_gated_delta_rule_fwd_h_hip_kernelILi64ELb0ELb1ELb0ELb0ELb1ELb0ELb1ELb1EEEvPK12hip_bfloat16S3_S3_PKfS5_PKvPS1_S8_PvPKiSB_iiiiilll
		.amdhsa_group_segment_fixed_size 65536
		.amdhsa_private_segment_fixed_size 0
		.amdhsa_kernarg_size 136
		.amdhsa_user_sgpr_count 2
		.amdhsa_user_sgpr_dispatch_ptr 0
		.amdhsa_user_sgpr_queue_ptr 0
		.amdhsa_user_sgpr_kernarg_segment_ptr 1
		.amdhsa_user_sgpr_dispatch_id 0
		.amdhsa_user_sgpr_kernarg_preload_length 0
		.amdhsa_user_sgpr_kernarg_preload_offset 0
		.amdhsa_user_sgpr_private_segment_size 0
		.amdhsa_uses_dynamic_stack 0
		.amdhsa_enable_private_segment 0
		.amdhsa_system_sgpr_workgroup_id_x 1
		.amdhsa_system_sgpr_workgroup_id_y 1
		.amdhsa_system_sgpr_workgroup_id_z 0
		.amdhsa_system_sgpr_workgroup_info 0
		.amdhsa_system_vgpr_workitem_id 0
		.amdhsa_next_free_vgpr 216
		.amdhsa_next_free_sgpr 65
		.amdhsa_accum_offset 180
		.amdhsa_reserve_vcc 1
		.amdhsa_float_round_mode_32 0
		.amdhsa_float_round_mode_16_64 0
		.amdhsa_float_denorm_mode_32 3
		.amdhsa_float_denorm_mode_16_64 3
		.amdhsa_dx10_clamp 1
		.amdhsa_ieee_mode 1
		.amdhsa_fp16_overflow 0
		.amdhsa_tg_split 0
		.amdhsa_exception_fp_ieee_invalid_op 0
		.amdhsa_exception_fp_denorm_src 0
		.amdhsa_exception_fp_ieee_div_zero 0
		.amdhsa_exception_fp_ieee_overflow 0
		.amdhsa_exception_fp_ieee_underflow 0
		.amdhsa_exception_fp_ieee_inexact 0
		.amdhsa_exception_int_div_zero 0
	.end_amdhsa_kernel
	.section	.text._ZN12_GLOBAL__N_139chunk_gated_delta_rule_fwd_h_hip_kernelILi64ELb0ELb1ELb0ELb0ELb1ELb0ELb1ELb1EEEvPK12hip_bfloat16S3_S3_PKfS5_PKvPS1_S8_PvPKiSB_iiiiilll,"axG",@progbits,_ZN12_GLOBAL__N_139chunk_gated_delta_rule_fwd_h_hip_kernelILi64ELb0ELb1ELb0ELb0ELb1ELb0ELb1ELb1EEEvPK12hip_bfloat16S3_S3_PKfS5_PKvPS1_S8_PvPKiSB_iiiiilll,comdat
.Lfunc_end46:
	.size	_ZN12_GLOBAL__N_139chunk_gated_delta_rule_fwd_h_hip_kernelILi64ELb0ELb1ELb0ELb0ELb1ELb0ELb1ELb1EEEvPK12hip_bfloat16S3_S3_PKfS5_PKvPS1_S8_PvPKiSB_iiiiilll, .Lfunc_end46-_ZN12_GLOBAL__N_139chunk_gated_delta_rule_fwd_h_hip_kernelILi64ELb0ELb1ELb0ELb0ELb1ELb0ELb1ELb1EEEvPK12hip_bfloat16S3_S3_PKfS5_PKvPS1_S8_PvPKiSB_iiiiilll
                                        ; -- End function
	.section	.AMDGPU.csdata,"",@progbits
; Kernel info:
; codeLenInByte = 12192
; NumSgprs: 71
; NumVgprs: 178
; NumAgprs: 36
; TotalNumVgprs: 216
; ScratchSize: 0
; MemoryBound: 0
; FloatMode: 240
; IeeeMode: 1
; LDSByteSize: 65536 bytes/workgroup (compile time only)
; SGPRBlocks: 8
; VGPRBlocks: 26
; NumSGPRsForWavesPerEU: 71
; NumVGPRsForWavesPerEU: 216
; AccumOffset: 180
; Occupancy: 1
; WaveLimiterHint : 1
; COMPUTE_PGM_RSRC2:SCRATCH_EN: 0
; COMPUTE_PGM_RSRC2:USER_SGPR: 2
; COMPUTE_PGM_RSRC2:TRAP_HANDLER: 0
; COMPUTE_PGM_RSRC2:TGID_X_EN: 1
; COMPUTE_PGM_RSRC2:TGID_Y_EN: 1
; COMPUTE_PGM_RSRC2:TGID_Z_EN: 0
; COMPUTE_PGM_RSRC2:TIDIG_COMP_CNT: 0
; COMPUTE_PGM_RSRC3_GFX90A:ACCUM_OFFSET: 44
; COMPUTE_PGM_RSRC3_GFX90A:TG_SPLIT: 0
	.section	.text._ZN12_GLOBAL__N_139chunk_gated_delta_rule_fwd_h_hip_kernelILi64ELb0ELb0ELb1ELb0ELb1ELb0ELb1ELb1EEEvPK12hip_bfloat16S3_S3_PKfS5_PKvPS1_S8_PvPKiSB_iiiiilll,"axG",@progbits,_ZN12_GLOBAL__N_139chunk_gated_delta_rule_fwd_h_hip_kernelILi64ELb0ELb0ELb1ELb0ELb1ELb0ELb1ELb1EEEvPK12hip_bfloat16S3_S3_PKfS5_PKvPS1_S8_PvPKiSB_iiiiilll,comdat
	.globl	_ZN12_GLOBAL__N_139chunk_gated_delta_rule_fwd_h_hip_kernelILi64ELb0ELb0ELb1ELb0ELb1ELb0ELb1ELb1EEEvPK12hip_bfloat16S3_S3_PKfS5_PKvPS1_S8_PvPKiSB_iiiiilll ; -- Begin function _ZN12_GLOBAL__N_139chunk_gated_delta_rule_fwd_h_hip_kernelILi64ELb0ELb0ELb1ELb0ELb1ELb0ELb1ELb1EEEvPK12hip_bfloat16S3_S3_PKfS5_PKvPS1_S8_PvPKiSB_iiiiilll
	.p2align	8
	.type	_ZN12_GLOBAL__N_139chunk_gated_delta_rule_fwd_h_hip_kernelILi64ELb0ELb0ELb1ELb0ELb1ELb0ELb1ELb1EEEvPK12hip_bfloat16S3_S3_PKfS5_PKvPS1_S8_PvPKiSB_iiiiilll,@function
_ZN12_GLOBAL__N_139chunk_gated_delta_rule_fwd_h_hip_kernelILi64ELb0ELb0ELb1ELb0ELb1ELb0ELb1ELb1EEEvPK12hip_bfloat16S3_S3_PKfS5_PKvPS1_S8_PvPKiSB_iiiiilll: ; @_ZN12_GLOBAL__N_139chunk_gated_delta_rule_fwd_h_hip_kernelILi64ELb0ELb0ELb1ELb0ELb1ELb0ELb1ELb1EEEvPK12hip_bfloat16S3_S3_PKfS5_PKvPS1_S8_PvPKiSB_iiiiilll
; %bb.0:
	s_load_dwordx4 s[16:19], s[0:1], 0x5c
	s_load_dwordx4 s[12:15], s[0:1], 0x30
	s_abs_i32 s22, s3
	s_ashr_i32 s21, s3, 31
	s_load_dwordx8 s[4:11], s[0:1], 0x0
	s_waitcnt lgkmcnt(0)
	s_abs_i32 s20, s17
	v_cvt_f32_u32_e32 v1, s20
	s_sub_i32 s24, 0, s20
	s_ashr_i32 s23, s17, 31
	s_xor_b32 s21, s21, s23
	v_rcp_iflag_f32_e32 v1, v1
	v_lshrrev_b32_e32 v76, 6, v0
	v_bfe_u32 v77, v0, 4, 2
	v_lshlrev_b32_e32 v2, 2, v77
	v_mul_f32_e32 v1, 0x4f7ffffe, v1
	v_cvt_u32_f32_e32 v1, v1
	v_and_b32_e32 v75, 63, v0
	v_mov_b32_e32 v35, 0
	v_and_b32_e32 v74, 15, v0
	v_readfirstlane_b32 s25, v1
	s_mul_i32 s24, s24, s25
	s_mul_hi_u32 s24, s25, s24
	s_add_i32 s25, s25, s24
	s_mul_hi_u32 s24, s22, s25
	s_mul_i32 s25, s24, s20
	s_sub_i32 s22, s22, s25
	s_add_i32 s26, s24, 1
	s_sub_i32 s25, s22, s20
	s_cmp_ge_u32 s22, s20
	s_cselect_b32 s24, s26, s24
	s_cselect_b32 s22, s25, s22
	s_add_i32 s25, s24, 1
	s_cmp_ge_u32 s22, s20
	s_cselect_b32 s22, s25, s24
	s_xor_b32 s22, s22, s21
	s_sub_i32 s47, s22, s21
	s_abs_i32 s21, s18
	v_cvt_f32_u32_e32 v1, s21
	s_add_i32 s24, s16, 63
	s_mul_i32 s45, s47, s17
	s_sub_i32 s33, s3, s45
	v_rcp_iflag_f32_e32 v1, v1
	s_ashr_i32 s3, s24, 31
	s_ashr_i32 s46, s16, 31
	s_lshr_b32 s3, s3, 26
	v_mul_f32_e32 v1, 0x4f7ffffe, v1
	v_cvt_u32_f32_e32 v1, v1
	s_lshr_b32 s22, s46, 26
	s_add_i32 s24, s24, s3
	s_add_i32 s22, s16, s22
	s_ashr_i32 s49, s18, 31
	s_ashr_i32 s3, s24, 6
	;; [unrolled: 1-line block ×3, first 2 shown]
	s_xor_b32 s22, s23, s49
	s_sub_i32 s23, 0, s21
	v_readfirstlane_b32 s24, v1
	s_mul_i32 s23, s23, s24
	s_mul_hi_u32 s23, s24, s23
	s_add_i32 s24, s24, s23
	s_mul_hi_u32 s23, s20, s24
	s_mul_i32 s24, s23, s21
	s_sub_i32 s20, s20, s24
	s_add_i32 s24, s23, 1
	s_sub_i32 s25, s20, s21
	s_cmp_ge_u32 s20, s21
	s_cselect_b32 s23, s24, s23
	s_cselect_b32 s20, s25, s20
	s_add_i32 s24, s23, 1
	s_cmp_ge_u32 s20, s21
	s_cselect_b32 s20, s24, s23
	s_xor_b32 s20, s20, s22
	s_sub_i32 s24, s20, s22
	s_abs_i32 s25, s24
	v_cvt_f32_u32_e32 v1, s25
	s_load_dwordx2 s[34:35], s[0:1], 0x80
	s_load_dwordx4 s[20:23], s[0:1], 0x70
	s_xor_b32 s0, s33, s24
	s_sub_i32 s24, 0, s25
	v_rcp_iflag_f32_e32 v1, v1
	s_abs_i32 s1, s33
	s_ashr_i32 s0, s0, 31
	s_mul_i32 s50, s47, s3
	v_mul_f32_e32 v1, 0x4f7ffffe, v1
	v_cvt_u32_f32_e32 v1, v1
	s_mul_hi_i32 s51, s47, s17
	v_lshrrev_b32_e32 v79, 3, v75
	v_lshlrev_b32_e32 v78, 3, v0
	v_readfirstlane_b32 s26, v1
	s_mul_i32 s24, s24, s26
	s_mul_hi_u32 s24, s26, s24
	s_add_i32 s26, s26, s24
	s_mul_hi_u32 s24, s1, s26
	s_mul_i32 s26, s24, s25
	s_sub_i32 s1, s1, s26
	s_add_i32 s26, s24, 1
	s_sub_i32 s27, s1, s25
	s_cmp_ge_u32 s1, s25
	s_cselect_b32 s24, s26, s24
	s_cselect_b32 s1, s27, s1
	s_add_i32 s26, s24, 1
	s_cmp_ge_u32 s1, s25
	s_cselect_b32 s1, s26, s24
	s_xor_b32 s1, s1, s0
	v_lshlrev_b32_e32 v1, 4, v76
	s_sub_i32 s52, s1, s0
	v_or_b32_e32 v80, v2, v1
	s_lshl_b32 s36, s2, 6
	v_or_b32_e32 v81, 64, v80
	s_cmp_lt_i32 s16, 64
	s_waitcnt lgkmcnt(0)
	s_mul_i32 s21, s47, s21
	s_mul_hi_u32 s44, s47, s20
	s_mul_i32 s38, s47, s20
	v_mov_b32_e32 v34, v35
	v_mov_b32_e32 v41, v35
	;; [unrolled: 1-line block ×31, first 2 shown]
	s_cbranch_scc1 .LBB47_18
; %bb.1:
	s_ashr_i32 s28, s47, 31
	s_ashr_i32 s54, s33, 31
	s_add_u32 s0, s45, s33
	s_addc_u32 s1, s51, s54
	s_mul_i32 s1, s16, s1
	s_mul_hi_u32 s2, s16, s0
	s_add_i32 s3, s2, s1
	s_mul_i32 s2, s16, s0
	s_lshl_b64 s[0:1], s[2:3], 8
	v_and_b32_e32 v83, 56, v78
	s_add_u32 s24, s6, s0
	v_lshl_or_b32 v82, v76, 3, v79
	v_lshlrev_b32_e32 v3, 1, v83
	s_addc_u32 s0, s7, s1
	v_lshl_or_b32 v84, v82, 8, v3
	s_and_b32 s25, s0, 0xffff
	s_mov_b32 s27, 0x20000
	s_movk_i32 s26, 0x4000
	s_movk_i32 s0, 0x80
	v_or_b32_e32 v85, 0x2000, v84
	buffer_load_dwordx4 v[4:7], v84, s[24:27], 0 offen
	buffer_load_dwordx4 v[8:11], v84, s[24:27], s0 offen
	;; [unrolled: 1-line block ×4, first 2 shown]
	v_lshlrev_b32_e32 v20, 3, v82
	v_and_or_b32 v22, v0, 7, v20
	v_and_b32_e32 v20, 0x78, v20
	v_lshlrev_b32_e32 v22, 4, v22
	v_xor_b32_e32 v86, v22, v20
	v_mul_lo_u32 v21, v82, s19
	v_or_b32_e32 v87, 0x1000, v86
	s_cmpk_eq_i32 s19, 0x80
	s_mov_b32 s53, s18
	v_xor_b32_e32 v20, 8, v86
	v_xor_b32_e32 v22, 8, v87
	s_cselect_b64 s[0:1], -1, 0
	s_cmpk_lg_i32 s19, 0x80
	s_waitcnt vmcnt(3)
	ds_write_b64 v86, v[4:5] offset:49152
	ds_write_b64 v20, v[6:7] offset:49152
	s_waitcnt vmcnt(2)
	ds_write_b64 v86, v[8:9] offset:57344
	ds_write_b64 v20, v[10:11] offset:57344
	;; [unrolled: 3-line block ×4, first 2 shown]
	v_lshl_add_u32 v4, v21, 1, v83
	s_cbranch_scc0 .LBB47_3
; %bb.2:
	v_lshlrev_b32_e32 v6, 1, v4
	v_add_lshl_u32 v5, v4, s19, 1
	s_lshl_b32 s26, s19, 7
	v_lshl_or_b32 v3, v82, 9, v3
	s_cbranch_execz .LBB47_4
	s_branch .LBB47_5
.LBB47_3:
                                        ; implicit-def: $vgpr5
                                        ; implicit-def: $vgpr6
                                        ; implicit-def: $sgpr26
	v_lshl_or_b32 v3, v82, 9, v3
.LBB47_4:
	v_or_b32_e32 v5, 0x100, v3
	s_movk_i32 s26, 0x4000
	v_mov_b32_e32 v6, v3
.LBB47_5:
	s_mul_hi_u32 s24, s18, s16
	s_mul_i32 s25, s49, s16
	s_add_i32 s24, s24, s25
	s_mul_i32 s25, s18, s16
	s_mul_i32 s27, s25, s28
	s_mul_hi_u32 s29, s25, s47
	s_add_i32 s27, s29, s27
	s_mul_i32 s24, s24, s47
	s_add_i32 s27, s27, s24
	s_mul_i32 s25, s25, s47
	s_ashr_i32 s55, s52, 31
	s_add_u32 s24, s25, s52
	s_addc_u32 s25, s27, s55
	s_lshl_b64 s[24:25], s[24:25], 8
	s_add_u32 s24, s4, s24
	s_addc_u32 s25, s5, s25
	s_and_b32 s25, s25, 0xffff
	s_mov_b32 s27, 0x20000
	s_movk_i32 s56, 0x80
	buffer_load_dwordx4 v[8:11], v6, s[24:27], 0 offen
	buffer_load_dwordx4 v[12:15], v6, s[24:27], s56 offen
	;; [unrolled: 1-line block ×4, first 2 shown]
	v_and_b32_e32 v5, 6, v0
	v_lshlrev_b32_e32 v6, 7, v80
	v_xor_b32_e32 v27, v82, v5
	v_and_b32_e32 v7, 1, v0
	v_lshl_or_b32 v30, v74, 3, v6
	v_lshlrev_b32_e32 v27, 2, v27
	v_or_b32_e32 v88, 0x4000, v30
	v_or_b32_e32 v89, 0x6000, v30
	v_xor_b32_e32 v30, 0x440, v27
	v_cmp_eq_u32_e32 vcc, 0, v7
	v_lshlrev_b32_e32 v24, 2, v74
	s_mov_b32 s58, 0x1000504
	v_cndmask_b32_e32 v7, v30, v27, vcc
	v_xor_b32_e32 v28, v80, v24
	v_xor_b32_e32 v29, v81, v24
	v_lshl_or_b32 v5, v5, 10, v7
	s_mov_b32 s59, 0x3020706
	s_mul_i32 s24, s28, s16
	s_mul_hi_u32 s25, s47, s16
	v_lshlrev_b32_e32 v25, 8, v74
	v_or_b32_e32 v26, 16, v74
	v_lshlrev_b32_e32 v28, 1, v28
	v_lshlrev_b32_e32 v29, 1, v29
	v_xor_b32_e32 v7, 8, v5
	v_xor_b32_e32 v27, 24, v5
	v_xor_b32_e32 v32, 40, v5
	v_xor_b32_e32 v34, 56, v5
	v_or_b32_e32 v91, v25, v28
	v_or_b32_e32 v92, v25, v29
	v_xor_b32_e32 v25, 16, v5
	v_xor_b32_e32 v30, 32, v5
	v_xor_b32_e32 v33, 48, v5
	v_add_u32_e32 v7, 0x80, v7
	v_add_u32_e32 v27, 0x80, v27
	;; [unrolled: 1-line block ×4, first 2 shown]
	s_add_i32 s61, s25, s24
	s_add_i32 s24, s44, s21
	s_mul_i32 s28, s28, s20
	s_add_i32 s39, s24, s28
	s_mul_i32 s24, s33, s23
	s_mul_hi_u32 s25, s33, s22
	s_add_i32 s24, s25, s24
	s_mul_i32 s25, s54, s22
	s_add_i32 s25, s24, s25
	s_lshl_b64 s[28:29], s[38:39], 2
	s_mul_i32 s24, s33, s22
	s_add_u32 s28, s10, s28
	s_addc_u32 s29, s11, s29
	s_lshl_b64 s[24:25], s[24:25], 2
	s_add_u32 s40, s28, s24
	s_movk_i32 s24, 0xf8
	s_addc_u32 s41, s29, s25
	s_ashr_i32 s37, s36, 31
	s_lshl_b32 s30, s19, 7
	s_movk_i32 s28, 0x100
	v_mov_b32_e32 v67, 0
	v_lshlrev_b32_e32 v66, 4, v74
	v_cmp_gt_u32_e32 vcc, s28, v0
	v_lshl_or_b32 v31, v26, 3, v6
	s_mov_b32 s57, 0
	s_mul_i32 s60, s47, s16
	v_or_b32_e32 v90, 0x4000, v31
	s_movk_i32 s26, 0x4000
	v_or_b32_e32 v93, 0x6000, v31
	v_add_u32_e32 v128, v1, v2
	s_movk_i32 s39, 0x2000
	s_movk_i32 s62, 0x3000
	s_mov_b32 s64, 0
	v_mov_b32_e32 v58, v67
	v_mov_b32_e32 v59, v67
	;; [unrolled: 1-line block ×9, first 2 shown]
	s_waitcnt vmcnt(1)
	v_perm_b32 v35, v8, v16, s58
	s_waitcnt vmcnt(0)
	v_perm_b32 v36, v12, v20, s58
	v_perm_b32 v8, v8, v16, s59
	;; [unrolled: 1-line block ×15, first 2 shown]
	ds_write2st64_b32 v5, v35, v36 offset0:128 offset1:160
	ds_write2st64_b32 v7, v8, v12 offset0:128 offset1:160
	ds_write2st64_b32 v25, v16, v20 offset0:129 offset1:161
	ds_write2st64_b32 v27, v9, v13 offset0:129 offset1:161
	ds_write2st64_b32 v30, v17, v21 offset0:130 offset1:162
	ds_write2st64_b32 v32, v10, v14 offset0:130 offset1:162
	ds_write2st64_b32 v33, v18, v22 offset0:131 offset1:163
	ds_write2st64_b32 v34, v11, v15 offset0:131 offset1:163
	v_lshlrev_b32_e32 v5, 8, v26
	v_or_b32_e32 v94, v5, v28
	v_or_b32_e32 v95, v5, v29
	;; [unrolled: 1-line block ×3, first 2 shown]
	v_lshl_or_b32 v7, v5, 3, v6
	v_lshlrev_b32_e32 v5, 8, v5
	v_or_b32_e32 v98, v5, v28
	v_or_b32_e32 v99, v5, v29
	;; [unrolled: 1-line block ×5, first 2 shown]
	v_lshl_or_b32 v7, v5, 3, v6
	v_lshlrev_b32_e32 v5, 8, v5
	v_or_b32_e32 v102, v5, v28
	v_or_b32_e32 v103, v5, v29
	v_or_b32_e32 v5, v1, v74
	v_lshlrev_b32_e32 v5, 3, v5
	v_lshrrev_b32_e32 v9, 5, v75
	v_and_or_b32 v9, v5, s24, v9
	v_lshlrev_b32_e32 v9, 4, v9
	v_or_b32_e32 v100, 0x4000, v7
	v_or_b32_e32 v101, 0x6000, v7
	v_lshlrev_b32_e32 v7, 11, v76
	v_and_b32_e32 v5, 0x78, v5
	v_or_b32_e32 v14, 32, v9
	v_and_b32_e32 v8, 0x1000, v7
	v_xor_b32_e32 v10, v9, v5
	v_lshrrev_b32_e32 v11, 1, v0
	v_xor_b32_e32 v14, v14, v5
	v_or_b32_e32 v10, v10, v8
	v_and_b32_e32 v12, 8, v11
	v_or_b32_e32 v14, v14, v8
	v_xor_b32_e32 v104, v10, v12
	v_lshlrev_b32_e32 v10, 8, v77
	v_xor_b32_e32 v106, v14, v12
	v_or_b32_e32 v14, 64, v9
	v_or_b32_e32 v9, 0x60, v9
	;; [unrolled: 1-line block ×3, first 2 shown]
	v_xor_b32_e32 v14, v14, v5
	v_xor_b32_e32 v5, v9, v5
	v_lshlrev_b32_e32 v13, 1, v13
	v_or_b32_e32 v14, v14, v8
	v_or_b32_e32 v5, v5, v8
	s_lshl_b64 s[24:25], s[36:37], 8
	v_or_b32_e32 v105, 0x4000, v13
	v_or_b32_e32 v107, 0x4080, v13
	;; [unrolled: 1-line block ×4, first 2 shown]
	v_xor_b32_e32 v110, v14, v12
	v_xor_b32_e32 v111, v5, v12
	v_or_b32_e32 v112, 0x6000, v13
	v_or_b32_e32 v113, 0x6080, v13
	;; [unrolled: 1-line block ×4, first 2 shown]
	v_lshlrev_b32_e32 v12, 1, v4
	v_add_lshl_u32 v13, v4, s19, 1
	s_add_u32 s24, s12, s24
	v_lshlrev_b32_e32 v4, 1, v74
	v_lshrrev_b32_e32 v15, 4, v0
	s_addc_u32 s25, s13, s25
	v_or_b32_e32 v5, 1, v4
	v_mov_b32_e32 v19, 0xa000
	v_mov_b32_e32 v20, 0x8000
	v_xor_b32_e32 v16, v15, v4
	v_xor_b32_e32 v17, v5, v15
	v_lshl_add_u64 v[4:5], s[24:25], 0, v[66:67]
	v_lshlrev_b32_e32 v66, 8, v15
	v_cndmask_b32_e32 v19, v19, v20, vcc
	v_lshlrev_b32_e32 v20, 3, v76
	v_and_b32_e32 v11, 24, v11
	v_lshl_or_b32 v116, v16, 3, v66
	v_and_b32_e32 v16, 8, v0
	v_xor_b32_e32 v21, v20, v11
	v_or_b32_e32 v22, 0x440, v21
	v_cmp_eq_u32_e32 vcc, 0, v16
	v_and_b32_e32 v15, 7, v0
	v_lshl_or_b32 v117, v17, 3, v66
	v_cndmask_b32_e32 v16, v22, v21, vcc
	v_lshlrev_b32_e32 v17, 3, v15
	v_lshlrev_b32_e32 v15, 7, v15
	v_or_b32_e32 v16, v16, v7
	v_lshlrev_b32_e32 v18, 2, v0
	v_xad_u32 v118, v16, v17, v15
	v_or_b32_e32 v16, 32, v11
	v_and_or_b32 v10, v18, 60, v10
	v_xor_b32_e32 v16, v20, v16
	v_lshlrev_b32_e32 v10, 1, v10
	v_or_b32_e32 v18, 0x440, v16
	v_or_b32_e32 v119, 0x6000, v10
	v_cndmask_b32_e32 v16, v18, v16, vcc
	v_or_b32_e32 v121, 0x6080, v10
	v_or_b32_e32 v122, 0x6100, v10
	;; [unrolled: 1-line block ×5, first 2 shown]
	v_xor_b32_e32 v10, v20, v10
	v_xad_u32 v120, v16, v17, v15
	v_xor_b32_e32 v16, 0x440, v10
	v_cndmask_b32_e32 v10, v16, v10, vcc
	v_or_b32_e32 v10, v10, v7
	v_xad_u32 v124, v10, v17, v15
	v_or_b32_e32 v10, 0x60, v11
	v_xor_b32_e32 v10, v20, v10
	v_xor_b32_e32 v11, 0x440, v10
	v_or_b32_e32 v8, s36, v74
	v_cndmask_b32_e32 v10, v11, v10, vcc
	v_ashrrev_i32_e32 v9, 31, v8
	v_or_b32_e32 v7, v10, v7
	v_or_b32_e32 v14, 0x100, v3
	v_xad_u32 v125, v7, v17, v15
	v_lshlrev_b64 v[8:9], 1, v[8:9]
	v_cndmask_b32_e64 v126, v12, v3, s[0:1]
	v_cndmask_b32_e64 v127, v13, v14, s[0:1]
	v_lshl_add_u64 v[68:69], s[8:9], 0, v[8:9]
	v_lshl_add_u64 v[70:71], s[14:15], 0, v[8:9]
	;; [unrolled: 1-line block ×3, first 2 shown]
	s_mov_b32 s37, 0x7060302
	v_lshlrev_b32_e32 v66, 1, v6
	v_add_u32_e32 v129, v19, v118
	v_add_u32_e32 v130, v19, v120
	;; [unrolled: 1-line block ×4, first 2 shown]
	v_mov_b32_e32 v51, v67
	v_mov_b32_e32 v52, v67
	;; [unrolled: 1-line block ×23, first 2 shown]
	s_waitcnt lgkmcnt(0)
	s_barrier
.LBB47_6:                               ; =>This Inner Loop Header: Depth=1
	s_add_i32 s63, s64, 1
	s_cmp_lt_i32 s63, s48
	s_mov_b64 s[28:29], 0
	s_cselect_b64 s[42:43], -1, 0
	s_cmp_ge_i32 s63, s48
	s_mov_b64 s[24:25], 0
	s_cbranch_scc1 .LBB47_8
; %bb.7:                                ;   in Loop: Header=BB47_6 Depth=1
	s_add_i32 s0, s57, 64
	s_add_u32 s0, s2, s0
	s_addc_u32 s1, s3, 0
	s_lshl_b64 s[0:1], s[0:1], 8
	s_add_u32 s24, s6, s0
	s_addc_u32 s25, s7, s1
.LBB47_8:                               ;   in Loop: Header=BB47_6 Depth=1
	v_cndmask_b32_e64 v2, 0, 1, s[42:43]
	v_cmp_ne_u32_e64 s[0:1], 1, v2
	s_andn2_b64 vcc, exec, s[42:43]
	s_cbranch_vccnz .LBB47_10
; %bb.9:                                ;   in Loop: Header=BB47_6 Depth=1
	s_add_i32 s28, s57, 64
	s_add_u32 s28, s60, s28
	s_addc_u32 s29, s61, 0
	s_mul_i32 s31, s28, s49
	s_mul_hi_u32 s42, s28, s53
	s_add_i32 s31, s42, s31
	s_mul_i32 s29, s29, s53
	s_add_i32 s31, s31, s29
	s_mul_i32 s28, s28, s53
	s_add_u32 s28, s28, s52
	s_addc_u32 s29, s31, s55
	s_lshl_b64 s[28:29], s[28:29], 8
	s_add_u32 s28, s4, s28
	s_addc_u32 s29, s5, s29
.LBB47_10:                              ;   in Loop: Header=BB47_6 Depth=1
	v_perm_b32 v3, v65, v64, s37
	v_perm_b32 v2, v63, v62, s37
	v_perm_b32 v5, v61, v60, s37
	v_perm_b32 v4, v59, v58, s37
	ds_write_b64 v88, v[2:3]
	ds_write_b64 v89, v[4:5]
	ds_write_b64 v91, v[2:3]
	ds_write_b64 v92, v[4:5]
	v_perm_b32 v3, v57, v56, s37
	v_perm_b32 v2, v55, v54, s37
	v_perm_b32 v5, v53, v52, s37
	v_perm_b32 v4, v51, v50, s37
	ds_write_b64 v90, v[2:3]
	ds_write_b64 v93, v[4:5]
	ds_write_b64 v94, v[2:3]
	ds_write_b64 v95, v[4:5]
	;; [unrolled: 8-line block ×4, first 2 shown]
	s_waitcnt lgkmcnt(0)
	s_barrier
	ds_read_b64 v[6:7], v104 offset:49152
	ds_read2_b64 v[2:5], v105 offset1:16
	ds_read_b64 v[18:19], v107 offset:6144
	ds_read_b64 v[20:21], v105 offset:6144
	s_waitcnt lgkmcnt(2)
	v_mfma_f32_16x16x16_bf16 a[0:3], v[6:7], v[2:3], 0
	ds_read_b64 v[22:23], v106 offset:49152
	ds_read2st64_b64 v[10:13], v108 offset0:4 offset1:8
	ds_read2st64_b64 v[14:17], v109 offset0:4 offset1:8
	v_mfma_f32_16x16x16_bf16 a[4:7], v[6:7], v[4:5], 0
	ds_read2_b64 v[2:5], v105 offset0:32 offset1:48
	s_add_i32 s31, s57, 63
	s_mul_i32 s42, s31, s35
	s_waitcnt lgkmcnt(0)
	v_mfma_f32_16x16x16_bf16 a[8:11], v[6:7], v[2:3], 0
	s_mul_hi_u32 s43, s31, s34
	s_add_i32 s43, s43, s42
	s_mul_i32 s42, s31, s34
	v_mfma_f32_16x16x16_bf16 a[12:15], v[6:7], v[4:5], 0
	ds_read2st64_b64 v[2:5], v105 offset0:4 offset1:8
	ds_read2st64_b64 v[6:9], v107 offset0:4 offset1:8
	s_lshl_b64 s[42:43], s[42:43], 2
	s_waitcnt lgkmcnt(1)
	v_mfma_f32_16x16x16_bf16 a[0:3], v[22:23], v[2:3], a[0:3]
	s_add_u32 s42, s40, s42
	s_addc_u32 s43, s41, s43
	s_and_b64 vcc, exec, s[0:1]
	s_waitcnt lgkmcnt(0)
	v_mfma_f32_16x16x16_bf16 a[4:7], v[22:23], v[6:7], a[4:7]
	v_mov_b32_e32 v135, 0
	v_mov_b32_e32 v134, 0
	;; [unrolled: 1-line block ×3, first 2 shown]
	v_mfma_f32_16x16x16_bf16 a[8:11], v[22:23], v[10:11], a[8:11]
	ds_read_b64 v[2:3], v110 offset:49152
	ds_read_b64 v[6:7], v111 offset:49152
	;; [unrolled: 1-line block ×3, first 2 shown]
	v_mfma_f32_16x16x16_bf16 a[12:15], v[22:23], v[14:15], a[12:15]
	v_mov_b32_e32 v14, 0
	v_mov_b32_e32 v15, 0
	s_waitcnt lgkmcnt(2)
	v_mfma_f32_16x16x16_bf16 a[0:3], v[2:3], v[4:5], a[0:3]
	v_mov_b32_e32 v4, 0
	v_mov_b32_e32 v5, 0
	v_mfma_f32_16x16x16_bf16 a[16:19], v[2:3], v[8:9], a[4:7]
	v_mov_b32_e32 v8, 0
	v_mov_b32_e32 v9, 0
	v_mfma_f32_16x16x16_bf16 a[20:23], v[2:3], v[12:13], a[8:11]
	v_mov_b32_e32 v12, 0
	v_mov_b32_e32 v13, 0
	v_mfma_f32_16x16x16_bf16 a[24:27], v[2:3], v[16:17], a[12:15]
	ds_read_b64 v[2:3], v108 offset:6144
	v_mov_b32_e32 v16, 0
	v_mov_b32_e32 v17, 0
	s_waitcnt lgkmcnt(2)
	v_mfma_f32_16x16x16_bf16 a[4:7], v[6:7], v[20:21], a[0:3]
	v_mfma_f32_16x16x16_bf16 a[8:11], v[6:7], v[18:19], a[16:19]
	s_waitcnt lgkmcnt(0)
	v_mfma_f32_16x16x16_bf16 a[12:15], v[6:7], v[2:3], a[20:23]
	v_mov_b32_e32 v2, 0
	v_mov_b32_e32 v3, 0
	v_mfma_f32_16x16x16_bf16 a[0:3], v[6:7], v[10:11], a[24:27]
	v_mov_b32_e32 v6, 0
	v_mov_b32_e32 v7, 0
	;; [unrolled: 1-line block ×4, first 2 shown]
	s_cbranch_vccnz .LBB47_12
; %bb.11:                               ;   in Loop: Header=BB47_6 Depth=1
	s_and_b32 s25, s25, 0xffff
	buffer_load_dwordx4 v[14:17], v84, s[24:27], 0 offen
	buffer_load_dwordx4 v[10:13], v84, s[24:27], s56 offen
	;; [unrolled: 1-line block ×4, first 2 shown]
	v_mov_b32_e32 v134, v86
	v_mov_b32_e32 v133, v87
.LBB47_12:                              ;   in Loop: Header=BB47_6 Depth=1
	ds_read_b64 v[30:31], v104 offset:57344
	ds_read2_b64 v[18:21], v112 offset1:16
	ds_read_b64 v[136:137], v106 offset:57344
	ds_read_b64 v[138:139], v110 offset:57344
	ds_read_b64 v[140:141], v111 offset:57344
	v_add_u32_e32 v32, s57, v128
	s_waitcnt lgkmcnt(3)
	v_mfma_f32_16x16x16_bf16 a[4:7], v[30:31], v[18:19], a[4:7]
	v_mfma_f32_16x16x16_bf16 a[8:11], v[30:31], v[20:21], a[8:11]
	ds_read2_b64 v[18:21], v112 offset0:32 offset1:48
	ds_read2st64_b64 v[22:25], v112 offset0:4 offset1:8
	ds_read2st64_b64 v[26:29], v113 offset0:4 offset1:8
	s_waitcnt lgkmcnt(2)
	v_mfma_f32_16x16x16_bf16 a[12:15], v[30:31], v[18:19], a[12:15]
	v_ashrrev_i32_e32 v18, 31, v32
	v_mul_lo_u32 v33, v18, s34
	v_mad_u64_u32 v[18:19], s[24:25], v32, s34, 0
	v_mfma_f32_16x16x16_bf16 a[0:3], v[30:31], v[20:21], a[0:3]
	v_mul_lo_u32 v20, v32, s35
	v_add3_u32 v19, v19, v20, v33
	v_add_u32_e32 v20, 1, v32
	v_ashrrev_i32_e32 v21, 31, v20
	s_waitcnt lgkmcnt(1)
	v_mfma_f32_16x16x16_bf16 a[4:7], v[136:137], v[22:23], a[4:7]
	v_mul_lo_u32 v22, v21, s34
	v_mul_lo_u32 v23, v20, s35
	v_mad_u64_u32 v[20:21], s[24:25], v20, s34, 0
	v_add3_u32 v21, v21, v23, v22
	v_add_u32_e32 v22, 2, v32
	v_ashrrev_i32_e32 v23, 31, v22
	v_mul_lo_u32 v30, v23, s34
	v_mul_lo_u32 v31, v22, s35
	v_mad_u64_u32 v[22:23], s[24:25], v22, s34, 0
	v_add3_u32 v23, v23, v31, v30
	v_add_u32_e32 v30, 3, v32
	v_ashrrev_i32_e32 v31, 31, v30
	v_mul_lo_u32 v32, v31, s34
	v_mul_lo_u32 v33, v30, s35
	v_mad_u64_u32 v[30:31], s[24:25], v30, s34, 0
	s_add_u32 s24, s2, s57
	v_lshl_add_u64 v[18:19], v[18:19], 2, s[40:41]
	v_add3_u32 v31, v31, v33, v32
	s_addc_u32 s25, s3, 0
	v_lshl_add_u64 v[20:21], v[20:21], 2, s[40:41]
	global_load_dword v142, v[18:19], off
	v_lshl_add_u64 v[18:19], v[30:31], 2, s[40:41]
	s_lshl_b64 s[24:25], s[24:25], 8
	v_lshl_add_u64 v[22:23], v[22:23], 2, s[40:41]
	global_load_dword v143, v[20:21], off
	global_load_dword v144, v[22:23], off
	;; [unrolled: 1-line block ×3, first 2 shown]
	v_lshl_add_u64 v[18:19], v[68:69], 0, s[24:25]
	v_lshl_add_u64 v[22:23], v[18:19], 0, v[66:67]
	global_load_ushort v146, v[22:23], off offset:256
	global_load_ushort v147, v[22:23], off
	ds_read2st64_b64 v[18:21], v114 offset0:4 offset1:8
	global_load_ushort v148, v[22:23], off offset:768
	global_load_ushort v149, v[22:23], off offset:512
	ds_read2st64_b64 v[30:33], v115 offset0:4 offset1:8
	global_load_ushort v150, v[22:23], off offset:288
	global_load_ushort v151, v[22:23], off offset:32
	;; [unrolled: 1-line block ×4, first 2 shown]
	s_waitcnt lgkmcnt(2)
	v_mfma_f32_16x16x16_bf16 a[8:11], v[136:137], v[26:27], a[8:11]
	global_load_ushort v154, v[22:23], off offset:320
	global_load_ushort v155, v[22:23], off offset:64
	;; [unrolled: 1-line block ×4, first 2 shown]
	s_and_b64 vcc, exec, s[0:1]
	s_waitcnt lgkmcnt(1)
	v_mfma_f32_16x16x16_bf16 a[12:15], v[136:137], v[18:19], a[12:15]
	ds_read_b64 v[18:19], v112 offset:6144
	s_waitcnt lgkmcnt(1)
	v_mfma_f32_16x16x16_bf16 a[0:3], v[136:137], v[30:31], a[0:3]
	v_lshl_add_u64 v[30:31], v[70:71], 0, s[24:25]
	v_lshl_add_u64 v[30:31], v[30:31], 0, v[66:67]
	v_mfma_f32_16x16x16_bf16 a[4:7], v[138:139], v[24:25], a[4:7]
	v_mfma_f32_16x16x16_bf16 a[8:11], v[138:139], v[28:29], a[8:11]
	;; [unrolled: 1-line block ×4, first 2 shown]
	global_load_ushort v138, v[22:23], off offset:352
	global_load_ushort v139, v[22:23], off offset:96
	ds_read_b64 v[20:21], v113 offset:6144
	ds_read_b64 v[24:25], v114 offset:6144
	;; [unrolled: 1-line block ×3, first 2 shown]
	s_load_dword s42, s[42:43], 0x0
	global_load_ushort v158, v[22:23], off offset:864
	global_load_ushort v159, v[22:23], off offset:608
	s_waitcnt lgkmcnt(0)
	v_mfma_f32_16x16x16_bf16 a[4:7], v[140:141], v[18:19], a[4:7]
	s_waitcnt vmcnt(17)
	v_sub_f32_e32 v28, s42, v144
	v_mfma_f32_16x16x16_bf16 a[0:3], v[140:141], v[26:27], a[0:3]
	v_sub_f32_e32 v26, s42, v142
	v_sub_f32_e32 v27, s42, v143
	s_waitcnt vmcnt(16)
	v_sub_f32_e32 v29, s42, v145
	v_mfma_f32_16x16x16_bf16 a[8:11], v[140:141], v[20:21], a[8:11]
	v_exp_f32_e32 v26, v26
	v_exp_f32_e32 v27, v27
	;; [unrolled: 1-line block ×4, first 2 shown]
	v_accvgpr_read_b32 v137, a5
	s_waitcnt vmcnt(15)
	v_lshlrev_b32_e32 v33, 16, v146
	s_waitcnt vmcnt(14)
	v_lshlrev_b32_e32 v32, 16, v147
	v_accvgpr_read_b32 v136, a4
	v_accvgpr_read_b32 v19, a7
	;; [unrolled: 1-line block ×3, first 2 shown]
	v_pk_add_f32 v[32:33], v[32:33], v[136:137] neg_lo:[0,1] neg_hi:[0,1]
	s_waitcnt vmcnt(13)
	v_lshlrev_b32_e32 v137, 16, v148
	s_waitcnt vmcnt(12)
	v_lshlrev_b32_e32 v136, 16, v149
	v_pk_add_f32 v[18:19], v[136:137], v[18:19] neg_lo:[0,1] neg_hi:[0,1]
	global_store_short_d16_hi v[30:31], v32, off
	global_store_short_d16_hi v[30:31], v33, off offset:256
	global_store_short_d16_hi v[30:31], v18, off offset:512
	;; [unrolled: 1-line block ×3, first 2 shown]
	v_pk_mul_f32 v[32:33], v[26:27], v[32:33]
	v_pk_mul_f32 v[18:19], v[28:29], v[18:19]
	v_accvgpr_read_b32 v137, a9
	v_perm_b32 v32, v33, v32, s37
	v_perm_b32 v33, v19, v18, s37
	s_waitcnt vmcnt(15)
	v_lshlrev_b32_e32 v19, 16, v150
	s_waitcnt vmcnt(14)
	v_lshlrev_b32_e32 v18, 16, v151
	v_accvgpr_read_b32 v136, a8
	v_accvgpr_read_b32 v21, a11
	v_mfma_f32_16x16x16_bf16 a[12:15], v[140:141], v[24:25], a[12:15]
	v_accvgpr_read_b32 v20, a10
	v_pk_add_f32 v[18:19], v[18:19], v[136:137] neg_lo:[0,1] neg_hi:[0,1]
	s_waitcnt vmcnt(13)
	v_lshlrev_b32_e32 v137, 16, v152
	s_waitcnt vmcnt(12)
	v_lshlrev_b32_e32 v136, 16, v153
	v_pk_add_f32 v[20:21], v[136:137], v[20:21] neg_lo:[0,1] neg_hi:[0,1]
	global_store_short_d16_hi v[30:31], v18, off offset:32
	global_store_short_d16_hi v[30:31], v19, off offset:288
	;; [unrolled: 1-line block ×4, first 2 shown]
	v_pk_mul_f32 v[18:19], v[26:27], v[18:19]
	v_pk_mul_f32 v[20:21], v[28:29], v[20:21]
	v_accvgpr_read_b32 v23, a15
	v_perm_b32 v21, v21, v20, s37
	v_perm_b32 v20, v19, v18, s37
	ds_write2_b64 v89, v[32:33], v[20:21] offset1:16
	v_accvgpr_read_b32 v21, a13
	s_waitcnt vmcnt(15)
	v_lshlrev_b32_e32 v19, 16, v154
	s_waitcnt vmcnt(14)
	v_lshlrev_b32_e32 v18, 16, v155
	v_accvgpr_read_b32 v20, a12
	v_accvgpr_read_b32 v22, a14
	v_pk_add_f32 v[18:19], v[18:19], v[20:21] neg_lo:[0,1] neg_hi:[0,1]
	s_waitcnt vmcnt(13)
	v_lshlrev_b32_e32 v21, 16, v156
	s_waitcnt vmcnt(12)
	v_lshlrev_b32_e32 v20, 16, v157
	v_pk_add_f32 v[20:21], v[20:21], v[22:23] neg_lo:[0,1] neg_hi:[0,1]
	global_store_short_d16_hi v[30:31], v18, off offset:64
	global_store_short_d16_hi v[30:31], v19, off offset:320
	;; [unrolled: 1-line block ×4, first 2 shown]
	v_pk_mul_f32 v[18:19], v[26:27], v[18:19]
	v_pk_mul_f32 v[20:21], v[28:29], v[20:21]
	v_accvgpr_read_b32 v23, a1
	v_perm_b32 v18, v19, v18, s37
	v_perm_b32 v19, v21, v20, s37
	s_waitcnt vmcnt(15)
	v_lshlrev_b32_e32 v21, 16, v138
	s_waitcnt vmcnt(14)
	v_lshlrev_b32_e32 v20, 16, v139
	v_accvgpr_read_b32 v22, a0
	v_accvgpr_read_b32 v25, a3
	;; [unrolled: 1-line block ×3, first 2 shown]
	v_pk_add_f32 v[20:21], v[20:21], v[22:23] neg_lo:[0,1] neg_hi:[0,1]
	s_waitcnt vmcnt(13)
	v_lshlrev_b32_e32 v23, 16, v158
	s_waitcnt vmcnt(12)
	v_lshlrev_b32_e32 v22, 16, v159
	v_pk_add_f32 v[22:23], v[22:23], v[24:25] neg_lo:[0,1] neg_hi:[0,1]
	global_store_short_d16_hi v[30:31], v20, off offset:96
	global_store_short_d16_hi v[30:31], v21, off offset:352
	;; [unrolled: 1-line block ×4, first 2 shown]
	v_pk_mul_f32 v[20:21], v[26:27], v[20:21]
	v_pk_mul_f32 v[22:23], v[28:29], v[22:23]
	v_mov_b32_e32 v136, 0
	v_perm_b32 v23, v23, v22, s37
	v_perm_b32 v22, v21, v20, s37
	ds_write2_b64 v89, v[18:19], v[22:23] offset0:32 offset1:48
	v_mov_b32_e32 v18, 0
	v_mov_b32_e32 v19, 0
	;; [unrolled: 1-line block ×16, first 2 shown]
	s_cbranch_vccnz .LBB47_14
; %bb.13:                               ;   in Loop: Header=BB47_6 Depth=1
	s_and_b32 s29, s29, 0xffff
	s_mov_b32 s31, s27
	buffer_load_dwordx4 v[30:33], v126, s[28:31], 0 offen
	buffer_load_dwordx4 v[22:25], v126, s[28:31], s56 offen
	;; [unrolled: 1-line block ×4, first 2 shown]
	v_mov_b32_e32 v135, v83
	v_mov_b32_e32 v136, v82
.LBB47_14:                              ;   in Loop: Header=BB47_6 Depth=1
	s_waitcnt lgkmcnt(0)
	s_barrier
	ds_read_b64 v[146:147], v129
	ds_read2_b64 v[138:141], v119 offset1:16
	ds_read_b64 v[162:163], v130
	ds_read_b64 v[164:165], v131
	;; [unrolled: 1-line block ×3, first 2 shown]
	ds_read2_b64 v[142:145], v119 offset0:32 offset1:48
	s_waitcnt lgkmcnt(4)
	v_mfma_f32_16x16x16_bf16 a[0:3], v[146:147], v[138:139], 0
	ds_read2st64_b64 v[150:153], v121 offset0:4 offset1:8
	ds_read2st64_b64 v[154:157], v122 offset0:4 offset1:8
	;; [unrolled: 1-line block ×3, first 2 shown]
	v_mfma_f32_16x16x16_bf16 a[4:7], v[146:147], v[140:141], 0
	s_add_i32 s24, s50, s64
	s_mul_hi_i32 s25, s24, s17
	s_mul_i32 s24, s24, s17
	s_waitcnt lgkmcnt(3)
	v_mfma_f32_16x16x16_bf16 a[8:11], v[146:147], v[142:143], 0
	s_add_u32 s24, s24, s33
	s_addc_u32 s25, s25, s54
	s_lshl_b64 s[24:25], s[24:25], 15
	v_mfma_f32_16x16x16_bf16 a[12:15], v[146:147], v[144:145], 0
	ds_read2st64_b64 v[146:149], v119 offset0:4 offset1:8
	s_waitcnt lgkmcnt(0)
	v_mfma_f32_16x16x16_bf16 a[0:3], v[162:163], v[146:147], a[0:3]
	v_mfma_f32_16x16x16_bf16 a[4:7], v[162:163], v[150:151], a[4:7]
	;; [unrolled: 1-line block ×8, first 2 shown]
	ds_read_b64 v[162:163], v119 offset:6144
	ds_read_b64 v[164:165], v120 offset:40960
	;; [unrolled: 1-line block ×8, first 2 shown]
	s_waitcnt lgkmcnt(5)
	v_mfma_f32_16x16x16_bf16 a[16:19], v[168:169], v[138:139], 0
	v_mfma_f32_16x16x16_bf16 a[20:23], v[168:169], v[140:141], 0
	ds_read2st64_b64 v[138:141], v116 offset1:8
	v_mfma_f32_16x16x16_bf16 a[24:27], v[168:169], v[142:143], 0
	v_mfma_f32_16x16x16_bf16 a[28:31], v[168:169], v[144:145], 0
	ds_read2st64_b64 v[142:145], v117 offset1:8
	v_mfma_f32_16x16x16_bf16 a[16:19], v[164:165], v[146:147], a[16:19]
	s_waitcnt lgkmcnt(1)
	v_mov_b32_e32 v146, v138
	v_mov_b32_e32 v147, v139
	v_mfma_f32_16x16x16_bf16 a[20:23], v[164:165], v[150:151], a[20:23]
	v_lshl_add_u64 v[150:151], v[72:73], 0, s[24:25]
	v_mfma_f32_16x16x16_bf16 a[24:27], v[164:165], v[154:155], a[24:27]
	v_mfma_f32_16x16x16_bf16 a[28:31], v[164:165], v[158:159], a[28:31]
	v_mfma_f32_16x16x16_bf16 a[16:19], v[176:177], v[148:149], a[16:19]
	s_waitcnt lgkmcnt(0)
	v_mov_b32_e32 v148, v142
	v_mov_b32_e32 v149, v143
	;; [unrolled: 1-line block ×3, first 2 shown]
	v_mfma_f32_16x16x16_bf16 a[32:35], v[176:177], v[152:153], a[20:23]
	v_mov_b32_e32 v143, v141
	ds_read2st64_b64 v[138:141], v116 offset0:16 offset1:24
	global_store_dwordx4 v[150:151], v[146:149], off
	v_mfma_f32_16x16x16_bf16 a[24:27], v[176:177], v[156:157], a[24:27]
	ds_read2st64_b64 v[146:149], v117 offset0:16 offset1:24
	v_add_co_u32_e32 v152, vcc, s39, v150
	v_mfma_f32_16x16x16_bf16 a[28:31], v[176:177], v[160:161], a[28:31]
	s_nop 0
	v_addc_co_u32_e32 v153, vcc, 0, v151, vcc
	global_store_dwordx4 v[152:153], v[142:145], off offset:-4096
	v_mfma_f32_16x16x16_bf16 a[0:3], v[166:167], v[162:163], a[0:3]
	s_waitcnt lgkmcnt(1)
	v_mov_b32_e32 v142, v138
	v_add_co_u32_e32 v138, vcc, s62, v150
	v_mfma_f32_16x16x16_bf16 a[4:7], v[166:167], v[170:171], a[4:7]
	v_mov_b32_e32 v143, v139
	v_addc_co_u32_e32 v139, vcc, 0, v151, vcc
	v_mfma_f32_16x16x16_bf16 a[8:11], v[166:167], v[172:173], a[8:11]
	s_waitcnt lgkmcnt(0)
	v_mov_b32_e32 v144, v146
	v_mov_b32_e32 v145, v147
	;; [unrolled: 1-line block ×3, first 2 shown]
	v_mfma_f32_16x16x16_bf16 a[12:15], v[166:167], v[174:175], a[12:15]
	v_mov_b32_e32 v147, v141
	s_and_b64 vcc, exec, s[0:1]
	global_store_dwordx4 v[152:153], v[142:145], off
	v_mfma_f32_16x16x16_bf16 a[20:23], v[178:179], v[162:163], a[16:19]
	global_store_dwordx4 v[138:139], v[146:149], off
	v_mfma_f32_16x16x16_bf16 a[16:19], v[178:179], v[170:171], a[32:35]
	v_mfma_f32_16x16x16_bf16 a[24:27], v[178:179], v[172:173], a[24:27]
	;; [unrolled: 1-line block ×3, first 2 shown]
	s_cbranch_vccnz .LBB47_16
; %bb.15:                               ;   in Loop: Header=BB47_6 Depth=1
	v_lshrrev_b32_e32 v137, 3, v135
	v_and_b32_e32 v137, 6, v137
	v_xor_b32_e32 v136, v137, v136
	v_lshlrev_b32_e32 v136, 2, v136
	v_and_b32_e32 v135, 8, v135
	v_xor_b32_e32 v138, 0x440, v136
	v_cmp_eq_u32_e32 vcc, 0, v135
	s_barrier
	s_nop 0
	v_cndmask_b32_e32 v135, v138, v136, vcc
	v_lshl_or_b32 v135, v137, 10, v135
	s_waitcnt vmcnt(5)
	v_perm_b32 v136, v30, v26, s58
	s_waitcnt vmcnt(4)
	v_perm_b32 v137, v22, v18, s58
	ds_write2st64_b32 v135, v136, v137 offset0:128 offset1:160
	v_xor_b32_e32 v136, 8, v135
	v_perm_b32 v26, v30, v26, s59
	v_perm_b32 v18, v22, v18, s59
	v_add_u32_e32 v22, 0x80, v136
	ds_write2st64_b32 v22, v26, v18 offset0:128 offset1:160
	v_xor_b32_e32 v18, 16, v135
	v_perm_b32 v22, v31, v27, s58
	v_perm_b32 v26, v23, v19, s58
	ds_write2st64_b32 v18, v22, v26 offset0:129 offset1:161
	v_xor_b32_e32 v18, 24, v135
	v_perm_b32 v22, v31, v27, s59
	v_perm_b32 v19, v23, v19, s59
	v_add_u32_e32 v18, 0x80, v18
	ds_write2st64_b32 v18, v22, v19 offset0:129 offset1:161
	v_xor_b32_e32 v18, 32, v135
	v_perm_b32 v19, v32, v28, s58
	;; [unrolled: 9-line block ×3, first 2 shown]
	v_perm_b32 v20, v25, v21, s58
	ds_write2st64_b32 v18, v19, v20 offset0:131 offset1:163
	v_xor_b32_e32 v18, 56, v135
	v_perm_b32 v19, v33, v29, s59
	v_perm_b32 v20, v25, v21, s59
	v_add_u32_e32 v18, 0x80, v18
	ds_write2st64_b32 v18, v19, v20 offset0:131 offset1:163
	ds_write_b64 v134, v[14:15] offset:49152
	v_xor_b32_e32 v14, 8, v134
	ds_write_b64 v14, v[16:17] offset:49152
	ds_write_b64 v134, v[10:11] offset:57344
	ds_write_b64 v14, v[12:13] offset:57344
	ds_write_b64 v133, v[6:7] offset:49152
	v_xor_b32_e32 v6, 8, v133
	ds_write_b64 v6, v[8:9] offset:49152
	ds_write_b64 v133, v[2:3] offset:57344
	;; [unrolled: 1-line block ×3, first 2 shown]
.LBB47_16:                              ;   in Loop: Header=BB47_6 Depth=1
	v_exp_f32_e32 v134, s42
	v_accvgpr_read_b32 v5, a3
	v_accvgpr_read_b32 v9, a7
	;; [unrolled: 1-line block ×4, first 2 shown]
	s_waitcnt vmcnt(4)
	v_accvgpr_read_b32 v18, a20
	v_accvgpr_read_b32 v25, a19
	;; [unrolled: 1-line block ×28, first 2 shown]
	s_add_i32 s57, s57, 64
	v_pk_fma_f32 v[62:63], v[134:135], v[62:63], v[2:3] op_sel_hi:[0,1,1]
	v_pk_fma_f32 v[64:65], v[134:135], v[64:65], v[4:5] op_sel_hi:[0,1,1]
	v_pk_fma_f32 v[54:55], v[134:135], v[54:55], v[6:7] op_sel_hi:[0,1,1]
	v_pk_fma_f32 v[56:57], v[134:135], v[56:57], v[8:9] op_sel_hi:[0,1,1]
	v_pk_fma_f32 v[46:47], v[134:135], v[46:47], v[10:11] op_sel_hi:[0,1,1]
	v_pk_fma_f32 v[48:49], v[134:135], v[48:49], v[12:13] op_sel_hi:[0,1,1]
	v_pk_fma_f32 v[40:41], v[134:135], v[40:41], v[14:15] op_sel_hi:[0,1,1]
	v_pk_fma_f32 v[34:35], v[134:135], v[34:35], v[16:17] op_sel_hi:[0,1,1]
	v_pk_fma_f32 v[58:59], v[134:135], v[58:59], v[18:19] op_sel_hi:[0,1,1]
	v_pk_fma_f32 v[60:61], v[134:135], v[60:61], v[20:21] op_sel_hi:[0,1,1]
	v_pk_fma_f32 v[50:51], v[134:135], v[50:51], v[22:23] op_sel_hi:[0,1,1]
	v_pk_fma_f32 v[52:53], v[134:135], v[52:53], v[24:25] op_sel_hi:[0,1,1]
	v_pk_fma_f32 v[42:43], v[134:135], v[42:43], v[26:27] op_sel_hi:[0,1,1]
	v_pk_fma_f32 v[44:45], v[134:135], v[44:45], v[28:29] op_sel_hi:[0,1,1]
	v_pk_fma_f32 v[36:37], v[134:135], v[36:37], v[30:31] op_sel_hi:[0,1,1]
	s_cmp_eq_u32 s48, s63
	v_pk_fma_f32 v[38:39], v[134:135], v[38:39], v[32:33] op_sel_hi:[0,1,1]
	s_cbranch_scc1 .LBB47_18
; %bb.17:                               ;   in Loop: Header=BB47_6 Depth=1
	s_mov_b32 s64, s63
	s_branch .LBB47_6
.LBB47_18:
	s_lshl_b32 s42, s48, 6
	s_sub_i32 s43, s16, s42
	s_cmp_gt_i32 s43, 0
	s_cbranch_scc0 .LBB47_99
; %bb.19:
	s_ashr_i32 s39, s47, 31
	s_ashr_i32 s2, s42, 31
	s_cmpk_lg_i32 s19, 0x80
	s_cselect_b64 s[30:31], -1, 0
	s_and_b64 vcc, exec, s[30:31]
	s_cbranch_vccz .LBB47_21
; %bb.20:
	s_mul_i32 s1, s47, s16
	s_mul_hi_i32 s0, s47, s16
	s_add_u32 s1, s1, s42
	s_addc_u32 s0, s0, s2
	s_mul_i32 s3, s1, s49
	s_mul_hi_u32 s24, s1, s18
	s_add_i32 s3, s24, s3
	s_mul_i32 s0, s0, s18
	s_add_i32 s3, s3, s0
	s_mul_i32 s1, s1, s18
	s_ashr_i32 s0, s52, 31
	s_add_u32 s40, s1, s52
	s_addc_u32 s41, s3, s0
	s_cbranch_execz .LBB47_22
	s_branch .LBB47_23
.LBB47_21:
                                        ; implicit-def: $sgpr40_sgpr41
.LBB47_22:
	s_mul_hi_i32 s0, s47, s18
	s_mul_i32 s47, s47, s18
	s_ashr_i32 s1, s52, 31
	s_add_u32 s3, s47, s52
	s_addc_u32 s0, s0, s1
	s_mul_i32 s1, s3, s46
	s_mul_hi_u32 s18, s3, s16
	s_add_i32 s1, s18, s1
	s_mul_i32 s0, s0, s16
	s_add_i32 s1, s1, s0
	s_mul_i32 s3, s3, s16
	s_add_u32 s40, s3, s42
	s_addc_u32 s41, s1, s2
.LBB47_23:
	s_add_i32 s3, s50, s48
	s_ashr_i32 s18, s33, 31
	s_add_u32 s0, s45, s33
	s_addc_u32 s1, s51, s18
	s_mul_i32 s24, s0, s46
	s_mul_hi_u32 s25, s0, s16
	s_add_i32 s24, s25, s24
	s_mul_i32 s1, s1, s16
	s_add_i32 s24, s24, s1
	s_mul_i32 s0, s0, s16
	s_add_u32 s0, s0, s42
	v_lshlrev_b32_e32 v6, 6, v80
	v_lshlrev_b32_e32 v24, 2, v74
	s_addc_u32 s1, s24, s2
	s_mov_b32 s2, 0x7060302
	v_or_b32_e32 v9, v6, v24
	v_xor_b32_e32 v7, v80, v24
	v_perm_b32 v3, v65, v64, s2
	v_perm_b32 v2, v63, v62, s2
	v_perm_b32 v5, v61, v60, s2
	v_perm_b32 v4, v59, v58, s2
	v_lshlrev_b32_e32 v9, 1, v9
	v_xor_b32_e32 v8, v81, v24
	ds_write2st64_b64 v9, v[2:3], v[4:5] offset0:32 offset1:48
	v_lshlrev_b32_e32 v7, 1, v7
	v_lshlrev_b32_e32 v9, 8, v74
	v_or_b32_e32 v10, v7, v9
	v_lshlrev_b32_e32 v8, 1, v8
	ds_write_b64 v10, v[2:3]
	v_or_b32_e32 v2, v8, v9
	v_or_b32_e32 v9, 16, v74
	v_lshlrev_b32_e32 v23, 2, v9
	v_or_b32_e32 v10, v6, v23
	ds_write_b64 v2, v[4:5]
	v_perm_b32 v3, v57, v56, s2
	v_perm_b32 v2, v55, v54, s2
	;; [unrolled: 1-line block ×4, first 2 shown]
	v_lshlrev_b32_e32 v10, 1, v10
	v_lshlrev_b32_e32 v9, 8, v9
	ds_write2st64_b64 v10, v[2:3], v[4:5] offset0:32 offset1:48
	v_or_b32_e32 v10, v7, v9
	ds_write_b64 v10, v[2:3]
	v_or_b32_e32 v2, v8, v9
	v_or_b32_e32 v9, 32, v74
	v_lshlrev_b32_e32 v22, 2, v9
	v_or_b32_e32 v10, v6, v22
	s_lshl_b64 s[28:29], s[0:1], 8
	ds_write_b64 v2, v[4:5]
	v_perm_b32 v3, v49, v48, s2
	v_perm_b32 v2, v47, v46, s2
	;; [unrolled: 1-line block ×4, first 2 shown]
	v_lshlrev_b32_e32 v10, 1, v10
	v_lshlrev_b32_e32 v9, 8, v9
	s_add_u32 s0, s6, s28
	ds_write2st64_b64 v10, v[2:3], v[4:5] offset0:32 offset1:48
	v_or_b32_e32 v10, v7, v9
	s_addc_u32 s1, s7, s29
	ds_write_b64 v10, v[2:3]
	v_or_b32_e32 v2, v8, v9
	v_or_b32_e32 v9, 48, v74
	s_mul_hi_i32 s6, s3, s17
	s_mul_i32 s3, s3, s17
	ds_write_b64 v2, v[4:5]
	v_perm_b32 v3, v35, v34, s2
	v_perm_b32 v2, v41, v40, s2
	;; [unrolled: 1-line block ×4, first 2 shown]
	v_lshlrev_b32_e32 v19, 2, v9
	s_add_u32 s2, s3, s33
	v_or_b32_e32 v6, v6, v19
	s_addc_u32 s3, s6, s18
	v_lshlrev_b32_e32 v6, 1, v6
	s_ashr_i32 s37, s36, 31
	s_lshl_b64 s[2:3], s[2:3], 15
	ds_write2st64_b64 v6, v[2:3], v[4:5] offset0:32 offset1:48
	v_lshlrev_b32_e32 v6, 8, v9
	s_add_u32 s6, s12, s2
	v_or_b32_e32 v7, v7, v6
	s_addc_u32 s7, s13, s3
	s_lshl_b64 s[2:3], s[36:37], 8
	ds_write_b64 v7, v[2:3]
	v_or_b32_e32 v2, v8, v6
	s_add_u32 s2, s6, s2
	v_lshlrev_b32_e32 v3, 1, v74
	ds_write_b64 v2, v[4:5]
	v_lshrrev_b32_e32 v2, 4, v0
	s_addc_u32 s3, s7, s3
	v_or_b32_e32 v4, 1, v3
	v_lshlrev_b32_e32 v10, 4, v74
	v_mov_b32_e32 v11, 0
	v_xor_b32_e32 v3, v2, v3
	v_xor_b32_e32 v6, v4, v2
	v_lshl_add_u64 v[12:13], s[2:3], 0, v[10:11]
	v_lshlrev_b32_e32 v10, 8, v2
	v_lshl_or_b32 v16, v3, 3, v10
	v_lshl_or_b32 v17, v6, 3, v10
	s_waitcnt lgkmcnt(0)
	s_barrier
	ds_read2st64_b64 v[2:5], v16 offset1:8
	ds_read2st64_b64 v[6:9], v17 offset1:8
	v_lshl_add_u64 v[14:15], v[12:13], 0, v[10:11]
	s_movk_i32 s2, 0x2000
	s_cmp_lg_u32 s43, 64
	s_waitcnt lgkmcnt(1)
	v_mov_b32_e32 v10, v2
	v_mov_b32_e32 v11, v3
	s_waitcnt lgkmcnt(0)
	v_mov_b32_e32 v12, v6
	v_mov_b32_e32 v13, v7
	global_store_dwordx4 v[14:15], v[10:13], off
	v_mov_b32_e32 v6, v4
	v_mov_b32_e32 v7, v5
	ds_read2st64_b64 v[2:5], v16 offset0:16 offset1:24
	ds_read2st64_b64 v[10:13], v17 offset0:16 offset1:24
	v_add_co_u32_e32 v16, vcc, s2, v14
	s_cselect_b64 s[6:7], -1, 0
	s_nop 0
	v_addc_co_u32_e32 v17, vcc, 0, v15, vcc
	global_store_dwordx4 v[16:17], v[6:9], off offset:-4096
	v_lshl_or_b32 v25, v76, 3, v79
	s_mov_b32 s24, 0
	s_waitcnt lgkmcnt(1)
	v_mov_b32_e32 v6, v2
	v_add_co_u32_e32 v2, vcc, 0x3000, v14
	v_mov_b32_e32 v7, v3
	s_nop 0
	v_addc_co_u32_e32 v3, vcc, 0, v15, vcc
	s_waitcnt lgkmcnt(0)
	v_mov_b32_e32 v8, v10
	v_mov_b32_e32 v9, v11
	v_mov_b32_e32 v10, v4
	v_mov_b32_e32 v11, v5
	v_or_b32_e32 v20, 32, v25
	v_and_b32_e32 v18, 56, v78
	s_and_b64 vcc, exec, s[6:7]
	global_store_dwordx4 v[16:17], v[6:9], off
	global_store_dwordx4 v[2:3], v[10:13], off
	s_cbranch_vccz .LBB47_29
; %bb.24:
	s_mov_b32 s25, s24
	s_mov_b32 s26, s24
	;; [unrolled: 1-line block ×3, first 2 shown]
	v_mov_b64_e32 v[6:7], s[24:25]
	v_mov_b64_e32 v[8:9], s[26:27]
	;; [unrolled: 1-line block ×3, first 2 shown]
	v_cmp_gt_i32_e32 vcc, s43, v25
	v_mov_b64_e32 v[4:5], v[8:9]
	s_and_saveexec_b64 s[2:3], vcc
	s_cbranch_execz .LBB47_26
; %bb.25:
	v_lshlrev_b32_e32 v2, 8, v25
	v_mov_b32_e32 v3, 0
	v_lshl_add_u64 v[4:5], s[0:1], 0, v[2:3]
	v_lshlrev_b32_e32 v2, 1, v18
	v_lshl_add_u64 v[10:11], v[4:5], 0, v[2:3]
	global_load_dwordx4 v[6:9], v[10:11], off
	global_load_dwordx4 v[2:5], v[10:11], off offset:128
.LBB47_26:
	s_or_b64 exec, exec, s[2:3]
	s_mov_b32 s25, s24
	s_mov_b32 s26, s24
	;; [unrolled: 1-line block ×3, first 2 shown]
	v_mov_b64_e32 v[14:15], s[24:25]
	v_mov_b64_e32 v[16:17], s[26:27]
	;; [unrolled: 1-line block ×3, first 2 shown]
	v_cmp_gt_i32_e32 vcc, s43, v20
	v_lshlrev_b32_e32 v21, 7, v20
	v_mov_b64_e32 v[12:13], v[16:17]
	s_and_saveexec_b64 s[2:3], vcc
	s_cbranch_execz .LBB47_28
; %bb.27:
	v_lshlrev_b32_e32 v10, 1, v21
	v_mov_b32_e32 v11, 0
	v_lshl_add_u64 v[12:13], s[0:1], 0, v[10:11]
	v_lshlrev_b32_e32 v10, 1, v18
	v_lshl_add_u64 v[26:27], v[12:13], 0, v[10:11]
	global_load_dwordx4 v[14:17], v[26:27], off
	global_load_dwordx4 v[10:13], v[26:27], off offset:128
.LBB47_28:
	s_or_b64 exec, exec, s[2:3]
	v_lshrrev_b32_e32 v26, 3, v18
	v_lshlrev_b32_e32 v27, 3, v25
	v_or_b32_e32 v26, v27, v26
	v_lshlrev_b32_e32 v26, 4, v26
	v_and_b32_e32 v27, 0x78, v27
	v_xor_b32_e32 v26, v26, v27
	s_branch .LBB47_31
.LBB47_29:
                                        ; implicit-def: $vgpr26
                                        ; implicit-def: $vgpr21
                                        ; implicit-def: $vgpr6_vgpr7_vgpr8_vgpr9
                                        ; implicit-def: $vgpr2_vgpr3_vgpr4_vgpr5
                                        ; implicit-def: $vgpr14_vgpr15_vgpr16_vgpr17
                                        ; implicit-def: $vgpr10_vgpr11_vgpr12_vgpr13
	s_cbranch_execz .LBB47_31
; %bb.30:
	s_waitcnt vmcnt(0)
	v_lshlrev_b32_e32 v2, 1, v18
	v_lshl_or_b32 v21, v25, 8, v2
	s_and_b32 s1, s1, 0xffff
	s_mov_b32 s3, 0x20000
	s_movk_i32 s2, 0x4000
	v_lshl_or_b32 v26, v20, 8, v2
	s_movk_i32 s12, 0x80
	buffer_load_dwordx4 v[6:9], v21, s[0:3], 0 offen
	buffer_load_dwordx4 v[2:5], v21, s[0:3], s12 offen
	;; [unrolled: 1-line block ×4, first 2 shown]
	v_lshrrev_b32_e32 v21, 3, v18
	v_lshlrev_b32_e32 v26, 3, v25
	v_or_b32_e32 v21, v26, v21
	v_lshlrev_b32_e32 v21, 4, v21
	v_and_b32_e32 v26, 0x78, v26
	v_xor_b32_e32 v26, v21, v26
	v_lshlrev_b32_e32 v21, 7, v20
.LBB47_31:
	s_movk_i32 s0, 0x1000
	v_and_or_b32 v20, v21, s0, v26
	s_waitcnt vmcnt(1)
	ds_write_b64 v26, v[6:7] offset:49152
	v_xor_b32_e32 v6, 8, v26
	ds_write_b64 v6, v[8:9] offset:49152
	s_waitcnt vmcnt(0)
	ds_write_b64 v26, v[2:3] offset:57344
	ds_write_b64 v6, v[4:5] offset:57344
	;; [unrolled: 1-line block ×3, first 2 shown]
	v_xor_b32_e32 v2, 8, v20
	ds_write_b64 v2, v[16:17] offset:49152
	ds_write_b64 v20, v[10:11] offset:57344
	;; [unrolled: 1-line block ×3, first 2 shown]
	v_or_b32_e32 v2, v1, v74
	v_lshlrev_b32_e32 v3, 11, v76
	v_lshlrev_b32_e32 v2, 3, v2
	v_and_b32_e32 v6, 0x1000, v3
	v_lshrrev_b32_e32 v3, 5, v75
	s_movk_i32 s0, 0xf8
	v_and_or_b32 v3, v2, s0, v3
	v_lshlrev_b32_e32 v7, 4, v3
	v_and_b32_e32 v8, 0x78, v2
	v_or_b32_e32 v10, 32, v7
	v_lshrrev_b32_e32 v3, 1, v75
	v_xor_b32_e32 v10, v10, v8
	v_xor_b32_e32 v2, v7, v8
	v_and_b32_e32 v9, 8, v3
	v_or_b32_e32 v10, v10, v6
	v_or_b32_e32 v2, v2, v6
	v_xor_b32_e32 v28, v10, v9
	v_or_b32_e32 v10, 64, v7
	v_xor_b32_e32 v27, v2, v9
	v_xor_b32_e32 v10, v10, v8
	s_waitcnt lgkmcnt(0)
	s_barrier
	v_or_b32_e32 v13, v10, v6
	ds_read_b64 v[10:11], v27 offset:49152
	v_lshl_or_b32 v14, v77, 8, v24
	v_lshlrev_b32_e32 v26, 1, v14
	v_add_u32_e32 v12, 0x4000, v26
	ds_read2_b64 v[2:5], v12 offset1:16
	v_or_b32_e32 v7, 0x60, v7
	v_xor_b32_e32 v7, v7, v8
	v_or_b32_e32 v6, v7, v6
	v_xor_b32_e32 v29, v13, v9
	v_xor_b32_e32 v30, v6, v9
	ds_read_b64 v[20:21], v28 offset:49152
	ds_read_b64 v[34:35], v29 offset:49152
	;; [unrolled: 1-line block ×3, first 2 shown]
	s_waitcnt lgkmcnt(3)
	v_mfma_f32_16x16x16_bf16 a[0:3], v[10:11], v[2:3], 0
	ds_read2_b64 v[6:9], v12 offset0:32 offset1:48
	s_lshl_b64 s[0:1], s[40:41], 8
	s_add_u32 s4, s4, s0
	v_mfma_f32_16x16x16_bf16 a[4:7], v[10:11], v[4:5], 0
	ds_read2st64_b64 v[2:5], v26 offset0:36 offset1:40
	s_addc_u32 s5, s5, s1
	s_add_i32 s2, s16, -1
	s_waitcnt lgkmcnt(1)
	v_mfma_f32_16x16x16_bf16 a[8:11], v[10:11], v[6:7], 0
	v_or_b32_e32 v6, 64, v14
	v_lshlrev_b32_e32 v31, 1, v6
	s_add_i32 s0, s44, s21
	s_waitcnt lgkmcnt(0)
	v_mfma_f32_16x16x16_bf16 a[0:3], v[20:21], v[2:3], a[0:3]
	v_or_b32_e32 v2, 0x80, v14
	v_lshlrev_b32_e32 v32, 1, v2
	v_or_b32_e32 v2, 0xc0, v14
	v_mfma_f32_16x16x16_bf16 a[12:15], v[10:11], v[8:9], 0
	ds_read2st64_b64 v[6:9], v31 offset0:36 offset1:40
	v_lshlrev_b32_e32 v33, 1, v2
	ds_read2st64_b64 v[10:13], v32 offset0:36 offset1:40
	ds_read2st64_b64 v[14:17], v33 offset0:36 offset1:40
	s_mul_i32 s39, s39, s20
	s_add_i32 s39, s0, s39
	s_mul_i32 s0, s33, s23
	s_mul_hi_u32 s1, s33, s22
	s_ashr_i32 s3, s2, 31
	s_mul_i32 s12, s2, s35
	s_mul_hi_u32 s13, s2, s34
	s_waitcnt lgkmcnt(2)
	v_mfma_f32_16x16x16_bf16 a[4:7], v[20:21], v[6:7], a[4:7]
	s_add_i32 s0, s1, s0
	s_mul_i32 s1, s18, s22
	s_add_i32 s12, s13, s12
	s_mul_i32 s3, s3, s34
	s_waitcnt lgkmcnt(1)
	v_mfma_f32_16x16x16_bf16 a[8:11], v[20:21], v[10:11], a[8:11]
	s_add_i32 s1, s0, s1
	s_add_i32 s3, s12, s3
	s_lshl_b64 s[12:13], s[38:39], 2
	s_waitcnt lgkmcnt(0)
	v_mfma_f32_16x16x16_bf16 a[12:15], v[20:21], v[14:15], a[12:15]
	s_mul_i32 s0, s33, s22
	s_add_u32 s10, s10, s12
	s_addc_u32 s11, s11, s13
	s_lshl_b64 s[0:1], s[0:1], 2
	v_mfma_f32_16x16x16_bf16 a[0:3], v[34:35], v[4:5], a[0:3]
	s_mul_i32 s2, s2, s34
	ds_read_b64 v[2:3], v26 offset:22528
	s_add_u32 s10, s10, s0
	v_mfma_f32_16x16x16_bf16 a[4:7], v[34:35], v[8:9], a[4:7]
	ds_read_b64 v[4:5], v31 offset:22528
	ds_read_b64 v[6:7], v32 offset:22528
	ds_read_b64 v[8:9], v33 offset:22528
	s_addc_u32 s11, s11, s1
	s_lshl_b64 s[0:1], s[2:3], 2
	v_mfma_f32_16x16x16_bf16 a[8:11], v[34:35], v[12:13], a[8:11]
	s_add_u32 s0, s10, s0
	s_addc_u32 s1, s11, s1
	s_load_dword s12, s[0:1], 0x0
	v_mfma_f32_16x16x16_bf16 a[12:15], v[34:35], v[16:17], a[12:15]
	s_and_b64 vcc, exec, s[30:31]
	s_waitcnt lgkmcnt(0)
	v_mfma_f32_16x16x16_bf16 a[0:3], v[36:37], v[2:3], a[0:3]
	v_mfma_f32_16x16x16_bf16 a[4:7], v[36:37], v[4:5], a[4:7]
	;; [unrolled: 1-line block ×4, first 2 shown]
	s_cbranch_vccz .LBB47_42
; %bb.32:
	v_lshlrev_b32_e32 v20, 1, v25
	s_and_b64 vcc, exec, s[6:7]
	s_cbranch_vccz .LBB47_43
; %bb.33:
	v_cmp_gt_i32_e32 vcc, s43, v20
	v_mov_b32_e32 v6, 0
	v_mov_b32_e32 v2, 0
	;; [unrolled: 1-line block ×5, first 2 shown]
	s_and_saveexec_b64 s[0:1], vcc
	s_cbranch_execz .LBB47_35
; %bb.34:
	v_mad_i64_i32 v[2:3], s[2:3], s19, v20, 0
	v_lshl_add_u64 v[2:3], v[2:3], 1, s[4:5]
	v_lshlrev_b32_e32 v4, 1, v18
	v_mov_b32_e32 v5, 0
	v_lshl_add_u64 v[2:3], v[2:3], 0, v[4:5]
	global_load_dwordx4 v[2:5], v[2:3], off
.LBB47_35:
	s_or_b64 exec, exec, s[0:1]
	v_or_b32_e32 v21, 1, v20
	v_cmp_gt_i32_e64 s[0:1], s43, v21
	v_mov_b32_e32 v7, 0
	v_mov_b32_e32 v8, 0
	;; [unrolled: 1-line block ×3, first 2 shown]
	s_and_saveexec_b64 s[2:3], s[0:1]
	s_cbranch_execz .LBB47_37
; %bb.36:
	v_mad_i64_i32 v[6:7], s[16:17], s19, v21, 0
	v_lshl_add_u64 v[6:7], v[6:7], 1, s[4:5]
	v_lshlrev_b32_e32 v8, 1, v18
	v_mov_b32_e32 v9, 0
	v_lshl_add_u64 v[6:7], v[6:7], 0, v[8:9]
	global_load_dwordx4 v[6:9], v[6:7], off
.LBB47_37:
	s_or_b64 exec, exec, s[2:3]
	v_mov_b32_e32 v17, 0
	v_mov_b32_e32 v10, 0
	;; [unrolled: 1-line block ×5, first 2 shown]
	s_and_saveexec_b64 s[2:3], vcc
	s_cbranch_execz .LBB47_39
; %bb.38:
	v_mad_i64_i32 v[10:11], s[16:17], s19, v20, 0
	v_lshl_add_u64 v[10:11], v[10:11], 1, s[4:5]
	v_lshlrev_b32_e32 v12, 1, v18
	v_mov_b32_e32 v13, 0
	v_lshl_add_u64 v[10:11], v[10:11], 0, v[12:13]
	global_load_dwordx4 v[10:13], v[10:11], off offset:128
.LBB47_39:
	s_or_b64 exec, exec, s[2:3]
	v_mov_b32_e32 v16, 0
	v_mov_b32_e32 v15, 0
	;; [unrolled: 1-line block ×3, first 2 shown]
	s_and_saveexec_b64 s[2:3], s[0:1]
	s_cbranch_execz .LBB47_41
; %bb.40:
	v_mad_i64_i32 v[14:15], s[0:1], s19, v21, 0
	v_lshl_add_u64 v[14:15], v[14:15], 1, s[4:5]
	v_lshlrev_b32_e32 v16, 1, v18
	v_mov_b32_e32 v17, 0
	v_lshl_add_u64 v[14:15], v[14:15], 0, v[16:17]
	global_load_dwordx4 v[14:17], v[14:15], off offset:128
.LBB47_41:
	s_or_b64 exec, exec, s[2:3]
	s_branch .LBB47_45
.LBB47_42:
                                        ; implicit-def: $vgpr5
                                        ; implicit-def: $vgpr9
                                        ; implicit-def: $vgpr13
                                        ; implicit-def: $vgpr17
	v_lshrrev_b32_e32 v34, 2, v75
	s_branch .LBB47_46
.LBB47_43:
                                        ; implicit-def: $vgpr5
                                        ; implicit-def: $vgpr9
                                        ; implicit-def: $vgpr13
                                        ; implicit-def: $vgpr17
	s_cbranch_execz .LBB47_45
; %bb.44:
	s_waitcnt vmcnt(0)
	v_mad_u64_u32 v[2:3], s[0:1], v20, s19, v[18:19]
	v_lshlrev_b32_e32 v20, 1, v2
	s_lshl_b32 s2, s19, 7
	s_and_b32 s1, s5, 0xffff
	s_mov_b32 s3, 0x20000
	s_mov_b32 s0, s4
	v_add_lshl_u32 v21, v2, s19, 1
	s_movk_i32 s13, 0x80
	buffer_load_dwordx4 v[2:5], v20, s[0:3], 0 offen
	buffer_load_dwordx4 v[10:13], v20, s[0:3], s13 offen
	;; [unrolled: 1-line block ×4, first 2 shown]
.LBB47_45:
	v_lshrrev_b32_e32 v34, 2, v75
	s_cbranch_execnz .LBB47_58
.LBB47_46:
	s_and_b64 vcc, exec, s[6:7]
	s_cbranch_vccz .LBB47_56
; %bb.47:
	s_waitcnt vmcnt(0)
	v_lshlrev_b32_e32 v7, 1, v25
	v_cmp_gt_i32_e32 vcc, s43, v7
	v_mov_b32_e32 v6, 0
	v_lshlrev_b32_e32 v14, 9, v25
	v_mov_b32_e32 v2, 0
	v_mov_b32_e32 v3, 0
	;; [unrolled: 1-line block ×4, first 2 shown]
	s_and_saveexec_b64 s[0:1], vcc
	s_cbranch_execz .LBB47_49
; %bb.48:
	v_mov_b32_e32 v15, 0
	v_lshl_add_u64 v[2:3], s[4:5], 0, v[14:15]
	v_lshlrev_b32_e32 v4, 1, v18
	v_mov_b32_e32 v5, v15
	v_lshl_add_u64 v[2:3], v[2:3], 0, v[4:5]
	global_load_dwordx4 v[2:5], v[2:3], off
.LBB47_49:
	s_or_b64 exec, exec, s[0:1]
	v_or_b32_e32 v7, 1, v7
	v_cmp_gt_i32_e64 s[0:1], s43, v7
	v_lshlrev_b32_e32 v20, 8, v7
	v_mov_b32_e32 v7, 0
	v_mov_b32_e32 v8, 0
	;; [unrolled: 1-line block ×3, first 2 shown]
	s_and_saveexec_b64 s[2:3], s[0:1]
	s_cbranch_execz .LBB47_51
; %bb.50:
	v_mov_b32_e32 v21, 0
	v_lshl_add_u64 v[6:7], s[4:5], 0, v[20:21]
	v_lshlrev_b32_e32 v8, 1, v18
	v_mov_b32_e32 v9, v21
	v_lshl_add_u64 v[6:7], v[6:7], 0, v[8:9]
	global_load_dwordx4 v[6:9], v[6:7], off
.LBB47_51:
	s_or_b64 exec, exec, s[2:3]
	v_mov_b32_e32 v17, 0
	v_mov_b32_e32 v10, 0
	;; [unrolled: 1-line block ×5, first 2 shown]
	s_and_saveexec_b64 s[2:3], vcc
	s_cbranch_execz .LBB47_53
; %bb.52:
	v_mov_b32_e32 v15, 0
	v_lshl_add_u64 v[10:11], s[4:5], 0, v[14:15]
	v_lshlrev_b32_e32 v14, 1, v18
	v_lshl_add_u64 v[10:11], v[10:11], 0, v[14:15]
	global_load_dwordx4 v[10:13], v[10:11], off offset:128
.LBB47_53:
	s_or_b64 exec, exec, s[2:3]
	v_mov_b32_e32 v16, 0
	v_mov_b32_e32 v15, 0
	;; [unrolled: 1-line block ×3, first 2 shown]
	s_and_saveexec_b64 s[2:3], s[0:1]
	s_cbranch_execz .LBB47_55
; %bb.54:
	v_mov_b32_e32 v21, 0
	v_lshl_add_u64 v[14:15], s[4:5], 0, v[20:21]
	v_lshlrev_b32_e32 v20, 1, v18
	v_lshl_add_u64 v[14:15], v[14:15], 0, v[20:21]
	global_load_dwordx4 v[14:17], v[14:15], off offset:128
.LBB47_55:
	s_or_b64 exec, exec, s[2:3]
	s_branch .LBB47_58
.LBB47_56:
                                        ; implicit-def: $vgpr5
                                        ; implicit-def: $vgpr9
                                        ; implicit-def: $vgpr13
                                        ; implicit-def: $vgpr17
	s_cbranch_execz .LBB47_58
; %bb.57:
	s_waitcnt vmcnt(0)
	v_lshlrev_b32_e32 v2, 1, v18
	v_lshl_or_b32 v18, v25, 9, v2
	s_and_b32 s5, s5, 0xffff
	s_mov_b32 s7, 0x20000
	s_movk_i32 s6, 0x4000
	s_movk_i32 s0, 0x80
	buffer_load_dwordx4 v[2:5], v18, s[4:7], 0 offen
	buffer_load_dwordx4 v[6:9], v18, s[4:7], 0 offen offset:256
	buffer_load_dwordx4 v[10:13], v18, s[4:7], s0 offen
	buffer_load_dwordx4 v[14:17], v18, s[4:7], s0 offen offset:256
.LBB47_58:
	ds_read_b64 v[20:21], v27 offset:57344
	v_add_u32_e32 v18, 0x6000, v26
	ds_read2_b64 v[36:39], v18 offset1:16
	ds_read_b64 v[52:53], v28 offset:57344
	ds_read_b64 v[28:29], v29 offset:57344
	;; [unrolled: 1-line block ×3, first 2 shown]
	ds_read2st64_b64 v[40:43], v26 offset0:52 offset1:56
	s_mov_b32 s0, 0x1000504
	s_mov_b32 s1, 0x3020706
	s_waitcnt lgkmcnt(4)
	v_mfma_f32_16x16x16_bf16 a[0:3], v[20:21], v[36:37], a[0:3]
	v_mfma_f32_16x16x16_bf16 a[4:7], v[20:21], v[38:39], a[4:7]
	ds_read2_b64 v[36:39], v18 offset0:32 offset1:48
	v_and_b32_e32 v18, 6, v0
	v_xor_b32_e32 v25, v25, v18
	s_waitcnt lgkmcnt(0)
	v_mfma_f32_16x16x16_bf16 a[8:11], v[20:21], v[36:37], a[8:11]
	v_lshlrev_b32_e32 v25, 2, v25
	v_and_b32_e32 v0, 1, v0
	v_xor_b32_e32 v35, 0x440, v25
	v_mfma_f32_16x16x16_bf16 a[12:15], v[20:21], v[38:39], a[12:15]
	ds_read2st64_b64 v[36:39], v31 offset0:52 offset1:56
	ds_read2st64_b64 v[44:47], v32 offset0:52 offset1:56
	;; [unrolled: 1-line block ×3, first 2 shown]
	v_cmp_eq_u32_e32 vcc, 0, v0
	ds_read_b64 v[20:21], v26 offset:30720
	ds_read_b64 v[26:27], v31 offset:30720
	;; [unrolled: 1-line block ×4, first 2 shown]
	v_mfma_f32_16x16x16_bf16 a[0:3], v[52:53], v[40:41], a[0:3]
	v_cndmask_b32_e32 v0, v35, v25, vcc
	v_lshl_or_b32 v0, v18, 10, v0
	s_waitcnt vmcnt(0)
	v_perm_b32 v18, v2, v6, s0
	s_waitcnt lgkmcnt(6)
	v_mfma_f32_16x16x16_bf16 a[4:7], v[52:53], v[36:37], a[4:7]
	v_perm_b32 v25, v10, v14, s0
	ds_write2st64_b32 v0, v18, v25 offset0:128 offset1:160
	v_xor_b32_e32 v18, 8, v0
	s_waitcnt lgkmcnt(6)
	v_mfma_f32_16x16x16_bf16 a[8:11], v[52:53], v[44:45], a[8:11]
	v_perm_b32 v2, v2, v6, s1
	v_perm_b32 v6, v10, v14, s1
	v_add_u32_e32 v10, 0x80, v18
	s_waitcnt lgkmcnt(5)
	v_mfma_f32_16x16x16_bf16 a[12:15], v[52:53], v[48:49], a[12:15]
	ds_write2st64_b32 v10, v2, v6 offset0:128 offset1:160
	v_xor_b32_e32 v2, 16, v0
	v_perm_b32 v6, v3, v7, s0
	v_mfma_f32_16x16x16_bf16 a[0:3], v[28:29], v[42:43], a[0:3]
	v_perm_b32 v10, v11, v15, s0
	ds_write2st64_b32 v2, v6, v10 offset0:129 offset1:161
	v_xor_b32_e32 v2, 24, v0
	v_mfma_f32_16x16x16_bf16 a[4:7], v[28:29], v[38:39], a[4:7]
	v_perm_b32 v3, v3, v7, s1
	v_perm_b32 v6, v11, v15, s1
	v_add_u32_e32 v2, 0x80, v2
	v_mfma_f32_16x16x16_bf16 a[16:19], v[28:29], v[46:47], a[8:11]
	ds_write2st64_b32 v2, v3, v6 offset0:129 offset1:161
	v_xor_b32_e32 v2, 32, v0
	v_perm_b32 v3, v4, v8, s0
	v_mfma_f32_16x16x16_bf16 a[20:23], v[28:29], v[50:51], a[12:15]
	v_perm_b32 v6, v12, v16, s0
	ds_write2st64_b32 v2, v3, v6 offset0:130 offset1:162
	v_xor_b32_e32 v2, 40, v0
	s_waitcnt lgkmcnt(8)
	v_mfma_f32_16x16x16_bf16 a[12:15], v[54:55], v[20:21], a[0:3]
	v_perm_b32 v3, v4, v8, s1
	v_perm_b32 v4, v12, v16, s1
	v_add_u32_e32 v2, 0x80, v2
	s_waitcnt lgkmcnt(7)
	v_mfma_f32_16x16x16_bf16 a[8:11], v[54:55], v[26:27], a[4:7]
	ds_write2st64_b32 v2, v3, v4 offset0:130 offset1:162
	v_xor_b32_e32 v2, 48, v0
	v_perm_b32 v3, v5, v9, s0
	s_waitcnt lgkmcnt(7)
	v_mfma_f32_16x16x16_bf16 a[4:7], v[54:55], v[30:31], a[16:19]
	v_perm_b32 v4, v13, v17, s0
	v_xor_b32_e32 v0, 56, v0
	v_and_or_b32 v21, v34, 12, v1
	s_waitcnt lgkmcnt(6)
	v_mfma_f32_16x16x16_bf16 a[0:3], v[54:55], v[32:33], a[20:23]
	ds_write2st64_b32 v2, v3, v4 offset0:131 offset1:163
	v_perm_b32 v2, v5, v9, s1
	v_perm_b32 v3, v13, v17, s1
	v_add_u32_e32 v0, 0x80, v0
	v_cmp_gt_i32_e32 vcc, s43, v21
	v_mov_b32_e32 v16, 0
	v_mov_b32_e32 v18, 0
	ds_write2st64_b32 v0, v2, v3 offset0:131 offset1:163
	s_and_saveexec_b64 s[0:1], vcc
	s_cbranch_execz .LBB47_60
; %bb.59:
	v_add_u32_e32 v0, s42, v21
	v_ashrrev_i32_e32 v1, 31, v0
	v_mul_lo_u32 v2, v1, s34
	v_mul_lo_u32 v3, v0, s35
	v_mad_u64_u32 v[0:1], s[2:3], v0, s34, 0
	v_add3_u32 v1, v1, v3, v2
	v_lshl_add_u64 v[0:1], v[0:1], 2, s[10:11]
	global_load_dword v0, v[0:1], off
	s_waitcnt vmcnt(0)
	v_sub_f32_e32 v0, s12, v0
	v_exp_f32_e32 v18, v0
.LBB47_60:
	s_or_b64 exec, exec, s[0:1]
	v_or_b32_e32 v10, 1, v21
	v_cmp_gt_i32_e64 s[2:3], s43, v10
	s_and_saveexec_b64 s[0:1], s[2:3]
	s_cbranch_execz .LBB47_62
; %bb.61:
	v_add_u32_e32 v0, s42, v10
	v_ashrrev_i32_e32 v1, 31, v0
	v_mul_lo_u32 v2, v1, s34
	v_mul_lo_u32 v3, v0, s35
	v_mad_u64_u32 v[0:1], s[4:5], v0, s34, 0
	v_add3_u32 v1, v1, v3, v2
	v_lshl_add_u64 v[0:1], v[0:1], 2, s[10:11]
	global_load_dword v0, v[0:1], off
	s_waitcnt vmcnt(0)
	v_sub_f32_e32 v0, s12, v0
	v_exp_f32_e32 v16, v0
.LBB47_62:
	s_or_b64 exec, exec, s[0:1]
	v_or_b32_e32 v12, 2, v21
	v_cmp_gt_i32_e64 s[0:1], s43, v12
	v_mov_b32_e32 v17, 0
	v_mov_b32_e32 v20, 0
	s_and_saveexec_b64 s[4:5], s[0:1]
	s_cbranch_execz .LBB47_64
; %bb.63:
	v_add_u32_e32 v0, s42, v12
	v_ashrrev_i32_e32 v1, 31, v0
	v_mul_lo_u32 v2, v1, s34
	v_mul_lo_u32 v3, v0, s35
	v_mad_u64_u32 v[0:1], s[6:7], v0, s34, 0
	v_add3_u32 v1, v1, v3, v2
	v_lshl_add_u64 v[0:1], v[0:1], 2, s[10:11]
	global_load_dword v0, v[0:1], off
	s_waitcnt vmcnt(0)
	v_sub_f32_e32 v0, s12, v0
	v_exp_f32_e32 v20, v0
.LBB47_64:
	s_or_b64 exec, exec, s[4:5]
	v_or_b32_e32 v14, 3, v21
	v_cmp_gt_i32_e64 s[4:5], s43, v14
	s_and_saveexec_b64 s[6:7], s[4:5]
	s_cbranch_execz .LBB47_66
; %bb.65:
	v_add_u32_e32 v0, s42, v14
	v_ashrrev_i32_e32 v1, 31, v0
	v_mul_lo_u32 v2, v1, s34
	v_mul_lo_u32 v3, v0, s35
	v_mad_u64_u32 v[0:1], s[16:17], v0, s34, 0
	v_add3_u32 v1, v1, v3, v2
	v_lshl_add_u64 v[0:1], v[0:1], 2, s[10:11]
	global_load_dword v0, v[0:1], off
	s_waitcnt vmcnt(0)
	v_sub_f32_e32 v0, s12, v0
	v_exp_f32_e32 v17, v0
.LBB47_66:
	s_or_b64 exec, exec, s[6:7]
	s_add_u32 s6, s8, s28
	v_or_b32_e32 v4, s36, v74
	s_addc_u32 s7, s9, s29
	s_add_u32 s8, s14, s28
	v_ashrrev_i32_e32 v5, 31, v4
	v_accvgpr_read_b32 v0, a12
	s_addc_u32 s9, s15, s29
	v_lshlrev_b64 v[4:5], 1, v[4:5]
	v_accvgpr_read_b32 v1, a13
	v_accvgpr_read_b32 v2, a14
	;; [unrolled: 1-line block ×3, first 2 shown]
	v_lshl_add_u64 v[6:7], s[6:7], 0, v[4:5]
	v_lshl_add_u64 v[4:5], s[8:9], 0, v[4:5]
	v_mov_b32_e32 v11, 0
	v_lshlrev_b32_e32 v8, 8, v21
	v_mov_b32_e32 v9, 0
	s_and_saveexec_b64 s[6:7], vcc
	s_cbranch_execz .LBB47_68
; %bb.67:
	v_mov_b32_e32 v9, 0
	v_lshl_add_u64 v[26:27], v[6:7], 0, v[8:9]
	global_load_ushort v13, v[26:27], off
	v_lshl_add_u64 v[26:27], v[4:5], 0, v[8:9]
	s_waitcnt vmcnt(0)
	v_lshlrev_b32_e32 v9, 16, v13
	v_sub_f32_e32 v0, v9, v0
	global_store_short_d16_hi v[26:27], v0, off
	v_mul_f32_e32 v0, v18, v0
	v_lshrrev_b32_e32 v9, 16, v0
.LBB47_68:
	s_or_b64 exec, exec, s[6:7]
	v_lshlrev_b32_e32 v10, 8, v10
	s_and_saveexec_b64 s[6:7], s[2:3]
	s_cbranch_execz .LBB47_70
; %bb.69:
	v_mov_b32_e32 v11, 0
	v_lshl_add_u64 v[26:27], v[6:7], 0, v[10:11]
	global_load_ushort v0, v[26:27], off
	v_lshl_add_u64 v[26:27], v[4:5], 0, v[10:11]
	s_waitcnt vmcnt(0)
	v_lshlrev_b32_e32 v0, 16, v0
	v_sub_f32_e32 v0, v0, v1
	global_store_short_d16_hi v[26:27], v0, off
	v_mul_f32_e32 v0, v16, v0
	v_lshrrev_b32_e32 v11, 16, v0
.LBB47_70:
	s_or_b64 exec, exec, s[6:7]
	v_mov_b32_e32 v15, 0
	v_lshlrev_b32_e32 v12, 8, v12
	v_mov_b32_e32 v13, 0
	s_and_saveexec_b64 s[6:7], s[0:1]
	s_cbranch_execz .LBB47_72
; %bb.71:
	v_mov_b32_e32 v13, 0
	v_lshl_add_u64 v[0:1], v[6:7], 0, v[12:13]
	global_load_ushort v25, v[0:1], off
	v_lshl_add_u64 v[0:1], v[4:5], 0, v[12:13]
	s_waitcnt vmcnt(0)
	v_lshlrev_b32_e32 v13, 16, v25
	v_sub_f32_e32 v2, v13, v2
	global_store_short_d16_hi v[0:1], v2, off
	v_mul_f32_e32 v0, v20, v2
	v_lshrrev_b32_e32 v13, 16, v0
.LBB47_72:
	s_or_b64 exec, exec, s[6:7]
	v_lshlrev_b32_e32 v14, 8, v14
	s_and_saveexec_b64 s[6:7], s[4:5]
	s_cbranch_execz .LBB47_74
; %bb.73:
	v_mov_b32_e32 v15, 0
	v_lshl_add_u64 v[0:1], v[6:7], 0, v[14:15]
	global_load_ushort v2, v[0:1], off
	v_lshl_add_u64 v[0:1], v[4:5], 0, v[14:15]
	s_waitcnt vmcnt(0)
	v_lshlrev_b32_e32 v2, 16, v2
	v_sub_f32_e32 v2, v2, v3
	global_store_short_d16_hi v[0:1], v2, off
	v_mul_f32_e32 v0, v17, v2
	v_lshrrev_b32_e32 v15, 16, v0
.LBB47_74:
	s_or_b64 exec, exec, s[6:7]
	v_lshlrev_b32_e32 v21, 6, v21
	s_mov_b32 s6, 0x5040100
	v_perm_b32 v26, v11, v9, s6
	v_or_b32_e32 v9, v21, v24
	v_accvgpr_read_b32 v0, a8
	v_perm_b32 v27, v15, v13, s6
	v_lshlrev_b32_e32 v9, 1, v9
	v_accvgpr_read_b32 v1, a9
	v_accvgpr_read_b32 v2, a10
	;; [unrolled: 1-line block ×3, first 2 shown]
	ds_write_b64 v9, v[26:27] offset:24576
	v_mov_b32_e32 v11, 0
	v_mov_b32_e32 v9, 0
	s_and_saveexec_b64 s[6:7], vcc
	s_cbranch_execz .LBB47_76
; %bb.75:
	v_mov_b32_e32 v9, 0
	v_lshl_add_u64 v[24:25], v[6:7], 0, v[8:9]
	global_load_ushort v13, v[24:25], off offset:32
	v_lshl_add_u64 v[24:25], v[4:5], 0, v[8:9]
	s_waitcnt vmcnt(0)
	v_lshlrev_b32_e32 v9, 16, v13
	v_sub_f32_e32 v0, v9, v0
	global_store_short_d16_hi v[24:25], v0, off offset:32
	v_mul_f32_e32 v0, v18, v0
	v_lshrrev_b32_e32 v9, 16, v0
.LBB47_76:
	s_or_b64 exec, exec, s[6:7]
	s_and_saveexec_b64 s[6:7], s[2:3]
	s_cbranch_execz .LBB47_78
; %bb.77:
	v_mov_b32_e32 v11, 0
	v_lshl_add_u64 v[24:25], v[6:7], 0, v[10:11]
	global_load_ushort v0, v[24:25], off offset:32
	v_lshl_add_u64 v[24:25], v[4:5], 0, v[10:11]
	s_waitcnt vmcnt(0)
	v_lshlrev_b32_e32 v0, 16, v0
	v_sub_f32_e32 v0, v0, v1
	global_store_short_d16_hi v[24:25], v0, off offset:32
	v_mul_f32_e32 v0, v16, v0
	v_lshrrev_b32_e32 v11, 16, v0
.LBB47_78:
	s_or_b64 exec, exec, s[6:7]
	v_mov_b32_e32 v15, 0
	v_mov_b32_e32 v13, 0
	s_and_saveexec_b64 s[6:7], s[0:1]
	s_cbranch_execz .LBB47_80
; %bb.79:
	v_mov_b32_e32 v13, 0
	v_lshl_add_u64 v[0:1], v[6:7], 0, v[12:13]
	global_load_ushort v24, v[0:1], off offset:32
	v_lshl_add_u64 v[0:1], v[4:5], 0, v[12:13]
	s_waitcnt vmcnt(0)
	v_lshlrev_b32_e32 v13, 16, v24
	v_sub_f32_e32 v2, v13, v2
	global_store_short_d16_hi v[0:1], v2, off offset:32
	v_mul_f32_e32 v0, v20, v2
	v_lshrrev_b32_e32 v13, 16, v0
.LBB47_80:
	s_or_b64 exec, exec, s[6:7]
	s_and_saveexec_b64 s[6:7], s[4:5]
	s_cbranch_execz .LBB47_82
; %bb.81:
	v_mov_b32_e32 v15, 0
	v_lshl_add_u64 v[0:1], v[6:7], 0, v[14:15]
	global_load_ushort v2, v[0:1], off offset:32
	v_lshl_add_u64 v[0:1], v[4:5], 0, v[14:15]
	s_waitcnt vmcnt(0)
	v_lshlrev_b32_e32 v2, 16, v2
	v_sub_f32_e32 v2, v2, v3
	global_store_short_d16_hi v[0:1], v2, off offset:32
	v_mul_f32_e32 v0, v17, v2
	v_lshrrev_b32_e32 v15, 16, v0
.LBB47_82:
	s_or_b64 exec, exec, s[6:7]
	s_mov_b32 s6, 0x5040100
	v_perm_b32 v24, v11, v9, s6
	v_or_b32_e32 v9, v21, v23
	v_accvgpr_read_b32 v0, a4
	v_perm_b32 v25, v15, v13, s6
	v_lshlrev_b32_e32 v9, 1, v9
	v_accvgpr_read_b32 v1, a5
	v_accvgpr_read_b32 v2, a6
	;; [unrolled: 1-line block ×3, first 2 shown]
	ds_write_b64 v9, v[24:25] offset:24576
	v_mov_b32_e32 v11, 0
	v_mov_b32_e32 v9, 0
	s_and_saveexec_b64 s[6:7], vcc
	s_cbranch_execz .LBB47_84
; %bb.83:
	v_mov_b32_e32 v9, 0
	v_lshl_add_u64 v[24:25], v[6:7], 0, v[8:9]
	global_load_ushort v13, v[24:25], off offset:64
	v_lshl_add_u64 v[24:25], v[4:5], 0, v[8:9]
	s_waitcnt vmcnt(0)
	v_lshlrev_b32_e32 v9, 16, v13
	v_sub_f32_e32 v0, v9, v0
	global_store_short_d16_hi v[24:25], v0, off offset:64
	v_mul_f32_e32 v0, v18, v0
	v_lshrrev_b32_e32 v9, 16, v0
.LBB47_84:
	s_or_b64 exec, exec, s[6:7]
	s_and_saveexec_b64 s[6:7], s[2:3]
	s_cbranch_execz .LBB47_86
; %bb.85:
	v_mov_b32_e32 v11, 0
	v_lshl_add_u64 v[24:25], v[6:7], 0, v[10:11]
	global_load_ushort v0, v[24:25], off offset:64
	v_lshl_add_u64 v[24:25], v[4:5], 0, v[10:11]
	s_waitcnt vmcnt(0)
	v_lshlrev_b32_e32 v0, 16, v0
	v_sub_f32_e32 v0, v0, v1
	global_store_short_d16_hi v[24:25], v0, off offset:64
	v_mul_f32_e32 v0, v16, v0
	v_lshrrev_b32_e32 v11, 16, v0
.LBB47_86:
	s_or_b64 exec, exec, s[6:7]
	v_mov_b32_e32 v15, 0
	v_mov_b32_e32 v13, 0
	s_and_saveexec_b64 s[6:7], s[0:1]
	s_cbranch_execz .LBB47_88
; %bb.87:
	v_mov_b32_e32 v13, 0
	v_lshl_add_u64 v[0:1], v[6:7], 0, v[12:13]
	global_load_ushort v23, v[0:1], off offset:64
	v_lshl_add_u64 v[0:1], v[4:5], 0, v[12:13]
	s_waitcnt vmcnt(0)
	v_lshlrev_b32_e32 v13, 16, v23
	v_sub_f32_e32 v2, v13, v2
	global_store_short_d16_hi v[0:1], v2, off offset:64
	v_mul_f32_e32 v0, v20, v2
	v_lshrrev_b32_e32 v13, 16, v0
.LBB47_88:
	s_or_b64 exec, exec, s[6:7]
	s_and_saveexec_b64 s[6:7], s[4:5]
	s_cbranch_execz .LBB47_90
; %bb.89:
	v_mov_b32_e32 v15, 0
	v_lshl_add_u64 v[0:1], v[6:7], 0, v[14:15]
	global_load_ushort v2, v[0:1], off offset:64
	v_lshl_add_u64 v[0:1], v[4:5], 0, v[14:15]
	s_waitcnt vmcnt(0)
	v_lshlrev_b32_e32 v2, 16, v2
	v_sub_f32_e32 v2, v2, v3
	global_store_short_d16_hi v[0:1], v2, off offset:64
	v_mul_f32_e32 v0, v17, v2
	v_lshrrev_b32_e32 v15, 16, v0
.LBB47_90:
	s_or_b64 exec, exec, s[6:7]
	s_mov_b32 s6, 0x5040100
	v_perm_b32 v24, v11, v9, s6
	v_or_b32_e32 v9, v21, v22
	v_accvgpr_read_b32 v0, a0
	v_perm_b32 v25, v15, v13, s6
	v_lshlrev_b32_e32 v9, 1, v9
	v_accvgpr_read_b32 v1, a1
	v_accvgpr_read_b32 v2, a2
	;; [unrolled: 1-line block ×3, first 2 shown]
	ds_write_b64 v9, v[24:25] offset:24576
	v_mov_b32_e32 v11, 0
	v_mov_b32_e32 v9, 0
	s_and_saveexec_b64 s[6:7], vcc
	s_cbranch_execz .LBB47_92
; %bb.91:
	v_mov_b32_e32 v9, 0
	v_lshl_add_u64 v[22:23], v[6:7], 0, v[8:9]
	global_load_ushort v13, v[22:23], off offset:96
	v_lshl_add_u64 v[8:9], v[4:5], 0, v[8:9]
	s_waitcnt vmcnt(0)
	v_lshlrev_b32_e32 v13, 16, v13
	v_sub_f32_e32 v0, v13, v0
	global_store_short_d16_hi v[8:9], v0, off offset:96
	v_mul_f32_e32 v0, v18, v0
	v_lshrrev_b32_e32 v9, 16, v0
.LBB47_92:
	s_or_b64 exec, exec, s[6:7]
	s_and_saveexec_b64 s[6:7], s[2:3]
	s_cbranch_execz .LBB47_94
; %bb.93:
	v_mov_b32_e32 v11, 0
	v_lshl_add_u64 v[22:23], v[6:7], 0, v[10:11]
	global_load_ushort v0, v[22:23], off offset:96
	v_lshl_add_u64 v[10:11], v[4:5], 0, v[10:11]
	s_waitcnt vmcnt(0)
	v_lshlrev_b32_e32 v0, 16, v0
	v_sub_f32_e32 v0, v0, v1
	global_store_short_d16_hi v[10:11], v0, off offset:96
	v_mul_f32_e32 v0, v16, v0
	v_lshrrev_b32_e32 v11, 16, v0
.LBB47_94:
	s_or_b64 exec, exec, s[6:7]
	v_mov_b32_e32 v0, 0
	v_mov_b32_e32 v1, 0
	s_and_saveexec_b64 s[2:3], s[0:1]
	s_cbranch_execz .LBB47_96
; %bb.95:
	v_mov_b32_e32 v13, 0
	v_lshl_add_u64 v[22:23], v[6:7], 0, v[12:13]
	global_load_ushort v1, v[22:23], off offset:96
	v_lshl_add_u64 v[12:13], v[4:5], 0, v[12:13]
	s_waitcnt vmcnt(0)
	v_lshlrev_b32_e32 v1, 16, v1
	v_sub_f32_e32 v1, v1, v2
	global_store_short_d16_hi v[12:13], v1, off offset:96
	v_mul_f32_e32 v1, v20, v1
	v_lshrrev_b32_e32 v1, 16, v1
.LBB47_96:
	s_or_b64 exec, exec, s[2:3]
	s_and_saveexec_b64 s[0:1], s[4:5]
	s_cbranch_execz .LBB47_98
; %bb.97:
	v_mov_b32_e32 v15, 0
	v_lshl_add_u64 v[6:7], v[6:7], 0, v[14:15]
	global_load_ushort v0, v[6:7], off offset:96
	v_lshl_add_u64 v[4:5], v[4:5], 0, v[14:15]
	s_waitcnt vmcnt(0)
	v_lshlrev_b32_e32 v0, 16, v0
	v_sub_f32_e32 v0, v0, v3
	global_store_short_d16_hi v[4:5], v0, off offset:96
	v_mul_f32_e32 v0, v17, v0
	v_lshrrev_b32_e32 v0, 16, v0
.LBB47_98:
	s_or_b64 exec, exec, s[0:1]
	s_mov_b32 s0, 0x5040100
	v_or_b32_e32 v2, v21, v19
	v_perm_b32 v1, v0, v1, s0
	v_perm_b32 v0, v11, v9, s0
	v_lshlrev_b32_e32 v2, 1, v2
	ds_write_b64 v2, v[0:1] offset:24576
	s_waitcnt lgkmcnt(0)
	s_barrier
.LBB47_99:
	s_endpgm
	.section	.rodata,"a",@progbits
	.p2align	6, 0x0
	.amdhsa_kernel _ZN12_GLOBAL__N_139chunk_gated_delta_rule_fwd_h_hip_kernelILi64ELb0ELb0ELb1ELb0ELb1ELb0ELb1ELb1EEEvPK12hip_bfloat16S3_S3_PKfS5_PKvPS1_S8_PvPKiSB_iiiiilll
		.amdhsa_group_segment_fixed_size 65536
		.amdhsa_private_segment_fixed_size 0
		.amdhsa_kernarg_size 136
		.amdhsa_user_sgpr_count 2
		.amdhsa_user_sgpr_dispatch_ptr 0
		.amdhsa_user_sgpr_queue_ptr 0
		.amdhsa_user_sgpr_kernarg_segment_ptr 1
		.amdhsa_user_sgpr_dispatch_id 0
		.amdhsa_user_sgpr_kernarg_preload_length 0
		.amdhsa_user_sgpr_kernarg_preload_offset 0
		.amdhsa_user_sgpr_private_segment_size 0
		.amdhsa_uses_dynamic_stack 0
		.amdhsa_enable_private_segment 0
		.amdhsa_system_sgpr_workgroup_id_x 1
		.amdhsa_system_sgpr_workgroup_id_y 1
		.amdhsa_system_sgpr_workgroup_id_z 0
		.amdhsa_system_sgpr_workgroup_info 0
		.amdhsa_system_vgpr_workitem_id 0
		.amdhsa_next_free_vgpr 216
		.amdhsa_next_free_sgpr 65
		.amdhsa_accum_offset 180
		.amdhsa_reserve_vcc 1
		.amdhsa_float_round_mode_32 0
		.amdhsa_float_round_mode_16_64 0
		.amdhsa_float_denorm_mode_32 3
		.amdhsa_float_denorm_mode_16_64 3
		.amdhsa_dx10_clamp 1
		.amdhsa_ieee_mode 1
		.amdhsa_fp16_overflow 0
		.amdhsa_tg_split 0
		.amdhsa_exception_fp_ieee_invalid_op 0
		.amdhsa_exception_fp_denorm_src 0
		.amdhsa_exception_fp_ieee_div_zero 0
		.amdhsa_exception_fp_ieee_overflow 0
		.amdhsa_exception_fp_ieee_underflow 0
		.amdhsa_exception_fp_ieee_inexact 0
		.amdhsa_exception_int_div_zero 0
	.end_amdhsa_kernel
	.section	.text._ZN12_GLOBAL__N_139chunk_gated_delta_rule_fwd_h_hip_kernelILi64ELb0ELb0ELb1ELb0ELb1ELb0ELb1ELb1EEEvPK12hip_bfloat16S3_S3_PKfS5_PKvPS1_S8_PvPKiSB_iiiiilll,"axG",@progbits,_ZN12_GLOBAL__N_139chunk_gated_delta_rule_fwd_h_hip_kernelILi64ELb0ELb0ELb1ELb0ELb1ELb0ELb1ELb1EEEvPK12hip_bfloat16S3_S3_PKfS5_PKvPS1_S8_PvPKiSB_iiiiilll,comdat
.Lfunc_end47:
	.size	_ZN12_GLOBAL__N_139chunk_gated_delta_rule_fwd_h_hip_kernelILi64ELb0ELb0ELb1ELb0ELb1ELb0ELb1ELb1EEEvPK12hip_bfloat16S3_S3_PKfS5_PKvPS1_S8_PvPKiSB_iiiiilll, .Lfunc_end47-_ZN12_GLOBAL__N_139chunk_gated_delta_rule_fwd_h_hip_kernelILi64ELb0ELb0ELb1ELb0ELb1ELb0ELb1ELb1EEEvPK12hip_bfloat16S3_S3_PKfS5_PKvPS1_S8_PvPKiSB_iiiiilll
                                        ; -- End function
	.section	.AMDGPU.csdata,"",@progbits
; Kernel info:
; codeLenInByte = 11252
; NumSgprs: 71
; NumVgprs: 180
; NumAgprs: 36
; TotalNumVgprs: 216
; ScratchSize: 0
; MemoryBound: 0
; FloatMode: 240
; IeeeMode: 1
; LDSByteSize: 65536 bytes/workgroup (compile time only)
; SGPRBlocks: 8
; VGPRBlocks: 26
; NumSGPRsForWavesPerEU: 71
; NumVGPRsForWavesPerEU: 216
; AccumOffset: 180
; Occupancy: 1
; WaveLimiterHint : 1
; COMPUTE_PGM_RSRC2:SCRATCH_EN: 0
; COMPUTE_PGM_RSRC2:USER_SGPR: 2
; COMPUTE_PGM_RSRC2:TRAP_HANDLER: 0
; COMPUTE_PGM_RSRC2:TGID_X_EN: 1
; COMPUTE_PGM_RSRC2:TGID_Y_EN: 1
; COMPUTE_PGM_RSRC2:TGID_Z_EN: 0
; COMPUTE_PGM_RSRC2:TIDIG_COMP_CNT: 0
; COMPUTE_PGM_RSRC3_GFX90A:ACCUM_OFFSET: 44
; COMPUTE_PGM_RSRC3_GFX90A:TG_SPLIT: 0
	.section	.text._ZN12_GLOBAL__N_139chunk_gated_delta_rule_fwd_h_hip_kernelILi64ELb0ELb0ELb0ELb0ELb1ELb0ELb1ELb1EEEvPK12hip_bfloat16S3_S3_PKfS5_PKvPS1_S8_PvPKiSB_iiiiilll,"axG",@progbits,_ZN12_GLOBAL__N_139chunk_gated_delta_rule_fwd_h_hip_kernelILi64ELb0ELb0ELb0ELb0ELb1ELb0ELb1ELb1EEEvPK12hip_bfloat16S3_S3_PKfS5_PKvPS1_S8_PvPKiSB_iiiiilll,comdat
	.globl	_ZN12_GLOBAL__N_139chunk_gated_delta_rule_fwd_h_hip_kernelILi64ELb0ELb0ELb0ELb0ELb1ELb0ELb1ELb1EEEvPK12hip_bfloat16S3_S3_PKfS5_PKvPS1_S8_PvPKiSB_iiiiilll ; -- Begin function _ZN12_GLOBAL__N_139chunk_gated_delta_rule_fwd_h_hip_kernelILi64ELb0ELb0ELb0ELb0ELb1ELb0ELb1ELb1EEEvPK12hip_bfloat16S3_S3_PKfS5_PKvPS1_S8_PvPKiSB_iiiiilll
	.p2align	8
	.type	_ZN12_GLOBAL__N_139chunk_gated_delta_rule_fwd_h_hip_kernelILi64ELb0ELb0ELb0ELb0ELb1ELb0ELb1ELb1EEEvPK12hip_bfloat16S3_S3_PKfS5_PKvPS1_S8_PvPKiSB_iiiiilll,@function
_ZN12_GLOBAL__N_139chunk_gated_delta_rule_fwd_h_hip_kernelILi64ELb0ELb0ELb0ELb0ELb1ELb0ELb1ELb1EEEvPK12hip_bfloat16S3_S3_PKfS5_PKvPS1_S8_PvPKiSB_iiiiilll: ; @_ZN12_GLOBAL__N_139chunk_gated_delta_rule_fwd_h_hip_kernelILi64ELb0ELb0ELb0ELb0ELb1ELb0ELb1ELb1EEEvPK12hip_bfloat16S3_S3_PKfS5_PKvPS1_S8_PvPKiSB_iiiiilll
; %bb.0:
	s_load_dwordx4 s[12:15], s[0:1], 0x5c
	s_load_dwordx2 s[36:37], s[0:1], 0x30
	s_abs_i32 s18, s3
	s_ashr_i32 s17, s3, 31
	s_load_dwordx8 s[4:11], s[0:1], 0x0
	s_waitcnt lgkmcnt(0)
	s_abs_i32 s16, s13
	v_cvt_f32_u32_e32 v1, s16
	s_sub_i32 s20, 0, s16
	s_ashr_i32 s19, s13, 31
	s_xor_b32 s17, s17, s19
	v_rcp_iflag_f32_e32 v1, v1
	v_lshrrev_b32_e32 v74, 6, v0
	v_bfe_u32 v75, v0, 4, 2
	v_lshlrev_b32_e32 v2, 2, v75
	v_mul_f32_e32 v1, 0x4f7ffffe, v1
	v_cvt_u32_f32_e32 v1, v1
	v_and_b32_e32 v73, 63, v0
	v_mov_b32_e32 v35, 0
	v_and_b32_e32 v72, 15, v0
	v_readfirstlane_b32 s21, v1
	s_mul_i32 s20, s20, s21
	s_mul_hi_u32 s20, s21, s20
	s_add_i32 s21, s21, s20
	s_mul_hi_u32 s20, s18, s21
	s_mul_i32 s21, s20, s16
	s_sub_i32 s18, s18, s21
	s_add_i32 s22, s20, 1
	s_sub_i32 s21, s18, s16
	s_cmp_ge_u32 s18, s16
	s_cselect_b32 s20, s22, s20
	s_cselect_b32 s18, s21, s18
	s_add_i32 s21, s20, 1
	s_cmp_ge_u32 s18, s16
	s_cselect_b32 s18, s21, s20
	s_xor_b32 s18, s18, s17
	s_sub_i32 s45, s18, s17
	s_abs_i32 s17, s14
	v_cvt_f32_u32_e32 v1, s17
	s_add_i32 s20, s12, 63
	s_mul_i32 s43, s45, s13
	s_sub_i32 s33, s3, s43
	v_rcp_iflag_f32_e32 v1, v1
	s_ashr_i32 s3, s20, 31
	s_ashr_i32 s44, s12, 31
	s_lshr_b32 s3, s3, 26
	v_mul_f32_e32 v1, 0x4f7ffffe, v1
	v_cvt_u32_f32_e32 v1, v1
	s_lshr_b32 s18, s44, 26
	s_add_i32 s20, s20, s3
	s_add_i32 s18, s12, s18
	s_ashr_i32 s47, s14, 31
	s_ashr_i32 s3, s20, 6
	;; [unrolled: 1-line block ×3, first 2 shown]
	s_xor_b32 s18, s19, s47
	s_sub_i32 s19, 0, s17
	v_readfirstlane_b32 s20, v1
	s_mul_i32 s19, s19, s20
	s_mul_hi_u32 s19, s20, s19
	s_add_i32 s20, s20, s19
	s_mul_hi_u32 s19, s16, s20
	s_mul_i32 s20, s19, s17
	s_sub_i32 s16, s16, s20
	s_add_i32 s20, s19, 1
	s_sub_i32 s21, s16, s17
	s_cmp_ge_u32 s16, s17
	s_cselect_b32 s19, s20, s19
	s_cselect_b32 s16, s21, s16
	s_add_i32 s20, s19, 1
	s_cmp_ge_u32 s16, s17
	s_cselect_b32 s16, s20, s19
	s_xor_b32 s16, s16, s18
	s_sub_i32 s20, s16, s18
	s_abs_i32 s21, s20
	v_cvt_f32_u32_e32 v1, s21
	s_load_dwordx2 s[28:29], s[0:1], 0x80
	s_load_dwordx4 s[16:19], s[0:1], 0x70
	s_xor_b32 s0, s33, s20
	s_sub_i32 s20, 0, s21
	v_rcp_iflag_f32_e32 v1, v1
	s_abs_i32 s1, s33
	s_ashr_i32 s0, s0, 31
	s_mul_i32 s48, s45, s3
	v_mul_f32_e32 v1, 0x4f7ffffe, v1
	v_cvt_u32_f32_e32 v1, v1
	s_mul_hi_i32 s49, s45, s13
	v_lshrrev_b32_e32 v77, 3, v73
	v_lshlrev_b32_e32 v76, 3, v0
	v_readfirstlane_b32 s22, v1
	s_mul_i32 s20, s20, s22
	s_mul_hi_u32 s20, s22, s20
	s_add_i32 s22, s22, s20
	s_mul_hi_u32 s20, s1, s22
	s_mul_i32 s22, s20, s21
	s_sub_i32 s1, s1, s22
	s_add_i32 s22, s20, 1
	s_sub_i32 s23, s1, s21
	s_cmp_ge_u32 s1, s21
	s_cselect_b32 s20, s22, s20
	s_cselect_b32 s1, s23, s1
	s_add_i32 s22, s20, 1
	s_cmp_ge_u32 s1, s21
	s_cselect_b32 s1, s22, s20
	s_xor_b32 s1, s1, s0
	v_lshlrev_b32_e32 v1, 4, v74
	s_sub_i32 s50, s1, s0
	v_or_b32_e32 v78, v2, v1
	s_lshl_b32 s30, s2, 6
	v_or_b32_e32 v79, 64, v78
	s_cmp_lt_i32 s12, 64
	s_waitcnt lgkmcnt(0)
	s_mul_i32 s17, s45, s17
	s_mul_hi_u32 s42, s45, s16
	s_mul_i32 s34, s45, s16
	v_mov_b32_e32 v34, v35
	v_mov_b32_e32 v41, v35
	;; [unrolled: 1-line block ×31, first 2 shown]
	s_cbranch_scc1 .LBB48_18
; %bb.1:
	s_ashr_i32 s24, s45, 31
	s_ashr_i32 s52, s33, 31
	s_add_u32 s0, s43, s33
	s_addc_u32 s1, s49, s52
	s_mul_i32 s1, s12, s1
	s_mul_hi_u32 s2, s12, s0
	s_add_i32 s3, s2, s1
	s_mul_i32 s2, s12, s0
	s_lshl_b64 s[0:1], s[2:3], 8
	v_and_b32_e32 v81, 56, v76
	s_add_u32 s20, s6, s0
	v_lshl_or_b32 v80, v74, 3, v77
	v_lshlrev_b32_e32 v3, 1, v81
	s_addc_u32 s0, s7, s1
	v_lshl_or_b32 v82, v80, 8, v3
	s_and_b32 s21, s0, 0xffff
	s_mov_b32 s23, 0x20000
	s_movk_i32 s22, 0x4000
	s_movk_i32 s0, 0x80
	v_or_b32_e32 v83, 0x2000, v82
	buffer_load_dwordx4 v[4:7], v82, s[20:23], 0 offen
	buffer_load_dwordx4 v[8:11], v82, s[20:23], s0 offen
	;; [unrolled: 1-line block ×4, first 2 shown]
	v_lshlrev_b32_e32 v20, 3, v80
	v_and_or_b32 v22, v0, 7, v20
	v_and_b32_e32 v20, 0x78, v20
	v_lshlrev_b32_e32 v22, 4, v22
	v_xor_b32_e32 v84, v22, v20
	v_mul_lo_u32 v21, v80, s15
	v_or_b32_e32 v85, 0x1000, v84
	s_cmpk_eq_i32 s15, 0x80
	s_mov_b32 s51, s14
	v_xor_b32_e32 v20, 8, v84
	v_xor_b32_e32 v22, 8, v85
	s_cselect_b64 s[0:1], -1, 0
	s_cmpk_lg_i32 s15, 0x80
	s_waitcnt vmcnt(3)
	ds_write_b64 v84, v[4:5] offset:49152
	ds_write_b64 v20, v[6:7] offset:49152
	s_waitcnt vmcnt(2)
	ds_write_b64 v84, v[8:9] offset:57344
	ds_write_b64 v20, v[10:11] offset:57344
	;; [unrolled: 3-line block ×4, first 2 shown]
	v_lshl_add_u32 v4, v21, 1, v81
	s_cbranch_scc0 .LBB48_3
; %bb.2:
	v_lshlrev_b32_e32 v6, 1, v4
	v_add_lshl_u32 v5, v4, s15, 1
	s_lshl_b32 s22, s15, 7
	v_lshl_or_b32 v3, v80, 9, v3
	s_cbranch_execz .LBB48_4
	s_branch .LBB48_5
.LBB48_3:
                                        ; implicit-def: $vgpr5
                                        ; implicit-def: $vgpr6
                                        ; implicit-def: $sgpr22
	v_lshl_or_b32 v3, v80, 9, v3
.LBB48_4:
	v_or_b32_e32 v5, 0x100, v3
	s_movk_i32 s22, 0x4000
	v_mov_b32_e32 v6, v3
.LBB48_5:
	s_mul_hi_u32 s20, s14, s12
	s_mul_i32 s21, s47, s12
	s_add_i32 s20, s20, s21
	s_mul_i32 s21, s14, s12
	s_mul_i32 s23, s21, s24
	s_mul_hi_u32 s25, s21, s45
	s_add_i32 s23, s25, s23
	s_mul_i32 s20, s20, s45
	s_add_i32 s23, s23, s20
	s_mul_i32 s21, s21, s45
	s_ashr_i32 s53, s50, 31
	s_add_u32 s20, s21, s50
	s_addc_u32 s21, s23, s53
	s_lshl_b64 s[20:21], s[20:21], 8
	s_add_u32 s20, s4, s20
	s_addc_u32 s21, s5, s21
	s_and_b32 s21, s21, 0xffff
	s_mov_b32 s23, 0x20000
	s_movk_i32 s54, 0x80
	buffer_load_dwordx4 v[8:11], v6, s[20:23], 0 offen
	buffer_load_dwordx4 v[12:15], v6, s[20:23], s54 offen
	buffer_load_dwordx4 v[16:19], v5, s[20:23], 0 offen
	buffer_load_dwordx4 v[20:23], v5, s[20:23], s54 offen
	v_and_b32_e32 v5, 6, v0
	v_lshlrev_b32_e32 v6, 7, v78
	v_xor_b32_e32 v27, v80, v5
	v_and_b32_e32 v7, 1, v0
	v_lshl_or_b32 v30, v72, 3, v6
	v_lshlrev_b32_e32 v27, 2, v27
	v_or_b32_e32 v86, 0x4000, v30
	v_or_b32_e32 v87, 0x6000, v30
	v_xor_b32_e32 v30, 0x440, v27
	v_cmp_eq_u32_e32 vcc, 0, v7
	v_lshlrev_b32_e32 v24, 2, v72
	s_mov_b32 s56, 0x1000504
	v_cndmask_b32_e32 v7, v30, v27, vcc
	v_xor_b32_e32 v28, v78, v24
	v_xor_b32_e32 v29, v79, v24
	v_lshl_or_b32 v5, v5, 10, v7
	s_mov_b32 s57, 0x3020706
	s_mul_i32 s20, s24, s12
	s_mul_hi_u32 s21, s45, s12
	v_lshlrev_b32_e32 v25, 8, v72
	v_or_b32_e32 v26, 16, v72
	v_lshlrev_b32_e32 v28, 1, v28
	v_lshlrev_b32_e32 v29, 1, v29
	v_xor_b32_e32 v7, 8, v5
	v_xor_b32_e32 v27, 24, v5
	v_xor_b32_e32 v32, 40, v5
	v_xor_b32_e32 v34, 56, v5
	v_or_b32_e32 v89, v25, v28
	v_or_b32_e32 v90, v25, v29
	v_xor_b32_e32 v25, 16, v5
	v_xor_b32_e32 v30, 32, v5
	;; [unrolled: 1-line block ×3, first 2 shown]
	v_add_u32_e32 v7, 0x80, v7
	v_add_u32_e32 v27, 0x80, v27
	;; [unrolled: 1-line block ×4, first 2 shown]
	s_add_i32 s59, s21, s20
	s_add_i32 s20, s42, s17
	s_mul_i32 s24, s24, s16
	s_add_i32 s35, s20, s24
	s_mul_i32 s20, s33, s19
	s_mul_hi_u32 s21, s33, s18
	s_add_i32 s20, s21, s20
	s_mul_i32 s21, s52, s18
	s_add_i32 s21, s20, s21
	s_lshl_b64 s[24:25], s[34:35], 2
	s_mul_i32 s20, s33, s18
	s_add_u32 s24, s10, s24
	s_addc_u32 s25, s11, s25
	s_lshl_b64 s[20:21], s[20:21], 2
	s_add_u32 s38, s24, s20
	s_movk_i32 s20, 0xf8
	s_addc_u32 s39, s25, s21
	s_ashr_i32 s31, s30, 31
	s_lshl_b32 s26, s15, 7
	s_movk_i32 s24, 0x100
	v_mov_b32_e32 v67, 0
	v_lshlrev_b32_e32 v66, 4, v72
	v_cmp_gt_u32_e32 vcc, s24, v0
	v_lshl_or_b32 v31, v26, 3, v6
	s_mov_b32 s55, 0
	s_mul_i32 s58, s45, s12
	v_or_b32_e32 v88, 0x4000, v31
	s_movk_i32 s22, 0x4000
	v_or_b32_e32 v91, 0x6000, v31
	v_add_u32_e32 v126, v1, v2
	s_movk_i32 s35, 0x2000
	s_movk_i32 s60, 0x3000
	s_mov_b32 s62, 0
	v_mov_b32_e32 v58, v67
	v_mov_b32_e32 v59, v67
	v_mov_b32_e32 v60, v67
	v_mov_b32_e32 v61, v67
	v_mov_b32_e32 v62, v67
	v_mov_b32_e32 v63, v67
	v_mov_b32_e32 v64, v67
	v_mov_b32_e32 v65, v67
	v_mov_b32_e32 v50, v67
	s_waitcnt vmcnt(1)
	v_perm_b32 v35, v8, v16, s56
	s_waitcnt vmcnt(0)
	v_perm_b32 v36, v12, v20, s56
	v_perm_b32 v8, v8, v16, s57
	;; [unrolled: 1-line block ×15, first 2 shown]
	ds_write2st64_b32 v5, v35, v36 offset0:128 offset1:160
	ds_write2st64_b32 v7, v8, v12 offset0:128 offset1:160
	;; [unrolled: 1-line block ×8, first 2 shown]
	v_lshlrev_b32_e32 v5, 8, v26
	v_or_b32_e32 v92, v5, v28
	v_or_b32_e32 v93, v5, v29
	;; [unrolled: 1-line block ×3, first 2 shown]
	v_lshl_or_b32 v7, v5, 3, v6
	v_lshlrev_b32_e32 v5, 8, v5
	v_or_b32_e32 v96, v5, v28
	v_or_b32_e32 v97, v5, v29
	;; [unrolled: 1-line block ×5, first 2 shown]
	v_lshl_or_b32 v7, v5, 3, v6
	v_lshlrev_b32_e32 v5, 8, v5
	v_or_b32_e32 v100, v5, v28
	v_or_b32_e32 v101, v5, v29
	;; [unrolled: 1-line block ×3, first 2 shown]
	v_lshlrev_b32_e32 v5, 3, v5
	v_lshrrev_b32_e32 v9, 5, v73
	v_and_or_b32 v9, v5, s20, v9
	v_lshlrev_b32_e32 v9, 4, v9
	v_or_b32_e32 v98, 0x4000, v7
	v_or_b32_e32 v99, 0x6000, v7
	v_lshlrev_b32_e32 v7, 11, v74
	v_and_b32_e32 v5, 0x78, v5
	v_or_b32_e32 v14, 32, v9
	v_and_b32_e32 v8, 0x1000, v7
	v_xor_b32_e32 v10, v9, v5
	v_lshrrev_b32_e32 v11, 1, v0
	v_xor_b32_e32 v14, v14, v5
	v_or_b32_e32 v10, v10, v8
	v_and_b32_e32 v12, 8, v11
	v_or_b32_e32 v14, v14, v8
	v_xor_b32_e32 v102, v10, v12
	v_lshlrev_b32_e32 v10, 8, v75
	v_xor_b32_e32 v104, v14, v12
	v_or_b32_e32 v14, 64, v9
	v_or_b32_e32 v9, 0x60, v9
	v_or_b32_e32 v13, v10, v24
	v_xor_b32_e32 v14, v14, v5
	v_xor_b32_e32 v5, v9, v5
	v_lshlrev_b32_e32 v13, 1, v13
	v_or_b32_e32 v14, v14, v8
	v_or_b32_e32 v5, v5, v8
	s_lshl_b64 s[20:21], s[30:31], 8
	v_or_b32_e32 v103, 0x4000, v13
	v_or_b32_e32 v105, 0x4080, v13
	;; [unrolled: 1-line block ×4, first 2 shown]
	v_xor_b32_e32 v108, v14, v12
	v_xor_b32_e32 v109, v5, v12
	v_or_b32_e32 v110, 0x6000, v13
	v_or_b32_e32 v111, 0x6080, v13
	;; [unrolled: 1-line block ×4, first 2 shown]
	v_lshlrev_b32_e32 v12, 1, v4
	v_add_lshl_u32 v13, v4, s15, 1
	s_add_u32 s20, s36, s20
	v_lshlrev_b32_e32 v4, 1, v72
	v_lshrrev_b32_e32 v15, 4, v0
	s_addc_u32 s21, s37, s21
	v_or_b32_e32 v5, 1, v4
	v_mov_b32_e32 v19, 0xa000
	v_mov_b32_e32 v20, 0x8000
	v_xor_b32_e32 v16, v15, v4
	v_xor_b32_e32 v17, v5, v15
	v_lshl_add_u64 v[4:5], s[20:21], 0, v[66:67]
	v_lshlrev_b32_e32 v66, 8, v15
	v_cndmask_b32_e32 v19, v19, v20, vcc
	v_lshlrev_b32_e32 v20, 3, v74
	v_and_b32_e32 v11, 24, v11
	v_lshl_or_b32 v114, v16, 3, v66
	v_and_b32_e32 v16, 8, v0
	v_xor_b32_e32 v21, v20, v11
	v_or_b32_e32 v22, 0x440, v21
	v_cmp_eq_u32_e32 vcc, 0, v16
	v_and_b32_e32 v15, 7, v0
	v_lshl_or_b32 v115, v17, 3, v66
	v_cndmask_b32_e32 v16, v22, v21, vcc
	v_lshlrev_b32_e32 v17, 3, v15
	v_lshlrev_b32_e32 v15, 7, v15
	v_or_b32_e32 v16, v16, v7
	v_lshlrev_b32_e32 v18, 2, v0
	v_xad_u32 v116, v16, v17, v15
	v_or_b32_e32 v16, 32, v11
	v_and_or_b32 v10, v18, 60, v10
	v_xor_b32_e32 v16, v20, v16
	v_lshlrev_b32_e32 v10, 1, v10
	v_or_b32_e32 v18, 0x440, v16
	v_or_b32_e32 v117, 0x6000, v10
	v_cndmask_b32_e32 v16, v18, v16, vcc
	v_or_b32_e32 v119, 0x6080, v10
	v_or_b32_e32 v120, 0x6100, v10
	;; [unrolled: 1-line block ×5, first 2 shown]
	v_xor_b32_e32 v10, v20, v10
	v_xad_u32 v118, v16, v17, v15
	v_xor_b32_e32 v16, 0x440, v10
	v_cndmask_b32_e32 v10, v16, v10, vcc
	v_or_b32_e32 v10, v10, v7
	v_xad_u32 v122, v10, v17, v15
	v_or_b32_e32 v10, 0x60, v11
	v_xor_b32_e32 v10, v20, v10
	v_xor_b32_e32 v11, 0x440, v10
	v_cndmask_b32_e32 v10, v11, v10, vcc
	v_or_b32_e32 v8, s30, v72
	v_or_b32_e32 v7, v10, v7
	v_ashrrev_i32_e32 v9, 31, v8
	v_or_b32_e32 v14, 0x100, v3
	v_xad_u32 v123, v7, v17, v15
	v_cndmask_b32_e64 v124, v12, v3, s[0:1]
	v_cndmask_b32_e64 v125, v13, v14, s[0:1]
	v_lshl_add_u64 v[68:69], v[8:9], 1, s[8:9]
	v_lshl_add_u64 v[70:71], v[4:5], 0, v[66:67]
	s_mov_b32 s31, 0x7060302
	v_lshlrev_b32_e32 v66, 1, v6
	v_add_u32_e32 v127, v19, v116
	v_add_u32_e32 v128, v19, v118
	;; [unrolled: 1-line block ×4, first 2 shown]
	v_mov_b32_e32 v51, v67
	v_mov_b32_e32 v52, v67
	v_mov_b32_e32 v53, v67
	v_mov_b32_e32 v54, v67
	v_mov_b32_e32 v55, v67
	v_mov_b32_e32 v56, v67
	v_mov_b32_e32 v57, v67
	v_mov_b32_e32 v42, v67
	v_mov_b32_e32 v43, v67
	v_mov_b32_e32 v44, v67
	v_mov_b32_e32 v45, v67
	v_mov_b32_e32 v46, v67
	v_mov_b32_e32 v47, v67
	v_mov_b32_e32 v48, v67
	v_mov_b32_e32 v49, v67
	v_mov_b32_e32 v36, v67
	v_mov_b32_e32 v37, v67
	v_mov_b32_e32 v38, v67
	v_mov_b32_e32 v39, v67
	v_mov_b32_e32 v40, v67
	v_mov_b32_e32 v41, v67
	v_mov_b32_e32 v34, v67
	v_mov_b32_e32 v35, v67
	s_waitcnt lgkmcnt(0)
	s_barrier
.LBB48_6:                               ; =>This Inner Loop Header: Depth=1
	s_add_i32 s61, s62, 1
	s_cmp_lt_i32 s61, s46
	s_mov_b64 s[24:25], 0
	s_cselect_b64 s[40:41], -1, 0
	s_cmp_ge_i32 s61, s46
	s_mov_b64 s[20:21], 0
	s_cbranch_scc1 .LBB48_8
; %bb.7:                                ;   in Loop: Header=BB48_6 Depth=1
	s_add_i32 s0, s55, 64
	s_add_u32 s0, s2, s0
	s_addc_u32 s1, s3, 0
	s_lshl_b64 s[0:1], s[0:1], 8
	s_add_u32 s20, s6, s0
	s_addc_u32 s21, s7, s1
.LBB48_8:                               ;   in Loop: Header=BB48_6 Depth=1
	v_cndmask_b32_e64 v2, 0, 1, s[40:41]
	v_cmp_ne_u32_e64 s[0:1], 1, v2
	s_andn2_b64 vcc, exec, s[40:41]
	s_cbranch_vccnz .LBB48_10
; %bb.9:                                ;   in Loop: Header=BB48_6 Depth=1
	s_add_i32 s24, s55, 64
	s_add_u32 s24, s58, s24
	s_addc_u32 s25, s59, 0
	s_mul_i32 s27, s24, s47
	s_mul_hi_u32 s40, s24, s51
	s_add_i32 s27, s40, s27
	s_mul_i32 s25, s25, s51
	s_add_i32 s27, s27, s25
	s_mul_i32 s24, s24, s51
	s_add_u32 s24, s24, s50
	s_addc_u32 s25, s27, s53
	s_lshl_b64 s[24:25], s[24:25], 8
	s_add_u32 s24, s4, s24
	s_addc_u32 s25, s5, s25
.LBB48_10:                              ;   in Loop: Header=BB48_6 Depth=1
	v_perm_b32 v3, v65, v64, s31
	v_perm_b32 v2, v63, v62, s31
	v_perm_b32 v5, v61, v60, s31
	v_perm_b32 v4, v59, v58, s31
	ds_write_b64 v86, v[2:3]
	ds_write_b64 v87, v[4:5]
	ds_write_b64 v89, v[2:3]
	ds_write_b64 v90, v[4:5]
	v_perm_b32 v3, v57, v56, s31
	v_perm_b32 v2, v55, v54, s31
	v_perm_b32 v5, v53, v52, s31
	v_perm_b32 v4, v51, v50, s31
	ds_write_b64 v88, v[2:3]
	ds_write_b64 v91, v[4:5]
	ds_write_b64 v92, v[2:3]
	ds_write_b64 v93, v[4:5]
	;; [unrolled: 8-line block ×4, first 2 shown]
	s_waitcnt lgkmcnt(0)
	s_barrier
	ds_read_b64 v[6:7], v102 offset:49152
	ds_read2_b64 v[2:5], v103 offset1:16
	ds_read_b64 v[18:19], v105 offset:6144
	ds_read_b64 v[20:21], v103 offset:6144
	s_waitcnt lgkmcnt(2)
	v_mfma_f32_16x16x16_bf16 a[0:3], v[6:7], v[2:3], 0
	ds_read_b64 v[22:23], v104 offset:49152
	ds_read2st64_b64 v[10:13], v106 offset0:4 offset1:8
	ds_read2st64_b64 v[14:17], v107 offset0:4 offset1:8
	v_mfma_f32_16x16x16_bf16 a[4:7], v[6:7], v[4:5], 0
	ds_read2_b64 v[2:5], v103 offset0:32 offset1:48
	s_add_i32 s27, s55, 63
	s_mul_i32 s40, s27, s29
	s_waitcnt lgkmcnt(0)
	v_mfma_f32_16x16x16_bf16 a[8:11], v[6:7], v[2:3], 0
	s_mul_hi_u32 s41, s27, s28
	s_add_i32 s41, s41, s40
	s_mul_i32 s40, s27, s28
	v_mfma_f32_16x16x16_bf16 a[12:15], v[6:7], v[4:5], 0
	ds_read2st64_b64 v[2:5], v103 offset0:4 offset1:8
	ds_read2st64_b64 v[6:9], v105 offset0:4 offset1:8
	s_lshl_b64 s[40:41], s[40:41], 2
	s_waitcnt lgkmcnt(1)
	v_mfma_f32_16x16x16_bf16 a[0:3], v[22:23], v[2:3], a[0:3]
	s_add_u32 s40, s38, s40
	s_addc_u32 s41, s39, s41
	s_and_b64 vcc, exec, s[0:1]
	s_waitcnt lgkmcnt(0)
	v_mfma_f32_16x16x16_bf16 a[4:7], v[22:23], v[6:7], a[4:7]
	v_mov_b32_e32 v133, 0
	v_mov_b32_e32 v132, 0
	;; [unrolled: 1-line block ×3, first 2 shown]
	v_mfma_f32_16x16x16_bf16 a[8:11], v[22:23], v[10:11], a[8:11]
	ds_read_b64 v[2:3], v108 offset:49152
	ds_read_b64 v[6:7], v109 offset:49152
	;; [unrolled: 1-line block ×3, first 2 shown]
	v_mfma_f32_16x16x16_bf16 a[12:15], v[22:23], v[14:15], a[12:15]
	v_mov_b32_e32 v14, 0
	v_mov_b32_e32 v15, 0
	s_waitcnt lgkmcnt(2)
	v_mfma_f32_16x16x16_bf16 a[0:3], v[2:3], v[4:5], a[0:3]
	v_mov_b32_e32 v4, 0
	v_mov_b32_e32 v5, 0
	v_mfma_f32_16x16x16_bf16 a[16:19], v[2:3], v[8:9], a[4:7]
	v_mov_b32_e32 v8, 0
	v_mov_b32_e32 v9, 0
	v_mfma_f32_16x16x16_bf16 a[20:23], v[2:3], v[12:13], a[8:11]
	v_mov_b32_e32 v12, 0
	v_mov_b32_e32 v13, 0
	v_mfma_f32_16x16x16_bf16 a[24:27], v[2:3], v[16:17], a[12:15]
	ds_read_b64 v[2:3], v106 offset:6144
	v_mov_b32_e32 v16, 0
	v_mov_b32_e32 v17, 0
	s_waitcnt lgkmcnt(2)
	v_mfma_f32_16x16x16_bf16 a[4:7], v[6:7], v[20:21], a[0:3]
	v_mfma_f32_16x16x16_bf16 a[8:11], v[6:7], v[18:19], a[16:19]
	s_waitcnt lgkmcnt(0)
	v_mfma_f32_16x16x16_bf16 a[12:15], v[6:7], v[2:3], a[20:23]
	v_mov_b32_e32 v2, 0
	v_mov_b32_e32 v3, 0
	v_mfma_f32_16x16x16_bf16 a[0:3], v[6:7], v[10:11], a[24:27]
	v_mov_b32_e32 v6, 0
	v_mov_b32_e32 v7, 0
	;; [unrolled: 1-line block ×4, first 2 shown]
	s_cbranch_vccnz .LBB48_12
; %bb.11:                               ;   in Loop: Header=BB48_6 Depth=1
	s_and_b32 s21, s21, 0xffff
	buffer_load_dwordx4 v[14:17], v82, s[20:23], 0 offen
	buffer_load_dwordx4 v[10:13], v82, s[20:23], s54 offen
	;; [unrolled: 1-line block ×4, first 2 shown]
	v_mov_b32_e32 v132, v84
	v_mov_b32_e32 v131, v85
.LBB48_12:                              ;   in Loop: Header=BB48_6 Depth=1
	ds_read_b64 v[134:135], v102 offset:57344
	ds_read2_b64 v[18:21], v110 offset1:16
	ds_read_b64 v[136:137], v104 offset:57344
	ds_read_b64 v[138:139], v108 offset:57344
	;; [unrolled: 1-line block ×3, first 2 shown]
	v_add_u32_e32 v142, s55, v126
	s_waitcnt lgkmcnt(3)
	v_mfma_f32_16x16x16_bf16 a[4:7], v[134:135], v[18:19], a[4:7]
	v_mfma_f32_16x16x16_bf16 a[8:11], v[134:135], v[20:21], a[8:11]
	ds_read2_b64 v[18:21], v110 offset0:32 offset1:48
	ds_read2st64_b64 v[22:25], v110 offset0:4 offset1:8
	ds_read2st64_b64 v[26:29], v111 offset0:4 offset1:8
	;; [unrolled: 1-line block ×3, first 2 shown]
	s_waitcnt lgkmcnt(3)
	v_mfma_f32_16x16x16_bf16 a[12:15], v[134:135], v[18:19], a[12:15]
	v_ashrrev_i32_e32 v18, 31, v142
	v_mfma_f32_16x16x16_bf16 a[0:3], v[134:135], v[20:21], a[0:3]
	v_mul_lo_u32 v20, v18, s28
	v_mul_lo_u32 v21, v142, s29
	v_mad_u64_u32 v[18:19], s[20:21], v142, s28, 0
	v_add3_u32 v19, v19, v21, v20
	v_add_u32_e32 v20, 1, v142
	v_ashrrev_i32_e32 v21, 31, v20
	s_waitcnt lgkmcnt(2)
	v_mfma_f32_16x16x16_bf16 a[4:7], v[136:137], v[22:23], a[4:7]
	v_mul_lo_u32 v22, v21, s28
	v_mul_lo_u32 v23, v20, s29
	v_mad_u64_u32 v[20:21], s[20:21], v20, s28, 0
	v_add3_u32 v21, v21, v23, v22
	v_add_u32_e32 v22, 2, v142
	v_ashrrev_i32_e32 v23, 31, v22
	s_waitcnt lgkmcnt(1)
	v_mfma_f32_16x16x16_bf16 a[8:11], v[136:137], v[26:27], a[8:11]
	v_mul_lo_u32 v26, v23, s28
	v_mul_lo_u32 v27, v22, s29
	v_mad_u64_u32 v[22:23], s[20:21], v22, s28, 0
	v_add3_u32 v23, v23, v27, v26
	v_add_u32_e32 v26, 3, v142
	v_ashrrev_i32_e32 v27, 31, v26
	v_mul_lo_u32 v134, v27, s28
	v_mul_lo_u32 v135, v26, s29
	v_mad_u64_u32 v[26:27], s[20:21], v26, s28, 0
	s_add_u32 s20, s2, s55
	s_addc_u32 s21, s3, 0
	v_lshl_add_u64 v[18:19], v[18:19], 2, s[38:39]
	v_add3_u32 v27, v27, v135, v134
	s_lshl_b64 s[20:21], s[20:21], 8
	v_lshl_add_u64 v[20:21], v[20:21], 2, s[38:39]
	v_lshl_add_u64 v[22:23], v[22:23], 2, s[38:39]
	;; [unrolled: 1-line block ×3, first 2 shown]
	global_load_dword v134, v[18:19], off
	global_load_dword v135, v[20:21], off
	;; [unrolled: 1-line block ×4, first 2 shown]
	v_lshl_add_u64 v[18:19], v[68:69], 0, s[20:21]
	v_lshl_add_u64 v[22:23], v[18:19], 0, v[66:67]
	global_load_ushort v144, v[22:23], off offset:256
	global_load_ushort v145, v[22:23], off
	ds_read2st64_b64 v[18:21], v113 offset0:4 offset1:8
	global_load_ushort v146, v[22:23], off offset:768
	global_load_ushort v147, v[22:23], off offset:512
	s_waitcnt lgkmcnt(1)
	v_mfma_f32_16x16x16_bf16 a[12:15], v[136:137], v[30:31], a[12:15]
	s_and_b64 vcc, exec, s[0:1]
	s_waitcnt vmcnt(3)
	v_lshlrev_b32_e32 v31, 16, v144
	s_waitcnt lgkmcnt(0)
	v_mfma_f32_16x16x16_bf16 a[0:3], v[136:137], v[18:19], a[0:3]
	global_load_ushort v136, v[22:23], off offset:288
	global_load_ushort v137, v[22:23], off offset:32
	;; [unrolled: 1-line block ×8, first 2 shown]
	v_mfma_f32_16x16x16_bf16 a[4:7], v[138:139], v[24:25], a[4:7]
	ds_read_b64 v[18:19], v110 offset:6144
	s_waitcnt vmcnt(10)
	v_lshlrev_b32_e32 v30, 16, v145
	v_mfma_f32_16x16x16_bf16 a[8:11], v[138:139], v[28:29], a[8:11]
	v_mfma_f32_16x16x16_bf16 a[12:15], v[138:139], v[32:33], a[12:15]
	;; [unrolled: 1-line block ×3, first 2 shown]
	global_load_ushort v138, v[22:23], off offset:352
	global_load_ushort v139, v[22:23], off offset:96
	ds_read_b64 v[20:21], v111 offset:6144
	ds_read_b64 v[24:25], v112 offset:6144
	;; [unrolled: 1-line block ×3, first 2 shown]
	global_load_ushort v154, v[22:23], off offset:864
	global_load_ushort v155, v[22:23], off offset:608
	s_load_dword s20, s[40:41], 0x0
	s_waitcnt lgkmcnt(0)
	v_mfma_f32_16x16x16_bf16 a[4:7], v[140:141], v[18:19], a[4:7]
	v_sub_f32_e32 v28, s20, v142
	v_mfma_f32_16x16x16_bf16 a[0:3], v[140:141], v[26:27], a[0:3]
	v_sub_f32_e32 v26, s20, v134
	v_sub_f32_e32 v27, s20, v135
	;; [unrolled: 1-line block ×3, first 2 shown]
	v_mfma_f32_16x16x16_bf16 a[8:11], v[140:141], v[20:21], a[8:11]
	v_exp_f32_e32 v26, v26
	v_exp_f32_e32 v27, v27
	;; [unrolled: 1-line block ×4, first 2 shown]
	v_accvgpr_read_b32 v33, a5
	v_accvgpr_read_b32 v32, a4
	;; [unrolled: 1-line block ×4, first 2 shown]
	v_pk_add_f32 v[30:31], v[30:31], v[32:33] neg_lo:[0,1] neg_hi:[0,1]
	s_waitcnt vmcnt(13)
	v_lshlrev_b32_e32 v33, 16, v146
	s_waitcnt vmcnt(12)
	v_lshlrev_b32_e32 v32, 16, v147
	v_pk_add_f32 v[18:19], v[32:33], v[18:19] neg_lo:[0,1] neg_hi:[0,1]
	v_pk_mul_f32 v[30:31], v[26:27], v[30:31]
	v_pk_mul_f32 v[18:19], v[28:29], v[18:19]
	v_accvgpr_read_b32 v33, a9
	v_perm_b32 v19, v19, v18, s31
	v_perm_b32 v18, v31, v30, s31
	v_accvgpr_read_b32 v32, a8
	v_accvgpr_read_b32 v21, a11
	v_mfma_f32_16x16x16_bf16 a[12:15], v[140:141], v[24:25], a[12:15]
	v_accvgpr_read_b32 v20, a10
	v_accvgpr_read_b32 v25, a3
	;; [unrolled: 1-line block ×3, first 2 shown]
	v_mov_b32_e32 v134, 0
	s_waitcnt vmcnt(11)
	v_lshlrev_b32_e32 v31, 16, v136
	s_waitcnt vmcnt(10)
	v_lshlrev_b32_e32 v30, 16, v137
	v_pk_add_f32 v[30:31], v[30:31], v[32:33] neg_lo:[0,1] neg_hi:[0,1]
	s_waitcnt vmcnt(9)
	v_lshlrev_b32_e32 v33, 16, v148
	s_waitcnt vmcnt(8)
	v_lshlrev_b32_e32 v32, 16, v149
	v_pk_add_f32 v[20:21], v[32:33], v[20:21] neg_lo:[0,1] neg_hi:[0,1]
	v_pk_mul_f32 v[30:31], v[26:27], v[30:31]
	v_pk_mul_f32 v[20:21], v[28:29], v[20:21]
	v_accvgpr_read_b32 v23, a15
	v_perm_b32 v21, v21, v20, s31
	v_perm_b32 v20, v31, v30, s31
	ds_write2_b64 v87, v[18:19], v[20:21] offset1:16
	v_accvgpr_read_b32 v21, a13
	s_waitcnt vmcnt(7)
	v_lshlrev_b32_e32 v19, 16, v150
	s_waitcnt vmcnt(6)
	v_lshlrev_b32_e32 v18, 16, v151
	v_accvgpr_read_b32 v20, a12
	v_accvgpr_read_b32 v22, a14
	v_pk_add_f32 v[18:19], v[18:19], v[20:21] neg_lo:[0,1] neg_hi:[0,1]
	s_waitcnt vmcnt(5)
	v_lshlrev_b32_e32 v21, 16, v152
	s_waitcnt vmcnt(4)
	v_lshlrev_b32_e32 v20, 16, v153
	v_pk_add_f32 v[20:21], v[20:21], v[22:23] neg_lo:[0,1] neg_hi:[0,1]
	v_pk_mul_f32 v[18:19], v[26:27], v[18:19]
	v_pk_mul_f32 v[20:21], v[28:29], v[20:21]
	v_accvgpr_read_b32 v23, a1
	v_perm_b32 v21, v21, v20, s31
	v_perm_b32 v20, v19, v18, s31
	s_waitcnt vmcnt(3)
	v_lshlrev_b32_e32 v19, 16, v138
	s_waitcnt vmcnt(2)
	v_lshlrev_b32_e32 v18, 16, v139
	v_accvgpr_read_b32 v22, a0
	v_pk_add_f32 v[18:19], v[18:19], v[22:23] neg_lo:[0,1] neg_hi:[0,1]
	s_waitcnt vmcnt(1)
	v_lshlrev_b32_e32 v23, 16, v154
	s_waitcnt vmcnt(0)
	v_lshlrev_b32_e32 v22, 16, v155
	v_pk_add_f32 v[22:23], v[22:23], v[24:25] neg_lo:[0,1] neg_hi:[0,1]
	v_pk_mul_f32 v[18:19], v[26:27], v[18:19]
	v_pk_mul_f32 v[22:23], v[28:29], v[22:23]
	v_mov_b32_e32 v24, 0
	v_perm_b32 v23, v23, v22, s31
	v_perm_b32 v22, v19, v18, s31
	ds_write2_b64 v87, v[20:21], v[22:23] offset0:32 offset1:48
	v_mov_b32_e32 v18, 0
	v_mov_b32_e32 v19, 0
	;; [unrolled: 1-line block ×15, first 2 shown]
	s_cbranch_vccnz .LBB48_14
; %bb.13:                               ;   in Loop: Header=BB48_6 Depth=1
	s_and_b32 s25, s25, 0xffff
	s_mov_b32 s27, s23
	buffer_load_dwordx4 v[30:33], v124, s[24:27], 0 offen
	buffer_load_dwordx4 v[22:25], v124, s[24:27], s54 offen
	;; [unrolled: 1-line block ×4, first 2 shown]
	v_mov_b32_e32 v133, v81
	v_mov_b32_e32 v134, v80
.LBB48_14:                              ;   in Loop: Header=BB48_6 Depth=1
	s_waitcnt lgkmcnt(0)
	s_barrier
	ds_read_b64 v[144:145], v127
	ds_read2_b64 v[136:139], v117 offset1:16
	ds_read_b64 v[160:161], v128
	ds_read_b64 v[162:163], v129
	;; [unrolled: 1-line block ×3, first 2 shown]
	ds_read2_b64 v[140:143], v117 offset0:32 offset1:48
	s_waitcnt lgkmcnt(4)
	v_mfma_f32_16x16x16_bf16 a[0:3], v[144:145], v[136:137], 0
	ds_read2st64_b64 v[148:151], v119 offset0:4 offset1:8
	ds_read2st64_b64 v[152:155], v120 offset0:4 offset1:8
	;; [unrolled: 1-line block ×3, first 2 shown]
	v_mfma_f32_16x16x16_bf16 a[4:7], v[144:145], v[138:139], 0
	s_add_i32 s21, s48, s62
	s_mul_hi_i32 s25, s21, s13
	s_mul_i32 s21, s21, s13
	s_waitcnt lgkmcnt(3)
	v_mfma_f32_16x16x16_bf16 a[8:11], v[144:145], v[140:141], 0
	s_add_u32 s24, s21, s33
	s_addc_u32 s25, s25, s52
	s_lshl_b64 s[24:25], s[24:25], 15
	v_mfma_f32_16x16x16_bf16 a[12:15], v[144:145], v[142:143], 0
	ds_read2st64_b64 v[144:147], v117 offset0:4 offset1:8
	s_waitcnt lgkmcnt(0)
	v_mfma_f32_16x16x16_bf16 a[0:3], v[160:161], v[144:145], a[0:3]
	v_mfma_f32_16x16x16_bf16 a[4:7], v[160:161], v[148:149], a[4:7]
	;; [unrolled: 1-line block ×8, first 2 shown]
	ds_read_b64 v[160:161], v117 offset:6144
	ds_read_b64 v[162:163], v118 offset:40960
	;; [unrolled: 1-line block ×8, first 2 shown]
	s_waitcnt lgkmcnt(5)
	v_mfma_f32_16x16x16_bf16 a[16:19], v[166:167], v[136:137], 0
	v_mfma_f32_16x16x16_bf16 a[20:23], v[166:167], v[138:139], 0
	ds_read2st64_b64 v[136:139], v114 offset1:8
	v_mfma_f32_16x16x16_bf16 a[24:27], v[166:167], v[140:141], 0
	v_mfma_f32_16x16x16_bf16 a[28:31], v[166:167], v[142:143], 0
	ds_read2st64_b64 v[140:143], v115 offset1:8
	v_mfma_f32_16x16x16_bf16 a[16:19], v[162:163], v[144:145], a[16:19]
	s_waitcnt lgkmcnt(1)
	v_mov_b32_e32 v144, v136
	v_mov_b32_e32 v145, v137
	v_mfma_f32_16x16x16_bf16 a[20:23], v[162:163], v[148:149], a[20:23]
	v_lshl_add_u64 v[148:149], v[70:71], 0, s[24:25]
	v_mfma_f32_16x16x16_bf16 a[24:27], v[162:163], v[152:153], a[24:27]
	v_mfma_f32_16x16x16_bf16 a[28:31], v[162:163], v[156:157], a[28:31]
	;; [unrolled: 1-line block ×3, first 2 shown]
	s_waitcnt lgkmcnt(0)
	v_mov_b32_e32 v146, v140
	v_mov_b32_e32 v147, v141
	;; [unrolled: 1-line block ×3, first 2 shown]
	v_mfma_f32_16x16x16_bf16 a[32:35], v[174:175], v[150:151], a[20:23]
	v_mov_b32_e32 v141, v139
	ds_read2st64_b64 v[136:139], v114 offset0:16 offset1:24
	global_store_dwordx4 v[148:149], v[144:147], off
	v_mfma_f32_16x16x16_bf16 a[24:27], v[174:175], v[154:155], a[24:27]
	ds_read2st64_b64 v[144:147], v115 offset0:16 offset1:24
	v_add_co_u32_e32 v150, vcc, s35, v148
	v_mfma_f32_16x16x16_bf16 a[28:31], v[174:175], v[158:159], a[28:31]
	s_nop 0
	v_addc_co_u32_e32 v151, vcc, 0, v149, vcc
	global_store_dwordx4 v[150:151], v[140:143], off offset:-4096
	v_mfma_f32_16x16x16_bf16 a[0:3], v[164:165], v[160:161], a[0:3]
	s_waitcnt lgkmcnt(1)
	v_mov_b32_e32 v140, v136
	v_add_co_u32_e32 v136, vcc, s60, v148
	v_mfma_f32_16x16x16_bf16 a[4:7], v[164:165], v[168:169], a[4:7]
	v_mov_b32_e32 v141, v137
	v_addc_co_u32_e32 v137, vcc, 0, v149, vcc
	v_mfma_f32_16x16x16_bf16 a[8:11], v[164:165], v[170:171], a[8:11]
	s_waitcnt lgkmcnt(0)
	v_mov_b32_e32 v142, v144
	v_mov_b32_e32 v143, v145
	;; [unrolled: 1-line block ×3, first 2 shown]
	v_mfma_f32_16x16x16_bf16 a[12:15], v[164:165], v[172:173], a[12:15]
	v_mov_b32_e32 v145, v139
	s_and_b64 vcc, exec, s[0:1]
	global_store_dwordx4 v[150:151], v[140:143], off
	v_mfma_f32_16x16x16_bf16 a[20:23], v[176:177], v[160:161], a[16:19]
	global_store_dwordx4 v[136:137], v[144:147], off
	v_mfma_f32_16x16x16_bf16 a[16:19], v[176:177], v[168:169], a[32:35]
	v_mfma_f32_16x16x16_bf16 a[24:27], v[176:177], v[170:171], a[24:27]
	;; [unrolled: 1-line block ×3, first 2 shown]
	s_cbranch_vccnz .LBB48_16
; %bb.15:                               ;   in Loop: Header=BB48_6 Depth=1
	v_lshrrev_b32_e32 v135, 3, v133
	v_and_b32_e32 v135, 6, v135
	v_xor_b32_e32 v134, v135, v134
	v_lshlrev_b32_e32 v134, 2, v134
	v_and_b32_e32 v133, 8, v133
	v_xor_b32_e32 v136, 0x440, v134
	v_cmp_eq_u32_e32 vcc, 0, v133
	s_barrier
	s_nop 0
	v_cndmask_b32_e32 v133, v136, v134, vcc
	v_lshl_or_b32 v133, v135, 10, v133
	s_waitcnt vmcnt(5)
	v_perm_b32 v134, v30, v26, s56
	s_waitcnt vmcnt(4)
	v_perm_b32 v135, v22, v18, s56
	ds_write2st64_b32 v133, v134, v135 offset0:128 offset1:160
	v_xor_b32_e32 v134, 8, v133
	v_perm_b32 v26, v30, v26, s57
	v_perm_b32 v18, v22, v18, s57
	v_add_u32_e32 v22, 0x80, v134
	ds_write2st64_b32 v22, v26, v18 offset0:128 offset1:160
	v_xor_b32_e32 v18, 16, v133
	v_perm_b32 v22, v31, v27, s56
	v_perm_b32 v26, v23, v19, s56
	ds_write2st64_b32 v18, v22, v26 offset0:129 offset1:161
	v_xor_b32_e32 v18, 24, v133
	v_perm_b32 v22, v31, v27, s57
	v_perm_b32 v19, v23, v19, s57
	v_add_u32_e32 v18, 0x80, v18
	ds_write2st64_b32 v18, v22, v19 offset0:129 offset1:161
	v_xor_b32_e32 v18, 32, v133
	v_perm_b32 v19, v32, v28, s56
	;; [unrolled: 9-line block ×3, first 2 shown]
	v_perm_b32 v20, v25, v21, s56
	ds_write2st64_b32 v18, v19, v20 offset0:131 offset1:163
	v_xor_b32_e32 v18, 56, v133
	v_perm_b32 v19, v33, v29, s57
	v_perm_b32 v20, v25, v21, s57
	v_add_u32_e32 v18, 0x80, v18
	ds_write2st64_b32 v18, v19, v20 offset0:131 offset1:163
	ds_write_b64 v132, v[14:15] offset:49152
	v_xor_b32_e32 v14, 8, v132
	ds_write_b64 v14, v[16:17] offset:49152
	ds_write_b64 v132, v[10:11] offset:57344
	;; [unrolled: 1-line block ×4, first 2 shown]
	v_xor_b32_e32 v6, 8, v131
	ds_write_b64 v6, v[8:9] offset:49152
	ds_write_b64 v131, v[2:3] offset:57344
	;; [unrolled: 1-line block ×3, first 2 shown]
.LBB48_16:                              ;   in Loop: Header=BB48_6 Depth=1
	v_exp_f32_e32 v132, s20
	v_accvgpr_read_b32 v5, a3
	v_accvgpr_read_b32 v9, a7
	;; [unrolled: 1-line block ×4, first 2 shown]
	s_waitcnt vmcnt(4)
	v_accvgpr_read_b32 v18, a20
	v_accvgpr_read_b32 v25, a19
	;; [unrolled: 1-line block ×28, first 2 shown]
	s_add_i32 s55, s55, 64
	v_pk_fma_f32 v[62:63], v[132:133], v[62:63], v[2:3] op_sel_hi:[0,1,1]
	v_pk_fma_f32 v[64:65], v[132:133], v[64:65], v[4:5] op_sel_hi:[0,1,1]
	;; [unrolled: 1-line block ×15, first 2 shown]
	s_cmp_eq_u32 s46, s61
	v_pk_fma_f32 v[38:39], v[132:133], v[38:39], v[32:33] op_sel_hi:[0,1,1]
	s_cbranch_scc1 .LBB48_18
; %bb.17:                               ;   in Loop: Header=BB48_6 Depth=1
	s_mov_b32 s62, s61
	s_branch .LBB48_6
.LBB48_18:
	s_lshl_b32 s40, s46, 6
	s_sub_i32 s41, s12, s40
	s_cmp_gt_i32 s41, 0
	s_cbranch_scc0 .LBB48_99
; %bb.19:
	s_ashr_i32 s35, s45, 31
	s_ashr_i32 s2, s40, 31
	s_cmpk_lg_i32 s15, 0x80
	s_cselect_b64 s[26:27], -1, 0
	s_and_b64 vcc, exec, s[26:27]
	s_cbranch_vccz .LBB48_21
; %bb.20:
	s_mul_i32 s1, s45, s12
	s_mul_hi_i32 s0, s45, s12
	s_add_u32 s1, s1, s40
	s_addc_u32 s0, s0, s2
	s_mul_i32 s3, s1, s47
	s_mul_hi_u32 s20, s1, s14
	s_add_i32 s3, s20, s3
	s_mul_i32 s0, s0, s14
	s_add_i32 s3, s3, s0
	s_mul_i32 s1, s1, s14
	s_ashr_i32 s0, s50, 31
	s_add_u32 s38, s1, s50
	s_addc_u32 s39, s3, s0
	s_cbranch_execz .LBB48_22
	s_branch .LBB48_23
.LBB48_21:
                                        ; implicit-def: $sgpr38_sgpr39
.LBB48_22:
	s_mul_hi_i32 s0, s45, s14
	s_mul_i32 s45, s45, s14
	s_ashr_i32 s1, s50, 31
	s_add_u32 s3, s45, s50
	s_addc_u32 s0, s0, s1
	s_mul_i32 s1, s3, s44
	s_mul_hi_u32 s14, s3, s12
	s_add_i32 s1, s14, s1
	s_mul_i32 s0, s0, s12
	s_add_i32 s1, s1, s0
	s_mul_i32 s3, s3, s12
	s_add_u32 s38, s3, s40
	s_addc_u32 s39, s1, s2
.LBB48_23:
	s_add_i32 s3, s48, s46
	s_ashr_i32 s14, s33, 31
	s_add_u32 s0, s43, s33
	s_addc_u32 s1, s49, s14
	s_mul_i32 s20, s0, s44
	s_mul_hi_u32 s21, s0, s12
	s_add_i32 s20, s21, s20
	s_mul_i32 s1, s1, s12
	s_add_i32 s20, s20, s1
	s_mul_i32 s0, s0, s12
	s_add_u32 s0, s0, s40
	v_lshlrev_b32_e32 v6, 6, v78
	v_lshlrev_b32_e32 v24, 2, v72
	s_addc_u32 s1, s20, s2
	s_mov_b32 s2, 0x7060302
	v_or_b32_e32 v9, v6, v24
	v_xor_b32_e32 v7, v78, v24
	v_perm_b32 v3, v65, v64, s2
	v_perm_b32 v2, v63, v62, s2
	v_perm_b32 v5, v61, v60, s2
	v_perm_b32 v4, v59, v58, s2
	v_lshlrev_b32_e32 v9, 1, v9
	v_xor_b32_e32 v8, v79, v24
	ds_write2st64_b64 v9, v[2:3], v[4:5] offset0:32 offset1:48
	v_lshlrev_b32_e32 v7, 1, v7
	v_lshlrev_b32_e32 v9, 8, v72
	v_or_b32_e32 v10, v7, v9
	v_lshlrev_b32_e32 v8, 1, v8
	ds_write_b64 v10, v[2:3]
	v_or_b32_e32 v2, v8, v9
	v_or_b32_e32 v9, 16, v72
	v_lshlrev_b32_e32 v23, 2, v9
	v_or_b32_e32 v10, v6, v23
	ds_write_b64 v2, v[4:5]
	v_perm_b32 v3, v57, v56, s2
	v_perm_b32 v2, v55, v54, s2
	;; [unrolled: 1-line block ×4, first 2 shown]
	v_lshlrev_b32_e32 v10, 1, v10
	v_lshlrev_b32_e32 v9, 8, v9
	ds_write2st64_b64 v10, v[2:3], v[4:5] offset0:32 offset1:48
	v_or_b32_e32 v10, v7, v9
	ds_write_b64 v10, v[2:3]
	v_or_b32_e32 v2, v8, v9
	v_or_b32_e32 v9, 32, v72
	v_lshlrev_b32_e32 v22, 2, v9
	v_or_b32_e32 v10, v6, v22
	s_lshl_b64 s[24:25], s[0:1], 8
	ds_write_b64 v2, v[4:5]
	v_perm_b32 v3, v49, v48, s2
	v_perm_b32 v2, v47, v46, s2
	;; [unrolled: 1-line block ×4, first 2 shown]
	v_lshlrev_b32_e32 v10, 1, v10
	v_lshlrev_b32_e32 v9, 8, v9
	s_add_u32 s0, s6, s24
	ds_write2st64_b64 v10, v[2:3], v[4:5] offset0:32 offset1:48
	v_or_b32_e32 v10, v7, v9
	s_addc_u32 s1, s7, s25
	ds_write_b64 v10, v[2:3]
	v_or_b32_e32 v2, v8, v9
	v_or_b32_e32 v9, 48, v72
	s_mul_hi_i32 s6, s3, s13
	s_mul_i32 s3, s3, s13
	ds_write_b64 v2, v[4:5]
	v_perm_b32 v3, v35, v34, s2
	v_perm_b32 v2, v41, v40, s2
	;; [unrolled: 1-line block ×4, first 2 shown]
	v_lshlrev_b32_e32 v19, 2, v9
	s_add_u32 s2, s3, s33
	v_or_b32_e32 v6, v6, v19
	s_addc_u32 s3, s6, s14
	v_lshlrev_b32_e32 v6, 1, v6
	s_ashr_i32 s31, s30, 31
	s_lshl_b64 s[2:3], s[2:3], 15
	ds_write2st64_b64 v6, v[2:3], v[4:5] offset0:32 offset1:48
	v_lshlrev_b32_e32 v6, 8, v9
	s_add_u32 s6, s36, s2
	v_or_b32_e32 v7, v7, v6
	s_addc_u32 s7, s37, s3
	s_lshl_b64 s[2:3], s[30:31], 8
	ds_write_b64 v7, v[2:3]
	v_or_b32_e32 v2, v8, v6
	s_add_u32 s2, s6, s2
	v_lshlrev_b32_e32 v3, 1, v72
	ds_write_b64 v2, v[4:5]
	v_lshrrev_b32_e32 v2, 4, v0
	s_addc_u32 s3, s7, s3
	v_or_b32_e32 v4, 1, v3
	v_lshlrev_b32_e32 v10, 4, v72
	v_mov_b32_e32 v11, 0
	v_xor_b32_e32 v3, v2, v3
	v_xor_b32_e32 v6, v4, v2
	v_lshl_add_u64 v[12:13], s[2:3], 0, v[10:11]
	v_lshlrev_b32_e32 v10, 8, v2
	v_lshl_or_b32 v16, v3, 3, v10
	v_lshl_or_b32 v17, v6, 3, v10
	s_waitcnt lgkmcnt(0)
	s_barrier
	ds_read2st64_b64 v[2:5], v16 offset1:8
	ds_read2st64_b64 v[6:9], v17 offset1:8
	v_lshl_add_u64 v[14:15], v[12:13], 0, v[10:11]
	s_movk_i32 s2, 0x2000
	s_cmp_lg_u32 s41, 64
	s_waitcnt lgkmcnt(1)
	v_mov_b32_e32 v10, v2
	v_mov_b32_e32 v11, v3
	s_waitcnt lgkmcnt(0)
	v_mov_b32_e32 v12, v6
	v_mov_b32_e32 v13, v7
	global_store_dwordx4 v[14:15], v[10:13], off
	v_mov_b32_e32 v6, v4
	v_mov_b32_e32 v7, v5
	ds_read2st64_b64 v[2:5], v16 offset0:16 offset1:24
	ds_read2st64_b64 v[10:13], v17 offset0:16 offset1:24
	v_add_co_u32_e32 v16, vcc, s2, v14
	s_cselect_b64 s[6:7], -1, 0
	s_nop 0
	v_addc_co_u32_e32 v17, vcc, 0, v15, vcc
	global_store_dwordx4 v[16:17], v[6:9], off offset:-4096
	v_lshl_or_b32 v25, v74, 3, v77
	s_mov_b32 s20, 0
	s_waitcnt lgkmcnt(1)
	v_mov_b32_e32 v6, v2
	v_add_co_u32_e32 v2, vcc, 0x3000, v14
	v_mov_b32_e32 v7, v3
	s_nop 0
	v_addc_co_u32_e32 v3, vcc, 0, v15, vcc
	s_waitcnt lgkmcnt(0)
	v_mov_b32_e32 v8, v10
	v_mov_b32_e32 v9, v11
	;; [unrolled: 1-line block ×4, first 2 shown]
	v_or_b32_e32 v20, 32, v25
	v_and_b32_e32 v18, 56, v76
	s_and_b64 vcc, exec, s[6:7]
	global_store_dwordx4 v[16:17], v[6:9], off
	global_store_dwordx4 v[2:3], v[10:13], off
	s_cbranch_vccz .LBB48_29
; %bb.24:
	s_mov_b32 s21, s20
	s_mov_b32 s22, s20
	;; [unrolled: 1-line block ×3, first 2 shown]
	v_mov_b64_e32 v[6:7], s[20:21]
	v_mov_b64_e32 v[8:9], s[22:23]
	;; [unrolled: 1-line block ×3, first 2 shown]
	v_cmp_gt_i32_e32 vcc, s41, v25
	v_mov_b64_e32 v[4:5], v[8:9]
	s_and_saveexec_b64 s[2:3], vcc
	s_cbranch_execz .LBB48_26
; %bb.25:
	v_lshlrev_b32_e32 v2, 8, v25
	v_mov_b32_e32 v3, 0
	v_lshl_add_u64 v[4:5], s[0:1], 0, v[2:3]
	v_lshlrev_b32_e32 v2, 1, v18
	v_lshl_add_u64 v[10:11], v[4:5], 0, v[2:3]
	global_load_dwordx4 v[6:9], v[10:11], off
	global_load_dwordx4 v[2:5], v[10:11], off offset:128
.LBB48_26:
	s_or_b64 exec, exec, s[2:3]
	s_mov_b32 s21, s20
	s_mov_b32 s22, s20
	;; [unrolled: 1-line block ×3, first 2 shown]
	v_mov_b64_e32 v[14:15], s[20:21]
	v_mov_b64_e32 v[16:17], s[22:23]
	;; [unrolled: 1-line block ×3, first 2 shown]
	v_cmp_gt_i32_e32 vcc, s41, v20
	v_lshlrev_b32_e32 v21, 7, v20
	v_mov_b64_e32 v[12:13], v[16:17]
	s_and_saveexec_b64 s[2:3], vcc
	s_cbranch_execz .LBB48_28
; %bb.27:
	v_lshlrev_b32_e32 v10, 1, v21
	v_mov_b32_e32 v11, 0
	v_lshl_add_u64 v[12:13], s[0:1], 0, v[10:11]
	v_lshlrev_b32_e32 v10, 1, v18
	v_lshl_add_u64 v[26:27], v[12:13], 0, v[10:11]
	global_load_dwordx4 v[14:17], v[26:27], off
	global_load_dwordx4 v[10:13], v[26:27], off offset:128
.LBB48_28:
	s_or_b64 exec, exec, s[2:3]
	v_lshrrev_b32_e32 v26, 3, v18
	v_lshlrev_b32_e32 v27, 3, v25
	v_or_b32_e32 v26, v27, v26
	v_lshlrev_b32_e32 v26, 4, v26
	v_and_b32_e32 v27, 0x78, v27
	v_xor_b32_e32 v26, v26, v27
	s_branch .LBB48_31
.LBB48_29:
                                        ; implicit-def: $vgpr26
                                        ; implicit-def: $vgpr21
                                        ; implicit-def: $vgpr6_vgpr7_vgpr8_vgpr9
                                        ; implicit-def: $vgpr2_vgpr3_vgpr4_vgpr5
                                        ; implicit-def: $vgpr14_vgpr15_vgpr16_vgpr17
                                        ; implicit-def: $vgpr10_vgpr11_vgpr12_vgpr13
	s_cbranch_execz .LBB48_31
; %bb.30:
	s_waitcnt vmcnt(0)
	v_lshlrev_b32_e32 v2, 1, v18
	v_lshl_or_b32 v21, v25, 8, v2
	s_and_b32 s1, s1, 0xffff
	s_mov_b32 s3, 0x20000
	s_movk_i32 s2, 0x4000
	v_lshl_or_b32 v26, v20, 8, v2
	s_movk_i32 s13, 0x80
	buffer_load_dwordx4 v[6:9], v21, s[0:3], 0 offen
	buffer_load_dwordx4 v[2:5], v21, s[0:3], s13 offen
	;; [unrolled: 1-line block ×4, first 2 shown]
	v_lshrrev_b32_e32 v21, 3, v18
	v_lshlrev_b32_e32 v26, 3, v25
	v_or_b32_e32 v21, v26, v21
	v_lshlrev_b32_e32 v21, 4, v21
	v_and_b32_e32 v26, 0x78, v26
	v_xor_b32_e32 v26, v21, v26
	v_lshlrev_b32_e32 v21, 7, v20
.LBB48_31:
	s_movk_i32 s0, 0x1000
	v_and_or_b32 v20, v21, s0, v26
	s_waitcnt vmcnt(1)
	ds_write_b64 v26, v[6:7] offset:49152
	v_xor_b32_e32 v6, 8, v26
	ds_write_b64 v6, v[8:9] offset:49152
	s_waitcnt vmcnt(0)
	ds_write_b64 v26, v[2:3] offset:57344
	ds_write_b64 v6, v[4:5] offset:57344
	;; [unrolled: 1-line block ×3, first 2 shown]
	v_xor_b32_e32 v2, 8, v20
	ds_write_b64 v2, v[16:17] offset:49152
	ds_write_b64 v20, v[10:11] offset:57344
	;; [unrolled: 1-line block ×3, first 2 shown]
	v_or_b32_e32 v2, v1, v72
	v_lshlrev_b32_e32 v3, 11, v74
	v_lshlrev_b32_e32 v2, 3, v2
	v_and_b32_e32 v6, 0x1000, v3
	v_lshrrev_b32_e32 v3, 5, v73
	s_movk_i32 s0, 0xf8
	v_and_or_b32 v3, v2, s0, v3
	v_lshlrev_b32_e32 v7, 4, v3
	v_and_b32_e32 v8, 0x78, v2
	v_or_b32_e32 v10, 32, v7
	v_lshrrev_b32_e32 v3, 1, v73
	v_xor_b32_e32 v10, v10, v8
	v_xor_b32_e32 v2, v7, v8
	v_and_b32_e32 v9, 8, v3
	v_or_b32_e32 v10, v10, v6
	v_or_b32_e32 v2, v2, v6
	v_xor_b32_e32 v28, v10, v9
	v_or_b32_e32 v10, 64, v7
	v_xor_b32_e32 v27, v2, v9
	v_xor_b32_e32 v10, v10, v8
	s_waitcnt lgkmcnt(0)
	s_barrier
	v_or_b32_e32 v13, v10, v6
	ds_read_b64 v[10:11], v27 offset:49152
	v_lshl_or_b32 v14, v75, 8, v24
	v_lshlrev_b32_e32 v26, 1, v14
	v_add_u32_e32 v12, 0x4000, v26
	ds_read2_b64 v[2:5], v12 offset1:16
	v_or_b32_e32 v7, 0x60, v7
	v_xor_b32_e32 v7, v7, v8
	v_or_b32_e32 v6, v7, v6
	v_xor_b32_e32 v29, v13, v9
	v_xor_b32_e32 v30, v6, v9
	ds_read_b64 v[20:21], v28 offset:49152
	ds_read_b64 v[34:35], v29 offset:49152
	;; [unrolled: 1-line block ×3, first 2 shown]
	s_waitcnt lgkmcnt(3)
	v_mfma_f32_16x16x16_bf16 a[0:3], v[10:11], v[2:3], 0
	ds_read2_b64 v[6:9], v12 offset0:32 offset1:48
	s_lshl_b64 s[0:1], s[38:39], 8
	s_add_u32 s4, s4, s0
	v_mfma_f32_16x16x16_bf16 a[4:7], v[10:11], v[4:5], 0
	ds_read2st64_b64 v[2:5], v26 offset0:36 offset1:40
	s_addc_u32 s5, s5, s1
	s_add_i32 s2, s12, -1
	s_waitcnt lgkmcnt(1)
	v_mfma_f32_16x16x16_bf16 a[8:11], v[10:11], v[6:7], 0
	v_or_b32_e32 v6, 64, v14
	v_lshlrev_b32_e32 v31, 1, v6
	s_add_i32 s0, s42, s17
	s_waitcnt lgkmcnt(0)
	v_mfma_f32_16x16x16_bf16 a[0:3], v[20:21], v[2:3], a[0:3]
	v_or_b32_e32 v2, 0x80, v14
	v_lshlrev_b32_e32 v32, 1, v2
	v_or_b32_e32 v2, 0xc0, v14
	v_mfma_f32_16x16x16_bf16 a[12:15], v[10:11], v[8:9], 0
	ds_read2st64_b64 v[6:9], v31 offset0:36 offset1:40
	v_lshlrev_b32_e32 v33, 1, v2
	ds_read2st64_b64 v[10:13], v32 offset0:36 offset1:40
	ds_read2st64_b64 v[14:17], v33 offset0:36 offset1:40
	s_mul_i32 s35, s35, s16
	s_add_i32 s35, s0, s35
	s_mul_i32 s0, s33, s19
	s_mul_hi_u32 s1, s33, s18
	s_ashr_i32 s3, s2, 31
	s_mul_i32 s12, s2, s29
	s_mul_hi_u32 s13, s2, s28
	s_waitcnt lgkmcnt(2)
	v_mfma_f32_16x16x16_bf16 a[4:7], v[20:21], v[6:7], a[4:7]
	s_add_i32 s0, s1, s0
	s_mul_i32 s1, s14, s18
	s_add_i32 s12, s13, s12
	s_mul_i32 s3, s3, s28
	s_waitcnt lgkmcnt(1)
	v_mfma_f32_16x16x16_bf16 a[8:11], v[20:21], v[10:11], a[8:11]
	s_add_i32 s1, s0, s1
	s_add_i32 s3, s12, s3
	s_lshl_b64 s[12:13], s[34:35], 2
	s_waitcnt lgkmcnt(0)
	v_mfma_f32_16x16x16_bf16 a[12:15], v[20:21], v[14:15], a[12:15]
	s_mul_i32 s0, s33, s18
	s_add_u32 s10, s10, s12
	s_addc_u32 s11, s11, s13
	s_lshl_b64 s[0:1], s[0:1], 2
	v_mfma_f32_16x16x16_bf16 a[0:3], v[34:35], v[4:5], a[0:3]
	s_mul_i32 s2, s2, s28
	ds_read_b64 v[2:3], v26 offset:22528
	s_add_u32 s10, s10, s0
	v_mfma_f32_16x16x16_bf16 a[4:7], v[34:35], v[8:9], a[4:7]
	ds_read_b64 v[4:5], v31 offset:22528
	ds_read_b64 v[6:7], v32 offset:22528
	;; [unrolled: 1-line block ×3, first 2 shown]
	s_addc_u32 s11, s11, s1
	s_lshl_b64 s[0:1], s[2:3], 2
	v_mfma_f32_16x16x16_bf16 a[8:11], v[34:35], v[12:13], a[8:11]
	s_add_u32 s0, s10, s0
	s_addc_u32 s1, s11, s1
	s_load_dword s12, s[0:1], 0x0
	v_mfma_f32_16x16x16_bf16 a[12:15], v[34:35], v[16:17], a[12:15]
	s_and_b64 vcc, exec, s[26:27]
	s_waitcnt lgkmcnt(0)
	v_mfma_f32_16x16x16_bf16 a[0:3], v[36:37], v[2:3], a[0:3]
	v_mfma_f32_16x16x16_bf16 a[4:7], v[36:37], v[4:5], a[4:7]
	;; [unrolled: 1-line block ×4, first 2 shown]
	s_cbranch_vccz .LBB48_42
; %bb.32:
	v_lshlrev_b32_e32 v20, 1, v25
	s_and_b64 vcc, exec, s[6:7]
	s_cbranch_vccz .LBB48_43
; %bb.33:
	v_cmp_gt_i32_e32 vcc, s41, v20
	v_mov_b32_e32 v6, 0
	v_mov_b32_e32 v2, 0
	;; [unrolled: 1-line block ×5, first 2 shown]
	s_and_saveexec_b64 s[0:1], vcc
	s_cbranch_execz .LBB48_35
; %bb.34:
	v_mad_i64_i32 v[2:3], s[2:3], s15, v20, 0
	v_lshl_add_u64 v[2:3], v[2:3], 1, s[4:5]
	v_lshlrev_b32_e32 v4, 1, v18
	v_mov_b32_e32 v5, 0
	v_lshl_add_u64 v[2:3], v[2:3], 0, v[4:5]
	global_load_dwordx4 v[2:5], v[2:3], off
.LBB48_35:
	s_or_b64 exec, exec, s[0:1]
	v_or_b32_e32 v21, 1, v20
	v_cmp_gt_i32_e64 s[0:1], s41, v21
	v_mov_b32_e32 v7, 0
	v_mov_b32_e32 v8, 0
	;; [unrolled: 1-line block ×3, first 2 shown]
	s_and_saveexec_b64 s[2:3], s[0:1]
	s_cbranch_execz .LBB48_37
; %bb.36:
	v_mad_i64_i32 v[6:7], s[16:17], s15, v21, 0
	v_lshl_add_u64 v[6:7], v[6:7], 1, s[4:5]
	v_lshlrev_b32_e32 v8, 1, v18
	v_mov_b32_e32 v9, 0
	v_lshl_add_u64 v[6:7], v[6:7], 0, v[8:9]
	global_load_dwordx4 v[6:9], v[6:7], off
.LBB48_37:
	s_or_b64 exec, exec, s[2:3]
	v_mov_b32_e32 v17, 0
	v_mov_b32_e32 v10, 0
	;; [unrolled: 1-line block ×5, first 2 shown]
	s_and_saveexec_b64 s[2:3], vcc
	s_cbranch_execz .LBB48_39
; %bb.38:
	v_mad_i64_i32 v[10:11], s[16:17], s15, v20, 0
	v_lshl_add_u64 v[10:11], v[10:11], 1, s[4:5]
	v_lshlrev_b32_e32 v12, 1, v18
	v_mov_b32_e32 v13, 0
	v_lshl_add_u64 v[10:11], v[10:11], 0, v[12:13]
	global_load_dwordx4 v[10:13], v[10:11], off offset:128
.LBB48_39:
	s_or_b64 exec, exec, s[2:3]
	v_mov_b32_e32 v16, 0
	v_mov_b32_e32 v15, 0
	;; [unrolled: 1-line block ×3, first 2 shown]
	s_and_saveexec_b64 s[2:3], s[0:1]
	s_cbranch_execz .LBB48_41
; %bb.40:
	v_mad_i64_i32 v[14:15], s[0:1], s15, v21, 0
	v_lshl_add_u64 v[14:15], v[14:15], 1, s[4:5]
	v_lshlrev_b32_e32 v16, 1, v18
	v_mov_b32_e32 v17, 0
	v_lshl_add_u64 v[14:15], v[14:15], 0, v[16:17]
	global_load_dwordx4 v[14:17], v[14:15], off offset:128
.LBB48_41:
	s_or_b64 exec, exec, s[2:3]
	s_branch .LBB48_45
.LBB48_42:
                                        ; implicit-def: $vgpr5
                                        ; implicit-def: $vgpr9
                                        ; implicit-def: $vgpr13
                                        ; implicit-def: $vgpr17
	v_lshrrev_b32_e32 v34, 2, v73
	s_branch .LBB48_46
.LBB48_43:
                                        ; implicit-def: $vgpr5
                                        ; implicit-def: $vgpr9
                                        ; implicit-def: $vgpr13
                                        ; implicit-def: $vgpr17
	s_cbranch_execz .LBB48_45
; %bb.44:
	s_waitcnt vmcnt(0)
	v_mad_u64_u32 v[2:3], s[0:1], v20, s15, v[18:19]
	v_lshlrev_b32_e32 v20, 1, v2
	s_lshl_b32 s2, s15, 7
	s_and_b32 s1, s5, 0xffff
	s_mov_b32 s3, 0x20000
	s_mov_b32 s0, s4
	v_add_lshl_u32 v21, v2, s15, 1
	s_movk_i32 s13, 0x80
	buffer_load_dwordx4 v[2:5], v20, s[0:3], 0 offen
	buffer_load_dwordx4 v[10:13], v20, s[0:3], s13 offen
	;; [unrolled: 1-line block ×4, first 2 shown]
.LBB48_45:
	v_lshrrev_b32_e32 v34, 2, v73
	s_cbranch_execnz .LBB48_58
.LBB48_46:
	s_and_b64 vcc, exec, s[6:7]
	s_cbranch_vccz .LBB48_56
; %bb.47:
	s_waitcnt vmcnt(0)
	v_lshlrev_b32_e32 v7, 1, v25
	v_cmp_gt_i32_e32 vcc, s41, v7
	v_mov_b32_e32 v6, 0
	v_lshlrev_b32_e32 v14, 9, v25
	v_mov_b32_e32 v2, 0
	v_mov_b32_e32 v3, 0
	;; [unrolled: 1-line block ×4, first 2 shown]
	s_and_saveexec_b64 s[0:1], vcc
	s_cbranch_execz .LBB48_49
; %bb.48:
	v_mov_b32_e32 v15, 0
	v_lshl_add_u64 v[2:3], s[4:5], 0, v[14:15]
	v_lshlrev_b32_e32 v4, 1, v18
	v_mov_b32_e32 v5, v15
	v_lshl_add_u64 v[2:3], v[2:3], 0, v[4:5]
	global_load_dwordx4 v[2:5], v[2:3], off
.LBB48_49:
	s_or_b64 exec, exec, s[0:1]
	v_or_b32_e32 v7, 1, v7
	v_cmp_gt_i32_e64 s[0:1], s41, v7
	v_lshlrev_b32_e32 v20, 8, v7
	v_mov_b32_e32 v7, 0
	v_mov_b32_e32 v8, 0
	v_mov_b32_e32 v9, 0
	s_and_saveexec_b64 s[2:3], s[0:1]
	s_cbranch_execz .LBB48_51
; %bb.50:
	v_mov_b32_e32 v21, 0
	v_lshl_add_u64 v[6:7], s[4:5], 0, v[20:21]
	v_lshlrev_b32_e32 v8, 1, v18
	v_mov_b32_e32 v9, v21
	v_lshl_add_u64 v[6:7], v[6:7], 0, v[8:9]
	global_load_dwordx4 v[6:9], v[6:7], off
.LBB48_51:
	s_or_b64 exec, exec, s[2:3]
	v_mov_b32_e32 v17, 0
	v_mov_b32_e32 v10, 0
	;; [unrolled: 1-line block ×5, first 2 shown]
	s_and_saveexec_b64 s[2:3], vcc
	s_cbranch_execz .LBB48_53
; %bb.52:
	v_mov_b32_e32 v15, 0
	v_lshl_add_u64 v[10:11], s[4:5], 0, v[14:15]
	v_lshlrev_b32_e32 v14, 1, v18
	v_lshl_add_u64 v[10:11], v[10:11], 0, v[14:15]
	global_load_dwordx4 v[10:13], v[10:11], off offset:128
.LBB48_53:
	s_or_b64 exec, exec, s[2:3]
	v_mov_b32_e32 v16, 0
	v_mov_b32_e32 v15, 0
	;; [unrolled: 1-line block ×3, first 2 shown]
	s_and_saveexec_b64 s[2:3], s[0:1]
	s_cbranch_execz .LBB48_55
; %bb.54:
	v_mov_b32_e32 v21, 0
	v_lshl_add_u64 v[14:15], s[4:5], 0, v[20:21]
	v_lshlrev_b32_e32 v20, 1, v18
	v_lshl_add_u64 v[14:15], v[14:15], 0, v[20:21]
	global_load_dwordx4 v[14:17], v[14:15], off offset:128
.LBB48_55:
	s_or_b64 exec, exec, s[2:3]
	s_branch .LBB48_58
.LBB48_56:
                                        ; implicit-def: $vgpr5
                                        ; implicit-def: $vgpr9
                                        ; implicit-def: $vgpr13
                                        ; implicit-def: $vgpr17
	s_cbranch_execz .LBB48_58
; %bb.57:
	s_waitcnt vmcnt(0)
	v_lshlrev_b32_e32 v2, 1, v18
	v_lshl_or_b32 v18, v25, 9, v2
	s_and_b32 s5, s5, 0xffff
	s_mov_b32 s7, 0x20000
	s_movk_i32 s6, 0x4000
	s_movk_i32 s0, 0x80
	buffer_load_dwordx4 v[2:5], v18, s[4:7], 0 offen
	buffer_load_dwordx4 v[6:9], v18, s[4:7], 0 offen offset:256
	buffer_load_dwordx4 v[10:13], v18, s[4:7], s0 offen
	buffer_load_dwordx4 v[14:17], v18, s[4:7], s0 offen offset:256
.LBB48_58:
	ds_read_b64 v[20:21], v27 offset:57344
	v_add_u32_e32 v18, 0x6000, v26
	ds_read2_b64 v[36:39], v18 offset1:16
	ds_read_b64 v[52:53], v28 offset:57344
	ds_read_b64 v[28:29], v29 offset:57344
	;; [unrolled: 1-line block ×3, first 2 shown]
	ds_read2st64_b64 v[40:43], v26 offset0:52 offset1:56
	s_mov_b32 s0, 0x1000504
	s_mov_b32 s1, 0x3020706
	s_waitcnt lgkmcnt(4)
	v_mfma_f32_16x16x16_bf16 a[0:3], v[20:21], v[36:37], a[0:3]
	v_mfma_f32_16x16x16_bf16 a[4:7], v[20:21], v[38:39], a[4:7]
	ds_read2_b64 v[36:39], v18 offset0:32 offset1:48
	v_and_b32_e32 v18, 6, v0
	v_xor_b32_e32 v25, v25, v18
	s_waitcnt lgkmcnt(0)
	v_mfma_f32_16x16x16_bf16 a[8:11], v[20:21], v[36:37], a[8:11]
	v_lshlrev_b32_e32 v25, 2, v25
	v_and_b32_e32 v0, 1, v0
	v_xor_b32_e32 v35, 0x440, v25
	v_mfma_f32_16x16x16_bf16 a[12:15], v[20:21], v[38:39], a[12:15]
	ds_read2st64_b64 v[36:39], v31 offset0:52 offset1:56
	ds_read2st64_b64 v[44:47], v32 offset0:52 offset1:56
	;; [unrolled: 1-line block ×3, first 2 shown]
	v_cmp_eq_u32_e32 vcc, 0, v0
	ds_read_b64 v[20:21], v26 offset:30720
	ds_read_b64 v[26:27], v31 offset:30720
	;; [unrolled: 1-line block ×4, first 2 shown]
	v_mfma_f32_16x16x16_bf16 a[0:3], v[52:53], v[40:41], a[0:3]
	v_cndmask_b32_e32 v0, v35, v25, vcc
	v_lshl_or_b32 v0, v18, 10, v0
	s_waitcnt vmcnt(0)
	v_perm_b32 v18, v2, v6, s0
	s_waitcnt lgkmcnt(6)
	v_mfma_f32_16x16x16_bf16 a[4:7], v[52:53], v[36:37], a[4:7]
	v_perm_b32 v25, v10, v14, s0
	ds_write2st64_b32 v0, v18, v25 offset0:128 offset1:160
	v_xor_b32_e32 v18, 8, v0
	s_waitcnt lgkmcnt(6)
	v_mfma_f32_16x16x16_bf16 a[8:11], v[52:53], v[44:45], a[8:11]
	v_perm_b32 v2, v2, v6, s1
	v_perm_b32 v6, v10, v14, s1
	v_add_u32_e32 v10, 0x80, v18
	s_waitcnt lgkmcnt(5)
	v_mfma_f32_16x16x16_bf16 a[12:15], v[52:53], v[48:49], a[12:15]
	ds_write2st64_b32 v10, v2, v6 offset0:128 offset1:160
	v_xor_b32_e32 v2, 16, v0
	v_perm_b32 v6, v3, v7, s0
	v_mfma_f32_16x16x16_bf16 a[0:3], v[28:29], v[42:43], a[0:3]
	v_perm_b32 v10, v11, v15, s0
	ds_write2st64_b32 v2, v6, v10 offset0:129 offset1:161
	v_xor_b32_e32 v2, 24, v0
	v_mfma_f32_16x16x16_bf16 a[4:7], v[28:29], v[38:39], a[4:7]
	v_perm_b32 v3, v3, v7, s1
	v_perm_b32 v6, v11, v15, s1
	v_add_u32_e32 v2, 0x80, v2
	v_mfma_f32_16x16x16_bf16 a[16:19], v[28:29], v[46:47], a[8:11]
	ds_write2st64_b32 v2, v3, v6 offset0:129 offset1:161
	v_xor_b32_e32 v2, 32, v0
	v_perm_b32 v3, v4, v8, s0
	v_mfma_f32_16x16x16_bf16 a[20:23], v[28:29], v[50:51], a[12:15]
	v_perm_b32 v6, v12, v16, s0
	ds_write2st64_b32 v2, v3, v6 offset0:130 offset1:162
	v_xor_b32_e32 v2, 40, v0
	s_waitcnt lgkmcnt(8)
	v_mfma_f32_16x16x16_bf16 a[12:15], v[54:55], v[20:21], a[0:3]
	v_perm_b32 v3, v4, v8, s1
	v_perm_b32 v4, v12, v16, s1
	v_add_u32_e32 v2, 0x80, v2
	s_waitcnt lgkmcnt(7)
	v_mfma_f32_16x16x16_bf16 a[8:11], v[54:55], v[26:27], a[4:7]
	ds_write2st64_b32 v2, v3, v4 offset0:130 offset1:162
	v_xor_b32_e32 v2, 48, v0
	v_perm_b32 v3, v5, v9, s0
	s_waitcnt lgkmcnt(7)
	v_mfma_f32_16x16x16_bf16 a[4:7], v[54:55], v[30:31], a[16:19]
	v_perm_b32 v4, v13, v17, s0
	v_xor_b32_e32 v0, 56, v0
	v_and_or_b32 v18, v34, 12, v1
	s_waitcnt lgkmcnt(6)
	v_mfma_f32_16x16x16_bf16 a[0:3], v[54:55], v[32:33], a[20:23]
	ds_write2st64_b32 v2, v3, v4 offset0:131 offset1:163
	v_perm_b32 v2, v5, v9, s1
	v_perm_b32 v3, v13, v17, s1
	v_add_u32_e32 v0, 0x80, v0
	v_cmp_gt_i32_e32 vcc, s41, v18
	v_mov_b32_e32 v14, 0
	v_mov_b32_e32 v16, 0
	ds_write2st64_b32 v0, v2, v3 offset0:131 offset1:163
	s_and_saveexec_b64 s[0:1], vcc
	s_cbranch_execz .LBB48_60
; %bb.59:
	v_add_u32_e32 v0, s40, v18
	v_ashrrev_i32_e32 v1, 31, v0
	v_mul_lo_u32 v2, v1, s28
	v_mul_lo_u32 v3, v0, s29
	v_mad_u64_u32 v[0:1], s[2:3], v0, s28, 0
	v_add3_u32 v1, v1, v3, v2
	v_lshl_add_u64 v[0:1], v[0:1], 2, s[10:11]
	global_load_dword v0, v[0:1], off
	s_waitcnt vmcnt(0)
	v_sub_f32_e32 v0, s12, v0
	v_exp_f32_e32 v16, v0
.LBB48_60:
	s_or_b64 exec, exec, s[0:1]
	v_or_b32_e32 v8, 1, v18
	v_cmp_gt_i32_e64 s[0:1], s41, v8
	s_and_saveexec_b64 s[2:3], s[0:1]
	s_cbranch_execz .LBB48_62
; %bb.61:
	v_add_u32_e32 v0, s40, v8
	v_ashrrev_i32_e32 v1, 31, v0
	v_mul_lo_u32 v2, v1, s28
	v_mul_lo_u32 v3, v0, s29
	v_mad_u64_u32 v[0:1], s[4:5], v0, s28, 0
	v_add3_u32 v1, v1, v3, v2
	v_lshl_add_u64 v[0:1], v[0:1], 2, s[10:11]
	global_load_dword v0, v[0:1], off
	s_waitcnt vmcnt(0)
	v_sub_f32_e32 v0, s12, v0
	v_exp_f32_e32 v14, v0
.LBB48_62:
	s_or_b64 exec, exec, s[2:3]
	v_or_b32_e32 v10, 2, v18
	v_cmp_gt_i32_e64 s[2:3], s41, v10
	v_mov_b32_e32 v15, 0
	v_mov_b32_e32 v17, 0
	s_and_saveexec_b64 s[4:5], s[2:3]
	s_cbranch_execz .LBB48_64
; %bb.63:
	v_add_u32_e32 v0, s40, v10
	v_ashrrev_i32_e32 v1, 31, v0
	v_mul_lo_u32 v2, v1, s28
	v_mul_lo_u32 v3, v0, s29
	v_mad_u64_u32 v[0:1], s[6:7], v0, s28, 0
	v_add3_u32 v1, v1, v3, v2
	v_lshl_add_u64 v[0:1], v[0:1], 2, s[10:11]
	global_load_dword v0, v[0:1], off
	s_waitcnt vmcnt(0)
	v_sub_f32_e32 v0, s12, v0
	v_exp_f32_e32 v17, v0
.LBB48_64:
	s_or_b64 exec, exec, s[4:5]
	v_or_b32_e32 v12, 3, v18
	v_cmp_gt_i32_e64 s[4:5], s41, v12
	s_and_saveexec_b64 s[6:7], s[4:5]
	s_cbranch_execz .LBB48_66
; %bb.65:
	v_add_u32_e32 v0, s40, v12
	v_ashrrev_i32_e32 v1, 31, v0
	v_mul_lo_u32 v2, v1, s28
	v_mul_lo_u32 v3, v0, s29
	v_mad_u64_u32 v[0:1], s[14:15], v0, s28, 0
	v_add3_u32 v1, v1, v3, v2
	v_lshl_add_u64 v[0:1], v[0:1], 2, s[10:11]
	global_load_dword v0, v[0:1], off
	s_waitcnt vmcnt(0)
	v_sub_f32_e32 v0, s12, v0
	v_exp_f32_e32 v15, v0
.LBB48_66:
	s_or_b64 exec, exec, s[6:7]
	v_or_b32_e32 v4, s30, v72
	s_add_u32 s6, s8, s24
	v_accvgpr_read_b32 v0, a12
	s_addc_u32 s7, s9, s25
	v_ashrrev_i32_e32 v5, 31, v4
	v_accvgpr_read_b32 v1, a13
	v_accvgpr_read_b32 v2, a14
	;; [unrolled: 1-line block ×3, first 2 shown]
	v_lshl_add_u64 v[4:5], v[4:5], 1, s[6:7]
	v_mov_b32_e32 v9, 0
	v_lshlrev_b32_e32 v6, 8, v18
	v_mov_b32_e32 v7, 0
	s_and_saveexec_b64 s[6:7], vcc
	s_cbranch_execz .LBB48_68
; %bb.67:
	v_mov_b32_e32 v7, 0
	v_lshl_add_u64 v[20:21], v[4:5], 0, v[6:7]
	global_load_ushort v7, v[20:21], off
	s_waitcnt vmcnt(0)
	v_lshlrev_b32_e32 v7, 16, v7
	v_sub_f32_e32 v0, v7, v0
	v_mul_f32_e32 v0, v16, v0
	v_lshrrev_b32_e32 v7, 16, v0
.LBB48_68:
	s_or_b64 exec, exec, s[6:7]
	v_lshlrev_b32_e32 v8, 8, v8
	s_and_saveexec_b64 s[6:7], s[0:1]
	s_cbranch_execz .LBB48_70
; %bb.69:
	v_mov_b32_e32 v9, 0
	v_lshl_add_u64 v[20:21], v[4:5], 0, v[8:9]
	global_load_ushort v0, v[20:21], off
	s_waitcnt vmcnt(0)
	v_lshlrev_b32_e32 v0, 16, v0
	v_sub_f32_e32 v0, v0, v1
	v_mul_f32_e32 v0, v14, v0
	v_lshrrev_b32_e32 v9, 16, v0
.LBB48_70:
	s_or_b64 exec, exec, s[6:7]
	v_mov_b32_e32 v13, 0
	v_lshlrev_b32_e32 v10, 8, v10
	v_mov_b32_e32 v11, 0
	s_and_saveexec_b64 s[6:7], s[2:3]
	s_cbranch_execz .LBB48_72
; %bb.71:
	v_mov_b32_e32 v11, 0
	v_lshl_add_u64 v[0:1], v[4:5], 0, v[10:11]
	global_load_ushort v0, v[0:1], off
	s_waitcnt vmcnt(0)
	v_lshlrev_b32_e32 v0, 16, v0
	v_sub_f32_e32 v0, v0, v2
	v_mul_f32_e32 v0, v17, v0
	v_lshrrev_b32_e32 v11, 16, v0
.LBB48_72:
	s_or_b64 exec, exec, s[6:7]
	v_lshlrev_b32_e32 v12, 8, v12
	s_and_saveexec_b64 s[6:7], s[4:5]
	s_cbranch_execz .LBB48_74
; %bb.73:
	v_mov_b32_e32 v13, 0
	v_lshl_add_u64 v[0:1], v[4:5], 0, v[12:13]
	global_load_ushort v0, v[0:1], off
	s_waitcnt vmcnt(0)
	v_lshlrev_b32_e32 v0, 16, v0
	v_sub_f32_e32 v0, v0, v3
	v_mul_f32_e32 v0, v15, v0
	v_lshrrev_b32_e32 v13, 16, v0
.LBB48_74:
	s_or_b64 exec, exec, s[6:7]
	v_lshlrev_b32_e32 v18, 6, v18
	s_mov_b32 s6, 0x5040100
	v_perm_b32 v20, v9, v7, s6
	v_or_b32_e32 v7, v18, v24
	v_accvgpr_read_b32 v0, a8
	v_perm_b32 v21, v13, v11, s6
	v_lshlrev_b32_e32 v7, 1, v7
	v_accvgpr_read_b32 v1, a9
	v_accvgpr_read_b32 v2, a10
	;; [unrolled: 1-line block ×3, first 2 shown]
	ds_write_b64 v7, v[20:21] offset:24576
	v_mov_b32_e32 v9, 0
	v_mov_b32_e32 v7, 0
	s_and_saveexec_b64 s[6:7], vcc
	s_cbranch_execz .LBB48_76
; %bb.75:
	v_mov_b32_e32 v7, 0
	v_lshl_add_u64 v[20:21], v[4:5], 0, v[6:7]
	global_load_ushort v7, v[20:21], off offset:32
	s_waitcnt vmcnt(0)
	v_lshlrev_b32_e32 v7, 16, v7
	v_sub_f32_e32 v0, v7, v0
	v_mul_f32_e32 v0, v16, v0
	v_lshrrev_b32_e32 v7, 16, v0
.LBB48_76:
	s_or_b64 exec, exec, s[6:7]
	s_and_saveexec_b64 s[6:7], s[0:1]
	s_cbranch_execz .LBB48_78
; %bb.77:
	v_mov_b32_e32 v9, 0
	v_lshl_add_u64 v[20:21], v[4:5], 0, v[8:9]
	global_load_ushort v0, v[20:21], off offset:32
	s_waitcnt vmcnt(0)
	v_lshlrev_b32_e32 v0, 16, v0
	v_sub_f32_e32 v0, v0, v1
	v_mul_f32_e32 v0, v14, v0
	v_lshrrev_b32_e32 v9, 16, v0
.LBB48_78:
	s_or_b64 exec, exec, s[6:7]
	v_mov_b32_e32 v13, 0
	v_mov_b32_e32 v11, 0
	s_and_saveexec_b64 s[6:7], s[2:3]
	s_cbranch_execz .LBB48_80
; %bb.79:
	v_mov_b32_e32 v11, 0
	v_lshl_add_u64 v[0:1], v[4:5], 0, v[10:11]
	global_load_ushort v0, v[0:1], off offset:32
	s_waitcnt vmcnt(0)
	v_lshlrev_b32_e32 v0, 16, v0
	v_sub_f32_e32 v0, v0, v2
	v_mul_f32_e32 v0, v17, v0
	v_lshrrev_b32_e32 v11, 16, v0
.LBB48_80:
	s_or_b64 exec, exec, s[6:7]
	s_and_saveexec_b64 s[6:7], s[4:5]
	s_cbranch_execz .LBB48_82
; %bb.81:
	v_mov_b32_e32 v13, 0
	v_lshl_add_u64 v[0:1], v[4:5], 0, v[12:13]
	global_load_ushort v0, v[0:1], off offset:32
	s_waitcnt vmcnt(0)
	v_lshlrev_b32_e32 v0, 16, v0
	v_sub_f32_e32 v0, v0, v3
	v_mul_f32_e32 v0, v15, v0
	v_lshrrev_b32_e32 v13, 16, v0
.LBB48_82:
	s_or_b64 exec, exec, s[6:7]
	s_mov_b32 s6, 0x5040100
	v_perm_b32 v20, v9, v7, s6
	v_or_b32_e32 v7, v18, v23
	v_accvgpr_read_b32 v0, a4
	v_perm_b32 v21, v13, v11, s6
	v_lshlrev_b32_e32 v7, 1, v7
	v_accvgpr_read_b32 v1, a5
	v_accvgpr_read_b32 v2, a6
	;; [unrolled: 1-line block ×3, first 2 shown]
	ds_write_b64 v7, v[20:21] offset:24576
	v_mov_b32_e32 v9, 0
	v_mov_b32_e32 v7, 0
	s_and_saveexec_b64 s[6:7], vcc
	s_cbranch_execz .LBB48_84
; %bb.83:
	v_mov_b32_e32 v7, 0
	v_lshl_add_u64 v[20:21], v[4:5], 0, v[6:7]
	global_load_ushort v7, v[20:21], off offset:64
	s_waitcnt vmcnt(0)
	v_lshlrev_b32_e32 v7, 16, v7
	v_sub_f32_e32 v0, v7, v0
	v_mul_f32_e32 v0, v16, v0
	v_lshrrev_b32_e32 v7, 16, v0
.LBB48_84:
	s_or_b64 exec, exec, s[6:7]
	s_and_saveexec_b64 s[6:7], s[0:1]
	s_cbranch_execz .LBB48_86
; %bb.85:
	v_mov_b32_e32 v9, 0
	v_lshl_add_u64 v[20:21], v[4:5], 0, v[8:9]
	global_load_ushort v0, v[20:21], off offset:64
	s_waitcnt vmcnt(0)
	v_lshlrev_b32_e32 v0, 16, v0
	v_sub_f32_e32 v0, v0, v1
	v_mul_f32_e32 v0, v14, v0
	v_lshrrev_b32_e32 v9, 16, v0
.LBB48_86:
	s_or_b64 exec, exec, s[6:7]
	v_mov_b32_e32 v13, 0
	v_mov_b32_e32 v11, 0
	s_and_saveexec_b64 s[6:7], s[2:3]
	s_cbranch_execz .LBB48_88
; %bb.87:
	v_mov_b32_e32 v11, 0
	v_lshl_add_u64 v[0:1], v[4:5], 0, v[10:11]
	global_load_ushort v0, v[0:1], off offset:64
	s_waitcnt vmcnt(0)
	v_lshlrev_b32_e32 v0, 16, v0
	v_sub_f32_e32 v0, v0, v2
	v_mul_f32_e32 v0, v17, v0
	v_lshrrev_b32_e32 v11, 16, v0
.LBB48_88:
	s_or_b64 exec, exec, s[6:7]
	s_and_saveexec_b64 s[6:7], s[4:5]
	s_cbranch_execz .LBB48_90
; %bb.89:
	v_mov_b32_e32 v13, 0
	v_lshl_add_u64 v[0:1], v[4:5], 0, v[12:13]
	global_load_ushort v0, v[0:1], off offset:64
	s_waitcnt vmcnt(0)
	v_lshlrev_b32_e32 v0, 16, v0
	v_sub_f32_e32 v0, v0, v3
	v_mul_f32_e32 v0, v15, v0
	v_lshrrev_b32_e32 v13, 16, v0
.LBB48_90:
	s_or_b64 exec, exec, s[6:7]
	s_mov_b32 s6, 0x5040100
	v_perm_b32 v20, v9, v7, s6
	v_or_b32_e32 v7, v18, v22
	v_accvgpr_read_b32 v0, a0
	v_perm_b32 v21, v13, v11, s6
	v_lshlrev_b32_e32 v7, 1, v7
	v_accvgpr_read_b32 v1, a1
	v_accvgpr_read_b32 v2, a2
	;; [unrolled: 1-line block ×3, first 2 shown]
	ds_write_b64 v7, v[20:21] offset:24576
	v_mov_b32_e32 v9, 0
	v_mov_b32_e32 v7, 0
	s_and_saveexec_b64 s[6:7], vcc
	s_cbranch_execz .LBB48_92
; %bb.91:
	v_mov_b32_e32 v7, 0
	v_lshl_add_u64 v[6:7], v[4:5], 0, v[6:7]
	global_load_ushort v6, v[6:7], off offset:96
	s_waitcnt vmcnt(0)
	v_lshlrev_b32_e32 v6, 16, v6
	v_sub_f32_e32 v0, v6, v0
	v_mul_f32_e32 v0, v16, v0
	v_lshrrev_b32_e32 v7, 16, v0
.LBB48_92:
	s_or_b64 exec, exec, s[6:7]
	s_and_saveexec_b64 s[6:7], s[0:1]
	s_cbranch_execz .LBB48_94
; %bb.93:
	v_mov_b32_e32 v9, 0
	v_lshl_add_u64 v[8:9], v[4:5], 0, v[8:9]
	global_load_ushort v0, v[8:9], off offset:96
	s_waitcnt vmcnt(0)
	v_lshlrev_b32_e32 v0, 16, v0
	v_sub_f32_e32 v0, v0, v1
	v_mul_f32_e32 v0, v14, v0
	v_lshrrev_b32_e32 v9, 16, v0
.LBB48_94:
	s_or_b64 exec, exec, s[6:7]
	v_mov_b32_e32 v0, 0
	v_mov_b32_e32 v1, 0
	s_and_saveexec_b64 s[0:1], s[2:3]
	s_cbranch_execz .LBB48_96
; %bb.95:
	v_mov_b32_e32 v11, 0
	v_lshl_add_u64 v[10:11], v[4:5], 0, v[10:11]
	global_load_ushort v1, v[10:11], off offset:96
	s_waitcnt vmcnt(0)
	v_lshlrev_b32_e32 v1, 16, v1
	v_sub_f32_e32 v1, v1, v2
	v_mul_f32_e32 v1, v17, v1
	v_lshrrev_b32_e32 v1, 16, v1
.LBB48_96:
	s_or_b64 exec, exec, s[0:1]
	s_and_saveexec_b64 s[0:1], s[4:5]
	s_cbranch_execz .LBB48_98
; %bb.97:
	v_mov_b32_e32 v13, 0
	v_lshl_add_u64 v[4:5], v[4:5], 0, v[12:13]
	global_load_ushort v0, v[4:5], off offset:96
	s_waitcnt vmcnt(0)
	v_lshlrev_b32_e32 v0, 16, v0
	v_sub_f32_e32 v0, v0, v3
	v_mul_f32_e32 v0, v15, v0
	v_lshrrev_b32_e32 v0, 16, v0
.LBB48_98:
	s_or_b64 exec, exec, s[0:1]
	s_mov_b32 s0, 0x5040100
	v_or_b32_e32 v2, v18, v19
	v_perm_b32 v1, v0, v1, s0
	v_perm_b32 v0, v9, v7, s0
	v_lshlrev_b32_e32 v2, 1, v2
	ds_write_b64 v2, v[0:1] offset:24576
	s_waitcnt lgkmcnt(0)
	s_barrier
.LBB48_99:
	s_endpgm
	.section	.rodata,"a",@progbits
	.p2align	6, 0x0
	.amdhsa_kernel _ZN12_GLOBAL__N_139chunk_gated_delta_rule_fwd_h_hip_kernelILi64ELb0ELb0ELb0ELb0ELb1ELb0ELb1ELb1EEEvPK12hip_bfloat16S3_S3_PKfS5_PKvPS1_S8_PvPKiSB_iiiiilll
		.amdhsa_group_segment_fixed_size 65536
		.amdhsa_private_segment_fixed_size 0
		.amdhsa_kernarg_size 136
		.amdhsa_user_sgpr_count 2
		.amdhsa_user_sgpr_dispatch_ptr 0
		.amdhsa_user_sgpr_queue_ptr 0
		.amdhsa_user_sgpr_kernarg_segment_ptr 1
		.amdhsa_user_sgpr_dispatch_id 0
		.amdhsa_user_sgpr_kernarg_preload_length 0
		.amdhsa_user_sgpr_kernarg_preload_offset 0
		.amdhsa_user_sgpr_private_segment_size 0
		.amdhsa_uses_dynamic_stack 0
		.amdhsa_enable_private_segment 0
		.amdhsa_system_sgpr_workgroup_id_x 1
		.amdhsa_system_sgpr_workgroup_id_y 1
		.amdhsa_system_sgpr_workgroup_id_z 0
		.amdhsa_system_sgpr_workgroup_info 0
		.amdhsa_system_vgpr_workitem_id 0
		.amdhsa_next_free_vgpr 216
		.amdhsa_next_free_sgpr 63
		.amdhsa_accum_offset 180
		.amdhsa_reserve_vcc 1
		.amdhsa_float_round_mode_32 0
		.amdhsa_float_round_mode_16_64 0
		.amdhsa_float_denorm_mode_32 3
		.amdhsa_float_denorm_mode_16_64 3
		.amdhsa_dx10_clamp 1
		.amdhsa_ieee_mode 1
		.amdhsa_fp16_overflow 0
		.amdhsa_tg_split 0
		.amdhsa_exception_fp_ieee_invalid_op 0
		.amdhsa_exception_fp_denorm_src 0
		.amdhsa_exception_fp_ieee_div_zero 0
		.amdhsa_exception_fp_ieee_overflow 0
		.amdhsa_exception_fp_ieee_underflow 0
		.amdhsa_exception_fp_ieee_inexact 0
		.amdhsa_exception_int_div_zero 0
	.end_amdhsa_kernel
	.section	.text._ZN12_GLOBAL__N_139chunk_gated_delta_rule_fwd_h_hip_kernelILi64ELb0ELb0ELb0ELb0ELb1ELb0ELb1ELb1EEEvPK12hip_bfloat16S3_S3_PKfS5_PKvPS1_S8_PvPKiSB_iiiiilll,"axG",@progbits,_ZN12_GLOBAL__N_139chunk_gated_delta_rule_fwd_h_hip_kernelILi64ELb0ELb0ELb0ELb0ELb1ELb0ELb1ELb1EEEvPK12hip_bfloat16S3_S3_PKfS5_PKvPS1_S8_PvPKiSB_iiiiilll,comdat
.Lfunc_end48:
	.size	_ZN12_GLOBAL__N_139chunk_gated_delta_rule_fwd_h_hip_kernelILi64ELb0ELb0ELb0ELb0ELb1ELb0ELb1ELb1EEEvPK12hip_bfloat16S3_S3_PKfS5_PKvPS1_S8_PvPKiSB_iiiiilll, .Lfunc_end48-_ZN12_GLOBAL__N_139chunk_gated_delta_rule_fwd_h_hip_kernelILi64ELb0ELb0ELb0ELb0ELb1ELb0ELb1ELb1EEEvPK12hip_bfloat16S3_S3_PKfS5_PKvPS1_S8_PvPKiSB_iiiiilll
                                        ; -- End function
	.section	.AMDGPU.csdata,"",@progbits
; Kernel info:
; codeLenInByte = 10804
; NumSgprs: 69
; NumVgprs: 178
; NumAgprs: 36
; TotalNumVgprs: 216
; ScratchSize: 0
; MemoryBound: 0
; FloatMode: 240
; IeeeMode: 1
; LDSByteSize: 65536 bytes/workgroup (compile time only)
; SGPRBlocks: 8
; VGPRBlocks: 26
; NumSGPRsForWavesPerEU: 69
; NumVGPRsForWavesPerEU: 216
; AccumOffset: 180
; Occupancy: 1
; WaveLimiterHint : 1
; COMPUTE_PGM_RSRC2:SCRATCH_EN: 0
; COMPUTE_PGM_RSRC2:USER_SGPR: 2
; COMPUTE_PGM_RSRC2:TRAP_HANDLER: 0
; COMPUTE_PGM_RSRC2:TGID_X_EN: 1
; COMPUTE_PGM_RSRC2:TGID_Y_EN: 1
; COMPUTE_PGM_RSRC2:TGID_Z_EN: 0
; COMPUTE_PGM_RSRC2:TIDIG_COMP_CNT: 0
; COMPUTE_PGM_RSRC3_GFX90A:ACCUM_OFFSET: 44
; COMPUTE_PGM_RSRC3_GFX90A:TG_SPLIT: 0
	.section	.text._ZN12_GLOBAL__N_139chunk_gated_delta_rule_fwd_h_hip_kernelILi64ELb1ELb1ELb1ELb1ELb1ELb0ELb0ELb1EEEvPK12hip_bfloat16S3_S3_PKfS5_PKvPS1_S8_PvPKiSB_iiiiilll,"axG",@progbits,_ZN12_GLOBAL__N_139chunk_gated_delta_rule_fwd_h_hip_kernelILi64ELb1ELb1ELb1ELb1ELb1ELb0ELb0ELb1EEEvPK12hip_bfloat16S3_S3_PKfS5_PKvPS1_S8_PvPKiSB_iiiiilll,comdat
	.globl	_ZN12_GLOBAL__N_139chunk_gated_delta_rule_fwd_h_hip_kernelILi64ELb1ELb1ELb1ELb1ELb1ELb0ELb0ELb1EEEvPK12hip_bfloat16S3_S3_PKfS5_PKvPS1_S8_PvPKiSB_iiiiilll ; -- Begin function _ZN12_GLOBAL__N_139chunk_gated_delta_rule_fwd_h_hip_kernelILi64ELb1ELb1ELb1ELb1ELb1ELb0ELb0ELb1EEEvPK12hip_bfloat16S3_S3_PKfS5_PKvPS1_S8_PvPKiSB_iiiiilll
	.p2align	8
	.type	_ZN12_GLOBAL__N_139chunk_gated_delta_rule_fwd_h_hip_kernelILi64ELb1ELb1ELb1ELb1ELb1ELb0ELb0ELb1EEEvPK12hip_bfloat16S3_S3_PKfS5_PKvPS1_S8_PvPKiSB_iiiiilll,@function
_ZN12_GLOBAL__N_139chunk_gated_delta_rule_fwd_h_hip_kernelILi64ELb1ELb1ELb1ELb1ELb1ELb0ELb0ELb1EEEvPK12hip_bfloat16S3_S3_PKfS5_PKvPS1_S8_PvPKiSB_iiiiilll: ; @_ZN12_GLOBAL__N_139chunk_gated_delta_rule_fwd_h_hip_kernelILi64ELb1ELb1ELb1ELb1ELb1ELb0ELb0ELb1EEEvPK12hip_bfloat16S3_S3_PKfS5_PKvPS1_S8_PvPKiSB_iiiiilll
; %bb.0:
	s_load_dwordx4 s[20:23], s[0:1], 0x5c
	s_load_dwordx4 s[4:7], s[0:1], 0x48
	s_abs_i32 s9, s3
	s_ashr_i32 s8, s3, 31
	v_and_b32_e32 v88, 15, v0
	s_waitcnt lgkmcnt(0)
	s_abs_i32 s10, s21
	v_cvt_f32_u32_e32 v1, s10
	s_sub_i32 s12, 0, s10
	s_ashr_i32 s11, s21, 31
	s_xor_b32 s8, s8, s11
	v_rcp_iflag_f32_e32 v1, v1
	v_bfe_u32 v87, v0, 4, 2
	v_mov_b32_e32 v35, 0
	v_lshlrev_b32_e32 v89, 3, v0
	v_mul_f32_e32 v1, 0x4f7ffffe, v1
	v_cvt_u32_f32_e32 v1, v1
	s_nop 0
	v_readfirstlane_b32 s13, v1
	s_mul_i32 s12, s12, s13
	s_mul_hi_u32 s12, s13, s12
	s_add_i32 s13, s13, s12
	s_mul_hi_u32 s12, s9, s13
	s_mul_i32 s13, s12, s10
	s_sub_i32 s9, s9, s13
	s_add_i32 s14, s12, 1
	s_sub_i32 s13, s9, s10
	s_cmp_ge_u32 s9, s10
	s_cselect_b32 s12, s14, s12
	s_cselect_b32 s9, s13, s9
	s_add_i32 s13, s12, 1
	s_cmp_ge_u32 s9, s10
	s_cselect_b32 s9, s13, s12
	s_xor_b32 s9, s9, s8
	s_sub_i32 s28, s9, s8
	s_mul_i32 s12, s28, s21
	s_ashr_i32 s29, s28, 31
	s_sub_i32 s51, s3, s12
	s_lshl_b64 s[8:9], s[28:29], 2
	s_add_u32 s4, s4, s8
	s_addc_u32 s5, s5, s9
	s_add_u32 s30, s6, s8
	s_addc_u32 s31, s7, s9
	s_abs_i32 s3, s22
	v_cvt_f32_u32_e32 v1, s3
	s_load_dwordx2 s[38:39], s[4:5], 0x0
	s_sub_i32 s5, 0, s3
	s_lshl_b32 s2, s2, 6
	v_rcp_iflag_f32_e32 v1, v1
	v_or_b32_e32 v76, s2, v88
	s_waitcnt lgkmcnt(0)
	s_sub_i32 s54, s39, s38
	s_ashr_i32 s4, s54, 31
	v_mul_f32_e32 v1, 0x4f7ffffe, v1
	v_cvt_u32_f32_e32 v1, v1
	s_lshr_b32 s4, s4, 26
	s_add_i32 s4, s54, s4
	s_ashr_i32 s53, s4, 6
	v_readfirstlane_b32 s6, v1
	s_mul_i32 s5, s5, s6
	s_mul_hi_u32 s5, s6, s5
	s_add_i32 s6, s6, s5
	s_mul_hi_u32 s5, s10, s6
	s_mul_i32 s6, s5, s3
	s_ashr_i32 s4, s22, 31
	s_sub_i32 s6, s10, s6
	s_xor_b32 s4, s11, s4
	s_add_i32 s7, s5, 1
	s_sub_i32 s8, s6, s3
	s_cmp_ge_u32 s6, s3
	s_cselect_b32 s5, s7, s5
	s_cselect_b32 s6, s8, s6
	s_add_i32 s7, s5, 1
	s_cmp_ge_u32 s6, s3
	s_cselect_b32 s3, s7, s5
	s_xor_b32 s3, s3, s4
	s_sub_i32 s3, s3, s4
	s_abs_i32 s13, s3
	v_cvt_f32_u32_e32 v1, s13
	s_sub_i32 s15, 0, s13
	s_abs_i32 s14, s51
	s_xor_b32 s3, s51, s3
	v_rcp_iflag_f32_e32 v2, v1
	s_ashr_i32 s3, s3, 31
	s_load_dwordx8 s[4:11], s[0:1], 0x28
	v_lshrrev_b32_e32 v1, 6, v0
	v_mul_f32_e32 v2, 0x4f7ffffe, v2
	v_cvt_u32_f32_e32 v2, v2
	v_lshlrev_b32_e32 v36, 7, v76
	v_lshlrev_b32_e32 v86, 4, v1
	v_or_b32_e32 v38, 0x800, v36
	v_readfirstlane_b32 s16, v2
	s_mul_i32 s15, s15, s16
	s_mul_hi_u32 s15, s16, s15
	s_add_i32 s16, s16, s15
	s_mul_hi_u32 s15, s14, s16
	s_mul_i32 s16, s15, s13
	s_sub_i32 s14, s14, s16
	s_add_i32 s16, s15, 1
	s_sub_i32 s17, s14, s13
	s_cmp_ge_u32 s14, s13
	s_cselect_b32 s15, s16, s15
	s_cselect_b32 s14, s17, s14
	s_add_i32 s16, s15, 1
	s_cmp_ge_u32 s14, s13
	s_cselect_b32 s13, s16, s15
	s_xor_b32 s13, s13, s3
	s_sub_i32 s55, s13, s3
	s_ashr_i32 s52, s51, 31
	s_mul_hi_i32 s3, s28, s21
	s_add_u32 s12, s12, s51
	s_addc_u32 s13, s3, s52
	s_lshl_b64 s[34:35], s[12:13], 15
	s_waitcnt lgkmcnt(0)
	s_add_u32 s4, s4, s34
	v_lshl_or_b32 v91, v87, 2, v86
	s_addc_u32 s5, s5, s35
	v_ashrrev_i32_e32 v37, 31, v36
	v_ashrrev_i32_e32 v39, 31, v38
	v_lshl_add_u64 v[2:3], v[36:37], 1, s[4:5]
	v_lshlrev_b32_e32 v34, 1, v91
	v_lshl_add_u64 v[6:7], v[38:39], 1, s[4:5]
	v_or_b32_e32 v40, 0x1000, v36
	v_or_b32_e32 v42, 0x1800, v36
	v_lshl_add_u64 v[2:3], v[2:3], 0, v[34:35]
	v_lshl_add_u64 v[6:7], v[6:7], 0, v[34:35]
	v_ashrrev_i32_e32 v41, 31, v40
	v_ashrrev_i32_e32 v43, 31, v42
	global_load_dwordx2 v[4:5], v[2:3], off
	v_lshl_add_u64 v[14:15], v[42:43], 1, s[4:5]
	global_load_dwordx2 v[2:3], v[2:3], off offset:128
	s_nop 0
	global_load_dwordx2 v[8:9], v[6:7], off
	global_load_dwordx2 v[10:11], v[6:7], off offset:128
	v_lshl_add_u64 v[6:7], v[40:41], 1, s[4:5]
	v_lshl_add_u64 v[6:7], v[6:7], 0, v[34:35]
	;; [unrolled: 1-line block ×3, first 2 shown]
	global_load_dwordx2 v[12:13], v[6:7], off
	v_and_b32_e32 v35, 63, v0
	global_load_dwordx2 v[6:7], v[6:7], off offset:128
	s_nop 0
	global_load_dwordx2 v[16:17], v[14:15], off
	global_load_dwordx2 v[18:19], v[14:15], off offset:128
	s_load_dwordx8 s[12:19], s[0:1], 0x0
	s_load_dwordx2 s[36:37], s[0:1], 0x80
	s_load_dwordx4 s[24:27], s[0:1], 0x70
	s_load_dword s58, s[30:31], 0x0
	v_lshrrev_b32_e32 v90, 3, v35
	v_or_b32_e32 v92, 64, v91
	s_mul_hi_i32 s56, s51, s20
	s_waitcnt lgkmcnt(0)
	s_mul_i32 s33, s28, s25
	s_mul_hi_u32 s47, s28, s24
	s_mul_i32 s46, s29, s24
	s_mul_i32 s57, s51, s20
	s_cmp_lt_i32 s54, 64
	s_mul_i32 s42, s28, s24
	s_mul_i32 s48, s51, s27
	s_mul_hi_u32 s49, s51, s26
	s_mul_i32 s50, s52, s26
	s_mul_i32 s40, s51, s26
	s_waitcnt vmcnt(7)
	v_and_b32_e32 v71, 0xffff0000, v4
	v_lshlrev_b32_e32 v70, 16, v4
	v_and_b32_e32 v75, 0xffff0000, v5
	v_lshlrev_b32_e32 v74, 16, v5
	s_waitcnt vmcnt(6)
	v_and_b32_e32 v69, 0xffff0000, v2
	v_lshlrev_b32_e32 v68, 16, v2
	v_and_b32_e32 v73, 0xffff0000, v3
	v_lshlrev_b32_e32 v72, 16, v3
	;; [unrolled: 5-line block ×8, first 2 shown]
	s_cbranch_scc1 .LBB49_18
; %bb.1:
	s_ashr_i32 s1, s38, 31
	s_add_u32 s0, s57, s38
	s_addc_u32 s1, s56, s1
	s_lshl_b64 s[0:1], s[0:1], 8
	v_and_b32_e32 v94, 56, v89
	s_add_u32 s24, s14, s0
	v_lshl_or_b32 v93, v1, 3, v90
	v_lshlrev_b32_e32 v2, 1, v94
	s_addc_u32 s0, s15, s1
	v_lshl_or_b32 v95, v93, 8, v2
	s_and_b32 s25, s0, 0xffff
	s_mov_b32 s27, 0x20000
	s_movk_i32 s26, 0x4000
	s_movk_i32 s0, 0x80
	v_or_b32_e32 v96, 0x2000, v95
	buffer_load_dwordx4 v[4:7], v95, s[24:27], 0 offen
	buffer_load_dwordx4 v[8:11], v95, s[24:27], s0 offen
	buffer_load_dwordx4 v[12:15], v96, s[24:27], 0 offen
	buffer_load_dwordx4 v[16:19], v96, s[24:27], s0 offen
	v_lshlrev_b32_e32 v3, 3, v93
	v_and_or_b32 v21, v0, 7, v3
	v_and_b32_e32 v3, 0x78, v3
	v_lshlrev_b32_e32 v21, 4, v21
	v_xor_b32_e32 v97, v21, v3
	v_mul_lo_u32 v20, v93, s23
	v_or_b32_e32 v98, 0x1000, v97
	v_xor_b32_e32 v3, 8, v97
	s_cmpk_eq_i32 s23, 0x80
	s_mov_b32 s59, s38
	v_xor_b32_e32 v21, 8, v98
	s_cselect_b64 s[0:1], -1, 0
	s_cmpk_lg_i32 s23, 0x80
	s_waitcnt vmcnt(3)
	ds_write_b64 v97, v[4:5] offset:49152
	ds_write_b64 v3, v[6:7] offset:49152
	s_waitcnt vmcnt(2)
	ds_write_b64 v97, v[8:9] offset:57344
	ds_write_b64 v3, v[10:11] offset:57344
	;; [unrolled: 3-line block ×4, first 2 shown]
	v_lshl_add_u32 v3, v20, 1, v94
	s_cbranch_scc0 .LBB49_3
; %bb.2:
	v_lshlrev_b32_e32 v5, 1, v3
	v_add_lshl_u32 v4, v3, s23, 1
	s_lshl_b32 s26, s23, 7
	v_lshl_or_b32 v2, v93, 9, v2
	s_cbranch_execz .LBB49_4
	s_branch .LBB49_5
.LBB49_3:
                                        ; implicit-def: $vgpr4
                                        ; implicit-def: $vgpr5
                                        ; implicit-def: $sgpr26
	v_lshl_or_b32 v2, v93, 9, v2
.LBB49_4:
	v_or_b32_e32 v4, 0x100, v2
	s_movk_i32 s26, 0x4000
	v_mov_b32_e32 v5, v2
.LBB49_5:
	s_mul_i32 s4, s38, s22
	s_ashr_i32 s60, s55, 31
	s_mul_hi_i32 s3, s38, s22
	s_add_u32 s4, s4, s55
	s_addc_u32 s5, s3, s60
	s_lshl_b64 s[4:5], s[4:5], 8
	s_add_u32 s24, s12, s4
	s_addc_u32 s3, s13, s5
	s_and_b32 s25, s3, 0xffff
	s_movk_i32 s61, 0x80
	buffer_load_dwordx4 v[6:9], v5, s[24:27], 0 offen
	buffer_load_dwordx4 v[10:13], v5, s[24:27], s61 offen
	;; [unrolled: 1-line block ×4, first 2 shown]
	v_and_b32_e32 v5, 6, v0
	v_lshlrev_b32_e32 v4, 7, v91
	v_xor_b32_e32 v27, v93, v5
	v_and_b32_e32 v22, 1, v0
	v_lshl_or_b32 v30, v88, 3, v4
	v_lshlrev_b32_e32 v27, 2, v27
	v_lshlrev_b32_e32 v23, 2, v88
	v_or_b32_e32 v99, 0x4000, v30
	v_or_b32_e32 v100, 0x6000, v30
	v_xor_b32_e32 v30, 0x440, v27
	v_cmp_eq_u32_e32 vcc, 0, v22
	v_or_b32_e32 v25, 16, v88
	v_or_b32_e32 v26, 32, v88
	v_xor_b32_e32 v28, v91, v23
	v_xor_b32_e32 v29, v92, v23
	v_cndmask_b32_e32 v22, v30, v27, vcc
	s_mov_b32 s62, 0x1000504
	v_lshl_or_b32 v31, v25, 3, v4
	v_lshlrev_b32_e32 v25, 8, v25
	v_lshl_or_b32 v32, v26, 3, v4
	v_lshlrev_b32_e32 v28, 1, v28
	v_lshlrev_b32_e32 v29, 1, v29
	v_lshl_or_b32 v5, v5, 10, v22
	s_add_i32 s3, s47, s33
	s_mov_b32 s63, 0x3020706
	v_lshlrev_b32_e32 v24, 8, v88
	v_or_b32_e32 v103, 0x4000, v32
	v_or_b32_e32 v104, 0x6000, v32
	;; [unrolled: 1-line block ×4, first 2 shown]
	v_xor_b32_e32 v22, 8, v5
	v_xor_b32_e32 v25, 24, v5
	;; [unrolled: 1-line block ×4, first 2 shown]
	s_add_i32 s43, s3, s46
	s_add_i32 s3, s49, s48
	v_or_b32_e32 v101, 0x4000, v31
	v_or_b32_e32 v102, 0x6000, v31
	;; [unrolled: 1-line block ×4, first 2 shown]
	v_xor_b32_e32 v24, 16, v5
	v_xor_b32_e32 v27, 32, v5
	;; [unrolled: 1-line block ×3, first 2 shown]
	v_add_u32_e32 v22, 0x80, v22
	v_add_u32_e32 v25, 0x80, v25
	;; [unrolled: 1-line block ×4, first 2 shown]
	s_add_i32 s41, s3, s50
	s_lshl_b64 s[4:5], s[42:43], 2
	s_add_u32 s3, s18, s4
	s_addc_u32 s24, s19, s5
	s_lshl_b64 s[4:5], s[40:41], 2
	s_add_u32 s4, s3, s4
	s_movk_i32 s3, 0xf8
	s_addc_u32 s5, s24, s5
	s_lshl_b32 s30, s23, 7
	s_movk_i32 s28, 0x100
	v_mov_b32_e32 v79, 0
	v_lshlrev_b32_e32 v78, 4, v88
	v_cmp_gt_u32_e32 vcc, s28, v0
	v_lshlrev_b32_e32 v26, 8, v26
	s_mov_b32 s64, 0
	s_movk_i32 s26, 0x4000
	v_or_b32_e32 v109, v26, v28
	v_or_b32_e32 v110, v26, v29
	s_movk_i32 s41, 0x2000
	s_movk_i32 s43, 0x3000
	s_waitcnt vmcnt(1)
	v_perm_b32 v33, v6, v14, s62
	s_waitcnt vmcnt(0)
	v_perm_b32 v77, v10, v18, s62
	v_perm_b32 v6, v6, v14, s63
	;; [unrolled: 1-line block ×15, first 2 shown]
	ds_write2st64_b32 v5, v33, v77 offset0:128 offset1:160
	ds_write2st64_b32 v22, v6, v10 offset0:128 offset1:160
	;; [unrolled: 1-line block ×8, first 2 shown]
	v_or_b32_e32 v5, 48, v88
	v_lshl_or_b32 v6, v5, 3, v4
	v_lshlrev_b32_e32 v5, 8, v5
	v_or_b32_e32 v113, v5, v28
	v_or_b32_e32 v114, v5, v29
	;; [unrolled: 1-line block ×3, first 2 shown]
	v_lshlrev_b32_e32 v5, 3, v5
	v_lshrrev_b32_e32 v7, 5, v35
	v_and_or_b32 v7, v5, s3, v7
	v_lshlrev_b32_e32 v7, 4, v7
	v_lshlrev_b32_e32 v8, 11, v1
	v_and_b32_e32 v5, 0x78, v5
	v_or_b32_e32 v13, 32, v7
	v_or_b32_e32 v111, 0x4000, v6
	;; [unrolled: 1-line block ×3, first 2 shown]
	v_and_b32_e32 v6, 0x1000, v8
	v_xor_b32_e32 v9, v7, v5
	v_lshrrev_b32_e32 v10, 1, v0
	v_xor_b32_e32 v13, v13, v5
	v_or_b32_e32 v9, v9, v6
	v_and_b32_e32 v11, 8, v10
	v_or_b32_e32 v13, v13, v6
	v_xor_b32_e32 v115, v9, v11
	v_lshlrev_b32_e32 v9, 8, v87
	v_xor_b32_e32 v117, v13, v11
	v_or_b32_e32 v13, 64, v7
	v_or_b32_e32 v7, 0x60, v7
	s_ashr_i32 s3, s2, 31
	v_or_b32_e32 v12, v9, v23
	v_xor_b32_e32 v13, v13, v5
	v_xor_b32_e32 v5, v7, v5
	s_lshl_b64 s[24:25], s[2:3], 8
	v_lshlrev_b32_e32 v12, 1, v12
	v_or_b32_e32 v13, v13, v6
	v_or_b32_e32 v5, v5, v6
	s_add_u32 s24, s6, s24
	v_lshlrev_b32_e32 v6, 1, v88
	v_or_b32_e32 v116, 0x4000, v12
	v_or_b32_e32 v118, 0x4080, v12
	;; [unrolled: 1-line block ×8, first 2 shown]
	v_lshrrev_b32_e32 v12, 4, v0
	s_addc_u32 s25, s7, s25
	v_or_b32_e32 v7, 1, v6
	v_mov_b32_e32 v16, 0xa000
	v_mov_b32_e32 v17, 0x8000
	v_xor_b32_e32 v121, v13, v11
	v_xor_b32_e32 v13, v12, v6
	;; [unrolled: 1-line block ×3, first 2 shown]
	v_lshl_add_u64 v[6:7], s[24:25], 0, v[78:79]
	v_lshlrev_b32_e32 v78, 8, v12
	v_cndmask_b32_e32 v16, v16, v17, vcc
	v_lshlrev_b32_e32 v17, 3, v1
	v_and_b32_e32 v10, 24, v10
	v_lshl_or_b32 v127, v13, 3, v78
	v_and_b32_e32 v13, 8, v0
	v_xor_b32_e32 v18, v17, v10
	v_or_b32_e32 v19, 0x440, v18
	v_cmp_eq_u32_e32 vcc, 0, v13
	v_and_b32_e32 v12, 7, v0
	v_lshl_or_b32 v128, v14, 3, v78
	v_cndmask_b32_e32 v13, v19, v18, vcc
	v_lshlrev_b32_e32 v14, 3, v12
	v_lshlrev_b32_e32 v12, 7, v12
	v_or_b32_e32 v13, v13, v8
	v_lshlrev_b32_e32 v15, 2, v0
	v_xad_u32 v129, v13, v14, v12
	v_or_b32_e32 v13, 32, v10
	v_and_or_b32 v9, v15, 60, v9
	v_xor_b32_e32 v13, v17, v13
	v_lshlrev_b32_e32 v9, 1, v9
	v_or_b32_e32 v15, 0x440, v13
	v_or_b32_e32 v130, 0x6000, v9
	v_cndmask_b32_e32 v13, v15, v13, vcc
	v_or_b32_e32 v132, 0x6080, v9
	v_or_b32_e32 v133, 0x6100, v9
	;; [unrolled: 1-line block ×5, first 2 shown]
	v_xor_b32_e32 v9, v17, v9
	v_xad_u32 v131, v13, v14, v12
	v_xor_b32_e32 v13, 0x440, v9
	v_cndmask_b32_e32 v9, v13, v9, vcc
	v_or_b32_e32 v9, v9, v8
	v_xad_u32 v135, v9, v14, v12
	v_or_b32_e32 v9, 0x60, v10
	v_xor_b32_e32 v9, v17, v9
	v_xor_b32_e32 v10, 0x440, v9
	v_cndmask_b32_e32 v9, v10, v9, vcc
	v_xor_b32_e32 v122, v5, v11
	v_ashrrev_i32_e32 v77, 31, v76
	v_lshlrev_b32_e32 v5, 1, v3
	v_add_lshl_u32 v3, v3, s23, 1
	v_or_b32_e32 v11, 0x100, v2
	v_or_b32_e32 v8, v9, v8
	v_xad_u32 v136, v8, v14, v12
	v_cndmask_b32_e64 v137, v5, v2, s[0:1]
	v_cndmask_b32_e64 v138, v3, v11, s[0:1]
	v_lshlrev_b64 v[2:3], 1, v[76:77]
	v_lshl_add_u64 v[80:81], s[16:17], 0, v[2:3]
	v_lshl_add_u64 v[82:83], s[8:9], 0, v[2:3]
	;; [unrolled: 1-line block ×3, first 2 shown]
	s_mov_b32 s3, 0x7060302
	v_lshlrev_b32_e32 v78, 1, v4
	v_add_u32_e32 v77, v16, v129
	v_add_u32_e32 v139, v16, v131
	;; [unrolled: 1-line block ×4, first 2 shown]
	s_waitcnt lgkmcnt(0)
	s_barrier
.LBB49_6:                               ; =>This Inner Loop Header: Depth=1
	s_add_i32 s65, s64, 1
	s_cmp_lt_i32 s65, s53
	s_mov_b64 s[28:29], 0
	s_cselect_b64 s[44:45], -1, 0
	s_cmp_ge_i32 s65, s53
	s_mov_b64 s[24:25], 0
	s_cbranch_scc1 .LBB49_8
; %bb.7:                                ;   in Loop: Header=BB49_6 Depth=1
	s_add_i32 s0, s59, 64
	s_ashr_i32 s1, s0, 31
	s_add_u32 s0, s57, s0
	s_addc_u32 s1, s56, s1
	s_lshl_b64 s[0:1], s[0:1], 8
	s_add_u32 s24, s14, s0
	s_addc_u32 s25, s15, s1
.LBB49_8:                               ;   in Loop: Header=BB49_6 Depth=1
	v_cndmask_b32_e64 v2, 0, 1, s[44:45]
	v_cmp_ne_u32_e64 s[0:1], 1, v2
	s_andn2_b64 vcc, exec, s[44:45]
	s_cbranch_vccnz .LBB49_10
; %bb.9:                                ;   in Loop: Header=BB49_6 Depth=1
	s_add_i32 s28, s59, 64
	s_mul_hi_i32 s29, s28, s22
	s_mul_i32 s28, s28, s22
	s_add_u32 s28, s28, s55
	s_addc_u32 s29, s29, s60
	s_lshl_b64 s[28:29], s[28:29], 8
	s_add_u32 s28, s12, s28
	s_addc_u32 s29, s13, s29
.LBB49_10:                              ;   in Loop: Header=BB49_6 Depth=1
	v_perm_b32 v3, v75, v74, s3
	v_perm_b32 v2, v71, v70, s3
	v_perm_b32 v5, v73, v72, s3
	v_perm_b32 v4, v69, v68, s3
	ds_write_b64 v99, v[2:3]
	ds_write_b64 v100, v[4:5]
	ds_write_b64 v105, v[2:3]
	ds_write_b64 v106, v[4:5]
	v_perm_b32 v3, v67, v66, s3
	v_perm_b32 v2, v63, v62, s3
	v_perm_b32 v5, v65, v64, s3
	v_perm_b32 v4, v61, v60, s3
	ds_write_b64 v101, v[2:3]
	ds_write_b64 v102, v[4:5]
	ds_write_b64 v107, v[2:3]
	ds_write_b64 v108, v[4:5]
	;; [unrolled: 8-line block ×4, first 2 shown]
	s_waitcnt lgkmcnt(0)
	s_barrier
	ds_read_b64 v[6:7], v115 offset:49152
	ds_read2_b64 v[2:5], v116 offset1:16
	ds_read_b64 v[18:19], v118 offset:6144
	ds_read_b64 v[20:21], v116 offset:6144
	s_waitcnt lgkmcnt(2)
	v_mfma_f32_16x16x16_bf16 a[0:3], v[6:7], v[2:3], 0
	ds_read_b64 v[22:23], v117 offset:49152
	ds_read2st64_b64 v[10:13], v119 offset0:4 offset1:8
	ds_read2st64_b64 v[14:17], v120 offset0:4 offset1:8
	v_mfma_f32_16x16x16_bf16 a[4:7], v[6:7], v[4:5], 0
	ds_read2_b64 v[2:5], v116 offset0:32 offset1:48
	s_add_i32 s31, s59, 63
	s_ashr_i32 s44, s31, 31
	s_waitcnt lgkmcnt(0)
	v_mfma_f32_16x16x16_bf16 a[8:11], v[6:7], v[2:3], 0
	s_mul_i32 s45, s31, s37
	s_mul_hi_u32 s66, s31, s36
	s_add_i32 s45, s66, s45
	v_mfma_f32_16x16x16_bf16 a[12:15], v[6:7], v[4:5], 0
	ds_read2st64_b64 v[2:5], v116 offset0:4 offset1:8
	ds_read2st64_b64 v[6:9], v118 offset0:4 offset1:8
	s_mul_i32 s44, s44, s36
	s_waitcnt lgkmcnt(1)
	v_mfma_f32_16x16x16_bf16 a[0:3], v[22:23], v[2:3], a[0:3]
	s_add_i32 s45, s45, s44
	s_mul_i32 s44, s31, s36
	s_lshl_b64 s[44:45], s[44:45], 2
	s_waitcnt lgkmcnt(0)
	v_mfma_f32_16x16x16_bf16 a[4:7], v[22:23], v[6:7], a[4:7]
	s_add_u32 s44, s4, s44
	s_addc_u32 s45, s5, s45
	s_and_b64 vcc, exec, s[0:1]
	v_mfma_f32_16x16x16_bf16 a[8:11], v[22:23], v[10:11], a[8:11]
	ds_read_b64 v[2:3], v121 offset:49152
	ds_read_b64 v[6:7], v122 offset:49152
	;; [unrolled: 1-line block ×3, first 2 shown]
	v_mov_b32_e32 v144, 0
	v_mov_b32_e32 v143, 0
	v_mfma_f32_16x16x16_bf16 a[12:15], v[22:23], v[14:15], a[12:15]
	v_mov_b32_e32 v142, 0
	v_mov_b32_e32 v14, 0
	v_mov_b32_e32 v15, 0
	s_waitcnt lgkmcnt(2)
	v_mfma_f32_16x16x16_bf16 a[0:3], v[2:3], v[4:5], a[0:3]
	v_mov_b32_e32 v4, 0
	v_mov_b32_e32 v5, 0
	v_mfma_f32_16x16x16_bf16 a[16:19], v[2:3], v[8:9], a[4:7]
	v_mov_b32_e32 v8, 0
	v_mov_b32_e32 v9, 0
	;; [unrolled: 3-line block ×3, first 2 shown]
	v_mfma_f32_16x16x16_bf16 a[24:27], v[2:3], v[16:17], a[12:15]
	ds_read_b64 v[2:3], v119 offset:6144
	v_mov_b32_e32 v16, 0
	v_mov_b32_e32 v17, 0
	s_waitcnt lgkmcnt(2)
	v_mfma_f32_16x16x16_bf16 a[4:7], v[6:7], v[20:21], a[0:3]
	v_mfma_f32_16x16x16_bf16 a[8:11], v[6:7], v[18:19], a[16:19]
	s_waitcnt lgkmcnt(0)
	v_mfma_f32_16x16x16_bf16 a[12:15], v[6:7], v[2:3], a[20:23]
	v_mov_b32_e32 v2, 0
	v_mov_b32_e32 v3, 0
	v_mfma_f32_16x16x16_bf16 a[0:3], v[6:7], v[10:11], a[24:27]
	v_mov_b32_e32 v6, 0
	v_mov_b32_e32 v7, 0
	;; [unrolled: 1-line block ×4, first 2 shown]
	s_cbranch_vccnz .LBB49_12
; %bb.11:                               ;   in Loop: Header=BB49_6 Depth=1
	s_and_b32 s25, s25, 0xffff
	buffer_load_dwordx4 v[14:17], v95, s[24:27], 0 offen
	buffer_load_dwordx4 v[10:13], v95, s[24:27], s61 offen
	;; [unrolled: 1-line block ×4, first 2 shown]
	v_mov_b32_e32 v143, v97
	v_mov_b32_e32 v142, v98
.LBB49_12:                              ;   in Loop: Header=BB49_6 Depth=1
	ds_read_b64 v[30:31], v115 offset:57344
	ds_read2_b64 v[18:21], v123 offset1:16
	ds_read_b64 v[146:147], v117 offset:57344
	ds_read_b64 v[148:149], v121 offset:57344
	;; [unrolled: 1-line block ×3, first 2 shown]
	v_add_u32_e32 v32, s59, v91
	s_waitcnt lgkmcnt(3)
	v_mfma_f32_16x16x16_bf16 a[4:7], v[30:31], v[18:19], a[4:7]
	v_mfma_f32_16x16x16_bf16 a[8:11], v[30:31], v[20:21], a[8:11]
	ds_read2_b64 v[18:21], v123 offset0:32 offset1:48
	ds_read2st64_b64 v[22:25], v123 offset0:4 offset1:8
	ds_read2st64_b64 v[26:29], v124 offset0:4 offset1:8
	s_waitcnt lgkmcnt(2)
	v_mfma_f32_16x16x16_bf16 a[12:15], v[30:31], v[18:19], a[12:15]
	v_ashrrev_i32_e32 v18, 31, v32
	v_mul_lo_u32 v33, v18, s36
	v_mad_u64_u32 v[18:19], s[24:25], v32, s36, 0
	v_mfma_f32_16x16x16_bf16 a[0:3], v[30:31], v[20:21], a[0:3]
	v_mul_lo_u32 v20, v32, s37
	v_add3_u32 v19, v19, v20, v33
	v_add_u32_e32 v20, 1, v32
	v_ashrrev_i32_e32 v21, 31, v20
	s_waitcnt lgkmcnt(1)
	v_mfma_f32_16x16x16_bf16 a[4:7], v[146:147], v[22:23], a[4:7]
	v_mul_lo_u32 v22, v21, s36
	v_mul_lo_u32 v23, v20, s37
	v_mad_u64_u32 v[20:21], s[24:25], v20, s36, 0
	v_add3_u32 v21, v21, v23, v22
	v_add_u32_e32 v22, 2, v32
	v_ashrrev_i32_e32 v23, 31, v22
	v_mul_lo_u32 v30, v23, s36
	v_mul_lo_u32 v31, v22, s37
	v_mad_u64_u32 v[22:23], s[24:25], v22, s36, 0
	v_add3_u32 v23, v23, v31, v30
	v_add_u32_e32 v30, 3, v32
	v_ashrrev_i32_e32 v31, 31, v30
	v_mul_lo_u32 v32, v31, s36
	v_mul_lo_u32 v33, v30, s37
	v_mad_u64_u32 v[30:31], s[24:25], v30, s36, 0
	s_ashr_i32 s25, s59, 31
	s_add_u32 s24, s57, s59
	s_addc_u32 s25, s56, s25
	v_lshl_add_u64 v[18:19], v[18:19], 2, s[4:5]
	v_add3_u32 v31, v31, v33, v32
	s_lshl_b64 s[24:25], s[24:25], 8
	v_lshl_add_u64 v[20:21], v[20:21], 2, s[4:5]
	v_lshl_add_u64 v[22:23], v[22:23], 2, s[4:5]
	;; [unrolled: 1-line block ×3, first 2 shown]
	global_load_dword v145, v[18:19], off
	global_load_dword v152, v[20:21], off
	;; [unrolled: 1-line block ×4, first 2 shown]
	v_lshl_add_u64 v[18:19], v[80:81], 0, s[24:25]
	v_lshl_add_u64 v[22:23], v[18:19], 0, v[78:79]
	global_load_ushort v155, v[22:23], off offset:256
	global_load_ushort v156, v[22:23], off
	ds_read2st64_b64 v[18:21], v125 offset0:4 offset1:8
	global_load_ushort v157, v[22:23], off offset:768
	global_load_ushort v158, v[22:23], off offset:512
	ds_read2st64_b64 v[30:33], v126 offset0:4 offset1:8
	global_load_ushort v159, v[22:23], off offset:288
	global_load_ushort v160, v[22:23], off offset:32
	;; [unrolled: 1-line block ×4, first 2 shown]
	s_waitcnt lgkmcnt(2)
	v_mfma_f32_16x16x16_bf16 a[8:11], v[146:147], v[26:27], a[8:11]
	global_load_ushort v163, v[22:23], off offset:320
	global_load_ushort v164, v[22:23], off offset:64
	;; [unrolled: 1-line block ×4, first 2 shown]
	s_and_b64 vcc, exec, s[0:1]
	s_waitcnt lgkmcnt(1)
	v_mfma_f32_16x16x16_bf16 a[12:15], v[146:147], v[18:19], a[12:15]
	ds_read_b64 v[18:19], v123 offset:6144
	s_waitcnt lgkmcnt(1)
	v_mfma_f32_16x16x16_bf16 a[0:3], v[146:147], v[30:31], a[0:3]
	v_lshl_add_u64 v[30:31], v[82:83], 0, s[24:25]
	v_lshl_add_u64 v[30:31], v[30:31], 0, v[78:79]
	v_mfma_f32_16x16x16_bf16 a[4:7], v[148:149], v[24:25], a[4:7]
	v_mfma_f32_16x16x16_bf16 a[8:11], v[148:149], v[28:29], a[8:11]
	;; [unrolled: 1-line block ×4, first 2 shown]
	global_load_ushort v148, v[22:23], off offset:352
	global_load_ushort v149, v[22:23], off offset:96
	ds_read_b64 v[20:21], v124 offset:6144
	ds_read_b64 v[24:25], v125 offset:6144
	;; [unrolled: 1-line block ×3, first 2 shown]
	s_load_dword s44, s[44:45], 0x0
	global_load_ushort v167, v[22:23], off offset:864
	global_load_ushort v168, v[22:23], off offset:608
	s_waitcnt lgkmcnt(0)
	v_mfma_f32_16x16x16_bf16 a[4:7], v[150:151], v[18:19], a[4:7]
	s_waitcnt vmcnt(17)
	v_sub_f32_e32 v28, s44, v153
	v_mfma_f32_16x16x16_bf16 a[0:3], v[150:151], v[26:27], a[0:3]
	v_sub_f32_e32 v26, s44, v145
	v_sub_f32_e32 v27, s44, v152
	s_waitcnt vmcnt(16)
	v_sub_f32_e32 v29, s44, v154
	v_mfma_f32_16x16x16_bf16 a[8:11], v[150:151], v[20:21], a[8:11]
	v_exp_f32_e32 v26, v26
	v_exp_f32_e32 v27, v27
	;; [unrolled: 1-line block ×4, first 2 shown]
	v_accvgpr_read_b32 v147, a5
	s_waitcnt vmcnt(15)
	v_lshlrev_b32_e32 v33, 16, v155
	s_waitcnt vmcnt(14)
	v_lshlrev_b32_e32 v32, 16, v156
	v_accvgpr_read_b32 v146, a4
	v_accvgpr_read_b32 v19, a7
	;; [unrolled: 1-line block ×3, first 2 shown]
	v_pk_add_f32 v[32:33], v[32:33], v[146:147] neg_lo:[0,1] neg_hi:[0,1]
	s_waitcnt vmcnt(13)
	v_lshlrev_b32_e32 v147, 16, v157
	s_waitcnt vmcnt(12)
	v_lshlrev_b32_e32 v146, 16, v158
	v_pk_add_f32 v[18:19], v[146:147], v[18:19] neg_lo:[0,1] neg_hi:[0,1]
	global_store_short_d16_hi v[30:31], v32, off
	global_store_short_d16_hi v[30:31], v33, off offset:256
	global_store_short_d16_hi v[30:31], v18, off offset:512
	;; [unrolled: 1-line block ×3, first 2 shown]
	v_pk_mul_f32 v[32:33], v[26:27], v[32:33]
	v_pk_mul_f32 v[18:19], v[28:29], v[18:19]
	v_accvgpr_read_b32 v147, a9
	v_perm_b32 v32, v33, v32, s3
	v_perm_b32 v33, v19, v18, s3
	s_waitcnt vmcnt(15)
	v_lshlrev_b32_e32 v19, 16, v159
	s_waitcnt vmcnt(14)
	v_lshlrev_b32_e32 v18, 16, v160
	v_accvgpr_read_b32 v146, a8
	v_accvgpr_read_b32 v21, a11
	v_mfma_f32_16x16x16_bf16 a[12:15], v[150:151], v[24:25], a[12:15]
	v_accvgpr_read_b32 v20, a10
	v_pk_add_f32 v[18:19], v[18:19], v[146:147] neg_lo:[0,1] neg_hi:[0,1]
	s_waitcnt vmcnt(13)
	v_lshlrev_b32_e32 v147, 16, v161
	s_waitcnt vmcnt(12)
	v_lshlrev_b32_e32 v146, 16, v162
	v_pk_add_f32 v[20:21], v[146:147], v[20:21] neg_lo:[0,1] neg_hi:[0,1]
	global_store_short_d16_hi v[30:31], v18, off offset:32
	global_store_short_d16_hi v[30:31], v19, off offset:288
	;; [unrolled: 1-line block ×4, first 2 shown]
	v_pk_mul_f32 v[18:19], v[26:27], v[18:19]
	v_pk_mul_f32 v[20:21], v[28:29], v[20:21]
	v_accvgpr_read_b32 v23, a15
	v_perm_b32 v21, v21, v20, s3
	v_perm_b32 v20, v19, v18, s3
	ds_write2_b64 v100, v[32:33], v[20:21] offset1:16
	v_accvgpr_read_b32 v21, a13
	s_waitcnt vmcnt(15)
	v_lshlrev_b32_e32 v19, 16, v163
	s_waitcnt vmcnt(14)
	v_lshlrev_b32_e32 v18, 16, v164
	v_accvgpr_read_b32 v20, a12
	v_accvgpr_read_b32 v22, a14
	v_pk_add_f32 v[18:19], v[18:19], v[20:21] neg_lo:[0,1] neg_hi:[0,1]
	s_waitcnt vmcnt(13)
	v_lshlrev_b32_e32 v21, 16, v165
	s_waitcnt vmcnt(12)
	v_lshlrev_b32_e32 v20, 16, v166
	v_pk_add_f32 v[20:21], v[20:21], v[22:23] neg_lo:[0,1] neg_hi:[0,1]
	global_store_short_d16_hi v[30:31], v18, off offset:64
	global_store_short_d16_hi v[30:31], v19, off offset:320
	;; [unrolled: 1-line block ×4, first 2 shown]
	v_pk_mul_f32 v[18:19], v[26:27], v[18:19]
	v_pk_mul_f32 v[20:21], v[28:29], v[20:21]
	v_accvgpr_read_b32 v23, a1
	v_perm_b32 v18, v19, v18, s3
	v_perm_b32 v19, v21, v20, s3
	s_waitcnt vmcnt(15)
	v_lshlrev_b32_e32 v21, 16, v148
	s_waitcnt vmcnt(14)
	v_lshlrev_b32_e32 v20, 16, v149
	v_accvgpr_read_b32 v22, a0
	v_accvgpr_read_b32 v25, a3
	v_accvgpr_read_b32 v24, a2
	v_pk_add_f32 v[20:21], v[20:21], v[22:23] neg_lo:[0,1] neg_hi:[0,1]
	s_waitcnt vmcnt(13)
	v_lshlrev_b32_e32 v23, 16, v167
	s_waitcnt vmcnt(12)
	v_lshlrev_b32_e32 v22, 16, v168
	v_pk_add_f32 v[22:23], v[22:23], v[24:25] neg_lo:[0,1] neg_hi:[0,1]
	global_store_short_d16_hi v[30:31], v20, off offset:96
	global_store_short_d16_hi v[30:31], v21, off offset:352
	;; [unrolled: 1-line block ×4, first 2 shown]
	v_pk_mul_f32 v[20:21], v[26:27], v[20:21]
	v_pk_mul_f32 v[22:23], v[28:29], v[22:23]
	v_mov_b32_e32 v145, 0
	v_perm_b32 v23, v23, v22, s3
	v_perm_b32 v22, v21, v20, s3
	ds_write2_b64 v100, v[18:19], v[22:23] offset0:32 offset1:48
	v_mov_b32_e32 v18, 0
	v_mov_b32_e32 v19, 0
	;; [unrolled: 1-line block ×16, first 2 shown]
	s_cbranch_vccnz .LBB49_14
; %bb.13:                               ;   in Loop: Header=BB49_6 Depth=1
	s_and_b32 s29, s29, 0xffff
	s_mov_b32 s31, s27
	buffer_load_dwordx4 v[30:33], v137, s[28:31], 0 offen
	buffer_load_dwordx4 v[22:25], v137, s[28:31], s61 offen
	;; [unrolled: 1-line block ×4, first 2 shown]
	v_mov_b32_e32 v144, v94
	v_mov_b32_e32 v145, v93
.LBB49_14:                              ;   in Loop: Header=BB49_6 Depth=1
	s_waitcnt lgkmcnt(0)
	s_barrier
	ds_read_b64 v[154:155], v77
	ds_read2_b64 v[146:149], v130 offset1:16
	ds_read_b64 v[170:171], v139
	ds_read_b64 v[172:173], v140
	;; [unrolled: 1-line block ×3, first 2 shown]
	ds_read2_b64 v[150:153], v130 offset0:32 offset1:48
	s_waitcnt lgkmcnt(4)
	v_mfma_f32_16x16x16_bf16 a[0:3], v[154:155], v[146:147], 0
	ds_read2st64_b64 v[158:161], v132 offset0:4 offset1:8
	ds_read2st64_b64 v[162:165], v133 offset0:4 offset1:8
	;; [unrolled: 1-line block ×3, first 2 shown]
	v_mfma_f32_16x16x16_bf16 a[4:7], v[154:155], v[148:149], 0
	s_add_i32 s24, s58, s64
	s_mul_hi_i32 s25, s24, s21
	s_mul_i32 s24, s24, s21
	s_waitcnt lgkmcnt(3)
	v_mfma_f32_16x16x16_bf16 a[8:11], v[154:155], v[150:151], 0
	s_add_u32 s24, s24, s51
	s_addc_u32 s25, s25, s52
	s_lshl_b64 s[24:25], s[24:25], 15
	v_mfma_f32_16x16x16_bf16 a[12:15], v[154:155], v[152:153], 0
	ds_read2st64_b64 v[154:157], v130 offset0:4 offset1:8
	s_waitcnt lgkmcnt(0)
	v_mfma_f32_16x16x16_bf16 a[0:3], v[170:171], v[154:155], a[0:3]
	v_mfma_f32_16x16x16_bf16 a[4:7], v[170:171], v[158:159], a[4:7]
	;; [unrolled: 1-line block ×8, first 2 shown]
	ds_read_b64 v[170:171], v130 offset:6144
	ds_read_b64 v[172:173], v131 offset:40960
	;; [unrolled: 1-line block ×8, first 2 shown]
	s_waitcnt lgkmcnt(5)
	v_mfma_f32_16x16x16_bf16 a[16:19], v[176:177], v[146:147], 0
	v_mfma_f32_16x16x16_bf16 a[20:23], v[176:177], v[148:149], 0
	ds_read2st64_b64 v[146:149], v127 offset1:8
	v_mfma_f32_16x16x16_bf16 a[24:27], v[176:177], v[150:151], 0
	v_mfma_f32_16x16x16_bf16 a[28:31], v[176:177], v[152:153], 0
	ds_read2st64_b64 v[150:153], v128 offset1:8
	v_mfma_f32_16x16x16_bf16 a[16:19], v[172:173], v[154:155], a[16:19]
	s_waitcnt lgkmcnt(1)
	v_mov_b32_e32 v154, v146
	v_mov_b32_e32 v155, v147
	v_mfma_f32_16x16x16_bf16 a[20:23], v[172:173], v[158:159], a[20:23]
	v_lshl_add_u64 v[158:159], v[84:85], 0, s[24:25]
	v_mfma_f32_16x16x16_bf16 a[24:27], v[172:173], v[162:163], a[24:27]
	v_mfma_f32_16x16x16_bf16 a[28:31], v[172:173], v[166:167], a[28:31]
	;; [unrolled: 1-line block ×3, first 2 shown]
	s_waitcnt lgkmcnt(0)
	v_mov_b32_e32 v156, v150
	v_mov_b32_e32 v157, v151
	;; [unrolled: 1-line block ×3, first 2 shown]
	v_mfma_f32_16x16x16_bf16 a[32:35], v[184:185], v[160:161], a[20:23]
	v_mov_b32_e32 v151, v149
	ds_read2st64_b64 v[146:149], v127 offset0:16 offset1:24
	global_store_dwordx4 v[158:159], v[154:157], off
	v_mfma_f32_16x16x16_bf16 a[24:27], v[184:185], v[164:165], a[24:27]
	ds_read2st64_b64 v[154:157], v128 offset0:16 offset1:24
	v_add_co_u32_e32 v160, vcc, s41, v158
	v_mfma_f32_16x16x16_bf16 a[28:31], v[184:185], v[168:169], a[28:31]
	s_nop 0
	v_addc_co_u32_e32 v161, vcc, 0, v159, vcc
	global_store_dwordx4 v[160:161], v[150:153], off offset:-4096
	v_mfma_f32_16x16x16_bf16 a[0:3], v[174:175], v[170:171], a[0:3]
	s_waitcnt lgkmcnt(1)
	v_mov_b32_e32 v150, v146
	v_add_co_u32_e32 v146, vcc, s43, v158
	v_mfma_f32_16x16x16_bf16 a[4:7], v[174:175], v[178:179], a[4:7]
	v_mov_b32_e32 v151, v147
	v_addc_co_u32_e32 v147, vcc, 0, v159, vcc
	v_mfma_f32_16x16x16_bf16 a[8:11], v[174:175], v[180:181], a[8:11]
	s_waitcnt lgkmcnt(0)
	v_mov_b32_e32 v152, v154
	v_mov_b32_e32 v153, v155
	v_mov_b32_e32 v154, v148
	v_mfma_f32_16x16x16_bf16 a[12:15], v[174:175], v[182:183], a[12:15]
	v_mov_b32_e32 v155, v149
	s_and_b64 vcc, exec, s[0:1]
	global_store_dwordx4 v[160:161], v[150:153], off
	v_mfma_f32_16x16x16_bf16 a[20:23], v[186:187], v[170:171], a[16:19]
	global_store_dwordx4 v[146:147], v[154:157], off
	v_mfma_f32_16x16x16_bf16 a[16:19], v[186:187], v[178:179], a[32:35]
	v_mfma_f32_16x16x16_bf16 a[24:27], v[186:187], v[180:181], a[24:27]
	;; [unrolled: 1-line block ×3, first 2 shown]
	s_cbranch_vccnz .LBB49_16
; %bb.15:                               ;   in Loop: Header=BB49_6 Depth=1
	v_lshrrev_b32_e32 v146, 3, v144
	v_and_b32_e32 v146, 6, v146
	v_xor_b32_e32 v145, v146, v145
	v_lshlrev_b32_e32 v145, 2, v145
	v_and_b32_e32 v144, 8, v144
	v_xor_b32_e32 v147, 0x440, v145
	v_cmp_eq_u32_e32 vcc, 0, v144
	s_barrier
	s_nop 0
	v_cndmask_b32_e32 v144, v147, v145, vcc
	v_lshl_or_b32 v144, v146, 10, v144
	s_waitcnt vmcnt(5)
	v_perm_b32 v145, v30, v26, s62
	s_waitcnt vmcnt(4)
	v_perm_b32 v146, v22, v18, s62
	ds_write2st64_b32 v144, v145, v146 offset0:128 offset1:160
	v_xor_b32_e32 v145, 8, v144
	v_perm_b32 v26, v30, v26, s63
	v_perm_b32 v18, v22, v18, s63
	v_add_u32_e32 v22, 0x80, v145
	ds_write2st64_b32 v22, v26, v18 offset0:128 offset1:160
	v_xor_b32_e32 v18, 16, v144
	v_perm_b32 v22, v31, v27, s62
	v_perm_b32 v26, v23, v19, s62
	ds_write2st64_b32 v18, v22, v26 offset0:129 offset1:161
	v_xor_b32_e32 v18, 24, v144
	v_perm_b32 v22, v31, v27, s63
	v_perm_b32 v19, v23, v19, s63
	v_add_u32_e32 v18, 0x80, v18
	ds_write2st64_b32 v18, v22, v19 offset0:129 offset1:161
	v_xor_b32_e32 v18, 32, v144
	v_perm_b32 v19, v32, v28, s62
	;; [unrolled: 9-line block ×3, first 2 shown]
	v_perm_b32 v20, v25, v21, s62
	ds_write2st64_b32 v18, v19, v20 offset0:131 offset1:163
	v_xor_b32_e32 v18, 56, v144
	v_perm_b32 v19, v33, v29, s63
	v_perm_b32 v20, v25, v21, s63
	v_add_u32_e32 v18, 0x80, v18
	ds_write2st64_b32 v18, v19, v20 offset0:131 offset1:163
	ds_write_b64 v143, v[14:15] offset:49152
	v_xor_b32_e32 v14, 8, v143
	ds_write_b64 v14, v[16:17] offset:49152
	ds_write_b64 v143, v[10:11] offset:57344
	;; [unrolled: 1-line block ×4, first 2 shown]
	v_xor_b32_e32 v6, 8, v142
	ds_write_b64 v6, v[8:9] offset:49152
	ds_write_b64 v142, v[2:3] offset:57344
	;; [unrolled: 1-line block ×3, first 2 shown]
.LBB49_16:                              ;   in Loop: Header=BB49_6 Depth=1
	v_exp_f32_e32 v142, s44
	v_accvgpr_read_b32 v5, a3
	v_accvgpr_read_b32 v9, a7
	v_accvgpr_read_b32 v13, a11
	v_accvgpr_read_b32 v17, a15
	s_waitcnt vmcnt(4)
	v_accvgpr_read_b32 v18, a20
	v_accvgpr_read_b32 v25, a19
	;; [unrolled: 1-line block ×28, first 2 shown]
	s_add_i32 s59, s59, 64
	v_pk_fma_f32 v[70:71], v[70:71], v[142:143], v[2:3] op_sel_hi:[1,0,1]
	v_pk_fma_f32 v[74:75], v[74:75], v[142:143], v[4:5] op_sel_hi:[1,0,1]
	;; [unrolled: 1-line block ×15, first 2 shown]
	s_cmp_eq_u32 s53, s65
	v_pk_fma_f32 v[48:49], v[48:49], v[142:143], v[32:33] op_sel_hi:[1,0,1]
	s_cbranch_scc1 .LBB49_18
; %bb.17:                               ;   in Loop: Header=BB49_6 Depth=1
	s_mov_b32 s64, s65
	s_branch .LBB49_6
.LBB49_18:
	s_lshl_b32 s30, s53, 6
	s_sub_i32 s31, s54, s30
	s_cmp_gt_i32 s31, 0
	s_cbranch_scc0 .LBB49_99
; %bb.19:
	s_add_i32 s30, s30, s38
	s_ashr_i32 s3, s30, 31
	s_cmpk_lg_i32 s23, 0x80
	s_cselect_b64 s[26:27], -1, 0
	s_and_b64 vcc, exec, s[26:27]
	s_cbranch_vccz .LBB49_21
; %bb.20:
	s_mul_i32 s1, s30, s22
	s_ashr_i32 s4, s55, 31
	s_mul_hi_i32 s0, s30, s22
	s_add_u32 s28, s1, s55
	s_addc_u32 s29, s0, s4
	s_cbranch_execz .LBB49_22
	s_branch .LBB49_23
.LBB49_21:
                                        ; implicit-def: $sgpr28_sgpr29
.LBB49_22:
	s_mul_i32 s1, s55, s20
	s_mul_hi_i32 s0, s55, s20
	s_add_u32 s28, s1, s30
	s_addc_u32 s29, s0, s3
.LBB49_23:
	s_add_i32 s4, s53, s58
	s_add_u32 s0, s57, s30
	v_lshlrev_b32_e32 v6, 6, v91
	v_lshlrev_b32_e32 v24, 2, v88
	s_addc_u32 s1, s56, s3
	s_mov_b32 s3, 0x7060302
	v_or_b32_e32 v9, v6, v24
	v_xor_b32_e32 v7, v91, v24
	v_perm_b32 v3, v75, v74, s3
	v_perm_b32 v2, v71, v70, s3
	;; [unrolled: 1-line block ×4, first 2 shown]
	v_lshlrev_b32_e32 v9, 1, v9
	v_xor_b32_e32 v8, v92, v24
	ds_write2st64_b64 v9, v[2:3], v[4:5] offset0:32 offset1:48
	v_lshlrev_b32_e32 v7, 1, v7
	v_lshlrev_b32_e32 v9, 8, v88
	v_or_b32_e32 v10, v7, v9
	v_lshlrev_b32_e32 v8, 1, v8
	ds_write_b64 v10, v[2:3]
	v_or_b32_e32 v2, v8, v9
	v_or_b32_e32 v9, 16, v88
	v_lshlrev_b32_e32 v23, 2, v9
	v_or_b32_e32 v10, v6, v23
	ds_write_b64 v2, v[4:5]
	v_perm_b32 v3, v67, v66, s3
	v_perm_b32 v2, v63, v62, s3
	;; [unrolled: 1-line block ×4, first 2 shown]
	v_lshlrev_b32_e32 v10, 1, v10
	v_lshlrev_b32_e32 v9, 8, v9
	ds_write2st64_b64 v10, v[2:3], v[4:5] offset0:32 offset1:48
	v_or_b32_e32 v10, v7, v9
	ds_write_b64 v10, v[2:3]
	v_or_b32_e32 v2, v8, v9
	v_or_b32_e32 v9, 32, v88
	v_lshlrev_b32_e32 v22, 2, v9
	v_or_b32_e32 v10, v6, v22
	ds_write_b64 v2, v[4:5]
	v_perm_b32 v3, v59, v58, s3
	v_perm_b32 v2, v55, v54, s3
	;; [unrolled: 1-line block ×4, first 2 shown]
	v_lshlrev_b32_e32 v10, 1, v10
	v_lshlrev_b32_e32 v9, 8, v9
	s_lshl_b64 s[24:25], s[0:1], 8
	ds_write2st64_b64 v10, v[2:3], v[4:5] offset0:32 offset1:48
	v_or_b32_e32 v10, v7, v9
	s_add_u32 s0, s14, s24
	ds_write_b64 v10, v[2:3]
	v_or_b32_e32 v2, v8, v9
	s_addc_u32 s1, s15, s25
	ds_write_b64 v2, v[4:5]
	v_perm_b32 v3, v53, v52, s3
	v_perm_b32 v2, v47, v46, s3
	;; [unrolled: 1-line block ×4, first 2 shown]
	v_or_b32_e32 v9, 48, v88
	s_mul_hi_i32 s3, s4, s21
	s_mul_i32 s4, s4, s21
	v_lshlrev_b32_e32 v19, 2, v9
	s_add_u32 s4, s4, s51
	v_or_b32_e32 v6, v6, v19
	s_addc_u32 s5, s3, s52
	v_lshlrev_b32_e32 v6, 1, v6
	s_ashr_i32 s3, s2, 31
	s_lshl_b64 s[4:5], s[4:5], 15
	ds_write2st64_b64 v6, v[2:3], v[4:5] offset0:32 offset1:48
	v_lshlrev_b32_e32 v6, 8, v9
	s_add_u32 s4, s6, s4
	v_or_b32_e32 v7, v7, v6
	s_addc_u32 s5, s7, s5
	s_lshl_b64 s[2:3], s[2:3], 8
	ds_write_b64 v7, v[2:3]
	v_or_b32_e32 v2, v8, v6
	s_add_u32 s2, s4, s2
	v_lshlrev_b32_e32 v3, 1, v88
	ds_write_b64 v2, v[4:5]
	v_lshrrev_b32_e32 v2, 4, v0
	s_addc_u32 s3, s5, s3
	v_or_b32_e32 v4, 1, v3
	v_lshlrev_b32_e32 v10, 4, v88
	v_mov_b32_e32 v11, 0
	v_xor_b32_e32 v3, v2, v3
	v_xor_b32_e32 v6, v4, v2
	v_lshl_add_u64 v[12:13], s[2:3], 0, v[10:11]
	v_lshlrev_b32_e32 v10, 8, v2
	v_lshl_or_b32 v16, v3, 3, v10
	v_lshl_or_b32 v17, v6, 3, v10
	s_waitcnt lgkmcnt(0)
	s_barrier
	ds_read2st64_b64 v[2:5], v16 offset1:8
	ds_read2st64_b64 v[6:9], v17 offset1:8
	v_lshl_add_u64 v[14:15], v[12:13], 0, v[10:11]
	s_movk_i32 s2, 0x2000
	s_cmp_lg_u32 s31, 64
	s_waitcnt lgkmcnt(1)
	v_mov_b32_e32 v10, v2
	v_mov_b32_e32 v11, v3
	s_waitcnt lgkmcnt(0)
	v_mov_b32_e32 v12, v6
	v_mov_b32_e32 v13, v7
	global_store_dwordx4 v[14:15], v[10:13], off
	v_mov_b32_e32 v6, v4
	v_mov_b32_e32 v7, v5
	ds_read2st64_b64 v[2:5], v16 offset0:16 offset1:24
	ds_read2st64_b64 v[10:13], v17 offset0:16 offset1:24
	v_add_co_u32_e32 v16, vcc, s2, v14
	s_cselect_b64 s[14:15], -1, 0
	s_nop 0
	v_addc_co_u32_e32 v17, vcc, 0, v15, vcc
	global_store_dwordx4 v[16:17], v[6:9], off offset:-4096
	v_lshl_or_b32 v30, v1, 3, v90
	s_mov_b32 s4, 0
	s_waitcnt lgkmcnt(1)
	v_mov_b32_e32 v6, v2
	v_add_co_u32_e32 v2, vcc, 0x3000, v14
	v_mov_b32_e32 v7, v3
	s_nop 0
	v_addc_co_u32_e32 v3, vcc, 0, v15, vcc
	s_waitcnt lgkmcnt(0)
	v_mov_b32_e32 v8, v10
	v_mov_b32_e32 v9, v11
	;; [unrolled: 1-line block ×4, first 2 shown]
	v_or_b32_e32 v20, 32, v30
	v_and_b32_e32 v18, 56, v89
	s_and_b64 vcc, exec, s[14:15]
	global_store_dwordx4 v[16:17], v[6:9], off
	global_store_dwordx4 v[2:3], v[10:13], off
	s_cbranch_vccz .LBB49_29
; %bb.24:
	s_mov_b32 s6, s4
	s_mov_b32 s7, s4
	;; [unrolled: 1-line block ×3, first 2 shown]
	v_mov_b64_e32 v[8:9], s[6:7]
	v_mov_b64_e32 v[6:7], s[4:5]
	;; [unrolled: 1-line block ×3, first 2 shown]
	v_cmp_gt_i32_e32 vcc, s31, v30
	v_mov_b64_e32 v[4:5], v[8:9]
	s_and_saveexec_b64 s[2:3], vcc
	s_cbranch_execz .LBB49_26
; %bb.25:
	v_lshlrev_b32_e32 v2, 8, v30
	v_mov_b32_e32 v3, 0
	v_lshl_add_u64 v[4:5], s[0:1], 0, v[2:3]
	v_lshlrev_b32_e32 v2, 1, v18
	v_lshl_add_u64 v[10:11], v[4:5], 0, v[2:3]
	global_load_dwordx4 v[6:9], v[10:11], off
	global_load_dwordx4 v[2:5], v[10:11], off offset:128
.LBB49_26:
	s_or_b64 exec, exec, s[2:3]
	s_mov_b32 s6, s4
	s_mov_b32 s7, s4
	;; [unrolled: 1-line block ×3, first 2 shown]
	v_mov_b64_e32 v[16:17], s[6:7]
	v_mov_b64_e32 v[14:15], s[4:5]
	;; [unrolled: 1-line block ×3, first 2 shown]
	v_cmp_gt_i32_e32 vcc, s31, v20
	v_lshlrev_b32_e32 v21, 7, v20
	v_mov_b64_e32 v[12:13], v[16:17]
	s_and_saveexec_b64 s[2:3], vcc
	s_cbranch_execz .LBB49_28
; %bb.27:
	v_lshlrev_b32_e32 v10, 1, v21
	v_mov_b32_e32 v11, 0
	v_lshl_add_u64 v[12:13], s[0:1], 0, v[10:11]
	v_lshlrev_b32_e32 v10, 1, v18
	v_lshl_add_u64 v[26:27], v[12:13], 0, v[10:11]
	global_load_dwordx4 v[14:17], v[26:27], off
	global_load_dwordx4 v[10:13], v[26:27], off offset:128
.LBB49_28:
	s_or_b64 exec, exec, s[2:3]
	v_lshrrev_b32_e32 v25, 3, v18
	v_lshlrev_b32_e32 v26, 3, v30
	v_or_b32_e32 v25, v26, v25
	v_lshlrev_b32_e32 v25, 4, v25
	v_and_b32_e32 v26, 0x78, v26
	v_xor_b32_e32 v25, v25, v26
	s_branch .LBB49_31
.LBB49_29:
                                        ; implicit-def: $vgpr25
                                        ; implicit-def: $vgpr21
                                        ; implicit-def: $vgpr6_vgpr7_vgpr8_vgpr9
                                        ; implicit-def: $vgpr2_vgpr3_vgpr4_vgpr5
                                        ; implicit-def: $vgpr14_vgpr15_vgpr16_vgpr17
                                        ; implicit-def: $vgpr10_vgpr11_vgpr12_vgpr13
	s_cbranch_execz .LBB49_31
; %bb.30:
	s_waitcnt vmcnt(0)
	v_lshlrev_b32_e32 v2, 1, v18
	v_lshl_or_b32 v21, v30, 8, v2
	s_and_b32 s1, s1, 0xffff
	s_mov_b32 s3, 0x20000
	s_movk_i32 s2, 0x4000
	v_lshl_or_b32 v25, v20, 8, v2
	s_movk_i32 s4, 0x80
	buffer_load_dwordx4 v[6:9], v21, s[0:3], 0 offen
	buffer_load_dwordx4 v[2:5], v21, s[0:3], s4 offen
	;; [unrolled: 1-line block ×4, first 2 shown]
	v_lshrrev_b32_e32 v21, 3, v18
	v_lshlrev_b32_e32 v25, 3, v30
	v_or_b32_e32 v21, v25, v21
	v_lshlrev_b32_e32 v21, 4, v21
	v_and_b32_e32 v25, 0x78, v25
	v_xor_b32_e32 v25, v21, v25
	v_lshlrev_b32_e32 v21, 7, v20
.LBB49_31:
	s_movk_i32 s0, 0x1000
	v_and_or_b32 v20, v21, s0, v25
	s_waitcnt vmcnt(1)
	ds_write_b64 v25, v[6:7] offset:49152
	v_xor_b32_e32 v6, 8, v25
	ds_write_b64 v6, v[8:9] offset:49152
	s_waitcnt vmcnt(0)
	ds_write_b64 v25, v[2:3] offset:57344
	ds_write_b64 v6, v[4:5] offset:57344
	;; [unrolled: 1-line block ×3, first 2 shown]
	v_xor_b32_e32 v2, 8, v20
	ds_write_b64 v2, v[16:17] offset:49152
	ds_write_b64 v20, v[10:11] offset:57344
	;; [unrolled: 1-line block ×3, first 2 shown]
	v_or_b32_e32 v2, v86, v88
	v_lshlrev_b32_e32 v2, 3, v2
	v_lshrrev_b32_e32 v3, 5, v35
	s_movk_i32 s0, 0xf8
	v_and_or_b32 v3, v2, s0, v3
	v_lshlrev_b32_e32 v7, 4, v3
	v_lshlrev_b32_e32 v25, 11, v1
	v_and_b32_e32 v8, 0x78, v2
	v_or_b32_e32 v10, 32, v7
	v_and_b32_e32 v6, 0x1000, v25
	v_lshrrev_b32_e32 v3, 1, v35
	v_xor_b32_e32 v10, v10, v8
	v_xor_b32_e32 v2, v7, v8
	v_and_b32_e32 v9, 8, v3
	v_or_b32_e32 v10, v10, v6
	v_or_b32_e32 v2, v2, v6
	v_xor_b32_e32 v32, v10, v9
	v_or_b32_e32 v10, 64, v7
	v_xor_b32_e32 v31, v2, v9
	v_xor_b32_e32 v10, v10, v8
	s_waitcnt lgkmcnt(0)
	s_barrier
	v_or_b32_e32 v13, v10, v6
	ds_read_b64 v[10:11], v31 offset:49152
	v_lshl_or_b32 v14, v87, 8, v24
	v_lshlrev_b32_e32 v26, 1, v14
	v_add_u32_e32 v12, 0x4000, v26
	ds_read2_b64 v[2:5], v12 offset1:16
	v_or_b32_e32 v7, 0x60, v7
	v_xor_b32_e32 v7, v7, v8
	v_or_b32_e32 v6, v7, v6
	v_xor_b32_e32 v33, v13, v9
	v_xor_b32_e32 v77, v6, v9
	ds_read_b64 v[20:21], v32 offset:49152
	ds_read_b64 v[78:79], v33 offset:49152
	;; [unrolled: 1-line block ×3, first 2 shown]
	s_waitcnt lgkmcnt(3)
	v_mfma_f32_16x16x16_bf16 a[0:3], v[10:11], v[2:3], 0
	ds_read2st64_b64 v[6:9], v26 offset0:36 offset1:40
	s_lshl_b64 s[0:1], s[28:29], 8
	s_add_u32 s4, s12, s0
	v_mfma_f32_16x16x16_bf16 a[4:7], v[10:11], v[4:5], 0
	ds_read2_b64 v[2:5], v12 offset0:32 offset1:48
	s_addc_u32 s5, s13, s1
	s_add_i32 s1, s47, s33
	s_waitcnt lgkmcnt(0)
	v_mfma_f32_16x16x16_bf16 a[8:11], v[10:11], v[2:3], 0
	v_or_b32_e32 v2, 64, v14
	v_lshlrev_b32_e32 v27, 1, v2
	s_add_i32 s0, s39, -1
	v_mfma_f32_16x16x16_bf16 a[12:15], v[10:11], v[4:5], 0
	ds_read2st64_b64 v[2:5], v27 offset0:36 offset1:40
	s_add_i32 s43, s1, s46
	s_add_i32 s1, s49, s48
	v_mfma_f32_16x16x16_bf16 a[0:3], v[20:21], v[6:7], a[0:3]
	v_or_b32_e32 v6, 0x80, v14
	v_lshlrev_b32_e32 v28, 1, v6
	ds_read2st64_b64 v[10:13], v28 offset0:36 offset1:40
	s_waitcnt lgkmcnt(1)
	v_mfma_f32_16x16x16_bf16 a[4:7], v[20:21], v[2:3], a[4:7]
	v_or_b32_e32 v2, 0xc0, v14
	v_lshlrev_b32_e32 v29, 1, v2
	ds_read2st64_b64 v[14:17], v29 offset0:36 offset1:40
	s_add_i32 s41, s1, s50
	s_ashr_i32 s1, s0, 31
	s_mul_i32 s2, s0, s37
	s_mul_hi_u32 s3, s0, s36
	s_add_i32 s2, s3, s2
	s_mul_i32 s1, s1, s36
	s_waitcnt lgkmcnt(1)
	v_mfma_f32_16x16x16_bf16 a[8:11], v[20:21], v[10:11], a[8:11]
	s_add_i32 s1, s2, s1
	s_lshl_b64 s[2:3], s[42:43], 2
	s_add_u32 s6, s18, s2
	s_waitcnt lgkmcnt(0)
	v_mfma_f32_16x16x16_bf16 a[12:15], v[20:21], v[14:15], a[12:15]
	s_addc_u32 s7, s19, s3
	s_lshl_b64 s[2:3], s[40:41], 2
	s_mul_i32 s0, s0, s36
	v_mfma_f32_16x16x16_bf16 a[0:3], v[78:79], v[8:9], a[0:3]
	ds_read_b64 v[2:3], v26 offset:22528
	s_add_u32 s12, s6, s2
	s_addc_u32 s13, s7, s3
	v_mfma_f32_16x16x16_bf16 a[4:7], v[78:79], v[4:5], a[4:7]
	ds_read_b64 v[4:5], v27 offset:22528
	ds_read_b64 v[6:7], v28 offset:22528
	ds_read_b64 v[8:9], v29 offset:22528
	s_lshl_b64 s[0:1], s[0:1], 2
	s_add_u32 s0, s12, s0
	v_mfma_f32_16x16x16_bf16 a[8:11], v[78:79], v[12:13], a[8:11]
	s_addc_u32 s1, s13, s1
	s_load_dword s18, s[0:1], 0x0
	s_and_b64 vcc, exec, s[26:27]
	v_mfma_f32_16x16x16_bf16 a[12:15], v[78:79], v[16:17], a[12:15]
	s_waitcnt lgkmcnt(0)
	v_mfma_f32_16x16x16_bf16 a[0:3], v[80:81], v[2:3], a[0:3]
	v_mfma_f32_16x16x16_bf16 a[4:7], v[80:81], v[4:5], a[4:7]
	;; [unrolled: 1-line block ×4, first 2 shown]
	s_cbranch_vccz .LBB49_42
; %bb.32:
	v_lshlrev_b32_e32 v20, 1, v30
	s_and_b64 vcc, exec, s[14:15]
	s_cbranch_vccz .LBB49_43
; %bb.33:
	v_cmp_gt_i32_e32 vcc, s31, v20
	v_mov_b32_e32 v6, 0
	v_mov_b32_e32 v2, 0
	;; [unrolled: 1-line block ×5, first 2 shown]
	s_and_saveexec_b64 s[0:1], vcc
	s_cbranch_execz .LBB49_35
; %bb.34:
	v_mad_i64_i32 v[2:3], s[2:3], s23, v20, 0
	v_lshl_add_u64 v[2:3], v[2:3], 1, s[4:5]
	v_lshlrev_b32_e32 v4, 1, v18
	v_mov_b32_e32 v5, 0
	v_lshl_add_u64 v[2:3], v[2:3], 0, v[4:5]
	global_load_dwordx4 v[2:5], v[2:3], off
.LBB49_35:
	s_or_b64 exec, exec, s[0:1]
	v_or_b32_e32 v21, 1, v20
	v_cmp_gt_i32_e64 s[0:1], s31, v21
	v_mov_b32_e32 v7, 0
	v_mov_b32_e32 v8, 0
	;; [unrolled: 1-line block ×3, first 2 shown]
	s_and_saveexec_b64 s[2:3], s[0:1]
	s_cbranch_execz .LBB49_37
; %bb.36:
	v_mad_i64_i32 v[6:7], s[6:7], s23, v21, 0
	v_lshl_add_u64 v[6:7], v[6:7], 1, s[4:5]
	v_lshlrev_b32_e32 v8, 1, v18
	v_mov_b32_e32 v9, 0
	v_lshl_add_u64 v[6:7], v[6:7], 0, v[8:9]
	global_load_dwordx4 v[6:9], v[6:7], off
.LBB49_37:
	s_or_b64 exec, exec, s[2:3]
	v_mov_b32_e32 v17, 0
	v_mov_b32_e32 v10, 0
	v_mov_b32_e32 v11, 0
	v_mov_b32_e32 v12, 0
	v_mov_b32_e32 v13, 0
	s_and_saveexec_b64 s[2:3], vcc
	s_cbranch_execz .LBB49_39
; %bb.38:
	v_mad_i64_i32 v[10:11], s[6:7], s23, v20, 0
	v_lshl_add_u64 v[10:11], v[10:11], 1, s[4:5]
	v_lshlrev_b32_e32 v12, 1, v18
	v_mov_b32_e32 v13, 0
	v_lshl_add_u64 v[10:11], v[10:11], 0, v[12:13]
	global_load_dwordx4 v[10:13], v[10:11], off offset:128
.LBB49_39:
	s_or_b64 exec, exec, s[2:3]
	v_mov_b32_e32 v16, 0
	v_mov_b32_e32 v15, 0
	;; [unrolled: 1-line block ×3, first 2 shown]
	s_and_saveexec_b64 s[2:3], s[0:1]
	s_cbranch_execz .LBB49_41
; %bb.40:
	v_mad_i64_i32 v[14:15], s[0:1], s23, v21, 0
	v_lshl_add_u64 v[14:15], v[14:15], 1, s[4:5]
	v_lshlrev_b32_e32 v16, 1, v18
	v_mov_b32_e32 v17, 0
	v_lshl_add_u64 v[14:15], v[14:15], 0, v[16:17]
	global_load_dwordx4 v[14:17], v[14:15], off offset:128
.LBB49_41:
	s_or_b64 exec, exec, s[2:3]
	s_branch .LBB49_45
.LBB49_42:
                                        ; implicit-def: $vgpr5
                                        ; implicit-def: $vgpr9
                                        ; implicit-def: $vgpr13
                                        ; implicit-def: $vgpr17
	v_lshrrev_b32_e32 v35, 2, v35
	s_branch .LBB49_46
.LBB49_43:
                                        ; implicit-def: $vgpr5
                                        ; implicit-def: $vgpr9
                                        ; implicit-def: $vgpr13
                                        ; implicit-def: $vgpr17
	s_cbranch_execz .LBB49_45
; %bb.44:
	s_waitcnt vmcnt(0)
	v_mad_u64_u32 v[2:3], s[0:1], v20, s23, v[18:19]
	v_lshlrev_b32_e32 v20, 1, v2
	s_lshl_b32 s2, s23, 7
	s_and_b32 s1, s5, 0xffff
	s_mov_b32 s3, 0x20000
	s_mov_b32 s0, s4
	v_add_lshl_u32 v21, v2, s23, 1
	s_movk_i32 s6, 0x80
	buffer_load_dwordx4 v[2:5], v20, s[0:3], 0 offen
	buffer_load_dwordx4 v[10:13], v20, s[0:3], s6 offen
	;; [unrolled: 1-line block ×4, first 2 shown]
.LBB49_45:
	v_lshrrev_b32_e32 v35, 2, v35
	s_cbranch_execnz .LBB49_58
.LBB49_46:
	s_and_b64 vcc, exec, s[14:15]
	s_cbranch_vccz .LBB49_56
; %bb.47:
	s_waitcnt vmcnt(0)
	v_lshlrev_b32_e32 v7, 1, v30
	v_cmp_gt_i32_e32 vcc, s31, v7
	v_mov_b32_e32 v6, 0
	v_lshlrev_b32_e32 v14, 9, v30
	v_mov_b32_e32 v2, 0
	v_mov_b32_e32 v3, 0
	;; [unrolled: 1-line block ×4, first 2 shown]
	s_and_saveexec_b64 s[0:1], vcc
	s_cbranch_execz .LBB49_49
; %bb.48:
	v_mov_b32_e32 v15, 0
	v_lshl_add_u64 v[2:3], s[4:5], 0, v[14:15]
	v_lshlrev_b32_e32 v4, 1, v18
	v_mov_b32_e32 v5, v15
	v_lshl_add_u64 v[2:3], v[2:3], 0, v[4:5]
	global_load_dwordx4 v[2:5], v[2:3], off
.LBB49_49:
	s_or_b64 exec, exec, s[0:1]
	v_or_b32_e32 v7, 1, v7
	v_cmp_gt_i32_e64 s[0:1], s31, v7
	v_lshlrev_b32_e32 v20, 8, v7
	v_mov_b32_e32 v7, 0
	v_mov_b32_e32 v8, 0
	;; [unrolled: 1-line block ×3, first 2 shown]
	s_and_saveexec_b64 s[2:3], s[0:1]
	s_cbranch_execz .LBB49_51
; %bb.50:
	v_mov_b32_e32 v21, 0
	v_lshl_add_u64 v[6:7], s[4:5], 0, v[20:21]
	v_lshlrev_b32_e32 v8, 1, v18
	v_mov_b32_e32 v9, v21
	v_lshl_add_u64 v[6:7], v[6:7], 0, v[8:9]
	global_load_dwordx4 v[6:9], v[6:7], off
.LBB49_51:
	s_or_b64 exec, exec, s[2:3]
	v_mov_b32_e32 v17, 0
	v_mov_b32_e32 v10, 0
	;; [unrolled: 1-line block ×5, first 2 shown]
	s_and_saveexec_b64 s[2:3], vcc
	s_cbranch_execz .LBB49_53
; %bb.52:
	v_mov_b32_e32 v15, 0
	v_lshl_add_u64 v[10:11], s[4:5], 0, v[14:15]
	v_lshlrev_b32_e32 v14, 1, v18
	v_lshl_add_u64 v[10:11], v[10:11], 0, v[14:15]
	global_load_dwordx4 v[10:13], v[10:11], off offset:128
.LBB49_53:
	s_or_b64 exec, exec, s[2:3]
	v_mov_b32_e32 v16, 0
	v_mov_b32_e32 v15, 0
	;; [unrolled: 1-line block ×3, first 2 shown]
	s_and_saveexec_b64 s[2:3], s[0:1]
	s_cbranch_execz .LBB49_55
; %bb.54:
	v_mov_b32_e32 v21, 0
	v_lshl_add_u64 v[14:15], s[4:5], 0, v[20:21]
	v_lshlrev_b32_e32 v20, 1, v18
	v_lshl_add_u64 v[14:15], v[14:15], 0, v[20:21]
	global_load_dwordx4 v[14:17], v[14:15], off offset:128
.LBB49_55:
	s_or_b64 exec, exec, s[2:3]
	s_branch .LBB49_58
.LBB49_56:
                                        ; implicit-def: $vgpr5
                                        ; implicit-def: $vgpr9
                                        ; implicit-def: $vgpr13
                                        ; implicit-def: $vgpr17
	s_cbranch_execz .LBB49_58
; %bb.57:
	s_waitcnt vmcnt(0)
	v_lshlrev_b32_e32 v2, 1, v18
	v_lshl_or_b32 v18, v30, 9, v2
	s_and_b32 s5, s5, 0xffff
	s_mov_b32 s7, 0x20000
	s_movk_i32 s6, 0x4000
	s_movk_i32 s0, 0x80
	buffer_load_dwordx4 v[2:5], v18, s[4:7], 0 offen
	buffer_load_dwordx4 v[6:9], v18, s[4:7], 0 offen offset:256
	buffer_load_dwordx4 v[10:13], v18, s[4:7], s0 offen
	buffer_load_dwordx4 v[14:17], v18, s[4:7], s0 offen offset:256
.LBB49_58:
	ds_read_b64 v[20:21], v31 offset:57344
	v_add_u32_e32 v18, 0x6000, v26
	ds_read2_b64 v[78:81], v18 offset1:16
	ds_read_b64 v[96:97], v32 offset:57344
	ds_read_b64 v[32:33], v33 offset:57344
	;; [unrolled: 1-line block ×3, first 2 shown]
	ds_read2st64_b64 v[82:85], v26 offset0:52 offset1:56
	v_and_b32_e32 v31, 1, v0
	v_cmp_eq_u32_e32 vcc, 0, v31
	s_mov_b32 s0, 0x1000504
	s_waitcnt vmcnt(0)
	v_perm_b32 v31, v10, v14, s0
	s_mov_b32 s1, 0x3020706
	s_waitcnt lgkmcnt(4)
	v_mfma_f32_16x16x16_bf16 a[0:3], v[20:21], v[78:79], a[0:3]
	v_mfma_f32_16x16x16_bf16 a[4:7], v[20:21], v[80:81], a[4:7]
	ds_read2_b64 v[78:81], v18 offset0:32 offset1:48
	v_and_b32_e32 v18, 6, v0
	v_xor_b32_e32 v30, v30, v18
	s_waitcnt lgkmcnt(0)
	v_mfma_f32_16x16x16_bf16 a[8:11], v[20:21], v[78:79], a[8:11]
	v_lshlrev_b32_e32 v30, 2, v30
	v_xor_b32_e32 v77, 0x440, v30
	v_cndmask_b32_e32 v30, v77, v30, vcc
	v_mfma_f32_16x16x16_bf16 a[12:15], v[20:21], v[80:81], a[12:15]
	ds_read2st64_b64 v[78:81], v27 offset0:52 offset1:56
	ds_read2st64_b64 v[88:91], v28 offset0:52 offset1:56
	;; [unrolled: 1-line block ×3, first 2 shown]
	v_lshl_or_b32 v18, v18, 10, v30
	v_perm_b32 v30, v2, v6, s0
	v_mfma_f32_16x16x16_bf16 a[0:3], v[96:97], v[82:83], a[0:3]
	ds_read_b64 v[20:21], v26 offset:30720
	ds_read_b64 v[82:83], v27 offset:30720
	;; [unrolled: 1-line block ×4, first 2 shown]
	ds_write2st64_b32 v18, v30, v31 offset0:128 offset1:160
	v_xor_b32_e32 v30, 8, v18
	s_waitcnt lgkmcnt(7)
	v_mfma_f32_16x16x16_bf16 a[4:7], v[96:97], v[78:79], a[4:7]
	v_perm_b32 v2, v2, v6, s1
	v_perm_b32 v6, v10, v14, s1
	v_add_u32_e32 v10, 0x80, v30
	s_waitcnt lgkmcnt(6)
	v_mfma_f32_16x16x16_bf16 a[8:11], v[96:97], v[88:89], a[8:11]
	ds_write2st64_b32 v10, v2, v6 offset0:128 offset1:160
	v_xor_b32_e32 v2, 16, v18
	v_perm_b32 v6, v3, v7, s0
	s_waitcnt lgkmcnt(6)
	v_mfma_f32_16x16x16_bf16 a[12:15], v[96:97], v[92:93], a[12:15]
	v_perm_b32 v10, v11, v15, s0
	ds_write2st64_b32 v2, v6, v10 offset0:129 offset1:161
	v_xor_b32_e32 v2, 24, v18
	v_mfma_f32_16x16x16_bf16 a[0:3], v[32:33], v[84:85], a[0:3]
	v_perm_b32 v3, v3, v7, s1
	v_perm_b32 v6, v11, v15, s1
	v_add_u32_e32 v2, 0x80, v2
	v_mfma_f32_16x16x16_bf16 a[4:7], v[32:33], v[80:81], a[4:7]
	ds_write2st64_b32 v2, v3, v6 offset0:129 offset1:161
	v_xor_b32_e32 v2, 32, v18
	v_perm_b32 v3, v4, v8, s0
	v_mfma_f32_16x16x16_bf16 a[16:19], v[32:33], v[90:91], a[8:11]
	v_perm_b32 v6, v12, v16, s0
	ds_write2st64_b32 v2, v3, v6 offset0:130 offset1:162
	v_xor_b32_e32 v2, 40, v18
	v_mfma_f32_16x16x16_bf16 a[20:23], v[32:33], v[94:95], a[12:15]
	v_perm_b32 v3, v4, v8, s1
	v_perm_b32 v4, v12, v16, s1
	v_add_u32_e32 v2, 0x80, v2
	s_waitcnt lgkmcnt(8)
	v_mfma_f32_16x16x16_bf16 a[12:15], v[98:99], v[20:21], a[0:3]
	ds_write2st64_b32 v2, v3, v4 offset0:130 offset1:162
	v_xor_b32_e32 v2, 48, v18
	v_perm_b32 v3, v5, v9, s0
	s_waitcnt lgkmcnt(8)
	v_mfma_f32_16x16x16_bf16 a[8:11], v[98:99], v[82:83], a[4:7]
	v_perm_b32 v4, v13, v17, s0
	ds_write2st64_b32 v2, v3, v4 offset0:131 offset1:163
	v_xor_b32_e32 v2, 56, v18
	s_waitcnt lgkmcnt(8)
	v_mfma_f32_16x16x16_bf16 a[4:7], v[98:99], v[100:101], a[16:19]
	v_and_or_b32 v31, v35, 12, v86
	v_perm_b32 v3, v5, v9, s1
	v_perm_b32 v4, v13, v17, s1
	s_waitcnt lgkmcnt(7)
	v_mfma_f32_16x16x16_bf16 a[0:3], v[98:99], v[102:103], a[20:23]
	v_add_u32_e32 v2, 0x80, v2
	v_cmp_gt_i32_e64 s[0:1], s31, v31
	v_mov_b32_e32 v20, 0
	v_mov_b32_e32 v21, 0
	ds_write2st64_b32 v2, v3, v4 offset0:131 offset1:163
	s_and_saveexec_b64 s[2:3], s[0:1]
	s_cbranch_execz .LBB49_60
; %bb.59:
	v_add_u32_e32 v2, s30, v31
	v_ashrrev_i32_e32 v3, 31, v2
	v_mul_lo_u32 v4, v3, s36
	v_mul_lo_u32 v5, v2, s37
	v_mad_u64_u32 v[2:3], s[4:5], v2, s36, 0
	v_add3_u32 v3, v3, v5, v4
	v_lshl_add_u64 v[2:3], v[2:3], 2, s[12:13]
	global_load_dword v2, v[2:3], off
	s_waitcnt vmcnt(0)
	v_sub_f32_e32 v2, s18, v2
	v_exp_f32_e32 v21, v2
.LBB49_60:
	s_or_b64 exec, exec, s[2:3]
	v_or_b32_e32 v14, 1, v31
	v_cmp_gt_i32_e64 s[4:5], s31, v14
	s_and_saveexec_b64 s[2:3], s[4:5]
	s_cbranch_execz .LBB49_62
; %bb.61:
	v_add_u32_e32 v2, s30, v14
	v_ashrrev_i32_e32 v3, 31, v2
	v_mul_lo_u32 v4, v3, s36
	v_mul_lo_u32 v5, v2, s37
	v_mad_u64_u32 v[2:3], s[6:7], v2, s36, 0
	v_add3_u32 v3, v3, v5, v4
	v_lshl_add_u64 v[2:3], v[2:3], 2, s[12:13]
	global_load_dword v2, v[2:3], off
	s_waitcnt vmcnt(0)
	v_sub_f32_e32 v2, s18, v2
	v_exp_f32_e32 v20, v2
.LBB49_62:
	s_or_b64 exec, exec, s[2:3]
	v_or_b32_e32 v10, 2, v31
	v_cmp_gt_i32_e64 s[2:3], s31, v10
	v_mov_b32_e32 v18, 0
	v_mov_b32_e32 v30, 0
	s_and_saveexec_b64 s[6:7], s[2:3]
	s_cbranch_execz .LBB49_64
; %bb.63:
	v_add_u32_e32 v2, s30, v10
	v_ashrrev_i32_e32 v3, 31, v2
	v_mul_lo_u32 v4, v3, s36
	v_mul_lo_u32 v5, v2, s37
	v_mad_u64_u32 v[2:3], s[14:15], v2, s36, 0
	v_add3_u32 v3, v3, v5, v4
	v_lshl_add_u64 v[2:3], v[2:3], 2, s[12:13]
	global_load_dword v2, v[2:3], off
	s_waitcnt vmcnt(0)
	v_sub_f32_e32 v2, s18, v2
	v_exp_f32_e32 v30, v2
.LBB49_64:
	s_or_b64 exec, exec, s[6:7]
	v_or_b32_e32 v11, 3, v31
	v_cmp_gt_i32_e32 vcc, s31, v11
	s_and_saveexec_b64 s[6:7], vcc
	s_cbranch_execz .LBB49_66
; %bb.65:
	v_add_u32_e32 v2, s30, v11
	v_ashrrev_i32_e32 v3, 31, v2
	v_mul_lo_u32 v4, v3, s36
	v_mul_lo_u32 v5, v2, s37
	v_mad_u64_u32 v[2:3], s[14:15], v2, s36, 0
	v_add3_u32 v3, v3, v5, v4
	v_lshl_add_u64 v[2:3], v[2:3], 2, s[12:13]
	global_load_dword v2, v[2:3], off
	s_waitcnt vmcnt(0)
	v_sub_f32_e32 v2, s18, v2
	v_exp_f32_e32 v18, v2
.LBB49_66:
	s_or_b64 exec, exec, s[6:7]
	s_add_u32 s6, s16, s24
	s_addc_u32 s7, s17, s25
	s_add_u32 s8, s8, s24
	v_ashrrev_i32_e32 v77, 31, v76
	v_accvgpr_read_b32 v2, a12
	s_addc_u32 s9, s9, s25
	v_lshlrev_b64 v[6:7], 1, v[76:77]
	v_accvgpr_read_b32 v3, a13
	v_accvgpr_read_b32 v4, a14
	;; [unrolled: 1-line block ×3, first 2 shown]
	v_lshl_add_u64 v[8:9], s[6:7], 0, v[6:7]
	v_lshl_add_u64 v[6:7], s[8:9], 0, v[6:7]
	v_mov_b32_e32 v15, 0
	v_lshlrev_b32_e32 v12, 8, v31
	v_mov_b32_e32 v13, 0
	s_and_saveexec_b64 s[6:7], s[0:1]
	s_cbranch_execz .LBB49_68
; %bb.67:
	v_mov_b32_e32 v13, 0
	v_lshl_add_u64 v[16:17], v[8:9], 0, v[12:13]
	global_load_ushort v32, v[16:17], off
	v_lshl_add_u64 v[16:17], v[6:7], 0, v[12:13]
	s_waitcnt vmcnt(0)
	v_lshlrev_b32_e32 v13, 16, v32
	v_sub_f32_e32 v2, v13, v2
	global_store_short_d16_hi v[16:17], v2, off
	v_mul_f32_e32 v2, v21, v2
	v_lshrrev_b32_e32 v13, 16, v2
.LBB49_68:
	s_or_b64 exec, exec, s[6:7]
	v_lshlrev_b32_e32 v14, 8, v14
	s_and_saveexec_b64 s[6:7], s[4:5]
	s_cbranch_execz .LBB49_70
; %bb.69:
	v_mov_b32_e32 v15, 0
	v_lshl_add_u64 v[16:17], v[8:9], 0, v[14:15]
	global_load_ushort v2, v[16:17], off
	v_lshl_add_u64 v[16:17], v[6:7], 0, v[14:15]
	s_waitcnt vmcnt(0)
	v_lshlrev_b32_e32 v2, 16, v2
	v_sub_f32_e32 v2, v2, v3
	global_store_short_d16_hi v[16:17], v2, off
	v_mul_f32_e32 v2, v20, v2
	v_lshrrev_b32_e32 v15, 16, v2
.LBB49_70:
	s_or_b64 exec, exec, s[6:7]
	v_mov_b32_e32 v32, 0
	v_lshlrev_b32_e32 v16, 8, v10
	v_mov_b32_e32 v17, 0
	s_and_saveexec_b64 s[6:7], s[2:3]
	s_cbranch_execz .LBB49_72
; %bb.71:
	v_mov_b32_e32 v17, 0
	v_lshl_add_u64 v[2:3], v[8:9], 0, v[16:17]
	global_load_ushort v10, v[2:3], off
	v_lshl_add_u64 v[2:3], v[6:7], 0, v[16:17]
	s_waitcnt vmcnt(0)
	v_lshlrev_b32_e32 v10, 16, v10
	v_sub_f32_e32 v4, v10, v4
	global_store_short_d16_hi v[2:3], v4, off
	v_mul_f32_e32 v2, v30, v4
	v_lshrrev_b32_e32 v17, 16, v2
.LBB49_72:
	s_or_b64 exec, exec, s[6:7]
	v_lshlrev_b32_e32 v10, 8, v11
	s_and_saveexec_b64 s[6:7], vcc
	s_cbranch_execz .LBB49_74
; %bb.73:
	v_mov_b32_e32 v11, 0
	v_lshl_add_u64 v[2:3], v[8:9], 0, v[10:11]
	global_load_ushort v4, v[2:3], off
	v_lshl_add_u64 v[2:3], v[6:7], 0, v[10:11]
	s_waitcnt vmcnt(0)
	v_lshlrev_b32_e32 v4, 16, v4
	v_sub_f32_e32 v4, v4, v5
	global_store_short_d16_hi v[2:3], v4, off
	v_mul_f32_e32 v2, v18, v4
	v_lshrrev_b32_e32 v32, 16, v2
.LBB49_74:
	s_or_b64 exec, exec, s[6:7]
	v_lshlrev_b32_e32 v31, 6, v31
	v_accvgpr_read_b32 v2, a8
	s_mov_b32 s6, 0x5040100
	v_or_b32_e32 v11, v31, v24
	v_accvgpr_read_b32 v3, a9
	v_accvgpr_read_b32 v4, a10
	;; [unrolled: 1-line block ×3, first 2 shown]
	v_perm_b32 v33, v32, v17, s6
	v_perm_b32 v32, v15, v13, s6
	v_lshlrev_b32_e32 v11, 1, v11
	v_mov_b32_e32 v15, 0
	v_mov_b32_e32 v13, 0
	ds_write_b64 v11, v[32:33] offset:24576
	s_and_saveexec_b64 s[6:7], s[0:1]
	s_cbranch_execz .LBB49_76
; %bb.75:
	v_mov_b32_e32 v13, 0
	v_lshl_add_u64 v[32:33], v[8:9], 0, v[12:13]
	global_load_ushort v11, v[32:33], off offset:32
	v_lshl_add_u64 v[32:33], v[6:7], 0, v[12:13]
	s_waitcnt vmcnt(0)
	v_lshlrev_b32_e32 v11, 16, v11
	v_sub_f32_e32 v2, v11, v2
	global_store_short_d16_hi v[32:33], v2, off offset:32
	v_mul_f32_e32 v2, v21, v2
	v_lshrrev_b32_e32 v13, 16, v2
.LBB49_76:
	s_or_b64 exec, exec, s[6:7]
	s_and_saveexec_b64 s[6:7], s[4:5]
	s_cbranch_execz .LBB49_78
; %bb.77:
	v_mov_b32_e32 v15, 0
	v_lshl_add_u64 v[32:33], v[8:9], 0, v[14:15]
	global_load_ushort v2, v[32:33], off offset:32
	v_lshl_add_u64 v[32:33], v[6:7], 0, v[14:15]
	s_waitcnt vmcnt(0)
	v_lshlrev_b32_e32 v2, 16, v2
	v_sub_f32_e32 v2, v2, v3
	global_store_short_d16_hi v[32:33], v2, off offset:32
	v_mul_f32_e32 v2, v20, v2
	v_lshrrev_b32_e32 v15, 16, v2
.LBB49_78:
	s_or_b64 exec, exec, s[6:7]
	v_mov_b32_e32 v11, 0
	v_mov_b32_e32 v17, 0
	s_and_saveexec_b64 s[6:7], s[2:3]
	s_cbranch_execz .LBB49_80
; %bb.79:
	v_mov_b32_e32 v17, 0
	v_lshl_add_u64 v[2:3], v[8:9], 0, v[16:17]
	global_load_ushort v24, v[2:3], off offset:32
	v_lshl_add_u64 v[2:3], v[6:7], 0, v[16:17]
	s_waitcnt vmcnt(0)
	v_lshlrev_b32_e32 v17, 16, v24
	v_sub_f32_e32 v4, v17, v4
	global_store_short_d16_hi v[2:3], v4, off offset:32
	v_mul_f32_e32 v2, v30, v4
	v_lshrrev_b32_e32 v17, 16, v2
.LBB49_80:
	s_or_b64 exec, exec, s[6:7]
	s_and_saveexec_b64 s[6:7], vcc
	s_cbranch_execz .LBB49_82
; %bb.81:
	v_mov_b32_e32 v11, 0
	v_lshl_add_u64 v[2:3], v[8:9], 0, v[10:11]
	global_load_ushort v4, v[2:3], off offset:32
	v_lshl_add_u64 v[2:3], v[6:7], 0, v[10:11]
	s_waitcnt vmcnt(0)
	v_lshlrev_b32_e32 v4, 16, v4
	v_sub_f32_e32 v4, v4, v5
	global_store_short_d16_hi v[2:3], v4, off offset:32
	v_mul_f32_e32 v2, v18, v4
	v_lshrrev_b32_e32 v11, 16, v2
.LBB49_82:
	s_or_b64 exec, exec, s[6:7]
	s_mov_b32 s6, 0x5040100
	v_accvgpr_read_b32 v2, a4
	v_perm_b32 v33, v11, v17, s6
	v_or_b32_e32 v11, v31, v23
	v_accvgpr_read_b32 v3, a5
	v_accvgpr_read_b32 v4, a6
	v_accvgpr_read_b32 v5, a7
	v_perm_b32 v32, v15, v13, s6
	v_lshlrev_b32_e32 v11, 1, v11
	v_mov_b32_e32 v15, 0
	v_mov_b32_e32 v13, 0
	ds_write_b64 v11, v[32:33] offset:24576
	s_and_saveexec_b64 s[6:7], s[0:1]
	s_cbranch_execz .LBB49_84
; %bb.83:
	v_mov_b32_e32 v13, 0
	v_lshl_add_u64 v[32:33], v[8:9], 0, v[12:13]
	global_load_ushort v11, v[32:33], off offset:64
	v_lshl_add_u64 v[32:33], v[6:7], 0, v[12:13]
	s_waitcnt vmcnt(0)
	v_lshlrev_b32_e32 v11, 16, v11
	v_sub_f32_e32 v2, v11, v2
	global_store_short_d16_hi v[32:33], v2, off offset:64
	v_mul_f32_e32 v2, v21, v2
	v_lshrrev_b32_e32 v13, 16, v2
.LBB49_84:
	s_or_b64 exec, exec, s[6:7]
	s_and_saveexec_b64 s[6:7], s[4:5]
	s_cbranch_execz .LBB49_86
; %bb.85:
	v_mov_b32_e32 v15, 0
	v_lshl_add_u64 v[32:33], v[8:9], 0, v[14:15]
	global_load_ushort v2, v[32:33], off offset:64
	v_lshl_add_u64 v[32:33], v[6:7], 0, v[14:15]
	s_waitcnt vmcnt(0)
	v_lshlrev_b32_e32 v2, 16, v2
	v_sub_f32_e32 v2, v2, v3
	global_store_short_d16_hi v[32:33], v2, off offset:64
	v_mul_f32_e32 v2, v20, v2
	v_lshrrev_b32_e32 v15, 16, v2
.LBB49_86:
	s_or_b64 exec, exec, s[6:7]
	v_mov_b32_e32 v11, 0
	v_mov_b32_e32 v17, 0
	s_and_saveexec_b64 s[6:7], s[2:3]
	s_cbranch_execz .LBB49_88
; %bb.87:
	v_mov_b32_e32 v17, 0
	v_lshl_add_u64 v[2:3], v[8:9], 0, v[16:17]
	global_load_ushort v23, v[2:3], off offset:64
	v_lshl_add_u64 v[2:3], v[6:7], 0, v[16:17]
	s_waitcnt vmcnt(0)
	v_lshlrev_b32_e32 v17, 16, v23
	v_sub_f32_e32 v4, v17, v4
	global_store_short_d16_hi v[2:3], v4, off offset:64
	v_mul_f32_e32 v2, v30, v4
	v_lshrrev_b32_e32 v17, 16, v2
.LBB49_88:
	s_or_b64 exec, exec, s[6:7]
	s_and_saveexec_b64 s[6:7], vcc
	s_cbranch_execz .LBB49_90
; %bb.89:
	v_mov_b32_e32 v11, 0
	v_lshl_add_u64 v[2:3], v[8:9], 0, v[10:11]
	global_load_ushort v4, v[2:3], off offset:64
	v_lshl_add_u64 v[2:3], v[6:7], 0, v[10:11]
	s_waitcnt vmcnt(0)
	v_lshlrev_b32_e32 v4, 16, v4
	v_sub_f32_e32 v4, v4, v5
	global_store_short_d16_hi v[2:3], v4, off offset:64
	v_mul_f32_e32 v2, v18, v4
	v_lshrrev_b32_e32 v11, 16, v2
.LBB49_90:
	s_or_b64 exec, exec, s[6:7]
	s_mov_b32 s6, 0x5040100
	v_accvgpr_read_b32 v5, a3
	v_perm_b32 v33, v11, v17, s6
	v_or_b32_e32 v11, v31, v22
	v_accvgpr_read_b32 v4, a2
	v_accvgpr_read_b32 v3, a1
	;; [unrolled: 1-line block ×3, first 2 shown]
	v_perm_b32 v32, v15, v13, s6
	v_lshlrev_b32_e32 v11, 1, v11
	v_mov_b32_e32 v15, 0
	v_mov_b32_e32 v13, 0
	ds_write_b64 v11, v[32:33] offset:24576
	s_and_saveexec_b64 s[6:7], s[0:1]
	s_cbranch_execz .LBB49_92
; %bb.91:
	v_mov_b32_e32 v13, 0
	v_lshl_add_u64 v[22:23], v[8:9], 0, v[12:13]
	global_load_ushort v11, v[22:23], off offset:96
	v_lshl_add_u64 v[12:13], v[6:7], 0, v[12:13]
	s_waitcnt vmcnt(0)
	v_lshlrev_b32_e32 v11, 16, v11
	v_sub_f32_e32 v2, v11, v2
	global_store_short_d16_hi v[12:13], v2, off offset:96
	v_mul_f32_e32 v2, v21, v2
	v_lshrrev_b32_e32 v13, 16, v2
.LBB49_92:
	s_or_b64 exec, exec, s[6:7]
	s_and_saveexec_b64 s[0:1], s[4:5]
	s_cbranch_execz .LBB49_94
; %bb.93:
	v_mov_b32_e32 v15, 0
	v_lshl_add_u64 v[22:23], v[8:9], 0, v[14:15]
	global_load_ushort v2, v[22:23], off offset:96
	v_lshl_add_u64 v[14:15], v[6:7], 0, v[14:15]
	s_waitcnt vmcnt(0)
	v_lshlrev_b32_e32 v2, 16, v2
	v_sub_f32_e32 v2, v2, v3
	global_store_short_d16_hi v[14:15], v2, off offset:96
	v_mul_f32_e32 v2, v20, v2
	v_lshrrev_b32_e32 v15, 16, v2
.LBB49_94:
	s_or_b64 exec, exec, s[0:1]
	v_mov_b32_e32 v11, 0
	v_mov_b32_e32 v14, 0
	s_and_saveexec_b64 s[0:1], s[2:3]
	s_cbranch_execz .LBB49_96
; %bb.95:
	v_mov_b32_e32 v17, 0
	v_lshl_add_u64 v[2:3], v[8:9], 0, v[16:17]
	global_load_ushort v12, v[2:3], off offset:96
	v_lshl_add_u64 v[2:3], v[6:7], 0, v[16:17]
	s_waitcnt vmcnt(0)
	v_lshlrev_b32_e32 v12, 16, v12
	v_sub_f32_e32 v4, v12, v4
	global_store_short_d16_hi v[2:3], v4, off offset:96
	v_mul_f32_e32 v2, v30, v4
	v_lshrrev_b32_e32 v14, 16, v2
.LBB49_96:
	s_or_b64 exec, exec, s[0:1]
	v_or_b32_e32 v12, 0x6000, v26
	v_or_b32_e32 v4, 0x6000, v27
	;; [unrolled: 1-line block ×4, first 2 shown]
	s_and_saveexec_b64 s[0:1], vcc
	s_cbranch_execz .LBB49_98
; %bb.97:
	v_mov_b32_e32 v11, 0
	v_lshl_add_u64 v[8:9], v[8:9], 0, v[10:11]
	global_load_ushort v8, v[8:9], off offset:96
	v_lshl_add_u64 v[6:7], v[6:7], 0, v[10:11]
	s_waitcnt vmcnt(0)
	v_lshlrev_b32_e32 v8, 16, v8
	v_sub_f32_e32 v5, v8, v5
	global_store_short_d16_hi v[6:7], v5, off offset:96
	v_mul_f32_e32 v5, v18, v5
	v_lshrrev_b32_e32 v11, 16, v5
.LBB49_98:
	s_or_b64 exec, exec, s[0:1]
	s_mov_b32 s0, 0x5040100
	v_or_b32_e32 v5, v31, v19
	v_perm_b32 v7, v11, v14, s0
	v_perm_b32 v6, v15, v13, s0
	v_lshlrev_b32_e32 v5, 1, v5
	s_movk_i32 s0, 0x100
	ds_write_b64 v5, v[6:7] offset:24576
	v_and_b32_e32 v5, 7, v0
	v_and_b32_e32 v6, 8, v0
	v_cmp_gt_u32_e32 vcc, s0, v0
	v_lshrrev_b32_e32 v0, 1, v0
	v_lshlrev_b32_e32 v23, 3, v1
	v_and_b32_e32 v24, 24, v0
	v_mov_b32_e32 v7, 0xa000
	v_mov_b32_e32 v8, 0x8000
	v_xor_b32_e32 v0, v23, v24
	v_cndmask_b32_e32 v22, v7, v8, vcc
	v_or_b32_e32 v1, 0x440, v0
	v_cmp_eq_u32_e32 vcc, 0, v6
	v_lshlrev_b32_e32 v13, 3, v5
	v_lshlrev_b32_e32 v5, 7, v5
	v_cndmask_b32_e32 v0, v1, v0, vcc
	v_or_b32_e32 v0, v0, v25
	v_xad_u32 v35, v0, v13, v5
	v_or_b32_e32 v10, 32, v24
	v_add_u32_e32 v0, v22, v35
	v_xor_b32_e32 v10, v23, v10
	s_waitcnt lgkmcnt(0)
	s_barrier
	ds_read_b64 v[0:1], v0
	ds_read2_b64 v[6:9], v12 offset1:16
	ds_read2_b64 v[14:17], v12 offset0:32 offset1:48
	v_or_b32_e32 v11, 0x440, v10
	v_cndmask_b32_e32 v10, v11, v10, vcc
	v_or_b32_e32 v10, v10, v25
	v_xad_u32 v80, v10, v13, v5
	v_add_u32_e32 v10, v22, v80
	s_waitcnt lgkmcnt(1)
	v_mfma_f32_16x16x16_bf16 a[0:3], v[0:1], v[6:7], 0
	ds_read_b64 v[10:11], v10
	ds_read2st64_b64 v[18:21], v12 offset0:4 offset1:8
	ds_read2st64_b64 v[26:29], v4 offset0:4 offset1:8
	v_mfma_f32_16x16x16_bf16 a[4:7], v[0:1], v[8:9], 0
	ds_read2st64_b64 v[30:33], v3 offset0:4 offset1:8
	ds_read2st64_b64 v[76:79], v2 offset0:4 offset1:8
	s_waitcnt lgkmcnt(5)
	v_mfma_f32_16x16x16_bf16 a[8:11], v[0:1], v[14:15], 0
	v_mfma_f32_16x16x16_bf16 a[12:15], v[0:1], v[16:17], 0
	v_or_b32_e32 v0, 64, v24
	v_xor_b32_e32 v0, v23, v0
	v_xor_b32_e32 v1, 0x440, v0
	v_cndmask_b32_e32 v0, v1, v0, vcc
	v_or_b32_e32 v0, v0, v25
	v_xad_u32 v81, v0, v13, v5
	v_add_u32_e32 v0, v22, v81
	ds_read_b64 v[0:1], v0
	s_waitcnt lgkmcnt(4)
	v_mfma_f32_16x16x16_bf16 a[0:3], v[10:11], v[18:19], a[0:3]
	s_waitcnt lgkmcnt(3)
	v_mfma_f32_16x16x16_bf16 a[4:7], v[10:11], v[26:27], a[4:7]
	s_waitcnt lgkmcnt(2)
	v_mfma_f32_16x16x16_bf16 a[8:11], v[10:11], v[30:31], a[8:11]
	s_waitcnt lgkmcnt(1)
	v_mfma_f32_16x16x16_bf16 a[12:15], v[10:11], v[76:77], a[12:15]
	v_or_b32_e32 v10, 0x60, v24
	v_xor_b32_e32 v10, v23, v10
	v_xor_b32_e32 v11, 0x440, v10
	v_cndmask_b32_e32 v10, v11, v10, vcc
	v_or_b32_e32 v10, v10, v25
	v_xad_u32 v23, v10, v13, v5
	v_add_u32_e32 v5, v22, v23
	s_waitcnt lgkmcnt(0)
	v_mfma_f32_16x16x16_bf16 a[0:3], v[0:1], v[20:21], a[0:3]
	ds_read_b64 v[10:11], v5
	ds_read_b64 v[12:13], v12 offset:6144
	v_mfma_f32_16x16x16_bf16 a[4:7], v[0:1], v[28:29], a[4:7]
	v_mfma_f32_16x16x16_bf16 a[8:11], v[0:1], v[32:33], a[8:11]
	;; [unrolled: 1-line block ×3, first 2 shown]
	ds_read_b64 v[0:1], v4 offset:6144
	ds_read_b64 v[4:5], v3 offset:6144
	;; [unrolled: 1-line block ×3, first 2 shown]
	s_waitcnt lgkmcnt(3)
	v_mfma_f32_16x16x16_bf16 a[0:3], v[10:11], v[12:13], a[0:3]
	s_waitcnt lgkmcnt(2)
	v_mfma_f32_16x16x16_bf16 a[4:7], v[10:11], v[0:1], a[4:7]
	;; [unrolled: 2-line block ×4, first 2 shown]
	ds_read_b64 v[10:11], v35 offset:40960
	s_waitcnt lgkmcnt(0)
	v_mfma_f32_16x16x16_bf16 a[16:19], v[10:11], v[6:7], 0
	ds_read_b64 v[6:7], v80 offset:40960
	v_mfma_f32_16x16x16_bf16 a[20:23], v[10:11], v[8:9], 0
	v_exp_f32_e32 v8, s18
	v_mfma_f32_16x16x16_bf16 a[24:27], v[10:11], v[14:15], 0
	v_accvgpr_read_b32 v15, a3
	v_accvgpr_read_b32 v14, a2
	v_pk_fma_f32 v[74:75], v[74:75], v[8:9], v[14:15] op_sel_hi:[1,0,1]
	v_mfma_f32_16x16x16_bf16 a[28:31], v[10:11], v[16:17], 0
	ds_read_b64 v[10:11], v81 offset:40960
	ds_read_b64 v[14:15], v23 offset:40960
	v_accvgpr_read_b32 v17, a7
	s_waitcnt lgkmcnt(2)
	v_mfma_f32_16x16x16_bf16 a[16:19], v[6:7], v[18:19], a[16:19]
	v_accvgpr_read_b32 v16, a6
	v_accvgpr_read_b32 v19, a15
	;; [unrolled: 1-line block ×3, first 2 shown]
	v_mfma_f32_16x16x16_bf16 a[20:23], v[6:7], v[26:27], a[20:23]
	v_pk_fma_f32 v[66:67], v[66:67], v[8:9], v[16:17] op_sel_hi:[1,0,1]
	v_pk_fma_f32 v[52:53], v[52:53], v[8:9], v[18:19] op_sel_hi:[1,0,1]
	v_mfma_f32_16x16x16_bf16 a[24:27], v[6:7], v[30:31], a[24:27]
	v_mfma_f32_16x16x16_bf16 a[28:31], v[6:7], v[76:77], a[28:31]
	v_accvgpr_read_b32 v7, a11
	v_accvgpr_read_b32 v6, a10
	v_pk_fma_f32 v[58:59], v[58:59], v[8:9], v[6:7] op_sel_hi:[1,0,1]
	s_waitcnt lgkmcnt(1)
	v_mfma_f32_16x16x16_bf16 a[16:19], v[10:11], v[20:21], a[16:19]
	v_accvgpr_read_b32 v21, a1
	v_accvgpr_read_b32 v20, a0
	v_pk_fma_f32 v[70:71], v[70:71], v[8:9], v[20:21] op_sel_hi:[1,0,1]
	v_mfma_f32_16x16x16_bf16 a[0:3], v[10:11], v[28:29], a[20:23]
	v_accvgpr_read_b32 v21, a5
	v_accvgpr_read_b32 v20, a4
	;; [unrolled: 1-line block ×3, first 2 shown]
	v_mfma_f32_16x16x16_bf16 a[20:23], v[10:11], v[32:33], a[24:27]
	v_accvgpr_read_b32 v7, a13
	v_pk_fma_f32 v[46:47], v[46:47], v[8:9], v[6:7] op_sel_hi:[1,0,1]
	v_pk_fma_f32 v[62:63], v[62:63], v[8:9], v[20:21] op_sel_hi:[1,0,1]
	v_mfma_f32_16x16x16_bf16 a[4:7], v[10:11], v[78:79], a[28:31]
	v_accvgpr_read_b32 v11, a9
	v_accvgpr_read_b32 v10, a8
	v_pk_fma_f32 v[54:55], v[54:55], v[8:9], v[10:11] op_sel_hi:[1,0,1]
	s_waitcnt lgkmcnt(0)
	v_mfma_f32_16x16x16_bf16 a[8:11], v[14:15], v[12:13], a[16:19]
	v_mfma_f32_16x16x16_bf16 a[0:3], v[14:15], v[0:1], a[0:3]
	s_nop 5
	v_accvgpr_read_b32 v1, a11
	v_accvgpr_read_b32 v0, a10
	v_mfma_f32_16x16x16_bf16 a[10:13], v[14:15], v[4:5], a[20:23]
	v_pk_fma_f32 v[72:73], v[72:73], v[8:9], v[0:1] op_sel_hi:[1,0,1]
	v_accvgpr_read_b32 v7, a3
	v_accvgpr_read_b32 v6, a2
	v_mfma_f32_16x16x16_bf16 a[2:5], v[14:15], v[2:3], a[4:7]
	v_accvgpr_read_b32 v0, a0
	v_accvgpr_read_b32 v1, a1
	v_pk_fma_f32 v[60:61], v[60:61], v[8:9], v[0:1] op_sel_hi:[1,0,1]
	v_accvgpr_read_b32 v0, a10
	v_accvgpr_read_b32 v1, a11
	;; [unrolled: 1-line block ×3, first 2 shown]
	v_pk_fma_f32 v[50:51], v[50:51], v[8:9], v[0:1] op_sel_hi:[1,0,1]
	v_accvgpr_read_b32 v0, a2
	v_accvgpr_read_b32 v5, a13
	;; [unrolled: 1-line block ×7, first 2 shown]
	v_pk_fma_f32 v[68:69], v[68:69], v[8:9], v[10:11] op_sel_hi:[1,0,1]
	v_pk_fma_f32 v[64:65], v[64:65], v[8:9], v[6:7] op_sel_hi:[1,0,1]
	;; [unrolled: 1-line block ×5, first 2 shown]
.LBB49_99:
	s_add_u32 s0, s10, s34
	s_addc_u32 s1, s11, s35
	v_lshl_add_u64 v[0:1], v[36:37], 1, s[0:1]
	v_mov_b32_e32 v35, 0
	s_mov_b32 s2, 0x7060302
	v_lshl_add_u64 v[0:1], v[0:1], 0, v[34:35]
	v_perm_b32 v3, v75, v74, s2
	v_perm_b32 v2, v71, v70, s2
	global_store_dwordx2 v[0:1], v[2:3], off
	v_perm_b32 v3, v73, v72, s2
	v_perm_b32 v2, v69, v68, s2
	global_store_dwordx2 v[0:1], v[2:3], off offset:128
	v_lshl_add_u64 v[0:1], v[38:39], 1, s[0:1]
	v_lshl_add_u64 v[0:1], v[0:1], 0, v[34:35]
	v_perm_b32 v3, v67, v66, s2
	v_perm_b32 v2, v63, v62, s2
	global_store_dwordx2 v[0:1], v[2:3], off
	v_perm_b32 v3, v65, v64, s2
	v_perm_b32 v2, v61, v60, s2
	global_store_dwordx2 v[0:1], v[2:3], off offset:128
	v_lshl_add_u64 v[0:1], v[40:41], 1, s[0:1]
	;; [unrolled: 8-line block ×3, first 2 shown]
	v_lshl_add_u64 v[0:1], v[0:1], 0, v[34:35]
	v_perm_b32 v3, v53, v52, s2
	v_perm_b32 v2, v47, v46, s2
	global_store_dwordx2 v[0:1], v[2:3], off
	v_perm_b32 v3, v49, v48, s2
	v_perm_b32 v2, v45, v44, s2
	global_store_dwordx2 v[0:1], v[2:3], off offset:128
	s_endpgm
	.section	.rodata,"a",@progbits
	.p2align	6, 0x0
	.amdhsa_kernel _ZN12_GLOBAL__N_139chunk_gated_delta_rule_fwd_h_hip_kernelILi64ELb1ELb1ELb1ELb1ELb1ELb0ELb0ELb1EEEvPK12hip_bfloat16S3_S3_PKfS5_PKvPS1_S8_PvPKiSB_iiiiilll
		.amdhsa_group_segment_fixed_size 65536
		.amdhsa_private_segment_fixed_size 0
		.amdhsa_kernarg_size 136
		.amdhsa_user_sgpr_count 2
		.amdhsa_user_sgpr_dispatch_ptr 0
		.amdhsa_user_sgpr_queue_ptr 0
		.amdhsa_user_sgpr_kernarg_segment_ptr 1
		.amdhsa_user_sgpr_dispatch_id 0
		.amdhsa_user_sgpr_kernarg_preload_length 0
		.amdhsa_user_sgpr_kernarg_preload_offset 0
		.amdhsa_user_sgpr_private_segment_size 0
		.amdhsa_uses_dynamic_stack 0
		.amdhsa_enable_private_segment 0
		.amdhsa_system_sgpr_workgroup_id_x 1
		.amdhsa_system_sgpr_workgroup_id_y 1
		.amdhsa_system_sgpr_workgroup_id_z 0
		.amdhsa_system_sgpr_workgroup_info 0
		.amdhsa_system_vgpr_workitem_id 0
		.amdhsa_next_free_vgpr 224
		.amdhsa_next_free_sgpr 67
		.amdhsa_accum_offset 188
		.amdhsa_reserve_vcc 1
		.amdhsa_float_round_mode_32 0
		.amdhsa_float_round_mode_16_64 0
		.amdhsa_float_denorm_mode_32 3
		.amdhsa_float_denorm_mode_16_64 3
		.amdhsa_dx10_clamp 1
		.amdhsa_ieee_mode 1
		.amdhsa_fp16_overflow 0
		.amdhsa_tg_split 0
		.amdhsa_exception_fp_ieee_invalid_op 0
		.amdhsa_exception_fp_denorm_src 0
		.amdhsa_exception_fp_ieee_div_zero 0
		.amdhsa_exception_fp_ieee_overflow 0
		.amdhsa_exception_fp_ieee_underflow 0
		.amdhsa_exception_fp_ieee_inexact 0
		.amdhsa_exception_int_div_zero 0
	.end_amdhsa_kernel
	.section	.text._ZN12_GLOBAL__N_139chunk_gated_delta_rule_fwd_h_hip_kernelILi64ELb1ELb1ELb1ELb1ELb1ELb0ELb0ELb1EEEvPK12hip_bfloat16S3_S3_PKfS5_PKvPS1_S8_PvPKiSB_iiiiilll,"axG",@progbits,_ZN12_GLOBAL__N_139chunk_gated_delta_rule_fwd_h_hip_kernelILi64ELb1ELb1ELb1ELb1ELb1ELb0ELb0ELb1EEEvPK12hip_bfloat16S3_S3_PKfS5_PKvPS1_S8_PvPKiSB_iiiiilll,comdat
.Lfunc_end49:
	.size	_ZN12_GLOBAL__N_139chunk_gated_delta_rule_fwd_h_hip_kernelILi64ELb1ELb1ELb1ELb1ELb1ELb0ELb0ELb1EEEvPK12hip_bfloat16S3_S3_PKfS5_PKvPS1_S8_PvPKiSB_iiiiilll, .Lfunc_end49-_ZN12_GLOBAL__N_139chunk_gated_delta_rule_fwd_h_hip_kernelILi64ELb1ELb1ELb1ELb1ELb1ELb0ELb0ELb1EEEvPK12hip_bfloat16S3_S3_PKfS5_PKvPS1_S8_PvPKiSB_iiiiilll
                                        ; -- End function
	.section	.AMDGPU.csdata,"",@progbits
; Kernel info:
; codeLenInByte = 12624
; NumSgprs: 73
; NumVgprs: 188
; NumAgprs: 36
; TotalNumVgprs: 224
; ScratchSize: 0
; MemoryBound: 0
; FloatMode: 240
; IeeeMode: 1
; LDSByteSize: 65536 bytes/workgroup (compile time only)
; SGPRBlocks: 9
; VGPRBlocks: 27
; NumSGPRsForWavesPerEU: 73
; NumVGPRsForWavesPerEU: 224
; AccumOffset: 188
; Occupancy: 1
; WaveLimiterHint : 1
; COMPUTE_PGM_RSRC2:SCRATCH_EN: 0
; COMPUTE_PGM_RSRC2:USER_SGPR: 2
; COMPUTE_PGM_RSRC2:TRAP_HANDLER: 0
; COMPUTE_PGM_RSRC2:TGID_X_EN: 1
; COMPUTE_PGM_RSRC2:TGID_Y_EN: 1
; COMPUTE_PGM_RSRC2:TGID_Z_EN: 0
; COMPUTE_PGM_RSRC2:TIDIG_COMP_CNT: 0
; COMPUTE_PGM_RSRC3_GFX90A:ACCUM_OFFSET: 46
; COMPUTE_PGM_RSRC3_GFX90A:TG_SPLIT: 0
	.section	.text._ZN12_GLOBAL__N_139chunk_gated_delta_rule_fwd_h_hip_kernelILi64ELb1ELb1ELb0ELb1ELb1ELb0ELb0ELb1EEEvPK12hip_bfloat16S3_S3_PKfS5_PKvPS1_S8_PvPKiSB_iiiiilll,"axG",@progbits,_ZN12_GLOBAL__N_139chunk_gated_delta_rule_fwd_h_hip_kernelILi64ELb1ELb1ELb0ELb1ELb1ELb0ELb0ELb1EEEvPK12hip_bfloat16S3_S3_PKfS5_PKvPS1_S8_PvPKiSB_iiiiilll,comdat
	.globl	_ZN12_GLOBAL__N_139chunk_gated_delta_rule_fwd_h_hip_kernelILi64ELb1ELb1ELb0ELb1ELb1ELb0ELb0ELb1EEEvPK12hip_bfloat16S3_S3_PKfS5_PKvPS1_S8_PvPKiSB_iiiiilll ; -- Begin function _ZN12_GLOBAL__N_139chunk_gated_delta_rule_fwd_h_hip_kernelILi64ELb1ELb1ELb0ELb1ELb1ELb0ELb0ELb1EEEvPK12hip_bfloat16S3_S3_PKfS5_PKvPS1_S8_PvPKiSB_iiiiilll
	.p2align	8
	.type	_ZN12_GLOBAL__N_139chunk_gated_delta_rule_fwd_h_hip_kernelILi64ELb1ELb1ELb0ELb1ELb1ELb0ELb0ELb1EEEvPK12hip_bfloat16S3_S3_PKfS5_PKvPS1_S8_PvPKiSB_iiiiilll,@function
_ZN12_GLOBAL__N_139chunk_gated_delta_rule_fwd_h_hip_kernelILi64ELb1ELb1ELb0ELb1ELb1ELb0ELb0ELb1EEEvPK12hip_bfloat16S3_S3_PKfS5_PKvPS1_S8_PvPKiSB_iiiiilll: ; @_ZN12_GLOBAL__N_139chunk_gated_delta_rule_fwd_h_hip_kernelILi64ELb1ELb1ELb0ELb1ELb1ELb0ELb0ELb1EEEvPK12hip_bfloat16S3_S3_PKfS5_PKvPS1_S8_PvPKiSB_iiiiilll
; %bb.0:
	s_load_dwordx4 s[16:19], s[0:1], 0x5c
	s_load_dwordx2 s[4:5], s[0:1], 0x50
	s_abs_i32 s7, s3
	s_ashr_i32 s6, s3, 31
	s_load_dwordx4 s[12:15], s[0:1], 0x40
	s_load_dwordx4 s[20:23], s[0:1], 0x28
	s_waitcnt lgkmcnt(0)
	s_abs_i32 s10, s17
	v_cvt_f32_u32_e32 v1, s10
	s_sub_i32 s8, 0, s10
	s_ashr_i32 s11, s17, 31
	s_xor_b32 s6, s6, s11
	v_rcp_iflag_f32_e32 v1, v1
	v_and_b32_e32 v86, 15, v0
	v_bfe_u32 v85, v0, 4, 2
	v_mov_b32_e32 v35, 0
	v_mul_f32_e32 v1, 0x4f7ffffe, v1
	v_cvt_u32_f32_e32 v1, v1
	v_lshlrev_b32_e32 v87, 3, v0
	v_readfirstlane_b32 s9, v1
	s_mul_i32 s8, s8, s9
	s_mul_hi_u32 s8, s9, s8
	s_add_i32 s9, s9, s8
	s_mul_hi_u32 s8, s7, s9
	s_mul_i32 s9, s8, s10
	s_sub_i32 s7, s7, s9
	s_add_i32 s24, s8, 1
	s_sub_i32 s9, s7, s10
	s_cmp_ge_u32 s7, s10
	s_cselect_b32 s8, s24, s8
	s_cselect_b32 s7, s9, s7
	s_add_i32 s9, s8, 1
	s_cmp_ge_u32 s7, s10
	s_cselect_b32 s7, s9, s8
	s_xor_b32 s7, s7, s6
	s_sub_i32 s28, s7, s6
	s_mul_i32 s24, s28, s17
	s_ashr_i32 s29, s28, 31
	s_sub_i32 s49, s3, s24
	s_lshl_b64 s[6:7], s[28:29], 2
	s_add_u32 s8, s14, s6
	s_addc_u32 s9, s15, s7
	s_add_u32 s30, s4, s6
	s_addc_u32 s31, s5, s7
	s_abs_i32 s3, s18
	v_cvt_f32_u32_e32 v1, s3
	s_load_dwordx2 s[36:37], s[8:9], 0x0
	s_sub_i32 s5, 0, s3
	s_lshl_b32 s2, s2, 6
	v_rcp_iflag_f32_e32 v1, v1
	v_or_b32_e32 v76, s2, v86
	s_waitcnt lgkmcnt(0)
	s_sub_i32 s52, s37, s36
	s_ashr_i32 s4, s52, 31
	v_mul_f32_e32 v1, 0x4f7ffffe, v1
	v_cvt_u32_f32_e32 v1, v1
	s_lshr_b32 s4, s4, 26
	s_add_i32 s4, s52, s4
	s_ashr_i32 s51, s4, 6
	v_readfirstlane_b32 s6, v1
	s_mul_i32 s5, s5, s6
	s_mul_hi_u32 s5, s6, s5
	s_add_i32 s6, s6, s5
	s_mul_hi_u32 s5, s10, s6
	s_mul_i32 s6, s5, s3
	s_ashr_i32 s4, s18, 31
	s_sub_i32 s6, s10, s6
	s_xor_b32 s4, s11, s4
	s_add_i32 s7, s5, 1
	s_sub_i32 s8, s6, s3
	s_cmp_ge_u32 s6, s3
	s_cselect_b32 s5, s7, s5
	s_cselect_b32 s6, s8, s6
	s_add_i32 s7, s5, 1
	s_cmp_ge_u32 s6, s3
	s_cselect_b32 s3, s7, s5
	s_xor_b32 s3, s3, s4
	s_sub_i32 s3, s3, s4
	s_abs_i32 s4, s3
	v_cvt_f32_u32_e32 v1, s4
	s_sub_i32 s6, 0, s4
	s_abs_i32 s5, s49
	s_xor_b32 s3, s49, s3
	v_rcp_iflag_f32_e32 v2, v1
	s_ashr_i32 s3, s3, 31
	v_lshrrev_b32_e32 v1, 6, v0
	v_lshlrev_b32_e32 v36, 7, v76
	v_mul_f32_e32 v2, 0x4f7ffffe, v2
	v_cvt_u32_f32_e32 v2, v2
	v_lshlrev_b32_e32 v84, 4, v1
	v_or_b32_e32 v38, 0x800, v36
	v_lshl_or_b32 v89, v85, 2, v84
	v_readfirstlane_b32 s7, v2
	s_mul_i32 s6, s6, s7
	s_mul_hi_u32 s6, s7, s6
	s_add_i32 s7, s7, s6
	s_mul_hi_u32 s6, s5, s7
	s_mul_i32 s7, s6, s4
	s_sub_i32 s5, s5, s7
	s_add_i32 s7, s6, 1
	s_sub_i32 s8, s5, s4
	s_cmp_ge_u32 s5, s4
	s_cselect_b32 s6, s7, s6
	s_cselect_b32 s5, s8, s5
	s_add_i32 s7, s6, 1
	s_cmp_ge_u32 s5, s4
	s_cselect_b32 s4, s7, s6
	s_xor_b32 s4, s4, s3
	s_sub_i32 s53, s4, s3
	s_ashr_i32 s50, s49, 31
	s_mul_hi_i32 s3, s28, s17
	s_add_u32 s4, s24, s49
	s_addc_u32 s5, s3, s50
	s_lshl_b64 s[14:15], s[4:5], 15
	s_add_u32 s4, s20, s14
	s_addc_u32 s5, s21, s15
	v_ashrrev_i32_e32 v37, 31, v36
	v_ashrrev_i32_e32 v39, 31, v38
	v_lshl_add_u64 v[2:3], v[36:37], 1, s[4:5]
	v_lshlrev_b32_e32 v34, 1, v89
	v_lshl_add_u64 v[6:7], v[38:39], 1, s[4:5]
	v_or_b32_e32 v40, 0x1000, v36
	v_or_b32_e32 v42, 0x1800, v36
	v_lshl_add_u64 v[2:3], v[2:3], 0, v[34:35]
	v_lshl_add_u64 v[6:7], v[6:7], 0, v[34:35]
	v_ashrrev_i32_e32 v41, 31, v40
	v_ashrrev_i32_e32 v43, 31, v42
	global_load_dwordx2 v[4:5], v[2:3], off
	v_lshl_add_u64 v[14:15], v[42:43], 1, s[4:5]
	global_load_dwordx2 v[2:3], v[2:3], off offset:128
	s_nop 0
	global_load_dwordx2 v[8:9], v[6:7], off
	global_load_dwordx2 v[10:11], v[6:7], off offset:128
	v_lshl_add_u64 v[6:7], v[40:41], 1, s[4:5]
	v_lshl_add_u64 v[6:7], v[6:7], 0, v[34:35]
	;; [unrolled: 1-line block ×3, first 2 shown]
	global_load_dwordx2 v[12:13], v[6:7], off
	v_and_b32_e32 v35, 63, v0
	global_load_dwordx2 v[6:7], v[6:7], off offset:128
	s_nop 0
	global_load_dwordx2 v[16:17], v[14:15], off
	global_load_dwordx2 v[18:19], v[14:15], off offset:128
	s_load_dwordx8 s[4:11], s[0:1], 0x0
	s_load_dwordx2 s[34:35], s[0:1], 0x80
	s_load_dwordx4 s[24:27], s[0:1], 0x70
	s_load_dword s56, s[30:31], 0x0
	v_lshrrev_b32_e32 v88, 3, v35
	v_or_b32_e32 v90, 64, v89
	s_mul_hi_i32 s54, s49, s16
	s_waitcnt lgkmcnt(0)
	s_mul_i32 s33, s28, s25
	s_mul_hi_u32 s44, s28, s24
	s_mul_i32 s55, s49, s16
	s_cmp_lt_i32 s52, 64
	s_mul_i32 s45, s29, s24
	s_mul_i32 s40, s28, s24
	;; [unrolled: 1-line block ×3, first 2 shown]
	s_mul_hi_u32 s47, s49, s26
	s_mul_i32 s48, s50, s26
	s_mul_i32 s38, s49, s26
	s_waitcnt vmcnt(7)
	v_and_b32_e32 v71, 0xffff0000, v4
	v_lshlrev_b32_e32 v70, 16, v4
	v_and_b32_e32 v75, 0xffff0000, v5
	v_lshlrev_b32_e32 v74, 16, v5
	s_waitcnt vmcnt(6)
	v_and_b32_e32 v69, 0xffff0000, v2
	v_lshlrev_b32_e32 v68, 16, v2
	v_and_b32_e32 v73, 0xffff0000, v3
	v_lshlrev_b32_e32 v72, 16, v3
	;; [unrolled: 5-line block ×8, first 2 shown]
	s_cbranch_scc1 .LBB50_18
; %bb.1:
	s_ashr_i32 s1, s36, 31
	s_add_u32 s0, s55, s36
	s_addc_u32 s1, s54, s1
	s_lshl_b64 s[0:1], s[0:1], 8
	v_and_b32_e32 v92, 56, v87
	s_add_u32 s24, s6, s0
	v_lshl_or_b32 v91, v1, 3, v88
	v_lshlrev_b32_e32 v2, 1, v92
	s_addc_u32 s0, s7, s1
	v_lshl_or_b32 v93, v91, 8, v2
	s_and_b32 s25, s0, 0xffff
	s_mov_b32 s27, 0x20000
	s_movk_i32 s26, 0x4000
	s_movk_i32 s0, 0x80
	v_or_b32_e32 v94, 0x2000, v93
	buffer_load_dwordx4 v[4:7], v93, s[24:27], 0 offen
	buffer_load_dwordx4 v[8:11], v93, s[24:27], s0 offen
	;; [unrolled: 1-line block ×4, first 2 shown]
	v_lshlrev_b32_e32 v3, 3, v91
	v_and_or_b32 v21, v0, 7, v3
	v_and_b32_e32 v3, 0x78, v3
	v_lshlrev_b32_e32 v21, 4, v21
	v_xor_b32_e32 v95, v21, v3
	v_mul_lo_u32 v20, v91, s19
	v_or_b32_e32 v96, 0x1000, v95
	v_xor_b32_e32 v3, 8, v95
	s_cmpk_eq_i32 s19, 0x80
	s_mov_b32 s57, s36
	v_xor_b32_e32 v21, 8, v96
	s_cselect_b64 s[0:1], -1, 0
	s_cmpk_lg_i32 s19, 0x80
	s_waitcnt vmcnt(3)
	ds_write_b64 v95, v[4:5] offset:49152
	ds_write_b64 v3, v[6:7] offset:49152
	s_waitcnt vmcnt(2)
	ds_write_b64 v95, v[8:9] offset:57344
	ds_write_b64 v3, v[10:11] offset:57344
	;; [unrolled: 3-line block ×4, first 2 shown]
	v_lshl_add_u32 v3, v20, 1, v92
	s_cbranch_scc0 .LBB50_3
; %bb.2:
	v_lshlrev_b32_e32 v5, 1, v3
	v_add_lshl_u32 v4, v3, s19, 1
	s_lshl_b32 s26, s19, 7
	v_lshl_or_b32 v2, v91, 9, v2
	s_cbranch_execz .LBB50_4
	s_branch .LBB50_5
.LBB50_3:
                                        ; implicit-def: $vgpr4
                                        ; implicit-def: $vgpr5
                                        ; implicit-def: $sgpr26
	v_lshl_or_b32 v2, v91, 9, v2
.LBB50_4:
	v_or_b32_e32 v4, 0x100, v2
	s_movk_i32 s26, 0x4000
	v_mov_b32_e32 v5, v2
.LBB50_5:
	s_mul_i32 s20, s36, s18
	s_ashr_i32 s58, s53, 31
	s_mul_hi_i32 s3, s36, s18
	s_add_u32 s20, s20, s53
	s_addc_u32 s21, s3, s58
	s_lshl_b64 s[20:21], s[20:21], 8
	s_add_u32 s24, s4, s20
	s_addc_u32 s3, s5, s21
	s_and_b32 s25, s3, 0xffff
	s_movk_i32 s59, 0x80
	buffer_load_dwordx4 v[6:9], v5, s[24:27], 0 offen
	buffer_load_dwordx4 v[10:13], v5, s[24:27], s59 offen
	;; [unrolled: 1-line block ×4, first 2 shown]
	v_and_b32_e32 v5, 6, v0
	v_lshlrev_b32_e32 v4, 7, v89
	v_xor_b32_e32 v27, v91, v5
	v_and_b32_e32 v22, 1, v0
	v_lshl_or_b32 v30, v86, 3, v4
	v_lshlrev_b32_e32 v27, 2, v27
	v_lshlrev_b32_e32 v23, 2, v86
	v_or_b32_e32 v97, 0x4000, v30
	v_or_b32_e32 v98, 0x6000, v30
	v_xor_b32_e32 v30, 0x440, v27
	v_cmp_eq_u32_e32 vcc, 0, v22
	v_or_b32_e32 v25, 16, v86
	v_or_b32_e32 v26, 32, v86
	v_xor_b32_e32 v28, v89, v23
	v_xor_b32_e32 v29, v90, v23
	v_cndmask_b32_e32 v22, v30, v27, vcc
	s_mov_b32 s60, 0x1000504
	v_lshl_or_b32 v31, v25, 3, v4
	v_lshlrev_b32_e32 v25, 8, v25
	v_lshl_or_b32 v32, v26, 3, v4
	v_lshlrev_b32_e32 v28, 1, v28
	v_lshlrev_b32_e32 v29, 1, v29
	v_lshl_or_b32 v5, v5, 10, v22
	s_add_i32 s3, s44, s33
	s_mov_b32 s61, 0x3020706
	v_lshlrev_b32_e32 v24, 8, v86
	v_or_b32_e32 v101, 0x4000, v32
	v_or_b32_e32 v102, 0x6000, v32
	;; [unrolled: 1-line block ×4, first 2 shown]
	v_xor_b32_e32 v22, 8, v5
	v_xor_b32_e32 v25, 24, v5
	;; [unrolled: 1-line block ×4, first 2 shown]
	s_add_i32 s41, s3, s45
	s_add_i32 s3, s47, s46
	v_or_b32_e32 v99, 0x4000, v31
	v_or_b32_e32 v100, 0x6000, v31
	v_or_b32_e32 v103, v24, v28
	v_or_b32_e32 v104, v24, v29
	v_xor_b32_e32 v24, 16, v5
	v_xor_b32_e32 v27, 32, v5
	;; [unrolled: 1-line block ×3, first 2 shown]
	v_add_u32_e32 v22, 0x80, v22
	v_add_u32_e32 v25, 0x80, v25
	;; [unrolled: 1-line block ×4, first 2 shown]
	s_add_i32 s39, s3, s48
	s_lshl_b64 s[20:21], s[40:41], 2
	s_add_u32 s3, s10, s20
	s_addc_u32 s24, s11, s21
	s_lshl_b64 s[20:21], s[38:39], 2
	s_add_u32 s20, s3, s20
	s_movk_i32 s3, 0xf8
	s_addc_u32 s21, s24, s21
	s_lshl_b32 s30, s19, 7
	s_movk_i32 s28, 0x100
	v_mov_b32_e32 v79, 0
	v_lshlrev_b32_e32 v78, 4, v86
	v_cmp_gt_u32_e32 vcc, s28, v0
	v_lshlrev_b32_e32 v26, 8, v26
	s_mov_b32 s62, 0
	s_movk_i32 s26, 0x4000
	v_or_b32_e32 v107, v26, v28
	v_or_b32_e32 v108, v26, v29
	s_movk_i32 s39, 0x2000
	s_movk_i32 s41, 0x3000
	s_waitcnt vmcnt(1)
	v_perm_b32 v33, v6, v14, s60
	s_waitcnt vmcnt(0)
	v_perm_b32 v77, v10, v18, s60
	v_perm_b32 v6, v6, v14, s61
	;; [unrolled: 1-line block ×15, first 2 shown]
	ds_write2st64_b32 v5, v33, v77 offset0:128 offset1:160
	ds_write2st64_b32 v22, v6, v10 offset0:128 offset1:160
	;; [unrolled: 1-line block ×8, first 2 shown]
	v_or_b32_e32 v5, 48, v86
	v_lshl_or_b32 v6, v5, 3, v4
	v_lshlrev_b32_e32 v5, 8, v5
	v_or_b32_e32 v111, v5, v28
	v_or_b32_e32 v112, v5, v29
	v_or_b32_e32 v5, v84, v86
	v_lshlrev_b32_e32 v5, 3, v5
	v_lshrrev_b32_e32 v7, 5, v35
	v_and_or_b32 v7, v5, s3, v7
	v_lshlrev_b32_e32 v7, 4, v7
	v_lshlrev_b32_e32 v8, 11, v1
	v_and_b32_e32 v5, 0x78, v5
	v_or_b32_e32 v13, 32, v7
	v_or_b32_e32 v109, 0x4000, v6
	;; [unrolled: 1-line block ×3, first 2 shown]
	v_and_b32_e32 v6, 0x1000, v8
	v_xor_b32_e32 v9, v7, v5
	v_lshrrev_b32_e32 v10, 1, v0
	v_xor_b32_e32 v13, v13, v5
	v_or_b32_e32 v9, v9, v6
	v_and_b32_e32 v11, 8, v10
	v_or_b32_e32 v13, v13, v6
	v_xor_b32_e32 v113, v9, v11
	v_lshlrev_b32_e32 v9, 8, v85
	v_xor_b32_e32 v115, v13, v11
	v_or_b32_e32 v13, 64, v7
	v_or_b32_e32 v7, 0x60, v7
	s_ashr_i32 s3, s2, 31
	v_or_b32_e32 v12, v9, v23
	v_xor_b32_e32 v13, v13, v5
	v_xor_b32_e32 v5, v7, v5
	s_lshl_b64 s[24:25], s[2:3], 8
	v_lshlrev_b32_e32 v12, 1, v12
	v_or_b32_e32 v13, v13, v6
	v_or_b32_e32 v5, v5, v6
	s_add_u32 s24, s22, s24
	v_lshlrev_b32_e32 v6, 1, v86
	v_or_b32_e32 v114, 0x4000, v12
	v_or_b32_e32 v116, 0x4080, v12
	;; [unrolled: 1-line block ×8, first 2 shown]
	v_lshrrev_b32_e32 v12, 4, v0
	s_addc_u32 s25, s23, s25
	v_or_b32_e32 v7, 1, v6
	v_mov_b32_e32 v16, 0xa000
	v_mov_b32_e32 v17, 0x8000
	v_xor_b32_e32 v119, v13, v11
	v_xor_b32_e32 v13, v12, v6
	;; [unrolled: 1-line block ×3, first 2 shown]
	v_lshl_add_u64 v[6:7], s[24:25], 0, v[78:79]
	v_lshlrev_b32_e32 v78, 8, v12
	v_cndmask_b32_e32 v16, v16, v17, vcc
	v_lshlrev_b32_e32 v17, 3, v1
	v_and_b32_e32 v10, 24, v10
	v_lshl_or_b32 v125, v13, 3, v78
	v_and_b32_e32 v13, 8, v0
	v_xor_b32_e32 v18, v17, v10
	v_or_b32_e32 v19, 0x440, v18
	v_cmp_eq_u32_e32 vcc, 0, v13
	v_and_b32_e32 v12, 7, v0
	v_lshl_or_b32 v126, v14, 3, v78
	v_cndmask_b32_e32 v13, v19, v18, vcc
	v_lshlrev_b32_e32 v14, 3, v12
	v_lshlrev_b32_e32 v12, 7, v12
	v_or_b32_e32 v13, v13, v8
	v_lshlrev_b32_e32 v15, 2, v0
	v_xad_u32 v127, v13, v14, v12
	v_or_b32_e32 v13, 32, v10
	v_and_or_b32 v9, v15, 60, v9
	v_xor_b32_e32 v13, v17, v13
	v_lshlrev_b32_e32 v9, 1, v9
	v_or_b32_e32 v15, 0x440, v13
	v_or_b32_e32 v128, 0x6000, v9
	v_cndmask_b32_e32 v13, v15, v13, vcc
	v_or_b32_e32 v130, 0x6080, v9
	v_or_b32_e32 v131, 0x6100, v9
	;; [unrolled: 1-line block ×5, first 2 shown]
	v_xor_b32_e32 v9, v17, v9
	v_xad_u32 v129, v13, v14, v12
	v_xor_b32_e32 v13, 0x440, v9
	v_cndmask_b32_e32 v9, v13, v9, vcc
	v_or_b32_e32 v9, v9, v8
	v_xad_u32 v133, v9, v14, v12
	v_or_b32_e32 v9, 0x60, v10
	v_xor_b32_e32 v9, v17, v9
	v_xor_b32_e32 v10, 0x440, v9
	v_cndmask_b32_e32 v9, v10, v9, vcc
	v_or_b32_e32 v8, v9, v8
	v_xor_b32_e32 v120, v5, v11
	v_ashrrev_i32_e32 v77, 31, v76
	v_lshlrev_b32_e32 v5, 1, v3
	v_add_lshl_u32 v3, v3, s19, 1
	v_or_b32_e32 v11, 0x100, v2
	v_xad_u32 v134, v8, v14, v12
	v_cndmask_b32_e64 v135, v5, v2, s[0:1]
	v_cndmask_b32_e64 v136, v3, v11, s[0:1]
	v_lshl_add_u64 v[80:81], v[76:77], 1, s[8:9]
	v_lshl_add_u64 v[82:83], v[6:7], 0, v[78:79]
	s_mov_b32 s3, 0x7060302
	v_lshlrev_b32_e32 v78, 1, v4
	v_add_u32_e32 v77, v16, v127
	v_add_u32_e32 v137, v16, v129
	;; [unrolled: 1-line block ×4, first 2 shown]
	s_waitcnt lgkmcnt(0)
	s_barrier
.LBB50_6:                               ; =>This Inner Loop Header: Depth=1
	s_add_i32 s63, s62, 1
	s_cmp_lt_i32 s63, s51
	s_mov_b64 s[28:29], 0
	s_cselect_b64 s[42:43], -1, 0
	s_cmp_ge_i32 s63, s51
	s_mov_b64 s[24:25], 0
	s_cbranch_scc1 .LBB50_8
; %bb.7:                                ;   in Loop: Header=BB50_6 Depth=1
	s_add_i32 s0, s57, 64
	s_ashr_i32 s1, s0, 31
	s_add_u32 s0, s55, s0
	s_addc_u32 s1, s54, s1
	s_lshl_b64 s[0:1], s[0:1], 8
	s_add_u32 s24, s6, s0
	s_addc_u32 s25, s7, s1
.LBB50_8:                               ;   in Loop: Header=BB50_6 Depth=1
	v_cndmask_b32_e64 v2, 0, 1, s[42:43]
	v_cmp_ne_u32_e64 s[0:1], 1, v2
	s_andn2_b64 vcc, exec, s[42:43]
	s_cbranch_vccnz .LBB50_10
; %bb.9:                                ;   in Loop: Header=BB50_6 Depth=1
	s_add_i32 s28, s57, 64
	s_mul_hi_i32 s29, s28, s18
	s_mul_i32 s28, s28, s18
	s_add_u32 s28, s28, s53
	s_addc_u32 s29, s29, s58
	s_lshl_b64 s[28:29], s[28:29], 8
	s_add_u32 s28, s4, s28
	s_addc_u32 s29, s5, s29
.LBB50_10:                              ;   in Loop: Header=BB50_6 Depth=1
	v_perm_b32 v3, v75, v74, s3
	v_perm_b32 v2, v71, v70, s3
	v_perm_b32 v5, v73, v72, s3
	v_perm_b32 v4, v69, v68, s3
	ds_write_b64 v97, v[2:3]
	ds_write_b64 v98, v[4:5]
	ds_write_b64 v103, v[2:3]
	ds_write_b64 v104, v[4:5]
	v_perm_b32 v3, v67, v66, s3
	v_perm_b32 v2, v63, v62, s3
	v_perm_b32 v5, v65, v64, s3
	v_perm_b32 v4, v61, v60, s3
	ds_write_b64 v99, v[2:3]
	ds_write_b64 v100, v[4:5]
	ds_write_b64 v105, v[2:3]
	ds_write_b64 v106, v[4:5]
	;; [unrolled: 8-line block ×4, first 2 shown]
	s_waitcnt lgkmcnt(0)
	s_barrier
	ds_read_b64 v[6:7], v113 offset:49152
	ds_read2_b64 v[2:5], v114 offset1:16
	ds_read_b64 v[18:19], v116 offset:6144
	ds_read_b64 v[20:21], v114 offset:6144
	s_waitcnt lgkmcnt(2)
	v_mfma_f32_16x16x16_bf16 a[0:3], v[6:7], v[2:3], 0
	ds_read_b64 v[22:23], v115 offset:49152
	ds_read2st64_b64 v[10:13], v117 offset0:4 offset1:8
	ds_read2st64_b64 v[14:17], v118 offset0:4 offset1:8
	v_mfma_f32_16x16x16_bf16 a[4:7], v[6:7], v[4:5], 0
	ds_read2_b64 v[2:5], v114 offset0:32 offset1:48
	s_add_i32 s31, s57, 63
	s_ashr_i32 s42, s31, 31
	s_waitcnt lgkmcnt(0)
	v_mfma_f32_16x16x16_bf16 a[8:11], v[6:7], v[2:3], 0
	s_mul_i32 s43, s31, s35
	s_mul_hi_u32 s64, s31, s34
	s_add_i32 s43, s64, s43
	v_mfma_f32_16x16x16_bf16 a[12:15], v[6:7], v[4:5], 0
	ds_read2st64_b64 v[2:5], v114 offset0:4 offset1:8
	ds_read2st64_b64 v[6:9], v116 offset0:4 offset1:8
	s_mul_i32 s42, s42, s34
	s_waitcnt lgkmcnt(1)
	v_mfma_f32_16x16x16_bf16 a[0:3], v[22:23], v[2:3], a[0:3]
	s_add_i32 s43, s43, s42
	s_mul_i32 s42, s31, s34
	s_lshl_b64 s[42:43], s[42:43], 2
	s_waitcnt lgkmcnt(0)
	v_mfma_f32_16x16x16_bf16 a[4:7], v[22:23], v[6:7], a[4:7]
	s_add_u32 s42, s20, s42
	s_addc_u32 s43, s21, s43
	s_and_b64 vcc, exec, s[0:1]
	v_mfma_f32_16x16x16_bf16 a[8:11], v[22:23], v[10:11], a[8:11]
	ds_read_b64 v[2:3], v119 offset:49152
	ds_read_b64 v[6:7], v120 offset:49152
	;; [unrolled: 1-line block ×3, first 2 shown]
	v_mov_b32_e32 v142, 0
	v_mov_b32_e32 v141, 0
	v_mfma_f32_16x16x16_bf16 a[12:15], v[22:23], v[14:15], a[12:15]
	v_mov_b32_e32 v140, 0
	v_mov_b32_e32 v14, 0
	;; [unrolled: 1-line block ×3, first 2 shown]
	s_waitcnt lgkmcnt(2)
	v_mfma_f32_16x16x16_bf16 a[0:3], v[2:3], v[4:5], a[0:3]
	v_mov_b32_e32 v4, 0
	v_mov_b32_e32 v5, 0
	v_mfma_f32_16x16x16_bf16 a[16:19], v[2:3], v[8:9], a[4:7]
	v_mov_b32_e32 v8, 0
	v_mov_b32_e32 v9, 0
	;; [unrolled: 3-line block ×3, first 2 shown]
	v_mfma_f32_16x16x16_bf16 a[24:27], v[2:3], v[16:17], a[12:15]
	ds_read_b64 v[2:3], v117 offset:6144
	v_mov_b32_e32 v16, 0
	v_mov_b32_e32 v17, 0
	s_waitcnt lgkmcnt(2)
	v_mfma_f32_16x16x16_bf16 a[4:7], v[6:7], v[20:21], a[0:3]
	v_mfma_f32_16x16x16_bf16 a[8:11], v[6:7], v[18:19], a[16:19]
	s_waitcnt lgkmcnt(0)
	v_mfma_f32_16x16x16_bf16 a[12:15], v[6:7], v[2:3], a[20:23]
	v_mov_b32_e32 v2, 0
	v_mov_b32_e32 v3, 0
	v_mfma_f32_16x16x16_bf16 a[0:3], v[6:7], v[10:11], a[24:27]
	v_mov_b32_e32 v6, 0
	v_mov_b32_e32 v7, 0
	;; [unrolled: 1-line block ×4, first 2 shown]
	s_cbranch_vccnz .LBB50_12
; %bb.11:                               ;   in Loop: Header=BB50_6 Depth=1
	s_and_b32 s25, s25, 0xffff
	buffer_load_dwordx4 v[14:17], v93, s[24:27], 0 offen
	buffer_load_dwordx4 v[10:13], v93, s[24:27], s59 offen
	;; [unrolled: 1-line block ×4, first 2 shown]
	v_mov_b32_e32 v141, v95
	v_mov_b32_e32 v140, v96
.LBB50_12:                              ;   in Loop: Header=BB50_6 Depth=1
	ds_read_b64 v[144:145], v113 offset:57344
	ds_read2_b64 v[18:21], v121 offset1:16
	ds_read_b64 v[146:147], v115 offset:57344
	ds_read_b64 v[148:149], v119 offset:57344
	;; [unrolled: 1-line block ×3, first 2 shown]
	v_add_u32_e32 v143, s57, v89
	s_waitcnt lgkmcnt(3)
	v_mfma_f32_16x16x16_bf16 a[4:7], v[144:145], v[18:19], a[4:7]
	v_mfma_f32_16x16x16_bf16 a[8:11], v[144:145], v[20:21], a[8:11]
	ds_read2_b64 v[18:21], v121 offset0:32 offset1:48
	ds_read2st64_b64 v[22:25], v121 offset0:4 offset1:8
	ds_read2st64_b64 v[26:29], v122 offset0:4 offset1:8
	;; [unrolled: 1-line block ×3, first 2 shown]
	s_waitcnt lgkmcnt(3)
	v_mfma_f32_16x16x16_bf16 a[12:15], v[144:145], v[18:19], a[12:15]
	v_ashrrev_i32_e32 v18, 31, v143
	v_mfma_f32_16x16x16_bf16 a[0:3], v[144:145], v[20:21], a[0:3]
	v_mul_lo_u32 v20, v18, s34
	v_mul_lo_u32 v21, v143, s35
	v_mad_u64_u32 v[18:19], s[24:25], v143, s34, 0
	v_add3_u32 v19, v19, v21, v20
	v_add_u32_e32 v20, 1, v143
	v_ashrrev_i32_e32 v21, 31, v20
	s_waitcnt lgkmcnt(2)
	v_mfma_f32_16x16x16_bf16 a[4:7], v[146:147], v[22:23], a[4:7]
	v_mul_lo_u32 v22, v21, s34
	v_mul_lo_u32 v23, v20, s35
	v_mad_u64_u32 v[20:21], s[24:25], v20, s34, 0
	v_add3_u32 v21, v21, v23, v22
	v_add_u32_e32 v22, 2, v143
	v_ashrrev_i32_e32 v23, 31, v22
	s_waitcnt lgkmcnt(1)
	v_mfma_f32_16x16x16_bf16 a[8:11], v[146:147], v[26:27], a[8:11]
	v_mul_lo_u32 v26, v23, s34
	v_mul_lo_u32 v27, v22, s35
	v_mad_u64_u32 v[22:23], s[24:25], v22, s34, 0
	v_add3_u32 v23, v23, v27, v26
	v_add_u32_e32 v26, 3, v143
	v_ashrrev_i32_e32 v27, 31, v26
	v_mul_lo_u32 v143, v27, s34
	v_mul_lo_u32 v144, v26, s35
	v_mad_u64_u32 v[26:27], s[24:25], v26, s34, 0
	s_ashr_i32 s25, s57, 31
	s_add_u32 s24, s55, s57
	s_addc_u32 s25, s54, s25
	v_lshl_add_u64 v[18:19], v[18:19], 2, s[20:21]
	v_add3_u32 v27, v27, v144, v143
	s_lshl_b64 s[24:25], s[24:25], 8
	v_lshl_add_u64 v[20:21], v[20:21], 2, s[20:21]
	v_lshl_add_u64 v[22:23], v[22:23], 2, s[20:21]
	;; [unrolled: 1-line block ×3, first 2 shown]
	global_load_dword v143, v[18:19], off
	global_load_dword v144, v[20:21], off
	;; [unrolled: 1-line block ×4, first 2 shown]
	v_lshl_add_u64 v[18:19], v[80:81], 0, s[24:25]
	v_lshl_add_u64 v[22:23], v[18:19], 0, v[78:79]
	global_load_ushort v153, v[22:23], off offset:256
	global_load_ushort v154, v[22:23], off
	ds_read2st64_b64 v[18:21], v124 offset0:4 offset1:8
	global_load_ushort v155, v[22:23], off offset:768
	global_load_ushort v156, v[22:23], off offset:512
	s_waitcnt lgkmcnt(1)
	v_mfma_f32_16x16x16_bf16 a[12:15], v[146:147], v[30:31], a[12:15]
	s_and_b64 vcc, exec, s[0:1]
	s_waitcnt vmcnt(3)
	v_lshlrev_b32_e32 v31, 16, v153
	s_waitcnt lgkmcnt(0)
	v_mfma_f32_16x16x16_bf16 a[0:3], v[146:147], v[18:19], a[0:3]
	global_load_ushort v146, v[22:23], off offset:288
	global_load_ushort v147, v[22:23], off offset:32
	;; [unrolled: 1-line block ×8, first 2 shown]
	v_mfma_f32_16x16x16_bf16 a[4:7], v[148:149], v[24:25], a[4:7]
	ds_read_b64 v[18:19], v121 offset:6144
	s_waitcnt vmcnt(10)
	v_lshlrev_b32_e32 v30, 16, v154
	v_mfma_f32_16x16x16_bf16 a[8:11], v[148:149], v[28:29], a[8:11]
	v_mfma_f32_16x16x16_bf16 a[12:15], v[148:149], v[32:33], a[12:15]
	v_mfma_f32_16x16x16_bf16 a[0:3], v[148:149], v[20:21], a[0:3]
	global_load_ushort v148, v[22:23], off offset:352
	global_load_ushort v149, v[22:23], off offset:96
	ds_read_b64 v[20:21], v122 offset:6144
	ds_read_b64 v[24:25], v123 offset:6144
	;; [unrolled: 1-line block ×3, first 2 shown]
	global_load_ushort v163, v[22:23], off offset:864
	global_load_ushort v164, v[22:23], off offset:608
	s_load_dword s24, s[42:43], 0x0
	s_waitcnt lgkmcnt(0)
	v_mfma_f32_16x16x16_bf16 a[4:7], v[150:151], v[18:19], a[4:7]
	v_sub_f32_e32 v28, s24, v145
	v_mfma_f32_16x16x16_bf16 a[0:3], v[150:151], v[26:27], a[0:3]
	v_sub_f32_e32 v26, s24, v143
	v_sub_f32_e32 v27, s24, v144
	v_sub_f32_e32 v29, s24, v152
	v_mfma_f32_16x16x16_bf16 a[8:11], v[150:151], v[20:21], a[8:11]
	v_exp_f32_e32 v26, v26
	v_exp_f32_e32 v27, v27
	;; [unrolled: 1-line block ×4, first 2 shown]
	v_accvgpr_read_b32 v33, a5
	v_accvgpr_read_b32 v32, a4
	;; [unrolled: 1-line block ×4, first 2 shown]
	v_pk_add_f32 v[30:31], v[30:31], v[32:33] neg_lo:[0,1] neg_hi:[0,1]
	s_waitcnt vmcnt(13)
	v_lshlrev_b32_e32 v33, 16, v155
	s_waitcnt vmcnt(12)
	v_lshlrev_b32_e32 v32, 16, v156
	v_pk_add_f32 v[18:19], v[32:33], v[18:19] neg_lo:[0,1] neg_hi:[0,1]
	v_pk_mul_f32 v[30:31], v[26:27], v[30:31]
	v_pk_mul_f32 v[18:19], v[28:29], v[18:19]
	v_accvgpr_read_b32 v33, a9
	v_perm_b32 v19, v19, v18, s3
	v_perm_b32 v18, v31, v30, s3
	v_accvgpr_read_b32 v32, a8
	v_accvgpr_read_b32 v21, a11
	v_mfma_f32_16x16x16_bf16 a[12:15], v[150:151], v[24:25], a[12:15]
	v_accvgpr_read_b32 v20, a10
	v_accvgpr_read_b32 v25, a3
	;; [unrolled: 1-line block ×3, first 2 shown]
	v_mov_b32_e32 v143, 0
	s_waitcnt vmcnt(11)
	v_lshlrev_b32_e32 v31, 16, v146
	s_waitcnt vmcnt(10)
	v_lshlrev_b32_e32 v30, 16, v147
	v_pk_add_f32 v[30:31], v[30:31], v[32:33] neg_lo:[0,1] neg_hi:[0,1]
	s_waitcnt vmcnt(9)
	v_lshlrev_b32_e32 v33, 16, v157
	s_waitcnt vmcnt(8)
	v_lshlrev_b32_e32 v32, 16, v158
	v_pk_add_f32 v[20:21], v[32:33], v[20:21] neg_lo:[0,1] neg_hi:[0,1]
	v_pk_mul_f32 v[30:31], v[26:27], v[30:31]
	v_pk_mul_f32 v[20:21], v[28:29], v[20:21]
	v_accvgpr_read_b32 v23, a15
	v_perm_b32 v21, v21, v20, s3
	v_perm_b32 v20, v31, v30, s3
	ds_write2_b64 v98, v[18:19], v[20:21] offset1:16
	v_accvgpr_read_b32 v21, a13
	s_waitcnt vmcnt(7)
	v_lshlrev_b32_e32 v19, 16, v159
	s_waitcnt vmcnt(6)
	v_lshlrev_b32_e32 v18, 16, v160
	v_accvgpr_read_b32 v20, a12
	v_accvgpr_read_b32 v22, a14
	v_pk_add_f32 v[18:19], v[18:19], v[20:21] neg_lo:[0,1] neg_hi:[0,1]
	s_waitcnt vmcnt(5)
	v_lshlrev_b32_e32 v21, 16, v161
	s_waitcnt vmcnt(4)
	v_lshlrev_b32_e32 v20, 16, v162
	v_pk_add_f32 v[20:21], v[20:21], v[22:23] neg_lo:[0,1] neg_hi:[0,1]
	v_pk_mul_f32 v[18:19], v[26:27], v[18:19]
	v_pk_mul_f32 v[20:21], v[28:29], v[20:21]
	v_accvgpr_read_b32 v23, a1
	v_perm_b32 v21, v21, v20, s3
	v_perm_b32 v20, v19, v18, s3
	s_waitcnt vmcnt(3)
	v_lshlrev_b32_e32 v19, 16, v148
	s_waitcnt vmcnt(2)
	v_lshlrev_b32_e32 v18, 16, v149
	v_accvgpr_read_b32 v22, a0
	v_pk_add_f32 v[18:19], v[18:19], v[22:23] neg_lo:[0,1] neg_hi:[0,1]
	s_waitcnt vmcnt(1)
	v_lshlrev_b32_e32 v23, 16, v163
	s_waitcnt vmcnt(0)
	v_lshlrev_b32_e32 v22, 16, v164
	v_pk_add_f32 v[22:23], v[22:23], v[24:25] neg_lo:[0,1] neg_hi:[0,1]
	v_pk_mul_f32 v[18:19], v[26:27], v[18:19]
	v_pk_mul_f32 v[22:23], v[28:29], v[22:23]
	v_mov_b32_e32 v24, 0
	v_perm_b32 v23, v23, v22, s3
	v_perm_b32 v22, v19, v18, s3
	ds_write2_b64 v98, v[20:21], v[22:23] offset0:32 offset1:48
	v_mov_b32_e32 v18, 0
	v_mov_b32_e32 v19, 0
	;; [unrolled: 1-line block ×15, first 2 shown]
	s_cbranch_vccnz .LBB50_14
; %bb.13:                               ;   in Loop: Header=BB50_6 Depth=1
	s_and_b32 s29, s29, 0xffff
	s_mov_b32 s31, s27
	buffer_load_dwordx4 v[30:33], v135, s[28:31], 0 offen
	buffer_load_dwordx4 v[22:25], v135, s[28:31], s59 offen
	;; [unrolled: 1-line block ×4, first 2 shown]
	v_mov_b32_e32 v142, v92
	v_mov_b32_e32 v143, v91
.LBB50_14:                              ;   in Loop: Header=BB50_6 Depth=1
	s_waitcnt lgkmcnt(0)
	s_barrier
	ds_read_b64 v[152:153], v77
	ds_read2_b64 v[144:147], v128 offset1:16
	ds_read_b64 v[168:169], v137
	ds_read_b64 v[170:171], v138
	;; [unrolled: 1-line block ×3, first 2 shown]
	ds_read2_b64 v[148:151], v128 offset0:32 offset1:48
	s_waitcnt lgkmcnt(4)
	v_mfma_f32_16x16x16_bf16 a[0:3], v[152:153], v[144:145], 0
	ds_read2st64_b64 v[156:159], v130 offset0:4 offset1:8
	ds_read2st64_b64 v[160:163], v131 offset0:4 offset1:8
	;; [unrolled: 1-line block ×3, first 2 shown]
	v_mfma_f32_16x16x16_bf16 a[4:7], v[152:153], v[146:147], 0
	s_add_i32 s25, s56, s62
	s_mul_hi_i32 s29, s25, s17
	s_mul_i32 s25, s25, s17
	s_waitcnt lgkmcnt(3)
	v_mfma_f32_16x16x16_bf16 a[8:11], v[152:153], v[148:149], 0
	s_add_u32 s28, s25, s49
	s_addc_u32 s29, s29, s50
	s_lshl_b64 s[28:29], s[28:29], 15
	v_mfma_f32_16x16x16_bf16 a[12:15], v[152:153], v[150:151], 0
	ds_read2st64_b64 v[152:155], v128 offset0:4 offset1:8
	s_waitcnt lgkmcnt(0)
	v_mfma_f32_16x16x16_bf16 a[0:3], v[168:169], v[152:153], a[0:3]
	v_mfma_f32_16x16x16_bf16 a[4:7], v[168:169], v[156:157], a[4:7]
	;; [unrolled: 1-line block ×8, first 2 shown]
	ds_read_b64 v[168:169], v128 offset:6144
	ds_read_b64 v[170:171], v129 offset:40960
	ds_read_b64 v[174:175], v127 offset:40960
	ds_read_b64 v[176:177], v130 offset:6144
	ds_read_b64 v[178:179], v131 offset:6144
	ds_read_b64 v[180:181], v132 offset:6144
	ds_read_b64 v[182:183], v133 offset:40960
	ds_read_b64 v[184:185], v134 offset:40960
	s_waitcnt lgkmcnt(5)
	v_mfma_f32_16x16x16_bf16 a[16:19], v[174:175], v[144:145], 0
	v_mfma_f32_16x16x16_bf16 a[20:23], v[174:175], v[146:147], 0
	ds_read2st64_b64 v[144:147], v125 offset1:8
	v_mfma_f32_16x16x16_bf16 a[24:27], v[174:175], v[148:149], 0
	v_mfma_f32_16x16x16_bf16 a[28:31], v[174:175], v[150:151], 0
	ds_read2st64_b64 v[148:151], v126 offset1:8
	v_mfma_f32_16x16x16_bf16 a[16:19], v[170:171], v[152:153], a[16:19]
	s_waitcnt lgkmcnt(1)
	v_mov_b32_e32 v152, v144
	v_mov_b32_e32 v153, v145
	v_mfma_f32_16x16x16_bf16 a[20:23], v[170:171], v[156:157], a[20:23]
	v_lshl_add_u64 v[156:157], v[82:83], 0, s[28:29]
	v_mfma_f32_16x16x16_bf16 a[24:27], v[170:171], v[160:161], a[24:27]
	v_mfma_f32_16x16x16_bf16 a[28:31], v[170:171], v[164:165], a[28:31]
	;; [unrolled: 1-line block ×3, first 2 shown]
	s_waitcnt lgkmcnt(0)
	v_mov_b32_e32 v154, v148
	v_mov_b32_e32 v155, v149
	v_mov_b32_e32 v148, v146
	v_mfma_f32_16x16x16_bf16 a[32:35], v[182:183], v[158:159], a[20:23]
	v_mov_b32_e32 v149, v147
	ds_read2st64_b64 v[144:147], v125 offset0:16 offset1:24
	global_store_dwordx4 v[156:157], v[152:155], off
	v_mfma_f32_16x16x16_bf16 a[24:27], v[182:183], v[162:163], a[24:27]
	ds_read2st64_b64 v[152:155], v126 offset0:16 offset1:24
	v_add_co_u32_e32 v158, vcc, s39, v156
	v_mfma_f32_16x16x16_bf16 a[28:31], v[182:183], v[166:167], a[28:31]
	s_nop 0
	v_addc_co_u32_e32 v159, vcc, 0, v157, vcc
	global_store_dwordx4 v[158:159], v[148:151], off offset:-4096
	v_mfma_f32_16x16x16_bf16 a[0:3], v[172:173], v[168:169], a[0:3]
	s_waitcnt lgkmcnt(1)
	v_mov_b32_e32 v148, v144
	v_add_co_u32_e32 v144, vcc, s41, v156
	v_mfma_f32_16x16x16_bf16 a[4:7], v[172:173], v[176:177], a[4:7]
	v_mov_b32_e32 v149, v145
	v_addc_co_u32_e32 v145, vcc, 0, v157, vcc
	v_mfma_f32_16x16x16_bf16 a[8:11], v[172:173], v[178:179], a[8:11]
	s_waitcnt lgkmcnt(0)
	v_mov_b32_e32 v150, v152
	v_mov_b32_e32 v151, v153
	;; [unrolled: 1-line block ×3, first 2 shown]
	v_mfma_f32_16x16x16_bf16 a[12:15], v[172:173], v[180:181], a[12:15]
	v_mov_b32_e32 v153, v147
	s_and_b64 vcc, exec, s[0:1]
	global_store_dwordx4 v[158:159], v[148:151], off
	v_mfma_f32_16x16x16_bf16 a[20:23], v[184:185], v[168:169], a[16:19]
	global_store_dwordx4 v[144:145], v[152:155], off
	v_mfma_f32_16x16x16_bf16 a[16:19], v[184:185], v[176:177], a[32:35]
	v_mfma_f32_16x16x16_bf16 a[24:27], v[184:185], v[178:179], a[24:27]
	;; [unrolled: 1-line block ×3, first 2 shown]
	s_cbranch_vccnz .LBB50_16
; %bb.15:                               ;   in Loop: Header=BB50_6 Depth=1
	v_lshrrev_b32_e32 v144, 3, v142
	v_and_b32_e32 v144, 6, v144
	v_xor_b32_e32 v143, v144, v143
	v_lshlrev_b32_e32 v143, 2, v143
	v_and_b32_e32 v142, 8, v142
	v_xor_b32_e32 v145, 0x440, v143
	v_cmp_eq_u32_e32 vcc, 0, v142
	s_barrier
	s_nop 0
	v_cndmask_b32_e32 v142, v145, v143, vcc
	v_lshl_or_b32 v142, v144, 10, v142
	s_waitcnt vmcnt(5)
	v_perm_b32 v143, v30, v26, s60
	s_waitcnt vmcnt(4)
	v_perm_b32 v144, v22, v18, s60
	ds_write2st64_b32 v142, v143, v144 offset0:128 offset1:160
	v_xor_b32_e32 v143, 8, v142
	v_perm_b32 v26, v30, v26, s61
	v_perm_b32 v18, v22, v18, s61
	v_add_u32_e32 v22, 0x80, v143
	ds_write2st64_b32 v22, v26, v18 offset0:128 offset1:160
	v_xor_b32_e32 v18, 16, v142
	v_perm_b32 v22, v31, v27, s60
	v_perm_b32 v26, v23, v19, s60
	ds_write2st64_b32 v18, v22, v26 offset0:129 offset1:161
	v_xor_b32_e32 v18, 24, v142
	v_perm_b32 v22, v31, v27, s61
	v_perm_b32 v19, v23, v19, s61
	v_add_u32_e32 v18, 0x80, v18
	ds_write2st64_b32 v18, v22, v19 offset0:129 offset1:161
	v_xor_b32_e32 v18, 32, v142
	v_perm_b32 v19, v32, v28, s60
	;; [unrolled: 9-line block ×3, first 2 shown]
	v_perm_b32 v20, v25, v21, s60
	ds_write2st64_b32 v18, v19, v20 offset0:131 offset1:163
	v_xor_b32_e32 v18, 56, v142
	v_perm_b32 v19, v33, v29, s61
	v_perm_b32 v20, v25, v21, s61
	v_add_u32_e32 v18, 0x80, v18
	ds_write2st64_b32 v18, v19, v20 offset0:131 offset1:163
	ds_write_b64 v141, v[14:15] offset:49152
	v_xor_b32_e32 v14, 8, v141
	ds_write_b64 v14, v[16:17] offset:49152
	ds_write_b64 v141, v[10:11] offset:57344
	;; [unrolled: 1-line block ×4, first 2 shown]
	v_xor_b32_e32 v6, 8, v140
	ds_write_b64 v6, v[8:9] offset:49152
	ds_write_b64 v140, v[2:3] offset:57344
	;; [unrolled: 1-line block ×3, first 2 shown]
.LBB50_16:                              ;   in Loop: Header=BB50_6 Depth=1
	v_exp_f32_e32 v140, s24
	v_accvgpr_read_b32 v5, a3
	v_accvgpr_read_b32 v9, a7
	;; [unrolled: 1-line block ×4, first 2 shown]
	s_waitcnt vmcnt(4)
	v_accvgpr_read_b32 v18, a20
	v_accvgpr_read_b32 v25, a19
	v_accvgpr_read_b32 v29, a27
	v_accvgpr_read_b32 v33, a31
	v_accvgpr_read_b32 v4, a2
	v_accvgpr_read_b32 v3, a1
	v_accvgpr_read_b32 v2, a0
	v_accvgpr_read_b32 v8, a6
	v_accvgpr_read_b32 v7, a5
	v_accvgpr_read_b32 v6, a4
	v_accvgpr_read_b32 v12, a10
	v_accvgpr_read_b32 v11, a9
	v_accvgpr_read_b32 v10, a8
	v_accvgpr_read_b32 v16, a14
	v_accvgpr_read_b32 v15, a13
	v_accvgpr_read_b32 v14, a12
	v_accvgpr_read_b32 v19, a21
	v_accvgpr_read_b32 v20, a22
	v_accvgpr_read_b32 v21, a23
	v_accvgpr_read_b32 v24, a18
	v_accvgpr_read_b32 v23, a17
	v_accvgpr_read_b32 v22, a16
	v_accvgpr_read_b32 v28, a26
	v_accvgpr_read_b32 v27, a25
	v_accvgpr_read_b32 v26, a24
	v_accvgpr_read_b32 v32, a30
	v_accvgpr_read_b32 v31, a29
	v_accvgpr_read_b32 v30, a28
	s_add_i32 s57, s57, 64
	v_pk_fma_f32 v[70:71], v[70:71], v[140:141], v[2:3] op_sel_hi:[1,0,1]
	v_pk_fma_f32 v[74:75], v[74:75], v[140:141], v[4:5] op_sel_hi:[1,0,1]
	v_pk_fma_f32 v[62:63], v[62:63], v[140:141], v[6:7] op_sel_hi:[1,0,1]
	v_pk_fma_f32 v[66:67], v[66:67], v[140:141], v[8:9] op_sel_hi:[1,0,1]
	v_pk_fma_f32 v[54:55], v[54:55], v[140:141], v[10:11] op_sel_hi:[1,0,1]
	v_pk_fma_f32 v[58:59], v[58:59], v[140:141], v[12:13] op_sel_hi:[1,0,1]
	v_pk_fma_f32 v[46:47], v[46:47], v[140:141], v[14:15] op_sel_hi:[1,0,1]
	v_pk_fma_f32 v[52:53], v[52:53], v[140:141], v[16:17] op_sel_hi:[1,0,1]
	v_pk_fma_f32 v[68:69], v[68:69], v[140:141], v[18:19] op_sel_hi:[1,0,1]
	v_pk_fma_f32 v[72:73], v[72:73], v[140:141], v[20:21] op_sel_hi:[1,0,1]
	v_pk_fma_f32 v[60:61], v[60:61], v[140:141], v[22:23] op_sel_hi:[1,0,1]
	v_pk_fma_f32 v[64:65], v[64:65], v[140:141], v[24:25] op_sel_hi:[1,0,1]
	v_pk_fma_f32 v[50:51], v[50:51], v[140:141], v[26:27] op_sel_hi:[1,0,1]
	v_pk_fma_f32 v[56:57], v[56:57], v[140:141], v[28:29] op_sel_hi:[1,0,1]
	v_pk_fma_f32 v[44:45], v[44:45], v[140:141], v[30:31] op_sel_hi:[1,0,1]
	s_cmp_eq_u32 s51, s63
	v_pk_fma_f32 v[48:49], v[48:49], v[140:141], v[32:33] op_sel_hi:[1,0,1]
	s_cbranch_scc1 .LBB50_18
; %bb.17:                               ;   in Loop: Header=BB50_6 Depth=1
	s_mov_b32 s62, s63
	s_branch .LBB50_6
.LBB50_18:
	s_lshl_b32 s30, s51, 6
	s_sub_i32 s31, s52, s30
	s_cmp_gt_i32 s31, 0
	s_cbranch_scc0 .LBB50_99
; %bb.19:
	s_add_i32 s30, s30, s36
	s_ashr_i32 s3, s30, 31
	s_cmpk_lg_i32 s19, 0x80
	s_cselect_b64 s[26:27], -1, 0
	s_and_b64 vcc, exec, s[26:27]
	s_cbranch_vccz .LBB50_21
; %bb.20:
	s_mul_hi_i32 s0, s30, s18
	s_mul_i32 s1, s30, s18
	s_ashr_i32 s18, s53, 31
	s_add_u32 s28, s1, s53
	s_addc_u32 s29, s0, s18
	s_cbranch_execz .LBB50_22
	s_branch .LBB50_23
.LBB50_21:
                                        ; implicit-def: $sgpr28_sgpr29
.LBB50_22:
	s_mul_i32 s1, s53, s16
	s_mul_hi_i32 s0, s53, s16
	s_add_u32 s28, s1, s30
	s_addc_u32 s29, s0, s3
.LBB50_23:
	s_add_i32 s16, s51, s56
	s_add_u32 s0, s55, s30
	v_lshlrev_b32_e32 v6, 6, v89
	v_lshlrev_b32_e32 v24, 2, v86
	s_addc_u32 s1, s54, s3
	s_mov_b32 s3, 0x7060302
	v_or_b32_e32 v9, v6, v24
	v_xor_b32_e32 v7, v89, v24
	v_perm_b32 v3, v75, v74, s3
	v_perm_b32 v2, v71, v70, s3
	;; [unrolled: 1-line block ×4, first 2 shown]
	v_lshlrev_b32_e32 v9, 1, v9
	v_xor_b32_e32 v8, v90, v24
	ds_write2st64_b64 v9, v[2:3], v[4:5] offset0:32 offset1:48
	v_lshlrev_b32_e32 v7, 1, v7
	v_lshlrev_b32_e32 v9, 8, v86
	v_or_b32_e32 v10, v7, v9
	v_lshlrev_b32_e32 v8, 1, v8
	ds_write_b64 v10, v[2:3]
	v_or_b32_e32 v2, v8, v9
	v_or_b32_e32 v9, 16, v86
	v_lshlrev_b32_e32 v23, 2, v9
	v_or_b32_e32 v10, v6, v23
	ds_write_b64 v2, v[4:5]
	v_perm_b32 v3, v67, v66, s3
	v_perm_b32 v2, v63, v62, s3
	;; [unrolled: 1-line block ×4, first 2 shown]
	v_lshlrev_b32_e32 v10, 1, v10
	v_lshlrev_b32_e32 v9, 8, v9
	ds_write2st64_b64 v10, v[2:3], v[4:5] offset0:32 offset1:48
	v_or_b32_e32 v10, v7, v9
	ds_write_b64 v10, v[2:3]
	v_or_b32_e32 v2, v8, v9
	v_or_b32_e32 v9, 32, v86
	v_lshlrev_b32_e32 v22, 2, v9
	v_or_b32_e32 v10, v6, v22
	ds_write_b64 v2, v[4:5]
	v_perm_b32 v3, v59, v58, s3
	v_perm_b32 v2, v55, v54, s3
	;; [unrolled: 1-line block ×4, first 2 shown]
	v_lshlrev_b32_e32 v10, 1, v10
	v_lshlrev_b32_e32 v9, 8, v9
	s_lshl_b64 s[24:25], s[0:1], 8
	ds_write2st64_b64 v10, v[2:3], v[4:5] offset0:32 offset1:48
	v_or_b32_e32 v10, v7, v9
	s_add_u32 s0, s6, s24
	ds_write_b64 v10, v[2:3]
	v_or_b32_e32 v2, v8, v9
	s_addc_u32 s1, s7, s25
	ds_write_b64 v2, v[4:5]
	v_perm_b32 v3, v53, v52, s3
	v_perm_b32 v2, v47, v46, s3
	;; [unrolled: 1-line block ×4, first 2 shown]
	v_or_b32_e32 v9, 48, v86
	s_mul_hi_i32 s3, s16, s17
	s_mul_i32 s16, s16, s17
	v_lshlrev_b32_e32 v19, 2, v9
	s_add_u32 s6, s16, s49
	v_or_b32_e32 v6, v6, v19
	s_addc_u32 s7, s3, s50
	v_lshlrev_b32_e32 v6, 1, v6
	s_ashr_i32 s3, s2, 31
	s_lshl_b64 s[6:7], s[6:7], 15
	ds_write2st64_b64 v6, v[2:3], v[4:5] offset0:32 offset1:48
	v_lshlrev_b32_e32 v6, 8, v9
	s_add_u32 s6, s22, s6
	v_or_b32_e32 v7, v7, v6
	s_addc_u32 s7, s23, s7
	s_lshl_b64 s[2:3], s[2:3], 8
	ds_write_b64 v7, v[2:3]
	v_or_b32_e32 v2, v8, v6
	s_add_u32 s2, s6, s2
	v_lshlrev_b32_e32 v3, 1, v86
	ds_write_b64 v2, v[4:5]
	v_lshrrev_b32_e32 v2, 4, v0
	s_addc_u32 s3, s7, s3
	v_or_b32_e32 v4, 1, v3
	v_lshlrev_b32_e32 v10, 4, v86
	v_mov_b32_e32 v11, 0
	v_xor_b32_e32 v3, v2, v3
	v_xor_b32_e32 v6, v4, v2
	v_lshl_add_u64 v[12:13], s[2:3], 0, v[10:11]
	v_lshlrev_b32_e32 v10, 8, v2
	v_lshl_or_b32 v16, v3, 3, v10
	v_lshl_or_b32 v17, v6, 3, v10
	s_waitcnt lgkmcnt(0)
	s_barrier
	ds_read2st64_b64 v[2:5], v16 offset1:8
	ds_read2st64_b64 v[6:9], v17 offset1:8
	v_lshl_add_u64 v[14:15], v[12:13], 0, v[10:11]
	s_movk_i32 s2, 0x2000
	s_cmp_lg_u32 s31, 64
	s_waitcnt lgkmcnt(1)
	v_mov_b32_e32 v10, v2
	v_mov_b32_e32 v11, v3
	s_waitcnt lgkmcnt(0)
	v_mov_b32_e32 v12, v6
	v_mov_b32_e32 v13, v7
	global_store_dwordx4 v[14:15], v[10:13], off
	v_mov_b32_e32 v6, v4
	v_mov_b32_e32 v7, v5
	ds_read2st64_b64 v[2:5], v16 offset0:16 offset1:24
	ds_read2st64_b64 v[10:13], v17 offset0:16 offset1:24
	v_add_co_u32_e32 v16, vcc, s2, v14
	s_cselect_b64 s[6:7], -1, 0
	s_nop 0
	v_addc_co_u32_e32 v17, vcc, 0, v15, vcc
	global_store_dwordx4 v[16:17], v[6:9], off offset:-4096
	v_lshl_or_b32 v30, v1, 3, v88
	s_mov_b32 s20, 0
	s_waitcnt lgkmcnt(1)
	v_mov_b32_e32 v6, v2
	v_add_co_u32_e32 v2, vcc, 0x3000, v14
	v_mov_b32_e32 v7, v3
	s_nop 0
	v_addc_co_u32_e32 v3, vcc, 0, v15, vcc
	s_waitcnt lgkmcnt(0)
	v_mov_b32_e32 v8, v10
	v_mov_b32_e32 v9, v11
	;; [unrolled: 1-line block ×4, first 2 shown]
	v_or_b32_e32 v20, 32, v30
	v_and_b32_e32 v18, 56, v87
	s_and_b64 vcc, exec, s[6:7]
	global_store_dwordx4 v[16:17], v[6:9], off
	global_store_dwordx4 v[2:3], v[10:13], off
	s_cbranch_vccz .LBB50_29
; %bb.24:
	s_mov_b32 s21, s20
	s_mov_b32 s22, s20
	;; [unrolled: 1-line block ×3, first 2 shown]
	v_mov_b64_e32 v[6:7], s[20:21]
	v_mov_b64_e32 v[8:9], s[22:23]
	;; [unrolled: 1-line block ×3, first 2 shown]
	v_cmp_gt_i32_e32 vcc, s31, v30
	v_mov_b64_e32 v[4:5], v[8:9]
	s_and_saveexec_b64 s[2:3], vcc
	s_cbranch_execz .LBB50_26
; %bb.25:
	v_lshlrev_b32_e32 v2, 8, v30
	v_mov_b32_e32 v3, 0
	v_lshl_add_u64 v[4:5], s[0:1], 0, v[2:3]
	v_lshlrev_b32_e32 v2, 1, v18
	v_lshl_add_u64 v[10:11], v[4:5], 0, v[2:3]
	global_load_dwordx4 v[6:9], v[10:11], off
	global_load_dwordx4 v[2:5], v[10:11], off offset:128
.LBB50_26:
	s_or_b64 exec, exec, s[2:3]
	s_mov_b32 s21, s20
	s_mov_b32 s22, s20
	;; [unrolled: 1-line block ×3, first 2 shown]
	v_mov_b64_e32 v[14:15], s[20:21]
	v_mov_b64_e32 v[16:17], s[22:23]
	;; [unrolled: 1-line block ×3, first 2 shown]
	v_cmp_gt_i32_e32 vcc, s31, v20
	v_lshlrev_b32_e32 v21, 7, v20
	v_mov_b64_e32 v[12:13], v[16:17]
	s_and_saveexec_b64 s[2:3], vcc
	s_cbranch_execz .LBB50_28
; %bb.27:
	v_lshlrev_b32_e32 v10, 1, v21
	v_mov_b32_e32 v11, 0
	v_lshl_add_u64 v[12:13], s[0:1], 0, v[10:11]
	v_lshlrev_b32_e32 v10, 1, v18
	v_lshl_add_u64 v[26:27], v[12:13], 0, v[10:11]
	global_load_dwordx4 v[14:17], v[26:27], off
	global_load_dwordx4 v[10:13], v[26:27], off offset:128
.LBB50_28:
	s_or_b64 exec, exec, s[2:3]
	v_lshrrev_b32_e32 v25, 3, v18
	v_lshlrev_b32_e32 v26, 3, v30
	v_or_b32_e32 v25, v26, v25
	v_lshlrev_b32_e32 v25, 4, v25
	v_and_b32_e32 v26, 0x78, v26
	v_xor_b32_e32 v25, v25, v26
	s_branch .LBB50_31
.LBB50_29:
                                        ; implicit-def: $vgpr25
                                        ; implicit-def: $vgpr21
                                        ; implicit-def: $vgpr6_vgpr7_vgpr8_vgpr9
                                        ; implicit-def: $vgpr2_vgpr3_vgpr4_vgpr5
                                        ; implicit-def: $vgpr14_vgpr15_vgpr16_vgpr17
                                        ; implicit-def: $vgpr10_vgpr11_vgpr12_vgpr13
	s_cbranch_execz .LBB50_31
; %bb.30:
	s_waitcnt vmcnt(0)
	v_lshlrev_b32_e32 v2, 1, v18
	v_lshl_or_b32 v21, v30, 8, v2
	s_and_b32 s1, s1, 0xffff
	s_mov_b32 s3, 0x20000
	s_movk_i32 s2, 0x4000
	v_lshl_or_b32 v25, v20, 8, v2
	s_movk_i32 s16, 0x80
	buffer_load_dwordx4 v[6:9], v21, s[0:3], 0 offen
	buffer_load_dwordx4 v[2:5], v21, s[0:3], s16 offen
	;; [unrolled: 1-line block ×4, first 2 shown]
	v_lshrrev_b32_e32 v21, 3, v18
	v_lshlrev_b32_e32 v25, 3, v30
	v_or_b32_e32 v21, v25, v21
	v_lshlrev_b32_e32 v21, 4, v21
	v_and_b32_e32 v25, 0x78, v25
	v_xor_b32_e32 v25, v21, v25
	v_lshlrev_b32_e32 v21, 7, v20
.LBB50_31:
	s_movk_i32 s0, 0x1000
	v_and_or_b32 v20, v21, s0, v25
	s_waitcnt vmcnt(1)
	ds_write_b64 v25, v[6:7] offset:49152
	v_xor_b32_e32 v6, 8, v25
	ds_write_b64 v6, v[8:9] offset:49152
	s_waitcnt vmcnt(0)
	ds_write_b64 v25, v[2:3] offset:57344
	ds_write_b64 v6, v[4:5] offset:57344
	;; [unrolled: 1-line block ×3, first 2 shown]
	v_xor_b32_e32 v2, 8, v20
	ds_write_b64 v2, v[16:17] offset:49152
	ds_write_b64 v20, v[10:11] offset:57344
	;; [unrolled: 1-line block ×3, first 2 shown]
	v_or_b32_e32 v2, v84, v86
	v_lshlrev_b32_e32 v2, 3, v2
	v_lshrrev_b32_e32 v3, 5, v35
	s_movk_i32 s0, 0xf8
	v_and_or_b32 v3, v2, s0, v3
	v_lshlrev_b32_e32 v7, 4, v3
	v_lshlrev_b32_e32 v25, 11, v1
	v_and_b32_e32 v8, 0x78, v2
	v_or_b32_e32 v10, 32, v7
	v_and_b32_e32 v6, 0x1000, v25
	v_lshrrev_b32_e32 v3, 1, v35
	v_xor_b32_e32 v10, v10, v8
	v_xor_b32_e32 v2, v7, v8
	v_and_b32_e32 v9, 8, v3
	v_or_b32_e32 v10, v10, v6
	v_or_b32_e32 v2, v2, v6
	v_xor_b32_e32 v32, v10, v9
	v_or_b32_e32 v10, 64, v7
	v_xor_b32_e32 v31, v2, v9
	v_xor_b32_e32 v10, v10, v8
	s_waitcnt lgkmcnt(0)
	s_barrier
	v_or_b32_e32 v13, v10, v6
	ds_read_b64 v[10:11], v31 offset:49152
	v_lshl_or_b32 v14, v85, 8, v24
	v_lshlrev_b32_e32 v26, 1, v14
	v_add_u32_e32 v12, 0x4000, v26
	ds_read2_b64 v[2:5], v12 offset1:16
	v_or_b32_e32 v7, 0x60, v7
	v_xor_b32_e32 v7, v7, v8
	v_or_b32_e32 v6, v7, v6
	v_xor_b32_e32 v33, v13, v9
	v_xor_b32_e32 v77, v6, v9
	ds_read_b64 v[20:21], v32 offset:49152
	ds_read_b64 v[78:79], v33 offset:49152
	;; [unrolled: 1-line block ×3, first 2 shown]
	s_waitcnt lgkmcnt(3)
	v_mfma_f32_16x16x16_bf16 a[0:3], v[10:11], v[2:3], 0
	ds_read2st64_b64 v[6:9], v26 offset0:36 offset1:40
	s_lshl_b64 s[0:1], s[28:29], 8
	s_add_u32 s4, s4, s0
	v_mfma_f32_16x16x16_bf16 a[4:7], v[10:11], v[4:5], 0
	ds_read2_b64 v[2:5], v12 offset0:32 offset1:48
	s_addc_u32 s5, s5, s1
	s_add_i32 s1, s44, s33
	s_waitcnt lgkmcnt(0)
	v_mfma_f32_16x16x16_bf16 a[8:11], v[10:11], v[2:3], 0
	v_or_b32_e32 v2, 64, v14
	v_lshlrev_b32_e32 v27, 1, v2
	s_add_i32 s0, s37, -1
	v_mfma_f32_16x16x16_bf16 a[12:15], v[10:11], v[4:5], 0
	ds_read2st64_b64 v[2:5], v27 offset0:36 offset1:40
	s_add_i32 s41, s1, s45
	s_add_i32 s1, s47, s46
	v_mfma_f32_16x16x16_bf16 a[0:3], v[20:21], v[6:7], a[0:3]
	v_or_b32_e32 v6, 0x80, v14
	v_lshlrev_b32_e32 v28, 1, v6
	ds_read2st64_b64 v[10:13], v28 offset0:36 offset1:40
	s_waitcnt lgkmcnt(1)
	v_mfma_f32_16x16x16_bf16 a[4:7], v[20:21], v[2:3], a[4:7]
	v_or_b32_e32 v2, 0xc0, v14
	v_lshlrev_b32_e32 v29, 1, v2
	ds_read2st64_b64 v[14:17], v29 offset0:36 offset1:40
	s_add_i32 s39, s1, s48
	s_ashr_i32 s1, s0, 31
	s_mul_i32 s2, s0, s35
	s_mul_hi_u32 s3, s0, s34
	s_add_i32 s2, s3, s2
	s_mul_i32 s1, s1, s34
	s_waitcnt lgkmcnt(1)
	v_mfma_f32_16x16x16_bf16 a[8:11], v[20:21], v[10:11], a[8:11]
	s_add_i32 s1, s2, s1
	s_lshl_b64 s[2:3], s[40:41], 2
	s_add_u32 s10, s10, s2
	s_waitcnt lgkmcnt(0)
	v_mfma_f32_16x16x16_bf16 a[12:15], v[20:21], v[14:15], a[12:15]
	s_addc_u32 s11, s11, s3
	s_lshl_b64 s[2:3], s[38:39], 2
	s_mul_i32 s0, s0, s34
	v_mfma_f32_16x16x16_bf16 a[0:3], v[78:79], v[8:9], a[0:3]
	ds_read_b64 v[2:3], v26 offset:22528
	s_add_u32 s10, s10, s2
	s_addc_u32 s11, s11, s3
	v_mfma_f32_16x16x16_bf16 a[4:7], v[78:79], v[4:5], a[4:7]
	ds_read_b64 v[4:5], v27 offset:22528
	ds_read_b64 v[6:7], v28 offset:22528
	;; [unrolled: 1-line block ×3, first 2 shown]
	s_lshl_b64 s[0:1], s[0:1], 2
	s_add_u32 s0, s10, s0
	v_mfma_f32_16x16x16_bf16 a[8:11], v[78:79], v[12:13], a[8:11]
	s_addc_u32 s1, s11, s1
	s_load_dword s16, s[0:1], 0x0
	s_and_b64 vcc, exec, s[26:27]
	v_mfma_f32_16x16x16_bf16 a[12:15], v[78:79], v[16:17], a[12:15]
	s_waitcnt lgkmcnt(0)
	v_mfma_f32_16x16x16_bf16 a[0:3], v[80:81], v[2:3], a[0:3]
	v_mfma_f32_16x16x16_bf16 a[4:7], v[80:81], v[4:5], a[4:7]
	;; [unrolled: 1-line block ×4, first 2 shown]
	s_cbranch_vccz .LBB50_42
; %bb.32:
	v_lshlrev_b32_e32 v20, 1, v30
	s_and_b64 vcc, exec, s[6:7]
	s_cbranch_vccz .LBB50_43
; %bb.33:
	v_cmp_gt_i32_e32 vcc, s31, v20
	v_mov_b32_e32 v6, 0
	v_mov_b32_e32 v2, 0
	;; [unrolled: 1-line block ×5, first 2 shown]
	s_and_saveexec_b64 s[0:1], vcc
	s_cbranch_execz .LBB50_35
; %bb.34:
	v_mad_i64_i32 v[2:3], s[2:3], s19, v20, 0
	v_lshl_add_u64 v[2:3], v[2:3], 1, s[4:5]
	v_lshlrev_b32_e32 v4, 1, v18
	v_mov_b32_e32 v5, 0
	v_lshl_add_u64 v[2:3], v[2:3], 0, v[4:5]
	global_load_dwordx4 v[2:5], v[2:3], off
.LBB50_35:
	s_or_b64 exec, exec, s[0:1]
	v_or_b32_e32 v21, 1, v20
	v_cmp_gt_i32_e64 s[0:1], s31, v21
	v_mov_b32_e32 v7, 0
	v_mov_b32_e32 v8, 0
	;; [unrolled: 1-line block ×3, first 2 shown]
	s_and_saveexec_b64 s[2:3], s[0:1]
	s_cbranch_execz .LBB50_37
; %bb.36:
	v_mad_i64_i32 v[6:7], s[20:21], s19, v21, 0
	v_lshl_add_u64 v[6:7], v[6:7], 1, s[4:5]
	v_lshlrev_b32_e32 v8, 1, v18
	v_mov_b32_e32 v9, 0
	v_lshl_add_u64 v[6:7], v[6:7], 0, v[8:9]
	global_load_dwordx4 v[6:9], v[6:7], off
.LBB50_37:
	s_or_b64 exec, exec, s[2:3]
	v_mov_b32_e32 v17, 0
	v_mov_b32_e32 v10, 0
	;; [unrolled: 1-line block ×5, first 2 shown]
	s_and_saveexec_b64 s[2:3], vcc
	s_cbranch_execz .LBB50_39
; %bb.38:
	v_mad_i64_i32 v[10:11], s[20:21], s19, v20, 0
	v_lshl_add_u64 v[10:11], v[10:11], 1, s[4:5]
	v_lshlrev_b32_e32 v12, 1, v18
	v_mov_b32_e32 v13, 0
	v_lshl_add_u64 v[10:11], v[10:11], 0, v[12:13]
	global_load_dwordx4 v[10:13], v[10:11], off offset:128
.LBB50_39:
	s_or_b64 exec, exec, s[2:3]
	v_mov_b32_e32 v16, 0
	v_mov_b32_e32 v15, 0
	;; [unrolled: 1-line block ×3, first 2 shown]
	s_and_saveexec_b64 s[2:3], s[0:1]
	s_cbranch_execz .LBB50_41
; %bb.40:
	v_mad_i64_i32 v[14:15], s[0:1], s19, v21, 0
	v_lshl_add_u64 v[14:15], v[14:15], 1, s[4:5]
	v_lshlrev_b32_e32 v16, 1, v18
	v_mov_b32_e32 v17, 0
	v_lshl_add_u64 v[14:15], v[14:15], 0, v[16:17]
	global_load_dwordx4 v[14:17], v[14:15], off offset:128
.LBB50_41:
	s_or_b64 exec, exec, s[2:3]
	s_branch .LBB50_45
.LBB50_42:
                                        ; implicit-def: $vgpr5
                                        ; implicit-def: $vgpr9
                                        ; implicit-def: $vgpr13
                                        ; implicit-def: $vgpr17
	v_lshrrev_b32_e32 v35, 2, v35
	s_branch .LBB50_46
.LBB50_43:
                                        ; implicit-def: $vgpr5
                                        ; implicit-def: $vgpr9
                                        ; implicit-def: $vgpr13
                                        ; implicit-def: $vgpr17
	s_cbranch_execz .LBB50_45
; %bb.44:
	s_waitcnt vmcnt(0)
	v_mad_u64_u32 v[2:3], s[0:1], v20, s19, v[18:19]
	v_lshlrev_b32_e32 v20, 1, v2
	s_lshl_b32 s2, s19, 7
	s_and_b32 s1, s5, 0xffff
	s_mov_b32 s3, 0x20000
	s_mov_b32 s0, s4
	v_add_lshl_u32 v21, v2, s19, 1
	s_movk_i32 s17, 0x80
	buffer_load_dwordx4 v[2:5], v20, s[0:3], 0 offen
	buffer_load_dwordx4 v[10:13], v20, s[0:3], s17 offen
	;; [unrolled: 1-line block ×4, first 2 shown]
.LBB50_45:
	v_lshrrev_b32_e32 v35, 2, v35
	s_cbranch_execnz .LBB50_58
.LBB50_46:
	s_and_b64 vcc, exec, s[6:7]
	s_cbranch_vccz .LBB50_56
; %bb.47:
	s_waitcnt vmcnt(0)
	v_lshlrev_b32_e32 v7, 1, v30
	v_cmp_gt_i32_e32 vcc, s31, v7
	v_mov_b32_e32 v6, 0
	v_lshlrev_b32_e32 v14, 9, v30
	v_mov_b32_e32 v2, 0
	v_mov_b32_e32 v3, 0
	;; [unrolled: 1-line block ×4, first 2 shown]
	s_and_saveexec_b64 s[0:1], vcc
	s_cbranch_execz .LBB50_49
; %bb.48:
	v_mov_b32_e32 v15, 0
	v_lshl_add_u64 v[2:3], s[4:5], 0, v[14:15]
	v_lshlrev_b32_e32 v4, 1, v18
	v_mov_b32_e32 v5, v15
	v_lshl_add_u64 v[2:3], v[2:3], 0, v[4:5]
	global_load_dwordx4 v[2:5], v[2:3], off
.LBB50_49:
	s_or_b64 exec, exec, s[0:1]
	v_or_b32_e32 v7, 1, v7
	v_cmp_gt_i32_e64 s[0:1], s31, v7
	v_lshlrev_b32_e32 v20, 8, v7
	v_mov_b32_e32 v7, 0
	v_mov_b32_e32 v8, 0
	;; [unrolled: 1-line block ×3, first 2 shown]
	s_and_saveexec_b64 s[2:3], s[0:1]
	s_cbranch_execz .LBB50_51
; %bb.50:
	v_mov_b32_e32 v21, 0
	v_lshl_add_u64 v[6:7], s[4:5], 0, v[20:21]
	v_lshlrev_b32_e32 v8, 1, v18
	v_mov_b32_e32 v9, v21
	v_lshl_add_u64 v[6:7], v[6:7], 0, v[8:9]
	global_load_dwordx4 v[6:9], v[6:7], off
.LBB50_51:
	s_or_b64 exec, exec, s[2:3]
	v_mov_b32_e32 v17, 0
	v_mov_b32_e32 v10, 0
	;; [unrolled: 1-line block ×5, first 2 shown]
	s_and_saveexec_b64 s[2:3], vcc
	s_cbranch_execz .LBB50_53
; %bb.52:
	v_mov_b32_e32 v15, 0
	v_lshl_add_u64 v[10:11], s[4:5], 0, v[14:15]
	v_lshlrev_b32_e32 v14, 1, v18
	v_lshl_add_u64 v[10:11], v[10:11], 0, v[14:15]
	global_load_dwordx4 v[10:13], v[10:11], off offset:128
.LBB50_53:
	s_or_b64 exec, exec, s[2:3]
	v_mov_b32_e32 v16, 0
	v_mov_b32_e32 v15, 0
	;; [unrolled: 1-line block ×3, first 2 shown]
	s_and_saveexec_b64 s[2:3], s[0:1]
	s_cbranch_execz .LBB50_55
; %bb.54:
	v_mov_b32_e32 v21, 0
	v_lshl_add_u64 v[14:15], s[4:5], 0, v[20:21]
	v_lshlrev_b32_e32 v20, 1, v18
	v_lshl_add_u64 v[14:15], v[14:15], 0, v[20:21]
	global_load_dwordx4 v[14:17], v[14:15], off offset:128
.LBB50_55:
	s_or_b64 exec, exec, s[2:3]
	s_branch .LBB50_58
.LBB50_56:
                                        ; implicit-def: $vgpr5
                                        ; implicit-def: $vgpr9
                                        ; implicit-def: $vgpr13
                                        ; implicit-def: $vgpr17
	s_cbranch_execz .LBB50_58
; %bb.57:
	s_waitcnt vmcnt(0)
	v_lshlrev_b32_e32 v2, 1, v18
	v_lshl_or_b32 v18, v30, 9, v2
	s_and_b32 s5, s5, 0xffff
	s_mov_b32 s7, 0x20000
	s_movk_i32 s6, 0x4000
	s_movk_i32 s0, 0x80
	buffer_load_dwordx4 v[2:5], v18, s[4:7], 0 offen
	buffer_load_dwordx4 v[6:9], v18, s[4:7], 0 offen offset:256
	buffer_load_dwordx4 v[10:13], v18, s[4:7], s0 offen
	buffer_load_dwordx4 v[14:17], v18, s[4:7], s0 offen offset:256
.LBB50_58:
	ds_read_b64 v[20:21], v31 offset:57344
	v_add_u32_e32 v18, 0x6000, v26
	ds_read2_b64 v[78:81], v18 offset1:16
	ds_read_b64 v[82:83], v32 offset:57344
	ds_read_b64 v[32:33], v33 offset:57344
	;; [unrolled: 1-line block ×3, first 2 shown]
	ds_read2st64_b64 v[86:89], v26 offset0:52 offset1:56
	v_and_b32_e32 v31, 1, v0
	v_cmp_eq_u32_e32 vcc, 0, v31
	s_mov_b32 s0, 0x1000504
	s_waitcnt vmcnt(0)
	v_perm_b32 v31, v10, v14, s0
	s_mov_b32 s1, 0x3020706
	s_waitcnt lgkmcnt(4)
	v_mfma_f32_16x16x16_bf16 a[0:3], v[20:21], v[78:79], a[0:3]
	v_mfma_f32_16x16x16_bf16 a[4:7], v[20:21], v[80:81], a[4:7]
	ds_read2_b64 v[78:81], v18 offset0:32 offset1:48
	v_and_b32_e32 v18, 6, v0
	v_xor_b32_e32 v30, v30, v18
	s_waitcnt lgkmcnt(0)
	v_mfma_f32_16x16x16_bf16 a[8:11], v[20:21], v[78:79], a[8:11]
	v_lshlrev_b32_e32 v30, 2, v30
	v_xor_b32_e32 v77, 0x440, v30
	v_cndmask_b32_e32 v30, v77, v30, vcc
	v_mfma_f32_16x16x16_bf16 a[12:15], v[20:21], v[80:81], a[12:15]
	ds_read2st64_b64 v[78:81], v27 offset0:52 offset1:56
	ds_read2st64_b64 v[90:93], v28 offset0:52 offset1:56
	;; [unrolled: 1-line block ×3, first 2 shown]
	v_lshl_or_b32 v18, v18, 10, v30
	v_perm_b32 v30, v2, v6, s0
	v_mfma_f32_16x16x16_bf16 a[0:3], v[82:83], v[86:87], a[0:3]
	ds_read_b64 v[20:21], v26 offset:30720
	ds_read_b64 v[86:87], v27 offset:30720
	;; [unrolled: 1-line block ×4, first 2 shown]
	ds_write2st64_b32 v18, v30, v31 offset0:128 offset1:160
	v_xor_b32_e32 v30, 8, v18
	s_waitcnt lgkmcnt(7)
	v_mfma_f32_16x16x16_bf16 a[4:7], v[82:83], v[78:79], a[4:7]
	v_perm_b32 v2, v2, v6, s1
	v_perm_b32 v6, v10, v14, s1
	v_add_u32_e32 v10, 0x80, v30
	s_waitcnt lgkmcnt(6)
	v_mfma_f32_16x16x16_bf16 a[8:11], v[82:83], v[90:91], a[8:11]
	ds_write2st64_b32 v10, v2, v6 offset0:128 offset1:160
	v_xor_b32_e32 v2, 16, v18
	v_perm_b32 v6, v3, v7, s0
	s_waitcnt lgkmcnt(6)
	v_mfma_f32_16x16x16_bf16 a[12:15], v[82:83], v[94:95], a[12:15]
	v_perm_b32 v10, v11, v15, s0
	ds_write2st64_b32 v2, v6, v10 offset0:129 offset1:161
	v_xor_b32_e32 v2, 24, v18
	v_mfma_f32_16x16x16_bf16 a[0:3], v[32:33], v[88:89], a[0:3]
	v_perm_b32 v3, v3, v7, s1
	v_perm_b32 v6, v11, v15, s1
	v_add_u32_e32 v2, 0x80, v2
	v_mfma_f32_16x16x16_bf16 a[4:7], v[32:33], v[80:81], a[4:7]
	ds_write2st64_b32 v2, v3, v6 offset0:129 offset1:161
	v_xor_b32_e32 v2, 32, v18
	v_perm_b32 v3, v4, v8, s0
	v_mfma_f32_16x16x16_bf16 a[16:19], v[32:33], v[92:93], a[8:11]
	v_perm_b32 v6, v12, v16, s0
	ds_write2st64_b32 v2, v3, v6 offset0:130 offset1:162
	v_xor_b32_e32 v2, 40, v18
	v_mfma_f32_16x16x16_bf16 a[20:23], v[32:33], v[96:97], a[12:15]
	v_perm_b32 v3, v4, v8, s1
	v_perm_b32 v4, v12, v16, s1
	v_add_u32_e32 v2, 0x80, v2
	s_waitcnt lgkmcnt(8)
	v_mfma_f32_16x16x16_bf16 a[12:15], v[98:99], v[20:21], a[0:3]
	ds_write2st64_b32 v2, v3, v4 offset0:130 offset1:162
	v_xor_b32_e32 v2, 48, v18
	v_perm_b32 v3, v5, v9, s0
	s_waitcnt lgkmcnt(8)
	v_mfma_f32_16x16x16_bf16 a[8:11], v[98:99], v[86:87], a[4:7]
	v_perm_b32 v4, v13, v17, s0
	ds_write2st64_b32 v2, v3, v4 offset0:131 offset1:163
	v_xor_b32_e32 v2, 56, v18
	s_waitcnt lgkmcnt(8)
	v_mfma_f32_16x16x16_bf16 a[4:7], v[98:99], v[100:101], a[16:19]
	v_and_or_b32 v21, v35, 12, v84
	v_perm_b32 v3, v5, v9, s1
	v_perm_b32 v4, v13, v17, s1
	s_waitcnt lgkmcnt(7)
	v_mfma_f32_16x16x16_bf16 a[0:3], v[98:99], v[102:103], a[20:23]
	v_add_u32_e32 v2, 0x80, v2
	v_cmp_gt_i32_e32 vcc, s31, v21
	v_mov_b32_e32 v16, 0
	v_mov_b32_e32 v18, 0
	ds_write2st64_b32 v2, v3, v4 offset0:131 offset1:163
	s_and_saveexec_b64 s[0:1], vcc
	s_cbranch_execz .LBB50_60
; %bb.59:
	v_add_u32_e32 v2, s30, v21
	v_ashrrev_i32_e32 v3, 31, v2
	v_mul_lo_u32 v4, v3, s34
	v_mul_lo_u32 v5, v2, s35
	v_mad_u64_u32 v[2:3], s[2:3], v2, s34, 0
	v_add3_u32 v3, v3, v5, v4
	v_lshl_add_u64 v[2:3], v[2:3], 2, s[10:11]
	global_load_dword v2, v[2:3], off
	s_waitcnt vmcnt(0)
	v_sub_f32_e32 v2, s16, v2
	v_exp_f32_e32 v18, v2
.LBB50_60:
	s_or_b64 exec, exec, s[0:1]
	v_or_b32_e32 v8, 1, v21
	v_cmp_gt_i32_e64 s[0:1], s31, v8
	s_and_saveexec_b64 s[2:3], s[0:1]
	s_cbranch_execz .LBB50_62
; %bb.61:
	v_add_u32_e32 v2, s30, v8
	v_ashrrev_i32_e32 v3, 31, v2
	v_mul_lo_u32 v4, v3, s34
	v_mul_lo_u32 v5, v2, s35
	v_mad_u64_u32 v[2:3], s[4:5], v2, s34, 0
	v_add3_u32 v3, v3, v5, v4
	v_lshl_add_u64 v[2:3], v[2:3], 2, s[10:11]
	global_load_dword v2, v[2:3], off
	s_waitcnt vmcnt(0)
	v_sub_f32_e32 v2, s16, v2
	v_exp_f32_e32 v16, v2
.LBB50_62:
	s_or_b64 exec, exec, s[2:3]
	v_or_b32_e32 v9, 2, v21
	v_cmp_gt_i32_e64 s[2:3], s31, v9
	v_mov_b32_e32 v17, 0
	v_mov_b32_e32 v20, 0
	s_and_saveexec_b64 s[4:5], s[2:3]
	s_cbranch_execz .LBB50_64
; %bb.63:
	v_add_u32_e32 v2, s30, v9
	v_ashrrev_i32_e32 v3, 31, v2
	v_mul_lo_u32 v4, v3, s34
	v_mul_lo_u32 v5, v2, s35
	v_mad_u64_u32 v[2:3], s[6:7], v2, s34, 0
	v_add3_u32 v3, v3, v5, v4
	v_lshl_add_u64 v[2:3], v[2:3], 2, s[10:11]
	global_load_dword v2, v[2:3], off
	s_waitcnt vmcnt(0)
	v_sub_f32_e32 v2, s16, v2
	v_exp_f32_e32 v20, v2
.LBB50_64:
	s_or_b64 exec, exec, s[4:5]
	v_or_b32_e32 v30, 3, v21
	v_cmp_gt_i32_e64 s[4:5], s31, v30
	s_and_saveexec_b64 s[6:7], s[4:5]
	s_cbranch_execz .LBB50_66
; %bb.65:
	v_add_u32_e32 v2, s30, v30
	v_ashrrev_i32_e32 v3, 31, v2
	v_mul_lo_u32 v4, v3, s34
	v_mul_lo_u32 v5, v2, s35
	v_mad_u64_u32 v[2:3], s[18:19], v2, s34, 0
	v_add3_u32 v3, v3, v5, v4
	v_lshl_add_u64 v[2:3], v[2:3], 2, s[10:11]
	global_load_dword v2, v[2:3], off
	s_waitcnt vmcnt(0)
	v_sub_f32_e32 v2, s16, v2
	v_exp_f32_e32 v17, v2
.LBB50_66:
	s_or_b64 exec, exec, s[6:7]
	s_add_u32 s6, s8, s24
	v_accvgpr_read_b32 v2, a12
	s_addc_u32 s7, s9, s25
	v_ashrrev_i32_e32 v77, 31, v76
	v_accvgpr_read_b32 v3, a13
	v_accvgpr_read_b32 v4, a14
	;; [unrolled: 1-line block ×3, first 2 shown]
	v_lshl_add_u64 v[6:7], v[76:77], 1, s[6:7]
	v_mov_b32_e32 v13, 0
	v_lshlrev_b32_e32 v10, 8, v21
	v_mov_b32_e32 v11, 0
	s_and_saveexec_b64 s[6:7], vcc
	s_cbranch_execz .LBB50_68
; %bb.67:
	v_mov_b32_e32 v11, 0
	v_lshl_add_u64 v[14:15], v[6:7], 0, v[10:11]
	global_load_ushort v11, v[14:15], off
	s_waitcnt vmcnt(0)
	v_lshlrev_b32_e32 v11, 16, v11
	v_sub_f32_e32 v2, v11, v2
	v_mul_f32_e32 v2, v18, v2
	v_lshrrev_b32_e32 v11, 16, v2
.LBB50_68:
	s_or_b64 exec, exec, s[6:7]
	v_lshlrev_b32_e32 v12, 8, v8
	s_and_saveexec_b64 s[6:7], s[0:1]
	s_cbranch_execz .LBB50_70
; %bb.69:
	v_mov_b32_e32 v13, 0
	v_lshl_add_u64 v[14:15], v[6:7], 0, v[12:13]
	global_load_ushort v2, v[14:15], off
	s_waitcnt vmcnt(0)
	v_lshlrev_b32_e32 v2, 16, v2
	v_sub_f32_e32 v2, v2, v3
	v_mul_f32_e32 v2, v16, v2
	v_lshrrev_b32_e32 v13, 16, v2
.LBB50_70:
	s_or_b64 exec, exec, s[6:7]
	v_mov_b32_e32 v31, 0
	v_lshlrev_b32_e32 v14, 8, v9
	v_mov_b32_e32 v15, 0
	s_and_saveexec_b64 s[6:7], s[2:3]
	s_cbranch_execz .LBB50_72
; %bb.71:
	v_mov_b32_e32 v15, 0
	v_lshl_add_u64 v[2:3], v[6:7], 0, v[14:15]
	global_load_ushort v2, v[2:3], off
	s_waitcnt vmcnt(0)
	v_lshlrev_b32_e32 v2, 16, v2
	v_sub_f32_e32 v2, v2, v4
	v_mul_f32_e32 v2, v20, v2
	v_lshrrev_b32_e32 v15, 16, v2
.LBB50_72:
	s_or_b64 exec, exec, s[6:7]
	v_lshlrev_b32_e32 v8, 8, v30
	s_and_saveexec_b64 s[6:7], s[4:5]
	s_cbranch_execz .LBB50_74
; %bb.73:
	v_mov_b32_e32 v9, 0
	v_lshl_add_u64 v[2:3], v[6:7], 0, v[8:9]
	global_load_ushort v2, v[2:3], off
	s_waitcnt vmcnt(0)
	v_lshlrev_b32_e32 v2, 16, v2
	v_sub_f32_e32 v2, v2, v5
	v_mul_f32_e32 v2, v17, v2
	v_lshrrev_b32_e32 v31, 16, v2
.LBB50_74:
	s_or_b64 exec, exec, s[6:7]
	v_lshlrev_b32_e32 v21, 6, v21
	v_accvgpr_read_b32 v2, a8
	s_mov_b32 s6, 0x5040100
	v_or_b32_e32 v9, v21, v24
	v_accvgpr_read_b32 v3, a9
	v_accvgpr_read_b32 v4, a10
	;; [unrolled: 1-line block ×3, first 2 shown]
	v_perm_b32 v31, v31, v15, s6
	v_perm_b32 v30, v13, v11, s6
	v_lshlrev_b32_e32 v9, 1, v9
	v_mov_b32_e32 v13, 0
	v_mov_b32_e32 v11, 0
	ds_write_b64 v9, v[30:31] offset:24576
	s_and_saveexec_b64 s[6:7], vcc
	s_cbranch_execz .LBB50_76
; %bb.75:
	v_mov_b32_e32 v11, 0
	v_lshl_add_u64 v[30:31], v[6:7], 0, v[10:11]
	global_load_ushort v9, v[30:31], off offset:32
	s_waitcnt vmcnt(0)
	v_lshlrev_b32_e32 v9, 16, v9
	v_sub_f32_e32 v2, v9, v2
	v_mul_f32_e32 v2, v18, v2
	v_lshrrev_b32_e32 v11, 16, v2
.LBB50_76:
	s_or_b64 exec, exec, s[6:7]
	s_and_saveexec_b64 s[6:7], s[0:1]
	s_cbranch_execz .LBB50_78
; %bb.77:
	v_mov_b32_e32 v13, 0
	v_lshl_add_u64 v[30:31], v[6:7], 0, v[12:13]
	global_load_ushort v2, v[30:31], off offset:32
	s_waitcnt vmcnt(0)
	v_lshlrev_b32_e32 v2, 16, v2
	v_sub_f32_e32 v2, v2, v3
	v_mul_f32_e32 v2, v16, v2
	v_lshrrev_b32_e32 v13, 16, v2
.LBB50_78:
	s_or_b64 exec, exec, s[6:7]
	v_mov_b32_e32 v9, 0
	v_mov_b32_e32 v15, 0
	s_and_saveexec_b64 s[6:7], s[2:3]
	s_cbranch_execz .LBB50_80
; %bb.79:
	v_mov_b32_e32 v15, 0
	v_lshl_add_u64 v[2:3], v[6:7], 0, v[14:15]
	global_load_ushort v2, v[2:3], off offset:32
	s_waitcnt vmcnt(0)
	v_lshlrev_b32_e32 v2, 16, v2
	v_sub_f32_e32 v2, v2, v4
	v_mul_f32_e32 v2, v20, v2
	v_lshrrev_b32_e32 v15, 16, v2
.LBB50_80:
	s_or_b64 exec, exec, s[6:7]
	s_and_saveexec_b64 s[6:7], s[4:5]
	s_cbranch_execz .LBB50_82
; %bb.81:
	v_mov_b32_e32 v9, 0
	v_lshl_add_u64 v[2:3], v[6:7], 0, v[8:9]
	global_load_ushort v2, v[2:3], off offset:32
	s_waitcnt vmcnt(0)
	v_lshlrev_b32_e32 v2, 16, v2
	v_sub_f32_e32 v2, v2, v5
	v_mul_f32_e32 v2, v17, v2
	v_lshrrev_b32_e32 v9, 16, v2
.LBB50_82:
	s_or_b64 exec, exec, s[6:7]
	s_mov_b32 s6, 0x5040100
	v_accvgpr_read_b32 v2, a4
	v_perm_b32 v31, v9, v15, s6
	v_or_b32_e32 v9, v21, v23
	v_accvgpr_read_b32 v3, a5
	v_accvgpr_read_b32 v4, a6
	;; [unrolled: 1-line block ×3, first 2 shown]
	v_perm_b32 v30, v13, v11, s6
	v_lshlrev_b32_e32 v9, 1, v9
	v_mov_b32_e32 v13, 0
	v_mov_b32_e32 v11, 0
	ds_write_b64 v9, v[30:31] offset:24576
	s_and_saveexec_b64 s[6:7], vcc
	s_cbranch_execz .LBB50_84
; %bb.83:
	v_mov_b32_e32 v11, 0
	v_lshl_add_u64 v[30:31], v[6:7], 0, v[10:11]
	global_load_ushort v9, v[30:31], off offset:64
	s_waitcnt vmcnt(0)
	v_lshlrev_b32_e32 v9, 16, v9
	v_sub_f32_e32 v2, v9, v2
	v_mul_f32_e32 v2, v18, v2
	v_lshrrev_b32_e32 v11, 16, v2
.LBB50_84:
	s_or_b64 exec, exec, s[6:7]
	s_and_saveexec_b64 s[6:7], s[0:1]
	s_cbranch_execz .LBB50_86
; %bb.85:
	v_mov_b32_e32 v13, 0
	v_lshl_add_u64 v[30:31], v[6:7], 0, v[12:13]
	global_load_ushort v2, v[30:31], off offset:64
	s_waitcnt vmcnt(0)
	v_lshlrev_b32_e32 v2, 16, v2
	v_sub_f32_e32 v2, v2, v3
	v_mul_f32_e32 v2, v16, v2
	v_lshrrev_b32_e32 v13, 16, v2
.LBB50_86:
	s_or_b64 exec, exec, s[6:7]
	v_mov_b32_e32 v9, 0
	v_mov_b32_e32 v15, 0
	s_and_saveexec_b64 s[6:7], s[2:3]
	s_cbranch_execz .LBB50_88
; %bb.87:
	v_mov_b32_e32 v15, 0
	v_lshl_add_u64 v[2:3], v[6:7], 0, v[14:15]
	global_load_ushort v2, v[2:3], off offset:64
	s_waitcnt vmcnt(0)
	v_lshlrev_b32_e32 v2, 16, v2
	v_sub_f32_e32 v2, v2, v4
	v_mul_f32_e32 v2, v20, v2
	v_lshrrev_b32_e32 v15, 16, v2
.LBB50_88:
	s_or_b64 exec, exec, s[6:7]
	s_and_saveexec_b64 s[6:7], s[4:5]
	s_cbranch_execz .LBB50_90
; %bb.89:
	v_mov_b32_e32 v9, 0
	v_lshl_add_u64 v[2:3], v[6:7], 0, v[8:9]
	global_load_ushort v2, v[2:3], off offset:64
	s_waitcnt vmcnt(0)
	v_lshlrev_b32_e32 v2, 16, v2
	v_sub_f32_e32 v2, v2, v5
	v_mul_f32_e32 v2, v17, v2
	v_lshrrev_b32_e32 v9, 16, v2
.LBB50_90:
	s_or_b64 exec, exec, s[6:7]
	s_mov_b32 s6, 0x5040100
	v_accvgpr_read_b32 v5, a3
	v_perm_b32 v31, v9, v15, s6
	v_or_b32_e32 v9, v21, v22
	v_accvgpr_read_b32 v4, a2
	v_accvgpr_read_b32 v3, a1
	;; [unrolled: 1-line block ×3, first 2 shown]
	v_perm_b32 v30, v13, v11, s6
	v_lshlrev_b32_e32 v9, 1, v9
	v_mov_b32_e32 v13, 0
	v_mov_b32_e32 v11, 0
	ds_write_b64 v9, v[30:31] offset:24576
	s_and_saveexec_b64 s[6:7], vcc
	s_cbranch_execz .LBB50_92
; %bb.91:
	v_mov_b32_e32 v11, 0
	v_lshl_add_u64 v[10:11], v[6:7], 0, v[10:11]
	global_load_ushort v9, v[10:11], off offset:96
	s_waitcnt vmcnt(0)
	v_lshlrev_b32_e32 v9, 16, v9
	v_sub_f32_e32 v2, v9, v2
	v_mul_f32_e32 v2, v18, v2
	v_lshrrev_b32_e32 v11, 16, v2
.LBB50_92:
	s_or_b64 exec, exec, s[6:7]
	s_and_saveexec_b64 s[6:7], s[0:1]
	s_cbranch_execz .LBB50_94
; %bb.93:
	v_mov_b32_e32 v13, 0
	v_lshl_add_u64 v[12:13], v[6:7], 0, v[12:13]
	global_load_ushort v2, v[12:13], off offset:96
	s_waitcnt vmcnt(0)
	v_lshlrev_b32_e32 v2, 16, v2
	v_sub_f32_e32 v2, v2, v3
	v_mul_f32_e32 v2, v16, v2
	v_lshrrev_b32_e32 v13, 16, v2
.LBB50_94:
	s_or_b64 exec, exec, s[6:7]
	v_mov_b32_e32 v9, 0
	v_mov_b32_e32 v12, 0
	s_and_saveexec_b64 s[0:1], s[2:3]
	s_cbranch_execz .LBB50_96
; %bb.95:
	v_mov_b32_e32 v15, 0
	v_lshl_add_u64 v[2:3], v[6:7], 0, v[14:15]
	global_load_ushort v2, v[2:3], off offset:96
	s_waitcnt vmcnt(0)
	v_lshlrev_b32_e32 v2, 16, v2
	v_sub_f32_e32 v2, v2, v4
	v_mul_f32_e32 v2, v20, v2
	v_lshrrev_b32_e32 v12, 16, v2
.LBB50_96:
	s_or_b64 exec, exec, s[0:1]
	v_or_b32_e32 v10, 0x6000, v26
	v_or_b32_e32 v4, 0x6000, v27
	v_or_b32_e32 v3, 0x6000, v28
	v_or_b32_e32 v2, 0x6000, v29
	s_and_saveexec_b64 s[0:1], s[4:5]
	s_cbranch_execz .LBB50_98
; %bb.97:
	v_mov_b32_e32 v9, 0
	v_lshl_add_u64 v[6:7], v[6:7], 0, v[8:9]
	global_load_ushort v6, v[6:7], off offset:96
	s_waitcnt vmcnt(0)
	v_lshlrev_b32_e32 v6, 16, v6
	v_sub_f32_e32 v5, v6, v5
	v_mul_f32_e32 v5, v17, v5
	v_lshrrev_b32_e32 v9, 16, v5
.LBB50_98:
	s_or_b64 exec, exec, s[0:1]
	s_mov_b32 s0, 0x5040100
	v_or_b32_e32 v5, v21, v19
	v_perm_b32 v7, v9, v12, s0
	v_perm_b32 v6, v13, v11, s0
	v_lshlrev_b32_e32 v5, 1, v5
	s_movk_i32 s0, 0x100
	ds_write_b64 v5, v[6:7] offset:24576
	v_and_b32_e32 v5, 7, v0
	v_and_b32_e32 v6, 8, v0
	v_cmp_gt_u32_e32 vcc, s0, v0
	v_lshrrev_b32_e32 v0, 1, v0
	v_lshlrev_b32_e32 v35, 3, v1
	v_and_b32_e32 v78, 24, v0
	v_mov_b32_e32 v7, 0xa000
	v_mov_b32_e32 v8, 0x8000
	v_xor_b32_e32 v0, v35, v78
	v_or_b32_e32 v16, 32, v78
	v_cndmask_b32_e32 v24, v7, v8, vcc
	v_or_b32_e32 v1, 0x440, v0
	v_cmp_eq_u32_e32 vcc, 0, v6
	v_xor_b32_e32 v16, v35, v16
	v_or_b32_e32 v17, 0x440, v16
	v_cndmask_b32_e32 v0, v1, v0, vcc
	v_lshlrev_b32_e32 v11, 3, v5
	v_lshlrev_b32_e32 v5, 7, v5
	v_or_b32_e32 v0, v0, v25
	v_cndmask_b32_e32 v16, v17, v16, vcc
	v_xad_u32 v79, v0, v11, v5
	v_or_b32_e32 v16, v16, v25
	v_add_u32_e32 v0, v24, v79
	v_xad_u32 v80, v16, v11, v5
	s_waitcnt lgkmcnt(0)
	s_barrier
	ds_read_b64 v[0:1], v0
	ds_read2_b64 v[6:9], v10 offset1:16
	ds_read2_b64 v[12:15], v10 offset0:32 offset1:48
	v_add_u32_e32 v16, v24, v80
	ds_read_b64 v[76:77], v16
	s_waitcnt lgkmcnt(2)
	v_mfma_f32_16x16x16_bf16 a[0:3], v[0:1], v[6:7], 0
	ds_read2st64_b64 v[16:19], v10 offset0:4 offset1:8
	ds_read2st64_b64 v[20:23], v4 offset0:4 offset1:8
	;; [unrolled: 1-line block ×3, first 2 shown]
	v_mfma_f32_16x16x16_bf16 a[4:7], v[0:1], v[8:9], 0
	ds_read2st64_b64 v[30:33], v2 offset0:4 offset1:8
	s_waitcnt lgkmcnt(5)
	v_mfma_f32_16x16x16_bf16 a[8:11], v[0:1], v[12:13], 0
	v_mfma_f32_16x16x16_bf16 a[12:15], v[0:1], v[14:15], 0
	v_or_b32_e32 v0, 64, v78
	v_xor_b32_e32 v0, v35, v0
	v_xor_b32_e32 v1, 0x440, v0
	v_cndmask_b32_e32 v0, v1, v0, vcc
	v_or_b32_e32 v0, v0, v25
	s_waitcnt lgkmcnt(3)
	v_mfma_f32_16x16x16_bf16 a[0:3], v[76:77], v[16:17], a[0:3]
	s_waitcnt lgkmcnt(2)
	v_mfma_f32_16x16x16_bf16 a[4:7], v[76:77], v[20:21], a[4:7]
	;; [unrolled: 2-line block ×4, first 2 shown]
	v_xad_u32 v76, v0, v11, v5
	v_add_u32_e32 v0, v24, v76
	ds_read_b64 v[0:1], v0
	v_or_b32_e32 v77, 0x60, v78
	v_xor_b32_e32 v35, v35, v77
	v_xor_b32_e32 v77, 0x440, v35
	v_cndmask_b32_e32 v35, v77, v35, vcc
	v_or_b32_e32 v25, v35, v25
	v_xad_u32 v35, v25, v11, v5
	v_add_u32_e32 v5, v24, v35
	s_waitcnt lgkmcnt(0)
	v_mfma_f32_16x16x16_bf16 a[0:3], v[0:1], v[18:19], a[0:3]
	ds_read_b64 v[24:25], v5
	ds_read_b64 v[10:11], v10 offset:6144
	v_mfma_f32_16x16x16_bf16 a[4:7], v[0:1], v[22:23], a[4:7]
	v_mfma_f32_16x16x16_bf16 a[8:11], v[0:1], v[28:29], a[8:11]
	;; [unrolled: 1-line block ×3, first 2 shown]
	ds_read_b64 v[0:1], v4 offset:6144
	ds_read_b64 v[4:5], v3 offset:6144
	;; [unrolled: 1-line block ×3, first 2 shown]
	s_waitcnt lgkmcnt(3)
	v_mfma_f32_16x16x16_bf16 a[0:3], v[24:25], v[10:11], a[0:3]
	s_waitcnt lgkmcnt(2)
	v_mfma_f32_16x16x16_bf16 a[4:7], v[24:25], v[0:1], a[4:7]
	;; [unrolled: 2-line block ×4, first 2 shown]
	ds_read_b64 v[24:25], v79 offset:40960
	s_waitcnt lgkmcnt(0)
	v_mfma_f32_16x16x16_bf16 a[16:19], v[24:25], v[6:7], 0
	ds_read_b64 v[6:7], v80 offset:40960
	v_mfma_f32_16x16x16_bf16 a[20:23], v[24:25], v[8:9], 0
	v_exp_f32_e32 v8, s16
	v_mfma_f32_16x16x16_bf16 a[24:27], v[24:25], v[12:13], 0
	ds_read_b64 v[12:13], v76 offset:40960
	v_mfma_f32_16x16x16_bf16 a[28:31], v[24:25], v[14:15], 0
	v_accvgpr_read_b32 v15, a3
	v_accvgpr_read_b32 v14, a2
	v_pk_fma_f32 v[74:75], v[74:75], v[8:9], v[14:15] op_sel_hi:[1,0,1]
	ds_read_b64 v[14:15], v35 offset:40960
	s_waitcnt lgkmcnt(2)
	v_mfma_f32_16x16x16_bf16 a[16:19], v[6:7], v[16:17], a[16:19]
	v_accvgpr_read_b32 v17, a7
	v_accvgpr_read_b32 v16, a6
	v_pk_fma_f32 v[66:67], v[66:67], v[8:9], v[16:17] op_sel_hi:[1,0,1]
	v_mfma_f32_16x16x16_bf16 a[20:23], v[6:7], v[20:21], a[20:23]
	v_accvgpr_read_b32 v21, a1
	v_accvgpr_read_b32 v20, a0
	v_pk_fma_f32 v[70:71], v[70:71], v[8:9], v[20:21] op_sel_hi:[1,0,1]
	;; [unrolled: 4-line block ×4, first 2 shown]
	s_waitcnt lgkmcnt(1)
	v_mfma_f32_16x16x16_bf16 a[16:19], v[12:13], v[18:19], a[16:19]
	v_accvgpr_read_b32 v6, a12
	v_accvgpr_read_b32 v7, a13
	v_pk_fma_f32 v[46:47], v[46:47], v[8:9], v[6:7] op_sel_hi:[1,0,1]
	v_mfma_f32_16x16x16_bf16 a[0:3], v[12:13], v[22:23], a[20:23]
	v_accvgpr_read_b32 v19, a15
	v_accvgpr_read_b32 v18, a14
	v_pk_fma_f32 v[52:53], v[52:53], v[8:9], v[18:19] op_sel_hi:[1,0,1]
	v_mfma_f32_16x16x16_bf16 a[20:23], v[12:13], v[28:29], a[24:27]
	v_mfma_f32_16x16x16_bf16 a[4:7], v[12:13], v[32:33], a[28:31]
	v_accvgpr_read_b32 v13, a9
	v_accvgpr_read_b32 v12, a8
	v_pk_fma_f32 v[54:55], v[54:55], v[8:9], v[12:13] op_sel_hi:[1,0,1]
	s_waitcnt lgkmcnt(0)
	v_mfma_f32_16x16x16_bf16 a[8:11], v[14:15], v[10:11], a[16:19]
	v_mfma_f32_16x16x16_bf16 a[0:3], v[14:15], v[0:1], a[0:3]
	s_nop 5
	v_accvgpr_read_b32 v1, a11
	v_accvgpr_read_b32 v0, a10
	v_mfma_f32_16x16x16_bf16 a[10:13], v[14:15], v[4:5], a[20:23]
	v_pk_fma_f32 v[72:73], v[72:73], v[8:9], v[0:1] op_sel_hi:[1,0,1]
	v_accvgpr_read_b32 v7, a3
	v_accvgpr_read_b32 v6, a2
	v_mfma_f32_16x16x16_bf16 a[2:5], v[14:15], v[2:3], a[4:7]
	v_accvgpr_read_b32 v0, a0
	v_accvgpr_read_b32 v1, a1
	v_pk_fma_f32 v[60:61], v[60:61], v[8:9], v[0:1] op_sel_hi:[1,0,1]
	v_accvgpr_read_b32 v0, a10
	v_accvgpr_read_b32 v1, a11
	;; [unrolled: 1-line block ×3, first 2 shown]
	v_pk_fma_f32 v[50:51], v[50:51], v[8:9], v[0:1] op_sel_hi:[1,0,1]
	v_accvgpr_read_b32 v0, a2
	v_accvgpr_read_b32 v5, a13
	;; [unrolled: 1-line block ×7, first 2 shown]
	v_pk_fma_f32 v[68:69], v[68:69], v[8:9], v[10:11] op_sel_hi:[1,0,1]
	v_pk_fma_f32 v[64:65], v[64:65], v[8:9], v[6:7] op_sel_hi:[1,0,1]
	;; [unrolled: 1-line block ×5, first 2 shown]
.LBB50_99:
	s_add_u32 s0, s12, s14
	s_addc_u32 s1, s13, s15
	v_lshl_add_u64 v[0:1], v[36:37], 1, s[0:1]
	v_mov_b32_e32 v35, 0
	s_mov_b32 s2, 0x7060302
	v_lshl_add_u64 v[0:1], v[0:1], 0, v[34:35]
	v_perm_b32 v3, v75, v74, s2
	v_perm_b32 v2, v71, v70, s2
	global_store_dwordx2 v[0:1], v[2:3], off
	v_perm_b32 v3, v73, v72, s2
	v_perm_b32 v2, v69, v68, s2
	global_store_dwordx2 v[0:1], v[2:3], off offset:128
	v_lshl_add_u64 v[0:1], v[38:39], 1, s[0:1]
	v_lshl_add_u64 v[0:1], v[0:1], 0, v[34:35]
	v_perm_b32 v3, v67, v66, s2
	v_perm_b32 v2, v63, v62, s2
	global_store_dwordx2 v[0:1], v[2:3], off
	v_perm_b32 v3, v65, v64, s2
	v_perm_b32 v2, v61, v60, s2
	global_store_dwordx2 v[0:1], v[2:3], off offset:128
	v_lshl_add_u64 v[0:1], v[40:41], 1, s[0:1]
	;; [unrolled: 8-line block ×3, first 2 shown]
	v_lshl_add_u64 v[0:1], v[0:1], 0, v[34:35]
	v_perm_b32 v3, v53, v52, s2
	v_perm_b32 v2, v47, v46, s2
	global_store_dwordx2 v[0:1], v[2:3], off
	v_perm_b32 v3, v49, v48, s2
	v_perm_b32 v2, v45, v44, s2
	global_store_dwordx2 v[0:1], v[2:3], off offset:128
	s_endpgm
	.section	.rodata,"a",@progbits
	.p2align	6, 0x0
	.amdhsa_kernel _ZN12_GLOBAL__N_139chunk_gated_delta_rule_fwd_h_hip_kernelILi64ELb1ELb1ELb0ELb1ELb1ELb0ELb0ELb1EEEvPK12hip_bfloat16S3_S3_PKfS5_PKvPS1_S8_PvPKiSB_iiiiilll
		.amdhsa_group_segment_fixed_size 65536
		.amdhsa_private_segment_fixed_size 0
		.amdhsa_kernarg_size 136
		.amdhsa_user_sgpr_count 2
		.amdhsa_user_sgpr_dispatch_ptr 0
		.amdhsa_user_sgpr_queue_ptr 0
		.amdhsa_user_sgpr_kernarg_segment_ptr 1
		.amdhsa_user_sgpr_dispatch_id 0
		.amdhsa_user_sgpr_kernarg_preload_length 0
		.amdhsa_user_sgpr_kernarg_preload_offset 0
		.amdhsa_user_sgpr_private_segment_size 0
		.amdhsa_uses_dynamic_stack 0
		.amdhsa_enable_private_segment 0
		.amdhsa_system_sgpr_workgroup_id_x 1
		.amdhsa_system_sgpr_workgroup_id_y 1
		.amdhsa_system_sgpr_workgroup_id_z 0
		.amdhsa_system_sgpr_workgroup_info 0
		.amdhsa_system_vgpr_workitem_id 0
		.amdhsa_next_free_vgpr 224
		.amdhsa_next_free_sgpr 65
		.amdhsa_accum_offset 188
		.amdhsa_reserve_vcc 1
		.amdhsa_float_round_mode_32 0
		.amdhsa_float_round_mode_16_64 0
		.amdhsa_float_denorm_mode_32 3
		.amdhsa_float_denorm_mode_16_64 3
		.amdhsa_dx10_clamp 1
		.amdhsa_ieee_mode 1
		.amdhsa_fp16_overflow 0
		.amdhsa_tg_split 0
		.amdhsa_exception_fp_ieee_invalid_op 0
		.amdhsa_exception_fp_denorm_src 0
		.amdhsa_exception_fp_ieee_div_zero 0
		.amdhsa_exception_fp_ieee_overflow 0
		.amdhsa_exception_fp_ieee_underflow 0
		.amdhsa_exception_fp_ieee_inexact 0
		.amdhsa_exception_int_div_zero 0
	.end_amdhsa_kernel
	.section	.text._ZN12_GLOBAL__N_139chunk_gated_delta_rule_fwd_h_hip_kernelILi64ELb1ELb1ELb0ELb1ELb1ELb0ELb0ELb1EEEvPK12hip_bfloat16S3_S3_PKfS5_PKvPS1_S8_PvPKiSB_iiiiilll,"axG",@progbits,_ZN12_GLOBAL__N_139chunk_gated_delta_rule_fwd_h_hip_kernelILi64ELb1ELb1ELb0ELb1ELb1ELb0ELb0ELb1EEEvPK12hip_bfloat16S3_S3_PKfS5_PKvPS1_S8_PvPKiSB_iiiiilll,comdat
.Lfunc_end50:
	.size	_ZN12_GLOBAL__N_139chunk_gated_delta_rule_fwd_h_hip_kernelILi64ELb1ELb1ELb0ELb1ELb1ELb0ELb0ELb1EEEvPK12hip_bfloat16S3_S3_PKfS5_PKvPS1_S8_PvPKiSB_iiiiilll, .Lfunc_end50-_ZN12_GLOBAL__N_139chunk_gated_delta_rule_fwd_h_hip_kernelILi64ELb1ELb1ELb0ELb1ELb1ELb0ELb0ELb1EEEvPK12hip_bfloat16S3_S3_PKfS5_PKvPS1_S8_PvPKiSB_iiiiilll
                                        ; -- End function
	.section	.AMDGPU.csdata,"",@progbits
; Kernel info:
; codeLenInByte = 12176
; NumSgprs: 71
; NumVgprs: 186
; NumAgprs: 36
; TotalNumVgprs: 224
; ScratchSize: 0
; MemoryBound: 0
; FloatMode: 240
; IeeeMode: 1
; LDSByteSize: 65536 bytes/workgroup (compile time only)
; SGPRBlocks: 8
; VGPRBlocks: 27
; NumSGPRsForWavesPerEU: 71
; NumVGPRsForWavesPerEU: 224
; AccumOffset: 188
; Occupancy: 1
; WaveLimiterHint : 1
; COMPUTE_PGM_RSRC2:SCRATCH_EN: 0
; COMPUTE_PGM_RSRC2:USER_SGPR: 2
; COMPUTE_PGM_RSRC2:TRAP_HANDLER: 0
; COMPUTE_PGM_RSRC2:TGID_X_EN: 1
; COMPUTE_PGM_RSRC2:TGID_Y_EN: 1
; COMPUTE_PGM_RSRC2:TGID_Z_EN: 0
; COMPUTE_PGM_RSRC2:TIDIG_COMP_CNT: 0
; COMPUTE_PGM_RSRC3_GFX90A:ACCUM_OFFSET: 46
; COMPUTE_PGM_RSRC3_GFX90A:TG_SPLIT: 0
	.section	.text._ZN12_GLOBAL__N_139chunk_gated_delta_rule_fwd_h_hip_kernelILi64ELb1ELb0ELb1ELb1ELb1ELb0ELb0ELb1EEEvPK12hip_bfloat16S3_S3_PKfS5_PKvPS1_S8_PvPKiSB_iiiiilll,"axG",@progbits,_ZN12_GLOBAL__N_139chunk_gated_delta_rule_fwd_h_hip_kernelILi64ELb1ELb0ELb1ELb1ELb1ELb0ELb0ELb1EEEvPK12hip_bfloat16S3_S3_PKfS5_PKvPS1_S8_PvPKiSB_iiiiilll,comdat
	.globl	_ZN12_GLOBAL__N_139chunk_gated_delta_rule_fwd_h_hip_kernelILi64ELb1ELb0ELb1ELb1ELb1ELb0ELb0ELb1EEEvPK12hip_bfloat16S3_S3_PKfS5_PKvPS1_S8_PvPKiSB_iiiiilll ; -- Begin function _ZN12_GLOBAL__N_139chunk_gated_delta_rule_fwd_h_hip_kernelILi64ELb1ELb0ELb1ELb1ELb1ELb0ELb0ELb1EEEvPK12hip_bfloat16S3_S3_PKfS5_PKvPS1_S8_PvPKiSB_iiiiilll
	.p2align	8
	.type	_ZN12_GLOBAL__N_139chunk_gated_delta_rule_fwd_h_hip_kernelILi64ELb1ELb0ELb1ELb1ELb1ELb0ELb0ELb1EEEvPK12hip_bfloat16S3_S3_PKfS5_PKvPS1_S8_PvPKiSB_iiiiilll,@function
_ZN12_GLOBAL__N_139chunk_gated_delta_rule_fwd_h_hip_kernelILi64ELb1ELb0ELb1ELb1ELb1ELb0ELb0ELb1EEEvPK12hip_bfloat16S3_S3_PKfS5_PKvPS1_S8_PvPKiSB_iiiiilll: ; @_ZN12_GLOBAL__N_139chunk_gated_delta_rule_fwd_h_hip_kernelILi64ELb1ELb0ELb1ELb1ELb1ELb0ELb0ELb1EEEvPK12hip_bfloat16S3_S3_PKfS5_PKvPS1_S8_PvPKiSB_iiiiilll
; %bb.0:
	s_load_dwordx4 s[12:15], s[0:1], 0x5c
	s_load_dwordx4 s[4:7], s[0:1], 0x48
	s_abs_i32 s9, s3
	s_ashr_i32 s8, s3, 31
	v_and_b32_e32 v79, 15, v0
	s_waitcnt lgkmcnt(0)
	s_abs_i32 s10, s13
	v_cvt_f32_u32_e32 v1, s10
	s_sub_i32 s16, 0, s10
	s_ashr_i32 s11, s13, 31
	s_xor_b32 s8, s8, s11
	v_rcp_iflag_f32_e32 v1, v1
	v_lshrrev_b32_e32 v77, 6, v0
	v_bfe_u32 v78, v0, 4, 2
	v_mov_b32_e32 v7, 0
	v_mul_f32_e32 v1, 0x4f7ffffe, v1
	v_cvt_u32_f32_e32 v1, v1
	v_and_b32_e32 v76, 63, v0
	v_lshlrev_b32_e32 v80, 3, v0
	v_lshrrev_b32_e32 v81, 3, v76
	v_readfirstlane_b32 s17, v1
	s_mul_i32 s16, s16, s17
	s_mul_hi_u32 s16, s17, s16
	s_add_i32 s17, s17, s16
	s_mul_hi_u32 s16, s9, s17
	s_mul_i32 s17, s16, s10
	s_sub_i32 s9, s9, s17
	s_add_i32 s18, s16, 1
	s_sub_i32 s17, s9, s10
	s_cmp_ge_u32 s9, s10
	s_cselect_b32 s16, s18, s16
	s_cselect_b32 s9, s17, s9
	s_add_i32 s17, s16, 1
	s_cmp_ge_u32 s9, s10
	s_cselect_b32 s9, s17, s16
	s_xor_b32 s9, s9, s8
	s_sub_i32 s24, s9, s8
	s_mul_i32 s20, s24, s13
	s_ashr_i32 s25, s24, 31
	s_sub_i32 s47, s3, s20
	s_lshl_b64 s[8:9], s[24:25], 2
	s_add_u32 s4, s4, s8
	s_addc_u32 s5, s5, s9
	s_add_u32 s26, s6, s8
	s_addc_u32 s27, s7, s9
	s_abs_i32 s3, s14
	v_cvt_f32_u32_e32 v1, s3
	s_load_dwordx2 s[34:35], s[4:5], 0x0
	s_sub_i32 s5, 0, s3
	s_lshl_b32 s2, s2, 6
	v_rcp_iflag_f32_e32 v1, v1
	s_load_dwordx4 s[16:19], s[0:1], 0x28
	s_load_dwordx2 s[28:29], s[0:1], 0x38
	s_waitcnt lgkmcnt(0)
	s_sub_i32 s50, s35, s34
	s_ashr_i32 s4, s50, 31
	v_mul_f32_e32 v1, 0x4f7ffffe, v1
	v_cvt_u32_f32_e32 v1, v1
	s_lshr_b32 s4, s4, 26
	s_add_i32 s4, s50, s4
	s_ashr_i32 s49, s4, 6
	v_readfirstlane_b32 s6, v1
	s_mul_i32 s5, s5, s6
	s_mul_hi_u32 s5, s6, s5
	s_add_i32 s6, s6, s5
	s_mul_hi_u32 s5, s10, s6
	s_mul_i32 s6, s5, s3
	s_ashr_i32 s4, s14, 31
	s_sub_i32 s6, s10, s6
	s_xor_b32 s4, s11, s4
	s_add_i32 s7, s5, 1
	s_sub_i32 s8, s6, s3
	s_cmp_ge_u32 s6, s3
	s_cselect_b32 s5, s7, s5
	s_cselect_b32 s6, s8, s6
	s_add_i32 s7, s5, 1
	s_cmp_ge_u32 s6, s3
	s_cselect_b32 s3, s7, s5
	s_xor_b32 s3, s3, s4
	s_sub_i32 s3, s3, s4
	s_abs_i32 s4, s3
	v_cvt_f32_u32_e32 v1, s4
	s_sub_i32 s6, 0, s4
	s_abs_i32 s5, s47
	s_xor_b32 s3, s47, s3
	v_rcp_iflag_f32_e32 v1, v1
	s_ashr_i32 s3, s3, 31
	v_or_b32_e32 v34, s2, v79
	v_lshlrev_b32_e32 v2, 7, v34
	v_mul_f32_e32 v1, 0x4f7ffffe, v1
	v_cvt_u32_f32_e32 v1, v1
	v_or_b32_e32 v10, 0x800, v2
	v_ashrrev_i32_e32 v3, 31, v2
	v_ashrrev_i32_e32 v11, 31, v10
	v_readfirstlane_b32 s7, v1
	s_mul_i32 s6, s6, s7
	s_mul_hi_u32 s6, s7, s6
	s_add_i32 s7, s7, s6
	s_mul_hi_u32 s6, s5, s7
	s_mul_i32 s7, s6, s4
	s_sub_i32 s5, s5, s7
	s_add_i32 s7, s6, 1
	s_sub_i32 s8, s5, s4
	s_cmp_ge_u32 s5, s4
	s_cselect_b32 s6, s7, s6
	s_cselect_b32 s5, s8, s5
	s_add_i32 s7, s6, 1
	s_cmp_ge_u32 s5, s4
	s_cselect_b32 s4, s7, s6
	s_xor_b32 s4, s4, s3
	s_sub_i32 s51, s4, s3
	s_ashr_i32 s48, s47, 31
	s_mul_hi_i32 s3, s24, s13
	s_add_u32 s4, s20, s47
	s_addc_u32 s5, s3, s48
	s_lshl_b64 s[4:5], s[4:5], 15
	v_lshlrev_b32_e32 v1, 4, v77
	s_add_u32 s4, s16, s4
	v_lshl_or_b32 v82, v78, 2, v1
	s_addc_u32 s5, s17, s5
	v_lshl_add_u64 v[4:5], v[2:3], 1, s[4:5]
	v_lshlrev_b32_e32 v6, 1, v82
	v_lshl_add_u64 v[10:11], v[10:11], 1, s[4:5]
	v_lshl_add_u64 v[4:5], v[4:5], 0, v[6:7]
	;; [unrolled: 1-line block ×3, first 2 shown]
	global_load_dwordx2 v[8:9], v[4:5], off
	v_or_b32_e32 v83, 64, v82
	global_load_dwordx2 v[4:5], v[4:5], off offset:128
	s_nop 0
	global_load_dwordx2 v[12:13], v[10:11], off
	global_load_dwordx2 v[14:15], v[10:11], off offset:128
	v_or_b32_e32 v10, 0x1000, v2
	v_or_b32_e32 v2, 0x1800, v2
	v_ashrrev_i32_e32 v11, 31, v10
	v_ashrrev_i32_e32 v3, 31, v2
	v_lshl_add_u64 v[10:11], v[10:11], 1, s[4:5]
	v_lshl_add_u64 v[2:3], v[2:3], 1, s[4:5]
	;; [unrolled: 1-line block ×4, first 2 shown]
	global_load_dwordx2 v[16:17], v[10:11], off
	s_mul_hi_i32 s52, s47, s12
	global_load_dwordx2 v[10:11], v[10:11], off offset:128
	s_nop 0
	global_load_dwordx2 v[6:7], v[2:3], off
	global_load_dwordx2 v[18:19], v[2:3], off offset:128
	s_load_dwordx8 s[4:11], s[0:1], 0x0
	s_load_dwordx2 s[30:31], s[0:1], 0x80
	s_load_dwordx4 s[20:23], s[0:1], 0x70
	s_load_dword s54, s[26:27], 0x0
	s_mul_i32 s53, s47, s12
	s_cmp_lt_i32 s50, 64
	s_waitcnt lgkmcnt(0)
	s_mul_i32 s33, s24, s21
	s_mul_hi_u32 s42, s24, s20
	s_mul_i32 s43, s25, s20
	s_mul_i32 s38, s24, s20
	;; [unrolled: 1-line block ×3, first 2 shown]
	s_mul_hi_u32 s45, s47, s22
	s_mul_i32 s46, s48, s22
	s_mul_i32 s36, s47, s22
	s_waitcnt vmcnt(7)
	v_and_b32_e32 v63, 0xffff0000, v8
	v_lshlrev_b32_e32 v62, 16, v8
	v_and_b32_e32 v67, 0xffff0000, v9
	v_lshlrev_b32_e32 v66, 16, v9
	s_waitcnt vmcnt(6)
	v_and_b32_e32 v61, 0xffff0000, v4
	v_lshlrev_b32_e32 v60, 16, v4
	v_and_b32_e32 v65, 0xffff0000, v5
	v_lshlrev_b32_e32 v64, 16, v5
	;; [unrolled: 5-line block ×8, first 2 shown]
	s_cbranch_scc1 .LBB51_18
; %bb.1:
	s_ashr_i32 s1, s34, 31
	s_add_u32 s0, s53, s34
	s_addc_u32 s1, s52, s1
	s_lshl_b64 s[0:1], s[0:1], 8
	v_and_b32_e32 v85, 56, v80
	s_add_u32 s20, s6, s0
	v_lshl_or_b32 v84, v77, 3, v81
	v_lshlrev_b32_e32 v2, 1, v85
	s_addc_u32 s0, s7, s1
	v_lshl_or_b32 v86, v84, 8, v2
	s_and_b32 s21, s0, 0xffff
	s_mov_b32 s23, 0x20000
	s_movk_i32 s22, 0x4000
	s_movk_i32 s0, 0x80
	v_or_b32_e32 v87, 0x2000, v86
	buffer_load_dwordx4 v[4:7], v86, s[20:23], 0 offen
	buffer_load_dwordx4 v[8:11], v86, s[20:23], s0 offen
	;; [unrolled: 1-line block ×4, first 2 shown]
	v_lshlrev_b32_e32 v3, 3, v84
	v_and_or_b32 v21, v0, 7, v3
	v_and_b32_e32 v3, 0x78, v3
	v_lshlrev_b32_e32 v21, 4, v21
	v_xor_b32_e32 v88, v21, v3
	v_mul_lo_u32 v20, v84, s15
	v_or_b32_e32 v89, 0x1000, v88
	v_xor_b32_e32 v3, 8, v88
	s_cmpk_eq_i32 s15, 0x80
	s_mov_b32 s55, s34
	v_xor_b32_e32 v21, 8, v89
	s_cselect_b64 s[0:1], -1, 0
	s_cmpk_lg_i32 s15, 0x80
	s_waitcnt vmcnt(3)
	ds_write_b64 v88, v[4:5] offset:49152
	ds_write_b64 v3, v[6:7] offset:49152
	s_waitcnt vmcnt(2)
	ds_write_b64 v88, v[8:9] offset:57344
	ds_write_b64 v3, v[10:11] offset:57344
	;; [unrolled: 3-line block ×4, first 2 shown]
	v_lshl_add_u32 v3, v20, 1, v85
	s_cbranch_scc0 .LBB51_3
; %bb.2:
	v_lshlrev_b32_e32 v5, 1, v3
	v_add_lshl_u32 v4, v3, s15, 1
	s_lshl_b32 s22, s15, 7
	v_lshl_or_b32 v2, v84, 9, v2
	s_cbranch_execz .LBB51_4
	s_branch .LBB51_5
.LBB51_3:
                                        ; implicit-def: $vgpr4
                                        ; implicit-def: $vgpr5
                                        ; implicit-def: $sgpr22
	v_lshl_or_b32 v2, v84, 9, v2
.LBB51_4:
	v_or_b32_e32 v4, 0x100, v2
	s_movk_i32 s22, 0x4000
	v_mov_b32_e32 v5, v2
.LBB51_5:
	s_mul_i32 s16, s34, s14
	s_ashr_i32 s56, s51, 31
	s_mul_hi_i32 s3, s34, s14
	s_add_u32 s16, s16, s51
	s_addc_u32 s17, s3, s56
	s_lshl_b64 s[16:17], s[16:17], 8
	s_add_u32 s20, s4, s16
	s_addc_u32 s3, s5, s17
	s_and_b32 s21, s3, 0xffff
	s_movk_i32 s57, 0x80
	buffer_load_dwordx4 v[6:9], v5, s[20:23], 0 offen
	buffer_load_dwordx4 v[10:13], v5, s[20:23], s57 offen
	;; [unrolled: 1-line block ×4, first 2 shown]
	v_and_b32_e32 v5, 6, v0
	v_lshlrev_b32_e32 v4, 7, v82
	v_xor_b32_e32 v27, v84, v5
	v_and_b32_e32 v22, 1, v0
	v_lshl_or_b32 v30, v79, 3, v4
	v_lshlrev_b32_e32 v27, 2, v27
	v_lshlrev_b32_e32 v23, 2, v79
	v_or_b32_e32 v90, 0x4000, v30
	v_or_b32_e32 v91, 0x6000, v30
	v_xor_b32_e32 v30, 0x440, v27
	v_cmp_eq_u32_e32 vcc, 0, v22
	v_or_b32_e32 v25, 16, v79
	v_or_b32_e32 v26, 32, v79
	v_xor_b32_e32 v28, v82, v23
	v_xor_b32_e32 v29, v83, v23
	v_cndmask_b32_e32 v22, v30, v27, vcc
	s_mov_b32 s58, 0x1000504
	v_lshl_or_b32 v31, v25, 3, v4
	v_lshlrev_b32_e32 v25, 8, v25
	v_lshl_or_b32 v32, v26, 3, v4
	v_lshlrev_b32_e32 v28, 1, v28
	v_lshlrev_b32_e32 v29, 1, v29
	v_lshl_or_b32 v5, v5, 10, v22
	s_add_i32 s3, s42, s33
	s_mov_b32 s59, 0x3020706
	v_lshlrev_b32_e32 v24, 8, v79
	v_or_b32_e32 v94, 0x4000, v32
	v_or_b32_e32 v95, 0x6000, v32
	;; [unrolled: 1-line block ×4, first 2 shown]
	v_xor_b32_e32 v22, 8, v5
	v_xor_b32_e32 v25, 24, v5
	;; [unrolled: 1-line block ×4, first 2 shown]
	s_add_i32 s39, s3, s43
	s_add_i32 s3, s45, s44
	v_or_b32_e32 v92, 0x4000, v31
	v_or_b32_e32 v93, 0x6000, v31
	;; [unrolled: 1-line block ×4, first 2 shown]
	v_xor_b32_e32 v24, 16, v5
	v_xor_b32_e32 v27, 32, v5
	;; [unrolled: 1-line block ×3, first 2 shown]
	v_add_u32_e32 v22, 0x80, v22
	v_add_u32_e32 v25, 0x80, v25
	;; [unrolled: 1-line block ×4, first 2 shown]
	s_add_i32 s37, s3, s46
	s_lshl_b64 s[16:17], s[38:39], 2
	s_add_u32 s3, s10, s16
	s_addc_u32 s20, s11, s17
	s_lshl_b64 s[16:17], s[36:37], 2
	s_add_u32 s16, s3, s16
	s_movk_i32 s3, 0xf8
	s_addc_u32 s17, s20, s17
	s_lshl_b32 s26, s15, 7
	s_movk_i32 s24, 0x100
	v_mov_b32_e32 v69, 0
	v_lshlrev_b32_e32 v68, 4, v79
	v_cmp_gt_u32_e32 vcc, s24, v0
	v_lshlrev_b32_e32 v26, 8, v26
	s_mov_b32 s60, 0
	s_movk_i32 s22, 0x4000
	v_or_b32_e32 v100, v26, v28
	v_or_b32_e32 v101, v26, v29
	s_movk_i32 s37, 0x2000
	s_movk_i32 s39, 0x3000
	s_waitcnt vmcnt(1)
	v_perm_b32 v33, v6, v14, s58
	s_waitcnt vmcnt(0)
	v_perm_b32 v35, v10, v18, s58
	v_perm_b32 v6, v6, v14, s59
	;; [unrolled: 1-line block ×15, first 2 shown]
	ds_write2st64_b32 v5, v33, v35 offset0:128 offset1:160
	ds_write2st64_b32 v22, v6, v10 offset0:128 offset1:160
	;; [unrolled: 1-line block ×8, first 2 shown]
	v_or_b32_e32 v5, 48, v79
	v_lshl_or_b32 v6, v5, 3, v4
	v_lshlrev_b32_e32 v5, 8, v5
	v_or_b32_e32 v104, v5, v28
	v_or_b32_e32 v105, v5, v29
	;; [unrolled: 1-line block ×3, first 2 shown]
	v_lshlrev_b32_e32 v5, 3, v5
	v_lshrrev_b32_e32 v7, 5, v76
	v_and_or_b32 v7, v5, s3, v7
	v_lshlrev_b32_e32 v7, 4, v7
	v_lshlrev_b32_e32 v8, 11, v77
	v_and_b32_e32 v5, 0x78, v5
	v_or_b32_e32 v13, 32, v7
	v_or_b32_e32 v102, 0x4000, v6
	;; [unrolled: 1-line block ×3, first 2 shown]
	v_and_b32_e32 v6, 0x1000, v8
	v_xor_b32_e32 v9, v7, v5
	v_lshrrev_b32_e32 v10, 1, v0
	v_xor_b32_e32 v13, v13, v5
	v_or_b32_e32 v9, v9, v6
	v_and_b32_e32 v11, 8, v10
	v_or_b32_e32 v13, v13, v6
	v_xor_b32_e32 v106, v9, v11
	v_lshlrev_b32_e32 v9, 8, v78
	v_xor_b32_e32 v108, v13, v11
	v_or_b32_e32 v13, 64, v7
	v_or_b32_e32 v7, 0x60, v7
	s_ashr_i32 s3, s2, 31
	v_or_b32_e32 v12, v9, v23
	v_xor_b32_e32 v13, v13, v5
	v_xor_b32_e32 v5, v7, v5
	s_lshl_b64 s[20:21], s[2:3], 8
	v_lshlrev_b32_e32 v12, 1, v12
	v_or_b32_e32 v13, v13, v6
	v_or_b32_e32 v5, v5, v6
	s_add_u32 s20, s18, s20
	v_lshlrev_b32_e32 v6, 1, v79
	v_or_b32_e32 v107, 0x4000, v12
	v_or_b32_e32 v109, 0x4080, v12
	;; [unrolled: 1-line block ×8, first 2 shown]
	v_lshrrev_b32_e32 v12, 4, v0
	s_addc_u32 s21, s19, s21
	v_or_b32_e32 v7, 1, v6
	v_mov_b32_e32 v16, 0xa000
	v_mov_b32_e32 v17, 0x8000
	v_xor_b32_e32 v112, v13, v11
	v_xor_b32_e32 v13, v12, v6
	;; [unrolled: 1-line block ×3, first 2 shown]
	v_lshl_add_u64 v[6:7], s[20:21], 0, v[68:69]
	v_lshlrev_b32_e32 v68, 8, v12
	v_cndmask_b32_e32 v16, v16, v17, vcc
	v_lshlrev_b32_e32 v17, 3, v77
	v_and_b32_e32 v10, 24, v10
	v_lshl_or_b32 v118, v13, 3, v68
	v_and_b32_e32 v13, 8, v0
	v_xor_b32_e32 v18, v17, v10
	v_or_b32_e32 v19, 0x440, v18
	v_cmp_eq_u32_e32 vcc, 0, v13
	v_and_b32_e32 v12, 7, v0
	v_lshl_or_b32 v119, v14, 3, v68
	v_cndmask_b32_e32 v13, v19, v18, vcc
	v_lshlrev_b32_e32 v14, 3, v12
	v_lshlrev_b32_e32 v12, 7, v12
	v_or_b32_e32 v13, v13, v8
	v_lshlrev_b32_e32 v15, 2, v0
	v_xad_u32 v120, v13, v14, v12
	v_or_b32_e32 v13, 32, v10
	v_and_or_b32 v9, v15, 60, v9
	v_xor_b32_e32 v13, v17, v13
	v_lshlrev_b32_e32 v9, 1, v9
	v_or_b32_e32 v15, 0x440, v13
	v_or_b32_e32 v121, 0x6000, v9
	v_cndmask_b32_e32 v13, v15, v13, vcc
	v_or_b32_e32 v123, 0x6080, v9
	v_or_b32_e32 v124, 0x6100, v9
	;; [unrolled: 1-line block ×5, first 2 shown]
	v_xor_b32_e32 v9, v17, v9
	v_xad_u32 v122, v13, v14, v12
	v_xor_b32_e32 v13, 0x440, v9
	v_cndmask_b32_e32 v9, v13, v9, vcc
	v_or_b32_e32 v9, v9, v8
	v_xad_u32 v126, v9, v14, v12
	v_or_b32_e32 v9, 0x60, v10
	v_xor_b32_e32 v9, v17, v9
	v_xor_b32_e32 v10, 0x440, v9
	v_cndmask_b32_e32 v9, v10, v9, vcc
	v_xor_b32_e32 v113, v5, v11
	v_ashrrev_i32_e32 v35, 31, v34
	v_lshlrev_b32_e32 v5, 1, v3
	v_add_lshl_u32 v3, v3, s15, 1
	v_or_b32_e32 v11, 0x100, v2
	v_or_b32_e32 v8, v9, v8
	v_xad_u32 v127, v8, v14, v12
	v_cndmask_b32_e64 v128, v5, v2, s[0:1]
	v_cndmask_b32_e64 v129, v3, v11, s[0:1]
	v_lshlrev_b64 v[2:3], 1, v[34:35]
	v_lshl_add_u64 v[70:71], s[8:9], 0, v[2:3]
	v_lshl_add_u64 v[72:73], s[28:29], 0, v[2:3]
	;; [unrolled: 1-line block ×3, first 2 shown]
	s_mov_b32 s3, 0x7060302
	v_lshlrev_b32_e32 v68, 1, v4
	v_add_u32_e32 v35, v16, v120
	v_add_u32_e32 v130, v16, v122
	;; [unrolled: 1-line block ×4, first 2 shown]
	s_waitcnt lgkmcnt(0)
	s_barrier
.LBB51_6:                               ; =>This Inner Loop Header: Depth=1
	s_add_i32 s61, s60, 1
	s_cmp_lt_i32 s61, s49
	s_mov_b64 s[24:25], 0
	s_cselect_b64 s[40:41], -1, 0
	s_cmp_ge_i32 s61, s49
	s_mov_b64 s[20:21], 0
	s_cbranch_scc1 .LBB51_8
; %bb.7:                                ;   in Loop: Header=BB51_6 Depth=1
	s_add_i32 s0, s55, 64
	s_ashr_i32 s1, s0, 31
	s_add_u32 s0, s53, s0
	s_addc_u32 s1, s52, s1
	s_lshl_b64 s[0:1], s[0:1], 8
	s_add_u32 s20, s6, s0
	s_addc_u32 s21, s7, s1
.LBB51_8:                               ;   in Loop: Header=BB51_6 Depth=1
	v_cndmask_b32_e64 v2, 0, 1, s[40:41]
	v_cmp_ne_u32_e64 s[0:1], 1, v2
	s_andn2_b64 vcc, exec, s[40:41]
	s_cbranch_vccnz .LBB51_10
; %bb.9:                                ;   in Loop: Header=BB51_6 Depth=1
	s_add_i32 s24, s55, 64
	s_mul_hi_i32 s25, s24, s14
	s_mul_i32 s24, s24, s14
	s_add_u32 s24, s24, s51
	s_addc_u32 s25, s25, s56
	s_lshl_b64 s[24:25], s[24:25], 8
	s_add_u32 s24, s4, s24
	s_addc_u32 s25, s5, s25
.LBB51_10:                              ;   in Loop: Header=BB51_6 Depth=1
	v_perm_b32 v3, v67, v66, s3
	v_perm_b32 v2, v63, v62, s3
	v_perm_b32 v5, v65, v64, s3
	v_perm_b32 v4, v61, v60, s3
	ds_write_b64 v90, v[2:3]
	ds_write_b64 v91, v[4:5]
	ds_write_b64 v96, v[2:3]
	ds_write_b64 v97, v[4:5]
	v_perm_b32 v3, v59, v58, s3
	v_perm_b32 v2, v55, v54, s3
	v_perm_b32 v5, v57, v56, s3
	v_perm_b32 v4, v53, v52, s3
	ds_write_b64 v92, v[2:3]
	ds_write_b64 v93, v[4:5]
	ds_write_b64 v98, v[2:3]
	ds_write_b64 v99, v[4:5]
	;; [unrolled: 8-line block ×4, first 2 shown]
	s_waitcnt lgkmcnt(0)
	s_barrier
	ds_read_b64 v[6:7], v106 offset:49152
	ds_read2_b64 v[2:5], v107 offset1:16
	ds_read_b64 v[18:19], v109 offset:6144
	ds_read_b64 v[20:21], v107 offset:6144
	s_waitcnt lgkmcnt(2)
	v_mfma_f32_16x16x16_bf16 a[0:3], v[6:7], v[2:3], 0
	ds_read_b64 v[22:23], v108 offset:49152
	ds_read2st64_b64 v[10:13], v110 offset0:4 offset1:8
	ds_read2st64_b64 v[14:17], v111 offset0:4 offset1:8
	v_mfma_f32_16x16x16_bf16 a[4:7], v[6:7], v[4:5], 0
	ds_read2_b64 v[2:5], v107 offset0:32 offset1:48
	s_add_i32 s27, s55, 63
	s_ashr_i32 s40, s27, 31
	s_waitcnt lgkmcnt(0)
	v_mfma_f32_16x16x16_bf16 a[8:11], v[6:7], v[2:3], 0
	s_mul_i32 s41, s27, s31
	s_mul_hi_u32 s62, s27, s30
	s_add_i32 s41, s62, s41
	v_mfma_f32_16x16x16_bf16 a[12:15], v[6:7], v[4:5], 0
	ds_read2st64_b64 v[2:5], v107 offset0:4 offset1:8
	ds_read2st64_b64 v[6:9], v109 offset0:4 offset1:8
	s_mul_i32 s40, s40, s30
	s_waitcnt lgkmcnt(1)
	v_mfma_f32_16x16x16_bf16 a[0:3], v[22:23], v[2:3], a[0:3]
	s_add_i32 s41, s41, s40
	s_mul_i32 s40, s27, s30
	s_lshl_b64 s[40:41], s[40:41], 2
	s_waitcnt lgkmcnt(0)
	v_mfma_f32_16x16x16_bf16 a[4:7], v[22:23], v[6:7], a[4:7]
	s_add_u32 s40, s16, s40
	s_addc_u32 s41, s17, s41
	s_and_b64 vcc, exec, s[0:1]
	v_mfma_f32_16x16x16_bf16 a[8:11], v[22:23], v[10:11], a[8:11]
	ds_read_b64 v[2:3], v112 offset:49152
	ds_read_b64 v[6:7], v113 offset:49152
	;; [unrolled: 1-line block ×3, first 2 shown]
	v_mov_b32_e32 v135, 0
	v_mov_b32_e32 v134, 0
	v_mfma_f32_16x16x16_bf16 a[12:15], v[22:23], v[14:15], a[12:15]
	v_mov_b32_e32 v133, 0
	v_mov_b32_e32 v14, 0
	;; [unrolled: 1-line block ×3, first 2 shown]
	s_waitcnt lgkmcnt(2)
	v_mfma_f32_16x16x16_bf16 a[0:3], v[2:3], v[4:5], a[0:3]
	v_mov_b32_e32 v4, 0
	v_mov_b32_e32 v5, 0
	v_mfma_f32_16x16x16_bf16 a[16:19], v[2:3], v[8:9], a[4:7]
	v_mov_b32_e32 v8, 0
	v_mov_b32_e32 v9, 0
	;; [unrolled: 3-line block ×3, first 2 shown]
	v_mfma_f32_16x16x16_bf16 a[24:27], v[2:3], v[16:17], a[12:15]
	ds_read_b64 v[2:3], v110 offset:6144
	v_mov_b32_e32 v16, 0
	v_mov_b32_e32 v17, 0
	s_waitcnt lgkmcnt(2)
	v_mfma_f32_16x16x16_bf16 a[4:7], v[6:7], v[20:21], a[0:3]
	v_mfma_f32_16x16x16_bf16 a[8:11], v[6:7], v[18:19], a[16:19]
	s_waitcnt lgkmcnt(0)
	v_mfma_f32_16x16x16_bf16 a[12:15], v[6:7], v[2:3], a[20:23]
	v_mov_b32_e32 v2, 0
	v_mov_b32_e32 v3, 0
	v_mfma_f32_16x16x16_bf16 a[0:3], v[6:7], v[10:11], a[24:27]
	v_mov_b32_e32 v6, 0
	v_mov_b32_e32 v7, 0
	v_mov_b32_e32 v10, 0
	v_mov_b32_e32 v11, 0
	s_cbranch_vccnz .LBB51_12
; %bb.11:                               ;   in Loop: Header=BB51_6 Depth=1
	s_and_b32 s21, s21, 0xffff
	buffer_load_dwordx4 v[14:17], v86, s[20:23], 0 offen
	buffer_load_dwordx4 v[10:13], v86, s[20:23], s57 offen
	;; [unrolled: 1-line block ×4, first 2 shown]
	v_mov_b32_e32 v134, v88
	v_mov_b32_e32 v133, v89
.LBB51_12:                              ;   in Loop: Header=BB51_6 Depth=1
	ds_read_b64 v[30:31], v106 offset:57344
	ds_read2_b64 v[18:21], v114 offset1:16
	ds_read_b64 v[136:137], v108 offset:57344
	ds_read_b64 v[138:139], v112 offset:57344
	;; [unrolled: 1-line block ×3, first 2 shown]
	v_add_u32_e32 v32, s55, v82
	s_waitcnt lgkmcnt(3)
	v_mfma_f32_16x16x16_bf16 a[4:7], v[30:31], v[18:19], a[4:7]
	v_mfma_f32_16x16x16_bf16 a[8:11], v[30:31], v[20:21], a[8:11]
	ds_read2_b64 v[18:21], v114 offset0:32 offset1:48
	ds_read2st64_b64 v[22:25], v114 offset0:4 offset1:8
	ds_read2st64_b64 v[26:29], v115 offset0:4 offset1:8
	s_waitcnt lgkmcnt(2)
	v_mfma_f32_16x16x16_bf16 a[12:15], v[30:31], v[18:19], a[12:15]
	v_ashrrev_i32_e32 v18, 31, v32
	v_mul_lo_u32 v33, v18, s30
	v_mad_u64_u32 v[18:19], s[20:21], v32, s30, 0
	v_mfma_f32_16x16x16_bf16 a[0:3], v[30:31], v[20:21], a[0:3]
	v_mul_lo_u32 v20, v32, s31
	v_add3_u32 v19, v19, v20, v33
	v_add_u32_e32 v20, 1, v32
	v_ashrrev_i32_e32 v21, 31, v20
	s_waitcnt lgkmcnt(1)
	v_mfma_f32_16x16x16_bf16 a[4:7], v[136:137], v[22:23], a[4:7]
	v_mul_lo_u32 v22, v21, s30
	v_mul_lo_u32 v23, v20, s31
	v_mad_u64_u32 v[20:21], s[20:21], v20, s30, 0
	v_add3_u32 v21, v21, v23, v22
	v_add_u32_e32 v22, 2, v32
	v_ashrrev_i32_e32 v23, 31, v22
	v_mul_lo_u32 v30, v23, s30
	v_mul_lo_u32 v31, v22, s31
	v_mad_u64_u32 v[22:23], s[20:21], v22, s30, 0
	v_add3_u32 v23, v23, v31, v30
	v_add_u32_e32 v30, 3, v32
	v_ashrrev_i32_e32 v31, 31, v30
	v_mul_lo_u32 v32, v31, s30
	v_mul_lo_u32 v33, v30, s31
	v_mad_u64_u32 v[30:31], s[20:21], v30, s30, 0
	s_ashr_i32 s21, s55, 31
	s_add_u32 s20, s53, s55
	s_addc_u32 s21, s52, s21
	v_lshl_add_u64 v[18:19], v[18:19], 2, s[16:17]
	v_add3_u32 v31, v31, v33, v32
	s_lshl_b64 s[20:21], s[20:21], 8
	v_lshl_add_u64 v[20:21], v[20:21], 2, s[16:17]
	v_lshl_add_u64 v[22:23], v[22:23], 2, s[16:17]
	;; [unrolled: 1-line block ×3, first 2 shown]
	global_load_dword v142, v[18:19], off
	global_load_dword v143, v[20:21], off
	;; [unrolled: 1-line block ×4, first 2 shown]
	v_lshl_add_u64 v[18:19], v[70:71], 0, s[20:21]
	v_lshl_add_u64 v[22:23], v[18:19], 0, v[68:69]
	global_load_ushort v146, v[22:23], off offset:256
	global_load_ushort v147, v[22:23], off
	ds_read2st64_b64 v[18:21], v116 offset0:4 offset1:8
	global_load_ushort v148, v[22:23], off offset:768
	global_load_ushort v149, v[22:23], off offset:512
	ds_read2st64_b64 v[30:33], v117 offset0:4 offset1:8
	global_load_ushort v150, v[22:23], off offset:288
	global_load_ushort v151, v[22:23], off offset:32
	global_load_ushort v152, v[22:23], off offset:800
	global_load_ushort v153, v[22:23], off offset:544
	s_waitcnt lgkmcnt(2)
	v_mfma_f32_16x16x16_bf16 a[8:11], v[136:137], v[26:27], a[8:11]
	global_load_ushort v154, v[22:23], off offset:320
	global_load_ushort v155, v[22:23], off offset:64
	;; [unrolled: 1-line block ×4, first 2 shown]
	s_and_b64 vcc, exec, s[0:1]
	s_waitcnt lgkmcnt(1)
	v_mfma_f32_16x16x16_bf16 a[12:15], v[136:137], v[18:19], a[12:15]
	ds_read_b64 v[18:19], v114 offset:6144
	s_waitcnt lgkmcnt(1)
	v_mfma_f32_16x16x16_bf16 a[0:3], v[136:137], v[30:31], a[0:3]
	v_lshl_add_u64 v[30:31], v[72:73], 0, s[20:21]
	v_lshl_add_u64 v[30:31], v[30:31], 0, v[68:69]
	v_mfma_f32_16x16x16_bf16 a[4:7], v[138:139], v[24:25], a[4:7]
	v_mfma_f32_16x16x16_bf16 a[8:11], v[138:139], v[28:29], a[8:11]
	;; [unrolled: 1-line block ×4, first 2 shown]
	global_load_ushort v138, v[22:23], off offset:352
	global_load_ushort v139, v[22:23], off offset:96
	ds_read_b64 v[20:21], v115 offset:6144
	ds_read_b64 v[24:25], v116 offset:6144
	;; [unrolled: 1-line block ×3, first 2 shown]
	s_load_dword s40, s[40:41], 0x0
	global_load_ushort v158, v[22:23], off offset:864
	global_load_ushort v159, v[22:23], off offset:608
	s_waitcnt lgkmcnt(0)
	v_mfma_f32_16x16x16_bf16 a[4:7], v[140:141], v[18:19], a[4:7]
	s_waitcnt vmcnt(17)
	v_sub_f32_e32 v28, s40, v144
	v_mfma_f32_16x16x16_bf16 a[0:3], v[140:141], v[26:27], a[0:3]
	v_sub_f32_e32 v26, s40, v142
	v_sub_f32_e32 v27, s40, v143
	s_waitcnt vmcnt(16)
	v_sub_f32_e32 v29, s40, v145
	v_mfma_f32_16x16x16_bf16 a[8:11], v[140:141], v[20:21], a[8:11]
	v_exp_f32_e32 v26, v26
	v_exp_f32_e32 v27, v27
	v_exp_f32_e32 v28, v28
	v_exp_f32_e32 v29, v29
	v_accvgpr_read_b32 v137, a5
	s_waitcnt vmcnt(15)
	v_lshlrev_b32_e32 v33, 16, v146
	s_waitcnt vmcnt(14)
	v_lshlrev_b32_e32 v32, 16, v147
	v_accvgpr_read_b32 v136, a4
	v_accvgpr_read_b32 v19, a7
	;; [unrolled: 1-line block ×3, first 2 shown]
	v_pk_add_f32 v[32:33], v[32:33], v[136:137] neg_lo:[0,1] neg_hi:[0,1]
	s_waitcnt vmcnt(13)
	v_lshlrev_b32_e32 v137, 16, v148
	s_waitcnt vmcnt(12)
	v_lshlrev_b32_e32 v136, 16, v149
	v_pk_add_f32 v[18:19], v[136:137], v[18:19] neg_lo:[0,1] neg_hi:[0,1]
	global_store_short_d16_hi v[30:31], v32, off
	global_store_short_d16_hi v[30:31], v33, off offset:256
	global_store_short_d16_hi v[30:31], v18, off offset:512
	;; [unrolled: 1-line block ×3, first 2 shown]
	v_pk_mul_f32 v[32:33], v[26:27], v[32:33]
	v_pk_mul_f32 v[18:19], v[28:29], v[18:19]
	v_accvgpr_read_b32 v137, a9
	v_perm_b32 v32, v33, v32, s3
	v_perm_b32 v33, v19, v18, s3
	s_waitcnt vmcnt(15)
	v_lshlrev_b32_e32 v19, 16, v150
	s_waitcnt vmcnt(14)
	v_lshlrev_b32_e32 v18, 16, v151
	v_accvgpr_read_b32 v136, a8
	v_accvgpr_read_b32 v21, a11
	v_mfma_f32_16x16x16_bf16 a[12:15], v[140:141], v[24:25], a[12:15]
	v_accvgpr_read_b32 v20, a10
	v_pk_add_f32 v[18:19], v[18:19], v[136:137] neg_lo:[0,1] neg_hi:[0,1]
	s_waitcnt vmcnt(13)
	v_lshlrev_b32_e32 v137, 16, v152
	s_waitcnt vmcnt(12)
	v_lshlrev_b32_e32 v136, 16, v153
	v_pk_add_f32 v[20:21], v[136:137], v[20:21] neg_lo:[0,1] neg_hi:[0,1]
	global_store_short_d16_hi v[30:31], v18, off offset:32
	global_store_short_d16_hi v[30:31], v19, off offset:288
	;; [unrolled: 1-line block ×4, first 2 shown]
	v_pk_mul_f32 v[18:19], v[26:27], v[18:19]
	v_pk_mul_f32 v[20:21], v[28:29], v[20:21]
	v_accvgpr_read_b32 v23, a15
	v_perm_b32 v21, v21, v20, s3
	v_perm_b32 v20, v19, v18, s3
	ds_write2_b64 v91, v[32:33], v[20:21] offset1:16
	v_accvgpr_read_b32 v21, a13
	s_waitcnt vmcnt(15)
	v_lshlrev_b32_e32 v19, 16, v154
	s_waitcnt vmcnt(14)
	v_lshlrev_b32_e32 v18, 16, v155
	v_accvgpr_read_b32 v20, a12
	v_accvgpr_read_b32 v22, a14
	v_pk_add_f32 v[18:19], v[18:19], v[20:21] neg_lo:[0,1] neg_hi:[0,1]
	s_waitcnt vmcnt(13)
	v_lshlrev_b32_e32 v21, 16, v156
	s_waitcnt vmcnt(12)
	v_lshlrev_b32_e32 v20, 16, v157
	v_pk_add_f32 v[20:21], v[20:21], v[22:23] neg_lo:[0,1] neg_hi:[0,1]
	global_store_short_d16_hi v[30:31], v18, off offset:64
	global_store_short_d16_hi v[30:31], v19, off offset:320
	;; [unrolled: 1-line block ×4, first 2 shown]
	v_pk_mul_f32 v[18:19], v[26:27], v[18:19]
	v_pk_mul_f32 v[20:21], v[28:29], v[20:21]
	v_accvgpr_read_b32 v23, a1
	v_perm_b32 v18, v19, v18, s3
	v_perm_b32 v19, v21, v20, s3
	s_waitcnt vmcnt(15)
	v_lshlrev_b32_e32 v21, 16, v138
	s_waitcnt vmcnt(14)
	v_lshlrev_b32_e32 v20, 16, v139
	v_accvgpr_read_b32 v22, a0
	v_accvgpr_read_b32 v25, a3
	;; [unrolled: 1-line block ×3, first 2 shown]
	v_pk_add_f32 v[20:21], v[20:21], v[22:23] neg_lo:[0,1] neg_hi:[0,1]
	s_waitcnt vmcnt(13)
	v_lshlrev_b32_e32 v23, 16, v158
	s_waitcnt vmcnt(12)
	v_lshlrev_b32_e32 v22, 16, v159
	v_pk_add_f32 v[22:23], v[22:23], v[24:25] neg_lo:[0,1] neg_hi:[0,1]
	global_store_short_d16_hi v[30:31], v20, off offset:96
	global_store_short_d16_hi v[30:31], v21, off offset:352
	;; [unrolled: 1-line block ×4, first 2 shown]
	v_pk_mul_f32 v[20:21], v[26:27], v[20:21]
	v_pk_mul_f32 v[22:23], v[28:29], v[22:23]
	v_mov_b32_e32 v136, 0
	v_perm_b32 v23, v23, v22, s3
	v_perm_b32 v22, v21, v20, s3
	ds_write2_b64 v91, v[18:19], v[22:23] offset0:32 offset1:48
	v_mov_b32_e32 v18, 0
	v_mov_b32_e32 v19, 0
	;; [unrolled: 1-line block ×16, first 2 shown]
	s_cbranch_vccnz .LBB51_14
; %bb.13:                               ;   in Loop: Header=BB51_6 Depth=1
	s_and_b32 s25, s25, 0xffff
	s_mov_b32 s27, s23
	buffer_load_dwordx4 v[30:33], v128, s[24:27], 0 offen
	buffer_load_dwordx4 v[22:25], v128, s[24:27], s57 offen
	;; [unrolled: 1-line block ×4, first 2 shown]
	v_mov_b32_e32 v135, v85
	v_mov_b32_e32 v136, v84
.LBB51_14:                              ;   in Loop: Header=BB51_6 Depth=1
	s_waitcnt lgkmcnt(0)
	s_barrier
	ds_read_b64 v[146:147], v35
	ds_read2_b64 v[138:141], v121 offset1:16
	ds_read_b64 v[162:163], v130
	ds_read_b64 v[164:165], v131
	;; [unrolled: 1-line block ×3, first 2 shown]
	ds_read2_b64 v[142:145], v121 offset0:32 offset1:48
	s_waitcnt lgkmcnt(4)
	v_mfma_f32_16x16x16_bf16 a[0:3], v[146:147], v[138:139], 0
	ds_read2st64_b64 v[150:153], v123 offset0:4 offset1:8
	ds_read2st64_b64 v[154:157], v124 offset0:4 offset1:8
	;; [unrolled: 1-line block ×3, first 2 shown]
	v_mfma_f32_16x16x16_bf16 a[4:7], v[146:147], v[140:141], 0
	s_add_i32 s20, s54, s60
	s_mul_hi_i32 s21, s20, s13
	s_mul_i32 s20, s20, s13
	s_waitcnt lgkmcnt(3)
	v_mfma_f32_16x16x16_bf16 a[8:11], v[146:147], v[142:143], 0
	s_add_u32 s20, s20, s47
	s_addc_u32 s21, s21, s48
	s_lshl_b64 s[20:21], s[20:21], 15
	v_mfma_f32_16x16x16_bf16 a[12:15], v[146:147], v[144:145], 0
	ds_read2st64_b64 v[146:149], v121 offset0:4 offset1:8
	s_waitcnt lgkmcnt(0)
	v_mfma_f32_16x16x16_bf16 a[0:3], v[162:163], v[146:147], a[0:3]
	v_mfma_f32_16x16x16_bf16 a[4:7], v[162:163], v[150:151], a[4:7]
	;; [unrolled: 1-line block ×8, first 2 shown]
	ds_read_b64 v[162:163], v121 offset:6144
	ds_read_b64 v[164:165], v122 offset:40960
	;; [unrolled: 1-line block ×8, first 2 shown]
	s_waitcnt lgkmcnt(5)
	v_mfma_f32_16x16x16_bf16 a[16:19], v[168:169], v[138:139], 0
	v_mfma_f32_16x16x16_bf16 a[20:23], v[168:169], v[140:141], 0
	ds_read2st64_b64 v[138:141], v118 offset1:8
	v_mfma_f32_16x16x16_bf16 a[24:27], v[168:169], v[142:143], 0
	v_mfma_f32_16x16x16_bf16 a[28:31], v[168:169], v[144:145], 0
	ds_read2st64_b64 v[142:145], v119 offset1:8
	v_mfma_f32_16x16x16_bf16 a[16:19], v[164:165], v[146:147], a[16:19]
	s_waitcnt lgkmcnt(1)
	v_mov_b32_e32 v146, v138
	v_mov_b32_e32 v147, v139
	v_mfma_f32_16x16x16_bf16 a[20:23], v[164:165], v[150:151], a[20:23]
	v_lshl_add_u64 v[150:151], v[74:75], 0, s[20:21]
	v_mfma_f32_16x16x16_bf16 a[24:27], v[164:165], v[154:155], a[24:27]
	v_mfma_f32_16x16x16_bf16 a[28:31], v[164:165], v[158:159], a[28:31]
	;; [unrolled: 1-line block ×3, first 2 shown]
	s_waitcnt lgkmcnt(0)
	v_mov_b32_e32 v148, v142
	v_mov_b32_e32 v149, v143
	;; [unrolled: 1-line block ×3, first 2 shown]
	v_mfma_f32_16x16x16_bf16 a[32:35], v[176:177], v[152:153], a[20:23]
	v_mov_b32_e32 v143, v141
	ds_read2st64_b64 v[138:141], v118 offset0:16 offset1:24
	global_store_dwordx4 v[150:151], v[146:149], off
	v_mfma_f32_16x16x16_bf16 a[24:27], v[176:177], v[156:157], a[24:27]
	ds_read2st64_b64 v[146:149], v119 offset0:16 offset1:24
	v_add_co_u32_e32 v152, vcc, s37, v150
	v_mfma_f32_16x16x16_bf16 a[28:31], v[176:177], v[160:161], a[28:31]
	s_nop 0
	v_addc_co_u32_e32 v153, vcc, 0, v151, vcc
	global_store_dwordx4 v[152:153], v[142:145], off offset:-4096
	v_mfma_f32_16x16x16_bf16 a[0:3], v[166:167], v[162:163], a[0:3]
	s_waitcnt lgkmcnt(1)
	v_mov_b32_e32 v142, v138
	v_add_co_u32_e32 v138, vcc, s39, v150
	v_mfma_f32_16x16x16_bf16 a[4:7], v[166:167], v[170:171], a[4:7]
	v_mov_b32_e32 v143, v139
	v_addc_co_u32_e32 v139, vcc, 0, v151, vcc
	v_mfma_f32_16x16x16_bf16 a[8:11], v[166:167], v[172:173], a[8:11]
	s_waitcnt lgkmcnt(0)
	v_mov_b32_e32 v144, v146
	v_mov_b32_e32 v145, v147
	;; [unrolled: 1-line block ×3, first 2 shown]
	v_mfma_f32_16x16x16_bf16 a[12:15], v[166:167], v[174:175], a[12:15]
	v_mov_b32_e32 v147, v141
	s_and_b64 vcc, exec, s[0:1]
	global_store_dwordx4 v[152:153], v[142:145], off
	v_mfma_f32_16x16x16_bf16 a[20:23], v[178:179], v[162:163], a[16:19]
	global_store_dwordx4 v[138:139], v[146:149], off
	v_mfma_f32_16x16x16_bf16 a[16:19], v[178:179], v[170:171], a[32:35]
	v_mfma_f32_16x16x16_bf16 a[24:27], v[178:179], v[172:173], a[24:27]
	;; [unrolled: 1-line block ×3, first 2 shown]
	s_cbranch_vccnz .LBB51_16
; %bb.15:                               ;   in Loop: Header=BB51_6 Depth=1
	v_lshrrev_b32_e32 v137, 3, v135
	v_and_b32_e32 v137, 6, v137
	v_xor_b32_e32 v136, v137, v136
	v_lshlrev_b32_e32 v136, 2, v136
	v_and_b32_e32 v135, 8, v135
	v_xor_b32_e32 v138, 0x440, v136
	v_cmp_eq_u32_e32 vcc, 0, v135
	s_barrier
	s_nop 0
	v_cndmask_b32_e32 v135, v138, v136, vcc
	v_lshl_or_b32 v135, v137, 10, v135
	s_waitcnt vmcnt(5)
	v_perm_b32 v136, v30, v26, s58
	s_waitcnt vmcnt(4)
	v_perm_b32 v137, v22, v18, s58
	ds_write2st64_b32 v135, v136, v137 offset0:128 offset1:160
	v_xor_b32_e32 v136, 8, v135
	v_perm_b32 v26, v30, v26, s59
	v_perm_b32 v18, v22, v18, s59
	v_add_u32_e32 v22, 0x80, v136
	ds_write2st64_b32 v22, v26, v18 offset0:128 offset1:160
	v_xor_b32_e32 v18, 16, v135
	v_perm_b32 v22, v31, v27, s58
	v_perm_b32 v26, v23, v19, s58
	ds_write2st64_b32 v18, v22, v26 offset0:129 offset1:161
	v_xor_b32_e32 v18, 24, v135
	v_perm_b32 v22, v31, v27, s59
	v_perm_b32 v19, v23, v19, s59
	v_add_u32_e32 v18, 0x80, v18
	ds_write2st64_b32 v18, v22, v19 offset0:129 offset1:161
	v_xor_b32_e32 v18, 32, v135
	v_perm_b32 v19, v32, v28, s58
	;; [unrolled: 9-line block ×3, first 2 shown]
	v_perm_b32 v20, v25, v21, s58
	ds_write2st64_b32 v18, v19, v20 offset0:131 offset1:163
	v_xor_b32_e32 v18, 56, v135
	v_perm_b32 v19, v33, v29, s59
	v_perm_b32 v20, v25, v21, s59
	v_add_u32_e32 v18, 0x80, v18
	ds_write2st64_b32 v18, v19, v20 offset0:131 offset1:163
	ds_write_b64 v134, v[14:15] offset:49152
	v_xor_b32_e32 v14, 8, v134
	ds_write_b64 v14, v[16:17] offset:49152
	ds_write_b64 v134, v[10:11] offset:57344
	;; [unrolled: 1-line block ×4, first 2 shown]
	v_xor_b32_e32 v6, 8, v133
	ds_write_b64 v6, v[8:9] offset:49152
	ds_write_b64 v133, v[2:3] offset:57344
	;; [unrolled: 1-line block ×3, first 2 shown]
.LBB51_16:                              ;   in Loop: Header=BB51_6 Depth=1
	v_exp_f32_e32 v134, s40
	v_accvgpr_read_b32 v5, a3
	v_accvgpr_read_b32 v9, a7
	v_accvgpr_read_b32 v13, a11
	v_accvgpr_read_b32 v17, a15
	s_waitcnt vmcnt(4)
	v_accvgpr_read_b32 v18, a20
	v_accvgpr_read_b32 v25, a19
	;; [unrolled: 1-line block ×28, first 2 shown]
	s_add_i32 s55, s55, 64
	v_pk_fma_f32 v[62:63], v[62:63], v[134:135], v[2:3] op_sel_hi:[1,0,1]
	v_pk_fma_f32 v[66:67], v[66:67], v[134:135], v[4:5] op_sel_hi:[1,0,1]
	;; [unrolled: 1-line block ×15, first 2 shown]
	s_cmp_eq_u32 s49, s61
	v_pk_fma_f32 v[40:41], v[40:41], v[134:135], v[32:33] op_sel_hi:[1,0,1]
	s_cbranch_scc1 .LBB51_18
; %bb.17:                               ;   in Loop: Header=BB51_6 Depth=1
	s_mov_b32 s60, s61
	s_branch .LBB51_6
.LBB51_18:
	s_lshl_b32 s26, s49, 6
	s_sub_i32 s27, s50, s26
	s_cmp_gt_i32 s27, 0
	s_cbranch_scc0 .LBB51_99
; %bb.19:
	s_add_i32 s26, s26, s34
	s_ashr_i32 s3, s26, 31
	s_cmpk_lg_i32 s15, 0x80
	s_cselect_b64 s[22:23], -1, 0
	s_and_b64 vcc, exec, s[22:23]
	s_cbranch_vccz .LBB51_21
; %bb.20:
	s_mul_hi_i32 s0, s26, s14
	s_mul_i32 s1, s26, s14
	s_ashr_i32 s14, s51, 31
	s_add_u32 s24, s1, s51
	s_addc_u32 s25, s0, s14
	s_cbranch_execz .LBB51_22
	s_branch .LBB51_23
.LBB51_21:
                                        ; implicit-def: $sgpr24_sgpr25
.LBB51_22:
	s_mul_i32 s1, s51, s12
	s_mul_hi_i32 s0, s51, s12
	s_add_u32 s24, s1, s26
	s_addc_u32 s25, s0, s3
.LBB51_23:
	s_add_i32 s12, s49, s54
	s_add_u32 s0, s53, s26
	v_lshlrev_b32_e32 v6, 6, v82
	v_lshlrev_b32_e32 v24, 2, v79
	s_addc_u32 s1, s52, s3
	s_mov_b32 s3, 0x7060302
	v_or_b32_e32 v9, v6, v24
	v_xor_b32_e32 v7, v82, v24
	v_perm_b32 v3, v67, v66, s3
	v_perm_b32 v2, v63, v62, s3
	;; [unrolled: 1-line block ×4, first 2 shown]
	v_lshlrev_b32_e32 v9, 1, v9
	v_xor_b32_e32 v8, v83, v24
	ds_write2st64_b64 v9, v[2:3], v[4:5] offset0:32 offset1:48
	v_lshlrev_b32_e32 v7, 1, v7
	v_lshlrev_b32_e32 v9, 8, v79
	v_or_b32_e32 v10, v7, v9
	v_lshlrev_b32_e32 v8, 1, v8
	ds_write_b64 v10, v[2:3]
	v_or_b32_e32 v2, v8, v9
	v_or_b32_e32 v9, 16, v79
	v_lshlrev_b32_e32 v23, 2, v9
	v_or_b32_e32 v10, v6, v23
	ds_write_b64 v2, v[4:5]
	v_perm_b32 v3, v59, v58, s3
	v_perm_b32 v2, v55, v54, s3
	;; [unrolled: 1-line block ×4, first 2 shown]
	v_lshlrev_b32_e32 v10, 1, v10
	v_lshlrev_b32_e32 v9, 8, v9
	ds_write2st64_b64 v10, v[2:3], v[4:5] offset0:32 offset1:48
	v_or_b32_e32 v10, v7, v9
	ds_write_b64 v10, v[2:3]
	v_or_b32_e32 v2, v8, v9
	v_or_b32_e32 v9, 32, v79
	v_lshlrev_b32_e32 v22, 2, v9
	v_or_b32_e32 v10, v6, v22
	ds_write_b64 v2, v[4:5]
	v_perm_b32 v3, v51, v50, s3
	v_perm_b32 v2, v47, v46, s3
	;; [unrolled: 1-line block ×4, first 2 shown]
	v_lshlrev_b32_e32 v10, 1, v10
	v_lshlrev_b32_e32 v9, 8, v9
	s_lshl_b64 s[20:21], s[0:1], 8
	ds_write2st64_b64 v10, v[2:3], v[4:5] offset0:32 offset1:48
	v_or_b32_e32 v10, v7, v9
	s_add_u32 s0, s6, s20
	ds_write_b64 v10, v[2:3]
	v_or_b32_e32 v2, v8, v9
	s_addc_u32 s1, s7, s21
	ds_write_b64 v2, v[4:5]
	v_perm_b32 v3, v43, v42, s3
	v_perm_b32 v2, v39, v38, s3
	;; [unrolled: 1-line block ×4, first 2 shown]
	v_or_b32_e32 v9, 48, v79
	s_mul_hi_i32 s3, s12, s13
	s_mul_i32 s12, s12, s13
	v_lshlrev_b32_e32 v19, 2, v9
	s_add_u32 s6, s12, s47
	v_or_b32_e32 v6, v6, v19
	s_addc_u32 s7, s3, s48
	v_lshlrev_b32_e32 v6, 1, v6
	s_ashr_i32 s3, s2, 31
	s_lshl_b64 s[6:7], s[6:7], 15
	ds_write2st64_b64 v6, v[2:3], v[4:5] offset0:32 offset1:48
	v_lshlrev_b32_e32 v6, 8, v9
	s_add_u32 s6, s18, s6
	v_or_b32_e32 v7, v7, v6
	s_addc_u32 s7, s19, s7
	s_lshl_b64 s[2:3], s[2:3], 8
	ds_write_b64 v7, v[2:3]
	v_or_b32_e32 v2, v8, v6
	s_add_u32 s2, s6, s2
	v_lshlrev_b32_e32 v3, 1, v79
	ds_write_b64 v2, v[4:5]
	v_lshrrev_b32_e32 v2, 4, v0
	s_addc_u32 s3, s7, s3
	v_or_b32_e32 v4, 1, v3
	v_lshlrev_b32_e32 v10, 4, v79
	v_mov_b32_e32 v11, 0
	v_xor_b32_e32 v3, v2, v3
	v_xor_b32_e32 v6, v4, v2
	v_lshl_add_u64 v[12:13], s[2:3], 0, v[10:11]
	v_lshlrev_b32_e32 v10, 8, v2
	v_lshl_or_b32 v16, v3, 3, v10
	v_lshl_or_b32 v17, v6, 3, v10
	s_waitcnt lgkmcnt(0)
	s_barrier
	ds_read2st64_b64 v[2:5], v16 offset1:8
	ds_read2st64_b64 v[6:9], v17 offset1:8
	v_lshl_add_u64 v[14:15], v[12:13], 0, v[10:11]
	s_movk_i32 s2, 0x2000
	s_cmp_lg_u32 s27, 64
	s_waitcnt lgkmcnt(1)
	v_mov_b32_e32 v10, v2
	v_mov_b32_e32 v11, v3
	s_waitcnt lgkmcnt(0)
	v_mov_b32_e32 v12, v6
	v_mov_b32_e32 v13, v7
	global_store_dwordx4 v[14:15], v[10:13], off
	v_mov_b32_e32 v6, v4
	v_mov_b32_e32 v7, v5
	ds_read2st64_b64 v[2:5], v16 offset0:16 offset1:24
	ds_read2st64_b64 v[10:13], v17 offset0:16 offset1:24
	v_add_co_u32_e32 v16, vcc, s2, v14
	s_cselect_b64 s[6:7], -1, 0
	s_nop 0
	v_addc_co_u32_e32 v17, vcc, 0, v15, vcc
	global_store_dwordx4 v[16:17], v[6:9], off offset:-4096
	v_lshl_or_b32 v25, v77, 3, v81
	s_mov_b32 s16, 0
	s_waitcnt lgkmcnt(1)
	v_mov_b32_e32 v6, v2
	v_add_co_u32_e32 v2, vcc, 0x3000, v14
	v_mov_b32_e32 v7, v3
	s_nop 0
	v_addc_co_u32_e32 v3, vcc, 0, v15, vcc
	s_waitcnt lgkmcnt(0)
	v_mov_b32_e32 v8, v10
	v_mov_b32_e32 v9, v11
	;; [unrolled: 1-line block ×4, first 2 shown]
	v_or_b32_e32 v20, 32, v25
	v_and_b32_e32 v18, 56, v80
	s_and_b64 vcc, exec, s[6:7]
	global_store_dwordx4 v[16:17], v[6:9], off
	global_store_dwordx4 v[2:3], v[10:13], off
	s_cbranch_vccz .LBB51_29
; %bb.24:
	s_mov_b32 s17, s16
	s_mov_b32 s18, s16
	;; [unrolled: 1-line block ×3, first 2 shown]
	v_mov_b64_e32 v[6:7], s[16:17]
	v_mov_b64_e32 v[8:9], s[18:19]
	;; [unrolled: 1-line block ×3, first 2 shown]
	v_cmp_gt_i32_e32 vcc, s27, v25
	v_mov_b64_e32 v[4:5], v[8:9]
	s_and_saveexec_b64 s[2:3], vcc
	s_cbranch_execz .LBB51_26
; %bb.25:
	v_lshlrev_b32_e32 v2, 8, v25
	v_mov_b32_e32 v3, 0
	v_lshl_add_u64 v[4:5], s[0:1], 0, v[2:3]
	v_lshlrev_b32_e32 v2, 1, v18
	v_lshl_add_u64 v[10:11], v[4:5], 0, v[2:3]
	global_load_dwordx4 v[6:9], v[10:11], off
	global_load_dwordx4 v[2:5], v[10:11], off offset:128
.LBB51_26:
	s_or_b64 exec, exec, s[2:3]
	s_mov_b32 s17, s16
	s_mov_b32 s18, s16
	;; [unrolled: 1-line block ×3, first 2 shown]
	v_mov_b64_e32 v[14:15], s[16:17]
	v_mov_b64_e32 v[16:17], s[18:19]
	;; [unrolled: 1-line block ×3, first 2 shown]
	v_cmp_gt_i32_e32 vcc, s27, v20
	v_lshlrev_b32_e32 v21, 7, v20
	v_mov_b64_e32 v[12:13], v[16:17]
	s_and_saveexec_b64 s[2:3], vcc
	s_cbranch_execz .LBB51_28
; %bb.27:
	v_lshlrev_b32_e32 v10, 1, v21
	v_mov_b32_e32 v11, 0
	v_lshl_add_u64 v[12:13], s[0:1], 0, v[10:11]
	v_lshlrev_b32_e32 v10, 1, v18
	v_lshl_add_u64 v[26:27], v[12:13], 0, v[10:11]
	global_load_dwordx4 v[14:17], v[26:27], off
	global_load_dwordx4 v[10:13], v[26:27], off offset:128
.LBB51_28:
	s_or_b64 exec, exec, s[2:3]
	v_lshrrev_b32_e32 v26, 3, v18
	v_lshlrev_b32_e32 v27, 3, v25
	v_or_b32_e32 v26, v27, v26
	v_lshlrev_b32_e32 v26, 4, v26
	v_and_b32_e32 v27, 0x78, v27
	v_xor_b32_e32 v26, v26, v27
	s_branch .LBB51_31
.LBB51_29:
                                        ; implicit-def: $vgpr26
                                        ; implicit-def: $vgpr21
                                        ; implicit-def: $vgpr6_vgpr7_vgpr8_vgpr9
                                        ; implicit-def: $vgpr2_vgpr3_vgpr4_vgpr5
                                        ; implicit-def: $vgpr14_vgpr15_vgpr16_vgpr17
                                        ; implicit-def: $vgpr10_vgpr11_vgpr12_vgpr13
	s_cbranch_execz .LBB51_31
; %bb.30:
	s_waitcnt vmcnt(0)
	v_lshlrev_b32_e32 v2, 1, v18
	v_lshl_or_b32 v21, v25, 8, v2
	s_and_b32 s1, s1, 0xffff
	s_mov_b32 s3, 0x20000
	s_movk_i32 s2, 0x4000
	v_lshl_or_b32 v26, v20, 8, v2
	s_movk_i32 s12, 0x80
	buffer_load_dwordx4 v[6:9], v21, s[0:3], 0 offen
	buffer_load_dwordx4 v[2:5], v21, s[0:3], s12 offen
	;; [unrolled: 1-line block ×4, first 2 shown]
	v_lshrrev_b32_e32 v21, 3, v18
	v_lshlrev_b32_e32 v26, 3, v25
	v_or_b32_e32 v21, v26, v21
	v_lshlrev_b32_e32 v21, 4, v21
	v_and_b32_e32 v26, 0x78, v26
	v_xor_b32_e32 v26, v21, v26
	v_lshlrev_b32_e32 v21, 7, v20
.LBB51_31:
	s_movk_i32 s0, 0x1000
	v_and_or_b32 v20, v21, s0, v26
	s_waitcnt vmcnt(1)
	ds_write_b64 v26, v[6:7] offset:49152
	v_xor_b32_e32 v6, 8, v26
	ds_write_b64 v6, v[8:9] offset:49152
	s_waitcnt vmcnt(0)
	ds_write_b64 v26, v[2:3] offset:57344
	ds_write_b64 v6, v[4:5] offset:57344
	;; [unrolled: 1-line block ×3, first 2 shown]
	v_xor_b32_e32 v2, 8, v20
	ds_write_b64 v2, v[16:17] offset:49152
	ds_write_b64 v20, v[10:11] offset:57344
	;; [unrolled: 1-line block ×3, first 2 shown]
	v_or_b32_e32 v2, v1, v79
	v_lshlrev_b32_e32 v3, 11, v77
	v_lshlrev_b32_e32 v2, 3, v2
	v_and_b32_e32 v6, 0x1000, v3
	v_lshrrev_b32_e32 v3, 5, v76
	s_movk_i32 s0, 0xf8
	v_and_or_b32 v3, v2, s0, v3
	v_lshlrev_b32_e32 v7, 4, v3
	v_and_b32_e32 v8, 0x78, v2
	v_or_b32_e32 v10, 32, v7
	v_lshrrev_b32_e32 v3, 1, v76
	v_xor_b32_e32 v10, v10, v8
	v_xor_b32_e32 v2, v7, v8
	v_and_b32_e32 v9, 8, v3
	v_or_b32_e32 v10, v10, v6
	v_or_b32_e32 v2, v2, v6
	v_xor_b32_e32 v28, v10, v9
	v_or_b32_e32 v10, 64, v7
	v_xor_b32_e32 v27, v2, v9
	v_xor_b32_e32 v10, v10, v8
	s_waitcnt lgkmcnt(0)
	s_barrier
	v_or_b32_e32 v13, v10, v6
	ds_read_b64 v[10:11], v27 offset:49152
	v_lshl_or_b32 v14, v78, 8, v24
	v_lshlrev_b32_e32 v26, 1, v14
	v_add_u32_e32 v12, 0x4000, v26
	ds_read2_b64 v[2:5], v12 offset1:16
	v_or_b32_e32 v7, 0x60, v7
	v_xor_b32_e32 v7, v7, v8
	v_or_b32_e32 v6, v7, v6
	v_xor_b32_e32 v29, v13, v9
	v_xor_b32_e32 v30, v6, v9
	ds_read_b64 v[20:21], v28 offset:49152
	ds_read_b64 v[36:37], v29 offset:49152
	;; [unrolled: 1-line block ×3, first 2 shown]
	s_waitcnt lgkmcnt(3)
	v_mfma_f32_16x16x16_bf16 a[0:3], v[10:11], v[2:3], 0
	ds_read2st64_b64 v[6:9], v26 offset0:36 offset1:40
	s_lshl_b64 s[0:1], s[24:25], 8
	s_add_u32 s4, s4, s0
	v_mfma_f32_16x16x16_bf16 a[4:7], v[10:11], v[4:5], 0
	ds_read2_b64 v[2:5], v12 offset0:32 offset1:48
	s_addc_u32 s5, s5, s1
	s_add_i32 s1, s42, s33
	s_waitcnt lgkmcnt(0)
	v_mfma_f32_16x16x16_bf16 a[8:11], v[10:11], v[2:3], 0
	v_or_b32_e32 v2, 64, v14
	v_lshlrev_b32_e32 v31, 1, v2
	s_add_i32 s0, s35, -1
	v_mfma_f32_16x16x16_bf16 a[12:15], v[10:11], v[4:5], 0
	ds_read2st64_b64 v[2:5], v31 offset0:36 offset1:40
	s_add_i32 s39, s1, s43
	s_add_i32 s1, s45, s44
	v_mfma_f32_16x16x16_bf16 a[0:3], v[20:21], v[6:7], a[0:3]
	v_or_b32_e32 v6, 0x80, v14
	v_lshlrev_b32_e32 v32, 1, v6
	ds_read2st64_b64 v[10:13], v32 offset0:36 offset1:40
	s_waitcnt lgkmcnt(1)
	v_mfma_f32_16x16x16_bf16 a[4:7], v[20:21], v[2:3], a[4:7]
	v_or_b32_e32 v2, 0xc0, v14
	v_lshlrev_b32_e32 v33, 1, v2
	ds_read2st64_b64 v[14:17], v33 offset0:36 offset1:40
	s_add_i32 s37, s1, s46
	s_ashr_i32 s1, s0, 31
	s_mul_i32 s2, s0, s31
	s_mul_hi_u32 s3, s0, s30
	s_add_i32 s2, s3, s2
	s_mul_i32 s1, s1, s30
	s_waitcnt lgkmcnt(1)
	v_mfma_f32_16x16x16_bf16 a[8:11], v[20:21], v[10:11], a[8:11]
	s_add_i32 s1, s2, s1
	s_lshl_b64 s[2:3], s[38:39], 2
	s_add_u32 s10, s10, s2
	s_waitcnt lgkmcnt(0)
	v_mfma_f32_16x16x16_bf16 a[12:15], v[20:21], v[14:15], a[12:15]
	s_addc_u32 s11, s11, s3
	s_lshl_b64 s[2:3], s[36:37], 2
	s_mul_i32 s0, s0, s30
	v_mfma_f32_16x16x16_bf16 a[0:3], v[36:37], v[8:9], a[0:3]
	ds_read_b64 v[2:3], v26 offset:22528
	s_add_u32 s10, s10, s2
	s_addc_u32 s11, s11, s3
	v_mfma_f32_16x16x16_bf16 a[4:7], v[36:37], v[4:5], a[4:7]
	ds_read_b64 v[4:5], v31 offset:22528
	ds_read_b64 v[6:7], v32 offset:22528
	;; [unrolled: 1-line block ×3, first 2 shown]
	s_lshl_b64 s[0:1], s[0:1], 2
	s_add_u32 s0, s10, s0
	v_mfma_f32_16x16x16_bf16 a[8:11], v[36:37], v[12:13], a[8:11]
	s_addc_u32 s1, s11, s1
	s_load_dword s12, s[0:1], 0x0
	s_and_b64 vcc, exec, s[22:23]
	v_mfma_f32_16x16x16_bf16 a[12:15], v[36:37], v[16:17], a[12:15]
	s_waitcnt lgkmcnt(0)
	v_mfma_f32_16x16x16_bf16 a[0:3], v[38:39], v[2:3], a[0:3]
	v_mfma_f32_16x16x16_bf16 a[4:7], v[38:39], v[4:5], a[4:7]
	;; [unrolled: 1-line block ×4, first 2 shown]
	s_cbranch_vccz .LBB51_42
; %bb.32:
	v_lshlrev_b32_e32 v20, 1, v25
	s_and_b64 vcc, exec, s[6:7]
	s_cbranch_vccz .LBB51_43
; %bb.33:
	v_cmp_gt_i32_e32 vcc, s27, v20
	v_mov_b32_e32 v6, 0
	v_mov_b32_e32 v2, 0
	;; [unrolled: 1-line block ×5, first 2 shown]
	s_and_saveexec_b64 s[0:1], vcc
	s_cbranch_execz .LBB51_35
; %bb.34:
	v_mad_i64_i32 v[2:3], s[2:3], s15, v20, 0
	v_lshl_add_u64 v[2:3], v[2:3], 1, s[4:5]
	v_lshlrev_b32_e32 v4, 1, v18
	v_mov_b32_e32 v5, 0
	v_lshl_add_u64 v[2:3], v[2:3], 0, v[4:5]
	global_load_dwordx4 v[2:5], v[2:3], off
.LBB51_35:
	s_or_b64 exec, exec, s[0:1]
	v_or_b32_e32 v21, 1, v20
	v_cmp_gt_i32_e64 s[0:1], s27, v21
	v_mov_b32_e32 v7, 0
	v_mov_b32_e32 v8, 0
	;; [unrolled: 1-line block ×3, first 2 shown]
	s_and_saveexec_b64 s[2:3], s[0:1]
	s_cbranch_execz .LBB51_37
; %bb.36:
	v_mad_i64_i32 v[6:7], s[16:17], s15, v21, 0
	v_lshl_add_u64 v[6:7], v[6:7], 1, s[4:5]
	v_lshlrev_b32_e32 v8, 1, v18
	v_mov_b32_e32 v9, 0
	v_lshl_add_u64 v[6:7], v[6:7], 0, v[8:9]
	global_load_dwordx4 v[6:9], v[6:7], off
.LBB51_37:
	s_or_b64 exec, exec, s[2:3]
	v_mov_b32_e32 v17, 0
	v_mov_b32_e32 v10, 0
	;; [unrolled: 1-line block ×5, first 2 shown]
	s_and_saveexec_b64 s[2:3], vcc
	s_cbranch_execz .LBB51_39
; %bb.38:
	v_mad_i64_i32 v[10:11], s[16:17], s15, v20, 0
	v_lshl_add_u64 v[10:11], v[10:11], 1, s[4:5]
	v_lshlrev_b32_e32 v12, 1, v18
	v_mov_b32_e32 v13, 0
	v_lshl_add_u64 v[10:11], v[10:11], 0, v[12:13]
	global_load_dwordx4 v[10:13], v[10:11], off offset:128
.LBB51_39:
	s_or_b64 exec, exec, s[2:3]
	v_mov_b32_e32 v16, 0
	v_mov_b32_e32 v15, 0
	v_mov_b32_e32 v14, 0
	s_and_saveexec_b64 s[2:3], s[0:1]
	s_cbranch_execz .LBB51_41
; %bb.40:
	v_mad_i64_i32 v[14:15], s[0:1], s15, v21, 0
	v_lshl_add_u64 v[14:15], v[14:15], 1, s[4:5]
	v_lshlrev_b32_e32 v16, 1, v18
	v_mov_b32_e32 v17, 0
	v_lshl_add_u64 v[14:15], v[14:15], 0, v[16:17]
	global_load_dwordx4 v[14:17], v[14:15], off offset:128
.LBB51_41:
	s_or_b64 exec, exec, s[2:3]
	s_branch .LBB51_45
.LBB51_42:
                                        ; implicit-def: $vgpr5
                                        ; implicit-def: $vgpr9
                                        ; implicit-def: $vgpr13
                                        ; implicit-def: $vgpr17
	v_lshrrev_b32_e32 v35, 2, v76
	s_branch .LBB51_46
.LBB51_43:
                                        ; implicit-def: $vgpr5
                                        ; implicit-def: $vgpr9
                                        ; implicit-def: $vgpr13
                                        ; implicit-def: $vgpr17
	s_cbranch_execz .LBB51_45
; %bb.44:
	s_waitcnt vmcnt(0)
	v_mad_u64_u32 v[2:3], s[0:1], v20, s15, v[18:19]
	v_lshlrev_b32_e32 v20, 1, v2
	s_lshl_b32 s2, s15, 7
	s_and_b32 s1, s5, 0xffff
	s_mov_b32 s3, 0x20000
	s_mov_b32 s0, s4
	v_add_lshl_u32 v21, v2, s15, 1
	s_movk_i32 s13, 0x80
	buffer_load_dwordx4 v[2:5], v20, s[0:3], 0 offen
	buffer_load_dwordx4 v[10:13], v20, s[0:3], s13 offen
	buffer_load_dwordx4 v[6:9], v21, s[0:3], 0 offen
	buffer_load_dwordx4 v[14:17], v21, s[0:3], s13 offen
.LBB51_45:
	v_lshrrev_b32_e32 v35, 2, v76
	s_cbranch_execnz .LBB51_58
.LBB51_46:
	s_and_b64 vcc, exec, s[6:7]
	s_cbranch_vccz .LBB51_56
; %bb.47:
	s_waitcnt vmcnt(0)
	v_lshlrev_b32_e32 v7, 1, v25
	v_cmp_gt_i32_e32 vcc, s27, v7
	v_mov_b32_e32 v6, 0
	v_lshlrev_b32_e32 v14, 9, v25
	v_mov_b32_e32 v2, 0
	v_mov_b32_e32 v3, 0
	;; [unrolled: 1-line block ×4, first 2 shown]
	s_and_saveexec_b64 s[0:1], vcc
	s_cbranch_execz .LBB51_49
; %bb.48:
	v_mov_b32_e32 v15, 0
	v_lshl_add_u64 v[2:3], s[4:5], 0, v[14:15]
	v_lshlrev_b32_e32 v4, 1, v18
	v_mov_b32_e32 v5, v15
	v_lshl_add_u64 v[2:3], v[2:3], 0, v[4:5]
	global_load_dwordx4 v[2:5], v[2:3], off
.LBB51_49:
	s_or_b64 exec, exec, s[0:1]
	v_or_b32_e32 v7, 1, v7
	v_cmp_gt_i32_e64 s[0:1], s27, v7
	v_lshlrev_b32_e32 v20, 8, v7
	v_mov_b32_e32 v7, 0
	v_mov_b32_e32 v8, 0
	;; [unrolled: 1-line block ×3, first 2 shown]
	s_and_saveexec_b64 s[2:3], s[0:1]
	s_cbranch_execz .LBB51_51
; %bb.50:
	v_mov_b32_e32 v21, 0
	v_lshl_add_u64 v[6:7], s[4:5], 0, v[20:21]
	v_lshlrev_b32_e32 v8, 1, v18
	v_mov_b32_e32 v9, v21
	v_lshl_add_u64 v[6:7], v[6:7], 0, v[8:9]
	global_load_dwordx4 v[6:9], v[6:7], off
.LBB51_51:
	s_or_b64 exec, exec, s[2:3]
	v_mov_b32_e32 v17, 0
	v_mov_b32_e32 v10, 0
	;; [unrolled: 1-line block ×5, first 2 shown]
	s_and_saveexec_b64 s[2:3], vcc
	s_cbranch_execz .LBB51_53
; %bb.52:
	v_mov_b32_e32 v15, 0
	v_lshl_add_u64 v[10:11], s[4:5], 0, v[14:15]
	v_lshlrev_b32_e32 v14, 1, v18
	v_lshl_add_u64 v[10:11], v[10:11], 0, v[14:15]
	global_load_dwordx4 v[10:13], v[10:11], off offset:128
.LBB51_53:
	s_or_b64 exec, exec, s[2:3]
	v_mov_b32_e32 v16, 0
	v_mov_b32_e32 v15, 0
	;; [unrolled: 1-line block ×3, first 2 shown]
	s_and_saveexec_b64 s[2:3], s[0:1]
	s_cbranch_execz .LBB51_55
; %bb.54:
	v_mov_b32_e32 v21, 0
	v_lshl_add_u64 v[14:15], s[4:5], 0, v[20:21]
	v_lshlrev_b32_e32 v20, 1, v18
	v_lshl_add_u64 v[14:15], v[14:15], 0, v[20:21]
	global_load_dwordx4 v[14:17], v[14:15], off offset:128
.LBB51_55:
	s_or_b64 exec, exec, s[2:3]
	s_branch .LBB51_58
.LBB51_56:
                                        ; implicit-def: $vgpr5
                                        ; implicit-def: $vgpr9
                                        ; implicit-def: $vgpr13
                                        ; implicit-def: $vgpr17
	s_cbranch_execz .LBB51_58
; %bb.57:
	s_waitcnt vmcnt(0)
	v_lshlrev_b32_e32 v2, 1, v18
	v_lshl_or_b32 v18, v25, 9, v2
	s_and_b32 s5, s5, 0xffff
	s_mov_b32 s7, 0x20000
	s_movk_i32 s6, 0x4000
	s_movk_i32 s0, 0x80
	buffer_load_dwordx4 v[2:5], v18, s[4:7], 0 offen
	buffer_load_dwordx4 v[6:9], v18, s[4:7], 0 offen offset:256
	buffer_load_dwordx4 v[10:13], v18, s[4:7], s0 offen
	buffer_load_dwordx4 v[14:17], v18, s[4:7], s0 offen offset:256
.LBB51_58:
	ds_read_b64 v[20:21], v27 offset:57344
	v_add_u32_e32 v18, 0x6000, v26
	ds_read2_b64 v[36:39], v18 offset1:16
	ds_read_b64 v[52:53], v28 offset:57344
	ds_read_b64 v[28:29], v29 offset:57344
	;; [unrolled: 1-line block ×3, first 2 shown]
	ds_read2st64_b64 v[40:43], v26 offset0:52 offset1:56
	s_mov_b32 s0, 0x1000504
	s_mov_b32 s1, 0x3020706
	s_waitcnt lgkmcnt(4)
	v_mfma_f32_16x16x16_bf16 a[0:3], v[20:21], v[36:37], a[0:3]
	v_mfma_f32_16x16x16_bf16 a[4:7], v[20:21], v[38:39], a[4:7]
	ds_read2_b64 v[36:39], v18 offset0:32 offset1:48
	v_and_b32_e32 v18, 6, v0
	v_xor_b32_e32 v25, v25, v18
	s_waitcnt lgkmcnt(0)
	v_mfma_f32_16x16x16_bf16 a[8:11], v[20:21], v[36:37], a[8:11]
	v_lshlrev_b32_e32 v25, 2, v25
	v_and_b32_e32 v0, 1, v0
	v_cmp_eq_u32_e32 vcc, 0, v0
	v_mfma_f32_16x16x16_bf16 a[12:15], v[20:21], v[38:39], a[12:15]
	ds_read2st64_b64 v[36:39], v31 offset0:52 offset1:56
	ds_read2st64_b64 v[44:47], v32 offset0:52 offset1:56
	;; [unrolled: 1-line block ×3, first 2 shown]
	ds_read_b64 v[20:21], v26 offset:30720
	ds_read_b64 v[26:27], v31 offset:30720
	;; [unrolled: 1-line block ×4, first 2 shown]
	s_waitcnt lgkmcnt(6)
	v_mfma_f32_16x16x16_bf16 a[4:7], v[52:53], v[36:37], a[4:7]
	v_xor_b32_e32 v36, 0x440, v25
	v_cndmask_b32_e32 v0, v36, v25, vcc
	v_lshl_or_b32 v0, v18, 10, v0
	v_mfma_f32_16x16x16_bf16 a[0:3], v[52:53], v[40:41], a[0:3]
	s_waitcnt vmcnt(0)
	v_perm_b32 v18, v2, v6, s0
	v_perm_b32 v25, v10, v14, s0
	ds_write2st64_b32 v0, v18, v25 offset0:128 offset1:160
	s_waitcnt lgkmcnt(6)
	v_mfma_f32_16x16x16_bf16 a[8:11], v[52:53], v[44:45], a[8:11]
	v_xor_b32_e32 v18, 8, v0
	v_perm_b32 v2, v2, v6, s1
	v_perm_b32 v6, v10, v14, s1
	s_waitcnt lgkmcnt(5)
	v_mfma_f32_16x16x16_bf16 a[12:15], v[52:53], v[48:49], a[12:15]
	v_add_u32_e32 v10, 0x80, v18
	ds_write2st64_b32 v10, v2, v6 offset0:128 offset1:160
	v_xor_b32_e32 v2, 16, v0
	v_mfma_f32_16x16x16_bf16 a[0:3], v[28:29], v[42:43], a[0:3]
	v_perm_b32 v6, v3, v7, s0
	v_perm_b32 v10, v11, v15, s0
	ds_write2st64_b32 v2, v6, v10 offset0:129 offset1:161
	v_mfma_f32_16x16x16_bf16 a[4:7], v[28:29], v[38:39], a[4:7]
	v_xor_b32_e32 v2, 24, v0
	v_perm_b32 v3, v3, v7, s1
	v_perm_b32 v6, v11, v15, s1
	v_mfma_f32_16x16x16_bf16 a[16:19], v[28:29], v[46:47], a[8:11]
	v_add_u32_e32 v2, 0x80, v2
	ds_write2st64_b32 v2, v3, v6 offset0:129 offset1:161
	v_xor_b32_e32 v2, 32, v0
	v_mfma_f32_16x16x16_bf16 a[20:23], v[28:29], v[50:51], a[12:15]
	v_perm_b32 v3, v4, v8, s0
	v_perm_b32 v6, v12, v16, s0
	ds_write2st64_b32 v2, v3, v6 offset0:130 offset1:162
	s_waitcnt lgkmcnt(8)
	v_mfma_f32_16x16x16_bf16 a[12:15], v[54:55], v[20:21], a[0:3]
	v_xor_b32_e32 v2, 40, v0
	v_perm_b32 v3, v4, v8, s1
	v_perm_b32 v4, v12, v16, s1
	s_waitcnt lgkmcnt(7)
	v_mfma_f32_16x16x16_bf16 a[8:11], v[54:55], v[26:27], a[4:7]
	v_add_u32_e32 v2, 0x80, v2
	ds_write2st64_b32 v2, v3, v4 offset0:130 offset1:162
	v_xor_b32_e32 v2, 48, v0
	s_waitcnt lgkmcnt(7)
	v_mfma_f32_16x16x16_bf16 a[4:7], v[54:55], v[30:31], a[16:19]
	v_perm_b32 v3, v5, v9, s0
	v_perm_b32 v4, v13, v17, s0
	v_xor_b32_e32 v0, 56, v0
	s_waitcnt lgkmcnt(6)
	v_mfma_f32_16x16x16_bf16 a[0:3], v[54:55], v[32:33], a[20:23]
	v_and_or_b32 v21, v35, 12, v1
	ds_write2st64_b32 v2, v3, v4 offset0:131 offset1:163
	v_perm_b32 v2, v5, v9, s1
	v_perm_b32 v3, v13, v17, s1
	v_add_u32_e32 v0, 0x80, v0
	v_cmp_gt_i32_e32 vcc, s27, v21
	v_mov_b32_e32 v16, 0
	v_mov_b32_e32 v18, 0
	ds_write2st64_b32 v0, v2, v3 offset0:131 offset1:163
	s_and_saveexec_b64 s[0:1], vcc
	s_cbranch_execz .LBB51_60
; %bb.59:
	v_add_u32_e32 v0, s26, v21
	v_ashrrev_i32_e32 v1, 31, v0
	v_mul_lo_u32 v2, v1, s30
	v_mul_lo_u32 v3, v0, s31
	v_mad_u64_u32 v[0:1], s[2:3], v0, s30, 0
	v_add3_u32 v1, v1, v3, v2
	v_lshl_add_u64 v[0:1], v[0:1], 2, s[10:11]
	global_load_dword v0, v[0:1], off
	s_waitcnt vmcnt(0)
	v_sub_f32_e32 v0, s12, v0
	v_exp_f32_e32 v18, v0
.LBB51_60:
	s_or_b64 exec, exec, s[0:1]
	v_or_b32_e32 v10, 1, v21
	v_cmp_gt_i32_e64 s[2:3], s27, v10
	s_and_saveexec_b64 s[0:1], s[2:3]
	s_cbranch_execz .LBB51_62
; %bb.61:
	v_add_u32_e32 v0, s26, v10
	v_ashrrev_i32_e32 v1, 31, v0
	v_mul_lo_u32 v2, v1, s30
	v_mul_lo_u32 v3, v0, s31
	v_mad_u64_u32 v[0:1], s[4:5], v0, s30, 0
	v_add3_u32 v1, v1, v3, v2
	v_lshl_add_u64 v[0:1], v[0:1], 2, s[10:11]
	global_load_dword v0, v[0:1], off
	s_waitcnt vmcnt(0)
	v_sub_f32_e32 v0, s12, v0
	v_exp_f32_e32 v16, v0
.LBB51_62:
	s_or_b64 exec, exec, s[0:1]
	v_or_b32_e32 v12, 2, v21
	v_cmp_gt_i32_e64 s[0:1], s27, v12
	v_mov_b32_e32 v17, 0
	v_mov_b32_e32 v20, 0
	s_and_saveexec_b64 s[4:5], s[0:1]
	s_cbranch_execz .LBB51_64
; %bb.63:
	v_add_u32_e32 v0, s26, v12
	v_ashrrev_i32_e32 v1, 31, v0
	v_mul_lo_u32 v2, v1, s30
	v_mul_lo_u32 v3, v0, s31
	v_mad_u64_u32 v[0:1], s[6:7], v0, s30, 0
	v_add3_u32 v1, v1, v3, v2
	v_lshl_add_u64 v[0:1], v[0:1], 2, s[10:11]
	global_load_dword v0, v[0:1], off
	s_waitcnt vmcnt(0)
	v_sub_f32_e32 v0, s12, v0
	v_exp_f32_e32 v20, v0
.LBB51_64:
	s_or_b64 exec, exec, s[4:5]
	v_or_b32_e32 v14, 3, v21
	v_cmp_gt_i32_e64 s[4:5], s27, v14
	s_and_saveexec_b64 s[6:7], s[4:5]
	s_cbranch_execz .LBB51_66
; %bb.65:
	v_add_u32_e32 v0, s26, v14
	v_ashrrev_i32_e32 v1, 31, v0
	v_mul_lo_u32 v2, v1, s30
	v_mul_lo_u32 v3, v0, s31
	v_mad_u64_u32 v[0:1], s[14:15], v0, s30, 0
	v_add3_u32 v1, v1, v3, v2
	v_lshl_add_u64 v[0:1], v[0:1], 2, s[10:11]
	global_load_dword v0, v[0:1], off
	s_waitcnt vmcnt(0)
	v_sub_f32_e32 v0, s12, v0
	v_exp_f32_e32 v17, v0
.LBB51_66:
	s_or_b64 exec, exec, s[6:7]
	s_add_u32 s6, s8, s20
	s_addc_u32 s7, s9, s21
	s_add_u32 s8, s28, s20
	v_ashrrev_i32_e32 v35, 31, v34
	v_accvgpr_read_b32 v0, a12
	s_addc_u32 s9, s29, s21
	v_lshlrev_b64 v[4:5], 1, v[34:35]
	v_accvgpr_read_b32 v1, a13
	v_accvgpr_read_b32 v2, a14
	;; [unrolled: 1-line block ×3, first 2 shown]
	v_lshl_add_u64 v[6:7], s[6:7], 0, v[4:5]
	v_lshl_add_u64 v[4:5], s[8:9], 0, v[4:5]
	v_mov_b32_e32 v11, 0
	v_lshlrev_b32_e32 v8, 8, v21
	v_mov_b32_e32 v9, 0
	s_and_saveexec_b64 s[6:7], vcc
	s_cbranch_execz .LBB51_68
; %bb.67:
	v_mov_b32_e32 v9, 0
	v_lshl_add_u64 v[26:27], v[6:7], 0, v[8:9]
	global_load_ushort v13, v[26:27], off
	v_lshl_add_u64 v[26:27], v[4:5], 0, v[8:9]
	s_waitcnt vmcnt(0)
	v_lshlrev_b32_e32 v9, 16, v13
	v_sub_f32_e32 v0, v9, v0
	global_store_short_d16_hi v[26:27], v0, off
	v_mul_f32_e32 v0, v18, v0
	v_lshrrev_b32_e32 v9, 16, v0
.LBB51_68:
	s_or_b64 exec, exec, s[6:7]
	v_lshlrev_b32_e32 v10, 8, v10
	s_and_saveexec_b64 s[6:7], s[2:3]
	s_cbranch_execz .LBB51_70
; %bb.69:
	v_mov_b32_e32 v11, 0
	v_lshl_add_u64 v[26:27], v[6:7], 0, v[10:11]
	global_load_ushort v0, v[26:27], off
	v_lshl_add_u64 v[26:27], v[4:5], 0, v[10:11]
	s_waitcnt vmcnt(0)
	v_lshlrev_b32_e32 v0, 16, v0
	v_sub_f32_e32 v0, v0, v1
	global_store_short_d16_hi v[26:27], v0, off
	v_mul_f32_e32 v0, v16, v0
	v_lshrrev_b32_e32 v11, 16, v0
.LBB51_70:
	s_or_b64 exec, exec, s[6:7]
	v_mov_b32_e32 v15, 0
	v_lshlrev_b32_e32 v12, 8, v12
	v_mov_b32_e32 v13, 0
	s_and_saveexec_b64 s[6:7], s[0:1]
	s_cbranch_execz .LBB51_72
; %bb.71:
	v_mov_b32_e32 v13, 0
	v_lshl_add_u64 v[0:1], v[6:7], 0, v[12:13]
	global_load_ushort v25, v[0:1], off
	v_lshl_add_u64 v[0:1], v[4:5], 0, v[12:13]
	s_waitcnt vmcnt(0)
	v_lshlrev_b32_e32 v13, 16, v25
	v_sub_f32_e32 v2, v13, v2
	global_store_short_d16_hi v[0:1], v2, off
	v_mul_f32_e32 v0, v20, v2
	v_lshrrev_b32_e32 v13, 16, v0
.LBB51_72:
	s_or_b64 exec, exec, s[6:7]
	v_lshlrev_b32_e32 v14, 8, v14
	s_and_saveexec_b64 s[6:7], s[4:5]
	s_cbranch_execz .LBB51_74
; %bb.73:
	v_mov_b32_e32 v15, 0
	v_lshl_add_u64 v[0:1], v[6:7], 0, v[14:15]
	global_load_ushort v2, v[0:1], off
	v_lshl_add_u64 v[0:1], v[4:5], 0, v[14:15]
	s_waitcnt vmcnt(0)
	v_lshlrev_b32_e32 v2, 16, v2
	v_sub_f32_e32 v2, v2, v3
	global_store_short_d16_hi v[0:1], v2, off
	v_mul_f32_e32 v0, v17, v2
	v_lshrrev_b32_e32 v15, 16, v0
.LBB51_74:
	s_or_b64 exec, exec, s[6:7]
	v_lshlrev_b32_e32 v21, 6, v21
	s_mov_b32 s6, 0x5040100
	v_perm_b32 v26, v11, v9, s6
	v_or_b32_e32 v9, v21, v24
	v_accvgpr_read_b32 v0, a8
	v_perm_b32 v27, v15, v13, s6
	v_lshlrev_b32_e32 v9, 1, v9
	v_accvgpr_read_b32 v1, a9
	v_accvgpr_read_b32 v2, a10
	;; [unrolled: 1-line block ×3, first 2 shown]
	ds_write_b64 v9, v[26:27] offset:24576
	v_mov_b32_e32 v11, 0
	v_mov_b32_e32 v9, 0
	s_and_saveexec_b64 s[6:7], vcc
	s_cbranch_execz .LBB51_76
; %bb.75:
	v_mov_b32_e32 v9, 0
	v_lshl_add_u64 v[24:25], v[6:7], 0, v[8:9]
	global_load_ushort v13, v[24:25], off offset:32
	v_lshl_add_u64 v[24:25], v[4:5], 0, v[8:9]
	s_waitcnt vmcnt(0)
	v_lshlrev_b32_e32 v9, 16, v13
	v_sub_f32_e32 v0, v9, v0
	global_store_short_d16_hi v[24:25], v0, off offset:32
	v_mul_f32_e32 v0, v18, v0
	v_lshrrev_b32_e32 v9, 16, v0
.LBB51_76:
	s_or_b64 exec, exec, s[6:7]
	s_and_saveexec_b64 s[6:7], s[2:3]
	s_cbranch_execz .LBB51_78
; %bb.77:
	v_mov_b32_e32 v11, 0
	v_lshl_add_u64 v[24:25], v[6:7], 0, v[10:11]
	global_load_ushort v0, v[24:25], off offset:32
	v_lshl_add_u64 v[24:25], v[4:5], 0, v[10:11]
	s_waitcnt vmcnt(0)
	v_lshlrev_b32_e32 v0, 16, v0
	v_sub_f32_e32 v0, v0, v1
	global_store_short_d16_hi v[24:25], v0, off offset:32
	v_mul_f32_e32 v0, v16, v0
	v_lshrrev_b32_e32 v11, 16, v0
.LBB51_78:
	s_or_b64 exec, exec, s[6:7]
	v_mov_b32_e32 v15, 0
	v_mov_b32_e32 v13, 0
	s_and_saveexec_b64 s[6:7], s[0:1]
	s_cbranch_execz .LBB51_80
; %bb.79:
	v_mov_b32_e32 v13, 0
	v_lshl_add_u64 v[0:1], v[6:7], 0, v[12:13]
	global_load_ushort v24, v[0:1], off offset:32
	v_lshl_add_u64 v[0:1], v[4:5], 0, v[12:13]
	s_waitcnt vmcnt(0)
	v_lshlrev_b32_e32 v13, 16, v24
	v_sub_f32_e32 v2, v13, v2
	global_store_short_d16_hi v[0:1], v2, off offset:32
	v_mul_f32_e32 v0, v20, v2
	v_lshrrev_b32_e32 v13, 16, v0
.LBB51_80:
	s_or_b64 exec, exec, s[6:7]
	s_and_saveexec_b64 s[6:7], s[4:5]
	s_cbranch_execz .LBB51_82
; %bb.81:
	v_mov_b32_e32 v15, 0
	v_lshl_add_u64 v[0:1], v[6:7], 0, v[14:15]
	global_load_ushort v2, v[0:1], off offset:32
	v_lshl_add_u64 v[0:1], v[4:5], 0, v[14:15]
	s_waitcnt vmcnt(0)
	v_lshlrev_b32_e32 v2, 16, v2
	v_sub_f32_e32 v2, v2, v3
	global_store_short_d16_hi v[0:1], v2, off offset:32
	v_mul_f32_e32 v0, v17, v2
	v_lshrrev_b32_e32 v15, 16, v0
.LBB51_82:
	s_or_b64 exec, exec, s[6:7]
	s_mov_b32 s6, 0x5040100
	v_perm_b32 v24, v11, v9, s6
	v_or_b32_e32 v9, v21, v23
	v_accvgpr_read_b32 v0, a4
	v_perm_b32 v25, v15, v13, s6
	v_lshlrev_b32_e32 v9, 1, v9
	v_accvgpr_read_b32 v1, a5
	v_accvgpr_read_b32 v2, a6
	v_accvgpr_read_b32 v3, a7
	ds_write_b64 v9, v[24:25] offset:24576
	v_mov_b32_e32 v11, 0
	v_mov_b32_e32 v9, 0
	s_and_saveexec_b64 s[6:7], vcc
	s_cbranch_execz .LBB51_84
; %bb.83:
	v_mov_b32_e32 v9, 0
	v_lshl_add_u64 v[24:25], v[6:7], 0, v[8:9]
	global_load_ushort v13, v[24:25], off offset:64
	v_lshl_add_u64 v[24:25], v[4:5], 0, v[8:9]
	s_waitcnt vmcnt(0)
	v_lshlrev_b32_e32 v9, 16, v13
	v_sub_f32_e32 v0, v9, v0
	global_store_short_d16_hi v[24:25], v0, off offset:64
	v_mul_f32_e32 v0, v18, v0
	v_lshrrev_b32_e32 v9, 16, v0
.LBB51_84:
	s_or_b64 exec, exec, s[6:7]
	s_and_saveexec_b64 s[6:7], s[2:3]
	s_cbranch_execz .LBB51_86
; %bb.85:
	v_mov_b32_e32 v11, 0
	v_lshl_add_u64 v[24:25], v[6:7], 0, v[10:11]
	global_load_ushort v0, v[24:25], off offset:64
	v_lshl_add_u64 v[24:25], v[4:5], 0, v[10:11]
	s_waitcnt vmcnt(0)
	v_lshlrev_b32_e32 v0, 16, v0
	v_sub_f32_e32 v0, v0, v1
	global_store_short_d16_hi v[24:25], v0, off offset:64
	v_mul_f32_e32 v0, v16, v0
	v_lshrrev_b32_e32 v11, 16, v0
.LBB51_86:
	s_or_b64 exec, exec, s[6:7]
	v_mov_b32_e32 v15, 0
	v_mov_b32_e32 v13, 0
	s_and_saveexec_b64 s[6:7], s[0:1]
	s_cbranch_execz .LBB51_88
; %bb.87:
	v_mov_b32_e32 v13, 0
	v_lshl_add_u64 v[0:1], v[6:7], 0, v[12:13]
	global_load_ushort v23, v[0:1], off offset:64
	v_lshl_add_u64 v[0:1], v[4:5], 0, v[12:13]
	s_waitcnt vmcnt(0)
	v_lshlrev_b32_e32 v13, 16, v23
	v_sub_f32_e32 v2, v13, v2
	global_store_short_d16_hi v[0:1], v2, off offset:64
	v_mul_f32_e32 v0, v20, v2
	v_lshrrev_b32_e32 v13, 16, v0
.LBB51_88:
	s_or_b64 exec, exec, s[6:7]
	s_and_saveexec_b64 s[6:7], s[4:5]
	s_cbranch_execz .LBB51_90
; %bb.89:
	v_mov_b32_e32 v15, 0
	v_lshl_add_u64 v[0:1], v[6:7], 0, v[14:15]
	global_load_ushort v2, v[0:1], off offset:64
	v_lshl_add_u64 v[0:1], v[4:5], 0, v[14:15]
	s_waitcnt vmcnt(0)
	v_lshlrev_b32_e32 v2, 16, v2
	v_sub_f32_e32 v2, v2, v3
	global_store_short_d16_hi v[0:1], v2, off offset:64
	v_mul_f32_e32 v0, v17, v2
	v_lshrrev_b32_e32 v15, 16, v0
.LBB51_90:
	s_or_b64 exec, exec, s[6:7]
	s_mov_b32 s6, 0x5040100
	v_perm_b32 v24, v11, v9, s6
	v_or_b32_e32 v9, v21, v22
	v_accvgpr_read_b32 v0, a0
	v_perm_b32 v25, v15, v13, s6
	v_lshlrev_b32_e32 v9, 1, v9
	v_accvgpr_read_b32 v1, a1
	v_accvgpr_read_b32 v2, a2
	;; [unrolled: 1-line block ×3, first 2 shown]
	ds_write_b64 v9, v[24:25] offset:24576
	v_mov_b32_e32 v11, 0
	v_mov_b32_e32 v9, 0
	s_and_saveexec_b64 s[6:7], vcc
	s_cbranch_execz .LBB51_92
; %bb.91:
	v_mov_b32_e32 v9, 0
	v_lshl_add_u64 v[22:23], v[6:7], 0, v[8:9]
	global_load_ushort v13, v[22:23], off offset:96
	v_lshl_add_u64 v[8:9], v[4:5], 0, v[8:9]
	s_waitcnt vmcnt(0)
	v_lshlrev_b32_e32 v13, 16, v13
	v_sub_f32_e32 v0, v13, v0
	global_store_short_d16_hi v[8:9], v0, off offset:96
	v_mul_f32_e32 v0, v18, v0
	v_lshrrev_b32_e32 v9, 16, v0
.LBB51_92:
	s_or_b64 exec, exec, s[6:7]
	s_and_saveexec_b64 s[6:7], s[2:3]
	s_cbranch_execz .LBB51_94
; %bb.93:
	v_mov_b32_e32 v11, 0
	v_lshl_add_u64 v[22:23], v[6:7], 0, v[10:11]
	global_load_ushort v0, v[22:23], off offset:96
	v_lshl_add_u64 v[10:11], v[4:5], 0, v[10:11]
	s_waitcnt vmcnt(0)
	v_lshlrev_b32_e32 v0, 16, v0
	v_sub_f32_e32 v0, v0, v1
	global_store_short_d16_hi v[10:11], v0, off offset:96
	v_mul_f32_e32 v0, v16, v0
	v_lshrrev_b32_e32 v11, 16, v0
.LBB51_94:
	s_or_b64 exec, exec, s[6:7]
	v_mov_b32_e32 v0, 0
	v_mov_b32_e32 v1, 0
	s_and_saveexec_b64 s[2:3], s[0:1]
	s_cbranch_execz .LBB51_96
; %bb.95:
	v_mov_b32_e32 v13, 0
	v_lshl_add_u64 v[22:23], v[6:7], 0, v[12:13]
	global_load_ushort v1, v[22:23], off offset:96
	v_lshl_add_u64 v[12:13], v[4:5], 0, v[12:13]
	s_waitcnt vmcnt(0)
	v_lshlrev_b32_e32 v1, 16, v1
	v_sub_f32_e32 v1, v1, v2
	global_store_short_d16_hi v[12:13], v1, off offset:96
	v_mul_f32_e32 v1, v20, v1
	v_lshrrev_b32_e32 v1, 16, v1
.LBB51_96:
	s_or_b64 exec, exec, s[2:3]
	s_and_saveexec_b64 s[0:1], s[4:5]
	s_cbranch_execz .LBB51_98
; %bb.97:
	v_mov_b32_e32 v15, 0
	v_lshl_add_u64 v[6:7], v[6:7], 0, v[14:15]
	global_load_ushort v0, v[6:7], off offset:96
	v_lshl_add_u64 v[4:5], v[4:5], 0, v[14:15]
	s_waitcnt vmcnt(0)
	v_lshlrev_b32_e32 v0, 16, v0
	v_sub_f32_e32 v0, v0, v3
	global_store_short_d16_hi v[4:5], v0, off offset:96
	v_mul_f32_e32 v0, v17, v0
	v_lshrrev_b32_e32 v0, 16, v0
.LBB51_98:
	s_or_b64 exec, exec, s[0:1]
	s_mov_b32 s0, 0x5040100
	v_or_b32_e32 v2, v21, v19
	v_perm_b32 v1, v0, v1, s0
	v_perm_b32 v0, v11, v9, s0
	v_lshlrev_b32_e32 v2, 1, v2
	ds_write_b64 v2, v[0:1] offset:24576
	s_waitcnt lgkmcnt(0)
	s_barrier
.LBB51_99:
	s_endpgm
	.section	.rodata,"a",@progbits
	.p2align	6, 0x0
	.amdhsa_kernel _ZN12_GLOBAL__N_139chunk_gated_delta_rule_fwd_h_hip_kernelILi64ELb1ELb0ELb1ELb1ELb1ELb0ELb0ELb1EEEvPK12hip_bfloat16S3_S3_PKfS5_PKvPS1_S8_PvPKiSB_iiiiilll
		.amdhsa_group_segment_fixed_size 65536
		.amdhsa_private_segment_fixed_size 0
		.amdhsa_kernarg_size 136
		.amdhsa_user_sgpr_count 2
		.amdhsa_user_sgpr_dispatch_ptr 0
		.amdhsa_user_sgpr_queue_ptr 0
		.amdhsa_user_sgpr_kernarg_segment_ptr 1
		.amdhsa_user_sgpr_dispatch_id 0
		.amdhsa_user_sgpr_kernarg_preload_length 0
		.amdhsa_user_sgpr_kernarg_preload_offset 0
		.amdhsa_user_sgpr_private_segment_size 0
		.amdhsa_uses_dynamic_stack 0
		.amdhsa_enable_private_segment 0
		.amdhsa_system_sgpr_workgroup_id_x 1
		.amdhsa_system_sgpr_workgroup_id_y 1
		.amdhsa_system_sgpr_workgroup_id_z 0
		.amdhsa_system_sgpr_workgroup_info 0
		.amdhsa_system_vgpr_workitem_id 0
		.amdhsa_next_free_vgpr 216
		.amdhsa_next_free_sgpr 63
		.amdhsa_accum_offset 180
		.amdhsa_reserve_vcc 1
		.amdhsa_float_round_mode_32 0
		.amdhsa_float_round_mode_16_64 0
		.amdhsa_float_denorm_mode_32 3
		.amdhsa_float_denorm_mode_16_64 3
		.amdhsa_dx10_clamp 1
		.amdhsa_ieee_mode 1
		.amdhsa_fp16_overflow 0
		.amdhsa_tg_split 0
		.amdhsa_exception_fp_ieee_invalid_op 0
		.amdhsa_exception_fp_denorm_src 0
		.amdhsa_exception_fp_ieee_div_zero 0
		.amdhsa_exception_fp_ieee_overflow 0
		.amdhsa_exception_fp_ieee_underflow 0
		.amdhsa_exception_fp_ieee_inexact 0
		.amdhsa_exception_int_div_zero 0
	.end_amdhsa_kernel
	.section	.text._ZN12_GLOBAL__N_139chunk_gated_delta_rule_fwd_h_hip_kernelILi64ELb1ELb0ELb1ELb1ELb1ELb0ELb0ELb1EEEvPK12hip_bfloat16S3_S3_PKfS5_PKvPS1_S8_PvPKiSB_iiiiilll,"axG",@progbits,_ZN12_GLOBAL__N_139chunk_gated_delta_rule_fwd_h_hip_kernelILi64ELb1ELb0ELb1ELb1ELb1ELb0ELb0ELb1EEEvPK12hip_bfloat16S3_S3_PKfS5_PKvPS1_S8_PvPKiSB_iiiiilll,comdat
.Lfunc_end51:
	.size	_ZN12_GLOBAL__N_139chunk_gated_delta_rule_fwd_h_hip_kernelILi64ELb1ELb0ELb1ELb1ELb1ELb0ELb0ELb1EEEvPK12hip_bfloat16S3_S3_PKfS5_PKvPS1_S8_PvPKiSB_iiiiilll, .Lfunc_end51-_ZN12_GLOBAL__N_139chunk_gated_delta_rule_fwd_h_hip_kernelILi64ELb1ELb0ELb1ELb1ELb1ELb0ELb0ELb1EEEvPK12hip_bfloat16S3_S3_PKfS5_PKvPS1_S8_PvPKiSB_iiiiilll
                                        ; -- End function
	.section	.AMDGPU.csdata,"",@progbits
; Kernel info:
; codeLenInByte = 11260
; NumSgprs: 69
; NumVgprs: 180
; NumAgprs: 36
; TotalNumVgprs: 216
; ScratchSize: 0
; MemoryBound: 0
; FloatMode: 240
; IeeeMode: 1
; LDSByteSize: 65536 bytes/workgroup (compile time only)
; SGPRBlocks: 8
; VGPRBlocks: 26
; NumSGPRsForWavesPerEU: 69
; NumVGPRsForWavesPerEU: 216
; AccumOffset: 180
; Occupancy: 1
; WaveLimiterHint : 1
; COMPUTE_PGM_RSRC2:SCRATCH_EN: 0
; COMPUTE_PGM_RSRC2:USER_SGPR: 2
; COMPUTE_PGM_RSRC2:TRAP_HANDLER: 0
; COMPUTE_PGM_RSRC2:TGID_X_EN: 1
; COMPUTE_PGM_RSRC2:TGID_Y_EN: 1
; COMPUTE_PGM_RSRC2:TGID_Z_EN: 0
; COMPUTE_PGM_RSRC2:TIDIG_COMP_CNT: 0
; COMPUTE_PGM_RSRC3_GFX90A:ACCUM_OFFSET: 44
; COMPUTE_PGM_RSRC3_GFX90A:TG_SPLIT: 0
	.section	.text._ZN12_GLOBAL__N_139chunk_gated_delta_rule_fwd_h_hip_kernelILi64ELb1ELb0ELb0ELb1ELb1ELb0ELb0ELb1EEEvPK12hip_bfloat16S3_S3_PKfS5_PKvPS1_S8_PvPKiSB_iiiiilll,"axG",@progbits,_ZN12_GLOBAL__N_139chunk_gated_delta_rule_fwd_h_hip_kernelILi64ELb1ELb0ELb0ELb1ELb1ELb0ELb0ELb1EEEvPK12hip_bfloat16S3_S3_PKfS5_PKvPS1_S8_PvPKiSB_iiiiilll,comdat
	.globl	_ZN12_GLOBAL__N_139chunk_gated_delta_rule_fwd_h_hip_kernelILi64ELb1ELb0ELb0ELb1ELb1ELb0ELb0ELb1EEEvPK12hip_bfloat16S3_S3_PKfS5_PKvPS1_S8_PvPKiSB_iiiiilll ; -- Begin function _ZN12_GLOBAL__N_139chunk_gated_delta_rule_fwd_h_hip_kernelILi64ELb1ELb0ELb0ELb1ELb1ELb0ELb0ELb1EEEvPK12hip_bfloat16S3_S3_PKfS5_PKvPS1_S8_PvPKiSB_iiiiilll
	.p2align	8
	.type	_ZN12_GLOBAL__N_139chunk_gated_delta_rule_fwd_h_hip_kernelILi64ELb1ELb0ELb0ELb1ELb1ELb0ELb0ELb1EEEvPK12hip_bfloat16S3_S3_PKfS5_PKvPS1_S8_PvPKiSB_iiiiilll,@function
_ZN12_GLOBAL__N_139chunk_gated_delta_rule_fwd_h_hip_kernelILi64ELb1ELb0ELb0ELb1ELb1ELb0ELb0ELb1EEEvPK12hip_bfloat16S3_S3_PKfS5_PKvPS1_S8_PvPKiSB_iiiiilll: ; @_ZN12_GLOBAL__N_139chunk_gated_delta_rule_fwd_h_hip_kernelILi64ELb1ELb0ELb0ELb1ELb1ELb0ELb0ELb1EEEvPK12hip_bfloat16S3_S3_PKfS5_PKvPS1_S8_PvPKiSB_iiiiilll
; %bb.0:
	s_load_dwordx4 s[12:15], s[0:1], 0x5c
	s_load_dwordx4 s[20:23], s[0:1], 0x70
	s_abs_i32 s9, s3
	s_ashr_i32 s8, s3, 31
	s_load_dwordx4 s[4:7], s[0:1], 0x48
	s_waitcnt lgkmcnt(0)
	s_abs_i32 s10, s13
	v_cvt_f32_u32_e32 v1, s10
	s_sub_i32 s16, 0, s10
	s_ashr_i32 s11, s13, 31
	s_xor_b32 s8, s8, s11
	v_rcp_iflag_f32_e32 v1, v1
	v_and_b32_e32 v77, 15, v0
	v_lshrrev_b32_e32 v75, 6, v0
	v_bfe_u32 v76, v0, 4, 2
	v_mul_f32_e32 v1, 0x4f7ffffe, v1
	v_cvt_u32_f32_e32 v1, v1
	v_mov_b32_e32 v7, 0
	v_and_b32_e32 v74, 63, v0
	v_lshlrev_b32_e32 v78, 3, v0
	v_readfirstlane_b32 s17, v1
	s_mul_i32 s16, s16, s17
	s_mul_hi_u32 s16, s17, s16
	s_add_i32 s17, s17, s16
	s_mul_hi_u32 s16, s9, s17
	s_mul_i32 s17, s16, s10
	s_sub_i32 s9, s9, s17
	s_add_i32 s18, s16, 1
	s_sub_i32 s17, s9, s10
	s_cmp_ge_u32 s9, s10
	s_cselect_b32 s16, s18, s16
	s_cselect_b32 s9, s17, s9
	s_add_i32 s17, s16, 1
	s_cmp_ge_u32 s9, s10
	s_cselect_b32 s9, s17, s16
	s_load_dwordx4 s[16:19], s[0:1], 0x28
	s_xor_b32 s9, s9, s8
	s_sub_i32 s24, s9, s8
	s_mul_i32 s28, s24, s13
	s_ashr_i32 s25, s24, 31
	s_sub_i32 s45, s3, s28
	s_lshl_b64 s[8:9], s[24:25], 2
	s_add_u32 s4, s4, s8
	s_addc_u32 s5, s5, s9
	s_add_u32 s26, s6, s8
	s_addc_u32 s27, s7, s9
	s_abs_i32 s3, s14
	v_cvt_f32_u32_e32 v1, s3
	s_load_dwordx2 s[30:31], s[4:5], 0x0
	s_sub_i32 s5, 0, s3
	s_lshl_b32 s2, s2, 6
	v_rcp_iflag_f32_e32 v1, v1
	v_or_b32_e32 v34, s2, v77
	s_waitcnt lgkmcnt(0)
	s_sub_i32 s48, s31, s30
	s_ashr_i32 s4, s48, 31
	v_mul_f32_e32 v1, 0x4f7ffffe, v1
	v_cvt_u32_f32_e32 v1, v1
	s_lshr_b32 s4, s4, 26
	s_add_i32 s4, s48, s4
	s_ashr_i32 s47, s4, 6
	v_readfirstlane_b32 s6, v1
	s_mul_i32 s5, s5, s6
	s_mul_hi_u32 s5, s6, s5
	s_add_i32 s6, s6, s5
	s_mul_hi_u32 s5, s10, s6
	s_mul_i32 s6, s5, s3
	s_ashr_i32 s4, s14, 31
	s_sub_i32 s6, s10, s6
	s_xor_b32 s4, s11, s4
	s_add_i32 s7, s5, 1
	s_sub_i32 s8, s6, s3
	s_cmp_ge_u32 s6, s3
	s_cselect_b32 s5, s7, s5
	s_cselect_b32 s6, s8, s6
	s_add_i32 s7, s5, 1
	s_cmp_ge_u32 s6, s3
	s_cselect_b32 s3, s7, s5
	s_xor_b32 s3, s3, s4
	s_sub_i32 s3, s3, s4
	s_abs_i32 s4, s3
	v_cvt_f32_u32_e32 v1, s4
	s_sub_i32 s6, 0, s4
	s_abs_i32 s5, s45
	s_xor_b32 s3, s45, s3
	v_rcp_iflag_f32_e32 v1, v1
	s_ashr_i32 s3, s3, 31
	v_lshlrev_b32_e32 v2, 7, v34
	v_or_b32_e32 v10, 0x800, v2
	v_mul_f32_e32 v1, 0x4f7ffffe, v1
	v_cvt_u32_f32_e32 v1, v1
	v_ashrrev_i32_e32 v3, 31, v2
	v_ashrrev_i32_e32 v11, 31, v10
	v_lshrrev_b32_e32 v79, 3, v74
	v_readfirstlane_b32 s7, v1
	s_mul_i32 s6, s6, s7
	s_mul_hi_u32 s6, s7, s6
	s_add_i32 s7, s7, s6
	s_mul_hi_u32 s6, s5, s7
	s_mul_i32 s7, s6, s4
	s_sub_i32 s5, s5, s7
	s_add_i32 s7, s6, 1
	s_sub_i32 s8, s5, s4
	s_cmp_ge_u32 s5, s4
	s_cselect_b32 s6, s7, s6
	s_cselect_b32 s5, s8, s5
	s_add_i32 s7, s6, 1
	s_cmp_ge_u32 s5, s4
	s_cselect_b32 s4, s7, s6
	s_xor_b32 s4, s4, s3
	s_sub_i32 s49, s4, s3
	s_ashr_i32 s46, s45, 31
	s_mul_hi_i32 s3, s24, s13
	s_add_u32 s4, s28, s45
	s_addc_u32 s5, s3, s46
	s_lshl_b64 s[4:5], s[4:5], 15
	v_lshlrev_b32_e32 v1, 4, v75
	s_add_u32 s4, s16, s4
	v_lshl_or_b32 v80, v76, 2, v1
	s_addc_u32 s5, s17, s5
	v_lshl_add_u64 v[4:5], v[2:3], 1, s[4:5]
	v_lshlrev_b32_e32 v6, 1, v80
	v_lshl_add_u64 v[10:11], v[10:11], 1, s[4:5]
	v_lshl_add_u64 v[4:5], v[4:5], 0, v[6:7]
	;; [unrolled: 1-line block ×3, first 2 shown]
	global_load_dwordx2 v[8:9], v[4:5], off
	v_or_b32_e32 v81, 64, v80
	global_load_dwordx2 v[4:5], v[4:5], off offset:128
	s_nop 0
	global_load_dwordx2 v[12:13], v[10:11], off
	global_load_dwordx2 v[14:15], v[10:11], off offset:128
	v_or_b32_e32 v10, 0x1000, v2
	v_or_b32_e32 v2, 0x1800, v2
	v_ashrrev_i32_e32 v11, 31, v10
	v_ashrrev_i32_e32 v3, 31, v2
	v_lshl_add_u64 v[10:11], v[10:11], 1, s[4:5]
	v_lshl_add_u64 v[2:3], v[2:3], 1, s[4:5]
	;; [unrolled: 1-line block ×4, first 2 shown]
	global_load_dwordx2 v[16:17], v[10:11], off
	s_mul_i32 s33, s24, s21
	global_load_dwordx2 v[10:11], v[10:11], off offset:128
	s_nop 0
	global_load_dwordx2 v[6:7], v[2:3], off
	global_load_dwordx2 v[18:19], v[2:3], off offset:128
	s_load_dwordx8 s[4:11], s[0:1], 0x0
	s_load_dwordx2 s[28:29], s[0:1], 0x80
	s_load_dword s52, s[26:27], 0x0
	s_mul_hi_u32 s41, s24, s20
	s_mul_i32 s40, s25, s20
	s_mul_hi_i32 s50, s45, s12
	s_mul_i32 s51, s45, s12
	s_cmp_lt_i32 s48, 64
	s_mul_i32 s36, s24, s20
	s_mul_i32 s42, s45, s23
	s_mul_hi_u32 s43, s45, s22
	s_mul_i32 s44, s46, s22
	s_mul_i32 s34, s45, s22
	s_waitcnt vmcnt(7)
	v_and_b32_e32 v63, 0xffff0000, v8
	v_lshlrev_b32_e32 v62, 16, v8
	v_and_b32_e32 v67, 0xffff0000, v9
	v_lshlrev_b32_e32 v66, 16, v9
	s_waitcnt vmcnt(6)
	v_and_b32_e32 v61, 0xffff0000, v4
	v_lshlrev_b32_e32 v60, 16, v4
	v_and_b32_e32 v65, 0xffff0000, v5
	v_lshlrev_b32_e32 v64, 16, v5
	s_waitcnt vmcnt(5)
	v_and_b32_e32 v55, 0xffff0000, v12
	v_lshlrev_b32_e32 v54, 16, v12
	v_and_b32_e32 v59, 0xffff0000, v13
	v_lshlrev_b32_e32 v58, 16, v13
	s_waitcnt vmcnt(4)
	v_and_b32_e32 v53, 0xffff0000, v14
	v_lshlrev_b32_e32 v52, 16, v14
	v_and_b32_e32 v57, 0xffff0000, v15
	v_lshlrev_b32_e32 v56, 16, v15
	s_waitcnt vmcnt(3)
	v_and_b32_e32 v47, 0xffff0000, v16
	v_lshlrev_b32_e32 v46, 16, v16
	v_and_b32_e32 v51, 0xffff0000, v17
	v_lshlrev_b32_e32 v50, 16, v17
	s_waitcnt vmcnt(2)
	v_and_b32_e32 v45, 0xffff0000, v10
	v_lshlrev_b32_e32 v44, 16, v10
	v_and_b32_e32 v49, 0xffff0000, v11
	v_lshlrev_b32_e32 v48, 16, v11
	s_waitcnt vmcnt(1)
	v_and_b32_e32 v39, 0xffff0000, v6
	v_lshlrev_b32_e32 v38, 16, v6
	v_and_b32_e32 v43, 0xffff0000, v7
	v_lshlrev_b32_e32 v42, 16, v7
	s_waitcnt vmcnt(0)
	v_and_b32_e32 v37, 0xffff0000, v18
	v_lshlrev_b32_e32 v36, 16, v18
	v_and_b32_e32 v41, 0xffff0000, v19
	v_lshlrev_b32_e32 v40, 16, v19
	s_cbranch_scc1 .LBB52_18
; %bb.1:
	s_ashr_i32 s1, s30, 31
	s_add_u32 s0, s51, s30
	s_addc_u32 s1, s50, s1
	s_lshl_b64 s[0:1], s[0:1], 8
	v_and_b32_e32 v83, 56, v78
	s_waitcnt lgkmcnt(0)
	s_add_u32 s20, s6, s0
	v_lshl_or_b32 v82, v75, 3, v79
	v_lshlrev_b32_e32 v2, 1, v83
	s_addc_u32 s0, s7, s1
	v_lshl_or_b32 v84, v82, 8, v2
	s_and_b32 s21, s0, 0xffff
	s_mov_b32 s23, 0x20000
	s_movk_i32 s22, 0x4000
	s_movk_i32 s0, 0x80
	v_or_b32_e32 v85, 0x2000, v84
	buffer_load_dwordx4 v[4:7], v84, s[20:23], 0 offen
	buffer_load_dwordx4 v[8:11], v84, s[20:23], s0 offen
	;; [unrolled: 1-line block ×4, first 2 shown]
	v_lshlrev_b32_e32 v3, 3, v82
	v_and_or_b32 v21, v0, 7, v3
	v_and_b32_e32 v3, 0x78, v3
	v_lshlrev_b32_e32 v21, 4, v21
	v_xor_b32_e32 v86, v21, v3
	v_mul_lo_u32 v20, v82, s15
	v_or_b32_e32 v87, 0x1000, v86
	v_xor_b32_e32 v3, 8, v86
	s_cmpk_eq_i32 s15, 0x80
	s_mov_b32 s53, s30
	v_xor_b32_e32 v21, 8, v87
	s_cselect_b64 s[0:1], -1, 0
	s_cmpk_lg_i32 s15, 0x80
	s_waitcnt vmcnt(3)
	ds_write_b64 v86, v[4:5] offset:49152
	ds_write_b64 v3, v[6:7] offset:49152
	s_waitcnt vmcnt(2)
	ds_write_b64 v86, v[8:9] offset:57344
	ds_write_b64 v3, v[10:11] offset:57344
	s_waitcnt vmcnt(1)
	ds_write_b64 v86, v[12:13] offset:53248
	ds_write_b64 v21, v[14:15] offset:49152
	s_waitcnt vmcnt(0)
	ds_write_b64 v86, v[16:17] offset:61440
	ds_write_b64 v21, v[18:19] offset:57344
	v_lshl_add_u32 v3, v20, 1, v83
	s_cbranch_scc0 .LBB52_3
; %bb.2:
	v_lshlrev_b32_e32 v5, 1, v3
	v_add_lshl_u32 v4, v3, s15, 1
	s_lshl_b32 s22, s15, 7
	v_lshl_or_b32 v2, v82, 9, v2
	s_cbranch_execz .LBB52_4
	s_branch .LBB52_5
.LBB52_3:
                                        ; implicit-def: $vgpr4
                                        ; implicit-def: $vgpr5
                                        ; implicit-def: $sgpr22
	v_lshl_or_b32 v2, v82, 9, v2
.LBB52_4:
	v_or_b32_e32 v4, 0x100, v2
	s_movk_i32 s22, 0x4000
	v_mov_b32_e32 v5, v2
.LBB52_5:
	s_mul_i32 s16, s30, s14
	s_ashr_i32 s54, s49, 31
	s_mul_hi_i32 s3, s30, s14
	s_add_u32 s16, s16, s49
	s_addc_u32 s17, s3, s54
	s_lshl_b64 s[16:17], s[16:17], 8
	s_add_u32 s20, s4, s16
	s_addc_u32 s3, s5, s17
	s_and_b32 s21, s3, 0xffff
	s_movk_i32 s55, 0x80
	buffer_load_dwordx4 v[6:9], v5, s[20:23], 0 offen
	buffer_load_dwordx4 v[10:13], v5, s[20:23], s55 offen
	;; [unrolled: 1-line block ×4, first 2 shown]
	v_and_b32_e32 v5, 6, v0
	v_lshlrev_b32_e32 v4, 7, v80
	v_xor_b32_e32 v27, v82, v5
	v_and_b32_e32 v22, 1, v0
	v_lshl_or_b32 v30, v77, 3, v4
	v_lshlrev_b32_e32 v27, 2, v27
	v_lshlrev_b32_e32 v23, 2, v77
	v_or_b32_e32 v88, 0x4000, v30
	v_or_b32_e32 v89, 0x6000, v30
	v_xor_b32_e32 v30, 0x440, v27
	v_cmp_eq_u32_e32 vcc, 0, v22
	v_or_b32_e32 v25, 16, v77
	v_or_b32_e32 v26, 32, v77
	v_xor_b32_e32 v28, v80, v23
	v_xor_b32_e32 v29, v81, v23
	v_cndmask_b32_e32 v22, v30, v27, vcc
	s_mov_b32 s56, 0x1000504
	v_lshl_or_b32 v31, v25, 3, v4
	v_lshlrev_b32_e32 v25, 8, v25
	v_lshl_or_b32 v32, v26, 3, v4
	v_lshlrev_b32_e32 v28, 1, v28
	v_lshlrev_b32_e32 v29, 1, v29
	v_lshl_or_b32 v5, v5, 10, v22
	s_add_i32 s3, s41, s33
	s_mov_b32 s57, 0x3020706
	v_lshlrev_b32_e32 v24, 8, v77
	v_or_b32_e32 v92, 0x4000, v32
	v_or_b32_e32 v93, 0x6000, v32
	;; [unrolled: 1-line block ×4, first 2 shown]
	v_xor_b32_e32 v22, 8, v5
	v_xor_b32_e32 v25, 24, v5
	;; [unrolled: 1-line block ×4, first 2 shown]
	s_add_i32 s37, s3, s40
	s_add_i32 s3, s43, s42
	v_or_b32_e32 v90, 0x4000, v31
	v_or_b32_e32 v91, 0x6000, v31
	;; [unrolled: 1-line block ×4, first 2 shown]
	v_xor_b32_e32 v24, 16, v5
	v_xor_b32_e32 v27, 32, v5
	;; [unrolled: 1-line block ×3, first 2 shown]
	v_add_u32_e32 v22, 0x80, v22
	v_add_u32_e32 v25, 0x80, v25
	;; [unrolled: 1-line block ×4, first 2 shown]
	s_add_i32 s35, s3, s44
	s_lshl_b64 s[16:17], s[36:37], 2
	s_add_u32 s3, s10, s16
	s_addc_u32 s20, s11, s17
	s_lshl_b64 s[16:17], s[34:35], 2
	s_add_u32 s16, s3, s16
	s_movk_i32 s3, 0xf8
	s_addc_u32 s17, s20, s17
	s_lshl_b32 s26, s15, 7
	s_movk_i32 s24, 0x100
	v_mov_b32_e32 v69, 0
	v_lshlrev_b32_e32 v68, 4, v77
	v_cmp_gt_u32_e32 vcc, s24, v0
	v_lshlrev_b32_e32 v26, 8, v26
	s_mov_b32 s58, 0
	s_movk_i32 s22, 0x4000
	v_or_b32_e32 v98, v26, v28
	v_or_b32_e32 v99, v26, v29
	s_movk_i32 s35, 0x2000
	s_movk_i32 s37, 0x3000
	s_waitcnt vmcnt(1)
	v_perm_b32 v33, v6, v14, s56
	s_waitcnt vmcnt(0)
	v_perm_b32 v35, v10, v18, s56
	v_perm_b32 v6, v6, v14, s57
	;; [unrolled: 1-line block ×15, first 2 shown]
	ds_write2st64_b32 v5, v33, v35 offset0:128 offset1:160
	ds_write2st64_b32 v22, v6, v10 offset0:128 offset1:160
	;; [unrolled: 1-line block ×8, first 2 shown]
	v_or_b32_e32 v5, 48, v77
	v_lshl_or_b32 v6, v5, 3, v4
	v_lshlrev_b32_e32 v5, 8, v5
	v_or_b32_e32 v102, v5, v28
	v_or_b32_e32 v103, v5, v29
	;; [unrolled: 1-line block ×3, first 2 shown]
	v_lshlrev_b32_e32 v5, 3, v5
	v_lshrrev_b32_e32 v7, 5, v74
	v_and_or_b32 v7, v5, s3, v7
	v_lshlrev_b32_e32 v7, 4, v7
	v_lshlrev_b32_e32 v8, 11, v75
	v_and_b32_e32 v5, 0x78, v5
	v_or_b32_e32 v13, 32, v7
	v_or_b32_e32 v100, 0x4000, v6
	;; [unrolled: 1-line block ×3, first 2 shown]
	v_and_b32_e32 v6, 0x1000, v8
	v_xor_b32_e32 v9, v7, v5
	v_lshrrev_b32_e32 v10, 1, v0
	v_xor_b32_e32 v13, v13, v5
	v_or_b32_e32 v9, v9, v6
	v_and_b32_e32 v11, 8, v10
	v_or_b32_e32 v13, v13, v6
	v_xor_b32_e32 v104, v9, v11
	v_lshlrev_b32_e32 v9, 8, v76
	v_xor_b32_e32 v106, v13, v11
	v_or_b32_e32 v13, 64, v7
	v_or_b32_e32 v7, 0x60, v7
	s_ashr_i32 s3, s2, 31
	v_or_b32_e32 v12, v9, v23
	v_xor_b32_e32 v13, v13, v5
	v_xor_b32_e32 v5, v7, v5
	s_lshl_b64 s[20:21], s[2:3], 8
	v_lshlrev_b32_e32 v12, 1, v12
	v_or_b32_e32 v13, v13, v6
	v_or_b32_e32 v5, v5, v6
	s_add_u32 s20, s18, s20
	v_lshlrev_b32_e32 v6, 1, v77
	v_or_b32_e32 v105, 0x4000, v12
	v_or_b32_e32 v107, 0x4080, v12
	;; [unrolled: 1-line block ×8, first 2 shown]
	v_lshrrev_b32_e32 v12, 4, v0
	s_addc_u32 s21, s19, s21
	v_or_b32_e32 v7, 1, v6
	v_mov_b32_e32 v16, 0xa000
	v_mov_b32_e32 v17, 0x8000
	v_xor_b32_e32 v110, v13, v11
	v_xor_b32_e32 v13, v12, v6
	;; [unrolled: 1-line block ×3, first 2 shown]
	v_lshl_add_u64 v[6:7], s[20:21], 0, v[68:69]
	v_lshlrev_b32_e32 v68, 8, v12
	v_cndmask_b32_e32 v16, v16, v17, vcc
	v_lshlrev_b32_e32 v17, 3, v75
	v_and_b32_e32 v10, 24, v10
	v_lshl_or_b32 v116, v13, 3, v68
	v_and_b32_e32 v13, 8, v0
	v_xor_b32_e32 v18, v17, v10
	v_or_b32_e32 v19, 0x440, v18
	v_cmp_eq_u32_e32 vcc, 0, v13
	v_and_b32_e32 v12, 7, v0
	v_lshl_or_b32 v117, v14, 3, v68
	v_cndmask_b32_e32 v13, v19, v18, vcc
	v_lshlrev_b32_e32 v14, 3, v12
	v_lshlrev_b32_e32 v12, 7, v12
	v_or_b32_e32 v13, v13, v8
	v_lshlrev_b32_e32 v15, 2, v0
	v_xad_u32 v118, v13, v14, v12
	v_or_b32_e32 v13, 32, v10
	v_and_or_b32 v9, v15, 60, v9
	v_xor_b32_e32 v13, v17, v13
	v_lshlrev_b32_e32 v9, 1, v9
	v_or_b32_e32 v15, 0x440, v13
	v_or_b32_e32 v119, 0x6000, v9
	v_cndmask_b32_e32 v13, v15, v13, vcc
	v_or_b32_e32 v121, 0x6080, v9
	v_or_b32_e32 v122, 0x6100, v9
	;; [unrolled: 1-line block ×5, first 2 shown]
	v_xor_b32_e32 v9, v17, v9
	v_xad_u32 v120, v13, v14, v12
	v_xor_b32_e32 v13, 0x440, v9
	v_cndmask_b32_e32 v9, v13, v9, vcc
	v_or_b32_e32 v9, v9, v8
	v_xad_u32 v124, v9, v14, v12
	v_or_b32_e32 v9, 0x60, v10
	v_xor_b32_e32 v9, v17, v9
	v_xor_b32_e32 v10, 0x440, v9
	v_cndmask_b32_e32 v9, v10, v9, vcc
	v_or_b32_e32 v8, v9, v8
	v_xor_b32_e32 v111, v5, v11
	v_ashrrev_i32_e32 v35, 31, v34
	v_lshlrev_b32_e32 v5, 1, v3
	v_add_lshl_u32 v3, v3, s15, 1
	v_or_b32_e32 v11, 0x100, v2
	v_xad_u32 v125, v8, v14, v12
	v_cndmask_b32_e64 v126, v5, v2, s[0:1]
	v_cndmask_b32_e64 v127, v3, v11, s[0:1]
	v_lshl_add_u64 v[70:71], v[34:35], 1, s[8:9]
	v_lshl_add_u64 v[72:73], v[6:7], 0, v[68:69]
	s_mov_b32 s3, 0x7060302
	v_lshlrev_b32_e32 v68, 1, v4
	v_add_u32_e32 v35, v16, v118
	v_add_u32_e32 v128, v16, v120
	;; [unrolled: 1-line block ×4, first 2 shown]
	s_waitcnt lgkmcnt(0)
	s_barrier
.LBB52_6:                               ; =>This Inner Loop Header: Depth=1
	s_add_i32 s59, s58, 1
	s_cmp_lt_i32 s59, s47
	s_mov_b64 s[24:25], 0
	s_cselect_b64 s[38:39], -1, 0
	s_cmp_ge_i32 s59, s47
	s_mov_b64 s[20:21], 0
	s_cbranch_scc1 .LBB52_8
; %bb.7:                                ;   in Loop: Header=BB52_6 Depth=1
	s_add_i32 s0, s53, 64
	s_ashr_i32 s1, s0, 31
	s_add_u32 s0, s51, s0
	s_addc_u32 s1, s50, s1
	s_lshl_b64 s[0:1], s[0:1], 8
	s_add_u32 s20, s6, s0
	s_addc_u32 s21, s7, s1
.LBB52_8:                               ;   in Loop: Header=BB52_6 Depth=1
	v_cndmask_b32_e64 v2, 0, 1, s[38:39]
	v_cmp_ne_u32_e64 s[0:1], 1, v2
	s_andn2_b64 vcc, exec, s[38:39]
	s_cbranch_vccnz .LBB52_10
; %bb.9:                                ;   in Loop: Header=BB52_6 Depth=1
	s_add_i32 s24, s53, 64
	s_mul_hi_i32 s25, s24, s14
	s_mul_i32 s24, s24, s14
	s_add_u32 s24, s24, s49
	s_addc_u32 s25, s25, s54
	s_lshl_b64 s[24:25], s[24:25], 8
	s_add_u32 s24, s4, s24
	s_addc_u32 s25, s5, s25
.LBB52_10:                              ;   in Loop: Header=BB52_6 Depth=1
	v_perm_b32 v3, v67, v66, s3
	v_perm_b32 v2, v63, v62, s3
	v_perm_b32 v5, v65, v64, s3
	v_perm_b32 v4, v61, v60, s3
	ds_write_b64 v88, v[2:3]
	ds_write_b64 v89, v[4:5]
	ds_write_b64 v94, v[2:3]
	ds_write_b64 v95, v[4:5]
	v_perm_b32 v3, v59, v58, s3
	v_perm_b32 v2, v55, v54, s3
	v_perm_b32 v5, v57, v56, s3
	v_perm_b32 v4, v53, v52, s3
	ds_write_b64 v90, v[2:3]
	ds_write_b64 v91, v[4:5]
	ds_write_b64 v96, v[2:3]
	ds_write_b64 v97, v[4:5]
	;; [unrolled: 8-line block ×4, first 2 shown]
	s_waitcnt lgkmcnt(0)
	s_barrier
	ds_read_b64 v[6:7], v104 offset:49152
	ds_read2_b64 v[2:5], v105 offset1:16
	ds_read_b64 v[18:19], v107 offset:6144
	ds_read_b64 v[20:21], v105 offset:6144
	s_waitcnt lgkmcnt(2)
	v_mfma_f32_16x16x16_bf16 a[0:3], v[6:7], v[2:3], 0
	ds_read_b64 v[22:23], v106 offset:49152
	ds_read2st64_b64 v[10:13], v108 offset0:4 offset1:8
	ds_read2st64_b64 v[14:17], v109 offset0:4 offset1:8
	v_mfma_f32_16x16x16_bf16 a[4:7], v[6:7], v[4:5], 0
	ds_read2_b64 v[2:5], v105 offset0:32 offset1:48
	s_add_i32 s27, s53, 63
	s_ashr_i32 s38, s27, 31
	s_waitcnt lgkmcnt(0)
	v_mfma_f32_16x16x16_bf16 a[8:11], v[6:7], v[2:3], 0
	s_mul_i32 s39, s27, s29
	s_mul_hi_u32 s60, s27, s28
	s_add_i32 s39, s60, s39
	v_mfma_f32_16x16x16_bf16 a[12:15], v[6:7], v[4:5], 0
	ds_read2st64_b64 v[2:5], v105 offset0:4 offset1:8
	ds_read2st64_b64 v[6:9], v107 offset0:4 offset1:8
	s_mul_i32 s38, s38, s28
	s_waitcnt lgkmcnt(1)
	v_mfma_f32_16x16x16_bf16 a[0:3], v[22:23], v[2:3], a[0:3]
	s_add_i32 s39, s39, s38
	s_mul_i32 s38, s27, s28
	s_lshl_b64 s[38:39], s[38:39], 2
	s_waitcnt lgkmcnt(0)
	v_mfma_f32_16x16x16_bf16 a[4:7], v[22:23], v[6:7], a[4:7]
	s_add_u32 s38, s16, s38
	s_addc_u32 s39, s17, s39
	s_and_b64 vcc, exec, s[0:1]
	v_mfma_f32_16x16x16_bf16 a[8:11], v[22:23], v[10:11], a[8:11]
	ds_read_b64 v[2:3], v110 offset:49152
	ds_read_b64 v[6:7], v111 offset:49152
	ds_read_b64 v[10:11], v109 offset:6144
	v_mov_b32_e32 v133, 0
	v_mov_b32_e32 v132, 0
	v_mfma_f32_16x16x16_bf16 a[12:15], v[22:23], v[14:15], a[12:15]
	v_mov_b32_e32 v131, 0
	v_mov_b32_e32 v14, 0
	v_mov_b32_e32 v15, 0
	s_waitcnt lgkmcnt(2)
	v_mfma_f32_16x16x16_bf16 a[0:3], v[2:3], v[4:5], a[0:3]
	v_mov_b32_e32 v4, 0
	v_mov_b32_e32 v5, 0
	v_mfma_f32_16x16x16_bf16 a[16:19], v[2:3], v[8:9], a[4:7]
	v_mov_b32_e32 v8, 0
	v_mov_b32_e32 v9, 0
	;; [unrolled: 3-line block ×3, first 2 shown]
	v_mfma_f32_16x16x16_bf16 a[24:27], v[2:3], v[16:17], a[12:15]
	ds_read_b64 v[2:3], v108 offset:6144
	v_mov_b32_e32 v16, 0
	v_mov_b32_e32 v17, 0
	s_waitcnt lgkmcnt(2)
	v_mfma_f32_16x16x16_bf16 a[4:7], v[6:7], v[20:21], a[0:3]
	v_mfma_f32_16x16x16_bf16 a[8:11], v[6:7], v[18:19], a[16:19]
	s_waitcnt lgkmcnt(0)
	v_mfma_f32_16x16x16_bf16 a[12:15], v[6:7], v[2:3], a[20:23]
	v_mov_b32_e32 v2, 0
	v_mov_b32_e32 v3, 0
	v_mfma_f32_16x16x16_bf16 a[0:3], v[6:7], v[10:11], a[24:27]
	v_mov_b32_e32 v6, 0
	v_mov_b32_e32 v7, 0
	;; [unrolled: 1-line block ×4, first 2 shown]
	s_cbranch_vccnz .LBB52_12
; %bb.11:                               ;   in Loop: Header=BB52_6 Depth=1
	s_and_b32 s21, s21, 0xffff
	buffer_load_dwordx4 v[14:17], v84, s[20:23], 0 offen
	buffer_load_dwordx4 v[10:13], v84, s[20:23], s55 offen
	;; [unrolled: 1-line block ×4, first 2 shown]
	v_mov_b32_e32 v132, v86
	v_mov_b32_e32 v131, v87
.LBB52_12:                              ;   in Loop: Header=BB52_6 Depth=1
	ds_read_b64 v[134:135], v104 offset:57344
	ds_read2_b64 v[18:21], v112 offset1:16
	ds_read_b64 v[136:137], v106 offset:57344
	ds_read_b64 v[138:139], v110 offset:57344
	;; [unrolled: 1-line block ×3, first 2 shown]
	v_add_u32_e32 v142, s53, v80
	s_waitcnt lgkmcnt(3)
	v_mfma_f32_16x16x16_bf16 a[4:7], v[134:135], v[18:19], a[4:7]
	v_mfma_f32_16x16x16_bf16 a[8:11], v[134:135], v[20:21], a[8:11]
	ds_read2_b64 v[18:21], v112 offset0:32 offset1:48
	ds_read2st64_b64 v[22:25], v112 offset0:4 offset1:8
	ds_read2st64_b64 v[26:29], v113 offset0:4 offset1:8
	;; [unrolled: 1-line block ×3, first 2 shown]
	s_waitcnt lgkmcnt(3)
	v_mfma_f32_16x16x16_bf16 a[12:15], v[134:135], v[18:19], a[12:15]
	v_ashrrev_i32_e32 v18, 31, v142
	v_mfma_f32_16x16x16_bf16 a[0:3], v[134:135], v[20:21], a[0:3]
	v_mul_lo_u32 v20, v18, s28
	v_mul_lo_u32 v21, v142, s29
	v_mad_u64_u32 v[18:19], s[20:21], v142, s28, 0
	v_add3_u32 v19, v19, v21, v20
	v_add_u32_e32 v20, 1, v142
	v_ashrrev_i32_e32 v21, 31, v20
	s_waitcnt lgkmcnt(2)
	v_mfma_f32_16x16x16_bf16 a[4:7], v[136:137], v[22:23], a[4:7]
	v_mul_lo_u32 v22, v21, s28
	v_mul_lo_u32 v23, v20, s29
	v_mad_u64_u32 v[20:21], s[20:21], v20, s28, 0
	v_add3_u32 v21, v21, v23, v22
	v_add_u32_e32 v22, 2, v142
	v_ashrrev_i32_e32 v23, 31, v22
	s_waitcnt lgkmcnt(1)
	v_mfma_f32_16x16x16_bf16 a[8:11], v[136:137], v[26:27], a[8:11]
	v_mul_lo_u32 v26, v23, s28
	v_mul_lo_u32 v27, v22, s29
	v_mad_u64_u32 v[22:23], s[20:21], v22, s28, 0
	v_add3_u32 v23, v23, v27, v26
	v_add_u32_e32 v26, 3, v142
	v_ashrrev_i32_e32 v27, 31, v26
	v_mul_lo_u32 v134, v27, s28
	v_mul_lo_u32 v135, v26, s29
	v_mad_u64_u32 v[26:27], s[20:21], v26, s28, 0
	s_ashr_i32 s21, s53, 31
	s_add_u32 s20, s51, s53
	s_addc_u32 s21, s50, s21
	v_lshl_add_u64 v[18:19], v[18:19], 2, s[16:17]
	v_add3_u32 v27, v27, v135, v134
	s_lshl_b64 s[20:21], s[20:21], 8
	v_lshl_add_u64 v[20:21], v[20:21], 2, s[16:17]
	v_lshl_add_u64 v[22:23], v[22:23], 2, s[16:17]
	;; [unrolled: 1-line block ×3, first 2 shown]
	global_load_dword v134, v[18:19], off
	global_load_dword v135, v[20:21], off
	;; [unrolled: 1-line block ×4, first 2 shown]
	v_lshl_add_u64 v[18:19], v[70:71], 0, s[20:21]
	v_lshl_add_u64 v[22:23], v[18:19], 0, v[68:69]
	global_load_ushort v144, v[22:23], off offset:256
	global_load_ushort v145, v[22:23], off
	ds_read2st64_b64 v[18:21], v115 offset0:4 offset1:8
	global_load_ushort v146, v[22:23], off offset:768
	global_load_ushort v147, v[22:23], off offset:512
	s_waitcnt lgkmcnt(1)
	v_mfma_f32_16x16x16_bf16 a[12:15], v[136:137], v[30:31], a[12:15]
	s_and_b64 vcc, exec, s[0:1]
	s_waitcnt vmcnt(3)
	v_lshlrev_b32_e32 v31, 16, v144
	s_waitcnt lgkmcnt(0)
	v_mfma_f32_16x16x16_bf16 a[0:3], v[136:137], v[18:19], a[0:3]
	global_load_ushort v136, v[22:23], off offset:288
	global_load_ushort v137, v[22:23], off offset:32
	global_load_ushort v148, v[22:23], off offset:800
	global_load_ushort v149, v[22:23], off offset:544
	global_load_ushort v150, v[22:23], off offset:320
	global_load_ushort v151, v[22:23], off offset:64
	global_load_ushort v152, v[22:23], off offset:832
	global_load_ushort v153, v[22:23], off offset:576
	v_mfma_f32_16x16x16_bf16 a[4:7], v[138:139], v[24:25], a[4:7]
	ds_read_b64 v[18:19], v112 offset:6144
	s_waitcnt vmcnt(10)
	v_lshlrev_b32_e32 v30, 16, v145
	v_mfma_f32_16x16x16_bf16 a[8:11], v[138:139], v[28:29], a[8:11]
	v_mfma_f32_16x16x16_bf16 a[12:15], v[138:139], v[32:33], a[12:15]
	;; [unrolled: 1-line block ×3, first 2 shown]
	global_load_ushort v138, v[22:23], off offset:352
	global_load_ushort v139, v[22:23], off offset:96
	ds_read_b64 v[20:21], v113 offset:6144
	ds_read_b64 v[24:25], v114 offset:6144
	;; [unrolled: 1-line block ×3, first 2 shown]
	global_load_ushort v154, v[22:23], off offset:864
	global_load_ushort v155, v[22:23], off offset:608
	s_load_dword s20, s[38:39], 0x0
	s_waitcnt lgkmcnt(0)
	v_mfma_f32_16x16x16_bf16 a[4:7], v[140:141], v[18:19], a[4:7]
	v_sub_f32_e32 v28, s20, v142
	v_mfma_f32_16x16x16_bf16 a[0:3], v[140:141], v[26:27], a[0:3]
	v_sub_f32_e32 v26, s20, v134
	v_sub_f32_e32 v27, s20, v135
	;; [unrolled: 1-line block ×3, first 2 shown]
	v_mfma_f32_16x16x16_bf16 a[8:11], v[140:141], v[20:21], a[8:11]
	v_exp_f32_e32 v26, v26
	v_exp_f32_e32 v27, v27
	;; [unrolled: 1-line block ×4, first 2 shown]
	v_accvgpr_read_b32 v33, a5
	v_accvgpr_read_b32 v32, a4
	;; [unrolled: 1-line block ×4, first 2 shown]
	v_pk_add_f32 v[30:31], v[30:31], v[32:33] neg_lo:[0,1] neg_hi:[0,1]
	s_waitcnt vmcnt(13)
	v_lshlrev_b32_e32 v33, 16, v146
	s_waitcnt vmcnt(12)
	v_lshlrev_b32_e32 v32, 16, v147
	v_pk_add_f32 v[18:19], v[32:33], v[18:19] neg_lo:[0,1] neg_hi:[0,1]
	v_pk_mul_f32 v[30:31], v[26:27], v[30:31]
	v_pk_mul_f32 v[18:19], v[28:29], v[18:19]
	v_accvgpr_read_b32 v33, a9
	v_perm_b32 v19, v19, v18, s3
	v_perm_b32 v18, v31, v30, s3
	v_accvgpr_read_b32 v32, a8
	v_accvgpr_read_b32 v21, a11
	v_mfma_f32_16x16x16_bf16 a[12:15], v[140:141], v[24:25], a[12:15]
	v_accvgpr_read_b32 v20, a10
	v_accvgpr_read_b32 v25, a3
	;; [unrolled: 1-line block ×3, first 2 shown]
	v_mov_b32_e32 v134, 0
	s_waitcnt vmcnt(11)
	v_lshlrev_b32_e32 v31, 16, v136
	s_waitcnt vmcnt(10)
	v_lshlrev_b32_e32 v30, 16, v137
	v_pk_add_f32 v[30:31], v[30:31], v[32:33] neg_lo:[0,1] neg_hi:[0,1]
	s_waitcnt vmcnt(9)
	v_lshlrev_b32_e32 v33, 16, v148
	s_waitcnt vmcnt(8)
	v_lshlrev_b32_e32 v32, 16, v149
	v_pk_add_f32 v[20:21], v[32:33], v[20:21] neg_lo:[0,1] neg_hi:[0,1]
	v_pk_mul_f32 v[30:31], v[26:27], v[30:31]
	v_pk_mul_f32 v[20:21], v[28:29], v[20:21]
	v_accvgpr_read_b32 v23, a15
	v_perm_b32 v21, v21, v20, s3
	v_perm_b32 v20, v31, v30, s3
	ds_write2_b64 v89, v[18:19], v[20:21] offset1:16
	v_accvgpr_read_b32 v21, a13
	s_waitcnt vmcnt(7)
	v_lshlrev_b32_e32 v19, 16, v150
	s_waitcnt vmcnt(6)
	v_lshlrev_b32_e32 v18, 16, v151
	v_accvgpr_read_b32 v20, a12
	v_accvgpr_read_b32 v22, a14
	v_pk_add_f32 v[18:19], v[18:19], v[20:21] neg_lo:[0,1] neg_hi:[0,1]
	s_waitcnt vmcnt(5)
	v_lshlrev_b32_e32 v21, 16, v152
	s_waitcnt vmcnt(4)
	v_lshlrev_b32_e32 v20, 16, v153
	v_pk_add_f32 v[20:21], v[20:21], v[22:23] neg_lo:[0,1] neg_hi:[0,1]
	v_pk_mul_f32 v[18:19], v[26:27], v[18:19]
	v_pk_mul_f32 v[20:21], v[28:29], v[20:21]
	v_accvgpr_read_b32 v23, a1
	v_perm_b32 v21, v21, v20, s3
	v_perm_b32 v20, v19, v18, s3
	s_waitcnt vmcnt(3)
	v_lshlrev_b32_e32 v19, 16, v138
	s_waitcnt vmcnt(2)
	v_lshlrev_b32_e32 v18, 16, v139
	v_accvgpr_read_b32 v22, a0
	v_pk_add_f32 v[18:19], v[18:19], v[22:23] neg_lo:[0,1] neg_hi:[0,1]
	s_waitcnt vmcnt(1)
	v_lshlrev_b32_e32 v23, 16, v154
	s_waitcnt vmcnt(0)
	v_lshlrev_b32_e32 v22, 16, v155
	v_pk_add_f32 v[22:23], v[22:23], v[24:25] neg_lo:[0,1] neg_hi:[0,1]
	v_pk_mul_f32 v[18:19], v[26:27], v[18:19]
	v_pk_mul_f32 v[22:23], v[28:29], v[22:23]
	v_mov_b32_e32 v24, 0
	v_perm_b32 v23, v23, v22, s3
	v_perm_b32 v22, v19, v18, s3
	ds_write2_b64 v89, v[20:21], v[22:23] offset0:32 offset1:48
	v_mov_b32_e32 v18, 0
	v_mov_b32_e32 v19, 0
	;; [unrolled: 1-line block ×15, first 2 shown]
	s_cbranch_vccnz .LBB52_14
; %bb.13:                               ;   in Loop: Header=BB52_6 Depth=1
	s_and_b32 s25, s25, 0xffff
	s_mov_b32 s27, s23
	buffer_load_dwordx4 v[30:33], v126, s[24:27], 0 offen
	buffer_load_dwordx4 v[22:25], v126, s[24:27], s55 offen
	;; [unrolled: 1-line block ×4, first 2 shown]
	v_mov_b32_e32 v133, v83
	v_mov_b32_e32 v134, v82
.LBB52_14:                              ;   in Loop: Header=BB52_6 Depth=1
	s_waitcnt lgkmcnt(0)
	s_barrier
	ds_read_b64 v[144:145], v35
	ds_read2_b64 v[136:139], v119 offset1:16
	ds_read_b64 v[160:161], v128
	ds_read_b64 v[162:163], v129
	;; [unrolled: 1-line block ×3, first 2 shown]
	ds_read2_b64 v[140:143], v119 offset0:32 offset1:48
	s_waitcnt lgkmcnt(4)
	v_mfma_f32_16x16x16_bf16 a[0:3], v[144:145], v[136:137], 0
	ds_read2st64_b64 v[148:151], v121 offset0:4 offset1:8
	ds_read2st64_b64 v[152:155], v122 offset0:4 offset1:8
	;; [unrolled: 1-line block ×3, first 2 shown]
	v_mfma_f32_16x16x16_bf16 a[4:7], v[144:145], v[138:139], 0
	s_add_i32 s21, s52, s58
	s_mul_hi_i32 s25, s21, s13
	s_mul_i32 s21, s21, s13
	s_waitcnt lgkmcnt(3)
	v_mfma_f32_16x16x16_bf16 a[8:11], v[144:145], v[140:141], 0
	s_add_u32 s24, s21, s45
	s_addc_u32 s25, s25, s46
	s_lshl_b64 s[24:25], s[24:25], 15
	v_mfma_f32_16x16x16_bf16 a[12:15], v[144:145], v[142:143], 0
	ds_read2st64_b64 v[144:147], v119 offset0:4 offset1:8
	s_waitcnt lgkmcnt(0)
	v_mfma_f32_16x16x16_bf16 a[0:3], v[160:161], v[144:145], a[0:3]
	v_mfma_f32_16x16x16_bf16 a[4:7], v[160:161], v[148:149], a[4:7]
	;; [unrolled: 1-line block ×8, first 2 shown]
	ds_read_b64 v[160:161], v119 offset:6144
	ds_read_b64 v[162:163], v120 offset:40960
	;; [unrolled: 1-line block ×8, first 2 shown]
	s_waitcnt lgkmcnt(5)
	v_mfma_f32_16x16x16_bf16 a[16:19], v[166:167], v[136:137], 0
	v_mfma_f32_16x16x16_bf16 a[20:23], v[166:167], v[138:139], 0
	ds_read2st64_b64 v[136:139], v116 offset1:8
	v_mfma_f32_16x16x16_bf16 a[24:27], v[166:167], v[140:141], 0
	v_mfma_f32_16x16x16_bf16 a[28:31], v[166:167], v[142:143], 0
	ds_read2st64_b64 v[140:143], v117 offset1:8
	v_mfma_f32_16x16x16_bf16 a[16:19], v[162:163], v[144:145], a[16:19]
	s_waitcnt lgkmcnt(1)
	v_mov_b32_e32 v144, v136
	v_mov_b32_e32 v145, v137
	v_mfma_f32_16x16x16_bf16 a[20:23], v[162:163], v[148:149], a[20:23]
	v_lshl_add_u64 v[148:149], v[72:73], 0, s[24:25]
	v_mfma_f32_16x16x16_bf16 a[24:27], v[162:163], v[152:153], a[24:27]
	v_mfma_f32_16x16x16_bf16 a[28:31], v[162:163], v[156:157], a[28:31]
	;; [unrolled: 1-line block ×3, first 2 shown]
	s_waitcnt lgkmcnt(0)
	v_mov_b32_e32 v146, v140
	v_mov_b32_e32 v147, v141
	;; [unrolled: 1-line block ×3, first 2 shown]
	v_mfma_f32_16x16x16_bf16 a[32:35], v[174:175], v[150:151], a[20:23]
	v_mov_b32_e32 v141, v139
	ds_read2st64_b64 v[136:139], v116 offset0:16 offset1:24
	global_store_dwordx4 v[148:149], v[144:147], off
	v_mfma_f32_16x16x16_bf16 a[24:27], v[174:175], v[154:155], a[24:27]
	ds_read2st64_b64 v[144:147], v117 offset0:16 offset1:24
	v_add_co_u32_e32 v150, vcc, s35, v148
	v_mfma_f32_16x16x16_bf16 a[28:31], v[174:175], v[158:159], a[28:31]
	s_nop 0
	v_addc_co_u32_e32 v151, vcc, 0, v149, vcc
	global_store_dwordx4 v[150:151], v[140:143], off offset:-4096
	v_mfma_f32_16x16x16_bf16 a[0:3], v[164:165], v[160:161], a[0:3]
	s_waitcnt lgkmcnt(1)
	v_mov_b32_e32 v140, v136
	v_add_co_u32_e32 v136, vcc, s37, v148
	v_mfma_f32_16x16x16_bf16 a[4:7], v[164:165], v[168:169], a[4:7]
	v_mov_b32_e32 v141, v137
	v_addc_co_u32_e32 v137, vcc, 0, v149, vcc
	v_mfma_f32_16x16x16_bf16 a[8:11], v[164:165], v[170:171], a[8:11]
	s_waitcnt lgkmcnt(0)
	v_mov_b32_e32 v142, v144
	v_mov_b32_e32 v143, v145
	;; [unrolled: 1-line block ×3, first 2 shown]
	v_mfma_f32_16x16x16_bf16 a[12:15], v[164:165], v[172:173], a[12:15]
	v_mov_b32_e32 v145, v139
	s_and_b64 vcc, exec, s[0:1]
	global_store_dwordx4 v[150:151], v[140:143], off
	v_mfma_f32_16x16x16_bf16 a[20:23], v[176:177], v[160:161], a[16:19]
	global_store_dwordx4 v[136:137], v[144:147], off
	v_mfma_f32_16x16x16_bf16 a[16:19], v[176:177], v[168:169], a[32:35]
	v_mfma_f32_16x16x16_bf16 a[24:27], v[176:177], v[170:171], a[24:27]
	;; [unrolled: 1-line block ×3, first 2 shown]
	s_cbranch_vccnz .LBB52_16
; %bb.15:                               ;   in Loop: Header=BB52_6 Depth=1
	v_lshrrev_b32_e32 v135, 3, v133
	v_and_b32_e32 v135, 6, v135
	v_xor_b32_e32 v134, v135, v134
	v_lshlrev_b32_e32 v134, 2, v134
	v_and_b32_e32 v133, 8, v133
	v_xor_b32_e32 v136, 0x440, v134
	v_cmp_eq_u32_e32 vcc, 0, v133
	s_barrier
	s_nop 0
	v_cndmask_b32_e32 v133, v136, v134, vcc
	v_lshl_or_b32 v133, v135, 10, v133
	s_waitcnt vmcnt(5)
	v_perm_b32 v134, v30, v26, s56
	s_waitcnt vmcnt(4)
	v_perm_b32 v135, v22, v18, s56
	ds_write2st64_b32 v133, v134, v135 offset0:128 offset1:160
	v_xor_b32_e32 v134, 8, v133
	v_perm_b32 v26, v30, v26, s57
	v_perm_b32 v18, v22, v18, s57
	v_add_u32_e32 v22, 0x80, v134
	ds_write2st64_b32 v22, v26, v18 offset0:128 offset1:160
	v_xor_b32_e32 v18, 16, v133
	v_perm_b32 v22, v31, v27, s56
	v_perm_b32 v26, v23, v19, s56
	ds_write2st64_b32 v18, v22, v26 offset0:129 offset1:161
	v_xor_b32_e32 v18, 24, v133
	v_perm_b32 v22, v31, v27, s57
	v_perm_b32 v19, v23, v19, s57
	v_add_u32_e32 v18, 0x80, v18
	ds_write2st64_b32 v18, v22, v19 offset0:129 offset1:161
	v_xor_b32_e32 v18, 32, v133
	v_perm_b32 v19, v32, v28, s56
	;; [unrolled: 9-line block ×3, first 2 shown]
	v_perm_b32 v20, v25, v21, s56
	ds_write2st64_b32 v18, v19, v20 offset0:131 offset1:163
	v_xor_b32_e32 v18, 56, v133
	v_perm_b32 v19, v33, v29, s57
	v_perm_b32 v20, v25, v21, s57
	v_add_u32_e32 v18, 0x80, v18
	ds_write2st64_b32 v18, v19, v20 offset0:131 offset1:163
	ds_write_b64 v132, v[14:15] offset:49152
	v_xor_b32_e32 v14, 8, v132
	ds_write_b64 v14, v[16:17] offset:49152
	ds_write_b64 v132, v[10:11] offset:57344
	;; [unrolled: 1-line block ×4, first 2 shown]
	v_xor_b32_e32 v6, 8, v131
	ds_write_b64 v6, v[8:9] offset:49152
	ds_write_b64 v131, v[2:3] offset:57344
	;; [unrolled: 1-line block ×3, first 2 shown]
.LBB52_16:                              ;   in Loop: Header=BB52_6 Depth=1
	v_exp_f32_e32 v132, s20
	v_accvgpr_read_b32 v5, a3
	v_accvgpr_read_b32 v9, a7
	v_accvgpr_read_b32 v13, a11
	v_accvgpr_read_b32 v17, a15
	s_waitcnt vmcnt(4)
	v_accvgpr_read_b32 v18, a20
	v_accvgpr_read_b32 v25, a19
	;; [unrolled: 1-line block ×28, first 2 shown]
	s_add_i32 s53, s53, 64
	v_pk_fma_f32 v[62:63], v[62:63], v[132:133], v[2:3] op_sel_hi:[1,0,1]
	v_pk_fma_f32 v[66:67], v[66:67], v[132:133], v[4:5] op_sel_hi:[1,0,1]
	;; [unrolled: 1-line block ×15, first 2 shown]
	s_cmp_eq_u32 s47, s59
	v_pk_fma_f32 v[40:41], v[40:41], v[132:133], v[32:33] op_sel_hi:[1,0,1]
	s_cbranch_scc1 .LBB52_18
; %bb.17:                               ;   in Loop: Header=BB52_6 Depth=1
	s_mov_b32 s58, s59
	s_branch .LBB52_6
.LBB52_18:
	s_lshl_b32 s26, s47, 6
	s_sub_i32 s27, s48, s26
	s_cmp_gt_i32 s27, 0
	s_cbranch_scc0 .LBB52_99
; %bb.19:
	s_add_i32 s26, s26, s30
	s_ashr_i32 s3, s26, 31
	s_cmpk_lg_i32 s15, 0x80
	s_cselect_b64 s[22:23], -1, 0
	s_and_b64 vcc, exec, s[22:23]
	s_cbranch_vccz .LBB52_21
; %bb.20:
	s_mul_hi_i32 s0, s26, s14
	s_mul_i32 s1, s26, s14
	s_ashr_i32 s14, s49, 31
	s_add_u32 s24, s1, s49
	s_addc_u32 s25, s0, s14
	s_cbranch_execz .LBB52_22
	s_branch .LBB52_23
.LBB52_21:
                                        ; implicit-def: $sgpr24_sgpr25
.LBB52_22:
	s_mul_i32 s1, s49, s12
	s_mul_hi_i32 s0, s49, s12
	s_add_u32 s24, s1, s26
	s_addc_u32 s25, s0, s3
.LBB52_23:
	s_waitcnt lgkmcnt(0)
	s_add_i32 s12, s47, s52
	s_add_u32 s0, s51, s26
	v_lshlrev_b32_e32 v6, 6, v80
	v_lshlrev_b32_e32 v24, 2, v77
	s_addc_u32 s1, s50, s3
	s_mov_b32 s3, 0x7060302
	v_or_b32_e32 v9, v6, v24
	v_xor_b32_e32 v7, v80, v24
	v_perm_b32 v3, v67, v66, s3
	v_perm_b32 v2, v63, v62, s3
	;; [unrolled: 1-line block ×4, first 2 shown]
	v_lshlrev_b32_e32 v9, 1, v9
	v_xor_b32_e32 v8, v81, v24
	ds_write2st64_b64 v9, v[2:3], v[4:5] offset0:32 offset1:48
	v_lshlrev_b32_e32 v7, 1, v7
	v_lshlrev_b32_e32 v9, 8, v77
	v_or_b32_e32 v10, v7, v9
	v_lshlrev_b32_e32 v8, 1, v8
	ds_write_b64 v10, v[2:3]
	v_or_b32_e32 v2, v8, v9
	v_or_b32_e32 v9, 16, v77
	v_lshlrev_b32_e32 v23, 2, v9
	v_or_b32_e32 v10, v6, v23
	ds_write_b64 v2, v[4:5]
	v_perm_b32 v3, v59, v58, s3
	v_perm_b32 v2, v55, v54, s3
	v_perm_b32 v5, v57, v56, s3
	v_perm_b32 v4, v53, v52, s3
	v_lshlrev_b32_e32 v10, 1, v10
	v_lshlrev_b32_e32 v9, 8, v9
	ds_write2st64_b64 v10, v[2:3], v[4:5] offset0:32 offset1:48
	v_or_b32_e32 v10, v7, v9
	ds_write_b64 v10, v[2:3]
	v_or_b32_e32 v2, v8, v9
	v_or_b32_e32 v9, 32, v77
	v_lshlrev_b32_e32 v22, 2, v9
	v_or_b32_e32 v10, v6, v22
	ds_write_b64 v2, v[4:5]
	v_perm_b32 v3, v51, v50, s3
	v_perm_b32 v2, v47, v46, s3
	;; [unrolled: 1-line block ×4, first 2 shown]
	v_lshlrev_b32_e32 v10, 1, v10
	v_lshlrev_b32_e32 v9, 8, v9
	s_lshl_b64 s[20:21], s[0:1], 8
	ds_write2st64_b64 v10, v[2:3], v[4:5] offset0:32 offset1:48
	v_or_b32_e32 v10, v7, v9
	s_add_u32 s0, s6, s20
	ds_write_b64 v10, v[2:3]
	v_or_b32_e32 v2, v8, v9
	s_addc_u32 s1, s7, s21
	ds_write_b64 v2, v[4:5]
	v_perm_b32 v3, v43, v42, s3
	v_perm_b32 v2, v39, v38, s3
	;; [unrolled: 1-line block ×4, first 2 shown]
	v_or_b32_e32 v9, 48, v77
	s_mul_hi_i32 s3, s12, s13
	s_mul_i32 s12, s12, s13
	v_lshlrev_b32_e32 v19, 2, v9
	s_add_u32 s6, s12, s45
	v_or_b32_e32 v6, v6, v19
	s_addc_u32 s7, s3, s46
	v_lshlrev_b32_e32 v6, 1, v6
	s_ashr_i32 s3, s2, 31
	s_lshl_b64 s[6:7], s[6:7], 15
	ds_write2st64_b64 v6, v[2:3], v[4:5] offset0:32 offset1:48
	v_lshlrev_b32_e32 v6, 8, v9
	s_add_u32 s6, s18, s6
	v_or_b32_e32 v7, v7, v6
	s_addc_u32 s7, s19, s7
	s_lshl_b64 s[2:3], s[2:3], 8
	ds_write_b64 v7, v[2:3]
	v_or_b32_e32 v2, v8, v6
	s_add_u32 s2, s6, s2
	v_lshlrev_b32_e32 v3, 1, v77
	ds_write_b64 v2, v[4:5]
	v_lshrrev_b32_e32 v2, 4, v0
	s_addc_u32 s3, s7, s3
	v_or_b32_e32 v4, 1, v3
	v_lshlrev_b32_e32 v10, 4, v77
	v_mov_b32_e32 v11, 0
	v_xor_b32_e32 v3, v2, v3
	v_xor_b32_e32 v6, v4, v2
	v_lshl_add_u64 v[12:13], s[2:3], 0, v[10:11]
	v_lshlrev_b32_e32 v10, 8, v2
	v_lshl_or_b32 v16, v3, 3, v10
	v_lshl_or_b32 v17, v6, 3, v10
	s_waitcnt lgkmcnt(0)
	s_barrier
	ds_read2st64_b64 v[2:5], v16 offset1:8
	ds_read2st64_b64 v[6:9], v17 offset1:8
	v_lshl_add_u64 v[14:15], v[12:13], 0, v[10:11]
	s_movk_i32 s2, 0x2000
	s_cmp_lg_u32 s27, 64
	s_waitcnt lgkmcnt(1)
	v_mov_b32_e32 v10, v2
	v_mov_b32_e32 v11, v3
	s_waitcnt lgkmcnt(0)
	v_mov_b32_e32 v12, v6
	v_mov_b32_e32 v13, v7
	global_store_dwordx4 v[14:15], v[10:13], off
	v_mov_b32_e32 v6, v4
	v_mov_b32_e32 v7, v5
	ds_read2st64_b64 v[2:5], v16 offset0:16 offset1:24
	ds_read2st64_b64 v[10:13], v17 offset0:16 offset1:24
	v_add_co_u32_e32 v16, vcc, s2, v14
	s_cselect_b64 s[6:7], -1, 0
	s_nop 0
	v_addc_co_u32_e32 v17, vcc, 0, v15, vcc
	global_store_dwordx4 v[16:17], v[6:9], off offset:-4096
	v_lshl_or_b32 v25, v75, 3, v79
	s_mov_b32 s16, 0
	s_waitcnt lgkmcnt(1)
	v_mov_b32_e32 v6, v2
	v_add_co_u32_e32 v2, vcc, 0x3000, v14
	v_mov_b32_e32 v7, v3
	s_nop 0
	v_addc_co_u32_e32 v3, vcc, 0, v15, vcc
	s_waitcnt lgkmcnt(0)
	v_mov_b32_e32 v8, v10
	v_mov_b32_e32 v9, v11
	;; [unrolled: 1-line block ×4, first 2 shown]
	v_or_b32_e32 v20, 32, v25
	v_and_b32_e32 v18, 56, v78
	s_and_b64 vcc, exec, s[6:7]
	global_store_dwordx4 v[16:17], v[6:9], off
	global_store_dwordx4 v[2:3], v[10:13], off
	s_cbranch_vccz .LBB52_29
; %bb.24:
	s_mov_b32 s17, s16
	s_mov_b32 s18, s16
	;; [unrolled: 1-line block ×3, first 2 shown]
	v_mov_b64_e32 v[6:7], s[16:17]
	v_mov_b64_e32 v[8:9], s[18:19]
	;; [unrolled: 1-line block ×3, first 2 shown]
	v_cmp_gt_i32_e32 vcc, s27, v25
	v_mov_b64_e32 v[4:5], v[8:9]
	s_and_saveexec_b64 s[2:3], vcc
	s_cbranch_execz .LBB52_26
; %bb.25:
	v_lshlrev_b32_e32 v2, 8, v25
	v_mov_b32_e32 v3, 0
	v_lshl_add_u64 v[4:5], s[0:1], 0, v[2:3]
	v_lshlrev_b32_e32 v2, 1, v18
	v_lshl_add_u64 v[10:11], v[4:5], 0, v[2:3]
	global_load_dwordx4 v[6:9], v[10:11], off
	global_load_dwordx4 v[2:5], v[10:11], off offset:128
.LBB52_26:
	s_or_b64 exec, exec, s[2:3]
	s_mov_b32 s17, s16
	s_mov_b32 s18, s16
	;; [unrolled: 1-line block ×3, first 2 shown]
	v_mov_b64_e32 v[14:15], s[16:17]
	v_mov_b64_e32 v[16:17], s[18:19]
	v_mov_b64_e32 v[10:11], v[14:15]
	v_cmp_gt_i32_e32 vcc, s27, v20
	v_lshlrev_b32_e32 v21, 7, v20
	v_mov_b64_e32 v[12:13], v[16:17]
	s_and_saveexec_b64 s[2:3], vcc
	s_cbranch_execz .LBB52_28
; %bb.27:
	v_lshlrev_b32_e32 v10, 1, v21
	v_mov_b32_e32 v11, 0
	v_lshl_add_u64 v[12:13], s[0:1], 0, v[10:11]
	v_lshlrev_b32_e32 v10, 1, v18
	v_lshl_add_u64 v[26:27], v[12:13], 0, v[10:11]
	global_load_dwordx4 v[14:17], v[26:27], off
	global_load_dwordx4 v[10:13], v[26:27], off offset:128
.LBB52_28:
	s_or_b64 exec, exec, s[2:3]
	v_lshrrev_b32_e32 v26, 3, v18
	v_lshlrev_b32_e32 v27, 3, v25
	v_or_b32_e32 v26, v27, v26
	v_lshlrev_b32_e32 v26, 4, v26
	v_and_b32_e32 v27, 0x78, v27
	v_xor_b32_e32 v26, v26, v27
	s_branch .LBB52_31
.LBB52_29:
                                        ; implicit-def: $vgpr26
                                        ; implicit-def: $vgpr21
                                        ; implicit-def: $vgpr6_vgpr7_vgpr8_vgpr9
                                        ; implicit-def: $vgpr2_vgpr3_vgpr4_vgpr5
                                        ; implicit-def: $vgpr14_vgpr15_vgpr16_vgpr17
                                        ; implicit-def: $vgpr10_vgpr11_vgpr12_vgpr13
	s_cbranch_execz .LBB52_31
; %bb.30:
	s_waitcnt vmcnt(0)
	v_lshlrev_b32_e32 v2, 1, v18
	v_lshl_or_b32 v21, v25, 8, v2
	s_and_b32 s1, s1, 0xffff
	s_mov_b32 s3, 0x20000
	s_movk_i32 s2, 0x4000
	v_lshl_or_b32 v26, v20, 8, v2
	s_movk_i32 s12, 0x80
	buffer_load_dwordx4 v[6:9], v21, s[0:3], 0 offen
	buffer_load_dwordx4 v[2:5], v21, s[0:3], s12 offen
	;; [unrolled: 1-line block ×4, first 2 shown]
	v_lshrrev_b32_e32 v21, 3, v18
	v_lshlrev_b32_e32 v26, 3, v25
	v_or_b32_e32 v21, v26, v21
	v_lshlrev_b32_e32 v21, 4, v21
	v_and_b32_e32 v26, 0x78, v26
	v_xor_b32_e32 v26, v21, v26
	v_lshlrev_b32_e32 v21, 7, v20
.LBB52_31:
	s_movk_i32 s0, 0x1000
	v_and_or_b32 v20, v21, s0, v26
	s_waitcnt vmcnt(1)
	ds_write_b64 v26, v[6:7] offset:49152
	v_xor_b32_e32 v6, 8, v26
	ds_write_b64 v6, v[8:9] offset:49152
	s_waitcnt vmcnt(0)
	ds_write_b64 v26, v[2:3] offset:57344
	ds_write_b64 v6, v[4:5] offset:57344
	;; [unrolled: 1-line block ×3, first 2 shown]
	v_xor_b32_e32 v2, 8, v20
	ds_write_b64 v2, v[16:17] offset:49152
	ds_write_b64 v20, v[10:11] offset:57344
	;; [unrolled: 1-line block ×3, first 2 shown]
	v_or_b32_e32 v2, v1, v77
	v_lshlrev_b32_e32 v3, 11, v75
	v_lshlrev_b32_e32 v2, 3, v2
	v_and_b32_e32 v6, 0x1000, v3
	v_lshrrev_b32_e32 v3, 5, v74
	s_movk_i32 s0, 0xf8
	v_and_or_b32 v3, v2, s0, v3
	v_lshlrev_b32_e32 v7, 4, v3
	v_and_b32_e32 v8, 0x78, v2
	v_or_b32_e32 v10, 32, v7
	v_lshrrev_b32_e32 v3, 1, v74
	v_xor_b32_e32 v10, v10, v8
	v_xor_b32_e32 v2, v7, v8
	v_and_b32_e32 v9, 8, v3
	v_or_b32_e32 v10, v10, v6
	v_or_b32_e32 v2, v2, v6
	v_xor_b32_e32 v28, v10, v9
	v_or_b32_e32 v10, 64, v7
	v_xor_b32_e32 v27, v2, v9
	v_xor_b32_e32 v10, v10, v8
	s_waitcnt lgkmcnt(0)
	s_barrier
	v_or_b32_e32 v13, v10, v6
	ds_read_b64 v[10:11], v27 offset:49152
	v_lshl_or_b32 v14, v76, 8, v24
	v_lshlrev_b32_e32 v26, 1, v14
	v_add_u32_e32 v12, 0x4000, v26
	ds_read2_b64 v[2:5], v12 offset1:16
	v_or_b32_e32 v7, 0x60, v7
	v_xor_b32_e32 v7, v7, v8
	v_or_b32_e32 v6, v7, v6
	v_xor_b32_e32 v29, v13, v9
	v_xor_b32_e32 v30, v6, v9
	ds_read_b64 v[20:21], v28 offset:49152
	ds_read_b64 v[36:37], v29 offset:49152
	;; [unrolled: 1-line block ×3, first 2 shown]
	s_waitcnt lgkmcnt(3)
	v_mfma_f32_16x16x16_bf16 a[0:3], v[10:11], v[2:3], 0
	ds_read2st64_b64 v[6:9], v26 offset0:36 offset1:40
	s_lshl_b64 s[0:1], s[24:25], 8
	s_add_u32 s4, s4, s0
	v_mfma_f32_16x16x16_bf16 a[4:7], v[10:11], v[4:5], 0
	ds_read2_b64 v[2:5], v12 offset0:32 offset1:48
	s_addc_u32 s5, s5, s1
	s_add_i32 s1, s41, s33
	s_waitcnt lgkmcnt(0)
	v_mfma_f32_16x16x16_bf16 a[8:11], v[10:11], v[2:3], 0
	v_or_b32_e32 v2, 64, v14
	v_lshlrev_b32_e32 v31, 1, v2
	s_add_i32 s0, s31, -1
	v_mfma_f32_16x16x16_bf16 a[12:15], v[10:11], v[4:5], 0
	ds_read2st64_b64 v[2:5], v31 offset0:36 offset1:40
	s_add_i32 s37, s1, s40
	s_add_i32 s1, s43, s42
	v_mfma_f32_16x16x16_bf16 a[0:3], v[20:21], v[6:7], a[0:3]
	v_or_b32_e32 v6, 0x80, v14
	v_lshlrev_b32_e32 v32, 1, v6
	ds_read2st64_b64 v[10:13], v32 offset0:36 offset1:40
	s_waitcnt lgkmcnt(1)
	v_mfma_f32_16x16x16_bf16 a[4:7], v[20:21], v[2:3], a[4:7]
	v_or_b32_e32 v2, 0xc0, v14
	v_lshlrev_b32_e32 v33, 1, v2
	ds_read2st64_b64 v[14:17], v33 offset0:36 offset1:40
	s_add_i32 s35, s1, s44
	s_ashr_i32 s1, s0, 31
	s_mul_i32 s2, s0, s29
	s_mul_hi_u32 s3, s0, s28
	s_add_i32 s2, s3, s2
	s_mul_i32 s1, s1, s28
	s_waitcnt lgkmcnt(1)
	v_mfma_f32_16x16x16_bf16 a[8:11], v[20:21], v[10:11], a[8:11]
	s_add_i32 s1, s2, s1
	s_lshl_b64 s[2:3], s[36:37], 2
	s_add_u32 s10, s10, s2
	s_waitcnt lgkmcnt(0)
	v_mfma_f32_16x16x16_bf16 a[12:15], v[20:21], v[14:15], a[12:15]
	s_addc_u32 s11, s11, s3
	s_lshl_b64 s[2:3], s[34:35], 2
	s_mul_i32 s0, s0, s28
	v_mfma_f32_16x16x16_bf16 a[0:3], v[36:37], v[8:9], a[0:3]
	ds_read_b64 v[2:3], v26 offset:22528
	s_add_u32 s10, s10, s2
	s_addc_u32 s11, s11, s3
	v_mfma_f32_16x16x16_bf16 a[4:7], v[36:37], v[4:5], a[4:7]
	ds_read_b64 v[4:5], v31 offset:22528
	ds_read_b64 v[6:7], v32 offset:22528
	;; [unrolled: 1-line block ×3, first 2 shown]
	s_lshl_b64 s[0:1], s[0:1], 2
	s_add_u32 s0, s10, s0
	v_mfma_f32_16x16x16_bf16 a[8:11], v[36:37], v[12:13], a[8:11]
	s_addc_u32 s1, s11, s1
	s_load_dword s12, s[0:1], 0x0
	s_and_b64 vcc, exec, s[22:23]
	v_mfma_f32_16x16x16_bf16 a[12:15], v[36:37], v[16:17], a[12:15]
	s_waitcnt lgkmcnt(0)
	v_mfma_f32_16x16x16_bf16 a[0:3], v[38:39], v[2:3], a[0:3]
	v_mfma_f32_16x16x16_bf16 a[4:7], v[38:39], v[4:5], a[4:7]
	;; [unrolled: 1-line block ×4, first 2 shown]
	s_cbranch_vccz .LBB52_42
; %bb.32:
	v_lshlrev_b32_e32 v20, 1, v25
	s_and_b64 vcc, exec, s[6:7]
	s_cbranch_vccz .LBB52_43
; %bb.33:
	v_cmp_gt_i32_e32 vcc, s27, v20
	v_mov_b32_e32 v6, 0
	v_mov_b32_e32 v2, 0
	;; [unrolled: 1-line block ×5, first 2 shown]
	s_and_saveexec_b64 s[0:1], vcc
	s_cbranch_execz .LBB52_35
; %bb.34:
	v_mad_i64_i32 v[2:3], s[2:3], s15, v20, 0
	v_lshl_add_u64 v[2:3], v[2:3], 1, s[4:5]
	v_lshlrev_b32_e32 v4, 1, v18
	v_mov_b32_e32 v5, 0
	v_lshl_add_u64 v[2:3], v[2:3], 0, v[4:5]
	global_load_dwordx4 v[2:5], v[2:3], off
.LBB52_35:
	s_or_b64 exec, exec, s[0:1]
	v_or_b32_e32 v21, 1, v20
	v_cmp_gt_i32_e64 s[0:1], s27, v21
	v_mov_b32_e32 v7, 0
	v_mov_b32_e32 v8, 0
	;; [unrolled: 1-line block ×3, first 2 shown]
	s_and_saveexec_b64 s[2:3], s[0:1]
	s_cbranch_execz .LBB52_37
; %bb.36:
	v_mad_i64_i32 v[6:7], s[16:17], s15, v21, 0
	v_lshl_add_u64 v[6:7], v[6:7], 1, s[4:5]
	v_lshlrev_b32_e32 v8, 1, v18
	v_mov_b32_e32 v9, 0
	v_lshl_add_u64 v[6:7], v[6:7], 0, v[8:9]
	global_load_dwordx4 v[6:9], v[6:7], off
.LBB52_37:
	s_or_b64 exec, exec, s[2:3]
	v_mov_b32_e32 v17, 0
	v_mov_b32_e32 v10, 0
	;; [unrolled: 1-line block ×5, first 2 shown]
	s_and_saveexec_b64 s[2:3], vcc
	s_cbranch_execz .LBB52_39
; %bb.38:
	v_mad_i64_i32 v[10:11], s[16:17], s15, v20, 0
	v_lshl_add_u64 v[10:11], v[10:11], 1, s[4:5]
	v_lshlrev_b32_e32 v12, 1, v18
	v_mov_b32_e32 v13, 0
	v_lshl_add_u64 v[10:11], v[10:11], 0, v[12:13]
	global_load_dwordx4 v[10:13], v[10:11], off offset:128
.LBB52_39:
	s_or_b64 exec, exec, s[2:3]
	v_mov_b32_e32 v16, 0
	v_mov_b32_e32 v15, 0
	;; [unrolled: 1-line block ×3, first 2 shown]
	s_and_saveexec_b64 s[2:3], s[0:1]
	s_cbranch_execz .LBB52_41
; %bb.40:
	v_mad_i64_i32 v[14:15], s[0:1], s15, v21, 0
	v_lshl_add_u64 v[14:15], v[14:15], 1, s[4:5]
	v_lshlrev_b32_e32 v16, 1, v18
	v_mov_b32_e32 v17, 0
	v_lshl_add_u64 v[14:15], v[14:15], 0, v[16:17]
	global_load_dwordx4 v[14:17], v[14:15], off offset:128
.LBB52_41:
	s_or_b64 exec, exec, s[2:3]
	s_branch .LBB52_45
.LBB52_42:
                                        ; implicit-def: $vgpr5
                                        ; implicit-def: $vgpr9
                                        ; implicit-def: $vgpr13
                                        ; implicit-def: $vgpr17
	v_lshrrev_b32_e32 v35, 2, v74
	s_branch .LBB52_46
.LBB52_43:
                                        ; implicit-def: $vgpr5
                                        ; implicit-def: $vgpr9
                                        ; implicit-def: $vgpr13
                                        ; implicit-def: $vgpr17
	s_cbranch_execz .LBB52_45
; %bb.44:
	s_waitcnt vmcnt(0)
	v_mad_u64_u32 v[2:3], s[0:1], v20, s15, v[18:19]
	v_lshlrev_b32_e32 v20, 1, v2
	s_lshl_b32 s2, s15, 7
	s_and_b32 s1, s5, 0xffff
	s_mov_b32 s3, 0x20000
	s_mov_b32 s0, s4
	v_add_lshl_u32 v21, v2, s15, 1
	s_movk_i32 s13, 0x80
	buffer_load_dwordx4 v[2:5], v20, s[0:3], 0 offen
	buffer_load_dwordx4 v[10:13], v20, s[0:3], s13 offen
	;; [unrolled: 1-line block ×4, first 2 shown]
.LBB52_45:
	v_lshrrev_b32_e32 v35, 2, v74
	s_cbranch_execnz .LBB52_58
.LBB52_46:
	s_and_b64 vcc, exec, s[6:7]
	s_cbranch_vccz .LBB52_56
; %bb.47:
	s_waitcnt vmcnt(0)
	v_lshlrev_b32_e32 v7, 1, v25
	v_cmp_gt_i32_e32 vcc, s27, v7
	v_mov_b32_e32 v6, 0
	v_lshlrev_b32_e32 v14, 9, v25
	v_mov_b32_e32 v2, 0
	v_mov_b32_e32 v3, 0
	v_mov_b32_e32 v4, 0
	v_mov_b32_e32 v5, 0
	s_and_saveexec_b64 s[0:1], vcc
	s_cbranch_execz .LBB52_49
; %bb.48:
	v_mov_b32_e32 v15, 0
	v_lshl_add_u64 v[2:3], s[4:5], 0, v[14:15]
	v_lshlrev_b32_e32 v4, 1, v18
	v_mov_b32_e32 v5, v15
	v_lshl_add_u64 v[2:3], v[2:3], 0, v[4:5]
	global_load_dwordx4 v[2:5], v[2:3], off
.LBB52_49:
	s_or_b64 exec, exec, s[0:1]
	v_or_b32_e32 v7, 1, v7
	v_cmp_gt_i32_e64 s[0:1], s27, v7
	v_lshlrev_b32_e32 v20, 8, v7
	v_mov_b32_e32 v7, 0
	v_mov_b32_e32 v8, 0
	v_mov_b32_e32 v9, 0
	s_and_saveexec_b64 s[2:3], s[0:1]
	s_cbranch_execz .LBB52_51
; %bb.50:
	v_mov_b32_e32 v21, 0
	v_lshl_add_u64 v[6:7], s[4:5], 0, v[20:21]
	v_lshlrev_b32_e32 v8, 1, v18
	v_mov_b32_e32 v9, v21
	v_lshl_add_u64 v[6:7], v[6:7], 0, v[8:9]
	global_load_dwordx4 v[6:9], v[6:7], off
.LBB52_51:
	s_or_b64 exec, exec, s[2:3]
	v_mov_b32_e32 v17, 0
	v_mov_b32_e32 v10, 0
	;; [unrolled: 1-line block ×5, first 2 shown]
	s_and_saveexec_b64 s[2:3], vcc
	s_cbranch_execz .LBB52_53
; %bb.52:
	v_mov_b32_e32 v15, 0
	v_lshl_add_u64 v[10:11], s[4:5], 0, v[14:15]
	v_lshlrev_b32_e32 v14, 1, v18
	v_lshl_add_u64 v[10:11], v[10:11], 0, v[14:15]
	global_load_dwordx4 v[10:13], v[10:11], off offset:128
.LBB52_53:
	s_or_b64 exec, exec, s[2:3]
	v_mov_b32_e32 v16, 0
	v_mov_b32_e32 v15, 0
	;; [unrolled: 1-line block ×3, first 2 shown]
	s_and_saveexec_b64 s[2:3], s[0:1]
	s_cbranch_execz .LBB52_55
; %bb.54:
	v_mov_b32_e32 v21, 0
	v_lshl_add_u64 v[14:15], s[4:5], 0, v[20:21]
	v_lshlrev_b32_e32 v20, 1, v18
	v_lshl_add_u64 v[14:15], v[14:15], 0, v[20:21]
	global_load_dwordx4 v[14:17], v[14:15], off offset:128
.LBB52_55:
	s_or_b64 exec, exec, s[2:3]
	s_branch .LBB52_58
.LBB52_56:
                                        ; implicit-def: $vgpr5
                                        ; implicit-def: $vgpr9
                                        ; implicit-def: $vgpr13
                                        ; implicit-def: $vgpr17
	s_cbranch_execz .LBB52_58
; %bb.57:
	s_waitcnt vmcnt(0)
	v_lshlrev_b32_e32 v2, 1, v18
	v_lshl_or_b32 v18, v25, 9, v2
	s_and_b32 s5, s5, 0xffff
	s_mov_b32 s7, 0x20000
	s_movk_i32 s6, 0x4000
	s_movk_i32 s0, 0x80
	buffer_load_dwordx4 v[2:5], v18, s[4:7], 0 offen
	buffer_load_dwordx4 v[6:9], v18, s[4:7], 0 offen offset:256
	buffer_load_dwordx4 v[10:13], v18, s[4:7], s0 offen
	buffer_load_dwordx4 v[14:17], v18, s[4:7], s0 offen offset:256
.LBB52_58:
	ds_read_b64 v[20:21], v27 offset:57344
	v_add_u32_e32 v18, 0x6000, v26
	ds_read2_b64 v[36:39], v18 offset1:16
	ds_read_b64 v[52:53], v28 offset:57344
	ds_read_b64 v[28:29], v29 offset:57344
	;; [unrolled: 1-line block ×3, first 2 shown]
	ds_read2st64_b64 v[40:43], v26 offset0:52 offset1:56
	s_mov_b32 s0, 0x1000504
	s_mov_b32 s1, 0x3020706
	s_waitcnt lgkmcnt(4)
	v_mfma_f32_16x16x16_bf16 a[0:3], v[20:21], v[36:37], a[0:3]
	v_mfma_f32_16x16x16_bf16 a[4:7], v[20:21], v[38:39], a[4:7]
	ds_read2_b64 v[36:39], v18 offset0:32 offset1:48
	v_and_b32_e32 v18, 6, v0
	v_xor_b32_e32 v25, v25, v18
	s_waitcnt lgkmcnt(0)
	v_mfma_f32_16x16x16_bf16 a[8:11], v[20:21], v[36:37], a[8:11]
	v_lshlrev_b32_e32 v25, 2, v25
	v_and_b32_e32 v0, 1, v0
	v_cmp_eq_u32_e32 vcc, 0, v0
	v_mfma_f32_16x16x16_bf16 a[12:15], v[20:21], v[38:39], a[12:15]
	ds_read2st64_b64 v[36:39], v31 offset0:52 offset1:56
	ds_read2st64_b64 v[44:47], v32 offset0:52 offset1:56
	;; [unrolled: 1-line block ×3, first 2 shown]
	ds_read_b64 v[20:21], v26 offset:30720
	ds_read_b64 v[26:27], v31 offset:30720
	;; [unrolled: 1-line block ×4, first 2 shown]
	s_waitcnt lgkmcnt(6)
	v_mfma_f32_16x16x16_bf16 a[4:7], v[52:53], v[36:37], a[4:7]
	v_xor_b32_e32 v36, 0x440, v25
	v_cndmask_b32_e32 v0, v36, v25, vcc
	v_lshl_or_b32 v0, v18, 10, v0
	v_mfma_f32_16x16x16_bf16 a[0:3], v[52:53], v[40:41], a[0:3]
	s_waitcnt vmcnt(0)
	v_perm_b32 v18, v2, v6, s0
	v_perm_b32 v25, v10, v14, s0
	ds_write2st64_b32 v0, v18, v25 offset0:128 offset1:160
	s_waitcnt lgkmcnt(6)
	v_mfma_f32_16x16x16_bf16 a[8:11], v[52:53], v[44:45], a[8:11]
	v_xor_b32_e32 v18, 8, v0
	v_perm_b32 v2, v2, v6, s1
	v_perm_b32 v6, v10, v14, s1
	s_waitcnt lgkmcnt(5)
	v_mfma_f32_16x16x16_bf16 a[12:15], v[52:53], v[48:49], a[12:15]
	v_add_u32_e32 v10, 0x80, v18
	ds_write2st64_b32 v10, v2, v6 offset0:128 offset1:160
	v_xor_b32_e32 v2, 16, v0
	v_mfma_f32_16x16x16_bf16 a[0:3], v[28:29], v[42:43], a[0:3]
	v_perm_b32 v6, v3, v7, s0
	v_perm_b32 v10, v11, v15, s0
	ds_write2st64_b32 v2, v6, v10 offset0:129 offset1:161
	v_mfma_f32_16x16x16_bf16 a[4:7], v[28:29], v[38:39], a[4:7]
	v_xor_b32_e32 v2, 24, v0
	v_perm_b32 v3, v3, v7, s1
	v_perm_b32 v6, v11, v15, s1
	v_mfma_f32_16x16x16_bf16 a[16:19], v[28:29], v[46:47], a[8:11]
	v_add_u32_e32 v2, 0x80, v2
	ds_write2st64_b32 v2, v3, v6 offset0:129 offset1:161
	v_xor_b32_e32 v2, 32, v0
	v_mfma_f32_16x16x16_bf16 a[20:23], v[28:29], v[50:51], a[12:15]
	v_perm_b32 v3, v4, v8, s0
	v_perm_b32 v6, v12, v16, s0
	ds_write2st64_b32 v2, v3, v6 offset0:130 offset1:162
	s_waitcnt lgkmcnt(8)
	v_mfma_f32_16x16x16_bf16 a[12:15], v[54:55], v[20:21], a[0:3]
	v_xor_b32_e32 v2, 40, v0
	v_perm_b32 v3, v4, v8, s1
	v_perm_b32 v4, v12, v16, s1
	s_waitcnt lgkmcnt(7)
	v_mfma_f32_16x16x16_bf16 a[8:11], v[54:55], v[26:27], a[4:7]
	v_add_u32_e32 v2, 0x80, v2
	ds_write2st64_b32 v2, v3, v4 offset0:130 offset1:162
	v_xor_b32_e32 v2, 48, v0
	s_waitcnt lgkmcnt(7)
	v_mfma_f32_16x16x16_bf16 a[4:7], v[54:55], v[30:31], a[16:19]
	v_perm_b32 v3, v5, v9, s0
	v_perm_b32 v4, v13, v17, s0
	v_xor_b32_e32 v0, 56, v0
	s_waitcnt lgkmcnt(6)
	v_mfma_f32_16x16x16_bf16 a[0:3], v[54:55], v[32:33], a[20:23]
	v_and_or_b32 v18, v35, 12, v1
	ds_write2st64_b32 v2, v3, v4 offset0:131 offset1:163
	v_perm_b32 v2, v5, v9, s1
	v_perm_b32 v3, v13, v17, s1
	v_add_u32_e32 v0, 0x80, v0
	v_cmp_gt_i32_e32 vcc, s27, v18
	v_mov_b32_e32 v14, 0
	v_mov_b32_e32 v16, 0
	ds_write2st64_b32 v0, v2, v3 offset0:131 offset1:163
	s_and_saveexec_b64 s[0:1], vcc
	s_cbranch_execz .LBB52_60
; %bb.59:
	v_add_u32_e32 v0, s26, v18
	v_ashrrev_i32_e32 v1, 31, v0
	v_mul_lo_u32 v2, v1, s28
	v_mul_lo_u32 v3, v0, s29
	v_mad_u64_u32 v[0:1], s[2:3], v0, s28, 0
	v_add3_u32 v1, v1, v3, v2
	v_lshl_add_u64 v[0:1], v[0:1], 2, s[10:11]
	global_load_dword v0, v[0:1], off
	s_waitcnt vmcnt(0)
	v_sub_f32_e32 v0, s12, v0
	v_exp_f32_e32 v16, v0
.LBB52_60:
	s_or_b64 exec, exec, s[0:1]
	v_or_b32_e32 v8, 1, v18
	v_cmp_gt_i32_e64 s[0:1], s27, v8
	s_and_saveexec_b64 s[2:3], s[0:1]
	s_cbranch_execz .LBB52_62
; %bb.61:
	v_add_u32_e32 v0, s26, v8
	v_ashrrev_i32_e32 v1, 31, v0
	v_mul_lo_u32 v2, v1, s28
	v_mul_lo_u32 v3, v0, s29
	v_mad_u64_u32 v[0:1], s[4:5], v0, s28, 0
	v_add3_u32 v1, v1, v3, v2
	v_lshl_add_u64 v[0:1], v[0:1], 2, s[10:11]
	global_load_dword v0, v[0:1], off
	s_waitcnt vmcnt(0)
	v_sub_f32_e32 v0, s12, v0
	v_exp_f32_e32 v14, v0
.LBB52_62:
	s_or_b64 exec, exec, s[2:3]
	v_or_b32_e32 v10, 2, v18
	v_cmp_gt_i32_e64 s[2:3], s27, v10
	v_mov_b32_e32 v15, 0
	v_mov_b32_e32 v17, 0
	s_and_saveexec_b64 s[4:5], s[2:3]
	s_cbranch_execz .LBB52_64
; %bb.63:
	v_add_u32_e32 v0, s26, v10
	v_ashrrev_i32_e32 v1, 31, v0
	v_mul_lo_u32 v2, v1, s28
	v_mul_lo_u32 v3, v0, s29
	v_mad_u64_u32 v[0:1], s[6:7], v0, s28, 0
	v_add3_u32 v1, v1, v3, v2
	v_lshl_add_u64 v[0:1], v[0:1], 2, s[10:11]
	global_load_dword v0, v[0:1], off
	s_waitcnt vmcnt(0)
	v_sub_f32_e32 v0, s12, v0
	v_exp_f32_e32 v17, v0
.LBB52_64:
	s_or_b64 exec, exec, s[4:5]
	v_or_b32_e32 v12, 3, v18
	v_cmp_gt_i32_e64 s[4:5], s27, v12
	s_and_saveexec_b64 s[6:7], s[4:5]
	s_cbranch_execz .LBB52_66
; %bb.65:
	v_add_u32_e32 v0, s26, v12
	v_ashrrev_i32_e32 v1, 31, v0
	v_mul_lo_u32 v2, v1, s28
	v_mul_lo_u32 v3, v0, s29
	v_mad_u64_u32 v[0:1], s[14:15], v0, s28, 0
	v_add3_u32 v1, v1, v3, v2
	v_lshl_add_u64 v[0:1], v[0:1], 2, s[10:11]
	global_load_dword v0, v[0:1], off
	s_waitcnt vmcnt(0)
	v_sub_f32_e32 v0, s12, v0
	v_exp_f32_e32 v15, v0
.LBB52_66:
	s_or_b64 exec, exec, s[6:7]
	s_add_u32 s6, s8, s20
	v_accvgpr_read_b32 v0, a12
	s_addc_u32 s7, s9, s21
	v_ashrrev_i32_e32 v35, 31, v34
	v_accvgpr_read_b32 v1, a13
	v_accvgpr_read_b32 v2, a14
	;; [unrolled: 1-line block ×3, first 2 shown]
	v_lshl_add_u64 v[4:5], v[34:35], 1, s[6:7]
	v_mov_b32_e32 v9, 0
	v_lshlrev_b32_e32 v6, 8, v18
	v_mov_b32_e32 v7, 0
	s_and_saveexec_b64 s[6:7], vcc
	s_cbranch_execz .LBB52_68
; %bb.67:
	v_mov_b32_e32 v7, 0
	v_lshl_add_u64 v[20:21], v[4:5], 0, v[6:7]
	global_load_ushort v7, v[20:21], off
	s_waitcnt vmcnt(0)
	v_lshlrev_b32_e32 v7, 16, v7
	v_sub_f32_e32 v0, v7, v0
	v_mul_f32_e32 v0, v16, v0
	v_lshrrev_b32_e32 v7, 16, v0
.LBB52_68:
	s_or_b64 exec, exec, s[6:7]
	v_lshlrev_b32_e32 v8, 8, v8
	s_and_saveexec_b64 s[6:7], s[0:1]
	s_cbranch_execz .LBB52_70
; %bb.69:
	v_mov_b32_e32 v9, 0
	v_lshl_add_u64 v[20:21], v[4:5], 0, v[8:9]
	global_load_ushort v0, v[20:21], off
	s_waitcnt vmcnt(0)
	v_lshlrev_b32_e32 v0, 16, v0
	v_sub_f32_e32 v0, v0, v1
	v_mul_f32_e32 v0, v14, v0
	v_lshrrev_b32_e32 v9, 16, v0
.LBB52_70:
	s_or_b64 exec, exec, s[6:7]
	v_mov_b32_e32 v13, 0
	v_lshlrev_b32_e32 v10, 8, v10
	v_mov_b32_e32 v11, 0
	s_and_saveexec_b64 s[6:7], s[2:3]
	s_cbranch_execz .LBB52_72
; %bb.71:
	v_mov_b32_e32 v11, 0
	v_lshl_add_u64 v[0:1], v[4:5], 0, v[10:11]
	global_load_ushort v0, v[0:1], off
	s_waitcnt vmcnt(0)
	v_lshlrev_b32_e32 v0, 16, v0
	v_sub_f32_e32 v0, v0, v2
	v_mul_f32_e32 v0, v17, v0
	v_lshrrev_b32_e32 v11, 16, v0
.LBB52_72:
	s_or_b64 exec, exec, s[6:7]
	v_lshlrev_b32_e32 v12, 8, v12
	s_and_saveexec_b64 s[6:7], s[4:5]
	s_cbranch_execz .LBB52_74
; %bb.73:
	v_mov_b32_e32 v13, 0
	v_lshl_add_u64 v[0:1], v[4:5], 0, v[12:13]
	global_load_ushort v0, v[0:1], off
	s_waitcnt vmcnt(0)
	v_lshlrev_b32_e32 v0, 16, v0
	v_sub_f32_e32 v0, v0, v3
	v_mul_f32_e32 v0, v15, v0
	v_lshrrev_b32_e32 v13, 16, v0
.LBB52_74:
	s_or_b64 exec, exec, s[6:7]
	v_lshlrev_b32_e32 v18, 6, v18
	s_mov_b32 s6, 0x5040100
	v_perm_b32 v20, v9, v7, s6
	v_or_b32_e32 v7, v18, v24
	v_accvgpr_read_b32 v0, a8
	v_perm_b32 v21, v13, v11, s6
	v_lshlrev_b32_e32 v7, 1, v7
	v_accvgpr_read_b32 v1, a9
	v_accvgpr_read_b32 v2, a10
	;; [unrolled: 1-line block ×3, first 2 shown]
	ds_write_b64 v7, v[20:21] offset:24576
	v_mov_b32_e32 v9, 0
	v_mov_b32_e32 v7, 0
	s_and_saveexec_b64 s[6:7], vcc
	s_cbranch_execz .LBB52_76
; %bb.75:
	v_mov_b32_e32 v7, 0
	v_lshl_add_u64 v[20:21], v[4:5], 0, v[6:7]
	global_load_ushort v7, v[20:21], off offset:32
	s_waitcnt vmcnt(0)
	v_lshlrev_b32_e32 v7, 16, v7
	v_sub_f32_e32 v0, v7, v0
	v_mul_f32_e32 v0, v16, v0
	v_lshrrev_b32_e32 v7, 16, v0
.LBB52_76:
	s_or_b64 exec, exec, s[6:7]
	s_and_saveexec_b64 s[6:7], s[0:1]
	s_cbranch_execz .LBB52_78
; %bb.77:
	v_mov_b32_e32 v9, 0
	v_lshl_add_u64 v[20:21], v[4:5], 0, v[8:9]
	global_load_ushort v0, v[20:21], off offset:32
	s_waitcnt vmcnt(0)
	v_lshlrev_b32_e32 v0, 16, v0
	v_sub_f32_e32 v0, v0, v1
	v_mul_f32_e32 v0, v14, v0
	v_lshrrev_b32_e32 v9, 16, v0
.LBB52_78:
	s_or_b64 exec, exec, s[6:7]
	v_mov_b32_e32 v13, 0
	v_mov_b32_e32 v11, 0
	s_and_saveexec_b64 s[6:7], s[2:3]
	s_cbranch_execz .LBB52_80
; %bb.79:
	v_mov_b32_e32 v11, 0
	v_lshl_add_u64 v[0:1], v[4:5], 0, v[10:11]
	global_load_ushort v0, v[0:1], off offset:32
	s_waitcnt vmcnt(0)
	v_lshlrev_b32_e32 v0, 16, v0
	v_sub_f32_e32 v0, v0, v2
	v_mul_f32_e32 v0, v17, v0
	v_lshrrev_b32_e32 v11, 16, v0
.LBB52_80:
	s_or_b64 exec, exec, s[6:7]
	s_and_saveexec_b64 s[6:7], s[4:5]
	s_cbranch_execz .LBB52_82
; %bb.81:
	v_mov_b32_e32 v13, 0
	v_lshl_add_u64 v[0:1], v[4:5], 0, v[12:13]
	global_load_ushort v0, v[0:1], off offset:32
	s_waitcnt vmcnt(0)
	v_lshlrev_b32_e32 v0, 16, v0
	v_sub_f32_e32 v0, v0, v3
	v_mul_f32_e32 v0, v15, v0
	v_lshrrev_b32_e32 v13, 16, v0
.LBB52_82:
	s_or_b64 exec, exec, s[6:7]
	s_mov_b32 s6, 0x5040100
	v_perm_b32 v20, v9, v7, s6
	v_or_b32_e32 v7, v18, v23
	v_accvgpr_read_b32 v0, a4
	v_perm_b32 v21, v13, v11, s6
	v_lshlrev_b32_e32 v7, 1, v7
	v_accvgpr_read_b32 v1, a5
	v_accvgpr_read_b32 v2, a6
	;; [unrolled: 1-line block ×3, first 2 shown]
	ds_write_b64 v7, v[20:21] offset:24576
	v_mov_b32_e32 v9, 0
	v_mov_b32_e32 v7, 0
	s_and_saveexec_b64 s[6:7], vcc
	s_cbranch_execz .LBB52_84
; %bb.83:
	v_mov_b32_e32 v7, 0
	v_lshl_add_u64 v[20:21], v[4:5], 0, v[6:7]
	global_load_ushort v7, v[20:21], off offset:64
	s_waitcnt vmcnt(0)
	v_lshlrev_b32_e32 v7, 16, v7
	v_sub_f32_e32 v0, v7, v0
	v_mul_f32_e32 v0, v16, v0
	v_lshrrev_b32_e32 v7, 16, v0
.LBB52_84:
	s_or_b64 exec, exec, s[6:7]
	s_and_saveexec_b64 s[6:7], s[0:1]
	s_cbranch_execz .LBB52_86
; %bb.85:
	v_mov_b32_e32 v9, 0
	v_lshl_add_u64 v[20:21], v[4:5], 0, v[8:9]
	global_load_ushort v0, v[20:21], off offset:64
	s_waitcnt vmcnt(0)
	v_lshlrev_b32_e32 v0, 16, v0
	v_sub_f32_e32 v0, v0, v1
	v_mul_f32_e32 v0, v14, v0
	v_lshrrev_b32_e32 v9, 16, v0
.LBB52_86:
	s_or_b64 exec, exec, s[6:7]
	v_mov_b32_e32 v13, 0
	v_mov_b32_e32 v11, 0
	s_and_saveexec_b64 s[6:7], s[2:3]
	s_cbranch_execz .LBB52_88
; %bb.87:
	v_mov_b32_e32 v11, 0
	v_lshl_add_u64 v[0:1], v[4:5], 0, v[10:11]
	global_load_ushort v0, v[0:1], off offset:64
	s_waitcnt vmcnt(0)
	v_lshlrev_b32_e32 v0, 16, v0
	v_sub_f32_e32 v0, v0, v2
	v_mul_f32_e32 v0, v17, v0
	v_lshrrev_b32_e32 v11, 16, v0
.LBB52_88:
	s_or_b64 exec, exec, s[6:7]
	s_and_saveexec_b64 s[6:7], s[4:5]
	s_cbranch_execz .LBB52_90
; %bb.89:
	v_mov_b32_e32 v13, 0
	v_lshl_add_u64 v[0:1], v[4:5], 0, v[12:13]
	global_load_ushort v0, v[0:1], off offset:64
	s_waitcnt vmcnt(0)
	v_lshlrev_b32_e32 v0, 16, v0
	v_sub_f32_e32 v0, v0, v3
	v_mul_f32_e32 v0, v15, v0
	v_lshrrev_b32_e32 v13, 16, v0
.LBB52_90:
	s_or_b64 exec, exec, s[6:7]
	s_mov_b32 s6, 0x5040100
	v_perm_b32 v20, v9, v7, s6
	v_or_b32_e32 v7, v18, v22
	v_accvgpr_read_b32 v0, a0
	v_perm_b32 v21, v13, v11, s6
	v_lshlrev_b32_e32 v7, 1, v7
	v_accvgpr_read_b32 v1, a1
	v_accvgpr_read_b32 v2, a2
	v_accvgpr_read_b32 v3, a3
	ds_write_b64 v7, v[20:21] offset:24576
	v_mov_b32_e32 v9, 0
	v_mov_b32_e32 v7, 0
	s_and_saveexec_b64 s[6:7], vcc
	s_cbranch_execz .LBB52_92
; %bb.91:
	v_mov_b32_e32 v7, 0
	v_lshl_add_u64 v[6:7], v[4:5], 0, v[6:7]
	global_load_ushort v6, v[6:7], off offset:96
	s_waitcnt vmcnt(0)
	v_lshlrev_b32_e32 v6, 16, v6
	v_sub_f32_e32 v0, v6, v0
	v_mul_f32_e32 v0, v16, v0
	v_lshrrev_b32_e32 v7, 16, v0
.LBB52_92:
	s_or_b64 exec, exec, s[6:7]
	s_and_saveexec_b64 s[6:7], s[0:1]
	s_cbranch_execz .LBB52_94
; %bb.93:
	v_mov_b32_e32 v9, 0
	v_lshl_add_u64 v[8:9], v[4:5], 0, v[8:9]
	global_load_ushort v0, v[8:9], off offset:96
	s_waitcnt vmcnt(0)
	v_lshlrev_b32_e32 v0, 16, v0
	v_sub_f32_e32 v0, v0, v1
	v_mul_f32_e32 v0, v14, v0
	v_lshrrev_b32_e32 v9, 16, v0
.LBB52_94:
	s_or_b64 exec, exec, s[6:7]
	v_mov_b32_e32 v0, 0
	v_mov_b32_e32 v1, 0
	s_and_saveexec_b64 s[0:1], s[2:3]
	s_cbranch_execz .LBB52_96
; %bb.95:
	v_mov_b32_e32 v11, 0
	v_lshl_add_u64 v[10:11], v[4:5], 0, v[10:11]
	global_load_ushort v1, v[10:11], off offset:96
	s_waitcnt vmcnt(0)
	v_lshlrev_b32_e32 v1, 16, v1
	v_sub_f32_e32 v1, v1, v2
	v_mul_f32_e32 v1, v17, v1
	v_lshrrev_b32_e32 v1, 16, v1
.LBB52_96:
	s_or_b64 exec, exec, s[0:1]
	s_and_saveexec_b64 s[0:1], s[4:5]
	s_cbranch_execz .LBB52_98
; %bb.97:
	v_mov_b32_e32 v13, 0
	v_lshl_add_u64 v[4:5], v[4:5], 0, v[12:13]
	global_load_ushort v0, v[4:5], off offset:96
	s_waitcnt vmcnt(0)
	v_lshlrev_b32_e32 v0, 16, v0
	v_sub_f32_e32 v0, v0, v3
	v_mul_f32_e32 v0, v15, v0
	v_lshrrev_b32_e32 v0, 16, v0
.LBB52_98:
	s_or_b64 exec, exec, s[0:1]
	s_mov_b32 s0, 0x5040100
	v_or_b32_e32 v2, v18, v19
	v_perm_b32 v1, v0, v1, s0
	v_perm_b32 v0, v9, v7, s0
	v_lshlrev_b32_e32 v2, 1, v2
	ds_write_b64 v2, v[0:1] offset:24576
	s_waitcnt lgkmcnt(0)
	s_barrier
.LBB52_99:
	s_endpgm
	.section	.rodata,"a",@progbits
	.p2align	6, 0x0
	.amdhsa_kernel _ZN12_GLOBAL__N_139chunk_gated_delta_rule_fwd_h_hip_kernelILi64ELb1ELb0ELb0ELb1ELb1ELb0ELb0ELb1EEEvPK12hip_bfloat16S3_S3_PKfS5_PKvPS1_S8_PvPKiSB_iiiiilll
		.amdhsa_group_segment_fixed_size 65536
		.amdhsa_private_segment_fixed_size 0
		.amdhsa_kernarg_size 136
		.amdhsa_user_sgpr_count 2
		.amdhsa_user_sgpr_dispatch_ptr 0
		.amdhsa_user_sgpr_queue_ptr 0
		.amdhsa_user_sgpr_kernarg_segment_ptr 1
		.amdhsa_user_sgpr_dispatch_id 0
		.amdhsa_user_sgpr_kernarg_preload_length 0
		.amdhsa_user_sgpr_kernarg_preload_offset 0
		.amdhsa_user_sgpr_private_segment_size 0
		.amdhsa_uses_dynamic_stack 0
		.amdhsa_enable_private_segment 0
		.amdhsa_system_sgpr_workgroup_id_x 1
		.amdhsa_system_sgpr_workgroup_id_y 1
		.amdhsa_system_sgpr_workgroup_id_z 0
		.amdhsa_system_sgpr_workgroup_info 0
		.amdhsa_system_vgpr_workitem_id 0
		.amdhsa_next_free_vgpr 216
		.amdhsa_next_free_sgpr 61
		.amdhsa_accum_offset 180
		.amdhsa_reserve_vcc 1
		.amdhsa_float_round_mode_32 0
		.amdhsa_float_round_mode_16_64 0
		.amdhsa_float_denorm_mode_32 3
		.amdhsa_float_denorm_mode_16_64 3
		.amdhsa_dx10_clamp 1
		.amdhsa_ieee_mode 1
		.amdhsa_fp16_overflow 0
		.amdhsa_tg_split 0
		.amdhsa_exception_fp_ieee_invalid_op 0
		.amdhsa_exception_fp_denorm_src 0
		.amdhsa_exception_fp_ieee_div_zero 0
		.amdhsa_exception_fp_ieee_overflow 0
		.amdhsa_exception_fp_ieee_underflow 0
		.amdhsa_exception_fp_ieee_inexact 0
		.amdhsa_exception_int_div_zero 0
	.end_amdhsa_kernel
	.section	.text._ZN12_GLOBAL__N_139chunk_gated_delta_rule_fwd_h_hip_kernelILi64ELb1ELb0ELb0ELb1ELb1ELb0ELb0ELb1EEEvPK12hip_bfloat16S3_S3_PKfS5_PKvPS1_S8_PvPKiSB_iiiiilll,"axG",@progbits,_ZN12_GLOBAL__N_139chunk_gated_delta_rule_fwd_h_hip_kernelILi64ELb1ELb0ELb0ELb1ELb1ELb0ELb0ELb1EEEvPK12hip_bfloat16S3_S3_PKfS5_PKvPS1_S8_PvPKiSB_iiiiilll,comdat
.Lfunc_end52:
	.size	_ZN12_GLOBAL__N_139chunk_gated_delta_rule_fwd_h_hip_kernelILi64ELb1ELb0ELb0ELb1ELb1ELb0ELb0ELb1EEEvPK12hip_bfloat16S3_S3_PKfS5_PKvPS1_S8_PvPKiSB_iiiiilll, .Lfunc_end52-_ZN12_GLOBAL__N_139chunk_gated_delta_rule_fwd_h_hip_kernelILi64ELb1ELb0ELb0ELb1ELb1ELb0ELb0ELb1EEEvPK12hip_bfloat16S3_S3_PKfS5_PKvPS1_S8_PvPKiSB_iiiiilll
                                        ; -- End function
	.section	.AMDGPU.csdata,"",@progbits
; Kernel info:
; codeLenInByte = 10808
; NumSgprs: 67
; NumVgprs: 178
; NumAgprs: 36
; TotalNumVgprs: 216
; ScratchSize: 0
; MemoryBound: 0
; FloatMode: 240
; IeeeMode: 1
; LDSByteSize: 65536 bytes/workgroup (compile time only)
; SGPRBlocks: 8
; VGPRBlocks: 26
; NumSGPRsForWavesPerEU: 67
; NumVGPRsForWavesPerEU: 216
; AccumOffset: 180
; Occupancy: 1
; WaveLimiterHint : 1
; COMPUTE_PGM_RSRC2:SCRATCH_EN: 0
; COMPUTE_PGM_RSRC2:USER_SGPR: 2
; COMPUTE_PGM_RSRC2:TRAP_HANDLER: 0
; COMPUTE_PGM_RSRC2:TGID_X_EN: 1
; COMPUTE_PGM_RSRC2:TGID_Y_EN: 1
; COMPUTE_PGM_RSRC2:TGID_Z_EN: 0
; COMPUTE_PGM_RSRC2:TIDIG_COMP_CNT: 0
; COMPUTE_PGM_RSRC3_GFX90A:ACCUM_OFFSET: 44
; COMPUTE_PGM_RSRC3_GFX90A:TG_SPLIT: 0
	.section	.text._ZN12_GLOBAL__N_139chunk_gated_delta_rule_fwd_h_hip_kernelILi64ELb0ELb1ELb1ELb1ELb1ELb0ELb0ELb1EEEvPK12hip_bfloat16S3_S3_PKfS5_PKvPS1_S8_PvPKiSB_iiiiilll,"axG",@progbits,_ZN12_GLOBAL__N_139chunk_gated_delta_rule_fwd_h_hip_kernelILi64ELb0ELb1ELb1ELb1ELb1ELb0ELb0ELb1EEEvPK12hip_bfloat16S3_S3_PKfS5_PKvPS1_S8_PvPKiSB_iiiiilll,comdat
	.globl	_ZN12_GLOBAL__N_139chunk_gated_delta_rule_fwd_h_hip_kernelILi64ELb0ELb1ELb1ELb1ELb1ELb0ELb0ELb1EEEvPK12hip_bfloat16S3_S3_PKfS5_PKvPS1_S8_PvPKiSB_iiiiilll ; -- Begin function _ZN12_GLOBAL__N_139chunk_gated_delta_rule_fwd_h_hip_kernelILi64ELb0ELb1ELb1ELb1ELb1ELb0ELb0ELb1EEEvPK12hip_bfloat16S3_S3_PKfS5_PKvPS1_S8_PvPKiSB_iiiiilll
	.p2align	8
	.type	_ZN12_GLOBAL__N_139chunk_gated_delta_rule_fwd_h_hip_kernelILi64ELb0ELb1ELb1ELb1ELb1ELb0ELb0ELb1EEEvPK12hip_bfloat16S3_S3_PKfS5_PKvPS1_S8_PvPKiSB_iiiiilll,@function
_ZN12_GLOBAL__N_139chunk_gated_delta_rule_fwd_h_hip_kernelILi64ELb0ELb1ELb1ELb1ELb1ELb0ELb0ELb1EEEvPK12hip_bfloat16S3_S3_PKfS5_PKvPS1_S8_PvPKiSB_iiiiilll: ; @_ZN12_GLOBAL__N_139chunk_gated_delta_rule_fwd_h_hip_kernelILi64ELb0ELb1ELb1ELb1ELb1ELb0ELb0ELb1EEEvPK12hip_bfloat16S3_S3_PKfS5_PKvPS1_S8_PvPKiSB_iiiiilll
; %bb.0:
	s_load_dwordx4 s[20:23], s[0:1], 0x5c
	s_abs_i32 s27, s3
	s_ashr_i32 s26, s3, 31
	s_load_dwordx2 s[24:25], s[0:1], 0x50
	s_load_dwordx8 s[4:11], s[0:1], 0x30
	s_load_dwordx8 s[12:19], s[0:1], 0x0
	v_lshrrev_b32_e32 v74, 6, v0
	s_waitcnt lgkmcnt(0)
	s_abs_i32 s30, s21
	v_cvt_f32_u32_e32 v1, s30
	s_sub_i32 s28, 0, s30
	s_ashr_i32 s46, s21, 31
	s_xor_b32 s26, s26, s46
	v_rcp_iflag_f32_e32 v1, v1
	v_bfe_u32 v77, v0, 4, 2
	v_lshlrev_b32_e32 v75, 4, v74
	v_lshlrev_b32_e32 v2, 2, v77
	v_mul_f32_e32 v1, 0x4f7ffffe, v1
	v_cvt_u32_f32_e32 v1, v1
	v_and_b32_e32 v76, 63, v0
	s_mov_b32 s33, s21
	v_and_b32_e32 v78, 15, v0
	v_readfirstlane_b32 s29, v1
	s_mul_i32 s28, s28, s29
	s_mul_hi_u32 s28, s29, s28
	s_add_i32 s29, s29, s28
	s_mul_hi_u32 s28, s27, s29
	s_mul_i32 s29, s28, s30
	s_sub_i32 s27, s27, s29
	s_add_i32 s31, s28, 1
	s_sub_i32 s29, s27, s30
	s_cmp_ge_u32 s27, s30
	s_cselect_b32 s28, s31, s28
	s_cselect_b32 s27, s29, s27
	s_add_i32 s29, s28, 1
	s_cmp_ge_u32 s27, s30
	s_cselect_b32 s27, s29, s28
	s_xor_b32 s27, s27, s26
	s_sub_i32 s34, s27, s26
	s_mul_i32 s26, s34, s21
	s_ashr_i32 s35, s34, 31
	s_sub_i32 s47, s3, s26
	s_lshl_b64 s[26:27], s[34:35], 2
	s_add_u32 s10, s10, s26
	s_addc_u32 s11, s11, s27
	s_add_u32 s28, s24, s26
	s_addc_u32 s29, s25, s27
	s_abs_i32 s3, s22
	v_cvt_f32_u32_e32 v1, s3
	s_load_dwordx2 s[40:41], s[10:11], 0x0
	s_nop 0
	s_load_dwordx2 s[10:11], s[0:1], 0x80
	s_load_dwordx4 s[24:27], s[0:1], 0x70
	s_sub_i32 s1, 0, s3
	v_rcp_iflag_f32_e32 v1, v1
	s_load_dword s52, s[28:29], 0x0
	s_waitcnt lgkmcnt(0)
	s_sub_i32 s56, s41, s40
	s_ashr_i32 s0, s56, 31
	v_mul_f32_e32 v1, 0x4f7ffffe, v1
	v_cvt_u32_f32_e32 v1, v1
	s_lshr_b32 s0, s0, 26
	s_add_i32 s0, s56, s0
	s_ashr_i32 s51, s0, 6
	v_readfirstlane_b32 s31, v1
	s_mul_i32 s1, s1, s31
	s_mul_hi_u32 s1, s31, s1
	s_add_i32 s31, s31, s1
	s_mul_hi_u32 s1, s30, s31
	s_mul_i32 s31, s1, s3
	s_ashr_i32 s0, s22, 31
	s_sub_i32 s30, s30, s31
	s_xor_b32 s0, s46, s0
	s_add_i32 s31, s1, 1
	s_sub_i32 s36, s30, s3
	s_cmp_ge_u32 s30, s3
	s_cselect_b32 s1, s31, s1
	s_cselect_b32 s30, s36, s30
	s_add_i32 s31, s1, 1
	s_cmp_ge_u32 s30, s3
	s_cselect_b32 s1, s31, s1
	s_xor_b32 s1, s1, s0
	s_sub_i32 s1, s1, s0
	s_abs_i32 s3, s1
	v_cvt_f32_u32_e32 v1, s3
	s_sub_i32 s29, 0, s3
	s_abs_i32 s28, s47
	s_xor_b32 s1, s47, s1
	v_rcp_iflag_f32_e32 v1, v1
	s_ashr_i32 s1, s1, 31
	s_mov_b32 s0, 0
	s_mul_hi_i32 s53, s47, s20
	v_mul_f32_e32 v1, 0x4f7ffffe, v1
	v_cvt_u32_f32_e32 v1, v1
	s_mul_i32 s54, s47, s20
	v_lshrrev_b32_e32 v80, 3, v76
	v_lshlrev_b32_e32 v79, 3, v0
	v_readfirstlane_b32 s30, v1
	s_mul_i32 s29, s29, s30
	s_mul_hi_u32 s29, s30, s29
	s_add_i32 s30, s30, s29
	s_mul_hi_u32 s29, s28, s30
	s_mul_i32 s30, s29, s3
	s_sub_i32 s28, s28, s30
	s_add_i32 s30, s29, 1
	s_sub_i32 s31, s28, s3
	s_cmp_ge_u32 s28, s3
	s_cselect_b32 s29, s30, s29
	s_cselect_b32 s28, s31, s28
	s_add_i32 s30, s29, 1
	s_cmp_ge_u32 s28, s3
	s_cselect_b32 s3, s30, s29
	s_xor_b32 s3, s3, s1
	s_sub_i32 s55, s3, s1
	v_or_b32_e32 v1, v2, v75
	s_lshl_b32 s2, s2, 6
	s_mov_b32 s1, s0
	v_or_b32_e32 v81, 64, v1
	s_cmp_lt_i32 s56, 64
	v_mov_b64_e32 v[34:35], s[0:1]
	s_mul_i32 s48, s34, s25
	s_mul_hi_u32 s49, s34, s24
	s_mul_i32 s50, s35, s24
	s_mul_i32 s24, s34, s24
	v_mov_b64_e32 v[36:37], s[0:1]
	v_mov_b64_e32 v[40:41], s[0:1]
	;; [unrolled: 1-line block ×15, first 2 shown]
	s_cbranch_scc1 .LBB53_17
; %bb.1:
	s_ashr_i32 s58, s47, 31
	s_ashr_i32 s1, s40, 31
	s_add_u32 s0, s54, s40
	s_addc_u32 s1, s53, s1
	s_lshl_b64 s[0:1], s[0:1], 8
	v_and_b32_e32 v83, 56, v79
	s_add_u32 s28, s14, s0
	v_lshl_or_b32 v82, v74, 3, v80
	v_lshlrev_b32_e32 v3, 1, v83
	s_addc_u32 s0, s15, s1
	v_lshl_or_b32 v84, v82, 8, v3
	s_and_b32 s29, s0, 0xffff
	s_mov_b32 s31, 0x20000
	s_movk_i32 s30, 0x4000
	s_movk_i32 s0, 0x80
	v_or_b32_e32 v85, 0x2000, v84
	buffer_load_dwordx4 v[4:7], v84, s[28:31], 0 offen
	buffer_load_dwordx4 v[8:11], v84, s[28:31], s0 offen
	;; [unrolled: 1-line block ×4, first 2 shown]
	v_lshlrev_b32_e32 v20, 3, v82
	v_and_or_b32 v22, v0, 7, v20
	v_and_b32_e32 v20, 0x78, v20
	v_lshlrev_b32_e32 v22, 4, v22
	v_xor_b32_e32 v86, v22, v20
	v_mul_lo_u32 v21, v82, s23
	v_or_b32_e32 v87, 0x1000, v86
	s_cmpk_eq_i32 s23, 0x80
	s_mov_b32 s57, s40
	v_xor_b32_e32 v20, 8, v86
	v_xor_b32_e32 v22, 8, v87
	s_cselect_b64 s[0:1], -1, 0
	s_cmpk_lg_i32 s23, 0x80
	s_waitcnt vmcnt(3)
	ds_write_b64 v86, v[4:5] offset:49152
	ds_write_b64 v20, v[6:7] offset:49152
	s_waitcnt vmcnt(2)
	ds_write_b64 v86, v[8:9] offset:57344
	ds_write_b64 v20, v[10:11] offset:57344
	;; [unrolled: 3-line block ×4, first 2 shown]
	v_lshl_add_u32 v4, v21, 1, v83
	s_cbranch_scc0 .LBB53_3
; %bb.2:
	v_lshlrev_b32_e32 v6, 1, v4
	v_add_lshl_u32 v5, v4, s23, 1
	s_lshl_b32 s30, s23, 7
	v_lshl_or_b32 v3, v82, 9, v3
	s_cbranch_execz .LBB53_4
	s_branch .LBB53_5
.LBB53_3:
                                        ; implicit-def: $vgpr5
                                        ; implicit-def: $vgpr6
                                        ; implicit-def: $sgpr30
	v_lshl_or_b32 v3, v82, 9, v3
.LBB53_4:
	v_or_b32_e32 v5, 0x100, v3
	s_movk_i32 s30, 0x4000
	v_mov_b32_e32 v6, v3
.LBB53_5:
	s_mul_i32 s25, s40, s22
	s_ashr_i32 s59, s55, 31
	s_mul_hi_i32 s3, s40, s22
	s_add_u32 s28, s25, s55
	s_addc_u32 s29, s3, s59
	s_lshl_b64 s[28:29], s[28:29], 8
	s_add_u32 s28, s12, s28
	s_addc_u32 s3, s13, s29
	s_and_b32 s29, s3, 0xffff
	s_movk_i32 s60, 0x80
	buffer_load_dwordx4 v[8:11], v6, s[28:31], 0 offen
	buffer_load_dwordx4 v[12:15], v6, s[28:31], s60 offen
	;; [unrolled: 1-line block ×4, first 2 shown]
	v_and_b32_e32 v5, 6, v0
	v_lshlrev_b32_e32 v6, 7, v1
	v_xor_b32_e32 v28, v82, v5
	v_and_b32_e32 v7, 1, v0
	v_lshl_or_b32 v31, v78, 3, v6
	v_lshlrev_b32_e32 v28, 2, v28
	v_lshlrev_b32_e32 v24, 2, v78
	v_or_b32_e32 v88, 0x4000, v31
	v_or_b32_e32 v89, 0x6000, v31
	v_xor_b32_e32 v31, 0x440, v28
	v_cmp_eq_u32_e32 vcc, 0, v7
	v_or_b32_e32 v26, 16, v78
	v_or_b32_e32 v27, 32, v78
	v_xor_b32_e32 v29, v1, v24
	v_xor_b32_e32 v30, v81, v24
	v_cndmask_b32_e32 v7, v31, v28, vcc
	s_add_i32 s3, s49, s48
	s_mov_b32 s61, 0x1000504
	v_lshl_or_b32 v32, v26, 3, v6
	v_lshlrev_b32_e32 v26, 8, v26
	v_lshl_or_b32 v33, v27, 3, v6
	v_lshlrev_b32_e32 v29, 1, v29
	v_lshlrev_b32_e32 v30, 1, v30
	v_lshl_or_b32 v5, v5, 10, v7
	s_add_i32 s25, s3, s50
	s_mul_i32 s3, s47, s27
	s_mul_hi_u32 s28, s47, s26
	s_mov_b32 s62, 0x3020706
	v_lshlrev_b32_e32 v25, 8, v78
	v_or_b32_e32 v92, 0x4000, v33
	v_or_b32_e32 v93, 0x6000, v33
	;; [unrolled: 1-line block ×4, first 2 shown]
	v_xor_b32_e32 v7, 8, v5
	v_xor_b32_e32 v26, 24, v5
	;; [unrolled: 1-line block ×4, first 2 shown]
	s_add_i32 s3, s28, s3
	s_mul_i32 s28, s58, s26
	v_or_b32_e32 v90, 0x4000, v32
	v_or_b32_e32 v91, 0x6000, v32
	;; [unrolled: 1-line block ×4, first 2 shown]
	v_xor_b32_e32 v25, 16, v5
	v_xor_b32_e32 v28, 32, v5
	;; [unrolled: 1-line block ×3, first 2 shown]
	v_add_u32_e32 v7, 0x80, v7
	v_add_u32_e32 v26, 0x80, v26
	;; [unrolled: 1-line block ×4, first 2 shown]
	s_add_i32 s29, s3, s28
	s_lshl_b64 s[36:37], s[24:25], 2
	s_mul_i32 s28, s47, s26
	s_add_u32 s3, s18, s36
	s_addc_u32 s25, s19, s37
	s_lshl_b64 s[28:29], s[28:29], 2
	s_add_u32 s42, s3, s28
	s_movk_i32 s3, 0xf8
	s_addc_u32 s43, s25, s29
	s_lshl_b32 s38, s23, 7
	s_movk_i32 s25, 0x100
	v_mov_b32_e32 v67, 0
	v_lshlrev_b32_e32 v66, 4, v78
	v_cmp_gt_u32_e32 vcc, s25, v0
	v_lshlrev_b32_e32 v27, 8, v27
	s_mov_b32 s63, 0
	s_movk_i32 s30, 0x4000
	v_or_b32_e32 v98, v27, v29
	v_or_b32_e32 v99, v27, v30
	v_add_u32_e32 v128, v75, v2
	s_movk_i32 s25, 0x2000
	s_movk_i32 s64, 0x3000
	v_mov_b32_e32 v62, v67
	v_mov_b32_e32 v63, v67
	;; [unrolled: 1-line block ×6, first 2 shown]
	s_waitcnt vmcnt(1)
	v_perm_b32 v34, v8, v16, s61
	s_waitcnt vmcnt(0)
	v_perm_b32 v35, v12, v20, s61
	v_perm_b32 v8, v8, v16, s62
	;; [unrolled: 1-line block ×15, first 2 shown]
	ds_write2st64_b32 v5, v34, v35 offset0:128 offset1:160
	ds_write2st64_b32 v7, v8, v12 offset0:128 offset1:160
	;; [unrolled: 1-line block ×8, first 2 shown]
	v_or_b32_e32 v5, 48, v78
	v_lshl_or_b32 v7, v5, 3, v6
	v_lshlrev_b32_e32 v5, 8, v5
	v_or_b32_e32 v102, v5, v29
	v_or_b32_e32 v103, v5, v30
	;; [unrolled: 1-line block ×3, first 2 shown]
	v_lshlrev_b32_e32 v5, 3, v5
	v_lshrrev_b32_e32 v9, 5, v76
	v_and_or_b32 v9, v5, s3, v9
	v_lshlrev_b32_e32 v9, 4, v9
	v_or_b32_e32 v100, 0x4000, v7
	v_or_b32_e32 v101, 0x6000, v7
	v_lshlrev_b32_e32 v7, 11, v74
	v_and_b32_e32 v5, 0x78, v5
	v_or_b32_e32 v14, 32, v9
	v_and_b32_e32 v8, 0x1000, v7
	v_xor_b32_e32 v10, v9, v5
	v_lshrrev_b32_e32 v11, 1, v0
	v_xor_b32_e32 v14, v14, v5
	v_or_b32_e32 v10, v10, v8
	v_and_b32_e32 v12, 8, v11
	v_or_b32_e32 v14, v14, v8
	v_xor_b32_e32 v104, v10, v12
	v_lshlrev_b32_e32 v10, 8, v77
	v_xor_b32_e32 v106, v14, v12
	v_or_b32_e32 v14, 64, v9
	v_or_b32_e32 v9, 0x60, v9
	;; [unrolled: 1-line block ×3, first 2 shown]
	v_xor_b32_e32 v14, v14, v5
	v_xor_b32_e32 v5, v9, v5
	s_ashr_i32 s3, s2, 31
	v_lshlrev_b32_e32 v13, 1, v13
	v_or_b32_e32 v14, v14, v8
	v_or_b32_e32 v5, v5, v8
	s_lshl_b64 s[28:29], s[2:3], 8
	v_or_b32_e32 v105, 0x4000, v13
	v_or_b32_e32 v107, 0x4080, v13
	v_or_b32_e32 v108, 0x4100, v13
	v_or_b32_e32 v109, 0x4180, v13
	v_xor_b32_e32 v110, v14, v12
	v_xor_b32_e32 v111, v5, v12
	v_or_b32_e32 v112, 0x6000, v13
	v_or_b32_e32 v113, 0x6080, v13
	;; [unrolled: 1-line block ×4, first 2 shown]
	v_lshlrev_b32_e32 v12, 1, v4
	v_add_lshl_u32 v13, v4, s23, 1
	s_add_u32 s28, s4, s28
	v_lshlrev_b32_e32 v4, 1, v78
	v_lshrrev_b32_e32 v15, 4, v0
	s_addc_u32 s29, s5, s29
	v_or_b32_e32 v5, 1, v4
	v_mov_b32_e32 v19, 0xa000
	v_mov_b32_e32 v20, 0x8000
	v_xor_b32_e32 v16, v15, v4
	v_xor_b32_e32 v17, v5, v15
	v_lshl_add_u64 v[4:5], s[28:29], 0, v[66:67]
	v_lshlrev_b32_e32 v66, 8, v15
	v_cndmask_b32_e32 v19, v19, v20, vcc
	v_lshlrev_b32_e32 v20, 3, v74
	v_and_b32_e32 v11, 24, v11
	v_lshl_or_b32 v116, v16, 3, v66
	v_and_b32_e32 v16, 8, v0
	v_xor_b32_e32 v21, v20, v11
	v_or_b32_e32 v22, 0x440, v21
	v_cmp_eq_u32_e32 vcc, 0, v16
	v_and_b32_e32 v15, 7, v0
	v_lshl_or_b32 v117, v17, 3, v66
	v_cndmask_b32_e32 v16, v22, v21, vcc
	v_lshlrev_b32_e32 v17, 3, v15
	v_lshlrev_b32_e32 v15, 7, v15
	v_or_b32_e32 v16, v16, v7
	v_lshlrev_b32_e32 v18, 2, v0
	v_xad_u32 v118, v16, v17, v15
	v_or_b32_e32 v16, 32, v11
	v_and_or_b32 v10, v18, 60, v10
	v_xor_b32_e32 v16, v20, v16
	v_lshlrev_b32_e32 v10, 1, v10
	v_or_b32_e32 v18, 0x440, v16
	v_or_b32_e32 v119, 0x6000, v10
	v_cndmask_b32_e32 v16, v18, v16, vcc
	v_or_b32_e32 v121, 0x6080, v10
	v_or_b32_e32 v122, 0x6100, v10
	;; [unrolled: 1-line block ×5, first 2 shown]
	v_xor_b32_e32 v10, v20, v10
	v_xad_u32 v120, v16, v17, v15
	v_xor_b32_e32 v16, 0x440, v10
	v_cndmask_b32_e32 v10, v16, v10, vcc
	v_or_b32_e32 v10, v10, v7
	v_xad_u32 v124, v10, v17, v15
	v_or_b32_e32 v10, 0x60, v11
	v_xor_b32_e32 v10, v20, v10
	v_xor_b32_e32 v11, 0x440, v10
	v_or_b32_e32 v8, s2, v78
	v_cndmask_b32_e32 v10, v11, v10, vcc
	v_ashrrev_i32_e32 v9, 31, v8
	v_or_b32_e32 v7, v10, v7
	v_or_b32_e32 v14, 0x100, v3
	v_xad_u32 v125, v7, v17, v15
	v_lshlrev_b64 v[8:9], 1, v[8:9]
	v_cndmask_b32_e64 v126, v12, v3, s[0:1]
	v_cndmask_b32_e64 v127, v13, v14, s[0:1]
	v_lshl_add_u64 v[68:69], s[16:17], 0, v[8:9]
	v_lshl_add_u64 v[70:71], s[6:7], 0, v[8:9]
	v_lshl_add_u64 v[72:73], v[4:5], 0, v[66:67]
	s_mov_b32 s3, 0x7060302
	v_lshlrev_b32_e32 v66, 1, v6
	v_add_u32_e32 v129, v19, v118
	v_add_u32_e32 v130, v19, v120
	;; [unrolled: 1-line block ×4, first 2 shown]
	v_mov_b32_e32 v60, v67
	v_mov_b32_e32 v61, v67
	;; [unrolled: 1-line block ×26, first 2 shown]
	s_waitcnt lgkmcnt(0)
	s_barrier
	s_branch .LBB53_7
.LBB53_6:                               ;   in Loop: Header=BB53_7 Depth=1
	v_exp_f32_e32 v134, s44
	v_accvgpr_read_b32 v5, a3
	v_accvgpr_read_b32 v9, a7
	;; [unrolled: 1-line block ×4, first 2 shown]
	s_waitcnt vmcnt(4)
	v_accvgpr_read_b32 v18, a20
	v_accvgpr_read_b32 v25, a19
	;; [unrolled: 1-line block ×28, first 2 shown]
	s_add_i32 s57, s57, 64
	v_pk_fma_f32 v[62:63], v[134:135], v[62:63], v[2:3] op_sel_hi:[0,1,1]
	v_pk_fma_f32 v[64:65], v[134:135], v[64:65], v[4:5] op_sel_hi:[0,1,1]
	;; [unrolled: 1-line block ×16, first 2 shown]
	s_cmp_eq_u32 s51, s65
	s_mov_b32 s63, s65
	s_cbranch_scc1 .LBB53_17
.LBB53_7:                               ; =>This Inner Loop Header: Depth=1
	s_add_i32 s65, s63, 1
	s_cmp_lt_i32 s65, s51
	s_mov_b64 s[36:37], 0
	s_cselect_b64 s[44:45], -1, 0
	s_cmp_ge_i32 s65, s51
	s_mov_b64 s[28:29], 0
	s_cbranch_scc1 .LBB53_9
; %bb.8:                                ;   in Loop: Header=BB53_7 Depth=1
	s_add_i32 s0, s57, 64
	s_ashr_i32 s1, s0, 31
	s_add_u32 s0, s54, s0
	s_addc_u32 s1, s53, s1
	s_lshl_b64 s[0:1], s[0:1], 8
	s_add_u32 s28, s14, s0
	s_addc_u32 s29, s15, s1
.LBB53_9:                               ;   in Loop: Header=BB53_7 Depth=1
	v_cndmask_b32_e64 v2, 0, 1, s[44:45]
	v_cmp_ne_u32_e64 s[0:1], 1, v2
	s_andn2_b64 vcc, exec, s[44:45]
	s_cbranch_vccnz .LBB53_11
; %bb.10:                               ;   in Loop: Header=BB53_7 Depth=1
	s_add_i32 s36, s57, 64
	s_mul_hi_i32 s37, s36, s22
	s_mul_i32 s36, s36, s22
	s_add_u32 s36, s36, s55
	s_addc_u32 s37, s37, s59
	s_lshl_b64 s[36:37], s[36:37], 8
	s_add_u32 s36, s12, s36
	s_addc_u32 s37, s13, s37
.LBB53_11:                              ;   in Loop: Header=BB53_7 Depth=1
	v_perm_b32 v3, v65, v64, s3
	v_perm_b32 v2, v63, v62, s3
	v_perm_b32 v5, v61, v60, s3
	v_perm_b32 v4, v59, v58, s3
	ds_write_b64 v88, v[2:3]
	ds_write_b64 v89, v[4:5]
	ds_write_b64 v94, v[2:3]
	ds_write_b64 v95, v[4:5]
	v_perm_b32 v3, v57, v56, s3
	v_perm_b32 v2, v55, v54, s3
	v_perm_b32 v5, v53, v52, s3
	v_perm_b32 v4, v51, v50, s3
	ds_write_b64 v90, v[2:3]
	ds_write_b64 v91, v[4:5]
	ds_write_b64 v96, v[2:3]
	ds_write_b64 v97, v[4:5]
	;; [unrolled: 8-line block ×4, first 2 shown]
	s_waitcnt lgkmcnt(0)
	s_barrier
	ds_read_b64 v[6:7], v104 offset:49152
	ds_read2_b64 v[2:5], v105 offset1:16
	ds_read_b64 v[18:19], v107 offset:6144
	ds_read_b64 v[20:21], v105 offset:6144
	s_waitcnt lgkmcnt(2)
	v_mfma_f32_16x16x16_bf16 a[0:3], v[6:7], v[2:3], 0
	ds_read_b64 v[22:23], v106 offset:49152
	ds_read2st64_b64 v[10:13], v108 offset0:4 offset1:8
	ds_read2st64_b64 v[14:17], v109 offset0:4 offset1:8
	v_mfma_f32_16x16x16_bf16 a[4:7], v[6:7], v[4:5], 0
	ds_read2_b64 v[2:5], v105 offset0:32 offset1:48
	s_add_i32 s39, s57, 63
	s_ashr_i32 s44, s39, 31
	s_waitcnt lgkmcnt(0)
	v_mfma_f32_16x16x16_bf16 a[8:11], v[6:7], v[2:3], 0
	s_mul_i32 s45, s39, s11
	s_mul_hi_u32 s66, s39, s10
	s_add_i32 s45, s66, s45
	v_mfma_f32_16x16x16_bf16 a[12:15], v[6:7], v[4:5], 0
	ds_read2st64_b64 v[2:5], v105 offset0:4 offset1:8
	ds_read2st64_b64 v[6:9], v107 offset0:4 offset1:8
	s_mul_i32 s44, s44, s10
	s_waitcnt lgkmcnt(1)
	v_mfma_f32_16x16x16_bf16 a[0:3], v[22:23], v[2:3], a[0:3]
	s_add_i32 s45, s45, s44
	s_mul_i32 s44, s39, s10
	s_lshl_b64 s[44:45], s[44:45], 2
	s_waitcnt lgkmcnt(0)
	v_mfma_f32_16x16x16_bf16 a[4:7], v[22:23], v[6:7], a[4:7]
	s_add_u32 s44, s42, s44
	s_addc_u32 s45, s43, s45
	s_and_b64 vcc, exec, s[0:1]
	v_mfma_f32_16x16x16_bf16 a[8:11], v[22:23], v[10:11], a[8:11]
	ds_read_b64 v[2:3], v110 offset:49152
	ds_read_b64 v[6:7], v111 offset:49152
	;; [unrolled: 1-line block ×3, first 2 shown]
	v_mov_b32_e32 v135, 0
	v_mov_b32_e32 v134, 0
	v_mfma_f32_16x16x16_bf16 a[12:15], v[22:23], v[14:15], a[12:15]
	v_mov_b32_e32 v133, 0
	v_mov_b32_e32 v14, 0
	;; [unrolled: 1-line block ×3, first 2 shown]
	s_waitcnt lgkmcnt(2)
	v_mfma_f32_16x16x16_bf16 a[0:3], v[2:3], v[4:5], a[0:3]
	v_mov_b32_e32 v4, 0
	v_mov_b32_e32 v5, 0
	v_mfma_f32_16x16x16_bf16 a[16:19], v[2:3], v[8:9], a[4:7]
	v_mov_b32_e32 v8, 0
	v_mov_b32_e32 v9, 0
	;; [unrolled: 3-line block ×3, first 2 shown]
	v_mfma_f32_16x16x16_bf16 a[24:27], v[2:3], v[16:17], a[12:15]
	ds_read_b64 v[2:3], v108 offset:6144
	v_mov_b32_e32 v16, 0
	v_mov_b32_e32 v17, 0
	s_waitcnt lgkmcnt(2)
	v_mfma_f32_16x16x16_bf16 a[4:7], v[6:7], v[20:21], a[0:3]
	v_mfma_f32_16x16x16_bf16 a[8:11], v[6:7], v[18:19], a[16:19]
	s_waitcnt lgkmcnt(0)
	v_mfma_f32_16x16x16_bf16 a[12:15], v[6:7], v[2:3], a[20:23]
	v_mov_b32_e32 v2, 0
	v_mov_b32_e32 v3, 0
	v_mfma_f32_16x16x16_bf16 a[0:3], v[6:7], v[10:11], a[24:27]
	v_mov_b32_e32 v6, 0
	v_mov_b32_e32 v7, 0
	;; [unrolled: 1-line block ×4, first 2 shown]
	s_cbranch_vccnz .LBB53_13
; %bb.12:                               ;   in Loop: Header=BB53_7 Depth=1
	s_and_b32 s29, s29, 0xffff
	buffer_load_dwordx4 v[14:17], v84, s[28:31], 0 offen
	buffer_load_dwordx4 v[10:13], v84, s[28:31], s60 offen
	;; [unrolled: 1-line block ×4, first 2 shown]
	v_mov_b32_e32 v134, v86
	v_mov_b32_e32 v133, v87
.LBB53_13:                              ;   in Loop: Header=BB53_7 Depth=1
	ds_read_b64 v[30:31], v104 offset:57344
	ds_read2_b64 v[18:21], v112 offset1:16
	ds_read_b64 v[136:137], v106 offset:57344
	ds_read_b64 v[138:139], v110 offset:57344
	;; [unrolled: 1-line block ×3, first 2 shown]
	v_add_u32_e32 v32, s57, v128
	s_waitcnt lgkmcnt(3)
	v_mfma_f32_16x16x16_bf16 a[4:7], v[30:31], v[18:19], a[4:7]
	v_mfma_f32_16x16x16_bf16 a[8:11], v[30:31], v[20:21], a[8:11]
	ds_read2_b64 v[18:21], v112 offset0:32 offset1:48
	ds_read2st64_b64 v[22:25], v112 offset0:4 offset1:8
	ds_read2st64_b64 v[26:29], v113 offset0:4 offset1:8
	s_waitcnt lgkmcnt(2)
	v_mfma_f32_16x16x16_bf16 a[12:15], v[30:31], v[18:19], a[12:15]
	v_ashrrev_i32_e32 v18, 31, v32
	v_mul_lo_u32 v33, v18, s10
	v_mad_u64_u32 v[18:19], s[28:29], v32, s10, 0
	v_mfma_f32_16x16x16_bf16 a[0:3], v[30:31], v[20:21], a[0:3]
	v_mul_lo_u32 v20, v32, s11
	v_add3_u32 v19, v19, v20, v33
	v_add_u32_e32 v20, 1, v32
	v_ashrrev_i32_e32 v21, 31, v20
	s_waitcnt lgkmcnt(1)
	v_mfma_f32_16x16x16_bf16 a[4:7], v[136:137], v[22:23], a[4:7]
	v_mul_lo_u32 v22, v21, s10
	v_mul_lo_u32 v23, v20, s11
	v_mad_u64_u32 v[20:21], s[28:29], v20, s10, 0
	v_add3_u32 v21, v21, v23, v22
	v_add_u32_e32 v22, 2, v32
	v_ashrrev_i32_e32 v23, 31, v22
	v_mul_lo_u32 v30, v23, s10
	v_mul_lo_u32 v31, v22, s11
	v_mad_u64_u32 v[22:23], s[28:29], v22, s10, 0
	v_add3_u32 v23, v23, v31, v30
	v_add_u32_e32 v30, 3, v32
	v_ashrrev_i32_e32 v31, 31, v30
	v_mul_lo_u32 v32, v31, s10
	v_mul_lo_u32 v33, v30, s11
	v_mad_u64_u32 v[30:31], s[28:29], v30, s10, 0
	s_ashr_i32 s29, s57, 31
	s_add_u32 s28, s54, s57
	s_addc_u32 s29, s53, s29
	v_lshl_add_u64 v[18:19], v[18:19], 2, s[42:43]
	v_add3_u32 v31, v31, v33, v32
	s_lshl_b64 s[28:29], s[28:29], 8
	v_lshl_add_u64 v[20:21], v[20:21], 2, s[42:43]
	v_lshl_add_u64 v[22:23], v[22:23], 2, s[42:43]
	;; [unrolled: 1-line block ×3, first 2 shown]
	global_load_dword v142, v[18:19], off
	global_load_dword v143, v[20:21], off
	;; [unrolled: 1-line block ×4, first 2 shown]
	v_lshl_add_u64 v[18:19], v[68:69], 0, s[28:29]
	v_lshl_add_u64 v[22:23], v[18:19], 0, v[66:67]
	global_load_ushort v146, v[22:23], off offset:256
	global_load_ushort v147, v[22:23], off
	ds_read2st64_b64 v[18:21], v114 offset0:4 offset1:8
	global_load_ushort v148, v[22:23], off offset:768
	global_load_ushort v149, v[22:23], off offset:512
	ds_read2st64_b64 v[30:33], v115 offset0:4 offset1:8
	global_load_ushort v150, v[22:23], off offset:288
	global_load_ushort v151, v[22:23], off offset:32
	;; [unrolled: 1-line block ×4, first 2 shown]
	s_waitcnt lgkmcnt(2)
	v_mfma_f32_16x16x16_bf16 a[8:11], v[136:137], v[26:27], a[8:11]
	global_load_ushort v154, v[22:23], off offset:320
	global_load_ushort v155, v[22:23], off offset:64
	;; [unrolled: 1-line block ×4, first 2 shown]
	s_and_b64 vcc, exec, s[0:1]
	s_waitcnt lgkmcnt(1)
	v_mfma_f32_16x16x16_bf16 a[12:15], v[136:137], v[18:19], a[12:15]
	ds_read_b64 v[18:19], v112 offset:6144
	s_waitcnt lgkmcnt(1)
	v_mfma_f32_16x16x16_bf16 a[0:3], v[136:137], v[30:31], a[0:3]
	v_lshl_add_u64 v[30:31], v[70:71], 0, s[28:29]
	v_lshl_add_u64 v[30:31], v[30:31], 0, v[66:67]
	v_mfma_f32_16x16x16_bf16 a[4:7], v[138:139], v[24:25], a[4:7]
	v_mfma_f32_16x16x16_bf16 a[8:11], v[138:139], v[28:29], a[8:11]
	;; [unrolled: 1-line block ×4, first 2 shown]
	global_load_ushort v138, v[22:23], off offset:352
	global_load_ushort v139, v[22:23], off offset:96
	ds_read_b64 v[20:21], v113 offset:6144
	ds_read_b64 v[24:25], v114 offset:6144
	;; [unrolled: 1-line block ×3, first 2 shown]
	s_load_dword s44, s[44:45], 0x0
	global_load_ushort v158, v[22:23], off offset:864
	global_load_ushort v159, v[22:23], off offset:608
	s_waitcnt lgkmcnt(0)
	v_mfma_f32_16x16x16_bf16 a[4:7], v[140:141], v[18:19], a[4:7]
	s_waitcnt vmcnt(17)
	v_sub_f32_e32 v28, s44, v144
	v_mfma_f32_16x16x16_bf16 a[0:3], v[140:141], v[26:27], a[0:3]
	v_sub_f32_e32 v26, s44, v142
	v_sub_f32_e32 v27, s44, v143
	s_waitcnt vmcnt(16)
	v_sub_f32_e32 v29, s44, v145
	v_mfma_f32_16x16x16_bf16 a[8:11], v[140:141], v[20:21], a[8:11]
	v_exp_f32_e32 v26, v26
	v_exp_f32_e32 v27, v27
	v_exp_f32_e32 v28, v28
	v_exp_f32_e32 v29, v29
	v_accvgpr_read_b32 v137, a5
	s_waitcnt vmcnt(15)
	v_lshlrev_b32_e32 v33, 16, v146
	s_waitcnt vmcnt(14)
	v_lshlrev_b32_e32 v32, 16, v147
	v_accvgpr_read_b32 v136, a4
	v_accvgpr_read_b32 v19, a7
	v_accvgpr_read_b32 v18, a6
	v_pk_add_f32 v[32:33], v[32:33], v[136:137] neg_lo:[0,1] neg_hi:[0,1]
	s_waitcnt vmcnt(13)
	v_lshlrev_b32_e32 v137, 16, v148
	s_waitcnt vmcnt(12)
	v_lshlrev_b32_e32 v136, 16, v149
	v_pk_add_f32 v[18:19], v[136:137], v[18:19] neg_lo:[0,1] neg_hi:[0,1]
	global_store_short_d16_hi v[30:31], v32, off
	global_store_short_d16_hi v[30:31], v33, off offset:256
	global_store_short_d16_hi v[30:31], v18, off offset:512
	global_store_short_d16_hi v[30:31], v19, off offset:768
	v_pk_mul_f32 v[32:33], v[26:27], v[32:33]
	v_pk_mul_f32 v[18:19], v[28:29], v[18:19]
	v_accvgpr_read_b32 v137, a9
	v_perm_b32 v32, v33, v32, s3
	v_perm_b32 v33, v19, v18, s3
	s_waitcnt vmcnt(15)
	v_lshlrev_b32_e32 v19, 16, v150
	s_waitcnt vmcnt(14)
	v_lshlrev_b32_e32 v18, 16, v151
	v_accvgpr_read_b32 v136, a8
	v_accvgpr_read_b32 v21, a11
	v_mfma_f32_16x16x16_bf16 a[12:15], v[140:141], v[24:25], a[12:15]
	v_accvgpr_read_b32 v20, a10
	v_pk_add_f32 v[18:19], v[18:19], v[136:137] neg_lo:[0,1] neg_hi:[0,1]
	s_waitcnt vmcnt(13)
	v_lshlrev_b32_e32 v137, 16, v152
	s_waitcnt vmcnt(12)
	v_lshlrev_b32_e32 v136, 16, v153
	v_pk_add_f32 v[20:21], v[136:137], v[20:21] neg_lo:[0,1] neg_hi:[0,1]
	global_store_short_d16_hi v[30:31], v18, off offset:32
	global_store_short_d16_hi v[30:31], v19, off offset:288
	;; [unrolled: 1-line block ×4, first 2 shown]
	v_pk_mul_f32 v[18:19], v[26:27], v[18:19]
	v_pk_mul_f32 v[20:21], v[28:29], v[20:21]
	v_accvgpr_read_b32 v23, a15
	v_perm_b32 v21, v21, v20, s3
	v_perm_b32 v20, v19, v18, s3
	ds_write2_b64 v89, v[32:33], v[20:21] offset1:16
	v_accvgpr_read_b32 v21, a13
	s_waitcnt vmcnt(15)
	v_lshlrev_b32_e32 v19, 16, v154
	s_waitcnt vmcnt(14)
	v_lshlrev_b32_e32 v18, 16, v155
	v_accvgpr_read_b32 v20, a12
	v_accvgpr_read_b32 v22, a14
	v_pk_add_f32 v[18:19], v[18:19], v[20:21] neg_lo:[0,1] neg_hi:[0,1]
	s_waitcnt vmcnt(13)
	v_lshlrev_b32_e32 v21, 16, v156
	s_waitcnt vmcnt(12)
	v_lshlrev_b32_e32 v20, 16, v157
	v_pk_add_f32 v[20:21], v[20:21], v[22:23] neg_lo:[0,1] neg_hi:[0,1]
	global_store_short_d16_hi v[30:31], v18, off offset:64
	global_store_short_d16_hi v[30:31], v19, off offset:320
	;; [unrolled: 1-line block ×4, first 2 shown]
	v_pk_mul_f32 v[18:19], v[26:27], v[18:19]
	v_pk_mul_f32 v[20:21], v[28:29], v[20:21]
	v_accvgpr_read_b32 v23, a1
	v_perm_b32 v18, v19, v18, s3
	v_perm_b32 v19, v21, v20, s3
	s_waitcnt vmcnt(15)
	v_lshlrev_b32_e32 v21, 16, v138
	s_waitcnt vmcnt(14)
	v_lshlrev_b32_e32 v20, 16, v139
	v_accvgpr_read_b32 v22, a0
	v_accvgpr_read_b32 v25, a3
	;; [unrolled: 1-line block ×3, first 2 shown]
	v_pk_add_f32 v[20:21], v[20:21], v[22:23] neg_lo:[0,1] neg_hi:[0,1]
	s_waitcnt vmcnt(13)
	v_lshlrev_b32_e32 v23, 16, v158
	s_waitcnt vmcnt(12)
	v_lshlrev_b32_e32 v22, 16, v159
	v_pk_add_f32 v[22:23], v[22:23], v[24:25] neg_lo:[0,1] neg_hi:[0,1]
	global_store_short_d16_hi v[30:31], v20, off offset:96
	global_store_short_d16_hi v[30:31], v21, off offset:352
	;; [unrolled: 1-line block ×4, first 2 shown]
	v_pk_mul_f32 v[20:21], v[26:27], v[20:21]
	v_pk_mul_f32 v[22:23], v[28:29], v[22:23]
	v_mov_b32_e32 v136, 0
	v_perm_b32 v23, v23, v22, s3
	v_perm_b32 v22, v21, v20, s3
	ds_write2_b64 v89, v[18:19], v[22:23] offset0:32 offset1:48
	v_mov_b32_e32 v18, 0
	v_mov_b32_e32 v19, 0
	;; [unrolled: 1-line block ×16, first 2 shown]
	s_cbranch_vccnz .LBB53_15
; %bb.14:                               ;   in Loop: Header=BB53_7 Depth=1
	s_and_b32 s37, s37, 0xffff
	s_mov_b32 s39, s31
	buffer_load_dwordx4 v[30:33], v126, s[36:39], 0 offen
	buffer_load_dwordx4 v[22:25], v126, s[36:39], s60 offen
	;; [unrolled: 1-line block ×4, first 2 shown]
	v_mov_b32_e32 v135, v83
	v_mov_b32_e32 v136, v82
.LBB53_15:                              ;   in Loop: Header=BB53_7 Depth=1
	s_waitcnt lgkmcnt(0)
	s_barrier
	ds_read_b64 v[146:147], v129
	ds_read2_b64 v[138:141], v119 offset1:16
	ds_read_b64 v[162:163], v130
	ds_read_b64 v[164:165], v131
	;; [unrolled: 1-line block ×3, first 2 shown]
	ds_read2_b64 v[142:145], v119 offset0:32 offset1:48
	s_waitcnt lgkmcnt(4)
	v_mfma_f32_16x16x16_bf16 a[0:3], v[146:147], v[138:139], 0
	ds_read2st64_b64 v[150:153], v121 offset0:4 offset1:8
	ds_read2st64_b64 v[154:157], v122 offset0:4 offset1:8
	;; [unrolled: 1-line block ×3, first 2 shown]
	v_mfma_f32_16x16x16_bf16 a[4:7], v[146:147], v[140:141], 0
	s_add_i32 s28, s52, s63
	s_mul_hi_i32 s29, s28, s33
	s_mul_i32 s28, s28, s33
	s_waitcnt lgkmcnt(3)
	v_mfma_f32_16x16x16_bf16 a[8:11], v[146:147], v[142:143], 0
	s_add_u32 s28, s28, s47
	s_addc_u32 s29, s29, s58
	s_lshl_b64 s[28:29], s[28:29], 15
	v_mfma_f32_16x16x16_bf16 a[12:15], v[146:147], v[144:145], 0
	ds_read2st64_b64 v[146:149], v119 offset0:4 offset1:8
	s_waitcnt lgkmcnt(0)
	v_mfma_f32_16x16x16_bf16 a[0:3], v[162:163], v[146:147], a[0:3]
	v_mfma_f32_16x16x16_bf16 a[4:7], v[162:163], v[150:151], a[4:7]
	;; [unrolled: 1-line block ×8, first 2 shown]
	ds_read_b64 v[162:163], v119 offset:6144
	ds_read_b64 v[164:165], v120 offset:40960
	;; [unrolled: 1-line block ×8, first 2 shown]
	s_waitcnt lgkmcnt(5)
	v_mfma_f32_16x16x16_bf16 a[16:19], v[168:169], v[138:139], 0
	v_mfma_f32_16x16x16_bf16 a[20:23], v[168:169], v[140:141], 0
	ds_read2st64_b64 v[138:141], v116 offset1:8
	v_mfma_f32_16x16x16_bf16 a[24:27], v[168:169], v[142:143], 0
	v_mfma_f32_16x16x16_bf16 a[28:31], v[168:169], v[144:145], 0
	ds_read2st64_b64 v[142:145], v117 offset1:8
	v_mfma_f32_16x16x16_bf16 a[16:19], v[164:165], v[146:147], a[16:19]
	s_waitcnt lgkmcnt(1)
	v_mov_b32_e32 v146, v138
	v_mov_b32_e32 v147, v139
	v_mfma_f32_16x16x16_bf16 a[20:23], v[164:165], v[150:151], a[20:23]
	v_lshl_add_u64 v[150:151], v[72:73], 0, s[28:29]
	v_mfma_f32_16x16x16_bf16 a[24:27], v[164:165], v[154:155], a[24:27]
	v_mfma_f32_16x16x16_bf16 a[28:31], v[164:165], v[158:159], a[28:31]
	;; [unrolled: 1-line block ×3, first 2 shown]
	s_waitcnt lgkmcnt(0)
	v_mov_b32_e32 v148, v142
	v_mov_b32_e32 v149, v143
	;; [unrolled: 1-line block ×3, first 2 shown]
	v_mfma_f32_16x16x16_bf16 a[32:35], v[176:177], v[152:153], a[20:23]
	v_mov_b32_e32 v143, v141
	ds_read2st64_b64 v[138:141], v116 offset0:16 offset1:24
	global_store_dwordx4 v[150:151], v[146:149], off
	v_mfma_f32_16x16x16_bf16 a[24:27], v[176:177], v[156:157], a[24:27]
	ds_read2st64_b64 v[146:149], v117 offset0:16 offset1:24
	v_add_co_u32_e32 v152, vcc, s25, v150
	v_mfma_f32_16x16x16_bf16 a[28:31], v[176:177], v[160:161], a[28:31]
	s_nop 0
	v_addc_co_u32_e32 v153, vcc, 0, v151, vcc
	global_store_dwordx4 v[152:153], v[142:145], off offset:-4096
	v_mfma_f32_16x16x16_bf16 a[0:3], v[166:167], v[162:163], a[0:3]
	s_waitcnt lgkmcnt(1)
	v_mov_b32_e32 v142, v138
	v_add_co_u32_e32 v138, vcc, s64, v150
	v_mfma_f32_16x16x16_bf16 a[4:7], v[166:167], v[170:171], a[4:7]
	v_mov_b32_e32 v143, v139
	v_addc_co_u32_e32 v139, vcc, 0, v151, vcc
	v_mfma_f32_16x16x16_bf16 a[8:11], v[166:167], v[172:173], a[8:11]
	s_waitcnt lgkmcnt(0)
	v_mov_b32_e32 v144, v146
	v_mov_b32_e32 v145, v147
	;; [unrolled: 1-line block ×3, first 2 shown]
	v_mfma_f32_16x16x16_bf16 a[12:15], v[166:167], v[174:175], a[12:15]
	v_mov_b32_e32 v147, v141
	s_and_b64 vcc, exec, s[0:1]
	global_store_dwordx4 v[152:153], v[142:145], off
	v_mfma_f32_16x16x16_bf16 a[20:23], v[178:179], v[162:163], a[16:19]
	global_store_dwordx4 v[138:139], v[146:149], off
	v_mfma_f32_16x16x16_bf16 a[16:19], v[178:179], v[170:171], a[32:35]
	v_mfma_f32_16x16x16_bf16 a[24:27], v[178:179], v[172:173], a[24:27]
	;; [unrolled: 1-line block ×3, first 2 shown]
	s_cbranch_vccnz .LBB53_6
; %bb.16:                               ;   in Loop: Header=BB53_7 Depth=1
	v_lshrrev_b32_e32 v137, 3, v135
	v_and_b32_e32 v137, 6, v137
	v_xor_b32_e32 v136, v137, v136
	v_lshlrev_b32_e32 v136, 2, v136
	v_and_b32_e32 v135, 8, v135
	v_xor_b32_e32 v138, 0x440, v136
	v_cmp_eq_u32_e32 vcc, 0, v135
	s_barrier
	s_nop 0
	v_cndmask_b32_e32 v135, v138, v136, vcc
	v_lshl_or_b32 v135, v137, 10, v135
	s_waitcnt vmcnt(5)
	v_perm_b32 v136, v30, v26, s61
	s_waitcnt vmcnt(4)
	v_perm_b32 v137, v22, v18, s61
	ds_write2st64_b32 v135, v136, v137 offset0:128 offset1:160
	v_xor_b32_e32 v136, 8, v135
	v_perm_b32 v26, v30, v26, s62
	v_perm_b32 v18, v22, v18, s62
	v_add_u32_e32 v22, 0x80, v136
	ds_write2st64_b32 v22, v26, v18 offset0:128 offset1:160
	v_xor_b32_e32 v18, 16, v135
	v_perm_b32 v22, v31, v27, s61
	v_perm_b32 v26, v23, v19, s61
	ds_write2st64_b32 v18, v22, v26 offset0:129 offset1:161
	v_xor_b32_e32 v18, 24, v135
	v_perm_b32 v22, v31, v27, s62
	v_perm_b32 v19, v23, v19, s62
	v_add_u32_e32 v18, 0x80, v18
	ds_write2st64_b32 v18, v22, v19 offset0:129 offset1:161
	v_xor_b32_e32 v18, 32, v135
	v_perm_b32 v19, v32, v28, s61
	;; [unrolled: 9-line block ×3, first 2 shown]
	v_perm_b32 v20, v25, v21, s61
	ds_write2st64_b32 v18, v19, v20 offset0:131 offset1:163
	v_xor_b32_e32 v18, 56, v135
	v_perm_b32 v19, v33, v29, s62
	v_perm_b32 v20, v25, v21, s62
	v_add_u32_e32 v18, 0x80, v18
	ds_write2st64_b32 v18, v19, v20 offset0:131 offset1:163
	ds_write_b64 v134, v[14:15] offset:49152
	v_xor_b32_e32 v14, 8, v134
	ds_write_b64 v14, v[16:17] offset:49152
	ds_write_b64 v134, v[10:11] offset:57344
	;; [unrolled: 1-line block ×4, first 2 shown]
	v_xor_b32_e32 v6, 8, v133
	ds_write_b64 v6, v[8:9] offset:49152
	ds_write_b64 v133, v[2:3] offset:57344
	;; [unrolled: 1-line block ×3, first 2 shown]
	s_branch .LBB53_6
.LBB53_17:
	s_lshl_b32 s3, s51, 6
	s_sub_i32 s56, s56, s3
	s_cmp_gt_i32 s56, 0
	v_or_b32_e32 v18, s2, v78
	s_cbranch_scc1 .LBB53_19
; %bb.18:
	s_ashr_i32 s37, s47, 31
	v_or_b32_e32 v2, s2, v78
	s_cbranch_execz .LBB53_20
	s_branch .LBB53_100
.LBB53_19:
                                        ; implicit-def: $vgpr2
                                        ; implicit-def: $sgpr36_sgpr37
.LBB53_20:
	s_add_i32 s36, s3, s40
	s_ashr_i32 s3, s36, 31
	s_cmpk_lg_i32 s23, 0x80
	s_cselect_b64 s[42:43], -1, 0
	s_and_b64 vcc, exec, s[42:43]
	s_cbranch_vccz .LBB53_22
; %bb.21:
	s_mul_hi_i32 s0, s36, s22
	s_mul_i32 s1, s36, s22
	s_ashr_i32 s22, s55, 31
	s_add_u32 s44, s1, s55
	s_addc_u32 s45, s0, s22
	s_cbranch_execz .LBB53_23
	s_branch .LBB53_24
.LBB53_22:
                                        ; implicit-def: $sgpr44_sgpr45
.LBB53_23:
	s_mul_i32 s1, s55, s20
	s_mul_hi_i32 s0, s55, s20
	s_add_u32 s44, s1, s36
	s_addc_u32 s45, s0, s3
.LBB53_24:
	s_add_i32 s20, s51, s52
	s_ashr_i32 s37, s47, 31
	s_add_u32 s0, s54, s36
	v_lshlrev_b32_e32 v6, 6, v1
	v_lshlrev_b32_e32 v26, 2, v78
	s_addc_u32 s1, s53, s3
	s_mov_b32 s3, 0x7060302
	v_or_b32_e32 v9, v6, v26
	v_xor_b32_e32 v7, v1, v26
	v_perm_b32 v3, v65, v64, s3
	v_perm_b32 v2, v63, v62, s3
	;; [unrolled: 1-line block ×4, first 2 shown]
	v_lshlrev_b32_e32 v9, 1, v9
	v_xor_b32_e32 v8, v81, v26
	ds_write2st64_b64 v9, v[2:3], v[4:5] offset0:32 offset1:48
	v_lshlrev_b32_e32 v7, 1, v7
	v_lshlrev_b32_e32 v9, 8, v78
	v_or_b32_e32 v10, v7, v9
	v_lshlrev_b32_e32 v8, 1, v8
	ds_write_b64 v10, v[2:3]
	v_or_b32_e32 v2, v8, v9
	v_or_b32_e32 v9, 16, v78
	v_lshlrev_b32_e32 v25, 2, v9
	v_or_b32_e32 v10, v6, v25
	ds_write_b64 v2, v[4:5]
	v_perm_b32 v3, v57, v56, s3
	v_perm_b32 v2, v55, v54, s3
	;; [unrolled: 1-line block ×4, first 2 shown]
	v_lshlrev_b32_e32 v10, 1, v10
	v_lshlrev_b32_e32 v9, 8, v9
	ds_write2st64_b64 v10, v[2:3], v[4:5] offset0:32 offset1:48
	v_or_b32_e32 v10, v7, v9
	ds_write_b64 v10, v[2:3]
	v_or_b32_e32 v2, v8, v9
	v_or_b32_e32 v9, 32, v78
	v_lshlrev_b32_e32 v24, 2, v9
	v_or_b32_e32 v10, v6, v24
	ds_write_b64 v2, v[4:5]
	v_perm_b32 v3, v49, v48, s3
	v_perm_b32 v2, v47, v46, s3
	;; [unrolled: 1-line block ×4, first 2 shown]
	v_lshlrev_b32_e32 v10, 1, v10
	v_lshlrev_b32_e32 v9, 8, v9
	s_lshl_b64 s[38:39], s[0:1], 8
	ds_write2st64_b64 v10, v[2:3], v[4:5] offset0:32 offset1:48
	v_or_b32_e32 v10, v7, v9
	s_add_u32 s0, s14, s38
	ds_write_b64 v10, v[2:3]
	v_or_b32_e32 v2, v8, v9
	s_addc_u32 s1, s15, s39
	ds_write_b64 v2, v[4:5]
	v_perm_b32 v3, v41, v40, s3
	v_perm_b32 v2, v39, v38, s3
	;; [unrolled: 1-line block ×4, first 2 shown]
	v_or_b32_e32 v9, 48, v78
	s_mul_hi_i32 s3, s20, s21
	s_mul_i32 s20, s20, s21
	v_lshlrev_b32_e32 v21, 2, v9
	s_add_u32 s14, s20, s47
	v_or_b32_e32 v6, v6, v21
	s_addc_u32 s15, s3, s37
	v_lshlrev_b32_e32 v6, 1, v6
	s_ashr_i32 s3, s2, 31
	s_lshl_b64 s[14:15], s[14:15], 15
	ds_write2st64_b64 v6, v[2:3], v[4:5] offset0:32 offset1:48
	v_lshlrev_b32_e32 v6, 8, v9
	s_add_u32 s4, s4, s14
	v_or_b32_e32 v7, v7, v6
	s_addc_u32 s5, s5, s15
	s_lshl_b64 s[2:3], s[2:3], 8
	ds_write_b64 v7, v[2:3]
	v_or_b32_e32 v2, v8, v6
	s_add_u32 s2, s4, s2
	v_lshlrev_b32_e32 v3, 1, v78
	ds_write_b64 v2, v[4:5]
	v_lshrrev_b32_e32 v2, 4, v0
	s_addc_u32 s3, s5, s3
	v_or_b32_e32 v4, 1, v3
	v_lshlrev_b32_e32 v10, 4, v78
	v_mov_b32_e32 v11, 0
	v_xor_b32_e32 v3, v2, v3
	v_xor_b32_e32 v6, v4, v2
	v_lshl_add_u64 v[12:13], s[2:3], 0, v[10:11]
	v_lshlrev_b32_e32 v10, 8, v2
	v_lshl_or_b32 v16, v3, 3, v10
	v_lshl_or_b32 v17, v6, 3, v10
	s_waitcnt lgkmcnt(0)
	s_barrier
	ds_read2st64_b64 v[2:5], v16 offset1:8
	ds_read2st64_b64 v[6:9], v17 offset1:8
	v_lshl_add_u64 v[14:15], v[12:13], 0, v[10:11]
	s_movk_i32 s2, 0x2000
	s_cmp_lg_u32 s56, 64
	s_waitcnt lgkmcnt(1)
	v_mov_b32_e32 v10, v2
	v_mov_b32_e32 v11, v3
	s_waitcnt lgkmcnt(0)
	v_mov_b32_e32 v12, v6
	v_mov_b32_e32 v13, v7
	global_store_dwordx4 v[14:15], v[10:13], off
	v_mov_b32_e32 v6, v4
	v_mov_b32_e32 v7, v5
	ds_read2st64_b64 v[2:5], v16 offset0:16 offset1:24
	ds_read2st64_b64 v[10:13], v17 offset0:16 offset1:24
	v_add_co_u32_e32 v16, vcc, s2, v14
	s_cselect_b64 s[4:5], -1, 0
	s_nop 0
	v_addc_co_u32_e32 v17, vcc, 0, v15, vcc
	global_store_dwordx4 v[16:17], v[6:9], off offset:-4096
	v_lshl_or_b32 v19, v74, 3, v80
	s_mov_b32 s28, 0
	s_waitcnt lgkmcnt(1)
	v_mov_b32_e32 v6, v2
	v_add_co_u32_e32 v2, vcc, 0x3000, v14
	v_mov_b32_e32 v7, v3
	s_nop 0
	v_addc_co_u32_e32 v3, vcc, 0, v15, vcc
	s_waitcnt lgkmcnt(0)
	v_mov_b32_e32 v8, v10
	v_mov_b32_e32 v9, v11
	;; [unrolled: 1-line block ×4, first 2 shown]
	v_or_b32_e32 v22, 32, v19
	v_and_b32_e32 v20, 56, v79
	s_and_b64 vcc, exec, s[4:5]
	global_store_dwordx4 v[16:17], v[6:9], off
	global_store_dwordx4 v[2:3], v[10:13], off
	s_cbranch_vccz .LBB53_30
; %bb.25:
	s_mov_b32 s29, s28
	s_mov_b32 s30, s28
	;; [unrolled: 1-line block ×3, first 2 shown]
	v_mov_b64_e32 v[6:7], s[28:29]
	v_mov_b64_e32 v[8:9], s[30:31]
	;; [unrolled: 1-line block ×3, first 2 shown]
	v_cmp_gt_i32_e32 vcc, s56, v19
	v_mov_b64_e32 v[4:5], v[8:9]
	s_and_saveexec_b64 s[2:3], vcc
	s_cbranch_execz .LBB53_27
; %bb.26:
	v_lshlrev_b32_e32 v2, 8, v19
	v_mov_b32_e32 v3, 0
	v_lshl_add_u64 v[4:5], s[0:1], 0, v[2:3]
	v_lshlrev_b32_e32 v2, 1, v20
	v_lshl_add_u64 v[10:11], v[4:5], 0, v[2:3]
	global_load_dwordx4 v[6:9], v[10:11], off
	global_load_dwordx4 v[2:5], v[10:11], off offset:128
.LBB53_27:
	s_or_b64 exec, exec, s[2:3]
	s_mov_b32 s29, s28
	s_mov_b32 s30, s28
	;; [unrolled: 1-line block ×3, first 2 shown]
	v_mov_b64_e32 v[14:15], s[28:29]
	v_mov_b64_e32 v[16:17], s[30:31]
	;; [unrolled: 1-line block ×3, first 2 shown]
	v_cmp_gt_i32_e32 vcc, s56, v22
	v_lshlrev_b32_e32 v23, 7, v22
	v_mov_b64_e32 v[12:13], v[16:17]
	s_and_saveexec_b64 s[2:3], vcc
	s_cbranch_execz .LBB53_29
; %bb.28:
	v_lshlrev_b32_e32 v10, 1, v23
	v_mov_b32_e32 v11, 0
	v_lshl_add_u64 v[12:13], s[0:1], 0, v[10:11]
	v_lshlrev_b32_e32 v10, 1, v20
	v_lshl_add_u64 v[28:29], v[12:13], 0, v[10:11]
	global_load_dwordx4 v[14:17], v[28:29], off
	global_load_dwordx4 v[10:13], v[28:29], off offset:128
.LBB53_29:
	s_or_b64 exec, exec, s[2:3]
	v_lshrrev_b32_e32 v27, 3, v20
	v_lshlrev_b32_e32 v28, 3, v19
	v_or_b32_e32 v27, v28, v27
	v_lshlrev_b32_e32 v27, 4, v27
	v_and_b32_e32 v28, 0x78, v28
	v_xor_b32_e32 v27, v27, v28
	s_branch .LBB53_32
.LBB53_30:
                                        ; implicit-def: $vgpr27
                                        ; implicit-def: $vgpr23
                                        ; implicit-def: $vgpr6_vgpr7_vgpr8_vgpr9
                                        ; implicit-def: $vgpr2_vgpr3_vgpr4_vgpr5
                                        ; implicit-def: $vgpr14_vgpr15_vgpr16_vgpr17
                                        ; implicit-def: $vgpr10_vgpr11_vgpr12_vgpr13
	s_cbranch_execz .LBB53_32
; %bb.31:
	s_waitcnt vmcnt(0)
	v_lshlrev_b32_e32 v2, 1, v20
	v_lshl_or_b32 v23, v19, 8, v2
	s_and_b32 s1, s1, 0xffff
	s_mov_b32 s3, 0x20000
	s_movk_i32 s2, 0x4000
	v_lshl_or_b32 v27, v22, 8, v2
	s_movk_i32 s14, 0x80
	buffer_load_dwordx4 v[6:9], v23, s[0:3], 0 offen
	buffer_load_dwordx4 v[2:5], v23, s[0:3], s14 offen
	;; [unrolled: 1-line block ×4, first 2 shown]
	v_lshrrev_b32_e32 v23, 3, v20
	v_lshlrev_b32_e32 v27, 3, v19
	v_or_b32_e32 v23, v27, v23
	v_lshlrev_b32_e32 v23, 4, v23
	v_and_b32_e32 v27, 0x78, v27
	v_xor_b32_e32 v27, v23, v27
	v_lshlrev_b32_e32 v23, 7, v22
.LBB53_32:
	s_movk_i32 s0, 0x1000
	v_and_or_b32 v22, v23, s0, v27
	s_waitcnt vmcnt(1)
	ds_write_b64 v27, v[6:7] offset:49152
	v_xor_b32_e32 v6, 8, v27
	ds_write_b64 v6, v[8:9] offset:49152
	s_waitcnt vmcnt(0)
	ds_write_b64 v27, v[2:3] offset:57344
	ds_write_b64 v6, v[4:5] offset:57344
	;; [unrolled: 1-line block ×3, first 2 shown]
	v_xor_b32_e32 v2, 8, v22
	ds_write_b64 v2, v[16:17] offset:49152
	ds_write_b64 v22, v[10:11] offset:57344
	;; [unrolled: 1-line block ×3, first 2 shown]
	v_or_b32_e32 v2, v75, v78
	v_lshlrev_b32_e32 v2, 3, v2
	v_lshrrev_b32_e32 v3, 5, v76
	s_movk_i32 s0, 0xf8
	v_and_or_b32 v3, v2, s0, v3
	v_lshlrev_b32_e32 v7, 4, v3
	v_lshlrev_b32_e32 v27, 11, v74
	v_and_b32_e32 v8, 0x78, v2
	v_or_b32_e32 v10, 32, v7
	v_and_b32_e32 v6, 0x1000, v27
	v_lshrrev_b32_e32 v3, 1, v76
	v_xor_b32_e32 v10, v10, v8
	v_xor_b32_e32 v2, v7, v8
	v_and_b32_e32 v9, 8, v3
	v_or_b32_e32 v10, v10, v6
	v_or_b32_e32 v2, v2, v6
	v_xor_b32_e32 v33, v10, v9
	v_or_b32_e32 v10, 64, v7
	v_xor_b32_e32 v32, v2, v9
	v_xor_b32_e32 v10, v10, v8
	s_waitcnt lgkmcnt(0)
	s_barrier
	v_or_b32_e32 v13, v10, v6
	ds_read_b64 v[10:11], v32 offset:49152
	v_lshl_or_b32 v14, v77, 8, v26
	v_lshlrev_b32_e32 v28, 1, v14
	v_add_u32_e32 v12, 0x4000, v28
	ds_read2_b64 v[2:5], v12 offset1:16
	v_or_b32_e32 v7, 0x60, v7
	v_xor_b32_e32 v7, v7, v8
	v_or_b32_e32 v6, v7, v6
	v_xor_b32_e32 v66, v13, v9
	v_xor_b32_e32 v67, v6, v9
	ds_read_b64 v[22:23], v33 offset:49152
	ds_read_b64 v[68:69], v66 offset:49152
	;; [unrolled: 1-line block ×3, first 2 shown]
	s_waitcnt lgkmcnt(3)
	v_mfma_f32_16x16x16_bf16 a[0:3], v[10:11], v[2:3], 0
	ds_read2_b64 v[6:9], v12 offset0:32 offset1:48
	s_lshl_b64 s[0:1], s[44:45], 8
	s_add_u32 s12, s12, s0
	v_mfma_f32_16x16x16_bf16 a[4:7], v[10:11], v[4:5], 0
	ds_read2st64_b64 v[2:5], v28 offset0:36 offset1:40
	s_addc_u32 s13, s13, s1
	s_add_i32 s2, s41, -1
	s_waitcnt lgkmcnt(1)
	v_mfma_f32_16x16x16_bf16 a[8:11], v[10:11], v[6:7], 0
	v_or_b32_e32 v6, 64, v14
	v_lshlrev_b32_e32 v29, 1, v6
	s_add_i32 s0, s49, s48
	s_waitcnt lgkmcnt(0)
	v_mfma_f32_16x16x16_bf16 a[0:3], v[22:23], v[2:3], a[0:3]
	v_or_b32_e32 v2, 0x80, v14
	v_lshlrev_b32_e32 v30, 1, v2
	v_or_b32_e32 v2, 0xc0, v14
	v_mfma_f32_16x16x16_bf16 a[12:15], v[10:11], v[8:9], 0
	ds_read2st64_b64 v[6:9], v29 offset0:36 offset1:40
	v_lshlrev_b32_e32 v31, 1, v2
	ds_read2st64_b64 v[10:13], v30 offset0:36 offset1:40
	ds_read2st64_b64 v[14:17], v31 offset0:36 offset1:40
	s_add_i32 s25, s0, s50
	s_mul_i32 s0, s47, s27
	s_mul_hi_u32 s1, s47, s26
	s_ashr_i32 s3, s2, 31
	s_mul_i32 s14, s2, s11
	s_mul_hi_u32 s15, s2, s10
	s_waitcnt lgkmcnt(2)
	v_mfma_f32_16x16x16_bf16 a[4:7], v[22:23], v[6:7], a[4:7]
	s_add_i32 s0, s1, s0
	s_mul_i32 s1, s37, s26
	s_add_i32 s14, s15, s14
	s_mul_i32 s3, s3, s10
	s_waitcnt lgkmcnt(1)
	v_mfma_f32_16x16x16_bf16 a[8:11], v[22:23], v[10:11], a[8:11]
	s_add_i32 s1, s0, s1
	s_add_i32 s3, s14, s3
	s_lshl_b64 s[14:15], s[24:25], 2
	s_waitcnt lgkmcnt(0)
	v_mfma_f32_16x16x16_bf16 a[12:15], v[22:23], v[14:15], a[12:15]
	s_mul_i32 s0, s47, s26
	s_add_u32 s14, s18, s14
	s_addc_u32 s15, s19, s15
	s_lshl_b64 s[0:1], s[0:1], 2
	v_mfma_f32_16x16x16_bf16 a[0:3], v[68:69], v[4:5], a[0:3]
	s_mul_i32 s2, s2, s10
	ds_read_b64 v[2:3], v28 offset:22528
	s_add_u32 s18, s14, s0
	v_mfma_f32_16x16x16_bf16 a[4:7], v[68:69], v[8:9], a[4:7]
	ds_read_b64 v[4:5], v29 offset:22528
	ds_read_b64 v[6:7], v30 offset:22528
	;; [unrolled: 1-line block ×3, first 2 shown]
	s_addc_u32 s19, s15, s1
	s_lshl_b64 s[0:1], s[2:3], 2
	v_mfma_f32_16x16x16_bf16 a[8:11], v[68:69], v[12:13], a[8:11]
	s_add_u32 s0, s18, s0
	s_addc_u32 s1, s19, s1
	s_load_dword s20, s[0:1], 0x0
	v_mfma_f32_16x16x16_bf16 a[12:15], v[68:69], v[16:17], a[12:15]
	s_and_b64 vcc, exec, s[42:43]
	s_waitcnt lgkmcnt(0)
	v_mfma_f32_16x16x16_bf16 a[0:3], v[70:71], v[2:3], a[0:3]
	v_mfma_f32_16x16x16_bf16 a[4:7], v[70:71], v[4:5], a[4:7]
	;; [unrolled: 1-line block ×4, first 2 shown]
	s_cbranch_vccz .LBB53_43
; %bb.33:
	v_lshlrev_b32_e32 v22, 1, v19
	s_and_b64 vcc, exec, s[4:5]
	s_cbranch_vccz .LBB53_44
; %bb.34:
	v_cmp_gt_i32_e32 vcc, s56, v22
	v_mov_b32_e32 v6, 0
	v_mov_b32_e32 v2, 0
	;; [unrolled: 1-line block ×5, first 2 shown]
	s_and_saveexec_b64 s[0:1], vcc
	s_cbranch_execz .LBB53_36
; %bb.35:
	v_mad_i64_i32 v[2:3], s[2:3], s23, v22, 0
	v_lshl_add_u64 v[2:3], v[2:3], 1, s[12:13]
	v_lshlrev_b32_e32 v4, 1, v20
	v_mov_b32_e32 v5, 0
	v_lshl_add_u64 v[2:3], v[2:3], 0, v[4:5]
	global_load_dwordx4 v[2:5], v[2:3], off
.LBB53_36:
	s_or_b64 exec, exec, s[0:1]
	v_or_b32_e32 v23, 1, v22
	v_cmp_gt_i32_e64 s[0:1], s56, v23
	v_mov_b32_e32 v7, 0
	v_mov_b32_e32 v8, 0
	;; [unrolled: 1-line block ×3, first 2 shown]
	s_and_saveexec_b64 s[2:3], s[0:1]
	s_cbranch_execz .LBB53_38
; %bb.37:
	v_mad_i64_i32 v[6:7], s[14:15], s23, v23, 0
	v_lshl_add_u64 v[6:7], v[6:7], 1, s[12:13]
	v_lshlrev_b32_e32 v8, 1, v20
	v_mov_b32_e32 v9, 0
	v_lshl_add_u64 v[6:7], v[6:7], 0, v[8:9]
	global_load_dwordx4 v[6:9], v[6:7], off
.LBB53_38:
	s_or_b64 exec, exec, s[2:3]
	v_mov_b32_e32 v17, 0
	v_mov_b32_e32 v10, 0
	;; [unrolled: 1-line block ×5, first 2 shown]
	s_and_saveexec_b64 s[2:3], vcc
	s_cbranch_execz .LBB53_40
; %bb.39:
	v_mad_i64_i32 v[10:11], s[14:15], s23, v22, 0
	v_lshl_add_u64 v[10:11], v[10:11], 1, s[12:13]
	v_lshlrev_b32_e32 v12, 1, v20
	v_mov_b32_e32 v13, 0
	v_lshl_add_u64 v[10:11], v[10:11], 0, v[12:13]
	global_load_dwordx4 v[10:13], v[10:11], off offset:128
.LBB53_40:
	s_or_b64 exec, exec, s[2:3]
	v_mov_b32_e32 v16, 0
	v_mov_b32_e32 v15, 0
	;; [unrolled: 1-line block ×3, first 2 shown]
	s_and_saveexec_b64 s[2:3], s[0:1]
	s_cbranch_execz .LBB53_42
; %bb.41:
	v_mad_i64_i32 v[14:15], s[0:1], s23, v23, 0
	v_lshl_add_u64 v[14:15], v[14:15], 1, s[12:13]
	v_lshlrev_b32_e32 v16, 1, v20
	v_mov_b32_e32 v17, 0
	v_lshl_add_u64 v[14:15], v[14:15], 0, v[16:17]
	global_load_dwordx4 v[14:17], v[14:15], off offset:128
.LBB53_42:
	s_or_b64 exec, exec, s[2:3]
	s_branch .LBB53_46
.LBB53_43:
                                        ; implicit-def: $vgpr5
                                        ; implicit-def: $vgpr9
                                        ; implicit-def: $vgpr13
                                        ; implicit-def: $vgpr17
	v_lshrrev_b32_e32 v68, 2, v76
	s_branch .LBB53_47
.LBB53_44:
                                        ; implicit-def: $vgpr5
                                        ; implicit-def: $vgpr9
                                        ; implicit-def: $vgpr13
                                        ; implicit-def: $vgpr17
	s_cbranch_execz .LBB53_46
; %bb.45:
	s_waitcnt vmcnt(0)
	v_mad_u64_u32 v[2:3], s[0:1], v22, s23, v[20:21]
	v_lshlrev_b32_e32 v22, 1, v2
	s_lshl_b32 s2, s23, 7
	s_and_b32 s1, s13, 0xffff
	s_mov_b32 s3, 0x20000
	s_mov_b32 s0, s12
	v_add_lshl_u32 v23, v2, s23, 1
	s_movk_i32 s14, 0x80
	buffer_load_dwordx4 v[2:5], v22, s[0:3], 0 offen
	buffer_load_dwordx4 v[10:13], v22, s[0:3], s14 offen
	buffer_load_dwordx4 v[6:9], v23, s[0:3], 0 offen
	buffer_load_dwordx4 v[14:17], v23, s[0:3], s14 offen
.LBB53_46:
	v_lshrrev_b32_e32 v68, 2, v76
	s_cbranch_execnz .LBB53_59
.LBB53_47:
	s_and_b64 vcc, exec, s[4:5]
	s_cbranch_vccz .LBB53_57
; %bb.48:
	s_waitcnt vmcnt(0)
	v_lshlrev_b32_e32 v7, 1, v19
	v_cmp_gt_i32_e32 vcc, s56, v7
	v_mov_b32_e32 v6, 0
	v_lshlrev_b32_e32 v14, 9, v19
	v_mov_b32_e32 v2, 0
	v_mov_b32_e32 v3, 0
	;; [unrolled: 1-line block ×4, first 2 shown]
	s_and_saveexec_b64 s[0:1], vcc
	s_cbranch_execz .LBB53_50
; %bb.49:
	v_mov_b32_e32 v15, 0
	v_lshl_add_u64 v[2:3], s[12:13], 0, v[14:15]
	v_lshlrev_b32_e32 v4, 1, v20
	v_mov_b32_e32 v5, v15
	v_lshl_add_u64 v[2:3], v[2:3], 0, v[4:5]
	global_load_dwordx4 v[2:5], v[2:3], off
.LBB53_50:
	s_or_b64 exec, exec, s[0:1]
	v_or_b32_e32 v7, 1, v7
	v_cmp_gt_i32_e64 s[0:1], s56, v7
	v_lshlrev_b32_e32 v22, 8, v7
	v_mov_b32_e32 v7, 0
	v_mov_b32_e32 v8, 0
	v_mov_b32_e32 v9, 0
	s_and_saveexec_b64 s[2:3], s[0:1]
	s_cbranch_execz .LBB53_52
; %bb.51:
	v_mov_b32_e32 v23, 0
	v_lshl_add_u64 v[6:7], s[12:13], 0, v[22:23]
	v_lshlrev_b32_e32 v8, 1, v20
	v_mov_b32_e32 v9, v23
	v_lshl_add_u64 v[6:7], v[6:7], 0, v[8:9]
	global_load_dwordx4 v[6:9], v[6:7], off
.LBB53_52:
	s_or_b64 exec, exec, s[2:3]
	v_mov_b32_e32 v17, 0
	v_mov_b32_e32 v10, 0
	;; [unrolled: 1-line block ×5, first 2 shown]
	s_and_saveexec_b64 s[2:3], vcc
	s_cbranch_execz .LBB53_54
; %bb.53:
	v_mov_b32_e32 v15, 0
	v_lshl_add_u64 v[10:11], s[12:13], 0, v[14:15]
	v_lshlrev_b32_e32 v14, 1, v20
	v_lshl_add_u64 v[10:11], v[10:11], 0, v[14:15]
	global_load_dwordx4 v[10:13], v[10:11], off offset:128
.LBB53_54:
	s_or_b64 exec, exec, s[2:3]
	v_mov_b32_e32 v16, 0
	v_mov_b32_e32 v15, 0
	;; [unrolled: 1-line block ×3, first 2 shown]
	s_and_saveexec_b64 s[2:3], s[0:1]
	s_cbranch_execz .LBB53_56
; %bb.55:
	v_mov_b32_e32 v23, 0
	v_lshl_add_u64 v[14:15], s[12:13], 0, v[22:23]
	v_lshlrev_b32_e32 v22, 1, v20
	v_lshl_add_u64 v[14:15], v[14:15], 0, v[22:23]
	global_load_dwordx4 v[14:17], v[14:15], off offset:128
.LBB53_56:
	s_or_b64 exec, exec, s[2:3]
	s_branch .LBB53_59
.LBB53_57:
                                        ; implicit-def: $vgpr5
                                        ; implicit-def: $vgpr9
                                        ; implicit-def: $vgpr13
                                        ; implicit-def: $vgpr17
	s_cbranch_execz .LBB53_59
; %bb.58:
	s_waitcnt vmcnt(0)
	v_lshlrev_b32_e32 v2, 1, v20
	v_lshl_or_b32 v20, v19, 9, v2
	s_and_b32 s13, s13, 0xffff
	s_mov_b32 s15, 0x20000
	s_movk_i32 s14, 0x4000
	s_movk_i32 s0, 0x80
	buffer_load_dwordx4 v[2:5], v20, s[12:15], 0 offen
	buffer_load_dwordx4 v[6:9], v20, s[12:15], 0 offen offset:256
	buffer_load_dwordx4 v[10:13], v20, s[12:15], s0 offen
	buffer_load_dwordx4 v[14:17], v20, s[12:15], s0 offen offset:256
.LBB53_59:
	ds_read_b64 v[22:23], v32 offset:57344
	v_add_u32_e32 v20, 0x6000, v28
	ds_read2_b64 v[70:73], v20 offset1:16
	ds_read_b64 v[32:33], v33 offset:57344
	ds_read_b64 v[88:89], v66 offset:57344
	;; [unrolled: 1-line block ×3, first 2 shown]
	ds_read2st64_b64 v[76:79], v28 offset0:52 offset1:56
	v_and_b32_e32 v69, 1, v0
	v_cmp_eq_u32_e32 vcc, 0, v69
	s_mov_b32 s0, 0x1000504
	s_mov_b32 s1, 0x3020706
	s_waitcnt lgkmcnt(4)
	v_mfma_f32_16x16x16_bf16 a[0:3], v[22:23], v[70:71], a[0:3]
	v_mfma_f32_16x16x16_bf16 a[4:7], v[22:23], v[72:73], a[4:7]
	ds_read2_b64 v[70:73], v20 offset0:32 offset1:48
	v_and_b32_e32 v20, 6, v0
	v_xor_b32_e32 v19, v19, v20
	s_waitcnt lgkmcnt(0)
	v_mfma_f32_16x16x16_bf16 a[8:11], v[22:23], v[70:71], a[8:11]
	v_lshlrev_b32_e32 v19, 2, v19
	v_mfma_f32_16x16x16_bf16 a[12:15], v[22:23], v[72:73], a[12:15]
	ds_read2st64_b64 v[70:73], v29 offset0:52 offset1:56
	ds_read2st64_b64 v[80:83], v30 offset0:52 offset1:56
	;; [unrolled: 1-line block ×3, first 2 shown]
	s_waitcnt lgkmcnt(2)
	v_mfma_f32_16x16x16_bf16 a[4:7], v[32:33], v[70:71], a[4:7]
	v_xor_b32_e32 v70, 0x440, v19
	v_cndmask_b32_e32 v19, v70, v19, vcc
	v_lshl_or_b32 v19, v20, 10, v19
	v_mfma_f32_16x16x16_bf16 a[0:3], v[32:33], v[76:77], a[0:3]
	s_waitcnt vmcnt(0)
	v_perm_b32 v20, v2, v6, s0
	ds_read_b64 v[22:23], v28 offset:30720
	ds_read_b64 v[76:77], v29 offset:30720
	;; [unrolled: 1-line block ×4, first 2 shown]
	v_perm_b32 v2, v2, v6, s1
	s_waitcnt lgkmcnt(5)
	v_mfma_f32_16x16x16_bf16 a[8:11], v[32:33], v[80:81], a[8:11]
	v_perm_b32 v6, v10, v14, s1
	s_waitcnt lgkmcnt(4)
	v_mfma_f32_16x16x16_bf16 a[12:15], v[32:33], v[84:85], a[12:15]
	v_perm_b32 v32, v10, v14, s0
	ds_write2st64_b32 v19, v20, v32 offset0:128 offset1:160
	v_xor_b32_e32 v20, 8, v19
	v_add_u32_e32 v10, 0x80, v20
	ds_write2st64_b32 v10, v2, v6 offset0:128 offset1:160
	v_xor_b32_e32 v2, 16, v19
	v_perm_b32 v6, v3, v7, s0
	v_perm_b32 v10, v11, v15, s0
	v_mfma_f32_16x16x16_bf16 a[0:3], v[88:89], v[78:79], a[0:3]
	ds_write2st64_b32 v2, v6, v10 offset0:129 offset1:161
	v_xor_b32_e32 v2, 24, v19
	v_perm_b32 v3, v3, v7, s1
	v_mfma_f32_16x16x16_bf16 a[4:7], v[88:89], v[72:73], a[4:7]
	v_perm_b32 v6, v11, v15, s1
	v_add_u32_e32 v2, 0x80, v2
	ds_write2st64_b32 v2, v3, v6 offset0:129 offset1:161
	v_mfma_f32_16x16x16_bf16 a[16:19], v[88:89], v[82:83], a[8:11]
	v_xor_b32_e32 v2, 32, v19
	v_perm_b32 v3, v4, v8, s0
	v_perm_b32 v6, v12, v16, s0
	v_mfma_f32_16x16x16_bf16 a[20:23], v[88:89], v[86:87], a[12:15]
	ds_write2st64_b32 v2, v3, v6 offset0:130 offset1:162
	v_xor_b32_e32 v2, 40, v19
	v_perm_b32 v3, v4, v8, s1
	s_waitcnt lgkmcnt(8)
	v_mfma_f32_16x16x16_bf16 a[12:15], v[66:67], v[22:23], a[0:3]
	v_perm_b32 v4, v12, v16, s1
	v_add_u32_e32 v2, 0x80, v2
	ds_write2st64_b32 v2, v3, v4 offset0:130 offset1:162
	s_waitcnt lgkmcnt(8)
	v_mfma_f32_16x16x16_bf16 a[8:11], v[66:67], v[76:77], a[4:7]
	v_xor_b32_e32 v2, 48, v19
	v_perm_b32 v3, v5, v9, s0
	v_perm_b32 v4, v13, v17, s0
	s_waitcnt lgkmcnt(7)
	v_mfma_f32_16x16x16_bf16 a[4:7], v[66:67], v[90:91], a[16:19]
	ds_write2st64_b32 v2, v3, v4 offset0:131 offset1:163
	v_xor_b32_e32 v2, 56, v19
	v_and_or_b32 v33, v68, 12, v75
	s_waitcnt lgkmcnt(7)
	v_mfma_f32_16x16x16_bf16 a[0:3], v[66:67], v[92:93], a[20:23]
	v_perm_b32 v3, v5, v9, s1
	v_perm_b32 v4, v13, v17, s1
	v_add_u32_e32 v2, 0x80, v2
	v_cmp_gt_i32_e64 s[0:1], s56, v33
	v_mov_b32_e32 v22, 0
	v_mov_b32_e32 v23, 0
	ds_write2st64_b32 v2, v3, v4 offset0:131 offset1:163
	s_and_saveexec_b64 s[2:3], s[0:1]
	s_cbranch_execz .LBB53_61
; %bb.60:
	v_add_u32_e32 v2, s36, v33
	v_ashrrev_i32_e32 v3, 31, v2
	v_mul_lo_u32 v4, v3, s10
	v_mul_lo_u32 v5, v2, s11
	v_mad_u64_u32 v[2:3], s[4:5], v2, s10, 0
	v_add3_u32 v3, v3, v5, v4
	v_lshl_add_u64 v[2:3], v[2:3], 2, s[18:19]
	global_load_dword v2, v[2:3], off
	s_waitcnt vmcnt(0)
	v_sub_f32_e32 v2, s20, v2
	v_exp_f32_e32 v23, v2
.LBB53_61:
	s_or_b64 exec, exec, s[2:3]
	v_or_b32_e32 v14, 1, v33
	v_cmp_gt_i32_e64 s[4:5], s56, v14
	s_and_saveexec_b64 s[2:3], s[4:5]
	s_cbranch_execz .LBB53_63
; %bb.62:
	v_add_u32_e32 v2, s36, v14
	v_ashrrev_i32_e32 v3, 31, v2
	v_mul_lo_u32 v4, v3, s10
	v_mul_lo_u32 v5, v2, s11
	v_mad_u64_u32 v[2:3], s[12:13], v2, s10, 0
	v_add3_u32 v3, v3, v5, v4
	v_lshl_add_u64 v[2:3], v[2:3], 2, s[18:19]
	global_load_dword v2, v[2:3], off
	s_waitcnt vmcnt(0)
	v_sub_f32_e32 v2, s20, v2
	v_exp_f32_e32 v22, v2
.LBB53_63:
	s_or_b64 exec, exec, s[2:3]
	v_or_b32_e32 v10, 2, v33
	v_cmp_gt_i32_e64 s[2:3], s56, v10
	v_mov_b32_e32 v20, 0
	v_mov_b32_e32 v32, 0
	s_and_saveexec_b64 s[12:13], s[2:3]
	s_cbranch_execz .LBB53_65
; %bb.64:
	v_add_u32_e32 v2, s36, v10
	v_ashrrev_i32_e32 v3, 31, v2
	v_mul_lo_u32 v4, v3, s10
	v_mul_lo_u32 v5, v2, s11
	v_mad_u64_u32 v[2:3], s[14:15], v2, s10, 0
	v_add3_u32 v3, v3, v5, v4
	v_lshl_add_u64 v[2:3], v[2:3], 2, s[18:19]
	global_load_dword v2, v[2:3], off
	s_waitcnt vmcnt(0)
	v_sub_f32_e32 v2, s20, v2
	v_exp_f32_e32 v32, v2
.LBB53_65:
	s_or_b64 exec, exec, s[12:13]
	v_or_b32_e32 v11, 3, v33
	v_cmp_gt_i32_e32 vcc, s56, v11
	s_and_saveexec_b64 s[12:13], vcc
	s_cbranch_execz .LBB53_67
; %bb.66:
	v_add_u32_e32 v2, s36, v11
	v_ashrrev_i32_e32 v3, 31, v2
	v_mul_lo_u32 v4, v3, s10
	v_mul_lo_u32 v5, v2, s11
	v_mad_u64_u32 v[2:3], s[10:11], v2, s10, 0
	v_add3_u32 v3, v3, v5, v4
	v_lshl_add_u64 v[2:3], v[2:3], 2, s[18:19]
	global_load_dword v2, v[2:3], off
	s_waitcnt vmcnt(0)
	v_sub_f32_e32 v2, s20, v2
	v_exp_f32_e32 v20, v2
.LBB53_67:
	s_or_b64 exec, exec, s[12:13]
	s_add_u32 s10, s16, s38
	s_addc_u32 s11, s17, s39
	s_add_u32 s6, s6, s38
	v_ashrrev_i32_e32 v19, 31, v18
	v_accvgpr_read_b32 v2, a12
	s_addc_u32 s7, s7, s39
	v_lshlrev_b64 v[6:7], 1, v[18:19]
	v_accvgpr_read_b32 v3, a13
	v_accvgpr_read_b32 v4, a14
	;; [unrolled: 1-line block ×3, first 2 shown]
	v_lshl_add_u64 v[8:9], s[10:11], 0, v[6:7]
	v_lshl_add_u64 v[6:7], s[6:7], 0, v[6:7]
	v_mov_b32_e32 v15, 0
	v_lshlrev_b32_e32 v12, 8, v33
	v_mov_b32_e32 v13, 0
	s_and_saveexec_b64 s[6:7], s[0:1]
	s_cbranch_execz .LBB53_69
; %bb.68:
	v_mov_b32_e32 v13, 0
	v_lshl_add_u64 v[16:17], v[8:9], 0, v[12:13]
	global_load_ushort v19, v[16:17], off
	v_lshl_add_u64 v[16:17], v[6:7], 0, v[12:13]
	s_waitcnt vmcnt(0)
	v_lshlrev_b32_e32 v13, 16, v19
	v_sub_f32_e32 v2, v13, v2
	global_store_short_d16_hi v[16:17], v2, off
	v_mul_f32_e32 v2, v23, v2
	v_lshrrev_b32_e32 v13, 16, v2
.LBB53_69:
	s_or_b64 exec, exec, s[6:7]
	v_lshlrev_b32_e32 v14, 8, v14
	s_and_saveexec_b64 s[6:7], s[4:5]
	s_cbranch_execz .LBB53_71
; %bb.70:
	v_mov_b32_e32 v15, 0
	v_lshl_add_u64 v[16:17], v[8:9], 0, v[14:15]
	global_load_ushort v2, v[16:17], off
	v_lshl_add_u64 v[16:17], v[6:7], 0, v[14:15]
	s_waitcnt vmcnt(0)
	v_lshlrev_b32_e32 v2, 16, v2
	v_sub_f32_e32 v2, v2, v3
	global_store_short_d16_hi v[16:17], v2, off
	v_mul_f32_e32 v2, v22, v2
	v_lshrrev_b32_e32 v15, 16, v2
.LBB53_71:
	s_or_b64 exec, exec, s[6:7]
	v_mov_b32_e32 v66, 0
	v_lshlrev_b32_e32 v16, 8, v10
	v_mov_b32_e32 v17, 0
	s_and_saveexec_b64 s[6:7], s[2:3]
	s_cbranch_execz .LBB53_73
; %bb.72:
	v_mov_b32_e32 v17, 0
	v_lshl_add_u64 v[2:3], v[8:9], 0, v[16:17]
	global_load_ushort v10, v[2:3], off
	v_lshl_add_u64 v[2:3], v[6:7], 0, v[16:17]
	s_waitcnt vmcnt(0)
	v_lshlrev_b32_e32 v10, 16, v10
	v_sub_f32_e32 v4, v10, v4
	global_store_short_d16_hi v[2:3], v4, off
	v_mul_f32_e32 v2, v32, v4
	v_lshrrev_b32_e32 v17, 16, v2
.LBB53_73:
	s_or_b64 exec, exec, s[6:7]
	v_lshlrev_b32_e32 v10, 8, v11
	s_and_saveexec_b64 s[6:7], vcc
	s_cbranch_execz .LBB53_75
; %bb.74:
	v_mov_b32_e32 v11, 0
	v_lshl_add_u64 v[2:3], v[8:9], 0, v[10:11]
	global_load_ushort v4, v[2:3], off
	v_lshl_add_u64 v[2:3], v[6:7], 0, v[10:11]
	s_waitcnt vmcnt(0)
	v_lshlrev_b32_e32 v4, 16, v4
	v_sub_f32_e32 v4, v4, v5
	global_store_short_d16_hi v[2:3], v4, off
	v_mul_f32_e32 v2, v20, v4
	v_lshrrev_b32_e32 v66, 16, v2
.LBB53_75:
	s_or_b64 exec, exec, s[6:7]
	v_lshlrev_b32_e32 v19, 6, v33
	v_accvgpr_read_b32 v2, a8
	s_mov_b32 s6, 0x5040100
	v_or_b32_e32 v11, v19, v26
	v_accvgpr_read_b32 v3, a9
	v_accvgpr_read_b32 v4, a10
	;; [unrolled: 1-line block ×3, first 2 shown]
	v_perm_b32 v67, v66, v17, s6
	v_perm_b32 v66, v15, v13, s6
	v_lshlrev_b32_e32 v11, 1, v11
	v_mov_b32_e32 v15, 0
	v_mov_b32_e32 v13, 0
	ds_write_b64 v11, v[66:67] offset:24576
	s_and_saveexec_b64 s[6:7], s[0:1]
	s_cbranch_execz .LBB53_77
; %bb.76:
	v_mov_b32_e32 v13, 0
	v_lshl_add_u64 v[66:67], v[8:9], 0, v[12:13]
	global_load_ushort v11, v[66:67], off offset:32
	v_lshl_add_u64 v[66:67], v[6:7], 0, v[12:13]
	s_waitcnt vmcnt(0)
	v_lshlrev_b32_e32 v11, 16, v11
	v_sub_f32_e32 v2, v11, v2
	global_store_short_d16_hi v[66:67], v2, off offset:32
	v_mul_f32_e32 v2, v23, v2
	v_lshrrev_b32_e32 v13, 16, v2
.LBB53_77:
	s_or_b64 exec, exec, s[6:7]
	s_and_saveexec_b64 s[6:7], s[4:5]
	s_cbranch_execz .LBB53_79
; %bb.78:
	v_mov_b32_e32 v15, 0
	v_lshl_add_u64 v[66:67], v[8:9], 0, v[14:15]
	global_load_ushort v2, v[66:67], off offset:32
	v_lshl_add_u64 v[66:67], v[6:7], 0, v[14:15]
	s_waitcnt vmcnt(0)
	v_lshlrev_b32_e32 v2, 16, v2
	v_sub_f32_e32 v2, v2, v3
	global_store_short_d16_hi v[66:67], v2, off offset:32
	v_mul_f32_e32 v2, v22, v2
	v_lshrrev_b32_e32 v15, 16, v2
.LBB53_79:
	s_or_b64 exec, exec, s[6:7]
	v_mov_b32_e32 v11, 0
	v_mov_b32_e32 v17, 0
	s_and_saveexec_b64 s[6:7], s[2:3]
	s_cbranch_execz .LBB53_81
; %bb.80:
	v_mov_b32_e32 v17, 0
	v_lshl_add_u64 v[2:3], v[8:9], 0, v[16:17]
	global_load_ushort v26, v[2:3], off offset:32
	v_lshl_add_u64 v[2:3], v[6:7], 0, v[16:17]
	s_waitcnt vmcnt(0)
	v_lshlrev_b32_e32 v17, 16, v26
	v_sub_f32_e32 v4, v17, v4
	global_store_short_d16_hi v[2:3], v4, off offset:32
	v_mul_f32_e32 v2, v32, v4
	v_lshrrev_b32_e32 v17, 16, v2
.LBB53_81:
	s_or_b64 exec, exec, s[6:7]
	s_and_saveexec_b64 s[6:7], vcc
	s_cbranch_execz .LBB53_83
; %bb.82:
	v_mov_b32_e32 v11, 0
	v_lshl_add_u64 v[2:3], v[8:9], 0, v[10:11]
	global_load_ushort v4, v[2:3], off offset:32
	v_lshl_add_u64 v[2:3], v[6:7], 0, v[10:11]
	s_waitcnt vmcnt(0)
	v_lshlrev_b32_e32 v4, 16, v4
	v_sub_f32_e32 v4, v4, v5
	global_store_short_d16_hi v[2:3], v4, off offset:32
	v_mul_f32_e32 v2, v20, v4
	v_lshrrev_b32_e32 v11, 16, v2
.LBB53_83:
	s_or_b64 exec, exec, s[6:7]
	s_mov_b32 s6, 0x5040100
	v_accvgpr_read_b32 v2, a4
	v_perm_b32 v67, v11, v17, s6
	v_or_b32_e32 v11, v19, v25
	v_accvgpr_read_b32 v3, a5
	v_accvgpr_read_b32 v4, a6
	;; [unrolled: 1-line block ×3, first 2 shown]
	v_perm_b32 v66, v15, v13, s6
	v_lshlrev_b32_e32 v11, 1, v11
	v_mov_b32_e32 v15, 0
	v_mov_b32_e32 v13, 0
	ds_write_b64 v11, v[66:67] offset:24576
	s_and_saveexec_b64 s[6:7], s[0:1]
	s_cbranch_execz .LBB53_85
; %bb.84:
	v_mov_b32_e32 v13, 0
	v_lshl_add_u64 v[66:67], v[8:9], 0, v[12:13]
	global_load_ushort v11, v[66:67], off offset:64
	v_lshl_add_u64 v[66:67], v[6:7], 0, v[12:13]
	s_waitcnt vmcnt(0)
	v_lshlrev_b32_e32 v11, 16, v11
	v_sub_f32_e32 v2, v11, v2
	global_store_short_d16_hi v[66:67], v2, off offset:64
	v_mul_f32_e32 v2, v23, v2
	v_lshrrev_b32_e32 v13, 16, v2
.LBB53_85:
	s_or_b64 exec, exec, s[6:7]
	s_and_saveexec_b64 s[6:7], s[4:5]
	s_cbranch_execz .LBB53_87
; %bb.86:
	v_mov_b32_e32 v15, 0
	v_lshl_add_u64 v[66:67], v[8:9], 0, v[14:15]
	global_load_ushort v2, v[66:67], off offset:64
	v_lshl_add_u64 v[66:67], v[6:7], 0, v[14:15]
	s_waitcnt vmcnt(0)
	v_lshlrev_b32_e32 v2, 16, v2
	v_sub_f32_e32 v2, v2, v3
	global_store_short_d16_hi v[66:67], v2, off offset:64
	v_mul_f32_e32 v2, v22, v2
	v_lshrrev_b32_e32 v15, 16, v2
.LBB53_87:
	s_or_b64 exec, exec, s[6:7]
	v_mov_b32_e32 v11, 0
	v_mov_b32_e32 v17, 0
	s_and_saveexec_b64 s[6:7], s[2:3]
	s_cbranch_execz .LBB53_89
; %bb.88:
	v_mov_b32_e32 v17, 0
	v_lshl_add_u64 v[2:3], v[8:9], 0, v[16:17]
	global_load_ushort v25, v[2:3], off offset:64
	v_lshl_add_u64 v[2:3], v[6:7], 0, v[16:17]
	s_waitcnt vmcnt(0)
	v_lshlrev_b32_e32 v17, 16, v25
	v_sub_f32_e32 v4, v17, v4
	global_store_short_d16_hi v[2:3], v4, off offset:64
	v_mul_f32_e32 v2, v32, v4
	v_lshrrev_b32_e32 v17, 16, v2
.LBB53_89:
	s_or_b64 exec, exec, s[6:7]
	s_and_saveexec_b64 s[6:7], vcc
	s_cbranch_execz .LBB53_91
; %bb.90:
	v_mov_b32_e32 v11, 0
	v_lshl_add_u64 v[2:3], v[8:9], 0, v[10:11]
	global_load_ushort v4, v[2:3], off offset:64
	v_lshl_add_u64 v[2:3], v[6:7], 0, v[10:11]
	s_waitcnt vmcnt(0)
	v_lshlrev_b32_e32 v4, 16, v4
	v_sub_f32_e32 v4, v4, v5
	global_store_short_d16_hi v[2:3], v4, off offset:64
	v_mul_f32_e32 v2, v20, v4
	v_lshrrev_b32_e32 v11, 16, v2
.LBB53_91:
	s_or_b64 exec, exec, s[6:7]
	s_mov_b32 s6, 0x5040100
	v_accvgpr_read_b32 v5, a3
	v_perm_b32 v67, v11, v17, s6
	v_or_b32_e32 v11, v19, v24
	v_accvgpr_read_b32 v4, a2
	v_accvgpr_read_b32 v3, a1
	;; [unrolled: 1-line block ×3, first 2 shown]
	v_perm_b32 v66, v15, v13, s6
	v_lshlrev_b32_e32 v11, 1, v11
	v_mov_b32_e32 v15, 0
	v_mov_b32_e32 v13, 0
	ds_write_b64 v11, v[66:67] offset:24576
	s_and_saveexec_b64 s[6:7], s[0:1]
	s_cbranch_execz .LBB53_93
; %bb.92:
	v_mov_b32_e32 v13, 0
	v_lshl_add_u64 v[24:25], v[8:9], 0, v[12:13]
	global_load_ushort v11, v[24:25], off offset:96
	v_lshl_add_u64 v[12:13], v[6:7], 0, v[12:13]
	s_waitcnt vmcnt(0)
	v_lshlrev_b32_e32 v11, 16, v11
	v_sub_f32_e32 v2, v11, v2
	global_store_short_d16_hi v[12:13], v2, off offset:96
	v_mul_f32_e32 v2, v23, v2
	v_lshrrev_b32_e32 v13, 16, v2
.LBB53_93:
	s_or_b64 exec, exec, s[6:7]
	s_and_saveexec_b64 s[0:1], s[4:5]
	s_cbranch_execz .LBB53_95
; %bb.94:
	v_mov_b32_e32 v15, 0
	v_lshl_add_u64 v[24:25], v[8:9], 0, v[14:15]
	global_load_ushort v2, v[24:25], off offset:96
	v_lshl_add_u64 v[14:15], v[6:7], 0, v[14:15]
	s_waitcnt vmcnt(0)
	v_lshlrev_b32_e32 v2, 16, v2
	v_sub_f32_e32 v2, v2, v3
	global_store_short_d16_hi v[14:15], v2, off offset:96
	v_mul_f32_e32 v2, v22, v2
	v_lshrrev_b32_e32 v15, 16, v2
.LBB53_95:
	s_or_b64 exec, exec, s[0:1]
	v_mov_b32_e32 v11, 0
	v_mov_b32_e32 v14, 0
	s_and_saveexec_b64 s[0:1], s[2:3]
	s_cbranch_execz .LBB53_97
; %bb.96:
	v_mov_b32_e32 v17, 0
	v_lshl_add_u64 v[2:3], v[8:9], 0, v[16:17]
	global_load_ushort v12, v[2:3], off offset:96
	v_lshl_add_u64 v[2:3], v[6:7], 0, v[16:17]
	s_waitcnt vmcnt(0)
	v_lshlrev_b32_e32 v12, 16, v12
	v_sub_f32_e32 v4, v12, v4
	global_store_short_d16_hi v[2:3], v4, off offset:96
	v_mul_f32_e32 v2, v32, v4
	v_lshrrev_b32_e32 v14, 16, v2
.LBB53_97:
	s_or_b64 exec, exec, s[0:1]
	v_or_b32_e32 v12, 0x6000, v28
	v_or_b32_e32 v4, 0x6000, v29
	;; [unrolled: 1-line block ×4, first 2 shown]
	s_and_saveexec_b64 s[0:1], vcc
	s_cbranch_execz .LBB53_99
; %bb.98:
	v_mov_b32_e32 v11, 0
	v_lshl_add_u64 v[8:9], v[8:9], 0, v[10:11]
	global_load_ushort v8, v[8:9], off offset:96
	v_lshl_add_u64 v[6:7], v[6:7], 0, v[10:11]
	s_waitcnt vmcnt(0)
	v_lshlrev_b32_e32 v8, 16, v8
	v_sub_f32_e32 v5, v8, v5
	global_store_short_d16_hi v[6:7], v5, off offset:96
	v_mul_f32_e32 v5, v20, v5
	v_lshrrev_b32_e32 v11, 16, v5
.LBB53_99:
	s_or_b64 exec, exec, s[0:1]
	s_mov_b32 s0, 0x5040100
	v_or_b32_e32 v5, v19, v21
	v_perm_b32 v7, v11, v14, s0
	v_perm_b32 v6, v15, v13, s0
	v_lshlrev_b32_e32 v5, 1, v5
	s_movk_i32 s0, 0x100
	ds_write_b64 v5, v[6:7] offset:24576
	v_and_b32_e32 v5, 7, v0
	v_and_b32_e32 v6, 8, v0
	v_cmp_gt_u32_e32 vcc, s0, v0
	v_lshrrev_b32_e32 v0, 1, v0
	v_mov_b32_e32 v7, 0xa000
	v_mov_b32_e32 v8, 0x8000
	v_lshlrev_b32_e32 v26, 3, v74
	v_and_b32_e32 v0, 24, v0
	v_cndmask_b32_e32 v19, v7, v8, vcc
	v_xor_b32_e32 v7, v26, v0
	v_or_b32_e32 v8, 0x440, v7
	v_cmp_eq_u32_e32 vcc, 0, v6
	v_lshlrev_b32_e32 v13, 3, v5
	v_lshlrev_b32_e32 v5, 7, v5
	v_cndmask_b32_e32 v6, v8, v7, vcc
	v_or_b32_e32 v6, v6, v27
	v_xad_u32 v32, v6, v13, v5
	v_add_u32_e32 v6, v19, v32
	s_waitcnt lgkmcnt(0)
	s_barrier
	ds_read_b64 v[10:11], v6
	ds_read2_b64 v[6:9], v12 offset1:16
	ds_read2_b64 v[14:17], v12 offset0:32 offset1:48
	v_or_b32_e32 v20, 32, v0
	v_xor_b32_e32 v20, v26, v20
	v_or_b32_e32 v21, 0x440, v20
	v_cndmask_b32_e32 v20, v21, v20, vcc
	s_waitcnt lgkmcnt(1)
	v_mfma_f32_16x16x16_bf16 a[0:3], v[10:11], v[6:7], 0
	v_or_b32_e32 v20, v20, v27
	v_xad_u32 v33, v20, v13, v5
	v_add_u32_e32 v20, v19, v33
	v_mfma_f32_16x16x16_bf16 a[4:7], v[10:11], v[8:9], 0
	ds_read_b64 v[24:25], v20
	ds_read2st64_b64 v[28:31], v4 offset0:4 offset1:8
	ds_read2st64_b64 v[66:69], v3 offset0:4 offset1:8
	s_waitcnt lgkmcnt(3)
	v_mfma_f32_16x16x16_bf16 a[8:11], v[10:11], v[14:15], 0
	ds_read2st64_b64 v[70:73], v2 offset0:4 offset1:8
	v_mfma_f32_16x16x16_bf16 a[12:15], v[10:11], v[16:17], 0
	v_or_b32_e32 v10, 64, v0
	v_xor_b32_e32 v10, v26, v10
	v_xor_b32_e32 v11, 0x440, v10
	v_cndmask_b32_e32 v10, v11, v10, vcc
	v_or_b32_e32 v10, v10, v27
	v_xad_u32 v74, v10, v13, v5
	v_add_u32_e32 v10, v19, v74
	ds_read_b64 v[10:11], v10
	ds_read2st64_b64 v[20:23], v12 offset0:4 offset1:8
	v_or_b32_e32 v0, 0x60, v0
	v_xor_b32_e32 v0, v26, v0
	s_waitcnt lgkmcnt(0)
	v_mfma_f32_16x16x16_bf16 a[0:3], v[24:25], v[20:21], a[0:3]
	v_mfma_f32_16x16x16_bf16 a[4:7], v[24:25], v[28:29], a[4:7]
	;; [unrolled: 1-line block ×4, first 2 shown]
	v_xor_b32_e32 v24, 0x440, v0
	v_cndmask_b32_e32 v0, v24, v0, vcc
	v_or_b32_e32 v0, v0, v27
	v_xad_u32 v26, v0, v13, v5
	v_add_u32_e32 v0, v19, v26
	v_mfma_f32_16x16x16_bf16 a[0:3], v[10:11], v[22:23], a[0:3]
	ds_read_b64 v[24:25], v0
	ds_read_b64 v[12:13], v12 offset:6144
	v_exp_f32_e32 v0, s20
	v_mfma_f32_16x16x16_bf16 a[4:7], v[10:11], v[30:31], a[4:7]
	v_mfma_f32_16x16x16_bf16 a[8:11], v[10:11], v[68:69], a[8:11]
	;; [unrolled: 1-line block ×3, first 2 shown]
	ds_read_b64 v[4:5], v4 offset:6144
	ds_read_b64 v[10:11], v3 offset:6144
	;; [unrolled: 1-line block ×3, first 2 shown]
	s_waitcnt lgkmcnt(3)
	v_mfma_f32_16x16x16_bf16 a[0:3], v[24:25], v[12:13], a[0:3]
	s_waitcnt lgkmcnt(2)
	v_mfma_f32_16x16x16_bf16 a[4:7], v[24:25], v[4:5], a[4:7]
	;; [unrolled: 2-line block ×4, first 2 shown]
	ds_read_b64 v[24:25], v32 offset:40960
	s_waitcnt lgkmcnt(0)
	v_mfma_f32_16x16x16_bf16 a[16:19], v[24:25], v[6:7], 0
	ds_read_b64 v[6:7], v33 offset:40960
	v_mfma_f32_16x16x16_bf16 a[20:23], v[24:25], v[8:9], 0
	ds_read_b64 v[8:9], v74 offset:40960
	v_mfma_f32_16x16x16_bf16 a[24:27], v[24:25], v[14:15], 0
	v_accvgpr_read_b32 v15, a3
	v_accvgpr_read_b32 v14, a2
	v_pk_fma_f32 v[64:65], v[0:1], v[64:65], v[14:15] op_sel_hi:[0,1,1]
	v_mfma_f32_16x16x16_bf16 a[28:31], v[24:25], v[16:17], 0
	ds_read_b64 v[14:15], v26 offset:40960
	v_accvgpr_read_b32 v17, a7
	v_accvgpr_read_b32 v16, a6
	s_waitcnt lgkmcnt(2)
	v_mfma_f32_16x16x16_bf16 a[16:19], v[6:7], v[20:21], a[16:19]
	v_accvgpr_read_b32 v21, a15
	v_accvgpr_read_b32 v20, a14
	v_pk_fma_f32 v[56:57], v[0:1], v[56:57], v[16:17] op_sel_hi:[0,1,1]
	v_mfma_f32_16x16x16_bf16 a[20:23], v[6:7], v[28:29], a[20:23]
	v_pk_fma_f32 v[40:41], v[0:1], v[40:41], v[20:21] op_sel_hi:[0,1,1]
	v_mfma_f32_16x16x16_bf16 a[24:27], v[6:7], v[66:67], a[24:27]
	v_mfma_f32_16x16x16_bf16 a[28:31], v[6:7], v[70:71], a[28:31]
	v_accvgpr_read_b32 v7, a11
	v_accvgpr_read_b32 v6, a10
	v_pk_fma_f32 v[48:49], v[0:1], v[48:49], v[6:7] op_sel_hi:[0,1,1]
	s_waitcnt lgkmcnt(1)
	v_mfma_f32_16x16x16_bf16 a[16:19], v[8:9], v[22:23], a[16:19]
	v_accvgpr_read_b32 v23, a1
	v_accvgpr_read_b32 v22, a0
	v_pk_fma_f32 v[62:63], v[0:1], v[62:63], v[22:23] op_sel_hi:[0,1,1]
	v_mfma_f32_16x16x16_bf16 a[0:3], v[8:9], v[30:31], a[20:23]
	v_accvgpr_read_b32 v23, a5
	v_accvgpr_read_b32 v22, a4
	;; [unrolled: 1-line block ×3, first 2 shown]
	v_mfma_f32_16x16x16_bf16 a[20:23], v[8:9], v[68:69], a[24:27]
	v_accvgpr_read_b32 v7, a13
	v_pk_fma_f32 v[38:39], v[0:1], v[38:39], v[6:7] op_sel_hi:[0,1,1]
	v_pk_fma_f32 v[54:55], v[0:1], v[54:55], v[22:23] op_sel_hi:[0,1,1]
	v_mfma_f32_16x16x16_bf16 a[4:7], v[8:9], v[72:73], a[28:31]
	v_accvgpr_read_b32 v8, a8
	v_accvgpr_read_b32 v9, a9
	v_pk_fma_f32 v[46:47], v[0:1], v[46:47], v[8:9] op_sel_hi:[0,1,1]
	s_waitcnt lgkmcnt(0)
	v_mfma_f32_16x16x16_bf16 a[8:11], v[14:15], v[12:13], a[16:19]
	v_mfma_f32_16x16x16_bf16 a[0:3], v[14:15], v[4:5], a[0:3]
	s_nop 5
	v_accvgpr_read_b32 v5, a11
	v_accvgpr_read_b32 v4, a10
	v_mfma_f32_16x16x16_bf16 a[10:13], v[14:15], v[10:11], a[20:23]
	v_pk_fma_f32 v[60:61], v[0:1], v[60:61], v[4:5] op_sel_hi:[0,1,1]
	v_accvgpr_read_b32 v7, a3
	v_accvgpr_read_b32 v6, a2
	v_mfma_f32_16x16x16_bf16 a[2:5], v[14:15], v[2:3], a[4:7]
	v_accvgpr_read_b32 v5, a1
	v_accvgpr_read_b32 v4, a0
	v_pk_fma_f32 v[50:51], v[0:1], v[50:51], v[4:5] op_sel_hi:[0,1,1]
	v_accvgpr_read_b32 v4, a10
	v_accvgpr_read_b32 v5, a11
	;; [unrolled: 1-line block ×3, first 2 shown]
	v_pk_fma_f32 v[42:43], v[0:1], v[42:43], v[4:5] op_sel_hi:[0,1,1]
	v_accvgpr_read_b32 v5, a3
	v_accvgpr_read_b32 v9, a13
	;; [unrolled: 1-line block ×7, first 2 shown]
	v_pk_fma_f32 v[58:59], v[0:1], v[58:59], v[10:11] op_sel_hi:[0,1,1]
	v_pk_fma_f32 v[52:53], v[0:1], v[52:53], v[6:7] op_sel_hi:[0,1,1]
	;; [unrolled: 1-line block ×5, first 2 shown]
	v_mov_b32_e32 v2, v18
.LBB53_100:
	s_mul_i32 s0, s33, s35
	s_mul_hi_u32 s1, s33, s34
	s_add_i32 s0, s1, s0
	s_mul_i32 s1, s46, s34
	s_add_i32 s1, s0, s1
	s_mul_i32 s0, s33, s34
	s_add_u32 s0, s0, s47
	s_addc_u32 s1, s1, s37
	s_lshl_b64 s[0:1], s[0:1], 15
	s_add_u32 s0, s8, s0
	v_lshlrev_b32_e32 v2, 7, v2
	s_addc_u32 s1, s9, s1
	v_ashrrev_i32_e32 v3, 31, v2
	v_lshl_add_u64 v[4:5], v[2:3], 1, s[0:1]
	v_lshlrev_b32_e32 v0, 1, v1
	v_mov_b32_e32 v1, 0
	s_mov_b32 s2, 0x7060302
	v_lshl_add_u64 v[4:5], v[4:5], 0, v[0:1]
	v_perm_b32 v7, v65, v64, s2
	v_perm_b32 v6, v63, v62, s2
	global_store_dwordx2 v[4:5], v[6:7], off
	v_perm_b32 v7, v61, v60, s2
	v_perm_b32 v6, v59, v58, s2
	global_store_dwordx2 v[4:5], v[6:7], off offset:128
	v_or_b32_e32 v4, 0x800, v2
	v_ashrrev_i32_e32 v5, 31, v4
	v_lshl_add_u64 v[4:5], v[4:5], 1, s[0:1]
	v_lshl_add_u64 v[4:5], v[4:5], 0, v[0:1]
	v_perm_b32 v7, v57, v56, s2
	v_perm_b32 v6, v55, v54, s2
	global_store_dwordx2 v[4:5], v[6:7], off
	v_perm_b32 v7, v53, v52, s2
	v_perm_b32 v6, v51, v50, s2
	global_store_dwordx2 v[4:5], v[6:7], off offset:128
	v_or_b32_e32 v4, 0x1000, v2
	v_or_b32_e32 v2, 0x1800, v2
	v_ashrrev_i32_e32 v5, 31, v4
	v_ashrrev_i32_e32 v3, 31, v2
	v_lshl_add_u64 v[4:5], v[4:5], 1, s[0:1]
	v_lshl_add_u64 v[2:3], v[2:3], 1, s[0:1]
	;; [unrolled: 1-line block ×3, first 2 shown]
	v_perm_b32 v7, v49, v48, s2
	v_perm_b32 v6, v47, v46, s2
	v_lshl_add_u64 v[0:1], v[2:3], 0, v[0:1]
	v_perm_b32 v3, v41, v40, s2
	v_perm_b32 v2, v39, v38, s2
	global_store_dwordx2 v[4:5], v[6:7], off
	v_perm_b32 v7, v45, v44, s2
	v_perm_b32 v6, v43, v42, s2
	global_store_dwordx2 v[0:1], v[2:3], off
	v_perm_b32 v3, v35, v34, s2
	v_perm_b32 v2, v37, v36, s2
	global_store_dwordx2 v[4:5], v[6:7], off offset:128
	global_store_dwordx2 v[0:1], v[2:3], off offset:128
	s_endpgm
	.section	.rodata,"a",@progbits
	.p2align	6, 0x0
	.amdhsa_kernel _ZN12_GLOBAL__N_139chunk_gated_delta_rule_fwd_h_hip_kernelILi64ELb0ELb1ELb1ELb1ELb1ELb0ELb0ELb1EEEvPK12hip_bfloat16S3_S3_PKfS5_PKvPS1_S8_PvPKiSB_iiiiilll
		.amdhsa_group_segment_fixed_size 65536
		.amdhsa_private_segment_fixed_size 0
		.amdhsa_kernarg_size 136
		.amdhsa_user_sgpr_count 2
		.amdhsa_user_sgpr_dispatch_ptr 0
		.amdhsa_user_sgpr_queue_ptr 0
		.amdhsa_user_sgpr_kernarg_segment_ptr 1
		.amdhsa_user_sgpr_dispatch_id 0
		.amdhsa_user_sgpr_kernarg_preload_length 0
		.amdhsa_user_sgpr_kernarg_preload_offset 0
		.amdhsa_user_sgpr_private_segment_size 0
		.amdhsa_uses_dynamic_stack 0
		.amdhsa_enable_private_segment 0
		.amdhsa_system_sgpr_workgroup_id_x 1
		.amdhsa_system_sgpr_workgroup_id_y 1
		.amdhsa_system_sgpr_workgroup_id_z 0
		.amdhsa_system_sgpr_workgroup_info 0
		.amdhsa_system_vgpr_workitem_id 0
		.amdhsa_next_free_vgpr 216
		.amdhsa_next_free_sgpr 67
		.amdhsa_accum_offset 180
		.amdhsa_reserve_vcc 1
		.amdhsa_float_round_mode_32 0
		.amdhsa_float_round_mode_16_64 0
		.amdhsa_float_denorm_mode_32 3
		.amdhsa_float_denorm_mode_16_64 3
		.amdhsa_dx10_clamp 1
		.amdhsa_ieee_mode 1
		.amdhsa_fp16_overflow 0
		.amdhsa_tg_split 0
		.amdhsa_exception_fp_ieee_invalid_op 0
		.amdhsa_exception_fp_denorm_src 0
		.amdhsa_exception_fp_ieee_div_zero 0
		.amdhsa_exception_fp_ieee_overflow 0
		.amdhsa_exception_fp_ieee_underflow 0
		.amdhsa_exception_fp_ieee_inexact 0
		.amdhsa_exception_int_div_zero 0
	.end_amdhsa_kernel
	.section	.text._ZN12_GLOBAL__N_139chunk_gated_delta_rule_fwd_h_hip_kernelILi64ELb0ELb1ELb1ELb1ELb1ELb0ELb0ELb1EEEvPK12hip_bfloat16S3_S3_PKfS5_PKvPS1_S8_PvPKiSB_iiiiilll,"axG",@progbits,_ZN12_GLOBAL__N_139chunk_gated_delta_rule_fwd_h_hip_kernelILi64ELb0ELb1ELb1ELb1ELb1ELb0ELb0ELb1EEEvPK12hip_bfloat16S3_S3_PKfS5_PKvPS1_S8_PvPKiSB_iiiiilll,comdat
.Lfunc_end53:
	.size	_ZN12_GLOBAL__N_139chunk_gated_delta_rule_fwd_h_hip_kernelILi64ELb0ELb1ELb1ELb1ELb1ELb0ELb0ELb1EEEvPK12hip_bfloat16S3_S3_PKfS5_PKvPS1_S8_PvPKiSB_iiiiilll, .Lfunc_end53-_ZN12_GLOBAL__N_139chunk_gated_delta_rule_fwd_h_hip_kernelILi64ELb0ELb1ELb1ELb1ELb1ELb0ELb0ELb1EEEvPK12hip_bfloat16S3_S3_PKfS5_PKvPS1_S8_PvPKiSB_iiiiilll
                                        ; -- End function
	.section	.AMDGPU.csdata,"",@progbits
; Kernel info:
; codeLenInByte = 12508
; NumSgprs: 73
; NumVgprs: 180
; NumAgprs: 36
; TotalNumVgprs: 216
; ScratchSize: 0
; MemoryBound: 0
; FloatMode: 240
; IeeeMode: 1
; LDSByteSize: 65536 bytes/workgroup (compile time only)
; SGPRBlocks: 9
; VGPRBlocks: 26
; NumSGPRsForWavesPerEU: 73
; NumVGPRsForWavesPerEU: 216
; AccumOffset: 180
; Occupancy: 1
; WaveLimiterHint : 1
; COMPUTE_PGM_RSRC2:SCRATCH_EN: 0
; COMPUTE_PGM_RSRC2:USER_SGPR: 2
; COMPUTE_PGM_RSRC2:TRAP_HANDLER: 0
; COMPUTE_PGM_RSRC2:TGID_X_EN: 1
; COMPUTE_PGM_RSRC2:TGID_Y_EN: 1
; COMPUTE_PGM_RSRC2:TGID_Z_EN: 0
; COMPUTE_PGM_RSRC2:TIDIG_COMP_CNT: 0
; COMPUTE_PGM_RSRC3_GFX90A:ACCUM_OFFSET: 44
; COMPUTE_PGM_RSRC3_GFX90A:TG_SPLIT: 0
	.section	.text._ZN12_GLOBAL__N_139chunk_gated_delta_rule_fwd_h_hip_kernelILi64ELb0ELb1ELb0ELb1ELb1ELb0ELb0ELb1EEEvPK12hip_bfloat16S3_S3_PKfS5_PKvPS1_S8_PvPKiSB_iiiiilll,"axG",@progbits,_ZN12_GLOBAL__N_139chunk_gated_delta_rule_fwd_h_hip_kernelILi64ELb0ELb1ELb0ELb1ELb1ELb0ELb0ELb1EEEvPK12hip_bfloat16S3_S3_PKfS5_PKvPS1_S8_PvPKiSB_iiiiilll,comdat
	.globl	_ZN12_GLOBAL__N_139chunk_gated_delta_rule_fwd_h_hip_kernelILi64ELb0ELb1ELb0ELb1ELb1ELb0ELb0ELb1EEEvPK12hip_bfloat16S3_S3_PKfS5_PKvPS1_S8_PvPKiSB_iiiiilll ; -- Begin function _ZN12_GLOBAL__N_139chunk_gated_delta_rule_fwd_h_hip_kernelILi64ELb0ELb1ELb0ELb1ELb1ELb0ELb0ELb1EEEvPK12hip_bfloat16S3_S3_PKfS5_PKvPS1_S8_PvPKiSB_iiiiilll
	.p2align	8
	.type	_ZN12_GLOBAL__N_139chunk_gated_delta_rule_fwd_h_hip_kernelILi64ELb0ELb1ELb0ELb1ELb1ELb0ELb0ELb1EEEvPK12hip_bfloat16S3_S3_PKfS5_PKvPS1_S8_PvPKiSB_iiiiilll,@function
_ZN12_GLOBAL__N_139chunk_gated_delta_rule_fwd_h_hip_kernelILi64ELb0ELb1ELb0ELb1ELb1ELb0ELb0ELb1EEEvPK12hip_bfloat16S3_S3_PKfS5_PKvPS1_S8_PvPKiSB_iiiiilll: ; @_ZN12_GLOBAL__N_139chunk_gated_delta_rule_fwd_h_hip_kernelILi64ELb0ELb1ELb0ELb1ELb1ELb0ELb0ELb1EEEvPK12hip_bfloat16S3_S3_PKfS5_PKvPS1_S8_PvPKiSB_iiiiilll
; %bb.0:
	s_load_dwordx4 s[16:19], s[0:1], 0x5c
	s_load_dwordx2 s[20:21], s[0:1], 0x50
	s_abs_i32 s23, s3
	s_ashr_i32 s22, s3, 31
	s_load_dwordx8 s[4:11], s[0:1], 0x0
	s_load_dwordx4 s[12:15], s[0:1], 0x40
	s_load_dwordx2 s[38:39], s[0:1], 0x30
	s_waitcnt lgkmcnt(0)
	s_abs_i32 s26, s17
	v_cvt_f32_u32_e32 v1, s26
	s_sub_i32 s24, 0, s26
	s_ashr_i32 s44, s17, 31
	s_xor_b32 s22, s22, s44
	v_rcp_iflag_f32_e32 v1, v1
	v_lshrrev_b32_e32 v72, 6, v0
	v_bfe_u32 v75, v0, 4, 2
	v_lshlrev_b32_e32 v73, 4, v72
	v_mul_f32_e32 v1, 0x4f7ffffe, v1
	v_cvt_u32_f32_e32 v1, v1
	v_lshlrev_b32_e32 v2, 2, v75
	v_and_b32_e32 v74, 63, v0
	s_mov_b32 s33, s17
	v_readfirstlane_b32 s25, v1
	s_mul_i32 s24, s24, s25
	s_mul_hi_u32 s24, s25, s24
	s_add_i32 s25, s25, s24
	s_mul_hi_u32 s24, s23, s25
	s_mul_i32 s25, s24, s26
	s_sub_i32 s23, s23, s25
	s_add_i32 s25, s24, 1
	s_sub_i32 s27, s23, s26
	s_cmp_ge_u32 s23, s26
	s_cselect_b32 s24, s25, s24
	s_cselect_b32 s23, s27, s23
	s_add_i32 s25, s24, 1
	s_cmp_ge_u32 s23, s26
	s_cselect_b32 s23, s25, s24
	s_xor_b32 s23, s23, s22
	s_sub_i32 s34, s23, s22
	s_mul_i32 s22, s34, s17
	s_ashr_i32 s35, s34, 31
	s_sub_i32 s45, s3, s22
	s_lshl_b64 s[22:23], s[34:35], 2
	s_add_u32 s14, s14, s22
	s_addc_u32 s15, s15, s23
	s_add_u32 s24, s20, s22
	s_addc_u32 s25, s21, s23
	s_abs_i32 s3, s18
	v_cvt_f32_u32_e32 v1, s3
	s_load_dwordx2 s[36:37], s[14:15], 0x0
	s_nop 0
	s_load_dwordx2 s[14:15], s[0:1], 0x80
	s_load_dwordx4 s[20:23], s[0:1], 0x70
	s_sub_i32 s1, 0, s3
	v_rcp_iflag_f32_e32 v1, v1
	s_load_dword s50, s[24:25], 0x0
	s_waitcnt lgkmcnt(0)
	s_sub_i32 s54, s37, s36
	s_ashr_i32 s0, s54, 31
	v_mul_f32_e32 v1, 0x4f7ffffe, v1
	v_cvt_u32_f32_e32 v1, v1
	s_lshr_b32 s0, s0, 26
	s_add_i32 s0, s54, s0
	s_ashr_i32 s49, s0, 6
	v_readfirstlane_b32 s27, v1
	s_mul_i32 s1, s1, s27
	s_mul_hi_u32 s1, s27, s1
	s_add_i32 s27, s27, s1
	s_mul_hi_u32 s1, s26, s27
	s_mul_i32 s27, s1, s3
	s_ashr_i32 s0, s18, 31
	s_sub_i32 s26, s26, s27
	s_xor_b32 s0, s44, s0
	s_add_i32 s27, s1, 1
	s_sub_i32 s28, s26, s3
	s_cmp_ge_u32 s26, s3
	s_cselect_b32 s1, s27, s1
	s_cselect_b32 s26, s28, s26
	s_add_i32 s27, s1, 1
	s_cmp_ge_u32 s26, s3
	s_cselect_b32 s1, s27, s1
	s_xor_b32 s1, s1, s0
	s_sub_i32 s1, s1, s0
	s_abs_i32 s3, s1
	v_cvt_f32_u32_e32 v1, s3
	s_sub_i32 s25, 0, s3
	s_abs_i32 s24, s45
	s_xor_b32 s1, s45, s1
	v_rcp_iflag_f32_e32 v1, v1
	s_ashr_i32 s1, s1, 31
	s_mov_b32 s0, 0
	v_and_b32_e32 v76, 15, v0
	v_mul_f32_e32 v1, 0x4f7ffffe, v1
	v_cvt_u32_f32_e32 v1, v1
	s_mul_hi_i32 s51, s45, s16
	s_mul_i32 s52, s45, s16
	v_lshrrev_b32_e32 v78, 3, v74
	v_readfirstlane_b32 s26, v1
	s_mul_i32 s25, s25, s26
	s_mul_hi_u32 s25, s26, s25
	s_add_i32 s26, s26, s25
	s_mul_hi_u32 s25, s24, s26
	s_mul_i32 s26, s25, s3
	s_sub_i32 s24, s24, s26
	s_add_i32 s26, s25, 1
	s_sub_i32 s27, s24, s3
	s_cmp_ge_u32 s24, s3
	s_cselect_b32 s25, s26, s25
	s_cselect_b32 s24, s27, s24
	s_add_i32 s26, s25, 1
	s_cmp_ge_u32 s24, s3
	s_cselect_b32 s3, s26, s25
	s_xor_b32 s3, s3, s1
	s_sub_i32 s53, s3, s1
	v_or_b32_e32 v1, v2, v73
	s_lshl_b32 s2, s2, 6
	s_mov_b32 s1, s0
	v_or_b32_e32 v79, 64, v1
	s_cmp_lt_i32 s54, 64
	v_mov_b64_e32 v[34:35], s[0:1]
	v_lshlrev_b32_e32 v77, 3, v0
	s_mul_i32 s46, s34, s21
	s_mul_hi_u32 s47, s34, s20
	s_mul_i32 s48, s35, s20
	s_mul_i32 s20, s34, s20
	v_mov_b64_e32 v[36:37], s[0:1]
	v_mov_b64_e32 v[40:41], s[0:1]
	;; [unrolled: 1-line block ×15, first 2 shown]
	s_cbranch_scc1 .LBB54_17
; %bb.1:
	s_ashr_i32 s56, s45, 31
	s_ashr_i32 s1, s36, 31
	s_add_u32 s0, s52, s36
	s_addc_u32 s1, s51, s1
	s_lshl_b64 s[0:1], s[0:1], 8
	v_and_b32_e32 v81, 56, v77
	s_add_u32 s24, s6, s0
	v_lshl_or_b32 v80, v72, 3, v78
	v_lshlrev_b32_e32 v3, 1, v81
	s_addc_u32 s0, s7, s1
	v_lshl_or_b32 v82, v80, 8, v3
	s_and_b32 s25, s0, 0xffff
	s_mov_b32 s27, 0x20000
	s_movk_i32 s26, 0x4000
	s_movk_i32 s0, 0x80
	v_or_b32_e32 v83, 0x2000, v82
	buffer_load_dwordx4 v[4:7], v82, s[24:27], 0 offen
	buffer_load_dwordx4 v[8:11], v82, s[24:27], s0 offen
	;; [unrolled: 1-line block ×4, first 2 shown]
	v_lshlrev_b32_e32 v20, 3, v80
	v_and_or_b32 v22, v0, 7, v20
	v_and_b32_e32 v20, 0x78, v20
	v_lshlrev_b32_e32 v22, 4, v22
	v_xor_b32_e32 v84, v22, v20
	v_mul_lo_u32 v21, v80, s19
	v_or_b32_e32 v85, 0x1000, v84
	s_cmpk_eq_i32 s19, 0x80
	s_mov_b32 s55, s36
	v_xor_b32_e32 v20, 8, v84
	v_xor_b32_e32 v22, 8, v85
	s_cselect_b64 s[0:1], -1, 0
	s_cmpk_lg_i32 s19, 0x80
	s_waitcnt vmcnt(3)
	ds_write_b64 v84, v[4:5] offset:49152
	ds_write_b64 v20, v[6:7] offset:49152
	s_waitcnt vmcnt(2)
	ds_write_b64 v84, v[8:9] offset:57344
	ds_write_b64 v20, v[10:11] offset:57344
	;; [unrolled: 3-line block ×4, first 2 shown]
	v_lshl_add_u32 v4, v21, 1, v81
	s_cbranch_scc0 .LBB54_3
; %bb.2:
	v_lshlrev_b32_e32 v6, 1, v4
	v_add_lshl_u32 v5, v4, s19, 1
	s_lshl_b32 s26, s19, 7
	v_lshl_or_b32 v3, v80, 9, v3
	s_cbranch_execz .LBB54_4
	s_branch .LBB54_5
.LBB54_3:
                                        ; implicit-def: $vgpr5
                                        ; implicit-def: $vgpr6
                                        ; implicit-def: $sgpr26
	v_lshl_or_b32 v3, v80, 9, v3
.LBB54_4:
	v_or_b32_e32 v5, 0x100, v3
	s_movk_i32 s26, 0x4000
	v_mov_b32_e32 v6, v3
.LBB54_5:
	s_mul_i32 s21, s36, s18
	s_ashr_i32 s57, s53, 31
	s_mul_hi_i32 s3, s36, s18
	s_add_u32 s24, s21, s53
	s_addc_u32 s25, s3, s57
	s_lshl_b64 s[24:25], s[24:25], 8
	s_add_u32 s24, s4, s24
	s_addc_u32 s3, s5, s25
	s_and_b32 s25, s3, 0xffff
	s_movk_i32 s58, 0x80
	buffer_load_dwordx4 v[8:11], v6, s[24:27], 0 offen
	buffer_load_dwordx4 v[12:15], v6, s[24:27], s58 offen
	;; [unrolled: 1-line block ×4, first 2 shown]
	v_and_b32_e32 v5, 6, v0
	v_lshlrev_b32_e32 v6, 7, v1
	v_xor_b32_e32 v28, v80, v5
	v_and_b32_e32 v7, 1, v0
	v_lshl_or_b32 v31, v76, 3, v6
	v_lshlrev_b32_e32 v28, 2, v28
	v_lshlrev_b32_e32 v24, 2, v76
	v_or_b32_e32 v86, 0x4000, v31
	v_or_b32_e32 v87, 0x6000, v31
	v_xor_b32_e32 v31, 0x440, v28
	v_cmp_eq_u32_e32 vcc, 0, v7
	v_or_b32_e32 v26, 16, v76
	v_or_b32_e32 v27, 32, v76
	v_xor_b32_e32 v29, v1, v24
	v_xor_b32_e32 v30, v79, v24
	v_cndmask_b32_e32 v7, v31, v28, vcc
	s_add_i32 s3, s47, s46
	s_mov_b32 s59, 0x1000504
	v_lshl_or_b32 v32, v26, 3, v6
	v_lshlrev_b32_e32 v26, 8, v26
	v_lshl_or_b32 v33, v27, 3, v6
	v_lshlrev_b32_e32 v29, 1, v29
	v_lshlrev_b32_e32 v30, 1, v30
	v_lshl_or_b32 v5, v5, 10, v7
	s_add_i32 s21, s3, s48
	s_mul_i32 s3, s45, s23
	s_mul_hi_u32 s24, s45, s22
	s_mov_b32 s60, 0x3020706
	v_lshlrev_b32_e32 v25, 8, v76
	v_or_b32_e32 v90, 0x4000, v33
	v_or_b32_e32 v91, 0x6000, v33
	;; [unrolled: 1-line block ×4, first 2 shown]
	v_xor_b32_e32 v7, 8, v5
	v_xor_b32_e32 v26, 24, v5
	;; [unrolled: 1-line block ×4, first 2 shown]
	s_add_i32 s3, s24, s3
	s_mul_i32 s24, s56, s22
	v_or_b32_e32 v88, 0x4000, v32
	v_or_b32_e32 v89, 0x6000, v32
	;; [unrolled: 1-line block ×4, first 2 shown]
	v_xor_b32_e32 v25, 16, v5
	v_xor_b32_e32 v28, 32, v5
	;; [unrolled: 1-line block ×3, first 2 shown]
	v_add_u32_e32 v7, 0x80, v7
	v_add_u32_e32 v26, 0x80, v26
	;; [unrolled: 1-line block ×4, first 2 shown]
	s_add_i32 s25, s3, s24
	s_lshl_b64 s[28:29], s[20:21], 2
	s_mul_i32 s24, s45, s22
	s_add_u32 s3, s10, s28
	s_addc_u32 s21, s11, s29
	s_lshl_b64 s[24:25], s[24:25], 2
	s_add_u32 s40, s3, s24
	s_movk_i32 s3, 0xf8
	s_addc_u32 s41, s21, s25
	s_lshl_b32 s30, s19, 7
	s_movk_i32 s21, 0x100
	v_mov_b32_e32 v67, 0
	v_lshlrev_b32_e32 v66, 4, v76
	v_cmp_gt_u32_e32 vcc, s21, v0
	v_lshlrev_b32_e32 v27, 8, v27
	s_mov_b32 s61, 0
	s_movk_i32 s26, 0x4000
	v_or_b32_e32 v96, v27, v29
	v_or_b32_e32 v97, v27, v30
	v_add_u32_e32 v126, v73, v2
	s_movk_i32 s21, 0x2000
	s_movk_i32 s62, 0x3000
	v_mov_b32_e32 v62, v67
	v_mov_b32_e32 v63, v67
	v_mov_b32_e32 v64, v67
	v_mov_b32_e32 v65, v67
	v_mov_b32_e32 v58, v67
	v_mov_b32_e32 v59, v67
	s_waitcnt vmcnt(1)
	v_perm_b32 v34, v8, v16, s59
	s_waitcnt vmcnt(0)
	v_perm_b32 v35, v12, v20, s59
	v_perm_b32 v8, v8, v16, s60
	;; [unrolled: 1-line block ×15, first 2 shown]
	ds_write2st64_b32 v5, v34, v35 offset0:128 offset1:160
	ds_write2st64_b32 v7, v8, v12 offset0:128 offset1:160
	;; [unrolled: 1-line block ×8, first 2 shown]
	v_or_b32_e32 v5, 48, v76
	v_lshl_or_b32 v7, v5, 3, v6
	v_lshlrev_b32_e32 v5, 8, v5
	v_or_b32_e32 v100, v5, v29
	v_or_b32_e32 v101, v5, v30
	;; [unrolled: 1-line block ×3, first 2 shown]
	v_lshlrev_b32_e32 v5, 3, v5
	v_lshrrev_b32_e32 v9, 5, v74
	v_and_or_b32 v9, v5, s3, v9
	v_lshlrev_b32_e32 v9, 4, v9
	v_or_b32_e32 v98, 0x4000, v7
	v_or_b32_e32 v99, 0x6000, v7
	v_lshlrev_b32_e32 v7, 11, v72
	v_and_b32_e32 v5, 0x78, v5
	v_or_b32_e32 v14, 32, v9
	v_and_b32_e32 v8, 0x1000, v7
	v_xor_b32_e32 v10, v9, v5
	v_lshrrev_b32_e32 v11, 1, v0
	v_xor_b32_e32 v14, v14, v5
	v_or_b32_e32 v10, v10, v8
	v_and_b32_e32 v12, 8, v11
	v_or_b32_e32 v14, v14, v8
	v_xor_b32_e32 v102, v10, v12
	v_lshlrev_b32_e32 v10, 8, v75
	v_xor_b32_e32 v104, v14, v12
	v_or_b32_e32 v14, 64, v9
	v_or_b32_e32 v9, 0x60, v9
	;; [unrolled: 1-line block ×3, first 2 shown]
	v_xor_b32_e32 v14, v14, v5
	v_xor_b32_e32 v5, v9, v5
	s_ashr_i32 s3, s2, 31
	v_lshlrev_b32_e32 v13, 1, v13
	v_or_b32_e32 v14, v14, v8
	v_or_b32_e32 v5, v5, v8
	s_lshl_b64 s[24:25], s[2:3], 8
	v_or_b32_e32 v103, 0x4000, v13
	v_or_b32_e32 v105, 0x4080, v13
	;; [unrolled: 1-line block ×4, first 2 shown]
	v_xor_b32_e32 v108, v14, v12
	v_xor_b32_e32 v109, v5, v12
	v_or_b32_e32 v110, 0x6000, v13
	v_or_b32_e32 v111, 0x6080, v13
	;; [unrolled: 1-line block ×4, first 2 shown]
	v_lshlrev_b32_e32 v12, 1, v4
	v_add_lshl_u32 v13, v4, s19, 1
	s_add_u32 s24, s38, s24
	v_lshlrev_b32_e32 v4, 1, v76
	v_lshrrev_b32_e32 v15, 4, v0
	s_addc_u32 s25, s39, s25
	v_or_b32_e32 v5, 1, v4
	v_mov_b32_e32 v19, 0xa000
	v_mov_b32_e32 v20, 0x8000
	v_xor_b32_e32 v16, v15, v4
	v_xor_b32_e32 v17, v5, v15
	v_lshl_add_u64 v[4:5], s[24:25], 0, v[66:67]
	v_lshlrev_b32_e32 v66, 8, v15
	v_cndmask_b32_e32 v19, v19, v20, vcc
	v_lshlrev_b32_e32 v20, 3, v72
	v_and_b32_e32 v11, 24, v11
	v_lshl_or_b32 v114, v16, 3, v66
	v_and_b32_e32 v16, 8, v0
	v_xor_b32_e32 v21, v20, v11
	v_or_b32_e32 v22, 0x440, v21
	v_cmp_eq_u32_e32 vcc, 0, v16
	v_and_b32_e32 v15, 7, v0
	v_lshl_or_b32 v115, v17, 3, v66
	v_cndmask_b32_e32 v16, v22, v21, vcc
	v_lshlrev_b32_e32 v17, 3, v15
	v_lshlrev_b32_e32 v15, 7, v15
	v_or_b32_e32 v16, v16, v7
	v_lshlrev_b32_e32 v18, 2, v0
	v_xad_u32 v116, v16, v17, v15
	v_or_b32_e32 v16, 32, v11
	v_and_or_b32 v10, v18, 60, v10
	v_xor_b32_e32 v16, v20, v16
	v_lshlrev_b32_e32 v10, 1, v10
	v_or_b32_e32 v18, 0x440, v16
	v_or_b32_e32 v117, 0x6000, v10
	v_cndmask_b32_e32 v16, v18, v16, vcc
	v_or_b32_e32 v119, 0x6080, v10
	v_or_b32_e32 v120, 0x6100, v10
	;; [unrolled: 1-line block ×5, first 2 shown]
	v_xor_b32_e32 v10, v20, v10
	v_xad_u32 v118, v16, v17, v15
	v_xor_b32_e32 v16, 0x440, v10
	v_cndmask_b32_e32 v10, v16, v10, vcc
	v_or_b32_e32 v10, v10, v7
	v_xad_u32 v122, v10, v17, v15
	v_or_b32_e32 v10, 0x60, v11
	v_xor_b32_e32 v10, v20, v10
	v_xor_b32_e32 v11, 0x440, v10
	v_cndmask_b32_e32 v10, v11, v10, vcc
	v_or_b32_e32 v8, s2, v76
	v_or_b32_e32 v7, v10, v7
	v_ashrrev_i32_e32 v9, 31, v8
	v_or_b32_e32 v14, 0x100, v3
	v_xad_u32 v123, v7, v17, v15
	v_cndmask_b32_e64 v124, v12, v3, s[0:1]
	v_cndmask_b32_e64 v125, v13, v14, s[0:1]
	v_lshl_add_u64 v[68:69], v[8:9], 1, s[8:9]
	v_lshl_add_u64 v[70:71], v[4:5], 0, v[66:67]
	s_mov_b32 s3, 0x7060302
	v_lshlrev_b32_e32 v66, 1, v6
	v_add_u32_e32 v127, v19, v116
	v_add_u32_e32 v128, v19, v118
	;; [unrolled: 1-line block ×4, first 2 shown]
	v_mov_b32_e32 v60, v67
	v_mov_b32_e32 v61, v67
	;; [unrolled: 1-line block ×26, first 2 shown]
	s_waitcnt lgkmcnt(0)
	s_barrier
	s_branch .LBB54_7
.LBB54_6:                               ;   in Loop: Header=BB54_7 Depth=1
	v_exp_f32_e32 v132, s24
	v_accvgpr_read_b32 v5, a3
	v_accvgpr_read_b32 v9, a7
	;; [unrolled: 1-line block ×4, first 2 shown]
	s_waitcnt vmcnt(4)
	v_accvgpr_read_b32 v18, a20
	v_accvgpr_read_b32 v25, a19
	;; [unrolled: 1-line block ×28, first 2 shown]
	s_add_i32 s55, s55, 64
	v_pk_fma_f32 v[62:63], v[132:133], v[62:63], v[2:3] op_sel_hi:[0,1,1]
	v_pk_fma_f32 v[64:65], v[132:133], v[64:65], v[4:5] op_sel_hi:[0,1,1]
	;; [unrolled: 1-line block ×16, first 2 shown]
	s_cmp_eq_u32 s49, s63
	s_mov_b32 s61, s63
	s_cbranch_scc1 .LBB54_17
.LBB54_7:                               ; =>This Inner Loop Header: Depth=1
	s_add_i32 s63, s61, 1
	s_cmp_lt_i32 s63, s49
	s_mov_b64 s[28:29], 0
	s_cselect_b64 s[42:43], -1, 0
	s_cmp_ge_i32 s63, s49
	s_mov_b64 s[24:25], 0
	s_cbranch_scc1 .LBB54_9
; %bb.8:                                ;   in Loop: Header=BB54_7 Depth=1
	s_add_i32 s0, s55, 64
	s_ashr_i32 s1, s0, 31
	s_add_u32 s0, s52, s0
	s_addc_u32 s1, s51, s1
	s_lshl_b64 s[0:1], s[0:1], 8
	s_add_u32 s24, s6, s0
	s_addc_u32 s25, s7, s1
.LBB54_9:                               ;   in Loop: Header=BB54_7 Depth=1
	v_cndmask_b32_e64 v2, 0, 1, s[42:43]
	v_cmp_ne_u32_e64 s[0:1], 1, v2
	s_andn2_b64 vcc, exec, s[42:43]
	s_cbranch_vccnz .LBB54_11
; %bb.10:                               ;   in Loop: Header=BB54_7 Depth=1
	s_add_i32 s28, s55, 64
	s_mul_hi_i32 s29, s28, s18
	s_mul_i32 s28, s28, s18
	s_add_u32 s28, s28, s53
	s_addc_u32 s29, s29, s57
	s_lshl_b64 s[28:29], s[28:29], 8
	s_add_u32 s28, s4, s28
	s_addc_u32 s29, s5, s29
.LBB54_11:                              ;   in Loop: Header=BB54_7 Depth=1
	v_perm_b32 v3, v65, v64, s3
	v_perm_b32 v2, v63, v62, s3
	v_perm_b32 v5, v61, v60, s3
	v_perm_b32 v4, v59, v58, s3
	ds_write_b64 v86, v[2:3]
	ds_write_b64 v87, v[4:5]
	ds_write_b64 v92, v[2:3]
	ds_write_b64 v93, v[4:5]
	v_perm_b32 v3, v57, v56, s3
	v_perm_b32 v2, v55, v54, s3
	v_perm_b32 v5, v53, v52, s3
	v_perm_b32 v4, v51, v50, s3
	ds_write_b64 v88, v[2:3]
	ds_write_b64 v89, v[4:5]
	ds_write_b64 v94, v[2:3]
	ds_write_b64 v95, v[4:5]
	;; [unrolled: 8-line block ×4, first 2 shown]
	s_waitcnt lgkmcnt(0)
	s_barrier
	ds_read_b64 v[6:7], v102 offset:49152
	ds_read2_b64 v[2:5], v103 offset1:16
	ds_read_b64 v[18:19], v105 offset:6144
	ds_read_b64 v[20:21], v103 offset:6144
	s_waitcnt lgkmcnt(2)
	v_mfma_f32_16x16x16_bf16 a[0:3], v[6:7], v[2:3], 0
	ds_read_b64 v[22:23], v104 offset:49152
	ds_read2st64_b64 v[10:13], v106 offset0:4 offset1:8
	ds_read2st64_b64 v[14:17], v107 offset0:4 offset1:8
	v_mfma_f32_16x16x16_bf16 a[4:7], v[6:7], v[4:5], 0
	ds_read2_b64 v[2:5], v103 offset0:32 offset1:48
	s_add_i32 s31, s55, 63
	s_ashr_i32 s42, s31, 31
	s_waitcnt lgkmcnt(0)
	v_mfma_f32_16x16x16_bf16 a[8:11], v[6:7], v[2:3], 0
	s_mul_i32 s43, s31, s15
	s_mul_hi_u32 s64, s31, s14
	s_add_i32 s43, s64, s43
	v_mfma_f32_16x16x16_bf16 a[12:15], v[6:7], v[4:5], 0
	ds_read2st64_b64 v[2:5], v103 offset0:4 offset1:8
	ds_read2st64_b64 v[6:9], v105 offset0:4 offset1:8
	s_mul_i32 s42, s42, s14
	s_waitcnt lgkmcnt(1)
	v_mfma_f32_16x16x16_bf16 a[0:3], v[22:23], v[2:3], a[0:3]
	s_add_i32 s43, s43, s42
	s_mul_i32 s42, s31, s14
	s_lshl_b64 s[42:43], s[42:43], 2
	s_waitcnt lgkmcnt(0)
	v_mfma_f32_16x16x16_bf16 a[4:7], v[22:23], v[6:7], a[4:7]
	s_add_u32 s42, s40, s42
	s_addc_u32 s43, s41, s43
	s_and_b64 vcc, exec, s[0:1]
	v_mfma_f32_16x16x16_bf16 a[8:11], v[22:23], v[10:11], a[8:11]
	ds_read_b64 v[2:3], v108 offset:49152
	ds_read_b64 v[6:7], v109 offset:49152
	;; [unrolled: 1-line block ×3, first 2 shown]
	v_mov_b32_e32 v133, 0
	v_mov_b32_e32 v132, 0
	v_mfma_f32_16x16x16_bf16 a[12:15], v[22:23], v[14:15], a[12:15]
	v_mov_b32_e32 v131, 0
	v_mov_b32_e32 v14, 0
	;; [unrolled: 1-line block ×3, first 2 shown]
	s_waitcnt lgkmcnt(2)
	v_mfma_f32_16x16x16_bf16 a[0:3], v[2:3], v[4:5], a[0:3]
	v_mov_b32_e32 v4, 0
	v_mov_b32_e32 v5, 0
	v_mfma_f32_16x16x16_bf16 a[16:19], v[2:3], v[8:9], a[4:7]
	v_mov_b32_e32 v8, 0
	v_mov_b32_e32 v9, 0
	;; [unrolled: 3-line block ×3, first 2 shown]
	v_mfma_f32_16x16x16_bf16 a[24:27], v[2:3], v[16:17], a[12:15]
	ds_read_b64 v[2:3], v106 offset:6144
	v_mov_b32_e32 v16, 0
	v_mov_b32_e32 v17, 0
	s_waitcnt lgkmcnt(2)
	v_mfma_f32_16x16x16_bf16 a[4:7], v[6:7], v[20:21], a[0:3]
	v_mfma_f32_16x16x16_bf16 a[8:11], v[6:7], v[18:19], a[16:19]
	s_waitcnt lgkmcnt(0)
	v_mfma_f32_16x16x16_bf16 a[12:15], v[6:7], v[2:3], a[20:23]
	v_mov_b32_e32 v2, 0
	v_mov_b32_e32 v3, 0
	v_mfma_f32_16x16x16_bf16 a[0:3], v[6:7], v[10:11], a[24:27]
	v_mov_b32_e32 v6, 0
	v_mov_b32_e32 v7, 0
	;; [unrolled: 1-line block ×4, first 2 shown]
	s_cbranch_vccnz .LBB54_13
; %bb.12:                               ;   in Loop: Header=BB54_7 Depth=1
	s_and_b32 s25, s25, 0xffff
	buffer_load_dwordx4 v[14:17], v82, s[24:27], 0 offen
	buffer_load_dwordx4 v[10:13], v82, s[24:27], s58 offen
	;; [unrolled: 1-line block ×4, first 2 shown]
	v_mov_b32_e32 v132, v84
	v_mov_b32_e32 v131, v85
.LBB54_13:                              ;   in Loop: Header=BB54_7 Depth=1
	ds_read_b64 v[134:135], v102 offset:57344
	ds_read2_b64 v[18:21], v110 offset1:16
	ds_read_b64 v[136:137], v104 offset:57344
	ds_read_b64 v[138:139], v108 offset:57344
	;; [unrolled: 1-line block ×3, first 2 shown]
	v_add_u32_e32 v142, s55, v126
	s_waitcnt lgkmcnt(3)
	v_mfma_f32_16x16x16_bf16 a[4:7], v[134:135], v[18:19], a[4:7]
	v_mfma_f32_16x16x16_bf16 a[8:11], v[134:135], v[20:21], a[8:11]
	ds_read2_b64 v[18:21], v110 offset0:32 offset1:48
	ds_read2st64_b64 v[22:25], v110 offset0:4 offset1:8
	ds_read2st64_b64 v[26:29], v111 offset0:4 offset1:8
	ds_read2st64_b64 v[30:33], v112 offset0:4 offset1:8
	s_waitcnt lgkmcnt(3)
	v_mfma_f32_16x16x16_bf16 a[12:15], v[134:135], v[18:19], a[12:15]
	v_ashrrev_i32_e32 v18, 31, v142
	v_mfma_f32_16x16x16_bf16 a[0:3], v[134:135], v[20:21], a[0:3]
	v_mul_lo_u32 v20, v18, s14
	v_mul_lo_u32 v21, v142, s15
	v_mad_u64_u32 v[18:19], s[24:25], v142, s14, 0
	v_add3_u32 v19, v19, v21, v20
	v_add_u32_e32 v20, 1, v142
	v_ashrrev_i32_e32 v21, 31, v20
	s_waitcnt lgkmcnt(2)
	v_mfma_f32_16x16x16_bf16 a[4:7], v[136:137], v[22:23], a[4:7]
	v_mul_lo_u32 v22, v21, s14
	v_mul_lo_u32 v23, v20, s15
	v_mad_u64_u32 v[20:21], s[24:25], v20, s14, 0
	v_add3_u32 v21, v21, v23, v22
	v_add_u32_e32 v22, 2, v142
	v_ashrrev_i32_e32 v23, 31, v22
	s_waitcnt lgkmcnt(1)
	v_mfma_f32_16x16x16_bf16 a[8:11], v[136:137], v[26:27], a[8:11]
	v_mul_lo_u32 v26, v23, s14
	v_mul_lo_u32 v27, v22, s15
	v_mad_u64_u32 v[22:23], s[24:25], v22, s14, 0
	v_add3_u32 v23, v23, v27, v26
	v_add_u32_e32 v26, 3, v142
	v_ashrrev_i32_e32 v27, 31, v26
	v_mul_lo_u32 v134, v27, s14
	v_mul_lo_u32 v135, v26, s15
	v_mad_u64_u32 v[26:27], s[24:25], v26, s14, 0
	s_ashr_i32 s25, s55, 31
	s_add_u32 s24, s52, s55
	s_addc_u32 s25, s51, s25
	v_lshl_add_u64 v[18:19], v[18:19], 2, s[40:41]
	v_add3_u32 v27, v27, v135, v134
	s_lshl_b64 s[24:25], s[24:25], 8
	v_lshl_add_u64 v[20:21], v[20:21], 2, s[40:41]
	v_lshl_add_u64 v[22:23], v[22:23], 2, s[40:41]
	;; [unrolled: 1-line block ×3, first 2 shown]
	global_load_dword v134, v[18:19], off
	global_load_dword v135, v[20:21], off
	;; [unrolled: 1-line block ×4, first 2 shown]
	v_lshl_add_u64 v[18:19], v[68:69], 0, s[24:25]
	v_lshl_add_u64 v[22:23], v[18:19], 0, v[66:67]
	global_load_ushort v144, v[22:23], off offset:256
	global_load_ushort v145, v[22:23], off
	ds_read2st64_b64 v[18:21], v113 offset0:4 offset1:8
	global_load_ushort v146, v[22:23], off offset:768
	global_load_ushort v147, v[22:23], off offset:512
	s_waitcnt lgkmcnt(1)
	v_mfma_f32_16x16x16_bf16 a[12:15], v[136:137], v[30:31], a[12:15]
	s_and_b64 vcc, exec, s[0:1]
	s_waitcnt vmcnt(3)
	v_lshlrev_b32_e32 v31, 16, v144
	s_waitcnt lgkmcnt(0)
	v_mfma_f32_16x16x16_bf16 a[0:3], v[136:137], v[18:19], a[0:3]
	global_load_ushort v136, v[22:23], off offset:288
	global_load_ushort v137, v[22:23], off offset:32
	;; [unrolled: 1-line block ×8, first 2 shown]
	v_mfma_f32_16x16x16_bf16 a[4:7], v[138:139], v[24:25], a[4:7]
	ds_read_b64 v[18:19], v110 offset:6144
	s_waitcnt vmcnt(10)
	v_lshlrev_b32_e32 v30, 16, v145
	v_mfma_f32_16x16x16_bf16 a[8:11], v[138:139], v[28:29], a[8:11]
	v_mfma_f32_16x16x16_bf16 a[12:15], v[138:139], v[32:33], a[12:15]
	v_mfma_f32_16x16x16_bf16 a[0:3], v[138:139], v[20:21], a[0:3]
	global_load_ushort v138, v[22:23], off offset:352
	global_load_ushort v139, v[22:23], off offset:96
	ds_read_b64 v[20:21], v111 offset:6144
	ds_read_b64 v[24:25], v112 offset:6144
	;; [unrolled: 1-line block ×3, first 2 shown]
	global_load_ushort v154, v[22:23], off offset:864
	global_load_ushort v155, v[22:23], off offset:608
	s_load_dword s24, s[42:43], 0x0
	s_waitcnt lgkmcnt(0)
	v_mfma_f32_16x16x16_bf16 a[4:7], v[140:141], v[18:19], a[4:7]
	v_sub_f32_e32 v28, s24, v142
	v_mfma_f32_16x16x16_bf16 a[0:3], v[140:141], v[26:27], a[0:3]
	v_sub_f32_e32 v26, s24, v134
	v_sub_f32_e32 v27, s24, v135
	;; [unrolled: 1-line block ×3, first 2 shown]
	v_mfma_f32_16x16x16_bf16 a[8:11], v[140:141], v[20:21], a[8:11]
	v_exp_f32_e32 v26, v26
	v_exp_f32_e32 v27, v27
	;; [unrolled: 1-line block ×4, first 2 shown]
	v_accvgpr_read_b32 v33, a5
	v_accvgpr_read_b32 v32, a4
	;; [unrolled: 1-line block ×4, first 2 shown]
	v_pk_add_f32 v[30:31], v[30:31], v[32:33] neg_lo:[0,1] neg_hi:[0,1]
	s_waitcnt vmcnt(13)
	v_lshlrev_b32_e32 v33, 16, v146
	s_waitcnt vmcnt(12)
	v_lshlrev_b32_e32 v32, 16, v147
	v_pk_add_f32 v[18:19], v[32:33], v[18:19] neg_lo:[0,1] neg_hi:[0,1]
	v_pk_mul_f32 v[30:31], v[26:27], v[30:31]
	v_pk_mul_f32 v[18:19], v[28:29], v[18:19]
	v_accvgpr_read_b32 v33, a9
	v_perm_b32 v19, v19, v18, s3
	v_perm_b32 v18, v31, v30, s3
	v_accvgpr_read_b32 v32, a8
	v_accvgpr_read_b32 v21, a11
	v_mfma_f32_16x16x16_bf16 a[12:15], v[140:141], v[24:25], a[12:15]
	v_accvgpr_read_b32 v20, a10
	v_accvgpr_read_b32 v25, a3
	;; [unrolled: 1-line block ×3, first 2 shown]
	v_mov_b32_e32 v134, 0
	s_waitcnt vmcnt(11)
	v_lshlrev_b32_e32 v31, 16, v136
	s_waitcnt vmcnt(10)
	v_lshlrev_b32_e32 v30, 16, v137
	v_pk_add_f32 v[30:31], v[30:31], v[32:33] neg_lo:[0,1] neg_hi:[0,1]
	s_waitcnt vmcnt(9)
	v_lshlrev_b32_e32 v33, 16, v148
	s_waitcnt vmcnt(8)
	v_lshlrev_b32_e32 v32, 16, v149
	v_pk_add_f32 v[20:21], v[32:33], v[20:21] neg_lo:[0,1] neg_hi:[0,1]
	v_pk_mul_f32 v[30:31], v[26:27], v[30:31]
	v_pk_mul_f32 v[20:21], v[28:29], v[20:21]
	v_accvgpr_read_b32 v23, a15
	v_perm_b32 v21, v21, v20, s3
	v_perm_b32 v20, v31, v30, s3
	ds_write2_b64 v87, v[18:19], v[20:21] offset1:16
	v_accvgpr_read_b32 v21, a13
	s_waitcnt vmcnt(7)
	v_lshlrev_b32_e32 v19, 16, v150
	s_waitcnt vmcnt(6)
	v_lshlrev_b32_e32 v18, 16, v151
	v_accvgpr_read_b32 v20, a12
	v_accvgpr_read_b32 v22, a14
	v_pk_add_f32 v[18:19], v[18:19], v[20:21] neg_lo:[0,1] neg_hi:[0,1]
	s_waitcnt vmcnt(5)
	v_lshlrev_b32_e32 v21, 16, v152
	s_waitcnt vmcnt(4)
	v_lshlrev_b32_e32 v20, 16, v153
	v_pk_add_f32 v[20:21], v[20:21], v[22:23] neg_lo:[0,1] neg_hi:[0,1]
	v_pk_mul_f32 v[18:19], v[26:27], v[18:19]
	v_pk_mul_f32 v[20:21], v[28:29], v[20:21]
	v_accvgpr_read_b32 v23, a1
	v_perm_b32 v21, v21, v20, s3
	v_perm_b32 v20, v19, v18, s3
	s_waitcnt vmcnt(3)
	v_lshlrev_b32_e32 v19, 16, v138
	s_waitcnt vmcnt(2)
	v_lshlrev_b32_e32 v18, 16, v139
	v_accvgpr_read_b32 v22, a0
	v_pk_add_f32 v[18:19], v[18:19], v[22:23] neg_lo:[0,1] neg_hi:[0,1]
	s_waitcnt vmcnt(1)
	v_lshlrev_b32_e32 v23, 16, v154
	s_waitcnt vmcnt(0)
	v_lshlrev_b32_e32 v22, 16, v155
	v_pk_add_f32 v[22:23], v[22:23], v[24:25] neg_lo:[0,1] neg_hi:[0,1]
	v_pk_mul_f32 v[18:19], v[26:27], v[18:19]
	v_pk_mul_f32 v[22:23], v[28:29], v[22:23]
	v_mov_b32_e32 v24, 0
	v_perm_b32 v23, v23, v22, s3
	v_perm_b32 v22, v19, v18, s3
	ds_write2_b64 v87, v[20:21], v[22:23] offset0:32 offset1:48
	v_mov_b32_e32 v18, 0
	v_mov_b32_e32 v19, 0
	;; [unrolled: 1-line block ×15, first 2 shown]
	s_cbranch_vccnz .LBB54_15
; %bb.14:                               ;   in Loop: Header=BB54_7 Depth=1
	s_and_b32 s29, s29, 0xffff
	s_mov_b32 s31, s27
	buffer_load_dwordx4 v[30:33], v124, s[28:31], 0 offen
	buffer_load_dwordx4 v[22:25], v124, s[28:31], s58 offen
	;; [unrolled: 1-line block ×4, first 2 shown]
	v_mov_b32_e32 v133, v81
	v_mov_b32_e32 v134, v80
.LBB54_15:                              ;   in Loop: Header=BB54_7 Depth=1
	s_waitcnt lgkmcnt(0)
	s_barrier
	ds_read_b64 v[144:145], v127
	ds_read2_b64 v[136:139], v117 offset1:16
	ds_read_b64 v[160:161], v128
	ds_read_b64 v[162:163], v129
	;; [unrolled: 1-line block ×3, first 2 shown]
	ds_read2_b64 v[140:143], v117 offset0:32 offset1:48
	s_waitcnt lgkmcnt(4)
	v_mfma_f32_16x16x16_bf16 a[0:3], v[144:145], v[136:137], 0
	ds_read2st64_b64 v[148:151], v119 offset0:4 offset1:8
	ds_read2st64_b64 v[152:155], v120 offset0:4 offset1:8
	;; [unrolled: 1-line block ×3, first 2 shown]
	v_mfma_f32_16x16x16_bf16 a[4:7], v[144:145], v[138:139], 0
	s_add_i32 s25, s50, s61
	s_mul_hi_i32 s29, s25, s33
	s_mul_i32 s25, s25, s33
	s_waitcnt lgkmcnt(3)
	v_mfma_f32_16x16x16_bf16 a[8:11], v[144:145], v[140:141], 0
	s_add_u32 s28, s25, s45
	s_addc_u32 s29, s29, s56
	s_lshl_b64 s[28:29], s[28:29], 15
	v_mfma_f32_16x16x16_bf16 a[12:15], v[144:145], v[142:143], 0
	ds_read2st64_b64 v[144:147], v117 offset0:4 offset1:8
	s_waitcnt lgkmcnt(0)
	v_mfma_f32_16x16x16_bf16 a[0:3], v[160:161], v[144:145], a[0:3]
	v_mfma_f32_16x16x16_bf16 a[4:7], v[160:161], v[148:149], a[4:7]
	;; [unrolled: 1-line block ×8, first 2 shown]
	ds_read_b64 v[160:161], v117 offset:6144
	ds_read_b64 v[162:163], v118 offset:40960
	ds_read_b64 v[166:167], v116 offset:40960
	ds_read_b64 v[168:169], v119 offset:6144
	ds_read_b64 v[170:171], v120 offset:6144
	ds_read_b64 v[172:173], v121 offset:6144
	ds_read_b64 v[174:175], v122 offset:40960
	ds_read_b64 v[176:177], v123 offset:40960
	s_waitcnt lgkmcnt(5)
	v_mfma_f32_16x16x16_bf16 a[16:19], v[166:167], v[136:137], 0
	v_mfma_f32_16x16x16_bf16 a[20:23], v[166:167], v[138:139], 0
	ds_read2st64_b64 v[136:139], v114 offset1:8
	v_mfma_f32_16x16x16_bf16 a[24:27], v[166:167], v[140:141], 0
	v_mfma_f32_16x16x16_bf16 a[28:31], v[166:167], v[142:143], 0
	ds_read2st64_b64 v[140:143], v115 offset1:8
	v_mfma_f32_16x16x16_bf16 a[16:19], v[162:163], v[144:145], a[16:19]
	s_waitcnt lgkmcnt(1)
	v_mov_b32_e32 v144, v136
	v_mov_b32_e32 v145, v137
	v_mfma_f32_16x16x16_bf16 a[20:23], v[162:163], v[148:149], a[20:23]
	v_lshl_add_u64 v[148:149], v[70:71], 0, s[28:29]
	v_mfma_f32_16x16x16_bf16 a[24:27], v[162:163], v[152:153], a[24:27]
	v_mfma_f32_16x16x16_bf16 a[28:31], v[162:163], v[156:157], a[28:31]
	;; [unrolled: 1-line block ×3, first 2 shown]
	s_waitcnt lgkmcnt(0)
	v_mov_b32_e32 v146, v140
	v_mov_b32_e32 v147, v141
	v_mov_b32_e32 v140, v138
	v_mfma_f32_16x16x16_bf16 a[32:35], v[174:175], v[150:151], a[20:23]
	v_mov_b32_e32 v141, v139
	ds_read2st64_b64 v[136:139], v114 offset0:16 offset1:24
	global_store_dwordx4 v[148:149], v[144:147], off
	v_mfma_f32_16x16x16_bf16 a[24:27], v[174:175], v[154:155], a[24:27]
	ds_read2st64_b64 v[144:147], v115 offset0:16 offset1:24
	v_add_co_u32_e32 v150, vcc, s21, v148
	v_mfma_f32_16x16x16_bf16 a[28:31], v[174:175], v[158:159], a[28:31]
	s_nop 0
	v_addc_co_u32_e32 v151, vcc, 0, v149, vcc
	global_store_dwordx4 v[150:151], v[140:143], off offset:-4096
	v_mfma_f32_16x16x16_bf16 a[0:3], v[164:165], v[160:161], a[0:3]
	s_waitcnt lgkmcnt(1)
	v_mov_b32_e32 v140, v136
	v_add_co_u32_e32 v136, vcc, s62, v148
	v_mfma_f32_16x16x16_bf16 a[4:7], v[164:165], v[168:169], a[4:7]
	v_mov_b32_e32 v141, v137
	v_addc_co_u32_e32 v137, vcc, 0, v149, vcc
	v_mfma_f32_16x16x16_bf16 a[8:11], v[164:165], v[170:171], a[8:11]
	s_waitcnt lgkmcnt(0)
	v_mov_b32_e32 v142, v144
	v_mov_b32_e32 v143, v145
	;; [unrolled: 1-line block ×3, first 2 shown]
	v_mfma_f32_16x16x16_bf16 a[12:15], v[164:165], v[172:173], a[12:15]
	v_mov_b32_e32 v145, v139
	s_and_b64 vcc, exec, s[0:1]
	global_store_dwordx4 v[150:151], v[140:143], off
	v_mfma_f32_16x16x16_bf16 a[20:23], v[176:177], v[160:161], a[16:19]
	global_store_dwordx4 v[136:137], v[144:147], off
	v_mfma_f32_16x16x16_bf16 a[16:19], v[176:177], v[168:169], a[32:35]
	v_mfma_f32_16x16x16_bf16 a[24:27], v[176:177], v[170:171], a[24:27]
	;; [unrolled: 1-line block ×3, first 2 shown]
	s_cbranch_vccnz .LBB54_6
; %bb.16:                               ;   in Loop: Header=BB54_7 Depth=1
	v_lshrrev_b32_e32 v135, 3, v133
	v_and_b32_e32 v135, 6, v135
	v_xor_b32_e32 v134, v135, v134
	v_lshlrev_b32_e32 v134, 2, v134
	v_and_b32_e32 v133, 8, v133
	v_xor_b32_e32 v136, 0x440, v134
	v_cmp_eq_u32_e32 vcc, 0, v133
	s_barrier
	s_nop 0
	v_cndmask_b32_e32 v133, v136, v134, vcc
	v_lshl_or_b32 v133, v135, 10, v133
	s_waitcnt vmcnt(5)
	v_perm_b32 v134, v30, v26, s59
	s_waitcnt vmcnt(4)
	v_perm_b32 v135, v22, v18, s59
	ds_write2st64_b32 v133, v134, v135 offset0:128 offset1:160
	v_xor_b32_e32 v134, 8, v133
	v_perm_b32 v26, v30, v26, s60
	v_perm_b32 v18, v22, v18, s60
	v_add_u32_e32 v22, 0x80, v134
	ds_write2st64_b32 v22, v26, v18 offset0:128 offset1:160
	v_xor_b32_e32 v18, 16, v133
	v_perm_b32 v22, v31, v27, s59
	v_perm_b32 v26, v23, v19, s59
	ds_write2st64_b32 v18, v22, v26 offset0:129 offset1:161
	v_xor_b32_e32 v18, 24, v133
	v_perm_b32 v22, v31, v27, s60
	v_perm_b32 v19, v23, v19, s60
	v_add_u32_e32 v18, 0x80, v18
	ds_write2st64_b32 v18, v22, v19 offset0:129 offset1:161
	v_xor_b32_e32 v18, 32, v133
	v_perm_b32 v19, v32, v28, s59
	;; [unrolled: 9-line block ×3, first 2 shown]
	v_perm_b32 v20, v25, v21, s59
	ds_write2st64_b32 v18, v19, v20 offset0:131 offset1:163
	v_xor_b32_e32 v18, 56, v133
	v_perm_b32 v19, v33, v29, s60
	v_perm_b32 v20, v25, v21, s60
	v_add_u32_e32 v18, 0x80, v18
	ds_write2st64_b32 v18, v19, v20 offset0:131 offset1:163
	ds_write_b64 v132, v[14:15] offset:49152
	v_xor_b32_e32 v14, 8, v132
	ds_write_b64 v14, v[16:17] offset:49152
	ds_write_b64 v132, v[10:11] offset:57344
	;; [unrolled: 1-line block ×4, first 2 shown]
	v_xor_b32_e32 v6, 8, v131
	ds_write_b64 v6, v[8:9] offset:49152
	ds_write_b64 v131, v[2:3] offset:57344
	;; [unrolled: 1-line block ×3, first 2 shown]
	s_branch .LBB54_6
.LBB54_17:
	s_lshl_b32 s3, s49, 6
	s_sub_i32 s54, s54, s3
	s_cmp_gt_i32 s54, 0
	v_or_b32_e32 v18, s2, v76
	s_cbranch_scc1 .LBB54_19
; %bb.18:
	s_ashr_i32 s29, s45, 31
	v_or_b32_e32 v2, s2, v76
	s_cbranch_execz .LBB54_20
	s_branch .LBB54_100
.LBB54_19:
                                        ; implicit-def: $vgpr2
                                        ; implicit-def: $sgpr28_sgpr29
.LBB54_20:
	s_add_i32 s28, s3, s36
	s_ashr_i32 s3, s28, 31
	s_cmpk_lg_i32 s19, 0x80
	s_cselect_b64 s[40:41], -1, 0
	s_and_b64 vcc, exec, s[40:41]
	s_cbranch_vccz .LBB54_22
; %bb.21:
	s_mul_hi_i32 s0, s28, s18
	s_mul_i32 s1, s28, s18
	s_ashr_i32 s18, s53, 31
	s_add_u32 s42, s1, s53
	s_addc_u32 s43, s0, s18
	s_cbranch_execz .LBB54_23
	s_branch .LBB54_24
.LBB54_22:
                                        ; implicit-def: $sgpr42_sgpr43
.LBB54_23:
	s_mul_i32 s1, s53, s16
	s_mul_hi_i32 s0, s53, s16
	s_add_u32 s42, s1, s28
	s_addc_u32 s43, s0, s3
.LBB54_24:
	s_add_i32 s16, s49, s50
	s_ashr_i32 s29, s45, 31
	s_add_u32 s0, s52, s28
	v_lshlrev_b32_e32 v6, 6, v1
	v_lshlrev_b32_e32 v26, 2, v76
	s_addc_u32 s1, s51, s3
	s_mov_b32 s3, 0x7060302
	v_or_b32_e32 v9, v6, v26
	v_xor_b32_e32 v7, v1, v26
	v_perm_b32 v3, v65, v64, s3
	v_perm_b32 v2, v63, v62, s3
	;; [unrolled: 1-line block ×4, first 2 shown]
	v_lshlrev_b32_e32 v9, 1, v9
	v_xor_b32_e32 v8, v79, v26
	ds_write2st64_b64 v9, v[2:3], v[4:5] offset0:32 offset1:48
	v_lshlrev_b32_e32 v7, 1, v7
	v_lshlrev_b32_e32 v9, 8, v76
	v_or_b32_e32 v10, v7, v9
	v_lshlrev_b32_e32 v8, 1, v8
	ds_write_b64 v10, v[2:3]
	v_or_b32_e32 v2, v8, v9
	v_or_b32_e32 v9, 16, v76
	v_lshlrev_b32_e32 v25, 2, v9
	v_or_b32_e32 v10, v6, v25
	ds_write_b64 v2, v[4:5]
	v_perm_b32 v3, v57, v56, s3
	v_perm_b32 v2, v55, v54, s3
	;; [unrolled: 1-line block ×4, first 2 shown]
	v_lshlrev_b32_e32 v10, 1, v10
	v_lshlrev_b32_e32 v9, 8, v9
	ds_write2st64_b64 v10, v[2:3], v[4:5] offset0:32 offset1:48
	v_or_b32_e32 v10, v7, v9
	ds_write_b64 v10, v[2:3]
	v_or_b32_e32 v2, v8, v9
	v_or_b32_e32 v9, 32, v76
	v_lshlrev_b32_e32 v24, 2, v9
	v_or_b32_e32 v10, v6, v24
	ds_write_b64 v2, v[4:5]
	v_perm_b32 v3, v49, v48, s3
	v_perm_b32 v2, v47, v46, s3
	v_perm_b32 v5, v45, v44, s3
	v_perm_b32 v4, v43, v42, s3
	v_lshlrev_b32_e32 v10, 1, v10
	v_lshlrev_b32_e32 v9, 8, v9
	s_lshl_b64 s[30:31], s[0:1], 8
	ds_write2st64_b64 v10, v[2:3], v[4:5] offset0:32 offset1:48
	v_or_b32_e32 v10, v7, v9
	s_add_u32 s0, s6, s30
	ds_write_b64 v10, v[2:3]
	v_or_b32_e32 v2, v8, v9
	s_addc_u32 s1, s7, s31
	ds_write_b64 v2, v[4:5]
	v_perm_b32 v3, v41, v40, s3
	v_perm_b32 v2, v39, v38, s3
	v_perm_b32 v5, v35, v34, s3
	v_perm_b32 v4, v37, v36, s3
	v_or_b32_e32 v9, 48, v76
	s_mul_hi_i32 s3, s16, s17
	s_mul_i32 s16, s16, s17
	v_lshlrev_b32_e32 v21, 2, v9
	s_add_u32 s6, s16, s45
	v_or_b32_e32 v6, v6, v21
	s_addc_u32 s7, s3, s29
	v_lshlrev_b32_e32 v6, 1, v6
	s_ashr_i32 s3, s2, 31
	s_lshl_b64 s[6:7], s[6:7], 15
	ds_write2st64_b64 v6, v[2:3], v[4:5] offset0:32 offset1:48
	v_lshlrev_b32_e32 v6, 8, v9
	s_add_u32 s6, s38, s6
	v_or_b32_e32 v7, v7, v6
	s_addc_u32 s7, s39, s7
	s_lshl_b64 s[2:3], s[2:3], 8
	ds_write_b64 v7, v[2:3]
	v_or_b32_e32 v2, v8, v6
	s_add_u32 s2, s6, s2
	v_lshlrev_b32_e32 v3, 1, v76
	ds_write_b64 v2, v[4:5]
	v_lshrrev_b32_e32 v2, 4, v0
	s_addc_u32 s3, s7, s3
	v_or_b32_e32 v4, 1, v3
	v_lshlrev_b32_e32 v10, 4, v76
	v_mov_b32_e32 v11, 0
	v_xor_b32_e32 v3, v2, v3
	v_xor_b32_e32 v6, v4, v2
	v_lshl_add_u64 v[12:13], s[2:3], 0, v[10:11]
	v_lshlrev_b32_e32 v10, 8, v2
	v_lshl_or_b32 v16, v3, 3, v10
	v_lshl_or_b32 v17, v6, 3, v10
	s_waitcnt lgkmcnt(0)
	s_barrier
	ds_read2st64_b64 v[2:5], v16 offset1:8
	ds_read2st64_b64 v[6:9], v17 offset1:8
	v_lshl_add_u64 v[14:15], v[12:13], 0, v[10:11]
	s_movk_i32 s2, 0x2000
	s_cmp_lg_u32 s54, 64
	s_waitcnt lgkmcnt(1)
	v_mov_b32_e32 v10, v2
	v_mov_b32_e32 v11, v3
	s_waitcnt lgkmcnt(0)
	v_mov_b32_e32 v12, v6
	v_mov_b32_e32 v13, v7
	global_store_dwordx4 v[14:15], v[10:13], off
	v_mov_b32_e32 v6, v4
	v_mov_b32_e32 v7, v5
	ds_read2st64_b64 v[2:5], v16 offset0:16 offset1:24
	ds_read2st64_b64 v[10:13], v17 offset0:16 offset1:24
	v_add_co_u32_e32 v16, vcc, s2, v14
	s_cselect_b64 s[6:7], -1, 0
	s_nop 0
	v_addc_co_u32_e32 v17, vcc, 0, v15, vcc
	global_store_dwordx4 v[16:17], v[6:9], off offset:-4096
	v_lshl_or_b32 v19, v72, 3, v78
	s_mov_b32 s24, 0
	s_waitcnt lgkmcnt(1)
	v_mov_b32_e32 v6, v2
	v_add_co_u32_e32 v2, vcc, 0x3000, v14
	v_mov_b32_e32 v7, v3
	s_nop 0
	v_addc_co_u32_e32 v3, vcc, 0, v15, vcc
	s_waitcnt lgkmcnt(0)
	v_mov_b32_e32 v8, v10
	v_mov_b32_e32 v9, v11
	;; [unrolled: 1-line block ×4, first 2 shown]
	v_or_b32_e32 v22, 32, v19
	v_and_b32_e32 v20, 56, v77
	s_and_b64 vcc, exec, s[6:7]
	global_store_dwordx4 v[16:17], v[6:9], off
	global_store_dwordx4 v[2:3], v[10:13], off
	s_cbranch_vccz .LBB54_30
; %bb.25:
	s_mov_b32 s25, s24
	s_mov_b32 s26, s24
	s_mov_b32 s27, s24
	v_mov_b64_e32 v[6:7], s[24:25]
	v_mov_b64_e32 v[8:9], s[26:27]
	;; [unrolled: 1-line block ×3, first 2 shown]
	v_cmp_gt_i32_e32 vcc, s54, v19
	v_mov_b64_e32 v[4:5], v[8:9]
	s_and_saveexec_b64 s[2:3], vcc
	s_cbranch_execz .LBB54_27
; %bb.26:
	v_lshlrev_b32_e32 v2, 8, v19
	v_mov_b32_e32 v3, 0
	v_lshl_add_u64 v[4:5], s[0:1], 0, v[2:3]
	v_lshlrev_b32_e32 v2, 1, v20
	v_lshl_add_u64 v[10:11], v[4:5], 0, v[2:3]
	global_load_dwordx4 v[6:9], v[10:11], off
	global_load_dwordx4 v[2:5], v[10:11], off offset:128
.LBB54_27:
	s_or_b64 exec, exec, s[2:3]
	s_mov_b32 s25, s24
	s_mov_b32 s26, s24
	;; [unrolled: 1-line block ×3, first 2 shown]
	v_mov_b64_e32 v[14:15], s[24:25]
	v_mov_b64_e32 v[16:17], s[26:27]
	;; [unrolled: 1-line block ×3, first 2 shown]
	v_cmp_gt_i32_e32 vcc, s54, v22
	v_lshlrev_b32_e32 v23, 7, v22
	v_mov_b64_e32 v[12:13], v[16:17]
	s_and_saveexec_b64 s[2:3], vcc
	s_cbranch_execz .LBB54_29
; %bb.28:
	v_lshlrev_b32_e32 v10, 1, v23
	v_mov_b32_e32 v11, 0
	v_lshl_add_u64 v[12:13], s[0:1], 0, v[10:11]
	v_lshlrev_b32_e32 v10, 1, v20
	v_lshl_add_u64 v[28:29], v[12:13], 0, v[10:11]
	global_load_dwordx4 v[14:17], v[28:29], off
	global_load_dwordx4 v[10:13], v[28:29], off offset:128
.LBB54_29:
	s_or_b64 exec, exec, s[2:3]
	v_lshrrev_b32_e32 v27, 3, v20
	v_lshlrev_b32_e32 v28, 3, v19
	v_or_b32_e32 v27, v28, v27
	v_lshlrev_b32_e32 v27, 4, v27
	v_and_b32_e32 v28, 0x78, v28
	v_xor_b32_e32 v27, v27, v28
	s_branch .LBB54_32
.LBB54_30:
                                        ; implicit-def: $vgpr27
                                        ; implicit-def: $vgpr23
                                        ; implicit-def: $vgpr6_vgpr7_vgpr8_vgpr9
                                        ; implicit-def: $vgpr2_vgpr3_vgpr4_vgpr5
                                        ; implicit-def: $vgpr14_vgpr15_vgpr16_vgpr17
                                        ; implicit-def: $vgpr10_vgpr11_vgpr12_vgpr13
	s_cbranch_execz .LBB54_32
; %bb.31:
	s_waitcnt vmcnt(0)
	v_lshlrev_b32_e32 v2, 1, v20
	v_lshl_or_b32 v23, v19, 8, v2
	s_and_b32 s1, s1, 0xffff
	s_mov_b32 s3, 0x20000
	s_movk_i32 s2, 0x4000
	v_lshl_or_b32 v27, v22, 8, v2
	s_movk_i32 s16, 0x80
	buffer_load_dwordx4 v[6:9], v23, s[0:3], 0 offen
	buffer_load_dwordx4 v[2:5], v23, s[0:3], s16 offen
	;; [unrolled: 1-line block ×4, first 2 shown]
	v_lshrrev_b32_e32 v23, 3, v20
	v_lshlrev_b32_e32 v27, 3, v19
	v_or_b32_e32 v23, v27, v23
	v_lshlrev_b32_e32 v23, 4, v23
	v_and_b32_e32 v27, 0x78, v27
	v_xor_b32_e32 v27, v23, v27
	v_lshlrev_b32_e32 v23, 7, v22
.LBB54_32:
	s_movk_i32 s0, 0x1000
	v_and_or_b32 v22, v23, s0, v27
	s_waitcnt vmcnt(1)
	ds_write_b64 v27, v[6:7] offset:49152
	v_xor_b32_e32 v6, 8, v27
	ds_write_b64 v6, v[8:9] offset:49152
	s_waitcnt vmcnt(0)
	ds_write_b64 v27, v[2:3] offset:57344
	ds_write_b64 v6, v[4:5] offset:57344
	;; [unrolled: 1-line block ×3, first 2 shown]
	v_xor_b32_e32 v2, 8, v22
	ds_write_b64 v2, v[16:17] offset:49152
	ds_write_b64 v22, v[10:11] offset:57344
	;; [unrolled: 1-line block ×3, first 2 shown]
	v_or_b32_e32 v2, v73, v76
	v_lshlrev_b32_e32 v2, 3, v2
	v_lshrrev_b32_e32 v3, 5, v74
	s_movk_i32 s0, 0xf8
	v_and_or_b32 v3, v2, s0, v3
	v_lshlrev_b32_e32 v7, 4, v3
	v_lshlrev_b32_e32 v27, 11, v72
	v_and_b32_e32 v8, 0x78, v2
	v_or_b32_e32 v10, 32, v7
	v_and_b32_e32 v6, 0x1000, v27
	v_lshrrev_b32_e32 v3, 1, v74
	v_xor_b32_e32 v10, v10, v8
	v_xor_b32_e32 v2, v7, v8
	v_and_b32_e32 v9, 8, v3
	v_or_b32_e32 v10, v10, v6
	v_or_b32_e32 v2, v2, v6
	v_xor_b32_e32 v33, v10, v9
	v_or_b32_e32 v10, 64, v7
	v_xor_b32_e32 v32, v2, v9
	v_xor_b32_e32 v10, v10, v8
	s_waitcnt lgkmcnt(0)
	s_barrier
	v_or_b32_e32 v13, v10, v6
	ds_read_b64 v[10:11], v32 offset:49152
	v_lshl_or_b32 v14, v75, 8, v26
	v_lshlrev_b32_e32 v28, 1, v14
	v_add_u32_e32 v12, 0x4000, v28
	ds_read2_b64 v[2:5], v12 offset1:16
	v_or_b32_e32 v7, 0x60, v7
	v_xor_b32_e32 v7, v7, v8
	v_or_b32_e32 v6, v7, v6
	v_xor_b32_e32 v66, v13, v9
	v_xor_b32_e32 v67, v6, v9
	ds_read_b64 v[22:23], v33 offset:49152
	ds_read_b64 v[68:69], v66 offset:49152
	;; [unrolled: 1-line block ×3, first 2 shown]
	s_waitcnt lgkmcnt(3)
	v_mfma_f32_16x16x16_bf16 a[0:3], v[10:11], v[2:3], 0
	ds_read2_b64 v[6:9], v12 offset0:32 offset1:48
	s_lshl_b64 s[0:1], s[42:43], 8
	s_add_u32 s4, s4, s0
	v_mfma_f32_16x16x16_bf16 a[4:7], v[10:11], v[4:5], 0
	ds_read2st64_b64 v[2:5], v28 offset0:36 offset1:40
	s_addc_u32 s5, s5, s1
	s_add_i32 s2, s37, -1
	s_waitcnt lgkmcnt(1)
	v_mfma_f32_16x16x16_bf16 a[8:11], v[10:11], v[6:7], 0
	v_or_b32_e32 v6, 64, v14
	v_lshlrev_b32_e32 v29, 1, v6
	s_add_i32 s0, s47, s46
	s_waitcnt lgkmcnt(0)
	v_mfma_f32_16x16x16_bf16 a[0:3], v[22:23], v[2:3], a[0:3]
	v_or_b32_e32 v2, 0x80, v14
	v_lshlrev_b32_e32 v30, 1, v2
	v_or_b32_e32 v2, 0xc0, v14
	v_mfma_f32_16x16x16_bf16 a[12:15], v[10:11], v[8:9], 0
	ds_read2st64_b64 v[6:9], v29 offset0:36 offset1:40
	v_lshlrev_b32_e32 v31, 1, v2
	ds_read2st64_b64 v[10:13], v30 offset0:36 offset1:40
	ds_read2st64_b64 v[14:17], v31 offset0:36 offset1:40
	s_add_i32 s21, s0, s48
	s_mul_i32 s0, s45, s23
	s_mul_hi_u32 s1, s45, s22
	s_ashr_i32 s3, s2, 31
	s_mul_i32 s16, s2, s15
	s_mul_hi_u32 s17, s2, s14
	s_waitcnt lgkmcnt(2)
	v_mfma_f32_16x16x16_bf16 a[4:7], v[22:23], v[6:7], a[4:7]
	s_add_i32 s0, s1, s0
	s_mul_i32 s1, s29, s22
	s_add_i32 s16, s17, s16
	s_mul_i32 s3, s3, s14
	s_waitcnt lgkmcnt(1)
	v_mfma_f32_16x16x16_bf16 a[8:11], v[22:23], v[10:11], a[8:11]
	s_add_i32 s1, s0, s1
	s_add_i32 s3, s16, s3
	s_lshl_b64 s[16:17], s[20:21], 2
	s_waitcnt lgkmcnt(0)
	v_mfma_f32_16x16x16_bf16 a[12:15], v[22:23], v[14:15], a[12:15]
	s_mul_i32 s0, s45, s22
	s_add_u32 s10, s10, s16
	s_addc_u32 s11, s11, s17
	s_lshl_b64 s[0:1], s[0:1], 2
	v_mfma_f32_16x16x16_bf16 a[0:3], v[68:69], v[4:5], a[0:3]
	s_mul_i32 s2, s2, s14
	ds_read_b64 v[2:3], v28 offset:22528
	s_add_u32 s10, s10, s0
	v_mfma_f32_16x16x16_bf16 a[4:7], v[68:69], v[8:9], a[4:7]
	ds_read_b64 v[4:5], v29 offset:22528
	ds_read_b64 v[6:7], v30 offset:22528
	;; [unrolled: 1-line block ×3, first 2 shown]
	s_addc_u32 s11, s11, s1
	s_lshl_b64 s[0:1], s[2:3], 2
	v_mfma_f32_16x16x16_bf16 a[8:11], v[68:69], v[12:13], a[8:11]
	s_add_u32 s0, s10, s0
	s_addc_u32 s1, s11, s1
	s_load_dword s16, s[0:1], 0x0
	v_mfma_f32_16x16x16_bf16 a[12:15], v[68:69], v[16:17], a[12:15]
	s_and_b64 vcc, exec, s[40:41]
	s_waitcnt lgkmcnt(0)
	v_mfma_f32_16x16x16_bf16 a[0:3], v[70:71], v[2:3], a[0:3]
	v_mfma_f32_16x16x16_bf16 a[4:7], v[70:71], v[4:5], a[4:7]
	;; [unrolled: 1-line block ×4, first 2 shown]
	s_cbranch_vccz .LBB54_43
; %bb.33:
	v_lshlrev_b32_e32 v22, 1, v19
	s_and_b64 vcc, exec, s[6:7]
	s_cbranch_vccz .LBB54_44
; %bb.34:
	v_cmp_gt_i32_e32 vcc, s54, v22
	v_mov_b32_e32 v6, 0
	v_mov_b32_e32 v2, 0
	;; [unrolled: 1-line block ×5, first 2 shown]
	s_and_saveexec_b64 s[0:1], vcc
	s_cbranch_execz .LBB54_36
; %bb.35:
	v_mad_i64_i32 v[2:3], s[2:3], s19, v22, 0
	v_lshl_add_u64 v[2:3], v[2:3], 1, s[4:5]
	v_lshlrev_b32_e32 v4, 1, v20
	v_mov_b32_e32 v5, 0
	v_lshl_add_u64 v[2:3], v[2:3], 0, v[4:5]
	global_load_dwordx4 v[2:5], v[2:3], off
.LBB54_36:
	s_or_b64 exec, exec, s[0:1]
	v_or_b32_e32 v23, 1, v22
	v_cmp_gt_i32_e64 s[0:1], s54, v23
	v_mov_b32_e32 v7, 0
	v_mov_b32_e32 v8, 0
	;; [unrolled: 1-line block ×3, first 2 shown]
	s_and_saveexec_b64 s[2:3], s[0:1]
	s_cbranch_execz .LBB54_38
; %bb.37:
	v_mad_i64_i32 v[6:7], s[20:21], s19, v23, 0
	v_lshl_add_u64 v[6:7], v[6:7], 1, s[4:5]
	v_lshlrev_b32_e32 v8, 1, v20
	v_mov_b32_e32 v9, 0
	v_lshl_add_u64 v[6:7], v[6:7], 0, v[8:9]
	global_load_dwordx4 v[6:9], v[6:7], off
.LBB54_38:
	s_or_b64 exec, exec, s[2:3]
	v_mov_b32_e32 v17, 0
	v_mov_b32_e32 v10, 0
	;; [unrolled: 1-line block ×5, first 2 shown]
	s_and_saveexec_b64 s[2:3], vcc
	s_cbranch_execz .LBB54_40
; %bb.39:
	v_mad_i64_i32 v[10:11], s[20:21], s19, v22, 0
	v_lshl_add_u64 v[10:11], v[10:11], 1, s[4:5]
	v_lshlrev_b32_e32 v12, 1, v20
	v_mov_b32_e32 v13, 0
	v_lshl_add_u64 v[10:11], v[10:11], 0, v[12:13]
	global_load_dwordx4 v[10:13], v[10:11], off offset:128
.LBB54_40:
	s_or_b64 exec, exec, s[2:3]
	v_mov_b32_e32 v16, 0
	v_mov_b32_e32 v15, 0
	;; [unrolled: 1-line block ×3, first 2 shown]
	s_and_saveexec_b64 s[2:3], s[0:1]
	s_cbranch_execz .LBB54_42
; %bb.41:
	v_mad_i64_i32 v[14:15], s[0:1], s19, v23, 0
	v_lshl_add_u64 v[14:15], v[14:15], 1, s[4:5]
	v_lshlrev_b32_e32 v16, 1, v20
	v_mov_b32_e32 v17, 0
	v_lshl_add_u64 v[14:15], v[14:15], 0, v[16:17]
	global_load_dwordx4 v[14:17], v[14:15], off offset:128
.LBB54_42:
	s_or_b64 exec, exec, s[2:3]
	s_branch .LBB54_46
.LBB54_43:
                                        ; implicit-def: $vgpr5
                                        ; implicit-def: $vgpr9
                                        ; implicit-def: $vgpr13
                                        ; implicit-def: $vgpr17
	v_lshrrev_b32_e32 v68, 2, v74
	s_branch .LBB54_47
.LBB54_44:
                                        ; implicit-def: $vgpr5
                                        ; implicit-def: $vgpr9
                                        ; implicit-def: $vgpr13
                                        ; implicit-def: $vgpr17
	s_cbranch_execz .LBB54_46
; %bb.45:
	s_waitcnt vmcnt(0)
	v_mad_u64_u32 v[2:3], s[0:1], v22, s19, v[20:21]
	v_lshlrev_b32_e32 v22, 1, v2
	s_lshl_b32 s2, s19, 7
	s_and_b32 s1, s5, 0xffff
	s_mov_b32 s3, 0x20000
	s_mov_b32 s0, s4
	v_add_lshl_u32 v23, v2, s19, 1
	s_movk_i32 s17, 0x80
	buffer_load_dwordx4 v[2:5], v22, s[0:3], 0 offen
	buffer_load_dwordx4 v[10:13], v22, s[0:3], s17 offen
	;; [unrolled: 1-line block ×4, first 2 shown]
.LBB54_46:
	v_lshrrev_b32_e32 v68, 2, v74
	s_cbranch_execnz .LBB54_59
.LBB54_47:
	s_and_b64 vcc, exec, s[6:7]
	s_cbranch_vccz .LBB54_57
; %bb.48:
	s_waitcnt vmcnt(0)
	v_lshlrev_b32_e32 v7, 1, v19
	v_cmp_gt_i32_e32 vcc, s54, v7
	v_mov_b32_e32 v6, 0
	v_lshlrev_b32_e32 v14, 9, v19
	v_mov_b32_e32 v2, 0
	v_mov_b32_e32 v3, 0
	v_mov_b32_e32 v4, 0
	v_mov_b32_e32 v5, 0
	s_and_saveexec_b64 s[0:1], vcc
	s_cbranch_execz .LBB54_50
; %bb.49:
	v_mov_b32_e32 v15, 0
	v_lshl_add_u64 v[2:3], s[4:5], 0, v[14:15]
	v_lshlrev_b32_e32 v4, 1, v20
	v_mov_b32_e32 v5, v15
	v_lshl_add_u64 v[2:3], v[2:3], 0, v[4:5]
	global_load_dwordx4 v[2:5], v[2:3], off
.LBB54_50:
	s_or_b64 exec, exec, s[0:1]
	v_or_b32_e32 v7, 1, v7
	v_cmp_gt_i32_e64 s[0:1], s54, v7
	v_lshlrev_b32_e32 v22, 8, v7
	v_mov_b32_e32 v7, 0
	v_mov_b32_e32 v8, 0
	;; [unrolled: 1-line block ×3, first 2 shown]
	s_and_saveexec_b64 s[2:3], s[0:1]
	s_cbranch_execz .LBB54_52
; %bb.51:
	v_mov_b32_e32 v23, 0
	v_lshl_add_u64 v[6:7], s[4:5], 0, v[22:23]
	v_lshlrev_b32_e32 v8, 1, v20
	v_mov_b32_e32 v9, v23
	v_lshl_add_u64 v[6:7], v[6:7], 0, v[8:9]
	global_load_dwordx4 v[6:9], v[6:7], off
.LBB54_52:
	s_or_b64 exec, exec, s[2:3]
	v_mov_b32_e32 v17, 0
	v_mov_b32_e32 v10, 0
	;; [unrolled: 1-line block ×5, first 2 shown]
	s_and_saveexec_b64 s[2:3], vcc
	s_cbranch_execz .LBB54_54
; %bb.53:
	v_mov_b32_e32 v15, 0
	v_lshl_add_u64 v[10:11], s[4:5], 0, v[14:15]
	v_lshlrev_b32_e32 v14, 1, v20
	v_lshl_add_u64 v[10:11], v[10:11], 0, v[14:15]
	global_load_dwordx4 v[10:13], v[10:11], off offset:128
.LBB54_54:
	s_or_b64 exec, exec, s[2:3]
	v_mov_b32_e32 v16, 0
	v_mov_b32_e32 v15, 0
	;; [unrolled: 1-line block ×3, first 2 shown]
	s_and_saveexec_b64 s[2:3], s[0:1]
	s_cbranch_execz .LBB54_56
; %bb.55:
	v_mov_b32_e32 v23, 0
	v_lshl_add_u64 v[14:15], s[4:5], 0, v[22:23]
	v_lshlrev_b32_e32 v22, 1, v20
	v_lshl_add_u64 v[14:15], v[14:15], 0, v[22:23]
	global_load_dwordx4 v[14:17], v[14:15], off offset:128
.LBB54_56:
	s_or_b64 exec, exec, s[2:3]
	s_branch .LBB54_59
.LBB54_57:
                                        ; implicit-def: $vgpr5
                                        ; implicit-def: $vgpr9
                                        ; implicit-def: $vgpr13
                                        ; implicit-def: $vgpr17
	s_cbranch_execz .LBB54_59
; %bb.58:
	s_waitcnt vmcnt(0)
	v_lshlrev_b32_e32 v2, 1, v20
	v_lshl_or_b32 v20, v19, 9, v2
	s_and_b32 s5, s5, 0xffff
	s_mov_b32 s7, 0x20000
	s_movk_i32 s6, 0x4000
	s_movk_i32 s0, 0x80
	buffer_load_dwordx4 v[2:5], v20, s[4:7], 0 offen
	buffer_load_dwordx4 v[6:9], v20, s[4:7], 0 offen offset:256
	buffer_load_dwordx4 v[10:13], v20, s[4:7], s0 offen
	buffer_load_dwordx4 v[14:17], v20, s[4:7], s0 offen offset:256
.LBB54_59:
	ds_read_b64 v[22:23], v32 offset:57344
	v_add_u32_e32 v20, 0x6000, v28
	ds_read2_b64 v[74:77], v20 offset1:16
	ds_read_b64 v[32:33], v33 offset:57344
	ds_read_b64 v[70:71], v66 offset:57344
	;; [unrolled: 1-line block ×3, first 2 shown]
	ds_read2st64_b64 v[78:81], v28 offset0:52 offset1:56
	v_and_b32_e32 v69, 1, v0
	v_cmp_eq_u32_e32 vcc, 0, v69
	s_mov_b32 s0, 0x1000504
	s_mov_b32 s1, 0x3020706
	s_waitcnt lgkmcnt(4)
	v_mfma_f32_16x16x16_bf16 a[0:3], v[22:23], v[74:75], a[0:3]
	v_mfma_f32_16x16x16_bf16 a[4:7], v[22:23], v[76:77], a[4:7]
	ds_read2_b64 v[74:77], v20 offset0:32 offset1:48
	v_and_b32_e32 v20, 6, v0
	v_xor_b32_e32 v19, v19, v20
	s_waitcnt lgkmcnt(0)
	v_mfma_f32_16x16x16_bf16 a[8:11], v[22:23], v[74:75], a[8:11]
	v_lshlrev_b32_e32 v19, 2, v19
	v_mfma_f32_16x16x16_bf16 a[12:15], v[22:23], v[76:77], a[12:15]
	ds_read2st64_b64 v[74:77], v29 offset0:52 offset1:56
	ds_read2st64_b64 v[82:85], v30 offset0:52 offset1:56
	ds_read2st64_b64 v[86:89], v31 offset0:52 offset1:56
	s_waitcnt lgkmcnt(2)
	v_mfma_f32_16x16x16_bf16 a[4:7], v[32:33], v[74:75], a[4:7]
	v_xor_b32_e32 v74, 0x440, v19
	v_cndmask_b32_e32 v19, v74, v19, vcc
	v_lshl_or_b32 v19, v20, 10, v19
	v_mfma_f32_16x16x16_bf16 a[0:3], v[32:33], v[78:79], a[0:3]
	s_waitcnt vmcnt(0)
	v_perm_b32 v20, v2, v6, s0
	ds_read_b64 v[22:23], v28 offset:30720
	ds_read_b64 v[78:79], v29 offset:30720
	;; [unrolled: 1-line block ×4, first 2 shown]
	v_perm_b32 v2, v2, v6, s1
	s_waitcnt lgkmcnt(5)
	v_mfma_f32_16x16x16_bf16 a[8:11], v[32:33], v[82:83], a[8:11]
	v_perm_b32 v6, v10, v14, s1
	s_waitcnt lgkmcnt(4)
	v_mfma_f32_16x16x16_bf16 a[12:15], v[32:33], v[86:87], a[12:15]
	v_perm_b32 v32, v10, v14, s0
	ds_write2st64_b32 v19, v20, v32 offset0:128 offset1:160
	v_xor_b32_e32 v20, 8, v19
	v_add_u32_e32 v10, 0x80, v20
	ds_write2st64_b32 v10, v2, v6 offset0:128 offset1:160
	v_xor_b32_e32 v2, 16, v19
	v_perm_b32 v6, v3, v7, s0
	v_perm_b32 v10, v11, v15, s0
	v_mfma_f32_16x16x16_bf16 a[0:3], v[70:71], v[80:81], a[0:3]
	ds_write2st64_b32 v2, v6, v10 offset0:129 offset1:161
	v_xor_b32_e32 v2, 24, v19
	v_perm_b32 v3, v3, v7, s1
	v_mfma_f32_16x16x16_bf16 a[4:7], v[70:71], v[76:77], a[4:7]
	v_perm_b32 v6, v11, v15, s1
	v_add_u32_e32 v2, 0x80, v2
	ds_write2st64_b32 v2, v3, v6 offset0:129 offset1:161
	v_mfma_f32_16x16x16_bf16 a[16:19], v[70:71], v[84:85], a[8:11]
	v_xor_b32_e32 v2, 32, v19
	v_perm_b32 v3, v4, v8, s0
	v_perm_b32 v6, v12, v16, s0
	v_mfma_f32_16x16x16_bf16 a[20:23], v[70:71], v[88:89], a[12:15]
	ds_write2st64_b32 v2, v3, v6 offset0:130 offset1:162
	v_xor_b32_e32 v2, 40, v19
	v_perm_b32 v3, v4, v8, s1
	s_waitcnt lgkmcnt(8)
	v_mfma_f32_16x16x16_bf16 a[12:15], v[66:67], v[22:23], a[0:3]
	v_perm_b32 v4, v12, v16, s1
	v_add_u32_e32 v2, 0x80, v2
	ds_write2st64_b32 v2, v3, v4 offset0:130 offset1:162
	s_waitcnt lgkmcnt(8)
	v_mfma_f32_16x16x16_bf16 a[8:11], v[66:67], v[78:79], a[4:7]
	v_xor_b32_e32 v2, 48, v19
	v_perm_b32 v3, v5, v9, s0
	v_perm_b32 v4, v13, v17, s0
	s_waitcnt lgkmcnt(7)
	v_mfma_f32_16x16x16_bf16 a[4:7], v[66:67], v[90:91], a[16:19]
	ds_write2st64_b32 v2, v3, v4 offset0:131 offset1:163
	v_xor_b32_e32 v2, 56, v19
	v_and_or_b32 v23, v68, 12, v73
	s_waitcnt lgkmcnt(7)
	v_mfma_f32_16x16x16_bf16 a[0:3], v[66:67], v[92:93], a[20:23]
	v_perm_b32 v3, v5, v9, s1
	v_perm_b32 v4, v13, v17, s1
	v_add_u32_e32 v2, 0x80, v2
	v_cmp_gt_i32_e32 vcc, s54, v23
	v_mov_b32_e32 v16, 0
	v_mov_b32_e32 v20, 0
	ds_write2st64_b32 v2, v3, v4 offset0:131 offset1:163
	s_and_saveexec_b64 s[0:1], vcc
	s_cbranch_execz .LBB54_61
; %bb.60:
	v_add_u32_e32 v2, s28, v23
	v_ashrrev_i32_e32 v3, 31, v2
	v_mul_lo_u32 v4, v3, s14
	v_mul_lo_u32 v5, v2, s15
	v_mad_u64_u32 v[2:3], s[2:3], v2, s14, 0
	v_add3_u32 v3, v3, v5, v4
	v_lshl_add_u64 v[2:3], v[2:3], 2, s[10:11]
	global_load_dword v2, v[2:3], off
	s_waitcnt vmcnt(0)
	v_sub_f32_e32 v2, s16, v2
	v_exp_f32_e32 v20, v2
.LBB54_61:
	s_or_b64 exec, exec, s[0:1]
	v_or_b32_e32 v8, 1, v23
	v_cmp_gt_i32_e64 s[0:1], s54, v8
	s_and_saveexec_b64 s[2:3], s[0:1]
	s_cbranch_execz .LBB54_63
; %bb.62:
	v_add_u32_e32 v2, s28, v8
	v_ashrrev_i32_e32 v3, 31, v2
	v_mul_lo_u32 v4, v3, s14
	v_mul_lo_u32 v5, v2, s15
	v_mad_u64_u32 v[2:3], s[4:5], v2, s14, 0
	v_add3_u32 v3, v3, v5, v4
	v_lshl_add_u64 v[2:3], v[2:3], 2, s[10:11]
	global_load_dword v2, v[2:3], off
	s_waitcnt vmcnt(0)
	v_sub_f32_e32 v2, s16, v2
	v_exp_f32_e32 v16, v2
.LBB54_63:
	s_or_b64 exec, exec, s[2:3]
	v_or_b32_e32 v9, 2, v23
	v_cmp_gt_i32_e64 s[2:3], s54, v9
	v_mov_b32_e32 v17, 0
	v_mov_b32_e32 v22, 0
	s_and_saveexec_b64 s[4:5], s[2:3]
	s_cbranch_execz .LBB54_65
; %bb.64:
	v_add_u32_e32 v2, s28, v9
	v_ashrrev_i32_e32 v3, 31, v2
	v_mul_lo_u32 v4, v3, s14
	v_mul_lo_u32 v5, v2, s15
	v_mad_u64_u32 v[2:3], s[6:7], v2, s14, 0
	v_add3_u32 v3, v3, v5, v4
	v_lshl_add_u64 v[2:3], v[2:3], 2, s[10:11]
	global_load_dword v2, v[2:3], off
	s_waitcnt vmcnt(0)
	v_sub_f32_e32 v2, s16, v2
	v_exp_f32_e32 v22, v2
.LBB54_65:
	s_or_b64 exec, exec, s[4:5]
	v_or_b32_e32 v32, 3, v23
	v_cmp_gt_i32_e64 s[4:5], s54, v32
	s_and_saveexec_b64 s[6:7], s[4:5]
	s_cbranch_execz .LBB54_67
; %bb.66:
	v_add_u32_e32 v2, s28, v32
	v_ashrrev_i32_e32 v3, 31, v2
	v_mul_lo_u32 v4, v3, s14
	v_mul_lo_u32 v5, v2, s15
	v_mad_u64_u32 v[2:3], s[14:15], v2, s14, 0
	v_add3_u32 v3, v3, v5, v4
	v_lshl_add_u64 v[2:3], v[2:3], 2, s[10:11]
	global_load_dword v2, v[2:3], off
	s_waitcnt vmcnt(0)
	v_sub_f32_e32 v2, s16, v2
	v_exp_f32_e32 v17, v2
.LBB54_67:
	s_or_b64 exec, exec, s[6:7]
	s_add_u32 s6, s8, s30
	v_accvgpr_read_b32 v2, a12
	s_addc_u32 s7, s9, s31
	v_ashrrev_i32_e32 v19, 31, v18
	v_accvgpr_read_b32 v3, a13
	v_accvgpr_read_b32 v4, a14
	v_accvgpr_read_b32 v5, a15
	v_lshl_add_u64 v[6:7], v[18:19], 1, s[6:7]
	v_mov_b32_e32 v13, 0
	v_lshlrev_b32_e32 v10, 8, v23
	v_mov_b32_e32 v11, 0
	s_and_saveexec_b64 s[6:7], vcc
	s_cbranch_execz .LBB54_69
; %bb.68:
	v_mov_b32_e32 v11, 0
	v_lshl_add_u64 v[14:15], v[6:7], 0, v[10:11]
	global_load_ushort v11, v[14:15], off
	s_waitcnt vmcnt(0)
	v_lshlrev_b32_e32 v11, 16, v11
	v_sub_f32_e32 v2, v11, v2
	v_mul_f32_e32 v2, v20, v2
	v_lshrrev_b32_e32 v11, 16, v2
.LBB54_69:
	s_or_b64 exec, exec, s[6:7]
	v_lshlrev_b32_e32 v12, 8, v8
	s_and_saveexec_b64 s[6:7], s[0:1]
	s_cbranch_execz .LBB54_71
; %bb.70:
	v_mov_b32_e32 v13, 0
	v_lshl_add_u64 v[14:15], v[6:7], 0, v[12:13]
	global_load_ushort v2, v[14:15], off
	s_waitcnt vmcnt(0)
	v_lshlrev_b32_e32 v2, 16, v2
	v_sub_f32_e32 v2, v2, v3
	v_mul_f32_e32 v2, v16, v2
	v_lshrrev_b32_e32 v13, 16, v2
.LBB54_71:
	s_or_b64 exec, exec, s[6:7]
	v_mov_b32_e32 v33, 0
	v_lshlrev_b32_e32 v14, 8, v9
	v_mov_b32_e32 v15, 0
	s_and_saveexec_b64 s[6:7], s[2:3]
	s_cbranch_execz .LBB54_73
; %bb.72:
	v_mov_b32_e32 v15, 0
	v_lshl_add_u64 v[2:3], v[6:7], 0, v[14:15]
	global_load_ushort v2, v[2:3], off
	s_waitcnt vmcnt(0)
	v_lshlrev_b32_e32 v2, 16, v2
	v_sub_f32_e32 v2, v2, v4
	v_mul_f32_e32 v2, v22, v2
	v_lshrrev_b32_e32 v15, 16, v2
.LBB54_73:
	s_or_b64 exec, exec, s[6:7]
	v_lshlrev_b32_e32 v8, 8, v32
	s_and_saveexec_b64 s[6:7], s[4:5]
	s_cbranch_execz .LBB54_75
; %bb.74:
	v_mov_b32_e32 v9, 0
	v_lshl_add_u64 v[2:3], v[6:7], 0, v[8:9]
	global_load_ushort v2, v[2:3], off
	s_waitcnt vmcnt(0)
	v_lshlrev_b32_e32 v2, 16, v2
	v_sub_f32_e32 v2, v2, v5
	v_mul_f32_e32 v2, v17, v2
	v_lshrrev_b32_e32 v33, 16, v2
.LBB54_75:
	s_or_b64 exec, exec, s[6:7]
	v_lshlrev_b32_e32 v19, 6, v23
	v_accvgpr_read_b32 v2, a8
	s_mov_b32 s6, 0x5040100
	v_or_b32_e32 v9, v19, v26
	v_accvgpr_read_b32 v3, a9
	v_accvgpr_read_b32 v4, a10
	;; [unrolled: 1-line block ×3, first 2 shown]
	v_perm_b32 v33, v33, v15, s6
	v_perm_b32 v32, v13, v11, s6
	v_lshlrev_b32_e32 v9, 1, v9
	v_mov_b32_e32 v13, 0
	v_mov_b32_e32 v11, 0
	ds_write_b64 v9, v[32:33] offset:24576
	s_and_saveexec_b64 s[6:7], vcc
	s_cbranch_execz .LBB54_77
; %bb.76:
	v_mov_b32_e32 v11, 0
	v_lshl_add_u64 v[32:33], v[6:7], 0, v[10:11]
	global_load_ushort v9, v[32:33], off offset:32
	s_waitcnt vmcnt(0)
	v_lshlrev_b32_e32 v9, 16, v9
	v_sub_f32_e32 v2, v9, v2
	v_mul_f32_e32 v2, v20, v2
	v_lshrrev_b32_e32 v11, 16, v2
.LBB54_77:
	s_or_b64 exec, exec, s[6:7]
	s_and_saveexec_b64 s[6:7], s[0:1]
	s_cbranch_execz .LBB54_79
; %bb.78:
	v_mov_b32_e32 v13, 0
	v_lshl_add_u64 v[32:33], v[6:7], 0, v[12:13]
	global_load_ushort v2, v[32:33], off offset:32
	s_waitcnt vmcnt(0)
	v_lshlrev_b32_e32 v2, 16, v2
	v_sub_f32_e32 v2, v2, v3
	v_mul_f32_e32 v2, v16, v2
	v_lshrrev_b32_e32 v13, 16, v2
.LBB54_79:
	s_or_b64 exec, exec, s[6:7]
	v_mov_b32_e32 v9, 0
	v_mov_b32_e32 v15, 0
	s_and_saveexec_b64 s[6:7], s[2:3]
	s_cbranch_execz .LBB54_81
; %bb.80:
	v_mov_b32_e32 v15, 0
	v_lshl_add_u64 v[2:3], v[6:7], 0, v[14:15]
	global_load_ushort v2, v[2:3], off offset:32
	s_waitcnt vmcnt(0)
	v_lshlrev_b32_e32 v2, 16, v2
	v_sub_f32_e32 v2, v2, v4
	v_mul_f32_e32 v2, v22, v2
	v_lshrrev_b32_e32 v15, 16, v2
.LBB54_81:
	s_or_b64 exec, exec, s[6:7]
	s_and_saveexec_b64 s[6:7], s[4:5]
	s_cbranch_execz .LBB54_83
; %bb.82:
	v_mov_b32_e32 v9, 0
	v_lshl_add_u64 v[2:3], v[6:7], 0, v[8:9]
	global_load_ushort v2, v[2:3], off offset:32
	s_waitcnt vmcnt(0)
	v_lshlrev_b32_e32 v2, 16, v2
	v_sub_f32_e32 v2, v2, v5
	v_mul_f32_e32 v2, v17, v2
	v_lshrrev_b32_e32 v9, 16, v2
.LBB54_83:
	s_or_b64 exec, exec, s[6:7]
	s_mov_b32 s6, 0x5040100
	v_accvgpr_read_b32 v2, a4
	v_perm_b32 v33, v9, v15, s6
	v_or_b32_e32 v9, v19, v25
	v_accvgpr_read_b32 v3, a5
	v_accvgpr_read_b32 v4, a6
	;; [unrolled: 1-line block ×3, first 2 shown]
	v_perm_b32 v32, v13, v11, s6
	v_lshlrev_b32_e32 v9, 1, v9
	v_mov_b32_e32 v13, 0
	v_mov_b32_e32 v11, 0
	ds_write_b64 v9, v[32:33] offset:24576
	s_and_saveexec_b64 s[6:7], vcc
	s_cbranch_execz .LBB54_85
; %bb.84:
	v_mov_b32_e32 v11, 0
	v_lshl_add_u64 v[32:33], v[6:7], 0, v[10:11]
	global_load_ushort v9, v[32:33], off offset:64
	s_waitcnt vmcnt(0)
	v_lshlrev_b32_e32 v9, 16, v9
	v_sub_f32_e32 v2, v9, v2
	v_mul_f32_e32 v2, v20, v2
	v_lshrrev_b32_e32 v11, 16, v2
.LBB54_85:
	s_or_b64 exec, exec, s[6:7]
	s_and_saveexec_b64 s[6:7], s[0:1]
	s_cbranch_execz .LBB54_87
; %bb.86:
	v_mov_b32_e32 v13, 0
	v_lshl_add_u64 v[32:33], v[6:7], 0, v[12:13]
	global_load_ushort v2, v[32:33], off offset:64
	s_waitcnt vmcnt(0)
	v_lshlrev_b32_e32 v2, 16, v2
	v_sub_f32_e32 v2, v2, v3
	v_mul_f32_e32 v2, v16, v2
	v_lshrrev_b32_e32 v13, 16, v2
.LBB54_87:
	s_or_b64 exec, exec, s[6:7]
	v_mov_b32_e32 v9, 0
	v_mov_b32_e32 v15, 0
	s_and_saveexec_b64 s[6:7], s[2:3]
	s_cbranch_execz .LBB54_89
; %bb.88:
	v_mov_b32_e32 v15, 0
	v_lshl_add_u64 v[2:3], v[6:7], 0, v[14:15]
	global_load_ushort v2, v[2:3], off offset:64
	s_waitcnt vmcnt(0)
	v_lshlrev_b32_e32 v2, 16, v2
	v_sub_f32_e32 v2, v2, v4
	v_mul_f32_e32 v2, v22, v2
	v_lshrrev_b32_e32 v15, 16, v2
.LBB54_89:
	s_or_b64 exec, exec, s[6:7]
	s_and_saveexec_b64 s[6:7], s[4:5]
	s_cbranch_execz .LBB54_91
; %bb.90:
	v_mov_b32_e32 v9, 0
	v_lshl_add_u64 v[2:3], v[6:7], 0, v[8:9]
	global_load_ushort v2, v[2:3], off offset:64
	s_waitcnt vmcnt(0)
	v_lshlrev_b32_e32 v2, 16, v2
	v_sub_f32_e32 v2, v2, v5
	v_mul_f32_e32 v2, v17, v2
	v_lshrrev_b32_e32 v9, 16, v2
.LBB54_91:
	s_or_b64 exec, exec, s[6:7]
	s_mov_b32 s6, 0x5040100
	v_accvgpr_read_b32 v5, a3
	v_perm_b32 v33, v9, v15, s6
	v_or_b32_e32 v9, v19, v24
	v_accvgpr_read_b32 v4, a2
	v_accvgpr_read_b32 v3, a1
	;; [unrolled: 1-line block ×3, first 2 shown]
	v_perm_b32 v32, v13, v11, s6
	v_lshlrev_b32_e32 v9, 1, v9
	v_mov_b32_e32 v13, 0
	v_mov_b32_e32 v11, 0
	ds_write_b64 v9, v[32:33] offset:24576
	s_and_saveexec_b64 s[6:7], vcc
	s_cbranch_execz .LBB54_93
; %bb.92:
	v_mov_b32_e32 v11, 0
	v_lshl_add_u64 v[10:11], v[6:7], 0, v[10:11]
	global_load_ushort v9, v[10:11], off offset:96
	s_waitcnt vmcnt(0)
	v_lshlrev_b32_e32 v9, 16, v9
	v_sub_f32_e32 v2, v9, v2
	v_mul_f32_e32 v2, v20, v2
	v_lshrrev_b32_e32 v11, 16, v2
.LBB54_93:
	s_or_b64 exec, exec, s[6:7]
	s_and_saveexec_b64 s[6:7], s[0:1]
	s_cbranch_execz .LBB54_95
; %bb.94:
	v_mov_b32_e32 v13, 0
	v_lshl_add_u64 v[12:13], v[6:7], 0, v[12:13]
	global_load_ushort v2, v[12:13], off offset:96
	s_waitcnt vmcnt(0)
	v_lshlrev_b32_e32 v2, 16, v2
	v_sub_f32_e32 v2, v2, v3
	v_mul_f32_e32 v2, v16, v2
	v_lshrrev_b32_e32 v13, 16, v2
.LBB54_95:
	s_or_b64 exec, exec, s[6:7]
	v_mov_b32_e32 v9, 0
	v_mov_b32_e32 v12, 0
	s_and_saveexec_b64 s[0:1], s[2:3]
	s_cbranch_execz .LBB54_97
; %bb.96:
	v_mov_b32_e32 v15, 0
	v_lshl_add_u64 v[2:3], v[6:7], 0, v[14:15]
	global_load_ushort v2, v[2:3], off offset:96
	s_waitcnt vmcnt(0)
	v_lshlrev_b32_e32 v2, 16, v2
	v_sub_f32_e32 v2, v2, v4
	v_mul_f32_e32 v2, v22, v2
	v_lshrrev_b32_e32 v12, 16, v2
.LBB54_97:
	s_or_b64 exec, exec, s[0:1]
	v_or_b32_e32 v10, 0x6000, v28
	v_or_b32_e32 v4, 0x6000, v29
	;; [unrolled: 1-line block ×4, first 2 shown]
	s_and_saveexec_b64 s[0:1], s[4:5]
	s_cbranch_execz .LBB54_99
; %bb.98:
	v_mov_b32_e32 v9, 0
	v_lshl_add_u64 v[6:7], v[6:7], 0, v[8:9]
	global_load_ushort v6, v[6:7], off offset:96
	s_waitcnt vmcnt(0)
	v_lshlrev_b32_e32 v6, 16, v6
	v_sub_f32_e32 v5, v6, v5
	v_mul_f32_e32 v5, v17, v5
	v_lshrrev_b32_e32 v9, 16, v5
.LBB54_99:
	s_or_b64 exec, exec, s[0:1]
	s_mov_b32 s0, 0x5040100
	v_or_b32_e32 v5, v19, v21
	v_perm_b32 v7, v9, v12, s0
	v_perm_b32 v6, v13, v11, s0
	v_lshlrev_b32_e32 v5, 1, v5
	s_movk_i32 s0, 0x100
	ds_write_b64 v5, v[6:7] offset:24576
	v_and_b32_e32 v5, 7, v0
	v_and_b32_e32 v6, 8, v0
	v_cmp_gt_u32_e32 vcc, s0, v0
	v_lshrrev_b32_e32 v0, 1, v0
	v_mov_b32_e32 v7, 0xa000
	v_mov_b32_e32 v8, 0x8000
	v_lshlrev_b32_e32 v26, 3, v72
	v_and_b32_e32 v0, 24, v0
	v_cndmask_b32_e32 v19, v7, v8, vcc
	v_xor_b32_e32 v7, v26, v0
	v_or_b32_e32 v8, 0x440, v7
	v_cmp_eq_u32_e32 vcc, 0, v6
	v_lshlrev_b32_e32 v11, 3, v5
	v_lshlrev_b32_e32 v5, 7, v5
	v_cndmask_b32_e32 v6, v8, v7, vcc
	v_or_b32_e32 v6, v6, v27
	v_xad_u32 v32, v6, v11, v5
	v_add_u32_e32 v6, v19, v32
	s_waitcnt lgkmcnt(0)
	s_barrier
	ds_read_b64 v[16:17], v6
	ds_read2_b64 v[6:9], v10 offset1:16
	ds_read2_b64 v[12:15], v10 offset0:32 offset1:48
	v_or_b32_e32 v20, 32, v0
	v_xor_b32_e32 v20, v26, v20
	v_or_b32_e32 v21, 0x440, v20
	v_cndmask_b32_e32 v20, v21, v20, vcc
	s_waitcnt lgkmcnt(1)
	v_mfma_f32_16x16x16_bf16 a[0:3], v[16:17], v[6:7], 0
	v_or_b32_e32 v20, v20, v27
	v_xad_u32 v33, v20, v11, v5
	v_add_u32_e32 v20, v19, v33
	v_mfma_f32_16x16x16_bf16 a[4:7], v[16:17], v[8:9], 0
	ds_read_b64 v[24:25], v20
	ds_read2st64_b64 v[28:31], v4 offset0:4 offset1:8
	ds_read2st64_b64 v[66:69], v3 offset0:4 offset1:8
	s_waitcnt lgkmcnt(3)
	v_mfma_f32_16x16x16_bf16 a[8:11], v[16:17], v[12:13], 0
	ds_read2st64_b64 v[70:73], v2 offset0:4 offset1:8
	v_mfma_f32_16x16x16_bf16 a[12:15], v[16:17], v[14:15], 0
	v_or_b32_e32 v16, 64, v0
	v_xor_b32_e32 v16, v26, v16
	v_xor_b32_e32 v17, 0x440, v16
	v_cndmask_b32_e32 v16, v17, v16, vcc
	v_or_b32_e32 v16, v16, v27
	v_xad_u32 v74, v16, v11, v5
	v_add_u32_e32 v16, v19, v74
	ds_read_b64 v[16:17], v16
	ds_read2st64_b64 v[20:23], v10 offset0:4 offset1:8
	v_or_b32_e32 v0, 0x60, v0
	v_xor_b32_e32 v0, v26, v0
	s_waitcnt lgkmcnt(0)
	v_mfma_f32_16x16x16_bf16 a[0:3], v[24:25], v[20:21], a[0:3]
	v_mfma_f32_16x16x16_bf16 a[4:7], v[24:25], v[28:29], a[4:7]
	;; [unrolled: 1-line block ×4, first 2 shown]
	v_xor_b32_e32 v24, 0x440, v0
	v_cndmask_b32_e32 v0, v24, v0, vcc
	v_or_b32_e32 v0, v0, v27
	v_xad_u32 v26, v0, v11, v5
	v_add_u32_e32 v0, v19, v26
	v_mfma_f32_16x16x16_bf16 a[0:3], v[16:17], v[22:23], a[0:3]
	ds_read_b64 v[24:25], v0
	ds_read_b64 v[10:11], v10 offset:6144
	v_exp_f32_e32 v0, s16
	v_mfma_f32_16x16x16_bf16 a[4:7], v[16:17], v[30:31], a[4:7]
	v_mfma_f32_16x16x16_bf16 a[8:11], v[16:17], v[68:69], a[8:11]
	;; [unrolled: 1-line block ×3, first 2 shown]
	ds_read_b64 v[4:5], v4 offset:6144
	ds_read_b64 v[16:17], v3 offset:6144
	;; [unrolled: 1-line block ×3, first 2 shown]
	s_waitcnt lgkmcnt(3)
	v_mfma_f32_16x16x16_bf16 a[0:3], v[24:25], v[10:11], a[0:3]
	s_waitcnt lgkmcnt(2)
	v_mfma_f32_16x16x16_bf16 a[4:7], v[24:25], v[4:5], a[4:7]
	;; [unrolled: 2-line block ×4, first 2 shown]
	ds_read_b64 v[24:25], v32 offset:40960
	s_waitcnt lgkmcnt(0)
	v_mfma_f32_16x16x16_bf16 a[16:19], v[24:25], v[6:7], 0
	ds_read_b64 v[6:7], v33 offset:40960
	v_mfma_f32_16x16x16_bf16 a[20:23], v[24:25], v[8:9], 0
	ds_read_b64 v[8:9], v74 offset:40960
	v_mfma_f32_16x16x16_bf16 a[24:27], v[24:25], v[12:13], 0
	v_accvgpr_read_b32 v13, a3
	v_accvgpr_read_b32 v12, a2
	v_pk_fma_f32 v[64:65], v[0:1], v[64:65], v[12:13] op_sel_hi:[0,1,1]
	v_mfma_f32_16x16x16_bf16 a[28:31], v[24:25], v[14:15], 0
	ds_read_b64 v[12:13], v26 offset:40960
	v_accvgpr_read_b32 v15, a7
	v_accvgpr_read_b32 v14, a6
	s_waitcnt lgkmcnt(2)
	v_mfma_f32_16x16x16_bf16 a[16:19], v[6:7], v[20:21], a[16:19]
	v_accvgpr_read_b32 v21, a15
	v_accvgpr_read_b32 v20, a14
	v_pk_fma_f32 v[56:57], v[0:1], v[56:57], v[14:15] op_sel_hi:[0,1,1]
	v_mfma_f32_16x16x16_bf16 a[20:23], v[6:7], v[28:29], a[20:23]
	v_pk_fma_f32 v[40:41], v[0:1], v[40:41], v[20:21] op_sel_hi:[0,1,1]
	v_mfma_f32_16x16x16_bf16 a[24:27], v[6:7], v[66:67], a[24:27]
	v_mfma_f32_16x16x16_bf16 a[28:31], v[6:7], v[70:71], a[28:31]
	v_accvgpr_read_b32 v7, a11
	v_accvgpr_read_b32 v6, a10
	v_pk_fma_f32 v[48:49], v[0:1], v[48:49], v[6:7] op_sel_hi:[0,1,1]
	s_waitcnt lgkmcnt(1)
	v_mfma_f32_16x16x16_bf16 a[16:19], v[8:9], v[22:23], a[16:19]
	v_accvgpr_read_b32 v23, a1
	v_accvgpr_read_b32 v22, a0
	v_pk_fma_f32 v[62:63], v[0:1], v[62:63], v[22:23] op_sel_hi:[0,1,1]
	v_mfma_f32_16x16x16_bf16 a[0:3], v[8:9], v[30:31], a[20:23]
	v_accvgpr_read_b32 v23, a5
	v_accvgpr_read_b32 v22, a4
	;; [unrolled: 1-line block ×3, first 2 shown]
	v_mfma_f32_16x16x16_bf16 a[20:23], v[8:9], v[68:69], a[24:27]
	v_accvgpr_read_b32 v7, a13
	v_pk_fma_f32 v[38:39], v[0:1], v[38:39], v[6:7] op_sel_hi:[0,1,1]
	v_pk_fma_f32 v[54:55], v[0:1], v[54:55], v[22:23] op_sel_hi:[0,1,1]
	v_mfma_f32_16x16x16_bf16 a[4:7], v[8:9], v[72:73], a[28:31]
	v_accvgpr_read_b32 v8, a8
	v_accvgpr_read_b32 v9, a9
	v_pk_fma_f32 v[46:47], v[0:1], v[46:47], v[8:9] op_sel_hi:[0,1,1]
	s_waitcnt lgkmcnt(0)
	v_mfma_f32_16x16x16_bf16 a[8:11], v[12:13], v[10:11], a[16:19]
	v_mfma_f32_16x16x16_bf16 a[0:3], v[12:13], v[4:5], a[0:3]
	s_nop 5
	v_accvgpr_read_b32 v5, a11
	v_accvgpr_read_b32 v4, a10
	v_mfma_f32_16x16x16_bf16 a[10:13], v[12:13], v[16:17], a[20:23]
	v_pk_fma_f32 v[60:61], v[0:1], v[60:61], v[4:5] op_sel_hi:[0,1,1]
	v_accvgpr_read_b32 v7, a3
	v_accvgpr_read_b32 v6, a2
	v_mfma_f32_16x16x16_bf16 a[2:5], v[12:13], v[2:3], a[4:7]
	v_accvgpr_read_b32 v5, a1
	v_accvgpr_read_b32 v4, a0
	v_pk_fma_f32 v[50:51], v[0:1], v[50:51], v[4:5] op_sel_hi:[0,1,1]
	v_accvgpr_read_b32 v4, a10
	v_accvgpr_read_b32 v5, a11
	;; [unrolled: 1-line block ×3, first 2 shown]
	v_pk_fma_f32 v[42:43], v[0:1], v[42:43], v[4:5] op_sel_hi:[0,1,1]
	v_accvgpr_read_b32 v5, a3
	v_accvgpr_read_b32 v9, a13
	;; [unrolled: 1-line block ×7, first 2 shown]
	v_pk_fma_f32 v[58:59], v[0:1], v[58:59], v[10:11] op_sel_hi:[0,1,1]
	v_pk_fma_f32 v[52:53], v[0:1], v[52:53], v[6:7] op_sel_hi:[0,1,1]
	;; [unrolled: 1-line block ×5, first 2 shown]
	v_mov_b32_e32 v2, v18
.LBB54_100:
	s_mul_i32 s0, s33, s35
	s_mul_hi_u32 s1, s33, s34
	s_add_i32 s0, s1, s0
	s_mul_i32 s1, s44, s34
	s_add_i32 s1, s0, s1
	s_mul_i32 s0, s33, s34
	s_add_u32 s0, s0, s45
	s_addc_u32 s1, s1, s29
	s_lshl_b64 s[0:1], s[0:1], 15
	s_add_u32 s0, s12, s0
	v_lshlrev_b32_e32 v2, 7, v2
	s_addc_u32 s1, s13, s1
	v_ashrrev_i32_e32 v3, 31, v2
	v_lshl_add_u64 v[4:5], v[2:3], 1, s[0:1]
	v_lshlrev_b32_e32 v0, 1, v1
	v_mov_b32_e32 v1, 0
	s_mov_b32 s2, 0x7060302
	v_lshl_add_u64 v[4:5], v[4:5], 0, v[0:1]
	v_perm_b32 v7, v65, v64, s2
	v_perm_b32 v6, v63, v62, s2
	global_store_dwordx2 v[4:5], v[6:7], off
	v_perm_b32 v7, v61, v60, s2
	v_perm_b32 v6, v59, v58, s2
	global_store_dwordx2 v[4:5], v[6:7], off offset:128
	v_or_b32_e32 v4, 0x800, v2
	v_ashrrev_i32_e32 v5, 31, v4
	v_lshl_add_u64 v[4:5], v[4:5], 1, s[0:1]
	v_lshl_add_u64 v[4:5], v[4:5], 0, v[0:1]
	v_perm_b32 v7, v57, v56, s2
	v_perm_b32 v6, v55, v54, s2
	global_store_dwordx2 v[4:5], v[6:7], off
	v_perm_b32 v7, v53, v52, s2
	v_perm_b32 v6, v51, v50, s2
	global_store_dwordx2 v[4:5], v[6:7], off offset:128
	v_or_b32_e32 v4, 0x1000, v2
	v_or_b32_e32 v2, 0x1800, v2
	v_ashrrev_i32_e32 v5, 31, v4
	v_ashrrev_i32_e32 v3, 31, v2
	v_lshl_add_u64 v[4:5], v[4:5], 1, s[0:1]
	v_lshl_add_u64 v[2:3], v[2:3], 1, s[0:1]
	;; [unrolled: 1-line block ×3, first 2 shown]
	v_perm_b32 v7, v49, v48, s2
	v_perm_b32 v6, v47, v46, s2
	v_lshl_add_u64 v[0:1], v[2:3], 0, v[0:1]
	v_perm_b32 v3, v41, v40, s2
	v_perm_b32 v2, v39, v38, s2
	global_store_dwordx2 v[4:5], v[6:7], off
	v_perm_b32 v7, v45, v44, s2
	v_perm_b32 v6, v43, v42, s2
	global_store_dwordx2 v[0:1], v[2:3], off
	v_perm_b32 v3, v35, v34, s2
	v_perm_b32 v2, v37, v36, s2
	global_store_dwordx2 v[4:5], v[6:7], off offset:128
	global_store_dwordx2 v[0:1], v[2:3], off offset:128
	s_endpgm
	.section	.rodata,"a",@progbits
	.p2align	6, 0x0
	.amdhsa_kernel _ZN12_GLOBAL__N_139chunk_gated_delta_rule_fwd_h_hip_kernelILi64ELb0ELb1ELb0ELb1ELb1ELb0ELb0ELb1EEEvPK12hip_bfloat16S3_S3_PKfS5_PKvPS1_S8_PvPKiSB_iiiiilll
		.amdhsa_group_segment_fixed_size 65536
		.amdhsa_private_segment_fixed_size 0
		.amdhsa_kernarg_size 136
		.amdhsa_user_sgpr_count 2
		.amdhsa_user_sgpr_dispatch_ptr 0
		.amdhsa_user_sgpr_queue_ptr 0
		.amdhsa_user_sgpr_kernarg_segment_ptr 1
		.amdhsa_user_sgpr_dispatch_id 0
		.amdhsa_user_sgpr_kernarg_preload_length 0
		.amdhsa_user_sgpr_kernarg_preload_offset 0
		.amdhsa_user_sgpr_private_segment_size 0
		.amdhsa_uses_dynamic_stack 0
		.amdhsa_enable_private_segment 0
		.amdhsa_system_sgpr_workgroup_id_x 1
		.amdhsa_system_sgpr_workgroup_id_y 1
		.amdhsa_system_sgpr_workgroup_id_z 0
		.amdhsa_system_sgpr_workgroup_info 0
		.amdhsa_system_vgpr_workitem_id 0
		.amdhsa_next_free_vgpr 216
		.amdhsa_next_free_sgpr 65
		.amdhsa_accum_offset 180
		.amdhsa_reserve_vcc 1
		.amdhsa_float_round_mode_32 0
		.amdhsa_float_round_mode_16_64 0
		.amdhsa_float_denorm_mode_32 3
		.amdhsa_float_denorm_mode_16_64 3
		.amdhsa_dx10_clamp 1
		.amdhsa_ieee_mode 1
		.amdhsa_fp16_overflow 0
		.amdhsa_tg_split 0
		.amdhsa_exception_fp_ieee_invalid_op 0
		.amdhsa_exception_fp_denorm_src 0
		.amdhsa_exception_fp_ieee_div_zero 0
		.amdhsa_exception_fp_ieee_overflow 0
		.amdhsa_exception_fp_ieee_underflow 0
		.amdhsa_exception_fp_ieee_inexact 0
		.amdhsa_exception_int_div_zero 0
	.end_amdhsa_kernel
	.section	.text._ZN12_GLOBAL__N_139chunk_gated_delta_rule_fwd_h_hip_kernelILi64ELb0ELb1ELb0ELb1ELb1ELb0ELb0ELb1EEEvPK12hip_bfloat16S3_S3_PKfS5_PKvPS1_S8_PvPKiSB_iiiiilll,"axG",@progbits,_ZN12_GLOBAL__N_139chunk_gated_delta_rule_fwd_h_hip_kernelILi64ELb0ELb1ELb0ELb1ELb1ELb0ELb0ELb1EEEvPK12hip_bfloat16S3_S3_PKfS5_PKvPS1_S8_PvPKiSB_iiiiilll,comdat
.Lfunc_end54:
	.size	_ZN12_GLOBAL__N_139chunk_gated_delta_rule_fwd_h_hip_kernelILi64ELb0ELb1ELb0ELb1ELb1ELb0ELb0ELb1EEEvPK12hip_bfloat16S3_S3_PKfS5_PKvPS1_S8_PvPKiSB_iiiiilll, .Lfunc_end54-_ZN12_GLOBAL__N_139chunk_gated_delta_rule_fwd_h_hip_kernelILi64ELb0ELb1ELb0ELb1ELb1ELb0ELb0ELb1EEEvPK12hip_bfloat16S3_S3_PKfS5_PKvPS1_S8_PvPKiSB_iiiiilll
                                        ; -- End function
	.section	.AMDGPU.csdata,"",@progbits
; Kernel info:
; codeLenInByte = 12068
; NumSgprs: 71
; NumVgprs: 178
; NumAgprs: 36
; TotalNumVgprs: 216
; ScratchSize: 0
; MemoryBound: 0
; FloatMode: 240
; IeeeMode: 1
; LDSByteSize: 65536 bytes/workgroup (compile time only)
; SGPRBlocks: 8
; VGPRBlocks: 26
; NumSGPRsForWavesPerEU: 71
; NumVGPRsForWavesPerEU: 216
; AccumOffset: 180
; Occupancy: 1
; WaveLimiterHint : 1
; COMPUTE_PGM_RSRC2:SCRATCH_EN: 0
; COMPUTE_PGM_RSRC2:USER_SGPR: 2
; COMPUTE_PGM_RSRC2:TRAP_HANDLER: 0
; COMPUTE_PGM_RSRC2:TGID_X_EN: 1
; COMPUTE_PGM_RSRC2:TGID_Y_EN: 1
; COMPUTE_PGM_RSRC2:TGID_Z_EN: 0
; COMPUTE_PGM_RSRC2:TIDIG_COMP_CNT: 0
; COMPUTE_PGM_RSRC3_GFX90A:ACCUM_OFFSET: 44
; COMPUTE_PGM_RSRC3_GFX90A:TG_SPLIT: 0
	.section	.text._ZN12_GLOBAL__N_139chunk_gated_delta_rule_fwd_h_hip_kernelILi64ELb0ELb0ELb1ELb1ELb1ELb0ELb0ELb1EEEvPK12hip_bfloat16S3_S3_PKfS5_PKvPS1_S8_PvPKiSB_iiiiilll,"axG",@progbits,_ZN12_GLOBAL__N_139chunk_gated_delta_rule_fwd_h_hip_kernelILi64ELb0ELb0ELb1ELb1ELb1ELb0ELb0ELb1EEEvPK12hip_bfloat16S3_S3_PKfS5_PKvPS1_S8_PvPKiSB_iiiiilll,comdat
	.globl	_ZN12_GLOBAL__N_139chunk_gated_delta_rule_fwd_h_hip_kernelILi64ELb0ELb0ELb1ELb1ELb1ELb0ELb0ELb1EEEvPK12hip_bfloat16S3_S3_PKfS5_PKvPS1_S8_PvPKiSB_iiiiilll ; -- Begin function _ZN12_GLOBAL__N_139chunk_gated_delta_rule_fwd_h_hip_kernelILi64ELb0ELb0ELb1ELb1ELb1ELb0ELb0ELb1EEEvPK12hip_bfloat16S3_S3_PKfS5_PKvPS1_S8_PvPKiSB_iiiiilll
	.p2align	8
	.type	_ZN12_GLOBAL__N_139chunk_gated_delta_rule_fwd_h_hip_kernelILi64ELb0ELb0ELb1ELb1ELb1ELb0ELb0ELb1EEEvPK12hip_bfloat16S3_S3_PKfS5_PKvPS1_S8_PvPKiSB_iiiiilll,@function
_ZN12_GLOBAL__N_139chunk_gated_delta_rule_fwd_h_hip_kernelILi64ELb0ELb0ELb1ELb1ELb1ELb0ELb0ELb1EEEvPK12hip_bfloat16S3_S3_PKfS5_PKvPS1_S8_PvPKiSB_iiiiilll: ; @_ZN12_GLOBAL__N_139chunk_gated_delta_rule_fwd_h_hip_kernelILi64ELb0ELb0ELb1ELb1ELb1ELb0ELb0ELb1EEEvPK12hip_bfloat16S3_S3_PKfS5_PKvPS1_S8_PvPKiSB_iiiiilll
; %bb.0:
	s_load_dwordx4 s[16:19], s[0:1], 0x5c
	s_load_dwordx4 s[20:23], s[0:1], 0x70
	s_abs_i32 s25, s3
	s_ashr_i32 s24, s3, 31
	s_load_dwordx4 s[12:15], s[0:1], 0x30
	s_load_dwordx4 s[28:31], s[0:1], 0x48
	s_waitcnt lgkmcnt(0)
	s_abs_i32 s34, s17
	v_cvt_f32_u32_e32 v1, s34
	s_sub_i32 s26, 0, s34
	s_ashr_i32 s35, s17, 31
	s_xor_b32 s24, s24, s35
	v_rcp_iflag_f32_e32 v1, v1
	s_load_dwordx8 s[4:11], s[0:1], 0x0
	v_lshrrev_b32_e32 v76, 6, v0
	v_bfe_u32 v77, v0, 4, 2
	v_mul_f32_e32 v1, 0x4f7ffffe, v1
	v_cvt_u32_f32_e32 v1, v1
	v_lshlrev_b32_e32 v2, 2, v77
	v_and_b32_e32 v75, 63, v0
	v_mov_b32_e32 v35, 0
	v_readfirstlane_b32 s27, v1
	s_mul_i32 s26, s26, s27
	s_mul_hi_u32 s26, s27, s26
	s_add_i32 s27, s27, s26
	s_mul_hi_u32 s26, s25, s27
	s_mul_i32 s27, s26, s34
	s_sub_i32 s25, s25, s27
	s_add_i32 s33, s26, 1
	s_sub_i32 s27, s25, s34
	s_cmp_ge_u32 s25, s34
	s_cselect_b32 s26, s33, s26
	s_cselect_b32 s25, s27, s25
	s_add_i32 s27, s26, 1
	s_cmp_ge_u32 s25, s34
	s_cselect_b32 s25, s27, s26
	s_xor_b32 s25, s25, s24
	s_sub_i32 s24, s25, s24
	s_mul_i32 s25, s24, s17
	s_sub_i32 s33, s3, s25
	s_ashr_i32 s25, s24, 31
	s_lshl_b64 s[26:27], s[24:25], 2
	s_add_u32 s28, s28, s26
	s_addc_u32 s29, s29, s27
	s_add_u32 s26, s30, s26
	s_addc_u32 s27, s31, s27
	s_abs_i32 s3, s18
	v_cvt_f32_u32_e32 v1, s3
	s_load_dwordx2 s[38:39], s[28:29], 0x0
	s_sub_i32 s29, 0, s3
	s_load_dword s46, s[26:27], 0x0
	v_rcp_iflag_f32_e32 v1, v1
	v_and_b32_e32 v74, 15, v0
	s_waitcnt lgkmcnt(0)
	s_sub_i32 s47, s39, s38
	s_ashr_i32 s28, s47, 31
	v_mul_f32_e32 v1, 0x4f7ffffe, v1
	v_cvt_u32_f32_e32 v1, v1
	s_lshr_b32 s28, s28, 26
	s_add_i32 s28, s47, s28
	s_ashr_i32 s45, s28, 6
	v_readfirstlane_b32 s30, v1
	s_mul_i32 s29, s29, s30
	s_mul_hi_u32 s29, s30, s29
	s_add_i32 s30, s30, s29
	s_mul_hi_u32 s29, s34, s30
	s_mul_i32 s30, s29, s3
	s_ashr_i32 s28, s18, 31
	s_sub_i32 s30, s34, s30
	s_xor_b32 s28, s35, s28
	s_add_i32 s31, s29, 1
	s_sub_i32 s34, s30, s3
	s_cmp_ge_u32 s30, s3
	s_cselect_b32 s29, s31, s29
	s_cselect_b32 s30, s34, s30
	s_add_i32 s31, s29, 1
	s_cmp_ge_u32 s30, s3
	s_cselect_b32 s3, s31, s29
	s_xor_b32 s3, s3, s28
	s_sub_i32 s3, s3, s28
	s_abs_i32 s28, s3
	v_cvt_f32_u32_e32 v1, s28
	s_load_dwordx2 s[34:35], s[0:1], 0x80
	s_xor_b32 s0, s33, s3
	s_sub_i32 s3, 0, s28
	v_rcp_iflag_f32_e32 v1, v1
	s_abs_i32 s1, s33
	s_ashr_i32 s0, s0, 31
	s_mul_hi_i32 s48, s33, s16
	v_mul_f32_e32 v1, 0x4f7ffffe, v1
	v_cvt_u32_f32_e32 v1, v1
	s_mul_i32 s49, s33, s16
	v_lshrrev_b32_e32 v79, 3, v75
	v_lshlrev_b32_e32 v78, 3, v0
	v_readfirstlane_b32 s26, v1
	s_mul_i32 s3, s3, s26
	s_mul_hi_u32 s3, s26, s3
	s_add_i32 s26, s26, s3
	s_mul_hi_u32 s3, s1, s26
	s_mul_i32 s26, s3, s28
	s_sub_i32 s1, s1, s26
	s_add_i32 s26, s3, 1
	s_sub_i32 s27, s1, s28
	s_cmp_ge_u32 s1, s28
	s_cselect_b32 s3, s26, s3
	s_cselect_b32 s1, s27, s1
	s_add_i32 s26, s3, 1
	s_cmp_ge_u32 s1, s28
	s_cselect_b32 s1, s26, s3
	s_xor_b32 s1, s1, s0
	v_lshlrev_b32_e32 v1, 4, v76
	s_sub_i32 s50, s1, s0
	v_or_b32_e32 v80, v2, v1
	s_lshl_b32 s36, s2, 6
	v_or_b32_e32 v81, 64, v80
	s_cmp_lt_i32 s47, 64
	s_mul_i32 s42, s24, s21
	s_mul_hi_u32 s43, s24, s20
	s_mul_i32 s44, s25, s20
	s_mul_i32 s20, s24, s20
	v_mov_b32_e32 v34, v35
	v_mov_b32_e32 v41, v35
	;; [unrolled: 1-line block ×31, first 2 shown]
	s_cbranch_scc1 .LBB55_18
; %bb.1:
	s_ashr_i32 s53, s33, 31
	s_ashr_i32 s1, s38, 31
	s_add_u32 s0, s49, s38
	s_addc_u32 s1, s48, s1
	s_lshl_b64 s[0:1], s[0:1], 8
	v_and_b32_e32 v83, 56, v78
	s_add_u32 s0, s6, s0
	v_lshl_or_b32 v82, v76, 3, v79
	v_lshlrev_b32_e32 v3, 1, v83
	s_addc_u32 s1, s7, s1
	v_lshl_or_b32 v84, v82, 8, v3
	s_and_b32 s1, s1, 0xffff
	s_mov_b32 s3, 0x20000
	s_movk_i32 s2, 0x4000
	s_movk_i32 s21, 0x80
	v_or_b32_e32 v85, 0x2000, v84
	buffer_load_dwordx4 v[4:7], v84, s[0:3], 0 offen
	buffer_load_dwordx4 v[8:11], v84, s[0:3], s21 offen
	;; [unrolled: 1-line block ×4, first 2 shown]
	v_lshlrev_b32_e32 v20, 3, v82
	v_and_or_b32 v22, v0, 7, v20
	v_and_b32_e32 v20, 0x78, v20
	v_lshlrev_b32_e32 v22, 4, v22
	v_xor_b32_e32 v86, v22, v20
	v_mul_lo_u32 v21, v82, s19
	v_or_b32_e32 v87, 0x1000, v86
	s_cmpk_eq_i32 s19, 0x80
	s_mov_b32 s51, s17
	s_mov_b32 s52, s38
	v_xor_b32_e32 v20, 8, v86
	v_xor_b32_e32 v22, 8, v87
	s_cselect_b64 s[0:1], -1, 0
	s_cmpk_lg_i32 s19, 0x80
	s_waitcnt vmcnt(3)
	ds_write_b64 v86, v[4:5] offset:49152
	ds_write_b64 v20, v[6:7] offset:49152
	s_waitcnt vmcnt(2)
	ds_write_b64 v86, v[8:9] offset:57344
	ds_write_b64 v20, v[10:11] offset:57344
	;; [unrolled: 3-line block ×4, first 2 shown]
	v_lshl_add_u32 v4, v21, 1, v83
	s_cbranch_scc0 .LBB55_3
; %bb.2:
	v_lshlrev_b32_e32 v6, 1, v4
	v_add_lshl_u32 v5, v4, s19, 1
	s_lshl_b32 s26, s19, 7
	v_lshl_or_b32 v3, v82, 9, v3
	s_cbranch_execz .LBB55_4
	s_branch .LBB55_5
.LBB55_3:
                                        ; implicit-def: $vgpr5
                                        ; implicit-def: $vgpr6
                                        ; implicit-def: $sgpr26
	v_lshl_or_b32 v3, v82, 9, v3
.LBB55_4:
	v_or_b32_e32 v5, 0x100, v3
	s_movk_i32 s26, 0x4000
	v_mov_b32_e32 v6, v3
.LBB55_5:
	s_mul_i32 s2, s38, s18
	s_ashr_i32 s54, s50, 31
	s_mul_hi_i32 s3, s38, s18
	s_add_u32 s2, s2, s50
	s_addc_u32 s3, s3, s54
	s_lshl_b64 s[2:3], s[2:3], 8
	s_add_u32 s24, s4, s2
	s_addc_u32 s2, s5, s3
	s_and_b32 s25, s2, 0xffff
	s_mov_b32 s27, 0x20000
	s_movk_i32 s55, 0x80
	buffer_load_dwordx4 v[8:11], v6, s[24:27], 0 offen
	buffer_load_dwordx4 v[12:15], v6, s[24:27], s55 offen
	;; [unrolled: 1-line block ×4, first 2 shown]
	v_and_b32_e32 v5, 6, v0
	v_lshlrev_b32_e32 v6, 7, v80
	v_xor_b32_e32 v28, v82, v5
	v_and_b32_e32 v7, 1, v0
	v_lshl_or_b32 v31, v74, 3, v6
	v_lshlrev_b32_e32 v28, 2, v28
	v_lshlrev_b32_e32 v24, 2, v74
	v_or_b32_e32 v88, 0x4000, v31
	v_or_b32_e32 v89, 0x6000, v31
	v_xor_b32_e32 v31, 0x440, v28
	v_cmp_eq_u32_e32 vcc, 0, v7
	v_or_b32_e32 v26, 16, v74
	v_or_b32_e32 v27, 32, v74
	v_xor_b32_e32 v29, v80, v24
	v_xor_b32_e32 v30, v81, v24
	v_cndmask_b32_e32 v7, v31, v28, vcc
	s_add_i32 s2, s43, s42
	s_mov_b32 s56, 0x1000504
	v_lshl_or_b32 v32, v26, 3, v6
	v_lshlrev_b32_e32 v26, 8, v26
	v_lshl_or_b32 v33, v27, 3, v6
	v_lshlrev_b32_e32 v29, 1, v29
	v_lshlrev_b32_e32 v30, 1, v30
	v_lshl_or_b32 v5, v5, 10, v7
	s_add_i32 s21, s2, s44
	s_mul_i32 s2, s33, s23
	s_mul_hi_u32 s3, s33, s22
	s_mov_b32 s57, 0x3020706
	v_lshlrev_b32_e32 v25, 8, v74
	v_or_b32_e32 v92, 0x4000, v33
	v_or_b32_e32 v93, 0x6000, v33
	;; [unrolled: 1-line block ×4, first 2 shown]
	v_xor_b32_e32 v7, 8, v5
	v_xor_b32_e32 v26, 24, v5
	;; [unrolled: 1-line block ×4, first 2 shown]
	s_add_i32 s2, s3, s2
	s_mul_i32 s3, s53, s22
	v_or_b32_e32 v90, 0x4000, v32
	v_or_b32_e32 v91, 0x6000, v32
	;; [unrolled: 1-line block ×4, first 2 shown]
	v_xor_b32_e32 v25, 16, v5
	v_xor_b32_e32 v28, 32, v5
	;; [unrolled: 1-line block ×3, first 2 shown]
	v_add_u32_e32 v7, 0x80, v7
	v_add_u32_e32 v26, 0x80, v26
	;; [unrolled: 1-line block ×4, first 2 shown]
	s_add_i32 s3, s2, s3
	s_lshl_b64 s[24:25], s[20:21], 2
	s_mul_i32 s2, s33, s22
	s_add_u32 s21, s10, s24
	s_addc_u32 s24, s11, s25
	s_lshl_b64 s[2:3], s[2:3], 2
	s_add_u32 s2, s21, s2
	s_movk_i32 s21, 0xf8
	s_addc_u32 s3, s24, s3
	s_ashr_i32 s37, s36, 31
	s_lshl_b32 s30, s19, 7
	s_lshl_b64 s[24:25], s[36:37], 8
	s_add_u32 s24, s12, s24
	v_mov_b32_e32 v67, 0
	s_addc_u32 s25, s13, s25
	v_lshlrev_b32_e32 v66, 4, v74
	v_lshlrev_b32_e32 v27, 8, v27
	s_mov_b32 s58, 0
	s_movk_i32 s26, 0x4000
	v_or_b32_e32 v98, v27, v29
	v_or_b32_e32 v99, v27, v30
	v_add_u32_e32 v128, v1, v2
	s_movk_i32 s37, 0x2000
	s_movk_i32 s59, 0x3000
	v_mov_b32_e32 v58, v67
	v_mov_b32_e32 v59, v67
	;; [unrolled: 1-line block ×4, first 2 shown]
	s_waitcnt vmcnt(1)
	v_perm_b32 v34, v8, v16, s56
	s_waitcnt vmcnt(0)
	v_perm_b32 v35, v12, v20, s56
	v_perm_b32 v8, v8, v16, s57
	;; [unrolled: 1-line block ×15, first 2 shown]
	ds_write2st64_b32 v5, v34, v35 offset0:128 offset1:160
	ds_write2st64_b32 v7, v8, v12 offset0:128 offset1:160
	;; [unrolled: 1-line block ×8, first 2 shown]
	v_or_b32_e32 v5, 48, v74
	v_lshl_or_b32 v7, v5, 3, v6
	v_lshlrev_b32_e32 v5, 8, v5
	v_or_b32_e32 v102, v5, v29
	v_or_b32_e32 v103, v5, v30
	;; [unrolled: 1-line block ×3, first 2 shown]
	v_lshlrev_b32_e32 v5, 3, v5
	v_lshrrev_b32_e32 v9, 5, v75
	v_and_or_b32 v9, v5, s21, v9
	v_lshlrev_b32_e32 v9, 4, v9
	v_or_b32_e32 v100, 0x4000, v7
	v_or_b32_e32 v101, 0x6000, v7
	v_lshlrev_b32_e32 v7, 11, v76
	v_and_b32_e32 v5, 0x78, v5
	v_or_b32_e32 v14, 32, v9
	v_and_b32_e32 v8, 0x1000, v7
	v_xor_b32_e32 v10, v9, v5
	v_lshrrev_b32_e32 v11, 1, v0
	v_xor_b32_e32 v14, v14, v5
	v_or_b32_e32 v10, v10, v8
	v_and_b32_e32 v12, 8, v11
	v_or_b32_e32 v14, v14, v8
	v_xor_b32_e32 v104, v10, v12
	v_lshlrev_b32_e32 v10, 8, v77
	v_xor_b32_e32 v106, v14, v12
	v_or_b32_e32 v14, 64, v9
	v_or_b32_e32 v9, 0x60, v9
	;; [unrolled: 1-line block ×3, first 2 shown]
	v_xor_b32_e32 v14, v14, v5
	v_xor_b32_e32 v5, v9, v5
	v_lshlrev_b32_e32 v13, 1, v13
	v_or_b32_e32 v14, v14, v8
	v_or_b32_e32 v5, v5, v8
	;; [unrolled: 1-line block ×6, first 2 shown]
	v_xor_b32_e32 v110, v14, v12
	v_xor_b32_e32 v111, v5, v12
	v_or_b32_e32 v112, 0x6000, v13
	v_or_b32_e32 v113, 0x6080, v13
	;; [unrolled: 1-line block ×4, first 2 shown]
	v_lshlrev_b32_e32 v12, 1, v4
	v_add_lshl_u32 v13, v4, s19, 1
	s_movk_i32 s21, 0x100
	v_lshlrev_b32_e32 v4, 1, v74
	v_lshrrev_b32_e32 v15, 4, v0
	v_or_b32_e32 v5, 1, v4
	v_mov_b32_e32 v19, 0xa000
	v_mov_b32_e32 v20, 0x8000
	v_cmp_gt_u32_e32 vcc, s21, v0
	v_xor_b32_e32 v16, v15, v4
	v_xor_b32_e32 v17, v5, v15
	v_lshl_add_u64 v[4:5], s[24:25], 0, v[66:67]
	v_lshlrev_b32_e32 v66, 8, v15
	v_cndmask_b32_e32 v19, v19, v20, vcc
	v_lshlrev_b32_e32 v20, 3, v76
	v_and_b32_e32 v11, 24, v11
	v_lshl_or_b32 v116, v16, 3, v66
	v_and_b32_e32 v16, 8, v0
	v_xor_b32_e32 v21, v20, v11
	v_or_b32_e32 v22, 0x440, v21
	v_cmp_eq_u32_e32 vcc, 0, v16
	v_and_b32_e32 v15, 7, v0
	v_lshl_or_b32 v117, v17, 3, v66
	v_cndmask_b32_e32 v16, v22, v21, vcc
	v_lshlrev_b32_e32 v17, 3, v15
	v_lshlrev_b32_e32 v15, 7, v15
	v_or_b32_e32 v16, v16, v7
	v_lshlrev_b32_e32 v18, 2, v0
	v_xad_u32 v118, v16, v17, v15
	v_or_b32_e32 v16, 32, v11
	v_and_or_b32 v10, v18, 60, v10
	v_xor_b32_e32 v16, v20, v16
	v_lshlrev_b32_e32 v10, 1, v10
	v_or_b32_e32 v18, 0x440, v16
	v_or_b32_e32 v119, 0x6000, v10
	v_cndmask_b32_e32 v16, v18, v16, vcc
	v_or_b32_e32 v121, 0x6080, v10
	v_or_b32_e32 v122, 0x6100, v10
	;; [unrolled: 1-line block ×5, first 2 shown]
	v_xor_b32_e32 v10, v20, v10
	v_xad_u32 v120, v16, v17, v15
	v_xor_b32_e32 v16, 0x440, v10
	v_cndmask_b32_e32 v10, v16, v10, vcc
	v_or_b32_e32 v10, v10, v7
	v_xad_u32 v124, v10, v17, v15
	v_or_b32_e32 v10, 0x60, v11
	v_xor_b32_e32 v10, v20, v10
	v_xor_b32_e32 v11, 0x440, v10
	v_or_b32_e32 v8, s36, v74
	v_cndmask_b32_e32 v10, v11, v10, vcc
	v_ashrrev_i32_e32 v9, 31, v8
	v_or_b32_e32 v7, v10, v7
	v_or_b32_e32 v14, 0x100, v3
	v_xad_u32 v125, v7, v17, v15
	v_lshlrev_b64 v[8:9], 1, v[8:9]
	v_cndmask_b32_e64 v126, v12, v3, s[0:1]
	v_cndmask_b32_e64 v127, v13, v14, s[0:1]
	v_lshl_add_u64 v[68:69], s[8:9], 0, v[8:9]
	v_lshl_add_u64 v[70:71], s[14:15], 0, v[8:9]
	;; [unrolled: 1-line block ×3, first 2 shown]
	s_mov_b32 s21, 0x7060302
	v_lshlrev_b32_e32 v66, 1, v6
	v_add_u32_e32 v129, v19, v118
	v_add_u32_e32 v130, v19, v120
	;; [unrolled: 1-line block ×4, first 2 shown]
	v_mov_b32_e32 v62, v67
	v_mov_b32_e32 v63, v67
	v_mov_b32_e32 v64, v67
	v_mov_b32_e32 v65, v67
	v_mov_b32_e32 v50, v67
	v_mov_b32_e32 v51, v67
	v_mov_b32_e32 v52, v67
	v_mov_b32_e32 v53, v67
	v_mov_b32_e32 v54, v67
	v_mov_b32_e32 v55, v67
	v_mov_b32_e32 v56, v67
	v_mov_b32_e32 v57, v67
	v_mov_b32_e32 v42, v67
	v_mov_b32_e32 v43, v67
	v_mov_b32_e32 v44, v67
	v_mov_b32_e32 v45, v67
	v_mov_b32_e32 v46, v67
	v_mov_b32_e32 v47, v67
	v_mov_b32_e32 v48, v67
	v_mov_b32_e32 v49, v67
	v_mov_b32_e32 v36, v67
	v_mov_b32_e32 v37, v67
	v_mov_b32_e32 v38, v67
	v_mov_b32_e32 v39, v67
	v_mov_b32_e32 v40, v67
	v_mov_b32_e32 v41, v67
	v_mov_b32_e32 v34, v67
	v_mov_b32_e32 v35, v67
	s_waitcnt lgkmcnt(0)
	s_barrier
.LBB55_6:                               ; =>This Inner Loop Header: Depth=1
	s_add_i32 s60, s58, 1
	s_cmp_lt_i32 s60, s45
	s_mov_b64 s[28:29], 0
	s_cselect_b64 s[40:41], -1, 0
	s_cmp_ge_i32 s60, s45
	s_mov_b64 s[24:25], 0
	s_cbranch_scc1 .LBB55_8
; %bb.7:                                ;   in Loop: Header=BB55_6 Depth=1
	s_add_i32 s0, s52, 64
	s_ashr_i32 s1, s0, 31
	s_add_u32 s0, s49, s0
	s_addc_u32 s1, s48, s1
	s_lshl_b64 s[0:1], s[0:1], 8
	s_add_u32 s24, s6, s0
	s_addc_u32 s25, s7, s1
.LBB55_8:                               ;   in Loop: Header=BB55_6 Depth=1
	v_cndmask_b32_e64 v2, 0, 1, s[40:41]
	v_cmp_ne_u32_e64 s[0:1], 1, v2
	s_andn2_b64 vcc, exec, s[40:41]
	s_cbranch_vccnz .LBB55_10
; %bb.9:                                ;   in Loop: Header=BB55_6 Depth=1
	s_add_i32 s28, s52, 64
	s_mul_hi_i32 s29, s28, s18
	s_mul_i32 s28, s28, s18
	s_add_u32 s28, s28, s50
	s_addc_u32 s29, s29, s54
	s_lshl_b64 s[28:29], s[28:29], 8
	s_add_u32 s28, s4, s28
	s_addc_u32 s29, s5, s29
.LBB55_10:                              ;   in Loop: Header=BB55_6 Depth=1
	v_perm_b32 v3, v65, v64, s21
	v_perm_b32 v2, v63, v62, s21
	v_perm_b32 v5, v61, v60, s21
	v_perm_b32 v4, v59, v58, s21
	ds_write_b64 v88, v[2:3]
	ds_write_b64 v89, v[4:5]
	ds_write_b64 v94, v[2:3]
	ds_write_b64 v95, v[4:5]
	v_perm_b32 v3, v57, v56, s21
	v_perm_b32 v2, v55, v54, s21
	v_perm_b32 v5, v53, v52, s21
	v_perm_b32 v4, v51, v50, s21
	ds_write_b64 v90, v[2:3]
	ds_write_b64 v91, v[4:5]
	ds_write_b64 v96, v[2:3]
	ds_write_b64 v97, v[4:5]
	;; [unrolled: 8-line block ×4, first 2 shown]
	s_waitcnt lgkmcnt(0)
	s_barrier
	ds_read_b64 v[6:7], v104 offset:49152
	ds_read2_b64 v[2:5], v105 offset1:16
	ds_read_b64 v[18:19], v107 offset:6144
	ds_read_b64 v[20:21], v105 offset:6144
	s_waitcnt lgkmcnt(2)
	v_mfma_f32_16x16x16_bf16 a[0:3], v[6:7], v[2:3], 0
	ds_read_b64 v[22:23], v106 offset:49152
	ds_read2st64_b64 v[10:13], v108 offset0:4 offset1:8
	ds_read2st64_b64 v[14:17], v109 offset0:4 offset1:8
	v_mfma_f32_16x16x16_bf16 a[4:7], v[6:7], v[4:5], 0
	ds_read2_b64 v[2:5], v105 offset0:32 offset1:48
	s_add_i32 s31, s52, 63
	s_ashr_i32 s40, s31, 31
	s_waitcnt lgkmcnt(0)
	v_mfma_f32_16x16x16_bf16 a[8:11], v[6:7], v[2:3], 0
	s_mul_i32 s41, s31, s35
	s_mul_hi_u32 s61, s31, s34
	s_add_i32 s41, s61, s41
	v_mfma_f32_16x16x16_bf16 a[12:15], v[6:7], v[4:5], 0
	ds_read2st64_b64 v[2:5], v105 offset0:4 offset1:8
	ds_read2st64_b64 v[6:9], v107 offset0:4 offset1:8
	s_mul_i32 s40, s40, s34
	s_waitcnt lgkmcnt(1)
	v_mfma_f32_16x16x16_bf16 a[0:3], v[22:23], v[2:3], a[0:3]
	s_add_i32 s41, s41, s40
	s_mul_i32 s40, s31, s34
	s_lshl_b64 s[40:41], s[40:41], 2
	s_waitcnt lgkmcnt(0)
	v_mfma_f32_16x16x16_bf16 a[4:7], v[22:23], v[6:7], a[4:7]
	s_add_u32 s40, s2, s40
	s_addc_u32 s41, s3, s41
	s_and_b64 vcc, exec, s[0:1]
	v_mfma_f32_16x16x16_bf16 a[8:11], v[22:23], v[10:11], a[8:11]
	ds_read_b64 v[2:3], v110 offset:49152
	ds_read_b64 v[6:7], v111 offset:49152
	;; [unrolled: 1-line block ×3, first 2 shown]
	v_mov_b32_e32 v135, 0
	v_mov_b32_e32 v134, 0
	v_mfma_f32_16x16x16_bf16 a[12:15], v[22:23], v[14:15], a[12:15]
	v_mov_b32_e32 v133, 0
	v_mov_b32_e32 v14, 0
	;; [unrolled: 1-line block ×3, first 2 shown]
	s_waitcnt lgkmcnt(2)
	v_mfma_f32_16x16x16_bf16 a[0:3], v[2:3], v[4:5], a[0:3]
	v_mov_b32_e32 v4, 0
	v_mov_b32_e32 v5, 0
	v_mfma_f32_16x16x16_bf16 a[16:19], v[2:3], v[8:9], a[4:7]
	v_mov_b32_e32 v8, 0
	v_mov_b32_e32 v9, 0
	;; [unrolled: 3-line block ×3, first 2 shown]
	v_mfma_f32_16x16x16_bf16 a[24:27], v[2:3], v[16:17], a[12:15]
	ds_read_b64 v[2:3], v108 offset:6144
	v_mov_b32_e32 v16, 0
	v_mov_b32_e32 v17, 0
	s_waitcnt lgkmcnt(2)
	v_mfma_f32_16x16x16_bf16 a[4:7], v[6:7], v[20:21], a[0:3]
	v_mfma_f32_16x16x16_bf16 a[8:11], v[6:7], v[18:19], a[16:19]
	s_waitcnt lgkmcnt(0)
	v_mfma_f32_16x16x16_bf16 a[12:15], v[6:7], v[2:3], a[20:23]
	v_mov_b32_e32 v2, 0
	v_mov_b32_e32 v3, 0
	v_mfma_f32_16x16x16_bf16 a[0:3], v[6:7], v[10:11], a[24:27]
	v_mov_b32_e32 v6, 0
	v_mov_b32_e32 v7, 0
	;; [unrolled: 1-line block ×4, first 2 shown]
	s_cbranch_vccnz .LBB55_12
; %bb.11:                               ;   in Loop: Header=BB55_6 Depth=1
	s_and_b32 s25, s25, 0xffff
	buffer_load_dwordx4 v[14:17], v84, s[24:27], 0 offen
	buffer_load_dwordx4 v[10:13], v84, s[24:27], s55 offen
	;; [unrolled: 1-line block ×4, first 2 shown]
	v_mov_b32_e32 v134, v86
	v_mov_b32_e32 v133, v87
.LBB55_12:                              ;   in Loop: Header=BB55_6 Depth=1
	ds_read_b64 v[30:31], v104 offset:57344
	ds_read2_b64 v[18:21], v112 offset1:16
	ds_read_b64 v[136:137], v106 offset:57344
	ds_read_b64 v[138:139], v110 offset:57344
	;; [unrolled: 1-line block ×3, first 2 shown]
	v_add_u32_e32 v32, s52, v128
	s_waitcnt lgkmcnt(3)
	v_mfma_f32_16x16x16_bf16 a[4:7], v[30:31], v[18:19], a[4:7]
	v_mfma_f32_16x16x16_bf16 a[8:11], v[30:31], v[20:21], a[8:11]
	ds_read2_b64 v[18:21], v112 offset0:32 offset1:48
	ds_read2st64_b64 v[22:25], v112 offset0:4 offset1:8
	ds_read2st64_b64 v[26:29], v113 offset0:4 offset1:8
	s_waitcnt lgkmcnt(2)
	v_mfma_f32_16x16x16_bf16 a[12:15], v[30:31], v[18:19], a[12:15]
	v_ashrrev_i32_e32 v18, 31, v32
	v_mul_lo_u32 v33, v18, s34
	v_mad_u64_u32 v[18:19], s[24:25], v32, s34, 0
	v_mfma_f32_16x16x16_bf16 a[0:3], v[30:31], v[20:21], a[0:3]
	v_mul_lo_u32 v20, v32, s35
	v_add3_u32 v19, v19, v20, v33
	v_add_u32_e32 v20, 1, v32
	v_ashrrev_i32_e32 v21, 31, v20
	s_waitcnt lgkmcnt(1)
	v_mfma_f32_16x16x16_bf16 a[4:7], v[136:137], v[22:23], a[4:7]
	v_mul_lo_u32 v22, v21, s34
	v_mul_lo_u32 v23, v20, s35
	v_mad_u64_u32 v[20:21], s[24:25], v20, s34, 0
	v_add3_u32 v21, v21, v23, v22
	v_add_u32_e32 v22, 2, v32
	v_ashrrev_i32_e32 v23, 31, v22
	v_mul_lo_u32 v30, v23, s34
	v_mul_lo_u32 v31, v22, s35
	v_mad_u64_u32 v[22:23], s[24:25], v22, s34, 0
	v_add3_u32 v23, v23, v31, v30
	v_add_u32_e32 v30, 3, v32
	v_ashrrev_i32_e32 v31, 31, v30
	v_mul_lo_u32 v32, v31, s34
	v_mul_lo_u32 v33, v30, s35
	v_mad_u64_u32 v[30:31], s[24:25], v30, s34, 0
	s_ashr_i32 s25, s52, 31
	s_add_u32 s24, s49, s52
	s_addc_u32 s25, s48, s25
	v_lshl_add_u64 v[18:19], v[18:19], 2, s[2:3]
	v_add3_u32 v31, v31, v33, v32
	s_lshl_b64 s[24:25], s[24:25], 8
	v_lshl_add_u64 v[20:21], v[20:21], 2, s[2:3]
	v_lshl_add_u64 v[22:23], v[22:23], 2, s[2:3]
	;; [unrolled: 1-line block ×3, first 2 shown]
	global_load_dword v142, v[18:19], off
	global_load_dword v143, v[20:21], off
	;; [unrolled: 1-line block ×4, first 2 shown]
	v_lshl_add_u64 v[18:19], v[68:69], 0, s[24:25]
	v_lshl_add_u64 v[22:23], v[18:19], 0, v[66:67]
	global_load_ushort v146, v[22:23], off offset:256
	global_load_ushort v147, v[22:23], off
	ds_read2st64_b64 v[18:21], v114 offset0:4 offset1:8
	global_load_ushort v148, v[22:23], off offset:768
	global_load_ushort v149, v[22:23], off offset:512
	ds_read2st64_b64 v[30:33], v115 offset0:4 offset1:8
	global_load_ushort v150, v[22:23], off offset:288
	global_load_ushort v151, v[22:23], off offset:32
	;; [unrolled: 1-line block ×4, first 2 shown]
	s_waitcnt lgkmcnt(2)
	v_mfma_f32_16x16x16_bf16 a[8:11], v[136:137], v[26:27], a[8:11]
	global_load_ushort v154, v[22:23], off offset:320
	global_load_ushort v155, v[22:23], off offset:64
	;; [unrolled: 1-line block ×4, first 2 shown]
	s_and_b64 vcc, exec, s[0:1]
	s_waitcnt lgkmcnt(1)
	v_mfma_f32_16x16x16_bf16 a[12:15], v[136:137], v[18:19], a[12:15]
	ds_read_b64 v[18:19], v112 offset:6144
	s_waitcnt lgkmcnt(1)
	v_mfma_f32_16x16x16_bf16 a[0:3], v[136:137], v[30:31], a[0:3]
	v_lshl_add_u64 v[30:31], v[70:71], 0, s[24:25]
	v_lshl_add_u64 v[30:31], v[30:31], 0, v[66:67]
	v_mfma_f32_16x16x16_bf16 a[4:7], v[138:139], v[24:25], a[4:7]
	v_mfma_f32_16x16x16_bf16 a[8:11], v[138:139], v[28:29], a[8:11]
	;; [unrolled: 1-line block ×4, first 2 shown]
	global_load_ushort v138, v[22:23], off offset:352
	global_load_ushort v139, v[22:23], off offset:96
	ds_read_b64 v[20:21], v113 offset:6144
	ds_read_b64 v[24:25], v114 offset:6144
	;; [unrolled: 1-line block ×3, first 2 shown]
	s_load_dword s40, s[40:41], 0x0
	global_load_ushort v158, v[22:23], off offset:864
	global_load_ushort v159, v[22:23], off offset:608
	s_waitcnt lgkmcnt(0)
	v_mfma_f32_16x16x16_bf16 a[4:7], v[140:141], v[18:19], a[4:7]
	s_waitcnt vmcnt(17)
	v_sub_f32_e32 v28, s40, v144
	v_mfma_f32_16x16x16_bf16 a[0:3], v[140:141], v[26:27], a[0:3]
	v_sub_f32_e32 v26, s40, v142
	v_sub_f32_e32 v27, s40, v143
	s_waitcnt vmcnt(16)
	v_sub_f32_e32 v29, s40, v145
	v_mfma_f32_16x16x16_bf16 a[8:11], v[140:141], v[20:21], a[8:11]
	v_exp_f32_e32 v26, v26
	v_exp_f32_e32 v27, v27
	;; [unrolled: 1-line block ×4, first 2 shown]
	v_accvgpr_read_b32 v137, a5
	s_waitcnt vmcnt(15)
	v_lshlrev_b32_e32 v33, 16, v146
	s_waitcnt vmcnt(14)
	v_lshlrev_b32_e32 v32, 16, v147
	v_accvgpr_read_b32 v136, a4
	v_accvgpr_read_b32 v19, a7
	;; [unrolled: 1-line block ×3, first 2 shown]
	v_pk_add_f32 v[32:33], v[32:33], v[136:137] neg_lo:[0,1] neg_hi:[0,1]
	s_waitcnt vmcnt(13)
	v_lshlrev_b32_e32 v137, 16, v148
	s_waitcnt vmcnt(12)
	v_lshlrev_b32_e32 v136, 16, v149
	v_pk_add_f32 v[18:19], v[136:137], v[18:19] neg_lo:[0,1] neg_hi:[0,1]
	global_store_short_d16_hi v[30:31], v32, off
	global_store_short_d16_hi v[30:31], v33, off offset:256
	global_store_short_d16_hi v[30:31], v18, off offset:512
	;; [unrolled: 1-line block ×3, first 2 shown]
	v_pk_mul_f32 v[32:33], v[26:27], v[32:33]
	v_pk_mul_f32 v[18:19], v[28:29], v[18:19]
	v_accvgpr_read_b32 v137, a9
	v_perm_b32 v32, v33, v32, s21
	v_perm_b32 v33, v19, v18, s21
	s_waitcnt vmcnt(15)
	v_lshlrev_b32_e32 v19, 16, v150
	s_waitcnt vmcnt(14)
	v_lshlrev_b32_e32 v18, 16, v151
	v_accvgpr_read_b32 v136, a8
	v_accvgpr_read_b32 v21, a11
	v_mfma_f32_16x16x16_bf16 a[12:15], v[140:141], v[24:25], a[12:15]
	v_accvgpr_read_b32 v20, a10
	v_pk_add_f32 v[18:19], v[18:19], v[136:137] neg_lo:[0,1] neg_hi:[0,1]
	s_waitcnt vmcnt(13)
	v_lshlrev_b32_e32 v137, 16, v152
	s_waitcnt vmcnt(12)
	v_lshlrev_b32_e32 v136, 16, v153
	v_pk_add_f32 v[20:21], v[136:137], v[20:21] neg_lo:[0,1] neg_hi:[0,1]
	global_store_short_d16_hi v[30:31], v18, off offset:32
	global_store_short_d16_hi v[30:31], v19, off offset:288
	;; [unrolled: 1-line block ×4, first 2 shown]
	v_pk_mul_f32 v[18:19], v[26:27], v[18:19]
	v_pk_mul_f32 v[20:21], v[28:29], v[20:21]
	v_accvgpr_read_b32 v23, a15
	v_perm_b32 v21, v21, v20, s21
	v_perm_b32 v20, v19, v18, s21
	ds_write2_b64 v89, v[32:33], v[20:21] offset1:16
	v_accvgpr_read_b32 v21, a13
	s_waitcnt vmcnt(15)
	v_lshlrev_b32_e32 v19, 16, v154
	s_waitcnt vmcnt(14)
	v_lshlrev_b32_e32 v18, 16, v155
	v_accvgpr_read_b32 v20, a12
	v_accvgpr_read_b32 v22, a14
	v_pk_add_f32 v[18:19], v[18:19], v[20:21] neg_lo:[0,1] neg_hi:[0,1]
	s_waitcnt vmcnt(13)
	v_lshlrev_b32_e32 v21, 16, v156
	s_waitcnt vmcnt(12)
	v_lshlrev_b32_e32 v20, 16, v157
	v_pk_add_f32 v[20:21], v[20:21], v[22:23] neg_lo:[0,1] neg_hi:[0,1]
	global_store_short_d16_hi v[30:31], v18, off offset:64
	global_store_short_d16_hi v[30:31], v19, off offset:320
	;; [unrolled: 1-line block ×4, first 2 shown]
	v_pk_mul_f32 v[18:19], v[26:27], v[18:19]
	v_pk_mul_f32 v[20:21], v[28:29], v[20:21]
	v_accvgpr_read_b32 v23, a1
	v_perm_b32 v18, v19, v18, s21
	v_perm_b32 v19, v21, v20, s21
	s_waitcnt vmcnt(15)
	v_lshlrev_b32_e32 v21, 16, v138
	s_waitcnt vmcnt(14)
	v_lshlrev_b32_e32 v20, 16, v139
	v_accvgpr_read_b32 v22, a0
	v_accvgpr_read_b32 v25, a3
	;; [unrolled: 1-line block ×3, first 2 shown]
	v_pk_add_f32 v[20:21], v[20:21], v[22:23] neg_lo:[0,1] neg_hi:[0,1]
	s_waitcnt vmcnt(13)
	v_lshlrev_b32_e32 v23, 16, v158
	s_waitcnt vmcnt(12)
	v_lshlrev_b32_e32 v22, 16, v159
	v_pk_add_f32 v[22:23], v[22:23], v[24:25] neg_lo:[0,1] neg_hi:[0,1]
	global_store_short_d16_hi v[30:31], v20, off offset:96
	global_store_short_d16_hi v[30:31], v21, off offset:352
	;; [unrolled: 1-line block ×4, first 2 shown]
	v_pk_mul_f32 v[20:21], v[26:27], v[20:21]
	v_pk_mul_f32 v[22:23], v[28:29], v[22:23]
	v_mov_b32_e32 v136, 0
	v_perm_b32 v23, v23, v22, s21
	v_perm_b32 v22, v21, v20, s21
	ds_write2_b64 v89, v[18:19], v[22:23] offset0:32 offset1:48
	v_mov_b32_e32 v18, 0
	v_mov_b32_e32 v19, 0
	;; [unrolled: 1-line block ×16, first 2 shown]
	s_cbranch_vccnz .LBB55_14
; %bb.13:                               ;   in Loop: Header=BB55_6 Depth=1
	s_and_b32 s29, s29, 0xffff
	s_mov_b32 s31, s27
	buffer_load_dwordx4 v[30:33], v126, s[28:31], 0 offen
	buffer_load_dwordx4 v[22:25], v126, s[28:31], s55 offen
	;; [unrolled: 1-line block ×4, first 2 shown]
	v_mov_b32_e32 v135, v83
	v_mov_b32_e32 v136, v82
.LBB55_14:                              ;   in Loop: Header=BB55_6 Depth=1
	s_waitcnt lgkmcnt(0)
	s_barrier
	ds_read_b64 v[146:147], v129
	ds_read2_b64 v[138:141], v119 offset1:16
	ds_read_b64 v[162:163], v130
	ds_read_b64 v[164:165], v131
	;; [unrolled: 1-line block ×3, first 2 shown]
	ds_read2_b64 v[142:145], v119 offset0:32 offset1:48
	s_waitcnt lgkmcnt(4)
	v_mfma_f32_16x16x16_bf16 a[0:3], v[146:147], v[138:139], 0
	ds_read2st64_b64 v[150:153], v121 offset0:4 offset1:8
	ds_read2st64_b64 v[154:157], v122 offset0:4 offset1:8
	;; [unrolled: 1-line block ×3, first 2 shown]
	v_mfma_f32_16x16x16_bf16 a[4:7], v[146:147], v[140:141], 0
	s_add_i32 s24, s46, s58
	s_mul_hi_i32 s25, s24, s51
	s_mul_i32 s24, s24, s51
	s_waitcnt lgkmcnt(3)
	v_mfma_f32_16x16x16_bf16 a[8:11], v[146:147], v[142:143], 0
	s_add_u32 s24, s24, s33
	s_addc_u32 s25, s25, s53
	s_lshl_b64 s[24:25], s[24:25], 15
	v_mfma_f32_16x16x16_bf16 a[12:15], v[146:147], v[144:145], 0
	ds_read2st64_b64 v[146:149], v119 offset0:4 offset1:8
	s_waitcnt lgkmcnt(0)
	v_mfma_f32_16x16x16_bf16 a[0:3], v[162:163], v[146:147], a[0:3]
	v_mfma_f32_16x16x16_bf16 a[4:7], v[162:163], v[150:151], a[4:7]
	;; [unrolled: 1-line block ×8, first 2 shown]
	ds_read_b64 v[162:163], v119 offset:6144
	ds_read_b64 v[164:165], v120 offset:40960
	;; [unrolled: 1-line block ×8, first 2 shown]
	s_waitcnt lgkmcnt(5)
	v_mfma_f32_16x16x16_bf16 a[16:19], v[168:169], v[138:139], 0
	v_mfma_f32_16x16x16_bf16 a[20:23], v[168:169], v[140:141], 0
	ds_read2st64_b64 v[138:141], v116 offset1:8
	v_mfma_f32_16x16x16_bf16 a[24:27], v[168:169], v[142:143], 0
	v_mfma_f32_16x16x16_bf16 a[28:31], v[168:169], v[144:145], 0
	ds_read2st64_b64 v[142:145], v117 offset1:8
	v_mfma_f32_16x16x16_bf16 a[16:19], v[164:165], v[146:147], a[16:19]
	s_waitcnt lgkmcnt(1)
	v_mov_b32_e32 v146, v138
	v_mov_b32_e32 v147, v139
	v_mfma_f32_16x16x16_bf16 a[20:23], v[164:165], v[150:151], a[20:23]
	v_lshl_add_u64 v[150:151], v[72:73], 0, s[24:25]
	v_mfma_f32_16x16x16_bf16 a[24:27], v[164:165], v[154:155], a[24:27]
	v_mfma_f32_16x16x16_bf16 a[28:31], v[164:165], v[158:159], a[28:31]
	;; [unrolled: 1-line block ×3, first 2 shown]
	s_waitcnt lgkmcnt(0)
	v_mov_b32_e32 v148, v142
	v_mov_b32_e32 v149, v143
	;; [unrolled: 1-line block ×3, first 2 shown]
	v_mfma_f32_16x16x16_bf16 a[32:35], v[176:177], v[152:153], a[20:23]
	v_mov_b32_e32 v143, v141
	ds_read2st64_b64 v[138:141], v116 offset0:16 offset1:24
	global_store_dwordx4 v[150:151], v[146:149], off
	v_mfma_f32_16x16x16_bf16 a[24:27], v[176:177], v[156:157], a[24:27]
	ds_read2st64_b64 v[146:149], v117 offset0:16 offset1:24
	v_add_co_u32_e32 v152, vcc, s37, v150
	v_mfma_f32_16x16x16_bf16 a[28:31], v[176:177], v[160:161], a[28:31]
	s_nop 0
	v_addc_co_u32_e32 v153, vcc, 0, v151, vcc
	global_store_dwordx4 v[152:153], v[142:145], off offset:-4096
	v_mfma_f32_16x16x16_bf16 a[0:3], v[166:167], v[162:163], a[0:3]
	s_waitcnt lgkmcnt(1)
	v_mov_b32_e32 v142, v138
	v_add_co_u32_e32 v138, vcc, s59, v150
	v_mfma_f32_16x16x16_bf16 a[4:7], v[166:167], v[170:171], a[4:7]
	v_mov_b32_e32 v143, v139
	v_addc_co_u32_e32 v139, vcc, 0, v151, vcc
	v_mfma_f32_16x16x16_bf16 a[8:11], v[166:167], v[172:173], a[8:11]
	s_waitcnt lgkmcnt(0)
	v_mov_b32_e32 v144, v146
	v_mov_b32_e32 v145, v147
	;; [unrolled: 1-line block ×3, first 2 shown]
	v_mfma_f32_16x16x16_bf16 a[12:15], v[166:167], v[174:175], a[12:15]
	v_mov_b32_e32 v147, v141
	s_and_b64 vcc, exec, s[0:1]
	global_store_dwordx4 v[152:153], v[142:145], off
	v_mfma_f32_16x16x16_bf16 a[20:23], v[178:179], v[162:163], a[16:19]
	global_store_dwordx4 v[138:139], v[146:149], off
	v_mfma_f32_16x16x16_bf16 a[16:19], v[178:179], v[170:171], a[32:35]
	v_mfma_f32_16x16x16_bf16 a[24:27], v[178:179], v[172:173], a[24:27]
	;; [unrolled: 1-line block ×3, first 2 shown]
	s_cbranch_vccnz .LBB55_16
; %bb.15:                               ;   in Loop: Header=BB55_6 Depth=1
	v_lshrrev_b32_e32 v137, 3, v135
	v_and_b32_e32 v137, 6, v137
	v_xor_b32_e32 v136, v137, v136
	v_lshlrev_b32_e32 v136, 2, v136
	v_and_b32_e32 v135, 8, v135
	v_xor_b32_e32 v138, 0x440, v136
	v_cmp_eq_u32_e32 vcc, 0, v135
	s_barrier
	s_nop 0
	v_cndmask_b32_e32 v135, v138, v136, vcc
	v_lshl_or_b32 v135, v137, 10, v135
	s_waitcnt vmcnt(5)
	v_perm_b32 v136, v30, v26, s56
	s_waitcnt vmcnt(4)
	v_perm_b32 v137, v22, v18, s56
	ds_write2st64_b32 v135, v136, v137 offset0:128 offset1:160
	v_xor_b32_e32 v136, 8, v135
	v_perm_b32 v26, v30, v26, s57
	v_perm_b32 v18, v22, v18, s57
	v_add_u32_e32 v22, 0x80, v136
	ds_write2st64_b32 v22, v26, v18 offset0:128 offset1:160
	v_xor_b32_e32 v18, 16, v135
	v_perm_b32 v22, v31, v27, s56
	v_perm_b32 v26, v23, v19, s56
	ds_write2st64_b32 v18, v22, v26 offset0:129 offset1:161
	v_xor_b32_e32 v18, 24, v135
	v_perm_b32 v22, v31, v27, s57
	v_perm_b32 v19, v23, v19, s57
	v_add_u32_e32 v18, 0x80, v18
	ds_write2st64_b32 v18, v22, v19 offset0:129 offset1:161
	v_xor_b32_e32 v18, 32, v135
	v_perm_b32 v19, v32, v28, s56
	;; [unrolled: 9-line block ×3, first 2 shown]
	v_perm_b32 v20, v25, v21, s56
	ds_write2st64_b32 v18, v19, v20 offset0:131 offset1:163
	v_xor_b32_e32 v18, 56, v135
	v_perm_b32 v19, v33, v29, s57
	v_perm_b32 v20, v25, v21, s57
	v_add_u32_e32 v18, 0x80, v18
	ds_write2st64_b32 v18, v19, v20 offset0:131 offset1:163
	ds_write_b64 v134, v[14:15] offset:49152
	v_xor_b32_e32 v14, 8, v134
	ds_write_b64 v14, v[16:17] offset:49152
	ds_write_b64 v134, v[10:11] offset:57344
	;; [unrolled: 1-line block ×4, first 2 shown]
	v_xor_b32_e32 v6, 8, v133
	ds_write_b64 v6, v[8:9] offset:49152
	ds_write_b64 v133, v[2:3] offset:57344
	;; [unrolled: 1-line block ×3, first 2 shown]
.LBB55_16:                              ;   in Loop: Header=BB55_6 Depth=1
	v_exp_f32_e32 v134, s40
	v_accvgpr_read_b32 v5, a3
	v_accvgpr_read_b32 v9, a7
	;; [unrolled: 1-line block ×4, first 2 shown]
	s_waitcnt vmcnt(4)
	v_accvgpr_read_b32 v18, a20
	v_accvgpr_read_b32 v25, a19
	;; [unrolled: 1-line block ×28, first 2 shown]
	s_add_i32 s52, s52, 64
	v_pk_fma_f32 v[62:63], v[134:135], v[62:63], v[2:3] op_sel_hi:[0,1,1]
	v_pk_fma_f32 v[64:65], v[134:135], v[64:65], v[4:5] op_sel_hi:[0,1,1]
	v_pk_fma_f32 v[54:55], v[134:135], v[54:55], v[6:7] op_sel_hi:[0,1,1]
	v_pk_fma_f32 v[56:57], v[134:135], v[56:57], v[8:9] op_sel_hi:[0,1,1]
	v_pk_fma_f32 v[46:47], v[134:135], v[46:47], v[10:11] op_sel_hi:[0,1,1]
	v_pk_fma_f32 v[48:49], v[134:135], v[48:49], v[12:13] op_sel_hi:[0,1,1]
	v_pk_fma_f32 v[40:41], v[134:135], v[40:41], v[14:15] op_sel_hi:[0,1,1]
	v_pk_fma_f32 v[34:35], v[134:135], v[34:35], v[16:17] op_sel_hi:[0,1,1]
	v_pk_fma_f32 v[58:59], v[134:135], v[58:59], v[18:19] op_sel_hi:[0,1,1]
	v_pk_fma_f32 v[60:61], v[134:135], v[60:61], v[20:21] op_sel_hi:[0,1,1]
	v_pk_fma_f32 v[50:51], v[134:135], v[50:51], v[22:23] op_sel_hi:[0,1,1]
	v_pk_fma_f32 v[52:53], v[134:135], v[52:53], v[24:25] op_sel_hi:[0,1,1]
	v_pk_fma_f32 v[42:43], v[134:135], v[42:43], v[26:27] op_sel_hi:[0,1,1]
	v_pk_fma_f32 v[44:45], v[134:135], v[44:45], v[28:29] op_sel_hi:[0,1,1]
	v_pk_fma_f32 v[36:37], v[134:135], v[36:37], v[30:31] op_sel_hi:[0,1,1]
	s_cmp_eq_u32 s45, s60
	v_pk_fma_f32 v[38:39], v[134:135], v[38:39], v[32:33] op_sel_hi:[0,1,1]
	s_cbranch_scc1 .LBB55_18
; %bb.17:                               ;   in Loop: Header=BB55_6 Depth=1
	s_mov_b32 s58, s60
	s_branch .LBB55_6
.LBB55_18:
	s_lshl_b32 s0, s45, 6
	s_sub_i32 s47, s47, s0
	s_cmp_gt_i32 s47, 0
	s_cbranch_scc0 .LBB55_99
; %bb.19:
	s_add_i32 s38, s0, s38
	s_ashr_i32 s2, s38, 31
	s_cmpk_lg_i32 s19, 0x80
	s_cselect_b64 s[30:31], -1, 0
	s_and_b64 vcc, exec, s[30:31]
	s_cbranch_vccz .LBB55_21
; %bb.20:
	s_mul_i32 s1, s38, s18
	s_ashr_i32 s3, s50, 31
	s_mul_hi_i32 s0, s38, s18
	s_add_u32 s40, s1, s50
	s_addc_u32 s41, s0, s3
	s_cbranch_execz .LBB55_22
	s_branch .LBB55_23
.LBB55_21:
                                        ; implicit-def: $sgpr40_sgpr41
.LBB55_22:
	s_mul_i32 s1, s50, s16
	s_mul_hi_i32 s0, s50, s16
	s_add_u32 s40, s1, s38
	s_addc_u32 s41, s0, s2
.LBB55_23:
	s_add_i32 s3, s45, s46
	s_ashr_i32 s16, s33, 31
	s_add_u32 s0, s49, s38
	v_lshlrev_b32_e32 v6, 6, v80
	v_lshlrev_b32_e32 v24, 2, v74
	s_addc_u32 s1, s48, s2
	s_mov_b32 s2, 0x7060302
	v_or_b32_e32 v9, v6, v24
	v_xor_b32_e32 v7, v80, v24
	v_perm_b32 v3, v65, v64, s2
	v_perm_b32 v2, v63, v62, s2
	;; [unrolled: 1-line block ×4, first 2 shown]
	v_lshlrev_b32_e32 v9, 1, v9
	v_xor_b32_e32 v8, v81, v24
	ds_write2st64_b64 v9, v[2:3], v[4:5] offset0:32 offset1:48
	v_lshlrev_b32_e32 v7, 1, v7
	v_lshlrev_b32_e32 v9, 8, v74
	v_or_b32_e32 v10, v7, v9
	v_lshlrev_b32_e32 v8, 1, v8
	ds_write_b64 v10, v[2:3]
	v_or_b32_e32 v2, v8, v9
	v_or_b32_e32 v9, 16, v74
	v_lshlrev_b32_e32 v23, 2, v9
	v_or_b32_e32 v10, v6, v23
	ds_write_b64 v2, v[4:5]
	v_perm_b32 v3, v57, v56, s2
	v_perm_b32 v2, v55, v54, s2
	;; [unrolled: 1-line block ×4, first 2 shown]
	v_lshlrev_b32_e32 v10, 1, v10
	v_lshlrev_b32_e32 v9, 8, v9
	ds_write2st64_b64 v10, v[2:3], v[4:5] offset0:32 offset1:48
	v_or_b32_e32 v10, v7, v9
	ds_write_b64 v10, v[2:3]
	v_or_b32_e32 v2, v8, v9
	v_or_b32_e32 v9, 32, v74
	v_lshlrev_b32_e32 v22, 2, v9
	v_or_b32_e32 v10, v6, v22
	s_lshl_b64 s[28:29], s[0:1], 8
	ds_write_b64 v2, v[4:5]
	v_perm_b32 v3, v49, v48, s2
	v_perm_b32 v2, v47, v46, s2
	;; [unrolled: 1-line block ×4, first 2 shown]
	v_lshlrev_b32_e32 v10, 1, v10
	v_lshlrev_b32_e32 v9, 8, v9
	s_add_u32 s0, s6, s28
	ds_write2st64_b64 v10, v[2:3], v[4:5] offset0:32 offset1:48
	v_or_b32_e32 v10, v7, v9
	s_addc_u32 s1, s7, s29
	ds_write_b64 v10, v[2:3]
	v_or_b32_e32 v2, v8, v9
	v_or_b32_e32 v9, 48, v74
	s_mul_hi_i32 s6, s3, s17
	s_mul_i32 s3, s3, s17
	ds_write_b64 v2, v[4:5]
	v_perm_b32 v3, v35, v34, s2
	v_perm_b32 v2, v41, v40, s2
	;; [unrolled: 1-line block ×4, first 2 shown]
	v_lshlrev_b32_e32 v19, 2, v9
	s_add_u32 s2, s3, s33
	v_or_b32_e32 v6, v6, v19
	s_addc_u32 s3, s6, s16
	v_lshlrev_b32_e32 v6, 1, v6
	s_ashr_i32 s37, s36, 31
	s_lshl_b64 s[2:3], s[2:3], 15
	ds_write2st64_b64 v6, v[2:3], v[4:5] offset0:32 offset1:48
	v_lshlrev_b32_e32 v6, 8, v9
	s_add_u32 s6, s12, s2
	v_or_b32_e32 v7, v7, v6
	s_addc_u32 s7, s13, s3
	s_lshl_b64 s[2:3], s[36:37], 8
	ds_write_b64 v7, v[2:3]
	v_or_b32_e32 v2, v8, v6
	s_add_u32 s2, s6, s2
	v_lshlrev_b32_e32 v3, 1, v74
	ds_write_b64 v2, v[4:5]
	v_lshrrev_b32_e32 v2, 4, v0
	s_addc_u32 s3, s7, s3
	v_or_b32_e32 v4, 1, v3
	v_lshlrev_b32_e32 v10, 4, v74
	v_mov_b32_e32 v11, 0
	v_xor_b32_e32 v3, v2, v3
	v_xor_b32_e32 v6, v4, v2
	v_lshl_add_u64 v[12:13], s[2:3], 0, v[10:11]
	v_lshlrev_b32_e32 v10, 8, v2
	v_lshl_or_b32 v16, v3, 3, v10
	v_lshl_or_b32 v17, v6, 3, v10
	s_waitcnt lgkmcnt(0)
	s_barrier
	ds_read2st64_b64 v[2:5], v16 offset1:8
	ds_read2st64_b64 v[6:9], v17 offset1:8
	v_lshl_add_u64 v[14:15], v[12:13], 0, v[10:11]
	s_movk_i32 s2, 0x2000
	s_cmp_lg_u32 s47, 64
	s_waitcnt lgkmcnt(1)
	v_mov_b32_e32 v10, v2
	v_mov_b32_e32 v11, v3
	s_waitcnt lgkmcnt(0)
	v_mov_b32_e32 v12, v6
	v_mov_b32_e32 v13, v7
	global_store_dwordx4 v[14:15], v[10:13], off
	v_mov_b32_e32 v6, v4
	v_mov_b32_e32 v7, v5
	ds_read2st64_b64 v[2:5], v16 offset0:16 offset1:24
	ds_read2st64_b64 v[10:13], v17 offset0:16 offset1:24
	v_add_co_u32_e32 v16, vcc, s2, v14
	s_cselect_b64 s[6:7], -1, 0
	s_nop 0
	v_addc_co_u32_e32 v17, vcc, 0, v15, vcc
	global_store_dwordx4 v[16:17], v[6:9], off offset:-4096
	v_lshl_or_b32 v25, v76, 3, v79
	s_mov_b32 s24, 0
	s_waitcnt lgkmcnt(1)
	v_mov_b32_e32 v6, v2
	v_add_co_u32_e32 v2, vcc, 0x3000, v14
	v_mov_b32_e32 v7, v3
	s_nop 0
	v_addc_co_u32_e32 v3, vcc, 0, v15, vcc
	s_waitcnt lgkmcnt(0)
	v_mov_b32_e32 v8, v10
	v_mov_b32_e32 v9, v11
	;; [unrolled: 1-line block ×4, first 2 shown]
	v_or_b32_e32 v20, 32, v25
	v_and_b32_e32 v18, 56, v78
	s_and_b64 vcc, exec, s[6:7]
	global_store_dwordx4 v[16:17], v[6:9], off
	global_store_dwordx4 v[2:3], v[10:13], off
	s_cbranch_vccz .LBB55_29
; %bb.24:
	s_mov_b32 s25, s24
	s_mov_b32 s26, s24
	;; [unrolled: 1-line block ×3, first 2 shown]
	v_mov_b64_e32 v[6:7], s[24:25]
	v_mov_b64_e32 v[8:9], s[26:27]
	;; [unrolled: 1-line block ×3, first 2 shown]
	v_cmp_gt_i32_e32 vcc, s47, v25
	v_mov_b64_e32 v[4:5], v[8:9]
	s_and_saveexec_b64 s[2:3], vcc
	s_cbranch_execz .LBB55_26
; %bb.25:
	v_lshlrev_b32_e32 v2, 8, v25
	v_mov_b32_e32 v3, 0
	v_lshl_add_u64 v[4:5], s[0:1], 0, v[2:3]
	v_lshlrev_b32_e32 v2, 1, v18
	v_lshl_add_u64 v[10:11], v[4:5], 0, v[2:3]
	global_load_dwordx4 v[6:9], v[10:11], off
	global_load_dwordx4 v[2:5], v[10:11], off offset:128
.LBB55_26:
	s_or_b64 exec, exec, s[2:3]
	s_mov_b32 s25, s24
	s_mov_b32 s26, s24
	;; [unrolled: 1-line block ×3, first 2 shown]
	v_mov_b64_e32 v[14:15], s[24:25]
	v_mov_b64_e32 v[16:17], s[26:27]
	;; [unrolled: 1-line block ×3, first 2 shown]
	v_cmp_gt_i32_e32 vcc, s47, v20
	v_lshlrev_b32_e32 v21, 7, v20
	v_mov_b64_e32 v[12:13], v[16:17]
	s_and_saveexec_b64 s[2:3], vcc
	s_cbranch_execz .LBB55_28
; %bb.27:
	v_lshlrev_b32_e32 v10, 1, v21
	v_mov_b32_e32 v11, 0
	v_lshl_add_u64 v[12:13], s[0:1], 0, v[10:11]
	v_lshlrev_b32_e32 v10, 1, v18
	v_lshl_add_u64 v[26:27], v[12:13], 0, v[10:11]
	global_load_dwordx4 v[14:17], v[26:27], off
	global_load_dwordx4 v[10:13], v[26:27], off offset:128
.LBB55_28:
	s_or_b64 exec, exec, s[2:3]
	v_lshrrev_b32_e32 v26, 3, v18
	v_lshlrev_b32_e32 v27, 3, v25
	v_or_b32_e32 v26, v27, v26
	v_lshlrev_b32_e32 v26, 4, v26
	v_and_b32_e32 v27, 0x78, v27
	v_xor_b32_e32 v26, v26, v27
	s_branch .LBB55_31
.LBB55_29:
                                        ; implicit-def: $vgpr26
                                        ; implicit-def: $vgpr21
                                        ; implicit-def: $vgpr6_vgpr7_vgpr8_vgpr9
                                        ; implicit-def: $vgpr2_vgpr3_vgpr4_vgpr5
                                        ; implicit-def: $vgpr14_vgpr15_vgpr16_vgpr17
                                        ; implicit-def: $vgpr10_vgpr11_vgpr12_vgpr13
	s_cbranch_execz .LBB55_31
; %bb.30:
	s_waitcnt vmcnt(0)
	v_lshlrev_b32_e32 v2, 1, v18
	v_lshl_or_b32 v21, v25, 8, v2
	s_and_b32 s1, s1, 0xffff
	s_mov_b32 s3, 0x20000
	s_movk_i32 s2, 0x4000
	v_lshl_or_b32 v26, v20, 8, v2
	s_movk_i32 s12, 0x80
	buffer_load_dwordx4 v[6:9], v21, s[0:3], 0 offen
	buffer_load_dwordx4 v[2:5], v21, s[0:3], s12 offen
	;; [unrolled: 1-line block ×4, first 2 shown]
	v_lshrrev_b32_e32 v21, 3, v18
	v_lshlrev_b32_e32 v26, 3, v25
	v_or_b32_e32 v21, v26, v21
	v_lshlrev_b32_e32 v21, 4, v21
	v_and_b32_e32 v26, 0x78, v26
	v_xor_b32_e32 v26, v21, v26
	v_lshlrev_b32_e32 v21, 7, v20
.LBB55_31:
	s_movk_i32 s0, 0x1000
	v_and_or_b32 v20, v21, s0, v26
	s_waitcnt vmcnt(1)
	ds_write_b64 v26, v[6:7] offset:49152
	v_xor_b32_e32 v6, 8, v26
	ds_write_b64 v6, v[8:9] offset:49152
	s_waitcnt vmcnt(0)
	ds_write_b64 v26, v[2:3] offset:57344
	ds_write_b64 v6, v[4:5] offset:57344
	ds_write_b64 v20, v[14:15] offset:49152
	v_xor_b32_e32 v2, 8, v20
	ds_write_b64 v2, v[16:17] offset:49152
	ds_write_b64 v20, v[10:11] offset:57344
	ds_write_b64 v2, v[12:13] offset:57344
	v_or_b32_e32 v2, v1, v74
	v_lshlrev_b32_e32 v3, 11, v76
	v_lshlrev_b32_e32 v2, 3, v2
	v_and_b32_e32 v6, 0x1000, v3
	v_lshrrev_b32_e32 v3, 5, v75
	s_movk_i32 s0, 0xf8
	v_and_or_b32 v3, v2, s0, v3
	v_lshlrev_b32_e32 v7, 4, v3
	v_and_b32_e32 v8, 0x78, v2
	v_or_b32_e32 v10, 32, v7
	v_lshrrev_b32_e32 v3, 1, v75
	v_xor_b32_e32 v10, v10, v8
	v_xor_b32_e32 v2, v7, v8
	v_and_b32_e32 v9, 8, v3
	v_or_b32_e32 v10, v10, v6
	v_or_b32_e32 v2, v2, v6
	v_xor_b32_e32 v28, v10, v9
	v_or_b32_e32 v10, 64, v7
	v_xor_b32_e32 v27, v2, v9
	v_xor_b32_e32 v10, v10, v8
	s_waitcnt lgkmcnt(0)
	s_barrier
	v_or_b32_e32 v13, v10, v6
	ds_read_b64 v[10:11], v27 offset:49152
	v_lshl_or_b32 v14, v77, 8, v24
	v_lshlrev_b32_e32 v26, 1, v14
	v_add_u32_e32 v12, 0x4000, v26
	ds_read2_b64 v[2:5], v12 offset1:16
	v_or_b32_e32 v7, 0x60, v7
	v_xor_b32_e32 v7, v7, v8
	v_or_b32_e32 v6, v7, v6
	v_xor_b32_e32 v29, v13, v9
	v_xor_b32_e32 v30, v6, v9
	ds_read_b64 v[20:21], v28 offset:49152
	ds_read_b64 v[34:35], v29 offset:49152
	;; [unrolled: 1-line block ×3, first 2 shown]
	s_waitcnt lgkmcnt(3)
	v_mfma_f32_16x16x16_bf16 a[0:3], v[10:11], v[2:3], 0
	ds_read2_b64 v[6:9], v12 offset0:32 offset1:48
	s_lshl_b64 s[0:1], s[40:41], 8
	s_add_u32 s4, s4, s0
	v_mfma_f32_16x16x16_bf16 a[4:7], v[10:11], v[4:5], 0
	ds_read2st64_b64 v[2:5], v26 offset0:36 offset1:40
	s_addc_u32 s5, s5, s1
	s_add_i32 s2, s39, -1
	s_waitcnt lgkmcnt(1)
	v_mfma_f32_16x16x16_bf16 a[8:11], v[10:11], v[6:7], 0
	v_or_b32_e32 v6, 64, v14
	v_lshlrev_b32_e32 v31, 1, v6
	s_add_i32 s0, s43, s42
	s_waitcnt lgkmcnt(0)
	v_mfma_f32_16x16x16_bf16 a[0:3], v[20:21], v[2:3], a[0:3]
	v_or_b32_e32 v2, 0x80, v14
	v_lshlrev_b32_e32 v32, 1, v2
	v_or_b32_e32 v2, 0xc0, v14
	v_mfma_f32_16x16x16_bf16 a[12:15], v[10:11], v[8:9], 0
	ds_read2st64_b64 v[6:9], v31 offset0:36 offset1:40
	v_lshlrev_b32_e32 v33, 1, v2
	ds_read2st64_b64 v[10:13], v32 offset0:36 offset1:40
	ds_read2st64_b64 v[14:17], v33 offset0:36 offset1:40
	s_add_i32 s21, s0, s44
	s_mul_i32 s0, s33, s23
	s_mul_hi_u32 s1, s33, s22
	s_ashr_i32 s3, s2, 31
	s_mul_i32 s12, s2, s35
	s_mul_hi_u32 s13, s2, s34
	s_waitcnt lgkmcnt(2)
	v_mfma_f32_16x16x16_bf16 a[4:7], v[20:21], v[6:7], a[4:7]
	s_add_i32 s0, s1, s0
	s_mul_i32 s1, s16, s22
	s_add_i32 s12, s13, s12
	s_mul_i32 s3, s3, s34
	s_waitcnt lgkmcnt(1)
	v_mfma_f32_16x16x16_bf16 a[8:11], v[20:21], v[10:11], a[8:11]
	s_add_i32 s1, s0, s1
	s_add_i32 s3, s12, s3
	s_lshl_b64 s[12:13], s[20:21], 2
	s_waitcnt lgkmcnt(0)
	v_mfma_f32_16x16x16_bf16 a[12:15], v[20:21], v[14:15], a[12:15]
	s_mul_i32 s0, s33, s22
	s_add_u32 s10, s10, s12
	s_addc_u32 s11, s11, s13
	s_lshl_b64 s[0:1], s[0:1], 2
	v_mfma_f32_16x16x16_bf16 a[0:3], v[34:35], v[4:5], a[0:3]
	s_mul_i32 s2, s2, s34
	ds_read_b64 v[2:3], v26 offset:22528
	s_add_u32 s10, s10, s0
	v_mfma_f32_16x16x16_bf16 a[4:7], v[34:35], v[8:9], a[4:7]
	ds_read_b64 v[4:5], v31 offset:22528
	ds_read_b64 v[6:7], v32 offset:22528
	ds_read_b64 v[8:9], v33 offset:22528
	s_addc_u32 s11, s11, s1
	s_lshl_b64 s[0:1], s[2:3], 2
	v_mfma_f32_16x16x16_bf16 a[8:11], v[34:35], v[12:13], a[8:11]
	s_add_u32 s0, s10, s0
	s_addc_u32 s1, s11, s1
	s_load_dword s12, s[0:1], 0x0
	v_mfma_f32_16x16x16_bf16 a[12:15], v[34:35], v[16:17], a[12:15]
	s_and_b64 vcc, exec, s[30:31]
	s_waitcnt lgkmcnt(0)
	v_mfma_f32_16x16x16_bf16 a[0:3], v[36:37], v[2:3], a[0:3]
	v_mfma_f32_16x16x16_bf16 a[4:7], v[36:37], v[4:5], a[4:7]
	;; [unrolled: 1-line block ×4, first 2 shown]
	s_cbranch_vccz .LBB55_42
; %bb.32:
	v_lshlrev_b32_e32 v20, 1, v25
	s_and_b64 vcc, exec, s[6:7]
	s_cbranch_vccz .LBB55_43
; %bb.33:
	v_cmp_gt_i32_e32 vcc, s47, v20
	v_mov_b32_e32 v6, 0
	v_mov_b32_e32 v2, 0
	;; [unrolled: 1-line block ×5, first 2 shown]
	s_and_saveexec_b64 s[0:1], vcc
	s_cbranch_execz .LBB55_35
; %bb.34:
	v_mad_i64_i32 v[2:3], s[2:3], s19, v20, 0
	v_lshl_add_u64 v[2:3], v[2:3], 1, s[4:5]
	v_lshlrev_b32_e32 v4, 1, v18
	v_mov_b32_e32 v5, 0
	v_lshl_add_u64 v[2:3], v[2:3], 0, v[4:5]
	global_load_dwordx4 v[2:5], v[2:3], off
.LBB55_35:
	s_or_b64 exec, exec, s[0:1]
	v_or_b32_e32 v21, 1, v20
	v_cmp_gt_i32_e64 s[0:1], s47, v21
	v_mov_b32_e32 v7, 0
	v_mov_b32_e32 v8, 0
	;; [unrolled: 1-line block ×3, first 2 shown]
	s_and_saveexec_b64 s[2:3], s[0:1]
	s_cbranch_execz .LBB55_37
; %bb.36:
	v_mad_i64_i32 v[6:7], s[16:17], s19, v21, 0
	v_lshl_add_u64 v[6:7], v[6:7], 1, s[4:5]
	v_lshlrev_b32_e32 v8, 1, v18
	v_mov_b32_e32 v9, 0
	v_lshl_add_u64 v[6:7], v[6:7], 0, v[8:9]
	global_load_dwordx4 v[6:9], v[6:7], off
.LBB55_37:
	s_or_b64 exec, exec, s[2:3]
	v_mov_b32_e32 v17, 0
	v_mov_b32_e32 v10, 0
	v_mov_b32_e32 v11, 0
	v_mov_b32_e32 v12, 0
	v_mov_b32_e32 v13, 0
	s_and_saveexec_b64 s[2:3], vcc
	s_cbranch_execz .LBB55_39
; %bb.38:
	v_mad_i64_i32 v[10:11], s[16:17], s19, v20, 0
	v_lshl_add_u64 v[10:11], v[10:11], 1, s[4:5]
	v_lshlrev_b32_e32 v12, 1, v18
	v_mov_b32_e32 v13, 0
	v_lshl_add_u64 v[10:11], v[10:11], 0, v[12:13]
	global_load_dwordx4 v[10:13], v[10:11], off offset:128
.LBB55_39:
	s_or_b64 exec, exec, s[2:3]
	v_mov_b32_e32 v16, 0
	v_mov_b32_e32 v15, 0
	;; [unrolled: 1-line block ×3, first 2 shown]
	s_and_saveexec_b64 s[2:3], s[0:1]
	s_cbranch_execz .LBB55_41
; %bb.40:
	v_mad_i64_i32 v[14:15], s[0:1], s19, v21, 0
	v_lshl_add_u64 v[14:15], v[14:15], 1, s[4:5]
	v_lshlrev_b32_e32 v16, 1, v18
	v_mov_b32_e32 v17, 0
	v_lshl_add_u64 v[14:15], v[14:15], 0, v[16:17]
	global_load_dwordx4 v[14:17], v[14:15], off offset:128
.LBB55_41:
	s_or_b64 exec, exec, s[2:3]
	s_branch .LBB55_45
.LBB55_42:
                                        ; implicit-def: $vgpr5
                                        ; implicit-def: $vgpr9
                                        ; implicit-def: $vgpr13
                                        ; implicit-def: $vgpr17
	v_lshrrev_b32_e32 v34, 2, v75
	s_branch .LBB55_46
.LBB55_43:
                                        ; implicit-def: $vgpr5
                                        ; implicit-def: $vgpr9
                                        ; implicit-def: $vgpr13
                                        ; implicit-def: $vgpr17
	s_cbranch_execz .LBB55_45
; %bb.44:
	s_waitcnt vmcnt(0)
	v_mad_u64_u32 v[2:3], s[0:1], v20, s19, v[18:19]
	v_lshlrev_b32_e32 v20, 1, v2
	s_lshl_b32 s2, s19, 7
	s_and_b32 s1, s5, 0xffff
	s_mov_b32 s3, 0x20000
	s_mov_b32 s0, s4
	v_add_lshl_u32 v21, v2, s19, 1
	s_movk_i32 s13, 0x80
	buffer_load_dwordx4 v[2:5], v20, s[0:3], 0 offen
	buffer_load_dwordx4 v[10:13], v20, s[0:3], s13 offen
	buffer_load_dwordx4 v[6:9], v21, s[0:3], 0 offen
	buffer_load_dwordx4 v[14:17], v21, s[0:3], s13 offen
.LBB55_45:
	v_lshrrev_b32_e32 v34, 2, v75
	s_cbranch_execnz .LBB55_58
.LBB55_46:
	s_and_b64 vcc, exec, s[6:7]
	s_cbranch_vccz .LBB55_56
; %bb.47:
	s_waitcnt vmcnt(0)
	v_lshlrev_b32_e32 v7, 1, v25
	v_cmp_gt_i32_e32 vcc, s47, v7
	v_mov_b32_e32 v6, 0
	v_lshlrev_b32_e32 v14, 9, v25
	v_mov_b32_e32 v2, 0
	v_mov_b32_e32 v3, 0
	;; [unrolled: 1-line block ×4, first 2 shown]
	s_and_saveexec_b64 s[0:1], vcc
	s_cbranch_execz .LBB55_49
; %bb.48:
	v_mov_b32_e32 v15, 0
	v_lshl_add_u64 v[2:3], s[4:5], 0, v[14:15]
	v_lshlrev_b32_e32 v4, 1, v18
	v_mov_b32_e32 v5, v15
	v_lshl_add_u64 v[2:3], v[2:3], 0, v[4:5]
	global_load_dwordx4 v[2:5], v[2:3], off
.LBB55_49:
	s_or_b64 exec, exec, s[0:1]
	v_or_b32_e32 v7, 1, v7
	v_cmp_gt_i32_e64 s[0:1], s47, v7
	v_lshlrev_b32_e32 v20, 8, v7
	v_mov_b32_e32 v7, 0
	v_mov_b32_e32 v8, 0
	;; [unrolled: 1-line block ×3, first 2 shown]
	s_and_saveexec_b64 s[2:3], s[0:1]
	s_cbranch_execz .LBB55_51
; %bb.50:
	v_mov_b32_e32 v21, 0
	v_lshl_add_u64 v[6:7], s[4:5], 0, v[20:21]
	v_lshlrev_b32_e32 v8, 1, v18
	v_mov_b32_e32 v9, v21
	v_lshl_add_u64 v[6:7], v[6:7], 0, v[8:9]
	global_load_dwordx4 v[6:9], v[6:7], off
.LBB55_51:
	s_or_b64 exec, exec, s[2:3]
	v_mov_b32_e32 v17, 0
	v_mov_b32_e32 v10, 0
	;; [unrolled: 1-line block ×5, first 2 shown]
	s_and_saveexec_b64 s[2:3], vcc
	s_cbranch_execz .LBB55_53
; %bb.52:
	v_mov_b32_e32 v15, 0
	v_lshl_add_u64 v[10:11], s[4:5], 0, v[14:15]
	v_lshlrev_b32_e32 v14, 1, v18
	v_lshl_add_u64 v[10:11], v[10:11], 0, v[14:15]
	global_load_dwordx4 v[10:13], v[10:11], off offset:128
.LBB55_53:
	s_or_b64 exec, exec, s[2:3]
	v_mov_b32_e32 v16, 0
	v_mov_b32_e32 v15, 0
	;; [unrolled: 1-line block ×3, first 2 shown]
	s_and_saveexec_b64 s[2:3], s[0:1]
	s_cbranch_execz .LBB55_55
; %bb.54:
	v_mov_b32_e32 v21, 0
	v_lshl_add_u64 v[14:15], s[4:5], 0, v[20:21]
	v_lshlrev_b32_e32 v20, 1, v18
	v_lshl_add_u64 v[14:15], v[14:15], 0, v[20:21]
	global_load_dwordx4 v[14:17], v[14:15], off offset:128
.LBB55_55:
	s_or_b64 exec, exec, s[2:3]
	s_branch .LBB55_58
.LBB55_56:
                                        ; implicit-def: $vgpr5
                                        ; implicit-def: $vgpr9
                                        ; implicit-def: $vgpr13
                                        ; implicit-def: $vgpr17
	s_cbranch_execz .LBB55_58
; %bb.57:
	s_waitcnt vmcnt(0)
	v_lshlrev_b32_e32 v2, 1, v18
	v_lshl_or_b32 v18, v25, 9, v2
	s_and_b32 s5, s5, 0xffff
	s_mov_b32 s7, 0x20000
	s_movk_i32 s6, 0x4000
	s_movk_i32 s0, 0x80
	buffer_load_dwordx4 v[2:5], v18, s[4:7], 0 offen
	buffer_load_dwordx4 v[6:9], v18, s[4:7], 0 offen offset:256
	buffer_load_dwordx4 v[10:13], v18, s[4:7], s0 offen
	buffer_load_dwordx4 v[14:17], v18, s[4:7], s0 offen offset:256
.LBB55_58:
	ds_read_b64 v[20:21], v27 offset:57344
	v_add_u32_e32 v18, 0x6000, v26
	ds_read2_b64 v[36:39], v18 offset1:16
	ds_read_b64 v[52:53], v28 offset:57344
	ds_read_b64 v[28:29], v29 offset:57344
	;; [unrolled: 1-line block ×3, first 2 shown]
	ds_read2st64_b64 v[40:43], v26 offset0:52 offset1:56
	s_mov_b32 s0, 0x1000504
	s_mov_b32 s1, 0x3020706
	s_waitcnt lgkmcnt(4)
	v_mfma_f32_16x16x16_bf16 a[0:3], v[20:21], v[36:37], a[0:3]
	v_mfma_f32_16x16x16_bf16 a[4:7], v[20:21], v[38:39], a[4:7]
	ds_read2_b64 v[36:39], v18 offset0:32 offset1:48
	v_and_b32_e32 v18, 6, v0
	v_xor_b32_e32 v25, v25, v18
	s_waitcnt lgkmcnt(0)
	v_mfma_f32_16x16x16_bf16 a[8:11], v[20:21], v[36:37], a[8:11]
	v_lshlrev_b32_e32 v25, 2, v25
	v_and_b32_e32 v0, 1, v0
	v_xor_b32_e32 v35, 0x440, v25
	v_mfma_f32_16x16x16_bf16 a[12:15], v[20:21], v[38:39], a[12:15]
	ds_read2st64_b64 v[36:39], v31 offset0:52 offset1:56
	ds_read2st64_b64 v[44:47], v32 offset0:52 offset1:56
	;; [unrolled: 1-line block ×3, first 2 shown]
	v_cmp_eq_u32_e32 vcc, 0, v0
	ds_read_b64 v[20:21], v26 offset:30720
	ds_read_b64 v[26:27], v31 offset:30720
	;; [unrolled: 1-line block ×4, first 2 shown]
	v_mfma_f32_16x16x16_bf16 a[0:3], v[52:53], v[40:41], a[0:3]
	v_cndmask_b32_e32 v0, v35, v25, vcc
	v_lshl_or_b32 v0, v18, 10, v0
	s_waitcnt vmcnt(0)
	v_perm_b32 v18, v2, v6, s0
	s_waitcnt lgkmcnt(6)
	v_mfma_f32_16x16x16_bf16 a[4:7], v[52:53], v[36:37], a[4:7]
	v_perm_b32 v25, v10, v14, s0
	ds_write2st64_b32 v0, v18, v25 offset0:128 offset1:160
	v_xor_b32_e32 v18, 8, v0
	s_waitcnt lgkmcnt(6)
	v_mfma_f32_16x16x16_bf16 a[8:11], v[52:53], v[44:45], a[8:11]
	v_perm_b32 v2, v2, v6, s1
	v_perm_b32 v6, v10, v14, s1
	v_add_u32_e32 v10, 0x80, v18
	s_waitcnt lgkmcnt(5)
	v_mfma_f32_16x16x16_bf16 a[12:15], v[52:53], v[48:49], a[12:15]
	ds_write2st64_b32 v10, v2, v6 offset0:128 offset1:160
	v_xor_b32_e32 v2, 16, v0
	v_perm_b32 v6, v3, v7, s0
	v_mfma_f32_16x16x16_bf16 a[0:3], v[28:29], v[42:43], a[0:3]
	v_perm_b32 v10, v11, v15, s0
	ds_write2st64_b32 v2, v6, v10 offset0:129 offset1:161
	v_xor_b32_e32 v2, 24, v0
	v_mfma_f32_16x16x16_bf16 a[4:7], v[28:29], v[38:39], a[4:7]
	v_perm_b32 v3, v3, v7, s1
	v_perm_b32 v6, v11, v15, s1
	v_add_u32_e32 v2, 0x80, v2
	v_mfma_f32_16x16x16_bf16 a[16:19], v[28:29], v[46:47], a[8:11]
	ds_write2st64_b32 v2, v3, v6 offset0:129 offset1:161
	v_xor_b32_e32 v2, 32, v0
	v_perm_b32 v3, v4, v8, s0
	v_mfma_f32_16x16x16_bf16 a[20:23], v[28:29], v[50:51], a[12:15]
	v_perm_b32 v6, v12, v16, s0
	ds_write2st64_b32 v2, v3, v6 offset0:130 offset1:162
	v_xor_b32_e32 v2, 40, v0
	s_waitcnt lgkmcnt(8)
	v_mfma_f32_16x16x16_bf16 a[12:15], v[54:55], v[20:21], a[0:3]
	v_perm_b32 v3, v4, v8, s1
	v_perm_b32 v4, v12, v16, s1
	v_add_u32_e32 v2, 0x80, v2
	s_waitcnt lgkmcnt(7)
	v_mfma_f32_16x16x16_bf16 a[8:11], v[54:55], v[26:27], a[4:7]
	ds_write2st64_b32 v2, v3, v4 offset0:130 offset1:162
	v_xor_b32_e32 v2, 48, v0
	v_perm_b32 v3, v5, v9, s0
	s_waitcnt lgkmcnt(7)
	v_mfma_f32_16x16x16_bf16 a[4:7], v[54:55], v[30:31], a[16:19]
	v_perm_b32 v4, v13, v17, s0
	v_xor_b32_e32 v0, 56, v0
	v_and_or_b32 v21, v34, 12, v1
	s_waitcnt lgkmcnt(6)
	v_mfma_f32_16x16x16_bf16 a[0:3], v[54:55], v[32:33], a[20:23]
	ds_write2st64_b32 v2, v3, v4 offset0:131 offset1:163
	v_perm_b32 v2, v5, v9, s1
	v_perm_b32 v3, v13, v17, s1
	v_add_u32_e32 v0, 0x80, v0
	v_cmp_gt_i32_e32 vcc, s47, v21
	v_mov_b32_e32 v16, 0
	v_mov_b32_e32 v18, 0
	ds_write2st64_b32 v0, v2, v3 offset0:131 offset1:163
	s_and_saveexec_b64 s[0:1], vcc
	s_cbranch_execz .LBB55_60
; %bb.59:
	v_add_u32_e32 v0, s38, v21
	v_ashrrev_i32_e32 v1, 31, v0
	v_mul_lo_u32 v2, v1, s34
	v_mul_lo_u32 v3, v0, s35
	v_mad_u64_u32 v[0:1], s[2:3], v0, s34, 0
	v_add3_u32 v1, v1, v3, v2
	v_lshl_add_u64 v[0:1], v[0:1], 2, s[10:11]
	global_load_dword v0, v[0:1], off
	s_waitcnt vmcnt(0)
	v_sub_f32_e32 v0, s12, v0
	v_exp_f32_e32 v18, v0
.LBB55_60:
	s_or_b64 exec, exec, s[0:1]
	v_or_b32_e32 v10, 1, v21
	v_cmp_gt_i32_e64 s[2:3], s47, v10
	s_and_saveexec_b64 s[0:1], s[2:3]
	s_cbranch_execz .LBB55_62
; %bb.61:
	v_add_u32_e32 v0, s38, v10
	v_ashrrev_i32_e32 v1, 31, v0
	v_mul_lo_u32 v2, v1, s34
	v_mul_lo_u32 v3, v0, s35
	v_mad_u64_u32 v[0:1], s[4:5], v0, s34, 0
	v_add3_u32 v1, v1, v3, v2
	v_lshl_add_u64 v[0:1], v[0:1], 2, s[10:11]
	global_load_dword v0, v[0:1], off
	s_waitcnt vmcnt(0)
	v_sub_f32_e32 v0, s12, v0
	v_exp_f32_e32 v16, v0
.LBB55_62:
	s_or_b64 exec, exec, s[0:1]
	v_or_b32_e32 v12, 2, v21
	v_cmp_gt_i32_e64 s[0:1], s47, v12
	v_mov_b32_e32 v17, 0
	v_mov_b32_e32 v20, 0
	s_and_saveexec_b64 s[4:5], s[0:1]
	s_cbranch_execz .LBB55_64
; %bb.63:
	v_add_u32_e32 v0, s38, v12
	v_ashrrev_i32_e32 v1, 31, v0
	v_mul_lo_u32 v2, v1, s34
	v_mul_lo_u32 v3, v0, s35
	v_mad_u64_u32 v[0:1], s[6:7], v0, s34, 0
	v_add3_u32 v1, v1, v3, v2
	v_lshl_add_u64 v[0:1], v[0:1], 2, s[10:11]
	global_load_dword v0, v[0:1], off
	s_waitcnt vmcnt(0)
	v_sub_f32_e32 v0, s12, v0
	v_exp_f32_e32 v20, v0
.LBB55_64:
	s_or_b64 exec, exec, s[4:5]
	v_or_b32_e32 v14, 3, v21
	v_cmp_gt_i32_e64 s[4:5], s47, v14
	s_and_saveexec_b64 s[6:7], s[4:5]
	s_cbranch_execz .LBB55_66
; %bb.65:
	v_add_u32_e32 v0, s38, v14
	v_ashrrev_i32_e32 v1, 31, v0
	v_mul_lo_u32 v2, v1, s34
	v_mul_lo_u32 v3, v0, s35
	v_mad_u64_u32 v[0:1], s[16:17], v0, s34, 0
	v_add3_u32 v1, v1, v3, v2
	v_lshl_add_u64 v[0:1], v[0:1], 2, s[10:11]
	global_load_dword v0, v[0:1], off
	s_waitcnt vmcnt(0)
	v_sub_f32_e32 v0, s12, v0
	v_exp_f32_e32 v17, v0
.LBB55_66:
	s_or_b64 exec, exec, s[6:7]
	s_add_u32 s6, s8, s28
	v_or_b32_e32 v4, s36, v74
	s_addc_u32 s7, s9, s29
	s_add_u32 s8, s14, s28
	v_ashrrev_i32_e32 v5, 31, v4
	v_accvgpr_read_b32 v0, a12
	s_addc_u32 s9, s15, s29
	v_lshlrev_b64 v[4:5], 1, v[4:5]
	v_accvgpr_read_b32 v1, a13
	v_accvgpr_read_b32 v2, a14
	;; [unrolled: 1-line block ×3, first 2 shown]
	v_lshl_add_u64 v[6:7], s[6:7], 0, v[4:5]
	v_lshl_add_u64 v[4:5], s[8:9], 0, v[4:5]
	v_mov_b32_e32 v11, 0
	v_lshlrev_b32_e32 v8, 8, v21
	v_mov_b32_e32 v9, 0
	s_and_saveexec_b64 s[6:7], vcc
	s_cbranch_execz .LBB55_68
; %bb.67:
	v_mov_b32_e32 v9, 0
	v_lshl_add_u64 v[26:27], v[6:7], 0, v[8:9]
	global_load_ushort v13, v[26:27], off
	v_lshl_add_u64 v[26:27], v[4:5], 0, v[8:9]
	s_waitcnt vmcnt(0)
	v_lshlrev_b32_e32 v9, 16, v13
	v_sub_f32_e32 v0, v9, v0
	global_store_short_d16_hi v[26:27], v0, off
	v_mul_f32_e32 v0, v18, v0
	v_lshrrev_b32_e32 v9, 16, v0
.LBB55_68:
	s_or_b64 exec, exec, s[6:7]
	v_lshlrev_b32_e32 v10, 8, v10
	s_and_saveexec_b64 s[6:7], s[2:3]
	s_cbranch_execz .LBB55_70
; %bb.69:
	v_mov_b32_e32 v11, 0
	v_lshl_add_u64 v[26:27], v[6:7], 0, v[10:11]
	global_load_ushort v0, v[26:27], off
	v_lshl_add_u64 v[26:27], v[4:5], 0, v[10:11]
	s_waitcnt vmcnt(0)
	v_lshlrev_b32_e32 v0, 16, v0
	v_sub_f32_e32 v0, v0, v1
	global_store_short_d16_hi v[26:27], v0, off
	v_mul_f32_e32 v0, v16, v0
	v_lshrrev_b32_e32 v11, 16, v0
.LBB55_70:
	s_or_b64 exec, exec, s[6:7]
	v_mov_b32_e32 v15, 0
	v_lshlrev_b32_e32 v12, 8, v12
	v_mov_b32_e32 v13, 0
	s_and_saveexec_b64 s[6:7], s[0:1]
	s_cbranch_execz .LBB55_72
; %bb.71:
	v_mov_b32_e32 v13, 0
	v_lshl_add_u64 v[0:1], v[6:7], 0, v[12:13]
	global_load_ushort v25, v[0:1], off
	v_lshl_add_u64 v[0:1], v[4:5], 0, v[12:13]
	s_waitcnt vmcnt(0)
	v_lshlrev_b32_e32 v13, 16, v25
	v_sub_f32_e32 v2, v13, v2
	global_store_short_d16_hi v[0:1], v2, off
	v_mul_f32_e32 v0, v20, v2
	v_lshrrev_b32_e32 v13, 16, v0
.LBB55_72:
	s_or_b64 exec, exec, s[6:7]
	v_lshlrev_b32_e32 v14, 8, v14
	s_and_saveexec_b64 s[6:7], s[4:5]
	s_cbranch_execz .LBB55_74
; %bb.73:
	v_mov_b32_e32 v15, 0
	v_lshl_add_u64 v[0:1], v[6:7], 0, v[14:15]
	global_load_ushort v2, v[0:1], off
	v_lshl_add_u64 v[0:1], v[4:5], 0, v[14:15]
	s_waitcnt vmcnt(0)
	v_lshlrev_b32_e32 v2, 16, v2
	v_sub_f32_e32 v2, v2, v3
	global_store_short_d16_hi v[0:1], v2, off
	v_mul_f32_e32 v0, v17, v2
	v_lshrrev_b32_e32 v15, 16, v0
.LBB55_74:
	s_or_b64 exec, exec, s[6:7]
	v_lshlrev_b32_e32 v21, 6, v21
	s_mov_b32 s6, 0x5040100
	v_perm_b32 v26, v11, v9, s6
	v_or_b32_e32 v9, v21, v24
	v_accvgpr_read_b32 v0, a8
	v_perm_b32 v27, v15, v13, s6
	v_lshlrev_b32_e32 v9, 1, v9
	v_accvgpr_read_b32 v1, a9
	v_accvgpr_read_b32 v2, a10
	;; [unrolled: 1-line block ×3, first 2 shown]
	ds_write_b64 v9, v[26:27] offset:24576
	v_mov_b32_e32 v11, 0
	v_mov_b32_e32 v9, 0
	s_and_saveexec_b64 s[6:7], vcc
	s_cbranch_execz .LBB55_76
; %bb.75:
	v_mov_b32_e32 v9, 0
	v_lshl_add_u64 v[24:25], v[6:7], 0, v[8:9]
	global_load_ushort v13, v[24:25], off offset:32
	v_lshl_add_u64 v[24:25], v[4:5], 0, v[8:9]
	s_waitcnt vmcnt(0)
	v_lshlrev_b32_e32 v9, 16, v13
	v_sub_f32_e32 v0, v9, v0
	global_store_short_d16_hi v[24:25], v0, off offset:32
	v_mul_f32_e32 v0, v18, v0
	v_lshrrev_b32_e32 v9, 16, v0
.LBB55_76:
	s_or_b64 exec, exec, s[6:7]
	s_and_saveexec_b64 s[6:7], s[2:3]
	s_cbranch_execz .LBB55_78
; %bb.77:
	v_mov_b32_e32 v11, 0
	v_lshl_add_u64 v[24:25], v[6:7], 0, v[10:11]
	global_load_ushort v0, v[24:25], off offset:32
	v_lshl_add_u64 v[24:25], v[4:5], 0, v[10:11]
	s_waitcnt vmcnt(0)
	v_lshlrev_b32_e32 v0, 16, v0
	v_sub_f32_e32 v0, v0, v1
	global_store_short_d16_hi v[24:25], v0, off offset:32
	v_mul_f32_e32 v0, v16, v0
	v_lshrrev_b32_e32 v11, 16, v0
.LBB55_78:
	s_or_b64 exec, exec, s[6:7]
	v_mov_b32_e32 v15, 0
	v_mov_b32_e32 v13, 0
	s_and_saveexec_b64 s[6:7], s[0:1]
	s_cbranch_execz .LBB55_80
; %bb.79:
	v_mov_b32_e32 v13, 0
	v_lshl_add_u64 v[0:1], v[6:7], 0, v[12:13]
	global_load_ushort v24, v[0:1], off offset:32
	v_lshl_add_u64 v[0:1], v[4:5], 0, v[12:13]
	s_waitcnt vmcnt(0)
	v_lshlrev_b32_e32 v13, 16, v24
	v_sub_f32_e32 v2, v13, v2
	global_store_short_d16_hi v[0:1], v2, off offset:32
	v_mul_f32_e32 v0, v20, v2
	v_lshrrev_b32_e32 v13, 16, v0
.LBB55_80:
	s_or_b64 exec, exec, s[6:7]
	s_and_saveexec_b64 s[6:7], s[4:5]
	s_cbranch_execz .LBB55_82
; %bb.81:
	v_mov_b32_e32 v15, 0
	v_lshl_add_u64 v[0:1], v[6:7], 0, v[14:15]
	global_load_ushort v2, v[0:1], off offset:32
	v_lshl_add_u64 v[0:1], v[4:5], 0, v[14:15]
	s_waitcnt vmcnt(0)
	v_lshlrev_b32_e32 v2, 16, v2
	v_sub_f32_e32 v2, v2, v3
	global_store_short_d16_hi v[0:1], v2, off offset:32
	v_mul_f32_e32 v0, v17, v2
	v_lshrrev_b32_e32 v15, 16, v0
.LBB55_82:
	s_or_b64 exec, exec, s[6:7]
	s_mov_b32 s6, 0x5040100
	v_perm_b32 v24, v11, v9, s6
	v_or_b32_e32 v9, v21, v23
	v_accvgpr_read_b32 v0, a4
	v_perm_b32 v25, v15, v13, s6
	v_lshlrev_b32_e32 v9, 1, v9
	v_accvgpr_read_b32 v1, a5
	v_accvgpr_read_b32 v2, a6
	;; [unrolled: 1-line block ×3, first 2 shown]
	ds_write_b64 v9, v[24:25] offset:24576
	v_mov_b32_e32 v11, 0
	v_mov_b32_e32 v9, 0
	s_and_saveexec_b64 s[6:7], vcc
	s_cbranch_execz .LBB55_84
; %bb.83:
	v_mov_b32_e32 v9, 0
	v_lshl_add_u64 v[24:25], v[6:7], 0, v[8:9]
	global_load_ushort v13, v[24:25], off offset:64
	v_lshl_add_u64 v[24:25], v[4:5], 0, v[8:9]
	s_waitcnt vmcnt(0)
	v_lshlrev_b32_e32 v9, 16, v13
	v_sub_f32_e32 v0, v9, v0
	global_store_short_d16_hi v[24:25], v0, off offset:64
	v_mul_f32_e32 v0, v18, v0
	v_lshrrev_b32_e32 v9, 16, v0
.LBB55_84:
	s_or_b64 exec, exec, s[6:7]
	s_and_saveexec_b64 s[6:7], s[2:3]
	s_cbranch_execz .LBB55_86
; %bb.85:
	v_mov_b32_e32 v11, 0
	v_lshl_add_u64 v[24:25], v[6:7], 0, v[10:11]
	global_load_ushort v0, v[24:25], off offset:64
	v_lshl_add_u64 v[24:25], v[4:5], 0, v[10:11]
	s_waitcnt vmcnt(0)
	v_lshlrev_b32_e32 v0, 16, v0
	v_sub_f32_e32 v0, v0, v1
	global_store_short_d16_hi v[24:25], v0, off offset:64
	v_mul_f32_e32 v0, v16, v0
	v_lshrrev_b32_e32 v11, 16, v0
.LBB55_86:
	s_or_b64 exec, exec, s[6:7]
	v_mov_b32_e32 v15, 0
	v_mov_b32_e32 v13, 0
	s_and_saveexec_b64 s[6:7], s[0:1]
	s_cbranch_execz .LBB55_88
; %bb.87:
	v_mov_b32_e32 v13, 0
	v_lshl_add_u64 v[0:1], v[6:7], 0, v[12:13]
	global_load_ushort v23, v[0:1], off offset:64
	v_lshl_add_u64 v[0:1], v[4:5], 0, v[12:13]
	s_waitcnt vmcnt(0)
	v_lshlrev_b32_e32 v13, 16, v23
	v_sub_f32_e32 v2, v13, v2
	global_store_short_d16_hi v[0:1], v2, off offset:64
	v_mul_f32_e32 v0, v20, v2
	v_lshrrev_b32_e32 v13, 16, v0
.LBB55_88:
	s_or_b64 exec, exec, s[6:7]
	s_and_saveexec_b64 s[6:7], s[4:5]
	s_cbranch_execz .LBB55_90
; %bb.89:
	v_mov_b32_e32 v15, 0
	v_lshl_add_u64 v[0:1], v[6:7], 0, v[14:15]
	global_load_ushort v2, v[0:1], off offset:64
	v_lshl_add_u64 v[0:1], v[4:5], 0, v[14:15]
	s_waitcnt vmcnt(0)
	v_lshlrev_b32_e32 v2, 16, v2
	v_sub_f32_e32 v2, v2, v3
	global_store_short_d16_hi v[0:1], v2, off offset:64
	v_mul_f32_e32 v0, v17, v2
	v_lshrrev_b32_e32 v15, 16, v0
.LBB55_90:
	s_or_b64 exec, exec, s[6:7]
	s_mov_b32 s6, 0x5040100
	v_perm_b32 v24, v11, v9, s6
	v_or_b32_e32 v9, v21, v22
	v_accvgpr_read_b32 v0, a0
	v_perm_b32 v25, v15, v13, s6
	v_lshlrev_b32_e32 v9, 1, v9
	v_accvgpr_read_b32 v1, a1
	v_accvgpr_read_b32 v2, a2
	;; [unrolled: 1-line block ×3, first 2 shown]
	ds_write_b64 v9, v[24:25] offset:24576
	v_mov_b32_e32 v11, 0
	v_mov_b32_e32 v9, 0
	s_and_saveexec_b64 s[6:7], vcc
	s_cbranch_execz .LBB55_92
; %bb.91:
	v_mov_b32_e32 v9, 0
	v_lshl_add_u64 v[22:23], v[6:7], 0, v[8:9]
	global_load_ushort v13, v[22:23], off offset:96
	v_lshl_add_u64 v[8:9], v[4:5], 0, v[8:9]
	s_waitcnt vmcnt(0)
	v_lshlrev_b32_e32 v13, 16, v13
	v_sub_f32_e32 v0, v13, v0
	global_store_short_d16_hi v[8:9], v0, off offset:96
	v_mul_f32_e32 v0, v18, v0
	v_lshrrev_b32_e32 v9, 16, v0
.LBB55_92:
	s_or_b64 exec, exec, s[6:7]
	s_and_saveexec_b64 s[6:7], s[2:3]
	s_cbranch_execz .LBB55_94
; %bb.93:
	v_mov_b32_e32 v11, 0
	v_lshl_add_u64 v[22:23], v[6:7], 0, v[10:11]
	global_load_ushort v0, v[22:23], off offset:96
	v_lshl_add_u64 v[10:11], v[4:5], 0, v[10:11]
	s_waitcnt vmcnt(0)
	v_lshlrev_b32_e32 v0, 16, v0
	v_sub_f32_e32 v0, v0, v1
	global_store_short_d16_hi v[10:11], v0, off offset:96
	v_mul_f32_e32 v0, v16, v0
	v_lshrrev_b32_e32 v11, 16, v0
.LBB55_94:
	s_or_b64 exec, exec, s[6:7]
	v_mov_b32_e32 v0, 0
	v_mov_b32_e32 v1, 0
	s_and_saveexec_b64 s[2:3], s[0:1]
	s_cbranch_execz .LBB55_96
; %bb.95:
	v_mov_b32_e32 v13, 0
	v_lshl_add_u64 v[22:23], v[6:7], 0, v[12:13]
	global_load_ushort v1, v[22:23], off offset:96
	v_lshl_add_u64 v[12:13], v[4:5], 0, v[12:13]
	s_waitcnt vmcnt(0)
	v_lshlrev_b32_e32 v1, 16, v1
	v_sub_f32_e32 v1, v1, v2
	global_store_short_d16_hi v[12:13], v1, off offset:96
	v_mul_f32_e32 v1, v20, v1
	v_lshrrev_b32_e32 v1, 16, v1
.LBB55_96:
	s_or_b64 exec, exec, s[2:3]
	s_and_saveexec_b64 s[0:1], s[4:5]
	s_cbranch_execz .LBB55_98
; %bb.97:
	v_mov_b32_e32 v15, 0
	v_lshl_add_u64 v[6:7], v[6:7], 0, v[14:15]
	global_load_ushort v0, v[6:7], off offset:96
	v_lshl_add_u64 v[4:5], v[4:5], 0, v[14:15]
	s_waitcnt vmcnt(0)
	v_lshlrev_b32_e32 v0, 16, v0
	v_sub_f32_e32 v0, v0, v3
	global_store_short_d16_hi v[4:5], v0, off offset:96
	v_mul_f32_e32 v0, v17, v0
	v_lshrrev_b32_e32 v0, 16, v0
.LBB55_98:
	s_or_b64 exec, exec, s[0:1]
	s_mov_b32 s0, 0x5040100
	v_or_b32_e32 v2, v21, v19
	v_perm_b32 v1, v0, v1, s0
	v_perm_b32 v0, v11, v9, s0
	v_lshlrev_b32_e32 v2, 1, v2
	ds_write_b64 v2, v[0:1] offset:24576
	s_waitcnt lgkmcnt(0)
	s_barrier
.LBB55_99:
	s_endpgm
	.section	.rodata,"a",@progbits
	.p2align	6, 0x0
	.amdhsa_kernel _ZN12_GLOBAL__N_139chunk_gated_delta_rule_fwd_h_hip_kernelILi64ELb0ELb0ELb1ELb1ELb1ELb0ELb0ELb1EEEvPK12hip_bfloat16S3_S3_PKfS5_PKvPS1_S8_PvPKiSB_iiiiilll
		.amdhsa_group_segment_fixed_size 65536
		.amdhsa_private_segment_fixed_size 0
		.amdhsa_kernarg_size 136
		.amdhsa_user_sgpr_count 2
		.amdhsa_user_sgpr_dispatch_ptr 0
		.amdhsa_user_sgpr_queue_ptr 0
		.amdhsa_user_sgpr_kernarg_segment_ptr 1
		.amdhsa_user_sgpr_dispatch_id 0
		.amdhsa_user_sgpr_kernarg_preload_length 0
		.amdhsa_user_sgpr_kernarg_preload_offset 0
		.amdhsa_user_sgpr_private_segment_size 0
		.amdhsa_uses_dynamic_stack 0
		.amdhsa_enable_private_segment 0
		.amdhsa_system_sgpr_workgroup_id_x 1
		.amdhsa_system_sgpr_workgroup_id_y 1
		.amdhsa_system_sgpr_workgroup_id_z 0
		.amdhsa_system_sgpr_workgroup_info 0
		.amdhsa_system_vgpr_workitem_id 0
		.amdhsa_next_free_vgpr 216
		.amdhsa_next_free_sgpr 62
		.amdhsa_accum_offset 180
		.amdhsa_reserve_vcc 1
		.amdhsa_float_round_mode_32 0
		.amdhsa_float_round_mode_16_64 0
		.amdhsa_float_denorm_mode_32 3
		.amdhsa_float_denorm_mode_16_64 3
		.amdhsa_dx10_clamp 1
		.amdhsa_ieee_mode 1
		.amdhsa_fp16_overflow 0
		.amdhsa_tg_split 0
		.amdhsa_exception_fp_ieee_invalid_op 0
		.amdhsa_exception_fp_denorm_src 0
		.amdhsa_exception_fp_ieee_div_zero 0
		.amdhsa_exception_fp_ieee_overflow 0
		.amdhsa_exception_fp_ieee_underflow 0
		.amdhsa_exception_fp_ieee_inexact 0
		.amdhsa_exception_int_div_zero 0
	.end_amdhsa_kernel
	.section	.text._ZN12_GLOBAL__N_139chunk_gated_delta_rule_fwd_h_hip_kernelILi64ELb0ELb0ELb1ELb1ELb1ELb0ELb0ELb1EEEvPK12hip_bfloat16S3_S3_PKfS5_PKvPS1_S8_PvPKiSB_iiiiilll,"axG",@progbits,_ZN12_GLOBAL__N_139chunk_gated_delta_rule_fwd_h_hip_kernelILi64ELb0ELb0ELb1ELb1ELb1ELb0ELb0ELb1EEEvPK12hip_bfloat16S3_S3_PKfS5_PKvPS1_S8_PvPKiSB_iiiiilll,comdat
.Lfunc_end55:
	.size	_ZN12_GLOBAL__N_139chunk_gated_delta_rule_fwd_h_hip_kernelILi64ELb0ELb0ELb1ELb1ELb1ELb0ELb0ELb1EEEvPK12hip_bfloat16S3_S3_PKfS5_PKvPS1_S8_PvPKiSB_iiiiilll, .Lfunc_end55-_ZN12_GLOBAL__N_139chunk_gated_delta_rule_fwd_h_hip_kernelILi64ELb0ELb0ELb1ELb1ELb1ELb0ELb0ELb1EEEvPK12hip_bfloat16S3_S3_PKfS5_PKvPS1_S8_PvPKiSB_iiiiilll
                                        ; -- End function
	.section	.AMDGPU.csdata,"",@progbits
; Kernel info:
; codeLenInByte = 11112
; NumSgprs: 68
; NumVgprs: 180
; NumAgprs: 36
; TotalNumVgprs: 216
; ScratchSize: 0
; MemoryBound: 0
; FloatMode: 240
; IeeeMode: 1
; LDSByteSize: 65536 bytes/workgroup (compile time only)
; SGPRBlocks: 8
; VGPRBlocks: 26
; NumSGPRsForWavesPerEU: 68
; NumVGPRsForWavesPerEU: 216
; AccumOffset: 180
; Occupancy: 1
; WaveLimiterHint : 1
; COMPUTE_PGM_RSRC2:SCRATCH_EN: 0
; COMPUTE_PGM_RSRC2:USER_SGPR: 2
; COMPUTE_PGM_RSRC2:TRAP_HANDLER: 0
; COMPUTE_PGM_RSRC2:TGID_X_EN: 1
; COMPUTE_PGM_RSRC2:TGID_Y_EN: 1
; COMPUTE_PGM_RSRC2:TGID_Z_EN: 0
; COMPUTE_PGM_RSRC2:TIDIG_COMP_CNT: 0
; COMPUTE_PGM_RSRC3_GFX90A:ACCUM_OFFSET: 44
; COMPUTE_PGM_RSRC3_GFX90A:TG_SPLIT: 0
	.section	.text._ZN12_GLOBAL__N_139chunk_gated_delta_rule_fwd_h_hip_kernelILi64ELb0ELb0ELb0ELb1ELb1ELb0ELb0ELb1EEEvPK12hip_bfloat16S3_S3_PKfS5_PKvPS1_S8_PvPKiSB_iiiiilll,"axG",@progbits,_ZN12_GLOBAL__N_139chunk_gated_delta_rule_fwd_h_hip_kernelILi64ELb0ELb0ELb0ELb1ELb1ELb0ELb0ELb1EEEvPK12hip_bfloat16S3_S3_PKfS5_PKvPS1_S8_PvPKiSB_iiiiilll,comdat
	.globl	_ZN12_GLOBAL__N_139chunk_gated_delta_rule_fwd_h_hip_kernelILi64ELb0ELb0ELb0ELb1ELb1ELb0ELb0ELb1EEEvPK12hip_bfloat16S3_S3_PKfS5_PKvPS1_S8_PvPKiSB_iiiiilll ; -- Begin function _ZN12_GLOBAL__N_139chunk_gated_delta_rule_fwd_h_hip_kernelILi64ELb0ELb0ELb0ELb1ELb1ELb0ELb0ELb1EEEvPK12hip_bfloat16S3_S3_PKfS5_PKvPS1_S8_PvPKiSB_iiiiilll
	.p2align	8
	.type	_ZN12_GLOBAL__N_139chunk_gated_delta_rule_fwd_h_hip_kernelILi64ELb0ELb0ELb0ELb1ELb1ELb0ELb0ELb1EEEvPK12hip_bfloat16S3_S3_PKfS5_PKvPS1_S8_PvPKiSB_iiiiilll,@function
_ZN12_GLOBAL__N_139chunk_gated_delta_rule_fwd_h_hip_kernelILi64ELb0ELb0ELb0ELb1ELb1ELb0ELb0ELb1EEEvPK12hip_bfloat16S3_S3_PKfS5_PKvPS1_S8_PvPKiSB_iiiiilll: ; @_ZN12_GLOBAL__N_139chunk_gated_delta_rule_fwd_h_hip_kernelILi64ELb0ELb0ELb0ELb1ELb1ELb0ELb0ELb1EEEvPK12hip_bfloat16S3_S3_PKfS5_PKvPS1_S8_PvPKiSB_iiiiilll
; %bb.0:
	s_load_dwordx4 s[12:15], s[0:1], 0x5c
	s_load_dwordx4 s[16:19], s[0:1], 0x70
	s_abs_i32 s21, s3
	s_ashr_i32 s20, s3, 31
	s_load_dwordx2 s[36:37], s[0:1], 0x30
	s_load_dwordx4 s[24:27], s[0:1], 0x48
	s_waitcnt lgkmcnt(0)
	s_abs_i32 s28, s13
	v_cvt_f32_u32_e32 v1, s28
	s_sub_i32 s22, 0, s28
	s_ashr_i32 s29, s13, 31
	s_xor_b32 s20, s20, s29
	v_rcp_iflag_f32_e32 v1, v1
	s_load_dwordx8 s[4:11], s[0:1], 0x0
	v_lshrrev_b32_e32 v74, 6, v0
	v_bfe_u32 v75, v0, 4, 2
	v_mul_f32_e32 v1, 0x4f7ffffe, v1
	v_cvt_u32_f32_e32 v1, v1
	v_lshlrev_b32_e32 v2, 2, v75
	v_and_b32_e32 v73, 63, v0
	v_mov_b32_e32 v35, 0
	v_readfirstlane_b32 s23, v1
	s_mul_i32 s22, s22, s23
	s_mul_hi_u32 s22, s23, s22
	s_add_i32 s23, s23, s22
	s_mul_hi_u32 s22, s21, s23
	s_mul_i32 s23, s22, s28
	s_sub_i32 s21, s21, s23
	s_add_i32 s30, s22, 1
	s_sub_i32 s23, s21, s28
	s_cmp_ge_u32 s21, s28
	s_cselect_b32 s22, s30, s22
	s_cselect_b32 s21, s23, s21
	s_add_i32 s23, s22, 1
	s_cmp_ge_u32 s21, s28
	s_cselect_b32 s21, s23, s22
	s_xor_b32 s21, s21, s20
	s_sub_i32 s20, s21, s20
	s_mul_i32 s21, s20, s13
	s_sub_i32 s33, s3, s21
	s_ashr_i32 s21, s20, 31
	s_lshl_b64 s[22:23], s[20:21], 2
	s_add_u32 s24, s24, s22
	s_addc_u32 s25, s25, s23
	s_add_u32 s22, s26, s22
	s_addc_u32 s23, s27, s23
	s_abs_i32 s3, s14
	v_cvt_f32_u32_e32 v1, s3
	s_load_dwordx2 s[34:35], s[24:25], 0x0
	s_sub_i32 s25, 0, s3
	s_load_dword s44, s[22:23], 0x0
	v_rcp_iflag_f32_e32 v1, v1
	v_and_b32_e32 v72, 15, v0
	s_waitcnt lgkmcnt(0)
	s_sub_i32 s45, s35, s34
	s_ashr_i32 s24, s45, 31
	v_mul_f32_e32 v1, 0x4f7ffffe, v1
	v_cvt_u32_f32_e32 v1, v1
	s_lshr_b32 s24, s24, 26
	s_add_i32 s24, s45, s24
	s_ashr_i32 s43, s24, 6
	v_readfirstlane_b32 s26, v1
	s_mul_i32 s25, s25, s26
	s_mul_hi_u32 s25, s26, s25
	s_add_i32 s26, s26, s25
	s_mul_hi_u32 s25, s28, s26
	s_mul_i32 s26, s25, s3
	s_ashr_i32 s24, s14, 31
	s_sub_i32 s26, s28, s26
	s_xor_b32 s24, s29, s24
	s_add_i32 s27, s25, 1
	s_sub_i32 s28, s26, s3
	s_cmp_ge_u32 s26, s3
	s_cselect_b32 s25, s27, s25
	s_cselect_b32 s26, s28, s26
	s_add_i32 s27, s25, 1
	s_cmp_ge_u32 s26, s3
	s_cselect_b32 s3, s27, s25
	s_xor_b32 s3, s3, s24
	s_sub_i32 s3, s3, s24
	s_abs_i32 s24, s3
	v_cvt_f32_u32_e32 v1, s24
	s_load_dwordx2 s[28:29], s[0:1], 0x80
	s_xor_b32 s0, s33, s3
	s_sub_i32 s3, 0, s24
	v_rcp_iflag_f32_e32 v1, v1
	s_abs_i32 s1, s33
	s_ashr_i32 s0, s0, 31
	s_mul_hi_i32 s46, s33, s12
	v_mul_f32_e32 v1, 0x4f7ffffe, v1
	v_cvt_u32_f32_e32 v1, v1
	s_mul_i32 s47, s33, s12
	v_lshrrev_b32_e32 v77, 3, v73
	v_lshlrev_b32_e32 v76, 3, v0
	v_readfirstlane_b32 s22, v1
	s_mul_i32 s3, s3, s22
	s_mul_hi_u32 s3, s22, s3
	s_add_i32 s22, s22, s3
	s_mul_hi_u32 s3, s1, s22
	s_mul_i32 s22, s3, s24
	s_sub_i32 s1, s1, s22
	s_add_i32 s22, s3, 1
	s_sub_i32 s23, s1, s24
	s_cmp_ge_u32 s1, s24
	s_cselect_b32 s3, s22, s3
	s_cselect_b32 s1, s23, s1
	s_add_i32 s22, s3, 1
	s_cmp_ge_u32 s1, s24
	s_cselect_b32 s1, s22, s3
	s_xor_b32 s1, s1, s0
	v_lshlrev_b32_e32 v1, 4, v74
	s_sub_i32 s48, s1, s0
	v_or_b32_e32 v78, v2, v1
	s_lshl_b32 s30, s2, 6
	v_or_b32_e32 v79, 64, v78
	s_cmp_lt_i32 s45, 64
	s_mul_i32 s40, s20, s17
	s_mul_hi_u32 s41, s20, s16
	s_mul_i32 s42, s21, s16
	s_mul_i32 s16, s20, s16
	v_mov_b32_e32 v34, v35
	v_mov_b32_e32 v41, v35
	;; [unrolled: 1-line block ×31, first 2 shown]
	s_cbranch_scc1 .LBB56_18
; %bb.1:
	s_ashr_i32 s51, s33, 31
	s_ashr_i32 s1, s34, 31
	s_add_u32 s0, s47, s34
	s_addc_u32 s1, s46, s1
	s_lshl_b64 s[0:1], s[0:1], 8
	v_and_b32_e32 v81, 56, v76
	s_add_u32 s0, s6, s0
	v_lshl_or_b32 v80, v74, 3, v77
	v_lshlrev_b32_e32 v3, 1, v81
	s_addc_u32 s1, s7, s1
	v_lshl_or_b32 v82, v80, 8, v3
	s_and_b32 s1, s1, 0xffff
	s_mov_b32 s3, 0x20000
	s_movk_i32 s2, 0x4000
	s_movk_i32 s17, 0x80
	v_or_b32_e32 v83, 0x2000, v82
	buffer_load_dwordx4 v[4:7], v82, s[0:3], 0 offen
	buffer_load_dwordx4 v[8:11], v82, s[0:3], s17 offen
	;; [unrolled: 1-line block ×4, first 2 shown]
	v_lshlrev_b32_e32 v20, 3, v80
	v_and_or_b32 v22, v0, 7, v20
	v_and_b32_e32 v20, 0x78, v20
	v_lshlrev_b32_e32 v22, 4, v22
	v_xor_b32_e32 v84, v22, v20
	v_mul_lo_u32 v21, v80, s15
	v_or_b32_e32 v85, 0x1000, v84
	s_cmpk_eq_i32 s15, 0x80
	s_mov_b32 s49, s13
	s_mov_b32 s50, s34
	v_xor_b32_e32 v20, 8, v84
	v_xor_b32_e32 v22, 8, v85
	s_cselect_b64 s[0:1], -1, 0
	s_cmpk_lg_i32 s15, 0x80
	s_waitcnt vmcnt(3)
	ds_write_b64 v84, v[4:5] offset:49152
	ds_write_b64 v20, v[6:7] offset:49152
	s_waitcnt vmcnt(2)
	ds_write_b64 v84, v[8:9] offset:57344
	ds_write_b64 v20, v[10:11] offset:57344
	;; [unrolled: 3-line block ×4, first 2 shown]
	v_lshl_add_u32 v4, v21, 1, v81
	s_cbranch_scc0 .LBB56_3
; %bb.2:
	v_lshlrev_b32_e32 v6, 1, v4
	v_add_lshl_u32 v5, v4, s15, 1
	s_lshl_b32 s22, s15, 7
	v_lshl_or_b32 v3, v80, 9, v3
	s_cbranch_execz .LBB56_4
	s_branch .LBB56_5
.LBB56_3:
                                        ; implicit-def: $vgpr5
                                        ; implicit-def: $vgpr6
                                        ; implicit-def: $sgpr22
	v_lshl_or_b32 v3, v80, 9, v3
.LBB56_4:
	v_or_b32_e32 v5, 0x100, v3
	s_movk_i32 s22, 0x4000
	v_mov_b32_e32 v6, v3
.LBB56_5:
	s_mul_i32 s2, s34, s14
	s_ashr_i32 s52, s48, 31
	s_mul_hi_i32 s3, s34, s14
	s_add_u32 s2, s2, s48
	s_addc_u32 s3, s3, s52
	s_lshl_b64 s[2:3], s[2:3], 8
	s_add_u32 s20, s4, s2
	s_addc_u32 s2, s5, s3
	s_and_b32 s21, s2, 0xffff
	s_mov_b32 s23, 0x20000
	s_movk_i32 s53, 0x80
	buffer_load_dwordx4 v[8:11], v6, s[20:23], 0 offen
	buffer_load_dwordx4 v[12:15], v6, s[20:23], s53 offen
	buffer_load_dwordx4 v[16:19], v5, s[20:23], 0 offen
	buffer_load_dwordx4 v[20:23], v5, s[20:23], s53 offen
	v_and_b32_e32 v5, 6, v0
	v_lshlrev_b32_e32 v6, 7, v78
	v_xor_b32_e32 v28, v80, v5
	v_and_b32_e32 v7, 1, v0
	v_lshl_or_b32 v31, v72, 3, v6
	v_lshlrev_b32_e32 v28, 2, v28
	v_lshlrev_b32_e32 v24, 2, v72
	v_or_b32_e32 v86, 0x4000, v31
	v_or_b32_e32 v87, 0x6000, v31
	v_xor_b32_e32 v31, 0x440, v28
	v_cmp_eq_u32_e32 vcc, 0, v7
	v_or_b32_e32 v26, 16, v72
	v_or_b32_e32 v27, 32, v72
	v_xor_b32_e32 v29, v78, v24
	v_xor_b32_e32 v30, v79, v24
	v_cndmask_b32_e32 v7, v31, v28, vcc
	s_add_i32 s2, s41, s40
	s_mov_b32 s54, 0x1000504
	v_lshl_or_b32 v32, v26, 3, v6
	v_lshlrev_b32_e32 v26, 8, v26
	v_lshl_or_b32 v33, v27, 3, v6
	v_lshlrev_b32_e32 v29, 1, v29
	v_lshlrev_b32_e32 v30, 1, v30
	v_lshl_or_b32 v5, v5, 10, v7
	s_add_i32 s17, s2, s42
	s_mul_i32 s2, s33, s19
	s_mul_hi_u32 s3, s33, s18
	s_mov_b32 s55, 0x3020706
	v_lshlrev_b32_e32 v25, 8, v72
	v_or_b32_e32 v90, 0x4000, v33
	v_or_b32_e32 v91, 0x6000, v33
	;; [unrolled: 1-line block ×4, first 2 shown]
	v_xor_b32_e32 v7, 8, v5
	v_xor_b32_e32 v26, 24, v5
	;; [unrolled: 1-line block ×4, first 2 shown]
	s_add_i32 s2, s3, s2
	s_mul_i32 s3, s51, s18
	v_or_b32_e32 v88, 0x4000, v32
	v_or_b32_e32 v89, 0x6000, v32
	;; [unrolled: 1-line block ×4, first 2 shown]
	v_xor_b32_e32 v25, 16, v5
	v_xor_b32_e32 v28, 32, v5
	;; [unrolled: 1-line block ×3, first 2 shown]
	v_add_u32_e32 v7, 0x80, v7
	v_add_u32_e32 v26, 0x80, v26
	;; [unrolled: 1-line block ×4, first 2 shown]
	s_add_i32 s3, s2, s3
	s_lshl_b64 s[20:21], s[16:17], 2
	s_mul_i32 s2, s33, s18
	s_add_u32 s17, s10, s20
	s_addc_u32 s20, s11, s21
	s_lshl_b64 s[2:3], s[2:3], 2
	s_add_u32 s2, s17, s2
	s_movk_i32 s17, 0xf8
	s_addc_u32 s3, s20, s3
	s_ashr_i32 s31, s30, 31
	s_lshl_b32 s26, s15, 7
	s_lshl_b64 s[20:21], s[30:31], 8
	s_add_u32 s20, s36, s20
	v_mov_b32_e32 v67, 0
	s_addc_u32 s21, s37, s21
	v_lshlrev_b32_e32 v66, 4, v72
	v_lshlrev_b32_e32 v27, 8, v27
	s_mov_b32 s56, 0
	s_movk_i32 s22, 0x4000
	v_or_b32_e32 v96, v27, v29
	v_or_b32_e32 v97, v27, v30
	v_add_u32_e32 v126, v1, v2
	s_movk_i32 s31, 0x2000
	s_movk_i32 s57, 0x3000
	v_mov_b32_e32 v58, v67
	v_mov_b32_e32 v59, v67
	;; [unrolled: 1-line block ×4, first 2 shown]
	s_waitcnt vmcnt(1)
	v_perm_b32 v34, v8, v16, s54
	s_waitcnt vmcnt(0)
	v_perm_b32 v35, v12, v20, s54
	v_perm_b32 v8, v8, v16, s55
	;; [unrolled: 1-line block ×15, first 2 shown]
	ds_write2st64_b32 v5, v34, v35 offset0:128 offset1:160
	ds_write2st64_b32 v7, v8, v12 offset0:128 offset1:160
	;; [unrolled: 1-line block ×8, first 2 shown]
	v_or_b32_e32 v5, 48, v72
	v_lshl_or_b32 v7, v5, 3, v6
	v_lshlrev_b32_e32 v5, 8, v5
	v_or_b32_e32 v100, v5, v29
	v_or_b32_e32 v101, v5, v30
	;; [unrolled: 1-line block ×3, first 2 shown]
	v_lshlrev_b32_e32 v5, 3, v5
	v_lshrrev_b32_e32 v9, 5, v73
	v_and_or_b32 v9, v5, s17, v9
	v_lshlrev_b32_e32 v9, 4, v9
	v_or_b32_e32 v98, 0x4000, v7
	v_or_b32_e32 v99, 0x6000, v7
	v_lshlrev_b32_e32 v7, 11, v74
	v_and_b32_e32 v5, 0x78, v5
	v_or_b32_e32 v14, 32, v9
	v_and_b32_e32 v8, 0x1000, v7
	v_xor_b32_e32 v10, v9, v5
	v_lshrrev_b32_e32 v11, 1, v0
	v_xor_b32_e32 v14, v14, v5
	v_or_b32_e32 v10, v10, v8
	v_and_b32_e32 v12, 8, v11
	v_or_b32_e32 v14, v14, v8
	v_xor_b32_e32 v102, v10, v12
	v_lshlrev_b32_e32 v10, 8, v75
	v_xor_b32_e32 v104, v14, v12
	v_or_b32_e32 v14, 64, v9
	v_or_b32_e32 v9, 0x60, v9
	;; [unrolled: 1-line block ×3, first 2 shown]
	v_xor_b32_e32 v14, v14, v5
	v_xor_b32_e32 v5, v9, v5
	v_lshlrev_b32_e32 v13, 1, v13
	v_or_b32_e32 v14, v14, v8
	v_or_b32_e32 v5, v5, v8
	;; [unrolled: 1-line block ×6, first 2 shown]
	v_xor_b32_e32 v108, v14, v12
	v_xor_b32_e32 v109, v5, v12
	v_or_b32_e32 v110, 0x6000, v13
	v_or_b32_e32 v111, 0x6080, v13
	;; [unrolled: 1-line block ×4, first 2 shown]
	v_lshlrev_b32_e32 v12, 1, v4
	v_add_lshl_u32 v13, v4, s15, 1
	s_movk_i32 s17, 0x100
	v_lshlrev_b32_e32 v4, 1, v72
	v_lshrrev_b32_e32 v15, 4, v0
	v_or_b32_e32 v5, 1, v4
	v_mov_b32_e32 v19, 0xa000
	v_mov_b32_e32 v20, 0x8000
	v_cmp_gt_u32_e32 vcc, s17, v0
	v_xor_b32_e32 v16, v15, v4
	v_xor_b32_e32 v17, v5, v15
	v_lshl_add_u64 v[4:5], s[20:21], 0, v[66:67]
	v_lshlrev_b32_e32 v66, 8, v15
	v_cndmask_b32_e32 v19, v19, v20, vcc
	v_lshlrev_b32_e32 v20, 3, v74
	v_and_b32_e32 v11, 24, v11
	v_lshl_or_b32 v114, v16, 3, v66
	v_and_b32_e32 v16, 8, v0
	v_xor_b32_e32 v21, v20, v11
	v_or_b32_e32 v22, 0x440, v21
	v_cmp_eq_u32_e32 vcc, 0, v16
	v_and_b32_e32 v15, 7, v0
	v_lshl_or_b32 v115, v17, 3, v66
	v_cndmask_b32_e32 v16, v22, v21, vcc
	v_lshlrev_b32_e32 v17, 3, v15
	v_lshlrev_b32_e32 v15, 7, v15
	v_or_b32_e32 v16, v16, v7
	v_lshlrev_b32_e32 v18, 2, v0
	v_xad_u32 v116, v16, v17, v15
	v_or_b32_e32 v16, 32, v11
	v_and_or_b32 v10, v18, 60, v10
	v_xor_b32_e32 v16, v20, v16
	v_lshlrev_b32_e32 v10, 1, v10
	v_or_b32_e32 v18, 0x440, v16
	v_or_b32_e32 v117, 0x6000, v10
	v_cndmask_b32_e32 v16, v18, v16, vcc
	v_or_b32_e32 v119, 0x6080, v10
	v_or_b32_e32 v120, 0x6100, v10
	;; [unrolled: 1-line block ×5, first 2 shown]
	v_xor_b32_e32 v10, v20, v10
	v_xad_u32 v118, v16, v17, v15
	v_xor_b32_e32 v16, 0x440, v10
	v_cndmask_b32_e32 v10, v16, v10, vcc
	v_or_b32_e32 v10, v10, v7
	v_xad_u32 v122, v10, v17, v15
	v_or_b32_e32 v10, 0x60, v11
	v_xor_b32_e32 v10, v20, v10
	v_xor_b32_e32 v11, 0x440, v10
	v_cndmask_b32_e32 v10, v11, v10, vcc
	v_or_b32_e32 v8, s30, v72
	v_or_b32_e32 v7, v10, v7
	v_ashrrev_i32_e32 v9, 31, v8
	v_or_b32_e32 v14, 0x100, v3
	v_xad_u32 v123, v7, v17, v15
	v_cndmask_b32_e64 v124, v12, v3, s[0:1]
	v_cndmask_b32_e64 v125, v13, v14, s[0:1]
	v_lshl_add_u64 v[68:69], v[8:9], 1, s[8:9]
	v_lshl_add_u64 v[70:71], v[4:5], 0, v[66:67]
	s_mov_b32 s17, 0x7060302
	v_lshlrev_b32_e32 v66, 1, v6
	v_add_u32_e32 v127, v19, v116
	v_add_u32_e32 v128, v19, v118
	;; [unrolled: 1-line block ×4, first 2 shown]
	v_mov_b32_e32 v62, v67
	v_mov_b32_e32 v63, v67
	;; [unrolled: 1-line block ×28, first 2 shown]
	s_waitcnt lgkmcnt(0)
	s_barrier
.LBB56_6:                               ; =>This Inner Loop Header: Depth=1
	s_add_i32 s58, s56, 1
	s_cmp_lt_i32 s58, s43
	s_mov_b64 s[24:25], 0
	s_cselect_b64 s[38:39], -1, 0
	s_cmp_ge_i32 s58, s43
	s_mov_b64 s[20:21], 0
	s_cbranch_scc1 .LBB56_8
; %bb.7:                                ;   in Loop: Header=BB56_6 Depth=1
	s_add_i32 s0, s50, 64
	s_ashr_i32 s1, s0, 31
	s_add_u32 s0, s47, s0
	s_addc_u32 s1, s46, s1
	s_lshl_b64 s[0:1], s[0:1], 8
	s_add_u32 s20, s6, s0
	s_addc_u32 s21, s7, s1
.LBB56_8:                               ;   in Loop: Header=BB56_6 Depth=1
	v_cndmask_b32_e64 v2, 0, 1, s[38:39]
	v_cmp_ne_u32_e64 s[0:1], 1, v2
	s_andn2_b64 vcc, exec, s[38:39]
	s_cbranch_vccnz .LBB56_10
; %bb.9:                                ;   in Loop: Header=BB56_6 Depth=1
	s_add_i32 s24, s50, 64
	s_mul_hi_i32 s25, s24, s14
	s_mul_i32 s24, s24, s14
	s_add_u32 s24, s24, s48
	s_addc_u32 s25, s25, s52
	s_lshl_b64 s[24:25], s[24:25], 8
	s_add_u32 s24, s4, s24
	s_addc_u32 s25, s5, s25
.LBB56_10:                              ;   in Loop: Header=BB56_6 Depth=1
	v_perm_b32 v3, v65, v64, s17
	v_perm_b32 v2, v63, v62, s17
	v_perm_b32 v5, v61, v60, s17
	v_perm_b32 v4, v59, v58, s17
	ds_write_b64 v86, v[2:3]
	ds_write_b64 v87, v[4:5]
	ds_write_b64 v92, v[2:3]
	ds_write_b64 v93, v[4:5]
	v_perm_b32 v3, v57, v56, s17
	v_perm_b32 v2, v55, v54, s17
	v_perm_b32 v5, v53, v52, s17
	v_perm_b32 v4, v51, v50, s17
	ds_write_b64 v88, v[2:3]
	ds_write_b64 v89, v[4:5]
	ds_write_b64 v94, v[2:3]
	ds_write_b64 v95, v[4:5]
	;; [unrolled: 8-line block ×4, first 2 shown]
	s_waitcnt lgkmcnt(0)
	s_barrier
	ds_read_b64 v[6:7], v102 offset:49152
	ds_read2_b64 v[2:5], v103 offset1:16
	ds_read_b64 v[18:19], v105 offset:6144
	ds_read_b64 v[20:21], v103 offset:6144
	s_waitcnt lgkmcnt(2)
	v_mfma_f32_16x16x16_bf16 a[0:3], v[6:7], v[2:3], 0
	ds_read_b64 v[22:23], v104 offset:49152
	ds_read2st64_b64 v[10:13], v106 offset0:4 offset1:8
	ds_read2st64_b64 v[14:17], v107 offset0:4 offset1:8
	v_mfma_f32_16x16x16_bf16 a[4:7], v[6:7], v[4:5], 0
	ds_read2_b64 v[2:5], v103 offset0:32 offset1:48
	s_add_i32 s27, s50, 63
	s_ashr_i32 s38, s27, 31
	s_waitcnt lgkmcnt(0)
	v_mfma_f32_16x16x16_bf16 a[8:11], v[6:7], v[2:3], 0
	s_mul_i32 s39, s27, s29
	s_mul_hi_u32 s59, s27, s28
	s_add_i32 s39, s59, s39
	v_mfma_f32_16x16x16_bf16 a[12:15], v[6:7], v[4:5], 0
	ds_read2st64_b64 v[2:5], v103 offset0:4 offset1:8
	ds_read2st64_b64 v[6:9], v105 offset0:4 offset1:8
	s_mul_i32 s38, s38, s28
	s_waitcnt lgkmcnt(1)
	v_mfma_f32_16x16x16_bf16 a[0:3], v[22:23], v[2:3], a[0:3]
	s_add_i32 s39, s39, s38
	s_mul_i32 s38, s27, s28
	s_lshl_b64 s[38:39], s[38:39], 2
	s_waitcnt lgkmcnt(0)
	v_mfma_f32_16x16x16_bf16 a[4:7], v[22:23], v[6:7], a[4:7]
	s_add_u32 s38, s2, s38
	s_addc_u32 s39, s3, s39
	s_and_b64 vcc, exec, s[0:1]
	v_mfma_f32_16x16x16_bf16 a[8:11], v[22:23], v[10:11], a[8:11]
	ds_read_b64 v[2:3], v108 offset:49152
	ds_read_b64 v[6:7], v109 offset:49152
	;; [unrolled: 1-line block ×3, first 2 shown]
	v_mov_b32_e32 v133, 0
	v_mov_b32_e32 v132, 0
	v_mfma_f32_16x16x16_bf16 a[12:15], v[22:23], v[14:15], a[12:15]
	v_mov_b32_e32 v131, 0
	v_mov_b32_e32 v14, 0
	v_mov_b32_e32 v15, 0
	s_waitcnt lgkmcnt(2)
	v_mfma_f32_16x16x16_bf16 a[0:3], v[2:3], v[4:5], a[0:3]
	v_mov_b32_e32 v4, 0
	v_mov_b32_e32 v5, 0
	v_mfma_f32_16x16x16_bf16 a[16:19], v[2:3], v[8:9], a[4:7]
	v_mov_b32_e32 v8, 0
	v_mov_b32_e32 v9, 0
	;; [unrolled: 3-line block ×3, first 2 shown]
	v_mfma_f32_16x16x16_bf16 a[24:27], v[2:3], v[16:17], a[12:15]
	ds_read_b64 v[2:3], v106 offset:6144
	v_mov_b32_e32 v16, 0
	v_mov_b32_e32 v17, 0
	s_waitcnt lgkmcnt(2)
	v_mfma_f32_16x16x16_bf16 a[4:7], v[6:7], v[20:21], a[0:3]
	v_mfma_f32_16x16x16_bf16 a[8:11], v[6:7], v[18:19], a[16:19]
	s_waitcnt lgkmcnt(0)
	v_mfma_f32_16x16x16_bf16 a[12:15], v[6:7], v[2:3], a[20:23]
	v_mov_b32_e32 v2, 0
	v_mov_b32_e32 v3, 0
	v_mfma_f32_16x16x16_bf16 a[0:3], v[6:7], v[10:11], a[24:27]
	v_mov_b32_e32 v6, 0
	v_mov_b32_e32 v7, 0
	;; [unrolled: 1-line block ×4, first 2 shown]
	s_cbranch_vccnz .LBB56_12
; %bb.11:                               ;   in Loop: Header=BB56_6 Depth=1
	s_and_b32 s21, s21, 0xffff
	buffer_load_dwordx4 v[14:17], v82, s[20:23], 0 offen
	buffer_load_dwordx4 v[10:13], v82, s[20:23], s53 offen
	;; [unrolled: 1-line block ×4, first 2 shown]
	v_mov_b32_e32 v132, v84
	v_mov_b32_e32 v131, v85
.LBB56_12:                              ;   in Loop: Header=BB56_6 Depth=1
	ds_read_b64 v[134:135], v102 offset:57344
	ds_read2_b64 v[18:21], v110 offset1:16
	ds_read_b64 v[136:137], v104 offset:57344
	ds_read_b64 v[138:139], v108 offset:57344
	;; [unrolled: 1-line block ×3, first 2 shown]
	v_add_u32_e32 v142, s50, v126
	s_waitcnt lgkmcnt(3)
	v_mfma_f32_16x16x16_bf16 a[4:7], v[134:135], v[18:19], a[4:7]
	v_mfma_f32_16x16x16_bf16 a[8:11], v[134:135], v[20:21], a[8:11]
	ds_read2_b64 v[18:21], v110 offset0:32 offset1:48
	ds_read2st64_b64 v[22:25], v110 offset0:4 offset1:8
	ds_read2st64_b64 v[26:29], v111 offset0:4 offset1:8
	;; [unrolled: 1-line block ×3, first 2 shown]
	s_waitcnt lgkmcnt(3)
	v_mfma_f32_16x16x16_bf16 a[12:15], v[134:135], v[18:19], a[12:15]
	v_ashrrev_i32_e32 v18, 31, v142
	v_mfma_f32_16x16x16_bf16 a[0:3], v[134:135], v[20:21], a[0:3]
	v_mul_lo_u32 v20, v18, s28
	v_mul_lo_u32 v21, v142, s29
	v_mad_u64_u32 v[18:19], s[20:21], v142, s28, 0
	v_add3_u32 v19, v19, v21, v20
	v_add_u32_e32 v20, 1, v142
	v_ashrrev_i32_e32 v21, 31, v20
	s_waitcnt lgkmcnt(2)
	v_mfma_f32_16x16x16_bf16 a[4:7], v[136:137], v[22:23], a[4:7]
	v_mul_lo_u32 v22, v21, s28
	v_mul_lo_u32 v23, v20, s29
	v_mad_u64_u32 v[20:21], s[20:21], v20, s28, 0
	v_add3_u32 v21, v21, v23, v22
	v_add_u32_e32 v22, 2, v142
	v_ashrrev_i32_e32 v23, 31, v22
	s_waitcnt lgkmcnt(1)
	v_mfma_f32_16x16x16_bf16 a[8:11], v[136:137], v[26:27], a[8:11]
	v_mul_lo_u32 v26, v23, s28
	v_mul_lo_u32 v27, v22, s29
	v_mad_u64_u32 v[22:23], s[20:21], v22, s28, 0
	v_add3_u32 v23, v23, v27, v26
	v_add_u32_e32 v26, 3, v142
	v_ashrrev_i32_e32 v27, 31, v26
	v_mul_lo_u32 v134, v27, s28
	v_mul_lo_u32 v135, v26, s29
	v_mad_u64_u32 v[26:27], s[20:21], v26, s28, 0
	s_ashr_i32 s21, s50, 31
	s_add_u32 s20, s47, s50
	s_addc_u32 s21, s46, s21
	v_lshl_add_u64 v[18:19], v[18:19], 2, s[2:3]
	v_add3_u32 v27, v27, v135, v134
	s_lshl_b64 s[20:21], s[20:21], 8
	v_lshl_add_u64 v[20:21], v[20:21], 2, s[2:3]
	v_lshl_add_u64 v[22:23], v[22:23], 2, s[2:3]
	;; [unrolled: 1-line block ×3, first 2 shown]
	global_load_dword v134, v[18:19], off
	global_load_dword v135, v[20:21], off
	;; [unrolled: 1-line block ×4, first 2 shown]
	v_lshl_add_u64 v[18:19], v[68:69], 0, s[20:21]
	v_lshl_add_u64 v[22:23], v[18:19], 0, v[66:67]
	global_load_ushort v144, v[22:23], off offset:256
	global_load_ushort v145, v[22:23], off
	ds_read2st64_b64 v[18:21], v113 offset0:4 offset1:8
	global_load_ushort v146, v[22:23], off offset:768
	global_load_ushort v147, v[22:23], off offset:512
	s_waitcnt lgkmcnt(1)
	v_mfma_f32_16x16x16_bf16 a[12:15], v[136:137], v[30:31], a[12:15]
	s_and_b64 vcc, exec, s[0:1]
	s_waitcnt vmcnt(3)
	v_lshlrev_b32_e32 v31, 16, v144
	s_waitcnt lgkmcnt(0)
	v_mfma_f32_16x16x16_bf16 a[0:3], v[136:137], v[18:19], a[0:3]
	global_load_ushort v136, v[22:23], off offset:288
	global_load_ushort v137, v[22:23], off offset:32
	;; [unrolled: 1-line block ×8, first 2 shown]
	v_mfma_f32_16x16x16_bf16 a[4:7], v[138:139], v[24:25], a[4:7]
	ds_read_b64 v[18:19], v110 offset:6144
	s_waitcnt vmcnt(10)
	v_lshlrev_b32_e32 v30, 16, v145
	v_mfma_f32_16x16x16_bf16 a[8:11], v[138:139], v[28:29], a[8:11]
	v_mfma_f32_16x16x16_bf16 a[12:15], v[138:139], v[32:33], a[12:15]
	;; [unrolled: 1-line block ×3, first 2 shown]
	global_load_ushort v138, v[22:23], off offset:352
	global_load_ushort v139, v[22:23], off offset:96
	ds_read_b64 v[20:21], v111 offset:6144
	ds_read_b64 v[24:25], v112 offset:6144
	;; [unrolled: 1-line block ×3, first 2 shown]
	global_load_ushort v154, v[22:23], off offset:864
	global_load_ushort v155, v[22:23], off offset:608
	s_load_dword s20, s[38:39], 0x0
	s_waitcnt lgkmcnt(0)
	v_mfma_f32_16x16x16_bf16 a[4:7], v[140:141], v[18:19], a[4:7]
	v_sub_f32_e32 v28, s20, v142
	v_mfma_f32_16x16x16_bf16 a[0:3], v[140:141], v[26:27], a[0:3]
	v_sub_f32_e32 v26, s20, v134
	v_sub_f32_e32 v27, s20, v135
	;; [unrolled: 1-line block ×3, first 2 shown]
	v_mfma_f32_16x16x16_bf16 a[8:11], v[140:141], v[20:21], a[8:11]
	v_exp_f32_e32 v26, v26
	v_exp_f32_e32 v27, v27
	;; [unrolled: 1-line block ×4, first 2 shown]
	v_accvgpr_read_b32 v33, a5
	v_accvgpr_read_b32 v32, a4
	;; [unrolled: 1-line block ×4, first 2 shown]
	v_pk_add_f32 v[30:31], v[30:31], v[32:33] neg_lo:[0,1] neg_hi:[0,1]
	s_waitcnt vmcnt(13)
	v_lshlrev_b32_e32 v33, 16, v146
	s_waitcnt vmcnt(12)
	v_lshlrev_b32_e32 v32, 16, v147
	v_pk_add_f32 v[18:19], v[32:33], v[18:19] neg_lo:[0,1] neg_hi:[0,1]
	v_pk_mul_f32 v[30:31], v[26:27], v[30:31]
	v_pk_mul_f32 v[18:19], v[28:29], v[18:19]
	v_accvgpr_read_b32 v33, a9
	v_perm_b32 v19, v19, v18, s17
	v_perm_b32 v18, v31, v30, s17
	v_accvgpr_read_b32 v32, a8
	v_accvgpr_read_b32 v21, a11
	v_mfma_f32_16x16x16_bf16 a[12:15], v[140:141], v[24:25], a[12:15]
	v_accvgpr_read_b32 v20, a10
	v_accvgpr_read_b32 v25, a3
	;; [unrolled: 1-line block ×3, first 2 shown]
	v_mov_b32_e32 v134, 0
	s_waitcnt vmcnt(11)
	v_lshlrev_b32_e32 v31, 16, v136
	s_waitcnt vmcnt(10)
	v_lshlrev_b32_e32 v30, 16, v137
	v_pk_add_f32 v[30:31], v[30:31], v[32:33] neg_lo:[0,1] neg_hi:[0,1]
	s_waitcnt vmcnt(9)
	v_lshlrev_b32_e32 v33, 16, v148
	s_waitcnt vmcnt(8)
	v_lshlrev_b32_e32 v32, 16, v149
	v_pk_add_f32 v[20:21], v[32:33], v[20:21] neg_lo:[0,1] neg_hi:[0,1]
	v_pk_mul_f32 v[30:31], v[26:27], v[30:31]
	v_pk_mul_f32 v[20:21], v[28:29], v[20:21]
	v_accvgpr_read_b32 v23, a15
	v_perm_b32 v21, v21, v20, s17
	v_perm_b32 v20, v31, v30, s17
	ds_write2_b64 v87, v[18:19], v[20:21] offset1:16
	v_accvgpr_read_b32 v21, a13
	s_waitcnt vmcnt(7)
	v_lshlrev_b32_e32 v19, 16, v150
	s_waitcnt vmcnt(6)
	v_lshlrev_b32_e32 v18, 16, v151
	v_accvgpr_read_b32 v20, a12
	v_accvgpr_read_b32 v22, a14
	v_pk_add_f32 v[18:19], v[18:19], v[20:21] neg_lo:[0,1] neg_hi:[0,1]
	s_waitcnt vmcnt(5)
	v_lshlrev_b32_e32 v21, 16, v152
	s_waitcnt vmcnt(4)
	v_lshlrev_b32_e32 v20, 16, v153
	v_pk_add_f32 v[20:21], v[20:21], v[22:23] neg_lo:[0,1] neg_hi:[0,1]
	v_pk_mul_f32 v[18:19], v[26:27], v[18:19]
	v_pk_mul_f32 v[20:21], v[28:29], v[20:21]
	v_accvgpr_read_b32 v23, a1
	v_perm_b32 v21, v21, v20, s17
	v_perm_b32 v20, v19, v18, s17
	s_waitcnt vmcnt(3)
	v_lshlrev_b32_e32 v19, 16, v138
	s_waitcnt vmcnt(2)
	v_lshlrev_b32_e32 v18, 16, v139
	v_accvgpr_read_b32 v22, a0
	v_pk_add_f32 v[18:19], v[18:19], v[22:23] neg_lo:[0,1] neg_hi:[0,1]
	s_waitcnt vmcnt(1)
	v_lshlrev_b32_e32 v23, 16, v154
	s_waitcnt vmcnt(0)
	v_lshlrev_b32_e32 v22, 16, v155
	v_pk_add_f32 v[22:23], v[22:23], v[24:25] neg_lo:[0,1] neg_hi:[0,1]
	v_pk_mul_f32 v[18:19], v[26:27], v[18:19]
	v_pk_mul_f32 v[22:23], v[28:29], v[22:23]
	v_mov_b32_e32 v24, 0
	v_perm_b32 v23, v23, v22, s17
	v_perm_b32 v22, v19, v18, s17
	ds_write2_b64 v87, v[20:21], v[22:23] offset0:32 offset1:48
	v_mov_b32_e32 v18, 0
	v_mov_b32_e32 v19, 0
	;; [unrolled: 1-line block ×15, first 2 shown]
	s_cbranch_vccnz .LBB56_14
; %bb.13:                               ;   in Loop: Header=BB56_6 Depth=1
	s_and_b32 s25, s25, 0xffff
	s_mov_b32 s27, s23
	buffer_load_dwordx4 v[30:33], v124, s[24:27], 0 offen
	buffer_load_dwordx4 v[22:25], v124, s[24:27], s53 offen
	;; [unrolled: 1-line block ×4, first 2 shown]
	v_mov_b32_e32 v133, v81
	v_mov_b32_e32 v134, v80
.LBB56_14:                              ;   in Loop: Header=BB56_6 Depth=1
	s_waitcnt lgkmcnt(0)
	s_barrier
	ds_read_b64 v[144:145], v127
	ds_read2_b64 v[136:139], v117 offset1:16
	ds_read_b64 v[160:161], v128
	ds_read_b64 v[162:163], v129
	ds_read_b64 v[164:165], v130
	ds_read2_b64 v[140:143], v117 offset0:32 offset1:48
	s_waitcnt lgkmcnt(4)
	v_mfma_f32_16x16x16_bf16 a[0:3], v[144:145], v[136:137], 0
	ds_read2st64_b64 v[148:151], v119 offset0:4 offset1:8
	ds_read2st64_b64 v[152:155], v120 offset0:4 offset1:8
	;; [unrolled: 1-line block ×3, first 2 shown]
	v_mfma_f32_16x16x16_bf16 a[4:7], v[144:145], v[138:139], 0
	s_add_i32 s21, s44, s56
	s_mul_hi_i32 s25, s21, s49
	s_mul_i32 s21, s21, s49
	s_waitcnt lgkmcnt(3)
	v_mfma_f32_16x16x16_bf16 a[8:11], v[144:145], v[140:141], 0
	s_add_u32 s24, s21, s33
	s_addc_u32 s25, s25, s51
	s_lshl_b64 s[24:25], s[24:25], 15
	v_mfma_f32_16x16x16_bf16 a[12:15], v[144:145], v[142:143], 0
	ds_read2st64_b64 v[144:147], v117 offset0:4 offset1:8
	s_waitcnt lgkmcnt(0)
	v_mfma_f32_16x16x16_bf16 a[0:3], v[160:161], v[144:145], a[0:3]
	v_mfma_f32_16x16x16_bf16 a[4:7], v[160:161], v[148:149], a[4:7]
	;; [unrolled: 1-line block ×8, first 2 shown]
	ds_read_b64 v[160:161], v117 offset:6144
	ds_read_b64 v[162:163], v118 offset:40960
	;; [unrolled: 1-line block ×8, first 2 shown]
	s_waitcnt lgkmcnt(5)
	v_mfma_f32_16x16x16_bf16 a[16:19], v[166:167], v[136:137], 0
	v_mfma_f32_16x16x16_bf16 a[20:23], v[166:167], v[138:139], 0
	ds_read2st64_b64 v[136:139], v114 offset1:8
	v_mfma_f32_16x16x16_bf16 a[24:27], v[166:167], v[140:141], 0
	v_mfma_f32_16x16x16_bf16 a[28:31], v[166:167], v[142:143], 0
	ds_read2st64_b64 v[140:143], v115 offset1:8
	v_mfma_f32_16x16x16_bf16 a[16:19], v[162:163], v[144:145], a[16:19]
	s_waitcnt lgkmcnt(1)
	v_mov_b32_e32 v144, v136
	v_mov_b32_e32 v145, v137
	v_mfma_f32_16x16x16_bf16 a[20:23], v[162:163], v[148:149], a[20:23]
	v_lshl_add_u64 v[148:149], v[70:71], 0, s[24:25]
	v_mfma_f32_16x16x16_bf16 a[24:27], v[162:163], v[152:153], a[24:27]
	v_mfma_f32_16x16x16_bf16 a[28:31], v[162:163], v[156:157], a[28:31]
	;; [unrolled: 1-line block ×3, first 2 shown]
	s_waitcnt lgkmcnt(0)
	v_mov_b32_e32 v146, v140
	v_mov_b32_e32 v147, v141
	;; [unrolled: 1-line block ×3, first 2 shown]
	v_mfma_f32_16x16x16_bf16 a[32:35], v[174:175], v[150:151], a[20:23]
	v_mov_b32_e32 v141, v139
	ds_read2st64_b64 v[136:139], v114 offset0:16 offset1:24
	global_store_dwordx4 v[148:149], v[144:147], off
	v_mfma_f32_16x16x16_bf16 a[24:27], v[174:175], v[154:155], a[24:27]
	ds_read2st64_b64 v[144:147], v115 offset0:16 offset1:24
	v_add_co_u32_e32 v150, vcc, s31, v148
	v_mfma_f32_16x16x16_bf16 a[28:31], v[174:175], v[158:159], a[28:31]
	s_nop 0
	v_addc_co_u32_e32 v151, vcc, 0, v149, vcc
	global_store_dwordx4 v[150:151], v[140:143], off offset:-4096
	v_mfma_f32_16x16x16_bf16 a[0:3], v[164:165], v[160:161], a[0:3]
	s_waitcnt lgkmcnt(1)
	v_mov_b32_e32 v140, v136
	v_add_co_u32_e32 v136, vcc, s57, v148
	v_mfma_f32_16x16x16_bf16 a[4:7], v[164:165], v[168:169], a[4:7]
	v_mov_b32_e32 v141, v137
	v_addc_co_u32_e32 v137, vcc, 0, v149, vcc
	v_mfma_f32_16x16x16_bf16 a[8:11], v[164:165], v[170:171], a[8:11]
	s_waitcnt lgkmcnt(0)
	v_mov_b32_e32 v142, v144
	v_mov_b32_e32 v143, v145
	;; [unrolled: 1-line block ×3, first 2 shown]
	v_mfma_f32_16x16x16_bf16 a[12:15], v[164:165], v[172:173], a[12:15]
	v_mov_b32_e32 v145, v139
	s_and_b64 vcc, exec, s[0:1]
	global_store_dwordx4 v[150:151], v[140:143], off
	v_mfma_f32_16x16x16_bf16 a[20:23], v[176:177], v[160:161], a[16:19]
	global_store_dwordx4 v[136:137], v[144:147], off
	v_mfma_f32_16x16x16_bf16 a[16:19], v[176:177], v[168:169], a[32:35]
	v_mfma_f32_16x16x16_bf16 a[24:27], v[176:177], v[170:171], a[24:27]
	;; [unrolled: 1-line block ×3, first 2 shown]
	s_cbranch_vccnz .LBB56_16
; %bb.15:                               ;   in Loop: Header=BB56_6 Depth=1
	v_lshrrev_b32_e32 v135, 3, v133
	v_and_b32_e32 v135, 6, v135
	v_xor_b32_e32 v134, v135, v134
	v_lshlrev_b32_e32 v134, 2, v134
	v_and_b32_e32 v133, 8, v133
	v_xor_b32_e32 v136, 0x440, v134
	v_cmp_eq_u32_e32 vcc, 0, v133
	s_barrier
	s_nop 0
	v_cndmask_b32_e32 v133, v136, v134, vcc
	v_lshl_or_b32 v133, v135, 10, v133
	s_waitcnt vmcnt(5)
	v_perm_b32 v134, v30, v26, s54
	s_waitcnt vmcnt(4)
	v_perm_b32 v135, v22, v18, s54
	ds_write2st64_b32 v133, v134, v135 offset0:128 offset1:160
	v_xor_b32_e32 v134, 8, v133
	v_perm_b32 v26, v30, v26, s55
	v_perm_b32 v18, v22, v18, s55
	v_add_u32_e32 v22, 0x80, v134
	ds_write2st64_b32 v22, v26, v18 offset0:128 offset1:160
	v_xor_b32_e32 v18, 16, v133
	v_perm_b32 v22, v31, v27, s54
	v_perm_b32 v26, v23, v19, s54
	ds_write2st64_b32 v18, v22, v26 offset0:129 offset1:161
	v_xor_b32_e32 v18, 24, v133
	v_perm_b32 v22, v31, v27, s55
	v_perm_b32 v19, v23, v19, s55
	v_add_u32_e32 v18, 0x80, v18
	ds_write2st64_b32 v18, v22, v19 offset0:129 offset1:161
	v_xor_b32_e32 v18, 32, v133
	v_perm_b32 v19, v32, v28, s54
	;; [unrolled: 9-line block ×3, first 2 shown]
	v_perm_b32 v20, v25, v21, s54
	ds_write2st64_b32 v18, v19, v20 offset0:131 offset1:163
	v_xor_b32_e32 v18, 56, v133
	v_perm_b32 v19, v33, v29, s55
	v_perm_b32 v20, v25, v21, s55
	v_add_u32_e32 v18, 0x80, v18
	ds_write2st64_b32 v18, v19, v20 offset0:131 offset1:163
	ds_write_b64 v132, v[14:15] offset:49152
	v_xor_b32_e32 v14, 8, v132
	ds_write_b64 v14, v[16:17] offset:49152
	ds_write_b64 v132, v[10:11] offset:57344
	;; [unrolled: 1-line block ×4, first 2 shown]
	v_xor_b32_e32 v6, 8, v131
	ds_write_b64 v6, v[8:9] offset:49152
	ds_write_b64 v131, v[2:3] offset:57344
	;; [unrolled: 1-line block ×3, first 2 shown]
.LBB56_16:                              ;   in Loop: Header=BB56_6 Depth=1
	v_exp_f32_e32 v132, s20
	v_accvgpr_read_b32 v5, a3
	v_accvgpr_read_b32 v9, a7
	v_accvgpr_read_b32 v13, a11
	v_accvgpr_read_b32 v17, a15
	s_waitcnt vmcnt(4)
	v_accvgpr_read_b32 v18, a20
	v_accvgpr_read_b32 v25, a19
	;; [unrolled: 1-line block ×28, first 2 shown]
	s_add_i32 s50, s50, 64
	v_pk_fma_f32 v[62:63], v[132:133], v[62:63], v[2:3] op_sel_hi:[0,1,1]
	v_pk_fma_f32 v[64:65], v[132:133], v[64:65], v[4:5] op_sel_hi:[0,1,1]
	;; [unrolled: 1-line block ×15, first 2 shown]
	s_cmp_eq_u32 s43, s58
	v_pk_fma_f32 v[38:39], v[132:133], v[38:39], v[32:33] op_sel_hi:[0,1,1]
	s_cbranch_scc1 .LBB56_18
; %bb.17:                               ;   in Loop: Header=BB56_6 Depth=1
	s_mov_b32 s56, s58
	s_branch .LBB56_6
.LBB56_18:
	s_lshl_b32 s0, s43, 6
	s_sub_i32 s45, s45, s0
	s_cmp_gt_i32 s45, 0
	s_cbranch_scc0 .LBB56_99
; %bb.19:
	s_add_i32 s34, s0, s34
	s_ashr_i32 s2, s34, 31
	s_cmpk_lg_i32 s15, 0x80
	s_cselect_b64 s[26:27], -1, 0
	s_and_b64 vcc, exec, s[26:27]
	s_cbranch_vccz .LBB56_21
; %bb.20:
	s_mul_i32 s1, s34, s14
	s_ashr_i32 s3, s48, 31
	s_mul_hi_i32 s0, s34, s14
	s_add_u32 s38, s1, s48
	s_addc_u32 s39, s0, s3
	s_cbranch_execz .LBB56_22
	s_branch .LBB56_23
.LBB56_21:
                                        ; implicit-def: $sgpr38_sgpr39
.LBB56_22:
	s_mul_i32 s1, s48, s12
	s_mul_hi_i32 s0, s48, s12
	s_add_u32 s38, s1, s34
	s_addc_u32 s39, s0, s2
.LBB56_23:
	s_add_i32 s3, s43, s44
	s_ashr_i32 s12, s33, 31
	s_add_u32 s0, s47, s34
	v_lshlrev_b32_e32 v6, 6, v78
	v_lshlrev_b32_e32 v24, 2, v72
	s_addc_u32 s1, s46, s2
	s_mov_b32 s2, 0x7060302
	v_or_b32_e32 v9, v6, v24
	v_xor_b32_e32 v7, v78, v24
	v_perm_b32 v3, v65, v64, s2
	v_perm_b32 v2, v63, v62, s2
	;; [unrolled: 1-line block ×4, first 2 shown]
	v_lshlrev_b32_e32 v9, 1, v9
	v_xor_b32_e32 v8, v79, v24
	ds_write2st64_b64 v9, v[2:3], v[4:5] offset0:32 offset1:48
	v_lshlrev_b32_e32 v7, 1, v7
	v_lshlrev_b32_e32 v9, 8, v72
	v_or_b32_e32 v10, v7, v9
	v_lshlrev_b32_e32 v8, 1, v8
	ds_write_b64 v10, v[2:3]
	v_or_b32_e32 v2, v8, v9
	v_or_b32_e32 v9, 16, v72
	v_lshlrev_b32_e32 v23, 2, v9
	v_or_b32_e32 v10, v6, v23
	ds_write_b64 v2, v[4:5]
	v_perm_b32 v3, v57, v56, s2
	v_perm_b32 v2, v55, v54, s2
	;; [unrolled: 1-line block ×4, first 2 shown]
	v_lshlrev_b32_e32 v10, 1, v10
	v_lshlrev_b32_e32 v9, 8, v9
	ds_write2st64_b64 v10, v[2:3], v[4:5] offset0:32 offset1:48
	v_or_b32_e32 v10, v7, v9
	ds_write_b64 v10, v[2:3]
	v_or_b32_e32 v2, v8, v9
	v_or_b32_e32 v9, 32, v72
	v_lshlrev_b32_e32 v22, 2, v9
	v_or_b32_e32 v10, v6, v22
	s_lshl_b64 s[24:25], s[0:1], 8
	ds_write_b64 v2, v[4:5]
	v_perm_b32 v3, v49, v48, s2
	v_perm_b32 v2, v47, v46, s2
	;; [unrolled: 1-line block ×4, first 2 shown]
	v_lshlrev_b32_e32 v10, 1, v10
	v_lshlrev_b32_e32 v9, 8, v9
	s_add_u32 s0, s6, s24
	ds_write2st64_b64 v10, v[2:3], v[4:5] offset0:32 offset1:48
	v_or_b32_e32 v10, v7, v9
	s_addc_u32 s1, s7, s25
	ds_write_b64 v10, v[2:3]
	v_or_b32_e32 v2, v8, v9
	v_or_b32_e32 v9, 48, v72
	s_mul_hi_i32 s6, s3, s13
	s_mul_i32 s3, s3, s13
	ds_write_b64 v2, v[4:5]
	v_perm_b32 v3, v35, v34, s2
	v_perm_b32 v2, v41, v40, s2
	;; [unrolled: 1-line block ×4, first 2 shown]
	v_lshlrev_b32_e32 v19, 2, v9
	s_add_u32 s2, s3, s33
	v_or_b32_e32 v6, v6, v19
	s_addc_u32 s3, s6, s12
	v_lshlrev_b32_e32 v6, 1, v6
	s_ashr_i32 s31, s30, 31
	s_lshl_b64 s[2:3], s[2:3], 15
	ds_write2st64_b64 v6, v[2:3], v[4:5] offset0:32 offset1:48
	v_lshlrev_b32_e32 v6, 8, v9
	s_add_u32 s6, s36, s2
	v_or_b32_e32 v7, v7, v6
	s_addc_u32 s7, s37, s3
	s_lshl_b64 s[2:3], s[30:31], 8
	ds_write_b64 v7, v[2:3]
	v_or_b32_e32 v2, v8, v6
	s_add_u32 s2, s6, s2
	v_lshlrev_b32_e32 v3, 1, v72
	ds_write_b64 v2, v[4:5]
	v_lshrrev_b32_e32 v2, 4, v0
	s_addc_u32 s3, s7, s3
	v_or_b32_e32 v4, 1, v3
	v_lshlrev_b32_e32 v10, 4, v72
	v_mov_b32_e32 v11, 0
	v_xor_b32_e32 v3, v2, v3
	v_xor_b32_e32 v6, v4, v2
	v_lshl_add_u64 v[12:13], s[2:3], 0, v[10:11]
	v_lshlrev_b32_e32 v10, 8, v2
	v_lshl_or_b32 v16, v3, 3, v10
	v_lshl_or_b32 v17, v6, 3, v10
	s_waitcnt lgkmcnt(0)
	s_barrier
	ds_read2st64_b64 v[2:5], v16 offset1:8
	ds_read2st64_b64 v[6:9], v17 offset1:8
	v_lshl_add_u64 v[14:15], v[12:13], 0, v[10:11]
	s_movk_i32 s2, 0x2000
	s_cmp_lg_u32 s45, 64
	s_waitcnt lgkmcnt(1)
	v_mov_b32_e32 v10, v2
	v_mov_b32_e32 v11, v3
	s_waitcnt lgkmcnt(0)
	v_mov_b32_e32 v12, v6
	v_mov_b32_e32 v13, v7
	global_store_dwordx4 v[14:15], v[10:13], off
	v_mov_b32_e32 v6, v4
	v_mov_b32_e32 v7, v5
	ds_read2st64_b64 v[2:5], v16 offset0:16 offset1:24
	ds_read2st64_b64 v[10:13], v17 offset0:16 offset1:24
	v_add_co_u32_e32 v16, vcc, s2, v14
	s_cselect_b64 s[6:7], -1, 0
	s_nop 0
	v_addc_co_u32_e32 v17, vcc, 0, v15, vcc
	global_store_dwordx4 v[16:17], v[6:9], off offset:-4096
	v_lshl_or_b32 v25, v74, 3, v77
	s_mov_b32 s20, 0
	s_waitcnt lgkmcnt(1)
	v_mov_b32_e32 v6, v2
	v_add_co_u32_e32 v2, vcc, 0x3000, v14
	v_mov_b32_e32 v7, v3
	s_nop 0
	v_addc_co_u32_e32 v3, vcc, 0, v15, vcc
	s_waitcnt lgkmcnt(0)
	v_mov_b32_e32 v8, v10
	v_mov_b32_e32 v9, v11
	;; [unrolled: 1-line block ×4, first 2 shown]
	v_or_b32_e32 v20, 32, v25
	v_and_b32_e32 v18, 56, v76
	s_and_b64 vcc, exec, s[6:7]
	global_store_dwordx4 v[16:17], v[6:9], off
	global_store_dwordx4 v[2:3], v[10:13], off
	s_cbranch_vccz .LBB56_29
; %bb.24:
	s_mov_b32 s21, s20
	s_mov_b32 s22, s20
	;; [unrolled: 1-line block ×3, first 2 shown]
	v_mov_b64_e32 v[6:7], s[20:21]
	v_mov_b64_e32 v[8:9], s[22:23]
	;; [unrolled: 1-line block ×3, first 2 shown]
	v_cmp_gt_i32_e32 vcc, s45, v25
	v_mov_b64_e32 v[4:5], v[8:9]
	s_and_saveexec_b64 s[2:3], vcc
	s_cbranch_execz .LBB56_26
; %bb.25:
	v_lshlrev_b32_e32 v2, 8, v25
	v_mov_b32_e32 v3, 0
	v_lshl_add_u64 v[4:5], s[0:1], 0, v[2:3]
	v_lshlrev_b32_e32 v2, 1, v18
	v_lshl_add_u64 v[10:11], v[4:5], 0, v[2:3]
	global_load_dwordx4 v[6:9], v[10:11], off
	global_load_dwordx4 v[2:5], v[10:11], off offset:128
.LBB56_26:
	s_or_b64 exec, exec, s[2:3]
	s_mov_b32 s21, s20
	s_mov_b32 s22, s20
	;; [unrolled: 1-line block ×3, first 2 shown]
	v_mov_b64_e32 v[14:15], s[20:21]
	v_mov_b64_e32 v[16:17], s[22:23]
	v_mov_b64_e32 v[10:11], v[14:15]
	v_cmp_gt_i32_e32 vcc, s45, v20
	v_lshlrev_b32_e32 v21, 7, v20
	v_mov_b64_e32 v[12:13], v[16:17]
	s_and_saveexec_b64 s[2:3], vcc
	s_cbranch_execz .LBB56_28
; %bb.27:
	v_lshlrev_b32_e32 v10, 1, v21
	v_mov_b32_e32 v11, 0
	v_lshl_add_u64 v[12:13], s[0:1], 0, v[10:11]
	v_lshlrev_b32_e32 v10, 1, v18
	v_lshl_add_u64 v[26:27], v[12:13], 0, v[10:11]
	global_load_dwordx4 v[14:17], v[26:27], off
	global_load_dwordx4 v[10:13], v[26:27], off offset:128
.LBB56_28:
	s_or_b64 exec, exec, s[2:3]
	v_lshrrev_b32_e32 v26, 3, v18
	v_lshlrev_b32_e32 v27, 3, v25
	v_or_b32_e32 v26, v27, v26
	v_lshlrev_b32_e32 v26, 4, v26
	v_and_b32_e32 v27, 0x78, v27
	v_xor_b32_e32 v26, v26, v27
	s_branch .LBB56_31
.LBB56_29:
                                        ; implicit-def: $vgpr26
                                        ; implicit-def: $vgpr21
                                        ; implicit-def: $vgpr6_vgpr7_vgpr8_vgpr9
                                        ; implicit-def: $vgpr2_vgpr3_vgpr4_vgpr5
                                        ; implicit-def: $vgpr14_vgpr15_vgpr16_vgpr17
                                        ; implicit-def: $vgpr10_vgpr11_vgpr12_vgpr13
	s_cbranch_execz .LBB56_31
; %bb.30:
	s_waitcnt vmcnt(0)
	v_lshlrev_b32_e32 v2, 1, v18
	v_lshl_or_b32 v21, v25, 8, v2
	s_and_b32 s1, s1, 0xffff
	s_mov_b32 s3, 0x20000
	s_movk_i32 s2, 0x4000
	v_lshl_or_b32 v26, v20, 8, v2
	s_movk_i32 s13, 0x80
	buffer_load_dwordx4 v[6:9], v21, s[0:3], 0 offen
	buffer_load_dwordx4 v[2:5], v21, s[0:3], s13 offen
	;; [unrolled: 1-line block ×4, first 2 shown]
	v_lshrrev_b32_e32 v21, 3, v18
	v_lshlrev_b32_e32 v26, 3, v25
	v_or_b32_e32 v21, v26, v21
	v_lshlrev_b32_e32 v21, 4, v21
	v_and_b32_e32 v26, 0x78, v26
	v_xor_b32_e32 v26, v21, v26
	v_lshlrev_b32_e32 v21, 7, v20
.LBB56_31:
	s_movk_i32 s0, 0x1000
	v_and_or_b32 v20, v21, s0, v26
	s_waitcnt vmcnt(1)
	ds_write_b64 v26, v[6:7] offset:49152
	v_xor_b32_e32 v6, 8, v26
	ds_write_b64 v6, v[8:9] offset:49152
	s_waitcnt vmcnt(0)
	ds_write_b64 v26, v[2:3] offset:57344
	ds_write_b64 v6, v[4:5] offset:57344
	;; [unrolled: 1-line block ×3, first 2 shown]
	v_xor_b32_e32 v2, 8, v20
	ds_write_b64 v2, v[16:17] offset:49152
	ds_write_b64 v20, v[10:11] offset:57344
	;; [unrolled: 1-line block ×3, first 2 shown]
	v_or_b32_e32 v2, v1, v72
	v_lshlrev_b32_e32 v3, 11, v74
	v_lshlrev_b32_e32 v2, 3, v2
	v_and_b32_e32 v6, 0x1000, v3
	v_lshrrev_b32_e32 v3, 5, v73
	s_movk_i32 s0, 0xf8
	v_and_or_b32 v3, v2, s0, v3
	v_lshlrev_b32_e32 v7, 4, v3
	v_and_b32_e32 v8, 0x78, v2
	v_or_b32_e32 v10, 32, v7
	v_lshrrev_b32_e32 v3, 1, v73
	v_xor_b32_e32 v10, v10, v8
	v_xor_b32_e32 v2, v7, v8
	v_and_b32_e32 v9, 8, v3
	v_or_b32_e32 v10, v10, v6
	v_or_b32_e32 v2, v2, v6
	v_xor_b32_e32 v28, v10, v9
	v_or_b32_e32 v10, 64, v7
	v_xor_b32_e32 v27, v2, v9
	v_xor_b32_e32 v10, v10, v8
	s_waitcnt lgkmcnt(0)
	s_barrier
	v_or_b32_e32 v13, v10, v6
	ds_read_b64 v[10:11], v27 offset:49152
	v_lshl_or_b32 v14, v75, 8, v24
	v_lshlrev_b32_e32 v26, 1, v14
	v_add_u32_e32 v12, 0x4000, v26
	ds_read2_b64 v[2:5], v12 offset1:16
	v_or_b32_e32 v7, 0x60, v7
	v_xor_b32_e32 v7, v7, v8
	v_or_b32_e32 v6, v7, v6
	v_xor_b32_e32 v29, v13, v9
	v_xor_b32_e32 v30, v6, v9
	ds_read_b64 v[20:21], v28 offset:49152
	ds_read_b64 v[34:35], v29 offset:49152
	;; [unrolled: 1-line block ×3, first 2 shown]
	s_waitcnt lgkmcnt(3)
	v_mfma_f32_16x16x16_bf16 a[0:3], v[10:11], v[2:3], 0
	ds_read2_b64 v[6:9], v12 offset0:32 offset1:48
	s_lshl_b64 s[0:1], s[38:39], 8
	s_add_u32 s4, s4, s0
	v_mfma_f32_16x16x16_bf16 a[4:7], v[10:11], v[4:5], 0
	ds_read2st64_b64 v[2:5], v26 offset0:36 offset1:40
	s_addc_u32 s5, s5, s1
	s_add_i32 s0, s41, s40
	s_waitcnt lgkmcnt(1)
	v_mfma_f32_16x16x16_bf16 a[8:11], v[10:11], v[6:7], 0
	v_or_b32_e32 v6, 64, v14
	v_lshlrev_b32_e32 v31, 1, v6
	s_add_i32 s2, s35, -1
	s_waitcnt lgkmcnt(0)
	v_mfma_f32_16x16x16_bf16 a[0:3], v[20:21], v[2:3], a[0:3]
	v_or_b32_e32 v2, 0x80, v14
	v_lshlrev_b32_e32 v32, 1, v2
	v_or_b32_e32 v2, 0xc0, v14
	v_mfma_f32_16x16x16_bf16 a[12:15], v[10:11], v[8:9], 0
	ds_read2st64_b64 v[6:9], v31 offset0:36 offset1:40
	v_lshlrev_b32_e32 v33, 1, v2
	ds_read2st64_b64 v[10:13], v32 offset0:36 offset1:40
	ds_read2st64_b64 v[14:17], v33 offset0:36 offset1:40
	s_add_i32 s17, s0, s42
	s_mul_i32 s0, s33, s19
	s_mul_hi_u32 s1, s33, s18
	s_add_i32 s0, s1, s0
	s_mul_i32 s1, s12, s18
	s_ashr_i32 s3, s2, 31
	s_mul_i32 s12, s2, s29
	s_mul_hi_u32 s13, s2, s28
	s_waitcnt lgkmcnt(2)
	v_mfma_f32_16x16x16_bf16 a[4:7], v[20:21], v[6:7], a[4:7]
	s_add_i32 s12, s13, s12
	s_mul_i32 s3, s3, s28
	s_add_i32 s1, s0, s1
	s_waitcnt lgkmcnt(1)
	v_mfma_f32_16x16x16_bf16 a[8:11], v[20:21], v[10:11], a[8:11]
	s_add_i32 s3, s12, s3
	s_lshl_b64 s[12:13], s[16:17], 2
	s_mul_i32 s0, s33, s18
	s_waitcnt lgkmcnt(0)
	v_mfma_f32_16x16x16_bf16 a[12:15], v[20:21], v[14:15], a[12:15]
	s_add_u32 s10, s10, s12
	s_addc_u32 s11, s11, s13
	s_lshl_b64 s[0:1], s[0:1], 2
	v_mfma_f32_16x16x16_bf16 a[0:3], v[34:35], v[4:5], a[0:3]
	s_mul_i32 s2, s2, s28
	ds_read_b64 v[2:3], v26 offset:22528
	s_add_u32 s10, s10, s0
	v_mfma_f32_16x16x16_bf16 a[4:7], v[34:35], v[8:9], a[4:7]
	ds_read_b64 v[4:5], v31 offset:22528
	ds_read_b64 v[6:7], v32 offset:22528
	;; [unrolled: 1-line block ×3, first 2 shown]
	s_addc_u32 s11, s11, s1
	s_lshl_b64 s[0:1], s[2:3], 2
	v_mfma_f32_16x16x16_bf16 a[8:11], v[34:35], v[12:13], a[8:11]
	s_add_u32 s0, s10, s0
	s_addc_u32 s1, s11, s1
	s_load_dword s12, s[0:1], 0x0
	v_mfma_f32_16x16x16_bf16 a[12:15], v[34:35], v[16:17], a[12:15]
	s_and_b64 vcc, exec, s[26:27]
	s_waitcnt lgkmcnt(0)
	v_mfma_f32_16x16x16_bf16 a[0:3], v[36:37], v[2:3], a[0:3]
	v_mfma_f32_16x16x16_bf16 a[4:7], v[36:37], v[4:5], a[4:7]
	;; [unrolled: 1-line block ×4, first 2 shown]
	s_cbranch_vccz .LBB56_42
; %bb.32:
	v_lshlrev_b32_e32 v20, 1, v25
	s_and_b64 vcc, exec, s[6:7]
	s_cbranch_vccz .LBB56_43
; %bb.33:
	v_cmp_gt_i32_e32 vcc, s45, v20
	v_mov_b32_e32 v6, 0
	v_mov_b32_e32 v2, 0
	v_mov_b32_e32 v3, 0
	v_mov_b32_e32 v4, 0
	v_mov_b32_e32 v5, 0
	s_and_saveexec_b64 s[0:1], vcc
	s_cbranch_execz .LBB56_35
; %bb.34:
	v_mad_i64_i32 v[2:3], s[2:3], s15, v20, 0
	v_lshl_add_u64 v[2:3], v[2:3], 1, s[4:5]
	v_lshlrev_b32_e32 v4, 1, v18
	v_mov_b32_e32 v5, 0
	v_lshl_add_u64 v[2:3], v[2:3], 0, v[4:5]
	global_load_dwordx4 v[2:5], v[2:3], off
.LBB56_35:
	s_or_b64 exec, exec, s[0:1]
	v_or_b32_e32 v21, 1, v20
	v_cmp_gt_i32_e64 s[0:1], s45, v21
	v_mov_b32_e32 v7, 0
	v_mov_b32_e32 v8, 0
	;; [unrolled: 1-line block ×3, first 2 shown]
	s_and_saveexec_b64 s[2:3], s[0:1]
	s_cbranch_execz .LBB56_37
; %bb.36:
	v_mad_i64_i32 v[6:7], s[16:17], s15, v21, 0
	v_lshl_add_u64 v[6:7], v[6:7], 1, s[4:5]
	v_lshlrev_b32_e32 v8, 1, v18
	v_mov_b32_e32 v9, 0
	v_lshl_add_u64 v[6:7], v[6:7], 0, v[8:9]
	global_load_dwordx4 v[6:9], v[6:7], off
.LBB56_37:
	s_or_b64 exec, exec, s[2:3]
	v_mov_b32_e32 v17, 0
	v_mov_b32_e32 v10, 0
	;; [unrolled: 1-line block ×5, first 2 shown]
	s_and_saveexec_b64 s[2:3], vcc
	s_cbranch_execz .LBB56_39
; %bb.38:
	v_mad_i64_i32 v[10:11], s[16:17], s15, v20, 0
	v_lshl_add_u64 v[10:11], v[10:11], 1, s[4:5]
	v_lshlrev_b32_e32 v12, 1, v18
	v_mov_b32_e32 v13, 0
	v_lshl_add_u64 v[10:11], v[10:11], 0, v[12:13]
	global_load_dwordx4 v[10:13], v[10:11], off offset:128
.LBB56_39:
	s_or_b64 exec, exec, s[2:3]
	v_mov_b32_e32 v16, 0
	v_mov_b32_e32 v15, 0
	;; [unrolled: 1-line block ×3, first 2 shown]
	s_and_saveexec_b64 s[2:3], s[0:1]
	s_cbranch_execz .LBB56_41
; %bb.40:
	v_mad_i64_i32 v[14:15], s[0:1], s15, v21, 0
	v_lshl_add_u64 v[14:15], v[14:15], 1, s[4:5]
	v_lshlrev_b32_e32 v16, 1, v18
	v_mov_b32_e32 v17, 0
	v_lshl_add_u64 v[14:15], v[14:15], 0, v[16:17]
	global_load_dwordx4 v[14:17], v[14:15], off offset:128
.LBB56_41:
	s_or_b64 exec, exec, s[2:3]
	s_branch .LBB56_45
.LBB56_42:
                                        ; implicit-def: $vgpr5
                                        ; implicit-def: $vgpr9
                                        ; implicit-def: $vgpr13
                                        ; implicit-def: $vgpr17
	v_lshrrev_b32_e32 v34, 2, v73
	s_branch .LBB56_46
.LBB56_43:
                                        ; implicit-def: $vgpr5
                                        ; implicit-def: $vgpr9
                                        ; implicit-def: $vgpr13
                                        ; implicit-def: $vgpr17
	s_cbranch_execz .LBB56_45
; %bb.44:
	s_waitcnt vmcnt(0)
	v_mad_u64_u32 v[2:3], s[0:1], v20, s15, v[18:19]
	v_lshlrev_b32_e32 v20, 1, v2
	s_lshl_b32 s2, s15, 7
	s_and_b32 s1, s5, 0xffff
	s_mov_b32 s3, 0x20000
	s_mov_b32 s0, s4
	v_add_lshl_u32 v21, v2, s15, 1
	s_movk_i32 s13, 0x80
	buffer_load_dwordx4 v[2:5], v20, s[0:3], 0 offen
	buffer_load_dwordx4 v[10:13], v20, s[0:3], s13 offen
	;; [unrolled: 1-line block ×4, first 2 shown]
.LBB56_45:
	v_lshrrev_b32_e32 v34, 2, v73
	s_cbranch_execnz .LBB56_58
.LBB56_46:
	s_and_b64 vcc, exec, s[6:7]
	s_cbranch_vccz .LBB56_56
; %bb.47:
	s_waitcnt vmcnt(0)
	v_lshlrev_b32_e32 v7, 1, v25
	v_cmp_gt_i32_e32 vcc, s45, v7
	v_mov_b32_e32 v6, 0
	v_lshlrev_b32_e32 v14, 9, v25
	v_mov_b32_e32 v2, 0
	v_mov_b32_e32 v3, 0
	;; [unrolled: 1-line block ×4, first 2 shown]
	s_and_saveexec_b64 s[0:1], vcc
	s_cbranch_execz .LBB56_49
; %bb.48:
	v_mov_b32_e32 v15, 0
	v_lshl_add_u64 v[2:3], s[4:5], 0, v[14:15]
	v_lshlrev_b32_e32 v4, 1, v18
	v_mov_b32_e32 v5, v15
	v_lshl_add_u64 v[2:3], v[2:3], 0, v[4:5]
	global_load_dwordx4 v[2:5], v[2:3], off
.LBB56_49:
	s_or_b64 exec, exec, s[0:1]
	v_or_b32_e32 v7, 1, v7
	v_cmp_gt_i32_e64 s[0:1], s45, v7
	v_lshlrev_b32_e32 v20, 8, v7
	v_mov_b32_e32 v7, 0
	v_mov_b32_e32 v8, 0
	;; [unrolled: 1-line block ×3, first 2 shown]
	s_and_saveexec_b64 s[2:3], s[0:1]
	s_cbranch_execz .LBB56_51
; %bb.50:
	v_mov_b32_e32 v21, 0
	v_lshl_add_u64 v[6:7], s[4:5], 0, v[20:21]
	v_lshlrev_b32_e32 v8, 1, v18
	v_mov_b32_e32 v9, v21
	v_lshl_add_u64 v[6:7], v[6:7], 0, v[8:9]
	global_load_dwordx4 v[6:9], v[6:7], off
.LBB56_51:
	s_or_b64 exec, exec, s[2:3]
	v_mov_b32_e32 v17, 0
	v_mov_b32_e32 v10, 0
	;; [unrolled: 1-line block ×5, first 2 shown]
	s_and_saveexec_b64 s[2:3], vcc
	s_cbranch_execz .LBB56_53
; %bb.52:
	v_mov_b32_e32 v15, 0
	v_lshl_add_u64 v[10:11], s[4:5], 0, v[14:15]
	v_lshlrev_b32_e32 v14, 1, v18
	v_lshl_add_u64 v[10:11], v[10:11], 0, v[14:15]
	global_load_dwordx4 v[10:13], v[10:11], off offset:128
.LBB56_53:
	s_or_b64 exec, exec, s[2:3]
	v_mov_b32_e32 v16, 0
	v_mov_b32_e32 v15, 0
	;; [unrolled: 1-line block ×3, first 2 shown]
	s_and_saveexec_b64 s[2:3], s[0:1]
	s_cbranch_execz .LBB56_55
; %bb.54:
	v_mov_b32_e32 v21, 0
	v_lshl_add_u64 v[14:15], s[4:5], 0, v[20:21]
	v_lshlrev_b32_e32 v20, 1, v18
	v_lshl_add_u64 v[14:15], v[14:15], 0, v[20:21]
	global_load_dwordx4 v[14:17], v[14:15], off offset:128
.LBB56_55:
	s_or_b64 exec, exec, s[2:3]
	s_branch .LBB56_58
.LBB56_56:
                                        ; implicit-def: $vgpr5
                                        ; implicit-def: $vgpr9
                                        ; implicit-def: $vgpr13
                                        ; implicit-def: $vgpr17
	s_cbranch_execz .LBB56_58
; %bb.57:
	s_waitcnt vmcnt(0)
	v_lshlrev_b32_e32 v2, 1, v18
	v_lshl_or_b32 v18, v25, 9, v2
	s_and_b32 s5, s5, 0xffff
	s_mov_b32 s7, 0x20000
	s_movk_i32 s6, 0x4000
	s_movk_i32 s0, 0x80
	buffer_load_dwordx4 v[2:5], v18, s[4:7], 0 offen
	buffer_load_dwordx4 v[6:9], v18, s[4:7], 0 offen offset:256
	buffer_load_dwordx4 v[10:13], v18, s[4:7], s0 offen
	buffer_load_dwordx4 v[14:17], v18, s[4:7], s0 offen offset:256
.LBB56_58:
	ds_read_b64 v[20:21], v27 offset:57344
	v_add_u32_e32 v18, 0x6000, v26
	ds_read2_b64 v[36:39], v18 offset1:16
	ds_read_b64 v[52:53], v28 offset:57344
	ds_read_b64 v[28:29], v29 offset:57344
	;; [unrolled: 1-line block ×3, first 2 shown]
	ds_read2st64_b64 v[40:43], v26 offset0:52 offset1:56
	s_mov_b32 s0, 0x1000504
	s_mov_b32 s1, 0x3020706
	s_waitcnt lgkmcnt(4)
	v_mfma_f32_16x16x16_bf16 a[0:3], v[20:21], v[36:37], a[0:3]
	v_mfma_f32_16x16x16_bf16 a[4:7], v[20:21], v[38:39], a[4:7]
	ds_read2_b64 v[36:39], v18 offset0:32 offset1:48
	v_and_b32_e32 v18, 6, v0
	v_xor_b32_e32 v25, v25, v18
	s_waitcnt lgkmcnt(0)
	v_mfma_f32_16x16x16_bf16 a[8:11], v[20:21], v[36:37], a[8:11]
	v_lshlrev_b32_e32 v25, 2, v25
	v_and_b32_e32 v0, 1, v0
	v_xor_b32_e32 v35, 0x440, v25
	v_mfma_f32_16x16x16_bf16 a[12:15], v[20:21], v[38:39], a[12:15]
	ds_read2st64_b64 v[36:39], v31 offset0:52 offset1:56
	ds_read2st64_b64 v[44:47], v32 offset0:52 offset1:56
	;; [unrolled: 1-line block ×3, first 2 shown]
	v_cmp_eq_u32_e32 vcc, 0, v0
	ds_read_b64 v[20:21], v26 offset:30720
	ds_read_b64 v[26:27], v31 offset:30720
	;; [unrolled: 1-line block ×4, first 2 shown]
	v_mfma_f32_16x16x16_bf16 a[0:3], v[52:53], v[40:41], a[0:3]
	v_cndmask_b32_e32 v0, v35, v25, vcc
	v_lshl_or_b32 v0, v18, 10, v0
	s_waitcnt vmcnt(0)
	v_perm_b32 v18, v2, v6, s0
	s_waitcnt lgkmcnt(6)
	v_mfma_f32_16x16x16_bf16 a[4:7], v[52:53], v[36:37], a[4:7]
	v_perm_b32 v25, v10, v14, s0
	ds_write2st64_b32 v0, v18, v25 offset0:128 offset1:160
	v_xor_b32_e32 v18, 8, v0
	s_waitcnt lgkmcnt(6)
	v_mfma_f32_16x16x16_bf16 a[8:11], v[52:53], v[44:45], a[8:11]
	v_perm_b32 v2, v2, v6, s1
	v_perm_b32 v6, v10, v14, s1
	v_add_u32_e32 v10, 0x80, v18
	s_waitcnt lgkmcnt(5)
	v_mfma_f32_16x16x16_bf16 a[12:15], v[52:53], v[48:49], a[12:15]
	ds_write2st64_b32 v10, v2, v6 offset0:128 offset1:160
	v_xor_b32_e32 v2, 16, v0
	v_perm_b32 v6, v3, v7, s0
	v_mfma_f32_16x16x16_bf16 a[0:3], v[28:29], v[42:43], a[0:3]
	v_perm_b32 v10, v11, v15, s0
	ds_write2st64_b32 v2, v6, v10 offset0:129 offset1:161
	v_xor_b32_e32 v2, 24, v0
	v_mfma_f32_16x16x16_bf16 a[4:7], v[28:29], v[38:39], a[4:7]
	v_perm_b32 v3, v3, v7, s1
	v_perm_b32 v6, v11, v15, s1
	v_add_u32_e32 v2, 0x80, v2
	v_mfma_f32_16x16x16_bf16 a[16:19], v[28:29], v[46:47], a[8:11]
	ds_write2st64_b32 v2, v3, v6 offset0:129 offset1:161
	v_xor_b32_e32 v2, 32, v0
	v_perm_b32 v3, v4, v8, s0
	v_mfma_f32_16x16x16_bf16 a[20:23], v[28:29], v[50:51], a[12:15]
	v_perm_b32 v6, v12, v16, s0
	ds_write2st64_b32 v2, v3, v6 offset0:130 offset1:162
	v_xor_b32_e32 v2, 40, v0
	s_waitcnt lgkmcnt(8)
	v_mfma_f32_16x16x16_bf16 a[12:15], v[54:55], v[20:21], a[0:3]
	v_perm_b32 v3, v4, v8, s1
	v_perm_b32 v4, v12, v16, s1
	v_add_u32_e32 v2, 0x80, v2
	s_waitcnt lgkmcnt(7)
	v_mfma_f32_16x16x16_bf16 a[8:11], v[54:55], v[26:27], a[4:7]
	ds_write2st64_b32 v2, v3, v4 offset0:130 offset1:162
	v_xor_b32_e32 v2, 48, v0
	v_perm_b32 v3, v5, v9, s0
	s_waitcnt lgkmcnt(7)
	v_mfma_f32_16x16x16_bf16 a[4:7], v[54:55], v[30:31], a[16:19]
	v_perm_b32 v4, v13, v17, s0
	v_xor_b32_e32 v0, 56, v0
	v_and_or_b32 v18, v34, 12, v1
	s_waitcnt lgkmcnt(6)
	v_mfma_f32_16x16x16_bf16 a[0:3], v[54:55], v[32:33], a[20:23]
	ds_write2st64_b32 v2, v3, v4 offset0:131 offset1:163
	v_perm_b32 v2, v5, v9, s1
	v_perm_b32 v3, v13, v17, s1
	v_add_u32_e32 v0, 0x80, v0
	v_cmp_gt_i32_e32 vcc, s45, v18
	v_mov_b32_e32 v14, 0
	v_mov_b32_e32 v16, 0
	ds_write2st64_b32 v0, v2, v3 offset0:131 offset1:163
	s_and_saveexec_b64 s[0:1], vcc
	s_cbranch_execz .LBB56_60
; %bb.59:
	v_add_u32_e32 v0, s34, v18
	v_ashrrev_i32_e32 v1, 31, v0
	v_mul_lo_u32 v2, v1, s28
	v_mul_lo_u32 v3, v0, s29
	v_mad_u64_u32 v[0:1], s[2:3], v0, s28, 0
	v_add3_u32 v1, v1, v3, v2
	v_lshl_add_u64 v[0:1], v[0:1], 2, s[10:11]
	global_load_dword v0, v[0:1], off
	s_waitcnt vmcnt(0)
	v_sub_f32_e32 v0, s12, v0
	v_exp_f32_e32 v16, v0
.LBB56_60:
	s_or_b64 exec, exec, s[0:1]
	v_or_b32_e32 v8, 1, v18
	v_cmp_gt_i32_e64 s[0:1], s45, v8
	s_and_saveexec_b64 s[2:3], s[0:1]
	s_cbranch_execz .LBB56_62
; %bb.61:
	v_add_u32_e32 v0, s34, v8
	v_ashrrev_i32_e32 v1, 31, v0
	v_mul_lo_u32 v2, v1, s28
	v_mul_lo_u32 v3, v0, s29
	v_mad_u64_u32 v[0:1], s[4:5], v0, s28, 0
	v_add3_u32 v1, v1, v3, v2
	v_lshl_add_u64 v[0:1], v[0:1], 2, s[10:11]
	global_load_dword v0, v[0:1], off
	s_waitcnt vmcnt(0)
	v_sub_f32_e32 v0, s12, v0
	v_exp_f32_e32 v14, v0
.LBB56_62:
	s_or_b64 exec, exec, s[2:3]
	v_or_b32_e32 v10, 2, v18
	v_cmp_gt_i32_e64 s[2:3], s45, v10
	v_mov_b32_e32 v15, 0
	v_mov_b32_e32 v17, 0
	s_and_saveexec_b64 s[4:5], s[2:3]
	s_cbranch_execz .LBB56_64
; %bb.63:
	v_add_u32_e32 v0, s34, v10
	v_ashrrev_i32_e32 v1, 31, v0
	v_mul_lo_u32 v2, v1, s28
	v_mul_lo_u32 v3, v0, s29
	v_mad_u64_u32 v[0:1], s[6:7], v0, s28, 0
	v_add3_u32 v1, v1, v3, v2
	v_lshl_add_u64 v[0:1], v[0:1], 2, s[10:11]
	global_load_dword v0, v[0:1], off
	s_waitcnt vmcnt(0)
	v_sub_f32_e32 v0, s12, v0
	v_exp_f32_e32 v17, v0
.LBB56_64:
	s_or_b64 exec, exec, s[4:5]
	v_or_b32_e32 v12, 3, v18
	v_cmp_gt_i32_e64 s[4:5], s45, v12
	s_and_saveexec_b64 s[6:7], s[4:5]
	s_cbranch_execz .LBB56_66
; %bb.65:
	v_add_u32_e32 v0, s34, v12
	v_ashrrev_i32_e32 v1, 31, v0
	v_mul_lo_u32 v2, v1, s28
	v_mul_lo_u32 v3, v0, s29
	v_mad_u64_u32 v[0:1], s[14:15], v0, s28, 0
	v_add3_u32 v1, v1, v3, v2
	v_lshl_add_u64 v[0:1], v[0:1], 2, s[10:11]
	global_load_dword v0, v[0:1], off
	s_waitcnt vmcnt(0)
	v_sub_f32_e32 v0, s12, v0
	v_exp_f32_e32 v15, v0
.LBB56_66:
	s_or_b64 exec, exec, s[6:7]
	v_or_b32_e32 v4, s30, v72
	s_add_u32 s6, s8, s24
	v_accvgpr_read_b32 v0, a12
	s_addc_u32 s7, s9, s25
	v_ashrrev_i32_e32 v5, 31, v4
	v_accvgpr_read_b32 v1, a13
	v_accvgpr_read_b32 v2, a14
	;; [unrolled: 1-line block ×3, first 2 shown]
	v_lshl_add_u64 v[4:5], v[4:5], 1, s[6:7]
	v_mov_b32_e32 v9, 0
	v_lshlrev_b32_e32 v6, 8, v18
	v_mov_b32_e32 v7, 0
	s_and_saveexec_b64 s[6:7], vcc
	s_cbranch_execz .LBB56_68
; %bb.67:
	v_mov_b32_e32 v7, 0
	v_lshl_add_u64 v[20:21], v[4:5], 0, v[6:7]
	global_load_ushort v7, v[20:21], off
	s_waitcnt vmcnt(0)
	v_lshlrev_b32_e32 v7, 16, v7
	v_sub_f32_e32 v0, v7, v0
	v_mul_f32_e32 v0, v16, v0
	v_lshrrev_b32_e32 v7, 16, v0
.LBB56_68:
	s_or_b64 exec, exec, s[6:7]
	v_lshlrev_b32_e32 v8, 8, v8
	s_and_saveexec_b64 s[6:7], s[0:1]
	s_cbranch_execz .LBB56_70
; %bb.69:
	v_mov_b32_e32 v9, 0
	v_lshl_add_u64 v[20:21], v[4:5], 0, v[8:9]
	global_load_ushort v0, v[20:21], off
	s_waitcnt vmcnt(0)
	v_lshlrev_b32_e32 v0, 16, v0
	v_sub_f32_e32 v0, v0, v1
	v_mul_f32_e32 v0, v14, v0
	v_lshrrev_b32_e32 v9, 16, v0
.LBB56_70:
	s_or_b64 exec, exec, s[6:7]
	v_mov_b32_e32 v13, 0
	v_lshlrev_b32_e32 v10, 8, v10
	v_mov_b32_e32 v11, 0
	s_and_saveexec_b64 s[6:7], s[2:3]
	s_cbranch_execz .LBB56_72
; %bb.71:
	v_mov_b32_e32 v11, 0
	v_lshl_add_u64 v[0:1], v[4:5], 0, v[10:11]
	global_load_ushort v0, v[0:1], off
	s_waitcnt vmcnt(0)
	v_lshlrev_b32_e32 v0, 16, v0
	v_sub_f32_e32 v0, v0, v2
	v_mul_f32_e32 v0, v17, v0
	v_lshrrev_b32_e32 v11, 16, v0
.LBB56_72:
	s_or_b64 exec, exec, s[6:7]
	v_lshlrev_b32_e32 v12, 8, v12
	s_and_saveexec_b64 s[6:7], s[4:5]
	s_cbranch_execz .LBB56_74
; %bb.73:
	v_mov_b32_e32 v13, 0
	v_lshl_add_u64 v[0:1], v[4:5], 0, v[12:13]
	global_load_ushort v0, v[0:1], off
	s_waitcnt vmcnt(0)
	v_lshlrev_b32_e32 v0, 16, v0
	v_sub_f32_e32 v0, v0, v3
	v_mul_f32_e32 v0, v15, v0
	v_lshrrev_b32_e32 v13, 16, v0
.LBB56_74:
	s_or_b64 exec, exec, s[6:7]
	v_lshlrev_b32_e32 v18, 6, v18
	s_mov_b32 s6, 0x5040100
	v_perm_b32 v20, v9, v7, s6
	v_or_b32_e32 v7, v18, v24
	v_accvgpr_read_b32 v0, a8
	v_perm_b32 v21, v13, v11, s6
	v_lshlrev_b32_e32 v7, 1, v7
	v_accvgpr_read_b32 v1, a9
	v_accvgpr_read_b32 v2, a10
	;; [unrolled: 1-line block ×3, first 2 shown]
	ds_write_b64 v7, v[20:21] offset:24576
	v_mov_b32_e32 v9, 0
	v_mov_b32_e32 v7, 0
	s_and_saveexec_b64 s[6:7], vcc
	s_cbranch_execz .LBB56_76
; %bb.75:
	v_mov_b32_e32 v7, 0
	v_lshl_add_u64 v[20:21], v[4:5], 0, v[6:7]
	global_load_ushort v7, v[20:21], off offset:32
	s_waitcnt vmcnt(0)
	v_lshlrev_b32_e32 v7, 16, v7
	v_sub_f32_e32 v0, v7, v0
	v_mul_f32_e32 v0, v16, v0
	v_lshrrev_b32_e32 v7, 16, v0
.LBB56_76:
	s_or_b64 exec, exec, s[6:7]
	s_and_saveexec_b64 s[6:7], s[0:1]
	s_cbranch_execz .LBB56_78
; %bb.77:
	v_mov_b32_e32 v9, 0
	v_lshl_add_u64 v[20:21], v[4:5], 0, v[8:9]
	global_load_ushort v0, v[20:21], off offset:32
	s_waitcnt vmcnt(0)
	v_lshlrev_b32_e32 v0, 16, v0
	v_sub_f32_e32 v0, v0, v1
	v_mul_f32_e32 v0, v14, v0
	v_lshrrev_b32_e32 v9, 16, v0
.LBB56_78:
	s_or_b64 exec, exec, s[6:7]
	v_mov_b32_e32 v13, 0
	v_mov_b32_e32 v11, 0
	s_and_saveexec_b64 s[6:7], s[2:3]
	s_cbranch_execz .LBB56_80
; %bb.79:
	v_mov_b32_e32 v11, 0
	v_lshl_add_u64 v[0:1], v[4:5], 0, v[10:11]
	global_load_ushort v0, v[0:1], off offset:32
	s_waitcnt vmcnt(0)
	v_lshlrev_b32_e32 v0, 16, v0
	v_sub_f32_e32 v0, v0, v2
	v_mul_f32_e32 v0, v17, v0
	v_lshrrev_b32_e32 v11, 16, v0
.LBB56_80:
	s_or_b64 exec, exec, s[6:7]
	s_and_saveexec_b64 s[6:7], s[4:5]
	s_cbranch_execz .LBB56_82
; %bb.81:
	v_mov_b32_e32 v13, 0
	v_lshl_add_u64 v[0:1], v[4:5], 0, v[12:13]
	global_load_ushort v0, v[0:1], off offset:32
	s_waitcnt vmcnt(0)
	v_lshlrev_b32_e32 v0, 16, v0
	v_sub_f32_e32 v0, v0, v3
	v_mul_f32_e32 v0, v15, v0
	v_lshrrev_b32_e32 v13, 16, v0
.LBB56_82:
	s_or_b64 exec, exec, s[6:7]
	s_mov_b32 s6, 0x5040100
	v_perm_b32 v20, v9, v7, s6
	v_or_b32_e32 v7, v18, v23
	v_accvgpr_read_b32 v0, a4
	v_perm_b32 v21, v13, v11, s6
	v_lshlrev_b32_e32 v7, 1, v7
	v_accvgpr_read_b32 v1, a5
	v_accvgpr_read_b32 v2, a6
	;; [unrolled: 1-line block ×3, first 2 shown]
	ds_write_b64 v7, v[20:21] offset:24576
	v_mov_b32_e32 v9, 0
	v_mov_b32_e32 v7, 0
	s_and_saveexec_b64 s[6:7], vcc
	s_cbranch_execz .LBB56_84
; %bb.83:
	v_mov_b32_e32 v7, 0
	v_lshl_add_u64 v[20:21], v[4:5], 0, v[6:7]
	global_load_ushort v7, v[20:21], off offset:64
	s_waitcnt vmcnt(0)
	v_lshlrev_b32_e32 v7, 16, v7
	v_sub_f32_e32 v0, v7, v0
	v_mul_f32_e32 v0, v16, v0
	v_lshrrev_b32_e32 v7, 16, v0
.LBB56_84:
	s_or_b64 exec, exec, s[6:7]
	s_and_saveexec_b64 s[6:7], s[0:1]
	s_cbranch_execz .LBB56_86
; %bb.85:
	v_mov_b32_e32 v9, 0
	v_lshl_add_u64 v[20:21], v[4:5], 0, v[8:9]
	global_load_ushort v0, v[20:21], off offset:64
	s_waitcnt vmcnt(0)
	v_lshlrev_b32_e32 v0, 16, v0
	v_sub_f32_e32 v0, v0, v1
	v_mul_f32_e32 v0, v14, v0
	v_lshrrev_b32_e32 v9, 16, v0
.LBB56_86:
	s_or_b64 exec, exec, s[6:7]
	v_mov_b32_e32 v13, 0
	v_mov_b32_e32 v11, 0
	s_and_saveexec_b64 s[6:7], s[2:3]
	s_cbranch_execz .LBB56_88
; %bb.87:
	v_mov_b32_e32 v11, 0
	v_lshl_add_u64 v[0:1], v[4:5], 0, v[10:11]
	global_load_ushort v0, v[0:1], off offset:64
	s_waitcnt vmcnt(0)
	v_lshlrev_b32_e32 v0, 16, v0
	v_sub_f32_e32 v0, v0, v2
	v_mul_f32_e32 v0, v17, v0
	v_lshrrev_b32_e32 v11, 16, v0
.LBB56_88:
	s_or_b64 exec, exec, s[6:7]
	s_and_saveexec_b64 s[6:7], s[4:5]
	s_cbranch_execz .LBB56_90
; %bb.89:
	v_mov_b32_e32 v13, 0
	v_lshl_add_u64 v[0:1], v[4:5], 0, v[12:13]
	global_load_ushort v0, v[0:1], off offset:64
	s_waitcnt vmcnt(0)
	v_lshlrev_b32_e32 v0, 16, v0
	v_sub_f32_e32 v0, v0, v3
	v_mul_f32_e32 v0, v15, v0
	v_lshrrev_b32_e32 v13, 16, v0
.LBB56_90:
	s_or_b64 exec, exec, s[6:7]
	s_mov_b32 s6, 0x5040100
	v_perm_b32 v20, v9, v7, s6
	v_or_b32_e32 v7, v18, v22
	v_accvgpr_read_b32 v0, a0
	v_perm_b32 v21, v13, v11, s6
	v_lshlrev_b32_e32 v7, 1, v7
	v_accvgpr_read_b32 v1, a1
	v_accvgpr_read_b32 v2, a2
	v_accvgpr_read_b32 v3, a3
	ds_write_b64 v7, v[20:21] offset:24576
	v_mov_b32_e32 v9, 0
	v_mov_b32_e32 v7, 0
	s_and_saveexec_b64 s[6:7], vcc
	s_cbranch_execz .LBB56_92
; %bb.91:
	v_mov_b32_e32 v7, 0
	v_lshl_add_u64 v[6:7], v[4:5], 0, v[6:7]
	global_load_ushort v6, v[6:7], off offset:96
	s_waitcnt vmcnt(0)
	v_lshlrev_b32_e32 v6, 16, v6
	v_sub_f32_e32 v0, v6, v0
	v_mul_f32_e32 v0, v16, v0
	v_lshrrev_b32_e32 v7, 16, v0
.LBB56_92:
	s_or_b64 exec, exec, s[6:7]
	s_and_saveexec_b64 s[6:7], s[0:1]
	s_cbranch_execz .LBB56_94
; %bb.93:
	v_mov_b32_e32 v9, 0
	v_lshl_add_u64 v[8:9], v[4:5], 0, v[8:9]
	global_load_ushort v0, v[8:9], off offset:96
	s_waitcnt vmcnt(0)
	v_lshlrev_b32_e32 v0, 16, v0
	v_sub_f32_e32 v0, v0, v1
	v_mul_f32_e32 v0, v14, v0
	v_lshrrev_b32_e32 v9, 16, v0
.LBB56_94:
	s_or_b64 exec, exec, s[6:7]
	v_mov_b32_e32 v0, 0
	v_mov_b32_e32 v1, 0
	s_and_saveexec_b64 s[0:1], s[2:3]
	s_cbranch_execz .LBB56_96
; %bb.95:
	v_mov_b32_e32 v11, 0
	v_lshl_add_u64 v[10:11], v[4:5], 0, v[10:11]
	global_load_ushort v1, v[10:11], off offset:96
	s_waitcnt vmcnt(0)
	v_lshlrev_b32_e32 v1, 16, v1
	v_sub_f32_e32 v1, v1, v2
	v_mul_f32_e32 v1, v17, v1
	v_lshrrev_b32_e32 v1, 16, v1
.LBB56_96:
	s_or_b64 exec, exec, s[0:1]
	s_and_saveexec_b64 s[0:1], s[4:5]
	s_cbranch_execz .LBB56_98
; %bb.97:
	v_mov_b32_e32 v13, 0
	v_lshl_add_u64 v[4:5], v[4:5], 0, v[12:13]
	global_load_ushort v0, v[4:5], off offset:96
	s_waitcnt vmcnt(0)
	v_lshlrev_b32_e32 v0, 16, v0
	v_sub_f32_e32 v0, v0, v3
	v_mul_f32_e32 v0, v15, v0
	v_lshrrev_b32_e32 v0, 16, v0
.LBB56_98:
	s_or_b64 exec, exec, s[0:1]
	s_mov_b32 s0, 0x5040100
	v_or_b32_e32 v2, v18, v19
	v_perm_b32 v1, v0, v1, s0
	v_perm_b32 v0, v9, v7, s0
	v_lshlrev_b32_e32 v2, 1, v2
	ds_write_b64 v2, v[0:1] offset:24576
	s_waitcnt lgkmcnt(0)
	s_barrier
.LBB56_99:
	s_endpgm
	.section	.rodata,"a",@progbits
	.p2align	6, 0x0
	.amdhsa_kernel _ZN12_GLOBAL__N_139chunk_gated_delta_rule_fwd_h_hip_kernelILi64ELb0ELb0ELb0ELb1ELb1ELb0ELb0ELb1EEEvPK12hip_bfloat16S3_S3_PKfS5_PKvPS1_S8_PvPKiSB_iiiiilll
		.amdhsa_group_segment_fixed_size 65536
		.amdhsa_private_segment_fixed_size 0
		.amdhsa_kernarg_size 136
		.amdhsa_user_sgpr_count 2
		.amdhsa_user_sgpr_dispatch_ptr 0
		.amdhsa_user_sgpr_queue_ptr 0
		.amdhsa_user_sgpr_kernarg_segment_ptr 1
		.amdhsa_user_sgpr_dispatch_id 0
		.amdhsa_user_sgpr_kernarg_preload_length 0
		.amdhsa_user_sgpr_kernarg_preload_offset 0
		.amdhsa_user_sgpr_private_segment_size 0
		.amdhsa_uses_dynamic_stack 0
		.amdhsa_enable_private_segment 0
		.amdhsa_system_sgpr_workgroup_id_x 1
		.amdhsa_system_sgpr_workgroup_id_y 1
		.amdhsa_system_sgpr_workgroup_id_z 0
		.amdhsa_system_sgpr_workgroup_info 0
		.amdhsa_system_vgpr_workitem_id 0
		.amdhsa_next_free_vgpr 216
		.amdhsa_next_free_sgpr 60
		.amdhsa_accum_offset 180
		.amdhsa_reserve_vcc 1
		.amdhsa_float_round_mode_32 0
		.amdhsa_float_round_mode_16_64 0
		.amdhsa_float_denorm_mode_32 3
		.amdhsa_float_denorm_mode_16_64 3
		.amdhsa_dx10_clamp 1
		.amdhsa_ieee_mode 1
		.amdhsa_fp16_overflow 0
		.amdhsa_tg_split 0
		.amdhsa_exception_fp_ieee_invalid_op 0
		.amdhsa_exception_fp_denorm_src 0
		.amdhsa_exception_fp_ieee_div_zero 0
		.amdhsa_exception_fp_ieee_overflow 0
		.amdhsa_exception_fp_ieee_underflow 0
		.amdhsa_exception_fp_ieee_inexact 0
		.amdhsa_exception_int_div_zero 0
	.end_amdhsa_kernel
	.section	.text._ZN12_GLOBAL__N_139chunk_gated_delta_rule_fwd_h_hip_kernelILi64ELb0ELb0ELb0ELb1ELb1ELb0ELb0ELb1EEEvPK12hip_bfloat16S3_S3_PKfS5_PKvPS1_S8_PvPKiSB_iiiiilll,"axG",@progbits,_ZN12_GLOBAL__N_139chunk_gated_delta_rule_fwd_h_hip_kernelILi64ELb0ELb0ELb0ELb1ELb1ELb0ELb0ELb1EEEvPK12hip_bfloat16S3_S3_PKfS5_PKvPS1_S8_PvPKiSB_iiiiilll,comdat
.Lfunc_end56:
	.size	_ZN12_GLOBAL__N_139chunk_gated_delta_rule_fwd_h_hip_kernelILi64ELb0ELb0ELb0ELb1ELb1ELb0ELb0ELb1EEEvPK12hip_bfloat16S3_S3_PKfS5_PKvPS1_S8_PvPKiSB_iiiiilll, .Lfunc_end56-_ZN12_GLOBAL__N_139chunk_gated_delta_rule_fwd_h_hip_kernelILi64ELb0ELb0ELb0ELb1ELb1ELb0ELb0ELb1EEEvPK12hip_bfloat16S3_S3_PKfS5_PKvPS1_S8_PvPKiSB_iiiiilll
                                        ; -- End function
	.section	.AMDGPU.csdata,"",@progbits
; Kernel info:
; codeLenInByte = 10664
; NumSgprs: 66
; NumVgprs: 178
; NumAgprs: 36
; TotalNumVgprs: 216
; ScratchSize: 0
; MemoryBound: 0
; FloatMode: 240
; IeeeMode: 1
; LDSByteSize: 65536 bytes/workgroup (compile time only)
; SGPRBlocks: 8
; VGPRBlocks: 26
; NumSGPRsForWavesPerEU: 66
; NumVGPRsForWavesPerEU: 216
; AccumOffset: 180
; Occupancy: 1
; WaveLimiterHint : 1
; COMPUTE_PGM_RSRC2:SCRATCH_EN: 0
; COMPUTE_PGM_RSRC2:USER_SGPR: 2
; COMPUTE_PGM_RSRC2:TRAP_HANDLER: 0
; COMPUTE_PGM_RSRC2:TGID_X_EN: 1
; COMPUTE_PGM_RSRC2:TGID_Y_EN: 1
; COMPUTE_PGM_RSRC2:TGID_Z_EN: 0
; COMPUTE_PGM_RSRC2:TIDIG_COMP_CNT: 0
; COMPUTE_PGM_RSRC3_GFX90A:ACCUM_OFFSET: 44
; COMPUTE_PGM_RSRC3_GFX90A:TG_SPLIT: 0
	.section	.text._ZN12_GLOBAL__N_139chunk_gated_delta_rule_fwd_h_hip_kernelILi64ELb1ELb1ELb1ELb0ELb1ELb0ELb0ELb1EEEvPK12hip_bfloat16S3_S3_PKfS5_PKvPS1_S8_PvPKiSB_iiiiilll,"axG",@progbits,_ZN12_GLOBAL__N_139chunk_gated_delta_rule_fwd_h_hip_kernelILi64ELb1ELb1ELb1ELb0ELb1ELb0ELb0ELb1EEEvPK12hip_bfloat16S3_S3_PKfS5_PKvPS1_S8_PvPKiSB_iiiiilll,comdat
	.globl	_ZN12_GLOBAL__N_139chunk_gated_delta_rule_fwd_h_hip_kernelILi64ELb1ELb1ELb1ELb0ELb1ELb0ELb0ELb1EEEvPK12hip_bfloat16S3_S3_PKfS5_PKvPS1_S8_PvPKiSB_iiiiilll ; -- Begin function _ZN12_GLOBAL__N_139chunk_gated_delta_rule_fwd_h_hip_kernelILi64ELb1ELb1ELb1ELb0ELb1ELb0ELb0ELb1EEEvPK12hip_bfloat16S3_S3_PKfS5_PKvPS1_S8_PvPKiSB_iiiiilll
	.p2align	8
	.type	_ZN12_GLOBAL__N_139chunk_gated_delta_rule_fwd_h_hip_kernelILi64ELb1ELb1ELb1ELb0ELb1ELb0ELb0ELb1EEEvPK12hip_bfloat16S3_S3_PKfS5_PKvPS1_S8_PvPKiSB_iiiiilll,@function
_ZN12_GLOBAL__N_139chunk_gated_delta_rule_fwd_h_hip_kernelILi64ELb1ELb1ELb1ELb0ELb1ELb0ELb0ELb1EEEvPK12hip_bfloat16S3_S3_PKfS5_PKvPS1_S8_PvPKiSB_iiiiilll: ; @_ZN12_GLOBAL__N_139chunk_gated_delta_rule_fwd_h_hip_kernelILi64ELb1ELb1ELb1ELb0ELb1ELb0ELb0ELb1EEEvPK12hip_bfloat16S3_S3_PKfS5_PKvPS1_S8_PvPKiSB_iiiiilll
; %bb.0:
	s_load_dwordx4 s[20:23], s[0:1], 0x5c
	s_load_dwordx4 s[24:27], s[0:1], 0x70
	s_abs_i32 s6, s3
	s_ashr_i32 s5, s3, 31
	v_and_b32_e32 v88, 15, v0
	s_waitcnt lgkmcnt(0)
	s_abs_i32 s4, s21
	v_cvt_f32_u32_e32 v1, s4
	s_sub_i32 s8, 0, s4
	s_ashr_i32 s7, s21, 31
	s_xor_b32 s5, s5, s7
	v_rcp_iflag_f32_e32 v1, v1
	v_bfe_u32 v87, v0, 4, 2
	v_mov_b32_e32 v35, 0
	v_lshlrev_b32_e32 v89, 3, v0
	v_mul_f32_e32 v1, 0x4f7ffffe, v1
	v_cvt_u32_f32_e32 v1, v1
	s_nop 0
	v_readfirstlane_b32 s9, v1
	s_mul_i32 s8, s8, s9
	s_mul_hi_u32 s8, s9, s8
	s_add_i32 s9, s9, s8
	s_mul_hi_u32 s8, s6, s9
	s_mul_i32 s9, s8, s4
	s_sub_i32 s6, s6, s9
	s_add_i32 s10, s8, 1
	s_sub_i32 s9, s6, s4
	s_cmp_ge_u32 s6, s4
	s_cselect_b32 s8, s10, s8
	s_cselect_b32 s6, s9, s6
	s_add_i32 s9, s8, 1
	s_cmp_ge_u32 s6, s4
	s_cselect_b32 s6, s9, s8
	s_xor_b32 s6, s6, s5
	s_add_i32 s8, s20, 63
	s_sub_i32 s55, s6, s5
	s_ashr_i32 s9, s8, 31
	s_mul_i32 s12, s55, s21
	s_sub_i32 s52, s3, s12
	s_lshr_b32 s3, s9, 26
	s_add_i32 s8, s8, s3
	s_abs_i32 s3, s22
	v_cvt_f32_u32_e32 v1, s3
	s_ashr_i32 s54, s20, 31
	s_lshr_b32 s5, s54, 26
	s_add_i32 s5, s20, s5
	v_rcp_iflag_f32_e32 v1, v1
	s_ashr_i32 s57, s22, 31
	s_ashr_i32 s56, s5, 6
	s_xor_b32 s5, s7, s57
	v_mul_f32_e32 v1, 0x4f7ffffe, v1
	v_cvt_u32_f32_e32 v1, v1
	s_sub_i32 s6, 0, s3
	s_ashr_i32 s28, s8, 6
	s_lshl_b32 s2, s2, 6
	v_readfirstlane_b32 s7, v1
	s_mul_i32 s6, s6, s7
	s_mul_hi_u32 s6, s7, s6
	s_add_i32 s7, s7, s6
	s_mul_hi_u32 s6, s4, s7
	s_mul_i32 s7, s6, s3
	s_sub_i32 s4, s4, s7
	s_add_i32 s7, s6, 1
	s_sub_i32 s8, s4, s3
	s_cmp_ge_u32 s4, s3
	s_cselect_b32 s6, s7, s6
	s_cselect_b32 s4, s8, s4
	s_add_i32 s7, s6, 1
	s_cmp_ge_u32 s4, s3
	s_cselect_b32 s3, s7, s6
	s_xor_b32 s3, s3, s5
	s_sub_i32 s3, s3, s5
	s_abs_i32 s13, s3
	v_cvt_f32_u32_e32 v1, s13
	s_sub_i32 s15, 0, s13
	s_abs_i32 s14, s52
	s_xor_b32 s3, s52, s3
	v_rcp_iflag_f32_e32 v2, v1
	s_ashr_i32 s3, s3, 31
	s_load_dwordx8 s[4:11], s[0:1], 0x28
	v_or_b32_e32 v76, s2, v88
	v_mul_f32_e32 v2, 0x4f7ffffe, v2
	v_cvt_u32_f32_e32 v2, v2
	v_lshrrev_b32_e32 v1, 6, v0
	v_lshlrev_b32_e32 v36, 7, v76
	v_lshlrev_b32_e32 v86, 4, v1
	v_readfirstlane_b32 s16, v2
	s_mul_i32 s15, s15, s16
	s_mul_hi_u32 s15, s16, s15
	s_add_i32 s16, s16, s15
	s_mul_hi_u32 s15, s14, s16
	s_mul_i32 s16, s15, s13
	s_sub_i32 s14, s14, s16
	s_add_i32 s16, s15, 1
	s_sub_i32 s17, s14, s13
	s_cmp_ge_u32 s14, s13
	s_cselect_b32 s15, s16, s15
	s_cselect_b32 s14, s17, s14
	s_add_i32 s16, s15, 1
	s_cmp_ge_u32 s14, s13
	s_cselect_b32 s13, s16, s15
	s_xor_b32 s13, s13, s3
	s_sub_i32 s58, s13, s3
	s_ashr_i32 s3, s55, 31
	s_ashr_i32 s53, s52, 31
	s_mul_hi_i32 s13, s55, s21
	s_add_u32 s42, s12, s52
	s_addc_u32 s43, s13, s53
	s_lshl_b64 s[34:35], s[42:43], 15
	s_waitcnt lgkmcnt(0)
	s_add_u32 s4, s4, s34
	v_or_b32_e32 v38, 0x800, v36
	v_lshl_or_b32 v91, v87, 2, v86
	s_addc_u32 s5, s5, s35
	v_ashrrev_i32_e32 v37, 31, v36
	v_ashrrev_i32_e32 v39, 31, v38
	v_lshl_add_u64 v[2:3], v[36:37], 1, s[4:5]
	v_lshlrev_b32_e32 v34, 1, v91
	v_lshl_add_u64 v[6:7], v[38:39], 1, s[4:5]
	v_or_b32_e32 v40, 0x1000, v36
	v_or_b32_e32 v42, 0x1800, v36
	v_lshl_add_u64 v[2:3], v[2:3], 0, v[34:35]
	v_lshl_add_u64 v[6:7], v[6:7], 0, v[34:35]
	v_ashrrev_i32_e32 v41, 31, v40
	v_ashrrev_i32_e32 v43, 31, v42
	global_load_dwordx2 v[4:5], v[2:3], off
	v_lshl_add_u64 v[14:15], v[42:43], 1, s[4:5]
	global_load_dwordx2 v[2:3], v[2:3], off offset:128
	s_nop 0
	global_load_dwordx2 v[8:9], v[6:7], off
	global_load_dwordx2 v[10:11], v[6:7], off offset:128
	v_lshl_add_u64 v[6:7], v[40:41], 1, s[4:5]
	v_lshl_add_u64 v[6:7], v[6:7], 0, v[34:35]
	;; [unrolled: 1-line block ×3, first 2 shown]
	global_load_dwordx2 v[12:13], v[6:7], off
	v_and_b32_e32 v35, 63, v0
	global_load_dwordx2 v[6:7], v[6:7], off offset:128
	s_nop 0
	global_load_dwordx2 v[16:17], v[14:15], off
	global_load_dwordx2 v[18:19], v[14:15], off offset:128
	s_load_dwordx8 s[12:19], s[0:1], 0x0
	s_load_dwordx2 s[36:37], s[0:1], 0x80
	v_lshrrev_b32_e32 v90, 3, v35
	v_or_b32_e32 v92, 64, v91
	s_mul_i32 s59, s55, s28
	s_cmp_lt_i32 s20, 64
	s_mul_i32 s60, s43, s20
	s_mul_hi_u32 s61, s42, s20
	s_mul_i32 s4, s42, s20
	s_mul_i32 s33, s55, s25
	s_mul_hi_u32 s48, s55, s24
	s_mul_i32 s43, s3, s24
	s_mul_i32 s40, s55, s24
	;; [unrolled: 1-line block ×3, first 2 shown]
	s_mul_hi_u32 s50, s52, s26
	s_mul_i32 s51, s53, s26
	s_mul_i32 s38, s52, s26
	s_waitcnt vmcnt(7)
	v_and_b32_e32 v71, 0xffff0000, v4
	v_lshlrev_b32_e32 v70, 16, v4
	v_and_b32_e32 v75, 0xffff0000, v5
	v_lshlrev_b32_e32 v74, 16, v5
	s_waitcnt vmcnt(6)
	v_and_b32_e32 v69, 0xffff0000, v2
	v_lshlrev_b32_e32 v68, 16, v2
	v_and_b32_e32 v73, 0xffff0000, v3
	v_lshlrev_b32_e32 v72, 16, v3
	;; [unrolled: 5-line block ×8, first 2 shown]
	s_cbranch_scc1 .LBB57_18
; %bb.1:
	s_add_i32 s5, s61, s60
	s_lshl_b64 s[0:1], s[4:5], 8
	v_and_b32_e32 v94, 56, v89
	s_waitcnt lgkmcnt(0)
	s_add_u32 s24, s14, s0
	v_lshl_or_b32 v93, v1, 3, v90
	v_lshlrev_b32_e32 v2, 1, v94
	s_addc_u32 s0, s15, s1
	v_lshl_or_b32 v95, v93, 8, v2
	s_and_b32 s25, s0, 0xffff
	s_mov_b32 s27, 0x20000
	s_movk_i32 s26, 0x4000
	s_movk_i32 s0, 0x80
	v_or_b32_e32 v96, 0x2000, v95
	buffer_load_dwordx4 v[4:7], v95, s[24:27], 0 offen
	buffer_load_dwordx4 v[8:11], v95, s[24:27], s0 offen
	;; [unrolled: 1-line block ×4, first 2 shown]
	v_lshlrev_b32_e32 v3, 3, v93
	v_and_or_b32 v21, v0, 7, v3
	v_and_b32_e32 v3, 0x78, v3
	v_lshlrev_b32_e32 v21, 4, v21
	v_xor_b32_e32 v97, v21, v3
	v_mul_lo_u32 v20, v93, s23
	v_or_b32_e32 v98, 0x1000, v97
	v_xor_b32_e32 v3, 8, v97
	s_cmpk_eq_i32 s23, 0x80
	s_mov_b32 s62, s22
	v_xor_b32_e32 v21, 8, v98
	s_cselect_b64 s[0:1], -1, 0
	s_cmpk_lg_i32 s23, 0x80
	s_waitcnt vmcnt(3)
	ds_write_b64 v97, v[4:5] offset:49152
	ds_write_b64 v3, v[6:7] offset:49152
	s_waitcnt vmcnt(2)
	ds_write_b64 v97, v[8:9] offset:57344
	ds_write_b64 v3, v[10:11] offset:57344
	;; [unrolled: 3-line block ×4, first 2 shown]
	v_lshl_add_u32 v3, v20, 1, v94
	s_cbranch_scc0 .LBB57_3
; %bb.2:
	v_lshlrev_b32_e32 v5, 1, v3
	v_add_lshl_u32 v4, v3, s23, 1
	s_lshl_b32 s26, s23, 7
	v_lshl_or_b32 v2, v93, 9, v2
	s_cbranch_execz .LBB57_4
	s_branch .LBB57_5
.LBB57_3:
                                        ; implicit-def: $vgpr4
                                        ; implicit-def: $vgpr5
                                        ; implicit-def: $sgpr26
	v_lshl_or_b32 v2, v93, 9, v2
.LBB57_4:
	v_or_b32_e32 v4, 0x100, v2
	s_movk_i32 s26, 0x4000
	v_mov_b32_e32 v5, v2
.LBB57_5:
	s_mul_hi_u32 s24, s22, s20
	s_mul_i32 s25, s57, s20
	s_add_i32 s24, s24, s25
	s_mul_i32 s25, s22, s20
	s_mul_i32 s27, s25, s3
	s_mul_hi_u32 s28, s25, s55
	s_add_i32 s27, s28, s27
	s_mul_i32 s24, s24, s55
	s_add_i32 s27, s27, s24
	s_mul_i32 s25, s25, s55
	s_ashr_i32 s63, s58, 31
	s_add_u32 s24, s25, s58
	s_addc_u32 s25, s27, s63
	s_lshl_b64 s[24:25], s[24:25], 8
	s_add_u32 s24, s12, s24
	s_addc_u32 s25, s13, s25
	s_and_b32 s25, s25, 0xffff
	s_mov_b32 s27, 0x20000
	s_movk_i32 s64, 0x80
	buffer_load_dwordx4 v[6:9], v5, s[24:27], 0 offen
	buffer_load_dwordx4 v[10:13], v5, s[24:27], s64 offen
	;; [unrolled: 1-line block ×4, first 2 shown]
	v_and_b32_e32 v5, 6, v0
	v_lshlrev_b32_e32 v4, 7, v91
	v_xor_b32_e32 v26, v93, v5
	v_and_b32_e32 v22, 1, v0
	v_lshl_or_b32 v29, v88, 3, v4
	v_lshlrev_b32_e32 v26, 2, v26
	v_or_b32_e32 v99, 0x4000, v29
	v_or_b32_e32 v100, 0x6000, v29
	v_xor_b32_e32 v29, 0x440, v26
	v_cmp_eq_u32_e32 vcc, 0, v22
	v_lshlrev_b32_e32 v23, 2, v88
	s_mov_b32 s66, 0x1000504
	v_cndmask_b32_e32 v22, v29, v26, vcc
	v_xor_b32_e32 v27, v91, v23
	v_xor_b32_e32 v28, v92, v23
	v_lshl_or_b32 v5, v5, 10, v22
	s_mov_b32 s67, 0x3020706
	v_lshlrev_b32_e32 v24, 8, v88
	v_or_b32_e32 v25, 16, v88
	v_lshlrev_b32_e32 v27, 1, v27
	v_lshlrev_b32_e32 v28, 1, v28
	v_xor_b32_e32 v22, 8, v5
	v_xor_b32_e32 v26, 24, v5
	;; [unrolled: 1-line block ×4, first 2 shown]
	s_mul_i32 s3, s3, s20
	s_mul_hi_u32 s24, s55, s20
	v_or_b32_e32 v102, v24, v27
	v_or_b32_e32 v103, v24, v28
	v_xor_b32_e32 v24, 16, v5
	v_xor_b32_e32 v29, 32, v5
	;; [unrolled: 1-line block ×3, first 2 shown]
	v_add_u32_e32 v22, 0x80, v22
	v_add_u32_e32 v26, 0x80, v26
	;; [unrolled: 1-line block ×4, first 2 shown]
	s_add_i32 s69, s24, s3
	s_add_i32 s3, s48, s33
	s_add_i32 s41, s3, s43
	s_add_i32 s3, s50, s49
	s_add_i32 s39, s3, s51
	s_lshl_b64 s[24:25], s[40:41], 2
	s_add_u32 s3, s18, s24
	s_addc_u32 s28, s19, s25
	s_lshl_b64 s[24:25], s[38:39], 2
	s_add_u32 s44, s3, s24
	s_movk_i32 s3, 0xf8
	s_addc_u32 s45, s28, s25
	s_lshl_b32 s30, s23, 7
	s_movk_i32 s28, 0x100
	v_mov_b32_e32 v79, 0
	v_cmp_gt_u32_e32 vcc, s28, v0
	v_lshl_or_b32 v30, v25, 3, v4
	s_mov_b32 s65, 0
	s_mul_i32 s68, s55, s20
	v_or_b32_e32 v101, 0x4000, v30
	s_movk_i32 s26, 0x4000
	v_or_b32_e32 v104, 0x6000, v30
	s_movk_i32 s39, 0x2000
	s_movk_i32 s41, 0x3000
	s_mov_b32 s71, 0
	s_waitcnt vmcnt(1)
	v_perm_b32 v77, v6, v14, s66
	s_waitcnt vmcnt(0)
	v_perm_b32 v78, v10, v18, s66
	v_perm_b32 v6, v6, v14, s67
	;; [unrolled: 1-line block ×15, first 2 shown]
	ds_write2st64_b32 v5, v77, v78 offset0:128 offset1:160
	ds_write2st64_b32 v22, v6, v10 offset0:128 offset1:160
	;; [unrolled: 1-line block ×8, first 2 shown]
	v_lshlrev_b32_e32 v5, 8, v25
	v_or_b32_e32 v105, v5, v27
	v_or_b32_e32 v106, v5, v28
	;; [unrolled: 1-line block ×3, first 2 shown]
	v_lshl_or_b32 v6, v5, 3, v4
	v_lshlrev_b32_e32 v5, 8, v5
	v_or_b32_e32 v109, v5, v27
	v_or_b32_e32 v110, v5, v28
	;; [unrolled: 1-line block ×5, first 2 shown]
	v_lshl_or_b32 v6, v5, 3, v4
	v_lshlrev_b32_e32 v5, 8, v5
	v_or_b32_e32 v113, v5, v27
	v_or_b32_e32 v114, v5, v28
	;; [unrolled: 1-line block ×3, first 2 shown]
	v_lshlrev_b32_e32 v5, 3, v5
	v_lshrrev_b32_e32 v7, 5, v35
	v_and_or_b32 v7, v5, s3, v7
	v_lshlrev_b32_e32 v7, 4, v7
	v_lshlrev_b32_e32 v8, 11, v1
	v_and_b32_e32 v5, 0x78, v5
	v_or_b32_e32 v13, 32, v7
	v_or_b32_e32 v111, 0x4000, v6
	;; [unrolled: 1-line block ×3, first 2 shown]
	v_and_b32_e32 v6, 0x1000, v8
	v_xor_b32_e32 v9, v7, v5
	v_lshrrev_b32_e32 v10, 1, v0
	v_xor_b32_e32 v13, v13, v5
	v_or_b32_e32 v9, v9, v6
	v_and_b32_e32 v11, 8, v10
	v_or_b32_e32 v13, v13, v6
	v_xor_b32_e32 v115, v9, v11
	v_lshlrev_b32_e32 v9, 8, v87
	v_xor_b32_e32 v117, v13, v11
	v_or_b32_e32 v13, 64, v7
	v_or_b32_e32 v7, 0x60, v7
	s_ashr_i32 s3, s2, 31
	v_or_b32_e32 v12, v9, v23
	v_xor_b32_e32 v13, v13, v5
	v_xor_b32_e32 v5, v7, v5
	s_lshl_b64 s[24:25], s[2:3], 8
	v_lshlrev_b32_e32 v12, 1, v12
	v_or_b32_e32 v13, v13, v6
	v_or_b32_e32 v5, v5, v6
	s_add_u32 s24, s6, s24
	v_lshlrev_b32_e32 v6, 1, v88
	v_or_b32_e32 v116, 0x4000, v12
	v_or_b32_e32 v118, 0x4080, v12
	;; [unrolled: 1-line block ×8, first 2 shown]
	v_lshrrev_b32_e32 v12, 4, v0
	s_addc_u32 s25, s7, s25
	v_or_b32_e32 v7, 1, v6
	v_lshlrev_b32_e32 v78, 4, v88
	v_mov_b32_e32 v16, 0xa000
	v_mov_b32_e32 v17, 0x8000
	v_xor_b32_e32 v121, v13, v11
	v_xor_b32_e32 v13, v12, v6
	;; [unrolled: 1-line block ×3, first 2 shown]
	v_lshl_add_u64 v[6:7], s[24:25], 0, v[78:79]
	v_lshlrev_b32_e32 v78, 8, v12
	v_cndmask_b32_e32 v16, v16, v17, vcc
	v_lshlrev_b32_e32 v17, 3, v1
	v_and_b32_e32 v10, 24, v10
	v_lshl_or_b32 v127, v13, 3, v78
	v_and_b32_e32 v13, 8, v0
	v_xor_b32_e32 v18, v17, v10
	v_or_b32_e32 v19, 0x440, v18
	v_cmp_eq_u32_e32 vcc, 0, v13
	v_and_b32_e32 v12, 7, v0
	v_lshl_or_b32 v128, v14, 3, v78
	v_cndmask_b32_e32 v13, v19, v18, vcc
	v_lshlrev_b32_e32 v14, 3, v12
	v_lshlrev_b32_e32 v12, 7, v12
	v_or_b32_e32 v13, v13, v8
	v_lshlrev_b32_e32 v15, 2, v0
	v_xad_u32 v129, v13, v14, v12
	v_or_b32_e32 v13, 32, v10
	v_and_or_b32 v9, v15, 60, v9
	v_xor_b32_e32 v13, v17, v13
	v_lshlrev_b32_e32 v9, 1, v9
	v_or_b32_e32 v15, 0x440, v13
	v_or_b32_e32 v130, 0x6000, v9
	v_cndmask_b32_e32 v13, v15, v13, vcc
	v_or_b32_e32 v132, 0x6080, v9
	v_or_b32_e32 v133, 0x6100, v9
	v_or_b32_e32 v134, 0x6180, v9
	v_or_b32_e32 v9, 64, v10
	v_or_b32_e32 v13, v13, v8
	v_xor_b32_e32 v9, v17, v9
	v_xad_u32 v131, v13, v14, v12
	v_xor_b32_e32 v13, 0x440, v9
	v_cndmask_b32_e32 v9, v13, v9, vcc
	v_or_b32_e32 v9, v9, v8
	v_xad_u32 v135, v9, v14, v12
	v_or_b32_e32 v9, 0x60, v10
	v_xor_b32_e32 v9, v17, v9
	v_xor_b32_e32 v10, 0x440, v9
	v_cndmask_b32_e32 v9, v10, v9, vcc
	v_xor_b32_e32 v122, v5, v11
	v_ashrrev_i32_e32 v77, 31, v76
	v_lshlrev_b32_e32 v5, 1, v3
	v_add_lshl_u32 v3, v3, s23, 1
	v_or_b32_e32 v11, 0x100, v2
	v_or_b32_e32 v8, v9, v8
	v_xad_u32 v136, v8, v14, v12
	v_cndmask_b32_e64 v137, v5, v2, s[0:1]
	v_cndmask_b32_e64 v138, v3, v11, s[0:1]
	v_lshlrev_b64 v[2:3], 1, v[76:77]
	v_lshl_add_u64 v[80:81], s[16:17], 0, v[2:3]
	v_lshl_add_u64 v[82:83], s[8:9], 0, v[2:3]
	;; [unrolled: 1-line block ×3, first 2 shown]
	s_mov_b32 s3, 0x7060302
	v_lshlrev_b32_e32 v78, 1, v4
	v_add_u32_e32 v77, v16, v129
	v_add_u32_e32 v139, v16, v131
	;; [unrolled: 1-line block ×4, first 2 shown]
	s_waitcnt lgkmcnt(0)
	s_barrier
.LBB57_6:                               ; =>This Inner Loop Header: Depth=1
	s_add_i32 s70, s71, 1
	s_cmp_lt_i32 s70, s56
	s_mov_b64 s[28:29], 0
	s_cselect_b64 s[46:47], -1, 0
	s_cmp_ge_i32 s70, s56
	s_mov_b64 s[24:25], 0
	s_cbranch_scc1 .LBB57_8
; %bb.7:                                ;   in Loop: Header=BB57_6 Depth=1
	s_add_i32 s0, s65, 64
	s_add_u32 s0, s4, s0
	s_addc_u32 s1, s5, 0
	s_lshl_b64 s[0:1], s[0:1], 8
	s_add_u32 s24, s14, s0
	s_addc_u32 s25, s15, s1
.LBB57_8:                               ;   in Loop: Header=BB57_6 Depth=1
	v_cndmask_b32_e64 v2, 0, 1, s[46:47]
	v_cmp_ne_u32_e64 s[0:1], 1, v2
	s_andn2_b64 vcc, exec, s[46:47]
	s_cbranch_vccnz .LBB57_10
; %bb.9:                                ;   in Loop: Header=BB57_6 Depth=1
	s_add_i32 s28, s65, 64
	s_add_u32 s28, s68, s28
	s_addc_u32 s29, s69, 0
	s_mul_i32 s31, s28, s57
	s_mul_hi_u32 s46, s28, s62
	s_add_i32 s31, s46, s31
	s_mul_i32 s29, s29, s62
	s_add_i32 s31, s31, s29
	s_mul_i32 s28, s28, s62
	s_add_u32 s28, s28, s58
	s_addc_u32 s29, s31, s63
	s_lshl_b64 s[28:29], s[28:29], 8
	s_add_u32 s28, s12, s28
	s_addc_u32 s29, s13, s29
.LBB57_10:                              ;   in Loop: Header=BB57_6 Depth=1
	v_perm_b32 v3, v75, v74, s3
	v_perm_b32 v2, v71, v70, s3
	v_perm_b32 v5, v73, v72, s3
	v_perm_b32 v4, v69, v68, s3
	ds_write_b64 v99, v[2:3]
	ds_write_b64 v100, v[4:5]
	ds_write_b64 v102, v[2:3]
	ds_write_b64 v103, v[4:5]
	v_perm_b32 v3, v67, v66, s3
	v_perm_b32 v2, v63, v62, s3
	v_perm_b32 v5, v65, v64, s3
	v_perm_b32 v4, v61, v60, s3
	ds_write_b64 v101, v[2:3]
	ds_write_b64 v104, v[4:5]
	ds_write_b64 v105, v[2:3]
	ds_write_b64 v106, v[4:5]
	;; [unrolled: 8-line block ×4, first 2 shown]
	s_waitcnt lgkmcnt(0)
	s_barrier
	ds_read_b64 v[6:7], v115 offset:49152
	ds_read2_b64 v[2:5], v116 offset1:16
	ds_read_b64 v[18:19], v118 offset:6144
	ds_read_b64 v[20:21], v116 offset:6144
	s_waitcnt lgkmcnt(2)
	v_mfma_f32_16x16x16_bf16 a[0:3], v[6:7], v[2:3], 0
	ds_read_b64 v[22:23], v117 offset:49152
	ds_read2st64_b64 v[10:13], v119 offset0:4 offset1:8
	ds_read2st64_b64 v[14:17], v120 offset0:4 offset1:8
	v_mfma_f32_16x16x16_bf16 a[4:7], v[6:7], v[4:5], 0
	ds_read2_b64 v[2:5], v116 offset0:32 offset1:48
	s_add_i32 s31, s65, 63
	s_mul_i32 s46, s31, s37
	s_waitcnt lgkmcnt(0)
	v_mfma_f32_16x16x16_bf16 a[8:11], v[6:7], v[2:3], 0
	s_mul_hi_u32 s47, s31, s36
	s_add_i32 s47, s47, s46
	s_mul_i32 s46, s31, s36
	v_mfma_f32_16x16x16_bf16 a[12:15], v[6:7], v[4:5], 0
	ds_read2st64_b64 v[2:5], v116 offset0:4 offset1:8
	ds_read2st64_b64 v[6:9], v118 offset0:4 offset1:8
	s_lshl_b64 s[46:47], s[46:47], 2
	s_waitcnt lgkmcnt(1)
	v_mfma_f32_16x16x16_bf16 a[0:3], v[22:23], v[2:3], a[0:3]
	s_add_u32 s46, s44, s46
	s_addc_u32 s47, s45, s47
	s_and_b64 vcc, exec, s[0:1]
	s_waitcnt lgkmcnt(0)
	v_mfma_f32_16x16x16_bf16 a[4:7], v[22:23], v[6:7], a[4:7]
	v_mov_b32_e32 v144, 0
	v_mov_b32_e32 v143, 0
	;; [unrolled: 1-line block ×3, first 2 shown]
	v_mfma_f32_16x16x16_bf16 a[8:11], v[22:23], v[10:11], a[8:11]
	ds_read_b64 v[2:3], v121 offset:49152
	ds_read_b64 v[6:7], v122 offset:49152
	;; [unrolled: 1-line block ×3, first 2 shown]
	v_mfma_f32_16x16x16_bf16 a[12:15], v[22:23], v[14:15], a[12:15]
	v_mov_b32_e32 v14, 0
	v_mov_b32_e32 v15, 0
	s_waitcnt lgkmcnt(2)
	v_mfma_f32_16x16x16_bf16 a[0:3], v[2:3], v[4:5], a[0:3]
	v_mov_b32_e32 v4, 0
	v_mov_b32_e32 v5, 0
	v_mfma_f32_16x16x16_bf16 a[16:19], v[2:3], v[8:9], a[4:7]
	v_mov_b32_e32 v8, 0
	v_mov_b32_e32 v9, 0
	;; [unrolled: 3-line block ×3, first 2 shown]
	v_mfma_f32_16x16x16_bf16 a[24:27], v[2:3], v[16:17], a[12:15]
	ds_read_b64 v[2:3], v119 offset:6144
	v_mov_b32_e32 v16, 0
	v_mov_b32_e32 v17, 0
	s_waitcnt lgkmcnt(2)
	v_mfma_f32_16x16x16_bf16 a[4:7], v[6:7], v[20:21], a[0:3]
	v_mfma_f32_16x16x16_bf16 a[8:11], v[6:7], v[18:19], a[16:19]
	s_waitcnt lgkmcnt(0)
	v_mfma_f32_16x16x16_bf16 a[12:15], v[6:7], v[2:3], a[20:23]
	v_mov_b32_e32 v2, 0
	v_mov_b32_e32 v3, 0
	v_mfma_f32_16x16x16_bf16 a[0:3], v[6:7], v[10:11], a[24:27]
	v_mov_b32_e32 v6, 0
	v_mov_b32_e32 v7, 0
	;; [unrolled: 1-line block ×4, first 2 shown]
	s_cbranch_vccnz .LBB57_12
; %bb.11:                               ;   in Loop: Header=BB57_6 Depth=1
	s_and_b32 s25, s25, 0xffff
	buffer_load_dwordx4 v[14:17], v95, s[24:27], 0 offen
	buffer_load_dwordx4 v[10:13], v95, s[24:27], s64 offen
	;; [unrolled: 1-line block ×4, first 2 shown]
	v_mov_b32_e32 v143, v97
	v_mov_b32_e32 v142, v98
.LBB57_12:                              ;   in Loop: Header=BB57_6 Depth=1
	ds_read_b64 v[30:31], v115 offset:57344
	ds_read2_b64 v[18:21], v123 offset1:16
	ds_read_b64 v[146:147], v117 offset:57344
	ds_read_b64 v[148:149], v121 offset:57344
	;; [unrolled: 1-line block ×3, first 2 shown]
	v_add_u32_e32 v32, s65, v91
	s_waitcnt lgkmcnt(3)
	v_mfma_f32_16x16x16_bf16 a[4:7], v[30:31], v[18:19], a[4:7]
	v_mfma_f32_16x16x16_bf16 a[8:11], v[30:31], v[20:21], a[8:11]
	ds_read2_b64 v[18:21], v123 offset0:32 offset1:48
	ds_read2st64_b64 v[22:25], v123 offset0:4 offset1:8
	ds_read2st64_b64 v[26:29], v124 offset0:4 offset1:8
	s_waitcnt lgkmcnt(2)
	v_mfma_f32_16x16x16_bf16 a[12:15], v[30:31], v[18:19], a[12:15]
	v_ashrrev_i32_e32 v18, 31, v32
	v_mul_lo_u32 v33, v18, s36
	v_mad_u64_u32 v[18:19], s[24:25], v32, s36, 0
	v_mfma_f32_16x16x16_bf16 a[0:3], v[30:31], v[20:21], a[0:3]
	v_mul_lo_u32 v20, v32, s37
	v_add3_u32 v19, v19, v20, v33
	v_add_u32_e32 v20, 1, v32
	v_ashrrev_i32_e32 v21, 31, v20
	s_waitcnt lgkmcnt(1)
	v_mfma_f32_16x16x16_bf16 a[4:7], v[146:147], v[22:23], a[4:7]
	v_mul_lo_u32 v22, v21, s36
	v_mul_lo_u32 v23, v20, s37
	v_mad_u64_u32 v[20:21], s[24:25], v20, s36, 0
	v_add3_u32 v21, v21, v23, v22
	v_add_u32_e32 v22, 2, v32
	v_ashrrev_i32_e32 v23, 31, v22
	v_mul_lo_u32 v30, v23, s36
	v_mul_lo_u32 v31, v22, s37
	v_mad_u64_u32 v[22:23], s[24:25], v22, s36, 0
	v_add3_u32 v23, v23, v31, v30
	v_add_u32_e32 v30, 3, v32
	v_ashrrev_i32_e32 v31, 31, v30
	v_mul_lo_u32 v32, v31, s36
	v_mul_lo_u32 v33, v30, s37
	v_mad_u64_u32 v[30:31], s[24:25], v30, s36, 0
	s_add_u32 s24, s4, s65
	v_lshl_add_u64 v[18:19], v[18:19], 2, s[44:45]
	v_add3_u32 v31, v31, v33, v32
	s_addc_u32 s25, s5, 0
	v_lshl_add_u64 v[20:21], v[20:21], 2, s[44:45]
	global_load_dword v145, v[18:19], off
	v_lshl_add_u64 v[18:19], v[30:31], 2, s[44:45]
	s_lshl_b64 s[24:25], s[24:25], 8
	v_lshl_add_u64 v[22:23], v[22:23], 2, s[44:45]
	global_load_dword v152, v[20:21], off
	global_load_dword v153, v[22:23], off
	;; [unrolled: 1-line block ×3, first 2 shown]
	v_lshl_add_u64 v[18:19], v[80:81], 0, s[24:25]
	v_lshl_add_u64 v[22:23], v[18:19], 0, v[78:79]
	global_load_ushort v155, v[22:23], off offset:256
	global_load_ushort v156, v[22:23], off
	ds_read2st64_b64 v[18:21], v125 offset0:4 offset1:8
	global_load_ushort v157, v[22:23], off offset:768
	global_load_ushort v158, v[22:23], off offset:512
	ds_read2st64_b64 v[30:33], v126 offset0:4 offset1:8
	global_load_ushort v159, v[22:23], off offset:288
	global_load_ushort v160, v[22:23], off offset:32
	;; [unrolled: 1-line block ×4, first 2 shown]
	s_waitcnt lgkmcnt(2)
	v_mfma_f32_16x16x16_bf16 a[8:11], v[146:147], v[26:27], a[8:11]
	global_load_ushort v163, v[22:23], off offset:320
	global_load_ushort v164, v[22:23], off offset:64
	;; [unrolled: 1-line block ×4, first 2 shown]
	s_and_b64 vcc, exec, s[0:1]
	s_waitcnt lgkmcnt(1)
	v_mfma_f32_16x16x16_bf16 a[12:15], v[146:147], v[18:19], a[12:15]
	ds_read_b64 v[18:19], v123 offset:6144
	s_waitcnt lgkmcnt(1)
	v_mfma_f32_16x16x16_bf16 a[0:3], v[146:147], v[30:31], a[0:3]
	v_lshl_add_u64 v[30:31], v[82:83], 0, s[24:25]
	v_lshl_add_u64 v[30:31], v[30:31], 0, v[78:79]
	v_mfma_f32_16x16x16_bf16 a[4:7], v[148:149], v[24:25], a[4:7]
	v_mfma_f32_16x16x16_bf16 a[8:11], v[148:149], v[28:29], a[8:11]
	;; [unrolled: 1-line block ×4, first 2 shown]
	global_load_ushort v148, v[22:23], off offset:352
	global_load_ushort v149, v[22:23], off offset:96
	ds_read_b64 v[20:21], v124 offset:6144
	ds_read_b64 v[24:25], v125 offset:6144
	;; [unrolled: 1-line block ×3, first 2 shown]
	s_load_dword s46, s[46:47], 0x0
	global_load_ushort v167, v[22:23], off offset:864
	global_load_ushort v168, v[22:23], off offset:608
	s_waitcnt lgkmcnt(0)
	v_mfma_f32_16x16x16_bf16 a[4:7], v[150:151], v[18:19], a[4:7]
	s_waitcnt vmcnt(17)
	v_sub_f32_e32 v28, s46, v153
	v_mfma_f32_16x16x16_bf16 a[0:3], v[150:151], v[26:27], a[0:3]
	v_sub_f32_e32 v26, s46, v145
	v_sub_f32_e32 v27, s46, v152
	s_waitcnt vmcnt(16)
	v_sub_f32_e32 v29, s46, v154
	v_mfma_f32_16x16x16_bf16 a[8:11], v[150:151], v[20:21], a[8:11]
	v_exp_f32_e32 v26, v26
	v_exp_f32_e32 v27, v27
	;; [unrolled: 1-line block ×4, first 2 shown]
	v_accvgpr_read_b32 v147, a5
	s_waitcnt vmcnt(15)
	v_lshlrev_b32_e32 v33, 16, v155
	s_waitcnt vmcnt(14)
	v_lshlrev_b32_e32 v32, 16, v156
	v_accvgpr_read_b32 v146, a4
	v_accvgpr_read_b32 v19, a7
	;; [unrolled: 1-line block ×3, first 2 shown]
	v_pk_add_f32 v[32:33], v[32:33], v[146:147] neg_lo:[0,1] neg_hi:[0,1]
	s_waitcnt vmcnt(13)
	v_lshlrev_b32_e32 v147, 16, v157
	s_waitcnt vmcnt(12)
	v_lshlrev_b32_e32 v146, 16, v158
	v_pk_add_f32 v[18:19], v[146:147], v[18:19] neg_lo:[0,1] neg_hi:[0,1]
	global_store_short_d16_hi v[30:31], v32, off
	global_store_short_d16_hi v[30:31], v33, off offset:256
	global_store_short_d16_hi v[30:31], v18, off offset:512
	;; [unrolled: 1-line block ×3, first 2 shown]
	v_pk_mul_f32 v[32:33], v[26:27], v[32:33]
	v_pk_mul_f32 v[18:19], v[28:29], v[18:19]
	v_accvgpr_read_b32 v147, a9
	v_perm_b32 v32, v33, v32, s3
	v_perm_b32 v33, v19, v18, s3
	s_waitcnt vmcnt(15)
	v_lshlrev_b32_e32 v19, 16, v159
	s_waitcnt vmcnt(14)
	v_lshlrev_b32_e32 v18, 16, v160
	v_accvgpr_read_b32 v146, a8
	v_accvgpr_read_b32 v21, a11
	v_mfma_f32_16x16x16_bf16 a[12:15], v[150:151], v[24:25], a[12:15]
	v_accvgpr_read_b32 v20, a10
	v_pk_add_f32 v[18:19], v[18:19], v[146:147] neg_lo:[0,1] neg_hi:[0,1]
	s_waitcnt vmcnt(13)
	v_lshlrev_b32_e32 v147, 16, v161
	s_waitcnt vmcnt(12)
	v_lshlrev_b32_e32 v146, 16, v162
	v_pk_add_f32 v[20:21], v[146:147], v[20:21] neg_lo:[0,1] neg_hi:[0,1]
	global_store_short_d16_hi v[30:31], v18, off offset:32
	global_store_short_d16_hi v[30:31], v19, off offset:288
	;; [unrolled: 1-line block ×4, first 2 shown]
	v_pk_mul_f32 v[18:19], v[26:27], v[18:19]
	v_pk_mul_f32 v[20:21], v[28:29], v[20:21]
	v_accvgpr_read_b32 v23, a15
	v_perm_b32 v21, v21, v20, s3
	v_perm_b32 v20, v19, v18, s3
	ds_write2_b64 v100, v[32:33], v[20:21] offset1:16
	v_accvgpr_read_b32 v21, a13
	s_waitcnt vmcnt(15)
	v_lshlrev_b32_e32 v19, 16, v163
	s_waitcnt vmcnt(14)
	v_lshlrev_b32_e32 v18, 16, v164
	v_accvgpr_read_b32 v20, a12
	v_accvgpr_read_b32 v22, a14
	v_pk_add_f32 v[18:19], v[18:19], v[20:21] neg_lo:[0,1] neg_hi:[0,1]
	s_waitcnt vmcnt(13)
	v_lshlrev_b32_e32 v21, 16, v165
	s_waitcnt vmcnt(12)
	v_lshlrev_b32_e32 v20, 16, v166
	v_pk_add_f32 v[20:21], v[20:21], v[22:23] neg_lo:[0,1] neg_hi:[0,1]
	global_store_short_d16_hi v[30:31], v18, off offset:64
	global_store_short_d16_hi v[30:31], v19, off offset:320
	;; [unrolled: 1-line block ×4, first 2 shown]
	v_pk_mul_f32 v[18:19], v[26:27], v[18:19]
	v_pk_mul_f32 v[20:21], v[28:29], v[20:21]
	v_accvgpr_read_b32 v23, a1
	v_perm_b32 v18, v19, v18, s3
	v_perm_b32 v19, v21, v20, s3
	s_waitcnt vmcnt(15)
	v_lshlrev_b32_e32 v21, 16, v148
	s_waitcnt vmcnt(14)
	v_lshlrev_b32_e32 v20, 16, v149
	v_accvgpr_read_b32 v22, a0
	v_accvgpr_read_b32 v25, a3
	;; [unrolled: 1-line block ×3, first 2 shown]
	v_pk_add_f32 v[20:21], v[20:21], v[22:23] neg_lo:[0,1] neg_hi:[0,1]
	s_waitcnt vmcnt(13)
	v_lshlrev_b32_e32 v23, 16, v167
	s_waitcnt vmcnt(12)
	v_lshlrev_b32_e32 v22, 16, v168
	v_pk_add_f32 v[22:23], v[22:23], v[24:25] neg_lo:[0,1] neg_hi:[0,1]
	global_store_short_d16_hi v[30:31], v20, off offset:96
	global_store_short_d16_hi v[30:31], v21, off offset:352
	;; [unrolled: 1-line block ×4, first 2 shown]
	v_pk_mul_f32 v[20:21], v[26:27], v[20:21]
	v_pk_mul_f32 v[22:23], v[28:29], v[22:23]
	v_mov_b32_e32 v145, 0
	v_perm_b32 v23, v23, v22, s3
	v_perm_b32 v22, v21, v20, s3
	ds_write2_b64 v100, v[18:19], v[22:23] offset0:32 offset1:48
	v_mov_b32_e32 v18, 0
	v_mov_b32_e32 v19, 0
	;; [unrolled: 1-line block ×16, first 2 shown]
	s_cbranch_vccnz .LBB57_14
; %bb.13:                               ;   in Loop: Header=BB57_6 Depth=1
	s_and_b32 s29, s29, 0xffff
	s_mov_b32 s31, s27
	buffer_load_dwordx4 v[30:33], v137, s[28:31], 0 offen
	buffer_load_dwordx4 v[22:25], v137, s[28:31], s64 offen
	;; [unrolled: 1-line block ×4, first 2 shown]
	v_mov_b32_e32 v144, v94
	v_mov_b32_e32 v145, v93
.LBB57_14:                              ;   in Loop: Header=BB57_6 Depth=1
	s_waitcnt lgkmcnt(0)
	s_barrier
	ds_read_b64 v[154:155], v77
	ds_read2_b64 v[146:149], v130 offset1:16
	ds_read_b64 v[170:171], v139
	ds_read_b64 v[172:173], v140
	;; [unrolled: 1-line block ×3, first 2 shown]
	ds_read2_b64 v[150:153], v130 offset0:32 offset1:48
	s_waitcnt lgkmcnt(4)
	v_mfma_f32_16x16x16_bf16 a[0:3], v[154:155], v[146:147], 0
	ds_read2st64_b64 v[158:161], v132 offset0:4 offset1:8
	ds_read2st64_b64 v[162:165], v133 offset0:4 offset1:8
	;; [unrolled: 1-line block ×3, first 2 shown]
	v_mfma_f32_16x16x16_bf16 a[4:7], v[154:155], v[148:149], 0
	s_add_i32 s24, s59, s71
	s_mul_hi_i32 s25, s24, s21
	s_mul_i32 s24, s24, s21
	s_waitcnt lgkmcnt(3)
	v_mfma_f32_16x16x16_bf16 a[8:11], v[154:155], v[150:151], 0
	s_add_u32 s24, s24, s52
	s_addc_u32 s25, s25, s53
	s_lshl_b64 s[24:25], s[24:25], 15
	v_mfma_f32_16x16x16_bf16 a[12:15], v[154:155], v[152:153], 0
	ds_read2st64_b64 v[154:157], v130 offset0:4 offset1:8
	s_waitcnt lgkmcnt(0)
	v_mfma_f32_16x16x16_bf16 a[0:3], v[170:171], v[154:155], a[0:3]
	v_mfma_f32_16x16x16_bf16 a[4:7], v[170:171], v[158:159], a[4:7]
	;; [unrolled: 1-line block ×8, first 2 shown]
	ds_read_b64 v[170:171], v130 offset:6144
	ds_read_b64 v[172:173], v131 offset:40960
	;; [unrolled: 1-line block ×8, first 2 shown]
	s_waitcnt lgkmcnt(5)
	v_mfma_f32_16x16x16_bf16 a[16:19], v[176:177], v[146:147], 0
	v_mfma_f32_16x16x16_bf16 a[20:23], v[176:177], v[148:149], 0
	ds_read2st64_b64 v[146:149], v127 offset1:8
	v_mfma_f32_16x16x16_bf16 a[24:27], v[176:177], v[150:151], 0
	v_mfma_f32_16x16x16_bf16 a[28:31], v[176:177], v[152:153], 0
	ds_read2st64_b64 v[150:153], v128 offset1:8
	v_mfma_f32_16x16x16_bf16 a[16:19], v[172:173], v[154:155], a[16:19]
	s_waitcnt lgkmcnt(1)
	v_mov_b32_e32 v154, v146
	v_mov_b32_e32 v155, v147
	v_mfma_f32_16x16x16_bf16 a[20:23], v[172:173], v[158:159], a[20:23]
	v_lshl_add_u64 v[158:159], v[84:85], 0, s[24:25]
	v_mfma_f32_16x16x16_bf16 a[24:27], v[172:173], v[162:163], a[24:27]
	v_mfma_f32_16x16x16_bf16 a[28:31], v[172:173], v[166:167], a[28:31]
	;; [unrolled: 1-line block ×3, first 2 shown]
	s_waitcnt lgkmcnt(0)
	v_mov_b32_e32 v156, v150
	v_mov_b32_e32 v157, v151
	;; [unrolled: 1-line block ×3, first 2 shown]
	v_mfma_f32_16x16x16_bf16 a[32:35], v[184:185], v[160:161], a[20:23]
	v_mov_b32_e32 v151, v149
	ds_read2st64_b64 v[146:149], v127 offset0:16 offset1:24
	global_store_dwordx4 v[158:159], v[154:157], off
	v_mfma_f32_16x16x16_bf16 a[24:27], v[184:185], v[164:165], a[24:27]
	ds_read2st64_b64 v[154:157], v128 offset0:16 offset1:24
	v_add_co_u32_e32 v160, vcc, s39, v158
	v_mfma_f32_16x16x16_bf16 a[28:31], v[184:185], v[168:169], a[28:31]
	s_nop 0
	v_addc_co_u32_e32 v161, vcc, 0, v159, vcc
	global_store_dwordx4 v[160:161], v[150:153], off offset:-4096
	v_mfma_f32_16x16x16_bf16 a[0:3], v[174:175], v[170:171], a[0:3]
	s_waitcnt lgkmcnt(1)
	v_mov_b32_e32 v150, v146
	v_add_co_u32_e32 v146, vcc, s41, v158
	v_mfma_f32_16x16x16_bf16 a[4:7], v[174:175], v[178:179], a[4:7]
	v_mov_b32_e32 v151, v147
	v_addc_co_u32_e32 v147, vcc, 0, v159, vcc
	v_mfma_f32_16x16x16_bf16 a[8:11], v[174:175], v[180:181], a[8:11]
	s_waitcnt lgkmcnt(0)
	v_mov_b32_e32 v152, v154
	v_mov_b32_e32 v153, v155
	;; [unrolled: 1-line block ×3, first 2 shown]
	v_mfma_f32_16x16x16_bf16 a[12:15], v[174:175], v[182:183], a[12:15]
	v_mov_b32_e32 v155, v149
	s_and_b64 vcc, exec, s[0:1]
	global_store_dwordx4 v[160:161], v[150:153], off
	v_mfma_f32_16x16x16_bf16 a[20:23], v[186:187], v[170:171], a[16:19]
	global_store_dwordx4 v[146:147], v[154:157], off
	v_mfma_f32_16x16x16_bf16 a[16:19], v[186:187], v[178:179], a[32:35]
	v_mfma_f32_16x16x16_bf16 a[24:27], v[186:187], v[180:181], a[24:27]
	;; [unrolled: 1-line block ×3, first 2 shown]
	s_cbranch_vccnz .LBB57_16
; %bb.15:                               ;   in Loop: Header=BB57_6 Depth=1
	v_lshrrev_b32_e32 v146, 3, v144
	v_and_b32_e32 v146, 6, v146
	v_xor_b32_e32 v145, v146, v145
	v_lshlrev_b32_e32 v145, 2, v145
	v_and_b32_e32 v144, 8, v144
	v_xor_b32_e32 v147, 0x440, v145
	v_cmp_eq_u32_e32 vcc, 0, v144
	s_barrier
	s_nop 0
	v_cndmask_b32_e32 v144, v147, v145, vcc
	v_lshl_or_b32 v144, v146, 10, v144
	s_waitcnt vmcnt(5)
	v_perm_b32 v145, v30, v26, s66
	s_waitcnt vmcnt(4)
	v_perm_b32 v146, v22, v18, s66
	ds_write2st64_b32 v144, v145, v146 offset0:128 offset1:160
	v_xor_b32_e32 v145, 8, v144
	v_perm_b32 v26, v30, v26, s67
	v_perm_b32 v18, v22, v18, s67
	v_add_u32_e32 v22, 0x80, v145
	ds_write2st64_b32 v22, v26, v18 offset0:128 offset1:160
	v_xor_b32_e32 v18, 16, v144
	v_perm_b32 v22, v31, v27, s66
	v_perm_b32 v26, v23, v19, s66
	ds_write2st64_b32 v18, v22, v26 offset0:129 offset1:161
	v_xor_b32_e32 v18, 24, v144
	v_perm_b32 v22, v31, v27, s67
	v_perm_b32 v19, v23, v19, s67
	v_add_u32_e32 v18, 0x80, v18
	ds_write2st64_b32 v18, v22, v19 offset0:129 offset1:161
	v_xor_b32_e32 v18, 32, v144
	v_perm_b32 v19, v32, v28, s66
	;; [unrolled: 9-line block ×3, first 2 shown]
	v_perm_b32 v20, v25, v21, s66
	ds_write2st64_b32 v18, v19, v20 offset0:131 offset1:163
	v_xor_b32_e32 v18, 56, v144
	v_perm_b32 v19, v33, v29, s67
	v_perm_b32 v20, v25, v21, s67
	v_add_u32_e32 v18, 0x80, v18
	ds_write2st64_b32 v18, v19, v20 offset0:131 offset1:163
	ds_write_b64 v143, v[14:15] offset:49152
	v_xor_b32_e32 v14, 8, v143
	ds_write_b64 v14, v[16:17] offset:49152
	ds_write_b64 v143, v[10:11] offset:57344
	;; [unrolled: 1-line block ×4, first 2 shown]
	v_xor_b32_e32 v6, 8, v142
	ds_write_b64 v6, v[8:9] offset:49152
	ds_write_b64 v142, v[2:3] offset:57344
	;; [unrolled: 1-line block ×3, first 2 shown]
.LBB57_16:                              ;   in Loop: Header=BB57_6 Depth=1
	v_exp_f32_e32 v142, s46
	v_accvgpr_read_b32 v5, a3
	v_accvgpr_read_b32 v9, a7
	;; [unrolled: 1-line block ×4, first 2 shown]
	s_waitcnt vmcnt(4)
	v_accvgpr_read_b32 v18, a20
	v_accvgpr_read_b32 v25, a19
	;; [unrolled: 1-line block ×28, first 2 shown]
	s_add_i32 s65, s65, 64
	v_pk_fma_f32 v[70:71], v[70:71], v[142:143], v[2:3] op_sel_hi:[1,0,1]
	v_pk_fma_f32 v[74:75], v[74:75], v[142:143], v[4:5] op_sel_hi:[1,0,1]
	;; [unrolled: 1-line block ×15, first 2 shown]
	s_cmp_eq_u32 s56, s70
	v_pk_fma_f32 v[48:49], v[48:49], v[142:143], v[32:33] op_sel_hi:[1,0,1]
	s_cbranch_scc1 .LBB57_18
; %bb.17:                               ;   in Loop: Header=BB57_6 Depth=1
	s_mov_b32 s71, s70
	s_branch .LBB57_6
.LBB57_18:
	s_lshl_b32 s30, s56, 6
	s_sub_i32 s31, s20, s30
	s_cmp_gt_i32 s31, 0
	s_cbranch_scc0 .LBB57_99
; %bb.19:
	s_ashr_i32 s3, s30, 31
	s_cmpk_lg_i32 s23, 0x80
	s_cselect_b64 s[26:27], -1, 0
	s_and_b64 vcc, exec, s[26:27]
	s_cbranch_vccz .LBB57_21
; %bb.20:
	s_mul_i32 s1, s55, s20
	s_mul_hi_i32 s0, s55, s20
	s_add_u32 s1, s1, s30
	s_addc_u32 s0, s0, s3
	s_mul_i32 s5, s1, s57
	s_mul_hi_u32 s24, s1, s22
	s_add_i32 s5, s24, s5
	s_mul_i32 s0, s0, s22
	s_add_i32 s5, s5, s0
	s_mul_i32 s1, s1, s22
	s_ashr_i32 s0, s58, 31
	s_add_u32 s28, s1, s58
	s_addc_u32 s29, s5, s0
	s_cbranch_execz .LBB57_22
	s_branch .LBB57_23
.LBB57_21:
                                        ; implicit-def: $sgpr28_sgpr29
.LBB57_22:
	s_mul_hi_i32 s0, s55, s22
	s_mul_i32 s55, s55, s22
	s_ashr_i32 s1, s58, 31
	s_add_u32 s5, s55, s58
	s_addc_u32 s0, s0, s1
	s_mul_i32 s1, s5, s54
	s_mul_hi_u32 s22, s5, s20
	s_add_i32 s1, s22, s1
	s_mul_i32 s0, s0, s20
	s_add_i32 s1, s1, s0
	s_mul_i32 s5, s5, s20
	s_add_u32 s28, s5, s30
	s_addc_u32 s29, s1, s3
.LBB57_23:
	s_mul_i32 s0, s42, s54
	s_add_i32 s0, s61, s0
	s_add_i32 s5, s59, s56
	;; [unrolled: 1-line block ×3, first 2 shown]
	s_add_u32 s0, s4, s30
	v_lshlrev_b32_e32 v6, 6, v91
	v_lshlrev_b32_e32 v24, 2, v88
	s_addc_u32 s1, s1, s3
	s_mov_b32 s3, 0x7060302
	v_or_b32_e32 v9, v6, v24
	v_xor_b32_e32 v7, v91, v24
	v_perm_b32 v3, v75, v74, s3
	v_perm_b32 v2, v71, v70, s3
	;; [unrolled: 1-line block ×4, first 2 shown]
	v_lshlrev_b32_e32 v9, 1, v9
	v_xor_b32_e32 v8, v92, v24
	ds_write2st64_b64 v9, v[2:3], v[4:5] offset0:32 offset1:48
	v_lshlrev_b32_e32 v7, 1, v7
	v_lshlrev_b32_e32 v9, 8, v88
	v_or_b32_e32 v10, v7, v9
	v_lshlrev_b32_e32 v8, 1, v8
	ds_write_b64 v10, v[2:3]
	v_or_b32_e32 v2, v8, v9
	v_or_b32_e32 v9, 16, v88
	v_lshlrev_b32_e32 v23, 2, v9
	v_or_b32_e32 v10, v6, v23
	ds_write_b64 v2, v[4:5]
	v_perm_b32 v3, v67, v66, s3
	v_perm_b32 v2, v63, v62, s3
	;; [unrolled: 1-line block ×4, first 2 shown]
	v_lshlrev_b32_e32 v10, 1, v10
	v_lshlrev_b32_e32 v9, 8, v9
	ds_write2st64_b64 v10, v[2:3], v[4:5] offset0:32 offset1:48
	v_or_b32_e32 v10, v7, v9
	ds_write_b64 v10, v[2:3]
	v_or_b32_e32 v2, v8, v9
	v_or_b32_e32 v9, 32, v88
	v_lshlrev_b32_e32 v22, 2, v9
	v_or_b32_e32 v10, v6, v22
	ds_write_b64 v2, v[4:5]
	v_perm_b32 v3, v59, v58, s3
	v_perm_b32 v2, v55, v54, s3
	;; [unrolled: 1-line block ×4, first 2 shown]
	v_lshlrev_b32_e32 v10, 1, v10
	v_lshlrev_b32_e32 v9, 8, v9
	s_lshl_b64 s[24:25], s[0:1], 8
	ds_write2st64_b64 v10, v[2:3], v[4:5] offset0:32 offset1:48
	v_or_b32_e32 v10, v7, v9
	s_waitcnt lgkmcnt(0)
	s_add_u32 s0, s14, s24
	ds_write_b64 v10, v[2:3]
	v_or_b32_e32 v2, v8, v9
	s_addc_u32 s1, s15, s25
	ds_write_b64 v2, v[4:5]
	v_perm_b32 v3, v53, v52, s3
	v_perm_b32 v2, v47, v46, s3
	;; [unrolled: 1-line block ×4, first 2 shown]
	v_or_b32_e32 v9, 48, v88
	s_mul_hi_i32 s3, s5, s21
	s_mul_i32 s5, s5, s21
	v_lshlrev_b32_e32 v19, 2, v9
	s_add_u32 s4, s5, s52
	v_or_b32_e32 v6, v6, v19
	s_addc_u32 s5, s3, s53
	v_lshlrev_b32_e32 v6, 1, v6
	s_ashr_i32 s3, s2, 31
	s_lshl_b64 s[4:5], s[4:5], 15
	ds_write2st64_b64 v6, v[2:3], v[4:5] offset0:32 offset1:48
	v_lshlrev_b32_e32 v6, 8, v9
	s_add_u32 s4, s6, s4
	v_or_b32_e32 v7, v7, v6
	s_addc_u32 s5, s7, s5
	s_lshl_b64 s[2:3], s[2:3], 8
	ds_write_b64 v7, v[2:3]
	v_or_b32_e32 v2, v8, v6
	s_add_u32 s2, s4, s2
	v_lshlrev_b32_e32 v3, 1, v88
	ds_write_b64 v2, v[4:5]
	v_lshrrev_b32_e32 v2, 4, v0
	s_addc_u32 s3, s5, s3
	v_or_b32_e32 v4, 1, v3
	v_lshlrev_b32_e32 v10, 4, v88
	v_mov_b32_e32 v11, 0
	v_xor_b32_e32 v3, v2, v3
	v_xor_b32_e32 v6, v4, v2
	v_lshl_add_u64 v[12:13], s[2:3], 0, v[10:11]
	v_lshlrev_b32_e32 v10, 8, v2
	v_lshl_or_b32 v16, v3, 3, v10
	v_lshl_or_b32 v17, v6, 3, v10
	s_waitcnt lgkmcnt(0)
	s_barrier
	ds_read2st64_b64 v[2:5], v16 offset1:8
	ds_read2st64_b64 v[6:9], v17 offset1:8
	v_lshl_add_u64 v[14:15], v[12:13], 0, v[10:11]
	s_movk_i32 s2, 0x2000
	s_cmp_lg_u32 s31, 64
	s_waitcnt lgkmcnt(1)
	v_mov_b32_e32 v10, v2
	v_mov_b32_e32 v11, v3
	s_waitcnt lgkmcnt(0)
	v_mov_b32_e32 v12, v6
	v_mov_b32_e32 v13, v7
	global_store_dwordx4 v[14:15], v[10:13], off
	v_mov_b32_e32 v6, v4
	v_mov_b32_e32 v7, v5
	ds_read2st64_b64 v[2:5], v16 offset0:16 offset1:24
	ds_read2st64_b64 v[10:13], v17 offset0:16 offset1:24
	v_add_co_u32_e32 v16, vcc, s2, v14
	s_cselect_b64 s[14:15], -1, 0
	s_nop 0
	v_addc_co_u32_e32 v17, vcc, 0, v15, vcc
	global_store_dwordx4 v[16:17], v[6:9], off offset:-4096
	v_lshl_or_b32 v30, v1, 3, v90
	s_mov_b32 s4, 0
	s_waitcnt lgkmcnt(1)
	v_mov_b32_e32 v6, v2
	v_add_co_u32_e32 v2, vcc, 0x3000, v14
	v_mov_b32_e32 v7, v3
	s_nop 0
	v_addc_co_u32_e32 v3, vcc, 0, v15, vcc
	s_waitcnt lgkmcnt(0)
	v_mov_b32_e32 v8, v10
	v_mov_b32_e32 v9, v11
	;; [unrolled: 1-line block ×4, first 2 shown]
	v_or_b32_e32 v20, 32, v30
	v_and_b32_e32 v18, 56, v89
	s_and_b64 vcc, exec, s[14:15]
	global_store_dwordx4 v[16:17], v[6:9], off
	global_store_dwordx4 v[2:3], v[10:13], off
	s_cbranch_vccz .LBB57_29
; %bb.24:
	s_mov_b32 s6, s4
	s_mov_b32 s7, s4
	;; [unrolled: 1-line block ×3, first 2 shown]
	v_mov_b64_e32 v[8:9], s[6:7]
	v_mov_b64_e32 v[6:7], s[4:5]
	;; [unrolled: 1-line block ×3, first 2 shown]
	v_cmp_gt_i32_e32 vcc, s31, v30
	v_mov_b64_e32 v[4:5], v[8:9]
	s_and_saveexec_b64 s[2:3], vcc
	s_cbranch_execz .LBB57_26
; %bb.25:
	v_lshlrev_b32_e32 v2, 8, v30
	v_mov_b32_e32 v3, 0
	v_lshl_add_u64 v[4:5], s[0:1], 0, v[2:3]
	v_lshlrev_b32_e32 v2, 1, v18
	v_lshl_add_u64 v[10:11], v[4:5], 0, v[2:3]
	global_load_dwordx4 v[6:9], v[10:11], off
	global_load_dwordx4 v[2:5], v[10:11], off offset:128
.LBB57_26:
	s_or_b64 exec, exec, s[2:3]
	s_mov_b32 s6, s4
	s_mov_b32 s7, s4
	;; [unrolled: 1-line block ×3, first 2 shown]
	v_mov_b64_e32 v[16:17], s[6:7]
	v_mov_b64_e32 v[14:15], s[4:5]
	;; [unrolled: 1-line block ×3, first 2 shown]
	v_cmp_gt_i32_e32 vcc, s31, v20
	v_lshlrev_b32_e32 v21, 7, v20
	v_mov_b64_e32 v[12:13], v[16:17]
	s_and_saveexec_b64 s[2:3], vcc
	s_cbranch_execz .LBB57_28
; %bb.27:
	v_lshlrev_b32_e32 v10, 1, v21
	v_mov_b32_e32 v11, 0
	v_lshl_add_u64 v[12:13], s[0:1], 0, v[10:11]
	v_lshlrev_b32_e32 v10, 1, v18
	v_lshl_add_u64 v[26:27], v[12:13], 0, v[10:11]
	global_load_dwordx4 v[14:17], v[26:27], off
	global_load_dwordx4 v[10:13], v[26:27], off offset:128
.LBB57_28:
	s_or_b64 exec, exec, s[2:3]
	v_lshrrev_b32_e32 v25, 3, v18
	v_lshlrev_b32_e32 v26, 3, v30
	v_or_b32_e32 v25, v26, v25
	v_lshlrev_b32_e32 v25, 4, v25
	v_and_b32_e32 v26, 0x78, v26
	v_xor_b32_e32 v25, v25, v26
	s_branch .LBB57_31
.LBB57_29:
                                        ; implicit-def: $vgpr25
                                        ; implicit-def: $vgpr21
                                        ; implicit-def: $vgpr6_vgpr7_vgpr8_vgpr9
                                        ; implicit-def: $vgpr2_vgpr3_vgpr4_vgpr5
                                        ; implicit-def: $vgpr14_vgpr15_vgpr16_vgpr17
                                        ; implicit-def: $vgpr10_vgpr11_vgpr12_vgpr13
	s_cbranch_execz .LBB57_31
; %bb.30:
	s_waitcnt vmcnt(0)
	v_lshlrev_b32_e32 v2, 1, v18
	v_lshl_or_b32 v21, v30, 8, v2
	s_and_b32 s1, s1, 0xffff
	s_mov_b32 s3, 0x20000
	s_movk_i32 s2, 0x4000
	v_lshl_or_b32 v25, v20, 8, v2
	s_movk_i32 s4, 0x80
	buffer_load_dwordx4 v[6:9], v21, s[0:3], 0 offen
	buffer_load_dwordx4 v[2:5], v21, s[0:3], s4 offen
	;; [unrolled: 1-line block ×4, first 2 shown]
	v_lshrrev_b32_e32 v21, 3, v18
	v_lshlrev_b32_e32 v25, 3, v30
	v_or_b32_e32 v21, v25, v21
	v_lshlrev_b32_e32 v21, 4, v21
	v_and_b32_e32 v25, 0x78, v25
	v_xor_b32_e32 v25, v21, v25
	v_lshlrev_b32_e32 v21, 7, v20
.LBB57_31:
	s_movk_i32 s0, 0x1000
	v_and_or_b32 v20, v21, s0, v25
	s_waitcnt vmcnt(1)
	ds_write_b64 v25, v[6:7] offset:49152
	v_xor_b32_e32 v6, 8, v25
	ds_write_b64 v6, v[8:9] offset:49152
	s_waitcnt vmcnt(0)
	ds_write_b64 v25, v[2:3] offset:57344
	ds_write_b64 v6, v[4:5] offset:57344
	;; [unrolled: 1-line block ×3, first 2 shown]
	v_xor_b32_e32 v2, 8, v20
	ds_write_b64 v2, v[16:17] offset:49152
	ds_write_b64 v20, v[10:11] offset:57344
	;; [unrolled: 1-line block ×3, first 2 shown]
	v_or_b32_e32 v2, v86, v88
	v_lshlrev_b32_e32 v2, 3, v2
	v_lshrrev_b32_e32 v3, 5, v35
	s_movk_i32 s0, 0xf8
	v_and_or_b32 v3, v2, s0, v3
	v_lshlrev_b32_e32 v7, 4, v3
	v_lshlrev_b32_e32 v25, 11, v1
	v_and_b32_e32 v8, 0x78, v2
	v_or_b32_e32 v10, 32, v7
	v_and_b32_e32 v6, 0x1000, v25
	v_lshrrev_b32_e32 v3, 1, v35
	v_xor_b32_e32 v10, v10, v8
	v_xor_b32_e32 v2, v7, v8
	v_and_b32_e32 v9, 8, v3
	v_or_b32_e32 v10, v10, v6
	v_or_b32_e32 v2, v2, v6
	v_xor_b32_e32 v32, v10, v9
	v_or_b32_e32 v10, 64, v7
	v_xor_b32_e32 v31, v2, v9
	v_xor_b32_e32 v10, v10, v8
	s_waitcnt lgkmcnt(0)
	s_barrier
	v_or_b32_e32 v13, v10, v6
	ds_read_b64 v[10:11], v31 offset:49152
	v_lshl_or_b32 v14, v87, 8, v24
	v_lshlrev_b32_e32 v26, 1, v14
	v_add_u32_e32 v12, 0x4000, v26
	ds_read2_b64 v[2:5], v12 offset1:16
	v_or_b32_e32 v7, 0x60, v7
	v_xor_b32_e32 v7, v7, v8
	v_or_b32_e32 v6, v7, v6
	v_xor_b32_e32 v33, v13, v9
	v_xor_b32_e32 v77, v6, v9
	ds_read_b64 v[20:21], v32 offset:49152
	ds_read_b64 v[78:79], v33 offset:49152
	;; [unrolled: 1-line block ×3, first 2 shown]
	s_waitcnt lgkmcnt(3)
	v_mfma_f32_16x16x16_bf16 a[0:3], v[10:11], v[2:3], 0
	ds_read2st64_b64 v[6:9], v26 offset0:36 offset1:40
	s_lshl_b64 s[0:1], s[28:29], 8
	s_add_u32 s4, s12, s0
	v_mfma_f32_16x16x16_bf16 a[4:7], v[10:11], v[4:5], 0
	ds_read2_b64 v[2:5], v12 offset0:32 offset1:48
	s_addc_u32 s5, s13, s1
	s_add_i32 s1, s48, s33
	s_waitcnt lgkmcnt(0)
	v_mfma_f32_16x16x16_bf16 a[8:11], v[10:11], v[2:3], 0
	v_or_b32_e32 v2, 64, v14
	v_lshlrev_b32_e32 v27, 1, v2
	s_add_i32 s0, s20, -1
	v_mfma_f32_16x16x16_bf16 a[12:15], v[10:11], v[4:5], 0
	ds_read2st64_b64 v[2:5], v27 offset0:36 offset1:40
	s_add_i32 s41, s1, s43
	s_add_i32 s1, s50, s49
	v_mfma_f32_16x16x16_bf16 a[0:3], v[20:21], v[6:7], a[0:3]
	v_or_b32_e32 v6, 0x80, v14
	v_lshlrev_b32_e32 v28, 1, v6
	ds_read2st64_b64 v[10:13], v28 offset0:36 offset1:40
	s_waitcnt lgkmcnt(1)
	v_mfma_f32_16x16x16_bf16 a[4:7], v[20:21], v[2:3], a[4:7]
	v_or_b32_e32 v2, 0xc0, v14
	v_lshlrev_b32_e32 v29, 1, v2
	ds_read2st64_b64 v[14:17], v29 offset0:36 offset1:40
	s_add_i32 s39, s1, s51
	s_ashr_i32 s1, s0, 31
	s_mul_i32 s2, s0, s37
	s_mul_hi_u32 s3, s0, s36
	s_add_i32 s2, s3, s2
	s_mul_i32 s1, s1, s36
	s_waitcnt lgkmcnt(1)
	v_mfma_f32_16x16x16_bf16 a[8:11], v[20:21], v[10:11], a[8:11]
	s_add_i32 s1, s2, s1
	s_lshl_b64 s[2:3], s[40:41], 2
	s_add_u32 s6, s18, s2
	s_waitcnt lgkmcnt(0)
	v_mfma_f32_16x16x16_bf16 a[12:15], v[20:21], v[14:15], a[12:15]
	s_addc_u32 s7, s19, s3
	s_lshl_b64 s[2:3], s[38:39], 2
	s_mul_i32 s0, s0, s36
	v_mfma_f32_16x16x16_bf16 a[0:3], v[78:79], v[8:9], a[0:3]
	ds_read_b64 v[2:3], v26 offset:22528
	s_add_u32 s12, s6, s2
	s_addc_u32 s13, s7, s3
	v_mfma_f32_16x16x16_bf16 a[4:7], v[78:79], v[4:5], a[4:7]
	ds_read_b64 v[4:5], v27 offset:22528
	ds_read_b64 v[6:7], v28 offset:22528
	;; [unrolled: 1-line block ×3, first 2 shown]
	s_lshl_b64 s[0:1], s[0:1], 2
	s_add_u32 s0, s12, s0
	v_mfma_f32_16x16x16_bf16 a[8:11], v[78:79], v[12:13], a[8:11]
	s_addc_u32 s1, s13, s1
	s_load_dword s18, s[0:1], 0x0
	s_and_b64 vcc, exec, s[26:27]
	v_mfma_f32_16x16x16_bf16 a[12:15], v[78:79], v[16:17], a[12:15]
	s_waitcnt lgkmcnt(0)
	v_mfma_f32_16x16x16_bf16 a[0:3], v[80:81], v[2:3], a[0:3]
	v_mfma_f32_16x16x16_bf16 a[4:7], v[80:81], v[4:5], a[4:7]
	;; [unrolled: 1-line block ×4, first 2 shown]
	s_cbranch_vccz .LBB57_42
; %bb.32:
	v_lshlrev_b32_e32 v20, 1, v30
	s_and_b64 vcc, exec, s[14:15]
	s_cbranch_vccz .LBB57_43
; %bb.33:
	v_cmp_gt_i32_e32 vcc, s31, v20
	v_mov_b32_e32 v6, 0
	v_mov_b32_e32 v2, 0
	;; [unrolled: 1-line block ×5, first 2 shown]
	s_and_saveexec_b64 s[0:1], vcc
	s_cbranch_execz .LBB57_35
; %bb.34:
	v_mad_i64_i32 v[2:3], s[2:3], s23, v20, 0
	v_lshl_add_u64 v[2:3], v[2:3], 1, s[4:5]
	v_lshlrev_b32_e32 v4, 1, v18
	v_mov_b32_e32 v5, 0
	v_lshl_add_u64 v[2:3], v[2:3], 0, v[4:5]
	global_load_dwordx4 v[2:5], v[2:3], off
.LBB57_35:
	s_or_b64 exec, exec, s[0:1]
	v_or_b32_e32 v21, 1, v20
	v_cmp_gt_i32_e64 s[0:1], s31, v21
	v_mov_b32_e32 v7, 0
	v_mov_b32_e32 v8, 0
	;; [unrolled: 1-line block ×3, first 2 shown]
	s_and_saveexec_b64 s[2:3], s[0:1]
	s_cbranch_execz .LBB57_37
; %bb.36:
	v_mad_i64_i32 v[6:7], s[6:7], s23, v21, 0
	v_lshl_add_u64 v[6:7], v[6:7], 1, s[4:5]
	v_lshlrev_b32_e32 v8, 1, v18
	v_mov_b32_e32 v9, 0
	v_lshl_add_u64 v[6:7], v[6:7], 0, v[8:9]
	global_load_dwordx4 v[6:9], v[6:7], off
.LBB57_37:
	s_or_b64 exec, exec, s[2:3]
	v_mov_b32_e32 v17, 0
	v_mov_b32_e32 v10, 0
	;; [unrolled: 1-line block ×5, first 2 shown]
	s_and_saveexec_b64 s[2:3], vcc
	s_cbranch_execz .LBB57_39
; %bb.38:
	v_mad_i64_i32 v[10:11], s[6:7], s23, v20, 0
	v_lshl_add_u64 v[10:11], v[10:11], 1, s[4:5]
	v_lshlrev_b32_e32 v12, 1, v18
	v_mov_b32_e32 v13, 0
	v_lshl_add_u64 v[10:11], v[10:11], 0, v[12:13]
	global_load_dwordx4 v[10:13], v[10:11], off offset:128
.LBB57_39:
	s_or_b64 exec, exec, s[2:3]
	v_mov_b32_e32 v16, 0
	v_mov_b32_e32 v15, 0
	;; [unrolled: 1-line block ×3, first 2 shown]
	s_and_saveexec_b64 s[2:3], s[0:1]
	s_cbranch_execz .LBB57_41
; %bb.40:
	v_mad_i64_i32 v[14:15], s[0:1], s23, v21, 0
	v_lshl_add_u64 v[14:15], v[14:15], 1, s[4:5]
	v_lshlrev_b32_e32 v16, 1, v18
	v_mov_b32_e32 v17, 0
	v_lshl_add_u64 v[14:15], v[14:15], 0, v[16:17]
	global_load_dwordx4 v[14:17], v[14:15], off offset:128
.LBB57_41:
	s_or_b64 exec, exec, s[2:3]
	s_branch .LBB57_45
.LBB57_42:
                                        ; implicit-def: $vgpr5
                                        ; implicit-def: $vgpr9
                                        ; implicit-def: $vgpr13
                                        ; implicit-def: $vgpr17
	v_lshrrev_b32_e32 v35, 2, v35
	s_branch .LBB57_46
.LBB57_43:
                                        ; implicit-def: $vgpr5
                                        ; implicit-def: $vgpr9
                                        ; implicit-def: $vgpr13
                                        ; implicit-def: $vgpr17
	s_cbranch_execz .LBB57_45
; %bb.44:
	s_waitcnt vmcnt(0)
	v_mad_u64_u32 v[2:3], s[0:1], v20, s23, v[18:19]
	v_lshlrev_b32_e32 v20, 1, v2
	s_lshl_b32 s2, s23, 7
	s_and_b32 s1, s5, 0xffff
	s_mov_b32 s3, 0x20000
	s_mov_b32 s0, s4
	v_add_lshl_u32 v21, v2, s23, 1
	s_movk_i32 s6, 0x80
	buffer_load_dwordx4 v[2:5], v20, s[0:3], 0 offen
	buffer_load_dwordx4 v[10:13], v20, s[0:3], s6 offen
	buffer_load_dwordx4 v[6:9], v21, s[0:3], 0 offen
	buffer_load_dwordx4 v[14:17], v21, s[0:3], s6 offen
.LBB57_45:
	v_lshrrev_b32_e32 v35, 2, v35
	s_cbranch_execnz .LBB57_58
.LBB57_46:
	s_and_b64 vcc, exec, s[14:15]
	s_cbranch_vccz .LBB57_56
; %bb.47:
	s_waitcnt vmcnt(0)
	v_lshlrev_b32_e32 v7, 1, v30
	v_cmp_gt_i32_e32 vcc, s31, v7
	v_mov_b32_e32 v6, 0
	v_lshlrev_b32_e32 v14, 9, v30
	v_mov_b32_e32 v2, 0
	v_mov_b32_e32 v3, 0
	;; [unrolled: 1-line block ×4, first 2 shown]
	s_and_saveexec_b64 s[0:1], vcc
	s_cbranch_execz .LBB57_49
; %bb.48:
	v_mov_b32_e32 v15, 0
	v_lshl_add_u64 v[2:3], s[4:5], 0, v[14:15]
	v_lshlrev_b32_e32 v4, 1, v18
	v_mov_b32_e32 v5, v15
	v_lshl_add_u64 v[2:3], v[2:3], 0, v[4:5]
	global_load_dwordx4 v[2:5], v[2:3], off
.LBB57_49:
	s_or_b64 exec, exec, s[0:1]
	v_or_b32_e32 v7, 1, v7
	v_cmp_gt_i32_e64 s[0:1], s31, v7
	v_lshlrev_b32_e32 v20, 8, v7
	v_mov_b32_e32 v7, 0
	v_mov_b32_e32 v8, 0
	;; [unrolled: 1-line block ×3, first 2 shown]
	s_and_saveexec_b64 s[2:3], s[0:1]
	s_cbranch_execz .LBB57_51
; %bb.50:
	v_mov_b32_e32 v21, 0
	v_lshl_add_u64 v[6:7], s[4:5], 0, v[20:21]
	v_lshlrev_b32_e32 v8, 1, v18
	v_mov_b32_e32 v9, v21
	v_lshl_add_u64 v[6:7], v[6:7], 0, v[8:9]
	global_load_dwordx4 v[6:9], v[6:7], off
.LBB57_51:
	s_or_b64 exec, exec, s[2:3]
	v_mov_b32_e32 v17, 0
	v_mov_b32_e32 v10, 0
	v_mov_b32_e32 v11, 0
	v_mov_b32_e32 v12, 0
	v_mov_b32_e32 v13, 0
	s_and_saveexec_b64 s[2:3], vcc
	s_cbranch_execz .LBB57_53
; %bb.52:
	v_mov_b32_e32 v15, 0
	v_lshl_add_u64 v[10:11], s[4:5], 0, v[14:15]
	v_lshlrev_b32_e32 v14, 1, v18
	v_lshl_add_u64 v[10:11], v[10:11], 0, v[14:15]
	global_load_dwordx4 v[10:13], v[10:11], off offset:128
.LBB57_53:
	s_or_b64 exec, exec, s[2:3]
	v_mov_b32_e32 v16, 0
	v_mov_b32_e32 v15, 0
	;; [unrolled: 1-line block ×3, first 2 shown]
	s_and_saveexec_b64 s[2:3], s[0:1]
	s_cbranch_execz .LBB57_55
; %bb.54:
	v_mov_b32_e32 v21, 0
	v_lshl_add_u64 v[14:15], s[4:5], 0, v[20:21]
	v_lshlrev_b32_e32 v20, 1, v18
	v_lshl_add_u64 v[14:15], v[14:15], 0, v[20:21]
	global_load_dwordx4 v[14:17], v[14:15], off offset:128
.LBB57_55:
	s_or_b64 exec, exec, s[2:3]
	s_branch .LBB57_58
.LBB57_56:
                                        ; implicit-def: $vgpr5
                                        ; implicit-def: $vgpr9
                                        ; implicit-def: $vgpr13
                                        ; implicit-def: $vgpr17
	s_cbranch_execz .LBB57_58
; %bb.57:
	s_waitcnt vmcnt(0)
	v_lshlrev_b32_e32 v2, 1, v18
	v_lshl_or_b32 v18, v30, 9, v2
	s_and_b32 s5, s5, 0xffff
	s_mov_b32 s7, 0x20000
	s_movk_i32 s6, 0x4000
	s_movk_i32 s0, 0x80
	buffer_load_dwordx4 v[2:5], v18, s[4:7], 0 offen
	buffer_load_dwordx4 v[6:9], v18, s[4:7], 0 offen offset:256
	buffer_load_dwordx4 v[10:13], v18, s[4:7], s0 offen
	buffer_load_dwordx4 v[14:17], v18, s[4:7], s0 offen offset:256
.LBB57_58:
	ds_read_b64 v[20:21], v31 offset:57344
	v_add_u32_e32 v18, 0x6000, v26
	ds_read2_b64 v[78:81], v18 offset1:16
	ds_read_b64 v[96:97], v32 offset:57344
	ds_read_b64 v[32:33], v33 offset:57344
	;; [unrolled: 1-line block ×3, first 2 shown]
	ds_read2st64_b64 v[82:85], v26 offset0:52 offset1:56
	v_and_b32_e32 v31, 1, v0
	v_cmp_eq_u32_e32 vcc, 0, v31
	s_mov_b32 s0, 0x1000504
	s_waitcnt vmcnt(0)
	v_perm_b32 v31, v10, v14, s0
	s_mov_b32 s1, 0x3020706
	s_waitcnt lgkmcnt(4)
	v_mfma_f32_16x16x16_bf16 a[0:3], v[20:21], v[78:79], a[0:3]
	v_mfma_f32_16x16x16_bf16 a[4:7], v[20:21], v[80:81], a[4:7]
	ds_read2_b64 v[78:81], v18 offset0:32 offset1:48
	v_and_b32_e32 v18, 6, v0
	v_xor_b32_e32 v30, v30, v18
	s_waitcnt lgkmcnt(0)
	v_mfma_f32_16x16x16_bf16 a[8:11], v[20:21], v[78:79], a[8:11]
	v_lshlrev_b32_e32 v30, 2, v30
	v_xor_b32_e32 v77, 0x440, v30
	v_cndmask_b32_e32 v30, v77, v30, vcc
	v_mfma_f32_16x16x16_bf16 a[12:15], v[20:21], v[80:81], a[12:15]
	ds_read2st64_b64 v[78:81], v27 offset0:52 offset1:56
	ds_read2st64_b64 v[88:91], v28 offset0:52 offset1:56
	;; [unrolled: 1-line block ×3, first 2 shown]
	v_lshl_or_b32 v18, v18, 10, v30
	v_perm_b32 v30, v2, v6, s0
	v_mfma_f32_16x16x16_bf16 a[0:3], v[96:97], v[82:83], a[0:3]
	ds_read_b64 v[20:21], v26 offset:30720
	ds_read_b64 v[82:83], v27 offset:30720
	;; [unrolled: 1-line block ×4, first 2 shown]
	ds_write2st64_b32 v18, v30, v31 offset0:128 offset1:160
	v_xor_b32_e32 v30, 8, v18
	s_waitcnt lgkmcnt(7)
	v_mfma_f32_16x16x16_bf16 a[4:7], v[96:97], v[78:79], a[4:7]
	v_perm_b32 v2, v2, v6, s1
	v_perm_b32 v6, v10, v14, s1
	v_add_u32_e32 v10, 0x80, v30
	s_waitcnt lgkmcnt(6)
	v_mfma_f32_16x16x16_bf16 a[8:11], v[96:97], v[88:89], a[8:11]
	ds_write2st64_b32 v10, v2, v6 offset0:128 offset1:160
	v_xor_b32_e32 v2, 16, v18
	v_perm_b32 v6, v3, v7, s0
	s_waitcnt lgkmcnt(6)
	v_mfma_f32_16x16x16_bf16 a[12:15], v[96:97], v[92:93], a[12:15]
	v_perm_b32 v10, v11, v15, s0
	ds_write2st64_b32 v2, v6, v10 offset0:129 offset1:161
	v_xor_b32_e32 v2, 24, v18
	v_mfma_f32_16x16x16_bf16 a[0:3], v[32:33], v[84:85], a[0:3]
	v_perm_b32 v3, v3, v7, s1
	v_perm_b32 v6, v11, v15, s1
	v_add_u32_e32 v2, 0x80, v2
	v_mfma_f32_16x16x16_bf16 a[4:7], v[32:33], v[80:81], a[4:7]
	ds_write2st64_b32 v2, v3, v6 offset0:129 offset1:161
	v_xor_b32_e32 v2, 32, v18
	v_perm_b32 v3, v4, v8, s0
	v_mfma_f32_16x16x16_bf16 a[16:19], v[32:33], v[90:91], a[8:11]
	v_perm_b32 v6, v12, v16, s0
	ds_write2st64_b32 v2, v3, v6 offset0:130 offset1:162
	v_xor_b32_e32 v2, 40, v18
	v_mfma_f32_16x16x16_bf16 a[20:23], v[32:33], v[94:95], a[12:15]
	v_perm_b32 v3, v4, v8, s1
	v_perm_b32 v4, v12, v16, s1
	v_add_u32_e32 v2, 0x80, v2
	s_waitcnt lgkmcnt(8)
	v_mfma_f32_16x16x16_bf16 a[12:15], v[98:99], v[20:21], a[0:3]
	ds_write2st64_b32 v2, v3, v4 offset0:130 offset1:162
	v_xor_b32_e32 v2, 48, v18
	v_perm_b32 v3, v5, v9, s0
	s_waitcnt lgkmcnt(8)
	v_mfma_f32_16x16x16_bf16 a[8:11], v[98:99], v[82:83], a[4:7]
	v_perm_b32 v4, v13, v17, s0
	ds_write2st64_b32 v2, v3, v4 offset0:131 offset1:163
	v_xor_b32_e32 v2, 56, v18
	s_waitcnt lgkmcnt(8)
	v_mfma_f32_16x16x16_bf16 a[4:7], v[98:99], v[100:101], a[16:19]
	v_and_or_b32 v31, v35, 12, v86
	v_perm_b32 v3, v5, v9, s1
	v_perm_b32 v4, v13, v17, s1
	s_waitcnt lgkmcnt(7)
	v_mfma_f32_16x16x16_bf16 a[0:3], v[98:99], v[102:103], a[20:23]
	v_add_u32_e32 v2, 0x80, v2
	v_cmp_gt_i32_e64 s[0:1], s31, v31
	v_mov_b32_e32 v20, 0
	v_mov_b32_e32 v21, 0
	ds_write2st64_b32 v2, v3, v4 offset0:131 offset1:163
	s_and_saveexec_b64 s[2:3], s[0:1]
	s_cbranch_execz .LBB57_60
; %bb.59:
	v_add_u32_e32 v2, s30, v31
	v_ashrrev_i32_e32 v3, 31, v2
	v_mul_lo_u32 v4, v3, s36
	v_mul_lo_u32 v5, v2, s37
	v_mad_u64_u32 v[2:3], s[4:5], v2, s36, 0
	v_add3_u32 v3, v3, v5, v4
	v_lshl_add_u64 v[2:3], v[2:3], 2, s[12:13]
	global_load_dword v2, v[2:3], off
	s_waitcnt vmcnt(0)
	v_sub_f32_e32 v2, s18, v2
	v_exp_f32_e32 v21, v2
.LBB57_60:
	s_or_b64 exec, exec, s[2:3]
	v_or_b32_e32 v14, 1, v31
	v_cmp_gt_i32_e64 s[4:5], s31, v14
	s_and_saveexec_b64 s[2:3], s[4:5]
	s_cbranch_execz .LBB57_62
; %bb.61:
	v_add_u32_e32 v2, s30, v14
	v_ashrrev_i32_e32 v3, 31, v2
	v_mul_lo_u32 v4, v3, s36
	v_mul_lo_u32 v5, v2, s37
	v_mad_u64_u32 v[2:3], s[6:7], v2, s36, 0
	v_add3_u32 v3, v3, v5, v4
	v_lshl_add_u64 v[2:3], v[2:3], 2, s[12:13]
	global_load_dword v2, v[2:3], off
	s_waitcnt vmcnt(0)
	v_sub_f32_e32 v2, s18, v2
	v_exp_f32_e32 v20, v2
.LBB57_62:
	s_or_b64 exec, exec, s[2:3]
	v_or_b32_e32 v10, 2, v31
	v_cmp_gt_i32_e64 s[2:3], s31, v10
	v_mov_b32_e32 v18, 0
	v_mov_b32_e32 v30, 0
	s_and_saveexec_b64 s[6:7], s[2:3]
	s_cbranch_execz .LBB57_64
; %bb.63:
	v_add_u32_e32 v2, s30, v10
	v_ashrrev_i32_e32 v3, 31, v2
	v_mul_lo_u32 v4, v3, s36
	v_mul_lo_u32 v5, v2, s37
	v_mad_u64_u32 v[2:3], s[14:15], v2, s36, 0
	v_add3_u32 v3, v3, v5, v4
	v_lshl_add_u64 v[2:3], v[2:3], 2, s[12:13]
	global_load_dword v2, v[2:3], off
	s_waitcnt vmcnt(0)
	v_sub_f32_e32 v2, s18, v2
	v_exp_f32_e32 v30, v2
.LBB57_64:
	s_or_b64 exec, exec, s[6:7]
	v_or_b32_e32 v11, 3, v31
	v_cmp_gt_i32_e32 vcc, s31, v11
	s_and_saveexec_b64 s[6:7], vcc
	s_cbranch_execz .LBB57_66
; %bb.65:
	v_add_u32_e32 v2, s30, v11
	v_ashrrev_i32_e32 v3, 31, v2
	v_mul_lo_u32 v4, v3, s36
	v_mul_lo_u32 v5, v2, s37
	v_mad_u64_u32 v[2:3], s[14:15], v2, s36, 0
	v_add3_u32 v3, v3, v5, v4
	v_lshl_add_u64 v[2:3], v[2:3], 2, s[12:13]
	global_load_dword v2, v[2:3], off
	s_waitcnt vmcnt(0)
	v_sub_f32_e32 v2, s18, v2
	v_exp_f32_e32 v18, v2
.LBB57_66:
	s_or_b64 exec, exec, s[6:7]
	s_add_u32 s6, s16, s24
	s_addc_u32 s7, s17, s25
	s_add_u32 s8, s8, s24
	v_ashrrev_i32_e32 v77, 31, v76
	v_accvgpr_read_b32 v2, a12
	s_addc_u32 s9, s9, s25
	v_lshlrev_b64 v[6:7], 1, v[76:77]
	v_accvgpr_read_b32 v3, a13
	v_accvgpr_read_b32 v4, a14
	;; [unrolled: 1-line block ×3, first 2 shown]
	v_lshl_add_u64 v[8:9], s[6:7], 0, v[6:7]
	v_lshl_add_u64 v[6:7], s[8:9], 0, v[6:7]
	v_mov_b32_e32 v15, 0
	v_lshlrev_b32_e32 v12, 8, v31
	v_mov_b32_e32 v13, 0
	s_and_saveexec_b64 s[6:7], s[0:1]
	s_cbranch_execz .LBB57_68
; %bb.67:
	v_mov_b32_e32 v13, 0
	v_lshl_add_u64 v[16:17], v[8:9], 0, v[12:13]
	global_load_ushort v32, v[16:17], off
	v_lshl_add_u64 v[16:17], v[6:7], 0, v[12:13]
	s_waitcnt vmcnt(0)
	v_lshlrev_b32_e32 v13, 16, v32
	v_sub_f32_e32 v2, v13, v2
	global_store_short_d16_hi v[16:17], v2, off
	v_mul_f32_e32 v2, v21, v2
	v_lshrrev_b32_e32 v13, 16, v2
.LBB57_68:
	s_or_b64 exec, exec, s[6:7]
	v_lshlrev_b32_e32 v14, 8, v14
	s_and_saveexec_b64 s[6:7], s[4:5]
	s_cbranch_execz .LBB57_70
; %bb.69:
	v_mov_b32_e32 v15, 0
	v_lshl_add_u64 v[16:17], v[8:9], 0, v[14:15]
	global_load_ushort v2, v[16:17], off
	v_lshl_add_u64 v[16:17], v[6:7], 0, v[14:15]
	s_waitcnt vmcnt(0)
	v_lshlrev_b32_e32 v2, 16, v2
	v_sub_f32_e32 v2, v2, v3
	global_store_short_d16_hi v[16:17], v2, off
	v_mul_f32_e32 v2, v20, v2
	v_lshrrev_b32_e32 v15, 16, v2
.LBB57_70:
	s_or_b64 exec, exec, s[6:7]
	v_mov_b32_e32 v32, 0
	v_lshlrev_b32_e32 v16, 8, v10
	v_mov_b32_e32 v17, 0
	s_and_saveexec_b64 s[6:7], s[2:3]
	s_cbranch_execz .LBB57_72
; %bb.71:
	v_mov_b32_e32 v17, 0
	v_lshl_add_u64 v[2:3], v[8:9], 0, v[16:17]
	global_load_ushort v10, v[2:3], off
	v_lshl_add_u64 v[2:3], v[6:7], 0, v[16:17]
	s_waitcnt vmcnt(0)
	v_lshlrev_b32_e32 v10, 16, v10
	v_sub_f32_e32 v4, v10, v4
	global_store_short_d16_hi v[2:3], v4, off
	v_mul_f32_e32 v2, v30, v4
	v_lshrrev_b32_e32 v17, 16, v2
.LBB57_72:
	s_or_b64 exec, exec, s[6:7]
	v_lshlrev_b32_e32 v10, 8, v11
	s_and_saveexec_b64 s[6:7], vcc
	s_cbranch_execz .LBB57_74
; %bb.73:
	v_mov_b32_e32 v11, 0
	v_lshl_add_u64 v[2:3], v[8:9], 0, v[10:11]
	global_load_ushort v4, v[2:3], off
	v_lshl_add_u64 v[2:3], v[6:7], 0, v[10:11]
	s_waitcnt vmcnt(0)
	v_lshlrev_b32_e32 v4, 16, v4
	v_sub_f32_e32 v4, v4, v5
	global_store_short_d16_hi v[2:3], v4, off
	v_mul_f32_e32 v2, v18, v4
	v_lshrrev_b32_e32 v32, 16, v2
.LBB57_74:
	s_or_b64 exec, exec, s[6:7]
	v_lshlrev_b32_e32 v31, 6, v31
	v_accvgpr_read_b32 v2, a8
	s_mov_b32 s6, 0x5040100
	v_or_b32_e32 v11, v31, v24
	v_accvgpr_read_b32 v3, a9
	v_accvgpr_read_b32 v4, a10
	;; [unrolled: 1-line block ×3, first 2 shown]
	v_perm_b32 v33, v32, v17, s6
	v_perm_b32 v32, v15, v13, s6
	v_lshlrev_b32_e32 v11, 1, v11
	v_mov_b32_e32 v15, 0
	v_mov_b32_e32 v13, 0
	ds_write_b64 v11, v[32:33] offset:24576
	s_and_saveexec_b64 s[6:7], s[0:1]
	s_cbranch_execz .LBB57_76
; %bb.75:
	v_mov_b32_e32 v13, 0
	v_lshl_add_u64 v[32:33], v[8:9], 0, v[12:13]
	global_load_ushort v11, v[32:33], off offset:32
	v_lshl_add_u64 v[32:33], v[6:7], 0, v[12:13]
	s_waitcnt vmcnt(0)
	v_lshlrev_b32_e32 v11, 16, v11
	v_sub_f32_e32 v2, v11, v2
	global_store_short_d16_hi v[32:33], v2, off offset:32
	v_mul_f32_e32 v2, v21, v2
	v_lshrrev_b32_e32 v13, 16, v2
.LBB57_76:
	s_or_b64 exec, exec, s[6:7]
	s_and_saveexec_b64 s[6:7], s[4:5]
	s_cbranch_execz .LBB57_78
; %bb.77:
	v_mov_b32_e32 v15, 0
	v_lshl_add_u64 v[32:33], v[8:9], 0, v[14:15]
	global_load_ushort v2, v[32:33], off offset:32
	v_lshl_add_u64 v[32:33], v[6:7], 0, v[14:15]
	s_waitcnt vmcnt(0)
	v_lshlrev_b32_e32 v2, 16, v2
	v_sub_f32_e32 v2, v2, v3
	global_store_short_d16_hi v[32:33], v2, off offset:32
	v_mul_f32_e32 v2, v20, v2
	v_lshrrev_b32_e32 v15, 16, v2
.LBB57_78:
	s_or_b64 exec, exec, s[6:7]
	v_mov_b32_e32 v11, 0
	v_mov_b32_e32 v17, 0
	s_and_saveexec_b64 s[6:7], s[2:3]
	s_cbranch_execz .LBB57_80
; %bb.79:
	v_mov_b32_e32 v17, 0
	v_lshl_add_u64 v[2:3], v[8:9], 0, v[16:17]
	global_load_ushort v24, v[2:3], off offset:32
	v_lshl_add_u64 v[2:3], v[6:7], 0, v[16:17]
	s_waitcnt vmcnt(0)
	v_lshlrev_b32_e32 v17, 16, v24
	v_sub_f32_e32 v4, v17, v4
	global_store_short_d16_hi v[2:3], v4, off offset:32
	v_mul_f32_e32 v2, v30, v4
	v_lshrrev_b32_e32 v17, 16, v2
.LBB57_80:
	s_or_b64 exec, exec, s[6:7]
	s_and_saveexec_b64 s[6:7], vcc
	s_cbranch_execz .LBB57_82
; %bb.81:
	v_mov_b32_e32 v11, 0
	v_lshl_add_u64 v[2:3], v[8:9], 0, v[10:11]
	global_load_ushort v4, v[2:3], off offset:32
	v_lshl_add_u64 v[2:3], v[6:7], 0, v[10:11]
	s_waitcnt vmcnt(0)
	v_lshlrev_b32_e32 v4, 16, v4
	v_sub_f32_e32 v4, v4, v5
	global_store_short_d16_hi v[2:3], v4, off offset:32
	v_mul_f32_e32 v2, v18, v4
	v_lshrrev_b32_e32 v11, 16, v2
.LBB57_82:
	s_or_b64 exec, exec, s[6:7]
	s_mov_b32 s6, 0x5040100
	v_accvgpr_read_b32 v2, a4
	v_perm_b32 v33, v11, v17, s6
	v_or_b32_e32 v11, v31, v23
	v_accvgpr_read_b32 v3, a5
	v_accvgpr_read_b32 v4, a6
	;; [unrolled: 1-line block ×3, first 2 shown]
	v_perm_b32 v32, v15, v13, s6
	v_lshlrev_b32_e32 v11, 1, v11
	v_mov_b32_e32 v15, 0
	v_mov_b32_e32 v13, 0
	ds_write_b64 v11, v[32:33] offset:24576
	s_and_saveexec_b64 s[6:7], s[0:1]
	s_cbranch_execz .LBB57_84
; %bb.83:
	v_mov_b32_e32 v13, 0
	v_lshl_add_u64 v[32:33], v[8:9], 0, v[12:13]
	global_load_ushort v11, v[32:33], off offset:64
	v_lshl_add_u64 v[32:33], v[6:7], 0, v[12:13]
	s_waitcnt vmcnt(0)
	v_lshlrev_b32_e32 v11, 16, v11
	v_sub_f32_e32 v2, v11, v2
	global_store_short_d16_hi v[32:33], v2, off offset:64
	v_mul_f32_e32 v2, v21, v2
	v_lshrrev_b32_e32 v13, 16, v2
.LBB57_84:
	s_or_b64 exec, exec, s[6:7]
	s_and_saveexec_b64 s[6:7], s[4:5]
	s_cbranch_execz .LBB57_86
; %bb.85:
	v_mov_b32_e32 v15, 0
	v_lshl_add_u64 v[32:33], v[8:9], 0, v[14:15]
	global_load_ushort v2, v[32:33], off offset:64
	v_lshl_add_u64 v[32:33], v[6:7], 0, v[14:15]
	s_waitcnt vmcnt(0)
	v_lshlrev_b32_e32 v2, 16, v2
	v_sub_f32_e32 v2, v2, v3
	global_store_short_d16_hi v[32:33], v2, off offset:64
	v_mul_f32_e32 v2, v20, v2
	v_lshrrev_b32_e32 v15, 16, v2
.LBB57_86:
	s_or_b64 exec, exec, s[6:7]
	v_mov_b32_e32 v11, 0
	v_mov_b32_e32 v17, 0
	s_and_saveexec_b64 s[6:7], s[2:3]
	s_cbranch_execz .LBB57_88
; %bb.87:
	v_mov_b32_e32 v17, 0
	v_lshl_add_u64 v[2:3], v[8:9], 0, v[16:17]
	global_load_ushort v23, v[2:3], off offset:64
	v_lshl_add_u64 v[2:3], v[6:7], 0, v[16:17]
	s_waitcnt vmcnt(0)
	v_lshlrev_b32_e32 v17, 16, v23
	v_sub_f32_e32 v4, v17, v4
	global_store_short_d16_hi v[2:3], v4, off offset:64
	v_mul_f32_e32 v2, v30, v4
	v_lshrrev_b32_e32 v17, 16, v2
.LBB57_88:
	s_or_b64 exec, exec, s[6:7]
	s_and_saveexec_b64 s[6:7], vcc
	s_cbranch_execz .LBB57_90
; %bb.89:
	v_mov_b32_e32 v11, 0
	v_lshl_add_u64 v[2:3], v[8:9], 0, v[10:11]
	global_load_ushort v4, v[2:3], off offset:64
	v_lshl_add_u64 v[2:3], v[6:7], 0, v[10:11]
	s_waitcnt vmcnt(0)
	v_lshlrev_b32_e32 v4, 16, v4
	v_sub_f32_e32 v4, v4, v5
	global_store_short_d16_hi v[2:3], v4, off offset:64
	v_mul_f32_e32 v2, v18, v4
	v_lshrrev_b32_e32 v11, 16, v2
.LBB57_90:
	s_or_b64 exec, exec, s[6:7]
	s_mov_b32 s6, 0x5040100
	v_accvgpr_read_b32 v5, a3
	v_perm_b32 v33, v11, v17, s6
	v_or_b32_e32 v11, v31, v22
	v_accvgpr_read_b32 v4, a2
	v_accvgpr_read_b32 v3, a1
	;; [unrolled: 1-line block ×3, first 2 shown]
	v_perm_b32 v32, v15, v13, s6
	v_lshlrev_b32_e32 v11, 1, v11
	v_mov_b32_e32 v15, 0
	v_mov_b32_e32 v13, 0
	ds_write_b64 v11, v[32:33] offset:24576
	s_and_saveexec_b64 s[6:7], s[0:1]
	s_cbranch_execz .LBB57_92
; %bb.91:
	v_mov_b32_e32 v13, 0
	v_lshl_add_u64 v[22:23], v[8:9], 0, v[12:13]
	global_load_ushort v11, v[22:23], off offset:96
	v_lshl_add_u64 v[12:13], v[6:7], 0, v[12:13]
	s_waitcnt vmcnt(0)
	v_lshlrev_b32_e32 v11, 16, v11
	v_sub_f32_e32 v2, v11, v2
	global_store_short_d16_hi v[12:13], v2, off offset:96
	v_mul_f32_e32 v2, v21, v2
	v_lshrrev_b32_e32 v13, 16, v2
.LBB57_92:
	s_or_b64 exec, exec, s[6:7]
	s_and_saveexec_b64 s[0:1], s[4:5]
	s_cbranch_execz .LBB57_94
; %bb.93:
	v_mov_b32_e32 v15, 0
	v_lshl_add_u64 v[22:23], v[8:9], 0, v[14:15]
	global_load_ushort v2, v[22:23], off offset:96
	v_lshl_add_u64 v[14:15], v[6:7], 0, v[14:15]
	s_waitcnt vmcnt(0)
	v_lshlrev_b32_e32 v2, 16, v2
	v_sub_f32_e32 v2, v2, v3
	global_store_short_d16_hi v[14:15], v2, off offset:96
	v_mul_f32_e32 v2, v20, v2
	v_lshrrev_b32_e32 v15, 16, v2
.LBB57_94:
	s_or_b64 exec, exec, s[0:1]
	v_mov_b32_e32 v11, 0
	v_mov_b32_e32 v14, 0
	s_and_saveexec_b64 s[0:1], s[2:3]
	s_cbranch_execz .LBB57_96
; %bb.95:
	v_mov_b32_e32 v17, 0
	v_lshl_add_u64 v[2:3], v[8:9], 0, v[16:17]
	global_load_ushort v12, v[2:3], off offset:96
	v_lshl_add_u64 v[2:3], v[6:7], 0, v[16:17]
	s_waitcnt vmcnt(0)
	v_lshlrev_b32_e32 v12, 16, v12
	v_sub_f32_e32 v4, v12, v4
	global_store_short_d16_hi v[2:3], v4, off offset:96
	v_mul_f32_e32 v2, v30, v4
	v_lshrrev_b32_e32 v14, 16, v2
.LBB57_96:
	s_or_b64 exec, exec, s[0:1]
	v_or_b32_e32 v12, 0x6000, v26
	v_or_b32_e32 v4, 0x6000, v27
	;; [unrolled: 1-line block ×4, first 2 shown]
	s_and_saveexec_b64 s[0:1], vcc
	s_cbranch_execz .LBB57_98
; %bb.97:
	v_mov_b32_e32 v11, 0
	v_lshl_add_u64 v[8:9], v[8:9], 0, v[10:11]
	global_load_ushort v8, v[8:9], off offset:96
	v_lshl_add_u64 v[6:7], v[6:7], 0, v[10:11]
	s_waitcnt vmcnt(0)
	v_lshlrev_b32_e32 v8, 16, v8
	v_sub_f32_e32 v5, v8, v5
	global_store_short_d16_hi v[6:7], v5, off offset:96
	v_mul_f32_e32 v5, v18, v5
	v_lshrrev_b32_e32 v11, 16, v5
.LBB57_98:
	s_or_b64 exec, exec, s[0:1]
	s_mov_b32 s0, 0x5040100
	v_or_b32_e32 v5, v31, v19
	v_perm_b32 v7, v11, v14, s0
	v_perm_b32 v6, v15, v13, s0
	v_lshlrev_b32_e32 v5, 1, v5
	s_movk_i32 s0, 0x100
	ds_write_b64 v5, v[6:7] offset:24576
	v_and_b32_e32 v5, 7, v0
	v_and_b32_e32 v6, 8, v0
	v_cmp_gt_u32_e32 vcc, s0, v0
	v_lshrrev_b32_e32 v0, 1, v0
	v_lshlrev_b32_e32 v23, 3, v1
	v_and_b32_e32 v24, 24, v0
	v_mov_b32_e32 v7, 0xa000
	v_mov_b32_e32 v8, 0x8000
	v_xor_b32_e32 v0, v23, v24
	v_cndmask_b32_e32 v22, v7, v8, vcc
	v_or_b32_e32 v1, 0x440, v0
	v_cmp_eq_u32_e32 vcc, 0, v6
	v_lshlrev_b32_e32 v13, 3, v5
	v_lshlrev_b32_e32 v5, 7, v5
	v_cndmask_b32_e32 v0, v1, v0, vcc
	v_or_b32_e32 v0, v0, v25
	v_xad_u32 v35, v0, v13, v5
	v_or_b32_e32 v10, 32, v24
	v_add_u32_e32 v0, v22, v35
	v_xor_b32_e32 v10, v23, v10
	s_waitcnt lgkmcnt(0)
	s_barrier
	ds_read_b64 v[0:1], v0
	ds_read2_b64 v[6:9], v12 offset1:16
	ds_read2_b64 v[14:17], v12 offset0:32 offset1:48
	v_or_b32_e32 v11, 0x440, v10
	v_cndmask_b32_e32 v10, v11, v10, vcc
	v_or_b32_e32 v10, v10, v25
	v_xad_u32 v80, v10, v13, v5
	v_add_u32_e32 v10, v22, v80
	s_waitcnt lgkmcnt(1)
	v_mfma_f32_16x16x16_bf16 a[0:3], v[0:1], v[6:7], 0
	ds_read_b64 v[10:11], v10
	ds_read2st64_b64 v[18:21], v12 offset0:4 offset1:8
	ds_read2st64_b64 v[26:29], v4 offset0:4 offset1:8
	v_mfma_f32_16x16x16_bf16 a[4:7], v[0:1], v[8:9], 0
	ds_read2st64_b64 v[30:33], v3 offset0:4 offset1:8
	ds_read2st64_b64 v[76:79], v2 offset0:4 offset1:8
	s_waitcnt lgkmcnt(5)
	v_mfma_f32_16x16x16_bf16 a[8:11], v[0:1], v[14:15], 0
	v_mfma_f32_16x16x16_bf16 a[12:15], v[0:1], v[16:17], 0
	v_or_b32_e32 v0, 64, v24
	v_xor_b32_e32 v0, v23, v0
	v_xor_b32_e32 v1, 0x440, v0
	v_cndmask_b32_e32 v0, v1, v0, vcc
	v_or_b32_e32 v0, v0, v25
	v_xad_u32 v81, v0, v13, v5
	v_add_u32_e32 v0, v22, v81
	ds_read_b64 v[0:1], v0
	s_waitcnt lgkmcnt(4)
	v_mfma_f32_16x16x16_bf16 a[0:3], v[10:11], v[18:19], a[0:3]
	s_waitcnt lgkmcnt(3)
	v_mfma_f32_16x16x16_bf16 a[4:7], v[10:11], v[26:27], a[4:7]
	;; [unrolled: 2-line block ×4, first 2 shown]
	v_or_b32_e32 v10, 0x60, v24
	v_xor_b32_e32 v10, v23, v10
	v_xor_b32_e32 v11, 0x440, v10
	v_cndmask_b32_e32 v10, v11, v10, vcc
	v_or_b32_e32 v10, v10, v25
	v_xad_u32 v23, v10, v13, v5
	v_add_u32_e32 v5, v22, v23
	s_waitcnt lgkmcnt(0)
	v_mfma_f32_16x16x16_bf16 a[0:3], v[0:1], v[20:21], a[0:3]
	ds_read_b64 v[10:11], v5
	ds_read_b64 v[12:13], v12 offset:6144
	v_mfma_f32_16x16x16_bf16 a[4:7], v[0:1], v[28:29], a[4:7]
	v_mfma_f32_16x16x16_bf16 a[8:11], v[0:1], v[32:33], a[8:11]
	;; [unrolled: 1-line block ×3, first 2 shown]
	ds_read_b64 v[0:1], v4 offset:6144
	ds_read_b64 v[4:5], v3 offset:6144
	;; [unrolled: 1-line block ×3, first 2 shown]
	s_waitcnt lgkmcnt(3)
	v_mfma_f32_16x16x16_bf16 a[0:3], v[10:11], v[12:13], a[0:3]
	s_waitcnt lgkmcnt(2)
	v_mfma_f32_16x16x16_bf16 a[4:7], v[10:11], v[0:1], a[4:7]
	;; [unrolled: 2-line block ×4, first 2 shown]
	ds_read_b64 v[10:11], v35 offset:40960
	s_waitcnt lgkmcnt(0)
	v_mfma_f32_16x16x16_bf16 a[16:19], v[10:11], v[6:7], 0
	ds_read_b64 v[6:7], v80 offset:40960
	v_mfma_f32_16x16x16_bf16 a[20:23], v[10:11], v[8:9], 0
	v_exp_f32_e32 v8, s18
	v_mfma_f32_16x16x16_bf16 a[24:27], v[10:11], v[14:15], 0
	v_accvgpr_read_b32 v15, a3
	v_accvgpr_read_b32 v14, a2
	v_pk_fma_f32 v[74:75], v[74:75], v[8:9], v[14:15] op_sel_hi:[1,0,1]
	v_mfma_f32_16x16x16_bf16 a[28:31], v[10:11], v[16:17], 0
	ds_read_b64 v[10:11], v81 offset:40960
	ds_read_b64 v[14:15], v23 offset:40960
	v_accvgpr_read_b32 v17, a7
	s_waitcnt lgkmcnt(2)
	v_mfma_f32_16x16x16_bf16 a[16:19], v[6:7], v[18:19], a[16:19]
	v_accvgpr_read_b32 v16, a6
	v_accvgpr_read_b32 v19, a15
	;; [unrolled: 1-line block ×3, first 2 shown]
	v_mfma_f32_16x16x16_bf16 a[20:23], v[6:7], v[26:27], a[20:23]
	v_pk_fma_f32 v[66:67], v[66:67], v[8:9], v[16:17] op_sel_hi:[1,0,1]
	v_pk_fma_f32 v[52:53], v[52:53], v[8:9], v[18:19] op_sel_hi:[1,0,1]
	v_mfma_f32_16x16x16_bf16 a[24:27], v[6:7], v[30:31], a[24:27]
	v_mfma_f32_16x16x16_bf16 a[28:31], v[6:7], v[76:77], a[28:31]
	v_accvgpr_read_b32 v7, a11
	v_accvgpr_read_b32 v6, a10
	v_pk_fma_f32 v[58:59], v[58:59], v[8:9], v[6:7] op_sel_hi:[1,0,1]
	s_waitcnt lgkmcnt(1)
	v_mfma_f32_16x16x16_bf16 a[16:19], v[10:11], v[20:21], a[16:19]
	v_accvgpr_read_b32 v21, a1
	v_accvgpr_read_b32 v20, a0
	v_pk_fma_f32 v[70:71], v[70:71], v[8:9], v[20:21] op_sel_hi:[1,0,1]
	v_mfma_f32_16x16x16_bf16 a[0:3], v[10:11], v[28:29], a[20:23]
	v_accvgpr_read_b32 v21, a5
	v_accvgpr_read_b32 v20, a4
	v_accvgpr_read_b32 v6, a12
	v_mfma_f32_16x16x16_bf16 a[20:23], v[10:11], v[32:33], a[24:27]
	v_accvgpr_read_b32 v7, a13
	v_pk_fma_f32 v[46:47], v[46:47], v[8:9], v[6:7] op_sel_hi:[1,0,1]
	v_pk_fma_f32 v[62:63], v[62:63], v[8:9], v[20:21] op_sel_hi:[1,0,1]
	v_mfma_f32_16x16x16_bf16 a[4:7], v[10:11], v[78:79], a[28:31]
	v_accvgpr_read_b32 v11, a9
	v_accvgpr_read_b32 v10, a8
	v_pk_fma_f32 v[54:55], v[54:55], v[8:9], v[10:11] op_sel_hi:[1,0,1]
	s_waitcnt lgkmcnt(0)
	v_mfma_f32_16x16x16_bf16 a[8:11], v[14:15], v[12:13], a[16:19]
	v_mfma_f32_16x16x16_bf16 a[0:3], v[14:15], v[0:1], a[0:3]
	s_nop 5
	v_accvgpr_read_b32 v1, a11
	v_accvgpr_read_b32 v0, a10
	v_mfma_f32_16x16x16_bf16 a[10:13], v[14:15], v[4:5], a[20:23]
	v_pk_fma_f32 v[72:73], v[72:73], v[8:9], v[0:1] op_sel_hi:[1,0,1]
	v_accvgpr_read_b32 v7, a3
	v_accvgpr_read_b32 v6, a2
	v_mfma_f32_16x16x16_bf16 a[2:5], v[14:15], v[2:3], a[4:7]
	v_accvgpr_read_b32 v0, a0
	v_accvgpr_read_b32 v1, a1
	v_pk_fma_f32 v[60:61], v[60:61], v[8:9], v[0:1] op_sel_hi:[1,0,1]
	v_accvgpr_read_b32 v0, a10
	v_accvgpr_read_b32 v1, a11
	;; [unrolled: 1-line block ×3, first 2 shown]
	v_pk_fma_f32 v[50:51], v[50:51], v[8:9], v[0:1] op_sel_hi:[1,0,1]
	v_accvgpr_read_b32 v0, a2
	v_accvgpr_read_b32 v5, a13
	;; [unrolled: 1-line block ×7, first 2 shown]
	v_pk_fma_f32 v[68:69], v[68:69], v[8:9], v[10:11] op_sel_hi:[1,0,1]
	v_pk_fma_f32 v[64:65], v[64:65], v[8:9], v[6:7] op_sel_hi:[1,0,1]
	v_pk_fma_f32 v[56:57], v[56:57], v[8:9], v[4:5] op_sel_hi:[1,0,1]
	v_pk_fma_f32 v[44:45], v[44:45], v[8:9], v[0:1] op_sel_hi:[1,0,1]
	v_pk_fma_f32 v[48:49], v[48:49], v[8:9], v[2:3] op_sel_hi:[1,0,1]
.LBB57_99:
	s_add_u32 s0, s10, s34
	s_addc_u32 s1, s11, s35
	v_lshl_add_u64 v[0:1], v[36:37], 1, s[0:1]
	v_mov_b32_e32 v35, 0
	s_mov_b32 s2, 0x7060302
	v_lshl_add_u64 v[0:1], v[0:1], 0, v[34:35]
	v_perm_b32 v3, v75, v74, s2
	v_perm_b32 v2, v71, v70, s2
	global_store_dwordx2 v[0:1], v[2:3], off
	v_perm_b32 v3, v73, v72, s2
	v_perm_b32 v2, v69, v68, s2
	global_store_dwordx2 v[0:1], v[2:3], off offset:128
	v_lshl_add_u64 v[0:1], v[38:39], 1, s[0:1]
	v_lshl_add_u64 v[0:1], v[0:1], 0, v[34:35]
	v_perm_b32 v3, v67, v66, s2
	v_perm_b32 v2, v63, v62, s2
	global_store_dwordx2 v[0:1], v[2:3], off
	v_perm_b32 v3, v65, v64, s2
	v_perm_b32 v2, v61, v60, s2
	global_store_dwordx2 v[0:1], v[2:3], off offset:128
	v_lshl_add_u64 v[0:1], v[40:41], 1, s[0:1]
	;; [unrolled: 8-line block ×3, first 2 shown]
	v_lshl_add_u64 v[0:1], v[0:1], 0, v[34:35]
	v_perm_b32 v3, v53, v52, s2
	v_perm_b32 v2, v47, v46, s2
	global_store_dwordx2 v[0:1], v[2:3], off
	v_perm_b32 v3, v49, v48, s2
	v_perm_b32 v2, v45, v44, s2
	global_store_dwordx2 v[0:1], v[2:3], off offset:128
	s_endpgm
	.section	.rodata,"a",@progbits
	.p2align	6, 0x0
	.amdhsa_kernel _ZN12_GLOBAL__N_139chunk_gated_delta_rule_fwd_h_hip_kernelILi64ELb1ELb1ELb1ELb0ELb1ELb0ELb0ELb1EEEvPK12hip_bfloat16S3_S3_PKfS5_PKvPS1_S8_PvPKiSB_iiiiilll
		.amdhsa_group_segment_fixed_size 65536
		.amdhsa_private_segment_fixed_size 0
		.amdhsa_kernarg_size 136
		.amdhsa_user_sgpr_count 2
		.amdhsa_user_sgpr_dispatch_ptr 0
		.amdhsa_user_sgpr_queue_ptr 0
		.amdhsa_user_sgpr_kernarg_segment_ptr 1
		.amdhsa_user_sgpr_dispatch_id 0
		.amdhsa_user_sgpr_kernarg_preload_length 0
		.amdhsa_user_sgpr_kernarg_preload_offset 0
		.amdhsa_user_sgpr_private_segment_size 0
		.amdhsa_uses_dynamic_stack 0
		.amdhsa_enable_private_segment 0
		.amdhsa_system_sgpr_workgroup_id_x 1
		.amdhsa_system_sgpr_workgroup_id_y 1
		.amdhsa_system_sgpr_workgroup_id_z 0
		.amdhsa_system_sgpr_workgroup_info 0
		.amdhsa_system_vgpr_workitem_id 0
		.amdhsa_next_free_vgpr 224
		.amdhsa_next_free_sgpr 72
		.amdhsa_accum_offset 188
		.amdhsa_reserve_vcc 1
		.amdhsa_float_round_mode_32 0
		.amdhsa_float_round_mode_16_64 0
		.amdhsa_float_denorm_mode_32 3
		.amdhsa_float_denorm_mode_16_64 3
		.amdhsa_dx10_clamp 1
		.amdhsa_ieee_mode 1
		.amdhsa_fp16_overflow 0
		.amdhsa_tg_split 0
		.amdhsa_exception_fp_ieee_invalid_op 0
		.amdhsa_exception_fp_denorm_src 0
		.amdhsa_exception_fp_ieee_div_zero 0
		.amdhsa_exception_fp_ieee_overflow 0
		.amdhsa_exception_fp_ieee_underflow 0
		.amdhsa_exception_fp_ieee_inexact 0
		.amdhsa_exception_int_div_zero 0
	.end_amdhsa_kernel
	.section	.text._ZN12_GLOBAL__N_139chunk_gated_delta_rule_fwd_h_hip_kernelILi64ELb1ELb1ELb1ELb0ELb1ELb0ELb0ELb1EEEvPK12hip_bfloat16S3_S3_PKfS5_PKvPS1_S8_PvPKiSB_iiiiilll,"axG",@progbits,_ZN12_GLOBAL__N_139chunk_gated_delta_rule_fwd_h_hip_kernelILi64ELb1ELb1ELb1ELb0ELb1ELb0ELb0ELb1EEEvPK12hip_bfloat16S3_S3_PKfS5_PKvPS1_S8_PvPKiSB_iiiiilll,comdat
.Lfunc_end57:
	.size	_ZN12_GLOBAL__N_139chunk_gated_delta_rule_fwd_h_hip_kernelILi64ELb1ELb1ELb1ELb0ELb1ELb0ELb0ELb1EEEvPK12hip_bfloat16S3_S3_PKfS5_PKvPS1_S8_PvPKiSB_iiiiilll, .Lfunc_end57-_ZN12_GLOBAL__N_139chunk_gated_delta_rule_fwd_h_hip_kernelILi64ELb1ELb1ELb1ELb0ELb1ELb0ELb0ELb1EEEvPK12hip_bfloat16S3_S3_PKfS5_PKvPS1_S8_PvPKiSB_iiiiilll
                                        ; -- End function
	.section	.AMDGPU.csdata,"",@progbits
; Kernel info:
; codeLenInByte = 12736
; NumSgprs: 78
; NumVgprs: 188
; NumAgprs: 36
; TotalNumVgprs: 224
; ScratchSize: 0
; MemoryBound: 0
; FloatMode: 240
; IeeeMode: 1
; LDSByteSize: 65536 bytes/workgroup (compile time only)
; SGPRBlocks: 9
; VGPRBlocks: 27
; NumSGPRsForWavesPerEU: 78
; NumVGPRsForWavesPerEU: 224
; AccumOffset: 188
; Occupancy: 1
; WaveLimiterHint : 1
; COMPUTE_PGM_RSRC2:SCRATCH_EN: 0
; COMPUTE_PGM_RSRC2:USER_SGPR: 2
; COMPUTE_PGM_RSRC2:TRAP_HANDLER: 0
; COMPUTE_PGM_RSRC2:TGID_X_EN: 1
; COMPUTE_PGM_RSRC2:TGID_Y_EN: 1
; COMPUTE_PGM_RSRC2:TGID_Z_EN: 0
; COMPUTE_PGM_RSRC2:TIDIG_COMP_CNT: 0
; COMPUTE_PGM_RSRC3_GFX90A:ACCUM_OFFSET: 46
; COMPUTE_PGM_RSRC3_GFX90A:TG_SPLIT: 0
	.section	.text._ZN12_GLOBAL__N_139chunk_gated_delta_rule_fwd_h_hip_kernelILi64ELb1ELb1ELb0ELb0ELb1ELb0ELb0ELb1EEEvPK12hip_bfloat16S3_S3_PKfS5_PKvPS1_S8_PvPKiSB_iiiiilll,"axG",@progbits,_ZN12_GLOBAL__N_139chunk_gated_delta_rule_fwd_h_hip_kernelILi64ELb1ELb1ELb0ELb0ELb1ELb0ELb0ELb1EEEvPK12hip_bfloat16S3_S3_PKfS5_PKvPS1_S8_PvPKiSB_iiiiilll,comdat
	.globl	_ZN12_GLOBAL__N_139chunk_gated_delta_rule_fwd_h_hip_kernelILi64ELb1ELb1ELb0ELb0ELb1ELb0ELb0ELb1EEEvPK12hip_bfloat16S3_S3_PKfS5_PKvPS1_S8_PvPKiSB_iiiiilll ; -- Begin function _ZN12_GLOBAL__N_139chunk_gated_delta_rule_fwd_h_hip_kernelILi64ELb1ELb1ELb0ELb0ELb1ELb0ELb0ELb1EEEvPK12hip_bfloat16S3_S3_PKfS5_PKvPS1_S8_PvPKiSB_iiiiilll
	.p2align	8
	.type	_ZN12_GLOBAL__N_139chunk_gated_delta_rule_fwd_h_hip_kernelILi64ELb1ELb1ELb0ELb0ELb1ELb0ELb0ELb1EEEvPK12hip_bfloat16S3_S3_PKfS5_PKvPS1_S8_PvPKiSB_iiiiilll,@function
_ZN12_GLOBAL__N_139chunk_gated_delta_rule_fwd_h_hip_kernelILi64ELb1ELb1ELb0ELb0ELb1ELb0ELb0ELb1EEEvPK12hip_bfloat16S3_S3_PKfS5_PKvPS1_S8_PvPKiSB_iiiiilll: ; @_ZN12_GLOBAL__N_139chunk_gated_delta_rule_fwd_h_hip_kernelILi64ELb1ELb1ELb0ELb0ELb1ELb0ELb0ELb1EEEvPK12hip_bfloat16S3_S3_PKfS5_PKvPS1_S8_PvPKiSB_iiiiilll
; %bb.0:
	s_load_dwordx4 s[12:15], s[0:1], 0x5c
	s_load_dwordx4 s[20:23], s[0:1], 0x70
	s_abs_i32 s6, s3
	s_ashr_i32 s5, s3, 31
	s_load_dwordx4 s[16:19], s[0:1], 0x28
	s_waitcnt lgkmcnt(0)
	s_abs_i32 s4, s13
	v_cvt_f32_u32_e32 v1, s4
	s_sub_i32 s8, 0, s4
	s_ashr_i32 s7, s13, 31
	s_xor_b32 s5, s5, s7
	v_rcp_iflag_f32_e32 v1, v1
	v_and_b32_e32 v86, 15, v0
	v_bfe_u32 v85, v0, 4, 2
	v_mov_b32_e32 v35, 0
	v_mul_f32_e32 v1, 0x4f7ffffe, v1
	v_cvt_u32_f32_e32 v1, v1
	v_lshlrev_b32_e32 v88, 3, v0
	v_readfirstlane_b32 s9, v1
	s_mul_i32 s8, s8, s9
	s_mul_hi_u32 s8, s9, s8
	s_add_i32 s9, s9, s8
	s_mul_hi_u32 s8, s6, s9
	s_mul_i32 s9, s8, s4
	s_sub_i32 s6, s6, s9
	s_add_i32 s10, s8, 1
	s_sub_i32 s9, s6, s4
	s_cmp_ge_u32 s6, s4
	s_cselect_b32 s8, s10, s8
	s_cselect_b32 s6, s9, s6
	s_add_i32 s9, s8, 1
	s_cmp_ge_u32 s6, s4
	s_cselect_b32 s6, s9, s8
	s_xor_b32 s6, s6, s5
	s_add_i32 s8, s12, 63
	s_sub_i32 s53, s6, s5
	s_ashr_i32 s9, s8, 31
	s_mul_i32 s5, s53, s13
	s_sub_i32 s50, s3, s5
	s_lshr_b32 s3, s9, 26
	s_add_i32 s8, s8, s3
	s_abs_i32 s3, s14
	v_cvt_f32_u32_e32 v1, s3
	s_ashr_i32 s52, s12, 31
	s_lshr_b32 s6, s52, 26
	s_add_i32 s6, s12, s6
	v_rcp_iflag_f32_e32 v1, v1
	s_ashr_i32 s55, s14, 31
	s_ashr_i32 s24, s8, 6
	;; [unrolled: 1-line block ×3, first 2 shown]
	v_mul_f32_e32 v1, 0x4f7ffffe, v1
	v_cvt_u32_f32_e32 v1, v1
	s_xor_b32 s6, s7, s55
	s_sub_i32 s7, 0, s3
	s_lshl_b32 s2, s2, 6
	v_readfirstlane_b32 s8, v1
	s_mul_i32 s7, s7, s8
	s_mul_hi_u32 s7, s8, s7
	s_add_i32 s8, s8, s7
	s_mul_hi_u32 s7, s4, s8
	s_mul_i32 s8, s7, s3
	s_sub_i32 s4, s4, s8
	s_add_i32 s8, s7, 1
	s_sub_i32 s9, s4, s3
	s_cmp_ge_u32 s4, s3
	s_cselect_b32 s7, s8, s7
	s_cselect_b32 s4, s9, s4
	s_add_i32 s8, s7, 1
	s_cmp_ge_u32 s4, s3
	s_cselect_b32 s3, s8, s7
	s_xor_b32 s3, s3, s6
	s_sub_i32 s3, s3, s6
	s_abs_i32 s4, s3
	v_cvt_f32_u32_e32 v1, s4
	s_sub_i32 s7, 0, s4
	s_abs_i32 s6, s50
	s_xor_b32 s3, s50, s3
	v_rcp_iflag_f32_e32 v2, v1
	s_ashr_i32 s3, s3, 31
	v_or_b32_e32 v76, s2, v86
	v_lshrrev_b32_e32 v1, 6, v0
	v_mul_f32_e32 v2, 0x4f7ffffe, v2
	v_cvt_u32_f32_e32 v2, v2
	v_lshlrev_b32_e32 v36, 7, v76
	v_lshlrev_b32_e32 v84, 4, v1
	v_or_b32_e32 v38, 0x800, v36
	v_readfirstlane_b32 s8, v2
	s_mul_i32 s7, s7, s8
	s_mul_hi_u32 s7, s8, s7
	s_add_i32 s8, s8, s7
	s_mul_hi_u32 s7, s6, s8
	s_mul_i32 s8, s7, s4
	s_sub_i32 s6, s6, s8
	s_add_i32 s8, s7, 1
	s_sub_i32 s9, s6, s4
	s_cmp_ge_u32 s6, s4
	s_cselect_b32 s7, s8, s7
	s_cselect_b32 s6, s9, s6
	s_add_i32 s8, s7, 1
	s_cmp_ge_u32 s6, s4
	s_cselect_b32 s4, s8, s7
	s_xor_b32 s4, s4, s3
	s_sub_i32 s56, s4, s3
	s_ashr_i32 s3, s53, 31
	s_ashr_i32 s51, s50, 31
	s_mul_hi_i32 s4, s53, s13
	s_add_u32 s40, s5, s50
	s_addc_u32 s41, s4, s51
	s_lshl_b64 s[28:29], s[40:41], 15
	s_add_u32 s4, s16, s28
	v_lshl_or_b32 v89, v85, 2, v84
	s_addc_u32 s5, s17, s29
	v_ashrrev_i32_e32 v37, 31, v36
	v_ashrrev_i32_e32 v39, 31, v38
	v_lshl_add_u64 v[2:3], v[36:37], 1, s[4:5]
	v_lshlrev_b32_e32 v34, 1, v89
	v_lshl_add_u64 v[6:7], v[38:39], 1, s[4:5]
	v_or_b32_e32 v40, 0x1000, v36
	v_or_b32_e32 v42, 0x1800, v36
	v_lshl_add_u64 v[2:3], v[2:3], 0, v[34:35]
	v_lshl_add_u64 v[6:7], v[6:7], 0, v[34:35]
	v_ashrrev_i32_e32 v41, 31, v40
	v_ashrrev_i32_e32 v43, 31, v42
	global_load_dwordx2 v[4:5], v[2:3], off
	v_lshl_add_u64 v[14:15], v[42:43], 1, s[4:5]
	global_load_dwordx2 v[2:3], v[2:3], off offset:128
	s_nop 0
	global_load_dwordx2 v[8:9], v[6:7], off
	global_load_dwordx2 v[10:11], v[6:7], off offset:128
	v_lshl_add_u64 v[6:7], v[40:41], 1, s[4:5]
	v_lshl_add_u64 v[6:7], v[6:7], 0, v[34:35]
	;; [unrolled: 1-line block ×3, first 2 shown]
	global_load_dwordx2 v[12:13], v[6:7], off
	v_and_b32_e32 v35, 63, v0
	global_load_dwordx2 v[6:7], v[6:7], off offset:128
	s_nop 0
	global_load_dwordx2 v[16:17], v[14:15], off
	global_load_dwordx2 v[18:19], v[14:15], off offset:128
	s_load_dwordx2 s[30:31], s[0:1], 0x40
	s_load_dwordx8 s[4:11], s[0:1], 0x0
	s_load_dwordx2 s[34:35], s[0:1], 0x80
	v_lshrrev_b32_e32 v87, 3, v35
	v_or_b32_e32 v90, 64, v89
	s_mul_i32 s57, s53, s24
	s_cmp_lt_i32 s12, 64
	s_mul_i32 s58, s41, s12
	s_mul_hi_u32 s59, s40, s12
	s_mul_i32 s16, s40, s12
	s_mul_i32 s33, s53, s21
	s_mul_hi_u32 s46, s53, s20
	s_mul_i32 s41, s3, s20
	s_mul_i32 s38, s53, s20
	;; [unrolled: 1-line block ×3, first 2 shown]
	s_mul_hi_u32 s48, s50, s22
	s_mul_i32 s49, s51, s22
	s_mul_i32 s36, s50, s22
	s_waitcnt vmcnt(7)
	v_and_b32_e32 v71, 0xffff0000, v4
	v_lshlrev_b32_e32 v70, 16, v4
	v_and_b32_e32 v75, 0xffff0000, v5
	v_lshlrev_b32_e32 v74, 16, v5
	s_waitcnt vmcnt(6)
	v_and_b32_e32 v69, 0xffff0000, v2
	v_lshlrev_b32_e32 v68, 16, v2
	v_and_b32_e32 v73, 0xffff0000, v3
	v_lshlrev_b32_e32 v72, 16, v3
	;; [unrolled: 5-line block ×8, first 2 shown]
	s_cbranch_scc1 .LBB58_18
; %bb.1:
	s_add_i32 s17, s59, s58
	s_lshl_b64 s[0:1], s[16:17], 8
	v_and_b32_e32 v92, 56, v88
	s_waitcnt lgkmcnt(0)
	s_add_u32 s20, s6, s0
	v_lshl_or_b32 v91, v1, 3, v87
	v_lshlrev_b32_e32 v2, 1, v92
	s_addc_u32 s0, s7, s1
	v_lshl_or_b32 v93, v91, 8, v2
	s_and_b32 s21, s0, 0xffff
	s_mov_b32 s23, 0x20000
	s_movk_i32 s22, 0x4000
	s_movk_i32 s0, 0x80
	v_or_b32_e32 v94, 0x2000, v93
	buffer_load_dwordx4 v[4:7], v93, s[20:23], 0 offen
	buffer_load_dwordx4 v[8:11], v93, s[20:23], s0 offen
	;; [unrolled: 1-line block ×4, first 2 shown]
	v_lshlrev_b32_e32 v3, 3, v91
	v_and_or_b32 v21, v0, 7, v3
	v_and_b32_e32 v3, 0x78, v3
	v_lshlrev_b32_e32 v21, 4, v21
	v_xor_b32_e32 v95, v21, v3
	v_mul_lo_u32 v20, v91, s15
	v_or_b32_e32 v96, 0x1000, v95
	v_xor_b32_e32 v3, 8, v95
	s_cmpk_eq_i32 s15, 0x80
	s_mov_b32 s60, s14
	v_xor_b32_e32 v21, 8, v96
	s_cselect_b64 s[0:1], -1, 0
	s_cmpk_lg_i32 s15, 0x80
	s_waitcnt vmcnt(3)
	ds_write_b64 v95, v[4:5] offset:49152
	ds_write_b64 v3, v[6:7] offset:49152
	s_waitcnt vmcnt(2)
	ds_write_b64 v95, v[8:9] offset:57344
	ds_write_b64 v3, v[10:11] offset:57344
	;; [unrolled: 3-line block ×4, first 2 shown]
	v_lshl_add_u32 v3, v20, 1, v92
	s_cbranch_scc0 .LBB58_3
; %bb.2:
	v_lshlrev_b32_e32 v5, 1, v3
	v_add_lshl_u32 v4, v3, s15, 1
	s_lshl_b32 s22, s15, 7
	v_lshl_or_b32 v2, v91, 9, v2
	s_cbranch_execz .LBB58_4
	s_branch .LBB58_5
.LBB58_3:
                                        ; implicit-def: $vgpr4
                                        ; implicit-def: $vgpr5
                                        ; implicit-def: $sgpr22
	v_lshl_or_b32 v2, v91, 9, v2
.LBB58_4:
	v_or_b32_e32 v4, 0x100, v2
	s_movk_i32 s22, 0x4000
	v_mov_b32_e32 v5, v2
.LBB58_5:
	s_mul_hi_u32 s20, s14, s12
	s_mul_i32 s21, s55, s12
	s_add_i32 s20, s20, s21
	s_mul_i32 s21, s14, s12
	s_mul_i32 s23, s21, s3
	s_mul_hi_u32 s24, s21, s53
	s_add_i32 s23, s24, s23
	s_mul_i32 s20, s20, s53
	s_add_i32 s23, s23, s20
	s_mul_i32 s21, s21, s53
	s_ashr_i32 s61, s56, 31
	s_add_u32 s20, s21, s56
	s_addc_u32 s21, s23, s61
	s_lshl_b64 s[20:21], s[20:21], 8
	s_add_u32 s20, s4, s20
	s_addc_u32 s21, s5, s21
	s_and_b32 s21, s21, 0xffff
	s_mov_b32 s23, 0x20000
	s_movk_i32 s62, 0x80
	buffer_load_dwordx4 v[6:9], v5, s[20:23], 0 offen
	buffer_load_dwordx4 v[10:13], v5, s[20:23], s62 offen
	;; [unrolled: 1-line block ×4, first 2 shown]
	v_and_b32_e32 v5, 6, v0
	v_lshlrev_b32_e32 v4, 7, v89
	v_xor_b32_e32 v26, v91, v5
	v_and_b32_e32 v22, 1, v0
	v_lshl_or_b32 v29, v86, 3, v4
	v_lshlrev_b32_e32 v26, 2, v26
	v_or_b32_e32 v97, 0x4000, v29
	v_or_b32_e32 v98, 0x6000, v29
	v_xor_b32_e32 v29, 0x440, v26
	v_cmp_eq_u32_e32 vcc, 0, v22
	v_lshlrev_b32_e32 v23, 2, v86
	s_mov_b32 s64, 0x1000504
	v_cndmask_b32_e32 v22, v29, v26, vcc
	v_xor_b32_e32 v27, v89, v23
	v_xor_b32_e32 v28, v90, v23
	v_lshl_or_b32 v5, v5, 10, v22
	s_mov_b32 s65, 0x3020706
	v_lshlrev_b32_e32 v24, 8, v86
	v_or_b32_e32 v25, 16, v86
	v_lshlrev_b32_e32 v27, 1, v27
	v_lshlrev_b32_e32 v28, 1, v28
	v_xor_b32_e32 v22, 8, v5
	v_xor_b32_e32 v26, 24, v5
	;; [unrolled: 1-line block ×4, first 2 shown]
	s_mul_i32 s3, s3, s12
	s_mul_hi_u32 s20, s53, s12
	v_or_b32_e32 v100, v24, v27
	v_or_b32_e32 v101, v24, v28
	v_xor_b32_e32 v24, 16, v5
	v_xor_b32_e32 v29, 32, v5
	;; [unrolled: 1-line block ×3, first 2 shown]
	v_add_u32_e32 v22, 0x80, v22
	v_add_u32_e32 v26, 0x80, v26
	;; [unrolled: 1-line block ×4, first 2 shown]
	s_add_i32 s67, s20, s3
	s_add_i32 s3, s46, s33
	;; [unrolled: 1-line block ×5, first 2 shown]
	s_lshl_b64 s[20:21], s[38:39], 2
	s_add_u32 s3, s10, s20
	s_addc_u32 s24, s11, s21
	s_lshl_b64 s[20:21], s[36:37], 2
	s_add_u32 s42, s3, s20
	s_movk_i32 s3, 0xf8
	s_addc_u32 s43, s24, s21
	s_lshl_b32 s26, s15, 7
	s_movk_i32 s24, 0x100
	v_mov_b32_e32 v79, 0
	v_cmp_gt_u32_e32 vcc, s24, v0
	v_lshl_or_b32 v30, v25, 3, v4
	s_mov_b32 s63, 0
	s_mul_i32 s66, s53, s12
	v_or_b32_e32 v99, 0x4000, v30
	s_movk_i32 s22, 0x4000
	v_or_b32_e32 v102, 0x6000, v30
	s_movk_i32 s37, 0x2000
	s_movk_i32 s39, 0x3000
	s_mov_b32 s69, 0
	s_waitcnt vmcnt(1)
	v_perm_b32 v77, v6, v14, s64
	s_waitcnt vmcnt(0)
	v_perm_b32 v78, v10, v18, s64
	v_perm_b32 v6, v6, v14, s65
	;; [unrolled: 1-line block ×15, first 2 shown]
	ds_write2st64_b32 v5, v77, v78 offset0:128 offset1:160
	ds_write2st64_b32 v22, v6, v10 offset0:128 offset1:160
	;; [unrolled: 1-line block ×8, first 2 shown]
	v_lshlrev_b32_e32 v5, 8, v25
	v_or_b32_e32 v103, v5, v27
	v_or_b32_e32 v104, v5, v28
	;; [unrolled: 1-line block ×3, first 2 shown]
	v_lshl_or_b32 v6, v5, 3, v4
	v_lshlrev_b32_e32 v5, 8, v5
	v_or_b32_e32 v107, v5, v27
	v_or_b32_e32 v108, v5, v28
	;; [unrolled: 1-line block ×5, first 2 shown]
	v_lshl_or_b32 v6, v5, 3, v4
	v_lshlrev_b32_e32 v5, 8, v5
	v_or_b32_e32 v111, v5, v27
	v_or_b32_e32 v112, v5, v28
	;; [unrolled: 1-line block ×3, first 2 shown]
	v_lshlrev_b32_e32 v5, 3, v5
	v_lshrrev_b32_e32 v7, 5, v35
	v_and_or_b32 v7, v5, s3, v7
	v_lshlrev_b32_e32 v7, 4, v7
	v_lshlrev_b32_e32 v8, 11, v1
	v_and_b32_e32 v5, 0x78, v5
	v_or_b32_e32 v13, 32, v7
	v_or_b32_e32 v109, 0x4000, v6
	;; [unrolled: 1-line block ×3, first 2 shown]
	v_and_b32_e32 v6, 0x1000, v8
	v_xor_b32_e32 v9, v7, v5
	v_lshrrev_b32_e32 v10, 1, v0
	v_xor_b32_e32 v13, v13, v5
	v_or_b32_e32 v9, v9, v6
	v_and_b32_e32 v11, 8, v10
	v_or_b32_e32 v13, v13, v6
	v_xor_b32_e32 v113, v9, v11
	v_lshlrev_b32_e32 v9, 8, v85
	v_xor_b32_e32 v115, v13, v11
	v_or_b32_e32 v13, 64, v7
	v_or_b32_e32 v7, 0x60, v7
	s_ashr_i32 s3, s2, 31
	v_or_b32_e32 v12, v9, v23
	v_xor_b32_e32 v13, v13, v5
	v_xor_b32_e32 v5, v7, v5
	s_lshl_b64 s[20:21], s[2:3], 8
	v_lshlrev_b32_e32 v12, 1, v12
	v_or_b32_e32 v13, v13, v6
	v_or_b32_e32 v5, v5, v6
	s_add_u32 s20, s18, s20
	v_lshlrev_b32_e32 v6, 1, v86
	v_or_b32_e32 v114, 0x4000, v12
	v_or_b32_e32 v116, 0x4080, v12
	;; [unrolled: 1-line block ×8, first 2 shown]
	v_lshrrev_b32_e32 v12, 4, v0
	s_addc_u32 s21, s19, s21
	v_or_b32_e32 v7, 1, v6
	v_lshlrev_b32_e32 v78, 4, v86
	v_mov_b32_e32 v16, 0xa000
	v_mov_b32_e32 v17, 0x8000
	v_xor_b32_e32 v119, v13, v11
	v_xor_b32_e32 v13, v12, v6
	v_xor_b32_e32 v14, v7, v12
	v_lshl_add_u64 v[6:7], s[20:21], 0, v[78:79]
	v_lshlrev_b32_e32 v78, 8, v12
	v_cndmask_b32_e32 v16, v16, v17, vcc
	v_lshlrev_b32_e32 v17, 3, v1
	v_and_b32_e32 v10, 24, v10
	v_lshl_or_b32 v125, v13, 3, v78
	v_and_b32_e32 v13, 8, v0
	v_xor_b32_e32 v18, v17, v10
	v_or_b32_e32 v19, 0x440, v18
	v_cmp_eq_u32_e32 vcc, 0, v13
	v_and_b32_e32 v12, 7, v0
	v_lshl_or_b32 v126, v14, 3, v78
	v_cndmask_b32_e32 v13, v19, v18, vcc
	v_lshlrev_b32_e32 v14, 3, v12
	v_lshlrev_b32_e32 v12, 7, v12
	v_or_b32_e32 v13, v13, v8
	v_lshlrev_b32_e32 v15, 2, v0
	v_xad_u32 v127, v13, v14, v12
	v_or_b32_e32 v13, 32, v10
	v_and_or_b32 v9, v15, 60, v9
	v_xor_b32_e32 v13, v17, v13
	v_lshlrev_b32_e32 v9, 1, v9
	v_or_b32_e32 v15, 0x440, v13
	v_or_b32_e32 v128, 0x6000, v9
	v_cndmask_b32_e32 v13, v15, v13, vcc
	v_or_b32_e32 v130, 0x6080, v9
	v_or_b32_e32 v131, 0x6100, v9
	;; [unrolled: 1-line block ×5, first 2 shown]
	v_xor_b32_e32 v9, v17, v9
	v_xad_u32 v129, v13, v14, v12
	v_xor_b32_e32 v13, 0x440, v9
	v_cndmask_b32_e32 v9, v13, v9, vcc
	v_or_b32_e32 v9, v9, v8
	v_xad_u32 v133, v9, v14, v12
	v_or_b32_e32 v9, 0x60, v10
	v_xor_b32_e32 v9, v17, v9
	v_xor_b32_e32 v10, 0x440, v9
	v_cndmask_b32_e32 v9, v10, v9, vcc
	v_or_b32_e32 v8, v9, v8
	v_xor_b32_e32 v120, v5, v11
	v_ashrrev_i32_e32 v77, 31, v76
	v_lshlrev_b32_e32 v5, 1, v3
	v_add_lshl_u32 v3, v3, s15, 1
	v_or_b32_e32 v11, 0x100, v2
	v_xad_u32 v134, v8, v14, v12
	v_cndmask_b32_e64 v135, v5, v2, s[0:1]
	v_cndmask_b32_e64 v136, v3, v11, s[0:1]
	v_lshl_add_u64 v[80:81], v[76:77], 1, s[8:9]
	v_lshl_add_u64 v[82:83], v[6:7], 0, v[78:79]
	s_mov_b32 s3, 0x7060302
	v_lshlrev_b32_e32 v78, 1, v4
	v_add_u32_e32 v77, v16, v127
	v_add_u32_e32 v137, v16, v129
	;; [unrolled: 1-line block ×4, first 2 shown]
	s_waitcnt lgkmcnt(0)
	s_barrier
.LBB58_6:                               ; =>This Inner Loop Header: Depth=1
	s_add_i32 s68, s69, 1
	s_cmp_lt_i32 s68, s54
	s_mov_b64 s[24:25], 0
	s_cselect_b64 s[44:45], -1, 0
	s_cmp_ge_i32 s68, s54
	s_mov_b64 s[20:21], 0
	s_cbranch_scc1 .LBB58_8
; %bb.7:                                ;   in Loop: Header=BB58_6 Depth=1
	s_add_i32 s0, s63, 64
	s_add_u32 s0, s16, s0
	s_addc_u32 s1, s17, 0
	s_lshl_b64 s[0:1], s[0:1], 8
	s_add_u32 s20, s6, s0
	s_addc_u32 s21, s7, s1
.LBB58_8:                               ;   in Loop: Header=BB58_6 Depth=1
	v_cndmask_b32_e64 v2, 0, 1, s[44:45]
	v_cmp_ne_u32_e64 s[0:1], 1, v2
	s_andn2_b64 vcc, exec, s[44:45]
	s_cbranch_vccnz .LBB58_10
; %bb.9:                                ;   in Loop: Header=BB58_6 Depth=1
	s_add_i32 s24, s63, 64
	s_add_u32 s24, s66, s24
	s_addc_u32 s25, s67, 0
	s_mul_i32 s27, s24, s55
	s_mul_hi_u32 s44, s24, s60
	s_add_i32 s27, s44, s27
	s_mul_i32 s25, s25, s60
	s_add_i32 s27, s27, s25
	s_mul_i32 s24, s24, s60
	s_add_u32 s24, s24, s56
	s_addc_u32 s25, s27, s61
	s_lshl_b64 s[24:25], s[24:25], 8
	s_add_u32 s24, s4, s24
	s_addc_u32 s25, s5, s25
.LBB58_10:                              ;   in Loop: Header=BB58_6 Depth=1
	v_perm_b32 v3, v75, v74, s3
	v_perm_b32 v2, v71, v70, s3
	v_perm_b32 v5, v73, v72, s3
	v_perm_b32 v4, v69, v68, s3
	ds_write_b64 v97, v[2:3]
	ds_write_b64 v98, v[4:5]
	ds_write_b64 v100, v[2:3]
	ds_write_b64 v101, v[4:5]
	v_perm_b32 v3, v67, v66, s3
	v_perm_b32 v2, v63, v62, s3
	v_perm_b32 v5, v65, v64, s3
	v_perm_b32 v4, v61, v60, s3
	ds_write_b64 v99, v[2:3]
	ds_write_b64 v102, v[4:5]
	ds_write_b64 v103, v[2:3]
	ds_write_b64 v104, v[4:5]
	;; [unrolled: 8-line block ×4, first 2 shown]
	s_waitcnt lgkmcnt(0)
	s_barrier
	ds_read_b64 v[6:7], v113 offset:49152
	ds_read2_b64 v[2:5], v114 offset1:16
	ds_read_b64 v[18:19], v116 offset:6144
	ds_read_b64 v[20:21], v114 offset:6144
	s_waitcnt lgkmcnt(2)
	v_mfma_f32_16x16x16_bf16 a[0:3], v[6:7], v[2:3], 0
	ds_read_b64 v[22:23], v115 offset:49152
	ds_read2st64_b64 v[10:13], v117 offset0:4 offset1:8
	ds_read2st64_b64 v[14:17], v118 offset0:4 offset1:8
	v_mfma_f32_16x16x16_bf16 a[4:7], v[6:7], v[4:5], 0
	ds_read2_b64 v[2:5], v114 offset0:32 offset1:48
	s_add_i32 s27, s63, 63
	s_mul_i32 s44, s27, s35
	s_waitcnt lgkmcnt(0)
	v_mfma_f32_16x16x16_bf16 a[8:11], v[6:7], v[2:3], 0
	s_mul_hi_u32 s45, s27, s34
	s_add_i32 s45, s45, s44
	s_mul_i32 s44, s27, s34
	v_mfma_f32_16x16x16_bf16 a[12:15], v[6:7], v[4:5], 0
	ds_read2st64_b64 v[2:5], v114 offset0:4 offset1:8
	ds_read2st64_b64 v[6:9], v116 offset0:4 offset1:8
	s_lshl_b64 s[44:45], s[44:45], 2
	s_waitcnt lgkmcnt(1)
	v_mfma_f32_16x16x16_bf16 a[0:3], v[22:23], v[2:3], a[0:3]
	s_add_u32 s44, s42, s44
	s_addc_u32 s45, s43, s45
	s_and_b64 vcc, exec, s[0:1]
	s_waitcnt lgkmcnt(0)
	v_mfma_f32_16x16x16_bf16 a[4:7], v[22:23], v[6:7], a[4:7]
	v_mov_b32_e32 v142, 0
	v_mov_b32_e32 v141, 0
	;; [unrolled: 1-line block ×3, first 2 shown]
	v_mfma_f32_16x16x16_bf16 a[8:11], v[22:23], v[10:11], a[8:11]
	ds_read_b64 v[2:3], v119 offset:49152
	ds_read_b64 v[6:7], v120 offset:49152
	ds_read_b64 v[10:11], v118 offset:6144
	v_mfma_f32_16x16x16_bf16 a[12:15], v[22:23], v[14:15], a[12:15]
	v_mov_b32_e32 v14, 0
	v_mov_b32_e32 v15, 0
	s_waitcnt lgkmcnt(2)
	v_mfma_f32_16x16x16_bf16 a[0:3], v[2:3], v[4:5], a[0:3]
	v_mov_b32_e32 v4, 0
	v_mov_b32_e32 v5, 0
	v_mfma_f32_16x16x16_bf16 a[16:19], v[2:3], v[8:9], a[4:7]
	v_mov_b32_e32 v8, 0
	v_mov_b32_e32 v9, 0
	;; [unrolled: 3-line block ×3, first 2 shown]
	v_mfma_f32_16x16x16_bf16 a[24:27], v[2:3], v[16:17], a[12:15]
	ds_read_b64 v[2:3], v117 offset:6144
	v_mov_b32_e32 v16, 0
	v_mov_b32_e32 v17, 0
	s_waitcnt lgkmcnt(2)
	v_mfma_f32_16x16x16_bf16 a[4:7], v[6:7], v[20:21], a[0:3]
	v_mfma_f32_16x16x16_bf16 a[8:11], v[6:7], v[18:19], a[16:19]
	s_waitcnt lgkmcnt(0)
	v_mfma_f32_16x16x16_bf16 a[12:15], v[6:7], v[2:3], a[20:23]
	v_mov_b32_e32 v2, 0
	v_mov_b32_e32 v3, 0
	v_mfma_f32_16x16x16_bf16 a[0:3], v[6:7], v[10:11], a[24:27]
	v_mov_b32_e32 v6, 0
	v_mov_b32_e32 v7, 0
	;; [unrolled: 1-line block ×4, first 2 shown]
	s_cbranch_vccnz .LBB58_12
; %bb.11:                               ;   in Loop: Header=BB58_6 Depth=1
	s_and_b32 s21, s21, 0xffff
	buffer_load_dwordx4 v[14:17], v93, s[20:23], 0 offen
	buffer_load_dwordx4 v[10:13], v93, s[20:23], s62 offen
	;; [unrolled: 1-line block ×4, first 2 shown]
	v_mov_b32_e32 v141, v95
	v_mov_b32_e32 v140, v96
.LBB58_12:                              ;   in Loop: Header=BB58_6 Depth=1
	ds_read_b64 v[144:145], v113 offset:57344
	ds_read2_b64 v[18:21], v121 offset1:16
	ds_read_b64 v[146:147], v115 offset:57344
	ds_read_b64 v[148:149], v119 offset:57344
	ds_read_b64 v[150:151], v120 offset:57344
	v_add_u32_e32 v143, s63, v89
	s_waitcnt lgkmcnt(3)
	v_mfma_f32_16x16x16_bf16 a[4:7], v[144:145], v[18:19], a[4:7]
	v_mfma_f32_16x16x16_bf16 a[8:11], v[144:145], v[20:21], a[8:11]
	ds_read2_b64 v[18:21], v121 offset0:32 offset1:48
	ds_read2st64_b64 v[22:25], v121 offset0:4 offset1:8
	ds_read2st64_b64 v[26:29], v122 offset0:4 offset1:8
	;; [unrolled: 1-line block ×3, first 2 shown]
	s_waitcnt lgkmcnt(3)
	v_mfma_f32_16x16x16_bf16 a[12:15], v[144:145], v[18:19], a[12:15]
	v_ashrrev_i32_e32 v18, 31, v143
	v_mfma_f32_16x16x16_bf16 a[0:3], v[144:145], v[20:21], a[0:3]
	v_mul_lo_u32 v20, v18, s34
	v_mul_lo_u32 v21, v143, s35
	v_mad_u64_u32 v[18:19], s[20:21], v143, s34, 0
	v_add3_u32 v19, v19, v21, v20
	v_add_u32_e32 v20, 1, v143
	v_ashrrev_i32_e32 v21, 31, v20
	s_waitcnt lgkmcnt(2)
	v_mfma_f32_16x16x16_bf16 a[4:7], v[146:147], v[22:23], a[4:7]
	v_mul_lo_u32 v22, v21, s34
	v_mul_lo_u32 v23, v20, s35
	v_mad_u64_u32 v[20:21], s[20:21], v20, s34, 0
	v_add3_u32 v21, v21, v23, v22
	v_add_u32_e32 v22, 2, v143
	v_ashrrev_i32_e32 v23, 31, v22
	s_waitcnt lgkmcnt(1)
	v_mfma_f32_16x16x16_bf16 a[8:11], v[146:147], v[26:27], a[8:11]
	v_mul_lo_u32 v26, v23, s34
	v_mul_lo_u32 v27, v22, s35
	v_mad_u64_u32 v[22:23], s[20:21], v22, s34, 0
	v_add3_u32 v23, v23, v27, v26
	v_add_u32_e32 v26, 3, v143
	v_ashrrev_i32_e32 v27, 31, v26
	v_mul_lo_u32 v143, v27, s34
	v_mul_lo_u32 v144, v26, s35
	v_mad_u64_u32 v[26:27], s[20:21], v26, s34, 0
	s_add_u32 s20, s16, s63
	s_addc_u32 s21, s17, 0
	v_lshl_add_u64 v[18:19], v[18:19], 2, s[42:43]
	v_add3_u32 v27, v27, v144, v143
	s_lshl_b64 s[20:21], s[20:21], 8
	v_lshl_add_u64 v[20:21], v[20:21], 2, s[42:43]
	v_lshl_add_u64 v[22:23], v[22:23], 2, s[42:43]
	;; [unrolled: 1-line block ×3, first 2 shown]
	global_load_dword v143, v[18:19], off
	global_load_dword v144, v[20:21], off
	;; [unrolled: 1-line block ×4, first 2 shown]
	v_lshl_add_u64 v[18:19], v[80:81], 0, s[20:21]
	v_lshl_add_u64 v[22:23], v[18:19], 0, v[78:79]
	global_load_ushort v153, v[22:23], off offset:256
	global_load_ushort v154, v[22:23], off
	ds_read2st64_b64 v[18:21], v124 offset0:4 offset1:8
	global_load_ushort v155, v[22:23], off offset:768
	global_load_ushort v156, v[22:23], off offset:512
	s_waitcnt lgkmcnt(1)
	v_mfma_f32_16x16x16_bf16 a[12:15], v[146:147], v[30:31], a[12:15]
	s_and_b64 vcc, exec, s[0:1]
	s_waitcnt vmcnt(3)
	v_lshlrev_b32_e32 v31, 16, v153
	s_waitcnt lgkmcnt(0)
	v_mfma_f32_16x16x16_bf16 a[0:3], v[146:147], v[18:19], a[0:3]
	global_load_ushort v146, v[22:23], off offset:288
	global_load_ushort v147, v[22:23], off offset:32
	;; [unrolled: 1-line block ×8, first 2 shown]
	v_mfma_f32_16x16x16_bf16 a[4:7], v[148:149], v[24:25], a[4:7]
	ds_read_b64 v[18:19], v121 offset:6144
	s_waitcnt vmcnt(10)
	v_lshlrev_b32_e32 v30, 16, v154
	v_mfma_f32_16x16x16_bf16 a[8:11], v[148:149], v[28:29], a[8:11]
	v_mfma_f32_16x16x16_bf16 a[12:15], v[148:149], v[32:33], a[12:15]
	;; [unrolled: 1-line block ×3, first 2 shown]
	global_load_ushort v148, v[22:23], off offset:352
	global_load_ushort v149, v[22:23], off offset:96
	ds_read_b64 v[20:21], v122 offset:6144
	ds_read_b64 v[24:25], v123 offset:6144
	;; [unrolled: 1-line block ×3, first 2 shown]
	global_load_ushort v163, v[22:23], off offset:864
	global_load_ushort v164, v[22:23], off offset:608
	s_load_dword s20, s[44:45], 0x0
	s_waitcnt lgkmcnt(0)
	v_mfma_f32_16x16x16_bf16 a[4:7], v[150:151], v[18:19], a[4:7]
	v_sub_f32_e32 v28, s20, v145
	v_mfma_f32_16x16x16_bf16 a[0:3], v[150:151], v[26:27], a[0:3]
	v_sub_f32_e32 v26, s20, v143
	v_sub_f32_e32 v27, s20, v144
	;; [unrolled: 1-line block ×3, first 2 shown]
	v_mfma_f32_16x16x16_bf16 a[8:11], v[150:151], v[20:21], a[8:11]
	v_exp_f32_e32 v26, v26
	v_exp_f32_e32 v27, v27
	;; [unrolled: 1-line block ×4, first 2 shown]
	v_accvgpr_read_b32 v33, a5
	v_accvgpr_read_b32 v32, a4
	v_accvgpr_read_b32 v19, a7
	v_accvgpr_read_b32 v18, a6
	v_pk_add_f32 v[30:31], v[30:31], v[32:33] neg_lo:[0,1] neg_hi:[0,1]
	s_waitcnt vmcnt(13)
	v_lshlrev_b32_e32 v33, 16, v155
	s_waitcnt vmcnt(12)
	v_lshlrev_b32_e32 v32, 16, v156
	v_pk_add_f32 v[18:19], v[32:33], v[18:19] neg_lo:[0,1] neg_hi:[0,1]
	v_pk_mul_f32 v[30:31], v[26:27], v[30:31]
	v_pk_mul_f32 v[18:19], v[28:29], v[18:19]
	v_accvgpr_read_b32 v33, a9
	v_perm_b32 v19, v19, v18, s3
	v_perm_b32 v18, v31, v30, s3
	v_accvgpr_read_b32 v32, a8
	v_accvgpr_read_b32 v21, a11
	v_mfma_f32_16x16x16_bf16 a[12:15], v[150:151], v[24:25], a[12:15]
	v_accvgpr_read_b32 v20, a10
	v_accvgpr_read_b32 v25, a3
	;; [unrolled: 1-line block ×3, first 2 shown]
	v_mov_b32_e32 v143, 0
	s_waitcnt vmcnt(11)
	v_lshlrev_b32_e32 v31, 16, v146
	s_waitcnt vmcnt(10)
	v_lshlrev_b32_e32 v30, 16, v147
	v_pk_add_f32 v[30:31], v[30:31], v[32:33] neg_lo:[0,1] neg_hi:[0,1]
	s_waitcnt vmcnt(9)
	v_lshlrev_b32_e32 v33, 16, v157
	s_waitcnt vmcnt(8)
	v_lshlrev_b32_e32 v32, 16, v158
	v_pk_add_f32 v[20:21], v[32:33], v[20:21] neg_lo:[0,1] neg_hi:[0,1]
	v_pk_mul_f32 v[30:31], v[26:27], v[30:31]
	v_pk_mul_f32 v[20:21], v[28:29], v[20:21]
	v_accvgpr_read_b32 v23, a15
	v_perm_b32 v21, v21, v20, s3
	v_perm_b32 v20, v31, v30, s3
	ds_write2_b64 v98, v[18:19], v[20:21] offset1:16
	v_accvgpr_read_b32 v21, a13
	s_waitcnt vmcnt(7)
	v_lshlrev_b32_e32 v19, 16, v159
	s_waitcnt vmcnt(6)
	v_lshlrev_b32_e32 v18, 16, v160
	v_accvgpr_read_b32 v20, a12
	v_accvgpr_read_b32 v22, a14
	v_pk_add_f32 v[18:19], v[18:19], v[20:21] neg_lo:[0,1] neg_hi:[0,1]
	s_waitcnt vmcnt(5)
	v_lshlrev_b32_e32 v21, 16, v161
	s_waitcnt vmcnt(4)
	v_lshlrev_b32_e32 v20, 16, v162
	v_pk_add_f32 v[20:21], v[20:21], v[22:23] neg_lo:[0,1] neg_hi:[0,1]
	v_pk_mul_f32 v[18:19], v[26:27], v[18:19]
	v_pk_mul_f32 v[20:21], v[28:29], v[20:21]
	v_accvgpr_read_b32 v23, a1
	v_perm_b32 v21, v21, v20, s3
	v_perm_b32 v20, v19, v18, s3
	s_waitcnt vmcnt(3)
	v_lshlrev_b32_e32 v19, 16, v148
	s_waitcnt vmcnt(2)
	v_lshlrev_b32_e32 v18, 16, v149
	v_accvgpr_read_b32 v22, a0
	v_pk_add_f32 v[18:19], v[18:19], v[22:23] neg_lo:[0,1] neg_hi:[0,1]
	s_waitcnt vmcnt(1)
	v_lshlrev_b32_e32 v23, 16, v163
	s_waitcnt vmcnt(0)
	v_lshlrev_b32_e32 v22, 16, v164
	v_pk_add_f32 v[22:23], v[22:23], v[24:25] neg_lo:[0,1] neg_hi:[0,1]
	v_pk_mul_f32 v[18:19], v[26:27], v[18:19]
	v_pk_mul_f32 v[22:23], v[28:29], v[22:23]
	v_mov_b32_e32 v24, 0
	v_perm_b32 v23, v23, v22, s3
	v_perm_b32 v22, v19, v18, s3
	ds_write2_b64 v98, v[20:21], v[22:23] offset0:32 offset1:48
	v_mov_b32_e32 v18, 0
	v_mov_b32_e32 v19, 0
	v_mov_b32_e32 v20, 0
	v_mov_b32_e32 v21, 0
	v_mov_b32_e32 v22, 0
	v_mov_b32_e32 v23, 0
	v_mov_b32_e32 v25, 0
	v_mov_b32_e32 v26, 0
	v_mov_b32_e32 v27, 0
	v_mov_b32_e32 v28, 0
	v_mov_b32_e32 v29, 0
	v_mov_b32_e32 v30, 0
	v_mov_b32_e32 v31, 0
	v_mov_b32_e32 v32, 0
	v_mov_b32_e32 v33, 0
	s_cbranch_vccnz .LBB58_14
; %bb.13:                               ;   in Loop: Header=BB58_6 Depth=1
	s_and_b32 s25, s25, 0xffff
	s_mov_b32 s27, s23
	buffer_load_dwordx4 v[30:33], v135, s[24:27], 0 offen
	buffer_load_dwordx4 v[22:25], v135, s[24:27], s62 offen
	;; [unrolled: 1-line block ×4, first 2 shown]
	v_mov_b32_e32 v142, v92
	v_mov_b32_e32 v143, v91
.LBB58_14:                              ;   in Loop: Header=BB58_6 Depth=1
	s_waitcnt lgkmcnt(0)
	s_barrier
	ds_read_b64 v[152:153], v77
	ds_read2_b64 v[144:147], v128 offset1:16
	ds_read_b64 v[168:169], v137
	ds_read_b64 v[170:171], v138
	;; [unrolled: 1-line block ×3, first 2 shown]
	ds_read2_b64 v[148:151], v128 offset0:32 offset1:48
	s_waitcnt lgkmcnt(4)
	v_mfma_f32_16x16x16_bf16 a[0:3], v[152:153], v[144:145], 0
	ds_read2st64_b64 v[156:159], v130 offset0:4 offset1:8
	ds_read2st64_b64 v[160:163], v131 offset0:4 offset1:8
	;; [unrolled: 1-line block ×3, first 2 shown]
	v_mfma_f32_16x16x16_bf16 a[4:7], v[152:153], v[146:147], 0
	s_add_i32 s21, s57, s69
	s_mul_hi_i32 s25, s21, s13
	s_mul_i32 s21, s21, s13
	s_waitcnt lgkmcnt(3)
	v_mfma_f32_16x16x16_bf16 a[8:11], v[152:153], v[148:149], 0
	s_add_u32 s24, s21, s50
	s_addc_u32 s25, s25, s51
	s_lshl_b64 s[24:25], s[24:25], 15
	v_mfma_f32_16x16x16_bf16 a[12:15], v[152:153], v[150:151], 0
	ds_read2st64_b64 v[152:155], v128 offset0:4 offset1:8
	s_waitcnt lgkmcnt(0)
	v_mfma_f32_16x16x16_bf16 a[0:3], v[168:169], v[152:153], a[0:3]
	v_mfma_f32_16x16x16_bf16 a[4:7], v[168:169], v[156:157], a[4:7]
	;; [unrolled: 1-line block ×8, first 2 shown]
	ds_read_b64 v[168:169], v128 offset:6144
	ds_read_b64 v[170:171], v129 offset:40960
	;; [unrolled: 1-line block ×8, first 2 shown]
	s_waitcnt lgkmcnt(5)
	v_mfma_f32_16x16x16_bf16 a[16:19], v[174:175], v[144:145], 0
	v_mfma_f32_16x16x16_bf16 a[20:23], v[174:175], v[146:147], 0
	ds_read2st64_b64 v[144:147], v125 offset1:8
	v_mfma_f32_16x16x16_bf16 a[24:27], v[174:175], v[148:149], 0
	v_mfma_f32_16x16x16_bf16 a[28:31], v[174:175], v[150:151], 0
	ds_read2st64_b64 v[148:151], v126 offset1:8
	v_mfma_f32_16x16x16_bf16 a[16:19], v[170:171], v[152:153], a[16:19]
	s_waitcnt lgkmcnt(1)
	v_mov_b32_e32 v152, v144
	v_mov_b32_e32 v153, v145
	v_mfma_f32_16x16x16_bf16 a[20:23], v[170:171], v[156:157], a[20:23]
	v_lshl_add_u64 v[156:157], v[82:83], 0, s[24:25]
	v_mfma_f32_16x16x16_bf16 a[24:27], v[170:171], v[160:161], a[24:27]
	v_mfma_f32_16x16x16_bf16 a[28:31], v[170:171], v[164:165], a[28:31]
	;; [unrolled: 1-line block ×3, first 2 shown]
	s_waitcnt lgkmcnt(0)
	v_mov_b32_e32 v154, v148
	v_mov_b32_e32 v155, v149
	;; [unrolled: 1-line block ×3, first 2 shown]
	v_mfma_f32_16x16x16_bf16 a[32:35], v[182:183], v[158:159], a[20:23]
	v_mov_b32_e32 v149, v147
	ds_read2st64_b64 v[144:147], v125 offset0:16 offset1:24
	global_store_dwordx4 v[156:157], v[152:155], off
	v_mfma_f32_16x16x16_bf16 a[24:27], v[182:183], v[162:163], a[24:27]
	ds_read2st64_b64 v[152:155], v126 offset0:16 offset1:24
	v_add_co_u32_e32 v158, vcc, s37, v156
	v_mfma_f32_16x16x16_bf16 a[28:31], v[182:183], v[166:167], a[28:31]
	s_nop 0
	v_addc_co_u32_e32 v159, vcc, 0, v157, vcc
	global_store_dwordx4 v[158:159], v[148:151], off offset:-4096
	v_mfma_f32_16x16x16_bf16 a[0:3], v[172:173], v[168:169], a[0:3]
	s_waitcnt lgkmcnt(1)
	v_mov_b32_e32 v148, v144
	v_add_co_u32_e32 v144, vcc, s39, v156
	v_mfma_f32_16x16x16_bf16 a[4:7], v[172:173], v[176:177], a[4:7]
	v_mov_b32_e32 v149, v145
	v_addc_co_u32_e32 v145, vcc, 0, v157, vcc
	v_mfma_f32_16x16x16_bf16 a[8:11], v[172:173], v[178:179], a[8:11]
	s_waitcnt lgkmcnt(0)
	v_mov_b32_e32 v150, v152
	v_mov_b32_e32 v151, v153
	;; [unrolled: 1-line block ×3, first 2 shown]
	v_mfma_f32_16x16x16_bf16 a[12:15], v[172:173], v[180:181], a[12:15]
	v_mov_b32_e32 v153, v147
	s_and_b64 vcc, exec, s[0:1]
	global_store_dwordx4 v[158:159], v[148:151], off
	v_mfma_f32_16x16x16_bf16 a[20:23], v[184:185], v[168:169], a[16:19]
	global_store_dwordx4 v[144:145], v[152:155], off
	v_mfma_f32_16x16x16_bf16 a[16:19], v[184:185], v[176:177], a[32:35]
	v_mfma_f32_16x16x16_bf16 a[24:27], v[184:185], v[178:179], a[24:27]
	;; [unrolled: 1-line block ×3, first 2 shown]
	s_cbranch_vccnz .LBB58_16
; %bb.15:                               ;   in Loop: Header=BB58_6 Depth=1
	v_lshrrev_b32_e32 v144, 3, v142
	v_and_b32_e32 v144, 6, v144
	v_xor_b32_e32 v143, v144, v143
	v_lshlrev_b32_e32 v143, 2, v143
	v_and_b32_e32 v142, 8, v142
	v_xor_b32_e32 v145, 0x440, v143
	v_cmp_eq_u32_e32 vcc, 0, v142
	s_barrier
	s_nop 0
	v_cndmask_b32_e32 v142, v145, v143, vcc
	v_lshl_or_b32 v142, v144, 10, v142
	s_waitcnt vmcnt(5)
	v_perm_b32 v143, v30, v26, s64
	s_waitcnt vmcnt(4)
	v_perm_b32 v144, v22, v18, s64
	ds_write2st64_b32 v142, v143, v144 offset0:128 offset1:160
	v_xor_b32_e32 v143, 8, v142
	v_perm_b32 v26, v30, v26, s65
	v_perm_b32 v18, v22, v18, s65
	v_add_u32_e32 v22, 0x80, v143
	ds_write2st64_b32 v22, v26, v18 offset0:128 offset1:160
	v_xor_b32_e32 v18, 16, v142
	v_perm_b32 v22, v31, v27, s64
	v_perm_b32 v26, v23, v19, s64
	ds_write2st64_b32 v18, v22, v26 offset0:129 offset1:161
	v_xor_b32_e32 v18, 24, v142
	v_perm_b32 v22, v31, v27, s65
	v_perm_b32 v19, v23, v19, s65
	v_add_u32_e32 v18, 0x80, v18
	ds_write2st64_b32 v18, v22, v19 offset0:129 offset1:161
	v_xor_b32_e32 v18, 32, v142
	v_perm_b32 v19, v32, v28, s64
	;; [unrolled: 9-line block ×3, first 2 shown]
	v_perm_b32 v20, v25, v21, s64
	ds_write2st64_b32 v18, v19, v20 offset0:131 offset1:163
	v_xor_b32_e32 v18, 56, v142
	v_perm_b32 v19, v33, v29, s65
	v_perm_b32 v20, v25, v21, s65
	v_add_u32_e32 v18, 0x80, v18
	ds_write2st64_b32 v18, v19, v20 offset0:131 offset1:163
	ds_write_b64 v141, v[14:15] offset:49152
	v_xor_b32_e32 v14, 8, v141
	ds_write_b64 v14, v[16:17] offset:49152
	ds_write_b64 v141, v[10:11] offset:57344
	;; [unrolled: 1-line block ×4, first 2 shown]
	v_xor_b32_e32 v6, 8, v140
	ds_write_b64 v6, v[8:9] offset:49152
	ds_write_b64 v140, v[2:3] offset:57344
	;; [unrolled: 1-line block ×3, first 2 shown]
.LBB58_16:                              ;   in Loop: Header=BB58_6 Depth=1
	v_exp_f32_e32 v140, s20
	v_accvgpr_read_b32 v5, a3
	v_accvgpr_read_b32 v9, a7
	;; [unrolled: 1-line block ×4, first 2 shown]
	s_waitcnt vmcnt(4)
	v_accvgpr_read_b32 v18, a20
	v_accvgpr_read_b32 v25, a19
	;; [unrolled: 1-line block ×28, first 2 shown]
	s_add_i32 s63, s63, 64
	v_pk_fma_f32 v[70:71], v[70:71], v[140:141], v[2:3] op_sel_hi:[1,0,1]
	v_pk_fma_f32 v[74:75], v[74:75], v[140:141], v[4:5] op_sel_hi:[1,0,1]
	;; [unrolled: 1-line block ×15, first 2 shown]
	s_cmp_eq_u32 s54, s68
	v_pk_fma_f32 v[48:49], v[48:49], v[140:141], v[32:33] op_sel_hi:[1,0,1]
	s_cbranch_scc1 .LBB58_18
; %bb.17:                               ;   in Loop: Header=BB58_6 Depth=1
	s_mov_b32 s69, s68
	s_branch .LBB58_6
.LBB58_18:
	s_lshl_b32 s26, s54, 6
	s_sub_i32 s27, s12, s26
	s_cmp_gt_i32 s27, 0
	s_cbranch_scc0 .LBB58_99
; %bb.19:
	s_ashr_i32 s3, s26, 31
	s_cmpk_lg_i32 s15, 0x80
	s_cselect_b64 s[22:23], -1, 0
	s_and_b64 vcc, exec, s[22:23]
	s_cbranch_vccz .LBB58_21
; %bb.20:
	s_mul_i32 s1, s53, s12
	s_mul_hi_i32 s0, s53, s12
	s_add_u32 s1, s1, s26
	s_addc_u32 s0, s0, s3
	s_mul_i32 s17, s1, s55
	s_mul_hi_u32 s20, s1, s14
	s_add_i32 s17, s20, s17
	s_mul_i32 s0, s0, s14
	s_add_i32 s17, s17, s0
	s_mul_i32 s1, s1, s14
	s_ashr_i32 s0, s56, 31
	s_add_u32 s24, s1, s56
	s_addc_u32 s25, s17, s0
	s_cbranch_execz .LBB58_22
	s_branch .LBB58_23
.LBB58_21:
                                        ; implicit-def: $sgpr24_sgpr25
.LBB58_22:
	s_mul_hi_i32 s0, s53, s14
	s_mul_i32 s53, s53, s14
	s_ashr_i32 s1, s56, 31
	s_add_u32 s14, s53, s56
	s_addc_u32 s0, s0, s1
	s_mul_i32 s1, s14, s52
	s_mul_hi_u32 s17, s14, s12
	s_add_i32 s1, s17, s1
	s_mul_i32 s0, s0, s12
	s_add_i32 s1, s1, s0
	s_mul_i32 s14, s14, s12
	s_add_u32 s24, s14, s26
	s_addc_u32 s25, s1, s3
.LBB58_23:
	s_mul_i32 s0, s40, s52
	s_add_i32 s0, s59, s0
	s_add_i32 s14, s57, s54
	;; [unrolled: 1-line block ×3, first 2 shown]
	s_add_u32 s0, s16, s26
	v_lshlrev_b32_e32 v6, 6, v89
	v_lshlrev_b32_e32 v24, 2, v86
	s_addc_u32 s1, s1, s3
	s_mov_b32 s3, 0x7060302
	v_or_b32_e32 v9, v6, v24
	v_xor_b32_e32 v7, v89, v24
	v_perm_b32 v3, v75, v74, s3
	v_perm_b32 v2, v71, v70, s3
	;; [unrolled: 1-line block ×4, first 2 shown]
	v_lshlrev_b32_e32 v9, 1, v9
	v_xor_b32_e32 v8, v90, v24
	ds_write2st64_b64 v9, v[2:3], v[4:5] offset0:32 offset1:48
	v_lshlrev_b32_e32 v7, 1, v7
	v_lshlrev_b32_e32 v9, 8, v86
	v_or_b32_e32 v10, v7, v9
	v_lshlrev_b32_e32 v8, 1, v8
	ds_write_b64 v10, v[2:3]
	v_or_b32_e32 v2, v8, v9
	v_or_b32_e32 v9, 16, v86
	v_lshlrev_b32_e32 v23, 2, v9
	v_or_b32_e32 v10, v6, v23
	ds_write_b64 v2, v[4:5]
	v_perm_b32 v3, v67, v66, s3
	v_perm_b32 v2, v63, v62, s3
	;; [unrolled: 1-line block ×4, first 2 shown]
	v_lshlrev_b32_e32 v10, 1, v10
	v_lshlrev_b32_e32 v9, 8, v9
	ds_write2st64_b64 v10, v[2:3], v[4:5] offset0:32 offset1:48
	v_or_b32_e32 v10, v7, v9
	ds_write_b64 v10, v[2:3]
	v_or_b32_e32 v2, v8, v9
	v_or_b32_e32 v9, 32, v86
	v_lshlrev_b32_e32 v22, 2, v9
	v_or_b32_e32 v10, v6, v22
	ds_write_b64 v2, v[4:5]
	v_perm_b32 v3, v59, v58, s3
	v_perm_b32 v2, v55, v54, s3
	;; [unrolled: 1-line block ×4, first 2 shown]
	v_lshlrev_b32_e32 v10, 1, v10
	v_lshlrev_b32_e32 v9, 8, v9
	s_lshl_b64 s[20:21], s[0:1], 8
	ds_write2st64_b64 v10, v[2:3], v[4:5] offset0:32 offset1:48
	v_or_b32_e32 v10, v7, v9
	s_waitcnt lgkmcnt(0)
	s_add_u32 s0, s6, s20
	ds_write_b64 v10, v[2:3]
	v_or_b32_e32 v2, v8, v9
	s_addc_u32 s1, s7, s21
	ds_write_b64 v2, v[4:5]
	v_perm_b32 v3, v53, v52, s3
	v_perm_b32 v2, v47, v46, s3
	;; [unrolled: 1-line block ×4, first 2 shown]
	v_or_b32_e32 v9, 48, v86
	s_mul_hi_i32 s3, s14, s13
	s_mul_i32 s14, s14, s13
	v_lshlrev_b32_e32 v19, 2, v9
	s_add_u32 s6, s14, s50
	v_or_b32_e32 v6, v6, v19
	s_addc_u32 s7, s3, s51
	v_lshlrev_b32_e32 v6, 1, v6
	s_ashr_i32 s3, s2, 31
	s_lshl_b64 s[6:7], s[6:7], 15
	ds_write2st64_b64 v6, v[2:3], v[4:5] offset0:32 offset1:48
	v_lshlrev_b32_e32 v6, 8, v9
	s_add_u32 s6, s18, s6
	v_or_b32_e32 v7, v7, v6
	s_addc_u32 s7, s19, s7
	s_lshl_b64 s[2:3], s[2:3], 8
	ds_write_b64 v7, v[2:3]
	v_or_b32_e32 v2, v8, v6
	s_add_u32 s2, s6, s2
	v_lshlrev_b32_e32 v3, 1, v86
	ds_write_b64 v2, v[4:5]
	v_lshrrev_b32_e32 v2, 4, v0
	s_addc_u32 s3, s7, s3
	v_or_b32_e32 v4, 1, v3
	v_lshlrev_b32_e32 v10, 4, v86
	v_mov_b32_e32 v11, 0
	v_xor_b32_e32 v3, v2, v3
	v_xor_b32_e32 v6, v4, v2
	v_lshl_add_u64 v[12:13], s[2:3], 0, v[10:11]
	v_lshlrev_b32_e32 v10, 8, v2
	v_lshl_or_b32 v16, v3, 3, v10
	v_lshl_or_b32 v17, v6, 3, v10
	s_waitcnt lgkmcnt(0)
	s_barrier
	ds_read2st64_b64 v[2:5], v16 offset1:8
	ds_read2st64_b64 v[6:9], v17 offset1:8
	v_lshl_add_u64 v[14:15], v[12:13], 0, v[10:11]
	s_movk_i32 s2, 0x2000
	s_cmp_lg_u32 s27, 64
	s_waitcnt lgkmcnt(1)
	v_mov_b32_e32 v10, v2
	v_mov_b32_e32 v11, v3
	s_waitcnt lgkmcnt(0)
	v_mov_b32_e32 v12, v6
	v_mov_b32_e32 v13, v7
	global_store_dwordx4 v[14:15], v[10:13], off
	v_mov_b32_e32 v6, v4
	v_mov_b32_e32 v7, v5
	ds_read2st64_b64 v[2:5], v16 offset0:16 offset1:24
	ds_read2st64_b64 v[10:13], v17 offset0:16 offset1:24
	v_add_co_u32_e32 v16, vcc, s2, v14
	s_cselect_b64 s[6:7], -1, 0
	s_nop 0
	v_addc_co_u32_e32 v17, vcc, 0, v15, vcc
	global_store_dwordx4 v[16:17], v[6:9], off offset:-4096
	v_lshl_or_b32 v30, v1, 3, v87
	s_mov_b32 s16, 0
	s_waitcnt lgkmcnt(1)
	v_mov_b32_e32 v6, v2
	v_add_co_u32_e32 v2, vcc, 0x3000, v14
	v_mov_b32_e32 v7, v3
	s_nop 0
	v_addc_co_u32_e32 v3, vcc, 0, v15, vcc
	s_waitcnt lgkmcnt(0)
	v_mov_b32_e32 v8, v10
	v_mov_b32_e32 v9, v11
	;; [unrolled: 1-line block ×4, first 2 shown]
	v_or_b32_e32 v20, 32, v30
	v_and_b32_e32 v18, 56, v88
	s_and_b64 vcc, exec, s[6:7]
	global_store_dwordx4 v[16:17], v[6:9], off
	global_store_dwordx4 v[2:3], v[10:13], off
	s_cbranch_vccz .LBB58_29
; %bb.24:
	s_mov_b32 s17, s16
	s_mov_b32 s18, s16
	;; [unrolled: 1-line block ×3, first 2 shown]
	v_mov_b64_e32 v[6:7], s[16:17]
	v_mov_b64_e32 v[8:9], s[18:19]
	v_mov_b64_e32 v[2:3], v[6:7]
	v_cmp_gt_i32_e32 vcc, s27, v30
	v_mov_b64_e32 v[4:5], v[8:9]
	s_and_saveexec_b64 s[2:3], vcc
	s_cbranch_execz .LBB58_26
; %bb.25:
	v_lshlrev_b32_e32 v2, 8, v30
	v_mov_b32_e32 v3, 0
	v_lshl_add_u64 v[4:5], s[0:1], 0, v[2:3]
	v_lshlrev_b32_e32 v2, 1, v18
	v_lshl_add_u64 v[10:11], v[4:5], 0, v[2:3]
	global_load_dwordx4 v[6:9], v[10:11], off
	global_load_dwordx4 v[2:5], v[10:11], off offset:128
.LBB58_26:
	s_or_b64 exec, exec, s[2:3]
	s_mov_b32 s17, s16
	s_mov_b32 s18, s16
	;; [unrolled: 1-line block ×3, first 2 shown]
	v_mov_b64_e32 v[14:15], s[16:17]
	v_mov_b64_e32 v[16:17], s[18:19]
	v_mov_b64_e32 v[10:11], v[14:15]
	v_cmp_gt_i32_e32 vcc, s27, v20
	v_lshlrev_b32_e32 v21, 7, v20
	v_mov_b64_e32 v[12:13], v[16:17]
	s_and_saveexec_b64 s[2:3], vcc
	s_cbranch_execz .LBB58_28
; %bb.27:
	v_lshlrev_b32_e32 v10, 1, v21
	v_mov_b32_e32 v11, 0
	v_lshl_add_u64 v[12:13], s[0:1], 0, v[10:11]
	v_lshlrev_b32_e32 v10, 1, v18
	v_lshl_add_u64 v[26:27], v[12:13], 0, v[10:11]
	global_load_dwordx4 v[14:17], v[26:27], off
	global_load_dwordx4 v[10:13], v[26:27], off offset:128
.LBB58_28:
	s_or_b64 exec, exec, s[2:3]
	v_lshrrev_b32_e32 v25, 3, v18
	v_lshlrev_b32_e32 v26, 3, v30
	v_or_b32_e32 v25, v26, v25
	v_lshlrev_b32_e32 v25, 4, v25
	v_and_b32_e32 v26, 0x78, v26
	v_xor_b32_e32 v25, v25, v26
	s_branch .LBB58_31
.LBB58_29:
                                        ; implicit-def: $vgpr25
                                        ; implicit-def: $vgpr21
                                        ; implicit-def: $vgpr6_vgpr7_vgpr8_vgpr9
                                        ; implicit-def: $vgpr2_vgpr3_vgpr4_vgpr5
                                        ; implicit-def: $vgpr14_vgpr15_vgpr16_vgpr17
                                        ; implicit-def: $vgpr10_vgpr11_vgpr12_vgpr13
	s_cbranch_execz .LBB58_31
; %bb.30:
	s_waitcnt vmcnt(0)
	v_lshlrev_b32_e32 v2, 1, v18
	v_lshl_or_b32 v21, v30, 8, v2
	s_and_b32 s1, s1, 0xffff
	s_mov_b32 s3, 0x20000
	s_movk_i32 s2, 0x4000
	v_lshl_or_b32 v25, v20, 8, v2
	s_movk_i32 s13, 0x80
	buffer_load_dwordx4 v[6:9], v21, s[0:3], 0 offen
	buffer_load_dwordx4 v[2:5], v21, s[0:3], s13 offen
	;; [unrolled: 1-line block ×4, first 2 shown]
	v_lshrrev_b32_e32 v21, 3, v18
	v_lshlrev_b32_e32 v25, 3, v30
	v_or_b32_e32 v21, v25, v21
	v_lshlrev_b32_e32 v21, 4, v21
	v_and_b32_e32 v25, 0x78, v25
	v_xor_b32_e32 v25, v21, v25
	v_lshlrev_b32_e32 v21, 7, v20
.LBB58_31:
	s_movk_i32 s0, 0x1000
	v_and_or_b32 v20, v21, s0, v25
	s_waitcnt vmcnt(1)
	ds_write_b64 v25, v[6:7] offset:49152
	v_xor_b32_e32 v6, 8, v25
	ds_write_b64 v6, v[8:9] offset:49152
	s_waitcnt vmcnt(0)
	ds_write_b64 v25, v[2:3] offset:57344
	ds_write_b64 v6, v[4:5] offset:57344
	;; [unrolled: 1-line block ×3, first 2 shown]
	v_xor_b32_e32 v2, 8, v20
	ds_write_b64 v2, v[16:17] offset:49152
	ds_write_b64 v20, v[10:11] offset:57344
	;; [unrolled: 1-line block ×3, first 2 shown]
	v_or_b32_e32 v2, v84, v86
	v_lshlrev_b32_e32 v2, 3, v2
	v_lshrrev_b32_e32 v3, 5, v35
	s_movk_i32 s0, 0xf8
	v_and_or_b32 v3, v2, s0, v3
	v_lshlrev_b32_e32 v7, 4, v3
	v_lshlrev_b32_e32 v25, 11, v1
	v_and_b32_e32 v8, 0x78, v2
	v_or_b32_e32 v10, 32, v7
	v_and_b32_e32 v6, 0x1000, v25
	v_lshrrev_b32_e32 v3, 1, v35
	v_xor_b32_e32 v10, v10, v8
	v_xor_b32_e32 v2, v7, v8
	v_and_b32_e32 v9, 8, v3
	v_or_b32_e32 v10, v10, v6
	v_or_b32_e32 v2, v2, v6
	v_xor_b32_e32 v32, v10, v9
	v_or_b32_e32 v10, 64, v7
	v_xor_b32_e32 v31, v2, v9
	v_xor_b32_e32 v10, v10, v8
	s_waitcnt lgkmcnt(0)
	s_barrier
	v_or_b32_e32 v13, v10, v6
	ds_read_b64 v[10:11], v31 offset:49152
	v_lshl_or_b32 v14, v85, 8, v24
	v_lshlrev_b32_e32 v26, 1, v14
	v_add_u32_e32 v12, 0x4000, v26
	ds_read2_b64 v[2:5], v12 offset1:16
	v_or_b32_e32 v7, 0x60, v7
	v_xor_b32_e32 v7, v7, v8
	v_or_b32_e32 v6, v7, v6
	v_xor_b32_e32 v33, v13, v9
	v_xor_b32_e32 v77, v6, v9
	ds_read_b64 v[20:21], v32 offset:49152
	ds_read_b64 v[78:79], v33 offset:49152
	ds_read_b64 v[80:81], v77 offset:49152
	s_waitcnt lgkmcnt(3)
	v_mfma_f32_16x16x16_bf16 a[0:3], v[10:11], v[2:3], 0
	ds_read2st64_b64 v[6:9], v26 offset0:36 offset1:40
	s_lshl_b64 s[0:1], s[24:25], 8
	s_add_u32 s4, s4, s0
	v_mfma_f32_16x16x16_bf16 a[4:7], v[10:11], v[4:5], 0
	ds_read2_b64 v[2:5], v12 offset0:32 offset1:48
	s_addc_u32 s5, s5, s1
	s_add_i32 s1, s46, s33
	s_waitcnt lgkmcnt(0)
	v_mfma_f32_16x16x16_bf16 a[8:11], v[10:11], v[2:3], 0
	v_or_b32_e32 v2, 64, v14
	v_lshlrev_b32_e32 v27, 1, v2
	s_add_i32 s0, s12, -1
	v_mfma_f32_16x16x16_bf16 a[12:15], v[10:11], v[4:5], 0
	ds_read2st64_b64 v[2:5], v27 offset0:36 offset1:40
	s_add_i32 s39, s1, s41
	s_add_i32 s1, s48, s47
	v_mfma_f32_16x16x16_bf16 a[0:3], v[20:21], v[6:7], a[0:3]
	v_or_b32_e32 v6, 0x80, v14
	v_lshlrev_b32_e32 v28, 1, v6
	ds_read2st64_b64 v[10:13], v28 offset0:36 offset1:40
	s_waitcnt lgkmcnt(1)
	v_mfma_f32_16x16x16_bf16 a[4:7], v[20:21], v[2:3], a[4:7]
	v_or_b32_e32 v2, 0xc0, v14
	v_lshlrev_b32_e32 v29, 1, v2
	ds_read2st64_b64 v[14:17], v29 offset0:36 offset1:40
	s_add_i32 s37, s1, s49
	s_ashr_i32 s1, s0, 31
	s_mul_i32 s2, s0, s35
	s_mul_hi_u32 s3, s0, s34
	s_add_i32 s2, s3, s2
	s_mul_i32 s1, s1, s34
	s_waitcnt lgkmcnt(1)
	v_mfma_f32_16x16x16_bf16 a[8:11], v[20:21], v[10:11], a[8:11]
	s_add_i32 s1, s2, s1
	s_lshl_b64 s[2:3], s[38:39], 2
	s_add_u32 s10, s10, s2
	s_waitcnt lgkmcnt(0)
	v_mfma_f32_16x16x16_bf16 a[12:15], v[20:21], v[14:15], a[12:15]
	s_addc_u32 s11, s11, s3
	s_lshl_b64 s[2:3], s[36:37], 2
	s_mul_i32 s0, s0, s34
	v_mfma_f32_16x16x16_bf16 a[0:3], v[78:79], v[8:9], a[0:3]
	ds_read_b64 v[2:3], v26 offset:22528
	s_add_u32 s10, s10, s2
	s_addc_u32 s11, s11, s3
	v_mfma_f32_16x16x16_bf16 a[4:7], v[78:79], v[4:5], a[4:7]
	ds_read_b64 v[4:5], v27 offset:22528
	ds_read_b64 v[6:7], v28 offset:22528
	;; [unrolled: 1-line block ×3, first 2 shown]
	s_lshl_b64 s[0:1], s[0:1], 2
	s_add_u32 s0, s10, s0
	v_mfma_f32_16x16x16_bf16 a[8:11], v[78:79], v[12:13], a[8:11]
	s_addc_u32 s1, s11, s1
	s_load_dword s12, s[0:1], 0x0
	s_and_b64 vcc, exec, s[22:23]
	v_mfma_f32_16x16x16_bf16 a[12:15], v[78:79], v[16:17], a[12:15]
	s_waitcnt lgkmcnt(0)
	v_mfma_f32_16x16x16_bf16 a[0:3], v[80:81], v[2:3], a[0:3]
	v_mfma_f32_16x16x16_bf16 a[4:7], v[80:81], v[4:5], a[4:7]
	;; [unrolled: 1-line block ×4, first 2 shown]
	s_cbranch_vccz .LBB58_42
; %bb.32:
	v_lshlrev_b32_e32 v20, 1, v30
	s_and_b64 vcc, exec, s[6:7]
	s_cbranch_vccz .LBB58_43
; %bb.33:
	v_cmp_gt_i32_e32 vcc, s27, v20
	v_mov_b32_e32 v6, 0
	v_mov_b32_e32 v2, 0
	;; [unrolled: 1-line block ×5, first 2 shown]
	s_and_saveexec_b64 s[0:1], vcc
	s_cbranch_execz .LBB58_35
; %bb.34:
	v_mad_i64_i32 v[2:3], s[2:3], s15, v20, 0
	v_lshl_add_u64 v[2:3], v[2:3], 1, s[4:5]
	v_lshlrev_b32_e32 v4, 1, v18
	v_mov_b32_e32 v5, 0
	v_lshl_add_u64 v[2:3], v[2:3], 0, v[4:5]
	global_load_dwordx4 v[2:5], v[2:3], off
.LBB58_35:
	s_or_b64 exec, exec, s[0:1]
	v_or_b32_e32 v21, 1, v20
	v_cmp_gt_i32_e64 s[0:1], s27, v21
	v_mov_b32_e32 v7, 0
	v_mov_b32_e32 v8, 0
	;; [unrolled: 1-line block ×3, first 2 shown]
	s_and_saveexec_b64 s[2:3], s[0:1]
	s_cbranch_execz .LBB58_37
; %bb.36:
	v_mad_i64_i32 v[6:7], s[16:17], s15, v21, 0
	v_lshl_add_u64 v[6:7], v[6:7], 1, s[4:5]
	v_lshlrev_b32_e32 v8, 1, v18
	v_mov_b32_e32 v9, 0
	v_lshl_add_u64 v[6:7], v[6:7], 0, v[8:9]
	global_load_dwordx4 v[6:9], v[6:7], off
.LBB58_37:
	s_or_b64 exec, exec, s[2:3]
	v_mov_b32_e32 v17, 0
	v_mov_b32_e32 v10, 0
	v_mov_b32_e32 v11, 0
	v_mov_b32_e32 v12, 0
	v_mov_b32_e32 v13, 0
	s_and_saveexec_b64 s[2:3], vcc
	s_cbranch_execz .LBB58_39
; %bb.38:
	v_mad_i64_i32 v[10:11], s[16:17], s15, v20, 0
	v_lshl_add_u64 v[10:11], v[10:11], 1, s[4:5]
	v_lshlrev_b32_e32 v12, 1, v18
	v_mov_b32_e32 v13, 0
	v_lshl_add_u64 v[10:11], v[10:11], 0, v[12:13]
	global_load_dwordx4 v[10:13], v[10:11], off offset:128
.LBB58_39:
	s_or_b64 exec, exec, s[2:3]
	v_mov_b32_e32 v16, 0
	v_mov_b32_e32 v15, 0
	;; [unrolled: 1-line block ×3, first 2 shown]
	s_and_saveexec_b64 s[2:3], s[0:1]
	s_cbranch_execz .LBB58_41
; %bb.40:
	v_mad_i64_i32 v[14:15], s[0:1], s15, v21, 0
	v_lshl_add_u64 v[14:15], v[14:15], 1, s[4:5]
	v_lshlrev_b32_e32 v16, 1, v18
	v_mov_b32_e32 v17, 0
	v_lshl_add_u64 v[14:15], v[14:15], 0, v[16:17]
	global_load_dwordx4 v[14:17], v[14:15], off offset:128
.LBB58_41:
	s_or_b64 exec, exec, s[2:3]
	s_branch .LBB58_45
.LBB58_42:
                                        ; implicit-def: $vgpr5
                                        ; implicit-def: $vgpr9
                                        ; implicit-def: $vgpr13
                                        ; implicit-def: $vgpr17
	v_lshrrev_b32_e32 v35, 2, v35
	s_branch .LBB58_46
.LBB58_43:
                                        ; implicit-def: $vgpr5
                                        ; implicit-def: $vgpr9
                                        ; implicit-def: $vgpr13
                                        ; implicit-def: $vgpr17
	s_cbranch_execz .LBB58_45
; %bb.44:
	s_waitcnt vmcnt(0)
	v_mad_u64_u32 v[2:3], s[0:1], v20, s15, v[18:19]
	v_lshlrev_b32_e32 v20, 1, v2
	s_lshl_b32 s2, s15, 7
	s_and_b32 s1, s5, 0xffff
	s_mov_b32 s3, 0x20000
	s_mov_b32 s0, s4
	v_add_lshl_u32 v21, v2, s15, 1
	s_movk_i32 s13, 0x80
	buffer_load_dwordx4 v[2:5], v20, s[0:3], 0 offen
	buffer_load_dwordx4 v[10:13], v20, s[0:3], s13 offen
	;; [unrolled: 1-line block ×4, first 2 shown]
.LBB58_45:
	v_lshrrev_b32_e32 v35, 2, v35
	s_cbranch_execnz .LBB58_58
.LBB58_46:
	s_and_b64 vcc, exec, s[6:7]
	s_cbranch_vccz .LBB58_56
; %bb.47:
	s_waitcnt vmcnt(0)
	v_lshlrev_b32_e32 v7, 1, v30
	v_cmp_gt_i32_e32 vcc, s27, v7
	v_mov_b32_e32 v6, 0
	v_lshlrev_b32_e32 v14, 9, v30
	v_mov_b32_e32 v2, 0
	v_mov_b32_e32 v3, 0
	;; [unrolled: 1-line block ×4, first 2 shown]
	s_and_saveexec_b64 s[0:1], vcc
	s_cbranch_execz .LBB58_49
; %bb.48:
	v_mov_b32_e32 v15, 0
	v_lshl_add_u64 v[2:3], s[4:5], 0, v[14:15]
	v_lshlrev_b32_e32 v4, 1, v18
	v_mov_b32_e32 v5, v15
	v_lshl_add_u64 v[2:3], v[2:3], 0, v[4:5]
	global_load_dwordx4 v[2:5], v[2:3], off
.LBB58_49:
	s_or_b64 exec, exec, s[0:1]
	v_or_b32_e32 v7, 1, v7
	v_cmp_gt_i32_e64 s[0:1], s27, v7
	v_lshlrev_b32_e32 v20, 8, v7
	v_mov_b32_e32 v7, 0
	v_mov_b32_e32 v8, 0
	;; [unrolled: 1-line block ×3, first 2 shown]
	s_and_saveexec_b64 s[2:3], s[0:1]
	s_cbranch_execz .LBB58_51
; %bb.50:
	v_mov_b32_e32 v21, 0
	v_lshl_add_u64 v[6:7], s[4:5], 0, v[20:21]
	v_lshlrev_b32_e32 v8, 1, v18
	v_mov_b32_e32 v9, v21
	v_lshl_add_u64 v[6:7], v[6:7], 0, v[8:9]
	global_load_dwordx4 v[6:9], v[6:7], off
.LBB58_51:
	s_or_b64 exec, exec, s[2:3]
	v_mov_b32_e32 v17, 0
	v_mov_b32_e32 v10, 0
	;; [unrolled: 1-line block ×5, first 2 shown]
	s_and_saveexec_b64 s[2:3], vcc
	s_cbranch_execz .LBB58_53
; %bb.52:
	v_mov_b32_e32 v15, 0
	v_lshl_add_u64 v[10:11], s[4:5], 0, v[14:15]
	v_lshlrev_b32_e32 v14, 1, v18
	v_lshl_add_u64 v[10:11], v[10:11], 0, v[14:15]
	global_load_dwordx4 v[10:13], v[10:11], off offset:128
.LBB58_53:
	s_or_b64 exec, exec, s[2:3]
	v_mov_b32_e32 v16, 0
	v_mov_b32_e32 v15, 0
	;; [unrolled: 1-line block ×3, first 2 shown]
	s_and_saveexec_b64 s[2:3], s[0:1]
	s_cbranch_execz .LBB58_55
; %bb.54:
	v_mov_b32_e32 v21, 0
	v_lshl_add_u64 v[14:15], s[4:5], 0, v[20:21]
	v_lshlrev_b32_e32 v20, 1, v18
	v_lshl_add_u64 v[14:15], v[14:15], 0, v[20:21]
	global_load_dwordx4 v[14:17], v[14:15], off offset:128
.LBB58_55:
	s_or_b64 exec, exec, s[2:3]
	s_branch .LBB58_58
.LBB58_56:
                                        ; implicit-def: $vgpr5
                                        ; implicit-def: $vgpr9
                                        ; implicit-def: $vgpr13
                                        ; implicit-def: $vgpr17
	s_cbranch_execz .LBB58_58
; %bb.57:
	s_waitcnt vmcnt(0)
	v_lshlrev_b32_e32 v2, 1, v18
	v_lshl_or_b32 v18, v30, 9, v2
	s_and_b32 s5, s5, 0xffff
	s_mov_b32 s7, 0x20000
	s_movk_i32 s6, 0x4000
	s_movk_i32 s0, 0x80
	buffer_load_dwordx4 v[2:5], v18, s[4:7], 0 offen
	buffer_load_dwordx4 v[6:9], v18, s[4:7], 0 offen offset:256
	buffer_load_dwordx4 v[10:13], v18, s[4:7], s0 offen
	buffer_load_dwordx4 v[14:17], v18, s[4:7], s0 offen offset:256
.LBB58_58:
	ds_read_b64 v[20:21], v31 offset:57344
	v_add_u32_e32 v18, 0x6000, v26
	ds_read2_b64 v[78:81], v18 offset1:16
	ds_read_b64 v[82:83], v32 offset:57344
	ds_read_b64 v[32:33], v33 offset:57344
	;; [unrolled: 1-line block ×3, first 2 shown]
	ds_read2st64_b64 v[86:89], v26 offset0:52 offset1:56
	v_and_b32_e32 v31, 1, v0
	v_cmp_eq_u32_e32 vcc, 0, v31
	s_mov_b32 s0, 0x1000504
	s_waitcnt vmcnt(0)
	v_perm_b32 v31, v10, v14, s0
	s_mov_b32 s1, 0x3020706
	s_waitcnt lgkmcnt(4)
	v_mfma_f32_16x16x16_bf16 a[0:3], v[20:21], v[78:79], a[0:3]
	v_mfma_f32_16x16x16_bf16 a[4:7], v[20:21], v[80:81], a[4:7]
	ds_read2_b64 v[78:81], v18 offset0:32 offset1:48
	v_and_b32_e32 v18, 6, v0
	v_xor_b32_e32 v30, v30, v18
	s_waitcnt lgkmcnt(0)
	v_mfma_f32_16x16x16_bf16 a[8:11], v[20:21], v[78:79], a[8:11]
	v_lshlrev_b32_e32 v30, 2, v30
	v_xor_b32_e32 v77, 0x440, v30
	v_cndmask_b32_e32 v30, v77, v30, vcc
	v_mfma_f32_16x16x16_bf16 a[12:15], v[20:21], v[80:81], a[12:15]
	ds_read2st64_b64 v[78:81], v27 offset0:52 offset1:56
	ds_read2st64_b64 v[90:93], v28 offset0:52 offset1:56
	;; [unrolled: 1-line block ×3, first 2 shown]
	v_lshl_or_b32 v18, v18, 10, v30
	v_perm_b32 v30, v2, v6, s0
	v_mfma_f32_16x16x16_bf16 a[0:3], v[82:83], v[86:87], a[0:3]
	ds_read_b64 v[20:21], v26 offset:30720
	ds_read_b64 v[86:87], v27 offset:30720
	;; [unrolled: 1-line block ×4, first 2 shown]
	ds_write2st64_b32 v18, v30, v31 offset0:128 offset1:160
	v_xor_b32_e32 v30, 8, v18
	s_waitcnt lgkmcnt(7)
	v_mfma_f32_16x16x16_bf16 a[4:7], v[82:83], v[78:79], a[4:7]
	v_perm_b32 v2, v2, v6, s1
	v_perm_b32 v6, v10, v14, s1
	v_add_u32_e32 v10, 0x80, v30
	s_waitcnt lgkmcnt(6)
	v_mfma_f32_16x16x16_bf16 a[8:11], v[82:83], v[90:91], a[8:11]
	ds_write2st64_b32 v10, v2, v6 offset0:128 offset1:160
	v_xor_b32_e32 v2, 16, v18
	v_perm_b32 v6, v3, v7, s0
	s_waitcnt lgkmcnt(6)
	v_mfma_f32_16x16x16_bf16 a[12:15], v[82:83], v[94:95], a[12:15]
	v_perm_b32 v10, v11, v15, s0
	ds_write2st64_b32 v2, v6, v10 offset0:129 offset1:161
	v_xor_b32_e32 v2, 24, v18
	v_mfma_f32_16x16x16_bf16 a[0:3], v[32:33], v[88:89], a[0:3]
	v_perm_b32 v3, v3, v7, s1
	v_perm_b32 v6, v11, v15, s1
	v_add_u32_e32 v2, 0x80, v2
	v_mfma_f32_16x16x16_bf16 a[4:7], v[32:33], v[80:81], a[4:7]
	ds_write2st64_b32 v2, v3, v6 offset0:129 offset1:161
	v_xor_b32_e32 v2, 32, v18
	v_perm_b32 v3, v4, v8, s0
	v_mfma_f32_16x16x16_bf16 a[16:19], v[32:33], v[92:93], a[8:11]
	v_perm_b32 v6, v12, v16, s0
	ds_write2st64_b32 v2, v3, v6 offset0:130 offset1:162
	v_xor_b32_e32 v2, 40, v18
	v_mfma_f32_16x16x16_bf16 a[20:23], v[32:33], v[96:97], a[12:15]
	v_perm_b32 v3, v4, v8, s1
	v_perm_b32 v4, v12, v16, s1
	v_add_u32_e32 v2, 0x80, v2
	s_waitcnt lgkmcnt(8)
	v_mfma_f32_16x16x16_bf16 a[12:15], v[98:99], v[20:21], a[0:3]
	ds_write2st64_b32 v2, v3, v4 offset0:130 offset1:162
	v_xor_b32_e32 v2, 48, v18
	v_perm_b32 v3, v5, v9, s0
	s_waitcnt lgkmcnt(8)
	v_mfma_f32_16x16x16_bf16 a[8:11], v[98:99], v[86:87], a[4:7]
	v_perm_b32 v4, v13, v17, s0
	ds_write2st64_b32 v2, v3, v4 offset0:131 offset1:163
	v_xor_b32_e32 v2, 56, v18
	s_waitcnt lgkmcnt(8)
	v_mfma_f32_16x16x16_bf16 a[4:7], v[98:99], v[100:101], a[16:19]
	v_and_or_b32 v21, v35, 12, v84
	v_perm_b32 v3, v5, v9, s1
	v_perm_b32 v4, v13, v17, s1
	s_waitcnt lgkmcnt(7)
	v_mfma_f32_16x16x16_bf16 a[0:3], v[98:99], v[102:103], a[20:23]
	v_add_u32_e32 v2, 0x80, v2
	v_cmp_gt_i32_e32 vcc, s27, v21
	v_mov_b32_e32 v16, 0
	v_mov_b32_e32 v18, 0
	ds_write2st64_b32 v2, v3, v4 offset0:131 offset1:163
	s_and_saveexec_b64 s[0:1], vcc
	s_cbranch_execz .LBB58_60
; %bb.59:
	v_add_u32_e32 v2, s26, v21
	v_ashrrev_i32_e32 v3, 31, v2
	v_mul_lo_u32 v4, v3, s34
	v_mul_lo_u32 v5, v2, s35
	v_mad_u64_u32 v[2:3], s[2:3], v2, s34, 0
	v_add3_u32 v3, v3, v5, v4
	v_lshl_add_u64 v[2:3], v[2:3], 2, s[10:11]
	global_load_dword v2, v[2:3], off
	s_waitcnt vmcnt(0)
	v_sub_f32_e32 v2, s12, v2
	v_exp_f32_e32 v18, v2
.LBB58_60:
	s_or_b64 exec, exec, s[0:1]
	v_or_b32_e32 v8, 1, v21
	v_cmp_gt_i32_e64 s[0:1], s27, v8
	s_and_saveexec_b64 s[2:3], s[0:1]
	s_cbranch_execz .LBB58_62
; %bb.61:
	v_add_u32_e32 v2, s26, v8
	v_ashrrev_i32_e32 v3, 31, v2
	v_mul_lo_u32 v4, v3, s34
	v_mul_lo_u32 v5, v2, s35
	v_mad_u64_u32 v[2:3], s[4:5], v2, s34, 0
	v_add3_u32 v3, v3, v5, v4
	v_lshl_add_u64 v[2:3], v[2:3], 2, s[10:11]
	global_load_dword v2, v[2:3], off
	s_waitcnt vmcnt(0)
	v_sub_f32_e32 v2, s12, v2
	v_exp_f32_e32 v16, v2
.LBB58_62:
	s_or_b64 exec, exec, s[2:3]
	v_or_b32_e32 v9, 2, v21
	v_cmp_gt_i32_e64 s[2:3], s27, v9
	v_mov_b32_e32 v17, 0
	v_mov_b32_e32 v20, 0
	s_and_saveexec_b64 s[4:5], s[2:3]
	s_cbranch_execz .LBB58_64
; %bb.63:
	v_add_u32_e32 v2, s26, v9
	v_ashrrev_i32_e32 v3, 31, v2
	v_mul_lo_u32 v4, v3, s34
	v_mul_lo_u32 v5, v2, s35
	v_mad_u64_u32 v[2:3], s[6:7], v2, s34, 0
	v_add3_u32 v3, v3, v5, v4
	v_lshl_add_u64 v[2:3], v[2:3], 2, s[10:11]
	global_load_dword v2, v[2:3], off
	s_waitcnt vmcnt(0)
	v_sub_f32_e32 v2, s12, v2
	v_exp_f32_e32 v20, v2
.LBB58_64:
	s_or_b64 exec, exec, s[4:5]
	v_or_b32_e32 v30, 3, v21
	v_cmp_gt_i32_e64 s[4:5], s27, v30
	s_and_saveexec_b64 s[6:7], s[4:5]
	s_cbranch_execz .LBB58_66
; %bb.65:
	v_add_u32_e32 v2, s26, v30
	v_ashrrev_i32_e32 v3, 31, v2
	v_mul_lo_u32 v4, v3, s34
	v_mul_lo_u32 v5, v2, s35
	v_mad_u64_u32 v[2:3], s[14:15], v2, s34, 0
	v_add3_u32 v3, v3, v5, v4
	v_lshl_add_u64 v[2:3], v[2:3], 2, s[10:11]
	global_load_dword v2, v[2:3], off
	s_waitcnt vmcnt(0)
	v_sub_f32_e32 v2, s12, v2
	v_exp_f32_e32 v17, v2
.LBB58_66:
	s_or_b64 exec, exec, s[6:7]
	s_add_u32 s6, s8, s20
	v_accvgpr_read_b32 v2, a12
	s_addc_u32 s7, s9, s21
	v_ashrrev_i32_e32 v77, 31, v76
	v_accvgpr_read_b32 v3, a13
	v_accvgpr_read_b32 v4, a14
	;; [unrolled: 1-line block ×3, first 2 shown]
	v_lshl_add_u64 v[6:7], v[76:77], 1, s[6:7]
	v_mov_b32_e32 v13, 0
	v_lshlrev_b32_e32 v10, 8, v21
	v_mov_b32_e32 v11, 0
	s_and_saveexec_b64 s[6:7], vcc
	s_cbranch_execz .LBB58_68
; %bb.67:
	v_mov_b32_e32 v11, 0
	v_lshl_add_u64 v[14:15], v[6:7], 0, v[10:11]
	global_load_ushort v11, v[14:15], off
	s_waitcnt vmcnt(0)
	v_lshlrev_b32_e32 v11, 16, v11
	v_sub_f32_e32 v2, v11, v2
	v_mul_f32_e32 v2, v18, v2
	v_lshrrev_b32_e32 v11, 16, v2
.LBB58_68:
	s_or_b64 exec, exec, s[6:7]
	v_lshlrev_b32_e32 v12, 8, v8
	s_and_saveexec_b64 s[6:7], s[0:1]
	s_cbranch_execz .LBB58_70
; %bb.69:
	v_mov_b32_e32 v13, 0
	v_lshl_add_u64 v[14:15], v[6:7], 0, v[12:13]
	global_load_ushort v2, v[14:15], off
	s_waitcnt vmcnt(0)
	v_lshlrev_b32_e32 v2, 16, v2
	v_sub_f32_e32 v2, v2, v3
	v_mul_f32_e32 v2, v16, v2
	v_lshrrev_b32_e32 v13, 16, v2
.LBB58_70:
	s_or_b64 exec, exec, s[6:7]
	v_mov_b32_e32 v31, 0
	v_lshlrev_b32_e32 v14, 8, v9
	v_mov_b32_e32 v15, 0
	s_and_saveexec_b64 s[6:7], s[2:3]
	s_cbranch_execz .LBB58_72
; %bb.71:
	v_mov_b32_e32 v15, 0
	v_lshl_add_u64 v[2:3], v[6:7], 0, v[14:15]
	global_load_ushort v2, v[2:3], off
	s_waitcnt vmcnt(0)
	v_lshlrev_b32_e32 v2, 16, v2
	v_sub_f32_e32 v2, v2, v4
	v_mul_f32_e32 v2, v20, v2
	v_lshrrev_b32_e32 v15, 16, v2
.LBB58_72:
	s_or_b64 exec, exec, s[6:7]
	v_lshlrev_b32_e32 v8, 8, v30
	s_and_saveexec_b64 s[6:7], s[4:5]
	s_cbranch_execz .LBB58_74
; %bb.73:
	v_mov_b32_e32 v9, 0
	v_lshl_add_u64 v[2:3], v[6:7], 0, v[8:9]
	global_load_ushort v2, v[2:3], off
	s_waitcnt vmcnt(0)
	v_lshlrev_b32_e32 v2, 16, v2
	v_sub_f32_e32 v2, v2, v5
	v_mul_f32_e32 v2, v17, v2
	v_lshrrev_b32_e32 v31, 16, v2
.LBB58_74:
	s_or_b64 exec, exec, s[6:7]
	v_lshlrev_b32_e32 v21, 6, v21
	v_accvgpr_read_b32 v2, a8
	s_mov_b32 s6, 0x5040100
	v_or_b32_e32 v9, v21, v24
	v_accvgpr_read_b32 v3, a9
	v_accvgpr_read_b32 v4, a10
	;; [unrolled: 1-line block ×3, first 2 shown]
	v_perm_b32 v31, v31, v15, s6
	v_perm_b32 v30, v13, v11, s6
	v_lshlrev_b32_e32 v9, 1, v9
	v_mov_b32_e32 v13, 0
	v_mov_b32_e32 v11, 0
	ds_write_b64 v9, v[30:31] offset:24576
	s_and_saveexec_b64 s[6:7], vcc
	s_cbranch_execz .LBB58_76
; %bb.75:
	v_mov_b32_e32 v11, 0
	v_lshl_add_u64 v[30:31], v[6:7], 0, v[10:11]
	global_load_ushort v9, v[30:31], off offset:32
	s_waitcnt vmcnt(0)
	v_lshlrev_b32_e32 v9, 16, v9
	v_sub_f32_e32 v2, v9, v2
	v_mul_f32_e32 v2, v18, v2
	v_lshrrev_b32_e32 v11, 16, v2
.LBB58_76:
	s_or_b64 exec, exec, s[6:7]
	s_and_saveexec_b64 s[6:7], s[0:1]
	s_cbranch_execz .LBB58_78
; %bb.77:
	v_mov_b32_e32 v13, 0
	v_lshl_add_u64 v[30:31], v[6:7], 0, v[12:13]
	global_load_ushort v2, v[30:31], off offset:32
	s_waitcnt vmcnt(0)
	v_lshlrev_b32_e32 v2, 16, v2
	v_sub_f32_e32 v2, v2, v3
	v_mul_f32_e32 v2, v16, v2
	v_lshrrev_b32_e32 v13, 16, v2
.LBB58_78:
	s_or_b64 exec, exec, s[6:7]
	v_mov_b32_e32 v9, 0
	v_mov_b32_e32 v15, 0
	s_and_saveexec_b64 s[6:7], s[2:3]
	s_cbranch_execz .LBB58_80
; %bb.79:
	v_mov_b32_e32 v15, 0
	v_lshl_add_u64 v[2:3], v[6:7], 0, v[14:15]
	global_load_ushort v2, v[2:3], off offset:32
	s_waitcnt vmcnt(0)
	v_lshlrev_b32_e32 v2, 16, v2
	v_sub_f32_e32 v2, v2, v4
	v_mul_f32_e32 v2, v20, v2
	v_lshrrev_b32_e32 v15, 16, v2
.LBB58_80:
	s_or_b64 exec, exec, s[6:7]
	s_and_saveexec_b64 s[6:7], s[4:5]
	s_cbranch_execz .LBB58_82
; %bb.81:
	v_mov_b32_e32 v9, 0
	v_lshl_add_u64 v[2:3], v[6:7], 0, v[8:9]
	global_load_ushort v2, v[2:3], off offset:32
	s_waitcnt vmcnt(0)
	v_lshlrev_b32_e32 v2, 16, v2
	v_sub_f32_e32 v2, v2, v5
	v_mul_f32_e32 v2, v17, v2
	v_lshrrev_b32_e32 v9, 16, v2
.LBB58_82:
	s_or_b64 exec, exec, s[6:7]
	s_mov_b32 s6, 0x5040100
	v_accvgpr_read_b32 v2, a4
	v_perm_b32 v31, v9, v15, s6
	v_or_b32_e32 v9, v21, v23
	v_accvgpr_read_b32 v3, a5
	v_accvgpr_read_b32 v4, a6
	v_accvgpr_read_b32 v5, a7
	v_perm_b32 v30, v13, v11, s6
	v_lshlrev_b32_e32 v9, 1, v9
	v_mov_b32_e32 v13, 0
	v_mov_b32_e32 v11, 0
	ds_write_b64 v9, v[30:31] offset:24576
	s_and_saveexec_b64 s[6:7], vcc
	s_cbranch_execz .LBB58_84
; %bb.83:
	v_mov_b32_e32 v11, 0
	v_lshl_add_u64 v[30:31], v[6:7], 0, v[10:11]
	global_load_ushort v9, v[30:31], off offset:64
	s_waitcnt vmcnt(0)
	v_lshlrev_b32_e32 v9, 16, v9
	v_sub_f32_e32 v2, v9, v2
	v_mul_f32_e32 v2, v18, v2
	v_lshrrev_b32_e32 v11, 16, v2
.LBB58_84:
	s_or_b64 exec, exec, s[6:7]
	s_and_saveexec_b64 s[6:7], s[0:1]
	s_cbranch_execz .LBB58_86
; %bb.85:
	v_mov_b32_e32 v13, 0
	v_lshl_add_u64 v[30:31], v[6:7], 0, v[12:13]
	global_load_ushort v2, v[30:31], off offset:64
	s_waitcnt vmcnt(0)
	v_lshlrev_b32_e32 v2, 16, v2
	v_sub_f32_e32 v2, v2, v3
	v_mul_f32_e32 v2, v16, v2
	v_lshrrev_b32_e32 v13, 16, v2
.LBB58_86:
	s_or_b64 exec, exec, s[6:7]
	v_mov_b32_e32 v9, 0
	v_mov_b32_e32 v15, 0
	s_and_saveexec_b64 s[6:7], s[2:3]
	s_cbranch_execz .LBB58_88
; %bb.87:
	v_mov_b32_e32 v15, 0
	v_lshl_add_u64 v[2:3], v[6:7], 0, v[14:15]
	global_load_ushort v2, v[2:3], off offset:64
	s_waitcnt vmcnt(0)
	v_lshlrev_b32_e32 v2, 16, v2
	v_sub_f32_e32 v2, v2, v4
	v_mul_f32_e32 v2, v20, v2
	v_lshrrev_b32_e32 v15, 16, v2
.LBB58_88:
	s_or_b64 exec, exec, s[6:7]
	s_and_saveexec_b64 s[6:7], s[4:5]
	s_cbranch_execz .LBB58_90
; %bb.89:
	v_mov_b32_e32 v9, 0
	v_lshl_add_u64 v[2:3], v[6:7], 0, v[8:9]
	global_load_ushort v2, v[2:3], off offset:64
	s_waitcnt vmcnt(0)
	v_lshlrev_b32_e32 v2, 16, v2
	v_sub_f32_e32 v2, v2, v5
	v_mul_f32_e32 v2, v17, v2
	v_lshrrev_b32_e32 v9, 16, v2
.LBB58_90:
	s_or_b64 exec, exec, s[6:7]
	s_mov_b32 s6, 0x5040100
	v_accvgpr_read_b32 v5, a3
	v_perm_b32 v31, v9, v15, s6
	v_or_b32_e32 v9, v21, v22
	v_accvgpr_read_b32 v4, a2
	v_accvgpr_read_b32 v3, a1
	;; [unrolled: 1-line block ×3, first 2 shown]
	v_perm_b32 v30, v13, v11, s6
	v_lshlrev_b32_e32 v9, 1, v9
	v_mov_b32_e32 v13, 0
	v_mov_b32_e32 v11, 0
	ds_write_b64 v9, v[30:31] offset:24576
	s_and_saveexec_b64 s[6:7], vcc
	s_cbranch_execz .LBB58_92
; %bb.91:
	v_mov_b32_e32 v11, 0
	v_lshl_add_u64 v[10:11], v[6:7], 0, v[10:11]
	global_load_ushort v9, v[10:11], off offset:96
	s_waitcnt vmcnt(0)
	v_lshlrev_b32_e32 v9, 16, v9
	v_sub_f32_e32 v2, v9, v2
	v_mul_f32_e32 v2, v18, v2
	v_lshrrev_b32_e32 v11, 16, v2
.LBB58_92:
	s_or_b64 exec, exec, s[6:7]
	s_and_saveexec_b64 s[6:7], s[0:1]
	s_cbranch_execz .LBB58_94
; %bb.93:
	v_mov_b32_e32 v13, 0
	v_lshl_add_u64 v[12:13], v[6:7], 0, v[12:13]
	global_load_ushort v2, v[12:13], off offset:96
	s_waitcnt vmcnt(0)
	v_lshlrev_b32_e32 v2, 16, v2
	v_sub_f32_e32 v2, v2, v3
	v_mul_f32_e32 v2, v16, v2
	v_lshrrev_b32_e32 v13, 16, v2
.LBB58_94:
	s_or_b64 exec, exec, s[6:7]
	v_mov_b32_e32 v9, 0
	v_mov_b32_e32 v12, 0
	s_and_saveexec_b64 s[0:1], s[2:3]
	s_cbranch_execz .LBB58_96
; %bb.95:
	v_mov_b32_e32 v15, 0
	v_lshl_add_u64 v[2:3], v[6:7], 0, v[14:15]
	global_load_ushort v2, v[2:3], off offset:96
	s_waitcnt vmcnt(0)
	v_lshlrev_b32_e32 v2, 16, v2
	v_sub_f32_e32 v2, v2, v4
	v_mul_f32_e32 v2, v20, v2
	v_lshrrev_b32_e32 v12, 16, v2
.LBB58_96:
	s_or_b64 exec, exec, s[0:1]
	v_or_b32_e32 v10, 0x6000, v26
	v_or_b32_e32 v4, 0x6000, v27
	;; [unrolled: 1-line block ×4, first 2 shown]
	s_and_saveexec_b64 s[0:1], s[4:5]
	s_cbranch_execz .LBB58_98
; %bb.97:
	v_mov_b32_e32 v9, 0
	v_lshl_add_u64 v[6:7], v[6:7], 0, v[8:9]
	global_load_ushort v6, v[6:7], off offset:96
	s_waitcnt vmcnt(0)
	v_lshlrev_b32_e32 v6, 16, v6
	v_sub_f32_e32 v5, v6, v5
	v_mul_f32_e32 v5, v17, v5
	v_lshrrev_b32_e32 v9, 16, v5
.LBB58_98:
	s_or_b64 exec, exec, s[0:1]
	s_mov_b32 s0, 0x5040100
	v_or_b32_e32 v5, v21, v19
	v_perm_b32 v7, v9, v12, s0
	v_perm_b32 v6, v13, v11, s0
	v_lshlrev_b32_e32 v5, 1, v5
	s_movk_i32 s0, 0x100
	ds_write_b64 v5, v[6:7] offset:24576
	v_and_b32_e32 v5, 7, v0
	v_and_b32_e32 v6, 8, v0
	v_cmp_gt_u32_e32 vcc, s0, v0
	v_lshrrev_b32_e32 v0, 1, v0
	v_lshlrev_b32_e32 v35, 3, v1
	v_and_b32_e32 v78, 24, v0
	v_mov_b32_e32 v7, 0xa000
	v_mov_b32_e32 v8, 0x8000
	v_xor_b32_e32 v0, v35, v78
	v_or_b32_e32 v16, 32, v78
	v_cndmask_b32_e32 v24, v7, v8, vcc
	v_or_b32_e32 v1, 0x440, v0
	v_cmp_eq_u32_e32 vcc, 0, v6
	v_xor_b32_e32 v16, v35, v16
	v_or_b32_e32 v17, 0x440, v16
	v_cndmask_b32_e32 v0, v1, v0, vcc
	v_lshlrev_b32_e32 v11, 3, v5
	v_lshlrev_b32_e32 v5, 7, v5
	v_or_b32_e32 v0, v0, v25
	v_cndmask_b32_e32 v16, v17, v16, vcc
	v_xad_u32 v79, v0, v11, v5
	v_or_b32_e32 v16, v16, v25
	v_add_u32_e32 v0, v24, v79
	v_xad_u32 v80, v16, v11, v5
	s_waitcnt lgkmcnt(0)
	s_barrier
	ds_read_b64 v[0:1], v0
	ds_read2_b64 v[6:9], v10 offset1:16
	ds_read2_b64 v[12:15], v10 offset0:32 offset1:48
	v_add_u32_e32 v16, v24, v80
	ds_read_b64 v[76:77], v16
	s_waitcnt lgkmcnt(2)
	v_mfma_f32_16x16x16_bf16 a[0:3], v[0:1], v[6:7], 0
	ds_read2st64_b64 v[16:19], v10 offset0:4 offset1:8
	ds_read2st64_b64 v[20:23], v4 offset0:4 offset1:8
	;; [unrolled: 1-line block ×3, first 2 shown]
	v_mfma_f32_16x16x16_bf16 a[4:7], v[0:1], v[8:9], 0
	ds_read2st64_b64 v[30:33], v2 offset0:4 offset1:8
	s_waitcnt lgkmcnt(5)
	v_mfma_f32_16x16x16_bf16 a[8:11], v[0:1], v[12:13], 0
	v_mfma_f32_16x16x16_bf16 a[12:15], v[0:1], v[14:15], 0
	v_or_b32_e32 v0, 64, v78
	v_xor_b32_e32 v0, v35, v0
	v_xor_b32_e32 v1, 0x440, v0
	v_cndmask_b32_e32 v0, v1, v0, vcc
	v_or_b32_e32 v0, v0, v25
	s_waitcnt lgkmcnt(3)
	v_mfma_f32_16x16x16_bf16 a[0:3], v[76:77], v[16:17], a[0:3]
	s_waitcnt lgkmcnt(2)
	v_mfma_f32_16x16x16_bf16 a[4:7], v[76:77], v[20:21], a[4:7]
	;; [unrolled: 2-line block ×4, first 2 shown]
	v_xad_u32 v76, v0, v11, v5
	v_add_u32_e32 v0, v24, v76
	ds_read_b64 v[0:1], v0
	v_or_b32_e32 v77, 0x60, v78
	v_xor_b32_e32 v35, v35, v77
	v_xor_b32_e32 v77, 0x440, v35
	v_cndmask_b32_e32 v35, v77, v35, vcc
	v_or_b32_e32 v25, v35, v25
	v_xad_u32 v35, v25, v11, v5
	v_add_u32_e32 v5, v24, v35
	s_waitcnt lgkmcnt(0)
	v_mfma_f32_16x16x16_bf16 a[0:3], v[0:1], v[18:19], a[0:3]
	ds_read_b64 v[24:25], v5
	ds_read_b64 v[10:11], v10 offset:6144
	v_mfma_f32_16x16x16_bf16 a[4:7], v[0:1], v[22:23], a[4:7]
	v_mfma_f32_16x16x16_bf16 a[8:11], v[0:1], v[28:29], a[8:11]
	;; [unrolled: 1-line block ×3, first 2 shown]
	ds_read_b64 v[0:1], v4 offset:6144
	ds_read_b64 v[4:5], v3 offset:6144
	;; [unrolled: 1-line block ×3, first 2 shown]
	s_waitcnt lgkmcnt(3)
	v_mfma_f32_16x16x16_bf16 a[0:3], v[24:25], v[10:11], a[0:3]
	s_waitcnt lgkmcnt(2)
	v_mfma_f32_16x16x16_bf16 a[4:7], v[24:25], v[0:1], a[4:7]
	;; [unrolled: 2-line block ×4, first 2 shown]
	ds_read_b64 v[24:25], v79 offset:40960
	s_waitcnt lgkmcnt(0)
	v_mfma_f32_16x16x16_bf16 a[16:19], v[24:25], v[6:7], 0
	ds_read_b64 v[6:7], v80 offset:40960
	v_mfma_f32_16x16x16_bf16 a[20:23], v[24:25], v[8:9], 0
	v_exp_f32_e32 v8, s12
	v_mfma_f32_16x16x16_bf16 a[24:27], v[24:25], v[12:13], 0
	ds_read_b64 v[12:13], v76 offset:40960
	v_mfma_f32_16x16x16_bf16 a[28:31], v[24:25], v[14:15], 0
	v_accvgpr_read_b32 v15, a3
	v_accvgpr_read_b32 v14, a2
	v_pk_fma_f32 v[74:75], v[74:75], v[8:9], v[14:15] op_sel_hi:[1,0,1]
	ds_read_b64 v[14:15], v35 offset:40960
	s_waitcnt lgkmcnt(2)
	v_mfma_f32_16x16x16_bf16 a[16:19], v[6:7], v[16:17], a[16:19]
	v_accvgpr_read_b32 v17, a7
	v_accvgpr_read_b32 v16, a6
	v_pk_fma_f32 v[66:67], v[66:67], v[8:9], v[16:17] op_sel_hi:[1,0,1]
	v_mfma_f32_16x16x16_bf16 a[20:23], v[6:7], v[20:21], a[20:23]
	v_accvgpr_read_b32 v21, a1
	v_accvgpr_read_b32 v20, a0
	v_pk_fma_f32 v[70:71], v[70:71], v[8:9], v[20:21] op_sel_hi:[1,0,1]
	v_mfma_f32_16x16x16_bf16 a[24:27], v[6:7], v[26:27], a[24:27]
	v_accvgpr_read_b32 v21, a5
	v_accvgpr_read_b32 v20, a4
	v_pk_fma_f32 v[62:63], v[62:63], v[8:9], v[20:21] op_sel_hi:[1,0,1]
	v_mfma_f32_16x16x16_bf16 a[28:31], v[6:7], v[30:31], a[28:31]
	v_accvgpr_read_b32 v7, a11
	v_accvgpr_read_b32 v6, a10
	v_pk_fma_f32 v[58:59], v[58:59], v[8:9], v[6:7] op_sel_hi:[1,0,1]
	s_waitcnt lgkmcnt(1)
	v_mfma_f32_16x16x16_bf16 a[16:19], v[12:13], v[18:19], a[16:19]
	v_accvgpr_read_b32 v6, a12
	v_accvgpr_read_b32 v7, a13
	v_pk_fma_f32 v[46:47], v[46:47], v[8:9], v[6:7] op_sel_hi:[1,0,1]
	v_mfma_f32_16x16x16_bf16 a[0:3], v[12:13], v[22:23], a[20:23]
	v_accvgpr_read_b32 v19, a15
	v_accvgpr_read_b32 v18, a14
	v_pk_fma_f32 v[52:53], v[52:53], v[8:9], v[18:19] op_sel_hi:[1,0,1]
	v_mfma_f32_16x16x16_bf16 a[20:23], v[12:13], v[28:29], a[24:27]
	v_mfma_f32_16x16x16_bf16 a[4:7], v[12:13], v[32:33], a[28:31]
	v_accvgpr_read_b32 v13, a9
	v_accvgpr_read_b32 v12, a8
	v_pk_fma_f32 v[54:55], v[54:55], v[8:9], v[12:13] op_sel_hi:[1,0,1]
	s_waitcnt lgkmcnt(0)
	v_mfma_f32_16x16x16_bf16 a[8:11], v[14:15], v[10:11], a[16:19]
	v_mfma_f32_16x16x16_bf16 a[0:3], v[14:15], v[0:1], a[0:3]
	s_nop 5
	v_accvgpr_read_b32 v1, a11
	v_accvgpr_read_b32 v0, a10
	v_mfma_f32_16x16x16_bf16 a[10:13], v[14:15], v[4:5], a[20:23]
	v_pk_fma_f32 v[72:73], v[72:73], v[8:9], v[0:1] op_sel_hi:[1,0,1]
	v_accvgpr_read_b32 v7, a3
	v_accvgpr_read_b32 v6, a2
	v_mfma_f32_16x16x16_bf16 a[2:5], v[14:15], v[2:3], a[4:7]
	v_accvgpr_read_b32 v0, a0
	v_accvgpr_read_b32 v1, a1
	v_pk_fma_f32 v[60:61], v[60:61], v[8:9], v[0:1] op_sel_hi:[1,0,1]
	v_accvgpr_read_b32 v0, a10
	v_accvgpr_read_b32 v1, a11
	;; [unrolled: 1-line block ×3, first 2 shown]
	v_pk_fma_f32 v[50:51], v[50:51], v[8:9], v[0:1] op_sel_hi:[1,0,1]
	v_accvgpr_read_b32 v0, a2
	v_accvgpr_read_b32 v5, a13
	;; [unrolled: 1-line block ×7, first 2 shown]
	v_pk_fma_f32 v[68:69], v[68:69], v[8:9], v[10:11] op_sel_hi:[1,0,1]
	v_pk_fma_f32 v[64:65], v[64:65], v[8:9], v[6:7] op_sel_hi:[1,0,1]
	;; [unrolled: 1-line block ×5, first 2 shown]
.LBB58_99:
	s_waitcnt lgkmcnt(0)
	s_add_u32 s0, s30, s28
	s_addc_u32 s1, s31, s29
	v_lshl_add_u64 v[0:1], v[36:37], 1, s[0:1]
	v_mov_b32_e32 v35, 0
	s_mov_b32 s2, 0x7060302
	v_lshl_add_u64 v[0:1], v[0:1], 0, v[34:35]
	v_perm_b32 v3, v75, v74, s2
	v_perm_b32 v2, v71, v70, s2
	global_store_dwordx2 v[0:1], v[2:3], off
	v_perm_b32 v3, v73, v72, s2
	v_perm_b32 v2, v69, v68, s2
	global_store_dwordx2 v[0:1], v[2:3], off offset:128
	v_lshl_add_u64 v[0:1], v[38:39], 1, s[0:1]
	v_lshl_add_u64 v[0:1], v[0:1], 0, v[34:35]
	v_perm_b32 v3, v67, v66, s2
	v_perm_b32 v2, v63, v62, s2
	global_store_dwordx2 v[0:1], v[2:3], off
	v_perm_b32 v3, v65, v64, s2
	v_perm_b32 v2, v61, v60, s2
	global_store_dwordx2 v[0:1], v[2:3], off offset:128
	v_lshl_add_u64 v[0:1], v[40:41], 1, s[0:1]
	;; [unrolled: 8-line block ×3, first 2 shown]
	v_lshl_add_u64 v[0:1], v[0:1], 0, v[34:35]
	v_perm_b32 v3, v53, v52, s2
	v_perm_b32 v2, v47, v46, s2
	global_store_dwordx2 v[0:1], v[2:3], off
	v_perm_b32 v3, v49, v48, s2
	v_perm_b32 v2, v45, v44, s2
	global_store_dwordx2 v[0:1], v[2:3], off offset:128
	s_endpgm
	.section	.rodata,"a",@progbits
	.p2align	6, 0x0
	.amdhsa_kernel _ZN12_GLOBAL__N_139chunk_gated_delta_rule_fwd_h_hip_kernelILi64ELb1ELb1ELb0ELb0ELb1ELb0ELb0ELb1EEEvPK12hip_bfloat16S3_S3_PKfS5_PKvPS1_S8_PvPKiSB_iiiiilll
		.amdhsa_group_segment_fixed_size 65536
		.amdhsa_private_segment_fixed_size 0
		.amdhsa_kernarg_size 136
		.amdhsa_user_sgpr_count 2
		.amdhsa_user_sgpr_dispatch_ptr 0
		.amdhsa_user_sgpr_queue_ptr 0
		.amdhsa_user_sgpr_kernarg_segment_ptr 1
		.amdhsa_user_sgpr_dispatch_id 0
		.amdhsa_user_sgpr_kernarg_preload_length 0
		.amdhsa_user_sgpr_kernarg_preload_offset 0
		.amdhsa_user_sgpr_private_segment_size 0
		.amdhsa_uses_dynamic_stack 0
		.amdhsa_enable_private_segment 0
		.amdhsa_system_sgpr_workgroup_id_x 1
		.amdhsa_system_sgpr_workgroup_id_y 1
		.amdhsa_system_sgpr_workgroup_id_z 0
		.amdhsa_system_sgpr_workgroup_info 0
		.amdhsa_system_vgpr_workitem_id 0
		.amdhsa_next_free_vgpr 224
		.amdhsa_next_free_sgpr 70
		.amdhsa_accum_offset 188
		.amdhsa_reserve_vcc 1
		.amdhsa_float_round_mode_32 0
		.amdhsa_float_round_mode_16_64 0
		.amdhsa_float_denorm_mode_32 3
		.amdhsa_float_denorm_mode_16_64 3
		.amdhsa_dx10_clamp 1
		.amdhsa_ieee_mode 1
		.amdhsa_fp16_overflow 0
		.amdhsa_tg_split 0
		.amdhsa_exception_fp_ieee_invalid_op 0
		.amdhsa_exception_fp_denorm_src 0
		.amdhsa_exception_fp_ieee_div_zero 0
		.amdhsa_exception_fp_ieee_overflow 0
		.amdhsa_exception_fp_ieee_underflow 0
		.amdhsa_exception_fp_ieee_inexact 0
		.amdhsa_exception_int_div_zero 0
	.end_amdhsa_kernel
	.section	.text._ZN12_GLOBAL__N_139chunk_gated_delta_rule_fwd_h_hip_kernelILi64ELb1ELb1ELb0ELb0ELb1ELb0ELb0ELb1EEEvPK12hip_bfloat16S3_S3_PKfS5_PKvPS1_S8_PvPKiSB_iiiiilll,"axG",@progbits,_ZN12_GLOBAL__N_139chunk_gated_delta_rule_fwd_h_hip_kernelILi64ELb1ELb1ELb0ELb0ELb1ELb0ELb0ELb1EEEvPK12hip_bfloat16S3_S3_PKfS5_PKvPS1_S8_PvPKiSB_iiiiilll,comdat
.Lfunc_end58:
	.size	_ZN12_GLOBAL__N_139chunk_gated_delta_rule_fwd_h_hip_kernelILi64ELb1ELb1ELb0ELb0ELb1ELb0ELb0ELb1EEEvPK12hip_bfloat16S3_S3_PKfS5_PKvPS1_S8_PvPKiSB_iiiiilll, .Lfunc_end58-_ZN12_GLOBAL__N_139chunk_gated_delta_rule_fwd_h_hip_kernelILi64ELb1ELb1ELb0ELb0ELb1ELb0ELb0ELb1EEEvPK12hip_bfloat16S3_S3_PKfS5_PKvPS1_S8_PvPKiSB_iiiiilll
                                        ; -- End function
	.section	.AMDGPU.csdata,"",@progbits
; Kernel info:
; codeLenInByte = 12292
; NumSgprs: 76
; NumVgprs: 186
; NumAgprs: 36
; TotalNumVgprs: 224
; ScratchSize: 0
; MemoryBound: 0
; FloatMode: 240
; IeeeMode: 1
; LDSByteSize: 65536 bytes/workgroup (compile time only)
; SGPRBlocks: 9
; VGPRBlocks: 27
; NumSGPRsForWavesPerEU: 76
; NumVGPRsForWavesPerEU: 224
; AccumOffset: 188
; Occupancy: 1
; WaveLimiterHint : 1
; COMPUTE_PGM_RSRC2:SCRATCH_EN: 0
; COMPUTE_PGM_RSRC2:USER_SGPR: 2
; COMPUTE_PGM_RSRC2:TRAP_HANDLER: 0
; COMPUTE_PGM_RSRC2:TGID_X_EN: 1
; COMPUTE_PGM_RSRC2:TGID_Y_EN: 1
; COMPUTE_PGM_RSRC2:TGID_Z_EN: 0
; COMPUTE_PGM_RSRC2:TIDIG_COMP_CNT: 0
; COMPUTE_PGM_RSRC3_GFX90A:ACCUM_OFFSET: 46
; COMPUTE_PGM_RSRC3_GFX90A:TG_SPLIT: 0
	.section	.text._ZN12_GLOBAL__N_139chunk_gated_delta_rule_fwd_h_hip_kernelILi64ELb1ELb0ELb1ELb0ELb1ELb0ELb0ELb1EEEvPK12hip_bfloat16S3_S3_PKfS5_PKvPS1_S8_PvPKiSB_iiiiilll,"axG",@progbits,_ZN12_GLOBAL__N_139chunk_gated_delta_rule_fwd_h_hip_kernelILi64ELb1ELb0ELb1ELb0ELb1ELb0ELb0ELb1EEEvPK12hip_bfloat16S3_S3_PKfS5_PKvPS1_S8_PvPKiSB_iiiiilll,comdat
	.globl	_ZN12_GLOBAL__N_139chunk_gated_delta_rule_fwd_h_hip_kernelILi64ELb1ELb0ELb1ELb0ELb1ELb0ELb0ELb1EEEvPK12hip_bfloat16S3_S3_PKfS5_PKvPS1_S8_PvPKiSB_iiiiilll ; -- Begin function _ZN12_GLOBAL__N_139chunk_gated_delta_rule_fwd_h_hip_kernelILi64ELb1ELb0ELb1ELb0ELb1ELb0ELb0ELb1EEEvPK12hip_bfloat16S3_S3_PKfS5_PKvPS1_S8_PvPKiSB_iiiiilll
	.p2align	8
	.type	_ZN12_GLOBAL__N_139chunk_gated_delta_rule_fwd_h_hip_kernelILi64ELb1ELb0ELb1ELb0ELb1ELb0ELb0ELb1EEEvPK12hip_bfloat16S3_S3_PKfS5_PKvPS1_S8_PvPKiSB_iiiiilll,@function
_ZN12_GLOBAL__N_139chunk_gated_delta_rule_fwd_h_hip_kernelILi64ELb1ELb0ELb1ELb0ELb1ELb0ELb0ELb1EEEvPK12hip_bfloat16S3_S3_PKfS5_PKvPS1_S8_PvPKiSB_iiiiilll: ; @_ZN12_GLOBAL__N_139chunk_gated_delta_rule_fwd_h_hip_kernelILi64ELb1ELb0ELb1ELb0ELb1ELb0ELb0ELb1EEEvPK12hip_bfloat16S3_S3_PKfS5_PKvPS1_S8_PvPKiSB_iiiiilll
; %bb.0:
	s_load_dwordx4 s[12:15], s[0:1], 0x5c
	s_load_dwordx4 s[20:23], s[0:1], 0x70
	s_abs_i32 s6, s3
	s_ashr_i32 s5, s3, 31
	s_load_dwordx4 s[16:19], s[0:1], 0x28
	s_load_dwordx2 s[28:29], s[0:1], 0x38
	s_waitcnt lgkmcnt(0)
	s_abs_i32 s4, s13
	v_cvt_f32_u32_e32 v1, s4
	s_sub_i32 s8, 0, s4
	s_ashr_i32 s7, s13, 31
	s_xor_b32 s5, s5, s7
	v_rcp_iflag_f32_e32 v1, v1
	v_and_b32_e32 v79, 15, v0
	v_lshrrev_b32_e32 v77, 6, v0
	v_bfe_u32 v78, v0, 4, 2
	v_mul_f32_e32 v1, 0x4f7ffffe, v1
	v_cvt_u32_f32_e32 v1, v1
	v_mov_b32_e32 v7, 0
	v_and_b32_e32 v76, 63, v0
	v_lshrrev_b32_e32 v80, 3, v76
	v_readfirstlane_b32 s9, v1
	s_mul_i32 s8, s8, s9
	s_mul_hi_u32 s8, s9, s8
	s_add_i32 s9, s9, s8
	s_mul_hi_u32 s8, s6, s9
	s_mul_i32 s9, s8, s4
	s_sub_i32 s6, s6, s9
	s_add_i32 s10, s8, 1
	s_sub_i32 s9, s6, s4
	s_cmp_ge_u32 s6, s4
	s_cselect_b32 s8, s10, s8
	s_cselect_b32 s6, s9, s6
	s_add_i32 s9, s8, 1
	s_cmp_ge_u32 s6, s4
	s_cselect_b32 s6, s9, s8
	s_xor_b32 s6, s6, s5
	s_add_i32 s8, s12, 63
	s_sub_i32 s51, s6, s5
	s_ashr_i32 s9, s8, 31
	s_mul_i32 s5, s51, s13
	s_sub_i32 s48, s3, s5
	s_lshr_b32 s3, s9, 26
	s_add_i32 s8, s8, s3
	s_abs_i32 s3, s14
	v_cvt_f32_u32_e32 v1, s3
	s_ashr_i32 s50, s12, 31
	s_lshr_b32 s6, s50, 26
	s_add_i32 s6, s12, s6
	v_rcp_iflag_f32_e32 v1, v1
	s_ashr_i32 s53, s14, 31
	s_ashr_i32 s24, s8, 6
	;; [unrolled: 1-line block ×3, first 2 shown]
	v_mul_f32_e32 v1, 0x4f7ffffe, v1
	v_cvt_u32_f32_e32 v1, v1
	s_xor_b32 s6, s7, s53
	s_sub_i32 s7, 0, s3
	s_lshl_b32 s2, s2, 6
	v_readfirstlane_b32 s8, v1
	s_mul_i32 s7, s7, s8
	s_mul_hi_u32 s7, s8, s7
	s_add_i32 s8, s8, s7
	s_mul_hi_u32 s7, s4, s8
	s_mul_i32 s8, s7, s3
	s_sub_i32 s4, s4, s8
	s_add_i32 s8, s7, 1
	s_sub_i32 s9, s4, s3
	s_cmp_ge_u32 s4, s3
	s_cselect_b32 s7, s8, s7
	s_cselect_b32 s4, s9, s4
	s_add_i32 s8, s7, 1
	s_cmp_ge_u32 s4, s3
	s_cselect_b32 s3, s8, s7
	s_xor_b32 s3, s3, s6
	s_sub_i32 s3, s3, s6
	s_abs_i32 s4, s3
	v_cvt_f32_u32_e32 v1, s4
	s_sub_i32 s7, 0, s4
	s_abs_i32 s6, s48
	s_xor_b32 s3, s48, s3
	v_rcp_iflag_f32_e32 v1, v1
	s_ashr_i32 s3, s3, 31
	v_or_b32_e32 v34, s2, v79
	v_lshlrev_b32_e32 v2, 7, v34
	v_mul_f32_e32 v1, 0x4f7ffffe, v1
	v_cvt_u32_f32_e32 v1, v1
	v_or_b32_e32 v10, 0x800, v2
	v_ashrrev_i32_e32 v3, 31, v2
	v_ashrrev_i32_e32 v11, 31, v10
	v_readfirstlane_b32 s8, v1
	s_mul_i32 s7, s7, s8
	s_mul_hi_u32 s7, s8, s7
	s_add_i32 s8, s8, s7
	s_mul_hi_u32 s7, s6, s8
	s_mul_i32 s8, s7, s4
	s_sub_i32 s6, s6, s8
	s_add_i32 s8, s7, 1
	s_sub_i32 s9, s6, s4
	s_cmp_ge_u32 s6, s4
	s_cselect_b32 s7, s8, s7
	s_cselect_b32 s6, s9, s6
	s_add_i32 s8, s7, 1
	s_cmp_ge_u32 s6, s4
	s_cselect_b32 s4, s8, s7
	s_xor_b32 s4, s4, s3
	s_sub_i32 s54, s4, s3
	s_ashr_i32 s3, s51, 31
	s_ashr_i32 s49, s48, 31
	s_mul_hi_i32 s4, s51, s13
	s_add_u32 s38, s5, s48
	s_addc_u32 s39, s4, s49
	s_lshl_b64 s[4:5], s[38:39], 15
	v_lshlrev_b32_e32 v1, 4, v77
	s_add_u32 s4, s16, s4
	v_lshl_or_b32 v82, v78, 2, v1
	s_addc_u32 s5, s17, s5
	v_lshl_add_u64 v[4:5], v[2:3], 1, s[4:5]
	v_lshlrev_b32_e32 v6, 1, v82
	v_lshl_add_u64 v[10:11], v[10:11], 1, s[4:5]
	v_lshl_add_u64 v[4:5], v[4:5], 0, v[6:7]
	v_lshl_add_u64 v[10:11], v[10:11], 0, v[6:7]
	global_load_dwordx2 v[8:9], v[4:5], off
	v_or_b32_e32 v83, 64, v82
	global_load_dwordx2 v[4:5], v[4:5], off offset:128
	s_nop 0
	global_load_dwordx2 v[12:13], v[10:11], off
	global_load_dwordx2 v[14:15], v[10:11], off offset:128
	v_or_b32_e32 v10, 0x1000, v2
	v_or_b32_e32 v2, 0x1800, v2
	v_ashrrev_i32_e32 v11, 31, v10
	v_ashrrev_i32_e32 v3, 31, v2
	v_lshl_add_u64 v[10:11], v[10:11], 1, s[4:5]
	v_lshl_add_u64 v[2:3], v[2:3], 1, s[4:5]
	;; [unrolled: 1-line block ×4, first 2 shown]
	global_load_dwordx2 v[16:17], v[10:11], off
	s_mul_i32 s55, s51, s24
	global_load_dwordx2 v[10:11], v[10:11], off offset:128
	s_nop 0
	global_load_dwordx2 v[6:7], v[2:3], off
	global_load_dwordx2 v[18:19], v[2:3], off offset:128
	s_load_dwordx8 s[4:11], s[0:1], 0x0
	s_load_dwordx2 s[30:31], s[0:1], 0x80
	s_cmp_lt_i32 s12, 64
	v_lshlrev_b32_e32 v81, 3, v0
	s_mul_i32 s56, s39, s12
	s_mul_hi_u32 s57, s38, s12
	s_mul_i32 s16, s38, s12
	s_mul_i32 s33, s51, s21
	s_mul_hi_u32 s44, s51, s20
	s_mul_i32 s39, s3, s20
	s_mul_i32 s36, s51, s20
	;; [unrolled: 1-line block ×3, first 2 shown]
	s_mul_hi_u32 s46, s48, s22
	s_mul_i32 s47, s49, s22
	s_mul_i32 s34, s48, s22
	s_waitcnt vmcnt(7)
	v_and_b32_e32 v63, 0xffff0000, v8
	v_lshlrev_b32_e32 v62, 16, v8
	v_and_b32_e32 v67, 0xffff0000, v9
	v_lshlrev_b32_e32 v66, 16, v9
	s_waitcnt vmcnt(6)
	v_and_b32_e32 v61, 0xffff0000, v4
	v_lshlrev_b32_e32 v60, 16, v4
	v_and_b32_e32 v65, 0xffff0000, v5
	v_lshlrev_b32_e32 v64, 16, v5
	;; [unrolled: 5-line block ×8, first 2 shown]
	s_cbranch_scc1 .LBB59_18
; %bb.1:
	s_add_i32 s17, s57, s56
	s_lshl_b64 s[0:1], s[16:17], 8
	v_and_b32_e32 v85, 56, v81
	s_waitcnt lgkmcnt(0)
	s_add_u32 s20, s6, s0
	v_lshl_or_b32 v84, v77, 3, v80
	v_lshlrev_b32_e32 v2, 1, v85
	s_addc_u32 s0, s7, s1
	v_lshl_or_b32 v86, v84, 8, v2
	s_and_b32 s21, s0, 0xffff
	s_mov_b32 s23, 0x20000
	s_movk_i32 s22, 0x4000
	s_movk_i32 s0, 0x80
	v_or_b32_e32 v87, 0x2000, v86
	buffer_load_dwordx4 v[4:7], v86, s[20:23], 0 offen
	buffer_load_dwordx4 v[8:11], v86, s[20:23], s0 offen
	;; [unrolled: 1-line block ×4, first 2 shown]
	v_lshlrev_b32_e32 v3, 3, v84
	v_and_or_b32 v21, v0, 7, v3
	v_and_b32_e32 v3, 0x78, v3
	v_lshlrev_b32_e32 v21, 4, v21
	v_xor_b32_e32 v88, v21, v3
	v_mul_lo_u32 v20, v84, s15
	v_or_b32_e32 v89, 0x1000, v88
	v_xor_b32_e32 v3, 8, v88
	s_cmpk_eq_i32 s15, 0x80
	s_mov_b32 s58, s14
	v_xor_b32_e32 v21, 8, v89
	s_cselect_b64 s[0:1], -1, 0
	s_cmpk_lg_i32 s15, 0x80
	s_waitcnt vmcnt(3)
	ds_write_b64 v88, v[4:5] offset:49152
	ds_write_b64 v3, v[6:7] offset:49152
	s_waitcnt vmcnt(2)
	ds_write_b64 v88, v[8:9] offset:57344
	ds_write_b64 v3, v[10:11] offset:57344
	;; [unrolled: 3-line block ×4, first 2 shown]
	v_lshl_add_u32 v3, v20, 1, v85
	s_cbranch_scc0 .LBB59_3
; %bb.2:
	v_lshlrev_b32_e32 v5, 1, v3
	v_add_lshl_u32 v4, v3, s15, 1
	s_lshl_b32 s22, s15, 7
	v_lshl_or_b32 v2, v84, 9, v2
	s_cbranch_execz .LBB59_4
	s_branch .LBB59_5
.LBB59_3:
                                        ; implicit-def: $vgpr4
                                        ; implicit-def: $vgpr5
                                        ; implicit-def: $sgpr22
	v_lshl_or_b32 v2, v84, 9, v2
.LBB59_4:
	v_or_b32_e32 v4, 0x100, v2
	s_movk_i32 s22, 0x4000
	v_mov_b32_e32 v5, v2
.LBB59_5:
	s_mul_hi_u32 s20, s14, s12
	s_mul_i32 s21, s53, s12
	s_add_i32 s20, s20, s21
	s_mul_i32 s21, s14, s12
	s_mul_i32 s23, s21, s3
	s_mul_hi_u32 s24, s21, s51
	s_add_i32 s23, s24, s23
	s_mul_i32 s20, s20, s51
	s_add_i32 s23, s23, s20
	s_mul_i32 s21, s21, s51
	s_ashr_i32 s59, s54, 31
	s_add_u32 s20, s21, s54
	s_addc_u32 s21, s23, s59
	s_lshl_b64 s[20:21], s[20:21], 8
	s_add_u32 s20, s4, s20
	s_addc_u32 s21, s5, s21
	s_and_b32 s21, s21, 0xffff
	s_mov_b32 s23, 0x20000
	s_movk_i32 s60, 0x80
	buffer_load_dwordx4 v[6:9], v5, s[20:23], 0 offen
	buffer_load_dwordx4 v[10:13], v5, s[20:23], s60 offen
	;; [unrolled: 1-line block ×4, first 2 shown]
	v_and_b32_e32 v5, 6, v0
	v_lshlrev_b32_e32 v4, 7, v82
	v_xor_b32_e32 v26, v84, v5
	v_and_b32_e32 v22, 1, v0
	v_lshl_or_b32 v29, v79, 3, v4
	v_lshlrev_b32_e32 v26, 2, v26
	v_or_b32_e32 v90, 0x4000, v29
	v_or_b32_e32 v91, 0x6000, v29
	v_xor_b32_e32 v29, 0x440, v26
	v_cmp_eq_u32_e32 vcc, 0, v22
	v_lshlrev_b32_e32 v23, 2, v79
	s_mov_b32 s62, 0x1000504
	v_cndmask_b32_e32 v22, v29, v26, vcc
	v_xor_b32_e32 v27, v82, v23
	v_xor_b32_e32 v28, v83, v23
	v_lshl_or_b32 v5, v5, 10, v22
	s_mov_b32 s63, 0x3020706
	v_lshlrev_b32_e32 v24, 8, v79
	v_or_b32_e32 v25, 16, v79
	v_lshlrev_b32_e32 v27, 1, v27
	v_lshlrev_b32_e32 v28, 1, v28
	v_xor_b32_e32 v22, 8, v5
	v_xor_b32_e32 v26, 24, v5
	v_xor_b32_e32 v31, 40, v5
	v_xor_b32_e32 v33, 56, v5
	s_mul_i32 s3, s3, s12
	s_mul_hi_u32 s20, s51, s12
	v_or_b32_e32 v93, v24, v27
	v_or_b32_e32 v94, v24, v28
	v_xor_b32_e32 v24, 16, v5
	v_xor_b32_e32 v29, 32, v5
	;; [unrolled: 1-line block ×3, first 2 shown]
	v_add_u32_e32 v22, 0x80, v22
	v_add_u32_e32 v26, 0x80, v26
	;; [unrolled: 1-line block ×4, first 2 shown]
	s_add_i32 s65, s20, s3
	s_add_i32 s3, s44, s33
	;; [unrolled: 1-line block ×5, first 2 shown]
	s_lshl_b64 s[20:21], s[36:37], 2
	s_add_u32 s3, s10, s20
	s_addc_u32 s24, s11, s21
	s_lshl_b64 s[20:21], s[34:35], 2
	s_add_u32 s40, s3, s20
	s_movk_i32 s3, 0xf8
	s_addc_u32 s41, s24, s21
	s_lshl_b32 s26, s15, 7
	s_movk_i32 s24, 0x100
	v_mov_b32_e32 v69, 0
	v_cmp_gt_u32_e32 vcc, s24, v0
	v_lshl_or_b32 v30, v25, 3, v4
	s_mov_b32 s61, 0
	s_mul_i32 s64, s51, s12
	v_or_b32_e32 v92, 0x4000, v30
	s_movk_i32 s22, 0x4000
	v_or_b32_e32 v95, 0x6000, v30
	s_movk_i32 s35, 0x2000
	s_movk_i32 s37, 0x3000
	s_mov_b32 s67, 0
	s_waitcnt vmcnt(1)
	v_perm_b32 v35, v6, v14, s62
	s_waitcnt vmcnt(0)
	v_perm_b32 v68, v10, v18, s62
	v_perm_b32 v6, v6, v14, s63
	;; [unrolled: 1-line block ×15, first 2 shown]
	ds_write2st64_b32 v5, v35, v68 offset0:128 offset1:160
	ds_write2st64_b32 v22, v6, v10 offset0:128 offset1:160
	ds_write2st64_b32 v24, v14, v18 offset0:129 offset1:161
	ds_write2st64_b32 v26, v7, v11 offset0:129 offset1:161
	ds_write2st64_b32 v29, v15, v19 offset0:130 offset1:162
	ds_write2st64_b32 v31, v8, v12 offset0:130 offset1:162
	ds_write2st64_b32 v32, v16, v20 offset0:131 offset1:163
	ds_write2st64_b32 v33, v9, v13 offset0:131 offset1:163
	v_lshlrev_b32_e32 v5, 8, v25
	v_or_b32_e32 v96, v5, v27
	v_or_b32_e32 v97, v5, v28
	;; [unrolled: 1-line block ×3, first 2 shown]
	v_lshl_or_b32 v6, v5, 3, v4
	v_lshlrev_b32_e32 v5, 8, v5
	v_or_b32_e32 v100, v5, v27
	v_or_b32_e32 v101, v5, v28
	v_or_b32_e32 v5, 48, v79
	v_or_b32_e32 v98, 0x4000, v6
	v_or_b32_e32 v99, 0x6000, v6
	v_lshl_or_b32 v6, v5, 3, v4
	v_lshlrev_b32_e32 v5, 8, v5
	v_or_b32_e32 v104, v5, v27
	v_or_b32_e32 v105, v5, v28
	;; [unrolled: 1-line block ×3, first 2 shown]
	v_lshlrev_b32_e32 v5, 3, v5
	v_lshrrev_b32_e32 v7, 5, v76
	v_and_or_b32 v7, v5, s3, v7
	v_lshlrev_b32_e32 v7, 4, v7
	v_lshlrev_b32_e32 v8, 11, v77
	v_and_b32_e32 v5, 0x78, v5
	v_or_b32_e32 v13, 32, v7
	v_or_b32_e32 v102, 0x4000, v6
	;; [unrolled: 1-line block ×3, first 2 shown]
	v_and_b32_e32 v6, 0x1000, v8
	v_xor_b32_e32 v9, v7, v5
	v_lshrrev_b32_e32 v10, 1, v0
	v_xor_b32_e32 v13, v13, v5
	v_or_b32_e32 v9, v9, v6
	v_and_b32_e32 v11, 8, v10
	v_or_b32_e32 v13, v13, v6
	v_xor_b32_e32 v106, v9, v11
	v_lshlrev_b32_e32 v9, 8, v78
	v_xor_b32_e32 v108, v13, v11
	v_or_b32_e32 v13, 64, v7
	v_or_b32_e32 v7, 0x60, v7
	s_ashr_i32 s3, s2, 31
	v_or_b32_e32 v12, v9, v23
	v_xor_b32_e32 v13, v13, v5
	v_xor_b32_e32 v5, v7, v5
	s_lshl_b64 s[20:21], s[2:3], 8
	v_lshlrev_b32_e32 v12, 1, v12
	v_or_b32_e32 v13, v13, v6
	v_or_b32_e32 v5, v5, v6
	s_add_u32 s20, s18, s20
	v_lshlrev_b32_e32 v6, 1, v79
	v_or_b32_e32 v107, 0x4000, v12
	v_or_b32_e32 v109, 0x4080, v12
	;; [unrolled: 1-line block ×8, first 2 shown]
	v_lshrrev_b32_e32 v12, 4, v0
	s_addc_u32 s21, s19, s21
	v_or_b32_e32 v7, 1, v6
	v_lshlrev_b32_e32 v68, 4, v79
	v_mov_b32_e32 v16, 0xa000
	v_mov_b32_e32 v17, 0x8000
	v_xor_b32_e32 v112, v13, v11
	v_xor_b32_e32 v13, v12, v6
	;; [unrolled: 1-line block ×3, first 2 shown]
	v_lshl_add_u64 v[6:7], s[20:21], 0, v[68:69]
	v_lshlrev_b32_e32 v68, 8, v12
	v_cndmask_b32_e32 v16, v16, v17, vcc
	v_lshlrev_b32_e32 v17, 3, v77
	v_and_b32_e32 v10, 24, v10
	v_lshl_or_b32 v118, v13, 3, v68
	v_and_b32_e32 v13, 8, v0
	v_xor_b32_e32 v18, v17, v10
	v_or_b32_e32 v19, 0x440, v18
	v_cmp_eq_u32_e32 vcc, 0, v13
	v_and_b32_e32 v12, 7, v0
	v_lshl_or_b32 v119, v14, 3, v68
	v_cndmask_b32_e32 v13, v19, v18, vcc
	v_lshlrev_b32_e32 v14, 3, v12
	v_lshlrev_b32_e32 v12, 7, v12
	v_or_b32_e32 v13, v13, v8
	v_lshlrev_b32_e32 v15, 2, v0
	v_xad_u32 v120, v13, v14, v12
	v_or_b32_e32 v13, 32, v10
	v_and_or_b32 v9, v15, 60, v9
	v_xor_b32_e32 v13, v17, v13
	v_lshlrev_b32_e32 v9, 1, v9
	v_or_b32_e32 v15, 0x440, v13
	v_or_b32_e32 v121, 0x6000, v9
	v_cndmask_b32_e32 v13, v15, v13, vcc
	v_or_b32_e32 v123, 0x6080, v9
	v_or_b32_e32 v124, 0x6100, v9
	v_or_b32_e32 v125, 0x6180, v9
	v_or_b32_e32 v9, 64, v10
	v_or_b32_e32 v13, v13, v8
	v_xor_b32_e32 v9, v17, v9
	v_xad_u32 v122, v13, v14, v12
	v_xor_b32_e32 v13, 0x440, v9
	v_cndmask_b32_e32 v9, v13, v9, vcc
	v_or_b32_e32 v9, v9, v8
	v_xad_u32 v126, v9, v14, v12
	v_or_b32_e32 v9, 0x60, v10
	v_xor_b32_e32 v9, v17, v9
	v_xor_b32_e32 v10, 0x440, v9
	v_cndmask_b32_e32 v9, v10, v9, vcc
	v_xor_b32_e32 v113, v5, v11
	v_ashrrev_i32_e32 v35, 31, v34
	v_lshlrev_b32_e32 v5, 1, v3
	v_add_lshl_u32 v3, v3, s15, 1
	v_or_b32_e32 v11, 0x100, v2
	v_or_b32_e32 v8, v9, v8
	v_xad_u32 v127, v8, v14, v12
	v_cndmask_b32_e64 v128, v5, v2, s[0:1]
	v_cndmask_b32_e64 v129, v3, v11, s[0:1]
	v_lshlrev_b64 v[2:3], 1, v[34:35]
	v_lshl_add_u64 v[70:71], s[8:9], 0, v[2:3]
	v_lshl_add_u64 v[72:73], s[28:29], 0, v[2:3]
	;; [unrolled: 1-line block ×3, first 2 shown]
	s_mov_b32 s3, 0x7060302
	v_lshlrev_b32_e32 v68, 1, v4
	v_add_u32_e32 v35, v16, v120
	v_add_u32_e32 v130, v16, v122
	;; [unrolled: 1-line block ×4, first 2 shown]
	s_waitcnt lgkmcnt(0)
	s_barrier
.LBB59_6:                               ; =>This Inner Loop Header: Depth=1
	s_add_i32 s66, s67, 1
	s_cmp_lt_i32 s66, s52
	s_mov_b64 s[24:25], 0
	s_cselect_b64 s[42:43], -1, 0
	s_cmp_ge_i32 s66, s52
	s_mov_b64 s[20:21], 0
	s_cbranch_scc1 .LBB59_8
; %bb.7:                                ;   in Loop: Header=BB59_6 Depth=1
	s_add_i32 s0, s61, 64
	s_add_u32 s0, s16, s0
	s_addc_u32 s1, s17, 0
	s_lshl_b64 s[0:1], s[0:1], 8
	s_add_u32 s20, s6, s0
	s_addc_u32 s21, s7, s1
.LBB59_8:                               ;   in Loop: Header=BB59_6 Depth=1
	v_cndmask_b32_e64 v2, 0, 1, s[42:43]
	v_cmp_ne_u32_e64 s[0:1], 1, v2
	s_andn2_b64 vcc, exec, s[42:43]
	s_cbranch_vccnz .LBB59_10
; %bb.9:                                ;   in Loop: Header=BB59_6 Depth=1
	s_add_i32 s24, s61, 64
	s_add_u32 s24, s64, s24
	s_addc_u32 s25, s65, 0
	s_mul_i32 s27, s24, s53
	s_mul_hi_u32 s42, s24, s58
	s_add_i32 s27, s42, s27
	s_mul_i32 s25, s25, s58
	s_add_i32 s27, s27, s25
	s_mul_i32 s24, s24, s58
	s_add_u32 s24, s24, s54
	s_addc_u32 s25, s27, s59
	s_lshl_b64 s[24:25], s[24:25], 8
	s_add_u32 s24, s4, s24
	s_addc_u32 s25, s5, s25
.LBB59_10:                              ;   in Loop: Header=BB59_6 Depth=1
	v_perm_b32 v3, v67, v66, s3
	v_perm_b32 v2, v63, v62, s3
	v_perm_b32 v5, v65, v64, s3
	v_perm_b32 v4, v61, v60, s3
	ds_write_b64 v90, v[2:3]
	ds_write_b64 v91, v[4:5]
	ds_write_b64 v93, v[2:3]
	ds_write_b64 v94, v[4:5]
	v_perm_b32 v3, v59, v58, s3
	v_perm_b32 v2, v55, v54, s3
	v_perm_b32 v5, v57, v56, s3
	v_perm_b32 v4, v53, v52, s3
	ds_write_b64 v92, v[2:3]
	ds_write_b64 v95, v[4:5]
	ds_write_b64 v96, v[2:3]
	ds_write_b64 v97, v[4:5]
	;; [unrolled: 8-line block ×4, first 2 shown]
	s_waitcnt lgkmcnt(0)
	s_barrier
	ds_read_b64 v[6:7], v106 offset:49152
	ds_read2_b64 v[2:5], v107 offset1:16
	ds_read_b64 v[18:19], v109 offset:6144
	ds_read_b64 v[20:21], v107 offset:6144
	s_waitcnt lgkmcnt(2)
	v_mfma_f32_16x16x16_bf16 a[0:3], v[6:7], v[2:3], 0
	ds_read_b64 v[22:23], v108 offset:49152
	ds_read2st64_b64 v[10:13], v110 offset0:4 offset1:8
	ds_read2st64_b64 v[14:17], v111 offset0:4 offset1:8
	v_mfma_f32_16x16x16_bf16 a[4:7], v[6:7], v[4:5], 0
	ds_read2_b64 v[2:5], v107 offset0:32 offset1:48
	s_add_i32 s27, s61, 63
	s_mul_i32 s42, s27, s31
	s_waitcnt lgkmcnt(0)
	v_mfma_f32_16x16x16_bf16 a[8:11], v[6:7], v[2:3], 0
	s_mul_hi_u32 s43, s27, s30
	s_add_i32 s43, s43, s42
	s_mul_i32 s42, s27, s30
	v_mfma_f32_16x16x16_bf16 a[12:15], v[6:7], v[4:5], 0
	ds_read2st64_b64 v[2:5], v107 offset0:4 offset1:8
	ds_read2st64_b64 v[6:9], v109 offset0:4 offset1:8
	s_lshl_b64 s[42:43], s[42:43], 2
	s_waitcnt lgkmcnt(1)
	v_mfma_f32_16x16x16_bf16 a[0:3], v[22:23], v[2:3], a[0:3]
	s_add_u32 s42, s40, s42
	s_addc_u32 s43, s41, s43
	s_and_b64 vcc, exec, s[0:1]
	s_waitcnt lgkmcnt(0)
	v_mfma_f32_16x16x16_bf16 a[4:7], v[22:23], v[6:7], a[4:7]
	v_mov_b32_e32 v135, 0
	v_mov_b32_e32 v134, 0
	;; [unrolled: 1-line block ×3, first 2 shown]
	v_mfma_f32_16x16x16_bf16 a[8:11], v[22:23], v[10:11], a[8:11]
	ds_read_b64 v[2:3], v112 offset:49152
	ds_read_b64 v[6:7], v113 offset:49152
	;; [unrolled: 1-line block ×3, first 2 shown]
	v_mfma_f32_16x16x16_bf16 a[12:15], v[22:23], v[14:15], a[12:15]
	v_mov_b32_e32 v14, 0
	v_mov_b32_e32 v15, 0
	s_waitcnt lgkmcnt(2)
	v_mfma_f32_16x16x16_bf16 a[0:3], v[2:3], v[4:5], a[0:3]
	v_mov_b32_e32 v4, 0
	v_mov_b32_e32 v5, 0
	v_mfma_f32_16x16x16_bf16 a[16:19], v[2:3], v[8:9], a[4:7]
	v_mov_b32_e32 v8, 0
	v_mov_b32_e32 v9, 0
	;; [unrolled: 3-line block ×3, first 2 shown]
	v_mfma_f32_16x16x16_bf16 a[24:27], v[2:3], v[16:17], a[12:15]
	ds_read_b64 v[2:3], v110 offset:6144
	v_mov_b32_e32 v16, 0
	v_mov_b32_e32 v17, 0
	s_waitcnt lgkmcnt(2)
	v_mfma_f32_16x16x16_bf16 a[4:7], v[6:7], v[20:21], a[0:3]
	v_mfma_f32_16x16x16_bf16 a[8:11], v[6:7], v[18:19], a[16:19]
	s_waitcnt lgkmcnt(0)
	v_mfma_f32_16x16x16_bf16 a[12:15], v[6:7], v[2:3], a[20:23]
	v_mov_b32_e32 v2, 0
	v_mov_b32_e32 v3, 0
	v_mfma_f32_16x16x16_bf16 a[0:3], v[6:7], v[10:11], a[24:27]
	v_mov_b32_e32 v6, 0
	v_mov_b32_e32 v7, 0
	;; [unrolled: 1-line block ×4, first 2 shown]
	s_cbranch_vccnz .LBB59_12
; %bb.11:                               ;   in Loop: Header=BB59_6 Depth=1
	s_and_b32 s21, s21, 0xffff
	buffer_load_dwordx4 v[14:17], v86, s[20:23], 0 offen
	buffer_load_dwordx4 v[10:13], v86, s[20:23], s60 offen
	;; [unrolled: 1-line block ×4, first 2 shown]
	v_mov_b32_e32 v134, v88
	v_mov_b32_e32 v133, v89
.LBB59_12:                              ;   in Loop: Header=BB59_6 Depth=1
	ds_read_b64 v[30:31], v106 offset:57344
	ds_read2_b64 v[18:21], v114 offset1:16
	ds_read_b64 v[136:137], v108 offset:57344
	ds_read_b64 v[138:139], v112 offset:57344
	;; [unrolled: 1-line block ×3, first 2 shown]
	v_add_u32_e32 v32, s61, v82
	s_waitcnt lgkmcnt(3)
	v_mfma_f32_16x16x16_bf16 a[4:7], v[30:31], v[18:19], a[4:7]
	v_mfma_f32_16x16x16_bf16 a[8:11], v[30:31], v[20:21], a[8:11]
	ds_read2_b64 v[18:21], v114 offset0:32 offset1:48
	ds_read2st64_b64 v[22:25], v114 offset0:4 offset1:8
	ds_read2st64_b64 v[26:29], v115 offset0:4 offset1:8
	s_waitcnt lgkmcnt(2)
	v_mfma_f32_16x16x16_bf16 a[12:15], v[30:31], v[18:19], a[12:15]
	v_ashrrev_i32_e32 v18, 31, v32
	v_mul_lo_u32 v33, v18, s30
	v_mad_u64_u32 v[18:19], s[20:21], v32, s30, 0
	v_mfma_f32_16x16x16_bf16 a[0:3], v[30:31], v[20:21], a[0:3]
	v_mul_lo_u32 v20, v32, s31
	v_add3_u32 v19, v19, v20, v33
	v_add_u32_e32 v20, 1, v32
	v_ashrrev_i32_e32 v21, 31, v20
	s_waitcnt lgkmcnt(1)
	v_mfma_f32_16x16x16_bf16 a[4:7], v[136:137], v[22:23], a[4:7]
	v_mul_lo_u32 v22, v21, s30
	v_mul_lo_u32 v23, v20, s31
	v_mad_u64_u32 v[20:21], s[20:21], v20, s30, 0
	v_add3_u32 v21, v21, v23, v22
	v_add_u32_e32 v22, 2, v32
	v_ashrrev_i32_e32 v23, 31, v22
	v_mul_lo_u32 v30, v23, s30
	v_mul_lo_u32 v31, v22, s31
	v_mad_u64_u32 v[22:23], s[20:21], v22, s30, 0
	v_add3_u32 v23, v23, v31, v30
	v_add_u32_e32 v30, 3, v32
	v_ashrrev_i32_e32 v31, 31, v30
	v_mul_lo_u32 v32, v31, s30
	v_mul_lo_u32 v33, v30, s31
	v_mad_u64_u32 v[30:31], s[20:21], v30, s30, 0
	s_add_u32 s20, s16, s61
	v_lshl_add_u64 v[18:19], v[18:19], 2, s[40:41]
	v_add3_u32 v31, v31, v33, v32
	s_addc_u32 s21, s17, 0
	v_lshl_add_u64 v[20:21], v[20:21], 2, s[40:41]
	global_load_dword v142, v[18:19], off
	v_lshl_add_u64 v[18:19], v[30:31], 2, s[40:41]
	s_lshl_b64 s[20:21], s[20:21], 8
	v_lshl_add_u64 v[22:23], v[22:23], 2, s[40:41]
	global_load_dword v143, v[20:21], off
	global_load_dword v144, v[22:23], off
	global_load_dword v145, v[18:19], off
	v_lshl_add_u64 v[18:19], v[70:71], 0, s[20:21]
	v_lshl_add_u64 v[22:23], v[18:19], 0, v[68:69]
	global_load_ushort v146, v[22:23], off offset:256
	global_load_ushort v147, v[22:23], off
	ds_read2st64_b64 v[18:21], v116 offset0:4 offset1:8
	global_load_ushort v148, v[22:23], off offset:768
	global_load_ushort v149, v[22:23], off offset:512
	ds_read2st64_b64 v[30:33], v117 offset0:4 offset1:8
	global_load_ushort v150, v[22:23], off offset:288
	global_load_ushort v151, v[22:23], off offset:32
	;; [unrolled: 1-line block ×4, first 2 shown]
	s_waitcnt lgkmcnt(2)
	v_mfma_f32_16x16x16_bf16 a[8:11], v[136:137], v[26:27], a[8:11]
	global_load_ushort v154, v[22:23], off offset:320
	global_load_ushort v155, v[22:23], off offset:64
	;; [unrolled: 1-line block ×4, first 2 shown]
	s_and_b64 vcc, exec, s[0:1]
	s_waitcnt lgkmcnt(1)
	v_mfma_f32_16x16x16_bf16 a[12:15], v[136:137], v[18:19], a[12:15]
	ds_read_b64 v[18:19], v114 offset:6144
	s_waitcnt lgkmcnt(1)
	v_mfma_f32_16x16x16_bf16 a[0:3], v[136:137], v[30:31], a[0:3]
	v_lshl_add_u64 v[30:31], v[72:73], 0, s[20:21]
	v_lshl_add_u64 v[30:31], v[30:31], 0, v[68:69]
	v_mfma_f32_16x16x16_bf16 a[4:7], v[138:139], v[24:25], a[4:7]
	v_mfma_f32_16x16x16_bf16 a[8:11], v[138:139], v[28:29], a[8:11]
	;; [unrolled: 1-line block ×4, first 2 shown]
	global_load_ushort v138, v[22:23], off offset:352
	global_load_ushort v139, v[22:23], off offset:96
	ds_read_b64 v[20:21], v115 offset:6144
	ds_read_b64 v[24:25], v116 offset:6144
	;; [unrolled: 1-line block ×3, first 2 shown]
	s_load_dword s42, s[42:43], 0x0
	global_load_ushort v158, v[22:23], off offset:864
	global_load_ushort v159, v[22:23], off offset:608
	s_waitcnt lgkmcnt(0)
	v_mfma_f32_16x16x16_bf16 a[4:7], v[140:141], v[18:19], a[4:7]
	s_waitcnt vmcnt(17)
	v_sub_f32_e32 v28, s42, v144
	v_mfma_f32_16x16x16_bf16 a[0:3], v[140:141], v[26:27], a[0:3]
	v_sub_f32_e32 v26, s42, v142
	v_sub_f32_e32 v27, s42, v143
	s_waitcnt vmcnt(16)
	v_sub_f32_e32 v29, s42, v145
	v_mfma_f32_16x16x16_bf16 a[8:11], v[140:141], v[20:21], a[8:11]
	v_exp_f32_e32 v26, v26
	v_exp_f32_e32 v27, v27
	;; [unrolled: 1-line block ×4, first 2 shown]
	v_accvgpr_read_b32 v137, a5
	s_waitcnt vmcnt(15)
	v_lshlrev_b32_e32 v33, 16, v146
	s_waitcnt vmcnt(14)
	v_lshlrev_b32_e32 v32, 16, v147
	v_accvgpr_read_b32 v136, a4
	v_accvgpr_read_b32 v19, a7
	;; [unrolled: 1-line block ×3, first 2 shown]
	v_pk_add_f32 v[32:33], v[32:33], v[136:137] neg_lo:[0,1] neg_hi:[0,1]
	s_waitcnt vmcnt(13)
	v_lshlrev_b32_e32 v137, 16, v148
	s_waitcnt vmcnt(12)
	v_lshlrev_b32_e32 v136, 16, v149
	v_pk_add_f32 v[18:19], v[136:137], v[18:19] neg_lo:[0,1] neg_hi:[0,1]
	global_store_short_d16_hi v[30:31], v32, off
	global_store_short_d16_hi v[30:31], v33, off offset:256
	global_store_short_d16_hi v[30:31], v18, off offset:512
	;; [unrolled: 1-line block ×3, first 2 shown]
	v_pk_mul_f32 v[32:33], v[26:27], v[32:33]
	v_pk_mul_f32 v[18:19], v[28:29], v[18:19]
	v_accvgpr_read_b32 v137, a9
	v_perm_b32 v32, v33, v32, s3
	v_perm_b32 v33, v19, v18, s3
	s_waitcnt vmcnt(15)
	v_lshlrev_b32_e32 v19, 16, v150
	s_waitcnt vmcnt(14)
	v_lshlrev_b32_e32 v18, 16, v151
	v_accvgpr_read_b32 v136, a8
	v_accvgpr_read_b32 v21, a11
	v_mfma_f32_16x16x16_bf16 a[12:15], v[140:141], v[24:25], a[12:15]
	v_accvgpr_read_b32 v20, a10
	v_pk_add_f32 v[18:19], v[18:19], v[136:137] neg_lo:[0,1] neg_hi:[0,1]
	s_waitcnt vmcnt(13)
	v_lshlrev_b32_e32 v137, 16, v152
	s_waitcnt vmcnt(12)
	v_lshlrev_b32_e32 v136, 16, v153
	v_pk_add_f32 v[20:21], v[136:137], v[20:21] neg_lo:[0,1] neg_hi:[0,1]
	global_store_short_d16_hi v[30:31], v18, off offset:32
	global_store_short_d16_hi v[30:31], v19, off offset:288
	;; [unrolled: 1-line block ×4, first 2 shown]
	v_pk_mul_f32 v[18:19], v[26:27], v[18:19]
	v_pk_mul_f32 v[20:21], v[28:29], v[20:21]
	v_accvgpr_read_b32 v23, a15
	v_perm_b32 v21, v21, v20, s3
	v_perm_b32 v20, v19, v18, s3
	ds_write2_b64 v91, v[32:33], v[20:21] offset1:16
	v_accvgpr_read_b32 v21, a13
	s_waitcnt vmcnt(15)
	v_lshlrev_b32_e32 v19, 16, v154
	s_waitcnt vmcnt(14)
	v_lshlrev_b32_e32 v18, 16, v155
	v_accvgpr_read_b32 v20, a12
	v_accvgpr_read_b32 v22, a14
	v_pk_add_f32 v[18:19], v[18:19], v[20:21] neg_lo:[0,1] neg_hi:[0,1]
	s_waitcnt vmcnt(13)
	v_lshlrev_b32_e32 v21, 16, v156
	s_waitcnt vmcnt(12)
	v_lshlrev_b32_e32 v20, 16, v157
	v_pk_add_f32 v[20:21], v[20:21], v[22:23] neg_lo:[0,1] neg_hi:[0,1]
	global_store_short_d16_hi v[30:31], v18, off offset:64
	global_store_short_d16_hi v[30:31], v19, off offset:320
	;; [unrolled: 1-line block ×4, first 2 shown]
	v_pk_mul_f32 v[18:19], v[26:27], v[18:19]
	v_pk_mul_f32 v[20:21], v[28:29], v[20:21]
	v_accvgpr_read_b32 v23, a1
	v_perm_b32 v18, v19, v18, s3
	v_perm_b32 v19, v21, v20, s3
	s_waitcnt vmcnt(15)
	v_lshlrev_b32_e32 v21, 16, v138
	s_waitcnt vmcnt(14)
	v_lshlrev_b32_e32 v20, 16, v139
	v_accvgpr_read_b32 v22, a0
	v_accvgpr_read_b32 v25, a3
	;; [unrolled: 1-line block ×3, first 2 shown]
	v_pk_add_f32 v[20:21], v[20:21], v[22:23] neg_lo:[0,1] neg_hi:[0,1]
	s_waitcnt vmcnt(13)
	v_lshlrev_b32_e32 v23, 16, v158
	s_waitcnt vmcnt(12)
	v_lshlrev_b32_e32 v22, 16, v159
	v_pk_add_f32 v[22:23], v[22:23], v[24:25] neg_lo:[0,1] neg_hi:[0,1]
	global_store_short_d16_hi v[30:31], v20, off offset:96
	global_store_short_d16_hi v[30:31], v21, off offset:352
	;; [unrolled: 1-line block ×4, first 2 shown]
	v_pk_mul_f32 v[20:21], v[26:27], v[20:21]
	v_pk_mul_f32 v[22:23], v[28:29], v[22:23]
	v_mov_b32_e32 v136, 0
	v_perm_b32 v23, v23, v22, s3
	v_perm_b32 v22, v21, v20, s3
	ds_write2_b64 v91, v[18:19], v[22:23] offset0:32 offset1:48
	v_mov_b32_e32 v18, 0
	v_mov_b32_e32 v19, 0
	;; [unrolled: 1-line block ×16, first 2 shown]
	s_cbranch_vccnz .LBB59_14
; %bb.13:                               ;   in Loop: Header=BB59_6 Depth=1
	s_and_b32 s25, s25, 0xffff
	s_mov_b32 s27, s23
	buffer_load_dwordx4 v[30:33], v128, s[24:27], 0 offen
	buffer_load_dwordx4 v[22:25], v128, s[24:27], s60 offen
	;; [unrolled: 1-line block ×4, first 2 shown]
	v_mov_b32_e32 v135, v85
	v_mov_b32_e32 v136, v84
.LBB59_14:                              ;   in Loop: Header=BB59_6 Depth=1
	s_waitcnt lgkmcnt(0)
	s_barrier
	ds_read_b64 v[146:147], v35
	ds_read2_b64 v[138:141], v121 offset1:16
	ds_read_b64 v[162:163], v130
	ds_read_b64 v[164:165], v131
	;; [unrolled: 1-line block ×3, first 2 shown]
	ds_read2_b64 v[142:145], v121 offset0:32 offset1:48
	s_waitcnt lgkmcnt(4)
	v_mfma_f32_16x16x16_bf16 a[0:3], v[146:147], v[138:139], 0
	ds_read2st64_b64 v[150:153], v123 offset0:4 offset1:8
	ds_read2st64_b64 v[154:157], v124 offset0:4 offset1:8
	;; [unrolled: 1-line block ×3, first 2 shown]
	v_mfma_f32_16x16x16_bf16 a[4:7], v[146:147], v[140:141], 0
	s_add_i32 s20, s55, s67
	s_mul_hi_i32 s21, s20, s13
	s_mul_i32 s20, s20, s13
	s_waitcnt lgkmcnt(3)
	v_mfma_f32_16x16x16_bf16 a[8:11], v[146:147], v[142:143], 0
	s_add_u32 s20, s20, s48
	s_addc_u32 s21, s21, s49
	s_lshl_b64 s[20:21], s[20:21], 15
	v_mfma_f32_16x16x16_bf16 a[12:15], v[146:147], v[144:145], 0
	ds_read2st64_b64 v[146:149], v121 offset0:4 offset1:8
	s_waitcnt lgkmcnt(0)
	v_mfma_f32_16x16x16_bf16 a[0:3], v[162:163], v[146:147], a[0:3]
	v_mfma_f32_16x16x16_bf16 a[4:7], v[162:163], v[150:151], a[4:7]
	;; [unrolled: 1-line block ×8, first 2 shown]
	ds_read_b64 v[162:163], v121 offset:6144
	ds_read_b64 v[164:165], v122 offset:40960
	;; [unrolled: 1-line block ×8, first 2 shown]
	s_waitcnt lgkmcnt(5)
	v_mfma_f32_16x16x16_bf16 a[16:19], v[168:169], v[138:139], 0
	v_mfma_f32_16x16x16_bf16 a[20:23], v[168:169], v[140:141], 0
	ds_read2st64_b64 v[138:141], v118 offset1:8
	v_mfma_f32_16x16x16_bf16 a[24:27], v[168:169], v[142:143], 0
	v_mfma_f32_16x16x16_bf16 a[28:31], v[168:169], v[144:145], 0
	ds_read2st64_b64 v[142:145], v119 offset1:8
	v_mfma_f32_16x16x16_bf16 a[16:19], v[164:165], v[146:147], a[16:19]
	s_waitcnt lgkmcnt(1)
	v_mov_b32_e32 v146, v138
	v_mov_b32_e32 v147, v139
	v_mfma_f32_16x16x16_bf16 a[20:23], v[164:165], v[150:151], a[20:23]
	v_lshl_add_u64 v[150:151], v[74:75], 0, s[20:21]
	v_mfma_f32_16x16x16_bf16 a[24:27], v[164:165], v[154:155], a[24:27]
	v_mfma_f32_16x16x16_bf16 a[28:31], v[164:165], v[158:159], a[28:31]
	;; [unrolled: 1-line block ×3, first 2 shown]
	s_waitcnt lgkmcnt(0)
	v_mov_b32_e32 v148, v142
	v_mov_b32_e32 v149, v143
	;; [unrolled: 1-line block ×3, first 2 shown]
	v_mfma_f32_16x16x16_bf16 a[32:35], v[176:177], v[152:153], a[20:23]
	v_mov_b32_e32 v143, v141
	ds_read2st64_b64 v[138:141], v118 offset0:16 offset1:24
	global_store_dwordx4 v[150:151], v[146:149], off
	v_mfma_f32_16x16x16_bf16 a[24:27], v[176:177], v[156:157], a[24:27]
	ds_read2st64_b64 v[146:149], v119 offset0:16 offset1:24
	v_add_co_u32_e32 v152, vcc, s35, v150
	v_mfma_f32_16x16x16_bf16 a[28:31], v[176:177], v[160:161], a[28:31]
	s_nop 0
	v_addc_co_u32_e32 v153, vcc, 0, v151, vcc
	global_store_dwordx4 v[152:153], v[142:145], off offset:-4096
	v_mfma_f32_16x16x16_bf16 a[0:3], v[166:167], v[162:163], a[0:3]
	s_waitcnt lgkmcnt(1)
	v_mov_b32_e32 v142, v138
	v_add_co_u32_e32 v138, vcc, s37, v150
	v_mfma_f32_16x16x16_bf16 a[4:7], v[166:167], v[170:171], a[4:7]
	v_mov_b32_e32 v143, v139
	v_addc_co_u32_e32 v139, vcc, 0, v151, vcc
	v_mfma_f32_16x16x16_bf16 a[8:11], v[166:167], v[172:173], a[8:11]
	s_waitcnt lgkmcnt(0)
	v_mov_b32_e32 v144, v146
	v_mov_b32_e32 v145, v147
	;; [unrolled: 1-line block ×3, first 2 shown]
	v_mfma_f32_16x16x16_bf16 a[12:15], v[166:167], v[174:175], a[12:15]
	v_mov_b32_e32 v147, v141
	s_and_b64 vcc, exec, s[0:1]
	global_store_dwordx4 v[152:153], v[142:145], off
	v_mfma_f32_16x16x16_bf16 a[20:23], v[178:179], v[162:163], a[16:19]
	global_store_dwordx4 v[138:139], v[146:149], off
	v_mfma_f32_16x16x16_bf16 a[16:19], v[178:179], v[170:171], a[32:35]
	v_mfma_f32_16x16x16_bf16 a[24:27], v[178:179], v[172:173], a[24:27]
	;; [unrolled: 1-line block ×3, first 2 shown]
	s_cbranch_vccnz .LBB59_16
; %bb.15:                               ;   in Loop: Header=BB59_6 Depth=1
	v_lshrrev_b32_e32 v137, 3, v135
	v_and_b32_e32 v137, 6, v137
	v_xor_b32_e32 v136, v137, v136
	v_lshlrev_b32_e32 v136, 2, v136
	v_and_b32_e32 v135, 8, v135
	v_xor_b32_e32 v138, 0x440, v136
	v_cmp_eq_u32_e32 vcc, 0, v135
	s_barrier
	s_nop 0
	v_cndmask_b32_e32 v135, v138, v136, vcc
	v_lshl_or_b32 v135, v137, 10, v135
	s_waitcnt vmcnt(5)
	v_perm_b32 v136, v30, v26, s62
	s_waitcnt vmcnt(4)
	v_perm_b32 v137, v22, v18, s62
	ds_write2st64_b32 v135, v136, v137 offset0:128 offset1:160
	v_xor_b32_e32 v136, 8, v135
	v_perm_b32 v26, v30, v26, s63
	v_perm_b32 v18, v22, v18, s63
	v_add_u32_e32 v22, 0x80, v136
	ds_write2st64_b32 v22, v26, v18 offset0:128 offset1:160
	v_xor_b32_e32 v18, 16, v135
	v_perm_b32 v22, v31, v27, s62
	v_perm_b32 v26, v23, v19, s62
	ds_write2st64_b32 v18, v22, v26 offset0:129 offset1:161
	v_xor_b32_e32 v18, 24, v135
	v_perm_b32 v22, v31, v27, s63
	v_perm_b32 v19, v23, v19, s63
	v_add_u32_e32 v18, 0x80, v18
	ds_write2st64_b32 v18, v22, v19 offset0:129 offset1:161
	v_xor_b32_e32 v18, 32, v135
	v_perm_b32 v19, v32, v28, s62
	;; [unrolled: 9-line block ×3, first 2 shown]
	v_perm_b32 v20, v25, v21, s62
	ds_write2st64_b32 v18, v19, v20 offset0:131 offset1:163
	v_xor_b32_e32 v18, 56, v135
	v_perm_b32 v19, v33, v29, s63
	v_perm_b32 v20, v25, v21, s63
	v_add_u32_e32 v18, 0x80, v18
	ds_write2st64_b32 v18, v19, v20 offset0:131 offset1:163
	ds_write_b64 v134, v[14:15] offset:49152
	v_xor_b32_e32 v14, 8, v134
	ds_write_b64 v14, v[16:17] offset:49152
	ds_write_b64 v134, v[10:11] offset:57344
	;; [unrolled: 1-line block ×4, first 2 shown]
	v_xor_b32_e32 v6, 8, v133
	ds_write_b64 v6, v[8:9] offset:49152
	ds_write_b64 v133, v[2:3] offset:57344
	;; [unrolled: 1-line block ×3, first 2 shown]
.LBB59_16:                              ;   in Loop: Header=BB59_6 Depth=1
	v_exp_f32_e32 v134, s42
	v_accvgpr_read_b32 v5, a3
	v_accvgpr_read_b32 v9, a7
	;; [unrolled: 1-line block ×4, first 2 shown]
	s_waitcnt vmcnt(4)
	v_accvgpr_read_b32 v18, a20
	v_accvgpr_read_b32 v25, a19
	;; [unrolled: 1-line block ×28, first 2 shown]
	s_add_i32 s61, s61, 64
	v_pk_fma_f32 v[62:63], v[62:63], v[134:135], v[2:3] op_sel_hi:[1,0,1]
	v_pk_fma_f32 v[66:67], v[66:67], v[134:135], v[4:5] op_sel_hi:[1,0,1]
	;; [unrolled: 1-line block ×15, first 2 shown]
	s_cmp_eq_u32 s52, s66
	v_pk_fma_f32 v[40:41], v[40:41], v[134:135], v[32:33] op_sel_hi:[1,0,1]
	s_cbranch_scc1 .LBB59_18
; %bb.17:                               ;   in Loop: Header=BB59_6 Depth=1
	s_mov_b32 s67, s66
	s_branch .LBB59_6
.LBB59_18:
	s_lshl_b32 s26, s52, 6
	s_sub_i32 s27, s12, s26
	s_cmp_gt_i32 s27, 0
	s_cbranch_scc0 .LBB59_99
; %bb.19:
	s_ashr_i32 s3, s26, 31
	s_cmpk_lg_i32 s15, 0x80
	s_cselect_b64 s[22:23], -1, 0
	s_and_b64 vcc, exec, s[22:23]
	s_cbranch_vccz .LBB59_21
; %bb.20:
	s_mul_i32 s1, s51, s12
	s_mul_hi_i32 s0, s51, s12
	s_add_u32 s1, s1, s26
	s_addc_u32 s0, s0, s3
	s_mul_i32 s17, s1, s53
	s_mul_hi_u32 s20, s1, s14
	s_add_i32 s17, s20, s17
	s_mul_i32 s0, s0, s14
	s_add_i32 s17, s17, s0
	s_mul_i32 s1, s1, s14
	s_ashr_i32 s0, s54, 31
	s_add_u32 s24, s1, s54
	s_addc_u32 s25, s17, s0
	s_cbranch_execz .LBB59_22
	s_branch .LBB59_23
.LBB59_21:
                                        ; implicit-def: $sgpr24_sgpr25
.LBB59_22:
	s_mul_hi_i32 s0, s51, s14
	s_mul_i32 s51, s51, s14
	s_ashr_i32 s1, s54, 31
	s_add_u32 s14, s51, s54
	s_addc_u32 s0, s0, s1
	s_mul_i32 s1, s14, s50
	s_mul_hi_u32 s17, s14, s12
	s_add_i32 s1, s17, s1
	s_mul_i32 s0, s0, s12
	s_add_i32 s1, s1, s0
	s_mul_i32 s14, s14, s12
	s_add_u32 s24, s14, s26
	s_addc_u32 s25, s1, s3
.LBB59_23:
	s_mul_i32 s0, s38, s50
	s_add_i32 s0, s57, s0
	s_add_i32 s14, s55, s52
	;; [unrolled: 1-line block ×3, first 2 shown]
	s_add_u32 s0, s16, s26
	v_lshlrev_b32_e32 v6, 6, v82
	v_lshlrev_b32_e32 v24, 2, v79
	s_addc_u32 s1, s1, s3
	s_mov_b32 s3, 0x7060302
	v_or_b32_e32 v9, v6, v24
	v_xor_b32_e32 v7, v82, v24
	v_perm_b32 v3, v67, v66, s3
	v_perm_b32 v2, v63, v62, s3
	;; [unrolled: 1-line block ×4, first 2 shown]
	v_lshlrev_b32_e32 v9, 1, v9
	v_xor_b32_e32 v8, v83, v24
	ds_write2st64_b64 v9, v[2:3], v[4:5] offset0:32 offset1:48
	v_lshlrev_b32_e32 v7, 1, v7
	v_lshlrev_b32_e32 v9, 8, v79
	v_or_b32_e32 v10, v7, v9
	v_lshlrev_b32_e32 v8, 1, v8
	ds_write_b64 v10, v[2:3]
	v_or_b32_e32 v2, v8, v9
	v_or_b32_e32 v9, 16, v79
	v_lshlrev_b32_e32 v23, 2, v9
	v_or_b32_e32 v10, v6, v23
	ds_write_b64 v2, v[4:5]
	v_perm_b32 v3, v59, v58, s3
	v_perm_b32 v2, v55, v54, s3
	;; [unrolled: 1-line block ×4, first 2 shown]
	v_lshlrev_b32_e32 v10, 1, v10
	v_lshlrev_b32_e32 v9, 8, v9
	ds_write2st64_b64 v10, v[2:3], v[4:5] offset0:32 offset1:48
	v_or_b32_e32 v10, v7, v9
	ds_write_b64 v10, v[2:3]
	v_or_b32_e32 v2, v8, v9
	v_or_b32_e32 v9, 32, v79
	v_lshlrev_b32_e32 v22, 2, v9
	v_or_b32_e32 v10, v6, v22
	ds_write_b64 v2, v[4:5]
	v_perm_b32 v3, v51, v50, s3
	v_perm_b32 v2, v47, v46, s3
	;; [unrolled: 1-line block ×4, first 2 shown]
	v_lshlrev_b32_e32 v10, 1, v10
	v_lshlrev_b32_e32 v9, 8, v9
	s_lshl_b64 s[20:21], s[0:1], 8
	ds_write2st64_b64 v10, v[2:3], v[4:5] offset0:32 offset1:48
	v_or_b32_e32 v10, v7, v9
	s_waitcnt lgkmcnt(0)
	s_add_u32 s0, s6, s20
	ds_write_b64 v10, v[2:3]
	v_or_b32_e32 v2, v8, v9
	s_addc_u32 s1, s7, s21
	ds_write_b64 v2, v[4:5]
	v_perm_b32 v3, v43, v42, s3
	v_perm_b32 v2, v39, v38, s3
	;; [unrolled: 1-line block ×4, first 2 shown]
	v_or_b32_e32 v9, 48, v79
	s_mul_hi_i32 s3, s14, s13
	s_mul_i32 s14, s14, s13
	v_lshlrev_b32_e32 v19, 2, v9
	s_add_u32 s6, s14, s48
	v_or_b32_e32 v6, v6, v19
	s_addc_u32 s7, s3, s49
	v_lshlrev_b32_e32 v6, 1, v6
	s_ashr_i32 s3, s2, 31
	s_lshl_b64 s[6:7], s[6:7], 15
	ds_write2st64_b64 v6, v[2:3], v[4:5] offset0:32 offset1:48
	v_lshlrev_b32_e32 v6, 8, v9
	s_add_u32 s6, s18, s6
	v_or_b32_e32 v7, v7, v6
	s_addc_u32 s7, s19, s7
	s_lshl_b64 s[2:3], s[2:3], 8
	ds_write_b64 v7, v[2:3]
	v_or_b32_e32 v2, v8, v6
	s_add_u32 s2, s6, s2
	v_lshlrev_b32_e32 v3, 1, v79
	ds_write_b64 v2, v[4:5]
	v_lshrrev_b32_e32 v2, 4, v0
	s_addc_u32 s3, s7, s3
	v_or_b32_e32 v4, 1, v3
	v_lshlrev_b32_e32 v10, 4, v79
	v_mov_b32_e32 v11, 0
	v_xor_b32_e32 v3, v2, v3
	v_xor_b32_e32 v6, v4, v2
	v_lshl_add_u64 v[12:13], s[2:3], 0, v[10:11]
	v_lshlrev_b32_e32 v10, 8, v2
	v_lshl_or_b32 v16, v3, 3, v10
	v_lshl_or_b32 v17, v6, 3, v10
	s_waitcnt lgkmcnt(0)
	s_barrier
	ds_read2st64_b64 v[2:5], v16 offset1:8
	ds_read2st64_b64 v[6:9], v17 offset1:8
	v_lshl_add_u64 v[14:15], v[12:13], 0, v[10:11]
	s_movk_i32 s2, 0x2000
	s_cmp_lg_u32 s27, 64
	s_waitcnt lgkmcnt(1)
	v_mov_b32_e32 v10, v2
	v_mov_b32_e32 v11, v3
	s_waitcnt lgkmcnt(0)
	v_mov_b32_e32 v12, v6
	v_mov_b32_e32 v13, v7
	global_store_dwordx4 v[14:15], v[10:13], off
	v_mov_b32_e32 v6, v4
	v_mov_b32_e32 v7, v5
	ds_read2st64_b64 v[2:5], v16 offset0:16 offset1:24
	ds_read2st64_b64 v[10:13], v17 offset0:16 offset1:24
	v_add_co_u32_e32 v16, vcc, s2, v14
	s_cselect_b64 s[6:7], -1, 0
	s_nop 0
	v_addc_co_u32_e32 v17, vcc, 0, v15, vcc
	global_store_dwordx4 v[16:17], v[6:9], off offset:-4096
	v_lshl_or_b32 v25, v77, 3, v80
	s_mov_b32 s16, 0
	s_waitcnt lgkmcnt(1)
	v_mov_b32_e32 v6, v2
	v_add_co_u32_e32 v2, vcc, 0x3000, v14
	v_mov_b32_e32 v7, v3
	s_nop 0
	v_addc_co_u32_e32 v3, vcc, 0, v15, vcc
	s_waitcnt lgkmcnt(0)
	v_mov_b32_e32 v8, v10
	v_mov_b32_e32 v9, v11
	;; [unrolled: 1-line block ×4, first 2 shown]
	v_or_b32_e32 v20, 32, v25
	v_and_b32_e32 v18, 56, v81
	s_and_b64 vcc, exec, s[6:7]
	global_store_dwordx4 v[16:17], v[6:9], off
	global_store_dwordx4 v[2:3], v[10:13], off
	s_cbranch_vccz .LBB59_29
; %bb.24:
	s_mov_b32 s17, s16
	s_mov_b32 s18, s16
	;; [unrolled: 1-line block ×3, first 2 shown]
	v_mov_b64_e32 v[6:7], s[16:17]
	v_mov_b64_e32 v[8:9], s[18:19]
	;; [unrolled: 1-line block ×3, first 2 shown]
	v_cmp_gt_i32_e32 vcc, s27, v25
	v_mov_b64_e32 v[4:5], v[8:9]
	s_and_saveexec_b64 s[2:3], vcc
	s_cbranch_execz .LBB59_26
; %bb.25:
	v_lshlrev_b32_e32 v2, 8, v25
	v_mov_b32_e32 v3, 0
	v_lshl_add_u64 v[4:5], s[0:1], 0, v[2:3]
	v_lshlrev_b32_e32 v2, 1, v18
	v_lshl_add_u64 v[10:11], v[4:5], 0, v[2:3]
	global_load_dwordx4 v[6:9], v[10:11], off
	global_load_dwordx4 v[2:5], v[10:11], off offset:128
.LBB59_26:
	s_or_b64 exec, exec, s[2:3]
	s_mov_b32 s17, s16
	s_mov_b32 s18, s16
	;; [unrolled: 1-line block ×3, first 2 shown]
	v_mov_b64_e32 v[14:15], s[16:17]
	v_mov_b64_e32 v[16:17], s[18:19]
	;; [unrolled: 1-line block ×3, first 2 shown]
	v_cmp_gt_i32_e32 vcc, s27, v20
	v_lshlrev_b32_e32 v21, 7, v20
	v_mov_b64_e32 v[12:13], v[16:17]
	s_and_saveexec_b64 s[2:3], vcc
	s_cbranch_execz .LBB59_28
; %bb.27:
	v_lshlrev_b32_e32 v10, 1, v21
	v_mov_b32_e32 v11, 0
	v_lshl_add_u64 v[12:13], s[0:1], 0, v[10:11]
	v_lshlrev_b32_e32 v10, 1, v18
	v_lshl_add_u64 v[26:27], v[12:13], 0, v[10:11]
	global_load_dwordx4 v[14:17], v[26:27], off
	global_load_dwordx4 v[10:13], v[26:27], off offset:128
.LBB59_28:
	s_or_b64 exec, exec, s[2:3]
	v_lshrrev_b32_e32 v26, 3, v18
	v_lshlrev_b32_e32 v27, 3, v25
	v_or_b32_e32 v26, v27, v26
	v_lshlrev_b32_e32 v26, 4, v26
	v_and_b32_e32 v27, 0x78, v27
	v_xor_b32_e32 v26, v26, v27
	s_branch .LBB59_31
.LBB59_29:
                                        ; implicit-def: $vgpr26
                                        ; implicit-def: $vgpr21
                                        ; implicit-def: $vgpr6_vgpr7_vgpr8_vgpr9
                                        ; implicit-def: $vgpr2_vgpr3_vgpr4_vgpr5
                                        ; implicit-def: $vgpr14_vgpr15_vgpr16_vgpr17
                                        ; implicit-def: $vgpr10_vgpr11_vgpr12_vgpr13
	s_cbranch_execz .LBB59_31
; %bb.30:
	s_waitcnt vmcnt(0)
	v_lshlrev_b32_e32 v2, 1, v18
	v_lshl_or_b32 v21, v25, 8, v2
	s_and_b32 s1, s1, 0xffff
	s_mov_b32 s3, 0x20000
	s_movk_i32 s2, 0x4000
	v_lshl_or_b32 v26, v20, 8, v2
	s_movk_i32 s13, 0x80
	buffer_load_dwordx4 v[6:9], v21, s[0:3], 0 offen
	buffer_load_dwordx4 v[2:5], v21, s[0:3], s13 offen
	;; [unrolled: 1-line block ×4, first 2 shown]
	v_lshrrev_b32_e32 v21, 3, v18
	v_lshlrev_b32_e32 v26, 3, v25
	v_or_b32_e32 v21, v26, v21
	v_lshlrev_b32_e32 v21, 4, v21
	v_and_b32_e32 v26, 0x78, v26
	v_xor_b32_e32 v26, v21, v26
	v_lshlrev_b32_e32 v21, 7, v20
.LBB59_31:
	s_movk_i32 s0, 0x1000
	v_and_or_b32 v20, v21, s0, v26
	s_waitcnt vmcnt(1)
	ds_write_b64 v26, v[6:7] offset:49152
	v_xor_b32_e32 v6, 8, v26
	ds_write_b64 v6, v[8:9] offset:49152
	s_waitcnt vmcnt(0)
	ds_write_b64 v26, v[2:3] offset:57344
	ds_write_b64 v6, v[4:5] offset:57344
	;; [unrolled: 1-line block ×3, first 2 shown]
	v_xor_b32_e32 v2, 8, v20
	ds_write_b64 v2, v[16:17] offset:49152
	ds_write_b64 v20, v[10:11] offset:57344
	;; [unrolled: 1-line block ×3, first 2 shown]
	v_or_b32_e32 v2, v1, v79
	v_lshlrev_b32_e32 v3, 11, v77
	v_lshlrev_b32_e32 v2, 3, v2
	v_and_b32_e32 v6, 0x1000, v3
	v_lshrrev_b32_e32 v3, 5, v76
	s_movk_i32 s0, 0xf8
	v_and_or_b32 v3, v2, s0, v3
	v_lshlrev_b32_e32 v7, 4, v3
	v_and_b32_e32 v8, 0x78, v2
	v_or_b32_e32 v10, 32, v7
	v_lshrrev_b32_e32 v3, 1, v76
	v_xor_b32_e32 v10, v10, v8
	v_xor_b32_e32 v2, v7, v8
	v_and_b32_e32 v9, 8, v3
	v_or_b32_e32 v10, v10, v6
	v_or_b32_e32 v2, v2, v6
	v_xor_b32_e32 v28, v10, v9
	v_or_b32_e32 v10, 64, v7
	v_xor_b32_e32 v27, v2, v9
	v_xor_b32_e32 v10, v10, v8
	s_waitcnt lgkmcnt(0)
	s_barrier
	v_or_b32_e32 v13, v10, v6
	ds_read_b64 v[10:11], v27 offset:49152
	v_lshl_or_b32 v14, v78, 8, v24
	v_lshlrev_b32_e32 v26, 1, v14
	v_add_u32_e32 v12, 0x4000, v26
	ds_read2_b64 v[2:5], v12 offset1:16
	v_or_b32_e32 v7, 0x60, v7
	v_xor_b32_e32 v7, v7, v8
	v_or_b32_e32 v6, v7, v6
	v_xor_b32_e32 v29, v13, v9
	v_xor_b32_e32 v30, v6, v9
	ds_read_b64 v[20:21], v28 offset:49152
	ds_read_b64 v[36:37], v29 offset:49152
	;; [unrolled: 1-line block ×3, first 2 shown]
	s_waitcnt lgkmcnt(3)
	v_mfma_f32_16x16x16_bf16 a[0:3], v[10:11], v[2:3], 0
	ds_read2st64_b64 v[6:9], v26 offset0:36 offset1:40
	s_lshl_b64 s[0:1], s[24:25], 8
	s_add_u32 s4, s4, s0
	v_mfma_f32_16x16x16_bf16 a[4:7], v[10:11], v[4:5], 0
	ds_read2_b64 v[2:5], v12 offset0:32 offset1:48
	s_addc_u32 s5, s5, s1
	s_add_i32 s1, s44, s33
	s_waitcnt lgkmcnt(0)
	v_mfma_f32_16x16x16_bf16 a[8:11], v[10:11], v[2:3], 0
	v_or_b32_e32 v2, 64, v14
	v_lshlrev_b32_e32 v31, 1, v2
	s_add_i32 s0, s12, -1
	v_mfma_f32_16x16x16_bf16 a[12:15], v[10:11], v[4:5], 0
	ds_read2st64_b64 v[2:5], v31 offset0:36 offset1:40
	s_add_i32 s37, s1, s39
	s_add_i32 s1, s46, s45
	v_mfma_f32_16x16x16_bf16 a[0:3], v[20:21], v[6:7], a[0:3]
	v_or_b32_e32 v6, 0x80, v14
	v_lshlrev_b32_e32 v32, 1, v6
	ds_read2st64_b64 v[10:13], v32 offset0:36 offset1:40
	s_waitcnt lgkmcnt(1)
	v_mfma_f32_16x16x16_bf16 a[4:7], v[20:21], v[2:3], a[4:7]
	v_or_b32_e32 v2, 0xc0, v14
	v_lshlrev_b32_e32 v33, 1, v2
	ds_read2st64_b64 v[14:17], v33 offset0:36 offset1:40
	s_add_i32 s35, s1, s47
	s_ashr_i32 s1, s0, 31
	s_mul_i32 s2, s0, s31
	s_mul_hi_u32 s3, s0, s30
	s_add_i32 s2, s3, s2
	s_mul_i32 s1, s1, s30
	s_waitcnt lgkmcnt(1)
	v_mfma_f32_16x16x16_bf16 a[8:11], v[20:21], v[10:11], a[8:11]
	s_add_i32 s1, s2, s1
	s_lshl_b64 s[2:3], s[36:37], 2
	s_add_u32 s10, s10, s2
	s_waitcnt lgkmcnt(0)
	v_mfma_f32_16x16x16_bf16 a[12:15], v[20:21], v[14:15], a[12:15]
	s_addc_u32 s11, s11, s3
	s_lshl_b64 s[2:3], s[34:35], 2
	s_mul_i32 s0, s0, s30
	v_mfma_f32_16x16x16_bf16 a[0:3], v[36:37], v[8:9], a[0:3]
	ds_read_b64 v[2:3], v26 offset:22528
	s_add_u32 s10, s10, s2
	s_addc_u32 s11, s11, s3
	v_mfma_f32_16x16x16_bf16 a[4:7], v[36:37], v[4:5], a[4:7]
	ds_read_b64 v[4:5], v31 offset:22528
	ds_read_b64 v[6:7], v32 offset:22528
	;; [unrolled: 1-line block ×3, first 2 shown]
	s_lshl_b64 s[0:1], s[0:1], 2
	s_add_u32 s0, s10, s0
	v_mfma_f32_16x16x16_bf16 a[8:11], v[36:37], v[12:13], a[8:11]
	s_addc_u32 s1, s11, s1
	s_load_dword s12, s[0:1], 0x0
	s_and_b64 vcc, exec, s[22:23]
	v_mfma_f32_16x16x16_bf16 a[12:15], v[36:37], v[16:17], a[12:15]
	s_waitcnt lgkmcnt(0)
	v_mfma_f32_16x16x16_bf16 a[0:3], v[38:39], v[2:3], a[0:3]
	v_mfma_f32_16x16x16_bf16 a[4:7], v[38:39], v[4:5], a[4:7]
	;; [unrolled: 1-line block ×4, first 2 shown]
	s_cbranch_vccz .LBB59_42
; %bb.32:
	v_lshlrev_b32_e32 v20, 1, v25
	s_and_b64 vcc, exec, s[6:7]
	s_cbranch_vccz .LBB59_43
; %bb.33:
	v_cmp_gt_i32_e32 vcc, s27, v20
	v_mov_b32_e32 v6, 0
	v_mov_b32_e32 v2, 0
	;; [unrolled: 1-line block ×5, first 2 shown]
	s_and_saveexec_b64 s[0:1], vcc
	s_cbranch_execz .LBB59_35
; %bb.34:
	v_mad_i64_i32 v[2:3], s[2:3], s15, v20, 0
	v_lshl_add_u64 v[2:3], v[2:3], 1, s[4:5]
	v_lshlrev_b32_e32 v4, 1, v18
	v_mov_b32_e32 v5, 0
	v_lshl_add_u64 v[2:3], v[2:3], 0, v[4:5]
	global_load_dwordx4 v[2:5], v[2:3], off
.LBB59_35:
	s_or_b64 exec, exec, s[0:1]
	v_or_b32_e32 v21, 1, v20
	v_cmp_gt_i32_e64 s[0:1], s27, v21
	v_mov_b32_e32 v7, 0
	v_mov_b32_e32 v8, 0
	;; [unrolled: 1-line block ×3, first 2 shown]
	s_and_saveexec_b64 s[2:3], s[0:1]
	s_cbranch_execz .LBB59_37
; %bb.36:
	v_mad_i64_i32 v[6:7], s[16:17], s15, v21, 0
	v_lshl_add_u64 v[6:7], v[6:7], 1, s[4:5]
	v_lshlrev_b32_e32 v8, 1, v18
	v_mov_b32_e32 v9, 0
	v_lshl_add_u64 v[6:7], v[6:7], 0, v[8:9]
	global_load_dwordx4 v[6:9], v[6:7], off
.LBB59_37:
	s_or_b64 exec, exec, s[2:3]
	v_mov_b32_e32 v17, 0
	v_mov_b32_e32 v10, 0
	;; [unrolled: 1-line block ×5, first 2 shown]
	s_and_saveexec_b64 s[2:3], vcc
	s_cbranch_execz .LBB59_39
; %bb.38:
	v_mad_i64_i32 v[10:11], s[16:17], s15, v20, 0
	v_lshl_add_u64 v[10:11], v[10:11], 1, s[4:5]
	v_lshlrev_b32_e32 v12, 1, v18
	v_mov_b32_e32 v13, 0
	v_lshl_add_u64 v[10:11], v[10:11], 0, v[12:13]
	global_load_dwordx4 v[10:13], v[10:11], off offset:128
.LBB59_39:
	s_or_b64 exec, exec, s[2:3]
	v_mov_b32_e32 v16, 0
	v_mov_b32_e32 v15, 0
	;; [unrolled: 1-line block ×3, first 2 shown]
	s_and_saveexec_b64 s[2:3], s[0:1]
	s_cbranch_execz .LBB59_41
; %bb.40:
	v_mad_i64_i32 v[14:15], s[0:1], s15, v21, 0
	v_lshl_add_u64 v[14:15], v[14:15], 1, s[4:5]
	v_lshlrev_b32_e32 v16, 1, v18
	v_mov_b32_e32 v17, 0
	v_lshl_add_u64 v[14:15], v[14:15], 0, v[16:17]
	global_load_dwordx4 v[14:17], v[14:15], off offset:128
.LBB59_41:
	s_or_b64 exec, exec, s[2:3]
	s_branch .LBB59_45
.LBB59_42:
                                        ; implicit-def: $vgpr5
                                        ; implicit-def: $vgpr9
                                        ; implicit-def: $vgpr13
                                        ; implicit-def: $vgpr17
	v_lshrrev_b32_e32 v35, 2, v76
	s_branch .LBB59_46
.LBB59_43:
                                        ; implicit-def: $vgpr5
                                        ; implicit-def: $vgpr9
                                        ; implicit-def: $vgpr13
                                        ; implicit-def: $vgpr17
	s_cbranch_execz .LBB59_45
; %bb.44:
	s_waitcnt vmcnt(0)
	v_mad_u64_u32 v[2:3], s[0:1], v20, s15, v[18:19]
	v_lshlrev_b32_e32 v20, 1, v2
	s_lshl_b32 s2, s15, 7
	s_and_b32 s1, s5, 0xffff
	s_mov_b32 s3, 0x20000
	s_mov_b32 s0, s4
	v_add_lshl_u32 v21, v2, s15, 1
	s_movk_i32 s13, 0x80
	buffer_load_dwordx4 v[2:5], v20, s[0:3], 0 offen
	buffer_load_dwordx4 v[10:13], v20, s[0:3], s13 offen
	;; [unrolled: 1-line block ×4, first 2 shown]
.LBB59_45:
	v_lshrrev_b32_e32 v35, 2, v76
	s_cbranch_execnz .LBB59_58
.LBB59_46:
	s_and_b64 vcc, exec, s[6:7]
	s_cbranch_vccz .LBB59_56
; %bb.47:
	s_waitcnt vmcnt(0)
	v_lshlrev_b32_e32 v7, 1, v25
	v_cmp_gt_i32_e32 vcc, s27, v7
	v_mov_b32_e32 v6, 0
	v_lshlrev_b32_e32 v14, 9, v25
	v_mov_b32_e32 v2, 0
	v_mov_b32_e32 v3, 0
	;; [unrolled: 1-line block ×4, first 2 shown]
	s_and_saveexec_b64 s[0:1], vcc
	s_cbranch_execz .LBB59_49
; %bb.48:
	v_mov_b32_e32 v15, 0
	v_lshl_add_u64 v[2:3], s[4:5], 0, v[14:15]
	v_lshlrev_b32_e32 v4, 1, v18
	v_mov_b32_e32 v5, v15
	v_lshl_add_u64 v[2:3], v[2:3], 0, v[4:5]
	global_load_dwordx4 v[2:5], v[2:3], off
.LBB59_49:
	s_or_b64 exec, exec, s[0:1]
	v_or_b32_e32 v7, 1, v7
	v_cmp_gt_i32_e64 s[0:1], s27, v7
	v_lshlrev_b32_e32 v20, 8, v7
	v_mov_b32_e32 v7, 0
	v_mov_b32_e32 v8, 0
	;; [unrolled: 1-line block ×3, first 2 shown]
	s_and_saveexec_b64 s[2:3], s[0:1]
	s_cbranch_execz .LBB59_51
; %bb.50:
	v_mov_b32_e32 v21, 0
	v_lshl_add_u64 v[6:7], s[4:5], 0, v[20:21]
	v_lshlrev_b32_e32 v8, 1, v18
	v_mov_b32_e32 v9, v21
	v_lshl_add_u64 v[6:7], v[6:7], 0, v[8:9]
	global_load_dwordx4 v[6:9], v[6:7], off
.LBB59_51:
	s_or_b64 exec, exec, s[2:3]
	v_mov_b32_e32 v17, 0
	v_mov_b32_e32 v10, 0
	;; [unrolled: 1-line block ×5, first 2 shown]
	s_and_saveexec_b64 s[2:3], vcc
	s_cbranch_execz .LBB59_53
; %bb.52:
	v_mov_b32_e32 v15, 0
	v_lshl_add_u64 v[10:11], s[4:5], 0, v[14:15]
	v_lshlrev_b32_e32 v14, 1, v18
	v_lshl_add_u64 v[10:11], v[10:11], 0, v[14:15]
	global_load_dwordx4 v[10:13], v[10:11], off offset:128
.LBB59_53:
	s_or_b64 exec, exec, s[2:3]
	v_mov_b32_e32 v16, 0
	v_mov_b32_e32 v15, 0
	;; [unrolled: 1-line block ×3, first 2 shown]
	s_and_saveexec_b64 s[2:3], s[0:1]
	s_cbranch_execz .LBB59_55
; %bb.54:
	v_mov_b32_e32 v21, 0
	v_lshl_add_u64 v[14:15], s[4:5], 0, v[20:21]
	v_lshlrev_b32_e32 v20, 1, v18
	v_lshl_add_u64 v[14:15], v[14:15], 0, v[20:21]
	global_load_dwordx4 v[14:17], v[14:15], off offset:128
.LBB59_55:
	s_or_b64 exec, exec, s[2:3]
	s_branch .LBB59_58
.LBB59_56:
                                        ; implicit-def: $vgpr5
                                        ; implicit-def: $vgpr9
                                        ; implicit-def: $vgpr13
                                        ; implicit-def: $vgpr17
	s_cbranch_execz .LBB59_58
; %bb.57:
	s_waitcnt vmcnt(0)
	v_lshlrev_b32_e32 v2, 1, v18
	v_lshl_or_b32 v18, v25, 9, v2
	s_and_b32 s5, s5, 0xffff
	s_mov_b32 s7, 0x20000
	s_movk_i32 s6, 0x4000
	s_movk_i32 s0, 0x80
	buffer_load_dwordx4 v[2:5], v18, s[4:7], 0 offen
	buffer_load_dwordx4 v[6:9], v18, s[4:7], 0 offen offset:256
	buffer_load_dwordx4 v[10:13], v18, s[4:7], s0 offen
	buffer_load_dwordx4 v[14:17], v18, s[4:7], s0 offen offset:256
.LBB59_58:
	ds_read_b64 v[20:21], v27 offset:57344
	v_add_u32_e32 v18, 0x6000, v26
	ds_read2_b64 v[36:39], v18 offset1:16
	ds_read_b64 v[52:53], v28 offset:57344
	ds_read_b64 v[28:29], v29 offset:57344
	;; [unrolled: 1-line block ×3, first 2 shown]
	ds_read2st64_b64 v[40:43], v26 offset0:52 offset1:56
	s_mov_b32 s0, 0x1000504
	s_mov_b32 s1, 0x3020706
	s_waitcnt lgkmcnt(4)
	v_mfma_f32_16x16x16_bf16 a[0:3], v[20:21], v[36:37], a[0:3]
	v_mfma_f32_16x16x16_bf16 a[4:7], v[20:21], v[38:39], a[4:7]
	ds_read2_b64 v[36:39], v18 offset0:32 offset1:48
	v_and_b32_e32 v18, 6, v0
	v_xor_b32_e32 v25, v25, v18
	s_waitcnt lgkmcnt(0)
	v_mfma_f32_16x16x16_bf16 a[8:11], v[20:21], v[36:37], a[8:11]
	v_lshlrev_b32_e32 v25, 2, v25
	v_and_b32_e32 v0, 1, v0
	v_cmp_eq_u32_e32 vcc, 0, v0
	v_mfma_f32_16x16x16_bf16 a[12:15], v[20:21], v[38:39], a[12:15]
	ds_read2st64_b64 v[36:39], v31 offset0:52 offset1:56
	ds_read2st64_b64 v[44:47], v32 offset0:52 offset1:56
	;; [unrolled: 1-line block ×3, first 2 shown]
	ds_read_b64 v[20:21], v26 offset:30720
	ds_read_b64 v[26:27], v31 offset:30720
	;; [unrolled: 1-line block ×4, first 2 shown]
	s_waitcnt lgkmcnt(6)
	v_mfma_f32_16x16x16_bf16 a[4:7], v[52:53], v[36:37], a[4:7]
	v_xor_b32_e32 v36, 0x440, v25
	v_cndmask_b32_e32 v0, v36, v25, vcc
	v_lshl_or_b32 v0, v18, 10, v0
	v_mfma_f32_16x16x16_bf16 a[0:3], v[52:53], v[40:41], a[0:3]
	s_waitcnt vmcnt(0)
	v_perm_b32 v18, v2, v6, s0
	v_perm_b32 v25, v10, v14, s0
	ds_write2st64_b32 v0, v18, v25 offset0:128 offset1:160
	s_waitcnt lgkmcnt(6)
	v_mfma_f32_16x16x16_bf16 a[8:11], v[52:53], v[44:45], a[8:11]
	v_xor_b32_e32 v18, 8, v0
	v_perm_b32 v2, v2, v6, s1
	v_perm_b32 v6, v10, v14, s1
	s_waitcnt lgkmcnt(5)
	v_mfma_f32_16x16x16_bf16 a[12:15], v[52:53], v[48:49], a[12:15]
	v_add_u32_e32 v10, 0x80, v18
	ds_write2st64_b32 v10, v2, v6 offset0:128 offset1:160
	v_xor_b32_e32 v2, 16, v0
	v_mfma_f32_16x16x16_bf16 a[0:3], v[28:29], v[42:43], a[0:3]
	v_perm_b32 v6, v3, v7, s0
	v_perm_b32 v10, v11, v15, s0
	ds_write2st64_b32 v2, v6, v10 offset0:129 offset1:161
	v_mfma_f32_16x16x16_bf16 a[4:7], v[28:29], v[38:39], a[4:7]
	v_xor_b32_e32 v2, 24, v0
	v_perm_b32 v3, v3, v7, s1
	v_perm_b32 v6, v11, v15, s1
	v_mfma_f32_16x16x16_bf16 a[16:19], v[28:29], v[46:47], a[8:11]
	v_add_u32_e32 v2, 0x80, v2
	ds_write2st64_b32 v2, v3, v6 offset0:129 offset1:161
	v_xor_b32_e32 v2, 32, v0
	v_mfma_f32_16x16x16_bf16 a[20:23], v[28:29], v[50:51], a[12:15]
	v_perm_b32 v3, v4, v8, s0
	v_perm_b32 v6, v12, v16, s0
	ds_write2st64_b32 v2, v3, v6 offset0:130 offset1:162
	s_waitcnt lgkmcnt(8)
	v_mfma_f32_16x16x16_bf16 a[12:15], v[54:55], v[20:21], a[0:3]
	v_xor_b32_e32 v2, 40, v0
	v_perm_b32 v3, v4, v8, s1
	v_perm_b32 v4, v12, v16, s1
	s_waitcnt lgkmcnt(7)
	v_mfma_f32_16x16x16_bf16 a[8:11], v[54:55], v[26:27], a[4:7]
	v_add_u32_e32 v2, 0x80, v2
	ds_write2st64_b32 v2, v3, v4 offset0:130 offset1:162
	v_xor_b32_e32 v2, 48, v0
	s_waitcnt lgkmcnt(7)
	v_mfma_f32_16x16x16_bf16 a[4:7], v[54:55], v[30:31], a[16:19]
	v_perm_b32 v3, v5, v9, s0
	v_perm_b32 v4, v13, v17, s0
	v_xor_b32_e32 v0, 56, v0
	s_waitcnt lgkmcnt(6)
	v_mfma_f32_16x16x16_bf16 a[0:3], v[54:55], v[32:33], a[20:23]
	v_and_or_b32 v21, v35, 12, v1
	ds_write2st64_b32 v2, v3, v4 offset0:131 offset1:163
	v_perm_b32 v2, v5, v9, s1
	v_perm_b32 v3, v13, v17, s1
	v_add_u32_e32 v0, 0x80, v0
	v_cmp_gt_i32_e32 vcc, s27, v21
	v_mov_b32_e32 v16, 0
	v_mov_b32_e32 v18, 0
	ds_write2st64_b32 v0, v2, v3 offset0:131 offset1:163
	s_and_saveexec_b64 s[0:1], vcc
	s_cbranch_execz .LBB59_60
; %bb.59:
	v_add_u32_e32 v0, s26, v21
	v_ashrrev_i32_e32 v1, 31, v0
	v_mul_lo_u32 v2, v1, s30
	v_mul_lo_u32 v3, v0, s31
	v_mad_u64_u32 v[0:1], s[2:3], v0, s30, 0
	v_add3_u32 v1, v1, v3, v2
	v_lshl_add_u64 v[0:1], v[0:1], 2, s[10:11]
	global_load_dword v0, v[0:1], off
	s_waitcnt vmcnt(0)
	v_sub_f32_e32 v0, s12, v0
	v_exp_f32_e32 v18, v0
.LBB59_60:
	s_or_b64 exec, exec, s[0:1]
	v_or_b32_e32 v10, 1, v21
	v_cmp_gt_i32_e64 s[2:3], s27, v10
	s_and_saveexec_b64 s[0:1], s[2:3]
	s_cbranch_execz .LBB59_62
; %bb.61:
	v_add_u32_e32 v0, s26, v10
	v_ashrrev_i32_e32 v1, 31, v0
	v_mul_lo_u32 v2, v1, s30
	v_mul_lo_u32 v3, v0, s31
	v_mad_u64_u32 v[0:1], s[4:5], v0, s30, 0
	v_add3_u32 v1, v1, v3, v2
	v_lshl_add_u64 v[0:1], v[0:1], 2, s[10:11]
	global_load_dword v0, v[0:1], off
	s_waitcnt vmcnt(0)
	v_sub_f32_e32 v0, s12, v0
	v_exp_f32_e32 v16, v0
.LBB59_62:
	s_or_b64 exec, exec, s[0:1]
	v_or_b32_e32 v12, 2, v21
	v_cmp_gt_i32_e64 s[0:1], s27, v12
	v_mov_b32_e32 v17, 0
	v_mov_b32_e32 v20, 0
	s_and_saveexec_b64 s[4:5], s[0:1]
	s_cbranch_execz .LBB59_64
; %bb.63:
	v_add_u32_e32 v0, s26, v12
	v_ashrrev_i32_e32 v1, 31, v0
	v_mul_lo_u32 v2, v1, s30
	v_mul_lo_u32 v3, v0, s31
	v_mad_u64_u32 v[0:1], s[6:7], v0, s30, 0
	v_add3_u32 v1, v1, v3, v2
	v_lshl_add_u64 v[0:1], v[0:1], 2, s[10:11]
	global_load_dword v0, v[0:1], off
	s_waitcnt vmcnt(0)
	v_sub_f32_e32 v0, s12, v0
	v_exp_f32_e32 v20, v0
.LBB59_64:
	s_or_b64 exec, exec, s[4:5]
	v_or_b32_e32 v14, 3, v21
	v_cmp_gt_i32_e64 s[4:5], s27, v14
	s_and_saveexec_b64 s[6:7], s[4:5]
	s_cbranch_execz .LBB59_66
; %bb.65:
	v_add_u32_e32 v0, s26, v14
	v_ashrrev_i32_e32 v1, 31, v0
	v_mul_lo_u32 v2, v1, s30
	v_mul_lo_u32 v3, v0, s31
	v_mad_u64_u32 v[0:1], s[14:15], v0, s30, 0
	v_add3_u32 v1, v1, v3, v2
	v_lshl_add_u64 v[0:1], v[0:1], 2, s[10:11]
	global_load_dword v0, v[0:1], off
	s_waitcnt vmcnt(0)
	v_sub_f32_e32 v0, s12, v0
	v_exp_f32_e32 v17, v0
.LBB59_66:
	s_or_b64 exec, exec, s[6:7]
	s_add_u32 s6, s8, s20
	s_addc_u32 s7, s9, s21
	s_add_u32 s8, s28, s20
	v_ashrrev_i32_e32 v35, 31, v34
	v_accvgpr_read_b32 v0, a12
	s_addc_u32 s9, s29, s21
	v_lshlrev_b64 v[4:5], 1, v[34:35]
	v_accvgpr_read_b32 v1, a13
	v_accvgpr_read_b32 v2, a14
	;; [unrolled: 1-line block ×3, first 2 shown]
	v_lshl_add_u64 v[6:7], s[6:7], 0, v[4:5]
	v_lshl_add_u64 v[4:5], s[8:9], 0, v[4:5]
	v_mov_b32_e32 v11, 0
	v_lshlrev_b32_e32 v8, 8, v21
	v_mov_b32_e32 v9, 0
	s_and_saveexec_b64 s[6:7], vcc
	s_cbranch_execz .LBB59_68
; %bb.67:
	v_mov_b32_e32 v9, 0
	v_lshl_add_u64 v[26:27], v[6:7], 0, v[8:9]
	global_load_ushort v13, v[26:27], off
	v_lshl_add_u64 v[26:27], v[4:5], 0, v[8:9]
	s_waitcnt vmcnt(0)
	v_lshlrev_b32_e32 v9, 16, v13
	v_sub_f32_e32 v0, v9, v0
	global_store_short_d16_hi v[26:27], v0, off
	v_mul_f32_e32 v0, v18, v0
	v_lshrrev_b32_e32 v9, 16, v0
.LBB59_68:
	s_or_b64 exec, exec, s[6:7]
	v_lshlrev_b32_e32 v10, 8, v10
	s_and_saveexec_b64 s[6:7], s[2:3]
	s_cbranch_execz .LBB59_70
; %bb.69:
	v_mov_b32_e32 v11, 0
	v_lshl_add_u64 v[26:27], v[6:7], 0, v[10:11]
	global_load_ushort v0, v[26:27], off
	v_lshl_add_u64 v[26:27], v[4:5], 0, v[10:11]
	s_waitcnt vmcnt(0)
	v_lshlrev_b32_e32 v0, 16, v0
	v_sub_f32_e32 v0, v0, v1
	global_store_short_d16_hi v[26:27], v0, off
	v_mul_f32_e32 v0, v16, v0
	v_lshrrev_b32_e32 v11, 16, v0
.LBB59_70:
	s_or_b64 exec, exec, s[6:7]
	v_mov_b32_e32 v15, 0
	v_lshlrev_b32_e32 v12, 8, v12
	v_mov_b32_e32 v13, 0
	s_and_saveexec_b64 s[6:7], s[0:1]
	s_cbranch_execz .LBB59_72
; %bb.71:
	v_mov_b32_e32 v13, 0
	v_lshl_add_u64 v[0:1], v[6:7], 0, v[12:13]
	global_load_ushort v25, v[0:1], off
	v_lshl_add_u64 v[0:1], v[4:5], 0, v[12:13]
	s_waitcnt vmcnt(0)
	v_lshlrev_b32_e32 v13, 16, v25
	v_sub_f32_e32 v2, v13, v2
	global_store_short_d16_hi v[0:1], v2, off
	v_mul_f32_e32 v0, v20, v2
	v_lshrrev_b32_e32 v13, 16, v0
.LBB59_72:
	s_or_b64 exec, exec, s[6:7]
	v_lshlrev_b32_e32 v14, 8, v14
	s_and_saveexec_b64 s[6:7], s[4:5]
	s_cbranch_execz .LBB59_74
; %bb.73:
	v_mov_b32_e32 v15, 0
	v_lshl_add_u64 v[0:1], v[6:7], 0, v[14:15]
	global_load_ushort v2, v[0:1], off
	v_lshl_add_u64 v[0:1], v[4:5], 0, v[14:15]
	s_waitcnt vmcnt(0)
	v_lshlrev_b32_e32 v2, 16, v2
	v_sub_f32_e32 v2, v2, v3
	global_store_short_d16_hi v[0:1], v2, off
	v_mul_f32_e32 v0, v17, v2
	v_lshrrev_b32_e32 v15, 16, v0
.LBB59_74:
	s_or_b64 exec, exec, s[6:7]
	v_lshlrev_b32_e32 v21, 6, v21
	s_mov_b32 s6, 0x5040100
	v_perm_b32 v26, v11, v9, s6
	v_or_b32_e32 v9, v21, v24
	v_accvgpr_read_b32 v0, a8
	v_perm_b32 v27, v15, v13, s6
	v_lshlrev_b32_e32 v9, 1, v9
	v_accvgpr_read_b32 v1, a9
	v_accvgpr_read_b32 v2, a10
	;; [unrolled: 1-line block ×3, first 2 shown]
	ds_write_b64 v9, v[26:27] offset:24576
	v_mov_b32_e32 v11, 0
	v_mov_b32_e32 v9, 0
	s_and_saveexec_b64 s[6:7], vcc
	s_cbranch_execz .LBB59_76
; %bb.75:
	v_mov_b32_e32 v9, 0
	v_lshl_add_u64 v[24:25], v[6:7], 0, v[8:9]
	global_load_ushort v13, v[24:25], off offset:32
	v_lshl_add_u64 v[24:25], v[4:5], 0, v[8:9]
	s_waitcnt vmcnt(0)
	v_lshlrev_b32_e32 v9, 16, v13
	v_sub_f32_e32 v0, v9, v0
	global_store_short_d16_hi v[24:25], v0, off offset:32
	v_mul_f32_e32 v0, v18, v0
	v_lshrrev_b32_e32 v9, 16, v0
.LBB59_76:
	s_or_b64 exec, exec, s[6:7]
	s_and_saveexec_b64 s[6:7], s[2:3]
	s_cbranch_execz .LBB59_78
; %bb.77:
	v_mov_b32_e32 v11, 0
	v_lshl_add_u64 v[24:25], v[6:7], 0, v[10:11]
	global_load_ushort v0, v[24:25], off offset:32
	v_lshl_add_u64 v[24:25], v[4:5], 0, v[10:11]
	s_waitcnt vmcnt(0)
	v_lshlrev_b32_e32 v0, 16, v0
	v_sub_f32_e32 v0, v0, v1
	global_store_short_d16_hi v[24:25], v0, off offset:32
	v_mul_f32_e32 v0, v16, v0
	v_lshrrev_b32_e32 v11, 16, v0
.LBB59_78:
	s_or_b64 exec, exec, s[6:7]
	v_mov_b32_e32 v15, 0
	v_mov_b32_e32 v13, 0
	s_and_saveexec_b64 s[6:7], s[0:1]
	s_cbranch_execz .LBB59_80
; %bb.79:
	v_mov_b32_e32 v13, 0
	v_lshl_add_u64 v[0:1], v[6:7], 0, v[12:13]
	global_load_ushort v24, v[0:1], off offset:32
	v_lshl_add_u64 v[0:1], v[4:5], 0, v[12:13]
	s_waitcnt vmcnt(0)
	v_lshlrev_b32_e32 v13, 16, v24
	v_sub_f32_e32 v2, v13, v2
	global_store_short_d16_hi v[0:1], v2, off offset:32
	v_mul_f32_e32 v0, v20, v2
	v_lshrrev_b32_e32 v13, 16, v0
.LBB59_80:
	s_or_b64 exec, exec, s[6:7]
	s_and_saveexec_b64 s[6:7], s[4:5]
	s_cbranch_execz .LBB59_82
; %bb.81:
	v_mov_b32_e32 v15, 0
	v_lshl_add_u64 v[0:1], v[6:7], 0, v[14:15]
	global_load_ushort v2, v[0:1], off offset:32
	v_lshl_add_u64 v[0:1], v[4:5], 0, v[14:15]
	s_waitcnt vmcnt(0)
	v_lshlrev_b32_e32 v2, 16, v2
	v_sub_f32_e32 v2, v2, v3
	global_store_short_d16_hi v[0:1], v2, off offset:32
	v_mul_f32_e32 v0, v17, v2
	v_lshrrev_b32_e32 v15, 16, v0
.LBB59_82:
	s_or_b64 exec, exec, s[6:7]
	s_mov_b32 s6, 0x5040100
	v_perm_b32 v24, v11, v9, s6
	v_or_b32_e32 v9, v21, v23
	v_accvgpr_read_b32 v0, a4
	v_perm_b32 v25, v15, v13, s6
	v_lshlrev_b32_e32 v9, 1, v9
	v_accvgpr_read_b32 v1, a5
	v_accvgpr_read_b32 v2, a6
	v_accvgpr_read_b32 v3, a7
	ds_write_b64 v9, v[24:25] offset:24576
	v_mov_b32_e32 v11, 0
	v_mov_b32_e32 v9, 0
	s_and_saveexec_b64 s[6:7], vcc
	s_cbranch_execz .LBB59_84
; %bb.83:
	v_mov_b32_e32 v9, 0
	v_lshl_add_u64 v[24:25], v[6:7], 0, v[8:9]
	global_load_ushort v13, v[24:25], off offset:64
	v_lshl_add_u64 v[24:25], v[4:5], 0, v[8:9]
	s_waitcnt vmcnt(0)
	v_lshlrev_b32_e32 v9, 16, v13
	v_sub_f32_e32 v0, v9, v0
	global_store_short_d16_hi v[24:25], v0, off offset:64
	v_mul_f32_e32 v0, v18, v0
	v_lshrrev_b32_e32 v9, 16, v0
.LBB59_84:
	s_or_b64 exec, exec, s[6:7]
	s_and_saveexec_b64 s[6:7], s[2:3]
	s_cbranch_execz .LBB59_86
; %bb.85:
	v_mov_b32_e32 v11, 0
	v_lshl_add_u64 v[24:25], v[6:7], 0, v[10:11]
	global_load_ushort v0, v[24:25], off offset:64
	v_lshl_add_u64 v[24:25], v[4:5], 0, v[10:11]
	s_waitcnt vmcnt(0)
	v_lshlrev_b32_e32 v0, 16, v0
	v_sub_f32_e32 v0, v0, v1
	global_store_short_d16_hi v[24:25], v0, off offset:64
	v_mul_f32_e32 v0, v16, v0
	v_lshrrev_b32_e32 v11, 16, v0
.LBB59_86:
	s_or_b64 exec, exec, s[6:7]
	v_mov_b32_e32 v15, 0
	v_mov_b32_e32 v13, 0
	s_and_saveexec_b64 s[6:7], s[0:1]
	s_cbranch_execz .LBB59_88
; %bb.87:
	v_mov_b32_e32 v13, 0
	v_lshl_add_u64 v[0:1], v[6:7], 0, v[12:13]
	global_load_ushort v23, v[0:1], off offset:64
	v_lshl_add_u64 v[0:1], v[4:5], 0, v[12:13]
	s_waitcnt vmcnt(0)
	v_lshlrev_b32_e32 v13, 16, v23
	v_sub_f32_e32 v2, v13, v2
	global_store_short_d16_hi v[0:1], v2, off offset:64
	v_mul_f32_e32 v0, v20, v2
	v_lshrrev_b32_e32 v13, 16, v0
.LBB59_88:
	s_or_b64 exec, exec, s[6:7]
	s_and_saveexec_b64 s[6:7], s[4:5]
	s_cbranch_execz .LBB59_90
; %bb.89:
	v_mov_b32_e32 v15, 0
	v_lshl_add_u64 v[0:1], v[6:7], 0, v[14:15]
	global_load_ushort v2, v[0:1], off offset:64
	v_lshl_add_u64 v[0:1], v[4:5], 0, v[14:15]
	s_waitcnt vmcnt(0)
	v_lshlrev_b32_e32 v2, 16, v2
	v_sub_f32_e32 v2, v2, v3
	global_store_short_d16_hi v[0:1], v2, off offset:64
	v_mul_f32_e32 v0, v17, v2
	v_lshrrev_b32_e32 v15, 16, v0
.LBB59_90:
	s_or_b64 exec, exec, s[6:7]
	s_mov_b32 s6, 0x5040100
	v_perm_b32 v24, v11, v9, s6
	v_or_b32_e32 v9, v21, v22
	v_accvgpr_read_b32 v0, a0
	v_perm_b32 v25, v15, v13, s6
	v_lshlrev_b32_e32 v9, 1, v9
	v_accvgpr_read_b32 v1, a1
	v_accvgpr_read_b32 v2, a2
	;; [unrolled: 1-line block ×3, first 2 shown]
	ds_write_b64 v9, v[24:25] offset:24576
	v_mov_b32_e32 v11, 0
	v_mov_b32_e32 v9, 0
	s_and_saveexec_b64 s[6:7], vcc
	s_cbranch_execz .LBB59_92
; %bb.91:
	v_mov_b32_e32 v9, 0
	v_lshl_add_u64 v[22:23], v[6:7], 0, v[8:9]
	global_load_ushort v13, v[22:23], off offset:96
	v_lshl_add_u64 v[8:9], v[4:5], 0, v[8:9]
	s_waitcnt vmcnt(0)
	v_lshlrev_b32_e32 v13, 16, v13
	v_sub_f32_e32 v0, v13, v0
	global_store_short_d16_hi v[8:9], v0, off offset:96
	v_mul_f32_e32 v0, v18, v0
	v_lshrrev_b32_e32 v9, 16, v0
.LBB59_92:
	s_or_b64 exec, exec, s[6:7]
	s_and_saveexec_b64 s[6:7], s[2:3]
	s_cbranch_execz .LBB59_94
; %bb.93:
	v_mov_b32_e32 v11, 0
	v_lshl_add_u64 v[22:23], v[6:7], 0, v[10:11]
	global_load_ushort v0, v[22:23], off offset:96
	v_lshl_add_u64 v[10:11], v[4:5], 0, v[10:11]
	s_waitcnt vmcnt(0)
	v_lshlrev_b32_e32 v0, 16, v0
	v_sub_f32_e32 v0, v0, v1
	global_store_short_d16_hi v[10:11], v0, off offset:96
	v_mul_f32_e32 v0, v16, v0
	v_lshrrev_b32_e32 v11, 16, v0
.LBB59_94:
	s_or_b64 exec, exec, s[6:7]
	v_mov_b32_e32 v0, 0
	v_mov_b32_e32 v1, 0
	s_and_saveexec_b64 s[2:3], s[0:1]
	s_cbranch_execz .LBB59_96
; %bb.95:
	v_mov_b32_e32 v13, 0
	v_lshl_add_u64 v[22:23], v[6:7], 0, v[12:13]
	global_load_ushort v1, v[22:23], off offset:96
	v_lshl_add_u64 v[12:13], v[4:5], 0, v[12:13]
	s_waitcnt vmcnt(0)
	v_lshlrev_b32_e32 v1, 16, v1
	v_sub_f32_e32 v1, v1, v2
	global_store_short_d16_hi v[12:13], v1, off offset:96
	v_mul_f32_e32 v1, v20, v1
	v_lshrrev_b32_e32 v1, 16, v1
.LBB59_96:
	s_or_b64 exec, exec, s[2:3]
	s_and_saveexec_b64 s[0:1], s[4:5]
	s_cbranch_execz .LBB59_98
; %bb.97:
	v_mov_b32_e32 v15, 0
	v_lshl_add_u64 v[6:7], v[6:7], 0, v[14:15]
	global_load_ushort v0, v[6:7], off offset:96
	v_lshl_add_u64 v[4:5], v[4:5], 0, v[14:15]
	s_waitcnt vmcnt(0)
	v_lshlrev_b32_e32 v0, 16, v0
	v_sub_f32_e32 v0, v0, v3
	global_store_short_d16_hi v[4:5], v0, off offset:96
	v_mul_f32_e32 v0, v17, v0
	v_lshrrev_b32_e32 v0, 16, v0
.LBB59_98:
	s_or_b64 exec, exec, s[0:1]
	s_mov_b32 s0, 0x5040100
	v_or_b32_e32 v2, v21, v19
	v_perm_b32 v1, v0, v1, s0
	v_perm_b32 v0, v11, v9, s0
	v_lshlrev_b32_e32 v2, 1, v2
	ds_write_b64 v2, v[0:1] offset:24576
	s_waitcnt lgkmcnt(0)
	s_barrier
.LBB59_99:
	s_endpgm
	.section	.rodata,"a",@progbits
	.p2align	6, 0x0
	.amdhsa_kernel _ZN12_GLOBAL__N_139chunk_gated_delta_rule_fwd_h_hip_kernelILi64ELb1ELb0ELb1ELb0ELb1ELb0ELb0ELb1EEEvPK12hip_bfloat16S3_S3_PKfS5_PKvPS1_S8_PvPKiSB_iiiiilll
		.amdhsa_group_segment_fixed_size 65536
		.amdhsa_private_segment_fixed_size 0
		.amdhsa_kernarg_size 136
		.amdhsa_user_sgpr_count 2
		.amdhsa_user_sgpr_dispatch_ptr 0
		.amdhsa_user_sgpr_queue_ptr 0
		.amdhsa_user_sgpr_kernarg_segment_ptr 1
		.amdhsa_user_sgpr_dispatch_id 0
		.amdhsa_user_sgpr_kernarg_preload_length 0
		.amdhsa_user_sgpr_kernarg_preload_offset 0
		.amdhsa_user_sgpr_private_segment_size 0
		.amdhsa_uses_dynamic_stack 0
		.amdhsa_enable_private_segment 0
		.amdhsa_system_sgpr_workgroup_id_x 1
		.amdhsa_system_sgpr_workgroup_id_y 1
		.amdhsa_system_sgpr_workgroup_id_z 0
		.amdhsa_system_sgpr_workgroup_info 0
		.amdhsa_system_vgpr_workitem_id 0
		.amdhsa_next_free_vgpr 216
		.amdhsa_next_free_sgpr 68
		.amdhsa_accum_offset 180
		.amdhsa_reserve_vcc 1
		.amdhsa_float_round_mode_32 0
		.amdhsa_float_round_mode_16_64 0
		.amdhsa_float_denorm_mode_32 3
		.amdhsa_float_denorm_mode_16_64 3
		.amdhsa_dx10_clamp 1
		.amdhsa_ieee_mode 1
		.amdhsa_fp16_overflow 0
		.amdhsa_tg_split 0
		.amdhsa_exception_fp_ieee_invalid_op 0
		.amdhsa_exception_fp_denorm_src 0
		.amdhsa_exception_fp_ieee_div_zero 0
		.amdhsa_exception_fp_ieee_overflow 0
		.amdhsa_exception_fp_ieee_underflow 0
		.amdhsa_exception_fp_ieee_inexact 0
		.amdhsa_exception_int_div_zero 0
	.end_amdhsa_kernel
	.section	.text._ZN12_GLOBAL__N_139chunk_gated_delta_rule_fwd_h_hip_kernelILi64ELb1ELb0ELb1ELb0ELb1ELb0ELb0ELb1EEEvPK12hip_bfloat16S3_S3_PKfS5_PKvPS1_S8_PvPKiSB_iiiiilll,"axG",@progbits,_ZN12_GLOBAL__N_139chunk_gated_delta_rule_fwd_h_hip_kernelILi64ELb1ELb0ELb1ELb0ELb1ELb0ELb0ELb1EEEvPK12hip_bfloat16S3_S3_PKfS5_PKvPS1_S8_PvPKiSB_iiiiilll,comdat
.Lfunc_end59:
	.size	_ZN12_GLOBAL__N_139chunk_gated_delta_rule_fwd_h_hip_kernelILi64ELb1ELb0ELb1ELb0ELb1ELb0ELb0ELb1EEEvPK12hip_bfloat16S3_S3_PKfS5_PKvPS1_S8_PvPKiSB_iiiiilll, .Lfunc_end59-_ZN12_GLOBAL__N_139chunk_gated_delta_rule_fwd_h_hip_kernelILi64ELb1ELb0ELb1ELb0ELb1ELb0ELb0ELb1EEEvPK12hip_bfloat16S3_S3_PKfS5_PKvPS1_S8_PvPKiSB_iiiiilll
                                        ; -- End function
	.section	.AMDGPU.csdata,"",@progbits
; Kernel info:
; codeLenInByte = 11372
; NumSgprs: 74
; NumVgprs: 180
; NumAgprs: 36
; TotalNumVgprs: 216
; ScratchSize: 0
; MemoryBound: 0
; FloatMode: 240
; IeeeMode: 1
; LDSByteSize: 65536 bytes/workgroup (compile time only)
; SGPRBlocks: 9
; VGPRBlocks: 26
; NumSGPRsForWavesPerEU: 74
; NumVGPRsForWavesPerEU: 216
; AccumOffset: 180
; Occupancy: 1
; WaveLimiterHint : 1
; COMPUTE_PGM_RSRC2:SCRATCH_EN: 0
; COMPUTE_PGM_RSRC2:USER_SGPR: 2
; COMPUTE_PGM_RSRC2:TRAP_HANDLER: 0
; COMPUTE_PGM_RSRC2:TGID_X_EN: 1
; COMPUTE_PGM_RSRC2:TGID_Y_EN: 1
; COMPUTE_PGM_RSRC2:TGID_Z_EN: 0
; COMPUTE_PGM_RSRC2:TIDIG_COMP_CNT: 0
; COMPUTE_PGM_RSRC3_GFX90A:ACCUM_OFFSET: 44
; COMPUTE_PGM_RSRC3_GFX90A:TG_SPLIT: 0
	.section	.text._ZN12_GLOBAL__N_139chunk_gated_delta_rule_fwd_h_hip_kernelILi64ELb1ELb0ELb0ELb0ELb1ELb0ELb0ELb1EEEvPK12hip_bfloat16S3_S3_PKfS5_PKvPS1_S8_PvPKiSB_iiiiilll,"axG",@progbits,_ZN12_GLOBAL__N_139chunk_gated_delta_rule_fwd_h_hip_kernelILi64ELb1ELb0ELb0ELb0ELb1ELb0ELb0ELb1EEEvPK12hip_bfloat16S3_S3_PKfS5_PKvPS1_S8_PvPKiSB_iiiiilll,comdat
	.globl	_ZN12_GLOBAL__N_139chunk_gated_delta_rule_fwd_h_hip_kernelILi64ELb1ELb0ELb0ELb0ELb1ELb0ELb0ELb1EEEvPK12hip_bfloat16S3_S3_PKfS5_PKvPS1_S8_PvPKiSB_iiiiilll ; -- Begin function _ZN12_GLOBAL__N_139chunk_gated_delta_rule_fwd_h_hip_kernelILi64ELb1ELb0ELb0ELb0ELb1ELb0ELb0ELb1EEEvPK12hip_bfloat16S3_S3_PKfS5_PKvPS1_S8_PvPKiSB_iiiiilll
	.p2align	8
	.type	_ZN12_GLOBAL__N_139chunk_gated_delta_rule_fwd_h_hip_kernelILi64ELb1ELb0ELb0ELb0ELb1ELb0ELb0ELb1EEEvPK12hip_bfloat16S3_S3_PKfS5_PKvPS1_S8_PvPKiSB_iiiiilll,@function
_ZN12_GLOBAL__N_139chunk_gated_delta_rule_fwd_h_hip_kernelILi64ELb1ELb0ELb0ELb0ELb1ELb0ELb0ELb1EEEvPK12hip_bfloat16S3_S3_PKfS5_PKvPS1_S8_PvPKiSB_iiiiilll: ; @_ZN12_GLOBAL__N_139chunk_gated_delta_rule_fwd_h_hip_kernelILi64ELb1ELb0ELb0ELb0ELb1ELb0ELb0ELb1EEEvPK12hip_bfloat16S3_S3_PKfS5_PKvPS1_S8_PvPKiSB_iiiiilll
; %bb.0:
	s_load_dwordx4 s[12:15], s[0:1], 0x5c
	s_load_dwordx4 s[16:19], s[0:1], 0x28
	s_abs_i32 s6, s3
	s_ashr_i32 s5, s3, 31
	v_and_b32_e32 v77, 15, v0
	s_waitcnt lgkmcnt(0)
	s_abs_i32 s4, s13
	v_cvt_f32_u32_e32 v1, s4
	s_sub_i32 s8, 0, s4
	s_ashr_i32 s7, s13, 31
	s_xor_b32 s5, s5, s7
	v_rcp_iflag_f32_e32 v1, v1
	v_lshrrev_b32_e32 v75, 6, v0
	v_bfe_u32 v76, v0, 4, 2
	v_mov_b32_e32 v7, 0
	v_mul_f32_e32 v1, 0x4f7ffffe, v1
	v_cvt_u32_f32_e32 v1, v1
	v_and_b32_e32 v74, 63, v0
	v_lshlrev_b32_e32 v78, 3, v0
	v_lshrrev_b32_e32 v79, 3, v74
	v_readfirstlane_b32 s9, v1
	s_mul_i32 s8, s8, s9
	s_mul_hi_u32 s8, s9, s8
	s_add_i32 s9, s9, s8
	s_mul_hi_u32 s8, s6, s9
	s_mul_i32 s9, s8, s4
	s_sub_i32 s6, s6, s9
	s_add_i32 s10, s8, 1
	s_sub_i32 s9, s6, s4
	s_cmp_ge_u32 s6, s4
	s_cselect_b32 s8, s10, s8
	s_cselect_b32 s6, s9, s6
	s_add_i32 s9, s8, 1
	s_cmp_ge_u32 s6, s4
	s_cselect_b32 s6, s9, s8
	s_xor_b32 s6, s6, s5
	s_sub_i32 s49, s6, s5
	s_mul_i32 s6, s49, s13
	s_sub_i32 s46, s3, s6
	s_abs_i32 s3, s14
	v_cvt_f32_u32_e32 v1, s3
	s_add_i32 s8, s12, 63
	s_ashr_i32 s9, s8, 31
	s_lshr_b32 s5, s9, 26
	v_rcp_iflag_f32_e32 v1, v1
	s_ashr_i32 s48, s12, 31
	s_add_i32 s8, s8, s5
	s_lshr_b32 s5, s48, 26
	v_mul_f32_e32 v1, 0x4f7ffffe, v1
	v_cvt_u32_f32_e32 v1, v1
	s_add_i32 s5, s12, s5
	s_ashr_i32 s51, s14, 31
	s_ashr_i32 s24, s8, 6
	;; [unrolled: 1-line block ×3, first 2 shown]
	s_xor_b32 s5, s7, s51
	s_sub_i32 s7, 0, s3
	v_readfirstlane_b32 s8, v1
	s_mul_i32 s7, s7, s8
	s_mul_hi_u32 s7, s8, s7
	s_add_i32 s8, s8, s7
	s_mul_hi_u32 s7, s4, s8
	s_mul_i32 s8, s7, s3
	s_sub_i32 s4, s4, s8
	s_lshl_b32 s2, s2, 6
	s_add_i32 s8, s7, 1
	s_sub_i32 s9, s4, s3
	s_cmp_ge_u32 s4, s3
	s_cselect_b32 s7, s8, s7
	s_cselect_b32 s4, s9, s4
	s_add_i32 s8, s7, 1
	s_cmp_ge_u32 s4, s3
	s_cselect_b32 s3, s8, s7
	s_xor_b32 s3, s3, s5
	s_sub_i32 s3, s3, s5
	s_abs_i32 s4, s3
	v_cvt_f32_u32_e32 v1, s4
	s_sub_i32 s7, 0, s4
	s_abs_i32 s5, s46
	s_xor_b32 s3, s46, s3
	v_rcp_iflag_f32_e32 v1, v1
	s_ashr_i32 s3, s3, 31
	v_or_b32_e32 v34, s2, v77
	v_lshlrev_b32_e32 v2, 7, v34
	v_mul_f32_e32 v1, 0x4f7ffffe, v1
	v_cvt_u32_f32_e32 v1, v1
	v_or_b32_e32 v10, 0x800, v2
	v_ashrrev_i32_e32 v3, 31, v2
	v_ashrrev_i32_e32 v11, 31, v10
	v_readfirstlane_b32 s8, v1
	s_mul_i32 s7, s7, s8
	s_mul_hi_u32 s7, s8, s7
	s_add_i32 s8, s8, s7
	s_mul_hi_u32 s7, s5, s8
	s_mul_i32 s8, s7, s4
	s_sub_i32 s5, s5, s8
	s_add_i32 s8, s7, 1
	s_sub_i32 s9, s5, s4
	s_cmp_ge_u32 s5, s4
	s_cselect_b32 s7, s8, s7
	s_cselect_b32 s5, s9, s5
	s_add_i32 s8, s7, 1
	s_cmp_ge_u32 s5, s4
	s_cselect_b32 s4, s8, s7
	s_xor_b32 s4, s4, s3
	s_sub_i32 s52, s4, s3
	s_ashr_i32 s3, s49, 31
	s_ashr_i32 s47, s46, 31
	s_mul_hi_i32 s4, s49, s13
	s_add_u32 s36, s6, s46
	s_addc_u32 s37, s4, s47
	s_lshl_b64 s[4:5], s[36:37], 15
	v_lshlrev_b32_e32 v1, 4, v75
	s_add_u32 s4, s16, s4
	v_lshl_or_b32 v80, v76, 2, v1
	s_addc_u32 s5, s17, s5
	v_lshl_add_u64 v[4:5], v[2:3], 1, s[4:5]
	v_lshlrev_b32_e32 v6, 1, v80
	v_lshl_add_u64 v[10:11], v[10:11], 1, s[4:5]
	v_lshl_add_u64 v[4:5], v[4:5], 0, v[6:7]
	;; [unrolled: 1-line block ×3, first 2 shown]
	global_load_dwordx2 v[8:9], v[4:5], off
	v_or_b32_e32 v81, 64, v80
	global_load_dwordx2 v[4:5], v[4:5], off offset:128
	s_nop 0
	global_load_dwordx2 v[12:13], v[10:11], off
	global_load_dwordx2 v[14:15], v[10:11], off offset:128
	v_or_b32_e32 v10, 0x1000, v2
	v_or_b32_e32 v2, 0x1800, v2
	v_ashrrev_i32_e32 v11, 31, v10
	v_ashrrev_i32_e32 v3, 31, v2
	v_lshl_add_u64 v[10:11], v[10:11], 1, s[4:5]
	v_lshl_add_u64 v[2:3], v[2:3], 1, s[4:5]
	;; [unrolled: 1-line block ×4, first 2 shown]
	global_load_dwordx2 v[16:17], v[10:11], off
	s_mul_i32 s53, s49, s24
	global_load_dwordx2 v[10:11], v[10:11], off offset:128
	s_nop 0
	global_load_dwordx2 v[6:7], v[2:3], off
	global_load_dwordx2 v[18:19], v[2:3], off offset:128
	s_load_dwordx8 s[4:11], s[0:1], 0x0
	s_load_dwordx2 s[28:29], s[0:1], 0x80
	s_load_dwordx4 s[20:23], s[0:1], 0x70
	s_cmp_lt_i32 s12, 64
	s_mul_i32 s54, s37, s12
	s_mul_hi_u32 s55, s36, s12
	s_mul_i32 s16, s36, s12
	s_waitcnt lgkmcnt(0)
	s_mul_i32 s33, s49, s21
	s_mul_hi_u32 s42, s49, s20
	s_mul_i32 s37, s3, s20
	s_mul_i32 s34, s49, s20
	;; [unrolled: 1-line block ×3, first 2 shown]
	s_mul_hi_u32 s44, s46, s22
	s_mul_i32 s45, s47, s22
	s_mul_i32 s30, s46, s22
	s_waitcnt vmcnt(7)
	v_and_b32_e32 v63, 0xffff0000, v8
	v_lshlrev_b32_e32 v62, 16, v8
	v_and_b32_e32 v67, 0xffff0000, v9
	v_lshlrev_b32_e32 v66, 16, v9
	s_waitcnt vmcnt(6)
	v_and_b32_e32 v61, 0xffff0000, v4
	v_lshlrev_b32_e32 v60, 16, v4
	v_and_b32_e32 v65, 0xffff0000, v5
	v_lshlrev_b32_e32 v64, 16, v5
	;; [unrolled: 5-line block ×8, first 2 shown]
	s_cbranch_scc1 .LBB60_18
; %bb.1:
	s_add_i32 s17, s55, s54
	s_lshl_b64 s[0:1], s[16:17], 8
	v_and_b32_e32 v83, 56, v78
	s_add_u32 s20, s6, s0
	v_lshl_or_b32 v82, v75, 3, v79
	v_lshlrev_b32_e32 v2, 1, v83
	s_addc_u32 s0, s7, s1
	v_lshl_or_b32 v84, v82, 8, v2
	s_and_b32 s21, s0, 0xffff
	s_mov_b32 s23, 0x20000
	s_movk_i32 s22, 0x4000
	s_movk_i32 s0, 0x80
	v_or_b32_e32 v85, 0x2000, v84
	buffer_load_dwordx4 v[4:7], v84, s[20:23], 0 offen
	buffer_load_dwordx4 v[8:11], v84, s[20:23], s0 offen
	;; [unrolled: 1-line block ×4, first 2 shown]
	v_lshlrev_b32_e32 v3, 3, v82
	v_and_or_b32 v21, v0, 7, v3
	v_and_b32_e32 v3, 0x78, v3
	v_lshlrev_b32_e32 v21, 4, v21
	v_xor_b32_e32 v86, v21, v3
	v_mul_lo_u32 v20, v82, s15
	v_or_b32_e32 v87, 0x1000, v86
	v_xor_b32_e32 v3, 8, v86
	s_cmpk_eq_i32 s15, 0x80
	s_mov_b32 s56, s14
	v_xor_b32_e32 v21, 8, v87
	s_cselect_b64 s[0:1], -1, 0
	s_cmpk_lg_i32 s15, 0x80
	s_waitcnt vmcnt(3)
	ds_write_b64 v86, v[4:5] offset:49152
	ds_write_b64 v3, v[6:7] offset:49152
	s_waitcnt vmcnt(2)
	ds_write_b64 v86, v[8:9] offset:57344
	ds_write_b64 v3, v[10:11] offset:57344
	;; [unrolled: 3-line block ×4, first 2 shown]
	v_lshl_add_u32 v3, v20, 1, v83
	s_cbranch_scc0 .LBB60_3
; %bb.2:
	v_lshlrev_b32_e32 v5, 1, v3
	v_add_lshl_u32 v4, v3, s15, 1
	s_lshl_b32 s22, s15, 7
	v_lshl_or_b32 v2, v82, 9, v2
	s_cbranch_execz .LBB60_4
	s_branch .LBB60_5
.LBB60_3:
                                        ; implicit-def: $vgpr4
                                        ; implicit-def: $vgpr5
                                        ; implicit-def: $sgpr22
	v_lshl_or_b32 v2, v82, 9, v2
.LBB60_4:
	v_or_b32_e32 v4, 0x100, v2
	s_movk_i32 s22, 0x4000
	v_mov_b32_e32 v5, v2
.LBB60_5:
	s_mul_hi_u32 s20, s14, s12
	s_mul_i32 s21, s51, s12
	s_add_i32 s20, s20, s21
	s_mul_i32 s21, s14, s12
	s_mul_i32 s23, s21, s3
	s_mul_hi_u32 s24, s21, s49
	s_add_i32 s23, s24, s23
	s_mul_i32 s20, s20, s49
	s_add_i32 s23, s23, s20
	s_mul_i32 s21, s21, s49
	s_ashr_i32 s57, s52, 31
	s_add_u32 s20, s21, s52
	s_addc_u32 s21, s23, s57
	s_lshl_b64 s[20:21], s[20:21], 8
	s_add_u32 s20, s4, s20
	s_addc_u32 s21, s5, s21
	s_and_b32 s21, s21, 0xffff
	s_mov_b32 s23, 0x20000
	s_movk_i32 s58, 0x80
	buffer_load_dwordx4 v[6:9], v5, s[20:23], 0 offen
	buffer_load_dwordx4 v[10:13], v5, s[20:23], s58 offen
	;; [unrolled: 1-line block ×4, first 2 shown]
	v_and_b32_e32 v5, 6, v0
	v_lshlrev_b32_e32 v4, 7, v80
	v_xor_b32_e32 v26, v82, v5
	v_and_b32_e32 v22, 1, v0
	v_lshl_or_b32 v29, v77, 3, v4
	v_lshlrev_b32_e32 v26, 2, v26
	v_or_b32_e32 v88, 0x4000, v29
	v_or_b32_e32 v89, 0x6000, v29
	v_xor_b32_e32 v29, 0x440, v26
	v_cmp_eq_u32_e32 vcc, 0, v22
	v_lshlrev_b32_e32 v23, 2, v77
	s_mov_b32 s60, 0x1000504
	v_cndmask_b32_e32 v22, v29, v26, vcc
	v_xor_b32_e32 v27, v80, v23
	v_xor_b32_e32 v28, v81, v23
	v_lshl_or_b32 v5, v5, 10, v22
	s_mov_b32 s61, 0x3020706
	v_lshlrev_b32_e32 v24, 8, v77
	v_or_b32_e32 v25, 16, v77
	v_lshlrev_b32_e32 v27, 1, v27
	v_lshlrev_b32_e32 v28, 1, v28
	v_xor_b32_e32 v22, 8, v5
	v_xor_b32_e32 v26, 24, v5
	;; [unrolled: 1-line block ×4, first 2 shown]
	s_mul_i32 s3, s3, s12
	s_mul_hi_u32 s20, s49, s12
	v_or_b32_e32 v91, v24, v27
	v_or_b32_e32 v92, v24, v28
	v_xor_b32_e32 v24, 16, v5
	v_xor_b32_e32 v29, 32, v5
	;; [unrolled: 1-line block ×3, first 2 shown]
	v_add_u32_e32 v22, 0x80, v22
	v_add_u32_e32 v26, 0x80, v26
	;; [unrolled: 1-line block ×4, first 2 shown]
	s_add_i32 s63, s20, s3
	s_add_i32 s3, s42, s33
	;; [unrolled: 1-line block ×5, first 2 shown]
	s_lshl_b64 s[20:21], s[34:35], 2
	s_add_u32 s3, s10, s20
	s_addc_u32 s24, s11, s21
	s_lshl_b64 s[20:21], s[30:31], 2
	s_add_u32 s38, s3, s20
	s_movk_i32 s3, 0xf8
	s_addc_u32 s39, s24, s21
	s_lshl_b32 s26, s15, 7
	s_movk_i32 s24, 0x100
	v_mov_b32_e32 v69, 0
	v_cmp_gt_u32_e32 vcc, s24, v0
	v_lshl_or_b32 v30, v25, 3, v4
	s_mov_b32 s59, 0
	s_mul_i32 s62, s49, s12
	v_or_b32_e32 v90, 0x4000, v30
	s_movk_i32 s22, 0x4000
	v_or_b32_e32 v93, 0x6000, v30
	s_movk_i32 s31, 0x2000
	s_movk_i32 s35, 0x3000
	s_mov_b32 s65, 0
	s_waitcnt vmcnt(1)
	v_perm_b32 v35, v6, v14, s60
	s_waitcnt vmcnt(0)
	v_perm_b32 v68, v10, v18, s60
	v_perm_b32 v6, v6, v14, s61
	;; [unrolled: 1-line block ×15, first 2 shown]
	ds_write2st64_b32 v5, v35, v68 offset0:128 offset1:160
	ds_write2st64_b32 v22, v6, v10 offset0:128 offset1:160
	;; [unrolled: 1-line block ×8, first 2 shown]
	v_lshlrev_b32_e32 v5, 8, v25
	v_or_b32_e32 v94, v5, v27
	v_or_b32_e32 v95, v5, v28
	;; [unrolled: 1-line block ×3, first 2 shown]
	v_lshl_or_b32 v6, v5, 3, v4
	v_lshlrev_b32_e32 v5, 8, v5
	v_or_b32_e32 v98, v5, v27
	v_or_b32_e32 v99, v5, v28
	;; [unrolled: 1-line block ×5, first 2 shown]
	v_lshl_or_b32 v6, v5, 3, v4
	v_lshlrev_b32_e32 v5, 8, v5
	v_or_b32_e32 v102, v5, v27
	v_or_b32_e32 v103, v5, v28
	;; [unrolled: 1-line block ×3, first 2 shown]
	v_lshlrev_b32_e32 v5, 3, v5
	v_lshrrev_b32_e32 v7, 5, v74
	v_and_or_b32 v7, v5, s3, v7
	v_lshlrev_b32_e32 v7, 4, v7
	v_lshlrev_b32_e32 v8, 11, v75
	v_and_b32_e32 v5, 0x78, v5
	v_or_b32_e32 v13, 32, v7
	v_or_b32_e32 v100, 0x4000, v6
	;; [unrolled: 1-line block ×3, first 2 shown]
	v_and_b32_e32 v6, 0x1000, v8
	v_xor_b32_e32 v9, v7, v5
	v_lshrrev_b32_e32 v10, 1, v0
	v_xor_b32_e32 v13, v13, v5
	v_or_b32_e32 v9, v9, v6
	v_and_b32_e32 v11, 8, v10
	v_or_b32_e32 v13, v13, v6
	v_xor_b32_e32 v104, v9, v11
	v_lshlrev_b32_e32 v9, 8, v76
	v_xor_b32_e32 v106, v13, v11
	v_or_b32_e32 v13, 64, v7
	v_or_b32_e32 v7, 0x60, v7
	s_ashr_i32 s3, s2, 31
	v_or_b32_e32 v12, v9, v23
	v_xor_b32_e32 v13, v13, v5
	v_xor_b32_e32 v5, v7, v5
	s_lshl_b64 s[20:21], s[2:3], 8
	v_lshlrev_b32_e32 v12, 1, v12
	v_or_b32_e32 v13, v13, v6
	v_or_b32_e32 v5, v5, v6
	s_add_u32 s20, s18, s20
	v_lshlrev_b32_e32 v6, 1, v77
	v_or_b32_e32 v105, 0x4000, v12
	v_or_b32_e32 v107, 0x4080, v12
	;; [unrolled: 1-line block ×8, first 2 shown]
	v_lshrrev_b32_e32 v12, 4, v0
	s_addc_u32 s21, s19, s21
	v_or_b32_e32 v7, 1, v6
	v_lshlrev_b32_e32 v68, 4, v77
	v_mov_b32_e32 v16, 0xa000
	v_mov_b32_e32 v17, 0x8000
	v_xor_b32_e32 v110, v13, v11
	v_xor_b32_e32 v13, v12, v6
	;; [unrolled: 1-line block ×3, first 2 shown]
	v_lshl_add_u64 v[6:7], s[20:21], 0, v[68:69]
	v_lshlrev_b32_e32 v68, 8, v12
	v_cndmask_b32_e32 v16, v16, v17, vcc
	v_lshlrev_b32_e32 v17, 3, v75
	v_and_b32_e32 v10, 24, v10
	v_lshl_or_b32 v116, v13, 3, v68
	v_and_b32_e32 v13, 8, v0
	v_xor_b32_e32 v18, v17, v10
	v_or_b32_e32 v19, 0x440, v18
	v_cmp_eq_u32_e32 vcc, 0, v13
	v_and_b32_e32 v12, 7, v0
	v_lshl_or_b32 v117, v14, 3, v68
	v_cndmask_b32_e32 v13, v19, v18, vcc
	v_lshlrev_b32_e32 v14, 3, v12
	v_lshlrev_b32_e32 v12, 7, v12
	v_or_b32_e32 v13, v13, v8
	v_lshlrev_b32_e32 v15, 2, v0
	v_xad_u32 v118, v13, v14, v12
	v_or_b32_e32 v13, 32, v10
	v_and_or_b32 v9, v15, 60, v9
	v_xor_b32_e32 v13, v17, v13
	v_lshlrev_b32_e32 v9, 1, v9
	v_or_b32_e32 v15, 0x440, v13
	v_or_b32_e32 v119, 0x6000, v9
	v_cndmask_b32_e32 v13, v15, v13, vcc
	v_or_b32_e32 v121, 0x6080, v9
	v_or_b32_e32 v122, 0x6100, v9
	;; [unrolled: 1-line block ×5, first 2 shown]
	v_xor_b32_e32 v9, v17, v9
	v_xad_u32 v120, v13, v14, v12
	v_xor_b32_e32 v13, 0x440, v9
	v_cndmask_b32_e32 v9, v13, v9, vcc
	v_or_b32_e32 v9, v9, v8
	v_xad_u32 v124, v9, v14, v12
	v_or_b32_e32 v9, 0x60, v10
	v_xor_b32_e32 v9, v17, v9
	v_xor_b32_e32 v10, 0x440, v9
	v_cndmask_b32_e32 v9, v10, v9, vcc
	v_or_b32_e32 v8, v9, v8
	v_xor_b32_e32 v111, v5, v11
	v_ashrrev_i32_e32 v35, 31, v34
	v_lshlrev_b32_e32 v5, 1, v3
	v_add_lshl_u32 v3, v3, s15, 1
	v_or_b32_e32 v11, 0x100, v2
	v_xad_u32 v125, v8, v14, v12
	v_cndmask_b32_e64 v126, v5, v2, s[0:1]
	v_cndmask_b32_e64 v127, v3, v11, s[0:1]
	v_lshl_add_u64 v[70:71], v[34:35], 1, s[8:9]
	v_lshl_add_u64 v[72:73], v[6:7], 0, v[68:69]
	s_mov_b32 s3, 0x7060302
	v_lshlrev_b32_e32 v68, 1, v4
	v_add_u32_e32 v35, v16, v118
	v_add_u32_e32 v128, v16, v120
	v_add_u32_e32 v129, v16, v124
	v_add_u32_e32 v130, v16, v125
	s_waitcnt lgkmcnt(0)
	s_barrier
.LBB60_6:                               ; =>This Inner Loop Header: Depth=1
	s_add_i32 s64, s65, 1
	s_cmp_lt_i32 s64, s50
	s_mov_b64 s[24:25], 0
	s_cselect_b64 s[40:41], -1, 0
	s_cmp_ge_i32 s64, s50
	s_mov_b64 s[20:21], 0
	s_cbranch_scc1 .LBB60_8
; %bb.7:                                ;   in Loop: Header=BB60_6 Depth=1
	s_add_i32 s0, s59, 64
	s_add_u32 s0, s16, s0
	s_addc_u32 s1, s17, 0
	s_lshl_b64 s[0:1], s[0:1], 8
	s_add_u32 s20, s6, s0
	s_addc_u32 s21, s7, s1
.LBB60_8:                               ;   in Loop: Header=BB60_6 Depth=1
	v_cndmask_b32_e64 v2, 0, 1, s[40:41]
	v_cmp_ne_u32_e64 s[0:1], 1, v2
	s_andn2_b64 vcc, exec, s[40:41]
	s_cbranch_vccnz .LBB60_10
; %bb.9:                                ;   in Loop: Header=BB60_6 Depth=1
	s_add_i32 s24, s59, 64
	s_add_u32 s24, s62, s24
	s_addc_u32 s25, s63, 0
	s_mul_i32 s27, s24, s51
	s_mul_hi_u32 s40, s24, s56
	s_add_i32 s27, s40, s27
	s_mul_i32 s25, s25, s56
	s_add_i32 s27, s27, s25
	s_mul_i32 s24, s24, s56
	s_add_u32 s24, s24, s52
	s_addc_u32 s25, s27, s57
	s_lshl_b64 s[24:25], s[24:25], 8
	s_add_u32 s24, s4, s24
	s_addc_u32 s25, s5, s25
.LBB60_10:                              ;   in Loop: Header=BB60_6 Depth=1
	v_perm_b32 v3, v67, v66, s3
	v_perm_b32 v2, v63, v62, s3
	v_perm_b32 v5, v65, v64, s3
	v_perm_b32 v4, v61, v60, s3
	ds_write_b64 v88, v[2:3]
	ds_write_b64 v89, v[4:5]
	ds_write_b64 v91, v[2:3]
	ds_write_b64 v92, v[4:5]
	v_perm_b32 v3, v59, v58, s3
	v_perm_b32 v2, v55, v54, s3
	v_perm_b32 v5, v57, v56, s3
	v_perm_b32 v4, v53, v52, s3
	ds_write_b64 v90, v[2:3]
	ds_write_b64 v93, v[4:5]
	ds_write_b64 v94, v[2:3]
	ds_write_b64 v95, v[4:5]
	;; [unrolled: 8-line block ×4, first 2 shown]
	s_waitcnt lgkmcnt(0)
	s_barrier
	ds_read_b64 v[6:7], v104 offset:49152
	ds_read2_b64 v[2:5], v105 offset1:16
	ds_read_b64 v[18:19], v107 offset:6144
	ds_read_b64 v[20:21], v105 offset:6144
	s_waitcnt lgkmcnt(2)
	v_mfma_f32_16x16x16_bf16 a[0:3], v[6:7], v[2:3], 0
	ds_read_b64 v[22:23], v106 offset:49152
	ds_read2st64_b64 v[10:13], v108 offset0:4 offset1:8
	ds_read2st64_b64 v[14:17], v109 offset0:4 offset1:8
	v_mfma_f32_16x16x16_bf16 a[4:7], v[6:7], v[4:5], 0
	ds_read2_b64 v[2:5], v105 offset0:32 offset1:48
	s_add_i32 s27, s59, 63
	s_mul_i32 s40, s27, s29
	s_waitcnt lgkmcnt(0)
	v_mfma_f32_16x16x16_bf16 a[8:11], v[6:7], v[2:3], 0
	s_mul_hi_u32 s41, s27, s28
	s_add_i32 s41, s41, s40
	s_mul_i32 s40, s27, s28
	v_mfma_f32_16x16x16_bf16 a[12:15], v[6:7], v[4:5], 0
	ds_read2st64_b64 v[2:5], v105 offset0:4 offset1:8
	ds_read2st64_b64 v[6:9], v107 offset0:4 offset1:8
	s_lshl_b64 s[40:41], s[40:41], 2
	s_waitcnt lgkmcnt(1)
	v_mfma_f32_16x16x16_bf16 a[0:3], v[22:23], v[2:3], a[0:3]
	s_add_u32 s40, s38, s40
	s_addc_u32 s41, s39, s41
	s_and_b64 vcc, exec, s[0:1]
	s_waitcnt lgkmcnt(0)
	v_mfma_f32_16x16x16_bf16 a[4:7], v[22:23], v[6:7], a[4:7]
	v_mov_b32_e32 v133, 0
	v_mov_b32_e32 v132, 0
	;; [unrolled: 1-line block ×3, first 2 shown]
	v_mfma_f32_16x16x16_bf16 a[8:11], v[22:23], v[10:11], a[8:11]
	ds_read_b64 v[2:3], v110 offset:49152
	ds_read_b64 v[6:7], v111 offset:49152
	;; [unrolled: 1-line block ×3, first 2 shown]
	v_mfma_f32_16x16x16_bf16 a[12:15], v[22:23], v[14:15], a[12:15]
	v_mov_b32_e32 v14, 0
	v_mov_b32_e32 v15, 0
	s_waitcnt lgkmcnt(2)
	v_mfma_f32_16x16x16_bf16 a[0:3], v[2:3], v[4:5], a[0:3]
	v_mov_b32_e32 v4, 0
	v_mov_b32_e32 v5, 0
	v_mfma_f32_16x16x16_bf16 a[16:19], v[2:3], v[8:9], a[4:7]
	v_mov_b32_e32 v8, 0
	v_mov_b32_e32 v9, 0
	;; [unrolled: 3-line block ×3, first 2 shown]
	v_mfma_f32_16x16x16_bf16 a[24:27], v[2:3], v[16:17], a[12:15]
	ds_read_b64 v[2:3], v108 offset:6144
	v_mov_b32_e32 v16, 0
	v_mov_b32_e32 v17, 0
	s_waitcnt lgkmcnt(2)
	v_mfma_f32_16x16x16_bf16 a[4:7], v[6:7], v[20:21], a[0:3]
	v_mfma_f32_16x16x16_bf16 a[8:11], v[6:7], v[18:19], a[16:19]
	s_waitcnt lgkmcnt(0)
	v_mfma_f32_16x16x16_bf16 a[12:15], v[6:7], v[2:3], a[20:23]
	v_mov_b32_e32 v2, 0
	v_mov_b32_e32 v3, 0
	v_mfma_f32_16x16x16_bf16 a[0:3], v[6:7], v[10:11], a[24:27]
	v_mov_b32_e32 v6, 0
	v_mov_b32_e32 v7, 0
	;; [unrolled: 1-line block ×4, first 2 shown]
	s_cbranch_vccnz .LBB60_12
; %bb.11:                               ;   in Loop: Header=BB60_6 Depth=1
	s_and_b32 s21, s21, 0xffff
	buffer_load_dwordx4 v[14:17], v84, s[20:23], 0 offen
	buffer_load_dwordx4 v[10:13], v84, s[20:23], s58 offen
	;; [unrolled: 1-line block ×4, first 2 shown]
	v_mov_b32_e32 v132, v86
	v_mov_b32_e32 v131, v87
.LBB60_12:                              ;   in Loop: Header=BB60_6 Depth=1
	ds_read_b64 v[134:135], v104 offset:57344
	ds_read2_b64 v[18:21], v112 offset1:16
	ds_read_b64 v[136:137], v106 offset:57344
	ds_read_b64 v[138:139], v110 offset:57344
	;; [unrolled: 1-line block ×3, first 2 shown]
	v_add_u32_e32 v142, s59, v80
	s_waitcnt lgkmcnt(3)
	v_mfma_f32_16x16x16_bf16 a[4:7], v[134:135], v[18:19], a[4:7]
	v_mfma_f32_16x16x16_bf16 a[8:11], v[134:135], v[20:21], a[8:11]
	ds_read2_b64 v[18:21], v112 offset0:32 offset1:48
	ds_read2st64_b64 v[22:25], v112 offset0:4 offset1:8
	ds_read2st64_b64 v[26:29], v113 offset0:4 offset1:8
	;; [unrolled: 1-line block ×3, first 2 shown]
	s_waitcnt lgkmcnt(3)
	v_mfma_f32_16x16x16_bf16 a[12:15], v[134:135], v[18:19], a[12:15]
	v_ashrrev_i32_e32 v18, 31, v142
	v_mfma_f32_16x16x16_bf16 a[0:3], v[134:135], v[20:21], a[0:3]
	v_mul_lo_u32 v20, v18, s28
	v_mul_lo_u32 v21, v142, s29
	v_mad_u64_u32 v[18:19], s[20:21], v142, s28, 0
	v_add3_u32 v19, v19, v21, v20
	v_add_u32_e32 v20, 1, v142
	v_ashrrev_i32_e32 v21, 31, v20
	s_waitcnt lgkmcnt(2)
	v_mfma_f32_16x16x16_bf16 a[4:7], v[136:137], v[22:23], a[4:7]
	v_mul_lo_u32 v22, v21, s28
	v_mul_lo_u32 v23, v20, s29
	v_mad_u64_u32 v[20:21], s[20:21], v20, s28, 0
	v_add3_u32 v21, v21, v23, v22
	v_add_u32_e32 v22, 2, v142
	v_ashrrev_i32_e32 v23, 31, v22
	s_waitcnt lgkmcnt(1)
	v_mfma_f32_16x16x16_bf16 a[8:11], v[136:137], v[26:27], a[8:11]
	v_mul_lo_u32 v26, v23, s28
	v_mul_lo_u32 v27, v22, s29
	v_mad_u64_u32 v[22:23], s[20:21], v22, s28, 0
	v_add3_u32 v23, v23, v27, v26
	v_add_u32_e32 v26, 3, v142
	v_ashrrev_i32_e32 v27, 31, v26
	v_mul_lo_u32 v134, v27, s28
	v_mul_lo_u32 v135, v26, s29
	v_mad_u64_u32 v[26:27], s[20:21], v26, s28, 0
	s_add_u32 s20, s16, s59
	s_addc_u32 s21, s17, 0
	v_lshl_add_u64 v[18:19], v[18:19], 2, s[38:39]
	v_add3_u32 v27, v27, v135, v134
	s_lshl_b64 s[20:21], s[20:21], 8
	v_lshl_add_u64 v[20:21], v[20:21], 2, s[38:39]
	v_lshl_add_u64 v[22:23], v[22:23], 2, s[38:39]
	;; [unrolled: 1-line block ×3, first 2 shown]
	global_load_dword v134, v[18:19], off
	global_load_dword v135, v[20:21], off
	;; [unrolled: 1-line block ×4, first 2 shown]
	v_lshl_add_u64 v[18:19], v[70:71], 0, s[20:21]
	v_lshl_add_u64 v[22:23], v[18:19], 0, v[68:69]
	global_load_ushort v144, v[22:23], off offset:256
	global_load_ushort v145, v[22:23], off
	ds_read2st64_b64 v[18:21], v115 offset0:4 offset1:8
	global_load_ushort v146, v[22:23], off offset:768
	global_load_ushort v147, v[22:23], off offset:512
	s_waitcnt lgkmcnt(1)
	v_mfma_f32_16x16x16_bf16 a[12:15], v[136:137], v[30:31], a[12:15]
	s_and_b64 vcc, exec, s[0:1]
	s_waitcnt vmcnt(3)
	v_lshlrev_b32_e32 v31, 16, v144
	s_waitcnt lgkmcnt(0)
	v_mfma_f32_16x16x16_bf16 a[0:3], v[136:137], v[18:19], a[0:3]
	global_load_ushort v136, v[22:23], off offset:288
	global_load_ushort v137, v[22:23], off offset:32
	;; [unrolled: 1-line block ×8, first 2 shown]
	v_mfma_f32_16x16x16_bf16 a[4:7], v[138:139], v[24:25], a[4:7]
	ds_read_b64 v[18:19], v112 offset:6144
	s_waitcnt vmcnt(10)
	v_lshlrev_b32_e32 v30, 16, v145
	v_mfma_f32_16x16x16_bf16 a[8:11], v[138:139], v[28:29], a[8:11]
	v_mfma_f32_16x16x16_bf16 a[12:15], v[138:139], v[32:33], a[12:15]
	;; [unrolled: 1-line block ×3, first 2 shown]
	global_load_ushort v138, v[22:23], off offset:352
	global_load_ushort v139, v[22:23], off offset:96
	ds_read_b64 v[20:21], v113 offset:6144
	ds_read_b64 v[24:25], v114 offset:6144
	;; [unrolled: 1-line block ×3, first 2 shown]
	global_load_ushort v154, v[22:23], off offset:864
	global_load_ushort v155, v[22:23], off offset:608
	s_load_dword s20, s[40:41], 0x0
	s_waitcnt lgkmcnt(0)
	v_mfma_f32_16x16x16_bf16 a[4:7], v[140:141], v[18:19], a[4:7]
	v_sub_f32_e32 v28, s20, v142
	v_mfma_f32_16x16x16_bf16 a[0:3], v[140:141], v[26:27], a[0:3]
	v_sub_f32_e32 v26, s20, v134
	v_sub_f32_e32 v27, s20, v135
	;; [unrolled: 1-line block ×3, first 2 shown]
	v_mfma_f32_16x16x16_bf16 a[8:11], v[140:141], v[20:21], a[8:11]
	v_exp_f32_e32 v26, v26
	v_exp_f32_e32 v27, v27
	;; [unrolled: 1-line block ×4, first 2 shown]
	v_accvgpr_read_b32 v33, a5
	v_accvgpr_read_b32 v32, a4
	;; [unrolled: 1-line block ×4, first 2 shown]
	v_pk_add_f32 v[30:31], v[30:31], v[32:33] neg_lo:[0,1] neg_hi:[0,1]
	s_waitcnt vmcnt(13)
	v_lshlrev_b32_e32 v33, 16, v146
	s_waitcnt vmcnt(12)
	v_lshlrev_b32_e32 v32, 16, v147
	v_pk_add_f32 v[18:19], v[32:33], v[18:19] neg_lo:[0,1] neg_hi:[0,1]
	v_pk_mul_f32 v[30:31], v[26:27], v[30:31]
	v_pk_mul_f32 v[18:19], v[28:29], v[18:19]
	v_accvgpr_read_b32 v33, a9
	v_perm_b32 v19, v19, v18, s3
	v_perm_b32 v18, v31, v30, s3
	v_accvgpr_read_b32 v32, a8
	v_accvgpr_read_b32 v21, a11
	v_mfma_f32_16x16x16_bf16 a[12:15], v[140:141], v[24:25], a[12:15]
	v_accvgpr_read_b32 v20, a10
	v_accvgpr_read_b32 v25, a3
	;; [unrolled: 1-line block ×3, first 2 shown]
	v_mov_b32_e32 v134, 0
	s_waitcnt vmcnt(11)
	v_lshlrev_b32_e32 v31, 16, v136
	s_waitcnt vmcnt(10)
	v_lshlrev_b32_e32 v30, 16, v137
	v_pk_add_f32 v[30:31], v[30:31], v[32:33] neg_lo:[0,1] neg_hi:[0,1]
	s_waitcnt vmcnt(9)
	v_lshlrev_b32_e32 v33, 16, v148
	s_waitcnt vmcnt(8)
	v_lshlrev_b32_e32 v32, 16, v149
	v_pk_add_f32 v[20:21], v[32:33], v[20:21] neg_lo:[0,1] neg_hi:[0,1]
	v_pk_mul_f32 v[30:31], v[26:27], v[30:31]
	v_pk_mul_f32 v[20:21], v[28:29], v[20:21]
	v_accvgpr_read_b32 v23, a15
	v_perm_b32 v21, v21, v20, s3
	v_perm_b32 v20, v31, v30, s3
	ds_write2_b64 v89, v[18:19], v[20:21] offset1:16
	v_accvgpr_read_b32 v21, a13
	s_waitcnt vmcnt(7)
	v_lshlrev_b32_e32 v19, 16, v150
	s_waitcnt vmcnt(6)
	v_lshlrev_b32_e32 v18, 16, v151
	v_accvgpr_read_b32 v20, a12
	v_accvgpr_read_b32 v22, a14
	v_pk_add_f32 v[18:19], v[18:19], v[20:21] neg_lo:[0,1] neg_hi:[0,1]
	s_waitcnt vmcnt(5)
	v_lshlrev_b32_e32 v21, 16, v152
	s_waitcnt vmcnt(4)
	v_lshlrev_b32_e32 v20, 16, v153
	v_pk_add_f32 v[20:21], v[20:21], v[22:23] neg_lo:[0,1] neg_hi:[0,1]
	v_pk_mul_f32 v[18:19], v[26:27], v[18:19]
	v_pk_mul_f32 v[20:21], v[28:29], v[20:21]
	v_accvgpr_read_b32 v23, a1
	v_perm_b32 v21, v21, v20, s3
	v_perm_b32 v20, v19, v18, s3
	s_waitcnt vmcnt(3)
	v_lshlrev_b32_e32 v19, 16, v138
	s_waitcnt vmcnt(2)
	v_lshlrev_b32_e32 v18, 16, v139
	v_accvgpr_read_b32 v22, a0
	v_pk_add_f32 v[18:19], v[18:19], v[22:23] neg_lo:[0,1] neg_hi:[0,1]
	s_waitcnt vmcnt(1)
	v_lshlrev_b32_e32 v23, 16, v154
	s_waitcnt vmcnt(0)
	v_lshlrev_b32_e32 v22, 16, v155
	v_pk_add_f32 v[22:23], v[22:23], v[24:25] neg_lo:[0,1] neg_hi:[0,1]
	v_pk_mul_f32 v[18:19], v[26:27], v[18:19]
	v_pk_mul_f32 v[22:23], v[28:29], v[22:23]
	v_mov_b32_e32 v24, 0
	v_perm_b32 v23, v23, v22, s3
	v_perm_b32 v22, v19, v18, s3
	ds_write2_b64 v89, v[20:21], v[22:23] offset0:32 offset1:48
	v_mov_b32_e32 v18, 0
	v_mov_b32_e32 v19, 0
	;; [unrolled: 1-line block ×15, first 2 shown]
	s_cbranch_vccnz .LBB60_14
; %bb.13:                               ;   in Loop: Header=BB60_6 Depth=1
	s_and_b32 s25, s25, 0xffff
	s_mov_b32 s27, s23
	buffer_load_dwordx4 v[30:33], v126, s[24:27], 0 offen
	buffer_load_dwordx4 v[22:25], v126, s[24:27], s58 offen
	;; [unrolled: 1-line block ×4, first 2 shown]
	v_mov_b32_e32 v133, v83
	v_mov_b32_e32 v134, v82
.LBB60_14:                              ;   in Loop: Header=BB60_6 Depth=1
	s_waitcnt lgkmcnt(0)
	s_barrier
	ds_read_b64 v[144:145], v35
	ds_read2_b64 v[136:139], v119 offset1:16
	ds_read_b64 v[160:161], v128
	ds_read_b64 v[162:163], v129
	;; [unrolled: 1-line block ×3, first 2 shown]
	ds_read2_b64 v[140:143], v119 offset0:32 offset1:48
	s_waitcnt lgkmcnt(4)
	v_mfma_f32_16x16x16_bf16 a[0:3], v[144:145], v[136:137], 0
	ds_read2st64_b64 v[148:151], v121 offset0:4 offset1:8
	ds_read2st64_b64 v[152:155], v122 offset0:4 offset1:8
	;; [unrolled: 1-line block ×3, first 2 shown]
	v_mfma_f32_16x16x16_bf16 a[4:7], v[144:145], v[138:139], 0
	s_add_i32 s21, s53, s65
	s_mul_hi_i32 s25, s21, s13
	s_mul_i32 s21, s21, s13
	s_waitcnt lgkmcnt(3)
	v_mfma_f32_16x16x16_bf16 a[8:11], v[144:145], v[140:141], 0
	s_add_u32 s24, s21, s46
	s_addc_u32 s25, s25, s47
	s_lshl_b64 s[24:25], s[24:25], 15
	v_mfma_f32_16x16x16_bf16 a[12:15], v[144:145], v[142:143], 0
	ds_read2st64_b64 v[144:147], v119 offset0:4 offset1:8
	s_waitcnt lgkmcnt(0)
	v_mfma_f32_16x16x16_bf16 a[0:3], v[160:161], v[144:145], a[0:3]
	v_mfma_f32_16x16x16_bf16 a[4:7], v[160:161], v[148:149], a[4:7]
	;; [unrolled: 1-line block ×8, first 2 shown]
	ds_read_b64 v[160:161], v119 offset:6144
	ds_read_b64 v[162:163], v120 offset:40960
	;; [unrolled: 1-line block ×8, first 2 shown]
	s_waitcnt lgkmcnt(5)
	v_mfma_f32_16x16x16_bf16 a[16:19], v[166:167], v[136:137], 0
	v_mfma_f32_16x16x16_bf16 a[20:23], v[166:167], v[138:139], 0
	ds_read2st64_b64 v[136:139], v116 offset1:8
	v_mfma_f32_16x16x16_bf16 a[24:27], v[166:167], v[140:141], 0
	v_mfma_f32_16x16x16_bf16 a[28:31], v[166:167], v[142:143], 0
	ds_read2st64_b64 v[140:143], v117 offset1:8
	v_mfma_f32_16x16x16_bf16 a[16:19], v[162:163], v[144:145], a[16:19]
	s_waitcnt lgkmcnt(1)
	v_mov_b32_e32 v144, v136
	v_mov_b32_e32 v145, v137
	v_mfma_f32_16x16x16_bf16 a[20:23], v[162:163], v[148:149], a[20:23]
	v_lshl_add_u64 v[148:149], v[72:73], 0, s[24:25]
	v_mfma_f32_16x16x16_bf16 a[24:27], v[162:163], v[152:153], a[24:27]
	v_mfma_f32_16x16x16_bf16 a[28:31], v[162:163], v[156:157], a[28:31]
	;; [unrolled: 1-line block ×3, first 2 shown]
	s_waitcnt lgkmcnt(0)
	v_mov_b32_e32 v146, v140
	v_mov_b32_e32 v147, v141
	;; [unrolled: 1-line block ×3, first 2 shown]
	v_mfma_f32_16x16x16_bf16 a[32:35], v[174:175], v[150:151], a[20:23]
	v_mov_b32_e32 v141, v139
	ds_read2st64_b64 v[136:139], v116 offset0:16 offset1:24
	global_store_dwordx4 v[148:149], v[144:147], off
	v_mfma_f32_16x16x16_bf16 a[24:27], v[174:175], v[154:155], a[24:27]
	ds_read2st64_b64 v[144:147], v117 offset0:16 offset1:24
	v_add_co_u32_e32 v150, vcc, s31, v148
	v_mfma_f32_16x16x16_bf16 a[28:31], v[174:175], v[158:159], a[28:31]
	s_nop 0
	v_addc_co_u32_e32 v151, vcc, 0, v149, vcc
	global_store_dwordx4 v[150:151], v[140:143], off offset:-4096
	v_mfma_f32_16x16x16_bf16 a[0:3], v[164:165], v[160:161], a[0:3]
	s_waitcnt lgkmcnt(1)
	v_mov_b32_e32 v140, v136
	v_add_co_u32_e32 v136, vcc, s35, v148
	v_mfma_f32_16x16x16_bf16 a[4:7], v[164:165], v[168:169], a[4:7]
	v_mov_b32_e32 v141, v137
	v_addc_co_u32_e32 v137, vcc, 0, v149, vcc
	v_mfma_f32_16x16x16_bf16 a[8:11], v[164:165], v[170:171], a[8:11]
	s_waitcnt lgkmcnt(0)
	v_mov_b32_e32 v142, v144
	v_mov_b32_e32 v143, v145
	;; [unrolled: 1-line block ×3, first 2 shown]
	v_mfma_f32_16x16x16_bf16 a[12:15], v[164:165], v[172:173], a[12:15]
	v_mov_b32_e32 v145, v139
	s_and_b64 vcc, exec, s[0:1]
	global_store_dwordx4 v[150:151], v[140:143], off
	v_mfma_f32_16x16x16_bf16 a[20:23], v[176:177], v[160:161], a[16:19]
	global_store_dwordx4 v[136:137], v[144:147], off
	v_mfma_f32_16x16x16_bf16 a[16:19], v[176:177], v[168:169], a[32:35]
	v_mfma_f32_16x16x16_bf16 a[24:27], v[176:177], v[170:171], a[24:27]
	;; [unrolled: 1-line block ×3, first 2 shown]
	s_cbranch_vccnz .LBB60_16
; %bb.15:                               ;   in Loop: Header=BB60_6 Depth=1
	v_lshrrev_b32_e32 v135, 3, v133
	v_and_b32_e32 v135, 6, v135
	v_xor_b32_e32 v134, v135, v134
	v_lshlrev_b32_e32 v134, 2, v134
	v_and_b32_e32 v133, 8, v133
	v_xor_b32_e32 v136, 0x440, v134
	v_cmp_eq_u32_e32 vcc, 0, v133
	s_barrier
	s_nop 0
	v_cndmask_b32_e32 v133, v136, v134, vcc
	v_lshl_or_b32 v133, v135, 10, v133
	s_waitcnt vmcnt(5)
	v_perm_b32 v134, v30, v26, s60
	s_waitcnt vmcnt(4)
	v_perm_b32 v135, v22, v18, s60
	ds_write2st64_b32 v133, v134, v135 offset0:128 offset1:160
	v_xor_b32_e32 v134, 8, v133
	v_perm_b32 v26, v30, v26, s61
	v_perm_b32 v18, v22, v18, s61
	v_add_u32_e32 v22, 0x80, v134
	ds_write2st64_b32 v22, v26, v18 offset0:128 offset1:160
	v_xor_b32_e32 v18, 16, v133
	v_perm_b32 v22, v31, v27, s60
	v_perm_b32 v26, v23, v19, s60
	ds_write2st64_b32 v18, v22, v26 offset0:129 offset1:161
	v_xor_b32_e32 v18, 24, v133
	v_perm_b32 v22, v31, v27, s61
	v_perm_b32 v19, v23, v19, s61
	v_add_u32_e32 v18, 0x80, v18
	ds_write2st64_b32 v18, v22, v19 offset0:129 offset1:161
	v_xor_b32_e32 v18, 32, v133
	v_perm_b32 v19, v32, v28, s60
	;; [unrolled: 9-line block ×3, first 2 shown]
	v_perm_b32 v20, v25, v21, s60
	ds_write2st64_b32 v18, v19, v20 offset0:131 offset1:163
	v_xor_b32_e32 v18, 56, v133
	v_perm_b32 v19, v33, v29, s61
	v_perm_b32 v20, v25, v21, s61
	v_add_u32_e32 v18, 0x80, v18
	ds_write2st64_b32 v18, v19, v20 offset0:131 offset1:163
	ds_write_b64 v132, v[14:15] offset:49152
	v_xor_b32_e32 v14, 8, v132
	ds_write_b64 v14, v[16:17] offset:49152
	ds_write_b64 v132, v[10:11] offset:57344
	;; [unrolled: 1-line block ×4, first 2 shown]
	v_xor_b32_e32 v6, 8, v131
	ds_write_b64 v6, v[8:9] offset:49152
	ds_write_b64 v131, v[2:3] offset:57344
	;; [unrolled: 1-line block ×3, first 2 shown]
.LBB60_16:                              ;   in Loop: Header=BB60_6 Depth=1
	v_exp_f32_e32 v132, s20
	v_accvgpr_read_b32 v5, a3
	v_accvgpr_read_b32 v9, a7
	;; [unrolled: 1-line block ×4, first 2 shown]
	s_waitcnt vmcnt(4)
	v_accvgpr_read_b32 v18, a20
	v_accvgpr_read_b32 v25, a19
	;; [unrolled: 1-line block ×28, first 2 shown]
	s_add_i32 s59, s59, 64
	v_pk_fma_f32 v[62:63], v[62:63], v[132:133], v[2:3] op_sel_hi:[1,0,1]
	v_pk_fma_f32 v[66:67], v[66:67], v[132:133], v[4:5] op_sel_hi:[1,0,1]
	;; [unrolled: 1-line block ×15, first 2 shown]
	s_cmp_eq_u32 s50, s64
	v_pk_fma_f32 v[40:41], v[40:41], v[132:133], v[32:33] op_sel_hi:[1,0,1]
	s_cbranch_scc1 .LBB60_18
; %bb.17:                               ;   in Loop: Header=BB60_6 Depth=1
	s_mov_b32 s65, s64
	s_branch .LBB60_6
.LBB60_18:
	s_lshl_b32 s26, s50, 6
	s_sub_i32 s27, s12, s26
	s_cmp_gt_i32 s27, 0
	s_cbranch_scc0 .LBB60_99
; %bb.19:
	s_ashr_i32 s3, s26, 31
	s_cmpk_lg_i32 s15, 0x80
	s_cselect_b64 s[22:23], -1, 0
	s_and_b64 vcc, exec, s[22:23]
	s_cbranch_vccz .LBB60_21
; %bb.20:
	s_mul_i32 s1, s49, s12
	s_mul_hi_i32 s0, s49, s12
	s_add_u32 s1, s1, s26
	s_addc_u32 s0, s0, s3
	s_mul_i32 s17, s1, s51
	s_mul_hi_u32 s20, s1, s14
	s_add_i32 s17, s20, s17
	s_mul_i32 s0, s0, s14
	s_add_i32 s17, s17, s0
	s_mul_i32 s1, s1, s14
	s_ashr_i32 s0, s52, 31
	s_add_u32 s24, s1, s52
	s_addc_u32 s25, s17, s0
	s_cbranch_execz .LBB60_22
	s_branch .LBB60_23
.LBB60_21:
                                        ; implicit-def: $sgpr24_sgpr25
.LBB60_22:
	s_mul_hi_i32 s0, s49, s14
	s_mul_i32 s49, s49, s14
	s_ashr_i32 s1, s52, 31
	s_add_u32 s14, s49, s52
	s_addc_u32 s0, s0, s1
	s_mul_i32 s1, s14, s48
	s_mul_hi_u32 s17, s14, s12
	s_add_i32 s1, s17, s1
	s_mul_i32 s0, s0, s12
	s_add_i32 s1, s1, s0
	s_mul_i32 s14, s14, s12
	s_add_u32 s24, s14, s26
	s_addc_u32 s25, s1, s3
.LBB60_23:
	s_mul_i32 s0, s36, s48
	s_add_i32 s0, s55, s0
	s_add_i32 s14, s53, s50
	s_add_i32 s1, s0, s54
	s_add_u32 s0, s16, s26
	v_lshlrev_b32_e32 v6, 6, v80
	v_lshlrev_b32_e32 v24, 2, v77
	s_addc_u32 s1, s1, s3
	s_mov_b32 s3, 0x7060302
	v_or_b32_e32 v9, v6, v24
	v_xor_b32_e32 v7, v80, v24
	v_perm_b32 v3, v67, v66, s3
	v_perm_b32 v2, v63, v62, s3
	;; [unrolled: 1-line block ×4, first 2 shown]
	v_lshlrev_b32_e32 v9, 1, v9
	v_xor_b32_e32 v8, v81, v24
	ds_write2st64_b64 v9, v[2:3], v[4:5] offset0:32 offset1:48
	v_lshlrev_b32_e32 v7, 1, v7
	v_lshlrev_b32_e32 v9, 8, v77
	v_or_b32_e32 v10, v7, v9
	v_lshlrev_b32_e32 v8, 1, v8
	ds_write_b64 v10, v[2:3]
	v_or_b32_e32 v2, v8, v9
	v_or_b32_e32 v9, 16, v77
	v_lshlrev_b32_e32 v23, 2, v9
	v_or_b32_e32 v10, v6, v23
	ds_write_b64 v2, v[4:5]
	v_perm_b32 v3, v59, v58, s3
	v_perm_b32 v2, v55, v54, s3
	;; [unrolled: 1-line block ×4, first 2 shown]
	v_lshlrev_b32_e32 v10, 1, v10
	v_lshlrev_b32_e32 v9, 8, v9
	ds_write2st64_b64 v10, v[2:3], v[4:5] offset0:32 offset1:48
	v_or_b32_e32 v10, v7, v9
	ds_write_b64 v10, v[2:3]
	v_or_b32_e32 v2, v8, v9
	v_or_b32_e32 v9, 32, v77
	v_lshlrev_b32_e32 v22, 2, v9
	v_or_b32_e32 v10, v6, v22
	ds_write_b64 v2, v[4:5]
	v_perm_b32 v3, v51, v50, s3
	v_perm_b32 v2, v47, v46, s3
	;; [unrolled: 1-line block ×4, first 2 shown]
	v_lshlrev_b32_e32 v10, 1, v10
	v_lshlrev_b32_e32 v9, 8, v9
	s_lshl_b64 s[20:21], s[0:1], 8
	ds_write2st64_b64 v10, v[2:3], v[4:5] offset0:32 offset1:48
	v_or_b32_e32 v10, v7, v9
	s_add_u32 s0, s6, s20
	ds_write_b64 v10, v[2:3]
	v_or_b32_e32 v2, v8, v9
	s_addc_u32 s1, s7, s21
	ds_write_b64 v2, v[4:5]
	v_perm_b32 v3, v43, v42, s3
	v_perm_b32 v2, v39, v38, s3
	;; [unrolled: 1-line block ×4, first 2 shown]
	v_or_b32_e32 v9, 48, v77
	s_mul_hi_i32 s3, s14, s13
	s_mul_i32 s14, s14, s13
	v_lshlrev_b32_e32 v19, 2, v9
	s_add_u32 s6, s14, s46
	v_or_b32_e32 v6, v6, v19
	s_addc_u32 s7, s3, s47
	v_lshlrev_b32_e32 v6, 1, v6
	s_ashr_i32 s3, s2, 31
	s_lshl_b64 s[6:7], s[6:7], 15
	ds_write2st64_b64 v6, v[2:3], v[4:5] offset0:32 offset1:48
	v_lshlrev_b32_e32 v6, 8, v9
	s_add_u32 s6, s18, s6
	v_or_b32_e32 v7, v7, v6
	s_addc_u32 s7, s19, s7
	s_lshl_b64 s[2:3], s[2:3], 8
	ds_write_b64 v7, v[2:3]
	v_or_b32_e32 v2, v8, v6
	s_add_u32 s2, s6, s2
	v_lshlrev_b32_e32 v3, 1, v77
	ds_write_b64 v2, v[4:5]
	v_lshrrev_b32_e32 v2, 4, v0
	s_addc_u32 s3, s7, s3
	v_or_b32_e32 v4, 1, v3
	v_lshlrev_b32_e32 v10, 4, v77
	v_mov_b32_e32 v11, 0
	v_xor_b32_e32 v3, v2, v3
	v_xor_b32_e32 v6, v4, v2
	v_lshl_add_u64 v[12:13], s[2:3], 0, v[10:11]
	v_lshlrev_b32_e32 v10, 8, v2
	v_lshl_or_b32 v16, v3, 3, v10
	v_lshl_or_b32 v17, v6, 3, v10
	s_waitcnt lgkmcnt(0)
	s_barrier
	ds_read2st64_b64 v[2:5], v16 offset1:8
	ds_read2st64_b64 v[6:9], v17 offset1:8
	v_lshl_add_u64 v[14:15], v[12:13], 0, v[10:11]
	s_movk_i32 s2, 0x2000
	s_cmp_lg_u32 s27, 64
	s_waitcnt lgkmcnt(1)
	v_mov_b32_e32 v10, v2
	v_mov_b32_e32 v11, v3
	s_waitcnt lgkmcnt(0)
	v_mov_b32_e32 v12, v6
	v_mov_b32_e32 v13, v7
	global_store_dwordx4 v[14:15], v[10:13], off
	v_mov_b32_e32 v6, v4
	v_mov_b32_e32 v7, v5
	ds_read2st64_b64 v[2:5], v16 offset0:16 offset1:24
	ds_read2st64_b64 v[10:13], v17 offset0:16 offset1:24
	v_add_co_u32_e32 v16, vcc, s2, v14
	s_cselect_b64 s[6:7], -1, 0
	s_nop 0
	v_addc_co_u32_e32 v17, vcc, 0, v15, vcc
	global_store_dwordx4 v[16:17], v[6:9], off offset:-4096
	v_lshl_or_b32 v25, v75, 3, v79
	s_mov_b32 s16, 0
	s_waitcnt lgkmcnt(1)
	v_mov_b32_e32 v6, v2
	v_add_co_u32_e32 v2, vcc, 0x3000, v14
	v_mov_b32_e32 v7, v3
	s_nop 0
	v_addc_co_u32_e32 v3, vcc, 0, v15, vcc
	s_waitcnt lgkmcnt(0)
	v_mov_b32_e32 v8, v10
	v_mov_b32_e32 v9, v11
	;; [unrolled: 1-line block ×4, first 2 shown]
	v_or_b32_e32 v20, 32, v25
	v_and_b32_e32 v18, 56, v78
	s_and_b64 vcc, exec, s[6:7]
	global_store_dwordx4 v[16:17], v[6:9], off
	global_store_dwordx4 v[2:3], v[10:13], off
	s_cbranch_vccz .LBB60_29
; %bb.24:
	s_mov_b32 s17, s16
	s_mov_b32 s18, s16
	;; [unrolled: 1-line block ×3, first 2 shown]
	v_mov_b64_e32 v[6:7], s[16:17]
	v_mov_b64_e32 v[8:9], s[18:19]
	;; [unrolled: 1-line block ×3, first 2 shown]
	v_cmp_gt_i32_e32 vcc, s27, v25
	v_mov_b64_e32 v[4:5], v[8:9]
	s_and_saveexec_b64 s[2:3], vcc
	s_cbranch_execz .LBB60_26
; %bb.25:
	v_lshlrev_b32_e32 v2, 8, v25
	v_mov_b32_e32 v3, 0
	v_lshl_add_u64 v[4:5], s[0:1], 0, v[2:3]
	v_lshlrev_b32_e32 v2, 1, v18
	v_lshl_add_u64 v[10:11], v[4:5], 0, v[2:3]
	global_load_dwordx4 v[6:9], v[10:11], off
	global_load_dwordx4 v[2:5], v[10:11], off offset:128
.LBB60_26:
	s_or_b64 exec, exec, s[2:3]
	s_mov_b32 s17, s16
	s_mov_b32 s18, s16
	;; [unrolled: 1-line block ×3, first 2 shown]
	v_mov_b64_e32 v[14:15], s[16:17]
	v_mov_b64_e32 v[16:17], s[18:19]
	;; [unrolled: 1-line block ×3, first 2 shown]
	v_cmp_gt_i32_e32 vcc, s27, v20
	v_lshlrev_b32_e32 v21, 7, v20
	v_mov_b64_e32 v[12:13], v[16:17]
	s_and_saveexec_b64 s[2:3], vcc
	s_cbranch_execz .LBB60_28
; %bb.27:
	v_lshlrev_b32_e32 v10, 1, v21
	v_mov_b32_e32 v11, 0
	v_lshl_add_u64 v[12:13], s[0:1], 0, v[10:11]
	v_lshlrev_b32_e32 v10, 1, v18
	v_lshl_add_u64 v[26:27], v[12:13], 0, v[10:11]
	global_load_dwordx4 v[14:17], v[26:27], off
	global_load_dwordx4 v[10:13], v[26:27], off offset:128
.LBB60_28:
	s_or_b64 exec, exec, s[2:3]
	v_lshrrev_b32_e32 v26, 3, v18
	v_lshlrev_b32_e32 v27, 3, v25
	v_or_b32_e32 v26, v27, v26
	v_lshlrev_b32_e32 v26, 4, v26
	v_and_b32_e32 v27, 0x78, v27
	v_xor_b32_e32 v26, v26, v27
	s_branch .LBB60_31
.LBB60_29:
                                        ; implicit-def: $vgpr26
                                        ; implicit-def: $vgpr21
                                        ; implicit-def: $vgpr6_vgpr7_vgpr8_vgpr9
                                        ; implicit-def: $vgpr2_vgpr3_vgpr4_vgpr5
                                        ; implicit-def: $vgpr14_vgpr15_vgpr16_vgpr17
                                        ; implicit-def: $vgpr10_vgpr11_vgpr12_vgpr13
	s_cbranch_execz .LBB60_31
; %bb.30:
	s_waitcnt vmcnt(0)
	v_lshlrev_b32_e32 v2, 1, v18
	v_lshl_or_b32 v21, v25, 8, v2
	s_and_b32 s1, s1, 0xffff
	s_mov_b32 s3, 0x20000
	s_movk_i32 s2, 0x4000
	v_lshl_or_b32 v26, v20, 8, v2
	s_movk_i32 s13, 0x80
	buffer_load_dwordx4 v[6:9], v21, s[0:3], 0 offen
	buffer_load_dwordx4 v[2:5], v21, s[0:3], s13 offen
	;; [unrolled: 1-line block ×4, first 2 shown]
	v_lshrrev_b32_e32 v21, 3, v18
	v_lshlrev_b32_e32 v26, 3, v25
	v_or_b32_e32 v21, v26, v21
	v_lshlrev_b32_e32 v21, 4, v21
	v_and_b32_e32 v26, 0x78, v26
	v_xor_b32_e32 v26, v21, v26
	v_lshlrev_b32_e32 v21, 7, v20
.LBB60_31:
	s_movk_i32 s0, 0x1000
	v_and_or_b32 v20, v21, s0, v26
	s_waitcnt vmcnt(1)
	ds_write_b64 v26, v[6:7] offset:49152
	v_xor_b32_e32 v6, 8, v26
	ds_write_b64 v6, v[8:9] offset:49152
	s_waitcnt vmcnt(0)
	ds_write_b64 v26, v[2:3] offset:57344
	ds_write_b64 v6, v[4:5] offset:57344
	;; [unrolled: 1-line block ×3, first 2 shown]
	v_xor_b32_e32 v2, 8, v20
	ds_write_b64 v2, v[16:17] offset:49152
	ds_write_b64 v20, v[10:11] offset:57344
	;; [unrolled: 1-line block ×3, first 2 shown]
	v_or_b32_e32 v2, v1, v77
	v_lshlrev_b32_e32 v3, 11, v75
	v_lshlrev_b32_e32 v2, 3, v2
	v_and_b32_e32 v6, 0x1000, v3
	v_lshrrev_b32_e32 v3, 5, v74
	s_movk_i32 s0, 0xf8
	v_and_or_b32 v3, v2, s0, v3
	v_lshlrev_b32_e32 v7, 4, v3
	v_and_b32_e32 v8, 0x78, v2
	v_or_b32_e32 v10, 32, v7
	v_lshrrev_b32_e32 v3, 1, v74
	v_xor_b32_e32 v10, v10, v8
	v_xor_b32_e32 v2, v7, v8
	v_and_b32_e32 v9, 8, v3
	v_or_b32_e32 v10, v10, v6
	v_or_b32_e32 v2, v2, v6
	v_xor_b32_e32 v28, v10, v9
	v_or_b32_e32 v10, 64, v7
	v_xor_b32_e32 v27, v2, v9
	v_xor_b32_e32 v10, v10, v8
	s_waitcnt lgkmcnt(0)
	s_barrier
	v_or_b32_e32 v13, v10, v6
	ds_read_b64 v[10:11], v27 offset:49152
	v_lshl_or_b32 v14, v76, 8, v24
	v_lshlrev_b32_e32 v26, 1, v14
	v_add_u32_e32 v12, 0x4000, v26
	ds_read2_b64 v[2:5], v12 offset1:16
	v_or_b32_e32 v7, 0x60, v7
	v_xor_b32_e32 v7, v7, v8
	v_or_b32_e32 v6, v7, v6
	v_xor_b32_e32 v29, v13, v9
	v_xor_b32_e32 v30, v6, v9
	ds_read_b64 v[20:21], v28 offset:49152
	ds_read_b64 v[36:37], v29 offset:49152
	;; [unrolled: 1-line block ×3, first 2 shown]
	s_waitcnt lgkmcnt(3)
	v_mfma_f32_16x16x16_bf16 a[0:3], v[10:11], v[2:3], 0
	ds_read2st64_b64 v[6:9], v26 offset0:36 offset1:40
	s_lshl_b64 s[0:1], s[24:25], 8
	s_add_u32 s4, s4, s0
	v_mfma_f32_16x16x16_bf16 a[4:7], v[10:11], v[4:5], 0
	ds_read2_b64 v[2:5], v12 offset0:32 offset1:48
	s_addc_u32 s5, s5, s1
	s_add_i32 s1, s42, s33
	s_waitcnt lgkmcnt(0)
	v_mfma_f32_16x16x16_bf16 a[8:11], v[10:11], v[2:3], 0
	v_or_b32_e32 v2, 64, v14
	v_lshlrev_b32_e32 v31, 1, v2
	s_add_i32 s0, s12, -1
	v_mfma_f32_16x16x16_bf16 a[12:15], v[10:11], v[4:5], 0
	ds_read2st64_b64 v[2:5], v31 offset0:36 offset1:40
	s_add_i32 s35, s1, s37
	s_add_i32 s1, s44, s43
	v_mfma_f32_16x16x16_bf16 a[0:3], v[20:21], v[6:7], a[0:3]
	v_or_b32_e32 v6, 0x80, v14
	v_lshlrev_b32_e32 v32, 1, v6
	ds_read2st64_b64 v[10:13], v32 offset0:36 offset1:40
	s_waitcnt lgkmcnt(1)
	v_mfma_f32_16x16x16_bf16 a[4:7], v[20:21], v[2:3], a[4:7]
	v_or_b32_e32 v2, 0xc0, v14
	v_lshlrev_b32_e32 v33, 1, v2
	ds_read2st64_b64 v[14:17], v33 offset0:36 offset1:40
	s_add_i32 s31, s1, s45
	s_ashr_i32 s1, s0, 31
	s_mul_i32 s2, s0, s29
	s_mul_hi_u32 s3, s0, s28
	s_add_i32 s2, s3, s2
	s_mul_i32 s1, s1, s28
	s_waitcnt lgkmcnt(1)
	v_mfma_f32_16x16x16_bf16 a[8:11], v[20:21], v[10:11], a[8:11]
	s_add_i32 s1, s2, s1
	s_lshl_b64 s[2:3], s[34:35], 2
	s_add_u32 s10, s10, s2
	s_waitcnt lgkmcnt(0)
	v_mfma_f32_16x16x16_bf16 a[12:15], v[20:21], v[14:15], a[12:15]
	s_addc_u32 s11, s11, s3
	s_lshl_b64 s[2:3], s[30:31], 2
	s_mul_i32 s0, s0, s28
	v_mfma_f32_16x16x16_bf16 a[0:3], v[36:37], v[8:9], a[0:3]
	ds_read_b64 v[2:3], v26 offset:22528
	s_add_u32 s10, s10, s2
	s_addc_u32 s11, s11, s3
	v_mfma_f32_16x16x16_bf16 a[4:7], v[36:37], v[4:5], a[4:7]
	ds_read_b64 v[4:5], v31 offset:22528
	ds_read_b64 v[6:7], v32 offset:22528
	;; [unrolled: 1-line block ×3, first 2 shown]
	s_lshl_b64 s[0:1], s[0:1], 2
	s_add_u32 s0, s10, s0
	v_mfma_f32_16x16x16_bf16 a[8:11], v[36:37], v[12:13], a[8:11]
	s_addc_u32 s1, s11, s1
	s_load_dword s12, s[0:1], 0x0
	s_and_b64 vcc, exec, s[22:23]
	v_mfma_f32_16x16x16_bf16 a[12:15], v[36:37], v[16:17], a[12:15]
	s_waitcnt lgkmcnt(0)
	v_mfma_f32_16x16x16_bf16 a[0:3], v[38:39], v[2:3], a[0:3]
	v_mfma_f32_16x16x16_bf16 a[4:7], v[38:39], v[4:5], a[4:7]
	;; [unrolled: 1-line block ×4, first 2 shown]
	s_cbranch_vccz .LBB60_42
; %bb.32:
	v_lshlrev_b32_e32 v20, 1, v25
	s_and_b64 vcc, exec, s[6:7]
	s_cbranch_vccz .LBB60_43
; %bb.33:
	v_cmp_gt_i32_e32 vcc, s27, v20
	v_mov_b32_e32 v6, 0
	v_mov_b32_e32 v2, 0
	;; [unrolled: 1-line block ×5, first 2 shown]
	s_and_saveexec_b64 s[0:1], vcc
	s_cbranch_execz .LBB60_35
; %bb.34:
	v_mad_i64_i32 v[2:3], s[2:3], s15, v20, 0
	v_lshl_add_u64 v[2:3], v[2:3], 1, s[4:5]
	v_lshlrev_b32_e32 v4, 1, v18
	v_mov_b32_e32 v5, 0
	v_lshl_add_u64 v[2:3], v[2:3], 0, v[4:5]
	global_load_dwordx4 v[2:5], v[2:3], off
.LBB60_35:
	s_or_b64 exec, exec, s[0:1]
	v_or_b32_e32 v21, 1, v20
	v_cmp_gt_i32_e64 s[0:1], s27, v21
	v_mov_b32_e32 v7, 0
	v_mov_b32_e32 v8, 0
	;; [unrolled: 1-line block ×3, first 2 shown]
	s_and_saveexec_b64 s[2:3], s[0:1]
	s_cbranch_execz .LBB60_37
; %bb.36:
	v_mad_i64_i32 v[6:7], s[16:17], s15, v21, 0
	v_lshl_add_u64 v[6:7], v[6:7], 1, s[4:5]
	v_lshlrev_b32_e32 v8, 1, v18
	v_mov_b32_e32 v9, 0
	v_lshl_add_u64 v[6:7], v[6:7], 0, v[8:9]
	global_load_dwordx4 v[6:9], v[6:7], off
.LBB60_37:
	s_or_b64 exec, exec, s[2:3]
	v_mov_b32_e32 v17, 0
	v_mov_b32_e32 v10, 0
	;; [unrolled: 1-line block ×5, first 2 shown]
	s_and_saveexec_b64 s[2:3], vcc
	s_cbranch_execz .LBB60_39
; %bb.38:
	v_mad_i64_i32 v[10:11], s[16:17], s15, v20, 0
	v_lshl_add_u64 v[10:11], v[10:11], 1, s[4:5]
	v_lshlrev_b32_e32 v12, 1, v18
	v_mov_b32_e32 v13, 0
	v_lshl_add_u64 v[10:11], v[10:11], 0, v[12:13]
	global_load_dwordx4 v[10:13], v[10:11], off offset:128
.LBB60_39:
	s_or_b64 exec, exec, s[2:3]
	v_mov_b32_e32 v16, 0
	v_mov_b32_e32 v15, 0
	;; [unrolled: 1-line block ×3, first 2 shown]
	s_and_saveexec_b64 s[2:3], s[0:1]
	s_cbranch_execz .LBB60_41
; %bb.40:
	v_mad_i64_i32 v[14:15], s[0:1], s15, v21, 0
	v_lshl_add_u64 v[14:15], v[14:15], 1, s[4:5]
	v_lshlrev_b32_e32 v16, 1, v18
	v_mov_b32_e32 v17, 0
	v_lshl_add_u64 v[14:15], v[14:15], 0, v[16:17]
	global_load_dwordx4 v[14:17], v[14:15], off offset:128
.LBB60_41:
	s_or_b64 exec, exec, s[2:3]
	s_branch .LBB60_45
.LBB60_42:
                                        ; implicit-def: $vgpr5
                                        ; implicit-def: $vgpr9
                                        ; implicit-def: $vgpr13
                                        ; implicit-def: $vgpr17
	v_lshrrev_b32_e32 v35, 2, v74
	s_branch .LBB60_46
.LBB60_43:
                                        ; implicit-def: $vgpr5
                                        ; implicit-def: $vgpr9
                                        ; implicit-def: $vgpr13
                                        ; implicit-def: $vgpr17
	s_cbranch_execz .LBB60_45
; %bb.44:
	s_waitcnt vmcnt(0)
	v_mad_u64_u32 v[2:3], s[0:1], v20, s15, v[18:19]
	v_lshlrev_b32_e32 v20, 1, v2
	s_lshl_b32 s2, s15, 7
	s_and_b32 s1, s5, 0xffff
	s_mov_b32 s3, 0x20000
	s_mov_b32 s0, s4
	v_add_lshl_u32 v21, v2, s15, 1
	s_movk_i32 s13, 0x80
	buffer_load_dwordx4 v[2:5], v20, s[0:3], 0 offen
	buffer_load_dwordx4 v[10:13], v20, s[0:3], s13 offen
	;; [unrolled: 1-line block ×4, first 2 shown]
.LBB60_45:
	v_lshrrev_b32_e32 v35, 2, v74
	s_cbranch_execnz .LBB60_58
.LBB60_46:
	s_and_b64 vcc, exec, s[6:7]
	s_cbranch_vccz .LBB60_56
; %bb.47:
	s_waitcnt vmcnt(0)
	v_lshlrev_b32_e32 v7, 1, v25
	v_cmp_gt_i32_e32 vcc, s27, v7
	v_mov_b32_e32 v6, 0
	v_lshlrev_b32_e32 v14, 9, v25
	v_mov_b32_e32 v2, 0
	v_mov_b32_e32 v3, 0
	;; [unrolled: 1-line block ×4, first 2 shown]
	s_and_saveexec_b64 s[0:1], vcc
	s_cbranch_execz .LBB60_49
; %bb.48:
	v_mov_b32_e32 v15, 0
	v_lshl_add_u64 v[2:3], s[4:5], 0, v[14:15]
	v_lshlrev_b32_e32 v4, 1, v18
	v_mov_b32_e32 v5, v15
	v_lshl_add_u64 v[2:3], v[2:3], 0, v[4:5]
	global_load_dwordx4 v[2:5], v[2:3], off
.LBB60_49:
	s_or_b64 exec, exec, s[0:1]
	v_or_b32_e32 v7, 1, v7
	v_cmp_gt_i32_e64 s[0:1], s27, v7
	v_lshlrev_b32_e32 v20, 8, v7
	v_mov_b32_e32 v7, 0
	v_mov_b32_e32 v8, 0
	;; [unrolled: 1-line block ×3, first 2 shown]
	s_and_saveexec_b64 s[2:3], s[0:1]
	s_cbranch_execz .LBB60_51
; %bb.50:
	v_mov_b32_e32 v21, 0
	v_lshl_add_u64 v[6:7], s[4:5], 0, v[20:21]
	v_lshlrev_b32_e32 v8, 1, v18
	v_mov_b32_e32 v9, v21
	v_lshl_add_u64 v[6:7], v[6:7], 0, v[8:9]
	global_load_dwordx4 v[6:9], v[6:7], off
.LBB60_51:
	s_or_b64 exec, exec, s[2:3]
	v_mov_b32_e32 v17, 0
	v_mov_b32_e32 v10, 0
	;; [unrolled: 1-line block ×5, first 2 shown]
	s_and_saveexec_b64 s[2:3], vcc
	s_cbranch_execz .LBB60_53
; %bb.52:
	v_mov_b32_e32 v15, 0
	v_lshl_add_u64 v[10:11], s[4:5], 0, v[14:15]
	v_lshlrev_b32_e32 v14, 1, v18
	v_lshl_add_u64 v[10:11], v[10:11], 0, v[14:15]
	global_load_dwordx4 v[10:13], v[10:11], off offset:128
.LBB60_53:
	s_or_b64 exec, exec, s[2:3]
	v_mov_b32_e32 v16, 0
	v_mov_b32_e32 v15, 0
	;; [unrolled: 1-line block ×3, first 2 shown]
	s_and_saveexec_b64 s[2:3], s[0:1]
	s_cbranch_execz .LBB60_55
; %bb.54:
	v_mov_b32_e32 v21, 0
	v_lshl_add_u64 v[14:15], s[4:5], 0, v[20:21]
	v_lshlrev_b32_e32 v20, 1, v18
	v_lshl_add_u64 v[14:15], v[14:15], 0, v[20:21]
	global_load_dwordx4 v[14:17], v[14:15], off offset:128
.LBB60_55:
	s_or_b64 exec, exec, s[2:3]
	s_branch .LBB60_58
.LBB60_56:
                                        ; implicit-def: $vgpr5
                                        ; implicit-def: $vgpr9
                                        ; implicit-def: $vgpr13
                                        ; implicit-def: $vgpr17
	s_cbranch_execz .LBB60_58
; %bb.57:
	s_waitcnt vmcnt(0)
	v_lshlrev_b32_e32 v2, 1, v18
	v_lshl_or_b32 v18, v25, 9, v2
	s_and_b32 s5, s5, 0xffff
	s_mov_b32 s7, 0x20000
	s_movk_i32 s6, 0x4000
	s_movk_i32 s0, 0x80
	buffer_load_dwordx4 v[2:5], v18, s[4:7], 0 offen
	buffer_load_dwordx4 v[6:9], v18, s[4:7], 0 offen offset:256
	buffer_load_dwordx4 v[10:13], v18, s[4:7], s0 offen
	buffer_load_dwordx4 v[14:17], v18, s[4:7], s0 offen offset:256
.LBB60_58:
	ds_read_b64 v[20:21], v27 offset:57344
	v_add_u32_e32 v18, 0x6000, v26
	ds_read2_b64 v[36:39], v18 offset1:16
	ds_read_b64 v[52:53], v28 offset:57344
	ds_read_b64 v[28:29], v29 offset:57344
	;; [unrolled: 1-line block ×3, first 2 shown]
	ds_read2st64_b64 v[40:43], v26 offset0:52 offset1:56
	s_mov_b32 s0, 0x1000504
	s_mov_b32 s1, 0x3020706
	s_waitcnt lgkmcnt(4)
	v_mfma_f32_16x16x16_bf16 a[0:3], v[20:21], v[36:37], a[0:3]
	v_mfma_f32_16x16x16_bf16 a[4:7], v[20:21], v[38:39], a[4:7]
	ds_read2_b64 v[36:39], v18 offset0:32 offset1:48
	v_and_b32_e32 v18, 6, v0
	v_xor_b32_e32 v25, v25, v18
	s_waitcnt lgkmcnt(0)
	v_mfma_f32_16x16x16_bf16 a[8:11], v[20:21], v[36:37], a[8:11]
	v_lshlrev_b32_e32 v25, 2, v25
	v_and_b32_e32 v0, 1, v0
	v_cmp_eq_u32_e32 vcc, 0, v0
	v_mfma_f32_16x16x16_bf16 a[12:15], v[20:21], v[38:39], a[12:15]
	ds_read2st64_b64 v[36:39], v31 offset0:52 offset1:56
	ds_read2st64_b64 v[44:47], v32 offset0:52 offset1:56
	ds_read2st64_b64 v[48:51], v33 offset0:52 offset1:56
	ds_read_b64 v[20:21], v26 offset:30720
	ds_read_b64 v[26:27], v31 offset:30720
	;; [unrolled: 1-line block ×4, first 2 shown]
	s_waitcnt lgkmcnt(6)
	v_mfma_f32_16x16x16_bf16 a[4:7], v[52:53], v[36:37], a[4:7]
	v_xor_b32_e32 v36, 0x440, v25
	v_cndmask_b32_e32 v0, v36, v25, vcc
	v_lshl_or_b32 v0, v18, 10, v0
	v_mfma_f32_16x16x16_bf16 a[0:3], v[52:53], v[40:41], a[0:3]
	s_waitcnt vmcnt(0)
	v_perm_b32 v18, v2, v6, s0
	v_perm_b32 v25, v10, v14, s0
	ds_write2st64_b32 v0, v18, v25 offset0:128 offset1:160
	s_waitcnt lgkmcnt(6)
	v_mfma_f32_16x16x16_bf16 a[8:11], v[52:53], v[44:45], a[8:11]
	v_xor_b32_e32 v18, 8, v0
	v_perm_b32 v2, v2, v6, s1
	v_perm_b32 v6, v10, v14, s1
	s_waitcnt lgkmcnt(5)
	v_mfma_f32_16x16x16_bf16 a[12:15], v[52:53], v[48:49], a[12:15]
	v_add_u32_e32 v10, 0x80, v18
	ds_write2st64_b32 v10, v2, v6 offset0:128 offset1:160
	v_xor_b32_e32 v2, 16, v0
	v_mfma_f32_16x16x16_bf16 a[0:3], v[28:29], v[42:43], a[0:3]
	v_perm_b32 v6, v3, v7, s0
	v_perm_b32 v10, v11, v15, s0
	ds_write2st64_b32 v2, v6, v10 offset0:129 offset1:161
	v_mfma_f32_16x16x16_bf16 a[4:7], v[28:29], v[38:39], a[4:7]
	v_xor_b32_e32 v2, 24, v0
	v_perm_b32 v3, v3, v7, s1
	v_perm_b32 v6, v11, v15, s1
	v_mfma_f32_16x16x16_bf16 a[16:19], v[28:29], v[46:47], a[8:11]
	v_add_u32_e32 v2, 0x80, v2
	ds_write2st64_b32 v2, v3, v6 offset0:129 offset1:161
	v_xor_b32_e32 v2, 32, v0
	v_mfma_f32_16x16x16_bf16 a[20:23], v[28:29], v[50:51], a[12:15]
	v_perm_b32 v3, v4, v8, s0
	v_perm_b32 v6, v12, v16, s0
	ds_write2st64_b32 v2, v3, v6 offset0:130 offset1:162
	s_waitcnt lgkmcnt(8)
	v_mfma_f32_16x16x16_bf16 a[12:15], v[54:55], v[20:21], a[0:3]
	v_xor_b32_e32 v2, 40, v0
	v_perm_b32 v3, v4, v8, s1
	v_perm_b32 v4, v12, v16, s1
	s_waitcnt lgkmcnt(7)
	v_mfma_f32_16x16x16_bf16 a[8:11], v[54:55], v[26:27], a[4:7]
	v_add_u32_e32 v2, 0x80, v2
	ds_write2st64_b32 v2, v3, v4 offset0:130 offset1:162
	v_xor_b32_e32 v2, 48, v0
	s_waitcnt lgkmcnt(7)
	v_mfma_f32_16x16x16_bf16 a[4:7], v[54:55], v[30:31], a[16:19]
	v_perm_b32 v3, v5, v9, s0
	v_perm_b32 v4, v13, v17, s0
	v_xor_b32_e32 v0, 56, v0
	s_waitcnt lgkmcnt(6)
	v_mfma_f32_16x16x16_bf16 a[0:3], v[54:55], v[32:33], a[20:23]
	v_and_or_b32 v18, v35, 12, v1
	ds_write2st64_b32 v2, v3, v4 offset0:131 offset1:163
	v_perm_b32 v2, v5, v9, s1
	v_perm_b32 v3, v13, v17, s1
	v_add_u32_e32 v0, 0x80, v0
	v_cmp_gt_i32_e32 vcc, s27, v18
	v_mov_b32_e32 v14, 0
	v_mov_b32_e32 v16, 0
	ds_write2st64_b32 v0, v2, v3 offset0:131 offset1:163
	s_and_saveexec_b64 s[0:1], vcc
	s_cbranch_execz .LBB60_60
; %bb.59:
	v_add_u32_e32 v0, s26, v18
	v_ashrrev_i32_e32 v1, 31, v0
	v_mul_lo_u32 v2, v1, s28
	v_mul_lo_u32 v3, v0, s29
	v_mad_u64_u32 v[0:1], s[2:3], v0, s28, 0
	v_add3_u32 v1, v1, v3, v2
	v_lshl_add_u64 v[0:1], v[0:1], 2, s[10:11]
	global_load_dword v0, v[0:1], off
	s_waitcnt vmcnt(0)
	v_sub_f32_e32 v0, s12, v0
	v_exp_f32_e32 v16, v0
.LBB60_60:
	s_or_b64 exec, exec, s[0:1]
	v_or_b32_e32 v8, 1, v18
	v_cmp_gt_i32_e64 s[0:1], s27, v8
	s_and_saveexec_b64 s[2:3], s[0:1]
	s_cbranch_execz .LBB60_62
; %bb.61:
	v_add_u32_e32 v0, s26, v8
	v_ashrrev_i32_e32 v1, 31, v0
	v_mul_lo_u32 v2, v1, s28
	v_mul_lo_u32 v3, v0, s29
	v_mad_u64_u32 v[0:1], s[4:5], v0, s28, 0
	v_add3_u32 v1, v1, v3, v2
	v_lshl_add_u64 v[0:1], v[0:1], 2, s[10:11]
	global_load_dword v0, v[0:1], off
	s_waitcnt vmcnt(0)
	v_sub_f32_e32 v0, s12, v0
	v_exp_f32_e32 v14, v0
.LBB60_62:
	s_or_b64 exec, exec, s[2:3]
	v_or_b32_e32 v10, 2, v18
	v_cmp_gt_i32_e64 s[2:3], s27, v10
	v_mov_b32_e32 v15, 0
	v_mov_b32_e32 v17, 0
	s_and_saveexec_b64 s[4:5], s[2:3]
	s_cbranch_execz .LBB60_64
; %bb.63:
	v_add_u32_e32 v0, s26, v10
	v_ashrrev_i32_e32 v1, 31, v0
	v_mul_lo_u32 v2, v1, s28
	v_mul_lo_u32 v3, v0, s29
	v_mad_u64_u32 v[0:1], s[6:7], v0, s28, 0
	v_add3_u32 v1, v1, v3, v2
	v_lshl_add_u64 v[0:1], v[0:1], 2, s[10:11]
	global_load_dword v0, v[0:1], off
	s_waitcnt vmcnt(0)
	v_sub_f32_e32 v0, s12, v0
	v_exp_f32_e32 v17, v0
.LBB60_64:
	s_or_b64 exec, exec, s[4:5]
	v_or_b32_e32 v12, 3, v18
	v_cmp_gt_i32_e64 s[4:5], s27, v12
	s_and_saveexec_b64 s[6:7], s[4:5]
	s_cbranch_execz .LBB60_66
; %bb.65:
	v_add_u32_e32 v0, s26, v12
	v_ashrrev_i32_e32 v1, 31, v0
	v_mul_lo_u32 v2, v1, s28
	v_mul_lo_u32 v3, v0, s29
	v_mad_u64_u32 v[0:1], s[14:15], v0, s28, 0
	v_add3_u32 v1, v1, v3, v2
	v_lshl_add_u64 v[0:1], v[0:1], 2, s[10:11]
	global_load_dword v0, v[0:1], off
	s_waitcnt vmcnt(0)
	v_sub_f32_e32 v0, s12, v0
	v_exp_f32_e32 v15, v0
.LBB60_66:
	s_or_b64 exec, exec, s[6:7]
	s_add_u32 s6, s8, s20
	v_accvgpr_read_b32 v0, a12
	s_addc_u32 s7, s9, s21
	v_ashrrev_i32_e32 v35, 31, v34
	v_accvgpr_read_b32 v1, a13
	v_accvgpr_read_b32 v2, a14
	;; [unrolled: 1-line block ×3, first 2 shown]
	v_lshl_add_u64 v[4:5], v[34:35], 1, s[6:7]
	v_mov_b32_e32 v9, 0
	v_lshlrev_b32_e32 v6, 8, v18
	v_mov_b32_e32 v7, 0
	s_and_saveexec_b64 s[6:7], vcc
	s_cbranch_execz .LBB60_68
; %bb.67:
	v_mov_b32_e32 v7, 0
	v_lshl_add_u64 v[20:21], v[4:5], 0, v[6:7]
	global_load_ushort v7, v[20:21], off
	s_waitcnt vmcnt(0)
	v_lshlrev_b32_e32 v7, 16, v7
	v_sub_f32_e32 v0, v7, v0
	v_mul_f32_e32 v0, v16, v0
	v_lshrrev_b32_e32 v7, 16, v0
.LBB60_68:
	s_or_b64 exec, exec, s[6:7]
	v_lshlrev_b32_e32 v8, 8, v8
	s_and_saveexec_b64 s[6:7], s[0:1]
	s_cbranch_execz .LBB60_70
; %bb.69:
	v_mov_b32_e32 v9, 0
	v_lshl_add_u64 v[20:21], v[4:5], 0, v[8:9]
	global_load_ushort v0, v[20:21], off
	s_waitcnt vmcnt(0)
	v_lshlrev_b32_e32 v0, 16, v0
	v_sub_f32_e32 v0, v0, v1
	v_mul_f32_e32 v0, v14, v0
	v_lshrrev_b32_e32 v9, 16, v0
.LBB60_70:
	s_or_b64 exec, exec, s[6:7]
	v_mov_b32_e32 v13, 0
	v_lshlrev_b32_e32 v10, 8, v10
	v_mov_b32_e32 v11, 0
	s_and_saveexec_b64 s[6:7], s[2:3]
	s_cbranch_execz .LBB60_72
; %bb.71:
	v_mov_b32_e32 v11, 0
	v_lshl_add_u64 v[0:1], v[4:5], 0, v[10:11]
	global_load_ushort v0, v[0:1], off
	s_waitcnt vmcnt(0)
	v_lshlrev_b32_e32 v0, 16, v0
	v_sub_f32_e32 v0, v0, v2
	v_mul_f32_e32 v0, v17, v0
	v_lshrrev_b32_e32 v11, 16, v0
.LBB60_72:
	s_or_b64 exec, exec, s[6:7]
	v_lshlrev_b32_e32 v12, 8, v12
	s_and_saveexec_b64 s[6:7], s[4:5]
	s_cbranch_execz .LBB60_74
; %bb.73:
	v_mov_b32_e32 v13, 0
	v_lshl_add_u64 v[0:1], v[4:5], 0, v[12:13]
	global_load_ushort v0, v[0:1], off
	s_waitcnt vmcnt(0)
	v_lshlrev_b32_e32 v0, 16, v0
	v_sub_f32_e32 v0, v0, v3
	v_mul_f32_e32 v0, v15, v0
	v_lshrrev_b32_e32 v13, 16, v0
.LBB60_74:
	s_or_b64 exec, exec, s[6:7]
	v_lshlrev_b32_e32 v18, 6, v18
	s_mov_b32 s6, 0x5040100
	v_perm_b32 v20, v9, v7, s6
	v_or_b32_e32 v7, v18, v24
	v_accvgpr_read_b32 v0, a8
	v_perm_b32 v21, v13, v11, s6
	v_lshlrev_b32_e32 v7, 1, v7
	v_accvgpr_read_b32 v1, a9
	v_accvgpr_read_b32 v2, a10
	;; [unrolled: 1-line block ×3, first 2 shown]
	ds_write_b64 v7, v[20:21] offset:24576
	v_mov_b32_e32 v9, 0
	v_mov_b32_e32 v7, 0
	s_and_saveexec_b64 s[6:7], vcc
	s_cbranch_execz .LBB60_76
; %bb.75:
	v_mov_b32_e32 v7, 0
	v_lshl_add_u64 v[20:21], v[4:5], 0, v[6:7]
	global_load_ushort v7, v[20:21], off offset:32
	s_waitcnt vmcnt(0)
	v_lshlrev_b32_e32 v7, 16, v7
	v_sub_f32_e32 v0, v7, v0
	v_mul_f32_e32 v0, v16, v0
	v_lshrrev_b32_e32 v7, 16, v0
.LBB60_76:
	s_or_b64 exec, exec, s[6:7]
	s_and_saveexec_b64 s[6:7], s[0:1]
	s_cbranch_execz .LBB60_78
; %bb.77:
	v_mov_b32_e32 v9, 0
	v_lshl_add_u64 v[20:21], v[4:5], 0, v[8:9]
	global_load_ushort v0, v[20:21], off offset:32
	s_waitcnt vmcnt(0)
	v_lshlrev_b32_e32 v0, 16, v0
	v_sub_f32_e32 v0, v0, v1
	v_mul_f32_e32 v0, v14, v0
	v_lshrrev_b32_e32 v9, 16, v0
.LBB60_78:
	s_or_b64 exec, exec, s[6:7]
	v_mov_b32_e32 v13, 0
	v_mov_b32_e32 v11, 0
	s_and_saveexec_b64 s[6:7], s[2:3]
	s_cbranch_execz .LBB60_80
; %bb.79:
	v_mov_b32_e32 v11, 0
	v_lshl_add_u64 v[0:1], v[4:5], 0, v[10:11]
	global_load_ushort v0, v[0:1], off offset:32
	s_waitcnt vmcnt(0)
	v_lshlrev_b32_e32 v0, 16, v0
	v_sub_f32_e32 v0, v0, v2
	v_mul_f32_e32 v0, v17, v0
	v_lshrrev_b32_e32 v11, 16, v0
.LBB60_80:
	s_or_b64 exec, exec, s[6:7]
	s_and_saveexec_b64 s[6:7], s[4:5]
	s_cbranch_execz .LBB60_82
; %bb.81:
	v_mov_b32_e32 v13, 0
	v_lshl_add_u64 v[0:1], v[4:5], 0, v[12:13]
	global_load_ushort v0, v[0:1], off offset:32
	s_waitcnt vmcnt(0)
	v_lshlrev_b32_e32 v0, 16, v0
	v_sub_f32_e32 v0, v0, v3
	v_mul_f32_e32 v0, v15, v0
	v_lshrrev_b32_e32 v13, 16, v0
.LBB60_82:
	s_or_b64 exec, exec, s[6:7]
	s_mov_b32 s6, 0x5040100
	v_perm_b32 v20, v9, v7, s6
	v_or_b32_e32 v7, v18, v23
	v_accvgpr_read_b32 v0, a4
	v_perm_b32 v21, v13, v11, s6
	v_lshlrev_b32_e32 v7, 1, v7
	v_accvgpr_read_b32 v1, a5
	v_accvgpr_read_b32 v2, a6
	;; [unrolled: 1-line block ×3, first 2 shown]
	ds_write_b64 v7, v[20:21] offset:24576
	v_mov_b32_e32 v9, 0
	v_mov_b32_e32 v7, 0
	s_and_saveexec_b64 s[6:7], vcc
	s_cbranch_execz .LBB60_84
; %bb.83:
	v_mov_b32_e32 v7, 0
	v_lshl_add_u64 v[20:21], v[4:5], 0, v[6:7]
	global_load_ushort v7, v[20:21], off offset:64
	s_waitcnt vmcnt(0)
	v_lshlrev_b32_e32 v7, 16, v7
	v_sub_f32_e32 v0, v7, v0
	v_mul_f32_e32 v0, v16, v0
	v_lshrrev_b32_e32 v7, 16, v0
.LBB60_84:
	s_or_b64 exec, exec, s[6:7]
	s_and_saveexec_b64 s[6:7], s[0:1]
	s_cbranch_execz .LBB60_86
; %bb.85:
	v_mov_b32_e32 v9, 0
	v_lshl_add_u64 v[20:21], v[4:5], 0, v[8:9]
	global_load_ushort v0, v[20:21], off offset:64
	s_waitcnt vmcnt(0)
	v_lshlrev_b32_e32 v0, 16, v0
	v_sub_f32_e32 v0, v0, v1
	v_mul_f32_e32 v0, v14, v0
	v_lshrrev_b32_e32 v9, 16, v0
.LBB60_86:
	s_or_b64 exec, exec, s[6:7]
	v_mov_b32_e32 v13, 0
	v_mov_b32_e32 v11, 0
	s_and_saveexec_b64 s[6:7], s[2:3]
	s_cbranch_execz .LBB60_88
; %bb.87:
	v_mov_b32_e32 v11, 0
	v_lshl_add_u64 v[0:1], v[4:5], 0, v[10:11]
	global_load_ushort v0, v[0:1], off offset:64
	s_waitcnt vmcnt(0)
	v_lshlrev_b32_e32 v0, 16, v0
	v_sub_f32_e32 v0, v0, v2
	v_mul_f32_e32 v0, v17, v0
	v_lshrrev_b32_e32 v11, 16, v0
.LBB60_88:
	s_or_b64 exec, exec, s[6:7]
	s_and_saveexec_b64 s[6:7], s[4:5]
	s_cbranch_execz .LBB60_90
; %bb.89:
	v_mov_b32_e32 v13, 0
	v_lshl_add_u64 v[0:1], v[4:5], 0, v[12:13]
	global_load_ushort v0, v[0:1], off offset:64
	s_waitcnt vmcnt(0)
	v_lshlrev_b32_e32 v0, 16, v0
	v_sub_f32_e32 v0, v0, v3
	v_mul_f32_e32 v0, v15, v0
	v_lshrrev_b32_e32 v13, 16, v0
.LBB60_90:
	s_or_b64 exec, exec, s[6:7]
	s_mov_b32 s6, 0x5040100
	v_perm_b32 v20, v9, v7, s6
	v_or_b32_e32 v7, v18, v22
	v_accvgpr_read_b32 v0, a0
	v_perm_b32 v21, v13, v11, s6
	v_lshlrev_b32_e32 v7, 1, v7
	v_accvgpr_read_b32 v1, a1
	v_accvgpr_read_b32 v2, a2
	;; [unrolled: 1-line block ×3, first 2 shown]
	ds_write_b64 v7, v[20:21] offset:24576
	v_mov_b32_e32 v9, 0
	v_mov_b32_e32 v7, 0
	s_and_saveexec_b64 s[6:7], vcc
	s_cbranch_execz .LBB60_92
; %bb.91:
	v_mov_b32_e32 v7, 0
	v_lshl_add_u64 v[6:7], v[4:5], 0, v[6:7]
	global_load_ushort v6, v[6:7], off offset:96
	s_waitcnt vmcnt(0)
	v_lshlrev_b32_e32 v6, 16, v6
	v_sub_f32_e32 v0, v6, v0
	v_mul_f32_e32 v0, v16, v0
	v_lshrrev_b32_e32 v7, 16, v0
.LBB60_92:
	s_or_b64 exec, exec, s[6:7]
	s_and_saveexec_b64 s[6:7], s[0:1]
	s_cbranch_execz .LBB60_94
; %bb.93:
	v_mov_b32_e32 v9, 0
	v_lshl_add_u64 v[8:9], v[4:5], 0, v[8:9]
	global_load_ushort v0, v[8:9], off offset:96
	s_waitcnt vmcnt(0)
	v_lshlrev_b32_e32 v0, 16, v0
	v_sub_f32_e32 v0, v0, v1
	v_mul_f32_e32 v0, v14, v0
	v_lshrrev_b32_e32 v9, 16, v0
.LBB60_94:
	s_or_b64 exec, exec, s[6:7]
	v_mov_b32_e32 v0, 0
	v_mov_b32_e32 v1, 0
	s_and_saveexec_b64 s[0:1], s[2:3]
	s_cbranch_execz .LBB60_96
; %bb.95:
	v_mov_b32_e32 v11, 0
	v_lshl_add_u64 v[10:11], v[4:5], 0, v[10:11]
	global_load_ushort v1, v[10:11], off offset:96
	s_waitcnt vmcnt(0)
	v_lshlrev_b32_e32 v1, 16, v1
	v_sub_f32_e32 v1, v1, v2
	v_mul_f32_e32 v1, v17, v1
	v_lshrrev_b32_e32 v1, 16, v1
.LBB60_96:
	s_or_b64 exec, exec, s[0:1]
	s_and_saveexec_b64 s[0:1], s[4:5]
	s_cbranch_execz .LBB60_98
; %bb.97:
	v_mov_b32_e32 v13, 0
	v_lshl_add_u64 v[4:5], v[4:5], 0, v[12:13]
	global_load_ushort v0, v[4:5], off offset:96
	s_waitcnt vmcnt(0)
	v_lshlrev_b32_e32 v0, 16, v0
	v_sub_f32_e32 v0, v0, v3
	v_mul_f32_e32 v0, v15, v0
	v_lshrrev_b32_e32 v0, 16, v0
.LBB60_98:
	s_or_b64 exec, exec, s[0:1]
	s_mov_b32 s0, 0x5040100
	v_or_b32_e32 v2, v18, v19
	v_perm_b32 v1, v0, v1, s0
	v_perm_b32 v0, v9, v7, s0
	v_lshlrev_b32_e32 v2, 1, v2
	ds_write_b64 v2, v[0:1] offset:24576
	s_waitcnt lgkmcnt(0)
	s_barrier
.LBB60_99:
	s_endpgm
	.section	.rodata,"a",@progbits
	.p2align	6, 0x0
	.amdhsa_kernel _ZN12_GLOBAL__N_139chunk_gated_delta_rule_fwd_h_hip_kernelILi64ELb1ELb0ELb0ELb0ELb1ELb0ELb0ELb1EEEvPK12hip_bfloat16S3_S3_PKfS5_PKvPS1_S8_PvPKiSB_iiiiilll
		.amdhsa_group_segment_fixed_size 65536
		.amdhsa_private_segment_fixed_size 0
		.amdhsa_kernarg_size 136
		.amdhsa_user_sgpr_count 2
		.amdhsa_user_sgpr_dispatch_ptr 0
		.amdhsa_user_sgpr_queue_ptr 0
		.amdhsa_user_sgpr_kernarg_segment_ptr 1
		.amdhsa_user_sgpr_dispatch_id 0
		.amdhsa_user_sgpr_kernarg_preload_length 0
		.amdhsa_user_sgpr_kernarg_preload_offset 0
		.amdhsa_user_sgpr_private_segment_size 0
		.amdhsa_uses_dynamic_stack 0
		.amdhsa_enable_private_segment 0
		.amdhsa_system_sgpr_workgroup_id_x 1
		.amdhsa_system_sgpr_workgroup_id_y 1
		.amdhsa_system_sgpr_workgroup_id_z 0
		.amdhsa_system_sgpr_workgroup_info 0
		.amdhsa_system_vgpr_workitem_id 0
		.amdhsa_next_free_vgpr 216
		.amdhsa_next_free_sgpr 66
		.amdhsa_accum_offset 180
		.amdhsa_reserve_vcc 1
		.amdhsa_float_round_mode_32 0
		.amdhsa_float_round_mode_16_64 0
		.amdhsa_float_denorm_mode_32 3
		.amdhsa_float_denorm_mode_16_64 3
		.amdhsa_dx10_clamp 1
		.amdhsa_ieee_mode 1
		.amdhsa_fp16_overflow 0
		.amdhsa_tg_split 0
		.amdhsa_exception_fp_ieee_invalid_op 0
		.amdhsa_exception_fp_denorm_src 0
		.amdhsa_exception_fp_ieee_div_zero 0
		.amdhsa_exception_fp_ieee_overflow 0
		.amdhsa_exception_fp_ieee_underflow 0
		.amdhsa_exception_fp_ieee_inexact 0
		.amdhsa_exception_int_div_zero 0
	.end_amdhsa_kernel
	.section	.text._ZN12_GLOBAL__N_139chunk_gated_delta_rule_fwd_h_hip_kernelILi64ELb1ELb0ELb0ELb0ELb1ELb0ELb0ELb1EEEvPK12hip_bfloat16S3_S3_PKfS5_PKvPS1_S8_PvPKiSB_iiiiilll,"axG",@progbits,_ZN12_GLOBAL__N_139chunk_gated_delta_rule_fwd_h_hip_kernelILi64ELb1ELb0ELb0ELb0ELb1ELb0ELb0ELb1EEEvPK12hip_bfloat16S3_S3_PKfS5_PKvPS1_S8_PvPKiSB_iiiiilll,comdat
.Lfunc_end60:
	.size	_ZN12_GLOBAL__N_139chunk_gated_delta_rule_fwd_h_hip_kernelILi64ELb1ELb0ELb0ELb0ELb1ELb0ELb0ELb1EEEvPK12hip_bfloat16S3_S3_PKfS5_PKvPS1_S8_PvPKiSB_iiiiilll, .Lfunc_end60-_ZN12_GLOBAL__N_139chunk_gated_delta_rule_fwd_h_hip_kernelILi64ELb1ELb0ELb0ELb0ELb1ELb0ELb0ELb1EEEvPK12hip_bfloat16S3_S3_PKfS5_PKvPS1_S8_PvPKiSB_iiiiilll
                                        ; -- End function
	.section	.AMDGPU.csdata,"",@progbits
; Kernel info:
; codeLenInByte = 10912
; NumSgprs: 72
; NumVgprs: 178
; NumAgprs: 36
; TotalNumVgprs: 216
; ScratchSize: 0
; MemoryBound: 0
; FloatMode: 240
; IeeeMode: 1
; LDSByteSize: 65536 bytes/workgroup (compile time only)
; SGPRBlocks: 8
; VGPRBlocks: 26
; NumSGPRsForWavesPerEU: 72
; NumVGPRsForWavesPerEU: 216
; AccumOffset: 180
; Occupancy: 1
; WaveLimiterHint : 1
; COMPUTE_PGM_RSRC2:SCRATCH_EN: 0
; COMPUTE_PGM_RSRC2:USER_SGPR: 2
; COMPUTE_PGM_RSRC2:TRAP_HANDLER: 0
; COMPUTE_PGM_RSRC2:TGID_X_EN: 1
; COMPUTE_PGM_RSRC2:TGID_Y_EN: 1
; COMPUTE_PGM_RSRC2:TGID_Z_EN: 0
; COMPUTE_PGM_RSRC2:TIDIG_COMP_CNT: 0
; COMPUTE_PGM_RSRC3_GFX90A:ACCUM_OFFSET: 44
; COMPUTE_PGM_RSRC3_GFX90A:TG_SPLIT: 0
	.section	.text._ZN12_GLOBAL__N_139chunk_gated_delta_rule_fwd_h_hip_kernelILi64ELb0ELb1ELb1ELb0ELb1ELb0ELb0ELb1EEEvPK12hip_bfloat16S3_S3_PKfS5_PKvPS1_S8_PvPKiSB_iiiiilll,"axG",@progbits,_ZN12_GLOBAL__N_139chunk_gated_delta_rule_fwd_h_hip_kernelILi64ELb0ELb1ELb1ELb0ELb1ELb0ELb0ELb1EEEvPK12hip_bfloat16S3_S3_PKfS5_PKvPS1_S8_PvPKiSB_iiiiilll,comdat
	.globl	_ZN12_GLOBAL__N_139chunk_gated_delta_rule_fwd_h_hip_kernelILi64ELb0ELb1ELb1ELb0ELb1ELb0ELb0ELb1EEEvPK12hip_bfloat16S3_S3_PKfS5_PKvPS1_S8_PvPKiSB_iiiiilll ; -- Begin function _ZN12_GLOBAL__N_139chunk_gated_delta_rule_fwd_h_hip_kernelILi64ELb0ELb1ELb1ELb0ELb1ELb0ELb0ELb1EEEvPK12hip_bfloat16S3_S3_PKfS5_PKvPS1_S8_PvPKiSB_iiiiilll
	.p2align	8
	.type	_ZN12_GLOBAL__N_139chunk_gated_delta_rule_fwd_h_hip_kernelILi64ELb0ELb1ELb1ELb0ELb1ELb0ELb0ELb1EEEvPK12hip_bfloat16S3_S3_PKfS5_PKvPS1_S8_PvPKiSB_iiiiilll,@function
_ZN12_GLOBAL__N_139chunk_gated_delta_rule_fwd_h_hip_kernelILi64ELb0ELb1ELb1ELb0ELb1ELb0ELb0ELb1EEEvPK12hip_bfloat16S3_S3_PKfS5_PKvPS1_S8_PvPKiSB_iiiiilll: ; @_ZN12_GLOBAL__N_139chunk_gated_delta_rule_fwd_h_hip_kernelILi64ELb0ELb1ELb1ELb0ELb1ELb0ELb0ELb1EEEvPK12hip_bfloat16S3_S3_PKfS5_PKvPS1_S8_PvPKiSB_iiiiilll
; %bb.0:
	s_load_dwordx4 s[16:19], s[0:1], 0x5c
	s_load_dwordx4 s[20:23], s[0:1], 0x70
	s_abs_i32 s26, s3
	s_ashr_i32 s25, s3, 31
	s_load_dwordx8 s[4:11], s[0:1], 0x0
	s_waitcnt lgkmcnt(0)
	s_abs_i32 s24, s17
	v_cvt_f32_u32_e32 v1, s24
	s_sub_i32 s28, 0, s24
	s_ashr_i32 s27, s17, 31
	s_xor_b32 s25, s25, s27
	v_rcp_iflag_f32_e32 v1, v1
	s_load_dwordx2 s[34:35], s[0:1], 0x40
	s_load_dwordx4 s[12:15], s[0:1], 0x30
	s_load_dwordx2 s[36:37], s[0:1], 0x80
	v_lshrrev_b32_e32 v74, 6, v0
	v_mul_f32_e32 v1, 0x4f7ffffe, v1
	v_cvt_u32_f32_e32 v1, v1
	v_bfe_u32 v77, v0, 4, 2
	s_mov_b32 s0, 0
	v_lshlrev_b32_e32 v75, 4, v74
	v_readfirstlane_b32 s29, v1
	s_mul_i32 s28, s28, s29
	s_mul_hi_u32 s28, s29, s28
	s_add_i32 s29, s29, s28
	s_mul_hi_u32 s28, s26, s29
	s_mul_i32 s29, s28, s24
	s_sub_i32 s26, s26, s29
	s_add_i32 s30, s28, 1
	s_sub_i32 s29, s26, s24
	s_cmp_ge_u32 s26, s24
	s_cselect_b32 s28, s30, s28
	s_cselect_b32 s26, s29, s26
	s_add_i32 s29, s28, 1
	s_cmp_ge_u32 s26, s24
	s_cselect_b32 s26, s29, s28
	s_xor_b32 s26, s26, s25
	s_sub_i32 s49, s26, s25
	s_abs_i32 s26, s18
	v_cvt_f32_u32_e32 v1, s26
	s_mul_i32 s47, s49, s17
	s_sub_i32 s33, s3, s47
	s_add_i32 s3, s16, 63
	v_rcp_iflag_f32_e32 v1, v1
	s_ashr_i32 s25, s3, 31
	s_lshr_b32 s25, s25, 26
	s_ashr_i32 s48, s16, 31
	v_mul_f32_e32 v1, 0x4f7ffffe, v1
	v_cvt_u32_f32_e32 v1, v1
	s_add_i32 s3, s3, s25
	s_lshr_b32 s25, s48, 26
	s_add_i32 s25, s16, s25
	s_ashr_i32 s51, s18, 31
	s_ashr_i32 s50, s25, 6
	s_xor_b32 s25, s27, s51
	s_sub_i32 s27, 0, s26
	v_readfirstlane_b32 s28, v1
	s_mul_i32 s27, s27, s28
	s_mul_hi_u32 s27, s28, s27
	s_add_i32 s28, s28, s27
	s_mul_hi_u32 s27, s24, s28
	s_mul_i32 s28, s27, s26
	s_sub_i32 s24, s24, s28
	s_ashr_i32 s3, s3, 6
	s_add_i32 s28, s27, 1
	s_sub_i32 s29, s24, s26
	s_cmp_ge_u32 s24, s26
	s_cselect_b32 s27, s28, s27
	s_cselect_b32 s24, s29, s24
	s_add_i32 s28, s27, 1
	s_cmp_ge_u32 s24, s26
	s_cselect_b32 s24, s28, s27
	s_xor_b32 s24, s24, s25
	s_sub_i32 s24, s24, s25
	s_abs_i32 s25, s24
	v_cvt_f32_u32_e32 v1, s25
	s_sub_i32 s26, 0, s25
	s_xor_b32 s1, s33, s24
	s_abs_i32 s24, s33
	v_rcp_iflag_f32_e32 v1, v1
	s_ashr_i32 s1, s1, 31
	v_lshlrev_b32_e32 v2, 2, v77
	v_and_b32_e32 v76, 63, v0
	v_mul_f32_e32 v1, 0x4f7ffffe, v1
	v_cvt_u32_f32_e32 v1, v1
	s_mul_i32 s52, s49, s3
	v_and_b32_e32 v78, 15, v0
	s_mul_hi_i32 s53, s49, s17
	v_readfirstlane_b32 s27, v1
	s_mul_i32 s26, s26, s27
	s_mul_hi_u32 s26, s27, s26
	s_add_i32 s27, s27, s26
	s_mul_hi_u32 s26, s24, s27
	s_mul_i32 s27, s26, s25
	s_sub_i32 s24, s24, s27
	s_add_i32 s27, s26, 1
	s_sub_i32 s28, s24, s25
	s_cmp_ge_u32 s24, s25
	s_cselect_b32 s26, s27, s26
	s_cselect_b32 s24, s28, s24
	s_add_i32 s27, s26, 1
	s_cmp_ge_u32 s24, s25
	s_cselect_b32 s24, s27, s26
	s_xor_b32 s24, s24, s1
	s_sub_i32 s54, s24, s1
	v_or_b32_e32 v1, v2, v75
	s_lshl_b32 s2, s2, 6
	s_mov_b32 s1, s0
	v_or_b32_e32 v81, 64, v1
	s_cmp_lt_i32 s16, 64
	v_mov_b64_e32 v[34:35], s[0:1]
	v_lshrrev_b32_e32 v80, 3, v76
	v_lshlrev_b32_e32 v79, 3, v0
	s_mul_i32 s21, s49, s21
	s_mul_hi_u32 s46, s49, s20
	s_mul_i32 s38, s49, s20
	v_mov_b64_e32 v[36:37], s[0:1]
	v_mov_b64_e32 v[40:41], s[0:1]
	;; [unrolled: 1-line block ×15, first 2 shown]
	s_cbranch_scc1 .LBB61_17
; %bb.1:
	s_ashr_i32 s3, s49, 31
	s_ashr_i32 s56, s33, 31
	s_add_u32 s0, s47, s33
	s_addc_u32 s1, s53, s56
	s_mul_i32 s1, s16, s1
	s_mul_hi_u32 s24, s16, s0
	s_add_i32 s41, s24, s1
	s_mul_i32 s40, s16, s0
	s_lshl_b64 s[0:1], s[40:41], 8
	v_and_b32_e32 v83, 56, v79
	s_add_u32 s24, s6, s0
	v_lshl_or_b32 v82, v74, 3, v80
	v_lshlrev_b32_e32 v3, 1, v83
	s_addc_u32 s0, s7, s1
	v_lshl_or_b32 v84, v82, 8, v3
	s_and_b32 s25, s0, 0xffff
	s_mov_b32 s27, 0x20000
	s_movk_i32 s26, 0x4000
	s_movk_i32 s0, 0x80
	v_or_b32_e32 v85, 0x2000, v84
	buffer_load_dwordx4 v[4:7], v84, s[24:27], 0 offen
	buffer_load_dwordx4 v[8:11], v84, s[24:27], s0 offen
	;; [unrolled: 1-line block ×4, first 2 shown]
	v_lshlrev_b32_e32 v20, 3, v82
	v_and_or_b32 v22, v0, 7, v20
	v_and_b32_e32 v20, 0x78, v20
	v_lshlrev_b32_e32 v22, 4, v22
	v_xor_b32_e32 v86, v22, v20
	v_mul_lo_u32 v21, v82, s19
	v_or_b32_e32 v87, 0x1000, v86
	s_cmpk_eq_i32 s19, 0x80
	s_mov_b32 s55, s18
	v_xor_b32_e32 v20, 8, v86
	v_xor_b32_e32 v22, 8, v87
	s_cselect_b64 s[0:1], -1, 0
	s_cmpk_lg_i32 s19, 0x80
	s_waitcnt vmcnt(3)
	ds_write_b64 v86, v[4:5] offset:49152
	ds_write_b64 v20, v[6:7] offset:49152
	s_waitcnt vmcnt(2)
	ds_write_b64 v86, v[8:9] offset:57344
	ds_write_b64 v20, v[10:11] offset:57344
	;; [unrolled: 3-line block ×4, first 2 shown]
	v_lshl_add_u32 v4, v21, 1, v83
	s_cbranch_scc0 .LBB61_3
; %bb.2:
	v_lshlrev_b32_e32 v6, 1, v4
	v_add_lshl_u32 v5, v4, s19, 1
	s_lshl_b32 s26, s19, 7
	v_lshl_or_b32 v3, v82, 9, v3
	s_cbranch_execz .LBB61_4
	s_branch .LBB61_5
.LBB61_3:
                                        ; implicit-def: $vgpr5
                                        ; implicit-def: $vgpr6
                                        ; implicit-def: $sgpr26
	v_lshl_or_b32 v3, v82, 9, v3
.LBB61_4:
	v_or_b32_e32 v5, 0x100, v3
	s_movk_i32 s26, 0x4000
	v_mov_b32_e32 v6, v3
.LBB61_5:
	s_mul_hi_u32 s24, s18, s16
	s_mul_i32 s25, s51, s16
	s_add_i32 s24, s24, s25
	s_mul_i32 s25, s18, s16
	s_mul_i32 s27, s25, s3
	s_mul_hi_u32 s28, s25, s49
	s_add_i32 s27, s28, s27
	s_mul_i32 s24, s24, s49
	s_add_i32 s27, s27, s24
	s_mul_i32 s25, s25, s49
	s_ashr_i32 s57, s54, 31
	s_add_u32 s24, s25, s54
	s_addc_u32 s25, s27, s57
	s_lshl_b64 s[24:25], s[24:25], 8
	s_add_u32 s24, s4, s24
	s_addc_u32 s25, s5, s25
	s_and_b32 s25, s25, 0xffff
	s_mov_b32 s27, 0x20000
	s_movk_i32 s58, 0x80
	buffer_load_dwordx4 v[8:11], v6, s[24:27], 0 offen
	buffer_load_dwordx4 v[12:15], v6, s[24:27], s58 offen
	;; [unrolled: 1-line block ×4, first 2 shown]
	v_and_b32_e32 v5, 6, v0
	v_lshlrev_b32_e32 v6, 7, v1
	v_xor_b32_e32 v27, v82, v5
	v_and_b32_e32 v7, 1, v0
	v_lshl_or_b32 v30, v78, 3, v6
	v_lshlrev_b32_e32 v27, 2, v27
	v_or_b32_e32 v88, 0x4000, v30
	v_or_b32_e32 v89, 0x6000, v30
	v_xor_b32_e32 v30, 0x440, v27
	v_cmp_eq_u32_e32 vcc, 0, v7
	v_lshlrev_b32_e32 v24, 2, v78
	s_mov_b32 s60, 0x1000504
	v_cndmask_b32_e32 v7, v30, v27, vcc
	v_xor_b32_e32 v28, v1, v24
	v_xor_b32_e32 v29, v81, v24
	v_lshl_or_b32 v5, v5, 10, v7
	s_mov_b32 s61, 0x3020706
	s_mul_i32 s24, s3, s16
	s_mul_hi_u32 s25, s49, s16
	v_lshlrev_b32_e32 v25, 8, v78
	v_or_b32_e32 v26, 16, v78
	v_lshlrev_b32_e32 v28, 1, v28
	v_lshlrev_b32_e32 v29, 1, v29
	v_xor_b32_e32 v7, 8, v5
	v_xor_b32_e32 v27, 24, v5
	;; [unrolled: 1-line block ×4, first 2 shown]
	v_or_b32_e32 v91, v25, v28
	v_or_b32_e32 v92, v25, v29
	v_xor_b32_e32 v25, 16, v5
	v_xor_b32_e32 v30, 32, v5
	;; [unrolled: 1-line block ×3, first 2 shown]
	v_add_u32_e32 v7, 0x80, v7
	v_add_u32_e32 v27, 0x80, v27
	;; [unrolled: 1-line block ×4, first 2 shown]
	s_add_i32 s63, s25, s24
	s_add_i32 s24, s46, s21
	s_mul_i32 s3, s3, s20
	s_add_i32 s39, s24, s3
	s_mul_i32 s3, s33, s23
	s_mul_hi_u32 s24, s33, s22
	s_add_i32 s3, s24, s3
	s_mul_i32 s24, s56, s22
	s_add_i32 s25, s3, s24
	s_lshl_b64 s[28:29], s[38:39], 2
	s_mul_i32 s24, s33, s22
	s_add_u32 s3, s10, s28
	s_addc_u32 s28, s11, s29
	s_lshl_b64 s[24:25], s[24:25], 2
	s_add_u32 s42, s3, s24
	s_movk_i32 s3, 0xf8
	s_addc_u32 s43, s28, s25
	s_lshl_b32 s30, s19, 7
	s_movk_i32 s28, 0x100
	v_mov_b32_e32 v67, 0
	v_lshlrev_b32_e32 v66, 4, v78
	v_cmp_gt_u32_e32 vcc, s28, v0
	v_lshl_or_b32 v31, v26, 3, v6
	s_mov_b32 s59, 0
	s_mul_i32 s62, s49, s16
	v_or_b32_e32 v90, 0x4000, v31
	s_movk_i32 s26, 0x4000
	v_or_b32_e32 v93, 0x6000, v31
	v_add_u32_e32 v128, v75, v2
	s_movk_i32 s39, 0x2000
	s_movk_i32 s64, 0x3000
	s_mov_b32 s66, 0
	v_mov_b32_e32 v62, v67
	v_mov_b32_e32 v63, v67
	;; [unrolled: 1-line block ×10, first 2 shown]
	s_waitcnt vmcnt(1)
	v_perm_b32 v35, v8, v16, s60
	s_waitcnt vmcnt(0)
	v_perm_b32 v36, v12, v20, s60
	v_perm_b32 v8, v8, v16, s61
	;; [unrolled: 1-line block ×15, first 2 shown]
	ds_write2st64_b32 v5, v35, v36 offset0:128 offset1:160
	ds_write2st64_b32 v7, v8, v12 offset0:128 offset1:160
	;; [unrolled: 1-line block ×8, first 2 shown]
	v_lshlrev_b32_e32 v5, 8, v26
	v_or_b32_e32 v94, v5, v28
	v_or_b32_e32 v95, v5, v29
	;; [unrolled: 1-line block ×3, first 2 shown]
	v_lshl_or_b32 v7, v5, 3, v6
	v_lshlrev_b32_e32 v5, 8, v5
	v_or_b32_e32 v98, v5, v28
	v_or_b32_e32 v99, v5, v29
	;; [unrolled: 1-line block ×5, first 2 shown]
	v_lshl_or_b32 v7, v5, 3, v6
	v_lshlrev_b32_e32 v5, 8, v5
	v_or_b32_e32 v102, v5, v28
	v_or_b32_e32 v103, v5, v29
	;; [unrolled: 1-line block ×3, first 2 shown]
	v_lshlrev_b32_e32 v5, 3, v5
	v_lshrrev_b32_e32 v9, 5, v76
	v_and_or_b32 v9, v5, s3, v9
	v_lshlrev_b32_e32 v9, 4, v9
	v_or_b32_e32 v100, 0x4000, v7
	v_or_b32_e32 v101, 0x6000, v7
	v_lshlrev_b32_e32 v7, 11, v74
	v_and_b32_e32 v5, 0x78, v5
	v_or_b32_e32 v14, 32, v9
	v_and_b32_e32 v8, 0x1000, v7
	v_xor_b32_e32 v10, v9, v5
	v_lshrrev_b32_e32 v11, 1, v0
	v_xor_b32_e32 v14, v14, v5
	v_or_b32_e32 v10, v10, v8
	v_and_b32_e32 v12, 8, v11
	v_or_b32_e32 v14, v14, v8
	v_xor_b32_e32 v104, v10, v12
	v_lshlrev_b32_e32 v10, 8, v77
	v_xor_b32_e32 v106, v14, v12
	v_or_b32_e32 v14, 64, v9
	v_or_b32_e32 v9, 0x60, v9
	;; [unrolled: 1-line block ×3, first 2 shown]
	v_xor_b32_e32 v14, v14, v5
	v_xor_b32_e32 v5, v9, v5
	s_ashr_i32 s3, s2, 31
	v_lshlrev_b32_e32 v13, 1, v13
	v_or_b32_e32 v14, v14, v8
	v_or_b32_e32 v5, v5, v8
	s_lshl_b64 s[24:25], s[2:3], 8
	v_or_b32_e32 v105, 0x4000, v13
	v_or_b32_e32 v107, 0x4080, v13
	;; [unrolled: 1-line block ×4, first 2 shown]
	v_xor_b32_e32 v110, v14, v12
	v_xor_b32_e32 v111, v5, v12
	v_or_b32_e32 v112, 0x6000, v13
	v_or_b32_e32 v113, 0x6080, v13
	;; [unrolled: 1-line block ×4, first 2 shown]
	v_lshlrev_b32_e32 v12, 1, v4
	v_add_lshl_u32 v13, v4, s19, 1
	s_waitcnt lgkmcnt(0)
	s_add_u32 s24, s12, s24
	v_lshlrev_b32_e32 v4, 1, v78
	v_lshrrev_b32_e32 v15, 4, v0
	s_addc_u32 s25, s13, s25
	v_or_b32_e32 v5, 1, v4
	v_mov_b32_e32 v19, 0xa000
	v_mov_b32_e32 v20, 0x8000
	v_xor_b32_e32 v16, v15, v4
	v_xor_b32_e32 v17, v5, v15
	v_lshl_add_u64 v[4:5], s[24:25], 0, v[66:67]
	v_lshlrev_b32_e32 v66, 8, v15
	v_cndmask_b32_e32 v19, v19, v20, vcc
	v_lshlrev_b32_e32 v20, 3, v74
	v_and_b32_e32 v11, 24, v11
	v_lshl_or_b32 v116, v16, 3, v66
	v_and_b32_e32 v16, 8, v0
	v_xor_b32_e32 v21, v20, v11
	v_or_b32_e32 v22, 0x440, v21
	v_cmp_eq_u32_e32 vcc, 0, v16
	v_and_b32_e32 v15, 7, v0
	v_lshl_or_b32 v117, v17, 3, v66
	v_cndmask_b32_e32 v16, v22, v21, vcc
	v_lshlrev_b32_e32 v17, 3, v15
	v_lshlrev_b32_e32 v15, 7, v15
	v_or_b32_e32 v16, v16, v7
	v_lshlrev_b32_e32 v18, 2, v0
	v_xad_u32 v118, v16, v17, v15
	v_or_b32_e32 v16, 32, v11
	v_and_or_b32 v10, v18, 60, v10
	v_xor_b32_e32 v16, v20, v16
	v_lshlrev_b32_e32 v10, 1, v10
	v_or_b32_e32 v18, 0x440, v16
	v_or_b32_e32 v119, 0x6000, v10
	v_cndmask_b32_e32 v16, v18, v16, vcc
	v_or_b32_e32 v121, 0x6080, v10
	v_or_b32_e32 v122, 0x6100, v10
	;; [unrolled: 1-line block ×5, first 2 shown]
	v_xor_b32_e32 v10, v20, v10
	v_xad_u32 v120, v16, v17, v15
	v_xor_b32_e32 v16, 0x440, v10
	v_cndmask_b32_e32 v10, v16, v10, vcc
	v_or_b32_e32 v10, v10, v7
	v_xad_u32 v124, v10, v17, v15
	v_or_b32_e32 v10, 0x60, v11
	v_xor_b32_e32 v10, v20, v10
	v_xor_b32_e32 v11, 0x440, v10
	v_or_b32_e32 v8, s2, v78
	v_cndmask_b32_e32 v10, v11, v10, vcc
	v_ashrrev_i32_e32 v9, 31, v8
	v_or_b32_e32 v7, v10, v7
	v_or_b32_e32 v14, 0x100, v3
	v_xad_u32 v125, v7, v17, v15
	v_lshlrev_b64 v[8:9], 1, v[8:9]
	v_cndmask_b32_e64 v126, v12, v3, s[0:1]
	v_cndmask_b32_e64 v127, v13, v14, s[0:1]
	v_lshl_add_u64 v[68:69], s[8:9], 0, v[8:9]
	v_lshl_add_u64 v[70:71], s[14:15], 0, v[8:9]
	;; [unrolled: 1-line block ×3, first 2 shown]
	s_mov_b32 s3, 0x7060302
	v_lshlrev_b32_e32 v66, 1, v6
	v_add_u32_e32 v129, v19, v118
	v_add_u32_e32 v130, v19, v120
	;; [unrolled: 1-line block ×4, first 2 shown]
	v_mov_b32_e32 v56, v67
	v_mov_b32_e32 v57, v67
	;; [unrolled: 1-line block ×22, first 2 shown]
	s_barrier
	s_branch .LBB61_7
.LBB61_6:                               ;   in Loop: Header=BB61_7 Depth=1
	v_exp_f32_e32 v134, s44
	v_accvgpr_read_b32 v5, a3
	v_accvgpr_read_b32 v9, a7
	;; [unrolled: 1-line block ×4, first 2 shown]
	s_waitcnt vmcnt(4)
	v_accvgpr_read_b32 v18, a20
	v_accvgpr_read_b32 v25, a19
	;; [unrolled: 1-line block ×28, first 2 shown]
	s_add_i32 s59, s59, 64
	v_pk_fma_f32 v[62:63], v[134:135], v[62:63], v[2:3] op_sel_hi:[0,1,1]
	v_pk_fma_f32 v[64:65], v[134:135], v[64:65], v[4:5] op_sel_hi:[0,1,1]
	;; [unrolled: 1-line block ×16, first 2 shown]
	s_cmp_eq_u32 s50, s65
	s_mov_b32 s66, s65
	s_cbranch_scc1 .LBB61_17
.LBB61_7:                               ; =>This Inner Loop Header: Depth=1
	s_add_i32 s65, s66, 1
	s_cmp_lt_i32 s65, s50
	s_mov_b64 s[28:29], 0
	s_cselect_b64 s[44:45], -1, 0
	s_cmp_ge_i32 s65, s50
	s_mov_b64 s[24:25], 0
	s_cbranch_scc1 .LBB61_9
; %bb.8:                                ;   in Loop: Header=BB61_7 Depth=1
	s_add_i32 s0, s59, 64
	s_add_u32 s0, s40, s0
	s_addc_u32 s1, s41, 0
	s_lshl_b64 s[0:1], s[0:1], 8
	s_add_u32 s24, s6, s0
	s_addc_u32 s25, s7, s1
.LBB61_9:                               ;   in Loop: Header=BB61_7 Depth=1
	v_cndmask_b32_e64 v2, 0, 1, s[44:45]
	v_cmp_ne_u32_e64 s[0:1], 1, v2
	s_andn2_b64 vcc, exec, s[44:45]
	s_cbranch_vccnz .LBB61_11
; %bb.10:                               ;   in Loop: Header=BB61_7 Depth=1
	s_add_i32 s28, s59, 64
	s_add_u32 s28, s62, s28
	s_addc_u32 s29, s63, 0
	s_mul_i32 s31, s28, s51
	s_mul_hi_u32 s44, s28, s55
	s_add_i32 s31, s44, s31
	s_mul_i32 s29, s29, s55
	s_add_i32 s31, s31, s29
	s_mul_i32 s28, s28, s55
	s_add_u32 s28, s28, s54
	s_addc_u32 s29, s31, s57
	s_lshl_b64 s[28:29], s[28:29], 8
	s_add_u32 s28, s4, s28
	s_addc_u32 s29, s5, s29
.LBB61_11:                              ;   in Loop: Header=BB61_7 Depth=1
	v_perm_b32 v3, v65, v64, s3
	v_perm_b32 v2, v63, v62, s3
	v_perm_b32 v5, v61, v60, s3
	v_perm_b32 v4, v59, v58, s3
	ds_write_b64 v88, v[2:3]
	ds_write_b64 v89, v[4:5]
	ds_write_b64 v91, v[2:3]
	ds_write_b64 v92, v[4:5]
	v_perm_b32 v3, v57, v56, s3
	v_perm_b32 v2, v55, v54, s3
	v_perm_b32 v5, v53, v52, s3
	v_perm_b32 v4, v51, v50, s3
	ds_write_b64 v90, v[2:3]
	ds_write_b64 v93, v[4:5]
	ds_write_b64 v94, v[2:3]
	ds_write_b64 v95, v[4:5]
	;; [unrolled: 8-line block ×4, first 2 shown]
	s_waitcnt lgkmcnt(0)
	s_barrier
	ds_read_b64 v[6:7], v104 offset:49152
	ds_read2_b64 v[2:5], v105 offset1:16
	ds_read_b64 v[18:19], v107 offset:6144
	ds_read_b64 v[20:21], v105 offset:6144
	s_waitcnt lgkmcnt(2)
	v_mfma_f32_16x16x16_bf16 a[0:3], v[6:7], v[2:3], 0
	ds_read_b64 v[22:23], v106 offset:49152
	ds_read2st64_b64 v[10:13], v108 offset0:4 offset1:8
	ds_read2st64_b64 v[14:17], v109 offset0:4 offset1:8
	v_mfma_f32_16x16x16_bf16 a[4:7], v[6:7], v[4:5], 0
	ds_read2_b64 v[2:5], v105 offset0:32 offset1:48
	s_add_i32 s31, s59, 63
	s_mul_i32 s44, s31, s37
	s_waitcnt lgkmcnt(0)
	v_mfma_f32_16x16x16_bf16 a[8:11], v[6:7], v[2:3], 0
	s_mul_hi_u32 s45, s31, s36
	s_add_i32 s45, s45, s44
	s_mul_i32 s44, s31, s36
	v_mfma_f32_16x16x16_bf16 a[12:15], v[6:7], v[4:5], 0
	ds_read2st64_b64 v[2:5], v105 offset0:4 offset1:8
	ds_read2st64_b64 v[6:9], v107 offset0:4 offset1:8
	s_lshl_b64 s[44:45], s[44:45], 2
	s_waitcnt lgkmcnt(1)
	v_mfma_f32_16x16x16_bf16 a[0:3], v[22:23], v[2:3], a[0:3]
	s_add_u32 s44, s42, s44
	s_addc_u32 s45, s43, s45
	s_and_b64 vcc, exec, s[0:1]
	s_waitcnt lgkmcnt(0)
	v_mfma_f32_16x16x16_bf16 a[4:7], v[22:23], v[6:7], a[4:7]
	v_mov_b32_e32 v135, 0
	v_mov_b32_e32 v134, 0
	;; [unrolled: 1-line block ×3, first 2 shown]
	v_mfma_f32_16x16x16_bf16 a[8:11], v[22:23], v[10:11], a[8:11]
	ds_read_b64 v[2:3], v110 offset:49152
	ds_read_b64 v[6:7], v111 offset:49152
	;; [unrolled: 1-line block ×3, first 2 shown]
	v_mfma_f32_16x16x16_bf16 a[12:15], v[22:23], v[14:15], a[12:15]
	v_mov_b32_e32 v14, 0
	v_mov_b32_e32 v15, 0
	s_waitcnt lgkmcnt(2)
	v_mfma_f32_16x16x16_bf16 a[0:3], v[2:3], v[4:5], a[0:3]
	v_mov_b32_e32 v4, 0
	v_mov_b32_e32 v5, 0
	v_mfma_f32_16x16x16_bf16 a[16:19], v[2:3], v[8:9], a[4:7]
	v_mov_b32_e32 v8, 0
	v_mov_b32_e32 v9, 0
	;; [unrolled: 3-line block ×3, first 2 shown]
	v_mfma_f32_16x16x16_bf16 a[24:27], v[2:3], v[16:17], a[12:15]
	ds_read_b64 v[2:3], v108 offset:6144
	v_mov_b32_e32 v16, 0
	v_mov_b32_e32 v17, 0
	s_waitcnt lgkmcnt(2)
	v_mfma_f32_16x16x16_bf16 a[4:7], v[6:7], v[20:21], a[0:3]
	v_mfma_f32_16x16x16_bf16 a[8:11], v[6:7], v[18:19], a[16:19]
	s_waitcnt lgkmcnt(0)
	v_mfma_f32_16x16x16_bf16 a[12:15], v[6:7], v[2:3], a[20:23]
	v_mov_b32_e32 v2, 0
	v_mov_b32_e32 v3, 0
	v_mfma_f32_16x16x16_bf16 a[0:3], v[6:7], v[10:11], a[24:27]
	v_mov_b32_e32 v6, 0
	v_mov_b32_e32 v7, 0
	;; [unrolled: 1-line block ×4, first 2 shown]
	s_cbranch_vccnz .LBB61_13
; %bb.12:                               ;   in Loop: Header=BB61_7 Depth=1
	s_and_b32 s25, s25, 0xffff
	buffer_load_dwordx4 v[14:17], v84, s[24:27], 0 offen
	buffer_load_dwordx4 v[10:13], v84, s[24:27], s58 offen
	;; [unrolled: 1-line block ×4, first 2 shown]
	v_mov_b32_e32 v134, v86
	v_mov_b32_e32 v133, v87
.LBB61_13:                              ;   in Loop: Header=BB61_7 Depth=1
	ds_read_b64 v[30:31], v104 offset:57344
	ds_read2_b64 v[18:21], v112 offset1:16
	ds_read_b64 v[136:137], v106 offset:57344
	ds_read_b64 v[138:139], v110 offset:57344
	;; [unrolled: 1-line block ×3, first 2 shown]
	v_add_u32_e32 v32, s59, v128
	s_waitcnt lgkmcnt(3)
	v_mfma_f32_16x16x16_bf16 a[4:7], v[30:31], v[18:19], a[4:7]
	v_mfma_f32_16x16x16_bf16 a[8:11], v[30:31], v[20:21], a[8:11]
	ds_read2_b64 v[18:21], v112 offset0:32 offset1:48
	ds_read2st64_b64 v[22:25], v112 offset0:4 offset1:8
	ds_read2st64_b64 v[26:29], v113 offset0:4 offset1:8
	s_waitcnt lgkmcnt(2)
	v_mfma_f32_16x16x16_bf16 a[12:15], v[30:31], v[18:19], a[12:15]
	v_ashrrev_i32_e32 v18, 31, v32
	v_mul_lo_u32 v33, v18, s36
	v_mad_u64_u32 v[18:19], s[24:25], v32, s36, 0
	v_mfma_f32_16x16x16_bf16 a[0:3], v[30:31], v[20:21], a[0:3]
	v_mul_lo_u32 v20, v32, s37
	v_add3_u32 v19, v19, v20, v33
	v_add_u32_e32 v20, 1, v32
	v_ashrrev_i32_e32 v21, 31, v20
	s_waitcnt lgkmcnt(1)
	v_mfma_f32_16x16x16_bf16 a[4:7], v[136:137], v[22:23], a[4:7]
	v_mul_lo_u32 v22, v21, s36
	v_mul_lo_u32 v23, v20, s37
	v_mad_u64_u32 v[20:21], s[24:25], v20, s36, 0
	v_add3_u32 v21, v21, v23, v22
	v_add_u32_e32 v22, 2, v32
	v_ashrrev_i32_e32 v23, 31, v22
	v_mul_lo_u32 v30, v23, s36
	v_mul_lo_u32 v31, v22, s37
	v_mad_u64_u32 v[22:23], s[24:25], v22, s36, 0
	v_add3_u32 v23, v23, v31, v30
	v_add_u32_e32 v30, 3, v32
	v_ashrrev_i32_e32 v31, 31, v30
	v_mul_lo_u32 v32, v31, s36
	v_mul_lo_u32 v33, v30, s37
	v_mad_u64_u32 v[30:31], s[24:25], v30, s36, 0
	s_add_u32 s24, s40, s59
	v_lshl_add_u64 v[18:19], v[18:19], 2, s[42:43]
	v_add3_u32 v31, v31, v33, v32
	s_addc_u32 s25, s41, 0
	v_lshl_add_u64 v[20:21], v[20:21], 2, s[42:43]
	global_load_dword v142, v[18:19], off
	v_lshl_add_u64 v[18:19], v[30:31], 2, s[42:43]
	s_lshl_b64 s[24:25], s[24:25], 8
	v_lshl_add_u64 v[22:23], v[22:23], 2, s[42:43]
	global_load_dword v143, v[20:21], off
	global_load_dword v144, v[22:23], off
	;; [unrolled: 1-line block ×3, first 2 shown]
	v_lshl_add_u64 v[18:19], v[68:69], 0, s[24:25]
	v_lshl_add_u64 v[22:23], v[18:19], 0, v[66:67]
	global_load_ushort v146, v[22:23], off offset:256
	global_load_ushort v147, v[22:23], off
	ds_read2st64_b64 v[18:21], v114 offset0:4 offset1:8
	global_load_ushort v148, v[22:23], off offset:768
	global_load_ushort v149, v[22:23], off offset:512
	ds_read2st64_b64 v[30:33], v115 offset0:4 offset1:8
	global_load_ushort v150, v[22:23], off offset:288
	global_load_ushort v151, v[22:23], off offset:32
	;; [unrolled: 1-line block ×4, first 2 shown]
	s_waitcnt lgkmcnt(2)
	v_mfma_f32_16x16x16_bf16 a[8:11], v[136:137], v[26:27], a[8:11]
	global_load_ushort v154, v[22:23], off offset:320
	global_load_ushort v155, v[22:23], off offset:64
	;; [unrolled: 1-line block ×4, first 2 shown]
	s_and_b64 vcc, exec, s[0:1]
	s_waitcnt lgkmcnt(1)
	v_mfma_f32_16x16x16_bf16 a[12:15], v[136:137], v[18:19], a[12:15]
	ds_read_b64 v[18:19], v112 offset:6144
	s_waitcnt lgkmcnt(1)
	v_mfma_f32_16x16x16_bf16 a[0:3], v[136:137], v[30:31], a[0:3]
	v_lshl_add_u64 v[30:31], v[70:71], 0, s[24:25]
	v_lshl_add_u64 v[30:31], v[30:31], 0, v[66:67]
	v_mfma_f32_16x16x16_bf16 a[4:7], v[138:139], v[24:25], a[4:7]
	v_mfma_f32_16x16x16_bf16 a[8:11], v[138:139], v[28:29], a[8:11]
	;; [unrolled: 1-line block ×4, first 2 shown]
	global_load_ushort v138, v[22:23], off offset:352
	global_load_ushort v139, v[22:23], off offset:96
	ds_read_b64 v[20:21], v113 offset:6144
	ds_read_b64 v[24:25], v114 offset:6144
	;; [unrolled: 1-line block ×3, first 2 shown]
	s_load_dword s44, s[44:45], 0x0
	global_load_ushort v158, v[22:23], off offset:864
	global_load_ushort v159, v[22:23], off offset:608
	s_waitcnt lgkmcnt(0)
	v_mfma_f32_16x16x16_bf16 a[4:7], v[140:141], v[18:19], a[4:7]
	s_waitcnt vmcnt(17)
	v_sub_f32_e32 v28, s44, v144
	v_mfma_f32_16x16x16_bf16 a[0:3], v[140:141], v[26:27], a[0:3]
	v_sub_f32_e32 v26, s44, v142
	v_sub_f32_e32 v27, s44, v143
	s_waitcnt vmcnt(16)
	v_sub_f32_e32 v29, s44, v145
	v_mfma_f32_16x16x16_bf16 a[8:11], v[140:141], v[20:21], a[8:11]
	v_exp_f32_e32 v26, v26
	v_exp_f32_e32 v27, v27
	;; [unrolled: 1-line block ×4, first 2 shown]
	v_accvgpr_read_b32 v137, a5
	s_waitcnt vmcnt(15)
	v_lshlrev_b32_e32 v33, 16, v146
	s_waitcnt vmcnt(14)
	v_lshlrev_b32_e32 v32, 16, v147
	v_accvgpr_read_b32 v136, a4
	v_accvgpr_read_b32 v19, a7
	;; [unrolled: 1-line block ×3, first 2 shown]
	v_pk_add_f32 v[32:33], v[32:33], v[136:137] neg_lo:[0,1] neg_hi:[0,1]
	s_waitcnt vmcnt(13)
	v_lshlrev_b32_e32 v137, 16, v148
	s_waitcnt vmcnt(12)
	v_lshlrev_b32_e32 v136, 16, v149
	v_pk_add_f32 v[18:19], v[136:137], v[18:19] neg_lo:[0,1] neg_hi:[0,1]
	global_store_short_d16_hi v[30:31], v32, off
	global_store_short_d16_hi v[30:31], v33, off offset:256
	global_store_short_d16_hi v[30:31], v18, off offset:512
	;; [unrolled: 1-line block ×3, first 2 shown]
	v_pk_mul_f32 v[32:33], v[26:27], v[32:33]
	v_pk_mul_f32 v[18:19], v[28:29], v[18:19]
	v_accvgpr_read_b32 v137, a9
	v_perm_b32 v32, v33, v32, s3
	v_perm_b32 v33, v19, v18, s3
	s_waitcnt vmcnt(15)
	v_lshlrev_b32_e32 v19, 16, v150
	s_waitcnt vmcnt(14)
	v_lshlrev_b32_e32 v18, 16, v151
	v_accvgpr_read_b32 v136, a8
	v_accvgpr_read_b32 v21, a11
	v_mfma_f32_16x16x16_bf16 a[12:15], v[140:141], v[24:25], a[12:15]
	v_accvgpr_read_b32 v20, a10
	v_pk_add_f32 v[18:19], v[18:19], v[136:137] neg_lo:[0,1] neg_hi:[0,1]
	s_waitcnt vmcnt(13)
	v_lshlrev_b32_e32 v137, 16, v152
	s_waitcnt vmcnt(12)
	v_lshlrev_b32_e32 v136, 16, v153
	v_pk_add_f32 v[20:21], v[136:137], v[20:21] neg_lo:[0,1] neg_hi:[0,1]
	global_store_short_d16_hi v[30:31], v18, off offset:32
	global_store_short_d16_hi v[30:31], v19, off offset:288
	global_store_short_d16_hi v[30:31], v20, off offset:544
	global_store_short_d16_hi v[30:31], v21, off offset:800
	v_pk_mul_f32 v[18:19], v[26:27], v[18:19]
	v_pk_mul_f32 v[20:21], v[28:29], v[20:21]
	v_accvgpr_read_b32 v23, a15
	v_perm_b32 v21, v21, v20, s3
	v_perm_b32 v20, v19, v18, s3
	ds_write2_b64 v89, v[32:33], v[20:21] offset1:16
	v_accvgpr_read_b32 v21, a13
	s_waitcnt vmcnt(15)
	v_lshlrev_b32_e32 v19, 16, v154
	s_waitcnt vmcnt(14)
	v_lshlrev_b32_e32 v18, 16, v155
	v_accvgpr_read_b32 v20, a12
	v_accvgpr_read_b32 v22, a14
	v_pk_add_f32 v[18:19], v[18:19], v[20:21] neg_lo:[0,1] neg_hi:[0,1]
	s_waitcnt vmcnt(13)
	v_lshlrev_b32_e32 v21, 16, v156
	s_waitcnt vmcnt(12)
	v_lshlrev_b32_e32 v20, 16, v157
	v_pk_add_f32 v[20:21], v[20:21], v[22:23] neg_lo:[0,1] neg_hi:[0,1]
	global_store_short_d16_hi v[30:31], v18, off offset:64
	global_store_short_d16_hi v[30:31], v19, off offset:320
	;; [unrolled: 1-line block ×4, first 2 shown]
	v_pk_mul_f32 v[18:19], v[26:27], v[18:19]
	v_pk_mul_f32 v[20:21], v[28:29], v[20:21]
	v_accvgpr_read_b32 v23, a1
	v_perm_b32 v18, v19, v18, s3
	v_perm_b32 v19, v21, v20, s3
	s_waitcnt vmcnt(15)
	v_lshlrev_b32_e32 v21, 16, v138
	s_waitcnt vmcnt(14)
	v_lshlrev_b32_e32 v20, 16, v139
	v_accvgpr_read_b32 v22, a0
	v_accvgpr_read_b32 v25, a3
	;; [unrolled: 1-line block ×3, first 2 shown]
	v_pk_add_f32 v[20:21], v[20:21], v[22:23] neg_lo:[0,1] neg_hi:[0,1]
	s_waitcnt vmcnt(13)
	v_lshlrev_b32_e32 v23, 16, v158
	s_waitcnt vmcnt(12)
	v_lshlrev_b32_e32 v22, 16, v159
	v_pk_add_f32 v[22:23], v[22:23], v[24:25] neg_lo:[0,1] neg_hi:[0,1]
	global_store_short_d16_hi v[30:31], v20, off offset:96
	global_store_short_d16_hi v[30:31], v21, off offset:352
	;; [unrolled: 1-line block ×4, first 2 shown]
	v_pk_mul_f32 v[20:21], v[26:27], v[20:21]
	v_pk_mul_f32 v[22:23], v[28:29], v[22:23]
	v_mov_b32_e32 v136, 0
	v_perm_b32 v23, v23, v22, s3
	v_perm_b32 v22, v21, v20, s3
	ds_write2_b64 v89, v[18:19], v[22:23] offset0:32 offset1:48
	v_mov_b32_e32 v18, 0
	v_mov_b32_e32 v19, 0
	;; [unrolled: 1-line block ×16, first 2 shown]
	s_cbranch_vccnz .LBB61_15
; %bb.14:                               ;   in Loop: Header=BB61_7 Depth=1
	s_and_b32 s29, s29, 0xffff
	s_mov_b32 s31, s27
	buffer_load_dwordx4 v[30:33], v126, s[28:31], 0 offen
	buffer_load_dwordx4 v[22:25], v126, s[28:31], s58 offen
	;; [unrolled: 1-line block ×4, first 2 shown]
	v_mov_b32_e32 v135, v83
	v_mov_b32_e32 v136, v82
.LBB61_15:                              ;   in Loop: Header=BB61_7 Depth=1
	s_waitcnt lgkmcnt(0)
	s_barrier
	ds_read_b64 v[146:147], v129
	ds_read2_b64 v[138:141], v119 offset1:16
	ds_read_b64 v[162:163], v130
	ds_read_b64 v[164:165], v131
	;; [unrolled: 1-line block ×3, first 2 shown]
	ds_read2_b64 v[142:145], v119 offset0:32 offset1:48
	s_waitcnt lgkmcnt(4)
	v_mfma_f32_16x16x16_bf16 a[0:3], v[146:147], v[138:139], 0
	ds_read2st64_b64 v[150:153], v121 offset0:4 offset1:8
	ds_read2st64_b64 v[154:157], v122 offset0:4 offset1:8
	;; [unrolled: 1-line block ×3, first 2 shown]
	v_mfma_f32_16x16x16_bf16 a[4:7], v[146:147], v[140:141], 0
	s_add_i32 s24, s52, s66
	s_mul_hi_i32 s25, s24, s17
	s_mul_i32 s24, s24, s17
	s_waitcnt lgkmcnt(3)
	v_mfma_f32_16x16x16_bf16 a[8:11], v[146:147], v[142:143], 0
	s_add_u32 s24, s24, s33
	s_addc_u32 s25, s25, s56
	s_lshl_b64 s[24:25], s[24:25], 15
	v_mfma_f32_16x16x16_bf16 a[12:15], v[146:147], v[144:145], 0
	ds_read2st64_b64 v[146:149], v119 offset0:4 offset1:8
	s_waitcnt lgkmcnt(0)
	v_mfma_f32_16x16x16_bf16 a[0:3], v[162:163], v[146:147], a[0:3]
	v_mfma_f32_16x16x16_bf16 a[4:7], v[162:163], v[150:151], a[4:7]
	;; [unrolled: 1-line block ×8, first 2 shown]
	ds_read_b64 v[162:163], v119 offset:6144
	ds_read_b64 v[164:165], v120 offset:40960
	;; [unrolled: 1-line block ×8, first 2 shown]
	s_waitcnt lgkmcnt(5)
	v_mfma_f32_16x16x16_bf16 a[16:19], v[168:169], v[138:139], 0
	v_mfma_f32_16x16x16_bf16 a[20:23], v[168:169], v[140:141], 0
	ds_read2st64_b64 v[138:141], v116 offset1:8
	v_mfma_f32_16x16x16_bf16 a[24:27], v[168:169], v[142:143], 0
	v_mfma_f32_16x16x16_bf16 a[28:31], v[168:169], v[144:145], 0
	ds_read2st64_b64 v[142:145], v117 offset1:8
	v_mfma_f32_16x16x16_bf16 a[16:19], v[164:165], v[146:147], a[16:19]
	s_waitcnt lgkmcnt(1)
	v_mov_b32_e32 v146, v138
	v_mov_b32_e32 v147, v139
	v_mfma_f32_16x16x16_bf16 a[20:23], v[164:165], v[150:151], a[20:23]
	v_lshl_add_u64 v[150:151], v[72:73], 0, s[24:25]
	v_mfma_f32_16x16x16_bf16 a[24:27], v[164:165], v[154:155], a[24:27]
	v_mfma_f32_16x16x16_bf16 a[28:31], v[164:165], v[158:159], a[28:31]
	;; [unrolled: 1-line block ×3, first 2 shown]
	s_waitcnt lgkmcnt(0)
	v_mov_b32_e32 v148, v142
	v_mov_b32_e32 v149, v143
	;; [unrolled: 1-line block ×3, first 2 shown]
	v_mfma_f32_16x16x16_bf16 a[32:35], v[176:177], v[152:153], a[20:23]
	v_mov_b32_e32 v143, v141
	ds_read2st64_b64 v[138:141], v116 offset0:16 offset1:24
	global_store_dwordx4 v[150:151], v[146:149], off
	v_mfma_f32_16x16x16_bf16 a[24:27], v[176:177], v[156:157], a[24:27]
	ds_read2st64_b64 v[146:149], v117 offset0:16 offset1:24
	v_add_co_u32_e32 v152, vcc, s39, v150
	v_mfma_f32_16x16x16_bf16 a[28:31], v[176:177], v[160:161], a[28:31]
	s_nop 0
	v_addc_co_u32_e32 v153, vcc, 0, v151, vcc
	global_store_dwordx4 v[152:153], v[142:145], off offset:-4096
	v_mfma_f32_16x16x16_bf16 a[0:3], v[166:167], v[162:163], a[0:3]
	s_waitcnt lgkmcnt(1)
	v_mov_b32_e32 v142, v138
	v_add_co_u32_e32 v138, vcc, s64, v150
	v_mfma_f32_16x16x16_bf16 a[4:7], v[166:167], v[170:171], a[4:7]
	v_mov_b32_e32 v143, v139
	v_addc_co_u32_e32 v139, vcc, 0, v151, vcc
	v_mfma_f32_16x16x16_bf16 a[8:11], v[166:167], v[172:173], a[8:11]
	s_waitcnt lgkmcnt(0)
	v_mov_b32_e32 v144, v146
	v_mov_b32_e32 v145, v147
	;; [unrolled: 1-line block ×3, first 2 shown]
	v_mfma_f32_16x16x16_bf16 a[12:15], v[166:167], v[174:175], a[12:15]
	v_mov_b32_e32 v147, v141
	s_and_b64 vcc, exec, s[0:1]
	global_store_dwordx4 v[152:153], v[142:145], off
	v_mfma_f32_16x16x16_bf16 a[20:23], v[178:179], v[162:163], a[16:19]
	global_store_dwordx4 v[138:139], v[146:149], off
	v_mfma_f32_16x16x16_bf16 a[16:19], v[178:179], v[170:171], a[32:35]
	v_mfma_f32_16x16x16_bf16 a[24:27], v[178:179], v[172:173], a[24:27]
	;; [unrolled: 1-line block ×3, first 2 shown]
	s_cbranch_vccnz .LBB61_6
; %bb.16:                               ;   in Loop: Header=BB61_7 Depth=1
	v_lshrrev_b32_e32 v137, 3, v135
	v_and_b32_e32 v137, 6, v137
	v_xor_b32_e32 v136, v137, v136
	v_lshlrev_b32_e32 v136, 2, v136
	v_and_b32_e32 v135, 8, v135
	v_xor_b32_e32 v138, 0x440, v136
	v_cmp_eq_u32_e32 vcc, 0, v135
	s_barrier
	s_nop 0
	v_cndmask_b32_e32 v135, v138, v136, vcc
	v_lshl_or_b32 v135, v137, 10, v135
	s_waitcnt vmcnt(5)
	v_perm_b32 v136, v30, v26, s60
	s_waitcnt vmcnt(4)
	v_perm_b32 v137, v22, v18, s60
	ds_write2st64_b32 v135, v136, v137 offset0:128 offset1:160
	v_xor_b32_e32 v136, 8, v135
	v_perm_b32 v26, v30, v26, s61
	v_perm_b32 v18, v22, v18, s61
	v_add_u32_e32 v22, 0x80, v136
	ds_write2st64_b32 v22, v26, v18 offset0:128 offset1:160
	v_xor_b32_e32 v18, 16, v135
	v_perm_b32 v22, v31, v27, s60
	v_perm_b32 v26, v23, v19, s60
	ds_write2st64_b32 v18, v22, v26 offset0:129 offset1:161
	v_xor_b32_e32 v18, 24, v135
	v_perm_b32 v22, v31, v27, s61
	v_perm_b32 v19, v23, v19, s61
	v_add_u32_e32 v18, 0x80, v18
	ds_write2st64_b32 v18, v22, v19 offset0:129 offset1:161
	v_xor_b32_e32 v18, 32, v135
	v_perm_b32 v19, v32, v28, s60
	;; [unrolled: 9-line block ×3, first 2 shown]
	v_perm_b32 v20, v25, v21, s60
	ds_write2st64_b32 v18, v19, v20 offset0:131 offset1:163
	v_xor_b32_e32 v18, 56, v135
	v_perm_b32 v19, v33, v29, s61
	v_perm_b32 v20, v25, v21, s61
	v_add_u32_e32 v18, 0x80, v18
	ds_write2st64_b32 v18, v19, v20 offset0:131 offset1:163
	ds_write_b64 v134, v[14:15] offset:49152
	v_xor_b32_e32 v14, 8, v134
	ds_write_b64 v14, v[16:17] offset:49152
	ds_write_b64 v134, v[10:11] offset:57344
	;; [unrolled: 1-line block ×4, first 2 shown]
	v_xor_b32_e32 v6, 8, v133
	ds_write_b64 v6, v[8:9] offset:49152
	ds_write_b64 v133, v[2:3] offset:57344
	;; [unrolled: 1-line block ×3, first 2 shown]
	s_branch .LBB61_6
.LBB61_17:
	s_lshl_b32 s44, s50, 6
	s_sub_i32 s45, s16, s44
	s_cmp_gt_i32 s45, 0
	v_or_b32_e32 v18, s2, v78
	s_cbranch_scc1 .LBB61_19
; %bb.18:
	s_ashr_i32 s0, s33, 31
	s_add_u32 s28, s47, s33
	s_addc_u32 s29, s53, s0
	v_or_b32_e32 v2, s2, v78
	s_cbranch_execz .LBB61_20
	s_branch .LBB61_100
.LBB61_19:
                                        ; implicit-def: $sgpr28_sgpr29
                                        ; implicit-def: $vgpr2
.LBB61_20:
	s_ashr_i32 s39, s49, 31
	s_ashr_i32 s3, s44, 31
	s_cmpk_lg_i32 s19, 0x80
	s_cselect_b64 s[40:41], -1, 0
	s_and_b64 vcc, exec, s[40:41]
	s_cbranch_vccz .LBB61_22
; %bb.21:
	s_mul_i32 s1, s49, s16
	s_mul_hi_i32 s0, s49, s16
	s_add_u32 s1, s1, s44
	s_addc_u32 s0, s0, s3
	s_mul_i32 s24, s1, s51
	s_mul_hi_u32 s25, s1, s18
	s_add_i32 s24, s25, s24
	s_mul_i32 s0, s0, s18
	s_add_i32 s24, s24, s0
	s_mul_i32 s1, s1, s18
	s_ashr_i32 s0, s54, 31
	s_add_u32 s42, s1, s54
	s_addc_u32 s43, s24, s0
	s_cbranch_execz .LBB61_23
	s_branch .LBB61_24
.LBB61_22:
                                        ; implicit-def: $sgpr42_sgpr43
.LBB61_23:
	s_mul_hi_i32 s0, s49, s18
	s_mul_i32 s49, s49, s18
	s_ashr_i32 s1, s54, 31
	s_add_u32 s18, s49, s54
	s_addc_u32 s0, s0, s1
	s_mul_i32 s1, s18, s48
	s_mul_hi_u32 s24, s18, s16
	s_add_i32 s1, s24, s1
	s_mul_i32 s0, s0, s16
	s_add_i32 s1, s1, s0
	s_mul_i32 s18, s18, s16
	s_add_u32 s42, s18, s44
	s_addc_u32 s43, s1, s3
.LBB61_24:
	s_add_i32 s24, s52, s50
	s_ashr_i32 s18, s33, 31
	s_add_u32 s28, s47, s33
	s_addc_u32 s29, s53, s18
	s_mul_i32 s0, s28, s48
	s_mul_hi_u32 s1, s28, s16
	s_add_i32 s0, s1, s0
	s_mul_i32 s1, s29, s16
	s_add_i32 s1, s0, s1
	s_mul_i32 s0, s28, s16
	s_add_u32 s0, s0, s44
	v_lshlrev_b32_e32 v6, 6, v1
	v_lshlrev_b32_e32 v26, 2, v78
	s_addc_u32 s1, s1, s3
	s_mov_b32 s3, 0x7060302
	v_or_b32_e32 v9, v6, v26
	v_xor_b32_e32 v7, v1, v26
	v_perm_b32 v3, v65, v64, s3
	v_perm_b32 v2, v63, v62, s3
	;; [unrolled: 1-line block ×4, first 2 shown]
	v_lshlrev_b32_e32 v9, 1, v9
	v_xor_b32_e32 v8, v81, v26
	ds_write2st64_b64 v9, v[2:3], v[4:5] offset0:32 offset1:48
	v_lshlrev_b32_e32 v7, 1, v7
	v_lshlrev_b32_e32 v9, 8, v78
	v_or_b32_e32 v10, v7, v9
	v_lshlrev_b32_e32 v8, 1, v8
	ds_write_b64 v10, v[2:3]
	v_or_b32_e32 v2, v8, v9
	v_or_b32_e32 v9, 16, v78
	v_lshlrev_b32_e32 v25, 2, v9
	v_or_b32_e32 v10, v6, v25
	ds_write_b64 v2, v[4:5]
	v_perm_b32 v3, v57, v56, s3
	v_perm_b32 v2, v55, v54, s3
	;; [unrolled: 1-line block ×4, first 2 shown]
	v_lshlrev_b32_e32 v10, 1, v10
	v_lshlrev_b32_e32 v9, 8, v9
	ds_write2st64_b64 v10, v[2:3], v[4:5] offset0:32 offset1:48
	v_or_b32_e32 v10, v7, v9
	ds_write_b64 v10, v[2:3]
	v_or_b32_e32 v2, v8, v9
	v_or_b32_e32 v9, 32, v78
	v_lshlrev_b32_e32 v24, 2, v9
	v_or_b32_e32 v10, v6, v24
	ds_write_b64 v2, v[4:5]
	v_perm_b32 v3, v49, v48, s3
	v_perm_b32 v2, v47, v46, s3
	;; [unrolled: 1-line block ×4, first 2 shown]
	v_lshlrev_b32_e32 v10, 1, v10
	v_lshlrev_b32_e32 v9, 8, v9
	s_lshl_b64 s[30:31], s[0:1], 8
	ds_write2st64_b64 v10, v[2:3], v[4:5] offset0:32 offset1:48
	v_or_b32_e32 v10, v7, v9
	s_add_u32 s0, s6, s30
	ds_write_b64 v10, v[2:3]
	v_or_b32_e32 v2, v8, v9
	s_addc_u32 s1, s7, s31
	ds_write_b64 v2, v[4:5]
	v_perm_b32 v3, v41, v40, s3
	v_perm_b32 v2, v39, v38, s3
	;; [unrolled: 1-line block ×4, first 2 shown]
	v_or_b32_e32 v9, 48, v78
	s_mul_hi_i32 s3, s24, s17
	s_mul_i32 s24, s24, s17
	v_lshlrev_b32_e32 v21, 2, v9
	s_add_u32 s6, s24, s33
	v_or_b32_e32 v6, v6, v21
	s_addc_u32 s7, s3, s18
	v_lshlrev_b32_e32 v6, 1, v6
	s_ashr_i32 s3, s2, 31
	s_lshl_b64 s[6:7], s[6:7], 15
	ds_write2st64_b64 v6, v[2:3], v[4:5] offset0:32 offset1:48
	v_lshlrev_b32_e32 v6, 8, v9
	s_waitcnt lgkmcnt(0)
	s_add_u32 s6, s12, s6
	v_or_b32_e32 v7, v7, v6
	s_addc_u32 s7, s13, s7
	s_lshl_b64 s[2:3], s[2:3], 8
	ds_write_b64 v7, v[2:3]
	v_or_b32_e32 v2, v8, v6
	s_add_u32 s2, s6, s2
	v_lshlrev_b32_e32 v3, 1, v78
	ds_write_b64 v2, v[4:5]
	v_lshrrev_b32_e32 v2, 4, v0
	s_addc_u32 s3, s7, s3
	v_or_b32_e32 v4, 1, v3
	v_lshlrev_b32_e32 v10, 4, v78
	v_mov_b32_e32 v11, 0
	v_xor_b32_e32 v3, v2, v3
	v_xor_b32_e32 v6, v4, v2
	v_lshl_add_u64 v[12:13], s[2:3], 0, v[10:11]
	v_lshlrev_b32_e32 v10, 8, v2
	v_lshl_or_b32 v16, v3, 3, v10
	v_lshl_or_b32 v17, v6, 3, v10
	s_waitcnt lgkmcnt(0)
	s_barrier
	ds_read2st64_b64 v[2:5], v16 offset1:8
	ds_read2st64_b64 v[6:9], v17 offset1:8
	v_lshl_add_u64 v[14:15], v[12:13], 0, v[10:11]
	s_movk_i32 s2, 0x2000
	s_cmp_lg_u32 s45, 64
	s_waitcnt lgkmcnt(1)
	v_mov_b32_e32 v10, v2
	v_mov_b32_e32 v11, v3
	s_waitcnt lgkmcnt(0)
	v_mov_b32_e32 v12, v6
	v_mov_b32_e32 v13, v7
	global_store_dwordx4 v[14:15], v[10:13], off
	v_mov_b32_e32 v6, v4
	v_mov_b32_e32 v7, v5
	ds_read2st64_b64 v[2:5], v16 offset0:16 offset1:24
	ds_read2st64_b64 v[10:13], v17 offset0:16 offset1:24
	v_add_co_u32_e32 v16, vcc, s2, v14
	s_cselect_b64 s[6:7], -1, 0
	s_nop 0
	v_addc_co_u32_e32 v17, vcc, 0, v15, vcc
	global_store_dwordx4 v[16:17], v[6:9], off offset:-4096
	v_lshl_or_b32 v19, v74, 3, v80
	s_mov_b32 s24, 0
	s_waitcnt lgkmcnt(1)
	v_mov_b32_e32 v6, v2
	v_add_co_u32_e32 v2, vcc, 0x3000, v14
	v_mov_b32_e32 v7, v3
	s_nop 0
	v_addc_co_u32_e32 v3, vcc, 0, v15, vcc
	s_waitcnt lgkmcnt(0)
	v_mov_b32_e32 v8, v10
	v_mov_b32_e32 v9, v11
	;; [unrolled: 1-line block ×4, first 2 shown]
	v_or_b32_e32 v22, 32, v19
	v_and_b32_e32 v20, 56, v79
	s_and_b64 vcc, exec, s[6:7]
	global_store_dwordx4 v[16:17], v[6:9], off
	global_store_dwordx4 v[2:3], v[10:13], off
	s_cbranch_vccz .LBB61_30
; %bb.25:
	s_mov_b32 s25, s24
	s_mov_b32 s26, s24
	;; [unrolled: 1-line block ×3, first 2 shown]
	v_mov_b64_e32 v[6:7], s[24:25]
	v_mov_b64_e32 v[8:9], s[26:27]
	;; [unrolled: 1-line block ×3, first 2 shown]
	v_cmp_gt_i32_e32 vcc, s45, v19
	v_mov_b64_e32 v[4:5], v[8:9]
	s_and_saveexec_b64 s[2:3], vcc
	s_cbranch_execz .LBB61_27
; %bb.26:
	v_lshlrev_b32_e32 v2, 8, v19
	v_mov_b32_e32 v3, 0
	v_lshl_add_u64 v[4:5], s[0:1], 0, v[2:3]
	v_lshlrev_b32_e32 v2, 1, v20
	v_lshl_add_u64 v[10:11], v[4:5], 0, v[2:3]
	global_load_dwordx4 v[6:9], v[10:11], off
	global_load_dwordx4 v[2:5], v[10:11], off offset:128
.LBB61_27:
	s_or_b64 exec, exec, s[2:3]
	s_mov_b32 s25, s24
	s_mov_b32 s26, s24
	;; [unrolled: 1-line block ×3, first 2 shown]
	v_mov_b64_e32 v[14:15], s[24:25]
	v_mov_b64_e32 v[16:17], s[26:27]
	;; [unrolled: 1-line block ×3, first 2 shown]
	v_cmp_gt_i32_e32 vcc, s45, v22
	v_lshlrev_b32_e32 v23, 7, v22
	v_mov_b64_e32 v[12:13], v[16:17]
	s_and_saveexec_b64 s[2:3], vcc
	s_cbranch_execz .LBB61_29
; %bb.28:
	v_lshlrev_b32_e32 v10, 1, v23
	v_mov_b32_e32 v11, 0
	v_lshl_add_u64 v[12:13], s[0:1], 0, v[10:11]
	v_lshlrev_b32_e32 v10, 1, v20
	v_lshl_add_u64 v[28:29], v[12:13], 0, v[10:11]
	global_load_dwordx4 v[14:17], v[28:29], off
	global_load_dwordx4 v[10:13], v[28:29], off offset:128
.LBB61_29:
	s_or_b64 exec, exec, s[2:3]
	v_lshrrev_b32_e32 v27, 3, v20
	v_lshlrev_b32_e32 v28, 3, v19
	v_or_b32_e32 v27, v28, v27
	v_lshlrev_b32_e32 v27, 4, v27
	v_and_b32_e32 v28, 0x78, v28
	v_xor_b32_e32 v27, v27, v28
	s_branch .LBB61_32
.LBB61_30:
                                        ; implicit-def: $vgpr27
                                        ; implicit-def: $vgpr23
                                        ; implicit-def: $vgpr6_vgpr7_vgpr8_vgpr9
                                        ; implicit-def: $vgpr2_vgpr3_vgpr4_vgpr5
                                        ; implicit-def: $vgpr14_vgpr15_vgpr16_vgpr17
                                        ; implicit-def: $vgpr10_vgpr11_vgpr12_vgpr13
	s_cbranch_execz .LBB61_32
; %bb.31:
	s_waitcnt vmcnt(0)
	v_lshlrev_b32_e32 v2, 1, v20
	v_lshl_or_b32 v23, v19, 8, v2
	s_and_b32 s1, s1, 0xffff
	s_mov_b32 s3, 0x20000
	s_movk_i32 s2, 0x4000
	v_lshl_or_b32 v27, v22, 8, v2
	s_movk_i32 s12, 0x80
	buffer_load_dwordx4 v[6:9], v23, s[0:3], 0 offen
	buffer_load_dwordx4 v[2:5], v23, s[0:3], s12 offen
	;; [unrolled: 1-line block ×4, first 2 shown]
	v_lshrrev_b32_e32 v23, 3, v20
	v_lshlrev_b32_e32 v27, 3, v19
	v_or_b32_e32 v23, v27, v23
	v_lshlrev_b32_e32 v23, 4, v23
	v_and_b32_e32 v27, 0x78, v27
	v_xor_b32_e32 v27, v23, v27
	v_lshlrev_b32_e32 v23, 7, v22
.LBB61_32:
	s_movk_i32 s0, 0x1000
	v_and_or_b32 v22, v23, s0, v27
	s_waitcnt vmcnt(1)
	ds_write_b64 v27, v[6:7] offset:49152
	v_xor_b32_e32 v6, 8, v27
	ds_write_b64 v6, v[8:9] offset:49152
	s_waitcnt vmcnt(0)
	ds_write_b64 v27, v[2:3] offset:57344
	ds_write_b64 v6, v[4:5] offset:57344
	;; [unrolled: 1-line block ×3, first 2 shown]
	v_xor_b32_e32 v2, 8, v22
	ds_write_b64 v2, v[16:17] offset:49152
	ds_write_b64 v22, v[10:11] offset:57344
	;; [unrolled: 1-line block ×3, first 2 shown]
	v_or_b32_e32 v2, v75, v78
	v_lshlrev_b32_e32 v2, 3, v2
	v_lshrrev_b32_e32 v3, 5, v76
	s_movk_i32 s0, 0xf8
	v_and_or_b32 v3, v2, s0, v3
	v_lshlrev_b32_e32 v7, 4, v3
	v_lshlrev_b32_e32 v27, 11, v74
	v_and_b32_e32 v8, 0x78, v2
	v_or_b32_e32 v10, 32, v7
	v_and_b32_e32 v6, 0x1000, v27
	v_lshrrev_b32_e32 v3, 1, v76
	v_xor_b32_e32 v10, v10, v8
	v_xor_b32_e32 v2, v7, v8
	v_and_b32_e32 v9, 8, v3
	v_or_b32_e32 v10, v10, v6
	v_or_b32_e32 v2, v2, v6
	v_xor_b32_e32 v33, v10, v9
	v_or_b32_e32 v10, 64, v7
	v_xor_b32_e32 v32, v2, v9
	v_xor_b32_e32 v10, v10, v8
	s_waitcnt lgkmcnt(0)
	s_barrier
	v_or_b32_e32 v13, v10, v6
	ds_read_b64 v[10:11], v32 offset:49152
	v_lshl_or_b32 v14, v77, 8, v26
	v_lshlrev_b32_e32 v28, 1, v14
	v_add_u32_e32 v12, 0x4000, v28
	ds_read2_b64 v[2:5], v12 offset1:16
	v_or_b32_e32 v7, 0x60, v7
	v_xor_b32_e32 v7, v7, v8
	v_or_b32_e32 v6, v7, v6
	v_xor_b32_e32 v66, v13, v9
	v_xor_b32_e32 v67, v6, v9
	ds_read_b64 v[22:23], v33 offset:49152
	ds_read_b64 v[68:69], v66 offset:49152
	;; [unrolled: 1-line block ×3, first 2 shown]
	s_waitcnt lgkmcnt(3)
	v_mfma_f32_16x16x16_bf16 a[0:3], v[10:11], v[2:3], 0
	ds_read2_b64 v[6:9], v12 offset0:32 offset1:48
	s_lshl_b64 s[0:1], s[42:43], 8
	s_add_u32 s4, s4, s0
	v_mfma_f32_16x16x16_bf16 a[4:7], v[10:11], v[4:5], 0
	ds_read2st64_b64 v[2:5], v28 offset0:36 offset1:40
	s_addc_u32 s5, s5, s1
	s_add_i32 s2, s16, -1
	s_waitcnt lgkmcnt(1)
	v_mfma_f32_16x16x16_bf16 a[8:11], v[10:11], v[6:7], 0
	v_or_b32_e32 v6, 64, v14
	v_lshlrev_b32_e32 v29, 1, v6
	s_add_i32 s0, s46, s21
	s_waitcnt lgkmcnt(0)
	v_mfma_f32_16x16x16_bf16 a[0:3], v[22:23], v[2:3], a[0:3]
	v_or_b32_e32 v2, 0x80, v14
	v_lshlrev_b32_e32 v30, 1, v2
	v_or_b32_e32 v2, 0xc0, v14
	v_mfma_f32_16x16x16_bf16 a[12:15], v[10:11], v[8:9], 0
	ds_read2st64_b64 v[6:9], v29 offset0:36 offset1:40
	v_lshlrev_b32_e32 v31, 1, v2
	ds_read2st64_b64 v[10:13], v30 offset0:36 offset1:40
	ds_read2st64_b64 v[14:17], v31 offset0:36 offset1:40
	s_mul_i32 s39, s39, s20
	s_add_i32 s39, s0, s39
	s_mul_i32 s0, s33, s23
	s_mul_hi_u32 s1, s33, s22
	s_ashr_i32 s3, s2, 31
	s_mul_i32 s12, s2, s37
	s_mul_hi_u32 s13, s2, s36
	s_waitcnt lgkmcnt(2)
	v_mfma_f32_16x16x16_bf16 a[4:7], v[22:23], v[6:7], a[4:7]
	s_add_i32 s0, s1, s0
	s_mul_i32 s1, s18, s22
	s_add_i32 s12, s13, s12
	s_mul_i32 s3, s3, s36
	s_waitcnt lgkmcnt(1)
	v_mfma_f32_16x16x16_bf16 a[8:11], v[22:23], v[10:11], a[8:11]
	s_add_i32 s1, s0, s1
	s_add_i32 s3, s12, s3
	s_lshl_b64 s[12:13], s[38:39], 2
	s_waitcnt lgkmcnt(0)
	v_mfma_f32_16x16x16_bf16 a[12:15], v[22:23], v[14:15], a[12:15]
	s_mul_i32 s0, s33, s22
	s_add_u32 s10, s10, s12
	s_addc_u32 s11, s11, s13
	s_lshl_b64 s[0:1], s[0:1], 2
	v_mfma_f32_16x16x16_bf16 a[0:3], v[68:69], v[4:5], a[0:3]
	s_mul_i32 s2, s2, s36
	ds_read_b64 v[2:3], v28 offset:22528
	s_add_u32 s10, s10, s0
	v_mfma_f32_16x16x16_bf16 a[4:7], v[68:69], v[8:9], a[4:7]
	ds_read_b64 v[4:5], v29 offset:22528
	ds_read_b64 v[6:7], v30 offset:22528
	ds_read_b64 v[8:9], v31 offset:22528
	s_addc_u32 s11, s11, s1
	s_lshl_b64 s[0:1], s[2:3], 2
	v_mfma_f32_16x16x16_bf16 a[8:11], v[68:69], v[12:13], a[8:11]
	s_add_u32 s0, s10, s0
	s_addc_u32 s1, s11, s1
	s_load_dword s12, s[0:1], 0x0
	v_mfma_f32_16x16x16_bf16 a[12:15], v[68:69], v[16:17], a[12:15]
	s_and_b64 vcc, exec, s[40:41]
	s_waitcnt lgkmcnt(0)
	v_mfma_f32_16x16x16_bf16 a[0:3], v[70:71], v[2:3], a[0:3]
	v_mfma_f32_16x16x16_bf16 a[4:7], v[70:71], v[4:5], a[4:7]
	;; [unrolled: 1-line block ×4, first 2 shown]
	s_cbranch_vccz .LBB61_43
; %bb.33:
	v_lshlrev_b32_e32 v22, 1, v19
	s_and_b64 vcc, exec, s[6:7]
	s_cbranch_vccz .LBB61_44
; %bb.34:
	v_cmp_gt_i32_e32 vcc, s45, v22
	v_mov_b32_e32 v6, 0
	v_mov_b32_e32 v2, 0
	v_mov_b32_e32 v3, 0
	v_mov_b32_e32 v4, 0
	v_mov_b32_e32 v5, 0
	s_and_saveexec_b64 s[0:1], vcc
	s_cbranch_execz .LBB61_36
; %bb.35:
	v_mad_i64_i32 v[2:3], s[2:3], s19, v22, 0
	v_lshl_add_u64 v[2:3], v[2:3], 1, s[4:5]
	v_lshlrev_b32_e32 v4, 1, v20
	v_mov_b32_e32 v5, 0
	v_lshl_add_u64 v[2:3], v[2:3], 0, v[4:5]
	global_load_dwordx4 v[2:5], v[2:3], off
.LBB61_36:
	s_or_b64 exec, exec, s[0:1]
	v_or_b32_e32 v23, 1, v22
	v_cmp_gt_i32_e64 s[0:1], s45, v23
	v_mov_b32_e32 v7, 0
	v_mov_b32_e32 v8, 0
	;; [unrolled: 1-line block ×3, first 2 shown]
	s_and_saveexec_b64 s[2:3], s[0:1]
	s_cbranch_execz .LBB61_38
; %bb.37:
	v_mad_i64_i32 v[6:7], s[16:17], s19, v23, 0
	v_lshl_add_u64 v[6:7], v[6:7], 1, s[4:5]
	v_lshlrev_b32_e32 v8, 1, v20
	v_mov_b32_e32 v9, 0
	v_lshl_add_u64 v[6:7], v[6:7], 0, v[8:9]
	global_load_dwordx4 v[6:9], v[6:7], off
.LBB61_38:
	s_or_b64 exec, exec, s[2:3]
	v_mov_b32_e32 v17, 0
	v_mov_b32_e32 v10, 0
	;; [unrolled: 1-line block ×5, first 2 shown]
	s_and_saveexec_b64 s[2:3], vcc
	s_cbranch_execz .LBB61_40
; %bb.39:
	v_mad_i64_i32 v[10:11], s[16:17], s19, v22, 0
	v_lshl_add_u64 v[10:11], v[10:11], 1, s[4:5]
	v_lshlrev_b32_e32 v12, 1, v20
	v_mov_b32_e32 v13, 0
	v_lshl_add_u64 v[10:11], v[10:11], 0, v[12:13]
	global_load_dwordx4 v[10:13], v[10:11], off offset:128
.LBB61_40:
	s_or_b64 exec, exec, s[2:3]
	v_mov_b32_e32 v16, 0
	v_mov_b32_e32 v15, 0
	;; [unrolled: 1-line block ×3, first 2 shown]
	s_and_saveexec_b64 s[2:3], s[0:1]
	s_cbranch_execz .LBB61_42
; %bb.41:
	v_mad_i64_i32 v[14:15], s[0:1], s19, v23, 0
	v_lshl_add_u64 v[14:15], v[14:15], 1, s[4:5]
	v_lshlrev_b32_e32 v16, 1, v20
	v_mov_b32_e32 v17, 0
	v_lshl_add_u64 v[14:15], v[14:15], 0, v[16:17]
	global_load_dwordx4 v[14:17], v[14:15], off offset:128
.LBB61_42:
	s_or_b64 exec, exec, s[2:3]
	s_branch .LBB61_46
.LBB61_43:
                                        ; implicit-def: $vgpr5
                                        ; implicit-def: $vgpr9
                                        ; implicit-def: $vgpr13
                                        ; implicit-def: $vgpr17
	v_lshrrev_b32_e32 v68, 2, v76
	s_branch .LBB61_47
.LBB61_44:
                                        ; implicit-def: $vgpr5
                                        ; implicit-def: $vgpr9
                                        ; implicit-def: $vgpr13
                                        ; implicit-def: $vgpr17
	s_cbranch_execz .LBB61_46
; %bb.45:
	s_waitcnt vmcnt(0)
	v_mad_u64_u32 v[2:3], s[0:1], v22, s19, v[20:21]
	v_lshlrev_b32_e32 v22, 1, v2
	s_lshl_b32 s2, s19, 7
	s_and_b32 s1, s5, 0xffff
	s_mov_b32 s3, 0x20000
	s_mov_b32 s0, s4
	v_add_lshl_u32 v23, v2, s19, 1
	s_movk_i32 s13, 0x80
	buffer_load_dwordx4 v[2:5], v22, s[0:3], 0 offen
	buffer_load_dwordx4 v[10:13], v22, s[0:3], s13 offen
	;; [unrolled: 1-line block ×4, first 2 shown]
.LBB61_46:
	v_lshrrev_b32_e32 v68, 2, v76
	s_cbranch_execnz .LBB61_59
.LBB61_47:
	s_and_b64 vcc, exec, s[6:7]
	s_cbranch_vccz .LBB61_57
; %bb.48:
	s_waitcnt vmcnt(0)
	v_lshlrev_b32_e32 v7, 1, v19
	v_cmp_gt_i32_e32 vcc, s45, v7
	v_mov_b32_e32 v6, 0
	v_lshlrev_b32_e32 v14, 9, v19
	v_mov_b32_e32 v2, 0
	v_mov_b32_e32 v3, 0
	;; [unrolled: 1-line block ×4, first 2 shown]
	s_and_saveexec_b64 s[0:1], vcc
	s_cbranch_execz .LBB61_50
; %bb.49:
	v_mov_b32_e32 v15, 0
	v_lshl_add_u64 v[2:3], s[4:5], 0, v[14:15]
	v_lshlrev_b32_e32 v4, 1, v20
	v_mov_b32_e32 v5, v15
	v_lshl_add_u64 v[2:3], v[2:3], 0, v[4:5]
	global_load_dwordx4 v[2:5], v[2:3], off
.LBB61_50:
	s_or_b64 exec, exec, s[0:1]
	v_or_b32_e32 v7, 1, v7
	v_cmp_gt_i32_e64 s[0:1], s45, v7
	v_lshlrev_b32_e32 v22, 8, v7
	v_mov_b32_e32 v7, 0
	v_mov_b32_e32 v8, 0
	;; [unrolled: 1-line block ×3, first 2 shown]
	s_and_saveexec_b64 s[2:3], s[0:1]
	s_cbranch_execz .LBB61_52
; %bb.51:
	v_mov_b32_e32 v23, 0
	v_lshl_add_u64 v[6:7], s[4:5], 0, v[22:23]
	v_lshlrev_b32_e32 v8, 1, v20
	v_mov_b32_e32 v9, v23
	v_lshl_add_u64 v[6:7], v[6:7], 0, v[8:9]
	global_load_dwordx4 v[6:9], v[6:7], off
.LBB61_52:
	s_or_b64 exec, exec, s[2:3]
	v_mov_b32_e32 v17, 0
	v_mov_b32_e32 v10, 0
	;; [unrolled: 1-line block ×5, first 2 shown]
	s_and_saveexec_b64 s[2:3], vcc
	s_cbranch_execz .LBB61_54
; %bb.53:
	v_mov_b32_e32 v15, 0
	v_lshl_add_u64 v[10:11], s[4:5], 0, v[14:15]
	v_lshlrev_b32_e32 v14, 1, v20
	v_lshl_add_u64 v[10:11], v[10:11], 0, v[14:15]
	global_load_dwordx4 v[10:13], v[10:11], off offset:128
.LBB61_54:
	s_or_b64 exec, exec, s[2:3]
	v_mov_b32_e32 v16, 0
	v_mov_b32_e32 v15, 0
	;; [unrolled: 1-line block ×3, first 2 shown]
	s_and_saveexec_b64 s[2:3], s[0:1]
	s_cbranch_execz .LBB61_56
; %bb.55:
	v_mov_b32_e32 v23, 0
	v_lshl_add_u64 v[14:15], s[4:5], 0, v[22:23]
	v_lshlrev_b32_e32 v22, 1, v20
	v_lshl_add_u64 v[14:15], v[14:15], 0, v[22:23]
	global_load_dwordx4 v[14:17], v[14:15], off offset:128
.LBB61_56:
	s_or_b64 exec, exec, s[2:3]
	s_branch .LBB61_59
.LBB61_57:
                                        ; implicit-def: $vgpr5
                                        ; implicit-def: $vgpr9
                                        ; implicit-def: $vgpr13
                                        ; implicit-def: $vgpr17
	s_cbranch_execz .LBB61_59
; %bb.58:
	s_waitcnt vmcnt(0)
	v_lshlrev_b32_e32 v2, 1, v20
	v_lshl_or_b32 v20, v19, 9, v2
	s_and_b32 s5, s5, 0xffff
	s_mov_b32 s7, 0x20000
	s_movk_i32 s6, 0x4000
	s_movk_i32 s0, 0x80
	buffer_load_dwordx4 v[2:5], v20, s[4:7], 0 offen
	buffer_load_dwordx4 v[6:9], v20, s[4:7], 0 offen offset:256
	buffer_load_dwordx4 v[10:13], v20, s[4:7], s0 offen
	buffer_load_dwordx4 v[14:17], v20, s[4:7], s0 offen offset:256
.LBB61_59:
	ds_read_b64 v[22:23], v32 offset:57344
	v_add_u32_e32 v20, 0x6000, v28
	ds_read2_b64 v[70:73], v20 offset1:16
	ds_read_b64 v[32:33], v33 offset:57344
	ds_read_b64 v[88:89], v66 offset:57344
	;; [unrolled: 1-line block ×3, first 2 shown]
	ds_read2st64_b64 v[76:79], v28 offset0:52 offset1:56
	v_and_b32_e32 v69, 1, v0
	v_cmp_eq_u32_e32 vcc, 0, v69
	s_mov_b32 s0, 0x1000504
	s_mov_b32 s1, 0x3020706
	s_waitcnt lgkmcnt(4)
	v_mfma_f32_16x16x16_bf16 a[0:3], v[22:23], v[70:71], a[0:3]
	v_mfma_f32_16x16x16_bf16 a[4:7], v[22:23], v[72:73], a[4:7]
	ds_read2_b64 v[70:73], v20 offset0:32 offset1:48
	v_and_b32_e32 v20, 6, v0
	v_xor_b32_e32 v19, v19, v20
	s_waitcnt lgkmcnt(0)
	v_mfma_f32_16x16x16_bf16 a[8:11], v[22:23], v[70:71], a[8:11]
	v_lshlrev_b32_e32 v19, 2, v19
	v_mfma_f32_16x16x16_bf16 a[12:15], v[22:23], v[72:73], a[12:15]
	ds_read2st64_b64 v[70:73], v29 offset0:52 offset1:56
	ds_read2st64_b64 v[80:83], v30 offset0:52 offset1:56
	;; [unrolled: 1-line block ×3, first 2 shown]
	s_waitcnt lgkmcnt(2)
	v_mfma_f32_16x16x16_bf16 a[4:7], v[32:33], v[70:71], a[4:7]
	v_xor_b32_e32 v70, 0x440, v19
	v_cndmask_b32_e32 v19, v70, v19, vcc
	v_lshl_or_b32 v19, v20, 10, v19
	v_mfma_f32_16x16x16_bf16 a[0:3], v[32:33], v[76:77], a[0:3]
	s_waitcnt vmcnt(0)
	v_perm_b32 v20, v2, v6, s0
	ds_read_b64 v[22:23], v28 offset:30720
	ds_read_b64 v[76:77], v29 offset:30720
	;; [unrolled: 1-line block ×4, first 2 shown]
	v_perm_b32 v2, v2, v6, s1
	s_waitcnt lgkmcnt(5)
	v_mfma_f32_16x16x16_bf16 a[8:11], v[32:33], v[80:81], a[8:11]
	v_perm_b32 v6, v10, v14, s1
	s_waitcnt lgkmcnt(4)
	v_mfma_f32_16x16x16_bf16 a[12:15], v[32:33], v[84:85], a[12:15]
	v_perm_b32 v32, v10, v14, s0
	ds_write2st64_b32 v19, v20, v32 offset0:128 offset1:160
	v_xor_b32_e32 v20, 8, v19
	v_add_u32_e32 v10, 0x80, v20
	ds_write2st64_b32 v10, v2, v6 offset0:128 offset1:160
	v_xor_b32_e32 v2, 16, v19
	v_perm_b32 v6, v3, v7, s0
	v_perm_b32 v10, v11, v15, s0
	v_mfma_f32_16x16x16_bf16 a[0:3], v[88:89], v[78:79], a[0:3]
	ds_write2st64_b32 v2, v6, v10 offset0:129 offset1:161
	v_xor_b32_e32 v2, 24, v19
	v_perm_b32 v3, v3, v7, s1
	v_mfma_f32_16x16x16_bf16 a[4:7], v[88:89], v[72:73], a[4:7]
	v_perm_b32 v6, v11, v15, s1
	v_add_u32_e32 v2, 0x80, v2
	ds_write2st64_b32 v2, v3, v6 offset0:129 offset1:161
	v_mfma_f32_16x16x16_bf16 a[16:19], v[88:89], v[82:83], a[8:11]
	v_xor_b32_e32 v2, 32, v19
	v_perm_b32 v3, v4, v8, s0
	v_perm_b32 v6, v12, v16, s0
	v_mfma_f32_16x16x16_bf16 a[20:23], v[88:89], v[86:87], a[12:15]
	ds_write2st64_b32 v2, v3, v6 offset0:130 offset1:162
	v_xor_b32_e32 v2, 40, v19
	v_perm_b32 v3, v4, v8, s1
	s_waitcnt lgkmcnt(8)
	v_mfma_f32_16x16x16_bf16 a[12:15], v[66:67], v[22:23], a[0:3]
	v_perm_b32 v4, v12, v16, s1
	v_add_u32_e32 v2, 0x80, v2
	ds_write2st64_b32 v2, v3, v4 offset0:130 offset1:162
	s_waitcnt lgkmcnt(8)
	v_mfma_f32_16x16x16_bf16 a[8:11], v[66:67], v[76:77], a[4:7]
	v_xor_b32_e32 v2, 48, v19
	v_perm_b32 v3, v5, v9, s0
	v_perm_b32 v4, v13, v17, s0
	s_waitcnt lgkmcnt(7)
	v_mfma_f32_16x16x16_bf16 a[4:7], v[66:67], v[90:91], a[16:19]
	ds_write2st64_b32 v2, v3, v4 offset0:131 offset1:163
	v_xor_b32_e32 v2, 56, v19
	v_and_or_b32 v33, v68, 12, v75
	s_waitcnt lgkmcnt(7)
	v_mfma_f32_16x16x16_bf16 a[0:3], v[66:67], v[92:93], a[20:23]
	v_perm_b32 v3, v5, v9, s1
	v_perm_b32 v4, v13, v17, s1
	v_add_u32_e32 v2, 0x80, v2
	v_cmp_gt_i32_e64 s[0:1], s45, v33
	v_mov_b32_e32 v22, 0
	v_mov_b32_e32 v23, 0
	ds_write2st64_b32 v2, v3, v4 offset0:131 offset1:163
	s_and_saveexec_b64 s[2:3], s[0:1]
	s_cbranch_execz .LBB61_61
; %bb.60:
	v_add_u32_e32 v2, s44, v33
	v_ashrrev_i32_e32 v3, 31, v2
	v_mul_lo_u32 v4, v3, s36
	v_mul_lo_u32 v5, v2, s37
	v_mad_u64_u32 v[2:3], s[4:5], v2, s36, 0
	v_add3_u32 v3, v3, v5, v4
	v_lshl_add_u64 v[2:3], v[2:3], 2, s[10:11]
	global_load_dword v2, v[2:3], off
	s_waitcnt vmcnt(0)
	v_sub_f32_e32 v2, s12, v2
	v_exp_f32_e32 v23, v2
.LBB61_61:
	s_or_b64 exec, exec, s[2:3]
	v_or_b32_e32 v14, 1, v33
	v_cmp_gt_i32_e64 s[4:5], s45, v14
	s_and_saveexec_b64 s[2:3], s[4:5]
	s_cbranch_execz .LBB61_63
; %bb.62:
	v_add_u32_e32 v2, s44, v14
	v_ashrrev_i32_e32 v3, 31, v2
	v_mul_lo_u32 v4, v3, s36
	v_mul_lo_u32 v5, v2, s37
	v_mad_u64_u32 v[2:3], s[6:7], v2, s36, 0
	v_add3_u32 v3, v3, v5, v4
	v_lshl_add_u64 v[2:3], v[2:3], 2, s[10:11]
	global_load_dword v2, v[2:3], off
	s_waitcnt vmcnt(0)
	v_sub_f32_e32 v2, s12, v2
	v_exp_f32_e32 v22, v2
.LBB61_63:
	s_or_b64 exec, exec, s[2:3]
	v_or_b32_e32 v10, 2, v33
	v_cmp_gt_i32_e64 s[2:3], s45, v10
	v_mov_b32_e32 v20, 0
	v_mov_b32_e32 v32, 0
	s_and_saveexec_b64 s[6:7], s[2:3]
	s_cbranch_execz .LBB61_65
; %bb.64:
	v_add_u32_e32 v2, s44, v10
	v_ashrrev_i32_e32 v3, 31, v2
	v_mul_lo_u32 v4, v3, s36
	v_mul_lo_u32 v5, v2, s37
	v_mad_u64_u32 v[2:3], s[16:17], v2, s36, 0
	v_add3_u32 v3, v3, v5, v4
	v_lshl_add_u64 v[2:3], v[2:3], 2, s[10:11]
	global_load_dword v2, v[2:3], off
	s_waitcnt vmcnt(0)
	v_sub_f32_e32 v2, s12, v2
	v_exp_f32_e32 v32, v2
.LBB61_65:
	s_or_b64 exec, exec, s[6:7]
	v_or_b32_e32 v11, 3, v33
	v_cmp_gt_i32_e32 vcc, s45, v11
	s_and_saveexec_b64 s[6:7], vcc
	s_cbranch_execz .LBB61_67
; %bb.66:
	v_add_u32_e32 v2, s44, v11
	v_ashrrev_i32_e32 v3, 31, v2
	v_mul_lo_u32 v4, v3, s36
	v_mul_lo_u32 v5, v2, s37
	v_mad_u64_u32 v[2:3], s[16:17], v2, s36, 0
	v_add3_u32 v3, v3, v5, v4
	v_lshl_add_u64 v[2:3], v[2:3], 2, s[10:11]
	global_load_dword v2, v[2:3], off
	s_waitcnt vmcnt(0)
	v_sub_f32_e32 v2, s12, v2
	v_exp_f32_e32 v20, v2
.LBB61_67:
	s_or_b64 exec, exec, s[6:7]
	s_add_u32 s6, s8, s30
	s_addc_u32 s7, s9, s31
	s_add_u32 s8, s14, s30
	v_ashrrev_i32_e32 v19, 31, v18
	v_accvgpr_read_b32 v2, a12
	s_addc_u32 s9, s15, s31
	v_lshlrev_b64 v[6:7], 1, v[18:19]
	v_accvgpr_read_b32 v3, a13
	v_accvgpr_read_b32 v4, a14
	;; [unrolled: 1-line block ×3, first 2 shown]
	v_lshl_add_u64 v[8:9], s[6:7], 0, v[6:7]
	v_lshl_add_u64 v[6:7], s[8:9], 0, v[6:7]
	v_mov_b32_e32 v15, 0
	v_lshlrev_b32_e32 v12, 8, v33
	v_mov_b32_e32 v13, 0
	s_and_saveexec_b64 s[6:7], s[0:1]
	s_cbranch_execz .LBB61_69
; %bb.68:
	v_mov_b32_e32 v13, 0
	v_lshl_add_u64 v[16:17], v[8:9], 0, v[12:13]
	global_load_ushort v19, v[16:17], off
	v_lshl_add_u64 v[16:17], v[6:7], 0, v[12:13]
	s_waitcnt vmcnt(0)
	v_lshlrev_b32_e32 v13, 16, v19
	v_sub_f32_e32 v2, v13, v2
	global_store_short_d16_hi v[16:17], v2, off
	v_mul_f32_e32 v2, v23, v2
	v_lshrrev_b32_e32 v13, 16, v2
.LBB61_69:
	s_or_b64 exec, exec, s[6:7]
	v_lshlrev_b32_e32 v14, 8, v14
	s_and_saveexec_b64 s[6:7], s[4:5]
	s_cbranch_execz .LBB61_71
; %bb.70:
	v_mov_b32_e32 v15, 0
	v_lshl_add_u64 v[16:17], v[8:9], 0, v[14:15]
	global_load_ushort v2, v[16:17], off
	v_lshl_add_u64 v[16:17], v[6:7], 0, v[14:15]
	s_waitcnt vmcnt(0)
	v_lshlrev_b32_e32 v2, 16, v2
	v_sub_f32_e32 v2, v2, v3
	global_store_short_d16_hi v[16:17], v2, off
	v_mul_f32_e32 v2, v22, v2
	v_lshrrev_b32_e32 v15, 16, v2
.LBB61_71:
	s_or_b64 exec, exec, s[6:7]
	v_mov_b32_e32 v66, 0
	v_lshlrev_b32_e32 v16, 8, v10
	v_mov_b32_e32 v17, 0
	s_and_saveexec_b64 s[6:7], s[2:3]
	s_cbranch_execz .LBB61_73
; %bb.72:
	v_mov_b32_e32 v17, 0
	v_lshl_add_u64 v[2:3], v[8:9], 0, v[16:17]
	global_load_ushort v10, v[2:3], off
	v_lshl_add_u64 v[2:3], v[6:7], 0, v[16:17]
	s_waitcnt vmcnt(0)
	v_lshlrev_b32_e32 v10, 16, v10
	v_sub_f32_e32 v4, v10, v4
	global_store_short_d16_hi v[2:3], v4, off
	v_mul_f32_e32 v2, v32, v4
	v_lshrrev_b32_e32 v17, 16, v2
.LBB61_73:
	s_or_b64 exec, exec, s[6:7]
	v_lshlrev_b32_e32 v10, 8, v11
	s_and_saveexec_b64 s[6:7], vcc
	s_cbranch_execz .LBB61_75
; %bb.74:
	v_mov_b32_e32 v11, 0
	v_lshl_add_u64 v[2:3], v[8:9], 0, v[10:11]
	global_load_ushort v4, v[2:3], off
	v_lshl_add_u64 v[2:3], v[6:7], 0, v[10:11]
	s_waitcnt vmcnt(0)
	v_lshlrev_b32_e32 v4, 16, v4
	v_sub_f32_e32 v4, v4, v5
	global_store_short_d16_hi v[2:3], v4, off
	v_mul_f32_e32 v2, v20, v4
	v_lshrrev_b32_e32 v66, 16, v2
.LBB61_75:
	s_or_b64 exec, exec, s[6:7]
	v_lshlrev_b32_e32 v19, 6, v33
	v_accvgpr_read_b32 v2, a8
	s_mov_b32 s6, 0x5040100
	v_or_b32_e32 v11, v19, v26
	v_accvgpr_read_b32 v3, a9
	v_accvgpr_read_b32 v4, a10
	;; [unrolled: 1-line block ×3, first 2 shown]
	v_perm_b32 v67, v66, v17, s6
	v_perm_b32 v66, v15, v13, s6
	v_lshlrev_b32_e32 v11, 1, v11
	v_mov_b32_e32 v15, 0
	v_mov_b32_e32 v13, 0
	ds_write_b64 v11, v[66:67] offset:24576
	s_and_saveexec_b64 s[6:7], s[0:1]
	s_cbranch_execz .LBB61_77
; %bb.76:
	v_mov_b32_e32 v13, 0
	v_lshl_add_u64 v[66:67], v[8:9], 0, v[12:13]
	global_load_ushort v11, v[66:67], off offset:32
	v_lshl_add_u64 v[66:67], v[6:7], 0, v[12:13]
	s_waitcnt vmcnt(0)
	v_lshlrev_b32_e32 v11, 16, v11
	v_sub_f32_e32 v2, v11, v2
	global_store_short_d16_hi v[66:67], v2, off offset:32
	v_mul_f32_e32 v2, v23, v2
	v_lshrrev_b32_e32 v13, 16, v2
.LBB61_77:
	s_or_b64 exec, exec, s[6:7]
	s_and_saveexec_b64 s[6:7], s[4:5]
	s_cbranch_execz .LBB61_79
; %bb.78:
	v_mov_b32_e32 v15, 0
	v_lshl_add_u64 v[66:67], v[8:9], 0, v[14:15]
	global_load_ushort v2, v[66:67], off offset:32
	v_lshl_add_u64 v[66:67], v[6:7], 0, v[14:15]
	s_waitcnt vmcnt(0)
	v_lshlrev_b32_e32 v2, 16, v2
	v_sub_f32_e32 v2, v2, v3
	global_store_short_d16_hi v[66:67], v2, off offset:32
	v_mul_f32_e32 v2, v22, v2
	v_lshrrev_b32_e32 v15, 16, v2
.LBB61_79:
	s_or_b64 exec, exec, s[6:7]
	v_mov_b32_e32 v11, 0
	v_mov_b32_e32 v17, 0
	s_and_saveexec_b64 s[6:7], s[2:3]
	s_cbranch_execz .LBB61_81
; %bb.80:
	v_mov_b32_e32 v17, 0
	v_lshl_add_u64 v[2:3], v[8:9], 0, v[16:17]
	global_load_ushort v26, v[2:3], off offset:32
	v_lshl_add_u64 v[2:3], v[6:7], 0, v[16:17]
	s_waitcnt vmcnt(0)
	v_lshlrev_b32_e32 v17, 16, v26
	v_sub_f32_e32 v4, v17, v4
	global_store_short_d16_hi v[2:3], v4, off offset:32
	v_mul_f32_e32 v2, v32, v4
	v_lshrrev_b32_e32 v17, 16, v2
.LBB61_81:
	s_or_b64 exec, exec, s[6:7]
	s_and_saveexec_b64 s[6:7], vcc
	s_cbranch_execz .LBB61_83
; %bb.82:
	v_mov_b32_e32 v11, 0
	v_lshl_add_u64 v[2:3], v[8:9], 0, v[10:11]
	global_load_ushort v4, v[2:3], off offset:32
	v_lshl_add_u64 v[2:3], v[6:7], 0, v[10:11]
	s_waitcnt vmcnt(0)
	v_lshlrev_b32_e32 v4, 16, v4
	v_sub_f32_e32 v4, v4, v5
	global_store_short_d16_hi v[2:3], v4, off offset:32
	v_mul_f32_e32 v2, v20, v4
	v_lshrrev_b32_e32 v11, 16, v2
.LBB61_83:
	s_or_b64 exec, exec, s[6:7]
	s_mov_b32 s6, 0x5040100
	v_accvgpr_read_b32 v2, a4
	v_perm_b32 v67, v11, v17, s6
	v_or_b32_e32 v11, v19, v25
	v_accvgpr_read_b32 v3, a5
	v_accvgpr_read_b32 v4, a6
	;; [unrolled: 1-line block ×3, first 2 shown]
	v_perm_b32 v66, v15, v13, s6
	v_lshlrev_b32_e32 v11, 1, v11
	v_mov_b32_e32 v15, 0
	v_mov_b32_e32 v13, 0
	ds_write_b64 v11, v[66:67] offset:24576
	s_and_saveexec_b64 s[6:7], s[0:1]
	s_cbranch_execz .LBB61_85
; %bb.84:
	v_mov_b32_e32 v13, 0
	v_lshl_add_u64 v[66:67], v[8:9], 0, v[12:13]
	global_load_ushort v11, v[66:67], off offset:64
	v_lshl_add_u64 v[66:67], v[6:7], 0, v[12:13]
	s_waitcnt vmcnt(0)
	v_lshlrev_b32_e32 v11, 16, v11
	v_sub_f32_e32 v2, v11, v2
	global_store_short_d16_hi v[66:67], v2, off offset:64
	v_mul_f32_e32 v2, v23, v2
	v_lshrrev_b32_e32 v13, 16, v2
.LBB61_85:
	s_or_b64 exec, exec, s[6:7]
	s_and_saveexec_b64 s[6:7], s[4:5]
	s_cbranch_execz .LBB61_87
; %bb.86:
	v_mov_b32_e32 v15, 0
	v_lshl_add_u64 v[66:67], v[8:9], 0, v[14:15]
	global_load_ushort v2, v[66:67], off offset:64
	v_lshl_add_u64 v[66:67], v[6:7], 0, v[14:15]
	s_waitcnt vmcnt(0)
	v_lshlrev_b32_e32 v2, 16, v2
	v_sub_f32_e32 v2, v2, v3
	global_store_short_d16_hi v[66:67], v2, off offset:64
	v_mul_f32_e32 v2, v22, v2
	v_lshrrev_b32_e32 v15, 16, v2
.LBB61_87:
	s_or_b64 exec, exec, s[6:7]
	v_mov_b32_e32 v11, 0
	v_mov_b32_e32 v17, 0
	s_and_saveexec_b64 s[6:7], s[2:3]
	s_cbranch_execz .LBB61_89
; %bb.88:
	v_mov_b32_e32 v17, 0
	v_lshl_add_u64 v[2:3], v[8:9], 0, v[16:17]
	global_load_ushort v25, v[2:3], off offset:64
	v_lshl_add_u64 v[2:3], v[6:7], 0, v[16:17]
	s_waitcnt vmcnt(0)
	v_lshlrev_b32_e32 v17, 16, v25
	v_sub_f32_e32 v4, v17, v4
	global_store_short_d16_hi v[2:3], v4, off offset:64
	v_mul_f32_e32 v2, v32, v4
	v_lshrrev_b32_e32 v17, 16, v2
.LBB61_89:
	s_or_b64 exec, exec, s[6:7]
	s_and_saveexec_b64 s[6:7], vcc
	s_cbranch_execz .LBB61_91
; %bb.90:
	v_mov_b32_e32 v11, 0
	v_lshl_add_u64 v[2:3], v[8:9], 0, v[10:11]
	global_load_ushort v4, v[2:3], off offset:64
	v_lshl_add_u64 v[2:3], v[6:7], 0, v[10:11]
	s_waitcnt vmcnt(0)
	v_lshlrev_b32_e32 v4, 16, v4
	v_sub_f32_e32 v4, v4, v5
	global_store_short_d16_hi v[2:3], v4, off offset:64
	v_mul_f32_e32 v2, v20, v4
	v_lshrrev_b32_e32 v11, 16, v2
.LBB61_91:
	s_or_b64 exec, exec, s[6:7]
	s_mov_b32 s6, 0x5040100
	v_accvgpr_read_b32 v5, a3
	v_perm_b32 v67, v11, v17, s6
	v_or_b32_e32 v11, v19, v24
	v_accvgpr_read_b32 v4, a2
	v_accvgpr_read_b32 v3, a1
	;; [unrolled: 1-line block ×3, first 2 shown]
	v_perm_b32 v66, v15, v13, s6
	v_lshlrev_b32_e32 v11, 1, v11
	v_mov_b32_e32 v15, 0
	v_mov_b32_e32 v13, 0
	ds_write_b64 v11, v[66:67] offset:24576
	s_and_saveexec_b64 s[6:7], s[0:1]
	s_cbranch_execz .LBB61_93
; %bb.92:
	v_mov_b32_e32 v13, 0
	v_lshl_add_u64 v[24:25], v[8:9], 0, v[12:13]
	global_load_ushort v11, v[24:25], off offset:96
	v_lshl_add_u64 v[12:13], v[6:7], 0, v[12:13]
	s_waitcnt vmcnt(0)
	v_lshlrev_b32_e32 v11, 16, v11
	v_sub_f32_e32 v2, v11, v2
	global_store_short_d16_hi v[12:13], v2, off offset:96
	v_mul_f32_e32 v2, v23, v2
	v_lshrrev_b32_e32 v13, 16, v2
.LBB61_93:
	s_or_b64 exec, exec, s[6:7]
	s_and_saveexec_b64 s[0:1], s[4:5]
	s_cbranch_execz .LBB61_95
; %bb.94:
	v_mov_b32_e32 v15, 0
	v_lshl_add_u64 v[24:25], v[8:9], 0, v[14:15]
	global_load_ushort v2, v[24:25], off offset:96
	v_lshl_add_u64 v[14:15], v[6:7], 0, v[14:15]
	s_waitcnt vmcnt(0)
	v_lshlrev_b32_e32 v2, 16, v2
	v_sub_f32_e32 v2, v2, v3
	global_store_short_d16_hi v[14:15], v2, off offset:96
	v_mul_f32_e32 v2, v22, v2
	v_lshrrev_b32_e32 v15, 16, v2
.LBB61_95:
	s_or_b64 exec, exec, s[0:1]
	v_mov_b32_e32 v11, 0
	v_mov_b32_e32 v14, 0
	s_and_saveexec_b64 s[0:1], s[2:3]
	s_cbranch_execz .LBB61_97
; %bb.96:
	v_mov_b32_e32 v17, 0
	v_lshl_add_u64 v[2:3], v[8:9], 0, v[16:17]
	global_load_ushort v12, v[2:3], off offset:96
	v_lshl_add_u64 v[2:3], v[6:7], 0, v[16:17]
	s_waitcnt vmcnt(0)
	v_lshlrev_b32_e32 v12, 16, v12
	v_sub_f32_e32 v4, v12, v4
	global_store_short_d16_hi v[2:3], v4, off offset:96
	v_mul_f32_e32 v2, v32, v4
	v_lshrrev_b32_e32 v14, 16, v2
.LBB61_97:
	s_or_b64 exec, exec, s[0:1]
	v_or_b32_e32 v12, 0x6000, v28
	v_or_b32_e32 v4, 0x6000, v29
	;; [unrolled: 1-line block ×4, first 2 shown]
	s_and_saveexec_b64 s[0:1], vcc
	s_cbranch_execz .LBB61_99
; %bb.98:
	v_mov_b32_e32 v11, 0
	v_lshl_add_u64 v[8:9], v[8:9], 0, v[10:11]
	global_load_ushort v8, v[8:9], off offset:96
	v_lshl_add_u64 v[6:7], v[6:7], 0, v[10:11]
	s_waitcnt vmcnt(0)
	v_lshlrev_b32_e32 v8, 16, v8
	v_sub_f32_e32 v5, v8, v5
	global_store_short_d16_hi v[6:7], v5, off offset:96
	v_mul_f32_e32 v5, v20, v5
	v_lshrrev_b32_e32 v11, 16, v5
.LBB61_99:
	s_or_b64 exec, exec, s[0:1]
	s_mov_b32 s0, 0x5040100
	v_or_b32_e32 v5, v19, v21
	v_perm_b32 v7, v11, v14, s0
	v_perm_b32 v6, v15, v13, s0
	v_lshlrev_b32_e32 v5, 1, v5
	s_movk_i32 s0, 0x100
	ds_write_b64 v5, v[6:7] offset:24576
	v_and_b32_e32 v5, 7, v0
	v_and_b32_e32 v6, 8, v0
	v_cmp_gt_u32_e32 vcc, s0, v0
	v_lshrrev_b32_e32 v0, 1, v0
	v_mov_b32_e32 v7, 0xa000
	v_mov_b32_e32 v8, 0x8000
	v_lshlrev_b32_e32 v26, 3, v74
	v_and_b32_e32 v0, 24, v0
	v_cndmask_b32_e32 v19, v7, v8, vcc
	v_xor_b32_e32 v7, v26, v0
	v_or_b32_e32 v8, 0x440, v7
	v_cmp_eq_u32_e32 vcc, 0, v6
	v_lshlrev_b32_e32 v13, 3, v5
	v_lshlrev_b32_e32 v5, 7, v5
	v_cndmask_b32_e32 v6, v8, v7, vcc
	v_or_b32_e32 v6, v6, v27
	v_xad_u32 v32, v6, v13, v5
	v_add_u32_e32 v6, v19, v32
	s_waitcnt lgkmcnt(0)
	s_barrier
	ds_read_b64 v[10:11], v6
	ds_read2_b64 v[6:9], v12 offset1:16
	ds_read2_b64 v[14:17], v12 offset0:32 offset1:48
	v_or_b32_e32 v20, 32, v0
	v_xor_b32_e32 v20, v26, v20
	v_or_b32_e32 v21, 0x440, v20
	v_cndmask_b32_e32 v20, v21, v20, vcc
	s_waitcnt lgkmcnt(1)
	v_mfma_f32_16x16x16_bf16 a[0:3], v[10:11], v[6:7], 0
	v_or_b32_e32 v20, v20, v27
	v_xad_u32 v33, v20, v13, v5
	v_add_u32_e32 v20, v19, v33
	v_mfma_f32_16x16x16_bf16 a[4:7], v[10:11], v[8:9], 0
	ds_read_b64 v[24:25], v20
	ds_read2st64_b64 v[28:31], v4 offset0:4 offset1:8
	ds_read2st64_b64 v[66:69], v3 offset0:4 offset1:8
	s_waitcnt lgkmcnt(3)
	v_mfma_f32_16x16x16_bf16 a[8:11], v[10:11], v[14:15], 0
	ds_read2st64_b64 v[70:73], v2 offset0:4 offset1:8
	v_mfma_f32_16x16x16_bf16 a[12:15], v[10:11], v[16:17], 0
	v_or_b32_e32 v10, 64, v0
	v_xor_b32_e32 v10, v26, v10
	v_xor_b32_e32 v11, 0x440, v10
	v_cndmask_b32_e32 v10, v11, v10, vcc
	v_or_b32_e32 v10, v10, v27
	v_xad_u32 v74, v10, v13, v5
	v_add_u32_e32 v10, v19, v74
	ds_read_b64 v[10:11], v10
	ds_read2st64_b64 v[20:23], v12 offset0:4 offset1:8
	v_or_b32_e32 v0, 0x60, v0
	v_xor_b32_e32 v0, v26, v0
	s_waitcnt lgkmcnt(0)
	v_mfma_f32_16x16x16_bf16 a[0:3], v[24:25], v[20:21], a[0:3]
	v_mfma_f32_16x16x16_bf16 a[4:7], v[24:25], v[28:29], a[4:7]
	;; [unrolled: 1-line block ×4, first 2 shown]
	v_xor_b32_e32 v24, 0x440, v0
	v_cndmask_b32_e32 v0, v24, v0, vcc
	v_or_b32_e32 v0, v0, v27
	v_xad_u32 v26, v0, v13, v5
	v_add_u32_e32 v0, v19, v26
	v_mfma_f32_16x16x16_bf16 a[0:3], v[10:11], v[22:23], a[0:3]
	ds_read_b64 v[24:25], v0
	ds_read_b64 v[12:13], v12 offset:6144
	v_exp_f32_e32 v0, s12
	v_mfma_f32_16x16x16_bf16 a[4:7], v[10:11], v[30:31], a[4:7]
	v_mfma_f32_16x16x16_bf16 a[8:11], v[10:11], v[68:69], a[8:11]
	;; [unrolled: 1-line block ×3, first 2 shown]
	ds_read_b64 v[4:5], v4 offset:6144
	ds_read_b64 v[10:11], v3 offset:6144
	;; [unrolled: 1-line block ×3, first 2 shown]
	s_waitcnt lgkmcnt(3)
	v_mfma_f32_16x16x16_bf16 a[0:3], v[24:25], v[12:13], a[0:3]
	s_waitcnt lgkmcnt(2)
	v_mfma_f32_16x16x16_bf16 a[4:7], v[24:25], v[4:5], a[4:7]
	;; [unrolled: 2-line block ×4, first 2 shown]
	ds_read_b64 v[24:25], v32 offset:40960
	s_waitcnt lgkmcnt(0)
	v_mfma_f32_16x16x16_bf16 a[16:19], v[24:25], v[6:7], 0
	ds_read_b64 v[6:7], v33 offset:40960
	v_mfma_f32_16x16x16_bf16 a[20:23], v[24:25], v[8:9], 0
	ds_read_b64 v[8:9], v74 offset:40960
	v_mfma_f32_16x16x16_bf16 a[24:27], v[24:25], v[14:15], 0
	v_accvgpr_read_b32 v15, a3
	v_accvgpr_read_b32 v14, a2
	v_pk_fma_f32 v[64:65], v[0:1], v[64:65], v[14:15] op_sel_hi:[0,1,1]
	v_mfma_f32_16x16x16_bf16 a[28:31], v[24:25], v[16:17], 0
	ds_read_b64 v[14:15], v26 offset:40960
	v_accvgpr_read_b32 v17, a7
	v_accvgpr_read_b32 v16, a6
	s_waitcnt lgkmcnt(2)
	v_mfma_f32_16x16x16_bf16 a[16:19], v[6:7], v[20:21], a[16:19]
	v_accvgpr_read_b32 v21, a15
	v_accvgpr_read_b32 v20, a14
	v_pk_fma_f32 v[56:57], v[0:1], v[56:57], v[16:17] op_sel_hi:[0,1,1]
	v_mfma_f32_16x16x16_bf16 a[20:23], v[6:7], v[28:29], a[20:23]
	v_pk_fma_f32 v[40:41], v[0:1], v[40:41], v[20:21] op_sel_hi:[0,1,1]
	v_mfma_f32_16x16x16_bf16 a[24:27], v[6:7], v[66:67], a[24:27]
	v_mfma_f32_16x16x16_bf16 a[28:31], v[6:7], v[70:71], a[28:31]
	v_accvgpr_read_b32 v7, a11
	v_accvgpr_read_b32 v6, a10
	v_pk_fma_f32 v[48:49], v[0:1], v[48:49], v[6:7] op_sel_hi:[0,1,1]
	s_waitcnt lgkmcnt(1)
	v_mfma_f32_16x16x16_bf16 a[16:19], v[8:9], v[22:23], a[16:19]
	v_accvgpr_read_b32 v23, a1
	v_accvgpr_read_b32 v22, a0
	v_pk_fma_f32 v[62:63], v[0:1], v[62:63], v[22:23] op_sel_hi:[0,1,1]
	v_mfma_f32_16x16x16_bf16 a[0:3], v[8:9], v[30:31], a[20:23]
	v_accvgpr_read_b32 v23, a5
	v_accvgpr_read_b32 v22, a4
	;; [unrolled: 1-line block ×3, first 2 shown]
	v_mfma_f32_16x16x16_bf16 a[20:23], v[8:9], v[68:69], a[24:27]
	v_accvgpr_read_b32 v7, a13
	v_pk_fma_f32 v[38:39], v[0:1], v[38:39], v[6:7] op_sel_hi:[0,1,1]
	v_pk_fma_f32 v[54:55], v[0:1], v[54:55], v[22:23] op_sel_hi:[0,1,1]
	v_mfma_f32_16x16x16_bf16 a[4:7], v[8:9], v[72:73], a[28:31]
	v_accvgpr_read_b32 v8, a8
	v_accvgpr_read_b32 v9, a9
	v_pk_fma_f32 v[46:47], v[0:1], v[46:47], v[8:9] op_sel_hi:[0,1,1]
	s_waitcnt lgkmcnt(0)
	v_mfma_f32_16x16x16_bf16 a[8:11], v[14:15], v[12:13], a[16:19]
	v_mfma_f32_16x16x16_bf16 a[0:3], v[14:15], v[4:5], a[0:3]
	s_nop 5
	v_accvgpr_read_b32 v5, a11
	v_accvgpr_read_b32 v4, a10
	v_mfma_f32_16x16x16_bf16 a[10:13], v[14:15], v[10:11], a[20:23]
	v_pk_fma_f32 v[60:61], v[0:1], v[60:61], v[4:5] op_sel_hi:[0,1,1]
	v_accvgpr_read_b32 v7, a3
	v_accvgpr_read_b32 v6, a2
	v_mfma_f32_16x16x16_bf16 a[2:5], v[14:15], v[2:3], a[4:7]
	v_accvgpr_read_b32 v5, a1
	v_accvgpr_read_b32 v4, a0
	v_pk_fma_f32 v[50:51], v[0:1], v[50:51], v[4:5] op_sel_hi:[0,1,1]
	v_accvgpr_read_b32 v4, a10
	v_accvgpr_read_b32 v5, a11
	;; [unrolled: 1-line block ×3, first 2 shown]
	v_pk_fma_f32 v[42:43], v[0:1], v[42:43], v[4:5] op_sel_hi:[0,1,1]
	v_accvgpr_read_b32 v5, a3
	v_accvgpr_read_b32 v9, a13
	;; [unrolled: 1-line block ×7, first 2 shown]
	v_pk_fma_f32 v[58:59], v[0:1], v[58:59], v[10:11] op_sel_hi:[0,1,1]
	v_pk_fma_f32 v[52:53], v[0:1], v[52:53], v[6:7] op_sel_hi:[0,1,1]
	;; [unrolled: 1-line block ×5, first 2 shown]
	v_mov_b32_e32 v2, v18
.LBB61_100:
	s_lshl_b64 s[0:1], s[28:29], 15
	s_waitcnt lgkmcnt(0)
	s_add_u32 s0, s34, s0
	v_lshlrev_b32_e32 v2, 7, v2
	s_addc_u32 s1, s35, s1
	v_ashrrev_i32_e32 v3, 31, v2
	v_lshl_add_u64 v[4:5], v[2:3], 1, s[0:1]
	v_lshlrev_b32_e32 v0, 1, v1
	v_mov_b32_e32 v1, 0
	s_mov_b32 s2, 0x7060302
	v_lshl_add_u64 v[4:5], v[4:5], 0, v[0:1]
	v_perm_b32 v7, v65, v64, s2
	v_perm_b32 v6, v63, v62, s2
	global_store_dwordx2 v[4:5], v[6:7], off
	v_perm_b32 v7, v61, v60, s2
	v_perm_b32 v6, v59, v58, s2
	global_store_dwordx2 v[4:5], v[6:7], off offset:128
	v_or_b32_e32 v4, 0x800, v2
	v_ashrrev_i32_e32 v5, 31, v4
	v_lshl_add_u64 v[4:5], v[4:5], 1, s[0:1]
	v_lshl_add_u64 v[4:5], v[4:5], 0, v[0:1]
	v_perm_b32 v7, v57, v56, s2
	v_perm_b32 v6, v55, v54, s2
	global_store_dwordx2 v[4:5], v[6:7], off
	v_perm_b32 v7, v53, v52, s2
	v_perm_b32 v6, v51, v50, s2
	global_store_dwordx2 v[4:5], v[6:7], off offset:128
	v_or_b32_e32 v4, 0x1000, v2
	v_or_b32_e32 v2, 0x1800, v2
	v_ashrrev_i32_e32 v5, 31, v4
	v_ashrrev_i32_e32 v3, 31, v2
	v_lshl_add_u64 v[4:5], v[4:5], 1, s[0:1]
	v_lshl_add_u64 v[2:3], v[2:3], 1, s[0:1]
	;; [unrolled: 1-line block ×3, first 2 shown]
	v_perm_b32 v7, v49, v48, s2
	v_perm_b32 v6, v47, v46, s2
	v_lshl_add_u64 v[0:1], v[2:3], 0, v[0:1]
	v_perm_b32 v3, v41, v40, s2
	v_perm_b32 v2, v39, v38, s2
	global_store_dwordx2 v[4:5], v[6:7], off
	v_perm_b32 v7, v45, v44, s2
	v_perm_b32 v6, v43, v42, s2
	global_store_dwordx2 v[0:1], v[2:3], off
	v_perm_b32 v3, v35, v34, s2
	v_perm_b32 v2, v37, v36, s2
	global_store_dwordx2 v[4:5], v[6:7], off offset:128
	global_store_dwordx2 v[0:1], v[2:3], off offset:128
	s_endpgm
	.section	.rodata,"a",@progbits
	.p2align	6, 0x0
	.amdhsa_kernel _ZN12_GLOBAL__N_139chunk_gated_delta_rule_fwd_h_hip_kernelILi64ELb0ELb1ELb1ELb0ELb1ELb0ELb0ELb1EEEvPK12hip_bfloat16S3_S3_PKfS5_PKvPS1_S8_PvPKiSB_iiiiilll
		.amdhsa_group_segment_fixed_size 65536
		.amdhsa_private_segment_fixed_size 0
		.amdhsa_kernarg_size 136
		.amdhsa_user_sgpr_count 2
		.amdhsa_user_sgpr_dispatch_ptr 0
		.amdhsa_user_sgpr_queue_ptr 0
		.amdhsa_user_sgpr_kernarg_segment_ptr 1
		.amdhsa_user_sgpr_dispatch_id 0
		.amdhsa_user_sgpr_kernarg_preload_length 0
		.amdhsa_user_sgpr_kernarg_preload_offset 0
		.amdhsa_user_sgpr_private_segment_size 0
		.amdhsa_uses_dynamic_stack 0
		.amdhsa_enable_private_segment 0
		.amdhsa_system_sgpr_workgroup_id_x 1
		.amdhsa_system_sgpr_workgroup_id_y 1
		.amdhsa_system_sgpr_workgroup_id_z 0
		.amdhsa_system_sgpr_workgroup_info 0
		.amdhsa_system_vgpr_workitem_id 0
		.amdhsa_next_free_vgpr 216
		.amdhsa_next_free_sgpr 67
		.amdhsa_accum_offset 180
		.amdhsa_reserve_vcc 1
		.amdhsa_float_round_mode_32 0
		.amdhsa_float_round_mode_16_64 0
		.amdhsa_float_denorm_mode_32 3
		.amdhsa_float_denorm_mode_16_64 3
		.amdhsa_dx10_clamp 1
		.amdhsa_ieee_mode 1
		.amdhsa_fp16_overflow 0
		.amdhsa_tg_split 0
		.amdhsa_exception_fp_ieee_invalid_op 0
		.amdhsa_exception_fp_denorm_src 0
		.amdhsa_exception_fp_ieee_div_zero 0
		.amdhsa_exception_fp_ieee_overflow 0
		.amdhsa_exception_fp_ieee_underflow 0
		.amdhsa_exception_fp_ieee_inexact 0
		.amdhsa_exception_int_div_zero 0
	.end_amdhsa_kernel
	.section	.text._ZN12_GLOBAL__N_139chunk_gated_delta_rule_fwd_h_hip_kernelILi64ELb0ELb1ELb1ELb0ELb1ELb0ELb0ELb1EEEvPK12hip_bfloat16S3_S3_PKfS5_PKvPS1_S8_PvPKiSB_iiiiilll,"axG",@progbits,_ZN12_GLOBAL__N_139chunk_gated_delta_rule_fwd_h_hip_kernelILi64ELb0ELb1ELb1ELb0ELb1ELb0ELb0ELb1EEEvPK12hip_bfloat16S3_S3_PKfS5_PKvPS1_S8_PvPKiSB_iiiiilll,comdat
.Lfunc_end61:
	.size	_ZN12_GLOBAL__N_139chunk_gated_delta_rule_fwd_h_hip_kernelILi64ELb0ELb1ELb1ELb0ELb1ELb0ELb0ELb1EEEvPK12hip_bfloat16S3_S3_PKfS5_PKvPS1_S8_PvPKiSB_iiiiilll, .Lfunc_end61-_ZN12_GLOBAL__N_139chunk_gated_delta_rule_fwd_h_hip_kernelILi64ELb0ELb1ELb1ELb0ELb1ELb0ELb0ELb1EEEvPK12hip_bfloat16S3_S3_PKfS5_PKvPS1_S8_PvPKiSB_iiiiilll
                                        ; -- End function
	.section	.AMDGPU.csdata,"",@progbits
; Kernel info:
; codeLenInByte = 12640
; NumSgprs: 73
; NumVgprs: 180
; NumAgprs: 36
; TotalNumVgprs: 216
; ScratchSize: 0
; MemoryBound: 0
; FloatMode: 240
; IeeeMode: 1
; LDSByteSize: 65536 bytes/workgroup (compile time only)
; SGPRBlocks: 9
; VGPRBlocks: 26
; NumSGPRsForWavesPerEU: 73
; NumVGPRsForWavesPerEU: 216
; AccumOffset: 180
; Occupancy: 1
; WaveLimiterHint : 1
; COMPUTE_PGM_RSRC2:SCRATCH_EN: 0
; COMPUTE_PGM_RSRC2:USER_SGPR: 2
; COMPUTE_PGM_RSRC2:TRAP_HANDLER: 0
; COMPUTE_PGM_RSRC2:TGID_X_EN: 1
; COMPUTE_PGM_RSRC2:TGID_Y_EN: 1
; COMPUTE_PGM_RSRC2:TGID_Z_EN: 0
; COMPUTE_PGM_RSRC2:TIDIG_COMP_CNT: 0
; COMPUTE_PGM_RSRC3_GFX90A:ACCUM_OFFSET: 44
; COMPUTE_PGM_RSRC3_GFX90A:TG_SPLIT: 0
	.section	.text._ZN12_GLOBAL__N_139chunk_gated_delta_rule_fwd_h_hip_kernelILi64ELb0ELb1ELb0ELb0ELb1ELb0ELb0ELb1EEEvPK12hip_bfloat16S3_S3_PKfS5_PKvPS1_S8_PvPKiSB_iiiiilll,"axG",@progbits,_ZN12_GLOBAL__N_139chunk_gated_delta_rule_fwd_h_hip_kernelILi64ELb0ELb1ELb0ELb0ELb1ELb0ELb0ELb1EEEvPK12hip_bfloat16S3_S3_PKfS5_PKvPS1_S8_PvPKiSB_iiiiilll,comdat
	.globl	_ZN12_GLOBAL__N_139chunk_gated_delta_rule_fwd_h_hip_kernelILi64ELb0ELb1ELb0ELb0ELb1ELb0ELb0ELb1EEEvPK12hip_bfloat16S3_S3_PKfS5_PKvPS1_S8_PvPKiSB_iiiiilll ; -- Begin function _ZN12_GLOBAL__N_139chunk_gated_delta_rule_fwd_h_hip_kernelILi64ELb0ELb1ELb0ELb0ELb1ELb0ELb0ELb1EEEvPK12hip_bfloat16S3_S3_PKfS5_PKvPS1_S8_PvPKiSB_iiiiilll
	.p2align	8
	.type	_ZN12_GLOBAL__N_139chunk_gated_delta_rule_fwd_h_hip_kernelILi64ELb0ELb1ELb0ELb0ELb1ELb0ELb0ELb1EEEvPK12hip_bfloat16S3_S3_PKfS5_PKvPS1_S8_PvPKiSB_iiiiilll,@function
_ZN12_GLOBAL__N_139chunk_gated_delta_rule_fwd_h_hip_kernelILi64ELb0ELb1ELb0ELb0ELb1ELb0ELb0ELb1EEEvPK12hip_bfloat16S3_S3_PKfS5_PKvPS1_S8_PvPKiSB_iiiiilll: ; @_ZN12_GLOBAL__N_139chunk_gated_delta_rule_fwd_h_hip_kernelILi64ELb0ELb1ELb0ELb0ELb1ELb0ELb0ELb1EEEvPK12hip_bfloat16S3_S3_PKfS5_PKvPS1_S8_PvPKiSB_iiiiilll
; %bb.0:
	s_load_dwordx4 s[12:15], s[0:1], 0x5c
	s_load_dwordx4 s[16:19], s[0:1], 0x70
	s_abs_i32 s22, s3
	s_ashr_i32 s21, s3, 31
	s_load_dwordx8 s[4:11], s[0:1], 0x0
	s_waitcnt lgkmcnt(0)
	s_abs_i32 s20, s13
	v_cvt_f32_u32_e32 v1, s20
	s_sub_i32 s24, 0, s20
	s_ashr_i32 s23, s13, 31
	s_xor_b32 s21, s21, s23
	v_rcp_iflag_f32_e32 v1, v1
	s_load_dwordx2 s[28:29], s[0:1], 0x40
	s_load_dwordx2 s[36:37], s[0:1], 0x30
	;; [unrolled: 1-line block ×3, first 2 shown]
	v_lshrrev_b32_e32 v72, 6, v0
	v_mul_f32_e32 v1, 0x4f7ffffe, v1
	v_cvt_u32_f32_e32 v1, v1
	v_bfe_u32 v75, v0, 4, 2
	s_mov_b32 s0, 0
	v_lshlrev_b32_e32 v73, 4, v72
	v_readfirstlane_b32 s25, v1
	s_mul_i32 s24, s24, s25
	s_mul_hi_u32 s24, s25, s24
	s_add_i32 s25, s25, s24
	s_mul_hi_u32 s24, s22, s25
	s_mul_i32 s25, s24, s20
	s_sub_i32 s22, s22, s25
	s_add_i32 s26, s24, 1
	s_sub_i32 s25, s22, s20
	s_cmp_ge_u32 s22, s20
	s_cselect_b32 s24, s26, s24
	s_cselect_b32 s22, s25, s22
	s_add_i32 s25, s24, 1
	s_cmp_ge_u32 s22, s20
	s_cselect_b32 s22, s25, s24
	s_xor_b32 s22, s22, s21
	s_sub_i32 s47, s22, s21
	s_abs_i32 s22, s14
	v_cvt_f32_u32_e32 v1, s22
	s_mul_i32 s45, s47, s13
	s_sub_i32 s33, s3, s45
	s_add_i32 s3, s12, 63
	v_rcp_iflag_f32_e32 v1, v1
	s_ashr_i32 s21, s3, 31
	s_lshr_b32 s21, s21, 26
	s_ashr_i32 s46, s12, 31
	v_mul_f32_e32 v1, 0x4f7ffffe, v1
	v_cvt_u32_f32_e32 v1, v1
	s_add_i32 s3, s3, s21
	s_lshr_b32 s21, s46, 26
	s_add_i32 s21, s12, s21
	s_ashr_i32 s49, s14, 31
	s_ashr_i32 s48, s21, 6
	s_xor_b32 s21, s23, s49
	s_sub_i32 s23, 0, s22
	v_readfirstlane_b32 s24, v1
	s_mul_i32 s23, s23, s24
	s_mul_hi_u32 s23, s24, s23
	s_add_i32 s24, s24, s23
	s_mul_hi_u32 s23, s20, s24
	s_mul_i32 s24, s23, s22
	s_sub_i32 s20, s20, s24
	s_ashr_i32 s3, s3, 6
	s_add_i32 s24, s23, 1
	s_sub_i32 s25, s20, s22
	s_cmp_ge_u32 s20, s22
	s_cselect_b32 s23, s24, s23
	s_cselect_b32 s20, s25, s20
	s_add_i32 s24, s23, 1
	s_cmp_ge_u32 s20, s22
	s_cselect_b32 s20, s24, s23
	s_xor_b32 s20, s20, s21
	s_sub_i32 s20, s20, s21
	s_abs_i32 s21, s20
	v_cvt_f32_u32_e32 v1, s21
	s_sub_i32 s22, 0, s21
	s_xor_b32 s1, s33, s20
	s_abs_i32 s20, s33
	v_rcp_iflag_f32_e32 v1, v1
	s_ashr_i32 s1, s1, 31
	v_lshlrev_b32_e32 v2, 2, v75
	v_and_b32_e32 v74, 63, v0
	v_mul_f32_e32 v1, 0x4f7ffffe, v1
	v_cvt_u32_f32_e32 v1, v1
	s_mul_i32 s50, s47, s3
	v_and_b32_e32 v76, 15, v0
	s_mul_hi_i32 s51, s47, s13
	v_readfirstlane_b32 s23, v1
	s_mul_i32 s22, s22, s23
	s_mul_hi_u32 s22, s23, s22
	s_add_i32 s23, s23, s22
	s_mul_hi_u32 s22, s20, s23
	s_mul_i32 s23, s22, s21
	s_sub_i32 s20, s20, s23
	s_add_i32 s23, s22, 1
	s_sub_i32 s24, s20, s21
	s_cmp_ge_u32 s20, s21
	s_cselect_b32 s22, s23, s22
	s_cselect_b32 s20, s24, s20
	s_add_i32 s23, s22, 1
	s_cmp_ge_u32 s20, s21
	s_cselect_b32 s20, s23, s22
	s_xor_b32 s20, s20, s1
	s_sub_i32 s52, s20, s1
	v_or_b32_e32 v1, v2, v73
	s_lshl_b32 s2, s2, 6
	s_mov_b32 s1, s0
	v_or_b32_e32 v79, 64, v1
	s_cmp_lt_i32 s12, 64
	v_mov_b64_e32 v[34:35], s[0:1]
	v_lshrrev_b32_e32 v78, 3, v74
	v_lshlrev_b32_e32 v77, 3, v0
	s_mul_i32 s17, s47, s17
	s_mul_hi_u32 s44, s47, s16
	s_mul_i32 s34, s47, s16
	v_mov_b64_e32 v[36:37], s[0:1]
	v_mov_b64_e32 v[40:41], s[0:1]
	;; [unrolled: 1-line block ×15, first 2 shown]
	s_cbranch_scc1 .LBB62_17
; %bb.1:
	s_ashr_i32 s3, s47, 31
	s_ashr_i32 s54, s33, 31
	s_add_u32 s0, s45, s33
	s_addc_u32 s1, s51, s54
	s_mul_i32 s1, s12, s1
	s_mul_hi_u32 s20, s12, s0
	s_add_i32 s39, s20, s1
	s_mul_i32 s38, s12, s0
	s_lshl_b64 s[0:1], s[38:39], 8
	v_and_b32_e32 v81, 56, v77
	s_add_u32 s20, s6, s0
	v_lshl_or_b32 v80, v72, 3, v78
	v_lshlrev_b32_e32 v3, 1, v81
	s_addc_u32 s0, s7, s1
	v_lshl_or_b32 v82, v80, 8, v3
	s_and_b32 s21, s0, 0xffff
	s_mov_b32 s23, 0x20000
	s_movk_i32 s22, 0x4000
	s_movk_i32 s0, 0x80
	v_or_b32_e32 v83, 0x2000, v82
	buffer_load_dwordx4 v[4:7], v82, s[20:23], 0 offen
	buffer_load_dwordx4 v[8:11], v82, s[20:23], s0 offen
	;; [unrolled: 1-line block ×4, first 2 shown]
	v_lshlrev_b32_e32 v20, 3, v80
	v_and_or_b32 v22, v0, 7, v20
	v_and_b32_e32 v20, 0x78, v20
	v_lshlrev_b32_e32 v22, 4, v22
	v_xor_b32_e32 v84, v22, v20
	v_mul_lo_u32 v21, v80, s15
	v_or_b32_e32 v85, 0x1000, v84
	s_cmpk_eq_i32 s15, 0x80
	s_mov_b32 s53, s14
	v_xor_b32_e32 v20, 8, v84
	v_xor_b32_e32 v22, 8, v85
	s_cselect_b64 s[0:1], -1, 0
	s_cmpk_lg_i32 s15, 0x80
	s_waitcnt vmcnt(3)
	ds_write_b64 v84, v[4:5] offset:49152
	ds_write_b64 v20, v[6:7] offset:49152
	s_waitcnt vmcnt(2)
	ds_write_b64 v84, v[8:9] offset:57344
	ds_write_b64 v20, v[10:11] offset:57344
	;; [unrolled: 3-line block ×4, first 2 shown]
	v_lshl_add_u32 v4, v21, 1, v81
	s_cbranch_scc0 .LBB62_3
; %bb.2:
	v_lshlrev_b32_e32 v6, 1, v4
	v_add_lshl_u32 v5, v4, s15, 1
	s_lshl_b32 s22, s15, 7
	v_lshl_or_b32 v3, v80, 9, v3
	s_cbranch_execz .LBB62_4
	s_branch .LBB62_5
.LBB62_3:
                                        ; implicit-def: $vgpr5
                                        ; implicit-def: $vgpr6
                                        ; implicit-def: $sgpr22
	v_lshl_or_b32 v3, v80, 9, v3
.LBB62_4:
	v_or_b32_e32 v5, 0x100, v3
	s_movk_i32 s22, 0x4000
	v_mov_b32_e32 v6, v3
.LBB62_5:
	s_mul_hi_u32 s20, s14, s12
	s_mul_i32 s21, s49, s12
	s_add_i32 s20, s20, s21
	s_mul_i32 s21, s14, s12
	s_mul_i32 s23, s21, s3
	s_mul_hi_u32 s24, s21, s47
	s_add_i32 s23, s24, s23
	s_mul_i32 s20, s20, s47
	s_add_i32 s23, s23, s20
	s_mul_i32 s21, s21, s47
	s_ashr_i32 s55, s52, 31
	s_add_u32 s20, s21, s52
	s_addc_u32 s21, s23, s55
	s_lshl_b64 s[20:21], s[20:21], 8
	s_add_u32 s20, s4, s20
	s_addc_u32 s21, s5, s21
	s_and_b32 s21, s21, 0xffff
	s_mov_b32 s23, 0x20000
	s_movk_i32 s56, 0x80
	buffer_load_dwordx4 v[8:11], v6, s[20:23], 0 offen
	buffer_load_dwordx4 v[12:15], v6, s[20:23], s56 offen
	;; [unrolled: 1-line block ×4, first 2 shown]
	v_and_b32_e32 v5, 6, v0
	v_lshlrev_b32_e32 v6, 7, v1
	v_xor_b32_e32 v27, v80, v5
	v_and_b32_e32 v7, 1, v0
	v_lshl_or_b32 v30, v76, 3, v6
	v_lshlrev_b32_e32 v27, 2, v27
	v_or_b32_e32 v86, 0x4000, v30
	v_or_b32_e32 v87, 0x6000, v30
	v_xor_b32_e32 v30, 0x440, v27
	v_cmp_eq_u32_e32 vcc, 0, v7
	v_lshlrev_b32_e32 v24, 2, v76
	s_mov_b32 s58, 0x1000504
	v_cndmask_b32_e32 v7, v30, v27, vcc
	v_xor_b32_e32 v28, v1, v24
	v_xor_b32_e32 v29, v79, v24
	v_lshl_or_b32 v5, v5, 10, v7
	s_mov_b32 s59, 0x3020706
	s_mul_i32 s20, s3, s12
	s_mul_hi_u32 s21, s47, s12
	v_lshlrev_b32_e32 v25, 8, v76
	v_or_b32_e32 v26, 16, v76
	v_lshlrev_b32_e32 v28, 1, v28
	v_lshlrev_b32_e32 v29, 1, v29
	v_xor_b32_e32 v7, 8, v5
	v_xor_b32_e32 v27, 24, v5
	;; [unrolled: 1-line block ×4, first 2 shown]
	v_or_b32_e32 v89, v25, v28
	v_or_b32_e32 v90, v25, v29
	v_xor_b32_e32 v25, 16, v5
	v_xor_b32_e32 v30, 32, v5
	;; [unrolled: 1-line block ×3, first 2 shown]
	v_add_u32_e32 v7, 0x80, v7
	v_add_u32_e32 v27, 0x80, v27
	;; [unrolled: 1-line block ×4, first 2 shown]
	s_add_i32 s61, s21, s20
	s_add_i32 s20, s44, s17
	s_mul_i32 s3, s3, s16
	s_add_i32 s35, s20, s3
	s_mul_i32 s3, s33, s19
	s_mul_hi_u32 s20, s33, s18
	s_add_i32 s3, s20, s3
	s_mul_i32 s20, s54, s18
	s_add_i32 s21, s3, s20
	s_lshl_b64 s[24:25], s[34:35], 2
	s_mul_i32 s20, s33, s18
	s_add_u32 s3, s10, s24
	s_addc_u32 s24, s11, s25
	s_lshl_b64 s[20:21], s[20:21], 2
	s_add_u32 s40, s3, s20
	s_movk_i32 s3, 0xf8
	s_addc_u32 s41, s24, s21
	s_lshl_b32 s26, s15, 7
	s_movk_i32 s24, 0x100
	v_mov_b32_e32 v67, 0
	v_lshlrev_b32_e32 v66, 4, v76
	v_cmp_gt_u32_e32 vcc, s24, v0
	v_lshl_or_b32 v31, v26, 3, v6
	s_mov_b32 s57, 0
	s_mul_i32 s60, s47, s12
	v_or_b32_e32 v88, 0x4000, v31
	s_movk_i32 s22, 0x4000
	v_or_b32_e32 v91, 0x6000, v31
	v_add_u32_e32 v126, v73, v2
	s_movk_i32 s35, 0x2000
	s_movk_i32 s62, 0x3000
	s_mov_b32 s64, 0
	v_mov_b32_e32 v62, v67
	v_mov_b32_e32 v63, v67
	;; [unrolled: 1-line block ×10, first 2 shown]
	s_waitcnt vmcnt(1)
	v_perm_b32 v35, v8, v16, s58
	s_waitcnt vmcnt(0)
	v_perm_b32 v36, v12, v20, s58
	v_perm_b32 v8, v8, v16, s59
	;; [unrolled: 1-line block ×15, first 2 shown]
	ds_write2st64_b32 v5, v35, v36 offset0:128 offset1:160
	ds_write2st64_b32 v7, v8, v12 offset0:128 offset1:160
	;; [unrolled: 1-line block ×8, first 2 shown]
	v_lshlrev_b32_e32 v5, 8, v26
	v_or_b32_e32 v92, v5, v28
	v_or_b32_e32 v93, v5, v29
	;; [unrolled: 1-line block ×3, first 2 shown]
	v_lshl_or_b32 v7, v5, 3, v6
	v_lshlrev_b32_e32 v5, 8, v5
	v_or_b32_e32 v96, v5, v28
	v_or_b32_e32 v97, v5, v29
	;; [unrolled: 1-line block ×5, first 2 shown]
	v_lshl_or_b32 v7, v5, 3, v6
	v_lshlrev_b32_e32 v5, 8, v5
	v_or_b32_e32 v100, v5, v28
	v_or_b32_e32 v101, v5, v29
	v_or_b32_e32 v5, v73, v76
	v_lshlrev_b32_e32 v5, 3, v5
	v_lshrrev_b32_e32 v9, 5, v74
	v_and_or_b32 v9, v5, s3, v9
	v_lshlrev_b32_e32 v9, 4, v9
	v_or_b32_e32 v98, 0x4000, v7
	v_or_b32_e32 v99, 0x6000, v7
	v_lshlrev_b32_e32 v7, 11, v72
	v_and_b32_e32 v5, 0x78, v5
	v_or_b32_e32 v14, 32, v9
	v_and_b32_e32 v8, 0x1000, v7
	v_xor_b32_e32 v10, v9, v5
	v_lshrrev_b32_e32 v11, 1, v0
	v_xor_b32_e32 v14, v14, v5
	v_or_b32_e32 v10, v10, v8
	v_and_b32_e32 v12, 8, v11
	v_or_b32_e32 v14, v14, v8
	v_xor_b32_e32 v102, v10, v12
	v_lshlrev_b32_e32 v10, 8, v75
	v_xor_b32_e32 v104, v14, v12
	v_or_b32_e32 v14, 64, v9
	v_or_b32_e32 v9, 0x60, v9
	;; [unrolled: 1-line block ×3, first 2 shown]
	v_xor_b32_e32 v14, v14, v5
	v_xor_b32_e32 v5, v9, v5
	s_ashr_i32 s3, s2, 31
	v_lshlrev_b32_e32 v13, 1, v13
	v_or_b32_e32 v14, v14, v8
	v_or_b32_e32 v5, v5, v8
	s_lshl_b64 s[20:21], s[2:3], 8
	v_or_b32_e32 v103, 0x4000, v13
	v_or_b32_e32 v105, 0x4080, v13
	;; [unrolled: 1-line block ×4, first 2 shown]
	v_xor_b32_e32 v108, v14, v12
	v_xor_b32_e32 v109, v5, v12
	v_or_b32_e32 v110, 0x6000, v13
	v_or_b32_e32 v111, 0x6080, v13
	;; [unrolled: 1-line block ×4, first 2 shown]
	v_lshlrev_b32_e32 v12, 1, v4
	v_add_lshl_u32 v13, v4, s15, 1
	s_waitcnt lgkmcnt(0)
	s_add_u32 s20, s36, s20
	v_lshlrev_b32_e32 v4, 1, v76
	v_lshrrev_b32_e32 v15, 4, v0
	s_addc_u32 s21, s37, s21
	v_or_b32_e32 v5, 1, v4
	v_mov_b32_e32 v19, 0xa000
	v_mov_b32_e32 v20, 0x8000
	v_xor_b32_e32 v16, v15, v4
	v_xor_b32_e32 v17, v5, v15
	v_lshl_add_u64 v[4:5], s[20:21], 0, v[66:67]
	v_lshlrev_b32_e32 v66, 8, v15
	v_cndmask_b32_e32 v19, v19, v20, vcc
	v_lshlrev_b32_e32 v20, 3, v72
	v_and_b32_e32 v11, 24, v11
	v_lshl_or_b32 v114, v16, 3, v66
	v_and_b32_e32 v16, 8, v0
	v_xor_b32_e32 v21, v20, v11
	v_or_b32_e32 v22, 0x440, v21
	v_cmp_eq_u32_e32 vcc, 0, v16
	v_and_b32_e32 v15, 7, v0
	v_lshl_or_b32 v115, v17, 3, v66
	v_cndmask_b32_e32 v16, v22, v21, vcc
	v_lshlrev_b32_e32 v17, 3, v15
	v_lshlrev_b32_e32 v15, 7, v15
	v_or_b32_e32 v16, v16, v7
	v_lshlrev_b32_e32 v18, 2, v0
	v_xad_u32 v116, v16, v17, v15
	v_or_b32_e32 v16, 32, v11
	v_and_or_b32 v10, v18, 60, v10
	v_xor_b32_e32 v16, v20, v16
	v_lshlrev_b32_e32 v10, 1, v10
	v_or_b32_e32 v18, 0x440, v16
	v_or_b32_e32 v117, 0x6000, v10
	v_cndmask_b32_e32 v16, v18, v16, vcc
	v_or_b32_e32 v119, 0x6080, v10
	v_or_b32_e32 v120, 0x6100, v10
	;; [unrolled: 1-line block ×5, first 2 shown]
	v_xor_b32_e32 v10, v20, v10
	v_xad_u32 v118, v16, v17, v15
	v_xor_b32_e32 v16, 0x440, v10
	v_cndmask_b32_e32 v10, v16, v10, vcc
	v_or_b32_e32 v10, v10, v7
	v_xad_u32 v122, v10, v17, v15
	v_or_b32_e32 v10, 0x60, v11
	v_xor_b32_e32 v10, v20, v10
	v_xor_b32_e32 v11, 0x440, v10
	v_cndmask_b32_e32 v10, v11, v10, vcc
	v_or_b32_e32 v8, s2, v76
	v_or_b32_e32 v7, v10, v7
	v_ashrrev_i32_e32 v9, 31, v8
	v_or_b32_e32 v14, 0x100, v3
	v_xad_u32 v123, v7, v17, v15
	v_cndmask_b32_e64 v124, v12, v3, s[0:1]
	v_cndmask_b32_e64 v125, v13, v14, s[0:1]
	v_lshl_add_u64 v[68:69], v[8:9], 1, s[8:9]
	v_lshl_add_u64 v[70:71], v[4:5], 0, v[66:67]
	s_mov_b32 s3, 0x7060302
	v_lshlrev_b32_e32 v66, 1, v6
	v_add_u32_e32 v127, v19, v116
	v_add_u32_e32 v128, v19, v118
	;; [unrolled: 1-line block ×4, first 2 shown]
	v_mov_b32_e32 v56, v67
	v_mov_b32_e32 v57, v67
	;; [unrolled: 1-line block ×22, first 2 shown]
	s_barrier
	s_branch .LBB62_7
.LBB62_6:                               ;   in Loop: Header=BB62_7 Depth=1
	v_exp_f32_e32 v132, s20
	v_accvgpr_read_b32 v5, a3
	v_accvgpr_read_b32 v9, a7
	;; [unrolled: 1-line block ×4, first 2 shown]
	s_waitcnt vmcnt(4)
	v_accvgpr_read_b32 v18, a20
	v_accvgpr_read_b32 v25, a19
	;; [unrolled: 1-line block ×28, first 2 shown]
	s_add_i32 s57, s57, 64
	v_pk_fma_f32 v[62:63], v[132:133], v[62:63], v[2:3] op_sel_hi:[0,1,1]
	v_pk_fma_f32 v[64:65], v[132:133], v[64:65], v[4:5] op_sel_hi:[0,1,1]
	;; [unrolled: 1-line block ×16, first 2 shown]
	s_cmp_eq_u32 s48, s63
	s_mov_b32 s64, s63
	s_cbranch_scc1 .LBB62_17
.LBB62_7:                               ; =>This Inner Loop Header: Depth=1
	s_add_i32 s63, s64, 1
	s_cmp_lt_i32 s63, s48
	s_mov_b64 s[24:25], 0
	s_cselect_b64 s[42:43], -1, 0
	s_cmp_ge_i32 s63, s48
	s_mov_b64 s[20:21], 0
	s_cbranch_scc1 .LBB62_9
; %bb.8:                                ;   in Loop: Header=BB62_7 Depth=1
	s_add_i32 s0, s57, 64
	s_add_u32 s0, s38, s0
	s_addc_u32 s1, s39, 0
	s_lshl_b64 s[0:1], s[0:1], 8
	s_add_u32 s20, s6, s0
	s_addc_u32 s21, s7, s1
.LBB62_9:                               ;   in Loop: Header=BB62_7 Depth=1
	v_cndmask_b32_e64 v2, 0, 1, s[42:43]
	v_cmp_ne_u32_e64 s[0:1], 1, v2
	s_andn2_b64 vcc, exec, s[42:43]
	s_cbranch_vccnz .LBB62_11
; %bb.10:                               ;   in Loop: Header=BB62_7 Depth=1
	s_add_i32 s24, s57, 64
	s_add_u32 s24, s60, s24
	s_addc_u32 s25, s61, 0
	s_mul_i32 s27, s24, s49
	s_mul_hi_u32 s42, s24, s53
	s_add_i32 s27, s42, s27
	s_mul_i32 s25, s25, s53
	s_add_i32 s27, s27, s25
	s_mul_i32 s24, s24, s53
	s_add_u32 s24, s24, s52
	s_addc_u32 s25, s27, s55
	s_lshl_b64 s[24:25], s[24:25], 8
	s_add_u32 s24, s4, s24
	s_addc_u32 s25, s5, s25
.LBB62_11:                              ;   in Loop: Header=BB62_7 Depth=1
	v_perm_b32 v3, v65, v64, s3
	v_perm_b32 v2, v63, v62, s3
	v_perm_b32 v5, v61, v60, s3
	v_perm_b32 v4, v59, v58, s3
	ds_write_b64 v86, v[2:3]
	ds_write_b64 v87, v[4:5]
	ds_write_b64 v89, v[2:3]
	ds_write_b64 v90, v[4:5]
	v_perm_b32 v3, v57, v56, s3
	v_perm_b32 v2, v55, v54, s3
	v_perm_b32 v5, v53, v52, s3
	v_perm_b32 v4, v51, v50, s3
	ds_write_b64 v88, v[2:3]
	ds_write_b64 v91, v[4:5]
	ds_write_b64 v92, v[2:3]
	ds_write_b64 v93, v[4:5]
	;; [unrolled: 8-line block ×4, first 2 shown]
	s_waitcnt lgkmcnt(0)
	s_barrier
	ds_read_b64 v[6:7], v102 offset:49152
	ds_read2_b64 v[2:5], v103 offset1:16
	ds_read_b64 v[18:19], v105 offset:6144
	ds_read_b64 v[20:21], v103 offset:6144
	s_waitcnt lgkmcnt(2)
	v_mfma_f32_16x16x16_bf16 a[0:3], v[6:7], v[2:3], 0
	ds_read_b64 v[22:23], v104 offset:49152
	ds_read2st64_b64 v[10:13], v106 offset0:4 offset1:8
	ds_read2st64_b64 v[14:17], v107 offset0:4 offset1:8
	v_mfma_f32_16x16x16_bf16 a[4:7], v[6:7], v[4:5], 0
	ds_read2_b64 v[2:5], v103 offset0:32 offset1:48
	s_add_i32 s27, s57, 63
	s_mul_i32 s42, s27, s31
	s_waitcnt lgkmcnt(0)
	v_mfma_f32_16x16x16_bf16 a[8:11], v[6:7], v[2:3], 0
	s_mul_hi_u32 s43, s27, s30
	s_add_i32 s43, s43, s42
	s_mul_i32 s42, s27, s30
	v_mfma_f32_16x16x16_bf16 a[12:15], v[6:7], v[4:5], 0
	ds_read2st64_b64 v[2:5], v103 offset0:4 offset1:8
	ds_read2st64_b64 v[6:9], v105 offset0:4 offset1:8
	s_lshl_b64 s[42:43], s[42:43], 2
	s_waitcnt lgkmcnt(1)
	v_mfma_f32_16x16x16_bf16 a[0:3], v[22:23], v[2:3], a[0:3]
	s_add_u32 s42, s40, s42
	s_addc_u32 s43, s41, s43
	s_and_b64 vcc, exec, s[0:1]
	s_waitcnt lgkmcnt(0)
	v_mfma_f32_16x16x16_bf16 a[4:7], v[22:23], v[6:7], a[4:7]
	v_mov_b32_e32 v133, 0
	v_mov_b32_e32 v132, 0
	;; [unrolled: 1-line block ×3, first 2 shown]
	v_mfma_f32_16x16x16_bf16 a[8:11], v[22:23], v[10:11], a[8:11]
	ds_read_b64 v[2:3], v108 offset:49152
	ds_read_b64 v[6:7], v109 offset:49152
	;; [unrolled: 1-line block ×3, first 2 shown]
	v_mfma_f32_16x16x16_bf16 a[12:15], v[22:23], v[14:15], a[12:15]
	v_mov_b32_e32 v14, 0
	v_mov_b32_e32 v15, 0
	s_waitcnt lgkmcnt(2)
	v_mfma_f32_16x16x16_bf16 a[0:3], v[2:3], v[4:5], a[0:3]
	v_mov_b32_e32 v4, 0
	v_mov_b32_e32 v5, 0
	v_mfma_f32_16x16x16_bf16 a[16:19], v[2:3], v[8:9], a[4:7]
	v_mov_b32_e32 v8, 0
	v_mov_b32_e32 v9, 0
	;; [unrolled: 3-line block ×3, first 2 shown]
	v_mfma_f32_16x16x16_bf16 a[24:27], v[2:3], v[16:17], a[12:15]
	ds_read_b64 v[2:3], v106 offset:6144
	v_mov_b32_e32 v16, 0
	v_mov_b32_e32 v17, 0
	s_waitcnt lgkmcnt(2)
	v_mfma_f32_16x16x16_bf16 a[4:7], v[6:7], v[20:21], a[0:3]
	v_mfma_f32_16x16x16_bf16 a[8:11], v[6:7], v[18:19], a[16:19]
	s_waitcnt lgkmcnt(0)
	v_mfma_f32_16x16x16_bf16 a[12:15], v[6:7], v[2:3], a[20:23]
	v_mov_b32_e32 v2, 0
	v_mov_b32_e32 v3, 0
	v_mfma_f32_16x16x16_bf16 a[0:3], v[6:7], v[10:11], a[24:27]
	v_mov_b32_e32 v6, 0
	v_mov_b32_e32 v7, 0
	v_mov_b32_e32 v10, 0
	v_mov_b32_e32 v11, 0
	s_cbranch_vccnz .LBB62_13
; %bb.12:                               ;   in Loop: Header=BB62_7 Depth=1
	s_and_b32 s21, s21, 0xffff
	buffer_load_dwordx4 v[14:17], v82, s[20:23], 0 offen
	buffer_load_dwordx4 v[10:13], v82, s[20:23], s56 offen
	;; [unrolled: 1-line block ×4, first 2 shown]
	v_mov_b32_e32 v132, v84
	v_mov_b32_e32 v131, v85
.LBB62_13:                              ;   in Loop: Header=BB62_7 Depth=1
	ds_read_b64 v[134:135], v102 offset:57344
	ds_read2_b64 v[18:21], v110 offset1:16
	ds_read_b64 v[136:137], v104 offset:57344
	ds_read_b64 v[138:139], v108 offset:57344
	;; [unrolled: 1-line block ×3, first 2 shown]
	v_add_u32_e32 v142, s57, v126
	s_waitcnt lgkmcnt(3)
	v_mfma_f32_16x16x16_bf16 a[4:7], v[134:135], v[18:19], a[4:7]
	v_mfma_f32_16x16x16_bf16 a[8:11], v[134:135], v[20:21], a[8:11]
	ds_read2_b64 v[18:21], v110 offset0:32 offset1:48
	ds_read2st64_b64 v[22:25], v110 offset0:4 offset1:8
	ds_read2st64_b64 v[26:29], v111 offset0:4 offset1:8
	;; [unrolled: 1-line block ×3, first 2 shown]
	s_waitcnt lgkmcnt(3)
	v_mfma_f32_16x16x16_bf16 a[12:15], v[134:135], v[18:19], a[12:15]
	v_ashrrev_i32_e32 v18, 31, v142
	v_mfma_f32_16x16x16_bf16 a[0:3], v[134:135], v[20:21], a[0:3]
	v_mul_lo_u32 v20, v18, s30
	v_mul_lo_u32 v21, v142, s31
	v_mad_u64_u32 v[18:19], s[20:21], v142, s30, 0
	v_add3_u32 v19, v19, v21, v20
	v_add_u32_e32 v20, 1, v142
	v_ashrrev_i32_e32 v21, 31, v20
	s_waitcnt lgkmcnt(2)
	v_mfma_f32_16x16x16_bf16 a[4:7], v[136:137], v[22:23], a[4:7]
	v_mul_lo_u32 v22, v21, s30
	v_mul_lo_u32 v23, v20, s31
	v_mad_u64_u32 v[20:21], s[20:21], v20, s30, 0
	v_add3_u32 v21, v21, v23, v22
	v_add_u32_e32 v22, 2, v142
	v_ashrrev_i32_e32 v23, 31, v22
	s_waitcnt lgkmcnt(1)
	v_mfma_f32_16x16x16_bf16 a[8:11], v[136:137], v[26:27], a[8:11]
	v_mul_lo_u32 v26, v23, s30
	v_mul_lo_u32 v27, v22, s31
	v_mad_u64_u32 v[22:23], s[20:21], v22, s30, 0
	v_add3_u32 v23, v23, v27, v26
	v_add_u32_e32 v26, 3, v142
	v_ashrrev_i32_e32 v27, 31, v26
	v_mul_lo_u32 v134, v27, s30
	v_mul_lo_u32 v135, v26, s31
	v_mad_u64_u32 v[26:27], s[20:21], v26, s30, 0
	s_add_u32 s20, s38, s57
	s_addc_u32 s21, s39, 0
	v_lshl_add_u64 v[18:19], v[18:19], 2, s[40:41]
	v_add3_u32 v27, v27, v135, v134
	s_lshl_b64 s[20:21], s[20:21], 8
	v_lshl_add_u64 v[20:21], v[20:21], 2, s[40:41]
	v_lshl_add_u64 v[22:23], v[22:23], 2, s[40:41]
	;; [unrolled: 1-line block ×3, first 2 shown]
	global_load_dword v134, v[18:19], off
	global_load_dword v135, v[20:21], off
	;; [unrolled: 1-line block ×4, first 2 shown]
	v_lshl_add_u64 v[18:19], v[68:69], 0, s[20:21]
	v_lshl_add_u64 v[22:23], v[18:19], 0, v[66:67]
	global_load_ushort v144, v[22:23], off offset:256
	global_load_ushort v145, v[22:23], off
	ds_read2st64_b64 v[18:21], v113 offset0:4 offset1:8
	global_load_ushort v146, v[22:23], off offset:768
	global_load_ushort v147, v[22:23], off offset:512
	s_waitcnt lgkmcnt(1)
	v_mfma_f32_16x16x16_bf16 a[12:15], v[136:137], v[30:31], a[12:15]
	s_and_b64 vcc, exec, s[0:1]
	s_waitcnt vmcnt(3)
	v_lshlrev_b32_e32 v31, 16, v144
	s_waitcnt lgkmcnt(0)
	v_mfma_f32_16x16x16_bf16 a[0:3], v[136:137], v[18:19], a[0:3]
	global_load_ushort v136, v[22:23], off offset:288
	global_load_ushort v137, v[22:23], off offset:32
	global_load_ushort v148, v[22:23], off offset:800
	global_load_ushort v149, v[22:23], off offset:544
	global_load_ushort v150, v[22:23], off offset:320
	global_load_ushort v151, v[22:23], off offset:64
	global_load_ushort v152, v[22:23], off offset:832
	global_load_ushort v153, v[22:23], off offset:576
	v_mfma_f32_16x16x16_bf16 a[4:7], v[138:139], v[24:25], a[4:7]
	ds_read_b64 v[18:19], v110 offset:6144
	s_waitcnt vmcnt(10)
	v_lshlrev_b32_e32 v30, 16, v145
	v_mfma_f32_16x16x16_bf16 a[8:11], v[138:139], v[28:29], a[8:11]
	v_mfma_f32_16x16x16_bf16 a[12:15], v[138:139], v[32:33], a[12:15]
	;; [unrolled: 1-line block ×3, first 2 shown]
	global_load_ushort v138, v[22:23], off offset:352
	global_load_ushort v139, v[22:23], off offset:96
	ds_read_b64 v[20:21], v111 offset:6144
	ds_read_b64 v[24:25], v112 offset:6144
	;; [unrolled: 1-line block ×3, first 2 shown]
	global_load_ushort v154, v[22:23], off offset:864
	global_load_ushort v155, v[22:23], off offset:608
	s_load_dword s20, s[42:43], 0x0
	s_waitcnt lgkmcnt(0)
	v_mfma_f32_16x16x16_bf16 a[4:7], v[140:141], v[18:19], a[4:7]
	v_sub_f32_e32 v28, s20, v142
	v_mfma_f32_16x16x16_bf16 a[0:3], v[140:141], v[26:27], a[0:3]
	v_sub_f32_e32 v26, s20, v134
	v_sub_f32_e32 v27, s20, v135
	;; [unrolled: 1-line block ×3, first 2 shown]
	v_mfma_f32_16x16x16_bf16 a[8:11], v[140:141], v[20:21], a[8:11]
	v_exp_f32_e32 v26, v26
	v_exp_f32_e32 v27, v27
	v_exp_f32_e32 v28, v28
	v_exp_f32_e32 v29, v29
	v_accvgpr_read_b32 v33, a5
	v_accvgpr_read_b32 v32, a4
	;; [unrolled: 1-line block ×4, first 2 shown]
	v_pk_add_f32 v[30:31], v[30:31], v[32:33] neg_lo:[0,1] neg_hi:[0,1]
	s_waitcnt vmcnt(13)
	v_lshlrev_b32_e32 v33, 16, v146
	s_waitcnt vmcnt(12)
	v_lshlrev_b32_e32 v32, 16, v147
	v_pk_add_f32 v[18:19], v[32:33], v[18:19] neg_lo:[0,1] neg_hi:[0,1]
	v_pk_mul_f32 v[30:31], v[26:27], v[30:31]
	v_pk_mul_f32 v[18:19], v[28:29], v[18:19]
	v_accvgpr_read_b32 v33, a9
	v_perm_b32 v19, v19, v18, s3
	v_perm_b32 v18, v31, v30, s3
	v_accvgpr_read_b32 v32, a8
	v_accvgpr_read_b32 v21, a11
	v_mfma_f32_16x16x16_bf16 a[12:15], v[140:141], v[24:25], a[12:15]
	v_accvgpr_read_b32 v20, a10
	v_accvgpr_read_b32 v25, a3
	;; [unrolled: 1-line block ×3, first 2 shown]
	v_mov_b32_e32 v134, 0
	s_waitcnt vmcnt(11)
	v_lshlrev_b32_e32 v31, 16, v136
	s_waitcnt vmcnt(10)
	v_lshlrev_b32_e32 v30, 16, v137
	v_pk_add_f32 v[30:31], v[30:31], v[32:33] neg_lo:[0,1] neg_hi:[0,1]
	s_waitcnt vmcnt(9)
	v_lshlrev_b32_e32 v33, 16, v148
	s_waitcnt vmcnt(8)
	v_lshlrev_b32_e32 v32, 16, v149
	v_pk_add_f32 v[20:21], v[32:33], v[20:21] neg_lo:[0,1] neg_hi:[0,1]
	v_pk_mul_f32 v[30:31], v[26:27], v[30:31]
	v_pk_mul_f32 v[20:21], v[28:29], v[20:21]
	v_accvgpr_read_b32 v23, a15
	v_perm_b32 v21, v21, v20, s3
	v_perm_b32 v20, v31, v30, s3
	ds_write2_b64 v87, v[18:19], v[20:21] offset1:16
	v_accvgpr_read_b32 v21, a13
	s_waitcnt vmcnt(7)
	v_lshlrev_b32_e32 v19, 16, v150
	s_waitcnt vmcnt(6)
	v_lshlrev_b32_e32 v18, 16, v151
	v_accvgpr_read_b32 v20, a12
	v_accvgpr_read_b32 v22, a14
	v_pk_add_f32 v[18:19], v[18:19], v[20:21] neg_lo:[0,1] neg_hi:[0,1]
	s_waitcnt vmcnt(5)
	v_lshlrev_b32_e32 v21, 16, v152
	s_waitcnt vmcnt(4)
	v_lshlrev_b32_e32 v20, 16, v153
	v_pk_add_f32 v[20:21], v[20:21], v[22:23] neg_lo:[0,1] neg_hi:[0,1]
	v_pk_mul_f32 v[18:19], v[26:27], v[18:19]
	v_pk_mul_f32 v[20:21], v[28:29], v[20:21]
	v_accvgpr_read_b32 v23, a1
	v_perm_b32 v21, v21, v20, s3
	v_perm_b32 v20, v19, v18, s3
	s_waitcnt vmcnt(3)
	v_lshlrev_b32_e32 v19, 16, v138
	s_waitcnt vmcnt(2)
	v_lshlrev_b32_e32 v18, 16, v139
	v_accvgpr_read_b32 v22, a0
	v_pk_add_f32 v[18:19], v[18:19], v[22:23] neg_lo:[0,1] neg_hi:[0,1]
	s_waitcnt vmcnt(1)
	v_lshlrev_b32_e32 v23, 16, v154
	s_waitcnt vmcnt(0)
	v_lshlrev_b32_e32 v22, 16, v155
	v_pk_add_f32 v[22:23], v[22:23], v[24:25] neg_lo:[0,1] neg_hi:[0,1]
	v_pk_mul_f32 v[18:19], v[26:27], v[18:19]
	v_pk_mul_f32 v[22:23], v[28:29], v[22:23]
	v_mov_b32_e32 v24, 0
	v_perm_b32 v23, v23, v22, s3
	v_perm_b32 v22, v19, v18, s3
	ds_write2_b64 v87, v[20:21], v[22:23] offset0:32 offset1:48
	v_mov_b32_e32 v18, 0
	v_mov_b32_e32 v19, 0
	;; [unrolled: 1-line block ×15, first 2 shown]
	s_cbranch_vccnz .LBB62_15
; %bb.14:                               ;   in Loop: Header=BB62_7 Depth=1
	s_and_b32 s25, s25, 0xffff
	s_mov_b32 s27, s23
	buffer_load_dwordx4 v[30:33], v124, s[24:27], 0 offen
	buffer_load_dwordx4 v[22:25], v124, s[24:27], s56 offen
	;; [unrolled: 1-line block ×4, first 2 shown]
	v_mov_b32_e32 v133, v81
	v_mov_b32_e32 v134, v80
.LBB62_15:                              ;   in Loop: Header=BB62_7 Depth=1
	s_waitcnt lgkmcnt(0)
	s_barrier
	ds_read_b64 v[144:145], v127
	ds_read2_b64 v[136:139], v117 offset1:16
	ds_read_b64 v[160:161], v128
	ds_read_b64 v[162:163], v129
	;; [unrolled: 1-line block ×3, first 2 shown]
	ds_read2_b64 v[140:143], v117 offset0:32 offset1:48
	s_waitcnt lgkmcnt(4)
	v_mfma_f32_16x16x16_bf16 a[0:3], v[144:145], v[136:137], 0
	ds_read2st64_b64 v[148:151], v119 offset0:4 offset1:8
	ds_read2st64_b64 v[152:155], v120 offset0:4 offset1:8
	;; [unrolled: 1-line block ×3, first 2 shown]
	v_mfma_f32_16x16x16_bf16 a[4:7], v[144:145], v[138:139], 0
	s_add_i32 s21, s50, s64
	s_mul_hi_i32 s25, s21, s13
	s_mul_i32 s21, s21, s13
	s_waitcnt lgkmcnt(3)
	v_mfma_f32_16x16x16_bf16 a[8:11], v[144:145], v[140:141], 0
	s_add_u32 s24, s21, s33
	s_addc_u32 s25, s25, s54
	s_lshl_b64 s[24:25], s[24:25], 15
	v_mfma_f32_16x16x16_bf16 a[12:15], v[144:145], v[142:143], 0
	ds_read2st64_b64 v[144:147], v117 offset0:4 offset1:8
	s_waitcnt lgkmcnt(0)
	v_mfma_f32_16x16x16_bf16 a[0:3], v[160:161], v[144:145], a[0:3]
	v_mfma_f32_16x16x16_bf16 a[4:7], v[160:161], v[148:149], a[4:7]
	;; [unrolled: 1-line block ×8, first 2 shown]
	ds_read_b64 v[160:161], v117 offset:6144
	ds_read_b64 v[162:163], v118 offset:40960
	ds_read_b64 v[166:167], v116 offset:40960
	ds_read_b64 v[168:169], v119 offset:6144
	ds_read_b64 v[170:171], v120 offset:6144
	ds_read_b64 v[172:173], v121 offset:6144
	ds_read_b64 v[174:175], v122 offset:40960
	ds_read_b64 v[176:177], v123 offset:40960
	s_waitcnt lgkmcnt(5)
	v_mfma_f32_16x16x16_bf16 a[16:19], v[166:167], v[136:137], 0
	v_mfma_f32_16x16x16_bf16 a[20:23], v[166:167], v[138:139], 0
	ds_read2st64_b64 v[136:139], v114 offset1:8
	v_mfma_f32_16x16x16_bf16 a[24:27], v[166:167], v[140:141], 0
	v_mfma_f32_16x16x16_bf16 a[28:31], v[166:167], v[142:143], 0
	ds_read2st64_b64 v[140:143], v115 offset1:8
	v_mfma_f32_16x16x16_bf16 a[16:19], v[162:163], v[144:145], a[16:19]
	s_waitcnt lgkmcnt(1)
	v_mov_b32_e32 v144, v136
	v_mov_b32_e32 v145, v137
	v_mfma_f32_16x16x16_bf16 a[20:23], v[162:163], v[148:149], a[20:23]
	v_lshl_add_u64 v[148:149], v[70:71], 0, s[24:25]
	v_mfma_f32_16x16x16_bf16 a[24:27], v[162:163], v[152:153], a[24:27]
	v_mfma_f32_16x16x16_bf16 a[28:31], v[162:163], v[156:157], a[28:31]
	;; [unrolled: 1-line block ×3, first 2 shown]
	s_waitcnt lgkmcnt(0)
	v_mov_b32_e32 v146, v140
	v_mov_b32_e32 v147, v141
	;; [unrolled: 1-line block ×3, first 2 shown]
	v_mfma_f32_16x16x16_bf16 a[32:35], v[174:175], v[150:151], a[20:23]
	v_mov_b32_e32 v141, v139
	ds_read2st64_b64 v[136:139], v114 offset0:16 offset1:24
	global_store_dwordx4 v[148:149], v[144:147], off
	v_mfma_f32_16x16x16_bf16 a[24:27], v[174:175], v[154:155], a[24:27]
	ds_read2st64_b64 v[144:147], v115 offset0:16 offset1:24
	v_add_co_u32_e32 v150, vcc, s35, v148
	v_mfma_f32_16x16x16_bf16 a[28:31], v[174:175], v[158:159], a[28:31]
	s_nop 0
	v_addc_co_u32_e32 v151, vcc, 0, v149, vcc
	global_store_dwordx4 v[150:151], v[140:143], off offset:-4096
	v_mfma_f32_16x16x16_bf16 a[0:3], v[164:165], v[160:161], a[0:3]
	s_waitcnt lgkmcnt(1)
	v_mov_b32_e32 v140, v136
	v_add_co_u32_e32 v136, vcc, s62, v148
	v_mfma_f32_16x16x16_bf16 a[4:7], v[164:165], v[168:169], a[4:7]
	v_mov_b32_e32 v141, v137
	v_addc_co_u32_e32 v137, vcc, 0, v149, vcc
	v_mfma_f32_16x16x16_bf16 a[8:11], v[164:165], v[170:171], a[8:11]
	s_waitcnt lgkmcnt(0)
	v_mov_b32_e32 v142, v144
	v_mov_b32_e32 v143, v145
	;; [unrolled: 1-line block ×3, first 2 shown]
	v_mfma_f32_16x16x16_bf16 a[12:15], v[164:165], v[172:173], a[12:15]
	v_mov_b32_e32 v145, v139
	s_and_b64 vcc, exec, s[0:1]
	global_store_dwordx4 v[150:151], v[140:143], off
	v_mfma_f32_16x16x16_bf16 a[20:23], v[176:177], v[160:161], a[16:19]
	global_store_dwordx4 v[136:137], v[144:147], off
	v_mfma_f32_16x16x16_bf16 a[16:19], v[176:177], v[168:169], a[32:35]
	v_mfma_f32_16x16x16_bf16 a[24:27], v[176:177], v[170:171], a[24:27]
	;; [unrolled: 1-line block ×3, first 2 shown]
	s_cbranch_vccnz .LBB62_6
; %bb.16:                               ;   in Loop: Header=BB62_7 Depth=1
	v_lshrrev_b32_e32 v135, 3, v133
	v_and_b32_e32 v135, 6, v135
	v_xor_b32_e32 v134, v135, v134
	v_lshlrev_b32_e32 v134, 2, v134
	v_and_b32_e32 v133, 8, v133
	v_xor_b32_e32 v136, 0x440, v134
	v_cmp_eq_u32_e32 vcc, 0, v133
	s_barrier
	s_nop 0
	v_cndmask_b32_e32 v133, v136, v134, vcc
	v_lshl_or_b32 v133, v135, 10, v133
	s_waitcnt vmcnt(5)
	v_perm_b32 v134, v30, v26, s58
	s_waitcnt vmcnt(4)
	v_perm_b32 v135, v22, v18, s58
	ds_write2st64_b32 v133, v134, v135 offset0:128 offset1:160
	v_xor_b32_e32 v134, 8, v133
	v_perm_b32 v26, v30, v26, s59
	v_perm_b32 v18, v22, v18, s59
	v_add_u32_e32 v22, 0x80, v134
	ds_write2st64_b32 v22, v26, v18 offset0:128 offset1:160
	v_xor_b32_e32 v18, 16, v133
	v_perm_b32 v22, v31, v27, s58
	v_perm_b32 v26, v23, v19, s58
	ds_write2st64_b32 v18, v22, v26 offset0:129 offset1:161
	v_xor_b32_e32 v18, 24, v133
	v_perm_b32 v22, v31, v27, s59
	v_perm_b32 v19, v23, v19, s59
	v_add_u32_e32 v18, 0x80, v18
	ds_write2st64_b32 v18, v22, v19 offset0:129 offset1:161
	v_xor_b32_e32 v18, 32, v133
	v_perm_b32 v19, v32, v28, s58
	;; [unrolled: 9-line block ×3, first 2 shown]
	v_perm_b32 v20, v25, v21, s58
	ds_write2st64_b32 v18, v19, v20 offset0:131 offset1:163
	v_xor_b32_e32 v18, 56, v133
	v_perm_b32 v19, v33, v29, s59
	v_perm_b32 v20, v25, v21, s59
	v_add_u32_e32 v18, 0x80, v18
	ds_write2st64_b32 v18, v19, v20 offset0:131 offset1:163
	ds_write_b64 v132, v[14:15] offset:49152
	v_xor_b32_e32 v14, 8, v132
	ds_write_b64 v14, v[16:17] offset:49152
	ds_write_b64 v132, v[10:11] offset:57344
	;; [unrolled: 1-line block ×4, first 2 shown]
	v_xor_b32_e32 v6, 8, v131
	ds_write_b64 v6, v[8:9] offset:49152
	ds_write_b64 v131, v[2:3] offset:57344
	;; [unrolled: 1-line block ×3, first 2 shown]
	s_branch .LBB62_6
.LBB62_17:
	s_lshl_b32 s42, s48, 6
	s_sub_i32 s43, s12, s42
	s_cmp_gt_i32 s43, 0
	v_or_b32_e32 v18, s2, v76
	s_cbranch_scc1 .LBB62_19
; %bb.18:
	s_ashr_i32 s0, s33, 31
	s_add_u32 s24, s45, s33
	s_addc_u32 s25, s51, s0
	v_or_b32_e32 v2, s2, v76
	s_cbranch_execz .LBB62_20
	s_branch .LBB62_100
.LBB62_19:
                                        ; implicit-def: $sgpr24_sgpr25
                                        ; implicit-def: $vgpr2
.LBB62_20:
	s_ashr_i32 s35, s47, 31
	s_ashr_i32 s3, s42, 31
	s_cmpk_lg_i32 s15, 0x80
	s_cselect_b64 s[38:39], -1, 0
	s_and_b64 vcc, exec, s[38:39]
	s_cbranch_vccz .LBB62_22
; %bb.21:
	s_mul_i32 s1, s47, s12
	s_mul_hi_i32 s0, s47, s12
	s_add_u32 s1, s1, s42
	s_addc_u32 s0, s0, s3
	s_mul_i32 s20, s1, s49
	s_mul_hi_u32 s21, s1, s14
	s_add_i32 s20, s21, s20
	s_mul_i32 s0, s0, s14
	s_add_i32 s20, s20, s0
	s_mul_i32 s1, s1, s14
	s_ashr_i32 s0, s52, 31
	s_add_u32 s40, s1, s52
	s_addc_u32 s41, s20, s0
	s_cbranch_execz .LBB62_23
	s_branch .LBB62_24
.LBB62_22:
                                        ; implicit-def: $sgpr40_sgpr41
.LBB62_23:
	s_mul_hi_i32 s0, s47, s14
	s_mul_i32 s47, s47, s14
	s_ashr_i32 s1, s52, 31
	s_add_u32 s14, s47, s52
	s_addc_u32 s0, s0, s1
	s_mul_i32 s1, s14, s46
	s_mul_hi_u32 s20, s14, s12
	s_add_i32 s1, s20, s1
	s_mul_i32 s0, s0, s12
	s_add_i32 s1, s1, s0
	s_mul_i32 s14, s14, s12
	s_add_u32 s40, s14, s42
	s_addc_u32 s41, s1, s3
.LBB62_24:
	s_add_i32 s20, s50, s48
	s_ashr_i32 s14, s33, 31
	s_add_u32 s24, s45, s33
	s_addc_u32 s25, s51, s14
	s_mul_i32 s0, s24, s46
	s_mul_hi_u32 s1, s24, s12
	s_add_i32 s0, s1, s0
	s_mul_i32 s1, s25, s12
	s_add_i32 s1, s0, s1
	s_mul_i32 s0, s24, s12
	s_add_u32 s0, s0, s42
	v_lshlrev_b32_e32 v6, 6, v1
	v_lshlrev_b32_e32 v26, 2, v76
	s_addc_u32 s1, s1, s3
	s_mov_b32 s3, 0x7060302
	v_or_b32_e32 v9, v6, v26
	v_xor_b32_e32 v7, v1, v26
	v_perm_b32 v3, v65, v64, s3
	v_perm_b32 v2, v63, v62, s3
	;; [unrolled: 1-line block ×4, first 2 shown]
	v_lshlrev_b32_e32 v9, 1, v9
	v_xor_b32_e32 v8, v79, v26
	ds_write2st64_b64 v9, v[2:3], v[4:5] offset0:32 offset1:48
	v_lshlrev_b32_e32 v7, 1, v7
	v_lshlrev_b32_e32 v9, 8, v76
	v_or_b32_e32 v10, v7, v9
	v_lshlrev_b32_e32 v8, 1, v8
	ds_write_b64 v10, v[2:3]
	v_or_b32_e32 v2, v8, v9
	v_or_b32_e32 v9, 16, v76
	v_lshlrev_b32_e32 v25, 2, v9
	v_or_b32_e32 v10, v6, v25
	ds_write_b64 v2, v[4:5]
	v_perm_b32 v3, v57, v56, s3
	v_perm_b32 v2, v55, v54, s3
	;; [unrolled: 1-line block ×4, first 2 shown]
	v_lshlrev_b32_e32 v10, 1, v10
	v_lshlrev_b32_e32 v9, 8, v9
	ds_write2st64_b64 v10, v[2:3], v[4:5] offset0:32 offset1:48
	v_or_b32_e32 v10, v7, v9
	ds_write_b64 v10, v[2:3]
	v_or_b32_e32 v2, v8, v9
	v_or_b32_e32 v9, 32, v76
	v_lshlrev_b32_e32 v24, 2, v9
	v_or_b32_e32 v10, v6, v24
	ds_write_b64 v2, v[4:5]
	v_perm_b32 v3, v49, v48, s3
	v_perm_b32 v2, v47, v46, s3
	;; [unrolled: 1-line block ×4, first 2 shown]
	v_lshlrev_b32_e32 v10, 1, v10
	v_lshlrev_b32_e32 v9, 8, v9
	s_lshl_b64 s[26:27], s[0:1], 8
	ds_write2st64_b64 v10, v[2:3], v[4:5] offset0:32 offset1:48
	v_or_b32_e32 v10, v7, v9
	s_add_u32 s0, s6, s26
	ds_write_b64 v10, v[2:3]
	v_or_b32_e32 v2, v8, v9
	s_addc_u32 s1, s7, s27
	ds_write_b64 v2, v[4:5]
	v_perm_b32 v3, v41, v40, s3
	v_perm_b32 v2, v39, v38, s3
	;; [unrolled: 1-line block ×4, first 2 shown]
	v_or_b32_e32 v9, 48, v76
	s_mul_hi_i32 s3, s20, s13
	s_mul_i32 s20, s20, s13
	v_lshlrev_b32_e32 v21, 2, v9
	s_add_u32 s6, s20, s33
	v_or_b32_e32 v6, v6, v21
	s_addc_u32 s7, s3, s14
	v_lshlrev_b32_e32 v6, 1, v6
	s_ashr_i32 s3, s2, 31
	s_lshl_b64 s[6:7], s[6:7], 15
	ds_write2st64_b64 v6, v[2:3], v[4:5] offset0:32 offset1:48
	v_lshlrev_b32_e32 v6, 8, v9
	s_waitcnt lgkmcnt(0)
	s_add_u32 s6, s36, s6
	v_or_b32_e32 v7, v7, v6
	s_addc_u32 s7, s37, s7
	s_lshl_b64 s[2:3], s[2:3], 8
	ds_write_b64 v7, v[2:3]
	v_or_b32_e32 v2, v8, v6
	s_add_u32 s2, s6, s2
	v_lshlrev_b32_e32 v3, 1, v76
	ds_write_b64 v2, v[4:5]
	v_lshrrev_b32_e32 v2, 4, v0
	s_addc_u32 s3, s7, s3
	v_or_b32_e32 v4, 1, v3
	v_lshlrev_b32_e32 v10, 4, v76
	v_mov_b32_e32 v11, 0
	v_xor_b32_e32 v3, v2, v3
	v_xor_b32_e32 v6, v4, v2
	v_lshl_add_u64 v[12:13], s[2:3], 0, v[10:11]
	v_lshlrev_b32_e32 v10, 8, v2
	v_lshl_or_b32 v16, v3, 3, v10
	v_lshl_or_b32 v17, v6, 3, v10
	s_waitcnt lgkmcnt(0)
	s_barrier
	ds_read2st64_b64 v[2:5], v16 offset1:8
	ds_read2st64_b64 v[6:9], v17 offset1:8
	v_lshl_add_u64 v[14:15], v[12:13], 0, v[10:11]
	s_movk_i32 s2, 0x2000
	s_cmp_lg_u32 s43, 64
	s_waitcnt lgkmcnt(1)
	v_mov_b32_e32 v10, v2
	v_mov_b32_e32 v11, v3
	s_waitcnt lgkmcnt(0)
	v_mov_b32_e32 v12, v6
	v_mov_b32_e32 v13, v7
	global_store_dwordx4 v[14:15], v[10:13], off
	v_mov_b32_e32 v6, v4
	v_mov_b32_e32 v7, v5
	ds_read2st64_b64 v[2:5], v16 offset0:16 offset1:24
	ds_read2st64_b64 v[10:13], v17 offset0:16 offset1:24
	v_add_co_u32_e32 v16, vcc, s2, v14
	s_cselect_b64 s[6:7], -1, 0
	s_nop 0
	v_addc_co_u32_e32 v17, vcc, 0, v15, vcc
	global_store_dwordx4 v[16:17], v[6:9], off offset:-4096
	v_lshl_or_b32 v19, v72, 3, v78
	s_mov_b32 s20, 0
	s_waitcnt lgkmcnt(1)
	v_mov_b32_e32 v6, v2
	v_add_co_u32_e32 v2, vcc, 0x3000, v14
	v_mov_b32_e32 v7, v3
	s_nop 0
	v_addc_co_u32_e32 v3, vcc, 0, v15, vcc
	s_waitcnt lgkmcnt(0)
	v_mov_b32_e32 v8, v10
	v_mov_b32_e32 v9, v11
	;; [unrolled: 1-line block ×4, first 2 shown]
	v_or_b32_e32 v22, 32, v19
	v_and_b32_e32 v20, 56, v77
	s_and_b64 vcc, exec, s[6:7]
	global_store_dwordx4 v[16:17], v[6:9], off
	global_store_dwordx4 v[2:3], v[10:13], off
	s_cbranch_vccz .LBB62_30
; %bb.25:
	s_mov_b32 s21, s20
	s_mov_b32 s22, s20
	;; [unrolled: 1-line block ×3, first 2 shown]
	v_mov_b64_e32 v[6:7], s[20:21]
	v_mov_b64_e32 v[8:9], s[22:23]
	;; [unrolled: 1-line block ×3, first 2 shown]
	v_cmp_gt_i32_e32 vcc, s43, v19
	v_mov_b64_e32 v[4:5], v[8:9]
	s_and_saveexec_b64 s[2:3], vcc
	s_cbranch_execz .LBB62_27
; %bb.26:
	v_lshlrev_b32_e32 v2, 8, v19
	v_mov_b32_e32 v3, 0
	v_lshl_add_u64 v[4:5], s[0:1], 0, v[2:3]
	v_lshlrev_b32_e32 v2, 1, v20
	v_lshl_add_u64 v[10:11], v[4:5], 0, v[2:3]
	global_load_dwordx4 v[6:9], v[10:11], off
	global_load_dwordx4 v[2:5], v[10:11], off offset:128
.LBB62_27:
	s_or_b64 exec, exec, s[2:3]
	s_mov_b32 s21, s20
	s_mov_b32 s22, s20
	;; [unrolled: 1-line block ×3, first 2 shown]
	v_mov_b64_e32 v[14:15], s[20:21]
	v_mov_b64_e32 v[16:17], s[22:23]
	;; [unrolled: 1-line block ×3, first 2 shown]
	v_cmp_gt_i32_e32 vcc, s43, v22
	v_lshlrev_b32_e32 v23, 7, v22
	v_mov_b64_e32 v[12:13], v[16:17]
	s_and_saveexec_b64 s[2:3], vcc
	s_cbranch_execz .LBB62_29
; %bb.28:
	v_lshlrev_b32_e32 v10, 1, v23
	v_mov_b32_e32 v11, 0
	v_lshl_add_u64 v[12:13], s[0:1], 0, v[10:11]
	v_lshlrev_b32_e32 v10, 1, v20
	v_lshl_add_u64 v[28:29], v[12:13], 0, v[10:11]
	global_load_dwordx4 v[14:17], v[28:29], off
	global_load_dwordx4 v[10:13], v[28:29], off offset:128
.LBB62_29:
	s_or_b64 exec, exec, s[2:3]
	v_lshrrev_b32_e32 v27, 3, v20
	v_lshlrev_b32_e32 v28, 3, v19
	v_or_b32_e32 v27, v28, v27
	v_lshlrev_b32_e32 v27, 4, v27
	v_and_b32_e32 v28, 0x78, v28
	v_xor_b32_e32 v27, v27, v28
	s_branch .LBB62_32
.LBB62_30:
                                        ; implicit-def: $vgpr27
                                        ; implicit-def: $vgpr23
                                        ; implicit-def: $vgpr6_vgpr7_vgpr8_vgpr9
                                        ; implicit-def: $vgpr2_vgpr3_vgpr4_vgpr5
                                        ; implicit-def: $vgpr14_vgpr15_vgpr16_vgpr17
                                        ; implicit-def: $vgpr10_vgpr11_vgpr12_vgpr13
	s_cbranch_execz .LBB62_32
; %bb.31:
	s_waitcnt vmcnt(0)
	v_lshlrev_b32_e32 v2, 1, v20
	v_lshl_or_b32 v23, v19, 8, v2
	s_and_b32 s1, s1, 0xffff
	s_mov_b32 s3, 0x20000
	s_movk_i32 s2, 0x4000
	v_lshl_or_b32 v27, v22, 8, v2
	s_movk_i32 s13, 0x80
	buffer_load_dwordx4 v[6:9], v23, s[0:3], 0 offen
	buffer_load_dwordx4 v[2:5], v23, s[0:3], s13 offen
	;; [unrolled: 1-line block ×4, first 2 shown]
	v_lshrrev_b32_e32 v23, 3, v20
	v_lshlrev_b32_e32 v27, 3, v19
	v_or_b32_e32 v23, v27, v23
	v_lshlrev_b32_e32 v23, 4, v23
	v_and_b32_e32 v27, 0x78, v27
	v_xor_b32_e32 v27, v23, v27
	v_lshlrev_b32_e32 v23, 7, v22
.LBB62_32:
	s_movk_i32 s0, 0x1000
	v_and_or_b32 v22, v23, s0, v27
	s_waitcnt vmcnt(1)
	ds_write_b64 v27, v[6:7] offset:49152
	v_xor_b32_e32 v6, 8, v27
	ds_write_b64 v6, v[8:9] offset:49152
	s_waitcnt vmcnt(0)
	ds_write_b64 v27, v[2:3] offset:57344
	ds_write_b64 v6, v[4:5] offset:57344
	;; [unrolled: 1-line block ×3, first 2 shown]
	v_xor_b32_e32 v2, 8, v22
	ds_write_b64 v2, v[16:17] offset:49152
	ds_write_b64 v22, v[10:11] offset:57344
	;; [unrolled: 1-line block ×3, first 2 shown]
	v_or_b32_e32 v2, v73, v76
	v_lshlrev_b32_e32 v2, 3, v2
	v_lshrrev_b32_e32 v3, 5, v74
	s_movk_i32 s0, 0xf8
	v_and_or_b32 v3, v2, s0, v3
	v_lshlrev_b32_e32 v7, 4, v3
	v_lshlrev_b32_e32 v27, 11, v72
	v_and_b32_e32 v8, 0x78, v2
	v_or_b32_e32 v10, 32, v7
	v_and_b32_e32 v6, 0x1000, v27
	v_lshrrev_b32_e32 v3, 1, v74
	v_xor_b32_e32 v10, v10, v8
	v_xor_b32_e32 v2, v7, v8
	v_and_b32_e32 v9, 8, v3
	v_or_b32_e32 v10, v10, v6
	v_or_b32_e32 v2, v2, v6
	v_xor_b32_e32 v33, v10, v9
	v_or_b32_e32 v10, 64, v7
	v_xor_b32_e32 v32, v2, v9
	v_xor_b32_e32 v10, v10, v8
	s_waitcnt lgkmcnt(0)
	s_barrier
	v_or_b32_e32 v13, v10, v6
	ds_read_b64 v[10:11], v32 offset:49152
	v_lshl_or_b32 v14, v75, 8, v26
	v_lshlrev_b32_e32 v28, 1, v14
	v_add_u32_e32 v12, 0x4000, v28
	ds_read2_b64 v[2:5], v12 offset1:16
	v_or_b32_e32 v7, 0x60, v7
	v_xor_b32_e32 v7, v7, v8
	v_or_b32_e32 v6, v7, v6
	v_xor_b32_e32 v66, v13, v9
	v_xor_b32_e32 v67, v6, v9
	ds_read_b64 v[22:23], v33 offset:49152
	ds_read_b64 v[68:69], v66 offset:49152
	ds_read_b64 v[70:71], v67 offset:49152
	s_waitcnt lgkmcnt(3)
	v_mfma_f32_16x16x16_bf16 a[0:3], v[10:11], v[2:3], 0
	ds_read2_b64 v[6:9], v12 offset0:32 offset1:48
	s_lshl_b64 s[0:1], s[40:41], 8
	s_add_u32 s4, s4, s0
	v_mfma_f32_16x16x16_bf16 a[4:7], v[10:11], v[4:5], 0
	ds_read2st64_b64 v[2:5], v28 offset0:36 offset1:40
	s_addc_u32 s5, s5, s1
	s_add_i32 s2, s12, -1
	s_waitcnt lgkmcnt(1)
	v_mfma_f32_16x16x16_bf16 a[8:11], v[10:11], v[6:7], 0
	v_or_b32_e32 v6, 64, v14
	v_lshlrev_b32_e32 v29, 1, v6
	s_add_i32 s0, s44, s17
	s_waitcnt lgkmcnt(0)
	v_mfma_f32_16x16x16_bf16 a[0:3], v[22:23], v[2:3], a[0:3]
	v_or_b32_e32 v2, 0x80, v14
	v_lshlrev_b32_e32 v30, 1, v2
	v_or_b32_e32 v2, 0xc0, v14
	v_mfma_f32_16x16x16_bf16 a[12:15], v[10:11], v[8:9], 0
	ds_read2st64_b64 v[6:9], v29 offset0:36 offset1:40
	v_lshlrev_b32_e32 v31, 1, v2
	ds_read2st64_b64 v[10:13], v30 offset0:36 offset1:40
	ds_read2st64_b64 v[14:17], v31 offset0:36 offset1:40
	s_mul_i32 s35, s35, s16
	s_add_i32 s35, s0, s35
	s_mul_i32 s0, s33, s19
	s_mul_hi_u32 s1, s33, s18
	s_ashr_i32 s3, s2, 31
	s_mul_i32 s12, s2, s31
	s_mul_hi_u32 s13, s2, s30
	s_waitcnt lgkmcnt(2)
	v_mfma_f32_16x16x16_bf16 a[4:7], v[22:23], v[6:7], a[4:7]
	s_add_i32 s0, s1, s0
	s_mul_i32 s1, s14, s18
	s_add_i32 s12, s13, s12
	s_mul_i32 s3, s3, s30
	s_waitcnt lgkmcnt(1)
	v_mfma_f32_16x16x16_bf16 a[8:11], v[22:23], v[10:11], a[8:11]
	s_add_i32 s1, s0, s1
	s_add_i32 s3, s12, s3
	s_lshl_b64 s[12:13], s[34:35], 2
	s_waitcnt lgkmcnt(0)
	v_mfma_f32_16x16x16_bf16 a[12:15], v[22:23], v[14:15], a[12:15]
	s_mul_i32 s0, s33, s18
	s_add_u32 s10, s10, s12
	s_addc_u32 s11, s11, s13
	s_lshl_b64 s[0:1], s[0:1], 2
	v_mfma_f32_16x16x16_bf16 a[0:3], v[68:69], v[4:5], a[0:3]
	s_mul_i32 s2, s2, s30
	ds_read_b64 v[2:3], v28 offset:22528
	s_add_u32 s10, s10, s0
	v_mfma_f32_16x16x16_bf16 a[4:7], v[68:69], v[8:9], a[4:7]
	ds_read_b64 v[4:5], v29 offset:22528
	ds_read_b64 v[6:7], v30 offset:22528
	;; [unrolled: 1-line block ×3, first 2 shown]
	s_addc_u32 s11, s11, s1
	s_lshl_b64 s[0:1], s[2:3], 2
	v_mfma_f32_16x16x16_bf16 a[8:11], v[68:69], v[12:13], a[8:11]
	s_add_u32 s0, s10, s0
	s_addc_u32 s1, s11, s1
	s_load_dword s12, s[0:1], 0x0
	v_mfma_f32_16x16x16_bf16 a[12:15], v[68:69], v[16:17], a[12:15]
	s_and_b64 vcc, exec, s[38:39]
	s_waitcnt lgkmcnt(0)
	v_mfma_f32_16x16x16_bf16 a[0:3], v[70:71], v[2:3], a[0:3]
	v_mfma_f32_16x16x16_bf16 a[4:7], v[70:71], v[4:5], a[4:7]
	;; [unrolled: 1-line block ×4, first 2 shown]
	s_cbranch_vccz .LBB62_43
; %bb.33:
	v_lshlrev_b32_e32 v22, 1, v19
	s_and_b64 vcc, exec, s[6:7]
	s_cbranch_vccz .LBB62_44
; %bb.34:
	v_cmp_gt_i32_e32 vcc, s43, v22
	v_mov_b32_e32 v6, 0
	v_mov_b32_e32 v2, 0
	;; [unrolled: 1-line block ×5, first 2 shown]
	s_and_saveexec_b64 s[0:1], vcc
	s_cbranch_execz .LBB62_36
; %bb.35:
	v_mad_i64_i32 v[2:3], s[2:3], s15, v22, 0
	v_lshl_add_u64 v[2:3], v[2:3], 1, s[4:5]
	v_lshlrev_b32_e32 v4, 1, v20
	v_mov_b32_e32 v5, 0
	v_lshl_add_u64 v[2:3], v[2:3], 0, v[4:5]
	global_load_dwordx4 v[2:5], v[2:3], off
.LBB62_36:
	s_or_b64 exec, exec, s[0:1]
	v_or_b32_e32 v23, 1, v22
	v_cmp_gt_i32_e64 s[0:1], s43, v23
	v_mov_b32_e32 v7, 0
	v_mov_b32_e32 v8, 0
	;; [unrolled: 1-line block ×3, first 2 shown]
	s_and_saveexec_b64 s[2:3], s[0:1]
	s_cbranch_execz .LBB62_38
; %bb.37:
	v_mad_i64_i32 v[6:7], s[16:17], s15, v23, 0
	v_lshl_add_u64 v[6:7], v[6:7], 1, s[4:5]
	v_lshlrev_b32_e32 v8, 1, v20
	v_mov_b32_e32 v9, 0
	v_lshl_add_u64 v[6:7], v[6:7], 0, v[8:9]
	global_load_dwordx4 v[6:9], v[6:7], off
.LBB62_38:
	s_or_b64 exec, exec, s[2:3]
	v_mov_b32_e32 v17, 0
	v_mov_b32_e32 v10, 0
	v_mov_b32_e32 v11, 0
	v_mov_b32_e32 v12, 0
	v_mov_b32_e32 v13, 0
	s_and_saveexec_b64 s[2:3], vcc
	s_cbranch_execz .LBB62_40
; %bb.39:
	v_mad_i64_i32 v[10:11], s[16:17], s15, v22, 0
	v_lshl_add_u64 v[10:11], v[10:11], 1, s[4:5]
	v_lshlrev_b32_e32 v12, 1, v20
	v_mov_b32_e32 v13, 0
	v_lshl_add_u64 v[10:11], v[10:11], 0, v[12:13]
	global_load_dwordx4 v[10:13], v[10:11], off offset:128
.LBB62_40:
	s_or_b64 exec, exec, s[2:3]
	v_mov_b32_e32 v16, 0
	v_mov_b32_e32 v15, 0
	;; [unrolled: 1-line block ×3, first 2 shown]
	s_and_saveexec_b64 s[2:3], s[0:1]
	s_cbranch_execz .LBB62_42
; %bb.41:
	v_mad_i64_i32 v[14:15], s[0:1], s15, v23, 0
	v_lshl_add_u64 v[14:15], v[14:15], 1, s[4:5]
	v_lshlrev_b32_e32 v16, 1, v20
	v_mov_b32_e32 v17, 0
	v_lshl_add_u64 v[14:15], v[14:15], 0, v[16:17]
	global_load_dwordx4 v[14:17], v[14:15], off offset:128
.LBB62_42:
	s_or_b64 exec, exec, s[2:3]
	s_branch .LBB62_46
.LBB62_43:
                                        ; implicit-def: $vgpr5
                                        ; implicit-def: $vgpr9
                                        ; implicit-def: $vgpr13
                                        ; implicit-def: $vgpr17
	v_lshrrev_b32_e32 v68, 2, v74
	s_branch .LBB62_47
.LBB62_44:
                                        ; implicit-def: $vgpr5
                                        ; implicit-def: $vgpr9
                                        ; implicit-def: $vgpr13
                                        ; implicit-def: $vgpr17
	s_cbranch_execz .LBB62_46
; %bb.45:
	s_waitcnt vmcnt(0)
	v_mad_u64_u32 v[2:3], s[0:1], v22, s15, v[20:21]
	v_lshlrev_b32_e32 v22, 1, v2
	s_lshl_b32 s2, s15, 7
	s_and_b32 s1, s5, 0xffff
	s_mov_b32 s3, 0x20000
	s_mov_b32 s0, s4
	v_add_lshl_u32 v23, v2, s15, 1
	s_movk_i32 s13, 0x80
	buffer_load_dwordx4 v[2:5], v22, s[0:3], 0 offen
	buffer_load_dwordx4 v[10:13], v22, s[0:3], s13 offen
	;; [unrolled: 1-line block ×4, first 2 shown]
.LBB62_46:
	v_lshrrev_b32_e32 v68, 2, v74
	s_cbranch_execnz .LBB62_59
.LBB62_47:
	s_and_b64 vcc, exec, s[6:7]
	s_cbranch_vccz .LBB62_57
; %bb.48:
	s_waitcnt vmcnt(0)
	v_lshlrev_b32_e32 v7, 1, v19
	v_cmp_gt_i32_e32 vcc, s43, v7
	v_mov_b32_e32 v6, 0
	v_lshlrev_b32_e32 v14, 9, v19
	v_mov_b32_e32 v2, 0
	v_mov_b32_e32 v3, 0
	;; [unrolled: 1-line block ×4, first 2 shown]
	s_and_saveexec_b64 s[0:1], vcc
	s_cbranch_execz .LBB62_50
; %bb.49:
	v_mov_b32_e32 v15, 0
	v_lshl_add_u64 v[2:3], s[4:5], 0, v[14:15]
	v_lshlrev_b32_e32 v4, 1, v20
	v_mov_b32_e32 v5, v15
	v_lshl_add_u64 v[2:3], v[2:3], 0, v[4:5]
	global_load_dwordx4 v[2:5], v[2:3], off
.LBB62_50:
	s_or_b64 exec, exec, s[0:1]
	v_or_b32_e32 v7, 1, v7
	v_cmp_gt_i32_e64 s[0:1], s43, v7
	v_lshlrev_b32_e32 v22, 8, v7
	v_mov_b32_e32 v7, 0
	v_mov_b32_e32 v8, 0
	;; [unrolled: 1-line block ×3, first 2 shown]
	s_and_saveexec_b64 s[2:3], s[0:1]
	s_cbranch_execz .LBB62_52
; %bb.51:
	v_mov_b32_e32 v23, 0
	v_lshl_add_u64 v[6:7], s[4:5], 0, v[22:23]
	v_lshlrev_b32_e32 v8, 1, v20
	v_mov_b32_e32 v9, v23
	v_lshl_add_u64 v[6:7], v[6:7], 0, v[8:9]
	global_load_dwordx4 v[6:9], v[6:7], off
.LBB62_52:
	s_or_b64 exec, exec, s[2:3]
	v_mov_b32_e32 v17, 0
	v_mov_b32_e32 v10, 0
	;; [unrolled: 1-line block ×5, first 2 shown]
	s_and_saveexec_b64 s[2:3], vcc
	s_cbranch_execz .LBB62_54
; %bb.53:
	v_mov_b32_e32 v15, 0
	v_lshl_add_u64 v[10:11], s[4:5], 0, v[14:15]
	v_lshlrev_b32_e32 v14, 1, v20
	v_lshl_add_u64 v[10:11], v[10:11], 0, v[14:15]
	global_load_dwordx4 v[10:13], v[10:11], off offset:128
.LBB62_54:
	s_or_b64 exec, exec, s[2:3]
	v_mov_b32_e32 v16, 0
	v_mov_b32_e32 v15, 0
	;; [unrolled: 1-line block ×3, first 2 shown]
	s_and_saveexec_b64 s[2:3], s[0:1]
	s_cbranch_execz .LBB62_56
; %bb.55:
	v_mov_b32_e32 v23, 0
	v_lshl_add_u64 v[14:15], s[4:5], 0, v[22:23]
	v_lshlrev_b32_e32 v22, 1, v20
	v_lshl_add_u64 v[14:15], v[14:15], 0, v[22:23]
	global_load_dwordx4 v[14:17], v[14:15], off offset:128
.LBB62_56:
	s_or_b64 exec, exec, s[2:3]
	s_branch .LBB62_59
.LBB62_57:
                                        ; implicit-def: $vgpr5
                                        ; implicit-def: $vgpr9
                                        ; implicit-def: $vgpr13
                                        ; implicit-def: $vgpr17
	s_cbranch_execz .LBB62_59
; %bb.58:
	s_waitcnt vmcnt(0)
	v_lshlrev_b32_e32 v2, 1, v20
	v_lshl_or_b32 v20, v19, 9, v2
	s_and_b32 s5, s5, 0xffff
	s_mov_b32 s7, 0x20000
	s_movk_i32 s6, 0x4000
	s_movk_i32 s0, 0x80
	buffer_load_dwordx4 v[2:5], v20, s[4:7], 0 offen
	buffer_load_dwordx4 v[6:9], v20, s[4:7], 0 offen offset:256
	buffer_load_dwordx4 v[10:13], v20, s[4:7], s0 offen
	buffer_load_dwordx4 v[14:17], v20, s[4:7], s0 offen offset:256
.LBB62_59:
	ds_read_b64 v[22:23], v32 offset:57344
	v_add_u32_e32 v20, 0x6000, v28
	ds_read2_b64 v[74:77], v20 offset1:16
	ds_read_b64 v[32:33], v33 offset:57344
	ds_read_b64 v[70:71], v66 offset:57344
	;; [unrolled: 1-line block ×3, first 2 shown]
	ds_read2st64_b64 v[78:81], v28 offset0:52 offset1:56
	v_and_b32_e32 v69, 1, v0
	v_cmp_eq_u32_e32 vcc, 0, v69
	s_mov_b32 s0, 0x1000504
	s_mov_b32 s1, 0x3020706
	s_waitcnt lgkmcnt(4)
	v_mfma_f32_16x16x16_bf16 a[0:3], v[22:23], v[74:75], a[0:3]
	v_mfma_f32_16x16x16_bf16 a[4:7], v[22:23], v[76:77], a[4:7]
	ds_read2_b64 v[74:77], v20 offset0:32 offset1:48
	v_and_b32_e32 v20, 6, v0
	v_xor_b32_e32 v19, v19, v20
	s_waitcnt lgkmcnt(0)
	v_mfma_f32_16x16x16_bf16 a[8:11], v[22:23], v[74:75], a[8:11]
	v_lshlrev_b32_e32 v19, 2, v19
	v_mfma_f32_16x16x16_bf16 a[12:15], v[22:23], v[76:77], a[12:15]
	ds_read2st64_b64 v[74:77], v29 offset0:52 offset1:56
	ds_read2st64_b64 v[82:85], v30 offset0:52 offset1:56
	;; [unrolled: 1-line block ×3, first 2 shown]
	s_waitcnt lgkmcnt(2)
	v_mfma_f32_16x16x16_bf16 a[4:7], v[32:33], v[74:75], a[4:7]
	v_xor_b32_e32 v74, 0x440, v19
	v_cndmask_b32_e32 v19, v74, v19, vcc
	v_lshl_or_b32 v19, v20, 10, v19
	v_mfma_f32_16x16x16_bf16 a[0:3], v[32:33], v[78:79], a[0:3]
	s_waitcnt vmcnt(0)
	v_perm_b32 v20, v2, v6, s0
	ds_read_b64 v[22:23], v28 offset:30720
	ds_read_b64 v[78:79], v29 offset:30720
	;; [unrolled: 1-line block ×4, first 2 shown]
	v_perm_b32 v2, v2, v6, s1
	s_waitcnt lgkmcnt(5)
	v_mfma_f32_16x16x16_bf16 a[8:11], v[32:33], v[82:83], a[8:11]
	v_perm_b32 v6, v10, v14, s1
	s_waitcnt lgkmcnt(4)
	v_mfma_f32_16x16x16_bf16 a[12:15], v[32:33], v[86:87], a[12:15]
	v_perm_b32 v32, v10, v14, s0
	ds_write2st64_b32 v19, v20, v32 offset0:128 offset1:160
	v_xor_b32_e32 v20, 8, v19
	v_add_u32_e32 v10, 0x80, v20
	ds_write2st64_b32 v10, v2, v6 offset0:128 offset1:160
	v_xor_b32_e32 v2, 16, v19
	v_perm_b32 v6, v3, v7, s0
	v_perm_b32 v10, v11, v15, s0
	v_mfma_f32_16x16x16_bf16 a[0:3], v[70:71], v[80:81], a[0:3]
	ds_write2st64_b32 v2, v6, v10 offset0:129 offset1:161
	v_xor_b32_e32 v2, 24, v19
	v_perm_b32 v3, v3, v7, s1
	v_mfma_f32_16x16x16_bf16 a[4:7], v[70:71], v[76:77], a[4:7]
	v_perm_b32 v6, v11, v15, s1
	v_add_u32_e32 v2, 0x80, v2
	ds_write2st64_b32 v2, v3, v6 offset0:129 offset1:161
	v_mfma_f32_16x16x16_bf16 a[16:19], v[70:71], v[84:85], a[8:11]
	v_xor_b32_e32 v2, 32, v19
	v_perm_b32 v3, v4, v8, s0
	v_perm_b32 v6, v12, v16, s0
	v_mfma_f32_16x16x16_bf16 a[20:23], v[70:71], v[88:89], a[12:15]
	ds_write2st64_b32 v2, v3, v6 offset0:130 offset1:162
	v_xor_b32_e32 v2, 40, v19
	v_perm_b32 v3, v4, v8, s1
	s_waitcnt lgkmcnt(8)
	v_mfma_f32_16x16x16_bf16 a[12:15], v[66:67], v[22:23], a[0:3]
	v_perm_b32 v4, v12, v16, s1
	v_add_u32_e32 v2, 0x80, v2
	ds_write2st64_b32 v2, v3, v4 offset0:130 offset1:162
	s_waitcnt lgkmcnt(8)
	v_mfma_f32_16x16x16_bf16 a[8:11], v[66:67], v[78:79], a[4:7]
	v_xor_b32_e32 v2, 48, v19
	v_perm_b32 v3, v5, v9, s0
	v_perm_b32 v4, v13, v17, s0
	s_waitcnt lgkmcnt(7)
	v_mfma_f32_16x16x16_bf16 a[4:7], v[66:67], v[90:91], a[16:19]
	ds_write2st64_b32 v2, v3, v4 offset0:131 offset1:163
	v_xor_b32_e32 v2, 56, v19
	v_and_or_b32 v23, v68, 12, v73
	s_waitcnt lgkmcnt(7)
	v_mfma_f32_16x16x16_bf16 a[0:3], v[66:67], v[92:93], a[20:23]
	v_perm_b32 v3, v5, v9, s1
	v_perm_b32 v4, v13, v17, s1
	v_add_u32_e32 v2, 0x80, v2
	v_cmp_gt_i32_e32 vcc, s43, v23
	v_mov_b32_e32 v16, 0
	v_mov_b32_e32 v20, 0
	ds_write2st64_b32 v2, v3, v4 offset0:131 offset1:163
	s_and_saveexec_b64 s[0:1], vcc
	s_cbranch_execz .LBB62_61
; %bb.60:
	v_add_u32_e32 v2, s42, v23
	v_ashrrev_i32_e32 v3, 31, v2
	v_mul_lo_u32 v4, v3, s30
	v_mul_lo_u32 v5, v2, s31
	v_mad_u64_u32 v[2:3], s[2:3], v2, s30, 0
	v_add3_u32 v3, v3, v5, v4
	v_lshl_add_u64 v[2:3], v[2:3], 2, s[10:11]
	global_load_dword v2, v[2:3], off
	s_waitcnt vmcnt(0)
	v_sub_f32_e32 v2, s12, v2
	v_exp_f32_e32 v20, v2
.LBB62_61:
	s_or_b64 exec, exec, s[0:1]
	v_or_b32_e32 v8, 1, v23
	v_cmp_gt_i32_e64 s[0:1], s43, v8
	s_and_saveexec_b64 s[2:3], s[0:1]
	s_cbranch_execz .LBB62_63
; %bb.62:
	v_add_u32_e32 v2, s42, v8
	v_ashrrev_i32_e32 v3, 31, v2
	v_mul_lo_u32 v4, v3, s30
	v_mul_lo_u32 v5, v2, s31
	v_mad_u64_u32 v[2:3], s[4:5], v2, s30, 0
	v_add3_u32 v3, v3, v5, v4
	v_lshl_add_u64 v[2:3], v[2:3], 2, s[10:11]
	global_load_dword v2, v[2:3], off
	s_waitcnt vmcnt(0)
	v_sub_f32_e32 v2, s12, v2
	v_exp_f32_e32 v16, v2
.LBB62_63:
	s_or_b64 exec, exec, s[2:3]
	v_or_b32_e32 v9, 2, v23
	v_cmp_gt_i32_e64 s[2:3], s43, v9
	v_mov_b32_e32 v17, 0
	v_mov_b32_e32 v22, 0
	s_and_saveexec_b64 s[4:5], s[2:3]
	s_cbranch_execz .LBB62_65
; %bb.64:
	v_add_u32_e32 v2, s42, v9
	v_ashrrev_i32_e32 v3, 31, v2
	v_mul_lo_u32 v4, v3, s30
	v_mul_lo_u32 v5, v2, s31
	v_mad_u64_u32 v[2:3], s[6:7], v2, s30, 0
	v_add3_u32 v3, v3, v5, v4
	v_lshl_add_u64 v[2:3], v[2:3], 2, s[10:11]
	global_load_dword v2, v[2:3], off
	s_waitcnt vmcnt(0)
	v_sub_f32_e32 v2, s12, v2
	v_exp_f32_e32 v22, v2
.LBB62_65:
	s_or_b64 exec, exec, s[4:5]
	v_or_b32_e32 v32, 3, v23
	v_cmp_gt_i32_e64 s[4:5], s43, v32
	s_and_saveexec_b64 s[6:7], s[4:5]
	s_cbranch_execz .LBB62_67
; %bb.66:
	v_add_u32_e32 v2, s42, v32
	v_ashrrev_i32_e32 v3, 31, v2
	v_mul_lo_u32 v4, v3, s30
	v_mul_lo_u32 v5, v2, s31
	v_mad_u64_u32 v[2:3], s[14:15], v2, s30, 0
	v_add3_u32 v3, v3, v5, v4
	v_lshl_add_u64 v[2:3], v[2:3], 2, s[10:11]
	global_load_dword v2, v[2:3], off
	s_waitcnt vmcnt(0)
	v_sub_f32_e32 v2, s12, v2
	v_exp_f32_e32 v17, v2
.LBB62_67:
	s_or_b64 exec, exec, s[6:7]
	s_add_u32 s6, s8, s26
	v_accvgpr_read_b32 v2, a12
	s_addc_u32 s7, s9, s27
	v_ashrrev_i32_e32 v19, 31, v18
	v_accvgpr_read_b32 v3, a13
	v_accvgpr_read_b32 v4, a14
	;; [unrolled: 1-line block ×3, first 2 shown]
	v_lshl_add_u64 v[6:7], v[18:19], 1, s[6:7]
	v_mov_b32_e32 v13, 0
	v_lshlrev_b32_e32 v10, 8, v23
	v_mov_b32_e32 v11, 0
	s_and_saveexec_b64 s[6:7], vcc
	s_cbranch_execz .LBB62_69
; %bb.68:
	v_mov_b32_e32 v11, 0
	v_lshl_add_u64 v[14:15], v[6:7], 0, v[10:11]
	global_load_ushort v11, v[14:15], off
	s_waitcnt vmcnt(0)
	v_lshlrev_b32_e32 v11, 16, v11
	v_sub_f32_e32 v2, v11, v2
	v_mul_f32_e32 v2, v20, v2
	v_lshrrev_b32_e32 v11, 16, v2
.LBB62_69:
	s_or_b64 exec, exec, s[6:7]
	v_lshlrev_b32_e32 v12, 8, v8
	s_and_saveexec_b64 s[6:7], s[0:1]
	s_cbranch_execz .LBB62_71
; %bb.70:
	v_mov_b32_e32 v13, 0
	v_lshl_add_u64 v[14:15], v[6:7], 0, v[12:13]
	global_load_ushort v2, v[14:15], off
	s_waitcnt vmcnt(0)
	v_lshlrev_b32_e32 v2, 16, v2
	v_sub_f32_e32 v2, v2, v3
	v_mul_f32_e32 v2, v16, v2
	v_lshrrev_b32_e32 v13, 16, v2
.LBB62_71:
	s_or_b64 exec, exec, s[6:7]
	v_mov_b32_e32 v33, 0
	v_lshlrev_b32_e32 v14, 8, v9
	v_mov_b32_e32 v15, 0
	s_and_saveexec_b64 s[6:7], s[2:3]
	s_cbranch_execz .LBB62_73
; %bb.72:
	v_mov_b32_e32 v15, 0
	v_lshl_add_u64 v[2:3], v[6:7], 0, v[14:15]
	global_load_ushort v2, v[2:3], off
	s_waitcnt vmcnt(0)
	v_lshlrev_b32_e32 v2, 16, v2
	v_sub_f32_e32 v2, v2, v4
	v_mul_f32_e32 v2, v22, v2
	v_lshrrev_b32_e32 v15, 16, v2
.LBB62_73:
	s_or_b64 exec, exec, s[6:7]
	v_lshlrev_b32_e32 v8, 8, v32
	s_and_saveexec_b64 s[6:7], s[4:5]
	s_cbranch_execz .LBB62_75
; %bb.74:
	v_mov_b32_e32 v9, 0
	v_lshl_add_u64 v[2:3], v[6:7], 0, v[8:9]
	global_load_ushort v2, v[2:3], off
	s_waitcnt vmcnt(0)
	v_lshlrev_b32_e32 v2, 16, v2
	v_sub_f32_e32 v2, v2, v5
	v_mul_f32_e32 v2, v17, v2
	v_lshrrev_b32_e32 v33, 16, v2
.LBB62_75:
	s_or_b64 exec, exec, s[6:7]
	v_lshlrev_b32_e32 v19, 6, v23
	v_accvgpr_read_b32 v2, a8
	s_mov_b32 s6, 0x5040100
	v_or_b32_e32 v9, v19, v26
	v_accvgpr_read_b32 v3, a9
	v_accvgpr_read_b32 v4, a10
	;; [unrolled: 1-line block ×3, first 2 shown]
	v_perm_b32 v33, v33, v15, s6
	v_perm_b32 v32, v13, v11, s6
	v_lshlrev_b32_e32 v9, 1, v9
	v_mov_b32_e32 v13, 0
	v_mov_b32_e32 v11, 0
	ds_write_b64 v9, v[32:33] offset:24576
	s_and_saveexec_b64 s[6:7], vcc
	s_cbranch_execz .LBB62_77
; %bb.76:
	v_mov_b32_e32 v11, 0
	v_lshl_add_u64 v[32:33], v[6:7], 0, v[10:11]
	global_load_ushort v9, v[32:33], off offset:32
	s_waitcnt vmcnt(0)
	v_lshlrev_b32_e32 v9, 16, v9
	v_sub_f32_e32 v2, v9, v2
	v_mul_f32_e32 v2, v20, v2
	v_lshrrev_b32_e32 v11, 16, v2
.LBB62_77:
	s_or_b64 exec, exec, s[6:7]
	s_and_saveexec_b64 s[6:7], s[0:1]
	s_cbranch_execz .LBB62_79
; %bb.78:
	v_mov_b32_e32 v13, 0
	v_lshl_add_u64 v[32:33], v[6:7], 0, v[12:13]
	global_load_ushort v2, v[32:33], off offset:32
	s_waitcnt vmcnt(0)
	v_lshlrev_b32_e32 v2, 16, v2
	v_sub_f32_e32 v2, v2, v3
	v_mul_f32_e32 v2, v16, v2
	v_lshrrev_b32_e32 v13, 16, v2
.LBB62_79:
	s_or_b64 exec, exec, s[6:7]
	v_mov_b32_e32 v9, 0
	v_mov_b32_e32 v15, 0
	s_and_saveexec_b64 s[6:7], s[2:3]
	s_cbranch_execz .LBB62_81
; %bb.80:
	v_mov_b32_e32 v15, 0
	v_lshl_add_u64 v[2:3], v[6:7], 0, v[14:15]
	global_load_ushort v2, v[2:3], off offset:32
	s_waitcnt vmcnt(0)
	v_lshlrev_b32_e32 v2, 16, v2
	v_sub_f32_e32 v2, v2, v4
	v_mul_f32_e32 v2, v22, v2
	v_lshrrev_b32_e32 v15, 16, v2
.LBB62_81:
	s_or_b64 exec, exec, s[6:7]
	s_and_saveexec_b64 s[6:7], s[4:5]
	s_cbranch_execz .LBB62_83
; %bb.82:
	v_mov_b32_e32 v9, 0
	v_lshl_add_u64 v[2:3], v[6:7], 0, v[8:9]
	global_load_ushort v2, v[2:3], off offset:32
	s_waitcnt vmcnt(0)
	v_lshlrev_b32_e32 v2, 16, v2
	v_sub_f32_e32 v2, v2, v5
	v_mul_f32_e32 v2, v17, v2
	v_lshrrev_b32_e32 v9, 16, v2
.LBB62_83:
	s_or_b64 exec, exec, s[6:7]
	s_mov_b32 s6, 0x5040100
	v_accvgpr_read_b32 v2, a4
	v_perm_b32 v33, v9, v15, s6
	v_or_b32_e32 v9, v19, v25
	v_accvgpr_read_b32 v3, a5
	v_accvgpr_read_b32 v4, a6
	;; [unrolled: 1-line block ×3, first 2 shown]
	v_perm_b32 v32, v13, v11, s6
	v_lshlrev_b32_e32 v9, 1, v9
	v_mov_b32_e32 v13, 0
	v_mov_b32_e32 v11, 0
	ds_write_b64 v9, v[32:33] offset:24576
	s_and_saveexec_b64 s[6:7], vcc
	s_cbranch_execz .LBB62_85
; %bb.84:
	v_mov_b32_e32 v11, 0
	v_lshl_add_u64 v[32:33], v[6:7], 0, v[10:11]
	global_load_ushort v9, v[32:33], off offset:64
	s_waitcnt vmcnt(0)
	v_lshlrev_b32_e32 v9, 16, v9
	v_sub_f32_e32 v2, v9, v2
	v_mul_f32_e32 v2, v20, v2
	v_lshrrev_b32_e32 v11, 16, v2
.LBB62_85:
	s_or_b64 exec, exec, s[6:7]
	s_and_saveexec_b64 s[6:7], s[0:1]
	s_cbranch_execz .LBB62_87
; %bb.86:
	v_mov_b32_e32 v13, 0
	v_lshl_add_u64 v[32:33], v[6:7], 0, v[12:13]
	global_load_ushort v2, v[32:33], off offset:64
	s_waitcnt vmcnt(0)
	v_lshlrev_b32_e32 v2, 16, v2
	v_sub_f32_e32 v2, v2, v3
	v_mul_f32_e32 v2, v16, v2
	v_lshrrev_b32_e32 v13, 16, v2
.LBB62_87:
	s_or_b64 exec, exec, s[6:7]
	v_mov_b32_e32 v9, 0
	v_mov_b32_e32 v15, 0
	s_and_saveexec_b64 s[6:7], s[2:3]
	s_cbranch_execz .LBB62_89
; %bb.88:
	v_mov_b32_e32 v15, 0
	v_lshl_add_u64 v[2:3], v[6:7], 0, v[14:15]
	global_load_ushort v2, v[2:3], off offset:64
	s_waitcnt vmcnt(0)
	v_lshlrev_b32_e32 v2, 16, v2
	v_sub_f32_e32 v2, v2, v4
	v_mul_f32_e32 v2, v22, v2
	v_lshrrev_b32_e32 v15, 16, v2
.LBB62_89:
	s_or_b64 exec, exec, s[6:7]
	s_and_saveexec_b64 s[6:7], s[4:5]
	s_cbranch_execz .LBB62_91
; %bb.90:
	v_mov_b32_e32 v9, 0
	v_lshl_add_u64 v[2:3], v[6:7], 0, v[8:9]
	global_load_ushort v2, v[2:3], off offset:64
	s_waitcnt vmcnt(0)
	v_lshlrev_b32_e32 v2, 16, v2
	v_sub_f32_e32 v2, v2, v5
	v_mul_f32_e32 v2, v17, v2
	v_lshrrev_b32_e32 v9, 16, v2
.LBB62_91:
	s_or_b64 exec, exec, s[6:7]
	s_mov_b32 s6, 0x5040100
	v_accvgpr_read_b32 v5, a3
	v_perm_b32 v33, v9, v15, s6
	v_or_b32_e32 v9, v19, v24
	v_accvgpr_read_b32 v4, a2
	v_accvgpr_read_b32 v3, a1
	;; [unrolled: 1-line block ×3, first 2 shown]
	v_perm_b32 v32, v13, v11, s6
	v_lshlrev_b32_e32 v9, 1, v9
	v_mov_b32_e32 v13, 0
	v_mov_b32_e32 v11, 0
	ds_write_b64 v9, v[32:33] offset:24576
	s_and_saveexec_b64 s[6:7], vcc
	s_cbranch_execz .LBB62_93
; %bb.92:
	v_mov_b32_e32 v11, 0
	v_lshl_add_u64 v[10:11], v[6:7], 0, v[10:11]
	global_load_ushort v9, v[10:11], off offset:96
	s_waitcnt vmcnt(0)
	v_lshlrev_b32_e32 v9, 16, v9
	v_sub_f32_e32 v2, v9, v2
	v_mul_f32_e32 v2, v20, v2
	v_lshrrev_b32_e32 v11, 16, v2
.LBB62_93:
	s_or_b64 exec, exec, s[6:7]
	s_and_saveexec_b64 s[6:7], s[0:1]
	s_cbranch_execz .LBB62_95
; %bb.94:
	v_mov_b32_e32 v13, 0
	v_lshl_add_u64 v[12:13], v[6:7], 0, v[12:13]
	global_load_ushort v2, v[12:13], off offset:96
	s_waitcnt vmcnt(0)
	v_lshlrev_b32_e32 v2, 16, v2
	v_sub_f32_e32 v2, v2, v3
	v_mul_f32_e32 v2, v16, v2
	v_lshrrev_b32_e32 v13, 16, v2
.LBB62_95:
	s_or_b64 exec, exec, s[6:7]
	v_mov_b32_e32 v9, 0
	v_mov_b32_e32 v12, 0
	s_and_saveexec_b64 s[0:1], s[2:3]
	s_cbranch_execz .LBB62_97
; %bb.96:
	v_mov_b32_e32 v15, 0
	v_lshl_add_u64 v[2:3], v[6:7], 0, v[14:15]
	global_load_ushort v2, v[2:3], off offset:96
	s_waitcnt vmcnt(0)
	v_lshlrev_b32_e32 v2, 16, v2
	v_sub_f32_e32 v2, v2, v4
	v_mul_f32_e32 v2, v22, v2
	v_lshrrev_b32_e32 v12, 16, v2
.LBB62_97:
	s_or_b64 exec, exec, s[0:1]
	v_or_b32_e32 v10, 0x6000, v28
	v_or_b32_e32 v4, 0x6000, v29
	;; [unrolled: 1-line block ×4, first 2 shown]
	s_and_saveexec_b64 s[0:1], s[4:5]
	s_cbranch_execz .LBB62_99
; %bb.98:
	v_mov_b32_e32 v9, 0
	v_lshl_add_u64 v[6:7], v[6:7], 0, v[8:9]
	global_load_ushort v6, v[6:7], off offset:96
	s_waitcnt vmcnt(0)
	v_lshlrev_b32_e32 v6, 16, v6
	v_sub_f32_e32 v5, v6, v5
	v_mul_f32_e32 v5, v17, v5
	v_lshrrev_b32_e32 v9, 16, v5
.LBB62_99:
	s_or_b64 exec, exec, s[0:1]
	s_mov_b32 s0, 0x5040100
	v_or_b32_e32 v5, v19, v21
	v_perm_b32 v7, v9, v12, s0
	v_perm_b32 v6, v13, v11, s0
	v_lshlrev_b32_e32 v5, 1, v5
	s_movk_i32 s0, 0x100
	ds_write_b64 v5, v[6:7] offset:24576
	v_and_b32_e32 v5, 7, v0
	v_and_b32_e32 v6, 8, v0
	v_cmp_gt_u32_e32 vcc, s0, v0
	v_lshrrev_b32_e32 v0, 1, v0
	v_mov_b32_e32 v7, 0xa000
	v_mov_b32_e32 v8, 0x8000
	v_lshlrev_b32_e32 v26, 3, v72
	v_and_b32_e32 v0, 24, v0
	v_cndmask_b32_e32 v19, v7, v8, vcc
	v_xor_b32_e32 v7, v26, v0
	v_or_b32_e32 v8, 0x440, v7
	v_cmp_eq_u32_e32 vcc, 0, v6
	v_lshlrev_b32_e32 v11, 3, v5
	v_lshlrev_b32_e32 v5, 7, v5
	v_cndmask_b32_e32 v6, v8, v7, vcc
	v_or_b32_e32 v6, v6, v27
	v_xad_u32 v32, v6, v11, v5
	v_add_u32_e32 v6, v19, v32
	s_waitcnt lgkmcnt(0)
	s_barrier
	ds_read_b64 v[16:17], v6
	ds_read2_b64 v[6:9], v10 offset1:16
	ds_read2_b64 v[12:15], v10 offset0:32 offset1:48
	v_or_b32_e32 v20, 32, v0
	v_xor_b32_e32 v20, v26, v20
	v_or_b32_e32 v21, 0x440, v20
	v_cndmask_b32_e32 v20, v21, v20, vcc
	s_waitcnt lgkmcnt(1)
	v_mfma_f32_16x16x16_bf16 a[0:3], v[16:17], v[6:7], 0
	v_or_b32_e32 v20, v20, v27
	v_xad_u32 v33, v20, v11, v5
	v_add_u32_e32 v20, v19, v33
	v_mfma_f32_16x16x16_bf16 a[4:7], v[16:17], v[8:9], 0
	ds_read_b64 v[24:25], v20
	ds_read2st64_b64 v[28:31], v4 offset0:4 offset1:8
	ds_read2st64_b64 v[66:69], v3 offset0:4 offset1:8
	s_waitcnt lgkmcnt(3)
	v_mfma_f32_16x16x16_bf16 a[8:11], v[16:17], v[12:13], 0
	ds_read2st64_b64 v[70:73], v2 offset0:4 offset1:8
	v_mfma_f32_16x16x16_bf16 a[12:15], v[16:17], v[14:15], 0
	v_or_b32_e32 v16, 64, v0
	v_xor_b32_e32 v16, v26, v16
	v_xor_b32_e32 v17, 0x440, v16
	v_cndmask_b32_e32 v16, v17, v16, vcc
	v_or_b32_e32 v16, v16, v27
	v_xad_u32 v74, v16, v11, v5
	v_add_u32_e32 v16, v19, v74
	ds_read_b64 v[16:17], v16
	ds_read2st64_b64 v[20:23], v10 offset0:4 offset1:8
	v_or_b32_e32 v0, 0x60, v0
	v_xor_b32_e32 v0, v26, v0
	s_waitcnt lgkmcnt(0)
	v_mfma_f32_16x16x16_bf16 a[0:3], v[24:25], v[20:21], a[0:3]
	v_mfma_f32_16x16x16_bf16 a[4:7], v[24:25], v[28:29], a[4:7]
	;; [unrolled: 1-line block ×4, first 2 shown]
	v_xor_b32_e32 v24, 0x440, v0
	v_cndmask_b32_e32 v0, v24, v0, vcc
	v_or_b32_e32 v0, v0, v27
	v_xad_u32 v26, v0, v11, v5
	v_add_u32_e32 v0, v19, v26
	v_mfma_f32_16x16x16_bf16 a[0:3], v[16:17], v[22:23], a[0:3]
	ds_read_b64 v[24:25], v0
	ds_read_b64 v[10:11], v10 offset:6144
	v_exp_f32_e32 v0, s12
	v_mfma_f32_16x16x16_bf16 a[4:7], v[16:17], v[30:31], a[4:7]
	v_mfma_f32_16x16x16_bf16 a[8:11], v[16:17], v[68:69], a[8:11]
	v_mfma_f32_16x16x16_bf16 a[12:15], v[16:17], v[72:73], a[12:15]
	ds_read_b64 v[4:5], v4 offset:6144
	ds_read_b64 v[16:17], v3 offset:6144
	;; [unrolled: 1-line block ×3, first 2 shown]
	s_waitcnt lgkmcnt(3)
	v_mfma_f32_16x16x16_bf16 a[0:3], v[24:25], v[10:11], a[0:3]
	s_waitcnt lgkmcnt(2)
	v_mfma_f32_16x16x16_bf16 a[4:7], v[24:25], v[4:5], a[4:7]
	;; [unrolled: 2-line block ×4, first 2 shown]
	ds_read_b64 v[24:25], v32 offset:40960
	s_waitcnt lgkmcnt(0)
	v_mfma_f32_16x16x16_bf16 a[16:19], v[24:25], v[6:7], 0
	ds_read_b64 v[6:7], v33 offset:40960
	v_mfma_f32_16x16x16_bf16 a[20:23], v[24:25], v[8:9], 0
	ds_read_b64 v[8:9], v74 offset:40960
	v_mfma_f32_16x16x16_bf16 a[24:27], v[24:25], v[12:13], 0
	v_accvgpr_read_b32 v13, a3
	v_accvgpr_read_b32 v12, a2
	v_pk_fma_f32 v[64:65], v[0:1], v[64:65], v[12:13] op_sel_hi:[0,1,1]
	v_mfma_f32_16x16x16_bf16 a[28:31], v[24:25], v[14:15], 0
	ds_read_b64 v[12:13], v26 offset:40960
	v_accvgpr_read_b32 v15, a7
	v_accvgpr_read_b32 v14, a6
	s_waitcnt lgkmcnt(2)
	v_mfma_f32_16x16x16_bf16 a[16:19], v[6:7], v[20:21], a[16:19]
	v_accvgpr_read_b32 v21, a15
	v_accvgpr_read_b32 v20, a14
	v_pk_fma_f32 v[56:57], v[0:1], v[56:57], v[14:15] op_sel_hi:[0,1,1]
	v_mfma_f32_16x16x16_bf16 a[20:23], v[6:7], v[28:29], a[20:23]
	v_pk_fma_f32 v[40:41], v[0:1], v[40:41], v[20:21] op_sel_hi:[0,1,1]
	v_mfma_f32_16x16x16_bf16 a[24:27], v[6:7], v[66:67], a[24:27]
	v_mfma_f32_16x16x16_bf16 a[28:31], v[6:7], v[70:71], a[28:31]
	v_accvgpr_read_b32 v7, a11
	v_accvgpr_read_b32 v6, a10
	v_pk_fma_f32 v[48:49], v[0:1], v[48:49], v[6:7] op_sel_hi:[0,1,1]
	s_waitcnt lgkmcnt(1)
	v_mfma_f32_16x16x16_bf16 a[16:19], v[8:9], v[22:23], a[16:19]
	v_accvgpr_read_b32 v23, a1
	v_accvgpr_read_b32 v22, a0
	v_pk_fma_f32 v[62:63], v[0:1], v[62:63], v[22:23] op_sel_hi:[0,1,1]
	v_mfma_f32_16x16x16_bf16 a[0:3], v[8:9], v[30:31], a[20:23]
	v_accvgpr_read_b32 v23, a5
	v_accvgpr_read_b32 v22, a4
	;; [unrolled: 1-line block ×3, first 2 shown]
	v_mfma_f32_16x16x16_bf16 a[20:23], v[8:9], v[68:69], a[24:27]
	v_accvgpr_read_b32 v7, a13
	v_pk_fma_f32 v[38:39], v[0:1], v[38:39], v[6:7] op_sel_hi:[0,1,1]
	v_pk_fma_f32 v[54:55], v[0:1], v[54:55], v[22:23] op_sel_hi:[0,1,1]
	v_mfma_f32_16x16x16_bf16 a[4:7], v[8:9], v[72:73], a[28:31]
	v_accvgpr_read_b32 v8, a8
	v_accvgpr_read_b32 v9, a9
	v_pk_fma_f32 v[46:47], v[0:1], v[46:47], v[8:9] op_sel_hi:[0,1,1]
	s_waitcnt lgkmcnt(0)
	v_mfma_f32_16x16x16_bf16 a[8:11], v[12:13], v[10:11], a[16:19]
	v_mfma_f32_16x16x16_bf16 a[0:3], v[12:13], v[4:5], a[0:3]
	s_nop 5
	v_accvgpr_read_b32 v5, a11
	v_accvgpr_read_b32 v4, a10
	v_mfma_f32_16x16x16_bf16 a[10:13], v[12:13], v[16:17], a[20:23]
	v_pk_fma_f32 v[60:61], v[0:1], v[60:61], v[4:5] op_sel_hi:[0,1,1]
	v_accvgpr_read_b32 v7, a3
	v_accvgpr_read_b32 v6, a2
	v_mfma_f32_16x16x16_bf16 a[2:5], v[12:13], v[2:3], a[4:7]
	v_accvgpr_read_b32 v5, a1
	v_accvgpr_read_b32 v4, a0
	v_pk_fma_f32 v[50:51], v[0:1], v[50:51], v[4:5] op_sel_hi:[0,1,1]
	v_accvgpr_read_b32 v4, a10
	v_accvgpr_read_b32 v5, a11
	;; [unrolled: 1-line block ×3, first 2 shown]
	v_pk_fma_f32 v[42:43], v[0:1], v[42:43], v[4:5] op_sel_hi:[0,1,1]
	v_accvgpr_read_b32 v5, a3
	v_accvgpr_read_b32 v9, a13
	;; [unrolled: 1-line block ×7, first 2 shown]
	v_pk_fma_f32 v[58:59], v[0:1], v[58:59], v[10:11] op_sel_hi:[0,1,1]
	v_pk_fma_f32 v[52:53], v[0:1], v[52:53], v[6:7] op_sel_hi:[0,1,1]
	;; [unrolled: 1-line block ×5, first 2 shown]
	v_mov_b32_e32 v2, v18
.LBB62_100:
	s_lshl_b64 s[0:1], s[24:25], 15
	s_waitcnt lgkmcnt(0)
	s_add_u32 s0, s28, s0
	v_lshlrev_b32_e32 v2, 7, v2
	s_addc_u32 s1, s29, s1
	v_ashrrev_i32_e32 v3, 31, v2
	v_lshl_add_u64 v[4:5], v[2:3], 1, s[0:1]
	v_lshlrev_b32_e32 v0, 1, v1
	v_mov_b32_e32 v1, 0
	s_mov_b32 s2, 0x7060302
	v_lshl_add_u64 v[4:5], v[4:5], 0, v[0:1]
	v_perm_b32 v7, v65, v64, s2
	v_perm_b32 v6, v63, v62, s2
	global_store_dwordx2 v[4:5], v[6:7], off
	v_perm_b32 v7, v61, v60, s2
	v_perm_b32 v6, v59, v58, s2
	global_store_dwordx2 v[4:5], v[6:7], off offset:128
	v_or_b32_e32 v4, 0x800, v2
	v_ashrrev_i32_e32 v5, 31, v4
	v_lshl_add_u64 v[4:5], v[4:5], 1, s[0:1]
	v_lshl_add_u64 v[4:5], v[4:5], 0, v[0:1]
	v_perm_b32 v7, v57, v56, s2
	v_perm_b32 v6, v55, v54, s2
	global_store_dwordx2 v[4:5], v[6:7], off
	v_perm_b32 v7, v53, v52, s2
	v_perm_b32 v6, v51, v50, s2
	global_store_dwordx2 v[4:5], v[6:7], off offset:128
	v_or_b32_e32 v4, 0x1000, v2
	v_or_b32_e32 v2, 0x1800, v2
	v_ashrrev_i32_e32 v5, 31, v4
	v_ashrrev_i32_e32 v3, 31, v2
	v_lshl_add_u64 v[4:5], v[4:5], 1, s[0:1]
	v_lshl_add_u64 v[2:3], v[2:3], 1, s[0:1]
	;; [unrolled: 1-line block ×3, first 2 shown]
	v_perm_b32 v7, v49, v48, s2
	v_perm_b32 v6, v47, v46, s2
	v_lshl_add_u64 v[0:1], v[2:3], 0, v[0:1]
	v_perm_b32 v3, v41, v40, s2
	v_perm_b32 v2, v39, v38, s2
	global_store_dwordx2 v[4:5], v[6:7], off
	v_perm_b32 v7, v45, v44, s2
	v_perm_b32 v6, v43, v42, s2
	global_store_dwordx2 v[0:1], v[2:3], off
	v_perm_b32 v3, v35, v34, s2
	v_perm_b32 v2, v37, v36, s2
	global_store_dwordx2 v[4:5], v[6:7], off offset:128
	global_store_dwordx2 v[0:1], v[2:3], off offset:128
	s_endpgm
	.section	.rodata,"a",@progbits
	.p2align	6, 0x0
	.amdhsa_kernel _ZN12_GLOBAL__N_139chunk_gated_delta_rule_fwd_h_hip_kernelILi64ELb0ELb1ELb0ELb0ELb1ELb0ELb0ELb1EEEvPK12hip_bfloat16S3_S3_PKfS5_PKvPS1_S8_PvPKiSB_iiiiilll
		.amdhsa_group_segment_fixed_size 65536
		.amdhsa_private_segment_fixed_size 0
		.amdhsa_kernarg_size 136
		.amdhsa_user_sgpr_count 2
		.amdhsa_user_sgpr_dispatch_ptr 0
		.amdhsa_user_sgpr_queue_ptr 0
		.amdhsa_user_sgpr_kernarg_segment_ptr 1
		.amdhsa_user_sgpr_dispatch_id 0
		.amdhsa_user_sgpr_kernarg_preload_length 0
		.amdhsa_user_sgpr_kernarg_preload_offset 0
		.amdhsa_user_sgpr_private_segment_size 0
		.amdhsa_uses_dynamic_stack 0
		.amdhsa_enable_private_segment 0
		.amdhsa_system_sgpr_workgroup_id_x 1
		.amdhsa_system_sgpr_workgroup_id_y 1
		.amdhsa_system_sgpr_workgroup_id_z 0
		.amdhsa_system_sgpr_workgroup_info 0
		.amdhsa_system_vgpr_workitem_id 0
		.amdhsa_next_free_vgpr 216
		.amdhsa_next_free_sgpr 65
		.amdhsa_accum_offset 180
		.amdhsa_reserve_vcc 1
		.amdhsa_float_round_mode_32 0
		.amdhsa_float_round_mode_16_64 0
		.amdhsa_float_denorm_mode_32 3
		.amdhsa_float_denorm_mode_16_64 3
		.amdhsa_dx10_clamp 1
		.amdhsa_ieee_mode 1
		.amdhsa_fp16_overflow 0
		.amdhsa_tg_split 0
		.amdhsa_exception_fp_ieee_invalid_op 0
		.amdhsa_exception_fp_denorm_src 0
		.amdhsa_exception_fp_ieee_div_zero 0
		.amdhsa_exception_fp_ieee_overflow 0
		.amdhsa_exception_fp_ieee_underflow 0
		.amdhsa_exception_fp_ieee_inexact 0
		.amdhsa_exception_int_div_zero 0
	.end_amdhsa_kernel
	.section	.text._ZN12_GLOBAL__N_139chunk_gated_delta_rule_fwd_h_hip_kernelILi64ELb0ELb1ELb0ELb0ELb1ELb0ELb0ELb1EEEvPK12hip_bfloat16S3_S3_PKfS5_PKvPS1_S8_PvPKiSB_iiiiilll,"axG",@progbits,_ZN12_GLOBAL__N_139chunk_gated_delta_rule_fwd_h_hip_kernelILi64ELb0ELb1ELb0ELb0ELb1ELb0ELb0ELb1EEEvPK12hip_bfloat16S3_S3_PKfS5_PKvPS1_S8_PvPKiSB_iiiiilll,comdat
.Lfunc_end62:
	.size	_ZN12_GLOBAL__N_139chunk_gated_delta_rule_fwd_h_hip_kernelILi64ELb0ELb1ELb0ELb0ELb1ELb0ELb0ELb1EEEvPK12hip_bfloat16S3_S3_PKfS5_PKvPS1_S8_PvPKiSB_iiiiilll, .Lfunc_end62-_ZN12_GLOBAL__N_139chunk_gated_delta_rule_fwd_h_hip_kernelILi64ELb0ELb1ELb0ELb0ELb1ELb0ELb0ELb1EEEvPK12hip_bfloat16S3_S3_PKfS5_PKvPS1_S8_PvPKiSB_iiiiilll
                                        ; -- End function
	.section	.AMDGPU.csdata,"",@progbits
; Kernel info:
; codeLenInByte = 12192
; NumSgprs: 71
; NumVgprs: 178
; NumAgprs: 36
; TotalNumVgprs: 216
; ScratchSize: 0
; MemoryBound: 0
; FloatMode: 240
; IeeeMode: 1
; LDSByteSize: 65536 bytes/workgroup (compile time only)
; SGPRBlocks: 8
; VGPRBlocks: 26
; NumSGPRsForWavesPerEU: 71
; NumVGPRsForWavesPerEU: 216
; AccumOffset: 180
; Occupancy: 1
; WaveLimiterHint : 1
; COMPUTE_PGM_RSRC2:SCRATCH_EN: 0
; COMPUTE_PGM_RSRC2:USER_SGPR: 2
; COMPUTE_PGM_RSRC2:TRAP_HANDLER: 0
; COMPUTE_PGM_RSRC2:TGID_X_EN: 1
; COMPUTE_PGM_RSRC2:TGID_Y_EN: 1
; COMPUTE_PGM_RSRC2:TGID_Z_EN: 0
; COMPUTE_PGM_RSRC2:TIDIG_COMP_CNT: 0
; COMPUTE_PGM_RSRC3_GFX90A:ACCUM_OFFSET: 44
; COMPUTE_PGM_RSRC3_GFX90A:TG_SPLIT: 0
	.section	.text._ZN12_GLOBAL__N_139chunk_gated_delta_rule_fwd_h_hip_kernelILi64ELb0ELb0ELb1ELb0ELb1ELb0ELb0ELb1EEEvPK12hip_bfloat16S3_S3_PKfS5_PKvPS1_S8_PvPKiSB_iiiiilll,"axG",@progbits,_ZN12_GLOBAL__N_139chunk_gated_delta_rule_fwd_h_hip_kernelILi64ELb0ELb0ELb1ELb0ELb1ELb0ELb0ELb1EEEvPK12hip_bfloat16S3_S3_PKfS5_PKvPS1_S8_PvPKiSB_iiiiilll,comdat
	.globl	_ZN12_GLOBAL__N_139chunk_gated_delta_rule_fwd_h_hip_kernelILi64ELb0ELb0ELb1ELb0ELb1ELb0ELb0ELb1EEEvPK12hip_bfloat16S3_S3_PKfS5_PKvPS1_S8_PvPKiSB_iiiiilll ; -- Begin function _ZN12_GLOBAL__N_139chunk_gated_delta_rule_fwd_h_hip_kernelILi64ELb0ELb0ELb1ELb0ELb1ELb0ELb0ELb1EEEvPK12hip_bfloat16S3_S3_PKfS5_PKvPS1_S8_PvPKiSB_iiiiilll
	.p2align	8
	.type	_ZN12_GLOBAL__N_139chunk_gated_delta_rule_fwd_h_hip_kernelILi64ELb0ELb0ELb1ELb0ELb1ELb0ELb0ELb1EEEvPK12hip_bfloat16S3_S3_PKfS5_PKvPS1_S8_PvPKiSB_iiiiilll,@function
_ZN12_GLOBAL__N_139chunk_gated_delta_rule_fwd_h_hip_kernelILi64ELb0ELb0ELb1ELb0ELb1ELb0ELb0ELb1EEEvPK12hip_bfloat16S3_S3_PKfS5_PKvPS1_S8_PvPKiSB_iiiiilll: ; @_ZN12_GLOBAL__N_139chunk_gated_delta_rule_fwd_h_hip_kernelILi64ELb0ELb0ELb1ELb0ELb1ELb0ELb0ELb1EEEvPK12hip_bfloat16S3_S3_PKfS5_PKvPS1_S8_PvPKiSB_iiiiilll
; %bb.0:
	s_load_dwordx4 s[16:19], s[0:1], 0x5c
	s_load_dwordx4 s[12:15], s[0:1], 0x30
	s_abs_i32 s22, s3
	s_ashr_i32 s21, s3, 31
	s_load_dwordx8 s[4:11], s[0:1], 0x0
	s_waitcnt lgkmcnt(0)
	s_abs_i32 s20, s17
	v_cvt_f32_u32_e32 v1, s20
	s_sub_i32 s24, 0, s20
	s_ashr_i32 s23, s17, 31
	s_xor_b32 s21, s21, s23
	v_rcp_iflag_f32_e32 v1, v1
	v_lshrrev_b32_e32 v76, 6, v0
	v_bfe_u32 v77, v0, 4, 2
	v_lshlrev_b32_e32 v2, 2, v77
	v_mul_f32_e32 v1, 0x4f7ffffe, v1
	v_cvt_u32_f32_e32 v1, v1
	v_and_b32_e32 v75, 63, v0
	v_mov_b32_e32 v35, 0
	v_and_b32_e32 v74, 15, v0
	v_readfirstlane_b32 s25, v1
	s_mul_i32 s24, s24, s25
	s_mul_hi_u32 s24, s25, s24
	s_add_i32 s25, s25, s24
	s_mul_hi_u32 s24, s22, s25
	s_mul_i32 s25, s24, s20
	s_sub_i32 s22, s22, s25
	s_add_i32 s26, s24, 1
	s_sub_i32 s25, s22, s20
	s_cmp_ge_u32 s22, s20
	s_cselect_b32 s24, s26, s24
	s_cselect_b32 s22, s25, s22
	s_add_i32 s25, s24, 1
	s_cmp_ge_u32 s22, s20
	s_cselect_b32 s22, s25, s24
	s_xor_b32 s22, s22, s21
	s_sub_i32 s47, s22, s21
	s_abs_i32 s21, s18
	v_cvt_f32_u32_e32 v1, s21
	s_add_i32 s24, s16, 63
	s_mul_i32 s45, s47, s17
	s_sub_i32 s33, s3, s45
	v_rcp_iflag_f32_e32 v1, v1
	s_ashr_i32 s3, s24, 31
	s_ashr_i32 s46, s16, 31
	s_lshr_b32 s3, s3, 26
	v_mul_f32_e32 v1, 0x4f7ffffe, v1
	v_cvt_u32_f32_e32 v1, v1
	s_lshr_b32 s22, s46, 26
	s_add_i32 s24, s24, s3
	s_add_i32 s22, s16, s22
	s_ashr_i32 s49, s18, 31
	s_ashr_i32 s3, s24, 6
	s_ashr_i32 s48, s22, 6
	s_xor_b32 s22, s23, s49
	s_sub_i32 s23, 0, s21
	v_readfirstlane_b32 s24, v1
	s_mul_i32 s23, s23, s24
	s_mul_hi_u32 s23, s24, s23
	s_add_i32 s24, s24, s23
	s_mul_hi_u32 s23, s20, s24
	s_mul_i32 s24, s23, s21
	s_sub_i32 s20, s20, s24
	s_add_i32 s24, s23, 1
	s_sub_i32 s25, s20, s21
	s_cmp_ge_u32 s20, s21
	s_cselect_b32 s23, s24, s23
	s_cselect_b32 s20, s25, s20
	s_add_i32 s24, s23, 1
	s_cmp_ge_u32 s20, s21
	s_cselect_b32 s20, s24, s23
	s_xor_b32 s20, s20, s22
	s_sub_i32 s24, s20, s22
	s_abs_i32 s25, s24
	v_cvt_f32_u32_e32 v1, s25
	s_load_dwordx2 s[34:35], s[0:1], 0x80
	s_load_dwordx4 s[20:23], s[0:1], 0x70
	s_xor_b32 s0, s33, s24
	s_sub_i32 s24, 0, s25
	v_rcp_iflag_f32_e32 v1, v1
	s_abs_i32 s1, s33
	s_ashr_i32 s0, s0, 31
	s_mul_i32 s50, s47, s3
	v_mul_f32_e32 v1, 0x4f7ffffe, v1
	v_cvt_u32_f32_e32 v1, v1
	s_mul_hi_i32 s51, s47, s17
	v_lshrrev_b32_e32 v79, 3, v75
	v_lshlrev_b32_e32 v78, 3, v0
	v_readfirstlane_b32 s26, v1
	s_mul_i32 s24, s24, s26
	s_mul_hi_u32 s24, s26, s24
	s_add_i32 s26, s26, s24
	s_mul_hi_u32 s24, s1, s26
	s_mul_i32 s26, s24, s25
	s_sub_i32 s1, s1, s26
	s_add_i32 s26, s24, 1
	s_sub_i32 s27, s1, s25
	s_cmp_ge_u32 s1, s25
	s_cselect_b32 s24, s26, s24
	s_cselect_b32 s1, s27, s1
	s_add_i32 s26, s24, 1
	s_cmp_ge_u32 s1, s25
	s_cselect_b32 s1, s26, s24
	s_xor_b32 s1, s1, s0
	v_lshlrev_b32_e32 v1, 4, v76
	s_sub_i32 s52, s1, s0
	v_or_b32_e32 v80, v2, v1
	s_lshl_b32 s36, s2, 6
	v_or_b32_e32 v81, 64, v80
	s_cmp_lt_i32 s16, 64
	s_waitcnt lgkmcnt(0)
	s_mul_i32 s21, s47, s21
	s_mul_hi_u32 s44, s47, s20
	s_mul_i32 s38, s47, s20
	v_mov_b32_e32 v34, v35
	v_mov_b32_e32 v41, v35
	;; [unrolled: 1-line block ×31, first 2 shown]
	s_cbranch_scc1 .LBB63_18
; %bb.1:
	s_ashr_i32 s28, s47, 31
	s_ashr_i32 s54, s33, 31
	s_add_u32 s0, s45, s33
	s_addc_u32 s1, s51, s54
	s_mul_i32 s1, s16, s1
	s_mul_hi_u32 s2, s16, s0
	s_add_i32 s3, s2, s1
	s_mul_i32 s2, s16, s0
	s_lshl_b64 s[0:1], s[2:3], 8
	v_and_b32_e32 v83, 56, v78
	s_add_u32 s24, s6, s0
	v_lshl_or_b32 v82, v76, 3, v79
	v_lshlrev_b32_e32 v3, 1, v83
	s_addc_u32 s0, s7, s1
	v_lshl_or_b32 v84, v82, 8, v3
	s_and_b32 s25, s0, 0xffff
	s_mov_b32 s27, 0x20000
	s_movk_i32 s26, 0x4000
	s_movk_i32 s0, 0x80
	v_or_b32_e32 v85, 0x2000, v84
	buffer_load_dwordx4 v[4:7], v84, s[24:27], 0 offen
	buffer_load_dwordx4 v[8:11], v84, s[24:27], s0 offen
	;; [unrolled: 1-line block ×4, first 2 shown]
	v_lshlrev_b32_e32 v20, 3, v82
	v_and_or_b32 v22, v0, 7, v20
	v_and_b32_e32 v20, 0x78, v20
	v_lshlrev_b32_e32 v22, 4, v22
	v_xor_b32_e32 v86, v22, v20
	v_mul_lo_u32 v21, v82, s19
	v_or_b32_e32 v87, 0x1000, v86
	s_cmpk_eq_i32 s19, 0x80
	s_mov_b32 s53, s18
	v_xor_b32_e32 v20, 8, v86
	v_xor_b32_e32 v22, 8, v87
	s_cselect_b64 s[0:1], -1, 0
	s_cmpk_lg_i32 s19, 0x80
	s_waitcnt vmcnt(3)
	ds_write_b64 v86, v[4:5] offset:49152
	ds_write_b64 v20, v[6:7] offset:49152
	s_waitcnt vmcnt(2)
	ds_write_b64 v86, v[8:9] offset:57344
	ds_write_b64 v20, v[10:11] offset:57344
	;; [unrolled: 3-line block ×4, first 2 shown]
	v_lshl_add_u32 v4, v21, 1, v83
	s_cbranch_scc0 .LBB63_3
; %bb.2:
	v_lshlrev_b32_e32 v6, 1, v4
	v_add_lshl_u32 v5, v4, s19, 1
	s_lshl_b32 s26, s19, 7
	v_lshl_or_b32 v3, v82, 9, v3
	s_cbranch_execz .LBB63_4
	s_branch .LBB63_5
.LBB63_3:
                                        ; implicit-def: $vgpr5
                                        ; implicit-def: $vgpr6
                                        ; implicit-def: $sgpr26
	v_lshl_or_b32 v3, v82, 9, v3
.LBB63_4:
	v_or_b32_e32 v5, 0x100, v3
	s_movk_i32 s26, 0x4000
	v_mov_b32_e32 v6, v3
.LBB63_5:
	s_mul_hi_u32 s24, s18, s16
	s_mul_i32 s25, s49, s16
	s_add_i32 s24, s24, s25
	s_mul_i32 s25, s18, s16
	s_mul_i32 s27, s25, s28
	s_mul_hi_u32 s29, s25, s47
	s_add_i32 s27, s29, s27
	s_mul_i32 s24, s24, s47
	s_add_i32 s27, s27, s24
	s_mul_i32 s25, s25, s47
	s_ashr_i32 s55, s52, 31
	s_add_u32 s24, s25, s52
	s_addc_u32 s25, s27, s55
	s_lshl_b64 s[24:25], s[24:25], 8
	s_add_u32 s24, s4, s24
	s_addc_u32 s25, s5, s25
	s_and_b32 s25, s25, 0xffff
	s_mov_b32 s27, 0x20000
	s_movk_i32 s56, 0x80
	buffer_load_dwordx4 v[8:11], v6, s[24:27], 0 offen
	buffer_load_dwordx4 v[12:15], v6, s[24:27], s56 offen
	;; [unrolled: 1-line block ×4, first 2 shown]
	v_and_b32_e32 v5, 6, v0
	v_lshlrev_b32_e32 v6, 7, v80
	v_xor_b32_e32 v27, v82, v5
	v_and_b32_e32 v7, 1, v0
	v_lshl_or_b32 v30, v74, 3, v6
	v_lshlrev_b32_e32 v27, 2, v27
	v_or_b32_e32 v88, 0x4000, v30
	v_or_b32_e32 v89, 0x6000, v30
	v_xor_b32_e32 v30, 0x440, v27
	v_cmp_eq_u32_e32 vcc, 0, v7
	v_lshlrev_b32_e32 v24, 2, v74
	s_mov_b32 s58, 0x1000504
	v_cndmask_b32_e32 v7, v30, v27, vcc
	v_xor_b32_e32 v28, v80, v24
	v_xor_b32_e32 v29, v81, v24
	v_lshl_or_b32 v5, v5, 10, v7
	s_mov_b32 s59, 0x3020706
	s_mul_i32 s24, s28, s16
	s_mul_hi_u32 s25, s47, s16
	v_lshlrev_b32_e32 v25, 8, v74
	v_or_b32_e32 v26, 16, v74
	v_lshlrev_b32_e32 v28, 1, v28
	v_lshlrev_b32_e32 v29, 1, v29
	v_xor_b32_e32 v7, 8, v5
	v_xor_b32_e32 v27, 24, v5
	;; [unrolled: 1-line block ×4, first 2 shown]
	v_or_b32_e32 v91, v25, v28
	v_or_b32_e32 v92, v25, v29
	v_xor_b32_e32 v25, 16, v5
	v_xor_b32_e32 v30, 32, v5
	;; [unrolled: 1-line block ×3, first 2 shown]
	v_add_u32_e32 v7, 0x80, v7
	v_add_u32_e32 v27, 0x80, v27
	;; [unrolled: 1-line block ×4, first 2 shown]
	s_add_i32 s61, s25, s24
	s_add_i32 s24, s44, s21
	s_mul_i32 s28, s28, s20
	s_add_i32 s39, s24, s28
	s_mul_i32 s24, s33, s23
	s_mul_hi_u32 s25, s33, s22
	s_add_i32 s24, s25, s24
	s_mul_i32 s25, s54, s22
	s_add_i32 s25, s24, s25
	s_lshl_b64 s[28:29], s[38:39], 2
	s_mul_i32 s24, s33, s22
	s_add_u32 s28, s10, s28
	s_addc_u32 s29, s11, s29
	s_lshl_b64 s[24:25], s[24:25], 2
	s_add_u32 s40, s28, s24
	s_movk_i32 s24, 0xf8
	s_addc_u32 s41, s29, s25
	s_ashr_i32 s37, s36, 31
	s_lshl_b32 s30, s19, 7
	s_movk_i32 s28, 0x100
	v_mov_b32_e32 v67, 0
	v_lshlrev_b32_e32 v66, 4, v74
	v_cmp_gt_u32_e32 vcc, s28, v0
	v_lshl_or_b32 v31, v26, 3, v6
	s_mov_b32 s57, 0
	s_mul_i32 s60, s47, s16
	v_or_b32_e32 v90, 0x4000, v31
	s_movk_i32 s26, 0x4000
	v_or_b32_e32 v93, 0x6000, v31
	v_add_u32_e32 v128, v1, v2
	s_movk_i32 s39, 0x2000
	s_movk_i32 s62, 0x3000
	s_mov_b32 s64, 0
	v_mov_b32_e32 v58, v67
	v_mov_b32_e32 v59, v67
	;; [unrolled: 1-line block ×9, first 2 shown]
	s_waitcnt vmcnt(1)
	v_perm_b32 v35, v8, v16, s58
	s_waitcnt vmcnt(0)
	v_perm_b32 v36, v12, v20, s58
	v_perm_b32 v8, v8, v16, s59
	;; [unrolled: 1-line block ×15, first 2 shown]
	ds_write2st64_b32 v5, v35, v36 offset0:128 offset1:160
	ds_write2st64_b32 v7, v8, v12 offset0:128 offset1:160
	;; [unrolled: 1-line block ×8, first 2 shown]
	v_lshlrev_b32_e32 v5, 8, v26
	v_or_b32_e32 v94, v5, v28
	v_or_b32_e32 v95, v5, v29
	;; [unrolled: 1-line block ×3, first 2 shown]
	v_lshl_or_b32 v7, v5, 3, v6
	v_lshlrev_b32_e32 v5, 8, v5
	v_or_b32_e32 v98, v5, v28
	v_or_b32_e32 v99, v5, v29
	;; [unrolled: 1-line block ×5, first 2 shown]
	v_lshl_or_b32 v7, v5, 3, v6
	v_lshlrev_b32_e32 v5, 8, v5
	v_or_b32_e32 v102, v5, v28
	v_or_b32_e32 v103, v5, v29
	;; [unrolled: 1-line block ×3, first 2 shown]
	v_lshlrev_b32_e32 v5, 3, v5
	v_lshrrev_b32_e32 v9, 5, v75
	v_and_or_b32 v9, v5, s24, v9
	v_lshlrev_b32_e32 v9, 4, v9
	v_or_b32_e32 v100, 0x4000, v7
	v_or_b32_e32 v101, 0x6000, v7
	v_lshlrev_b32_e32 v7, 11, v76
	v_and_b32_e32 v5, 0x78, v5
	v_or_b32_e32 v14, 32, v9
	v_and_b32_e32 v8, 0x1000, v7
	v_xor_b32_e32 v10, v9, v5
	v_lshrrev_b32_e32 v11, 1, v0
	v_xor_b32_e32 v14, v14, v5
	v_or_b32_e32 v10, v10, v8
	v_and_b32_e32 v12, 8, v11
	v_or_b32_e32 v14, v14, v8
	v_xor_b32_e32 v104, v10, v12
	v_lshlrev_b32_e32 v10, 8, v77
	v_xor_b32_e32 v106, v14, v12
	v_or_b32_e32 v14, 64, v9
	v_or_b32_e32 v9, 0x60, v9
	;; [unrolled: 1-line block ×3, first 2 shown]
	v_xor_b32_e32 v14, v14, v5
	v_xor_b32_e32 v5, v9, v5
	v_lshlrev_b32_e32 v13, 1, v13
	v_or_b32_e32 v14, v14, v8
	v_or_b32_e32 v5, v5, v8
	s_lshl_b64 s[24:25], s[36:37], 8
	v_or_b32_e32 v105, 0x4000, v13
	v_or_b32_e32 v107, 0x4080, v13
	;; [unrolled: 1-line block ×4, first 2 shown]
	v_xor_b32_e32 v110, v14, v12
	v_xor_b32_e32 v111, v5, v12
	v_or_b32_e32 v112, 0x6000, v13
	v_or_b32_e32 v113, 0x6080, v13
	;; [unrolled: 1-line block ×4, first 2 shown]
	v_lshlrev_b32_e32 v12, 1, v4
	v_add_lshl_u32 v13, v4, s19, 1
	s_add_u32 s24, s12, s24
	v_lshlrev_b32_e32 v4, 1, v74
	v_lshrrev_b32_e32 v15, 4, v0
	s_addc_u32 s25, s13, s25
	v_or_b32_e32 v5, 1, v4
	v_mov_b32_e32 v19, 0xa000
	v_mov_b32_e32 v20, 0x8000
	v_xor_b32_e32 v16, v15, v4
	v_xor_b32_e32 v17, v5, v15
	v_lshl_add_u64 v[4:5], s[24:25], 0, v[66:67]
	v_lshlrev_b32_e32 v66, 8, v15
	v_cndmask_b32_e32 v19, v19, v20, vcc
	v_lshlrev_b32_e32 v20, 3, v76
	v_and_b32_e32 v11, 24, v11
	v_lshl_or_b32 v116, v16, 3, v66
	v_and_b32_e32 v16, 8, v0
	v_xor_b32_e32 v21, v20, v11
	v_or_b32_e32 v22, 0x440, v21
	v_cmp_eq_u32_e32 vcc, 0, v16
	v_and_b32_e32 v15, 7, v0
	v_lshl_or_b32 v117, v17, 3, v66
	v_cndmask_b32_e32 v16, v22, v21, vcc
	v_lshlrev_b32_e32 v17, 3, v15
	v_lshlrev_b32_e32 v15, 7, v15
	v_or_b32_e32 v16, v16, v7
	v_lshlrev_b32_e32 v18, 2, v0
	v_xad_u32 v118, v16, v17, v15
	v_or_b32_e32 v16, 32, v11
	v_and_or_b32 v10, v18, 60, v10
	v_xor_b32_e32 v16, v20, v16
	v_lshlrev_b32_e32 v10, 1, v10
	v_or_b32_e32 v18, 0x440, v16
	v_or_b32_e32 v119, 0x6000, v10
	v_cndmask_b32_e32 v16, v18, v16, vcc
	v_or_b32_e32 v121, 0x6080, v10
	v_or_b32_e32 v122, 0x6100, v10
	;; [unrolled: 1-line block ×5, first 2 shown]
	v_xor_b32_e32 v10, v20, v10
	v_xad_u32 v120, v16, v17, v15
	v_xor_b32_e32 v16, 0x440, v10
	v_cndmask_b32_e32 v10, v16, v10, vcc
	v_or_b32_e32 v10, v10, v7
	v_xad_u32 v124, v10, v17, v15
	v_or_b32_e32 v10, 0x60, v11
	v_xor_b32_e32 v10, v20, v10
	v_xor_b32_e32 v11, 0x440, v10
	v_or_b32_e32 v8, s36, v74
	v_cndmask_b32_e32 v10, v11, v10, vcc
	v_ashrrev_i32_e32 v9, 31, v8
	v_or_b32_e32 v7, v10, v7
	v_or_b32_e32 v14, 0x100, v3
	v_xad_u32 v125, v7, v17, v15
	v_lshlrev_b64 v[8:9], 1, v[8:9]
	v_cndmask_b32_e64 v126, v12, v3, s[0:1]
	v_cndmask_b32_e64 v127, v13, v14, s[0:1]
	v_lshl_add_u64 v[68:69], s[8:9], 0, v[8:9]
	v_lshl_add_u64 v[70:71], s[14:15], 0, v[8:9]
	;; [unrolled: 1-line block ×3, first 2 shown]
	s_mov_b32 s37, 0x7060302
	v_lshlrev_b32_e32 v66, 1, v6
	v_add_u32_e32 v129, v19, v118
	v_add_u32_e32 v130, v19, v120
	;; [unrolled: 1-line block ×4, first 2 shown]
	v_mov_b32_e32 v51, v67
	v_mov_b32_e32 v52, v67
	;; [unrolled: 1-line block ×23, first 2 shown]
	s_waitcnt lgkmcnt(0)
	s_barrier
.LBB63_6:                               ; =>This Inner Loop Header: Depth=1
	s_add_i32 s63, s64, 1
	s_cmp_lt_i32 s63, s48
	s_mov_b64 s[28:29], 0
	s_cselect_b64 s[42:43], -1, 0
	s_cmp_ge_i32 s63, s48
	s_mov_b64 s[24:25], 0
	s_cbranch_scc1 .LBB63_8
; %bb.7:                                ;   in Loop: Header=BB63_6 Depth=1
	s_add_i32 s0, s57, 64
	s_add_u32 s0, s2, s0
	s_addc_u32 s1, s3, 0
	s_lshl_b64 s[0:1], s[0:1], 8
	s_add_u32 s24, s6, s0
	s_addc_u32 s25, s7, s1
.LBB63_8:                               ;   in Loop: Header=BB63_6 Depth=1
	v_cndmask_b32_e64 v2, 0, 1, s[42:43]
	v_cmp_ne_u32_e64 s[0:1], 1, v2
	s_andn2_b64 vcc, exec, s[42:43]
	s_cbranch_vccnz .LBB63_10
; %bb.9:                                ;   in Loop: Header=BB63_6 Depth=1
	s_add_i32 s28, s57, 64
	s_add_u32 s28, s60, s28
	s_addc_u32 s29, s61, 0
	s_mul_i32 s31, s28, s49
	s_mul_hi_u32 s42, s28, s53
	s_add_i32 s31, s42, s31
	s_mul_i32 s29, s29, s53
	s_add_i32 s31, s31, s29
	s_mul_i32 s28, s28, s53
	s_add_u32 s28, s28, s52
	s_addc_u32 s29, s31, s55
	s_lshl_b64 s[28:29], s[28:29], 8
	s_add_u32 s28, s4, s28
	s_addc_u32 s29, s5, s29
.LBB63_10:                              ;   in Loop: Header=BB63_6 Depth=1
	v_perm_b32 v3, v65, v64, s37
	v_perm_b32 v2, v63, v62, s37
	v_perm_b32 v5, v61, v60, s37
	v_perm_b32 v4, v59, v58, s37
	ds_write_b64 v88, v[2:3]
	ds_write_b64 v89, v[4:5]
	ds_write_b64 v91, v[2:3]
	ds_write_b64 v92, v[4:5]
	v_perm_b32 v3, v57, v56, s37
	v_perm_b32 v2, v55, v54, s37
	v_perm_b32 v5, v53, v52, s37
	v_perm_b32 v4, v51, v50, s37
	ds_write_b64 v90, v[2:3]
	ds_write_b64 v93, v[4:5]
	ds_write_b64 v94, v[2:3]
	ds_write_b64 v95, v[4:5]
	;; [unrolled: 8-line block ×4, first 2 shown]
	s_waitcnt lgkmcnt(0)
	s_barrier
	ds_read_b64 v[6:7], v104 offset:49152
	ds_read2_b64 v[2:5], v105 offset1:16
	ds_read_b64 v[18:19], v107 offset:6144
	ds_read_b64 v[20:21], v105 offset:6144
	s_waitcnt lgkmcnt(2)
	v_mfma_f32_16x16x16_bf16 a[0:3], v[6:7], v[2:3], 0
	ds_read_b64 v[22:23], v106 offset:49152
	ds_read2st64_b64 v[10:13], v108 offset0:4 offset1:8
	ds_read2st64_b64 v[14:17], v109 offset0:4 offset1:8
	v_mfma_f32_16x16x16_bf16 a[4:7], v[6:7], v[4:5], 0
	ds_read2_b64 v[2:5], v105 offset0:32 offset1:48
	s_add_i32 s31, s57, 63
	s_mul_i32 s42, s31, s35
	s_waitcnt lgkmcnt(0)
	v_mfma_f32_16x16x16_bf16 a[8:11], v[6:7], v[2:3], 0
	s_mul_hi_u32 s43, s31, s34
	s_add_i32 s43, s43, s42
	s_mul_i32 s42, s31, s34
	v_mfma_f32_16x16x16_bf16 a[12:15], v[6:7], v[4:5], 0
	ds_read2st64_b64 v[2:5], v105 offset0:4 offset1:8
	ds_read2st64_b64 v[6:9], v107 offset0:4 offset1:8
	s_lshl_b64 s[42:43], s[42:43], 2
	s_waitcnt lgkmcnt(1)
	v_mfma_f32_16x16x16_bf16 a[0:3], v[22:23], v[2:3], a[0:3]
	s_add_u32 s42, s40, s42
	s_addc_u32 s43, s41, s43
	s_and_b64 vcc, exec, s[0:1]
	s_waitcnt lgkmcnt(0)
	v_mfma_f32_16x16x16_bf16 a[4:7], v[22:23], v[6:7], a[4:7]
	v_mov_b32_e32 v135, 0
	v_mov_b32_e32 v134, 0
	;; [unrolled: 1-line block ×3, first 2 shown]
	v_mfma_f32_16x16x16_bf16 a[8:11], v[22:23], v[10:11], a[8:11]
	ds_read_b64 v[2:3], v110 offset:49152
	ds_read_b64 v[6:7], v111 offset:49152
	ds_read_b64 v[10:11], v109 offset:6144
	v_mfma_f32_16x16x16_bf16 a[12:15], v[22:23], v[14:15], a[12:15]
	v_mov_b32_e32 v14, 0
	v_mov_b32_e32 v15, 0
	s_waitcnt lgkmcnt(2)
	v_mfma_f32_16x16x16_bf16 a[0:3], v[2:3], v[4:5], a[0:3]
	v_mov_b32_e32 v4, 0
	v_mov_b32_e32 v5, 0
	v_mfma_f32_16x16x16_bf16 a[16:19], v[2:3], v[8:9], a[4:7]
	v_mov_b32_e32 v8, 0
	v_mov_b32_e32 v9, 0
	;; [unrolled: 3-line block ×3, first 2 shown]
	v_mfma_f32_16x16x16_bf16 a[24:27], v[2:3], v[16:17], a[12:15]
	ds_read_b64 v[2:3], v108 offset:6144
	v_mov_b32_e32 v16, 0
	v_mov_b32_e32 v17, 0
	s_waitcnt lgkmcnt(2)
	v_mfma_f32_16x16x16_bf16 a[4:7], v[6:7], v[20:21], a[0:3]
	v_mfma_f32_16x16x16_bf16 a[8:11], v[6:7], v[18:19], a[16:19]
	s_waitcnt lgkmcnt(0)
	v_mfma_f32_16x16x16_bf16 a[12:15], v[6:7], v[2:3], a[20:23]
	v_mov_b32_e32 v2, 0
	v_mov_b32_e32 v3, 0
	v_mfma_f32_16x16x16_bf16 a[0:3], v[6:7], v[10:11], a[24:27]
	v_mov_b32_e32 v6, 0
	v_mov_b32_e32 v7, 0
	;; [unrolled: 1-line block ×4, first 2 shown]
	s_cbranch_vccnz .LBB63_12
; %bb.11:                               ;   in Loop: Header=BB63_6 Depth=1
	s_and_b32 s25, s25, 0xffff
	buffer_load_dwordx4 v[14:17], v84, s[24:27], 0 offen
	buffer_load_dwordx4 v[10:13], v84, s[24:27], s56 offen
	;; [unrolled: 1-line block ×4, first 2 shown]
	v_mov_b32_e32 v134, v86
	v_mov_b32_e32 v133, v87
.LBB63_12:                              ;   in Loop: Header=BB63_6 Depth=1
	ds_read_b64 v[30:31], v104 offset:57344
	ds_read2_b64 v[18:21], v112 offset1:16
	ds_read_b64 v[136:137], v106 offset:57344
	ds_read_b64 v[138:139], v110 offset:57344
	;; [unrolled: 1-line block ×3, first 2 shown]
	v_add_u32_e32 v32, s57, v128
	s_waitcnt lgkmcnt(3)
	v_mfma_f32_16x16x16_bf16 a[4:7], v[30:31], v[18:19], a[4:7]
	v_mfma_f32_16x16x16_bf16 a[8:11], v[30:31], v[20:21], a[8:11]
	ds_read2_b64 v[18:21], v112 offset0:32 offset1:48
	ds_read2st64_b64 v[22:25], v112 offset0:4 offset1:8
	ds_read2st64_b64 v[26:29], v113 offset0:4 offset1:8
	s_waitcnt lgkmcnt(2)
	v_mfma_f32_16x16x16_bf16 a[12:15], v[30:31], v[18:19], a[12:15]
	v_ashrrev_i32_e32 v18, 31, v32
	v_mul_lo_u32 v33, v18, s34
	v_mad_u64_u32 v[18:19], s[24:25], v32, s34, 0
	v_mfma_f32_16x16x16_bf16 a[0:3], v[30:31], v[20:21], a[0:3]
	v_mul_lo_u32 v20, v32, s35
	v_add3_u32 v19, v19, v20, v33
	v_add_u32_e32 v20, 1, v32
	v_ashrrev_i32_e32 v21, 31, v20
	s_waitcnt lgkmcnt(1)
	v_mfma_f32_16x16x16_bf16 a[4:7], v[136:137], v[22:23], a[4:7]
	v_mul_lo_u32 v22, v21, s34
	v_mul_lo_u32 v23, v20, s35
	v_mad_u64_u32 v[20:21], s[24:25], v20, s34, 0
	v_add3_u32 v21, v21, v23, v22
	v_add_u32_e32 v22, 2, v32
	v_ashrrev_i32_e32 v23, 31, v22
	v_mul_lo_u32 v30, v23, s34
	v_mul_lo_u32 v31, v22, s35
	v_mad_u64_u32 v[22:23], s[24:25], v22, s34, 0
	v_add3_u32 v23, v23, v31, v30
	v_add_u32_e32 v30, 3, v32
	v_ashrrev_i32_e32 v31, 31, v30
	v_mul_lo_u32 v32, v31, s34
	v_mul_lo_u32 v33, v30, s35
	v_mad_u64_u32 v[30:31], s[24:25], v30, s34, 0
	s_add_u32 s24, s2, s57
	v_lshl_add_u64 v[18:19], v[18:19], 2, s[40:41]
	v_add3_u32 v31, v31, v33, v32
	s_addc_u32 s25, s3, 0
	v_lshl_add_u64 v[20:21], v[20:21], 2, s[40:41]
	global_load_dword v142, v[18:19], off
	v_lshl_add_u64 v[18:19], v[30:31], 2, s[40:41]
	s_lshl_b64 s[24:25], s[24:25], 8
	v_lshl_add_u64 v[22:23], v[22:23], 2, s[40:41]
	global_load_dword v143, v[20:21], off
	global_load_dword v144, v[22:23], off
	global_load_dword v145, v[18:19], off
	v_lshl_add_u64 v[18:19], v[68:69], 0, s[24:25]
	v_lshl_add_u64 v[22:23], v[18:19], 0, v[66:67]
	global_load_ushort v146, v[22:23], off offset:256
	global_load_ushort v147, v[22:23], off
	ds_read2st64_b64 v[18:21], v114 offset0:4 offset1:8
	global_load_ushort v148, v[22:23], off offset:768
	global_load_ushort v149, v[22:23], off offset:512
	ds_read2st64_b64 v[30:33], v115 offset0:4 offset1:8
	global_load_ushort v150, v[22:23], off offset:288
	global_load_ushort v151, v[22:23], off offset:32
	;; [unrolled: 1-line block ×4, first 2 shown]
	s_waitcnt lgkmcnt(2)
	v_mfma_f32_16x16x16_bf16 a[8:11], v[136:137], v[26:27], a[8:11]
	global_load_ushort v154, v[22:23], off offset:320
	global_load_ushort v155, v[22:23], off offset:64
	;; [unrolled: 1-line block ×4, first 2 shown]
	s_and_b64 vcc, exec, s[0:1]
	s_waitcnt lgkmcnt(1)
	v_mfma_f32_16x16x16_bf16 a[12:15], v[136:137], v[18:19], a[12:15]
	ds_read_b64 v[18:19], v112 offset:6144
	s_waitcnt lgkmcnt(1)
	v_mfma_f32_16x16x16_bf16 a[0:3], v[136:137], v[30:31], a[0:3]
	v_lshl_add_u64 v[30:31], v[70:71], 0, s[24:25]
	v_lshl_add_u64 v[30:31], v[30:31], 0, v[66:67]
	v_mfma_f32_16x16x16_bf16 a[4:7], v[138:139], v[24:25], a[4:7]
	v_mfma_f32_16x16x16_bf16 a[8:11], v[138:139], v[28:29], a[8:11]
	;; [unrolled: 1-line block ×4, first 2 shown]
	global_load_ushort v138, v[22:23], off offset:352
	global_load_ushort v139, v[22:23], off offset:96
	ds_read_b64 v[20:21], v113 offset:6144
	ds_read_b64 v[24:25], v114 offset:6144
	;; [unrolled: 1-line block ×3, first 2 shown]
	s_load_dword s42, s[42:43], 0x0
	global_load_ushort v158, v[22:23], off offset:864
	global_load_ushort v159, v[22:23], off offset:608
	s_waitcnt lgkmcnt(0)
	v_mfma_f32_16x16x16_bf16 a[4:7], v[140:141], v[18:19], a[4:7]
	s_waitcnt vmcnt(17)
	v_sub_f32_e32 v28, s42, v144
	v_mfma_f32_16x16x16_bf16 a[0:3], v[140:141], v[26:27], a[0:3]
	v_sub_f32_e32 v26, s42, v142
	v_sub_f32_e32 v27, s42, v143
	s_waitcnt vmcnt(16)
	v_sub_f32_e32 v29, s42, v145
	v_mfma_f32_16x16x16_bf16 a[8:11], v[140:141], v[20:21], a[8:11]
	v_exp_f32_e32 v26, v26
	v_exp_f32_e32 v27, v27
	;; [unrolled: 1-line block ×4, first 2 shown]
	v_accvgpr_read_b32 v137, a5
	s_waitcnt vmcnt(15)
	v_lshlrev_b32_e32 v33, 16, v146
	s_waitcnt vmcnt(14)
	v_lshlrev_b32_e32 v32, 16, v147
	v_accvgpr_read_b32 v136, a4
	v_accvgpr_read_b32 v19, a7
	;; [unrolled: 1-line block ×3, first 2 shown]
	v_pk_add_f32 v[32:33], v[32:33], v[136:137] neg_lo:[0,1] neg_hi:[0,1]
	s_waitcnt vmcnt(13)
	v_lshlrev_b32_e32 v137, 16, v148
	s_waitcnt vmcnt(12)
	v_lshlrev_b32_e32 v136, 16, v149
	v_pk_add_f32 v[18:19], v[136:137], v[18:19] neg_lo:[0,1] neg_hi:[0,1]
	global_store_short_d16_hi v[30:31], v32, off
	global_store_short_d16_hi v[30:31], v33, off offset:256
	global_store_short_d16_hi v[30:31], v18, off offset:512
	;; [unrolled: 1-line block ×3, first 2 shown]
	v_pk_mul_f32 v[32:33], v[26:27], v[32:33]
	v_pk_mul_f32 v[18:19], v[28:29], v[18:19]
	v_accvgpr_read_b32 v137, a9
	v_perm_b32 v32, v33, v32, s37
	v_perm_b32 v33, v19, v18, s37
	s_waitcnt vmcnt(15)
	v_lshlrev_b32_e32 v19, 16, v150
	s_waitcnt vmcnt(14)
	v_lshlrev_b32_e32 v18, 16, v151
	v_accvgpr_read_b32 v136, a8
	v_accvgpr_read_b32 v21, a11
	v_mfma_f32_16x16x16_bf16 a[12:15], v[140:141], v[24:25], a[12:15]
	v_accvgpr_read_b32 v20, a10
	v_pk_add_f32 v[18:19], v[18:19], v[136:137] neg_lo:[0,1] neg_hi:[0,1]
	s_waitcnt vmcnt(13)
	v_lshlrev_b32_e32 v137, 16, v152
	s_waitcnt vmcnt(12)
	v_lshlrev_b32_e32 v136, 16, v153
	v_pk_add_f32 v[20:21], v[136:137], v[20:21] neg_lo:[0,1] neg_hi:[0,1]
	global_store_short_d16_hi v[30:31], v18, off offset:32
	global_store_short_d16_hi v[30:31], v19, off offset:288
	;; [unrolled: 1-line block ×4, first 2 shown]
	v_pk_mul_f32 v[18:19], v[26:27], v[18:19]
	v_pk_mul_f32 v[20:21], v[28:29], v[20:21]
	v_accvgpr_read_b32 v23, a15
	v_perm_b32 v21, v21, v20, s37
	v_perm_b32 v20, v19, v18, s37
	ds_write2_b64 v89, v[32:33], v[20:21] offset1:16
	v_accvgpr_read_b32 v21, a13
	s_waitcnt vmcnt(15)
	v_lshlrev_b32_e32 v19, 16, v154
	s_waitcnt vmcnt(14)
	v_lshlrev_b32_e32 v18, 16, v155
	v_accvgpr_read_b32 v20, a12
	v_accvgpr_read_b32 v22, a14
	v_pk_add_f32 v[18:19], v[18:19], v[20:21] neg_lo:[0,1] neg_hi:[0,1]
	s_waitcnt vmcnt(13)
	v_lshlrev_b32_e32 v21, 16, v156
	s_waitcnt vmcnt(12)
	v_lshlrev_b32_e32 v20, 16, v157
	v_pk_add_f32 v[20:21], v[20:21], v[22:23] neg_lo:[0,1] neg_hi:[0,1]
	global_store_short_d16_hi v[30:31], v18, off offset:64
	global_store_short_d16_hi v[30:31], v19, off offset:320
	;; [unrolled: 1-line block ×4, first 2 shown]
	v_pk_mul_f32 v[18:19], v[26:27], v[18:19]
	v_pk_mul_f32 v[20:21], v[28:29], v[20:21]
	v_accvgpr_read_b32 v23, a1
	v_perm_b32 v18, v19, v18, s37
	v_perm_b32 v19, v21, v20, s37
	s_waitcnt vmcnt(15)
	v_lshlrev_b32_e32 v21, 16, v138
	s_waitcnt vmcnt(14)
	v_lshlrev_b32_e32 v20, 16, v139
	v_accvgpr_read_b32 v22, a0
	v_accvgpr_read_b32 v25, a3
	;; [unrolled: 1-line block ×3, first 2 shown]
	v_pk_add_f32 v[20:21], v[20:21], v[22:23] neg_lo:[0,1] neg_hi:[0,1]
	s_waitcnt vmcnt(13)
	v_lshlrev_b32_e32 v23, 16, v158
	s_waitcnt vmcnt(12)
	v_lshlrev_b32_e32 v22, 16, v159
	v_pk_add_f32 v[22:23], v[22:23], v[24:25] neg_lo:[0,1] neg_hi:[0,1]
	global_store_short_d16_hi v[30:31], v20, off offset:96
	global_store_short_d16_hi v[30:31], v21, off offset:352
	;; [unrolled: 1-line block ×4, first 2 shown]
	v_pk_mul_f32 v[20:21], v[26:27], v[20:21]
	v_pk_mul_f32 v[22:23], v[28:29], v[22:23]
	v_mov_b32_e32 v136, 0
	v_perm_b32 v23, v23, v22, s37
	v_perm_b32 v22, v21, v20, s37
	ds_write2_b64 v89, v[18:19], v[22:23] offset0:32 offset1:48
	v_mov_b32_e32 v18, 0
	v_mov_b32_e32 v19, 0
	;; [unrolled: 1-line block ×16, first 2 shown]
	s_cbranch_vccnz .LBB63_14
; %bb.13:                               ;   in Loop: Header=BB63_6 Depth=1
	s_and_b32 s29, s29, 0xffff
	s_mov_b32 s31, s27
	buffer_load_dwordx4 v[30:33], v126, s[28:31], 0 offen
	buffer_load_dwordx4 v[22:25], v126, s[28:31], s56 offen
	;; [unrolled: 1-line block ×4, first 2 shown]
	v_mov_b32_e32 v135, v83
	v_mov_b32_e32 v136, v82
.LBB63_14:                              ;   in Loop: Header=BB63_6 Depth=1
	s_waitcnt lgkmcnt(0)
	s_barrier
	ds_read_b64 v[146:147], v129
	ds_read2_b64 v[138:141], v119 offset1:16
	ds_read_b64 v[162:163], v130
	ds_read_b64 v[164:165], v131
	;; [unrolled: 1-line block ×3, first 2 shown]
	ds_read2_b64 v[142:145], v119 offset0:32 offset1:48
	s_waitcnt lgkmcnt(4)
	v_mfma_f32_16x16x16_bf16 a[0:3], v[146:147], v[138:139], 0
	ds_read2st64_b64 v[150:153], v121 offset0:4 offset1:8
	ds_read2st64_b64 v[154:157], v122 offset0:4 offset1:8
	;; [unrolled: 1-line block ×3, first 2 shown]
	v_mfma_f32_16x16x16_bf16 a[4:7], v[146:147], v[140:141], 0
	s_add_i32 s24, s50, s64
	s_mul_hi_i32 s25, s24, s17
	s_mul_i32 s24, s24, s17
	s_waitcnt lgkmcnt(3)
	v_mfma_f32_16x16x16_bf16 a[8:11], v[146:147], v[142:143], 0
	s_add_u32 s24, s24, s33
	s_addc_u32 s25, s25, s54
	s_lshl_b64 s[24:25], s[24:25], 15
	v_mfma_f32_16x16x16_bf16 a[12:15], v[146:147], v[144:145], 0
	ds_read2st64_b64 v[146:149], v119 offset0:4 offset1:8
	s_waitcnt lgkmcnt(0)
	v_mfma_f32_16x16x16_bf16 a[0:3], v[162:163], v[146:147], a[0:3]
	v_mfma_f32_16x16x16_bf16 a[4:7], v[162:163], v[150:151], a[4:7]
	;; [unrolled: 1-line block ×8, first 2 shown]
	ds_read_b64 v[162:163], v119 offset:6144
	ds_read_b64 v[164:165], v120 offset:40960
	;; [unrolled: 1-line block ×8, first 2 shown]
	s_waitcnt lgkmcnt(5)
	v_mfma_f32_16x16x16_bf16 a[16:19], v[168:169], v[138:139], 0
	v_mfma_f32_16x16x16_bf16 a[20:23], v[168:169], v[140:141], 0
	ds_read2st64_b64 v[138:141], v116 offset1:8
	v_mfma_f32_16x16x16_bf16 a[24:27], v[168:169], v[142:143], 0
	v_mfma_f32_16x16x16_bf16 a[28:31], v[168:169], v[144:145], 0
	ds_read2st64_b64 v[142:145], v117 offset1:8
	v_mfma_f32_16x16x16_bf16 a[16:19], v[164:165], v[146:147], a[16:19]
	s_waitcnt lgkmcnt(1)
	v_mov_b32_e32 v146, v138
	v_mov_b32_e32 v147, v139
	v_mfma_f32_16x16x16_bf16 a[20:23], v[164:165], v[150:151], a[20:23]
	v_lshl_add_u64 v[150:151], v[72:73], 0, s[24:25]
	v_mfma_f32_16x16x16_bf16 a[24:27], v[164:165], v[154:155], a[24:27]
	v_mfma_f32_16x16x16_bf16 a[28:31], v[164:165], v[158:159], a[28:31]
	;; [unrolled: 1-line block ×3, first 2 shown]
	s_waitcnt lgkmcnt(0)
	v_mov_b32_e32 v148, v142
	v_mov_b32_e32 v149, v143
	v_mov_b32_e32 v142, v140
	v_mfma_f32_16x16x16_bf16 a[32:35], v[176:177], v[152:153], a[20:23]
	v_mov_b32_e32 v143, v141
	ds_read2st64_b64 v[138:141], v116 offset0:16 offset1:24
	global_store_dwordx4 v[150:151], v[146:149], off
	v_mfma_f32_16x16x16_bf16 a[24:27], v[176:177], v[156:157], a[24:27]
	ds_read2st64_b64 v[146:149], v117 offset0:16 offset1:24
	v_add_co_u32_e32 v152, vcc, s39, v150
	v_mfma_f32_16x16x16_bf16 a[28:31], v[176:177], v[160:161], a[28:31]
	s_nop 0
	v_addc_co_u32_e32 v153, vcc, 0, v151, vcc
	global_store_dwordx4 v[152:153], v[142:145], off offset:-4096
	v_mfma_f32_16x16x16_bf16 a[0:3], v[166:167], v[162:163], a[0:3]
	s_waitcnt lgkmcnt(1)
	v_mov_b32_e32 v142, v138
	v_add_co_u32_e32 v138, vcc, s62, v150
	v_mfma_f32_16x16x16_bf16 a[4:7], v[166:167], v[170:171], a[4:7]
	v_mov_b32_e32 v143, v139
	v_addc_co_u32_e32 v139, vcc, 0, v151, vcc
	v_mfma_f32_16x16x16_bf16 a[8:11], v[166:167], v[172:173], a[8:11]
	s_waitcnt lgkmcnt(0)
	v_mov_b32_e32 v144, v146
	v_mov_b32_e32 v145, v147
	;; [unrolled: 1-line block ×3, first 2 shown]
	v_mfma_f32_16x16x16_bf16 a[12:15], v[166:167], v[174:175], a[12:15]
	v_mov_b32_e32 v147, v141
	s_and_b64 vcc, exec, s[0:1]
	global_store_dwordx4 v[152:153], v[142:145], off
	v_mfma_f32_16x16x16_bf16 a[20:23], v[178:179], v[162:163], a[16:19]
	global_store_dwordx4 v[138:139], v[146:149], off
	v_mfma_f32_16x16x16_bf16 a[16:19], v[178:179], v[170:171], a[32:35]
	v_mfma_f32_16x16x16_bf16 a[24:27], v[178:179], v[172:173], a[24:27]
	v_mfma_f32_16x16x16_bf16 a[28:31], v[178:179], v[174:175], a[28:31]
	s_cbranch_vccnz .LBB63_16
; %bb.15:                               ;   in Loop: Header=BB63_6 Depth=1
	v_lshrrev_b32_e32 v137, 3, v135
	v_and_b32_e32 v137, 6, v137
	v_xor_b32_e32 v136, v137, v136
	v_lshlrev_b32_e32 v136, 2, v136
	v_and_b32_e32 v135, 8, v135
	v_xor_b32_e32 v138, 0x440, v136
	v_cmp_eq_u32_e32 vcc, 0, v135
	s_barrier
	s_nop 0
	v_cndmask_b32_e32 v135, v138, v136, vcc
	v_lshl_or_b32 v135, v137, 10, v135
	s_waitcnt vmcnt(5)
	v_perm_b32 v136, v30, v26, s58
	s_waitcnt vmcnt(4)
	v_perm_b32 v137, v22, v18, s58
	ds_write2st64_b32 v135, v136, v137 offset0:128 offset1:160
	v_xor_b32_e32 v136, 8, v135
	v_perm_b32 v26, v30, v26, s59
	v_perm_b32 v18, v22, v18, s59
	v_add_u32_e32 v22, 0x80, v136
	ds_write2st64_b32 v22, v26, v18 offset0:128 offset1:160
	v_xor_b32_e32 v18, 16, v135
	v_perm_b32 v22, v31, v27, s58
	v_perm_b32 v26, v23, v19, s58
	ds_write2st64_b32 v18, v22, v26 offset0:129 offset1:161
	v_xor_b32_e32 v18, 24, v135
	v_perm_b32 v22, v31, v27, s59
	v_perm_b32 v19, v23, v19, s59
	v_add_u32_e32 v18, 0x80, v18
	ds_write2st64_b32 v18, v22, v19 offset0:129 offset1:161
	v_xor_b32_e32 v18, 32, v135
	v_perm_b32 v19, v32, v28, s58
	;; [unrolled: 9-line block ×3, first 2 shown]
	v_perm_b32 v20, v25, v21, s58
	ds_write2st64_b32 v18, v19, v20 offset0:131 offset1:163
	v_xor_b32_e32 v18, 56, v135
	v_perm_b32 v19, v33, v29, s59
	v_perm_b32 v20, v25, v21, s59
	v_add_u32_e32 v18, 0x80, v18
	ds_write2st64_b32 v18, v19, v20 offset0:131 offset1:163
	ds_write_b64 v134, v[14:15] offset:49152
	v_xor_b32_e32 v14, 8, v134
	ds_write_b64 v14, v[16:17] offset:49152
	ds_write_b64 v134, v[10:11] offset:57344
	;; [unrolled: 1-line block ×4, first 2 shown]
	v_xor_b32_e32 v6, 8, v133
	ds_write_b64 v6, v[8:9] offset:49152
	ds_write_b64 v133, v[2:3] offset:57344
	;; [unrolled: 1-line block ×3, first 2 shown]
.LBB63_16:                              ;   in Loop: Header=BB63_6 Depth=1
	v_exp_f32_e32 v134, s42
	v_accvgpr_read_b32 v5, a3
	v_accvgpr_read_b32 v9, a7
	;; [unrolled: 1-line block ×4, first 2 shown]
	s_waitcnt vmcnt(4)
	v_accvgpr_read_b32 v18, a20
	v_accvgpr_read_b32 v25, a19
	;; [unrolled: 1-line block ×28, first 2 shown]
	s_add_i32 s57, s57, 64
	v_pk_fma_f32 v[62:63], v[134:135], v[62:63], v[2:3] op_sel_hi:[0,1,1]
	v_pk_fma_f32 v[64:65], v[134:135], v[64:65], v[4:5] op_sel_hi:[0,1,1]
	;; [unrolled: 1-line block ×15, first 2 shown]
	s_cmp_eq_u32 s48, s63
	v_pk_fma_f32 v[38:39], v[134:135], v[38:39], v[32:33] op_sel_hi:[0,1,1]
	s_cbranch_scc1 .LBB63_18
; %bb.17:                               ;   in Loop: Header=BB63_6 Depth=1
	s_mov_b32 s64, s63
	s_branch .LBB63_6
.LBB63_18:
	s_lshl_b32 s42, s48, 6
	s_sub_i32 s43, s16, s42
	s_cmp_gt_i32 s43, 0
	s_cbranch_scc0 .LBB63_99
; %bb.19:
	s_ashr_i32 s39, s47, 31
	s_ashr_i32 s2, s42, 31
	s_cmpk_lg_i32 s19, 0x80
	s_cselect_b64 s[30:31], -1, 0
	s_and_b64 vcc, exec, s[30:31]
	s_cbranch_vccz .LBB63_21
; %bb.20:
	s_mul_i32 s1, s47, s16
	s_mul_hi_i32 s0, s47, s16
	s_add_u32 s1, s1, s42
	s_addc_u32 s0, s0, s2
	s_mul_i32 s3, s1, s49
	s_mul_hi_u32 s24, s1, s18
	s_add_i32 s3, s24, s3
	s_mul_i32 s0, s0, s18
	s_add_i32 s3, s3, s0
	s_mul_i32 s1, s1, s18
	s_ashr_i32 s0, s52, 31
	s_add_u32 s40, s1, s52
	s_addc_u32 s41, s3, s0
	s_cbranch_execz .LBB63_22
	s_branch .LBB63_23
.LBB63_21:
                                        ; implicit-def: $sgpr40_sgpr41
.LBB63_22:
	s_mul_hi_i32 s0, s47, s18
	s_mul_i32 s47, s47, s18
	s_ashr_i32 s1, s52, 31
	s_add_u32 s3, s47, s52
	s_addc_u32 s0, s0, s1
	s_mul_i32 s1, s3, s46
	s_mul_hi_u32 s18, s3, s16
	s_add_i32 s1, s18, s1
	s_mul_i32 s0, s0, s16
	s_add_i32 s1, s1, s0
	s_mul_i32 s3, s3, s16
	s_add_u32 s40, s3, s42
	s_addc_u32 s41, s1, s2
.LBB63_23:
	s_add_i32 s3, s50, s48
	s_ashr_i32 s18, s33, 31
	s_add_u32 s0, s45, s33
	s_addc_u32 s1, s51, s18
	s_mul_i32 s24, s0, s46
	s_mul_hi_u32 s25, s0, s16
	s_add_i32 s24, s25, s24
	s_mul_i32 s1, s1, s16
	s_add_i32 s24, s24, s1
	s_mul_i32 s0, s0, s16
	s_add_u32 s0, s0, s42
	v_lshlrev_b32_e32 v6, 6, v80
	v_lshlrev_b32_e32 v24, 2, v74
	s_addc_u32 s1, s24, s2
	s_mov_b32 s2, 0x7060302
	v_or_b32_e32 v9, v6, v24
	v_xor_b32_e32 v7, v80, v24
	v_perm_b32 v3, v65, v64, s2
	v_perm_b32 v2, v63, v62, s2
	;; [unrolled: 1-line block ×4, first 2 shown]
	v_lshlrev_b32_e32 v9, 1, v9
	v_xor_b32_e32 v8, v81, v24
	ds_write2st64_b64 v9, v[2:3], v[4:5] offset0:32 offset1:48
	v_lshlrev_b32_e32 v7, 1, v7
	v_lshlrev_b32_e32 v9, 8, v74
	v_or_b32_e32 v10, v7, v9
	v_lshlrev_b32_e32 v8, 1, v8
	ds_write_b64 v10, v[2:3]
	v_or_b32_e32 v2, v8, v9
	v_or_b32_e32 v9, 16, v74
	v_lshlrev_b32_e32 v23, 2, v9
	v_or_b32_e32 v10, v6, v23
	ds_write_b64 v2, v[4:5]
	v_perm_b32 v3, v57, v56, s2
	v_perm_b32 v2, v55, v54, s2
	;; [unrolled: 1-line block ×4, first 2 shown]
	v_lshlrev_b32_e32 v10, 1, v10
	v_lshlrev_b32_e32 v9, 8, v9
	ds_write2st64_b64 v10, v[2:3], v[4:5] offset0:32 offset1:48
	v_or_b32_e32 v10, v7, v9
	ds_write_b64 v10, v[2:3]
	v_or_b32_e32 v2, v8, v9
	v_or_b32_e32 v9, 32, v74
	v_lshlrev_b32_e32 v22, 2, v9
	v_or_b32_e32 v10, v6, v22
	s_lshl_b64 s[28:29], s[0:1], 8
	ds_write_b64 v2, v[4:5]
	v_perm_b32 v3, v49, v48, s2
	v_perm_b32 v2, v47, v46, s2
	;; [unrolled: 1-line block ×4, first 2 shown]
	v_lshlrev_b32_e32 v10, 1, v10
	v_lshlrev_b32_e32 v9, 8, v9
	s_add_u32 s0, s6, s28
	ds_write2st64_b64 v10, v[2:3], v[4:5] offset0:32 offset1:48
	v_or_b32_e32 v10, v7, v9
	s_addc_u32 s1, s7, s29
	ds_write_b64 v10, v[2:3]
	v_or_b32_e32 v2, v8, v9
	v_or_b32_e32 v9, 48, v74
	s_mul_hi_i32 s6, s3, s17
	s_mul_i32 s3, s3, s17
	ds_write_b64 v2, v[4:5]
	v_perm_b32 v3, v35, v34, s2
	v_perm_b32 v2, v41, v40, s2
	v_perm_b32 v5, v39, v38, s2
	v_perm_b32 v4, v37, v36, s2
	v_lshlrev_b32_e32 v19, 2, v9
	s_add_u32 s2, s3, s33
	v_or_b32_e32 v6, v6, v19
	s_addc_u32 s3, s6, s18
	v_lshlrev_b32_e32 v6, 1, v6
	s_ashr_i32 s37, s36, 31
	s_lshl_b64 s[2:3], s[2:3], 15
	ds_write2st64_b64 v6, v[2:3], v[4:5] offset0:32 offset1:48
	v_lshlrev_b32_e32 v6, 8, v9
	s_add_u32 s6, s12, s2
	v_or_b32_e32 v7, v7, v6
	s_addc_u32 s7, s13, s3
	s_lshl_b64 s[2:3], s[36:37], 8
	ds_write_b64 v7, v[2:3]
	v_or_b32_e32 v2, v8, v6
	s_add_u32 s2, s6, s2
	v_lshlrev_b32_e32 v3, 1, v74
	ds_write_b64 v2, v[4:5]
	v_lshrrev_b32_e32 v2, 4, v0
	s_addc_u32 s3, s7, s3
	v_or_b32_e32 v4, 1, v3
	v_lshlrev_b32_e32 v10, 4, v74
	v_mov_b32_e32 v11, 0
	v_xor_b32_e32 v3, v2, v3
	v_xor_b32_e32 v6, v4, v2
	v_lshl_add_u64 v[12:13], s[2:3], 0, v[10:11]
	v_lshlrev_b32_e32 v10, 8, v2
	v_lshl_or_b32 v16, v3, 3, v10
	v_lshl_or_b32 v17, v6, 3, v10
	s_waitcnt lgkmcnt(0)
	s_barrier
	ds_read2st64_b64 v[2:5], v16 offset1:8
	ds_read2st64_b64 v[6:9], v17 offset1:8
	v_lshl_add_u64 v[14:15], v[12:13], 0, v[10:11]
	s_movk_i32 s2, 0x2000
	s_cmp_lg_u32 s43, 64
	s_waitcnt lgkmcnt(1)
	v_mov_b32_e32 v10, v2
	v_mov_b32_e32 v11, v3
	s_waitcnt lgkmcnt(0)
	v_mov_b32_e32 v12, v6
	v_mov_b32_e32 v13, v7
	global_store_dwordx4 v[14:15], v[10:13], off
	v_mov_b32_e32 v6, v4
	v_mov_b32_e32 v7, v5
	ds_read2st64_b64 v[2:5], v16 offset0:16 offset1:24
	ds_read2st64_b64 v[10:13], v17 offset0:16 offset1:24
	v_add_co_u32_e32 v16, vcc, s2, v14
	s_cselect_b64 s[6:7], -1, 0
	s_nop 0
	v_addc_co_u32_e32 v17, vcc, 0, v15, vcc
	global_store_dwordx4 v[16:17], v[6:9], off offset:-4096
	v_lshl_or_b32 v25, v76, 3, v79
	s_mov_b32 s24, 0
	s_waitcnt lgkmcnt(1)
	v_mov_b32_e32 v6, v2
	v_add_co_u32_e32 v2, vcc, 0x3000, v14
	v_mov_b32_e32 v7, v3
	s_nop 0
	v_addc_co_u32_e32 v3, vcc, 0, v15, vcc
	s_waitcnt lgkmcnt(0)
	v_mov_b32_e32 v8, v10
	v_mov_b32_e32 v9, v11
	;; [unrolled: 1-line block ×4, first 2 shown]
	v_or_b32_e32 v20, 32, v25
	v_and_b32_e32 v18, 56, v78
	s_and_b64 vcc, exec, s[6:7]
	global_store_dwordx4 v[16:17], v[6:9], off
	global_store_dwordx4 v[2:3], v[10:13], off
	s_cbranch_vccz .LBB63_29
; %bb.24:
	s_mov_b32 s25, s24
	s_mov_b32 s26, s24
	;; [unrolled: 1-line block ×3, first 2 shown]
	v_mov_b64_e32 v[6:7], s[24:25]
	v_mov_b64_e32 v[8:9], s[26:27]
	;; [unrolled: 1-line block ×3, first 2 shown]
	v_cmp_gt_i32_e32 vcc, s43, v25
	v_mov_b64_e32 v[4:5], v[8:9]
	s_and_saveexec_b64 s[2:3], vcc
	s_cbranch_execz .LBB63_26
; %bb.25:
	v_lshlrev_b32_e32 v2, 8, v25
	v_mov_b32_e32 v3, 0
	v_lshl_add_u64 v[4:5], s[0:1], 0, v[2:3]
	v_lshlrev_b32_e32 v2, 1, v18
	v_lshl_add_u64 v[10:11], v[4:5], 0, v[2:3]
	global_load_dwordx4 v[6:9], v[10:11], off
	global_load_dwordx4 v[2:5], v[10:11], off offset:128
.LBB63_26:
	s_or_b64 exec, exec, s[2:3]
	s_mov_b32 s25, s24
	s_mov_b32 s26, s24
	s_mov_b32 s27, s24
	v_mov_b64_e32 v[14:15], s[24:25]
	v_mov_b64_e32 v[16:17], s[26:27]
	;; [unrolled: 1-line block ×3, first 2 shown]
	v_cmp_gt_i32_e32 vcc, s43, v20
	v_lshlrev_b32_e32 v21, 7, v20
	v_mov_b64_e32 v[12:13], v[16:17]
	s_and_saveexec_b64 s[2:3], vcc
	s_cbranch_execz .LBB63_28
; %bb.27:
	v_lshlrev_b32_e32 v10, 1, v21
	v_mov_b32_e32 v11, 0
	v_lshl_add_u64 v[12:13], s[0:1], 0, v[10:11]
	v_lshlrev_b32_e32 v10, 1, v18
	v_lshl_add_u64 v[26:27], v[12:13], 0, v[10:11]
	global_load_dwordx4 v[14:17], v[26:27], off
	global_load_dwordx4 v[10:13], v[26:27], off offset:128
.LBB63_28:
	s_or_b64 exec, exec, s[2:3]
	v_lshrrev_b32_e32 v26, 3, v18
	v_lshlrev_b32_e32 v27, 3, v25
	v_or_b32_e32 v26, v27, v26
	v_lshlrev_b32_e32 v26, 4, v26
	v_and_b32_e32 v27, 0x78, v27
	v_xor_b32_e32 v26, v26, v27
	s_branch .LBB63_31
.LBB63_29:
                                        ; implicit-def: $vgpr26
                                        ; implicit-def: $vgpr21
                                        ; implicit-def: $vgpr6_vgpr7_vgpr8_vgpr9
                                        ; implicit-def: $vgpr2_vgpr3_vgpr4_vgpr5
                                        ; implicit-def: $vgpr14_vgpr15_vgpr16_vgpr17
                                        ; implicit-def: $vgpr10_vgpr11_vgpr12_vgpr13
	s_cbranch_execz .LBB63_31
; %bb.30:
	s_waitcnt vmcnt(0)
	v_lshlrev_b32_e32 v2, 1, v18
	v_lshl_or_b32 v21, v25, 8, v2
	s_and_b32 s1, s1, 0xffff
	s_mov_b32 s3, 0x20000
	s_movk_i32 s2, 0x4000
	v_lshl_or_b32 v26, v20, 8, v2
	s_movk_i32 s12, 0x80
	buffer_load_dwordx4 v[6:9], v21, s[0:3], 0 offen
	buffer_load_dwordx4 v[2:5], v21, s[0:3], s12 offen
	buffer_load_dwordx4 v[14:17], v26, s[0:3], 0 offen
	buffer_load_dwordx4 v[10:13], v26, s[0:3], s12 offen
	v_lshrrev_b32_e32 v21, 3, v18
	v_lshlrev_b32_e32 v26, 3, v25
	v_or_b32_e32 v21, v26, v21
	v_lshlrev_b32_e32 v21, 4, v21
	v_and_b32_e32 v26, 0x78, v26
	v_xor_b32_e32 v26, v21, v26
	v_lshlrev_b32_e32 v21, 7, v20
.LBB63_31:
	s_movk_i32 s0, 0x1000
	v_and_or_b32 v20, v21, s0, v26
	s_waitcnt vmcnt(1)
	ds_write_b64 v26, v[6:7] offset:49152
	v_xor_b32_e32 v6, 8, v26
	ds_write_b64 v6, v[8:9] offset:49152
	s_waitcnt vmcnt(0)
	ds_write_b64 v26, v[2:3] offset:57344
	ds_write_b64 v6, v[4:5] offset:57344
	;; [unrolled: 1-line block ×3, first 2 shown]
	v_xor_b32_e32 v2, 8, v20
	ds_write_b64 v2, v[16:17] offset:49152
	ds_write_b64 v20, v[10:11] offset:57344
	;; [unrolled: 1-line block ×3, first 2 shown]
	v_or_b32_e32 v2, v1, v74
	v_lshlrev_b32_e32 v3, 11, v76
	v_lshlrev_b32_e32 v2, 3, v2
	v_and_b32_e32 v6, 0x1000, v3
	v_lshrrev_b32_e32 v3, 5, v75
	s_movk_i32 s0, 0xf8
	v_and_or_b32 v3, v2, s0, v3
	v_lshlrev_b32_e32 v7, 4, v3
	v_and_b32_e32 v8, 0x78, v2
	v_or_b32_e32 v10, 32, v7
	v_lshrrev_b32_e32 v3, 1, v75
	v_xor_b32_e32 v10, v10, v8
	v_xor_b32_e32 v2, v7, v8
	v_and_b32_e32 v9, 8, v3
	v_or_b32_e32 v10, v10, v6
	v_or_b32_e32 v2, v2, v6
	v_xor_b32_e32 v28, v10, v9
	v_or_b32_e32 v10, 64, v7
	v_xor_b32_e32 v27, v2, v9
	v_xor_b32_e32 v10, v10, v8
	s_waitcnt lgkmcnt(0)
	s_barrier
	v_or_b32_e32 v13, v10, v6
	ds_read_b64 v[10:11], v27 offset:49152
	v_lshl_or_b32 v14, v77, 8, v24
	v_lshlrev_b32_e32 v26, 1, v14
	v_add_u32_e32 v12, 0x4000, v26
	ds_read2_b64 v[2:5], v12 offset1:16
	v_or_b32_e32 v7, 0x60, v7
	v_xor_b32_e32 v7, v7, v8
	v_or_b32_e32 v6, v7, v6
	v_xor_b32_e32 v29, v13, v9
	v_xor_b32_e32 v30, v6, v9
	ds_read_b64 v[20:21], v28 offset:49152
	ds_read_b64 v[34:35], v29 offset:49152
	;; [unrolled: 1-line block ×3, first 2 shown]
	s_waitcnt lgkmcnt(3)
	v_mfma_f32_16x16x16_bf16 a[0:3], v[10:11], v[2:3], 0
	ds_read2_b64 v[6:9], v12 offset0:32 offset1:48
	s_lshl_b64 s[0:1], s[40:41], 8
	s_add_u32 s4, s4, s0
	v_mfma_f32_16x16x16_bf16 a[4:7], v[10:11], v[4:5], 0
	ds_read2st64_b64 v[2:5], v26 offset0:36 offset1:40
	s_addc_u32 s5, s5, s1
	s_add_i32 s2, s16, -1
	s_waitcnt lgkmcnt(1)
	v_mfma_f32_16x16x16_bf16 a[8:11], v[10:11], v[6:7], 0
	v_or_b32_e32 v6, 64, v14
	v_lshlrev_b32_e32 v31, 1, v6
	s_add_i32 s0, s44, s21
	s_waitcnt lgkmcnt(0)
	v_mfma_f32_16x16x16_bf16 a[0:3], v[20:21], v[2:3], a[0:3]
	v_or_b32_e32 v2, 0x80, v14
	v_lshlrev_b32_e32 v32, 1, v2
	v_or_b32_e32 v2, 0xc0, v14
	v_mfma_f32_16x16x16_bf16 a[12:15], v[10:11], v[8:9], 0
	ds_read2st64_b64 v[6:9], v31 offset0:36 offset1:40
	v_lshlrev_b32_e32 v33, 1, v2
	ds_read2st64_b64 v[10:13], v32 offset0:36 offset1:40
	ds_read2st64_b64 v[14:17], v33 offset0:36 offset1:40
	s_mul_i32 s39, s39, s20
	s_add_i32 s39, s0, s39
	s_mul_i32 s0, s33, s23
	s_mul_hi_u32 s1, s33, s22
	s_ashr_i32 s3, s2, 31
	s_mul_i32 s12, s2, s35
	s_mul_hi_u32 s13, s2, s34
	s_waitcnt lgkmcnt(2)
	v_mfma_f32_16x16x16_bf16 a[4:7], v[20:21], v[6:7], a[4:7]
	s_add_i32 s0, s1, s0
	s_mul_i32 s1, s18, s22
	s_add_i32 s12, s13, s12
	s_mul_i32 s3, s3, s34
	s_waitcnt lgkmcnt(1)
	v_mfma_f32_16x16x16_bf16 a[8:11], v[20:21], v[10:11], a[8:11]
	s_add_i32 s1, s0, s1
	s_add_i32 s3, s12, s3
	s_lshl_b64 s[12:13], s[38:39], 2
	s_waitcnt lgkmcnt(0)
	v_mfma_f32_16x16x16_bf16 a[12:15], v[20:21], v[14:15], a[12:15]
	s_mul_i32 s0, s33, s22
	s_add_u32 s10, s10, s12
	s_addc_u32 s11, s11, s13
	s_lshl_b64 s[0:1], s[0:1], 2
	v_mfma_f32_16x16x16_bf16 a[0:3], v[34:35], v[4:5], a[0:3]
	s_mul_i32 s2, s2, s34
	ds_read_b64 v[2:3], v26 offset:22528
	s_add_u32 s10, s10, s0
	v_mfma_f32_16x16x16_bf16 a[4:7], v[34:35], v[8:9], a[4:7]
	ds_read_b64 v[4:5], v31 offset:22528
	ds_read_b64 v[6:7], v32 offset:22528
	;; [unrolled: 1-line block ×3, first 2 shown]
	s_addc_u32 s11, s11, s1
	s_lshl_b64 s[0:1], s[2:3], 2
	v_mfma_f32_16x16x16_bf16 a[8:11], v[34:35], v[12:13], a[8:11]
	s_add_u32 s0, s10, s0
	s_addc_u32 s1, s11, s1
	s_load_dword s12, s[0:1], 0x0
	v_mfma_f32_16x16x16_bf16 a[12:15], v[34:35], v[16:17], a[12:15]
	s_and_b64 vcc, exec, s[30:31]
	s_waitcnt lgkmcnt(0)
	v_mfma_f32_16x16x16_bf16 a[0:3], v[36:37], v[2:3], a[0:3]
	v_mfma_f32_16x16x16_bf16 a[4:7], v[36:37], v[4:5], a[4:7]
	;; [unrolled: 1-line block ×4, first 2 shown]
	s_cbranch_vccz .LBB63_42
; %bb.32:
	v_lshlrev_b32_e32 v20, 1, v25
	s_and_b64 vcc, exec, s[6:7]
	s_cbranch_vccz .LBB63_43
; %bb.33:
	v_cmp_gt_i32_e32 vcc, s43, v20
	v_mov_b32_e32 v6, 0
	v_mov_b32_e32 v2, 0
	;; [unrolled: 1-line block ×5, first 2 shown]
	s_and_saveexec_b64 s[0:1], vcc
	s_cbranch_execz .LBB63_35
; %bb.34:
	v_mad_i64_i32 v[2:3], s[2:3], s19, v20, 0
	v_lshl_add_u64 v[2:3], v[2:3], 1, s[4:5]
	v_lshlrev_b32_e32 v4, 1, v18
	v_mov_b32_e32 v5, 0
	v_lshl_add_u64 v[2:3], v[2:3], 0, v[4:5]
	global_load_dwordx4 v[2:5], v[2:3], off
.LBB63_35:
	s_or_b64 exec, exec, s[0:1]
	v_or_b32_e32 v21, 1, v20
	v_cmp_gt_i32_e64 s[0:1], s43, v21
	v_mov_b32_e32 v7, 0
	v_mov_b32_e32 v8, 0
	;; [unrolled: 1-line block ×3, first 2 shown]
	s_and_saveexec_b64 s[2:3], s[0:1]
	s_cbranch_execz .LBB63_37
; %bb.36:
	v_mad_i64_i32 v[6:7], s[16:17], s19, v21, 0
	v_lshl_add_u64 v[6:7], v[6:7], 1, s[4:5]
	v_lshlrev_b32_e32 v8, 1, v18
	v_mov_b32_e32 v9, 0
	v_lshl_add_u64 v[6:7], v[6:7], 0, v[8:9]
	global_load_dwordx4 v[6:9], v[6:7], off
.LBB63_37:
	s_or_b64 exec, exec, s[2:3]
	v_mov_b32_e32 v17, 0
	v_mov_b32_e32 v10, 0
	;; [unrolled: 1-line block ×5, first 2 shown]
	s_and_saveexec_b64 s[2:3], vcc
	s_cbranch_execz .LBB63_39
; %bb.38:
	v_mad_i64_i32 v[10:11], s[16:17], s19, v20, 0
	v_lshl_add_u64 v[10:11], v[10:11], 1, s[4:5]
	v_lshlrev_b32_e32 v12, 1, v18
	v_mov_b32_e32 v13, 0
	v_lshl_add_u64 v[10:11], v[10:11], 0, v[12:13]
	global_load_dwordx4 v[10:13], v[10:11], off offset:128
.LBB63_39:
	s_or_b64 exec, exec, s[2:3]
	v_mov_b32_e32 v16, 0
	v_mov_b32_e32 v15, 0
	;; [unrolled: 1-line block ×3, first 2 shown]
	s_and_saveexec_b64 s[2:3], s[0:1]
	s_cbranch_execz .LBB63_41
; %bb.40:
	v_mad_i64_i32 v[14:15], s[0:1], s19, v21, 0
	v_lshl_add_u64 v[14:15], v[14:15], 1, s[4:5]
	v_lshlrev_b32_e32 v16, 1, v18
	v_mov_b32_e32 v17, 0
	v_lshl_add_u64 v[14:15], v[14:15], 0, v[16:17]
	global_load_dwordx4 v[14:17], v[14:15], off offset:128
.LBB63_41:
	s_or_b64 exec, exec, s[2:3]
	s_branch .LBB63_45
.LBB63_42:
                                        ; implicit-def: $vgpr5
                                        ; implicit-def: $vgpr9
                                        ; implicit-def: $vgpr13
                                        ; implicit-def: $vgpr17
	v_lshrrev_b32_e32 v34, 2, v75
	s_branch .LBB63_46
.LBB63_43:
                                        ; implicit-def: $vgpr5
                                        ; implicit-def: $vgpr9
                                        ; implicit-def: $vgpr13
                                        ; implicit-def: $vgpr17
	s_cbranch_execz .LBB63_45
; %bb.44:
	s_waitcnt vmcnt(0)
	v_mad_u64_u32 v[2:3], s[0:1], v20, s19, v[18:19]
	v_lshlrev_b32_e32 v20, 1, v2
	s_lshl_b32 s2, s19, 7
	s_and_b32 s1, s5, 0xffff
	s_mov_b32 s3, 0x20000
	s_mov_b32 s0, s4
	v_add_lshl_u32 v21, v2, s19, 1
	s_movk_i32 s13, 0x80
	buffer_load_dwordx4 v[2:5], v20, s[0:3], 0 offen
	buffer_load_dwordx4 v[10:13], v20, s[0:3], s13 offen
	;; [unrolled: 1-line block ×4, first 2 shown]
.LBB63_45:
	v_lshrrev_b32_e32 v34, 2, v75
	s_cbranch_execnz .LBB63_58
.LBB63_46:
	s_and_b64 vcc, exec, s[6:7]
	s_cbranch_vccz .LBB63_56
; %bb.47:
	s_waitcnt vmcnt(0)
	v_lshlrev_b32_e32 v7, 1, v25
	v_cmp_gt_i32_e32 vcc, s43, v7
	v_mov_b32_e32 v6, 0
	v_lshlrev_b32_e32 v14, 9, v25
	v_mov_b32_e32 v2, 0
	v_mov_b32_e32 v3, 0
	;; [unrolled: 1-line block ×4, first 2 shown]
	s_and_saveexec_b64 s[0:1], vcc
	s_cbranch_execz .LBB63_49
; %bb.48:
	v_mov_b32_e32 v15, 0
	v_lshl_add_u64 v[2:3], s[4:5], 0, v[14:15]
	v_lshlrev_b32_e32 v4, 1, v18
	v_mov_b32_e32 v5, v15
	v_lshl_add_u64 v[2:3], v[2:3], 0, v[4:5]
	global_load_dwordx4 v[2:5], v[2:3], off
.LBB63_49:
	s_or_b64 exec, exec, s[0:1]
	v_or_b32_e32 v7, 1, v7
	v_cmp_gt_i32_e64 s[0:1], s43, v7
	v_lshlrev_b32_e32 v20, 8, v7
	v_mov_b32_e32 v7, 0
	v_mov_b32_e32 v8, 0
	;; [unrolled: 1-line block ×3, first 2 shown]
	s_and_saveexec_b64 s[2:3], s[0:1]
	s_cbranch_execz .LBB63_51
; %bb.50:
	v_mov_b32_e32 v21, 0
	v_lshl_add_u64 v[6:7], s[4:5], 0, v[20:21]
	v_lshlrev_b32_e32 v8, 1, v18
	v_mov_b32_e32 v9, v21
	v_lshl_add_u64 v[6:7], v[6:7], 0, v[8:9]
	global_load_dwordx4 v[6:9], v[6:7], off
.LBB63_51:
	s_or_b64 exec, exec, s[2:3]
	v_mov_b32_e32 v17, 0
	v_mov_b32_e32 v10, 0
	;; [unrolled: 1-line block ×5, first 2 shown]
	s_and_saveexec_b64 s[2:3], vcc
	s_cbranch_execz .LBB63_53
; %bb.52:
	v_mov_b32_e32 v15, 0
	v_lshl_add_u64 v[10:11], s[4:5], 0, v[14:15]
	v_lshlrev_b32_e32 v14, 1, v18
	v_lshl_add_u64 v[10:11], v[10:11], 0, v[14:15]
	global_load_dwordx4 v[10:13], v[10:11], off offset:128
.LBB63_53:
	s_or_b64 exec, exec, s[2:3]
	v_mov_b32_e32 v16, 0
	v_mov_b32_e32 v15, 0
	;; [unrolled: 1-line block ×3, first 2 shown]
	s_and_saveexec_b64 s[2:3], s[0:1]
	s_cbranch_execz .LBB63_55
; %bb.54:
	v_mov_b32_e32 v21, 0
	v_lshl_add_u64 v[14:15], s[4:5], 0, v[20:21]
	v_lshlrev_b32_e32 v20, 1, v18
	v_lshl_add_u64 v[14:15], v[14:15], 0, v[20:21]
	global_load_dwordx4 v[14:17], v[14:15], off offset:128
.LBB63_55:
	s_or_b64 exec, exec, s[2:3]
	s_branch .LBB63_58
.LBB63_56:
                                        ; implicit-def: $vgpr5
                                        ; implicit-def: $vgpr9
                                        ; implicit-def: $vgpr13
                                        ; implicit-def: $vgpr17
	s_cbranch_execz .LBB63_58
; %bb.57:
	s_waitcnt vmcnt(0)
	v_lshlrev_b32_e32 v2, 1, v18
	v_lshl_or_b32 v18, v25, 9, v2
	s_and_b32 s5, s5, 0xffff
	s_mov_b32 s7, 0x20000
	s_movk_i32 s6, 0x4000
	s_movk_i32 s0, 0x80
	buffer_load_dwordx4 v[2:5], v18, s[4:7], 0 offen
	buffer_load_dwordx4 v[6:9], v18, s[4:7], 0 offen offset:256
	buffer_load_dwordx4 v[10:13], v18, s[4:7], s0 offen
	buffer_load_dwordx4 v[14:17], v18, s[4:7], s0 offen offset:256
.LBB63_58:
	ds_read_b64 v[20:21], v27 offset:57344
	v_add_u32_e32 v18, 0x6000, v26
	ds_read2_b64 v[36:39], v18 offset1:16
	ds_read_b64 v[52:53], v28 offset:57344
	ds_read_b64 v[28:29], v29 offset:57344
	;; [unrolled: 1-line block ×3, first 2 shown]
	ds_read2st64_b64 v[40:43], v26 offset0:52 offset1:56
	s_mov_b32 s0, 0x1000504
	s_mov_b32 s1, 0x3020706
	s_waitcnt lgkmcnt(4)
	v_mfma_f32_16x16x16_bf16 a[0:3], v[20:21], v[36:37], a[0:3]
	v_mfma_f32_16x16x16_bf16 a[4:7], v[20:21], v[38:39], a[4:7]
	ds_read2_b64 v[36:39], v18 offset0:32 offset1:48
	v_and_b32_e32 v18, 6, v0
	v_xor_b32_e32 v25, v25, v18
	s_waitcnt lgkmcnt(0)
	v_mfma_f32_16x16x16_bf16 a[8:11], v[20:21], v[36:37], a[8:11]
	v_lshlrev_b32_e32 v25, 2, v25
	v_and_b32_e32 v0, 1, v0
	v_xor_b32_e32 v35, 0x440, v25
	v_mfma_f32_16x16x16_bf16 a[12:15], v[20:21], v[38:39], a[12:15]
	ds_read2st64_b64 v[36:39], v31 offset0:52 offset1:56
	ds_read2st64_b64 v[44:47], v32 offset0:52 offset1:56
	;; [unrolled: 1-line block ×3, first 2 shown]
	v_cmp_eq_u32_e32 vcc, 0, v0
	ds_read_b64 v[20:21], v26 offset:30720
	ds_read_b64 v[26:27], v31 offset:30720
	;; [unrolled: 1-line block ×4, first 2 shown]
	v_mfma_f32_16x16x16_bf16 a[0:3], v[52:53], v[40:41], a[0:3]
	v_cndmask_b32_e32 v0, v35, v25, vcc
	v_lshl_or_b32 v0, v18, 10, v0
	s_waitcnt vmcnt(0)
	v_perm_b32 v18, v2, v6, s0
	s_waitcnt lgkmcnt(6)
	v_mfma_f32_16x16x16_bf16 a[4:7], v[52:53], v[36:37], a[4:7]
	v_perm_b32 v25, v10, v14, s0
	ds_write2st64_b32 v0, v18, v25 offset0:128 offset1:160
	v_xor_b32_e32 v18, 8, v0
	s_waitcnt lgkmcnt(6)
	v_mfma_f32_16x16x16_bf16 a[8:11], v[52:53], v[44:45], a[8:11]
	v_perm_b32 v2, v2, v6, s1
	v_perm_b32 v6, v10, v14, s1
	v_add_u32_e32 v10, 0x80, v18
	s_waitcnt lgkmcnt(5)
	v_mfma_f32_16x16x16_bf16 a[12:15], v[52:53], v[48:49], a[12:15]
	ds_write2st64_b32 v10, v2, v6 offset0:128 offset1:160
	v_xor_b32_e32 v2, 16, v0
	v_perm_b32 v6, v3, v7, s0
	v_mfma_f32_16x16x16_bf16 a[0:3], v[28:29], v[42:43], a[0:3]
	v_perm_b32 v10, v11, v15, s0
	ds_write2st64_b32 v2, v6, v10 offset0:129 offset1:161
	v_xor_b32_e32 v2, 24, v0
	v_mfma_f32_16x16x16_bf16 a[4:7], v[28:29], v[38:39], a[4:7]
	v_perm_b32 v3, v3, v7, s1
	v_perm_b32 v6, v11, v15, s1
	v_add_u32_e32 v2, 0x80, v2
	v_mfma_f32_16x16x16_bf16 a[16:19], v[28:29], v[46:47], a[8:11]
	ds_write2st64_b32 v2, v3, v6 offset0:129 offset1:161
	v_xor_b32_e32 v2, 32, v0
	v_perm_b32 v3, v4, v8, s0
	v_mfma_f32_16x16x16_bf16 a[20:23], v[28:29], v[50:51], a[12:15]
	v_perm_b32 v6, v12, v16, s0
	ds_write2st64_b32 v2, v3, v6 offset0:130 offset1:162
	v_xor_b32_e32 v2, 40, v0
	s_waitcnt lgkmcnt(8)
	v_mfma_f32_16x16x16_bf16 a[12:15], v[54:55], v[20:21], a[0:3]
	v_perm_b32 v3, v4, v8, s1
	v_perm_b32 v4, v12, v16, s1
	v_add_u32_e32 v2, 0x80, v2
	s_waitcnt lgkmcnt(7)
	v_mfma_f32_16x16x16_bf16 a[8:11], v[54:55], v[26:27], a[4:7]
	ds_write2st64_b32 v2, v3, v4 offset0:130 offset1:162
	v_xor_b32_e32 v2, 48, v0
	v_perm_b32 v3, v5, v9, s0
	s_waitcnt lgkmcnt(7)
	v_mfma_f32_16x16x16_bf16 a[4:7], v[54:55], v[30:31], a[16:19]
	v_perm_b32 v4, v13, v17, s0
	v_xor_b32_e32 v0, 56, v0
	v_and_or_b32 v21, v34, 12, v1
	s_waitcnt lgkmcnt(6)
	v_mfma_f32_16x16x16_bf16 a[0:3], v[54:55], v[32:33], a[20:23]
	ds_write2st64_b32 v2, v3, v4 offset0:131 offset1:163
	v_perm_b32 v2, v5, v9, s1
	v_perm_b32 v3, v13, v17, s1
	v_add_u32_e32 v0, 0x80, v0
	v_cmp_gt_i32_e32 vcc, s43, v21
	v_mov_b32_e32 v16, 0
	v_mov_b32_e32 v18, 0
	ds_write2st64_b32 v0, v2, v3 offset0:131 offset1:163
	s_and_saveexec_b64 s[0:1], vcc
	s_cbranch_execz .LBB63_60
; %bb.59:
	v_add_u32_e32 v0, s42, v21
	v_ashrrev_i32_e32 v1, 31, v0
	v_mul_lo_u32 v2, v1, s34
	v_mul_lo_u32 v3, v0, s35
	v_mad_u64_u32 v[0:1], s[2:3], v0, s34, 0
	v_add3_u32 v1, v1, v3, v2
	v_lshl_add_u64 v[0:1], v[0:1], 2, s[10:11]
	global_load_dword v0, v[0:1], off
	s_waitcnt vmcnt(0)
	v_sub_f32_e32 v0, s12, v0
	v_exp_f32_e32 v18, v0
.LBB63_60:
	s_or_b64 exec, exec, s[0:1]
	v_or_b32_e32 v10, 1, v21
	v_cmp_gt_i32_e64 s[2:3], s43, v10
	s_and_saveexec_b64 s[0:1], s[2:3]
	s_cbranch_execz .LBB63_62
; %bb.61:
	v_add_u32_e32 v0, s42, v10
	v_ashrrev_i32_e32 v1, 31, v0
	v_mul_lo_u32 v2, v1, s34
	v_mul_lo_u32 v3, v0, s35
	v_mad_u64_u32 v[0:1], s[4:5], v0, s34, 0
	v_add3_u32 v1, v1, v3, v2
	v_lshl_add_u64 v[0:1], v[0:1], 2, s[10:11]
	global_load_dword v0, v[0:1], off
	s_waitcnt vmcnt(0)
	v_sub_f32_e32 v0, s12, v0
	v_exp_f32_e32 v16, v0
.LBB63_62:
	s_or_b64 exec, exec, s[0:1]
	v_or_b32_e32 v12, 2, v21
	v_cmp_gt_i32_e64 s[0:1], s43, v12
	v_mov_b32_e32 v17, 0
	v_mov_b32_e32 v20, 0
	s_and_saveexec_b64 s[4:5], s[0:1]
	s_cbranch_execz .LBB63_64
; %bb.63:
	v_add_u32_e32 v0, s42, v12
	v_ashrrev_i32_e32 v1, 31, v0
	v_mul_lo_u32 v2, v1, s34
	v_mul_lo_u32 v3, v0, s35
	v_mad_u64_u32 v[0:1], s[6:7], v0, s34, 0
	v_add3_u32 v1, v1, v3, v2
	v_lshl_add_u64 v[0:1], v[0:1], 2, s[10:11]
	global_load_dword v0, v[0:1], off
	s_waitcnt vmcnt(0)
	v_sub_f32_e32 v0, s12, v0
	v_exp_f32_e32 v20, v0
.LBB63_64:
	s_or_b64 exec, exec, s[4:5]
	v_or_b32_e32 v14, 3, v21
	v_cmp_gt_i32_e64 s[4:5], s43, v14
	s_and_saveexec_b64 s[6:7], s[4:5]
	s_cbranch_execz .LBB63_66
; %bb.65:
	v_add_u32_e32 v0, s42, v14
	v_ashrrev_i32_e32 v1, 31, v0
	v_mul_lo_u32 v2, v1, s34
	v_mul_lo_u32 v3, v0, s35
	v_mad_u64_u32 v[0:1], s[16:17], v0, s34, 0
	v_add3_u32 v1, v1, v3, v2
	v_lshl_add_u64 v[0:1], v[0:1], 2, s[10:11]
	global_load_dword v0, v[0:1], off
	s_waitcnt vmcnt(0)
	v_sub_f32_e32 v0, s12, v0
	v_exp_f32_e32 v17, v0
.LBB63_66:
	s_or_b64 exec, exec, s[6:7]
	s_add_u32 s6, s8, s28
	v_or_b32_e32 v4, s36, v74
	s_addc_u32 s7, s9, s29
	s_add_u32 s8, s14, s28
	v_ashrrev_i32_e32 v5, 31, v4
	v_accvgpr_read_b32 v0, a12
	s_addc_u32 s9, s15, s29
	v_lshlrev_b64 v[4:5], 1, v[4:5]
	v_accvgpr_read_b32 v1, a13
	v_accvgpr_read_b32 v2, a14
	;; [unrolled: 1-line block ×3, first 2 shown]
	v_lshl_add_u64 v[6:7], s[6:7], 0, v[4:5]
	v_lshl_add_u64 v[4:5], s[8:9], 0, v[4:5]
	v_mov_b32_e32 v11, 0
	v_lshlrev_b32_e32 v8, 8, v21
	v_mov_b32_e32 v9, 0
	s_and_saveexec_b64 s[6:7], vcc
	s_cbranch_execz .LBB63_68
; %bb.67:
	v_mov_b32_e32 v9, 0
	v_lshl_add_u64 v[26:27], v[6:7], 0, v[8:9]
	global_load_ushort v13, v[26:27], off
	v_lshl_add_u64 v[26:27], v[4:5], 0, v[8:9]
	s_waitcnt vmcnt(0)
	v_lshlrev_b32_e32 v9, 16, v13
	v_sub_f32_e32 v0, v9, v0
	global_store_short_d16_hi v[26:27], v0, off
	v_mul_f32_e32 v0, v18, v0
	v_lshrrev_b32_e32 v9, 16, v0
.LBB63_68:
	s_or_b64 exec, exec, s[6:7]
	v_lshlrev_b32_e32 v10, 8, v10
	s_and_saveexec_b64 s[6:7], s[2:3]
	s_cbranch_execz .LBB63_70
; %bb.69:
	v_mov_b32_e32 v11, 0
	v_lshl_add_u64 v[26:27], v[6:7], 0, v[10:11]
	global_load_ushort v0, v[26:27], off
	v_lshl_add_u64 v[26:27], v[4:5], 0, v[10:11]
	s_waitcnt vmcnt(0)
	v_lshlrev_b32_e32 v0, 16, v0
	v_sub_f32_e32 v0, v0, v1
	global_store_short_d16_hi v[26:27], v0, off
	v_mul_f32_e32 v0, v16, v0
	v_lshrrev_b32_e32 v11, 16, v0
.LBB63_70:
	s_or_b64 exec, exec, s[6:7]
	v_mov_b32_e32 v15, 0
	v_lshlrev_b32_e32 v12, 8, v12
	v_mov_b32_e32 v13, 0
	s_and_saveexec_b64 s[6:7], s[0:1]
	s_cbranch_execz .LBB63_72
; %bb.71:
	v_mov_b32_e32 v13, 0
	v_lshl_add_u64 v[0:1], v[6:7], 0, v[12:13]
	global_load_ushort v25, v[0:1], off
	v_lshl_add_u64 v[0:1], v[4:5], 0, v[12:13]
	s_waitcnt vmcnt(0)
	v_lshlrev_b32_e32 v13, 16, v25
	v_sub_f32_e32 v2, v13, v2
	global_store_short_d16_hi v[0:1], v2, off
	v_mul_f32_e32 v0, v20, v2
	v_lshrrev_b32_e32 v13, 16, v0
.LBB63_72:
	s_or_b64 exec, exec, s[6:7]
	v_lshlrev_b32_e32 v14, 8, v14
	s_and_saveexec_b64 s[6:7], s[4:5]
	s_cbranch_execz .LBB63_74
; %bb.73:
	v_mov_b32_e32 v15, 0
	v_lshl_add_u64 v[0:1], v[6:7], 0, v[14:15]
	global_load_ushort v2, v[0:1], off
	v_lshl_add_u64 v[0:1], v[4:5], 0, v[14:15]
	s_waitcnt vmcnt(0)
	v_lshlrev_b32_e32 v2, 16, v2
	v_sub_f32_e32 v2, v2, v3
	global_store_short_d16_hi v[0:1], v2, off
	v_mul_f32_e32 v0, v17, v2
	v_lshrrev_b32_e32 v15, 16, v0
.LBB63_74:
	s_or_b64 exec, exec, s[6:7]
	v_lshlrev_b32_e32 v21, 6, v21
	s_mov_b32 s6, 0x5040100
	v_perm_b32 v26, v11, v9, s6
	v_or_b32_e32 v9, v21, v24
	v_accvgpr_read_b32 v0, a8
	v_perm_b32 v27, v15, v13, s6
	v_lshlrev_b32_e32 v9, 1, v9
	v_accvgpr_read_b32 v1, a9
	v_accvgpr_read_b32 v2, a10
	;; [unrolled: 1-line block ×3, first 2 shown]
	ds_write_b64 v9, v[26:27] offset:24576
	v_mov_b32_e32 v11, 0
	v_mov_b32_e32 v9, 0
	s_and_saveexec_b64 s[6:7], vcc
	s_cbranch_execz .LBB63_76
; %bb.75:
	v_mov_b32_e32 v9, 0
	v_lshl_add_u64 v[24:25], v[6:7], 0, v[8:9]
	global_load_ushort v13, v[24:25], off offset:32
	v_lshl_add_u64 v[24:25], v[4:5], 0, v[8:9]
	s_waitcnt vmcnt(0)
	v_lshlrev_b32_e32 v9, 16, v13
	v_sub_f32_e32 v0, v9, v0
	global_store_short_d16_hi v[24:25], v0, off offset:32
	v_mul_f32_e32 v0, v18, v0
	v_lshrrev_b32_e32 v9, 16, v0
.LBB63_76:
	s_or_b64 exec, exec, s[6:7]
	s_and_saveexec_b64 s[6:7], s[2:3]
	s_cbranch_execz .LBB63_78
; %bb.77:
	v_mov_b32_e32 v11, 0
	v_lshl_add_u64 v[24:25], v[6:7], 0, v[10:11]
	global_load_ushort v0, v[24:25], off offset:32
	v_lshl_add_u64 v[24:25], v[4:5], 0, v[10:11]
	s_waitcnt vmcnt(0)
	v_lshlrev_b32_e32 v0, 16, v0
	v_sub_f32_e32 v0, v0, v1
	global_store_short_d16_hi v[24:25], v0, off offset:32
	v_mul_f32_e32 v0, v16, v0
	v_lshrrev_b32_e32 v11, 16, v0
.LBB63_78:
	s_or_b64 exec, exec, s[6:7]
	v_mov_b32_e32 v15, 0
	v_mov_b32_e32 v13, 0
	s_and_saveexec_b64 s[6:7], s[0:1]
	s_cbranch_execz .LBB63_80
; %bb.79:
	v_mov_b32_e32 v13, 0
	v_lshl_add_u64 v[0:1], v[6:7], 0, v[12:13]
	global_load_ushort v24, v[0:1], off offset:32
	v_lshl_add_u64 v[0:1], v[4:5], 0, v[12:13]
	s_waitcnt vmcnt(0)
	v_lshlrev_b32_e32 v13, 16, v24
	v_sub_f32_e32 v2, v13, v2
	global_store_short_d16_hi v[0:1], v2, off offset:32
	v_mul_f32_e32 v0, v20, v2
	v_lshrrev_b32_e32 v13, 16, v0
.LBB63_80:
	s_or_b64 exec, exec, s[6:7]
	s_and_saveexec_b64 s[6:7], s[4:5]
	s_cbranch_execz .LBB63_82
; %bb.81:
	v_mov_b32_e32 v15, 0
	v_lshl_add_u64 v[0:1], v[6:7], 0, v[14:15]
	global_load_ushort v2, v[0:1], off offset:32
	v_lshl_add_u64 v[0:1], v[4:5], 0, v[14:15]
	s_waitcnt vmcnt(0)
	v_lshlrev_b32_e32 v2, 16, v2
	v_sub_f32_e32 v2, v2, v3
	global_store_short_d16_hi v[0:1], v2, off offset:32
	v_mul_f32_e32 v0, v17, v2
	v_lshrrev_b32_e32 v15, 16, v0
.LBB63_82:
	s_or_b64 exec, exec, s[6:7]
	s_mov_b32 s6, 0x5040100
	v_perm_b32 v24, v11, v9, s6
	v_or_b32_e32 v9, v21, v23
	v_accvgpr_read_b32 v0, a4
	v_perm_b32 v25, v15, v13, s6
	v_lshlrev_b32_e32 v9, 1, v9
	v_accvgpr_read_b32 v1, a5
	v_accvgpr_read_b32 v2, a6
	;; [unrolled: 1-line block ×3, first 2 shown]
	ds_write_b64 v9, v[24:25] offset:24576
	v_mov_b32_e32 v11, 0
	v_mov_b32_e32 v9, 0
	s_and_saveexec_b64 s[6:7], vcc
	s_cbranch_execz .LBB63_84
; %bb.83:
	v_mov_b32_e32 v9, 0
	v_lshl_add_u64 v[24:25], v[6:7], 0, v[8:9]
	global_load_ushort v13, v[24:25], off offset:64
	v_lshl_add_u64 v[24:25], v[4:5], 0, v[8:9]
	s_waitcnt vmcnt(0)
	v_lshlrev_b32_e32 v9, 16, v13
	v_sub_f32_e32 v0, v9, v0
	global_store_short_d16_hi v[24:25], v0, off offset:64
	v_mul_f32_e32 v0, v18, v0
	v_lshrrev_b32_e32 v9, 16, v0
.LBB63_84:
	s_or_b64 exec, exec, s[6:7]
	s_and_saveexec_b64 s[6:7], s[2:3]
	s_cbranch_execz .LBB63_86
; %bb.85:
	v_mov_b32_e32 v11, 0
	v_lshl_add_u64 v[24:25], v[6:7], 0, v[10:11]
	global_load_ushort v0, v[24:25], off offset:64
	v_lshl_add_u64 v[24:25], v[4:5], 0, v[10:11]
	s_waitcnt vmcnt(0)
	v_lshlrev_b32_e32 v0, 16, v0
	v_sub_f32_e32 v0, v0, v1
	global_store_short_d16_hi v[24:25], v0, off offset:64
	v_mul_f32_e32 v0, v16, v0
	v_lshrrev_b32_e32 v11, 16, v0
.LBB63_86:
	s_or_b64 exec, exec, s[6:7]
	v_mov_b32_e32 v15, 0
	v_mov_b32_e32 v13, 0
	s_and_saveexec_b64 s[6:7], s[0:1]
	s_cbranch_execz .LBB63_88
; %bb.87:
	v_mov_b32_e32 v13, 0
	v_lshl_add_u64 v[0:1], v[6:7], 0, v[12:13]
	global_load_ushort v23, v[0:1], off offset:64
	v_lshl_add_u64 v[0:1], v[4:5], 0, v[12:13]
	s_waitcnt vmcnt(0)
	v_lshlrev_b32_e32 v13, 16, v23
	v_sub_f32_e32 v2, v13, v2
	global_store_short_d16_hi v[0:1], v2, off offset:64
	v_mul_f32_e32 v0, v20, v2
	v_lshrrev_b32_e32 v13, 16, v0
.LBB63_88:
	s_or_b64 exec, exec, s[6:7]
	s_and_saveexec_b64 s[6:7], s[4:5]
	s_cbranch_execz .LBB63_90
; %bb.89:
	v_mov_b32_e32 v15, 0
	v_lshl_add_u64 v[0:1], v[6:7], 0, v[14:15]
	global_load_ushort v2, v[0:1], off offset:64
	v_lshl_add_u64 v[0:1], v[4:5], 0, v[14:15]
	s_waitcnt vmcnt(0)
	v_lshlrev_b32_e32 v2, 16, v2
	v_sub_f32_e32 v2, v2, v3
	global_store_short_d16_hi v[0:1], v2, off offset:64
	v_mul_f32_e32 v0, v17, v2
	v_lshrrev_b32_e32 v15, 16, v0
.LBB63_90:
	s_or_b64 exec, exec, s[6:7]
	s_mov_b32 s6, 0x5040100
	v_perm_b32 v24, v11, v9, s6
	v_or_b32_e32 v9, v21, v22
	v_accvgpr_read_b32 v0, a0
	v_perm_b32 v25, v15, v13, s6
	v_lshlrev_b32_e32 v9, 1, v9
	v_accvgpr_read_b32 v1, a1
	v_accvgpr_read_b32 v2, a2
	;; [unrolled: 1-line block ×3, first 2 shown]
	ds_write_b64 v9, v[24:25] offset:24576
	v_mov_b32_e32 v11, 0
	v_mov_b32_e32 v9, 0
	s_and_saveexec_b64 s[6:7], vcc
	s_cbranch_execz .LBB63_92
; %bb.91:
	v_mov_b32_e32 v9, 0
	v_lshl_add_u64 v[22:23], v[6:7], 0, v[8:9]
	global_load_ushort v13, v[22:23], off offset:96
	v_lshl_add_u64 v[8:9], v[4:5], 0, v[8:9]
	s_waitcnt vmcnt(0)
	v_lshlrev_b32_e32 v13, 16, v13
	v_sub_f32_e32 v0, v13, v0
	global_store_short_d16_hi v[8:9], v0, off offset:96
	v_mul_f32_e32 v0, v18, v0
	v_lshrrev_b32_e32 v9, 16, v0
.LBB63_92:
	s_or_b64 exec, exec, s[6:7]
	s_and_saveexec_b64 s[6:7], s[2:3]
	s_cbranch_execz .LBB63_94
; %bb.93:
	v_mov_b32_e32 v11, 0
	v_lshl_add_u64 v[22:23], v[6:7], 0, v[10:11]
	global_load_ushort v0, v[22:23], off offset:96
	v_lshl_add_u64 v[10:11], v[4:5], 0, v[10:11]
	s_waitcnt vmcnt(0)
	v_lshlrev_b32_e32 v0, 16, v0
	v_sub_f32_e32 v0, v0, v1
	global_store_short_d16_hi v[10:11], v0, off offset:96
	v_mul_f32_e32 v0, v16, v0
	v_lshrrev_b32_e32 v11, 16, v0
.LBB63_94:
	s_or_b64 exec, exec, s[6:7]
	v_mov_b32_e32 v0, 0
	v_mov_b32_e32 v1, 0
	s_and_saveexec_b64 s[2:3], s[0:1]
	s_cbranch_execz .LBB63_96
; %bb.95:
	v_mov_b32_e32 v13, 0
	v_lshl_add_u64 v[22:23], v[6:7], 0, v[12:13]
	global_load_ushort v1, v[22:23], off offset:96
	v_lshl_add_u64 v[12:13], v[4:5], 0, v[12:13]
	s_waitcnt vmcnt(0)
	v_lshlrev_b32_e32 v1, 16, v1
	v_sub_f32_e32 v1, v1, v2
	global_store_short_d16_hi v[12:13], v1, off offset:96
	v_mul_f32_e32 v1, v20, v1
	v_lshrrev_b32_e32 v1, 16, v1
.LBB63_96:
	s_or_b64 exec, exec, s[2:3]
	s_and_saveexec_b64 s[0:1], s[4:5]
	s_cbranch_execz .LBB63_98
; %bb.97:
	v_mov_b32_e32 v15, 0
	v_lshl_add_u64 v[6:7], v[6:7], 0, v[14:15]
	global_load_ushort v0, v[6:7], off offset:96
	v_lshl_add_u64 v[4:5], v[4:5], 0, v[14:15]
	s_waitcnt vmcnt(0)
	v_lshlrev_b32_e32 v0, 16, v0
	v_sub_f32_e32 v0, v0, v3
	global_store_short_d16_hi v[4:5], v0, off offset:96
	v_mul_f32_e32 v0, v17, v0
	v_lshrrev_b32_e32 v0, 16, v0
.LBB63_98:
	s_or_b64 exec, exec, s[0:1]
	s_mov_b32 s0, 0x5040100
	v_or_b32_e32 v2, v21, v19
	v_perm_b32 v1, v0, v1, s0
	v_perm_b32 v0, v11, v9, s0
	v_lshlrev_b32_e32 v2, 1, v2
	ds_write_b64 v2, v[0:1] offset:24576
	s_waitcnt lgkmcnt(0)
	s_barrier
.LBB63_99:
	s_endpgm
	.section	.rodata,"a",@progbits
	.p2align	6, 0x0
	.amdhsa_kernel _ZN12_GLOBAL__N_139chunk_gated_delta_rule_fwd_h_hip_kernelILi64ELb0ELb0ELb1ELb0ELb1ELb0ELb0ELb1EEEvPK12hip_bfloat16S3_S3_PKfS5_PKvPS1_S8_PvPKiSB_iiiiilll
		.amdhsa_group_segment_fixed_size 65536
		.amdhsa_private_segment_fixed_size 0
		.amdhsa_kernarg_size 136
		.amdhsa_user_sgpr_count 2
		.amdhsa_user_sgpr_dispatch_ptr 0
		.amdhsa_user_sgpr_queue_ptr 0
		.amdhsa_user_sgpr_kernarg_segment_ptr 1
		.amdhsa_user_sgpr_dispatch_id 0
		.amdhsa_user_sgpr_kernarg_preload_length 0
		.amdhsa_user_sgpr_kernarg_preload_offset 0
		.amdhsa_user_sgpr_private_segment_size 0
		.amdhsa_uses_dynamic_stack 0
		.amdhsa_enable_private_segment 0
		.amdhsa_system_sgpr_workgroup_id_x 1
		.amdhsa_system_sgpr_workgroup_id_y 1
		.amdhsa_system_sgpr_workgroup_id_z 0
		.amdhsa_system_sgpr_workgroup_info 0
		.amdhsa_system_vgpr_workitem_id 0
		.amdhsa_next_free_vgpr 216
		.amdhsa_next_free_sgpr 65
		.amdhsa_accum_offset 180
		.amdhsa_reserve_vcc 1
		.amdhsa_float_round_mode_32 0
		.amdhsa_float_round_mode_16_64 0
		.amdhsa_float_denorm_mode_32 3
		.amdhsa_float_denorm_mode_16_64 3
		.amdhsa_dx10_clamp 1
		.amdhsa_ieee_mode 1
		.amdhsa_fp16_overflow 0
		.amdhsa_tg_split 0
		.amdhsa_exception_fp_ieee_invalid_op 0
		.amdhsa_exception_fp_denorm_src 0
		.amdhsa_exception_fp_ieee_div_zero 0
		.amdhsa_exception_fp_ieee_overflow 0
		.amdhsa_exception_fp_ieee_underflow 0
		.amdhsa_exception_fp_ieee_inexact 0
		.amdhsa_exception_int_div_zero 0
	.end_amdhsa_kernel
	.section	.text._ZN12_GLOBAL__N_139chunk_gated_delta_rule_fwd_h_hip_kernelILi64ELb0ELb0ELb1ELb0ELb1ELb0ELb0ELb1EEEvPK12hip_bfloat16S3_S3_PKfS5_PKvPS1_S8_PvPKiSB_iiiiilll,"axG",@progbits,_ZN12_GLOBAL__N_139chunk_gated_delta_rule_fwd_h_hip_kernelILi64ELb0ELb0ELb1ELb0ELb1ELb0ELb0ELb1EEEvPK12hip_bfloat16S3_S3_PKfS5_PKvPS1_S8_PvPKiSB_iiiiilll,comdat
.Lfunc_end63:
	.size	_ZN12_GLOBAL__N_139chunk_gated_delta_rule_fwd_h_hip_kernelILi64ELb0ELb0ELb1ELb0ELb1ELb0ELb0ELb1EEEvPK12hip_bfloat16S3_S3_PKfS5_PKvPS1_S8_PvPKiSB_iiiiilll, .Lfunc_end63-_ZN12_GLOBAL__N_139chunk_gated_delta_rule_fwd_h_hip_kernelILi64ELb0ELb0ELb1ELb0ELb1ELb0ELb0ELb1EEEvPK12hip_bfloat16S3_S3_PKfS5_PKvPS1_S8_PvPKiSB_iiiiilll
                                        ; -- End function
	.section	.AMDGPU.csdata,"",@progbits
; Kernel info:
; codeLenInByte = 11252
; NumSgprs: 71
; NumVgprs: 180
; NumAgprs: 36
; TotalNumVgprs: 216
; ScratchSize: 0
; MemoryBound: 0
; FloatMode: 240
; IeeeMode: 1
; LDSByteSize: 65536 bytes/workgroup (compile time only)
; SGPRBlocks: 8
; VGPRBlocks: 26
; NumSGPRsForWavesPerEU: 71
; NumVGPRsForWavesPerEU: 216
; AccumOffset: 180
; Occupancy: 1
; WaveLimiterHint : 1
; COMPUTE_PGM_RSRC2:SCRATCH_EN: 0
; COMPUTE_PGM_RSRC2:USER_SGPR: 2
; COMPUTE_PGM_RSRC2:TRAP_HANDLER: 0
; COMPUTE_PGM_RSRC2:TGID_X_EN: 1
; COMPUTE_PGM_RSRC2:TGID_Y_EN: 1
; COMPUTE_PGM_RSRC2:TGID_Z_EN: 0
; COMPUTE_PGM_RSRC2:TIDIG_COMP_CNT: 0
; COMPUTE_PGM_RSRC3_GFX90A:ACCUM_OFFSET: 44
; COMPUTE_PGM_RSRC3_GFX90A:TG_SPLIT: 0
	.section	.text._ZN12_GLOBAL__N_139chunk_gated_delta_rule_fwd_h_hip_kernelILi64ELb0ELb0ELb0ELb0ELb1ELb0ELb0ELb1EEEvPK12hip_bfloat16S3_S3_PKfS5_PKvPS1_S8_PvPKiSB_iiiiilll,"axG",@progbits,_ZN12_GLOBAL__N_139chunk_gated_delta_rule_fwd_h_hip_kernelILi64ELb0ELb0ELb0ELb0ELb1ELb0ELb0ELb1EEEvPK12hip_bfloat16S3_S3_PKfS5_PKvPS1_S8_PvPKiSB_iiiiilll,comdat
	.globl	_ZN12_GLOBAL__N_139chunk_gated_delta_rule_fwd_h_hip_kernelILi64ELb0ELb0ELb0ELb0ELb1ELb0ELb0ELb1EEEvPK12hip_bfloat16S3_S3_PKfS5_PKvPS1_S8_PvPKiSB_iiiiilll ; -- Begin function _ZN12_GLOBAL__N_139chunk_gated_delta_rule_fwd_h_hip_kernelILi64ELb0ELb0ELb0ELb0ELb1ELb0ELb0ELb1EEEvPK12hip_bfloat16S3_S3_PKfS5_PKvPS1_S8_PvPKiSB_iiiiilll
	.p2align	8
	.type	_ZN12_GLOBAL__N_139chunk_gated_delta_rule_fwd_h_hip_kernelILi64ELb0ELb0ELb0ELb0ELb1ELb0ELb0ELb1EEEvPK12hip_bfloat16S3_S3_PKfS5_PKvPS1_S8_PvPKiSB_iiiiilll,@function
_ZN12_GLOBAL__N_139chunk_gated_delta_rule_fwd_h_hip_kernelILi64ELb0ELb0ELb0ELb0ELb1ELb0ELb0ELb1EEEvPK12hip_bfloat16S3_S3_PKfS5_PKvPS1_S8_PvPKiSB_iiiiilll: ; @_ZN12_GLOBAL__N_139chunk_gated_delta_rule_fwd_h_hip_kernelILi64ELb0ELb0ELb0ELb0ELb1ELb0ELb0ELb1EEEvPK12hip_bfloat16S3_S3_PKfS5_PKvPS1_S8_PvPKiSB_iiiiilll
; %bb.0:
	s_load_dwordx4 s[12:15], s[0:1], 0x5c
	s_load_dwordx2 s[36:37], s[0:1], 0x30
	s_abs_i32 s18, s3
	s_ashr_i32 s17, s3, 31
	s_load_dwordx8 s[4:11], s[0:1], 0x0
	s_waitcnt lgkmcnt(0)
	s_abs_i32 s16, s13
	v_cvt_f32_u32_e32 v1, s16
	s_sub_i32 s20, 0, s16
	s_ashr_i32 s19, s13, 31
	s_xor_b32 s17, s17, s19
	v_rcp_iflag_f32_e32 v1, v1
	v_lshrrev_b32_e32 v74, 6, v0
	v_bfe_u32 v75, v0, 4, 2
	v_lshlrev_b32_e32 v2, 2, v75
	v_mul_f32_e32 v1, 0x4f7ffffe, v1
	v_cvt_u32_f32_e32 v1, v1
	v_and_b32_e32 v73, 63, v0
	v_mov_b32_e32 v35, 0
	v_and_b32_e32 v72, 15, v0
	v_readfirstlane_b32 s21, v1
	s_mul_i32 s20, s20, s21
	s_mul_hi_u32 s20, s21, s20
	s_add_i32 s21, s21, s20
	s_mul_hi_u32 s20, s18, s21
	s_mul_i32 s21, s20, s16
	s_sub_i32 s18, s18, s21
	s_add_i32 s22, s20, 1
	s_sub_i32 s21, s18, s16
	s_cmp_ge_u32 s18, s16
	s_cselect_b32 s20, s22, s20
	s_cselect_b32 s18, s21, s18
	s_add_i32 s21, s20, 1
	s_cmp_ge_u32 s18, s16
	s_cselect_b32 s18, s21, s20
	s_xor_b32 s18, s18, s17
	s_sub_i32 s45, s18, s17
	s_abs_i32 s17, s14
	v_cvt_f32_u32_e32 v1, s17
	s_add_i32 s20, s12, 63
	s_mul_i32 s43, s45, s13
	s_sub_i32 s33, s3, s43
	v_rcp_iflag_f32_e32 v1, v1
	s_ashr_i32 s3, s20, 31
	s_ashr_i32 s44, s12, 31
	s_lshr_b32 s3, s3, 26
	v_mul_f32_e32 v1, 0x4f7ffffe, v1
	v_cvt_u32_f32_e32 v1, v1
	s_lshr_b32 s18, s44, 26
	s_add_i32 s20, s20, s3
	s_add_i32 s18, s12, s18
	s_ashr_i32 s47, s14, 31
	s_ashr_i32 s3, s20, 6
	;; [unrolled: 1-line block ×3, first 2 shown]
	s_xor_b32 s18, s19, s47
	s_sub_i32 s19, 0, s17
	v_readfirstlane_b32 s20, v1
	s_mul_i32 s19, s19, s20
	s_mul_hi_u32 s19, s20, s19
	s_add_i32 s20, s20, s19
	s_mul_hi_u32 s19, s16, s20
	s_mul_i32 s20, s19, s17
	s_sub_i32 s16, s16, s20
	s_add_i32 s20, s19, 1
	s_sub_i32 s21, s16, s17
	s_cmp_ge_u32 s16, s17
	s_cselect_b32 s19, s20, s19
	s_cselect_b32 s16, s21, s16
	s_add_i32 s20, s19, 1
	s_cmp_ge_u32 s16, s17
	s_cselect_b32 s16, s20, s19
	s_xor_b32 s16, s16, s18
	s_sub_i32 s20, s16, s18
	s_abs_i32 s21, s20
	v_cvt_f32_u32_e32 v1, s21
	s_load_dwordx2 s[28:29], s[0:1], 0x80
	s_load_dwordx4 s[16:19], s[0:1], 0x70
	s_xor_b32 s0, s33, s20
	s_sub_i32 s20, 0, s21
	v_rcp_iflag_f32_e32 v1, v1
	s_abs_i32 s1, s33
	s_ashr_i32 s0, s0, 31
	s_mul_i32 s48, s45, s3
	v_mul_f32_e32 v1, 0x4f7ffffe, v1
	v_cvt_u32_f32_e32 v1, v1
	s_mul_hi_i32 s49, s45, s13
	v_lshrrev_b32_e32 v77, 3, v73
	v_lshlrev_b32_e32 v76, 3, v0
	v_readfirstlane_b32 s22, v1
	s_mul_i32 s20, s20, s22
	s_mul_hi_u32 s20, s22, s20
	s_add_i32 s22, s22, s20
	s_mul_hi_u32 s20, s1, s22
	s_mul_i32 s22, s20, s21
	s_sub_i32 s1, s1, s22
	s_add_i32 s22, s20, 1
	s_sub_i32 s23, s1, s21
	s_cmp_ge_u32 s1, s21
	s_cselect_b32 s20, s22, s20
	s_cselect_b32 s1, s23, s1
	s_add_i32 s22, s20, 1
	s_cmp_ge_u32 s1, s21
	s_cselect_b32 s1, s22, s20
	s_xor_b32 s1, s1, s0
	v_lshlrev_b32_e32 v1, 4, v74
	s_sub_i32 s50, s1, s0
	v_or_b32_e32 v78, v2, v1
	s_lshl_b32 s30, s2, 6
	v_or_b32_e32 v79, 64, v78
	s_cmp_lt_i32 s12, 64
	s_waitcnt lgkmcnt(0)
	s_mul_i32 s17, s45, s17
	s_mul_hi_u32 s42, s45, s16
	s_mul_i32 s34, s45, s16
	v_mov_b32_e32 v34, v35
	v_mov_b32_e32 v41, v35
	;; [unrolled: 1-line block ×31, first 2 shown]
	s_cbranch_scc1 .LBB64_18
; %bb.1:
	s_ashr_i32 s24, s45, 31
	s_ashr_i32 s52, s33, 31
	s_add_u32 s0, s43, s33
	s_addc_u32 s1, s49, s52
	s_mul_i32 s1, s12, s1
	s_mul_hi_u32 s2, s12, s0
	s_add_i32 s3, s2, s1
	s_mul_i32 s2, s12, s0
	s_lshl_b64 s[0:1], s[2:3], 8
	v_and_b32_e32 v81, 56, v76
	s_add_u32 s20, s6, s0
	v_lshl_or_b32 v80, v74, 3, v77
	v_lshlrev_b32_e32 v3, 1, v81
	s_addc_u32 s0, s7, s1
	v_lshl_or_b32 v82, v80, 8, v3
	s_and_b32 s21, s0, 0xffff
	s_mov_b32 s23, 0x20000
	s_movk_i32 s22, 0x4000
	s_movk_i32 s0, 0x80
	v_or_b32_e32 v83, 0x2000, v82
	buffer_load_dwordx4 v[4:7], v82, s[20:23], 0 offen
	buffer_load_dwordx4 v[8:11], v82, s[20:23], s0 offen
	;; [unrolled: 1-line block ×4, first 2 shown]
	v_lshlrev_b32_e32 v20, 3, v80
	v_and_or_b32 v22, v0, 7, v20
	v_and_b32_e32 v20, 0x78, v20
	v_lshlrev_b32_e32 v22, 4, v22
	v_xor_b32_e32 v84, v22, v20
	v_mul_lo_u32 v21, v80, s15
	v_or_b32_e32 v85, 0x1000, v84
	s_cmpk_eq_i32 s15, 0x80
	s_mov_b32 s51, s14
	v_xor_b32_e32 v20, 8, v84
	v_xor_b32_e32 v22, 8, v85
	s_cselect_b64 s[0:1], -1, 0
	s_cmpk_lg_i32 s15, 0x80
	s_waitcnt vmcnt(3)
	ds_write_b64 v84, v[4:5] offset:49152
	ds_write_b64 v20, v[6:7] offset:49152
	s_waitcnt vmcnt(2)
	ds_write_b64 v84, v[8:9] offset:57344
	ds_write_b64 v20, v[10:11] offset:57344
	;; [unrolled: 3-line block ×4, first 2 shown]
	v_lshl_add_u32 v4, v21, 1, v81
	s_cbranch_scc0 .LBB64_3
; %bb.2:
	v_lshlrev_b32_e32 v6, 1, v4
	v_add_lshl_u32 v5, v4, s15, 1
	s_lshl_b32 s22, s15, 7
	v_lshl_or_b32 v3, v80, 9, v3
	s_cbranch_execz .LBB64_4
	s_branch .LBB64_5
.LBB64_3:
                                        ; implicit-def: $vgpr5
                                        ; implicit-def: $vgpr6
                                        ; implicit-def: $sgpr22
	v_lshl_or_b32 v3, v80, 9, v3
.LBB64_4:
	v_or_b32_e32 v5, 0x100, v3
	s_movk_i32 s22, 0x4000
	v_mov_b32_e32 v6, v3
.LBB64_5:
	s_mul_hi_u32 s20, s14, s12
	s_mul_i32 s21, s47, s12
	s_add_i32 s20, s20, s21
	s_mul_i32 s21, s14, s12
	s_mul_i32 s23, s21, s24
	s_mul_hi_u32 s25, s21, s45
	s_add_i32 s23, s25, s23
	s_mul_i32 s20, s20, s45
	s_add_i32 s23, s23, s20
	s_mul_i32 s21, s21, s45
	s_ashr_i32 s53, s50, 31
	s_add_u32 s20, s21, s50
	s_addc_u32 s21, s23, s53
	s_lshl_b64 s[20:21], s[20:21], 8
	s_add_u32 s20, s4, s20
	s_addc_u32 s21, s5, s21
	s_and_b32 s21, s21, 0xffff
	s_mov_b32 s23, 0x20000
	s_movk_i32 s54, 0x80
	buffer_load_dwordx4 v[8:11], v6, s[20:23], 0 offen
	buffer_load_dwordx4 v[12:15], v6, s[20:23], s54 offen
	;; [unrolled: 1-line block ×4, first 2 shown]
	v_and_b32_e32 v5, 6, v0
	v_lshlrev_b32_e32 v6, 7, v78
	v_xor_b32_e32 v27, v80, v5
	v_and_b32_e32 v7, 1, v0
	v_lshl_or_b32 v30, v72, 3, v6
	v_lshlrev_b32_e32 v27, 2, v27
	v_or_b32_e32 v86, 0x4000, v30
	v_or_b32_e32 v87, 0x6000, v30
	v_xor_b32_e32 v30, 0x440, v27
	v_cmp_eq_u32_e32 vcc, 0, v7
	v_lshlrev_b32_e32 v24, 2, v72
	s_mov_b32 s56, 0x1000504
	v_cndmask_b32_e32 v7, v30, v27, vcc
	v_xor_b32_e32 v28, v78, v24
	v_xor_b32_e32 v29, v79, v24
	v_lshl_or_b32 v5, v5, 10, v7
	s_mov_b32 s57, 0x3020706
	s_mul_i32 s20, s24, s12
	s_mul_hi_u32 s21, s45, s12
	v_lshlrev_b32_e32 v25, 8, v72
	v_or_b32_e32 v26, 16, v72
	v_lshlrev_b32_e32 v28, 1, v28
	v_lshlrev_b32_e32 v29, 1, v29
	v_xor_b32_e32 v7, 8, v5
	v_xor_b32_e32 v27, 24, v5
	v_xor_b32_e32 v32, 40, v5
	v_xor_b32_e32 v34, 56, v5
	v_or_b32_e32 v89, v25, v28
	v_or_b32_e32 v90, v25, v29
	v_xor_b32_e32 v25, 16, v5
	v_xor_b32_e32 v30, 32, v5
	;; [unrolled: 1-line block ×3, first 2 shown]
	v_add_u32_e32 v7, 0x80, v7
	v_add_u32_e32 v27, 0x80, v27
	;; [unrolled: 1-line block ×4, first 2 shown]
	s_add_i32 s59, s21, s20
	s_add_i32 s20, s42, s17
	s_mul_i32 s24, s24, s16
	s_add_i32 s35, s20, s24
	s_mul_i32 s20, s33, s19
	s_mul_hi_u32 s21, s33, s18
	s_add_i32 s20, s21, s20
	s_mul_i32 s21, s52, s18
	s_add_i32 s21, s20, s21
	s_lshl_b64 s[24:25], s[34:35], 2
	s_mul_i32 s20, s33, s18
	s_add_u32 s24, s10, s24
	s_addc_u32 s25, s11, s25
	s_lshl_b64 s[20:21], s[20:21], 2
	s_add_u32 s38, s24, s20
	s_movk_i32 s20, 0xf8
	s_addc_u32 s39, s25, s21
	s_ashr_i32 s31, s30, 31
	s_lshl_b32 s26, s15, 7
	s_movk_i32 s24, 0x100
	v_mov_b32_e32 v67, 0
	v_lshlrev_b32_e32 v66, 4, v72
	v_cmp_gt_u32_e32 vcc, s24, v0
	v_lshl_or_b32 v31, v26, 3, v6
	s_mov_b32 s55, 0
	s_mul_i32 s58, s45, s12
	v_or_b32_e32 v88, 0x4000, v31
	s_movk_i32 s22, 0x4000
	v_or_b32_e32 v91, 0x6000, v31
	v_add_u32_e32 v126, v1, v2
	s_movk_i32 s35, 0x2000
	s_movk_i32 s60, 0x3000
	s_mov_b32 s62, 0
	v_mov_b32_e32 v58, v67
	v_mov_b32_e32 v59, v67
	;; [unrolled: 1-line block ×9, first 2 shown]
	s_waitcnt vmcnt(1)
	v_perm_b32 v35, v8, v16, s56
	s_waitcnt vmcnt(0)
	v_perm_b32 v36, v12, v20, s56
	v_perm_b32 v8, v8, v16, s57
	;; [unrolled: 1-line block ×15, first 2 shown]
	ds_write2st64_b32 v5, v35, v36 offset0:128 offset1:160
	ds_write2st64_b32 v7, v8, v12 offset0:128 offset1:160
	;; [unrolled: 1-line block ×8, first 2 shown]
	v_lshlrev_b32_e32 v5, 8, v26
	v_or_b32_e32 v92, v5, v28
	v_or_b32_e32 v93, v5, v29
	v_or_b32_e32 v5, 32, v72
	v_lshl_or_b32 v7, v5, 3, v6
	v_lshlrev_b32_e32 v5, 8, v5
	v_or_b32_e32 v96, v5, v28
	v_or_b32_e32 v97, v5, v29
	;; [unrolled: 1-line block ×5, first 2 shown]
	v_lshl_or_b32 v7, v5, 3, v6
	v_lshlrev_b32_e32 v5, 8, v5
	v_or_b32_e32 v100, v5, v28
	v_or_b32_e32 v101, v5, v29
	;; [unrolled: 1-line block ×3, first 2 shown]
	v_lshlrev_b32_e32 v5, 3, v5
	v_lshrrev_b32_e32 v9, 5, v73
	v_and_or_b32 v9, v5, s20, v9
	v_lshlrev_b32_e32 v9, 4, v9
	v_or_b32_e32 v98, 0x4000, v7
	v_or_b32_e32 v99, 0x6000, v7
	v_lshlrev_b32_e32 v7, 11, v74
	v_and_b32_e32 v5, 0x78, v5
	v_or_b32_e32 v14, 32, v9
	v_and_b32_e32 v8, 0x1000, v7
	v_xor_b32_e32 v10, v9, v5
	v_lshrrev_b32_e32 v11, 1, v0
	v_xor_b32_e32 v14, v14, v5
	v_or_b32_e32 v10, v10, v8
	v_and_b32_e32 v12, 8, v11
	v_or_b32_e32 v14, v14, v8
	v_xor_b32_e32 v102, v10, v12
	v_lshlrev_b32_e32 v10, 8, v75
	v_xor_b32_e32 v104, v14, v12
	v_or_b32_e32 v14, 64, v9
	v_or_b32_e32 v9, 0x60, v9
	;; [unrolled: 1-line block ×3, first 2 shown]
	v_xor_b32_e32 v14, v14, v5
	v_xor_b32_e32 v5, v9, v5
	v_lshlrev_b32_e32 v13, 1, v13
	v_or_b32_e32 v14, v14, v8
	v_or_b32_e32 v5, v5, v8
	s_lshl_b64 s[20:21], s[30:31], 8
	v_or_b32_e32 v103, 0x4000, v13
	v_or_b32_e32 v105, 0x4080, v13
	;; [unrolled: 1-line block ×4, first 2 shown]
	v_xor_b32_e32 v108, v14, v12
	v_xor_b32_e32 v109, v5, v12
	v_or_b32_e32 v110, 0x6000, v13
	v_or_b32_e32 v111, 0x6080, v13
	;; [unrolled: 1-line block ×4, first 2 shown]
	v_lshlrev_b32_e32 v12, 1, v4
	v_add_lshl_u32 v13, v4, s15, 1
	s_add_u32 s20, s36, s20
	v_lshlrev_b32_e32 v4, 1, v72
	v_lshrrev_b32_e32 v15, 4, v0
	s_addc_u32 s21, s37, s21
	v_or_b32_e32 v5, 1, v4
	v_mov_b32_e32 v19, 0xa000
	v_mov_b32_e32 v20, 0x8000
	v_xor_b32_e32 v16, v15, v4
	v_xor_b32_e32 v17, v5, v15
	v_lshl_add_u64 v[4:5], s[20:21], 0, v[66:67]
	v_lshlrev_b32_e32 v66, 8, v15
	v_cndmask_b32_e32 v19, v19, v20, vcc
	v_lshlrev_b32_e32 v20, 3, v74
	v_and_b32_e32 v11, 24, v11
	v_lshl_or_b32 v114, v16, 3, v66
	v_and_b32_e32 v16, 8, v0
	v_xor_b32_e32 v21, v20, v11
	v_or_b32_e32 v22, 0x440, v21
	v_cmp_eq_u32_e32 vcc, 0, v16
	v_and_b32_e32 v15, 7, v0
	v_lshl_or_b32 v115, v17, 3, v66
	v_cndmask_b32_e32 v16, v22, v21, vcc
	v_lshlrev_b32_e32 v17, 3, v15
	v_lshlrev_b32_e32 v15, 7, v15
	v_or_b32_e32 v16, v16, v7
	v_lshlrev_b32_e32 v18, 2, v0
	v_xad_u32 v116, v16, v17, v15
	v_or_b32_e32 v16, 32, v11
	v_and_or_b32 v10, v18, 60, v10
	v_xor_b32_e32 v16, v20, v16
	v_lshlrev_b32_e32 v10, 1, v10
	v_or_b32_e32 v18, 0x440, v16
	v_or_b32_e32 v117, 0x6000, v10
	v_cndmask_b32_e32 v16, v18, v16, vcc
	v_or_b32_e32 v119, 0x6080, v10
	v_or_b32_e32 v120, 0x6100, v10
	;; [unrolled: 1-line block ×5, first 2 shown]
	v_xor_b32_e32 v10, v20, v10
	v_xad_u32 v118, v16, v17, v15
	v_xor_b32_e32 v16, 0x440, v10
	v_cndmask_b32_e32 v10, v16, v10, vcc
	v_or_b32_e32 v10, v10, v7
	v_xad_u32 v122, v10, v17, v15
	v_or_b32_e32 v10, 0x60, v11
	v_xor_b32_e32 v10, v20, v10
	v_xor_b32_e32 v11, 0x440, v10
	v_cndmask_b32_e32 v10, v11, v10, vcc
	v_or_b32_e32 v8, s30, v72
	v_or_b32_e32 v7, v10, v7
	v_ashrrev_i32_e32 v9, 31, v8
	v_or_b32_e32 v14, 0x100, v3
	v_xad_u32 v123, v7, v17, v15
	v_cndmask_b32_e64 v124, v12, v3, s[0:1]
	v_cndmask_b32_e64 v125, v13, v14, s[0:1]
	v_lshl_add_u64 v[68:69], v[8:9], 1, s[8:9]
	v_lshl_add_u64 v[70:71], v[4:5], 0, v[66:67]
	s_mov_b32 s31, 0x7060302
	v_lshlrev_b32_e32 v66, 1, v6
	v_add_u32_e32 v127, v19, v116
	v_add_u32_e32 v128, v19, v118
	;; [unrolled: 1-line block ×4, first 2 shown]
	v_mov_b32_e32 v51, v67
	v_mov_b32_e32 v52, v67
	;; [unrolled: 1-line block ×23, first 2 shown]
	s_waitcnt lgkmcnt(0)
	s_barrier
.LBB64_6:                               ; =>This Inner Loop Header: Depth=1
	s_add_i32 s61, s62, 1
	s_cmp_lt_i32 s61, s46
	s_mov_b64 s[24:25], 0
	s_cselect_b64 s[40:41], -1, 0
	s_cmp_ge_i32 s61, s46
	s_mov_b64 s[20:21], 0
	s_cbranch_scc1 .LBB64_8
; %bb.7:                                ;   in Loop: Header=BB64_6 Depth=1
	s_add_i32 s0, s55, 64
	s_add_u32 s0, s2, s0
	s_addc_u32 s1, s3, 0
	s_lshl_b64 s[0:1], s[0:1], 8
	s_add_u32 s20, s6, s0
	s_addc_u32 s21, s7, s1
.LBB64_8:                               ;   in Loop: Header=BB64_6 Depth=1
	v_cndmask_b32_e64 v2, 0, 1, s[40:41]
	v_cmp_ne_u32_e64 s[0:1], 1, v2
	s_andn2_b64 vcc, exec, s[40:41]
	s_cbranch_vccnz .LBB64_10
; %bb.9:                                ;   in Loop: Header=BB64_6 Depth=1
	s_add_i32 s24, s55, 64
	s_add_u32 s24, s58, s24
	s_addc_u32 s25, s59, 0
	s_mul_i32 s27, s24, s47
	s_mul_hi_u32 s40, s24, s51
	s_add_i32 s27, s40, s27
	s_mul_i32 s25, s25, s51
	s_add_i32 s27, s27, s25
	s_mul_i32 s24, s24, s51
	s_add_u32 s24, s24, s50
	s_addc_u32 s25, s27, s53
	s_lshl_b64 s[24:25], s[24:25], 8
	s_add_u32 s24, s4, s24
	s_addc_u32 s25, s5, s25
.LBB64_10:                              ;   in Loop: Header=BB64_6 Depth=1
	v_perm_b32 v3, v65, v64, s31
	v_perm_b32 v2, v63, v62, s31
	v_perm_b32 v5, v61, v60, s31
	v_perm_b32 v4, v59, v58, s31
	ds_write_b64 v86, v[2:3]
	ds_write_b64 v87, v[4:5]
	ds_write_b64 v89, v[2:3]
	ds_write_b64 v90, v[4:5]
	v_perm_b32 v3, v57, v56, s31
	v_perm_b32 v2, v55, v54, s31
	v_perm_b32 v5, v53, v52, s31
	v_perm_b32 v4, v51, v50, s31
	ds_write_b64 v88, v[2:3]
	ds_write_b64 v91, v[4:5]
	ds_write_b64 v92, v[2:3]
	ds_write_b64 v93, v[4:5]
	;; [unrolled: 8-line block ×4, first 2 shown]
	s_waitcnt lgkmcnt(0)
	s_barrier
	ds_read_b64 v[6:7], v102 offset:49152
	ds_read2_b64 v[2:5], v103 offset1:16
	ds_read_b64 v[18:19], v105 offset:6144
	ds_read_b64 v[20:21], v103 offset:6144
	s_waitcnt lgkmcnt(2)
	v_mfma_f32_16x16x16_bf16 a[0:3], v[6:7], v[2:3], 0
	ds_read_b64 v[22:23], v104 offset:49152
	ds_read2st64_b64 v[10:13], v106 offset0:4 offset1:8
	ds_read2st64_b64 v[14:17], v107 offset0:4 offset1:8
	v_mfma_f32_16x16x16_bf16 a[4:7], v[6:7], v[4:5], 0
	ds_read2_b64 v[2:5], v103 offset0:32 offset1:48
	s_add_i32 s27, s55, 63
	s_mul_i32 s40, s27, s29
	s_waitcnt lgkmcnt(0)
	v_mfma_f32_16x16x16_bf16 a[8:11], v[6:7], v[2:3], 0
	s_mul_hi_u32 s41, s27, s28
	s_add_i32 s41, s41, s40
	s_mul_i32 s40, s27, s28
	v_mfma_f32_16x16x16_bf16 a[12:15], v[6:7], v[4:5], 0
	ds_read2st64_b64 v[2:5], v103 offset0:4 offset1:8
	ds_read2st64_b64 v[6:9], v105 offset0:4 offset1:8
	s_lshl_b64 s[40:41], s[40:41], 2
	s_waitcnt lgkmcnt(1)
	v_mfma_f32_16x16x16_bf16 a[0:3], v[22:23], v[2:3], a[0:3]
	s_add_u32 s40, s38, s40
	s_addc_u32 s41, s39, s41
	s_and_b64 vcc, exec, s[0:1]
	s_waitcnt lgkmcnt(0)
	v_mfma_f32_16x16x16_bf16 a[4:7], v[22:23], v[6:7], a[4:7]
	v_mov_b32_e32 v133, 0
	v_mov_b32_e32 v132, 0
	;; [unrolled: 1-line block ×3, first 2 shown]
	v_mfma_f32_16x16x16_bf16 a[8:11], v[22:23], v[10:11], a[8:11]
	ds_read_b64 v[2:3], v108 offset:49152
	ds_read_b64 v[6:7], v109 offset:49152
	;; [unrolled: 1-line block ×3, first 2 shown]
	v_mfma_f32_16x16x16_bf16 a[12:15], v[22:23], v[14:15], a[12:15]
	v_mov_b32_e32 v14, 0
	v_mov_b32_e32 v15, 0
	s_waitcnt lgkmcnt(2)
	v_mfma_f32_16x16x16_bf16 a[0:3], v[2:3], v[4:5], a[0:3]
	v_mov_b32_e32 v4, 0
	v_mov_b32_e32 v5, 0
	v_mfma_f32_16x16x16_bf16 a[16:19], v[2:3], v[8:9], a[4:7]
	v_mov_b32_e32 v8, 0
	v_mov_b32_e32 v9, 0
	v_mfma_f32_16x16x16_bf16 a[20:23], v[2:3], v[12:13], a[8:11]
	v_mov_b32_e32 v12, 0
	v_mov_b32_e32 v13, 0
	v_mfma_f32_16x16x16_bf16 a[24:27], v[2:3], v[16:17], a[12:15]
	ds_read_b64 v[2:3], v106 offset:6144
	v_mov_b32_e32 v16, 0
	v_mov_b32_e32 v17, 0
	s_waitcnt lgkmcnt(2)
	v_mfma_f32_16x16x16_bf16 a[4:7], v[6:7], v[20:21], a[0:3]
	v_mfma_f32_16x16x16_bf16 a[8:11], v[6:7], v[18:19], a[16:19]
	s_waitcnt lgkmcnt(0)
	v_mfma_f32_16x16x16_bf16 a[12:15], v[6:7], v[2:3], a[20:23]
	v_mov_b32_e32 v2, 0
	v_mov_b32_e32 v3, 0
	v_mfma_f32_16x16x16_bf16 a[0:3], v[6:7], v[10:11], a[24:27]
	v_mov_b32_e32 v6, 0
	v_mov_b32_e32 v7, 0
	;; [unrolled: 1-line block ×4, first 2 shown]
	s_cbranch_vccnz .LBB64_12
; %bb.11:                               ;   in Loop: Header=BB64_6 Depth=1
	s_and_b32 s21, s21, 0xffff
	buffer_load_dwordx4 v[14:17], v82, s[20:23], 0 offen
	buffer_load_dwordx4 v[10:13], v82, s[20:23], s54 offen
	;; [unrolled: 1-line block ×4, first 2 shown]
	v_mov_b32_e32 v132, v84
	v_mov_b32_e32 v131, v85
.LBB64_12:                              ;   in Loop: Header=BB64_6 Depth=1
	ds_read_b64 v[134:135], v102 offset:57344
	ds_read2_b64 v[18:21], v110 offset1:16
	ds_read_b64 v[136:137], v104 offset:57344
	ds_read_b64 v[138:139], v108 offset:57344
	;; [unrolled: 1-line block ×3, first 2 shown]
	v_add_u32_e32 v142, s55, v126
	s_waitcnt lgkmcnt(3)
	v_mfma_f32_16x16x16_bf16 a[4:7], v[134:135], v[18:19], a[4:7]
	v_mfma_f32_16x16x16_bf16 a[8:11], v[134:135], v[20:21], a[8:11]
	ds_read2_b64 v[18:21], v110 offset0:32 offset1:48
	ds_read2st64_b64 v[22:25], v110 offset0:4 offset1:8
	ds_read2st64_b64 v[26:29], v111 offset0:4 offset1:8
	;; [unrolled: 1-line block ×3, first 2 shown]
	s_waitcnt lgkmcnt(3)
	v_mfma_f32_16x16x16_bf16 a[12:15], v[134:135], v[18:19], a[12:15]
	v_ashrrev_i32_e32 v18, 31, v142
	v_mfma_f32_16x16x16_bf16 a[0:3], v[134:135], v[20:21], a[0:3]
	v_mul_lo_u32 v20, v18, s28
	v_mul_lo_u32 v21, v142, s29
	v_mad_u64_u32 v[18:19], s[20:21], v142, s28, 0
	v_add3_u32 v19, v19, v21, v20
	v_add_u32_e32 v20, 1, v142
	v_ashrrev_i32_e32 v21, 31, v20
	s_waitcnt lgkmcnt(2)
	v_mfma_f32_16x16x16_bf16 a[4:7], v[136:137], v[22:23], a[4:7]
	v_mul_lo_u32 v22, v21, s28
	v_mul_lo_u32 v23, v20, s29
	v_mad_u64_u32 v[20:21], s[20:21], v20, s28, 0
	v_add3_u32 v21, v21, v23, v22
	v_add_u32_e32 v22, 2, v142
	v_ashrrev_i32_e32 v23, 31, v22
	s_waitcnt lgkmcnt(1)
	v_mfma_f32_16x16x16_bf16 a[8:11], v[136:137], v[26:27], a[8:11]
	v_mul_lo_u32 v26, v23, s28
	v_mul_lo_u32 v27, v22, s29
	v_mad_u64_u32 v[22:23], s[20:21], v22, s28, 0
	v_add3_u32 v23, v23, v27, v26
	v_add_u32_e32 v26, 3, v142
	v_ashrrev_i32_e32 v27, 31, v26
	v_mul_lo_u32 v134, v27, s28
	v_mul_lo_u32 v135, v26, s29
	v_mad_u64_u32 v[26:27], s[20:21], v26, s28, 0
	s_add_u32 s20, s2, s55
	s_addc_u32 s21, s3, 0
	v_lshl_add_u64 v[18:19], v[18:19], 2, s[38:39]
	v_add3_u32 v27, v27, v135, v134
	s_lshl_b64 s[20:21], s[20:21], 8
	v_lshl_add_u64 v[20:21], v[20:21], 2, s[38:39]
	v_lshl_add_u64 v[22:23], v[22:23], 2, s[38:39]
	;; [unrolled: 1-line block ×3, first 2 shown]
	global_load_dword v134, v[18:19], off
	global_load_dword v135, v[20:21], off
	;; [unrolled: 1-line block ×4, first 2 shown]
	v_lshl_add_u64 v[18:19], v[68:69], 0, s[20:21]
	v_lshl_add_u64 v[22:23], v[18:19], 0, v[66:67]
	global_load_ushort v144, v[22:23], off offset:256
	global_load_ushort v145, v[22:23], off
	ds_read2st64_b64 v[18:21], v113 offset0:4 offset1:8
	global_load_ushort v146, v[22:23], off offset:768
	global_load_ushort v147, v[22:23], off offset:512
	s_waitcnt lgkmcnt(1)
	v_mfma_f32_16x16x16_bf16 a[12:15], v[136:137], v[30:31], a[12:15]
	s_and_b64 vcc, exec, s[0:1]
	s_waitcnt vmcnt(3)
	v_lshlrev_b32_e32 v31, 16, v144
	s_waitcnt lgkmcnt(0)
	v_mfma_f32_16x16x16_bf16 a[0:3], v[136:137], v[18:19], a[0:3]
	global_load_ushort v136, v[22:23], off offset:288
	global_load_ushort v137, v[22:23], off offset:32
	;; [unrolled: 1-line block ×8, first 2 shown]
	v_mfma_f32_16x16x16_bf16 a[4:7], v[138:139], v[24:25], a[4:7]
	ds_read_b64 v[18:19], v110 offset:6144
	s_waitcnt vmcnt(10)
	v_lshlrev_b32_e32 v30, 16, v145
	v_mfma_f32_16x16x16_bf16 a[8:11], v[138:139], v[28:29], a[8:11]
	v_mfma_f32_16x16x16_bf16 a[12:15], v[138:139], v[32:33], a[12:15]
	;; [unrolled: 1-line block ×3, first 2 shown]
	global_load_ushort v138, v[22:23], off offset:352
	global_load_ushort v139, v[22:23], off offset:96
	ds_read_b64 v[20:21], v111 offset:6144
	ds_read_b64 v[24:25], v112 offset:6144
	;; [unrolled: 1-line block ×3, first 2 shown]
	global_load_ushort v154, v[22:23], off offset:864
	global_load_ushort v155, v[22:23], off offset:608
	s_load_dword s20, s[40:41], 0x0
	s_waitcnt lgkmcnt(0)
	v_mfma_f32_16x16x16_bf16 a[4:7], v[140:141], v[18:19], a[4:7]
	v_sub_f32_e32 v28, s20, v142
	v_mfma_f32_16x16x16_bf16 a[0:3], v[140:141], v[26:27], a[0:3]
	v_sub_f32_e32 v26, s20, v134
	v_sub_f32_e32 v27, s20, v135
	;; [unrolled: 1-line block ×3, first 2 shown]
	v_mfma_f32_16x16x16_bf16 a[8:11], v[140:141], v[20:21], a[8:11]
	v_exp_f32_e32 v26, v26
	v_exp_f32_e32 v27, v27
	;; [unrolled: 1-line block ×4, first 2 shown]
	v_accvgpr_read_b32 v33, a5
	v_accvgpr_read_b32 v32, a4
	;; [unrolled: 1-line block ×4, first 2 shown]
	v_pk_add_f32 v[30:31], v[30:31], v[32:33] neg_lo:[0,1] neg_hi:[0,1]
	s_waitcnt vmcnt(13)
	v_lshlrev_b32_e32 v33, 16, v146
	s_waitcnt vmcnt(12)
	v_lshlrev_b32_e32 v32, 16, v147
	v_pk_add_f32 v[18:19], v[32:33], v[18:19] neg_lo:[0,1] neg_hi:[0,1]
	v_pk_mul_f32 v[30:31], v[26:27], v[30:31]
	v_pk_mul_f32 v[18:19], v[28:29], v[18:19]
	v_accvgpr_read_b32 v33, a9
	v_perm_b32 v19, v19, v18, s31
	v_perm_b32 v18, v31, v30, s31
	v_accvgpr_read_b32 v32, a8
	v_accvgpr_read_b32 v21, a11
	v_mfma_f32_16x16x16_bf16 a[12:15], v[140:141], v[24:25], a[12:15]
	v_accvgpr_read_b32 v20, a10
	v_accvgpr_read_b32 v25, a3
	;; [unrolled: 1-line block ×3, first 2 shown]
	v_mov_b32_e32 v134, 0
	s_waitcnt vmcnt(11)
	v_lshlrev_b32_e32 v31, 16, v136
	s_waitcnt vmcnt(10)
	v_lshlrev_b32_e32 v30, 16, v137
	v_pk_add_f32 v[30:31], v[30:31], v[32:33] neg_lo:[0,1] neg_hi:[0,1]
	s_waitcnt vmcnt(9)
	v_lshlrev_b32_e32 v33, 16, v148
	s_waitcnt vmcnt(8)
	v_lshlrev_b32_e32 v32, 16, v149
	v_pk_add_f32 v[20:21], v[32:33], v[20:21] neg_lo:[0,1] neg_hi:[0,1]
	v_pk_mul_f32 v[30:31], v[26:27], v[30:31]
	v_pk_mul_f32 v[20:21], v[28:29], v[20:21]
	v_accvgpr_read_b32 v23, a15
	v_perm_b32 v21, v21, v20, s31
	v_perm_b32 v20, v31, v30, s31
	ds_write2_b64 v87, v[18:19], v[20:21] offset1:16
	v_accvgpr_read_b32 v21, a13
	s_waitcnt vmcnt(7)
	v_lshlrev_b32_e32 v19, 16, v150
	s_waitcnt vmcnt(6)
	v_lshlrev_b32_e32 v18, 16, v151
	v_accvgpr_read_b32 v20, a12
	v_accvgpr_read_b32 v22, a14
	v_pk_add_f32 v[18:19], v[18:19], v[20:21] neg_lo:[0,1] neg_hi:[0,1]
	s_waitcnt vmcnt(5)
	v_lshlrev_b32_e32 v21, 16, v152
	s_waitcnt vmcnt(4)
	v_lshlrev_b32_e32 v20, 16, v153
	v_pk_add_f32 v[20:21], v[20:21], v[22:23] neg_lo:[0,1] neg_hi:[0,1]
	v_pk_mul_f32 v[18:19], v[26:27], v[18:19]
	v_pk_mul_f32 v[20:21], v[28:29], v[20:21]
	v_accvgpr_read_b32 v23, a1
	v_perm_b32 v21, v21, v20, s31
	v_perm_b32 v20, v19, v18, s31
	s_waitcnt vmcnt(3)
	v_lshlrev_b32_e32 v19, 16, v138
	s_waitcnt vmcnt(2)
	v_lshlrev_b32_e32 v18, 16, v139
	v_accvgpr_read_b32 v22, a0
	v_pk_add_f32 v[18:19], v[18:19], v[22:23] neg_lo:[0,1] neg_hi:[0,1]
	s_waitcnt vmcnt(1)
	v_lshlrev_b32_e32 v23, 16, v154
	s_waitcnt vmcnt(0)
	v_lshlrev_b32_e32 v22, 16, v155
	v_pk_add_f32 v[22:23], v[22:23], v[24:25] neg_lo:[0,1] neg_hi:[0,1]
	v_pk_mul_f32 v[18:19], v[26:27], v[18:19]
	v_pk_mul_f32 v[22:23], v[28:29], v[22:23]
	v_mov_b32_e32 v24, 0
	v_perm_b32 v23, v23, v22, s31
	v_perm_b32 v22, v19, v18, s31
	ds_write2_b64 v87, v[20:21], v[22:23] offset0:32 offset1:48
	v_mov_b32_e32 v18, 0
	v_mov_b32_e32 v19, 0
	;; [unrolled: 1-line block ×15, first 2 shown]
	s_cbranch_vccnz .LBB64_14
; %bb.13:                               ;   in Loop: Header=BB64_6 Depth=1
	s_and_b32 s25, s25, 0xffff
	s_mov_b32 s27, s23
	buffer_load_dwordx4 v[30:33], v124, s[24:27], 0 offen
	buffer_load_dwordx4 v[22:25], v124, s[24:27], s54 offen
	buffer_load_dwordx4 v[26:29], v125, s[24:27], 0 offen
	buffer_load_dwordx4 v[18:21], v125, s[24:27], s54 offen
	v_mov_b32_e32 v133, v81
	v_mov_b32_e32 v134, v80
.LBB64_14:                              ;   in Loop: Header=BB64_6 Depth=1
	s_waitcnt lgkmcnt(0)
	s_barrier
	ds_read_b64 v[144:145], v127
	ds_read2_b64 v[136:139], v117 offset1:16
	ds_read_b64 v[160:161], v128
	ds_read_b64 v[162:163], v129
	;; [unrolled: 1-line block ×3, first 2 shown]
	ds_read2_b64 v[140:143], v117 offset0:32 offset1:48
	s_waitcnt lgkmcnt(4)
	v_mfma_f32_16x16x16_bf16 a[0:3], v[144:145], v[136:137], 0
	ds_read2st64_b64 v[148:151], v119 offset0:4 offset1:8
	ds_read2st64_b64 v[152:155], v120 offset0:4 offset1:8
	;; [unrolled: 1-line block ×3, first 2 shown]
	v_mfma_f32_16x16x16_bf16 a[4:7], v[144:145], v[138:139], 0
	s_add_i32 s21, s48, s62
	s_mul_hi_i32 s25, s21, s13
	s_mul_i32 s21, s21, s13
	s_waitcnt lgkmcnt(3)
	v_mfma_f32_16x16x16_bf16 a[8:11], v[144:145], v[140:141], 0
	s_add_u32 s24, s21, s33
	s_addc_u32 s25, s25, s52
	s_lshl_b64 s[24:25], s[24:25], 15
	v_mfma_f32_16x16x16_bf16 a[12:15], v[144:145], v[142:143], 0
	ds_read2st64_b64 v[144:147], v117 offset0:4 offset1:8
	s_waitcnt lgkmcnt(0)
	v_mfma_f32_16x16x16_bf16 a[0:3], v[160:161], v[144:145], a[0:3]
	v_mfma_f32_16x16x16_bf16 a[4:7], v[160:161], v[148:149], a[4:7]
	;; [unrolled: 1-line block ×8, first 2 shown]
	ds_read_b64 v[160:161], v117 offset:6144
	ds_read_b64 v[162:163], v118 offset:40960
	ds_read_b64 v[166:167], v116 offset:40960
	ds_read_b64 v[168:169], v119 offset:6144
	ds_read_b64 v[170:171], v120 offset:6144
	ds_read_b64 v[172:173], v121 offset:6144
	ds_read_b64 v[174:175], v122 offset:40960
	ds_read_b64 v[176:177], v123 offset:40960
	s_waitcnt lgkmcnt(5)
	v_mfma_f32_16x16x16_bf16 a[16:19], v[166:167], v[136:137], 0
	v_mfma_f32_16x16x16_bf16 a[20:23], v[166:167], v[138:139], 0
	ds_read2st64_b64 v[136:139], v114 offset1:8
	v_mfma_f32_16x16x16_bf16 a[24:27], v[166:167], v[140:141], 0
	v_mfma_f32_16x16x16_bf16 a[28:31], v[166:167], v[142:143], 0
	ds_read2st64_b64 v[140:143], v115 offset1:8
	v_mfma_f32_16x16x16_bf16 a[16:19], v[162:163], v[144:145], a[16:19]
	s_waitcnt lgkmcnt(1)
	v_mov_b32_e32 v144, v136
	v_mov_b32_e32 v145, v137
	v_mfma_f32_16x16x16_bf16 a[20:23], v[162:163], v[148:149], a[20:23]
	v_lshl_add_u64 v[148:149], v[70:71], 0, s[24:25]
	v_mfma_f32_16x16x16_bf16 a[24:27], v[162:163], v[152:153], a[24:27]
	v_mfma_f32_16x16x16_bf16 a[28:31], v[162:163], v[156:157], a[28:31]
	;; [unrolled: 1-line block ×3, first 2 shown]
	s_waitcnt lgkmcnt(0)
	v_mov_b32_e32 v146, v140
	v_mov_b32_e32 v147, v141
	;; [unrolled: 1-line block ×3, first 2 shown]
	v_mfma_f32_16x16x16_bf16 a[32:35], v[174:175], v[150:151], a[20:23]
	v_mov_b32_e32 v141, v139
	ds_read2st64_b64 v[136:139], v114 offset0:16 offset1:24
	global_store_dwordx4 v[148:149], v[144:147], off
	v_mfma_f32_16x16x16_bf16 a[24:27], v[174:175], v[154:155], a[24:27]
	ds_read2st64_b64 v[144:147], v115 offset0:16 offset1:24
	v_add_co_u32_e32 v150, vcc, s35, v148
	v_mfma_f32_16x16x16_bf16 a[28:31], v[174:175], v[158:159], a[28:31]
	s_nop 0
	v_addc_co_u32_e32 v151, vcc, 0, v149, vcc
	global_store_dwordx4 v[150:151], v[140:143], off offset:-4096
	v_mfma_f32_16x16x16_bf16 a[0:3], v[164:165], v[160:161], a[0:3]
	s_waitcnt lgkmcnt(1)
	v_mov_b32_e32 v140, v136
	v_add_co_u32_e32 v136, vcc, s60, v148
	v_mfma_f32_16x16x16_bf16 a[4:7], v[164:165], v[168:169], a[4:7]
	v_mov_b32_e32 v141, v137
	v_addc_co_u32_e32 v137, vcc, 0, v149, vcc
	v_mfma_f32_16x16x16_bf16 a[8:11], v[164:165], v[170:171], a[8:11]
	s_waitcnt lgkmcnt(0)
	v_mov_b32_e32 v142, v144
	v_mov_b32_e32 v143, v145
	;; [unrolled: 1-line block ×3, first 2 shown]
	v_mfma_f32_16x16x16_bf16 a[12:15], v[164:165], v[172:173], a[12:15]
	v_mov_b32_e32 v145, v139
	s_and_b64 vcc, exec, s[0:1]
	global_store_dwordx4 v[150:151], v[140:143], off
	v_mfma_f32_16x16x16_bf16 a[20:23], v[176:177], v[160:161], a[16:19]
	global_store_dwordx4 v[136:137], v[144:147], off
	v_mfma_f32_16x16x16_bf16 a[16:19], v[176:177], v[168:169], a[32:35]
	v_mfma_f32_16x16x16_bf16 a[24:27], v[176:177], v[170:171], a[24:27]
	;; [unrolled: 1-line block ×3, first 2 shown]
	s_cbranch_vccnz .LBB64_16
; %bb.15:                               ;   in Loop: Header=BB64_6 Depth=1
	v_lshrrev_b32_e32 v135, 3, v133
	v_and_b32_e32 v135, 6, v135
	v_xor_b32_e32 v134, v135, v134
	v_lshlrev_b32_e32 v134, 2, v134
	v_and_b32_e32 v133, 8, v133
	v_xor_b32_e32 v136, 0x440, v134
	v_cmp_eq_u32_e32 vcc, 0, v133
	s_barrier
	s_nop 0
	v_cndmask_b32_e32 v133, v136, v134, vcc
	v_lshl_or_b32 v133, v135, 10, v133
	s_waitcnt vmcnt(5)
	v_perm_b32 v134, v30, v26, s56
	s_waitcnt vmcnt(4)
	v_perm_b32 v135, v22, v18, s56
	ds_write2st64_b32 v133, v134, v135 offset0:128 offset1:160
	v_xor_b32_e32 v134, 8, v133
	v_perm_b32 v26, v30, v26, s57
	v_perm_b32 v18, v22, v18, s57
	v_add_u32_e32 v22, 0x80, v134
	ds_write2st64_b32 v22, v26, v18 offset0:128 offset1:160
	v_xor_b32_e32 v18, 16, v133
	v_perm_b32 v22, v31, v27, s56
	v_perm_b32 v26, v23, v19, s56
	ds_write2st64_b32 v18, v22, v26 offset0:129 offset1:161
	v_xor_b32_e32 v18, 24, v133
	v_perm_b32 v22, v31, v27, s57
	v_perm_b32 v19, v23, v19, s57
	v_add_u32_e32 v18, 0x80, v18
	ds_write2st64_b32 v18, v22, v19 offset0:129 offset1:161
	v_xor_b32_e32 v18, 32, v133
	v_perm_b32 v19, v32, v28, s56
	;; [unrolled: 9-line block ×3, first 2 shown]
	v_perm_b32 v20, v25, v21, s56
	ds_write2st64_b32 v18, v19, v20 offset0:131 offset1:163
	v_xor_b32_e32 v18, 56, v133
	v_perm_b32 v19, v33, v29, s57
	v_perm_b32 v20, v25, v21, s57
	v_add_u32_e32 v18, 0x80, v18
	ds_write2st64_b32 v18, v19, v20 offset0:131 offset1:163
	ds_write_b64 v132, v[14:15] offset:49152
	v_xor_b32_e32 v14, 8, v132
	ds_write_b64 v14, v[16:17] offset:49152
	ds_write_b64 v132, v[10:11] offset:57344
	;; [unrolled: 1-line block ×4, first 2 shown]
	v_xor_b32_e32 v6, 8, v131
	ds_write_b64 v6, v[8:9] offset:49152
	ds_write_b64 v131, v[2:3] offset:57344
	;; [unrolled: 1-line block ×3, first 2 shown]
.LBB64_16:                              ;   in Loop: Header=BB64_6 Depth=1
	v_exp_f32_e32 v132, s20
	v_accvgpr_read_b32 v5, a3
	v_accvgpr_read_b32 v9, a7
	;; [unrolled: 1-line block ×4, first 2 shown]
	s_waitcnt vmcnt(4)
	v_accvgpr_read_b32 v18, a20
	v_accvgpr_read_b32 v25, a19
	;; [unrolled: 1-line block ×28, first 2 shown]
	s_add_i32 s55, s55, 64
	v_pk_fma_f32 v[62:63], v[132:133], v[62:63], v[2:3] op_sel_hi:[0,1,1]
	v_pk_fma_f32 v[64:65], v[132:133], v[64:65], v[4:5] op_sel_hi:[0,1,1]
	v_pk_fma_f32 v[54:55], v[132:133], v[54:55], v[6:7] op_sel_hi:[0,1,1]
	v_pk_fma_f32 v[56:57], v[132:133], v[56:57], v[8:9] op_sel_hi:[0,1,1]
	v_pk_fma_f32 v[46:47], v[132:133], v[46:47], v[10:11] op_sel_hi:[0,1,1]
	v_pk_fma_f32 v[48:49], v[132:133], v[48:49], v[12:13] op_sel_hi:[0,1,1]
	v_pk_fma_f32 v[40:41], v[132:133], v[40:41], v[14:15] op_sel_hi:[0,1,1]
	v_pk_fma_f32 v[34:35], v[132:133], v[34:35], v[16:17] op_sel_hi:[0,1,1]
	v_pk_fma_f32 v[58:59], v[132:133], v[58:59], v[18:19] op_sel_hi:[0,1,1]
	v_pk_fma_f32 v[60:61], v[132:133], v[60:61], v[20:21] op_sel_hi:[0,1,1]
	v_pk_fma_f32 v[50:51], v[132:133], v[50:51], v[22:23] op_sel_hi:[0,1,1]
	v_pk_fma_f32 v[52:53], v[132:133], v[52:53], v[24:25] op_sel_hi:[0,1,1]
	v_pk_fma_f32 v[42:43], v[132:133], v[42:43], v[26:27] op_sel_hi:[0,1,1]
	v_pk_fma_f32 v[44:45], v[132:133], v[44:45], v[28:29] op_sel_hi:[0,1,1]
	v_pk_fma_f32 v[36:37], v[132:133], v[36:37], v[30:31] op_sel_hi:[0,1,1]
	s_cmp_eq_u32 s46, s61
	v_pk_fma_f32 v[38:39], v[132:133], v[38:39], v[32:33] op_sel_hi:[0,1,1]
	s_cbranch_scc1 .LBB64_18
; %bb.17:                               ;   in Loop: Header=BB64_6 Depth=1
	s_mov_b32 s62, s61
	s_branch .LBB64_6
.LBB64_18:
	s_lshl_b32 s40, s46, 6
	s_sub_i32 s41, s12, s40
	s_cmp_gt_i32 s41, 0
	s_cbranch_scc0 .LBB64_99
; %bb.19:
	s_ashr_i32 s35, s45, 31
	s_ashr_i32 s2, s40, 31
	s_cmpk_lg_i32 s15, 0x80
	s_cselect_b64 s[26:27], -1, 0
	s_and_b64 vcc, exec, s[26:27]
	s_cbranch_vccz .LBB64_21
; %bb.20:
	s_mul_i32 s1, s45, s12
	s_mul_hi_i32 s0, s45, s12
	s_add_u32 s1, s1, s40
	s_addc_u32 s0, s0, s2
	s_mul_i32 s3, s1, s47
	s_mul_hi_u32 s20, s1, s14
	s_add_i32 s3, s20, s3
	s_mul_i32 s0, s0, s14
	s_add_i32 s3, s3, s0
	s_mul_i32 s1, s1, s14
	s_ashr_i32 s0, s50, 31
	s_add_u32 s38, s1, s50
	s_addc_u32 s39, s3, s0
	s_cbranch_execz .LBB64_22
	s_branch .LBB64_23
.LBB64_21:
                                        ; implicit-def: $sgpr38_sgpr39
.LBB64_22:
	s_mul_hi_i32 s0, s45, s14
	s_mul_i32 s45, s45, s14
	s_ashr_i32 s1, s50, 31
	s_add_u32 s3, s45, s50
	s_addc_u32 s0, s0, s1
	s_mul_i32 s1, s3, s44
	s_mul_hi_u32 s14, s3, s12
	s_add_i32 s1, s14, s1
	s_mul_i32 s0, s0, s12
	s_add_i32 s1, s1, s0
	s_mul_i32 s3, s3, s12
	s_add_u32 s38, s3, s40
	s_addc_u32 s39, s1, s2
.LBB64_23:
	s_add_i32 s3, s48, s46
	s_ashr_i32 s14, s33, 31
	s_add_u32 s0, s43, s33
	s_addc_u32 s1, s49, s14
	s_mul_i32 s20, s0, s44
	s_mul_hi_u32 s21, s0, s12
	s_add_i32 s20, s21, s20
	s_mul_i32 s1, s1, s12
	s_add_i32 s20, s20, s1
	s_mul_i32 s0, s0, s12
	s_add_u32 s0, s0, s40
	v_lshlrev_b32_e32 v6, 6, v78
	v_lshlrev_b32_e32 v24, 2, v72
	s_addc_u32 s1, s20, s2
	s_mov_b32 s2, 0x7060302
	v_or_b32_e32 v9, v6, v24
	v_xor_b32_e32 v7, v78, v24
	v_perm_b32 v3, v65, v64, s2
	v_perm_b32 v2, v63, v62, s2
	v_perm_b32 v5, v61, v60, s2
	v_perm_b32 v4, v59, v58, s2
	v_lshlrev_b32_e32 v9, 1, v9
	v_xor_b32_e32 v8, v79, v24
	ds_write2st64_b64 v9, v[2:3], v[4:5] offset0:32 offset1:48
	v_lshlrev_b32_e32 v7, 1, v7
	v_lshlrev_b32_e32 v9, 8, v72
	v_or_b32_e32 v10, v7, v9
	v_lshlrev_b32_e32 v8, 1, v8
	ds_write_b64 v10, v[2:3]
	v_or_b32_e32 v2, v8, v9
	v_or_b32_e32 v9, 16, v72
	v_lshlrev_b32_e32 v23, 2, v9
	v_or_b32_e32 v10, v6, v23
	ds_write_b64 v2, v[4:5]
	v_perm_b32 v3, v57, v56, s2
	v_perm_b32 v2, v55, v54, s2
	;; [unrolled: 1-line block ×4, first 2 shown]
	v_lshlrev_b32_e32 v10, 1, v10
	v_lshlrev_b32_e32 v9, 8, v9
	ds_write2st64_b64 v10, v[2:3], v[4:5] offset0:32 offset1:48
	v_or_b32_e32 v10, v7, v9
	ds_write_b64 v10, v[2:3]
	v_or_b32_e32 v2, v8, v9
	v_or_b32_e32 v9, 32, v72
	v_lshlrev_b32_e32 v22, 2, v9
	v_or_b32_e32 v10, v6, v22
	s_lshl_b64 s[24:25], s[0:1], 8
	ds_write_b64 v2, v[4:5]
	v_perm_b32 v3, v49, v48, s2
	v_perm_b32 v2, v47, v46, s2
	v_perm_b32 v5, v45, v44, s2
	v_perm_b32 v4, v43, v42, s2
	v_lshlrev_b32_e32 v10, 1, v10
	v_lshlrev_b32_e32 v9, 8, v9
	s_add_u32 s0, s6, s24
	ds_write2st64_b64 v10, v[2:3], v[4:5] offset0:32 offset1:48
	v_or_b32_e32 v10, v7, v9
	s_addc_u32 s1, s7, s25
	ds_write_b64 v10, v[2:3]
	v_or_b32_e32 v2, v8, v9
	v_or_b32_e32 v9, 48, v72
	s_mul_hi_i32 s6, s3, s13
	s_mul_i32 s3, s3, s13
	ds_write_b64 v2, v[4:5]
	v_perm_b32 v3, v35, v34, s2
	v_perm_b32 v2, v41, v40, s2
	v_perm_b32 v5, v39, v38, s2
	v_perm_b32 v4, v37, v36, s2
	v_lshlrev_b32_e32 v19, 2, v9
	s_add_u32 s2, s3, s33
	v_or_b32_e32 v6, v6, v19
	s_addc_u32 s3, s6, s14
	v_lshlrev_b32_e32 v6, 1, v6
	s_ashr_i32 s31, s30, 31
	s_lshl_b64 s[2:3], s[2:3], 15
	ds_write2st64_b64 v6, v[2:3], v[4:5] offset0:32 offset1:48
	v_lshlrev_b32_e32 v6, 8, v9
	s_add_u32 s6, s36, s2
	v_or_b32_e32 v7, v7, v6
	s_addc_u32 s7, s37, s3
	s_lshl_b64 s[2:3], s[30:31], 8
	ds_write_b64 v7, v[2:3]
	v_or_b32_e32 v2, v8, v6
	s_add_u32 s2, s6, s2
	v_lshlrev_b32_e32 v3, 1, v72
	ds_write_b64 v2, v[4:5]
	v_lshrrev_b32_e32 v2, 4, v0
	s_addc_u32 s3, s7, s3
	v_or_b32_e32 v4, 1, v3
	v_lshlrev_b32_e32 v10, 4, v72
	v_mov_b32_e32 v11, 0
	v_xor_b32_e32 v3, v2, v3
	v_xor_b32_e32 v6, v4, v2
	v_lshl_add_u64 v[12:13], s[2:3], 0, v[10:11]
	v_lshlrev_b32_e32 v10, 8, v2
	v_lshl_or_b32 v16, v3, 3, v10
	v_lshl_or_b32 v17, v6, 3, v10
	s_waitcnt lgkmcnt(0)
	s_barrier
	ds_read2st64_b64 v[2:5], v16 offset1:8
	ds_read2st64_b64 v[6:9], v17 offset1:8
	v_lshl_add_u64 v[14:15], v[12:13], 0, v[10:11]
	s_movk_i32 s2, 0x2000
	s_cmp_lg_u32 s41, 64
	s_waitcnt lgkmcnt(1)
	v_mov_b32_e32 v10, v2
	v_mov_b32_e32 v11, v3
	s_waitcnt lgkmcnt(0)
	v_mov_b32_e32 v12, v6
	v_mov_b32_e32 v13, v7
	global_store_dwordx4 v[14:15], v[10:13], off
	v_mov_b32_e32 v6, v4
	v_mov_b32_e32 v7, v5
	ds_read2st64_b64 v[2:5], v16 offset0:16 offset1:24
	ds_read2st64_b64 v[10:13], v17 offset0:16 offset1:24
	v_add_co_u32_e32 v16, vcc, s2, v14
	s_cselect_b64 s[6:7], -1, 0
	s_nop 0
	v_addc_co_u32_e32 v17, vcc, 0, v15, vcc
	global_store_dwordx4 v[16:17], v[6:9], off offset:-4096
	v_lshl_or_b32 v25, v74, 3, v77
	s_mov_b32 s20, 0
	s_waitcnt lgkmcnt(1)
	v_mov_b32_e32 v6, v2
	v_add_co_u32_e32 v2, vcc, 0x3000, v14
	v_mov_b32_e32 v7, v3
	s_nop 0
	v_addc_co_u32_e32 v3, vcc, 0, v15, vcc
	s_waitcnt lgkmcnt(0)
	v_mov_b32_e32 v8, v10
	v_mov_b32_e32 v9, v11
	;; [unrolled: 1-line block ×4, first 2 shown]
	v_or_b32_e32 v20, 32, v25
	v_and_b32_e32 v18, 56, v76
	s_and_b64 vcc, exec, s[6:7]
	global_store_dwordx4 v[16:17], v[6:9], off
	global_store_dwordx4 v[2:3], v[10:13], off
	s_cbranch_vccz .LBB64_29
; %bb.24:
	s_mov_b32 s21, s20
	s_mov_b32 s22, s20
	;; [unrolled: 1-line block ×3, first 2 shown]
	v_mov_b64_e32 v[6:7], s[20:21]
	v_mov_b64_e32 v[8:9], s[22:23]
	;; [unrolled: 1-line block ×3, first 2 shown]
	v_cmp_gt_i32_e32 vcc, s41, v25
	v_mov_b64_e32 v[4:5], v[8:9]
	s_and_saveexec_b64 s[2:3], vcc
	s_cbranch_execz .LBB64_26
; %bb.25:
	v_lshlrev_b32_e32 v2, 8, v25
	v_mov_b32_e32 v3, 0
	v_lshl_add_u64 v[4:5], s[0:1], 0, v[2:3]
	v_lshlrev_b32_e32 v2, 1, v18
	v_lshl_add_u64 v[10:11], v[4:5], 0, v[2:3]
	global_load_dwordx4 v[6:9], v[10:11], off
	global_load_dwordx4 v[2:5], v[10:11], off offset:128
.LBB64_26:
	s_or_b64 exec, exec, s[2:3]
	s_mov_b32 s21, s20
	s_mov_b32 s22, s20
	;; [unrolled: 1-line block ×3, first 2 shown]
	v_mov_b64_e32 v[14:15], s[20:21]
	v_mov_b64_e32 v[16:17], s[22:23]
	;; [unrolled: 1-line block ×3, first 2 shown]
	v_cmp_gt_i32_e32 vcc, s41, v20
	v_lshlrev_b32_e32 v21, 7, v20
	v_mov_b64_e32 v[12:13], v[16:17]
	s_and_saveexec_b64 s[2:3], vcc
	s_cbranch_execz .LBB64_28
; %bb.27:
	v_lshlrev_b32_e32 v10, 1, v21
	v_mov_b32_e32 v11, 0
	v_lshl_add_u64 v[12:13], s[0:1], 0, v[10:11]
	v_lshlrev_b32_e32 v10, 1, v18
	v_lshl_add_u64 v[26:27], v[12:13], 0, v[10:11]
	global_load_dwordx4 v[14:17], v[26:27], off
	global_load_dwordx4 v[10:13], v[26:27], off offset:128
.LBB64_28:
	s_or_b64 exec, exec, s[2:3]
	v_lshrrev_b32_e32 v26, 3, v18
	v_lshlrev_b32_e32 v27, 3, v25
	v_or_b32_e32 v26, v27, v26
	v_lshlrev_b32_e32 v26, 4, v26
	v_and_b32_e32 v27, 0x78, v27
	v_xor_b32_e32 v26, v26, v27
	s_branch .LBB64_31
.LBB64_29:
                                        ; implicit-def: $vgpr26
                                        ; implicit-def: $vgpr21
                                        ; implicit-def: $vgpr6_vgpr7_vgpr8_vgpr9
                                        ; implicit-def: $vgpr2_vgpr3_vgpr4_vgpr5
                                        ; implicit-def: $vgpr14_vgpr15_vgpr16_vgpr17
                                        ; implicit-def: $vgpr10_vgpr11_vgpr12_vgpr13
	s_cbranch_execz .LBB64_31
; %bb.30:
	s_waitcnt vmcnt(0)
	v_lshlrev_b32_e32 v2, 1, v18
	v_lshl_or_b32 v21, v25, 8, v2
	s_and_b32 s1, s1, 0xffff
	s_mov_b32 s3, 0x20000
	s_movk_i32 s2, 0x4000
	v_lshl_or_b32 v26, v20, 8, v2
	s_movk_i32 s13, 0x80
	buffer_load_dwordx4 v[6:9], v21, s[0:3], 0 offen
	buffer_load_dwordx4 v[2:5], v21, s[0:3], s13 offen
	;; [unrolled: 1-line block ×4, first 2 shown]
	v_lshrrev_b32_e32 v21, 3, v18
	v_lshlrev_b32_e32 v26, 3, v25
	v_or_b32_e32 v21, v26, v21
	v_lshlrev_b32_e32 v21, 4, v21
	v_and_b32_e32 v26, 0x78, v26
	v_xor_b32_e32 v26, v21, v26
	v_lshlrev_b32_e32 v21, 7, v20
.LBB64_31:
	s_movk_i32 s0, 0x1000
	v_and_or_b32 v20, v21, s0, v26
	s_waitcnt vmcnt(1)
	ds_write_b64 v26, v[6:7] offset:49152
	v_xor_b32_e32 v6, 8, v26
	ds_write_b64 v6, v[8:9] offset:49152
	s_waitcnt vmcnt(0)
	ds_write_b64 v26, v[2:3] offset:57344
	ds_write_b64 v6, v[4:5] offset:57344
	;; [unrolled: 1-line block ×3, first 2 shown]
	v_xor_b32_e32 v2, 8, v20
	ds_write_b64 v2, v[16:17] offset:49152
	ds_write_b64 v20, v[10:11] offset:57344
	ds_write_b64 v2, v[12:13] offset:57344
	v_or_b32_e32 v2, v1, v72
	v_lshlrev_b32_e32 v3, 11, v74
	v_lshlrev_b32_e32 v2, 3, v2
	v_and_b32_e32 v6, 0x1000, v3
	v_lshrrev_b32_e32 v3, 5, v73
	s_movk_i32 s0, 0xf8
	v_and_or_b32 v3, v2, s0, v3
	v_lshlrev_b32_e32 v7, 4, v3
	v_and_b32_e32 v8, 0x78, v2
	v_or_b32_e32 v10, 32, v7
	v_lshrrev_b32_e32 v3, 1, v73
	v_xor_b32_e32 v10, v10, v8
	v_xor_b32_e32 v2, v7, v8
	v_and_b32_e32 v9, 8, v3
	v_or_b32_e32 v10, v10, v6
	v_or_b32_e32 v2, v2, v6
	v_xor_b32_e32 v28, v10, v9
	v_or_b32_e32 v10, 64, v7
	v_xor_b32_e32 v27, v2, v9
	v_xor_b32_e32 v10, v10, v8
	s_waitcnt lgkmcnt(0)
	s_barrier
	v_or_b32_e32 v13, v10, v6
	ds_read_b64 v[10:11], v27 offset:49152
	v_lshl_or_b32 v14, v75, 8, v24
	v_lshlrev_b32_e32 v26, 1, v14
	v_add_u32_e32 v12, 0x4000, v26
	ds_read2_b64 v[2:5], v12 offset1:16
	v_or_b32_e32 v7, 0x60, v7
	v_xor_b32_e32 v7, v7, v8
	v_or_b32_e32 v6, v7, v6
	v_xor_b32_e32 v29, v13, v9
	v_xor_b32_e32 v30, v6, v9
	ds_read_b64 v[20:21], v28 offset:49152
	ds_read_b64 v[34:35], v29 offset:49152
	;; [unrolled: 1-line block ×3, first 2 shown]
	s_waitcnt lgkmcnt(3)
	v_mfma_f32_16x16x16_bf16 a[0:3], v[10:11], v[2:3], 0
	ds_read2_b64 v[6:9], v12 offset0:32 offset1:48
	s_lshl_b64 s[0:1], s[38:39], 8
	s_add_u32 s4, s4, s0
	v_mfma_f32_16x16x16_bf16 a[4:7], v[10:11], v[4:5], 0
	ds_read2st64_b64 v[2:5], v26 offset0:36 offset1:40
	s_addc_u32 s5, s5, s1
	s_add_i32 s2, s12, -1
	s_waitcnt lgkmcnt(1)
	v_mfma_f32_16x16x16_bf16 a[8:11], v[10:11], v[6:7], 0
	v_or_b32_e32 v6, 64, v14
	v_lshlrev_b32_e32 v31, 1, v6
	s_add_i32 s0, s42, s17
	s_waitcnt lgkmcnt(0)
	v_mfma_f32_16x16x16_bf16 a[0:3], v[20:21], v[2:3], a[0:3]
	v_or_b32_e32 v2, 0x80, v14
	v_lshlrev_b32_e32 v32, 1, v2
	v_or_b32_e32 v2, 0xc0, v14
	v_mfma_f32_16x16x16_bf16 a[12:15], v[10:11], v[8:9], 0
	ds_read2st64_b64 v[6:9], v31 offset0:36 offset1:40
	v_lshlrev_b32_e32 v33, 1, v2
	ds_read2st64_b64 v[10:13], v32 offset0:36 offset1:40
	ds_read2st64_b64 v[14:17], v33 offset0:36 offset1:40
	s_mul_i32 s35, s35, s16
	s_add_i32 s35, s0, s35
	s_mul_i32 s0, s33, s19
	s_mul_hi_u32 s1, s33, s18
	s_ashr_i32 s3, s2, 31
	s_mul_i32 s12, s2, s29
	s_mul_hi_u32 s13, s2, s28
	s_waitcnt lgkmcnt(2)
	v_mfma_f32_16x16x16_bf16 a[4:7], v[20:21], v[6:7], a[4:7]
	s_add_i32 s0, s1, s0
	s_mul_i32 s1, s14, s18
	s_add_i32 s12, s13, s12
	s_mul_i32 s3, s3, s28
	s_waitcnt lgkmcnt(1)
	v_mfma_f32_16x16x16_bf16 a[8:11], v[20:21], v[10:11], a[8:11]
	s_add_i32 s1, s0, s1
	s_add_i32 s3, s12, s3
	s_lshl_b64 s[12:13], s[34:35], 2
	s_waitcnt lgkmcnt(0)
	v_mfma_f32_16x16x16_bf16 a[12:15], v[20:21], v[14:15], a[12:15]
	s_mul_i32 s0, s33, s18
	s_add_u32 s10, s10, s12
	s_addc_u32 s11, s11, s13
	s_lshl_b64 s[0:1], s[0:1], 2
	v_mfma_f32_16x16x16_bf16 a[0:3], v[34:35], v[4:5], a[0:3]
	s_mul_i32 s2, s2, s28
	ds_read_b64 v[2:3], v26 offset:22528
	s_add_u32 s10, s10, s0
	v_mfma_f32_16x16x16_bf16 a[4:7], v[34:35], v[8:9], a[4:7]
	ds_read_b64 v[4:5], v31 offset:22528
	ds_read_b64 v[6:7], v32 offset:22528
	;; [unrolled: 1-line block ×3, first 2 shown]
	s_addc_u32 s11, s11, s1
	s_lshl_b64 s[0:1], s[2:3], 2
	v_mfma_f32_16x16x16_bf16 a[8:11], v[34:35], v[12:13], a[8:11]
	s_add_u32 s0, s10, s0
	s_addc_u32 s1, s11, s1
	s_load_dword s12, s[0:1], 0x0
	v_mfma_f32_16x16x16_bf16 a[12:15], v[34:35], v[16:17], a[12:15]
	s_and_b64 vcc, exec, s[26:27]
	s_waitcnt lgkmcnt(0)
	v_mfma_f32_16x16x16_bf16 a[0:3], v[36:37], v[2:3], a[0:3]
	v_mfma_f32_16x16x16_bf16 a[4:7], v[36:37], v[4:5], a[4:7]
	;; [unrolled: 1-line block ×4, first 2 shown]
	s_cbranch_vccz .LBB64_42
; %bb.32:
	v_lshlrev_b32_e32 v20, 1, v25
	s_and_b64 vcc, exec, s[6:7]
	s_cbranch_vccz .LBB64_43
; %bb.33:
	v_cmp_gt_i32_e32 vcc, s41, v20
	v_mov_b32_e32 v6, 0
	v_mov_b32_e32 v2, 0
	;; [unrolled: 1-line block ×5, first 2 shown]
	s_and_saveexec_b64 s[0:1], vcc
	s_cbranch_execz .LBB64_35
; %bb.34:
	v_mad_i64_i32 v[2:3], s[2:3], s15, v20, 0
	v_lshl_add_u64 v[2:3], v[2:3], 1, s[4:5]
	v_lshlrev_b32_e32 v4, 1, v18
	v_mov_b32_e32 v5, 0
	v_lshl_add_u64 v[2:3], v[2:3], 0, v[4:5]
	global_load_dwordx4 v[2:5], v[2:3], off
.LBB64_35:
	s_or_b64 exec, exec, s[0:1]
	v_or_b32_e32 v21, 1, v20
	v_cmp_gt_i32_e64 s[0:1], s41, v21
	v_mov_b32_e32 v7, 0
	v_mov_b32_e32 v8, 0
	;; [unrolled: 1-line block ×3, first 2 shown]
	s_and_saveexec_b64 s[2:3], s[0:1]
	s_cbranch_execz .LBB64_37
; %bb.36:
	v_mad_i64_i32 v[6:7], s[16:17], s15, v21, 0
	v_lshl_add_u64 v[6:7], v[6:7], 1, s[4:5]
	v_lshlrev_b32_e32 v8, 1, v18
	v_mov_b32_e32 v9, 0
	v_lshl_add_u64 v[6:7], v[6:7], 0, v[8:9]
	global_load_dwordx4 v[6:9], v[6:7], off
.LBB64_37:
	s_or_b64 exec, exec, s[2:3]
	v_mov_b32_e32 v17, 0
	v_mov_b32_e32 v10, 0
	;; [unrolled: 1-line block ×5, first 2 shown]
	s_and_saveexec_b64 s[2:3], vcc
	s_cbranch_execz .LBB64_39
; %bb.38:
	v_mad_i64_i32 v[10:11], s[16:17], s15, v20, 0
	v_lshl_add_u64 v[10:11], v[10:11], 1, s[4:5]
	v_lshlrev_b32_e32 v12, 1, v18
	v_mov_b32_e32 v13, 0
	v_lshl_add_u64 v[10:11], v[10:11], 0, v[12:13]
	global_load_dwordx4 v[10:13], v[10:11], off offset:128
.LBB64_39:
	s_or_b64 exec, exec, s[2:3]
	v_mov_b32_e32 v16, 0
	v_mov_b32_e32 v15, 0
	;; [unrolled: 1-line block ×3, first 2 shown]
	s_and_saveexec_b64 s[2:3], s[0:1]
	s_cbranch_execz .LBB64_41
; %bb.40:
	v_mad_i64_i32 v[14:15], s[0:1], s15, v21, 0
	v_lshl_add_u64 v[14:15], v[14:15], 1, s[4:5]
	v_lshlrev_b32_e32 v16, 1, v18
	v_mov_b32_e32 v17, 0
	v_lshl_add_u64 v[14:15], v[14:15], 0, v[16:17]
	global_load_dwordx4 v[14:17], v[14:15], off offset:128
.LBB64_41:
	s_or_b64 exec, exec, s[2:3]
	s_branch .LBB64_45
.LBB64_42:
                                        ; implicit-def: $vgpr5
                                        ; implicit-def: $vgpr9
                                        ; implicit-def: $vgpr13
                                        ; implicit-def: $vgpr17
	v_lshrrev_b32_e32 v34, 2, v73
	s_branch .LBB64_46
.LBB64_43:
                                        ; implicit-def: $vgpr5
                                        ; implicit-def: $vgpr9
                                        ; implicit-def: $vgpr13
                                        ; implicit-def: $vgpr17
	s_cbranch_execz .LBB64_45
; %bb.44:
	s_waitcnt vmcnt(0)
	v_mad_u64_u32 v[2:3], s[0:1], v20, s15, v[18:19]
	v_lshlrev_b32_e32 v20, 1, v2
	s_lshl_b32 s2, s15, 7
	s_and_b32 s1, s5, 0xffff
	s_mov_b32 s3, 0x20000
	s_mov_b32 s0, s4
	v_add_lshl_u32 v21, v2, s15, 1
	s_movk_i32 s13, 0x80
	buffer_load_dwordx4 v[2:5], v20, s[0:3], 0 offen
	buffer_load_dwordx4 v[10:13], v20, s[0:3], s13 offen
	;; [unrolled: 1-line block ×4, first 2 shown]
.LBB64_45:
	v_lshrrev_b32_e32 v34, 2, v73
	s_cbranch_execnz .LBB64_58
.LBB64_46:
	s_and_b64 vcc, exec, s[6:7]
	s_cbranch_vccz .LBB64_56
; %bb.47:
	s_waitcnt vmcnt(0)
	v_lshlrev_b32_e32 v7, 1, v25
	v_cmp_gt_i32_e32 vcc, s41, v7
	v_mov_b32_e32 v6, 0
	v_lshlrev_b32_e32 v14, 9, v25
	v_mov_b32_e32 v2, 0
	v_mov_b32_e32 v3, 0
	;; [unrolled: 1-line block ×4, first 2 shown]
	s_and_saveexec_b64 s[0:1], vcc
	s_cbranch_execz .LBB64_49
; %bb.48:
	v_mov_b32_e32 v15, 0
	v_lshl_add_u64 v[2:3], s[4:5], 0, v[14:15]
	v_lshlrev_b32_e32 v4, 1, v18
	v_mov_b32_e32 v5, v15
	v_lshl_add_u64 v[2:3], v[2:3], 0, v[4:5]
	global_load_dwordx4 v[2:5], v[2:3], off
.LBB64_49:
	s_or_b64 exec, exec, s[0:1]
	v_or_b32_e32 v7, 1, v7
	v_cmp_gt_i32_e64 s[0:1], s41, v7
	v_lshlrev_b32_e32 v20, 8, v7
	v_mov_b32_e32 v7, 0
	v_mov_b32_e32 v8, 0
	v_mov_b32_e32 v9, 0
	s_and_saveexec_b64 s[2:3], s[0:1]
	s_cbranch_execz .LBB64_51
; %bb.50:
	v_mov_b32_e32 v21, 0
	v_lshl_add_u64 v[6:7], s[4:5], 0, v[20:21]
	v_lshlrev_b32_e32 v8, 1, v18
	v_mov_b32_e32 v9, v21
	v_lshl_add_u64 v[6:7], v[6:7], 0, v[8:9]
	global_load_dwordx4 v[6:9], v[6:7], off
.LBB64_51:
	s_or_b64 exec, exec, s[2:3]
	v_mov_b32_e32 v17, 0
	v_mov_b32_e32 v10, 0
	;; [unrolled: 1-line block ×5, first 2 shown]
	s_and_saveexec_b64 s[2:3], vcc
	s_cbranch_execz .LBB64_53
; %bb.52:
	v_mov_b32_e32 v15, 0
	v_lshl_add_u64 v[10:11], s[4:5], 0, v[14:15]
	v_lshlrev_b32_e32 v14, 1, v18
	v_lshl_add_u64 v[10:11], v[10:11], 0, v[14:15]
	global_load_dwordx4 v[10:13], v[10:11], off offset:128
.LBB64_53:
	s_or_b64 exec, exec, s[2:3]
	v_mov_b32_e32 v16, 0
	v_mov_b32_e32 v15, 0
	;; [unrolled: 1-line block ×3, first 2 shown]
	s_and_saveexec_b64 s[2:3], s[0:1]
	s_cbranch_execz .LBB64_55
; %bb.54:
	v_mov_b32_e32 v21, 0
	v_lshl_add_u64 v[14:15], s[4:5], 0, v[20:21]
	v_lshlrev_b32_e32 v20, 1, v18
	v_lshl_add_u64 v[14:15], v[14:15], 0, v[20:21]
	global_load_dwordx4 v[14:17], v[14:15], off offset:128
.LBB64_55:
	s_or_b64 exec, exec, s[2:3]
	s_branch .LBB64_58
.LBB64_56:
                                        ; implicit-def: $vgpr5
                                        ; implicit-def: $vgpr9
                                        ; implicit-def: $vgpr13
                                        ; implicit-def: $vgpr17
	s_cbranch_execz .LBB64_58
; %bb.57:
	s_waitcnt vmcnt(0)
	v_lshlrev_b32_e32 v2, 1, v18
	v_lshl_or_b32 v18, v25, 9, v2
	s_and_b32 s5, s5, 0xffff
	s_mov_b32 s7, 0x20000
	s_movk_i32 s6, 0x4000
	s_movk_i32 s0, 0x80
	buffer_load_dwordx4 v[2:5], v18, s[4:7], 0 offen
	buffer_load_dwordx4 v[6:9], v18, s[4:7], 0 offen offset:256
	buffer_load_dwordx4 v[10:13], v18, s[4:7], s0 offen
	buffer_load_dwordx4 v[14:17], v18, s[4:7], s0 offen offset:256
.LBB64_58:
	ds_read_b64 v[20:21], v27 offset:57344
	v_add_u32_e32 v18, 0x6000, v26
	ds_read2_b64 v[36:39], v18 offset1:16
	ds_read_b64 v[52:53], v28 offset:57344
	ds_read_b64 v[28:29], v29 offset:57344
	;; [unrolled: 1-line block ×3, first 2 shown]
	ds_read2st64_b64 v[40:43], v26 offset0:52 offset1:56
	s_mov_b32 s0, 0x1000504
	s_mov_b32 s1, 0x3020706
	s_waitcnt lgkmcnt(4)
	v_mfma_f32_16x16x16_bf16 a[0:3], v[20:21], v[36:37], a[0:3]
	v_mfma_f32_16x16x16_bf16 a[4:7], v[20:21], v[38:39], a[4:7]
	ds_read2_b64 v[36:39], v18 offset0:32 offset1:48
	v_and_b32_e32 v18, 6, v0
	v_xor_b32_e32 v25, v25, v18
	s_waitcnt lgkmcnt(0)
	v_mfma_f32_16x16x16_bf16 a[8:11], v[20:21], v[36:37], a[8:11]
	v_lshlrev_b32_e32 v25, 2, v25
	v_and_b32_e32 v0, 1, v0
	v_xor_b32_e32 v35, 0x440, v25
	v_mfma_f32_16x16x16_bf16 a[12:15], v[20:21], v[38:39], a[12:15]
	ds_read2st64_b64 v[36:39], v31 offset0:52 offset1:56
	ds_read2st64_b64 v[44:47], v32 offset0:52 offset1:56
	;; [unrolled: 1-line block ×3, first 2 shown]
	v_cmp_eq_u32_e32 vcc, 0, v0
	ds_read_b64 v[20:21], v26 offset:30720
	ds_read_b64 v[26:27], v31 offset:30720
	;; [unrolled: 1-line block ×4, first 2 shown]
	v_mfma_f32_16x16x16_bf16 a[0:3], v[52:53], v[40:41], a[0:3]
	v_cndmask_b32_e32 v0, v35, v25, vcc
	v_lshl_or_b32 v0, v18, 10, v0
	s_waitcnt vmcnt(0)
	v_perm_b32 v18, v2, v6, s0
	s_waitcnt lgkmcnt(6)
	v_mfma_f32_16x16x16_bf16 a[4:7], v[52:53], v[36:37], a[4:7]
	v_perm_b32 v25, v10, v14, s0
	ds_write2st64_b32 v0, v18, v25 offset0:128 offset1:160
	v_xor_b32_e32 v18, 8, v0
	s_waitcnt lgkmcnt(6)
	v_mfma_f32_16x16x16_bf16 a[8:11], v[52:53], v[44:45], a[8:11]
	v_perm_b32 v2, v2, v6, s1
	v_perm_b32 v6, v10, v14, s1
	v_add_u32_e32 v10, 0x80, v18
	s_waitcnt lgkmcnt(5)
	v_mfma_f32_16x16x16_bf16 a[12:15], v[52:53], v[48:49], a[12:15]
	ds_write2st64_b32 v10, v2, v6 offset0:128 offset1:160
	v_xor_b32_e32 v2, 16, v0
	v_perm_b32 v6, v3, v7, s0
	v_mfma_f32_16x16x16_bf16 a[0:3], v[28:29], v[42:43], a[0:3]
	v_perm_b32 v10, v11, v15, s0
	ds_write2st64_b32 v2, v6, v10 offset0:129 offset1:161
	v_xor_b32_e32 v2, 24, v0
	v_mfma_f32_16x16x16_bf16 a[4:7], v[28:29], v[38:39], a[4:7]
	v_perm_b32 v3, v3, v7, s1
	v_perm_b32 v6, v11, v15, s1
	v_add_u32_e32 v2, 0x80, v2
	v_mfma_f32_16x16x16_bf16 a[16:19], v[28:29], v[46:47], a[8:11]
	ds_write2st64_b32 v2, v3, v6 offset0:129 offset1:161
	v_xor_b32_e32 v2, 32, v0
	v_perm_b32 v3, v4, v8, s0
	v_mfma_f32_16x16x16_bf16 a[20:23], v[28:29], v[50:51], a[12:15]
	v_perm_b32 v6, v12, v16, s0
	ds_write2st64_b32 v2, v3, v6 offset0:130 offset1:162
	v_xor_b32_e32 v2, 40, v0
	s_waitcnt lgkmcnt(8)
	v_mfma_f32_16x16x16_bf16 a[12:15], v[54:55], v[20:21], a[0:3]
	v_perm_b32 v3, v4, v8, s1
	v_perm_b32 v4, v12, v16, s1
	v_add_u32_e32 v2, 0x80, v2
	s_waitcnt lgkmcnt(7)
	v_mfma_f32_16x16x16_bf16 a[8:11], v[54:55], v[26:27], a[4:7]
	ds_write2st64_b32 v2, v3, v4 offset0:130 offset1:162
	v_xor_b32_e32 v2, 48, v0
	v_perm_b32 v3, v5, v9, s0
	s_waitcnt lgkmcnt(7)
	v_mfma_f32_16x16x16_bf16 a[4:7], v[54:55], v[30:31], a[16:19]
	v_perm_b32 v4, v13, v17, s0
	v_xor_b32_e32 v0, 56, v0
	v_and_or_b32 v18, v34, 12, v1
	s_waitcnt lgkmcnt(6)
	v_mfma_f32_16x16x16_bf16 a[0:3], v[54:55], v[32:33], a[20:23]
	ds_write2st64_b32 v2, v3, v4 offset0:131 offset1:163
	v_perm_b32 v2, v5, v9, s1
	v_perm_b32 v3, v13, v17, s1
	v_add_u32_e32 v0, 0x80, v0
	v_cmp_gt_i32_e32 vcc, s41, v18
	v_mov_b32_e32 v14, 0
	v_mov_b32_e32 v16, 0
	ds_write2st64_b32 v0, v2, v3 offset0:131 offset1:163
	s_and_saveexec_b64 s[0:1], vcc
	s_cbranch_execz .LBB64_60
; %bb.59:
	v_add_u32_e32 v0, s40, v18
	v_ashrrev_i32_e32 v1, 31, v0
	v_mul_lo_u32 v2, v1, s28
	v_mul_lo_u32 v3, v0, s29
	v_mad_u64_u32 v[0:1], s[2:3], v0, s28, 0
	v_add3_u32 v1, v1, v3, v2
	v_lshl_add_u64 v[0:1], v[0:1], 2, s[10:11]
	global_load_dword v0, v[0:1], off
	s_waitcnt vmcnt(0)
	v_sub_f32_e32 v0, s12, v0
	v_exp_f32_e32 v16, v0
.LBB64_60:
	s_or_b64 exec, exec, s[0:1]
	v_or_b32_e32 v8, 1, v18
	v_cmp_gt_i32_e64 s[0:1], s41, v8
	s_and_saveexec_b64 s[2:3], s[0:1]
	s_cbranch_execz .LBB64_62
; %bb.61:
	v_add_u32_e32 v0, s40, v8
	v_ashrrev_i32_e32 v1, 31, v0
	v_mul_lo_u32 v2, v1, s28
	v_mul_lo_u32 v3, v0, s29
	v_mad_u64_u32 v[0:1], s[4:5], v0, s28, 0
	v_add3_u32 v1, v1, v3, v2
	v_lshl_add_u64 v[0:1], v[0:1], 2, s[10:11]
	global_load_dword v0, v[0:1], off
	s_waitcnt vmcnt(0)
	v_sub_f32_e32 v0, s12, v0
	v_exp_f32_e32 v14, v0
.LBB64_62:
	s_or_b64 exec, exec, s[2:3]
	v_or_b32_e32 v10, 2, v18
	v_cmp_gt_i32_e64 s[2:3], s41, v10
	v_mov_b32_e32 v15, 0
	v_mov_b32_e32 v17, 0
	s_and_saveexec_b64 s[4:5], s[2:3]
	s_cbranch_execz .LBB64_64
; %bb.63:
	v_add_u32_e32 v0, s40, v10
	v_ashrrev_i32_e32 v1, 31, v0
	v_mul_lo_u32 v2, v1, s28
	v_mul_lo_u32 v3, v0, s29
	v_mad_u64_u32 v[0:1], s[6:7], v0, s28, 0
	v_add3_u32 v1, v1, v3, v2
	v_lshl_add_u64 v[0:1], v[0:1], 2, s[10:11]
	global_load_dword v0, v[0:1], off
	s_waitcnt vmcnt(0)
	v_sub_f32_e32 v0, s12, v0
	v_exp_f32_e32 v17, v0
.LBB64_64:
	s_or_b64 exec, exec, s[4:5]
	v_or_b32_e32 v12, 3, v18
	v_cmp_gt_i32_e64 s[4:5], s41, v12
	s_and_saveexec_b64 s[6:7], s[4:5]
	s_cbranch_execz .LBB64_66
; %bb.65:
	v_add_u32_e32 v0, s40, v12
	v_ashrrev_i32_e32 v1, 31, v0
	v_mul_lo_u32 v2, v1, s28
	v_mul_lo_u32 v3, v0, s29
	v_mad_u64_u32 v[0:1], s[14:15], v0, s28, 0
	v_add3_u32 v1, v1, v3, v2
	v_lshl_add_u64 v[0:1], v[0:1], 2, s[10:11]
	global_load_dword v0, v[0:1], off
	s_waitcnt vmcnt(0)
	v_sub_f32_e32 v0, s12, v0
	v_exp_f32_e32 v15, v0
.LBB64_66:
	s_or_b64 exec, exec, s[6:7]
	v_or_b32_e32 v4, s30, v72
	s_add_u32 s6, s8, s24
	v_accvgpr_read_b32 v0, a12
	s_addc_u32 s7, s9, s25
	v_ashrrev_i32_e32 v5, 31, v4
	v_accvgpr_read_b32 v1, a13
	v_accvgpr_read_b32 v2, a14
	;; [unrolled: 1-line block ×3, first 2 shown]
	v_lshl_add_u64 v[4:5], v[4:5], 1, s[6:7]
	v_mov_b32_e32 v9, 0
	v_lshlrev_b32_e32 v6, 8, v18
	v_mov_b32_e32 v7, 0
	s_and_saveexec_b64 s[6:7], vcc
	s_cbranch_execz .LBB64_68
; %bb.67:
	v_mov_b32_e32 v7, 0
	v_lshl_add_u64 v[20:21], v[4:5], 0, v[6:7]
	global_load_ushort v7, v[20:21], off
	s_waitcnt vmcnt(0)
	v_lshlrev_b32_e32 v7, 16, v7
	v_sub_f32_e32 v0, v7, v0
	v_mul_f32_e32 v0, v16, v0
	v_lshrrev_b32_e32 v7, 16, v0
.LBB64_68:
	s_or_b64 exec, exec, s[6:7]
	v_lshlrev_b32_e32 v8, 8, v8
	s_and_saveexec_b64 s[6:7], s[0:1]
	s_cbranch_execz .LBB64_70
; %bb.69:
	v_mov_b32_e32 v9, 0
	v_lshl_add_u64 v[20:21], v[4:5], 0, v[8:9]
	global_load_ushort v0, v[20:21], off
	s_waitcnt vmcnt(0)
	v_lshlrev_b32_e32 v0, 16, v0
	v_sub_f32_e32 v0, v0, v1
	v_mul_f32_e32 v0, v14, v0
	v_lshrrev_b32_e32 v9, 16, v0
.LBB64_70:
	s_or_b64 exec, exec, s[6:7]
	v_mov_b32_e32 v13, 0
	v_lshlrev_b32_e32 v10, 8, v10
	v_mov_b32_e32 v11, 0
	s_and_saveexec_b64 s[6:7], s[2:3]
	s_cbranch_execz .LBB64_72
; %bb.71:
	v_mov_b32_e32 v11, 0
	v_lshl_add_u64 v[0:1], v[4:5], 0, v[10:11]
	global_load_ushort v0, v[0:1], off
	s_waitcnt vmcnt(0)
	v_lshlrev_b32_e32 v0, 16, v0
	v_sub_f32_e32 v0, v0, v2
	v_mul_f32_e32 v0, v17, v0
	v_lshrrev_b32_e32 v11, 16, v0
.LBB64_72:
	s_or_b64 exec, exec, s[6:7]
	v_lshlrev_b32_e32 v12, 8, v12
	s_and_saveexec_b64 s[6:7], s[4:5]
	s_cbranch_execz .LBB64_74
; %bb.73:
	v_mov_b32_e32 v13, 0
	v_lshl_add_u64 v[0:1], v[4:5], 0, v[12:13]
	global_load_ushort v0, v[0:1], off
	s_waitcnt vmcnt(0)
	v_lshlrev_b32_e32 v0, 16, v0
	v_sub_f32_e32 v0, v0, v3
	v_mul_f32_e32 v0, v15, v0
	v_lshrrev_b32_e32 v13, 16, v0
.LBB64_74:
	s_or_b64 exec, exec, s[6:7]
	v_lshlrev_b32_e32 v18, 6, v18
	s_mov_b32 s6, 0x5040100
	v_perm_b32 v20, v9, v7, s6
	v_or_b32_e32 v7, v18, v24
	v_accvgpr_read_b32 v0, a8
	v_perm_b32 v21, v13, v11, s6
	v_lshlrev_b32_e32 v7, 1, v7
	v_accvgpr_read_b32 v1, a9
	v_accvgpr_read_b32 v2, a10
	;; [unrolled: 1-line block ×3, first 2 shown]
	ds_write_b64 v7, v[20:21] offset:24576
	v_mov_b32_e32 v9, 0
	v_mov_b32_e32 v7, 0
	s_and_saveexec_b64 s[6:7], vcc
	s_cbranch_execz .LBB64_76
; %bb.75:
	v_mov_b32_e32 v7, 0
	v_lshl_add_u64 v[20:21], v[4:5], 0, v[6:7]
	global_load_ushort v7, v[20:21], off offset:32
	s_waitcnt vmcnt(0)
	v_lshlrev_b32_e32 v7, 16, v7
	v_sub_f32_e32 v0, v7, v0
	v_mul_f32_e32 v0, v16, v0
	v_lshrrev_b32_e32 v7, 16, v0
.LBB64_76:
	s_or_b64 exec, exec, s[6:7]
	s_and_saveexec_b64 s[6:7], s[0:1]
	s_cbranch_execz .LBB64_78
; %bb.77:
	v_mov_b32_e32 v9, 0
	v_lshl_add_u64 v[20:21], v[4:5], 0, v[8:9]
	global_load_ushort v0, v[20:21], off offset:32
	s_waitcnt vmcnt(0)
	v_lshlrev_b32_e32 v0, 16, v0
	v_sub_f32_e32 v0, v0, v1
	v_mul_f32_e32 v0, v14, v0
	v_lshrrev_b32_e32 v9, 16, v0
.LBB64_78:
	s_or_b64 exec, exec, s[6:7]
	v_mov_b32_e32 v13, 0
	v_mov_b32_e32 v11, 0
	s_and_saveexec_b64 s[6:7], s[2:3]
	s_cbranch_execz .LBB64_80
; %bb.79:
	v_mov_b32_e32 v11, 0
	v_lshl_add_u64 v[0:1], v[4:5], 0, v[10:11]
	global_load_ushort v0, v[0:1], off offset:32
	s_waitcnt vmcnt(0)
	v_lshlrev_b32_e32 v0, 16, v0
	v_sub_f32_e32 v0, v0, v2
	v_mul_f32_e32 v0, v17, v0
	v_lshrrev_b32_e32 v11, 16, v0
.LBB64_80:
	s_or_b64 exec, exec, s[6:7]
	s_and_saveexec_b64 s[6:7], s[4:5]
	s_cbranch_execz .LBB64_82
; %bb.81:
	v_mov_b32_e32 v13, 0
	v_lshl_add_u64 v[0:1], v[4:5], 0, v[12:13]
	global_load_ushort v0, v[0:1], off offset:32
	s_waitcnt vmcnt(0)
	v_lshlrev_b32_e32 v0, 16, v0
	v_sub_f32_e32 v0, v0, v3
	v_mul_f32_e32 v0, v15, v0
	v_lshrrev_b32_e32 v13, 16, v0
.LBB64_82:
	s_or_b64 exec, exec, s[6:7]
	s_mov_b32 s6, 0x5040100
	v_perm_b32 v20, v9, v7, s6
	v_or_b32_e32 v7, v18, v23
	v_accvgpr_read_b32 v0, a4
	v_perm_b32 v21, v13, v11, s6
	v_lshlrev_b32_e32 v7, 1, v7
	v_accvgpr_read_b32 v1, a5
	v_accvgpr_read_b32 v2, a6
	;; [unrolled: 1-line block ×3, first 2 shown]
	ds_write_b64 v7, v[20:21] offset:24576
	v_mov_b32_e32 v9, 0
	v_mov_b32_e32 v7, 0
	s_and_saveexec_b64 s[6:7], vcc
	s_cbranch_execz .LBB64_84
; %bb.83:
	v_mov_b32_e32 v7, 0
	v_lshl_add_u64 v[20:21], v[4:5], 0, v[6:7]
	global_load_ushort v7, v[20:21], off offset:64
	s_waitcnt vmcnt(0)
	v_lshlrev_b32_e32 v7, 16, v7
	v_sub_f32_e32 v0, v7, v0
	v_mul_f32_e32 v0, v16, v0
	v_lshrrev_b32_e32 v7, 16, v0
.LBB64_84:
	s_or_b64 exec, exec, s[6:7]
	s_and_saveexec_b64 s[6:7], s[0:1]
	s_cbranch_execz .LBB64_86
; %bb.85:
	v_mov_b32_e32 v9, 0
	v_lshl_add_u64 v[20:21], v[4:5], 0, v[8:9]
	global_load_ushort v0, v[20:21], off offset:64
	s_waitcnt vmcnt(0)
	v_lshlrev_b32_e32 v0, 16, v0
	v_sub_f32_e32 v0, v0, v1
	v_mul_f32_e32 v0, v14, v0
	v_lshrrev_b32_e32 v9, 16, v0
.LBB64_86:
	s_or_b64 exec, exec, s[6:7]
	v_mov_b32_e32 v13, 0
	v_mov_b32_e32 v11, 0
	s_and_saveexec_b64 s[6:7], s[2:3]
	s_cbranch_execz .LBB64_88
; %bb.87:
	v_mov_b32_e32 v11, 0
	v_lshl_add_u64 v[0:1], v[4:5], 0, v[10:11]
	global_load_ushort v0, v[0:1], off offset:64
	s_waitcnt vmcnt(0)
	v_lshlrev_b32_e32 v0, 16, v0
	v_sub_f32_e32 v0, v0, v2
	v_mul_f32_e32 v0, v17, v0
	v_lshrrev_b32_e32 v11, 16, v0
.LBB64_88:
	s_or_b64 exec, exec, s[6:7]
	s_and_saveexec_b64 s[6:7], s[4:5]
	s_cbranch_execz .LBB64_90
; %bb.89:
	v_mov_b32_e32 v13, 0
	v_lshl_add_u64 v[0:1], v[4:5], 0, v[12:13]
	global_load_ushort v0, v[0:1], off offset:64
	s_waitcnt vmcnt(0)
	v_lshlrev_b32_e32 v0, 16, v0
	v_sub_f32_e32 v0, v0, v3
	v_mul_f32_e32 v0, v15, v0
	v_lshrrev_b32_e32 v13, 16, v0
.LBB64_90:
	s_or_b64 exec, exec, s[6:7]
	s_mov_b32 s6, 0x5040100
	v_perm_b32 v20, v9, v7, s6
	v_or_b32_e32 v7, v18, v22
	v_accvgpr_read_b32 v0, a0
	v_perm_b32 v21, v13, v11, s6
	v_lshlrev_b32_e32 v7, 1, v7
	v_accvgpr_read_b32 v1, a1
	v_accvgpr_read_b32 v2, a2
	;; [unrolled: 1-line block ×3, first 2 shown]
	ds_write_b64 v7, v[20:21] offset:24576
	v_mov_b32_e32 v9, 0
	v_mov_b32_e32 v7, 0
	s_and_saveexec_b64 s[6:7], vcc
	s_cbranch_execz .LBB64_92
; %bb.91:
	v_mov_b32_e32 v7, 0
	v_lshl_add_u64 v[6:7], v[4:5], 0, v[6:7]
	global_load_ushort v6, v[6:7], off offset:96
	s_waitcnt vmcnt(0)
	v_lshlrev_b32_e32 v6, 16, v6
	v_sub_f32_e32 v0, v6, v0
	v_mul_f32_e32 v0, v16, v0
	v_lshrrev_b32_e32 v7, 16, v0
.LBB64_92:
	s_or_b64 exec, exec, s[6:7]
	s_and_saveexec_b64 s[6:7], s[0:1]
	s_cbranch_execz .LBB64_94
; %bb.93:
	v_mov_b32_e32 v9, 0
	v_lshl_add_u64 v[8:9], v[4:5], 0, v[8:9]
	global_load_ushort v0, v[8:9], off offset:96
	s_waitcnt vmcnt(0)
	v_lshlrev_b32_e32 v0, 16, v0
	v_sub_f32_e32 v0, v0, v1
	v_mul_f32_e32 v0, v14, v0
	v_lshrrev_b32_e32 v9, 16, v0
.LBB64_94:
	s_or_b64 exec, exec, s[6:7]
	v_mov_b32_e32 v0, 0
	v_mov_b32_e32 v1, 0
	s_and_saveexec_b64 s[0:1], s[2:3]
	s_cbranch_execz .LBB64_96
; %bb.95:
	v_mov_b32_e32 v11, 0
	v_lshl_add_u64 v[10:11], v[4:5], 0, v[10:11]
	global_load_ushort v1, v[10:11], off offset:96
	s_waitcnt vmcnt(0)
	v_lshlrev_b32_e32 v1, 16, v1
	v_sub_f32_e32 v1, v1, v2
	v_mul_f32_e32 v1, v17, v1
	v_lshrrev_b32_e32 v1, 16, v1
.LBB64_96:
	s_or_b64 exec, exec, s[0:1]
	s_and_saveexec_b64 s[0:1], s[4:5]
	s_cbranch_execz .LBB64_98
; %bb.97:
	v_mov_b32_e32 v13, 0
	v_lshl_add_u64 v[4:5], v[4:5], 0, v[12:13]
	global_load_ushort v0, v[4:5], off offset:96
	s_waitcnt vmcnt(0)
	v_lshlrev_b32_e32 v0, 16, v0
	v_sub_f32_e32 v0, v0, v3
	v_mul_f32_e32 v0, v15, v0
	v_lshrrev_b32_e32 v0, 16, v0
.LBB64_98:
	s_or_b64 exec, exec, s[0:1]
	s_mov_b32 s0, 0x5040100
	v_or_b32_e32 v2, v18, v19
	v_perm_b32 v1, v0, v1, s0
	v_perm_b32 v0, v9, v7, s0
	v_lshlrev_b32_e32 v2, 1, v2
	ds_write_b64 v2, v[0:1] offset:24576
	s_waitcnt lgkmcnt(0)
	s_barrier
.LBB64_99:
	s_endpgm
	.section	.rodata,"a",@progbits
	.p2align	6, 0x0
	.amdhsa_kernel _ZN12_GLOBAL__N_139chunk_gated_delta_rule_fwd_h_hip_kernelILi64ELb0ELb0ELb0ELb0ELb1ELb0ELb0ELb1EEEvPK12hip_bfloat16S3_S3_PKfS5_PKvPS1_S8_PvPKiSB_iiiiilll
		.amdhsa_group_segment_fixed_size 65536
		.amdhsa_private_segment_fixed_size 0
		.amdhsa_kernarg_size 136
		.amdhsa_user_sgpr_count 2
		.amdhsa_user_sgpr_dispatch_ptr 0
		.amdhsa_user_sgpr_queue_ptr 0
		.amdhsa_user_sgpr_kernarg_segment_ptr 1
		.amdhsa_user_sgpr_dispatch_id 0
		.amdhsa_user_sgpr_kernarg_preload_length 0
		.amdhsa_user_sgpr_kernarg_preload_offset 0
		.amdhsa_user_sgpr_private_segment_size 0
		.amdhsa_uses_dynamic_stack 0
		.amdhsa_enable_private_segment 0
		.amdhsa_system_sgpr_workgroup_id_x 1
		.amdhsa_system_sgpr_workgroup_id_y 1
		.amdhsa_system_sgpr_workgroup_id_z 0
		.amdhsa_system_sgpr_workgroup_info 0
		.amdhsa_system_vgpr_workitem_id 0
		.amdhsa_next_free_vgpr 216
		.amdhsa_next_free_sgpr 63
		.amdhsa_accum_offset 180
		.amdhsa_reserve_vcc 1
		.amdhsa_float_round_mode_32 0
		.amdhsa_float_round_mode_16_64 0
		.amdhsa_float_denorm_mode_32 3
		.amdhsa_float_denorm_mode_16_64 3
		.amdhsa_dx10_clamp 1
		.amdhsa_ieee_mode 1
		.amdhsa_fp16_overflow 0
		.amdhsa_tg_split 0
		.amdhsa_exception_fp_ieee_invalid_op 0
		.amdhsa_exception_fp_denorm_src 0
		.amdhsa_exception_fp_ieee_div_zero 0
		.amdhsa_exception_fp_ieee_overflow 0
		.amdhsa_exception_fp_ieee_underflow 0
		.amdhsa_exception_fp_ieee_inexact 0
		.amdhsa_exception_int_div_zero 0
	.end_amdhsa_kernel
	.section	.text._ZN12_GLOBAL__N_139chunk_gated_delta_rule_fwd_h_hip_kernelILi64ELb0ELb0ELb0ELb0ELb1ELb0ELb0ELb1EEEvPK12hip_bfloat16S3_S3_PKfS5_PKvPS1_S8_PvPKiSB_iiiiilll,"axG",@progbits,_ZN12_GLOBAL__N_139chunk_gated_delta_rule_fwd_h_hip_kernelILi64ELb0ELb0ELb0ELb0ELb1ELb0ELb0ELb1EEEvPK12hip_bfloat16S3_S3_PKfS5_PKvPS1_S8_PvPKiSB_iiiiilll,comdat
.Lfunc_end64:
	.size	_ZN12_GLOBAL__N_139chunk_gated_delta_rule_fwd_h_hip_kernelILi64ELb0ELb0ELb0ELb0ELb1ELb0ELb0ELb1EEEvPK12hip_bfloat16S3_S3_PKfS5_PKvPS1_S8_PvPKiSB_iiiiilll, .Lfunc_end64-_ZN12_GLOBAL__N_139chunk_gated_delta_rule_fwd_h_hip_kernelILi64ELb0ELb0ELb0ELb0ELb1ELb0ELb0ELb1EEEvPK12hip_bfloat16S3_S3_PKfS5_PKvPS1_S8_PvPKiSB_iiiiilll
                                        ; -- End function
	.section	.AMDGPU.csdata,"",@progbits
; Kernel info:
; codeLenInByte = 10804
; NumSgprs: 69
; NumVgprs: 178
; NumAgprs: 36
; TotalNumVgprs: 216
; ScratchSize: 0
; MemoryBound: 0
; FloatMode: 240
; IeeeMode: 1
; LDSByteSize: 65536 bytes/workgroup (compile time only)
; SGPRBlocks: 8
; VGPRBlocks: 26
; NumSGPRsForWavesPerEU: 69
; NumVGPRsForWavesPerEU: 216
; AccumOffset: 180
; Occupancy: 1
; WaveLimiterHint : 1
; COMPUTE_PGM_RSRC2:SCRATCH_EN: 0
; COMPUTE_PGM_RSRC2:USER_SGPR: 2
; COMPUTE_PGM_RSRC2:TRAP_HANDLER: 0
; COMPUTE_PGM_RSRC2:TGID_X_EN: 1
; COMPUTE_PGM_RSRC2:TGID_Y_EN: 1
; COMPUTE_PGM_RSRC2:TGID_Z_EN: 0
; COMPUTE_PGM_RSRC2:TIDIG_COMP_CNT: 0
; COMPUTE_PGM_RSRC3_GFX90A:ACCUM_OFFSET: 44
; COMPUTE_PGM_RSRC3_GFX90A:TG_SPLIT: 0
	.section	.text._ZN12_GLOBAL__N_139chunk_gated_delta_rule_fwd_h_hip_kernelILi64ELb1ELb1ELb1ELb1ELb0ELb1ELb1ELb1EEEvPK12hip_bfloat16S3_S3_PKfS5_PKvPS1_S8_PvPKiSB_iiiiilll,"axG",@progbits,_ZN12_GLOBAL__N_139chunk_gated_delta_rule_fwd_h_hip_kernelILi64ELb1ELb1ELb1ELb1ELb0ELb1ELb1ELb1EEEvPK12hip_bfloat16S3_S3_PKfS5_PKvPS1_S8_PvPKiSB_iiiiilll,comdat
	.globl	_ZN12_GLOBAL__N_139chunk_gated_delta_rule_fwd_h_hip_kernelILi64ELb1ELb1ELb1ELb1ELb0ELb1ELb1ELb1EEEvPK12hip_bfloat16S3_S3_PKfS5_PKvPS1_S8_PvPKiSB_iiiiilll ; -- Begin function _ZN12_GLOBAL__N_139chunk_gated_delta_rule_fwd_h_hip_kernelILi64ELb1ELb1ELb1ELb1ELb0ELb1ELb1ELb1EEEvPK12hip_bfloat16S3_S3_PKfS5_PKvPS1_S8_PvPKiSB_iiiiilll
	.p2align	8
	.type	_ZN12_GLOBAL__N_139chunk_gated_delta_rule_fwd_h_hip_kernelILi64ELb1ELb1ELb1ELb1ELb0ELb1ELb1ELb1EEEvPK12hip_bfloat16S3_S3_PKfS5_PKvPS1_S8_PvPKiSB_iiiiilll,@function
_ZN12_GLOBAL__N_139chunk_gated_delta_rule_fwd_h_hip_kernelILi64ELb1ELb1ELb1ELb1ELb0ELb1ELb1ELb1EEEvPK12hip_bfloat16S3_S3_PKfS5_PKvPS1_S8_PvPKiSB_iiiiilll: ; @_ZN12_GLOBAL__N_139chunk_gated_delta_rule_fwd_h_hip_kernelILi64ELb1ELb1ELb1ELb1ELb0ELb1ELb1ELb1EEEvPK12hip_bfloat16S3_S3_PKfS5_PKvPS1_S8_PvPKiSB_iiiiilll
; %bb.0:
	s_load_dwordx4 s[28:31], s[0:1], 0x5c
	s_load_dwordx4 s[4:7], s[0:1], 0x70
	s_abs_i32 s11, s3
	s_ashr_i32 s10, s3, 31
	s_load_dwordx4 s[24:27], s[0:1], 0x40
	s_load_dwordx2 s[8:9], s[0:1], 0x50
	s_waitcnt lgkmcnt(0)
	s_abs_i32 s14, s29
	v_cvt_f32_u32_e32 v1, s14
	s_sub_i32 s12, 0, s14
	s_ashr_i32 s15, s29, 31
	s_xor_b32 s10, s10, s15
	v_rcp_iflag_f32_e32 v1, v1
	v_and_b32_e32 v99, 15, v0
	v_bfe_u32 v98, v0, 4, 2
	v_mov_b32_e32 v47, 0
	v_mul_f32_e32 v1, 0x4f7ffffe, v1
	v_cvt_u32_f32_e32 v1, v1
	v_lshlrev_b32_e32 v100, 3, v0
	v_readfirstlane_b32 s13, v1
	s_mul_i32 s12, s12, s13
	s_mul_hi_u32 s12, s13, s12
	s_add_i32 s13, s13, s12
	s_mul_hi_u32 s12, s11, s13
	s_mul_i32 s13, s12, s14
	s_sub_i32 s11, s11, s13
	s_add_i32 s16, s12, 1
	s_sub_i32 s13, s11, s14
	s_cmp_ge_u32 s11, s14
	s_cselect_b32 s12, s16, s12
	s_cselect_b32 s11, s13, s11
	s_add_i32 s13, s12, 1
	s_cmp_ge_u32 s11, s14
	s_cselect_b32 s11, s13, s12
	s_xor_b32 s11, s11, s10
	s_sub_i32 s36, s11, s10
	s_mul_i32 s16, s36, s29
	s_ashr_i32 s37, s36, 31
	s_sub_i32 s33, s3, s16
	s_lshl_b64 s[10:11], s[36:37], 2
	s_add_u32 s12, s26, s10
	s_addc_u32 s13, s27, s11
	s_add_u32 s38, s8, s10
	s_addc_u32 s39, s9, s11
	s_abs_i32 s3, s30
	v_cvt_f32_u32_e32 v1, s3
	s_load_dwordx2 s[34:35], s[12:13], 0x0
	s_sub_i32 s9, 0, s3
	s_lshl_b32 s2, s2, 6
	v_rcp_iflag_f32_e32 v1, v1
	v_or_b32_e32 v88, s2, v99
	s_waitcnt lgkmcnt(0)
	s_sub_i32 s56, s35, s34
	s_ashr_i32 s8, s56, 31
	v_mul_f32_e32 v1, 0x4f7ffffe, v1
	v_cvt_u32_f32_e32 v1, v1
	s_lshr_b32 s8, s8, 26
	s_add_i32 s8, s56, s8
	s_ashr_i32 s55, s8, 6
	v_readfirstlane_b32 s10, v1
	s_mul_i32 s9, s9, s10
	s_mul_hi_u32 s9, s10, s9
	s_add_i32 s10, s10, s9
	s_mul_hi_u32 s9, s14, s10
	s_mul_i32 s10, s9, s3
	s_ashr_i32 s8, s30, 31
	s_sub_i32 s10, s14, s10
	s_xor_b32 s8, s15, s8
	s_add_i32 s11, s9, 1
	s_sub_i32 s12, s10, s3
	s_cmp_ge_u32 s10, s3
	s_cselect_b32 s9, s11, s9
	s_cselect_b32 s10, s12, s10
	s_add_i32 s11, s9, 1
	s_cmp_ge_u32 s10, s3
	s_cselect_b32 s3, s11, s9
	s_xor_b32 s3, s3, s8
	s_sub_i32 s3, s3, s8
	s_abs_i32 s17, s3
	v_cvt_f32_u32_e32 v1, s17
	s_sub_i32 s19, 0, s17
	s_abs_i32 s18, s33
	s_xor_b32 s3, s33, s3
	v_rcp_iflag_f32_e32 v2, v1
	s_ashr_i32 s3, s3, 31
	s_load_dwordx8 s[8:15], s[0:1], 0x20
	v_lshrrev_b32_e32 v1, 6, v0
	v_mul_f32_e32 v2, 0x4f7ffffe, v2
	v_cvt_u32_f32_e32 v2, v2
	v_lshlrev_b32_e32 v48, 7, v88
	v_lshlrev_b32_e32 v45, 4, v1
	v_or_b32_e32 v50, 0x800, v48
	v_readfirstlane_b32 s20, v2
	s_mul_i32 s19, s19, s20
	s_mul_hi_u32 s19, s20, s19
	s_add_i32 s20, s20, s19
	s_mul_hi_u32 s19, s18, s20
	s_mul_i32 s20, s19, s17
	s_sub_i32 s18, s18, s20
	s_add_i32 s20, s19, 1
	s_sub_i32 s21, s18, s17
	s_cmp_ge_u32 s18, s17
	s_cselect_b32 s19, s20, s19
	s_cselect_b32 s18, s21, s18
	s_add_i32 s20, s19, 1
	s_cmp_ge_u32 s18, s17
	s_cselect_b32 s17, s20, s19
	s_xor_b32 s17, s17, s3
	s_sub_i32 s57, s17, s3
	s_ashr_i32 s48, s33, 31
	s_mul_hi_i32 s3, s36, s29
	s_add_u32 s16, s16, s33
	s_addc_u32 s17, s3, s48
	s_lshl_b64 s[26:27], s[16:17], 15
	s_waitcnt lgkmcnt(0)
	s_add_u32 s10, s10, s26
	v_lshl_or_b32 v102, v98, 2, v45
	s_addc_u32 s11, s11, s27
	v_ashrrev_i32_e32 v49, 31, v48
	v_ashrrev_i32_e32 v51, 31, v50
	v_lshl_add_u64 v[2:3], v[48:49], 1, s[10:11]
	v_lshlrev_b32_e32 v46, 1, v102
	v_lshl_add_u64 v[6:7], v[50:51], 1, s[10:11]
	v_or_b32_e32 v52, 0x1000, v48
	v_or_b32_e32 v54, 0x1800, v48
	v_lshl_add_u64 v[2:3], v[2:3], 0, v[46:47]
	v_lshl_add_u64 v[6:7], v[6:7], 0, v[46:47]
	v_ashrrev_i32_e32 v53, 31, v52
	v_ashrrev_i32_e32 v55, 31, v54
	global_load_dwordx2 v[4:5], v[2:3], off
	v_lshl_add_u64 v[14:15], v[54:55], 1, s[10:11]
	global_load_dwordx2 v[2:3], v[2:3], off offset:128
	s_nop 0
	global_load_dwordx2 v[8:9], v[6:7], off
	global_load_dwordx2 v[10:11], v[6:7], off offset:128
	v_lshl_add_u64 v[6:7], v[52:53], 1, s[10:11]
	v_lshl_add_u64 v[6:7], v[6:7], 0, v[46:47]
	;; [unrolled: 1-line block ×3, first 2 shown]
	global_load_dwordx2 v[12:13], v[6:7], off
	v_and_b32_e32 v47, 63, v0
	global_load_dwordx2 v[6:7], v[6:7], off offset:128
	s_nop 0
	global_load_dwordx2 v[16:17], v[14:15], off
	global_load_dwordx2 v[18:19], v[14:15], off offset:128
	s_load_dwordx8 s[16:23], s[0:1], 0x0
	s_load_dwordx2 s[10:11], s[0:1], 0x80
	s_load_dword s60, s[38:39], 0x0
	v_lshrrev_b32_e32 v101, 3, v47
	v_or_b32_e32 v103, 64, v102
	s_mul_i32 s49, s36, s5
	s_mul_hi_u32 s50, s36, s4
	s_mul_hi_i32 s58, s33, s28
	s_mul_i32 s59, s33, s28
	s_cmp_lt_i32 s56, 64
	s_mul_i32 s51, s37, s4
	s_mul_i32 s42, s36, s4
	;; [unrolled: 1-line block ×3, first 2 shown]
	s_mul_hi_u32 s53, s33, s6
	s_mul_i32 s54, s48, s6
	s_mul_i32 s40, s33, s6
	s_waitcnt vmcnt(7)
	v_and_b32_e32 v83, 0xffff0000, v4
	v_lshlrev_b32_e32 v82, 16, v4
	v_and_b32_e32 v87, 0xffff0000, v5
	v_lshlrev_b32_e32 v86, 16, v5
	s_waitcnt vmcnt(6)
	v_and_b32_e32 v81, 0xffff0000, v2
	v_lshlrev_b32_e32 v80, 16, v2
	v_and_b32_e32 v85, 0xffff0000, v3
	v_lshlrev_b32_e32 v84, 16, v3
	;; [unrolled: 5-line block ×8, first 2 shown]
	s_cbranch_scc1 .LBB65_18
; %bb.1:
	s_ashr_i32 s1, s34, 31
	s_add_u32 s0, s59, s34
	s_addc_u32 s1, s58, s1
	s_lshl_b64 s[0:1], s[0:1], 8
	v_and_b32_e32 v105, 56, v100
	s_waitcnt lgkmcnt(0)
	s_add_u32 s4, s18, s0
	v_lshl_or_b32 v104, v1, 3, v101
	v_lshlrev_b32_e32 v2, 1, v105
	s_addc_u32 s0, s19, s1
	v_lshl_or_b32 v106, v104, 8, v2
	s_and_b32 s5, s0, 0xffff
	s_mov_b32 s7, 0x20000
	s_movk_i32 s6, 0x4000
	s_movk_i32 s0, 0x80
	v_or_b32_e32 v107, 0x2000, v106
	buffer_load_dwordx4 v[4:7], v106, s[4:7], 0 offen
	buffer_load_dwordx4 v[8:11], v106, s[4:7], s0 offen
	;; [unrolled: 1-line block ×4, first 2 shown]
	v_lshlrev_b32_e32 v3, 3, v104
	v_and_or_b32 v21, v0, 7, v3
	v_and_b32_e32 v3, 0x78, v3
	v_lshlrev_b32_e32 v21, 4, v21
	v_xor_b32_e32 v108, v21, v3
	v_mul_lo_u32 v20, v104, s31
	v_or_b32_e32 v109, 0x1000, v108
	v_xor_b32_e32 v3, 8, v108
	s_cmpk_eq_i32 s31, 0x80
	s_mov_b32 s61, s34
	v_xor_b32_e32 v21, 8, v109
	s_cselect_b64 s[0:1], -1, 0
	s_cmpk_lg_i32 s31, 0x80
	s_waitcnt vmcnt(3)
	ds_write_b64 v108, v[4:5] offset:49152
	ds_write_b64 v3, v[6:7] offset:49152
	s_waitcnt vmcnt(2)
	ds_write_b64 v108, v[8:9] offset:57344
	ds_write_b64 v3, v[10:11] offset:57344
	;; [unrolled: 3-line block ×4, first 2 shown]
	v_lshl_add_u32 v3, v20, 1, v105
	s_cbranch_scc0 .LBB65_3
; %bb.2:
	v_lshlrev_b32_e32 v5, 1, v3
	v_add_lshl_u32 v4, v3, s31, 1
	s_lshl_b32 s6, s31, 7
	v_lshl_or_b32 v2, v104, 9, v2
	s_cbranch_execz .LBB65_4
	s_branch .LBB65_5
.LBB65_3:
                                        ; implicit-def: $vgpr4
                                        ; implicit-def: $vgpr5
                                        ; implicit-def: $sgpr6
	v_lshl_or_b32 v2, v104, 9, v2
.LBB65_4:
	v_or_b32_e32 v4, 0x100, v2
	s_movk_i32 s6, 0x4000
	v_mov_b32_e32 v5, v2
.LBB65_5:
	s_mul_i32 s4, s34, s30
	s_ashr_i32 s62, s57, 31
	s_mul_hi_i32 s3, s34, s30
	s_add_u32 s4, s4, s57
	s_addc_u32 s5, s3, s62
	s_lshl_b64 s[4:5], s[4:5], 8
	s_add_u32 s4, s16, s4
	s_addc_u32 s3, s17, s5
	s_and_b32 s5, s3, 0xffff
	s_movk_i32 s63, 0x80
	buffer_load_dwordx4 v[6:9], v5, s[4:7], 0 offen
	buffer_load_dwordx4 v[10:13], v5, s[4:7], s63 offen
	;; [unrolled: 1-line block ×4, first 2 shown]
	v_and_b32_e32 v5, 6, v0
	v_lshlrev_b32_e32 v4, 7, v102
	v_xor_b32_e32 v27, v104, v5
	v_and_b32_e32 v22, 1, v0
	v_lshl_or_b32 v30, v99, 3, v4
	v_lshlrev_b32_e32 v27, 2, v27
	v_lshlrev_b32_e32 v23, 2, v99
	v_or_b32_e32 v110, 0x4000, v30
	v_or_b32_e32 v111, 0x6000, v30
	v_xor_b32_e32 v30, 0x440, v27
	v_cmp_eq_u32_e32 vcc, 0, v22
	v_or_b32_e32 v25, 16, v99
	v_or_b32_e32 v26, 32, v99
	v_xor_b32_e32 v28, v102, v23
	v_xor_b32_e32 v29, v103, v23
	v_cndmask_b32_e32 v22, v30, v27, vcc
	s_mov_b32 s64, 0x1000504
	v_lshl_or_b32 v31, v25, 3, v4
	v_lshlrev_b32_e32 v25, 8, v25
	v_lshl_or_b32 v32, v26, 3, v4
	v_lshlrev_b32_e32 v28, 1, v28
	v_lshlrev_b32_e32 v29, 1, v29
	v_lshl_or_b32 v5, v5, 10, v22
	s_add_i32 s3, s50, s49
	s_mov_b32 s65, 0x3020706
	v_lshlrev_b32_e32 v24, 8, v99
	v_or_b32_e32 v114, 0x4000, v32
	v_or_b32_e32 v115, 0x6000, v32
	;; [unrolled: 1-line block ×4, first 2 shown]
	v_xor_b32_e32 v22, 8, v5
	v_xor_b32_e32 v25, 24, v5
	;; [unrolled: 1-line block ×4, first 2 shown]
	s_add_i32 s43, s3, s51
	s_add_i32 s3, s53, s52
	v_or_b32_e32 v112, 0x4000, v31
	v_or_b32_e32 v113, 0x6000, v31
	v_or_b32_e32 v116, v24, v28
	v_or_b32_e32 v117, v24, v29
	v_xor_b32_e32 v24, 16, v5
	v_xor_b32_e32 v27, 32, v5
	;; [unrolled: 1-line block ×3, first 2 shown]
	v_add_u32_e32 v22, 0x80, v22
	v_add_u32_e32 v25, 0x80, v25
	;; [unrolled: 1-line block ×4, first 2 shown]
	s_add_i32 s41, s3, s54
	s_lshl_b64 s[4:5], s[42:43], 2
	s_add_u32 s3, s22, s4
	s_addc_u32 s36, s23, s5
	s_lshl_b64 s[4:5], s[40:41], 2
	s_add_u32 s44, s3, s4
	s_movk_i32 s3, 0xf8
	s_addc_u32 s45, s36, s5
	s_lshl_b32 s38, s31, 7
	s_movk_i32 s36, 0x100
	v_mov_b32_e32 v91, 0
	v_lshlrev_b32_e32 v90, 4, v99
	v_ashrrev_i32_e32 v89, 31, v88
	v_lshlrev_b32_e32 v26, 8, v26
	s_mov_b32 s66, 0
	s_movk_i32 s6, 0x4000
	v_or_b32_e32 v120, v26, v28
	v_or_b32_e32 v121, v26, v29
	s_movk_i32 s41, 0x2000
	s_movk_i32 s43, 0x3000
	v_mov_b32_e32 v155, 0x3fb8aa3b
	s_waitcnt vmcnt(1)
	v_perm_b32 v33, v6, v14, s64
	s_waitcnt vmcnt(0)
	v_perm_b32 v34, v10, v18, s64
	v_perm_b32 v6, v6, v14, s65
	v_perm_b32 v10, v10, v18, s65
	v_perm_b32 v14, v7, v15, s64
	v_perm_b32 v18, v11, v19, s64
	v_perm_b32 v7, v7, v15, s65
	v_perm_b32 v11, v11, v19, s65
	v_perm_b32 v15, v8, v16, s64
	v_perm_b32 v19, v12, v20, s64
	v_perm_b32 v8, v8, v16, s65
	v_perm_b32 v12, v12, v20, s65
	v_perm_b32 v16, v9, v17, s64
	v_perm_b32 v20, v13, v21, s64
	v_perm_b32 v9, v9, v17, s65
	v_perm_b32 v13, v13, v21, s65
	ds_write2st64_b32 v5, v33, v34 offset0:128 offset1:160
	ds_write2st64_b32 v22, v6, v10 offset0:128 offset1:160
	ds_write2st64_b32 v24, v14, v18 offset0:129 offset1:161
	ds_write2st64_b32 v25, v7, v11 offset0:129 offset1:161
	ds_write2st64_b32 v27, v15, v19 offset0:130 offset1:162
	ds_write2st64_b32 v30, v8, v12 offset0:130 offset1:162
	ds_write2st64_b32 v31, v16, v20 offset0:131 offset1:163
	ds_write2st64_b32 v32, v9, v13 offset0:131 offset1:163
	v_or_b32_e32 v5, 48, v99
	v_lshl_or_b32 v6, v5, 3, v4
	v_lshlrev_b32_e32 v5, 8, v5
	v_or_b32_e32 v124, v5, v28
	v_or_b32_e32 v125, v5, v29
	;; [unrolled: 1-line block ×3, first 2 shown]
	v_lshlrev_b32_e32 v5, 3, v5
	v_lshrrev_b32_e32 v7, 5, v47
	v_and_or_b32 v7, v5, s3, v7
	v_lshlrev_b32_e32 v7, 4, v7
	v_or_b32_e32 v122, 0x4000, v6
	v_or_b32_e32 v123, 0x6000, v6
	v_lshrrev_b32_e32 v6, 2, v47
	v_lshlrev_b32_e32 v9, 11, v1
	v_and_b32_e32 v5, 0x78, v5
	v_or_b32_e32 v13, 32, v7
	v_and_b32_e32 v8, 12, v6
	v_and_b32_e32 v6, 0x1000, v9
	v_lshrrev_b32_e32 v11, 1, v47
	v_xor_b32_e32 v13, v13, v5
	v_xor_b32_e32 v10, v7, v5
	v_and_b32_e32 v11, 8, v11
	v_or_b32_e32 v13, v13, v6
	v_or_b32_e32 v10, v10, v6
	v_xor_b32_e32 v128, v13, v11
	v_or_b32_e32 v13, 64, v7
	v_or_b32_e32 v7, 0x60, v7
	v_xor_b32_e32 v126, v10, v11
	v_lshlrev_b32_e32 v10, 8, v98
	v_xor_b32_e32 v13, v13, v5
	v_xor_b32_e32 v5, v7, v5
	s_ashr_i32 s3, s2, 31
	v_or_b32_e32 v12, v10, v23
	v_or_b32_e32 v13, v13, v6
	;; [unrolled: 1-line block ×3, first 2 shown]
	s_lshl_b64 s[4:5], s[2:3], 8
	v_lshlrev_b32_e32 v15, 2, v0
	v_lshlrev_b32_e32 v12, 1, v12
	v_xor_b32_e32 v132, v13, v11
	v_xor_b32_e32 v133, v5, v11
	v_lshlrev_b32_e32 v5, 1, v3
	v_add_lshl_u32 v3, v3, s31, 1
	v_or_b32_e32 v11, 0x100, v2
	s_add_u32 s4, s12, s4
	v_lshlrev_b32_e32 v6, 1, v99
	v_lshrrev_b32_e32 v16, 1, v0
	v_and_or_b32 v10, v15, 60, v10
	v_or_b32_e32 v127, 0x4000, v12
	v_or_b32_e32 v129, 0x4080, v12
	;; [unrolled: 1-line block ×8, first 2 shown]
	v_lshrrev_b32_e32 v12, 4, v0
	s_addc_u32 s5, s13, s5
	v_or_b32_e32 v7, 1, v6
	v_and_b32_e32 v16, 24, v16
	v_lshlrev_b32_e32 v10, 1, v10
	v_cndmask_b32_e64 v144, v5, v2, s[0:1]
	v_cndmask_b32_e64 v145, v3, v11, s[0:1]
	v_mov_b32_e32 v3, 0xa000
	v_mov_b32_e32 v5, 0x8000
	v_cmp_gt_u32_e64 s[0:1], s36, v0
	v_xor_b32_e32 v13, v12, v6
	v_xor_b32_e32 v14, v7, v12
	v_lshl_add_u64 v[6:7], s[4:5], 0, v[90:91]
	v_lshlrev_b32_e32 v90, 8, v12
	v_or_b32_e32 v140, 0x6000, v10
	v_or_b32_e32 v15, 32, v16
	;; [unrolled: 1-line block ×6, first 2 shown]
	v_cndmask_b32_e64 v3, v3, v5, s[0:1]
	v_lshlrev_b32_e32 v5, 3, v1
	v_lshl_or_b32 v138, v13, 3, v90
	v_and_b32_e32 v13, 8, v0
	v_xor_b32_e32 v11, v5, v16
	v_xor_b32_e32 v15, v5, v15
	;; [unrolled: 1-line block ×3, first 2 shown]
	v_mov_b32_e32 v17, 0x400
	v_cmp_eq_u32_e32 vcc, 0, v13
	v_or_b32_e32 v16, 0x440, v11
	v_or_b32_e32 v18, 0x440, v15
	v_xor_b32_e32 v10, 0x440, v5
	v_and_b32_e32 v12, 7, v0
	v_cndmask_b32_e64 v13, v17, 64, vcc
	v_cndmask_b32_e32 v16, v16, v11, vcc
	v_cndmask_b32_e32 v15, v18, v15, vcc
	;; [unrolled: 1-line block ×3, first 2 shown]
	v_lshl_or_b32 v139, v14, 3, v90
	v_lshlrev_b32_e32 v14, 3, v12
	v_or_b32_e32 v16, v16, v9
	v_or_b32_e32 v15, v15, v9
	v_or3_b32 v11, v9, v13, v11
	v_or_b32_e32 v5, v5, v9
	v_lshlrev_b32_e32 v12, 7, v12
	v_xor_b32_e32 v16, v16, v14
	v_xor_b32_e32 v15, v15, v14
	;; [unrolled: 1-line block ×4, first 2 shown]
	v_or_b32_e32 v2, v45, v8
	v_add_u32_e32 v17, v3, v16
	v_add_u32_e32 v18, v3, v15
	v_or_b32_e32 v146, v11, v12
	v_add_u32_e32 v9, v3, v5
	v_or3_b32 v8, v45, v8, 64
	v_add_u32_e32 v13, 0xa000, v16
	v_add_u32_e32 v14, 0xa000, v15
	;; [unrolled: 1-line block ×3, first 2 shown]
	v_lshlrev_b64 v[10:11], 1, v[88:89]
	v_lshl_add_u64 v[92:93], s[20:21], 0, v[10:11]
	v_lshl_add_u64 v[94:95], s[14:15], 0, v[10:11]
	;; [unrolled: 1-line block ×3, first 2 shown]
	s_mov_b32 s3, 0x7060302
	v_lshlrev_b32_e32 v90, 1, v4
	v_lshlrev_b32_e32 v89, 2, v2
	v_add_u32_e32 v147, v17, v12
	v_add_u32_e32 v148, v18, v12
	;; [unrolled: 1-line block ×4, first 2 shown]
	v_lshlrev_b32_e32 v151, 2, v8
	v_add_u32_e32 v152, v13, v12
	v_add_u32_e32 v153, v14, v12
	v_add_u32_e32 v154, v5, v12
	s_waitcnt lgkmcnt(0)
	s_barrier
.LBB65_6:                               ; =>This Inner Loop Header: Depth=1
	s_add_i32 s67, s66, 1
	s_cmp_lt_i32 s67, s55
	s_mov_b64 s[36:37], 0
	s_cselect_b64 s[46:47], -1, 0
	s_cmp_ge_i32 s67, s55
	s_mov_b64 s[4:5], 0
	s_cbranch_scc1 .LBB65_8
; %bb.7:                                ;   in Loop: Header=BB65_6 Depth=1
	s_add_i32 s0, s61, 64
	s_ashr_i32 s1, s0, 31
	s_add_u32 s0, s59, s0
	s_addc_u32 s1, s58, s1
	s_lshl_b64 s[0:1], s[0:1], 8
	s_add_u32 s4, s18, s0
	s_addc_u32 s5, s19, s1
.LBB65_8:                               ;   in Loop: Header=BB65_6 Depth=1
	v_cndmask_b32_e64 v2, 0, 1, s[46:47]
	v_cmp_ne_u32_e64 s[0:1], 1, v2
	s_andn2_b64 vcc, exec, s[46:47]
	s_cbranch_vccnz .LBB65_10
; %bb.9:                                ;   in Loop: Header=BB65_6 Depth=1
	s_add_i32 s36, s61, 64
	s_mul_hi_i32 s37, s36, s30
	s_mul_i32 s36, s36, s30
	s_add_u32 s36, s36, s57
	s_addc_u32 s37, s37, s62
	s_lshl_b64 s[36:37], s[36:37], 8
	s_add_u32 s36, s16, s36
	s_addc_u32 s37, s17, s37
.LBB65_10:                              ;   in Loop: Header=BB65_6 Depth=1
	v_perm_b32 v3, v87, v86, s3
	v_perm_b32 v2, v83, v82, s3
	v_perm_b32 v5, v85, v84, s3
	v_perm_b32 v4, v81, v80, s3
	ds_write_b64 v110, v[2:3]
	ds_write_b64 v111, v[4:5]
	ds_write_b64 v116, v[2:3]
	ds_write_b64 v117, v[4:5]
	v_perm_b32 v3, v79, v78, s3
	v_perm_b32 v2, v75, v74, s3
	v_perm_b32 v5, v77, v76, s3
	v_perm_b32 v4, v73, v72, s3
	ds_write_b64 v112, v[2:3]
	ds_write_b64 v113, v[4:5]
	ds_write_b64 v118, v[2:3]
	ds_write_b64 v119, v[4:5]
	;; [unrolled: 8-line block ×4, first 2 shown]
	s_waitcnt lgkmcnt(0)
	s_barrier
	ds_read_b64 v[6:7], v126 offset:49152
	ds_read2_b64 v[2:5], v127 offset1:16
	ds_read_b64 v[18:19], v129 offset:6144
	ds_read_b64 v[20:21], v127 offset:6144
	s_waitcnt lgkmcnt(2)
	v_mfma_f32_16x16x16_bf16 a[0:3], v[6:7], v[2:3], 0
	ds_read_b64 v[22:23], v128 offset:49152
	ds_read2st64_b64 v[10:13], v130 offset0:4 offset1:8
	ds_read2st64_b64 v[14:17], v131 offset0:4 offset1:8
	v_mfma_f32_16x16x16_bf16 a[4:7], v[6:7], v[4:5], 0
	ds_read2_b64 v[2:5], v127 offset0:32 offset1:48
	s_add_i32 s68, s61, 63
	s_ashr_i32 s39, s68, 31
	s_waitcnt lgkmcnt(0)
	v_mfma_f32_16x16x16_bf16 a[8:11], v[6:7], v[2:3], 0
	s_mul_i32 s46, s68, s11
	s_mul_hi_u32 s47, s68, s10
	s_add_i32 s46, s47, s46
	v_mfma_f32_16x16x16_bf16 a[12:15], v[6:7], v[4:5], 0
	ds_read2st64_b64 v[2:5], v127 offset0:4 offset1:8
	ds_read2st64_b64 v[6:9], v129 offset0:4 offset1:8
	s_mul_i32 s39, s39, s10
	s_waitcnt lgkmcnt(1)
	v_mfma_f32_16x16x16_bf16 a[0:3], v[22:23], v[2:3], a[0:3]
	s_add_i32 s47, s46, s39
	s_mul_i32 s46, s68, s10
	s_lshl_b64 s[46:47], s[46:47], 2
	s_waitcnt lgkmcnt(0)
	v_mfma_f32_16x16x16_bf16 a[4:7], v[22:23], v[6:7], a[4:7]
	s_add_u32 s46, s44, s46
	s_addc_u32 s47, s45, s47
	s_and_b64 vcc, exec, s[0:1]
	v_mfma_f32_16x16x16_bf16 a[8:11], v[22:23], v[10:11], a[8:11]
	ds_read_b64 v[2:3], v132 offset:49152
	ds_read_b64 v[6:7], v133 offset:49152
	;; [unrolled: 1-line block ×3, first 2 shown]
	v_mov_b32_e32 v158, 0
	v_mov_b32_e32 v157, 0
	v_mfma_f32_16x16x16_bf16 a[12:15], v[22:23], v[14:15], a[12:15]
	v_mov_b32_e32 v156, 0
	v_mov_b32_e32 v14, 0
	;; [unrolled: 1-line block ×3, first 2 shown]
	s_waitcnt lgkmcnt(2)
	v_mfma_f32_16x16x16_bf16 a[0:3], v[2:3], v[4:5], a[0:3]
	v_mov_b32_e32 v4, 0
	v_mov_b32_e32 v5, 0
	v_mfma_f32_16x16x16_bf16 a[4:7], v[2:3], v[8:9], a[4:7]
	v_mov_b32_e32 v8, 0
	v_mov_b32_e32 v9, 0
	;; [unrolled: 3-line block ×3, first 2 shown]
	v_mfma_f32_16x16x16_bf16 a[12:15], v[2:3], v[16:17], a[12:15]
	ds_read_b64 v[2:3], v130 offset:6144
	v_mov_b32_e32 v16, 0
	v_mov_b32_e32 v17, 0
	s_waitcnt lgkmcnt(2)
	v_mfma_f32_16x16x16_bf16 a[0:3], v[6:7], v[20:21], a[0:3]
	v_mfma_f32_16x16x16_bf16 a[4:7], v[6:7], v[18:19], a[4:7]
	s_waitcnt lgkmcnt(0)
	v_mfma_f32_16x16x16_bf16 a[8:11], v[6:7], v[2:3], a[8:11]
	v_mov_b32_e32 v2, 0
	v_mov_b32_e32 v3, 0
	v_mfma_f32_16x16x16_bf16 a[12:15], v[6:7], v[10:11], a[12:15]
	v_mov_b32_e32 v6, 0
	v_mov_b32_e32 v7, 0
	;; [unrolled: 1-line block ×4, first 2 shown]
	s_cbranch_vccnz .LBB65_12
; %bb.11:                               ;   in Loop: Header=BB65_6 Depth=1
	s_and_b32 s5, s5, 0xffff
	buffer_load_dwordx4 v[14:17], v106, s[4:7], 0 offen
	buffer_load_dwordx4 v[10:13], v106, s[4:7], s63 offen
	;; [unrolled: 1-line block ×4, first 2 shown]
	v_mov_b32_e32 v157, v108
	v_mov_b32_e32 v156, v109
.LBB65_12:                              ;   in Loop: Header=BB65_6 Depth=1
	ds_read_b64 v[38:39], v126 offset:57344
	ds_read2_b64 v[18:21], v134 offset1:16
	ds_read_b64 v[40:41], v128 offset:57344
	ds_read_b64 v[42:43], v132 offset:57344
	;; [unrolled: 1-line block ×3, first 2 shown]
	s_waitcnt lgkmcnt(3)
	v_mfma_f32_16x16x16_bf16 a[0:3], v[38:39], v[18:19], a[0:3]
	v_mfma_f32_16x16x16_bf16 a[4:7], v[38:39], v[20:21], a[4:7]
	ds_read2_b64 v[18:21], v134 offset0:32 offset1:48
	ds_read2st64_b64 v[22:25], v134 offset0:4 offset1:8
	ds_read2st64_b64 v[26:29], v135 offset0:4 offset1:8
	ds_read2st64_b64 v[30:33], v136 offset0:4 offset1:8
	ds_read2st64_b64 v[34:37], v137 offset0:4 offset1:8
	s_waitcnt lgkmcnt(4)
	v_mfma_f32_16x16x16_bf16 a[8:11], v[38:39], v[18:19], a[8:11]
	v_mfma_f32_16x16x16_bf16 a[12:15], v[38:39], v[20:21], a[12:15]
	v_add_u32_e32 v38, s61, v102
	v_ashrrev_i32_e32 v18, 31, v38
	v_mul_lo_u32 v20, v18, s10
	v_mul_lo_u32 v21, v38, s11
	v_mad_u64_u32 v[18:19], s[4:5], v38, s10, 0
	v_add3_u32 v19, v19, v21, v20
	v_add_u32_e32 v20, 1, v38
	v_ashrrev_i32_e32 v21, 31, v20
	s_waitcnt lgkmcnt(3)
	v_mfma_f32_16x16x16_bf16 a[0:3], v[40:41], v[22:23], a[0:3]
	v_mul_lo_u32 v22, v21, s10
	v_mul_lo_u32 v23, v20, s11
	v_mad_u64_u32 v[20:21], s[4:5], v20, s10, 0
	v_add3_u32 v21, v21, v23, v22
	v_add_u32_e32 v22, 2, v38
	v_ashrrev_i32_e32 v23, 31, v22
	s_waitcnt lgkmcnt(2)
	v_mfma_f32_16x16x16_bf16 a[4:7], v[40:41], v[26:27], a[4:7]
	v_mul_lo_u32 v26, v23, s10
	v_mul_lo_u32 v27, v22, s11
	v_mad_u64_u32 v[22:23], s[4:5], v22, s10, 0
	v_lshl_add_u64 v[18:19], v[18:19], 2, s[44:45]
	v_lshl_add_u64 v[20:21], v[20:21], 2, s[44:45]
	v_add3_u32 v23, v23, v27, v26
	v_add_u32_e32 v26, 3, v38
	s_waitcnt lgkmcnt(1)
	v_mfma_f32_16x16x16_bf16 a[8:11], v[40:41], v[30:31], a[8:11]
	global_load_dword v31, v[18:19], off
	v_ashrrev_i32_e32 v27, 31, v26
	v_mul_lo_u32 v27, v27, s10
	s_waitcnt lgkmcnt(0)
	v_mfma_f32_16x16x16_bf16 a[12:15], v[40:41], v[34:35], a[12:15]
	global_load_dword v34, v[20:21], off
	v_mad_u64_u32 v[18:19], s[4:5], v26, s10, 0
	s_ashr_i32 s5, s61, 31
	v_mul_lo_u32 v30, v26, s11
	s_add_u32 s4, s59, s61
	v_lshl_add_u64 v[22:23], v[22:23], 2, s[44:45]
	v_add3_u32 v19, v19, v30, v27
	s_addc_u32 s5, s58, s5
	v_lshl_add_u64 v[18:19], v[18:19], 2, s[44:45]
	global_load_dword v30, v[22:23], off
	global_load_dword v35, v[18:19], off
	s_lshl_b64 s[4:5], s[4:5], 8
	v_lshl_add_u64 v[18:19], v[92:93], 0, s[4:5]
	v_lshl_add_u64 v[18:19], v[18:19], 0, v[90:91]
	global_load_ushort v38, v[18:19], off offset:256
	global_load_ushort v39, v[18:19], off
	global_load_ushort v40, v[18:19], off offset:768
	global_load_ushort v41, v[18:19], off offset:512
	;; [unrolled: 1-line block ×6, first 2 shown]
	s_load_dword s46, s[46:47], 0x0
	v_mfma_f32_16x16x16_bf16 a[12:15], v[42:43], v[36:37], a[12:15]
	global_load_ushort v36, v[18:19], off offset:320
	global_load_ushort v37, v[18:19], off offset:64
	s_and_b64 vcc, exec, s[0:1]
	v_mfma_f32_16x16x16_bf16 a[0:3], v[42:43], v[24:25], a[0:3]
	ds_read_b64 v[20:21], v134 offset:6144
	ds_read_b64 v[22:23], v135 offset:6144
	;; [unrolled: 1-line block ×4, first 2 shown]
	v_mfma_f32_16x16x16_bf16 a[4:7], v[42:43], v[28:29], a[4:7]
	s_waitcnt vmcnt(11) lgkmcnt(0)
	v_sub_f32_e32 v28, s46, v30
	v_mfma_f32_16x16x16_bf16 a[8:11], v[42:43], v[32:33], a[8:11]
	global_load_ushort v42, v[18:19], off offset:832
	global_load_ushort v43, v[18:19], off offset:576
	;; [unrolled: 1-line block ×6, first 2 shown]
	v_mfma_f32_16x16x16_bf16 a[0:3], v[160:161], v[20:21], a[0:3]
	s_waitcnt vmcnt(16)
	v_sub_f32_e32 v29, s46, v35
	v_mul_f32_e32 v28, 0x3fb8aa3b, v28
	v_mul_f32_e32 v29, 0x3fb8aa3b, v29
	v_exp_f32_e32 v28, v28
	v_exp_f32_e32 v29, v29
	s_waitcnt vmcnt(15)
	v_lshlrev_b32_e32 v33, 16, v38
	s_waitcnt vmcnt(14)
	v_lshlrev_b32_e32 v32, 16, v39
	v_accvgpr_read_b32 v21, a3
	v_accvgpr_read_b32 v20, a2
	v_mfma_f32_16x16x16_bf16 a[2:5], v[160:161], v[22:23], a[4:7]
	v_mfma_f32_16x16x16_bf16 a[6:9], v[160:161], v[24:25], a[8:11]
	s_nop 5
	v_accvgpr_read_b32 v23, a5
	v_accvgpr_read_b32 v22, a4
	;; [unrolled: 1-line block ×4, first 2 shown]
	v_mfma_f32_16x16x16_bf16 a[8:11], v[160:161], v[26:27], a[12:15]
	v_sub_f32_e32 v26, s46, v31
	v_sub_f32_e32 v27, s46, v34
	v_mul_f32_e32 v26, 0x3fb8aa3b, v26
	v_mul_f32_e32 v27, 0x3fb8aa3b, v27
	v_exp_f32_e32 v26, v26
	v_exp_f32_e32 v27, v27
	v_accvgpr_read_b32 v35, a1
	v_accvgpr_read_b32 v34, a0
	v_lshl_add_u64 v[30:31], v[94:95], 0, s[4:5]
	v_pk_add_f32 v[32:33], v[32:33], v[34:35] neg_lo:[0,1] neg_hi:[0,1]
	s_waitcnt vmcnt(13)
	v_lshlrev_b32_e32 v35, 16, v40
	s_waitcnt vmcnt(12)
	v_lshlrev_b32_e32 v34, 16, v41
	v_lshl_add_u64 v[30:31], v[30:31], 0, v[90:91]
	v_pk_add_f32 v[20:21], v[34:35], v[20:21] neg_lo:[0,1] neg_hi:[0,1]
	global_store_short_d16_hi v[30:31], v32, off
	global_store_short_d16_hi v[30:31], v33, off offset:256
	global_store_short_d16_hi v[30:31], v20, off offset:512
	;; [unrolled: 1-line block ×3, first 2 shown]
	v_pk_mul_f32 v[32:33], v[26:27], v[32:33]
	v_pk_mul_f32 v[20:21], v[28:29], v[20:21]
	v_accvgpr_read_b32 v35, a3
	v_perm_b32 v21, v21, v20, s3
	v_perm_b32 v20, v33, v32, s3
	s_waitcnt vmcnt(15)
	v_lshlrev_b32_e32 v33, 16, v44
	s_waitcnt vmcnt(14)
	v_lshlrev_b32_e32 v32, 16, v159
	v_accvgpr_read_b32 v34, a2
	v_pk_add_f32 v[32:33], v[32:33], v[34:35] neg_lo:[0,1] neg_hi:[0,1]
	s_waitcnt vmcnt(13)
	v_lshlrev_b32_e32 v35, 16, v162
	s_waitcnt vmcnt(12)
	v_lshlrev_b32_e32 v34, 16, v163
	v_pk_add_f32 v[22:23], v[34:35], v[22:23] neg_lo:[0,1] neg_hi:[0,1]
	global_store_short_d16_hi v[30:31], v32, off offset:32
	global_store_short_d16_hi v[30:31], v33, off offset:288
	;; [unrolled: 1-line block ×4, first 2 shown]
	v_pk_mul_f32 v[32:33], v[26:27], v[32:33]
	v_pk_mul_f32 v[22:23], v[28:29], v[22:23]
	v_accvgpr_read_b32 v25, a11
	v_perm_b32 v23, v23, v22, s3
	v_perm_b32 v22, v33, v32, s3
	ds_write2_b64 v111, v[20:21], v[22:23] offset1:16
	v_accvgpr_read_b32 v23, a7
	s_waitcnt vmcnt(15)
	v_lshlrev_b32_e32 v21, 16, v36
	s_waitcnt vmcnt(14)
	v_lshlrev_b32_e32 v20, 16, v37
	v_accvgpr_read_b32 v22, a6
	v_pk_add_f32 v[20:21], v[20:21], v[22:23] neg_lo:[0,1] neg_hi:[0,1]
	global_store_short_d16_hi v[30:31], v20, off offset:64
	global_store_short_d16_hi v[30:31], v21, off offset:320
	v_pk_mul_f32 v[20:21], v[26:27], v[20:21]
	v_accvgpr_read_b32 v24, a10
	v_perm_b32 v20, v21, v20, s3
	v_mov_b32_e32 v159, 0
	v_mov_b32_e32 v32, 0
	;; [unrolled: 1-line block ×3, first 2 shown]
	s_waitcnt vmcnt(15)
	v_lshlrev_b32_e32 v23, 16, v42
	s_waitcnt vmcnt(14)
	v_lshlrev_b32_e32 v22, 16, v43
	v_pk_add_f32 v[18:19], v[22:23], v[18:19] neg_lo:[0,1] neg_hi:[0,1]
	global_store_short_d16_hi v[30:31], v18, off offset:576
	global_store_short_d16_hi v[30:31], v19, off offset:832
	v_pk_mul_f32 v[18:19], v[28:29], v[18:19]
	v_accvgpr_read_b32 v23, a9
	v_perm_b32 v21, v19, v18, s3
	s_waitcnt vmcnt(15)
	v_lshlrev_b32_e32 v19, 16, v164
	s_waitcnt vmcnt(14)
	v_lshlrev_b32_e32 v18, 16, v165
	v_accvgpr_read_b32 v22, a8
	v_pk_add_f32 v[18:19], v[18:19], v[22:23] neg_lo:[0,1] neg_hi:[0,1]
	s_waitcnt vmcnt(13)
	v_lshlrev_b32_e32 v23, 16, v166
	s_waitcnt vmcnt(12)
	v_lshlrev_b32_e32 v22, 16, v167
	v_pk_add_f32 v[22:23], v[22:23], v[24:25] neg_lo:[0,1] neg_hi:[0,1]
	global_store_short_d16_hi v[30:31], v18, off offset:96
	global_store_short_d16_hi v[30:31], v19, off offset:352
	;; [unrolled: 1-line block ×4, first 2 shown]
	v_pk_mul_f32 v[18:19], v[26:27], v[18:19]
	v_pk_mul_f32 v[22:23], v[28:29], v[22:23]
	v_mov_b32_e32 v24, 0
	v_perm_b32 v23, v23, v22, s3
	v_perm_b32 v22, v19, v18, s3
	ds_write2_b64 v111, v[20:21], v[22:23] offset0:32 offset1:48
	v_mov_b32_e32 v18, 0
	v_mov_b32_e32 v19, 0
	;; [unrolled: 1-line block ×13, first 2 shown]
	s_cbranch_vccnz .LBB65_14
; %bb.13:                               ;   in Loop: Header=BB65_6 Depth=1
	s_and_b32 s37, s37, 0xffff
	s_mov_b32 s39, s7
	buffer_load_dwordx4 v[30:33], v144, s[36:39], 0 offen
	buffer_load_dwordx4 v[22:25], v144, s[36:39], s63 offen
	;; [unrolled: 1-line block ×4, first 2 shown]
	v_mov_b32_e32 v158, v105
	v_mov_b32_e32 v159, v104
.LBB65_14:                              ;   in Loop: Header=BB65_6 Depth=1
	s_waitcnt lgkmcnt(0)
	s_barrier
	ds_read_b64 v[42:43], v147
	ds_read2_b64 v[34:37], v140 offset1:16
	ds_read_b64 v[176:177], v148
	ds_read_b64 v[178:179], v149
	;; [unrolled: 1-line block ×3, first 2 shown]
	ds_read2_b64 v[38:41], v140 offset0:32 offset1:48
	ds_read2st64_b64 v[160:163], v140 offset0:4 offset1:8
	ds_read2st64_b64 v[164:167], v141 offset0:4 offset1:8
	;; [unrolled: 1-line block ×4, first 2 shown]
	s_waitcnt lgkmcnt(8)
	v_mfma_f32_16x16x16_bf16 a[0:3], v[42:43], v[34:35], 0
	s_add_i32 s4, s60, s66
	s_mul_hi_i32 s5, s4, s29
	s_mul_i32 s4, s4, s29
	v_mfma_f32_16x16x16_bf16 a[4:7], v[42:43], v[36:37], 0
	s_add_u32 s4, s4, s33
	s_addc_u32 s5, s5, s48
	s_lshl_b64 s[4:5], s[4:5], 15
	s_waitcnt lgkmcnt(4)
	v_mfma_f32_16x16x16_bf16 a[8:11], v[42:43], v[38:39], 0
	s_mul_i32 s36, s68, s29
	s_mul_hi_i32 s37, s68, s29
	s_add_u32 s36, s36, s33
	v_mfma_f32_16x16x16_bf16 a[12:15], v[42:43], v[40:41], 0
	ds_read_b64 v[42:43], v140 offset:6144
	ds_read_b64 v[188:189], v141 offset:6144
	;; [unrolled: 1-line block ×4, first 2 shown]
	s_addc_u32 s37, s37, s48
	s_waitcnt lgkmcnt(7)
	v_mfma_f32_16x16x16_bf16 a[0:3], v[176:177], v[160:161], a[0:3]
	s_lshl_b64 s[36:37], s[36:37], 9
	s_add_u32 s36, s8, s36
	s_addc_u32 s37, s9, s37
	s_waitcnt lgkmcnt(6)
	v_mfma_f32_16x16x16_bf16 a[4:7], v[176:177], v[164:165], a[4:7]
	v_lshl_add_u64 v[198:199], v[96:97], 0, s[4:5]
	s_waitcnt lgkmcnt(5)
	v_mfma_f32_16x16x16_bf16 a[8:11], v[176:177], v[168:169], a[8:11]
	s_waitcnt lgkmcnt(4)
	v_mfma_f32_16x16x16_bf16 a[12:15], v[176:177], v[172:173], a[12:15]
	ds_read_b64 v[176:177], v152
	ds_read_b64 v[186:187], v153
	;; [unrolled: 1-line block ×3, first 2 shown]
	s_waitcnt lgkmcnt(2)
	v_mfma_f32_16x16x16_bf16 a[16:19], v[176:177], v[34:35], 0
	v_mfma_f32_16x16x16_bf16 a[20:23], v[176:177], v[36:37], 0
	global_load_dwordx4 v[34:37], v151, s[36:37]
	v_mfma_f32_16x16x16_bf16 a[24:27], v[176:177], v[38:39], 0
	v_mfma_f32_16x16x16_bf16 a[28:31], v[176:177], v[40:41], 0
	global_load_dwordx4 v[38:41], v89, s[36:37]
	v_mfma_f32_16x16x16_bf16 a[0:3], v[178:179], v[162:163], a[0:3]
	v_mfma_f32_16x16x16_bf16 a[4:7], v[178:179], v[166:167], a[4:7]
	;; [unrolled: 1-line block ×8, first 2 shown]
	ds_read2st64_b64 v[176:179], v138 offset1:8
	ds_read2st64_b64 v[180:183], v139 offset1:8
	ds_read_b64 v[196:197], v146 offset:40960
	s_waitcnt lgkmcnt(2)
	v_mov_b32_e32 v184, v176
	v_mfma_f32_16x16x16_bf16 a[16:19], v[186:187], v[160:161], a[16:19]
	v_mov_b32_e32 v185, v177
	v_mfma_f32_16x16x16_bf16 a[20:23], v[186:187], v[164:165], a[20:23]
	v_mfma_f32_16x16x16_bf16 a[24:27], v[186:187], v[168:169], a[24:27]
	;; [unrolled: 1-line block ×3, first 2 shown]
	v_add_co_u32_e32 v172, vcc, s41, v198
	s_waitcnt lgkmcnt(1)
	v_mov_b32_e32 v186, v180
	s_waitcnt lgkmcnt(0)
	v_mfma_f32_16x16x16_bf16 a[16:19], v[196:197], v[162:163], a[16:19]
	ds_read2st64_b64 v[160:163], v138 offset0:16 offset1:24
	v_addc_co_u32_e32 v173, vcc, 0, v199, vcc
	v_mfma_f32_16x16x16_bf16 a[20:23], v[196:197], v[166:167], a[20:23]
	ds_read2st64_b64 v[164:167], v139 offset0:16 offset1:24
	v_mov_b32_e32 v187, v181
	v_mov_b32_e32 v180, v178
	v_mfma_f32_16x16x16_bf16 a[32:35], v[196:197], v[170:171], a[24:27]
	v_mov_b32_e32 v181, v179
	s_waitcnt lgkmcnt(0)
	v_mov_b32_e32 v170, v164
	v_mov_b32_e32 v171, v165
	v_mfma_f32_16x16x16_bf16 a[36:39], v[196:197], v[174:175], a[28:31]
	v_mov_b32_e32 v164, v162
	v_mov_b32_e32 v165, v163
	;; [unrolled: 1-line block ×3, first 2 shown]
	v_mfma_f32_16x16x16_bf16 a[24:27], v[194:195], v[42:43], a[16:19]
	v_add_co_u32_e32 v42, vcc, s43, v198
	v_mov_b32_e32 v169, v161
	v_mfma_f32_16x16x16_bf16 a[28:31], v[194:195], v[188:189], a[20:23]
	v_addc_co_u32_e32 v43, vcc, 0, v199, vcc
	global_store_dwordx4 v[42:43], v[164:167], off
	v_mfma_f32_16x16x16_bf16 a[16:19], v[194:195], v[190:191], a[32:35]
	s_waitcnt vmcnt(2)
	v_mov_b32_e32 v44, v37
	v_mov_b32_e32 v43, v36
	;; [unrolled: 1-line block ×3, first 2 shown]
	v_mfma_f32_16x16x16_bf16 a[20:23], v[194:195], v[192:193], a[36:39]
	s_and_b64 vcc, exec, s[0:1]
	global_store_dwordx4 v[198:199], v[184:187], off
	global_store_dwordx4 v[172:173], v[180:183], off offset:-4096
	global_store_dwordx4 v[172:173], v[168:171], off
	s_cbranch_vccnz .LBB65_16
; %bb.15:                               ;   in Loop: Header=BB65_6 Depth=1
	v_lshrrev_b32_e32 v35, 3, v158
	v_and_b32_e32 v35, 6, v35
	v_xor_b32_e32 v36, v35, v159
	v_lshlrev_b32_e32 v36, 2, v36
	v_and_b32_e32 v37, 8, v158
	v_xor_b32_e32 v158, 0x440, v36
	v_cmp_eq_u32_e32 vcc, 0, v37
	v_perm_b32 v37, v22, v18, s64
	s_nop 0
	v_cndmask_b32_e32 v36, v158, v36, vcc
	v_lshl_or_b32 v35, v35, 10, v36
	v_perm_b32 v36, v30, v26, s64
	s_barrier
	ds_write2st64_b32 v35, v36, v37 offset0:128 offset1:160
	v_xor_b32_e32 v36, 8, v35
	v_perm_b32 v26, v30, v26, s65
	v_perm_b32 v18, v22, v18, s65
	v_add_u32_e32 v22, 0x80, v36
	ds_write2st64_b32 v22, v26, v18 offset0:128 offset1:160
	v_xor_b32_e32 v18, 16, v35
	v_perm_b32 v22, v31, v27, s64
	v_perm_b32 v26, v23, v19, s64
	ds_write2st64_b32 v18, v22, v26 offset0:129 offset1:161
	v_xor_b32_e32 v18, 24, v35
	v_perm_b32 v22, v31, v27, s65
	v_perm_b32 v19, v23, v19, s65
	v_add_u32_e32 v18, 0x80, v18
	ds_write2st64_b32 v18, v22, v19 offset0:129 offset1:161
	v_xor_b32_e32 v18, 32, v35
	v_perm_b32 v19, v32, v28, s64
	v_perm_b32 v22, v24, v20, s64
	;; [unrolled: 9-line block ×3, first 2 shown]
	ds_write2st64_b32 v18, v19, v20 offset0:131 offset1:163
	v_xor_b32_e32 v18, 56, v35
	v_perm_b32 v19, v33, v29, s65
	v_perm_b32 v20, v25, v21, s65
	v_add_u32_e32 v18, 0x80, v18
	ds_write2st64_b32 v18, v19, v20 offset0:131 offset1:163
	ds_write_b64 v157, v[14:15] offset:49152
	v_xor_b32_e32 v14, 8, v157
	ds_write_b64 v14, v[16:17] offset:49152
	ds_write_b64 v157, v[10:11] offset:57344
	;; [unrolled: 1-line block ×4, first 2 shown]
	v_xor_b32_e32 v6, 8, v156
	ds_write_b64 v6, v[8:9] offset:49152
	ds_write_b64 v156, v[2:3] offset:57344
	ds_write_b64 v6, v[4:5] offset:57344
.LBB65_16:                              ;   in Loop: Header=BB65_6 Depth=1
	v_mul_f32_e32 v26, s46, v155
	v_exp_f32_e32 v36, v26
	s_waitcnt vmcnt(4)
	v_mul_f32_e32 v26, 0x3fb8aa3b, v38
	v_exp_f32_e32 v38, v26
	v_mul_f32_e32 v26, 0x3fb8aa3b, v39
	v_exp_f32_e32 v39, v26
	;; [unrolled: 2-line block ×4, first 2 shown]
	v_accvgpr_read_b32 v5, a3
	v_accvgpr_read_b32 v4, a2
	;; [unrolled: 1-line block ×4, first 2 shown]
	v_pk_mul_f32 v[38:39], v[36:37], v[38:39] op_sel_hi:[0,1]
	v_pk_mul_f32 v[40:41], v[36:37], v[40:41] op_sel_hi:[0,1]
	v_pk_fma_f32 v[82:83], v[82:83], v[38:39], v[2:3]
	v_pk_fma_f32 v[86:87], v[86:87], v[40:41], v[4:5]
	v_mul_f32_e32 v2, 0x3fb8aa3b, v34
	v_mul_f32_e32 v3, 0x3fb8aa3b, v42
	;; [unrolled: 1-line block ×4, first 2 shown]
	v_exp_f32_e32 v2, v2
	v_exp_f32_e32 v3, v3
	;; [unrolled: 1-line block ×4, first 2 shown]
	v_accvgpr_read_b32 v9, a7
	v_accvgpr_read_b32 v13, a11
	;; [unrolled: 1-line block ×28, first 2 shown]
	v_pk_mul_f32 v[2:3], v[36:37], v[2:3] op_sel_hi:[0,1]
	v_pk_mul_f32 v[4:5], v[36:37], v[4:5] op_sel_hi:[0,1]
	s_add_i32 s61, s61, 64
	v_pk_fma_f32 v[74:75], v[38:39], v[74:75], v[6:7]
	v_pk_fma_f32 v[78:79], v[40:41], v[78:79], v[8:9]
	;; [unrolled: 1-line block ×13, first 2 shown]
	s_cmp_eq_u32 s55, s67
	v_pk_fma_f32 v[60:61], v[4:5], v[60:61], v[32:33]
	s_cbranch_scc1 .LBB65_18
; %bb.17:                               ;   in Loop: Header=BB65_6 Depth=1
	s_mov_b32 s66, s67
	s_branch .LBB65_6
.LBB65_18:
	s_lshl_b32 s0, s55, 6
	s_sub_i32 s46, s56, s0
	s_cmp_gt_i32 s46, 0
	s_cbranch_scc0 .LBB65_99
; %bb.19:
	s_add_i32 s34, s0, s34
	s_ashr_i32 s3, s34, 31
	s_cmpk_lg_i32 s31, 0x80
	s_cselect_b64 s[38:39], -1, 0
	s_and_b64 vcc, exec, s[38:39]
	s_cbranch_vccz .LBB65_21
; %bb.20:
	s_mul_i32 s1, s34, s30
	s_ashr_i32 s4, s57, 31
	s_mul_hi_i32 s0, s34, s30
	s_add_u32 s44, s1, s57
	s_addc_u32 s45, s0, s4
	s_cbranch_execz .LBB65_22
	s_branch .LBB65_23
.LBB65_21:
                                        ; implicit-def: $sgpr44_sgpr45
.LBB65_22:
	s_mul_i32 s1, s57, s28
	s_mul_hi_i32 s0, s57, s28
	s_add_u32 s44, s1, s34
	s_addc_u32 s45, s0, s3
.LBB65_23:
	s_waitcnt lgkmcnt(0)
	s_add_i32 s4, s55, s60
	s_add_u32 s0, s59, s34
	v_lshlrev_b32_e32 v6, 6, v102
	v_lshlrev_b32_e32 v25, 2, v99
	s_addc_u32 s1, s58, s3
	s_mov_b32 s3, 0x7060302
	v_or_b32_e32 v9, v6, v25
	v_xor_b32_e32 v7, v102, v25
	v_perm_b32 v3, v87, v86, s3
	v_perm_b32 v2, v83, v82, s3
	;; [unrolled: 1-line block ×4, first 2 shown]
	v_lshlrev_b32_e32 v9, 1, v9
	v_xor_b32_e32 v8, v103, v25
	ds_write2st64_b64 v9, v[2:3], v[4:5] offset0:32 offset1:48
	v_lshlrev_b32_e32 v7, 1, v7
	v_lshlrev_b32_e32 v9, 8, v99
	v_or_b32_e32 v10, v7, v9
	v_lshlrev_b32_e32 v8, 1, v8
	ds_write_b64 v10, v[2:3]
	v_or_b32_e32 v2, v8, v9
	v_or_b32_e32 v9, 16, v99
	v_lshlrev_b32_e32 v23, 2, v9
	v_or_b32_e32 v10, v6, v23
	ds_write_b64 v2, v[4:5]
	v_perm_b32 v3, v79, v78, s3
	v_perm_b32 v2, v75, v74, s3
	;; [unrolled: 1-line block ×4, first 2 shown]
	v_lshlrev_b32_e32 v10, 1, v10
	v_lshlrev_b32_e32 v9, 8, v9
	ds_write2st64_b64 v10, v[2:3], v[4:5] offset0:32 offset1:48
	v_or_b32_e32 v10, v7, v9
	ds_write_b64 v10, v[2:3]
	v_or_b32_e32 v2, v8, v9
	v_or_b32_e32 v9, 32, v99
	v_lshlrev_b32_e32 v22, 2, v9
	v_or_b32_e32 v10, v6, v22
	ds_write_b64 v2, v[4:5]
	v_perm_b32 v3, v71, v70, s3
	v_perm_b32 v2, v67, v66, s3
	;; [unrolled: 1-line block ×4, first 2 shown]
	v_lshlrev_b32_e32 v10, 1, v10
	v_lshlrev_b32_e32 v9, 8, v9
	s_lshl_b64 s[36:37], s[0:1], 8
	ds_write2st64_b64 v10, v[2:3], v[4:5] offset0:32 offset1:48
	v_or_b32_e32 v10, v7, v9
	s_add_u32 s0, s18, s36
	ds_write_b64 v10, v[2:3]
	v_or_b32_e32 v2, v8, v9
	s_addc_u32 s1, s19, s37
	ds_write_b64 v2, v[4:5]
	v_perm_b32 v3, v63, v62, s3
	v_perm_b32 v2, v59, v58, s3
	v_perm_b32 v5, v61, v60, s3
	v_perm_b32 v4, v57, v56, s3
	v_or_b32_e32 v9, 48, v99
	s_mul_hi_i32 s3, s4, s29
	s_mul_i32 s4, s4, s29
	v_lshlrev_b32_e32 v19, 2, v9
	s_add_u32 s4, s4, s33
	v_or_b32_e32 v6, v6, v19
	s_addc_u32 s5, s3, s48
	v_lshlrev_b32_e32 v6, 1, v6
	s_ashr_i32 s3, s2, 31
	s_lshl_b64 s[4:5], s[4:5], 15
	ds_write2st64_b64 v6, v[2:3], v[4:5] offset0:32 offset1:48
	v_lshlrev_b32_e32 v6, 8, v9
	s_add_u32 s4, s12, s4
	v_or_b32_e32 v7, v7, v6
	s_addc_u32 s5, s13, s5
	s_lshl_b64 s[2:3], s[2:3], 8
	ds_write_b64 v7, v[2:3]
	v_or_b32_e32 v2, v8, v6
	s_add_u32 s2, s4, s2
	v_lshlrev_b32_e32 v3, 1, v99
	ds_write_b64 v2, v[4:5]
	v_lshrrev_b32_e32 v2, 4, v0
	s_addc_u32 s3, s5, s3
	v_or_b32_e32 v4, 1, v3
	v_lshlrev_b32_e32 v10, 4, v99
	v_mov_b32_e32 v11, 0
	v_xor_b32_e32 v3, v2, v3
	v_xor_b32_e32 v6, v4, v2
	v_lshl_add_u64 v[12:13], s[2:3], 0, v[10:11]
	v_lshlrev_b32_e32 v10, 8, v2
	v_lshl_or_b32 v16, v3, 3, v10
	v_lshl_or_b32 v17, v6, 3, v10
	s_waitcnt lgkmcnt(0)
	s_barrier
	ds_read2st64_b64 v[2:5], v16 offset1:8
	ds_read2st64_b64 v[6:9], v17 offset1:8
	v_lshl_add_u64 v[14:15], v[12:13], 0, v[10:11]
	s_movk_i32 s2, 0x2000
	s_cmp_lg_u32 s46, 64
	s_waitcnt lgkmcnt(1)
	v_mov_b32_e32 v10, v2
	v_mov_b32_e32 v11, v3
	s_waitcnt lgkmcnt(0)
	v_mov_b32_e32 v12, v6
	v_mov_b32_e32 v13, v7
	global_store_dwordx4 v[14:15], v[10:13], off
	v_mov_b32_e32 v6, v4
	v_mov_b32_e32 v7, v5
	ds_read2st64_b64 v[2:5], v16 offset0:16 offset1:24
	ds_read2st64_b64 v[10:13], v17 offset0:16 offset1:24
	v_add_co_u32_e32 v16, vcc, s2, v14
	s_cselect_b64 s[18:19], -1, 0
	s_nop 0
	v_addc_co_u32_e32 v17, vcc, 0, v15, vcc
	global_store_dwordx4 v[16:17], v[6:9], off offset:-4096
	v_lshl_or_b32 v30, v1, 3, v101
	s_mov_b32 s4, 0
	s_waitcnt lgkmcnt(1)
	v_mov_b32_e32 v6, v2
	v_add_co_u32_e32 v2, vcc, 0x3000, v14
	v_mov_b32_e32 v7, v3
	s_nop 0
	v_addc_co_u32_e32 v3, vcc, 0, v15, vcc
	s_waitcnt lgkmcnt(0)
	v_mov_b32_e32 v8, v10
	v_mov_b32_e32 v9, v11
	;; [unrolled: 1-line block ×4, first 2 shown]
	v_or_b32_e32 v20, 32, v30
	v_and_b32_e32 v18, 56, v100
	s_and_b64 vcc, exec, s[18:19]
	global_store_dwordx4 v[16:17], v[6:9], off
	global_store_dwordx4 v[2:3], v[10:13], off
	s_cbranch_vccz .LBB65_29
; %bb.24:
	s_mov_b32 s6, s4
	s_mov_b32 s7, s4
	;; [unrolled: 1-line block ×3, first 2 shown]
	v_mov_b64_e32 v[8:9], s[6:7]
	v_mov_b64_e32 v[6:7], s[4:5]
	;; [unrolled: 1-line block ×3, first 2 shown]
	v_cmp_gt_i32_e32 vcc, s46, v30
	v_mov_b64_e32 v[4:5], v[8:9]
	s_and_saveexec_b64 s[2:3], vcc
	s_cbranch_execz .LBB65_26
; %bb.25:
	v_lshlrev_b32_e32 v2, 8, v30
	v_mov_b32_e32 v3, 0
	v_lshl_add_u64 v[4:5], s[0:1], 0, v[2:3]
	v_lshlrev_b32_e32 v2, 1, v18
	v_lshl_add_u64 v[10:11], v[4:5], 0, v[2:3]
	global_load_dwordx4 v[6:9], v[10:11], off
	global_load_dwordx4 v[2:5], v[10:11], off offset:128
.LBB65_26:
	s_or_b64 exec, exec, s[2:3]
	s_mov_b32 s6, s4
	s_mov_b32 s7, s4
	;; [unrolled: 1-line block ×3, first 2 shown]
	v_mov_b64_e32 v[16:17], s[6:7]
	v_mov_b64_e32 v[14:15], s[4:5]
	;; [unrolled: 1-line block ×3, first 2 shown]
	v_cmp_gt_i32_e32 vcc, s46, v20
	v_lshlrev_b32_e32 v21, 7, v20
	v_mov_b64_e32 v[12:13], v[16:17]
	s_and_saveexec_b64 s[2:3], vcc
	s_cbranch_execz .LBB65_28
; %bb.27:
	v_lshlrev_b32_e32 v10, 1, v21
	v_mov_b32_e32 v11, 0
	v_lshl_add_u64 v[12:13], s[0:1], 0, v[10:11]
	v_lshlrev_b32_e32 v10, 1, v18
	v_lshl_add_u64 v[26:27], v[12:13], 0, v[10:11]
	global_load_dwordx4 v[14:17], v[26:27], off
	global_load_dwordx4 v[10:13], v[26:27], off offset:128
.LBB65_28:
	s_or_b64 exec, exec, s[2:3]
	v_lshrrev_b32_e32 v24, 3, v18
	v_lshlrev_b32_e32 v26, 3, v30
	v_or_b32_e32 v24, v26, v24
	v_lshlrev_b32_e32 v24, 4, v24
	v_and_b32_e32 v26, 0x78, v26
	v_xor_b32_e32 v24, v24, v26
	s_branch .LBB65_31
.LBB65_29:
                                        ; implicit-def: $vgpr24
                                        ; implicit-def: $vgpr21
                                        ; implicit-def: $vgpr6_vgpr7_vgpr8_vgpr9
                                        ; implicit-def: $vgpr2_vgpr3_vgpr4_vgpr5
                                        ; implicit-def: $vgpr14_vgpr15_vgpr16_vgpr17
                                        ; implicit-def: $vgpr10_vgpr11_vgpr12_vgpr13
	s_cbranch_execz .LBB65_31
; %bb.30:
	s_waitcnt vmcnt(0)
	v_lshlrev_b32_e32 v2, 1, v18
	v_lshl_or_b32 v21, v30, 8, v2
	s_and_b32 s1, s1, 0xffff
	s_mov_b32 s3, 0x20000
	s_movk_i32 s2, 0x4000
	v_lshl_or_b32 v24, v20, 8, v2
	s_movk_i32 s4, 0x80
	buffer_load_dwordx4 v[6:9], v21, s[0:3], 0 offen
	buffer_load_dwordx4 v[2:5], v21, s[0:3], s4 offen
	;; [unrolled: 1-line block ×4, first 2 shown]
	v_lshrrev_b32_e32 v21, 3, v18
	v_lshlrev_b32_e32 v24, 3, v30
	v_or_b32_e32 v21, v24, v21
	v_lshlrev_b32_e32 v21, 4, v21
	v_and_b32_e32 v24, 0x78, v24
	v_xor_b32_e32 v24, v21, v24
	v_lshlrev_b32_e32 v21, 7, v20
.LBB65_31:
	s_movk_i32 s0, 0x1000
	v_and_or_b32 v20, v21, s0, v24
	s_waitcnt vmcnt(1)
	ds_write_b64 v24, v[6:7] offset:49152
	v_xor_b32_e32 v6, 8, v24
	ds_write_b64 v6, v[8:9] offset:49152
	s_waitcnt vmcnt(0)
	ds_write_b64 v24, v[2:3] offset:57344
	ds_write_b64 v6, v[4:5] offset:57344
	;; [unrolled: 1-line block ×3, first 2 shown]
	v_xor_b32_e32 v2, 8, v20
	ds_write_b64 v2, v[16:17] offset:49152
	ds_write_b64 v20, v[10:11] offset:57344
	;; [unrolled: 1-line block ×3, first 2 shown]
	v_or_b32_e32 v2, v45, v99
	v_lshlrev_b32_e32 v2, 3, v2
	v_lshrrev_b32_e32 v3, 5, v47
	s_movk_i32 s0, 0xf8
	v_and_or_b32 v3, v2, s0, v3
	v_lshlrev_b32_e32 v7, 4, v3
	v_lshlrev_b32_e32 v24, 11, v1
	v_and_b32_e32 v8, 0x78, v2
	v_or_b32_e32 v10, 32, v7
	v_and_b32_e32 v6, 0x1000, v24
	v_lshrrev_b32_e32 v3, 1, v47
	v_xor_b32_e32 v10, v10, v8
	v_xor_b32_e32 v2, v7, v8
	v_and_b32_e32 v9, 8, v3
	v_or_b32_e32 v10, v10, v6
	v_or_b32_e32 v2, v2, v6
	v_xor_b32_e32 v32, v10, v9
	v_or_b32_e32 v10, 64, v7
	v_xor_b32_e32 v31, v2, v9
	v_xor_b32_e32 v10, v10, v8
	s_waitcnt lgkmcnt(0)
	s_barrier
	v_or_b32_e32 v13, v10, v6
	ds_read_b64 v[10:11], v31 offset:49152
	v_lshl_or_b32 v14, v98, 8, v25
	v_lshlrev_b32_e32 v26, 1, v14
	v_add_u32_e32 v12, 0x4000, v26
	ds_read2_b64 v[2:5], v12 offset1:16
	v_or_b32_e32 v7, 0x60, v7
	v_xor_b32_e32 v7, v7, v8
	v_or_b32_e32 v6, v7, v6
	v_xor_b32_e32 v33, v13, v9
	v_xor_b32_e32 v34, v6, v9
	ds_read_b64 v[20:21], v32 offset:49152
	ds_read_b64 v[36:37], v33 offset:49152
	;; [unrolled: 1-line block ×3, first 2 shown]
	s_waitcnt lgkmcnt(3)
	v_mfma_f32_16x16x16_bf16 a[0:3], v[10:11], v[2:3], 0
	ds_read2st64_b64 v[6:9], v26 offset0:36 offset1:40
	s_lshl_b64 s[0:1], s[44:45], 8
	s_add_u32 s4, s16, s0
	v_mfma_f32_16x16x16_bf16 a[4:7], v[10:11], v[4:5], 0
	ds_read2_b64 v[2:5], v12 offset0:32 offset1:48
	s_addc_u32 s5, s17, s1
	s_add_i32 s0, s50, s49
	s_waitcnt lgkmcnt(0)
	v_mfma_f32_16x16x16_bf16 a[8:11], v[10:11], v[2:3], 0
	v_or_b32_e32 v2, 64, v14
	v_lshlrev_b32_e32 v27, 1, v2
	s_add_i32 s17, s35, -1
	v_mfma_f32_16x16x16_bf16 a[12:15], v[10:11], v[4:5], 0
	ds_read2st64_b64 v[2:5], v27 offset0:36 offset1:40
	s_add_i32 s43, s0, s51
	s_add_i32 s0, s53, s52
	v_mfma_f32_16x16x16_bf16 a[0:3], v[20:21], v[6:7], a[0:3]
	v_or_b32_e32 v6, 0x80, v14
	v_lshlrev_b32_e32 v28, 1, v6
	ds_read2st64_b64 v[10:13], v28 offset0:36 offset1:40
	s_waitcnt lgkmcnt(1)
	v_mfma_f32_16x16x16_bf16 a[4:7], v[20:21], v[2:3], a[4:7]
	v_or_b32_e32 v2, 0xc0, v14
	v_lshlrev_b32_e32 v29, 1, v2
	ds_read2st64_b64 v[14:17], v29 offset0:36 offset1:40
	s_add_i32 s41, s0, s54
	s_ashr_i32 s0, s17, 31
	s_mul_i32 s1, s17, s11
	s_mul_hi_u32 s2, s17, s10
	s_add_i32 s1, s2, s1
	s_mul_i32 s0, s0, s10
	s_waitcnt lgkmcnt(1)
	v_mfma_f32_16x16x16_bf16 a[8:11], v[20:21], v[10:11], a[8:11]
	s_add_i32 s1, s1, s0
	s_lshl_b64 s[2:3], s[42:43], 2
	s_add_u32 s6, s22, s2
	s_waitcnt lgkmcnt(0)
	v_mfma_f32_16x16x16_bf16 a[12:15], v[20:21], v[14:15], a[12:15]
	s_addc_u32 s7, s23, s3
	s_lshl_b64 s[2:3], s[40:41], 2
	s_mul_i32 s0, s17, s10
	v_mfma_f32_16x16x16_bf16 a[0:3], v[36:37], v[8:9], a[0:3]
	ds_read_b64 v[2:3], v26 offset:22528
	s_add_u32 s12, s6, s2
	s_addc_u32 s13, s7, s3
	v_mfma_f32_16x16x16_bf16 a[4:7], v[36:37], v[4:5], a[4:7]
	ds_read_b64 v[4:5], v27 offset:22528
	ds_read_b64 v[6:7], v28 offset:22528
	;; [unrolled: 1-line block ×3, first 2 shown]
	s_lshl_b64 s[0:1], s[0:1], 2
	s_add_u32 s0, s12, s0
	v_mfma_f32_16x16x16_bf16 a[8:11], v[36:37], v[12:13], a[8:11]
	s_addc_u32 s1, s13, s1
	s_load_dword s16, s[0:1], 0x0
	s_and_b64 vcc, exec, s[38:39]
	v_mfma_f32_16x16x16_bf16 a[12:15], v[36:37], v[16:17], a[12:15]
	s_waitcnt lgkmcnt(0)
	v_mfma_f32_16x16x16_bf16 a[0:3], v[38:39], v[2:3], a[0:3]
	v_mfma_f32_16x16x16_bf16 a[4:7], v[38:39], v[4:5], a[4:7]
	;; [unrolled: 1-line block ×4, first 2 shown]
	s_cbranch_vccz .LBB65_42
; %bb.32:
	v_lshlrev_b32_e32 v20, 1, v30
	s_and_b64 vcc, exec, s[18:19]
	s_cbranch_vccz .LBB65_43
; %bb.33:
	v_cmp_gt_i32_e32 vcc, s46, v20
	v_mov_b32_e32 v6, 0
	v_mov_b32_e32 v2, 0
	;; [unrolled: 1-line block ×5, first 2 shown]
	s_and_saveexec_b64 s[0:1], vcc
	s_cbranch_execz .LBB65_35
; %bb.34:
	v_mad_i64_i32 v[2:3], s[2:3], s31, v20, 0
	v_lshl_add_u64 v[2:3], v[2:3], 1, s[4:5]
	v_lshlrev_b32_e32 v4, 1, v18
	v_mov_b32_e32 v5, 0
	v_lshl_add_u64 v[2:3], v[2:3], 0, v[4:5]
	global_load_dwordx4 v[2:5], v[2:3], off
.LBB65_35:
	s_or_b64 exec, exec, s[0:1]
	v_or_b32_e32 v21, 1, v20
	v_cmp_gt_i32_e64 s[0:1], s46, v21
	v_mov_b32_e32 v7, 0
	v_mov_b32_e32 v8, 0
	;; [unrolled: 1-line block ×3, first 2 shown]
	s_and_saveexec_b64 s[2:3], s[0:1]
	s_cbranch_execz .LBB65_37
; %bb.36:
	v_mad_i64_i32 v[6:7], s[6:7], s31, v21, 0
	v_lshl_add_u64 v[6:7], v[6:7], 1, s[4:5]
	v_lshlrev_b32_e32 v8, 1, v18
	v_mov_b32_e32 v9, 0
	v_lshl_add_u64 v[6:7], v[6:7], 0, v[8:9]
	global_load_dwordx4 v[6:9], v[6:7], off
.LBB65_37:
	s_or_b64 exec, exec, s[2:3]
	v_mov_b32_e32 v17, 0
	v_mov_b32_e32 v10, 0
	;; [unrolled: 1-line block ×5, first 2 shown]
	s_and_saveexec_b64 s[2:3], vcc
	s_cbranch_execz .LBB65_39
; %bb.38:
	v_mad_i64_i32 v[10:11], s[6:7], s31, v20, 0
	v_lshl_add_u64 v[10:11], v[10:11], 1, s[4:5]
	v_lshlrev_b32_e32 v12, 1, v18
	v_mov_b32_e32 v13, 0
	v_lshl_add_u64 v[10:11], v[10:11], 0, v[12:13]
	global_load_dwordx4 v[10:13], v[10:11], off offset:128
.LBB65_39:
	s_or_b64 exec, exec, s[2:3]
	v_mov_b32_e32 v16, 0
	v_mov_b32_e32 v15, 0
	;; [unrolled: 1-line block ×3, first 2 shown]
	s_and_saveexec_b64 s[2:3], s[0:1]
	s_cbranch_execz .LBB65_41
; %bb.40:
	v_mad_i64_i32 v[14:15], s[0:1], s31, v21, 0
	v_lshl_add_u64 v[14:15], v[14:15], 1, s[4:5]
	v_lshlrev_b32_e32 v16, 1, v18
	v_mov_b32_e32 v17, 0
	v_lshl_add_u64 v[14:15], v[14:15], 0, v[16:17]
	global_load_dwordx4 v[14:17], v[14:15], off offset:128
.LBB65_41:
	s_or_b64 exec, exec, s[2:3]
	s_branch .LBB65_45
.LBB65_42:
                                        ; implicit-def: $vgpr5
                                        ; implicit-def: $vgpr9
                                        ; implicit-def: $vgpr13
                                        ; implicit-def: $vgpr17
	v_lshrrev_b32_e32 v35, 2, v47
	s_branch .LBB65_46
.LBB65_43:
                                        ; implicit-def: $vgpr5
                                        ; implicit-def: $vgpr9
                                        ; implicit-def: $vgpr13
                                        ; implicit-def: $vgpr17
	s_cbranch_execz .LBB65_45
; %bb.44:
	s_waitcnt vmcnt(0)
	v_mad_u64_u32 v[2:3], s[0:1], v20, s31, v[18:19]
	v_lshlrev_b32_e32 v20, 1, v2
	s_lshl_b32 s2, s31, 7
	s_and_b32 s1, s5, 0xffff
	s_mov_b32 s3, 0x20000
	s_mov_b32 s0, s4
	v_add_lshl_u32 v21, v2, s31, 1
	s_movk_i32 s6, 0x80
	buffer_load_dwordx4 v[2:5], v20, s[0:3], 0 offen
	buffer_load_dwordx4 v[10:13], v20, s[0:3], s6 offen
	;; [unrolled: 1-line block ×4, first 2 shown]
.LBB65_45:
	v_lshrrev_b32_e32 v35, 2, v47
	s_cbranch_execnz .LBB65_58
.LBB65_46:
	s_and_b64 vcc, exec, s[18:19]
	s_cbranch_vccz .LBB65_56
; %bb.47:
	s_waitcnt vmcnt(0)
	v_lshlrev_b32_e32 v7, 1, v30
	v_cmp_gt_i32_e32 vcc, s46, v7
	v_mov_b32_e32 v6, 0
	v_lshlrev_b32_e32 v14, 9, v30
	v_mov_b32_e32 v2, 0
	v_mov_b32_e32 v3, 0
	v_mov_b32_e32 v4, 0
	v_mov_b32_e32 v5, 0
	s_and_saveexec_b64 s[0:1], vcc
	s_cbranch_execz .LBB65_49
; %bb.48:
	v_mov_b32_e32 v15, 0
	v_lshl_add_u64 v[2:3], s[4:5], 0, v[14:15]
	v_lshlrev_b32_e32 v4, 1, v18
	v_mov_b32_e32 v5, v15
	v_lshl_add_u64 v[2:3], v[2:3], 0, v[4:5]
	global_load_dwordx4 v[2:5], v[2:3], off
.LBB65_49:
	s_or_b64 exec, exec, s[0:1]
	v_or_b32_e32 v7, 1, v7
	v_cmp_gt_i32_e64 s[0:1], s46, v7
	v_lshlrev_b32_e32 v20, 8, v7
	v_mov_b32_e32 v7, 0
	v_mov_b32_e32 v8, 0
	;; [unrolled: 1-line block ×3, first 2 shown]
	s_and_saveexec_b64 s[2:3], s[0:1]
	s_cbranch_execz .LBB65_51
; %bb.50:
	v_mov_b32_e32 v21, 0
	v_lshl_add_u64 v[6:7], s[4:5], 0, v[20:21]
	v_lshlrev_b32_e32 v8, 1, v18
	v_mov_b32_e32 v9, v21
	v_lshl_add_u64 v[6:7], v[6:7], 0, v[8:9]
	global_load_dwordx4 v[6:9], v[6:7], off
.LBB65_51:
	s_or_b64 exec, exec, s[2:3]
	v_mov_b32_e32 v17, 0
	v_mov_b32_e32 v10, 0
	;; [unrolled: 1-line block ×5, first 2 shown]
	s_and_saveexec_b64 s[2:3], vcc
	s_cbranch_execz .LBB65_53
; %bb.52:
	v_mov_b32_e32 v15, 0
	v_lshl_add_u64 v[10:11], s[4:5], 0, v[14:15]
	v_lshlrev_b32_e32 v14, 1, v18
	v_lshl_add_u64 v[10:11], v[10:11], 0, v[14:15]
	global_load_dwordx4 v[10:13], v[10:11], off offset:128
.LBB65_53:
	s_or_b64 exec, exec, s[2:3]
	v_mov_b32_e32 v16, 0
	v_mov_b32_e32 v15, 0
	;; [unrolled: 1-line block ×3, first 2 shown]
	s_and_saveexec_b64 s[2:3], s[0:1]
	s_cbranch_execz .LBB65_55
; %bb.54:
	v_mov_b32_e32 v21, 0
	v_lshl_add_u64 v[14:15], s[4:5], 0, v[20:21]
	v_lshlrev_b32_e32 v20, 1, v18
	v_lshl_add_u64 v[14:15], v[14:15], 0, v[20:21]
	global_load_dwordx4 v[14:17], v[14:15], off offset:128
.LBB65_55:
	s_or_b64 exec, exec, s[2:3]
	s_branch .LBB65_58
.LBB65_56:
                                        ; implicit-def: $vgpr5
                                        ; implicit-def: $vgpr9
                                        ; implicit-def: $vgpr13
                                        ; implicit-def: $vgpr17
	s_cbranch_execz .LBB65_58
; %bb.57:
	s_waitcnt vmcnt(0)
	v_lshlrev_b32_e32 v2, 1, v18
	v_lshl_or_b32 v18, v30, 9, v2
	s_and_b32 s5, s5, 0xffff
	s_mov_b32 s7, 0x20000
	s_movk_i32 s6, 0x4000
	s_movk_i32 s0, 0x80
	buffer_load_dwordx4 v[2:5], v18, s[4:7], 0 offen
	buffer_load_dwordx4 v[6:9], v18, s[4:7], 0 offen offset:256
	buffer_load_dwordx4 v[10:13], v18, s[4:7], s0 offen
	buffer_load_dwordx4 v[14:17], v18, s[4:7], s0 offen offset:256
.LBB65_58:
	ds_read_b64 v[20:21], v31 offset:57344
	v_add_u32_e32 v18, 0x6000, v26
	ds_read2_b64 v[36:39], v18 offset1:16
	ds_read_b64 v[94:95], v32 offset:57344
	ds_read_b64 v[96:97], v33 offset:57344
	;; [unrolled: 1-line block ×3, first 2 shown]
	v_and_b32_e32 v31, 6, v0
	v_xor_b32_e32 v30, v30, v31
	v_lshlrev_b32_e32 v30, 2, v30
	s_mov_b32 s0, 0x1000504
	s_mov_b32 s1, 0x3020706
	s_waitcnt lgkmcnt(3)
	v_mfma_f32_16x16x16_bf16 a[0:3], v[20:21], v[36:37], a[0:3]
	v_mfma_f32_16x16x16_bf16 a[4:7], v[20:21], v[38:39], a[4:7]
	ds_read2_b64 v[36:39], v18 offset0:32 offset1:48
	v_and_b32_e32 v18, 12, v35
	ds_read2st64_b64 v[32:35], v26 offset0:52 offset1:56
	s_waitcnt lgkmcnt(1)
	v_mfma_f32_16x16x16_bf16 a[8:11], v[20:21], v[36:37], a[8:11]
	v_mfma_f32_16x16x16_bf16 a[12:15], v[20:21], v[38:39], a[12:15]
	ds_read2st64_b64 v[36:39], v27 offset0:52 offset1:56
	ds_read2st64_b64 v[40:43], v28 offset0:52 offset1:56
	ds_read2st64_b64 v[90:93], v29 offset0:52 offset1:56
	s_waitcnt lgkmcnt(3)
	v_mfma_f32_16x16x16_bf16 a[0:3], v[94:95], v[32:33], a[0:3]
	ds_read_b64 v[20:21], v26 offset:30720
	ds_read_b64 v[32:33], v27 offset:30720
	;; [unrolled: 1-line block ×4, first 2 shown]
	s_waitcnt lgkmcnt(6)
	v_mfma_f32_16x16x16_bf16 a[4:7], v[94:95], v[36:37], a[4:7]
	v_and_b32_e32 v36, 1, v0
	v_xor_b32_e32 v37, 0x440, v30
	v_cmp_eq_u32_e32 vcc, 0, v36
	s_waitcnt lgkmcnt(5)
	v_mfma_f32_16x16x16_bf16 a[8:11], v[94:95], v[40:41], a[8:11]
	v_cndmask_b32_e32 v30, v37, v30, vcc
	v_lshl_or_b32 v30, v31, 10, v30
	s_waitcnt lgkmcnt(4)
	v_mfma_f32_16x16x16_bf16 a[12:15], v[94:95], v[90:91], a[12:15]
	s_waitcnt vmcnt(0)
	v_perm_b32 v31, v2, v6, s0
	v_perm_b32 v2, v2, v6, s1
	;; [unrolled: 1-line block ×3, first 2 shown]
	v_mfma_f32_16x16x16_bf16 a[0:3], v[96:97], v[34:35], a[0:3]
	v_perm_b32 v34, v10, v14, s0
	ds_write2st64_b32 v30, v31, v34 offset0:128 offset1:160
	v_xor_b32_e32 v31, 8, v30
	v_add_u32_e32 v10, 0x80, v31
	ds_write2st64_b32 v10, v2, v6 offset0:128 offset1:160
	v_xor_b32_e32 v2, 16, v30
	v_perm_b32 v6, v3, v7, s0
	v_perm_b32 v10, v11, v15, s0
	v_mfma_f32_16x16x16_bf16 a[4:7], v[96:97], v[38:39], a[4:7]
	ds_write2st64_b32 v2, v6, v10 offset0:129 offset1:161
	v_xor_b32_e32 v2, 24, v30
	v_perm_b32 v3, v3, v7, s1
	v_mfma_f32_16x16x16_bf16 a[16:19], v[96:97], v[42:43], a[8:11]
	v_perm_b32 v6, v11, v15, s1
	v_add_u32_e32 v2, 0x80, v2
	ds_write2st64_b32 v2, v3, v6 offset0:129 offset1:161
	v_mfma_f32_16x16x16_bf16 a[20:23], v[96:97], v[92:93], a[12:15]
	v_xor_b32_e32 v2, 32, v30
	v_perm_b32 v3, v4, v8, s0
	v_perm_b32 v6, v12, v16, s0
	ds_write2st64_b32 v2, v3, v6 offset0:130 offset1:162
	v_xor_b32_e32 v2, 40, v30
	s_waitcnt lgkmcnt(8)
	v_mfma_f32_16x16x16_bf16 a[12:15], v[98:99], v[20:21], a[0:3]
	v_perm_b32 v3, v4, v8, s1
	v_perm_b32 v4, v12, v16, s1
	v_add_u32_e32 v2, 0x80, v2
	s_waitcnt lgkmcnt(7)
	v_mfma_f32_16x16x16_bf16 a[8:11], v[98:99], v[32:33], a[4:7]
	ds_write2st64_b32 v2, v3, v4 offset0:130 offset1:162
	v_xor_b32_e32 v2, 48, v30
	v_perm_b32 v3, v5, v9, s0
	s_waitcnt lgkmcnt(7)
	v_mfma_f32_16x16x16_bf16 a[4:7], v[98:99], v[100:101], a[16:19]
	v_perm_b32 v4, v13, v17, s0
	ds_write2st64_b32 v2, v3, v4 offset0:131 offset1:163
	v_xor_b32_e32 v2, 56, v30
	s_waitcnt lgkmcnt(7)
	v_mfma_f32_16x16x16_bf16 a[0:3], v[98:99], v[102:103], a[20:23]
	v_or_b32_e32 v20, v18, v45
	v_perm_b32 v3, v5, v9, s1
	v_perm_b32 v4, v13, v17, s1
	v_add_u32_e32 v2, 0x80, v2
	v_cmp_gt_i32_e32 vcc, s46, v20
	v_mov_b32_e32 v30, 0
	v_mov_b32_e32 v31, 0
	ds_write2st64_b32 v2, v3, v4 offset0:131 offset1:163
	s_and_saveexec_b64 s[0:1], vcc
	s_cbranch_execz .LBB65_60
; %bb.59:
	v_add_u32_e32 v2, s34, v20
	v_ashrrev_i32_e32 v3, 31, v2
	v_mul_lo_u32 v4, v3, s10
	v_mul_lo_u32 v5, v2, s11
	v_mad_u64_u32 v[2:3], s[2:3], v2, s10, 0
	v_add3_u32 v3, v3, v5, v4
	v_lshl_add_u64 v[2:3], v[2:3], 2, s[12:13]
	global_load_dword v2, v[2:3], off
	s_waitcnt vmcnt(0)
	v_sub_f32_e32 v2, s16, v2
	v_mul_f32_e32 v2, 0x3fb8aa3b, v2
	v_exp_f32_e32 v31, v2
.LBB65_60:
	s_or_b64 exec, exec, s[0:1]
	v_or_b32_e32 v11, 1, v20
	v_cmp_gt_i32_e64 s[2:3], s46, v11
	s_and_saveexec_b64 s[0:1], s[2:3]
	s_cbranch_execz .LBB65_62
; %bb.61:
	v_add_u32_e32 v2, s34, v11
	v_ashrrev_i32_e32 v3, 31, v2
	v_mul_lo_u32 v4, v3, s10
	v_mul_lo_u32 v5, v2, s11
	v_mad_u64_u32 v[2:3], s[4:5], v2, s10, 0
	v_add3_u32 v3, v3, v5, v4
	v_lshl_add_u64 v[2:3], v[2:3], 2, s[12:13]
	global_load_dword v2, v[2:3], off
	s_waitcnt vmcnt(0)
	v_sub_f32_e32 v2, s16, v2
	v_mul_f32_e32 v2, 0x3fb8aa3b, v2
	v_exp_f32_e32 v30, v2
.LBB65_62:
	s_or_b64 exec, exec, s[0:1]
	v_or_b32_e32 v10, 2, v20
	v_cmp_gt_i32_e64 s[4:5], s46, v10
	v_mov_b32_e32 v21, 0
	v_mov_b32_e32 v32, 0
	s_and_saveexec_b64 s[0:1], s[4:5]
	s_cbranch_execz .LBB65_64
; %bb.63:
	v_add_u32_e32 v2, s34, v10
	v_ashrrev_i32_e32 v3, 31, v2
	v_mul_lo_u32 v4, v3, s10
	v_mul_lo_u32 v5, v2, s11
	v_mad_u64_u32 v[2:3], s[6:7], v2, s10, 0
	v_add3_u32 v3, v3, v5, v4
	v_lshl_add_u64 v[2:3], v[2:3], 2, s[12:13]
	global_load_dword v2, v[2:3], off
	s_waitcnt vmcnt(0)
	v_sub_f32_e32 v2, s16, v2
	v_mul_f32_e32 v2, 0x3fb8aa3b, v2
	v_exp_f32_e32 v32, v2
.LBB65_64:
	s_or_b64 exec, exec, s[0:1]
	v_or_b32_e32 v33, 3, v20
	v_cmp_gt_i32_e64 s[0:1], s46, v33
	s_and_saveexec_b64 s[6:7], s[0:1]
	s_cbranch_execz .LBB65_66
; %bb.65:
	v_add_u32_e32 v2, s34, v33
	v_ashrrev_i32_e32 v3, 31, v2
	v_mul_lo_u32 v4, v3, s10
	v_mul_lo_u32 v5, v2, s11
	v_mad_u64_u32 v[2:3], s[10:11], v2, s10, 0
	v_add3_u32 v3, v3, v5, v4
	v_lshl_add_u64 v[2:3], v[2:3], 2, s[12:13]
	global_load_dword v2, v[2:3], off
	s_waitcnt vmcnt(0)
	v_sub_f32_e32 v2, s16, v2
	v_mul_f32_e32 v2, 0x3fb8aa3b, v2
	v_exp_f32_e32 v21, v2
.LBB65_66:
	s_or_b64 exec, exec, s[6:7]
	s_add_u32 s6, s20, s36
	s_addc_u32 s7, s21, s37
	s_add_u32 s10, s14, s36
	v_ashrrev_i32_e32 v89, 31, v88
	v_accvgpr_read_b32 v2, a12
	s_addc_u32 s11, s15, s37
	v_lshlrev_b64 v[6:7], 1, v[88:89]
	v_accvgpr_read_b32 v3, a13
	v_accvgpr_read_b32 v4, a14
	;; [unrolled: 1-line block ×3, first 2 shown]
	v_lshl_add_u64 v[8:9], s[6:7], 0, v[6:7]
	v_lshl_add_u64 v[6:7], s[10:11], 0, v[6:7]
	v_mov_b32_e32 v15, 0
	v_lshlrev_b32_e32 v12, 8, v20
	v_mov_b32_e32 v13, 0
	s_and_saveexec_b64 s[6:7], vcc
	s_cbranch_execz .LBB65_68
; %bb.67:
	v_mov_b32_e32 v13, 0
	v_lshl_add_u64 v[16:17], v[8:9], 0, v[12:13]
	global_load_ushort v14, v[16:17], off
	v_lshl_add_u64 v[16:17], v[6:7], 0, v[12:13]
	s_waitcnt vmcnt(0)
	v_lshlrev_b32_e32 v13, 16, v14
	v_sub_f32_e32 v2, v13, v2
	global_store_short_d16_hi v[16:17], v2, off
	v_mul_f32_e32 v2, v31, v2
	v_lshrrev_b32_e32 v13, 16, v2
.LBB65_68:
	s_or_b64 exec, exec, s[6:7]
	v_lshlrev_b32_e32 v14, 8, v11
	s_and_saveexec_b64 s[6:7], s[2:3]
	s_cbranch_execz .LBB65_70
; %bb.69:
	v_mov_b32_e32 v15, 0
	v_lshl_add_u64 v[16:17], v[8:9], 0, v[14:15]
	global_load_ushort v2, v[16:17], off
	v_lshl_add_u64 v[16:17], v[6:7], 0, v[14:15]
	s_waitcnt vmcnt(0)
	v_lshlrev_b32_e32 v2, 16, v2
	v_sub_f32_e32 v2, v2, v3
	global_store_short_d16_hi v[16:17], v2, off
	v_mul_f32_e32 v2, v30, v2
	v_lshrrev_b32_e32 v15, 16, v2
.LBB65_70:
	s_or_b64 exec, exec, s[6:7]
	v_mov_b32_e32 v11, 0
	v_lshlrev_b32_e32 v16, 8, v10
	v_mov_b32_e32 v17, 0
	s_and_saveexec_b64 s[6:7], s[4:5]
	s_cbranch_execz .LBB65_72
; %bb.71:
	v_mov_b32_e32 v17, 0
	v_lshl_add_u64 v[2:3], v[8:9], 0, v[16:17]
	global_load_ushort v10, v[2:3], off
	v_lshl_add_u64 v[2:3], v[6:7], 0, v[16:17]
	s_waitcnt vmcnt(0)
	v_lshlrev_b32_e32 v10, 16, v10
	v_sub_f32_e32 v4, v10, v4
	global_store_short_d16_hi v[2:3], v4, off
	v_mul_f32_e32 v2, v32, v4
	v_lshrrev_b32_e32 v17, 16, v2
.LBB65_72:
	s_or_b64 exec, exec, s[6:7]
	v_lshlrev_b32_e32 v10, 8, v33
	s_and_saveexec_b64 s[6:7], s[0:1]
	s_cbranch_execz .LBB65_74
; %bb.73:
	v_mov_b32_e32 v11, 0
	v_lshl_add_u64 v[2:3], v[8:9], 0, v[10:11]
	global_load_ushort v4, v[2:3], off
	v_lshl_add_u64 v[2:3], v[6:7], 0, v[10:11]
	s_waitcnt vmcnt(0)
	v_lshlrev_b32_e32 v4, 16, v4
	v_sub_f32_e32 v4, v4, v5
	global_store_short_d16_hi v[2:3], v4, off
	v_mul_f32_e32 v2, v21, v4
	v_lshrrev_b32_e32 v11, 16, v2
.LBB65_74:
	s_or_b64 exec, exec, s[6:7]
	v_lshlrev_b32_e32 v33, 6, v20
	s_mov_b32 s6, 0x5040100
	v_accvgpr_read_b32 v2, a8
	v_perm_b32 v35, v11, v17, s6
	v_or_b32_e32 v11, v33, v25
	v_accvgpr_read_b32 v3, a9
	v_accvgpr_read_b32 v4, a10
	;; [unrolled: 1-line block ×3, first 2 shown]
	v_perm_b32 v34, v15, v13, s6
	v_lshlrev_b32_e32 v11, 1, v11
	v_mov_b32_e32 v15, 0
	v_mov_b32_e32 v13, 0
	ds_write_b64 v11, v[34:35] offset:24576
	s_and_saveexec_b64 s[6:7], vcc
	s_cbranch_execz .LBB65_76
; %bb.75:
	v_mov_b32_e32 v13, 0
	v_lshl_add_u64 v[34:35], v[8:9], 0, v[12:13]
	global_load_ushort v11, v[34:35], off offset:32
	v_lshl_add_u64 v[34:35], v[6:7], 0, v[12:13]
	s_waitcnt vmcnt(0)
	v_lshlrev_b32_e32 v11, 16, v11
	v_sub_f32_e32 v2, v11, v2
	global_store_short_d16_hi v[34:35], v2, off offset:32
	v_mul_f32_e32 v2, v31, v2
	v_lshrrev_b32_e32 v13, 16, v2
.LBB65_76:
	s_or_b64 exec, exec, s[6:7]
	s_and_saveexec_b64 s[6:7], s[2:3]
	s_cbranch_execz .LBB65_78
; %bb.77:
	v_mov_b32_e32 v15, 0
	v_lshl_add_u64 v[34:35], v[8:9], 0, v[14:15]
	global_load_ushort v2, v[34:35], off offset:32
	v_lshl_add_u64 v[34:35], v[6:7], 0, v[14:15]
	s_waitcnt vmcnt(0)
	v_lshlrev_b32_e32 v2, 16, v2
	v_sub_f32_e32 v2, v2, v3
	global_store_short_d16_hi v[34:35], v2, off offset:32
	v_mul_f32_e32 v2, v30, v2
	v_lshrrev_b32_e32 v15, 16, v2
.LBB65_78:
	s_or_b64 exec, exec, s[6:7]
	v_mov_b32_e32 v11, 0
	v_mov_b32_e32 v17, 0
	s_and_saveexec_b64 s[6:7], s[4:5]
	s_cbranch_execz .LBB65_80
; %bb.79:
	v_mov_b32_e32 v17, 0
	v_lshl_add_u64 v[2:3], v[8:9], 0, v[16:17]
	global_load_ushort v25, v[2:3], off offset:32
	v_lshl_add_u64 v[2:3], v[6:7], 0, v[16:17]
	s_waitcnt vmcnt(0)
	v_lshlrev_b32_e32 v17, 16, v25
	v_sub_f32_e32 v4, v17, v4
	global_store_short_d16_hi v[2:3], v4, off offset:32
	v_mul_f32_e32 v2, v32, v4
	v_lshrrev_b32_e32 v17, 16, v2
.LBB65_80:
	s_or_b64 exec, exec, s[6:7]
	s_and_saveexec_b64 s[6:7], s[0:1]
	s_cbranch_execz .LBB65_82
; %bb.81:
	v_mov_b32_e32 v11, 0
	v_lshl_add_u64 v[2:3], v[8:9], 0, v[10:11]
	global_load_ushort v4, v[2:3], off offset:32
	v_lshl_add_u64 v[2:3], v[6:7], 0, v[10:11]
	s_waitcnt vmcnt(0)
	v_lshlrev_b32_e32 v4, 16, v4
	v_sub_f32_e32 v4, v4, v5
	global_store_short_d16_hi v[2:3], v4, off offset:32
	v_mul_f32_e32 v2, v21, v4
	v_lshrrev_b32_e32 v11, 16, v2
.LBB65_82:
	s_or_b64 exec, exec, s[6:7]
	s_mov_b32 s6, 0x5040100
	v_accvgpr_read_b32 v2, a4
	v_perm_b32 v35, v11, v17, s6
	v_or_b32_e32 v11, v33, v23
	v_accvgpr_read_b32 v3, a5
	v_accvgpr_read_b32 v4, a6
	;; [unrolled: 1-line block ×3, first 2 shown]
	v_perm_b32 v34, v15, v13, s6
	v_lshlrev_b32_e32 v11, 1, v11
	v_mov_b32_e32 v15, 0
	v_mov_b32_e32 v13, 0
	ds_write_b64 v11, v[34:35] offset:24576
	s_and_saveexec_b64 s[6:7], vcc
	s_cbranch_execz .LBB65_84
; %bb.83:
	v_mov_b32_e32 v13, 0
	v_lshl_add_u64 v[34:35], v[8:9], 0, v[12:13]
	global_load_ushort v11, v[34:35], off offset:64
	v_lshl_add_u64 v[34:35], v[6:7], 0, v[12:13]
	s_waitcnt vmcnt(0)
	v_lshlrev_b32_e32 v11, 16, v11
	v_sub_f32_e32 v2, v11, v2
	global_store_short_d16_hi v[34:35], v2, off offset:64
	v_mul_f32_e32 v2, v31, v2
	v_lshrrev_b32_e32 v13, 16, v2
.LBB65_84:
	s_or_b64 exec, exec, s[6:7]
	s_and_saveexec_b64 s[6:7], s[2:3]
	s_cbranch_execz .LBB65_86
; %bb.85:
	v_mov_b32_e32 v15, 0
	v_lshl_add_u64 v[34:35], v[8:9], 0, v[14:15]
	global_load_ushort v2, v[34:35], off offset:64
	v_lshl_add_u64 v[34:35], v[6:7], 0, v[14:15]
	s_waitcnt vmcnt(0)
	v_lshlrev_b32_e32 v2, 16, v2
	v_sub_f32_e32 v2, v2, v3
	global_store_short_d16_hi v[34:35], v2, off offset:64
	v_mul_f32_e32 v2, v30, v2
	v_lshrrev_b32_e32 v15, 16, v2
.LBB65_86:
	s_or_b64 exec, exec, s[6:7]
	v_mov_b32_e32 v11, 0
	v_mov_b32_e32 v17, 0
	s_and_saveexec_b64 s[6:7], s[4:5]
	s_cbranch_execz .LBB65_88
; %bb.87:
	v_mov_b32_e32 v17, 0
	v_lshl_add_u64 v[2:3], v[8:9], 0, v[16:17]
	global_load_ushort v23, v[2:3], off offset:64
	v_lshl_add_u64 v[2:3], v[6:7], 0, v[16:17]
	s_waitcnt vmcnt(0)
	v_lshlrev_b32_e32 v17, 16, v23
	v_sub_f32_e32 v4, v17, v4
	global_store_short_d16_hi v[2:3], v4, off offset:64
	v_mul_f32_e32 v2, v32, v4
	v_lshrrev_b32_e32 v17, 16, v2
.LBB65_88:
	s_or_b64 exec, exec, s[6:7]
	s_and_saveexec_b64 s[6:7], s[0:1]
	s_cbranch_execz .LBB65_90
; %bb.89:
	v_mov_b32_e32 v11, 0
	v_lshl_add_u64 v[2:3], v[8:9], 0, v[10:11]
	global_load_ushort v4, v[2:3], off offset:64
	v_lshl_add_u64 v[2:3], v[6:7], 0, v[10:11]
	s_waitcnt vmcnt(0)
	v_lshlrev_b32_e32 v4, 16, v4
	v_sub_f32_e32 v4, v4, v5
	global_store_short_d16_hi v[2:3], v4, off offset:64
	v_mul_f32_e32 v2, v21, v4
	v_lshrrev_b32_e32 v11, 16, v2
.LBB65_90:
	s_or_b64 exec, exec, s[6:7]
	s_mov_b32 s6, 0x5040100
	v_accvgpr_read_b32 v5, a3
	v_perm_b32 v35, v11, v17, s6
	v_or_b32_e32 v11, v33, v22
	v_accvgpr_read_b32 v4, a2
	v_accvgpr_read_b32 v3, a1
	;; [unrolled: 1-line block ×3, first 2 shown]
	v_perm_b32 v34, v15, v13, s6
	v_lshlrev_b32_e32 v11, 1, v11
	v_mov_b32_e32 v15, 0
	v_mov_b32_e32 v13, 0
	ds_write_b64 v11, v[34:35] offset:24576
	s_and_saveexec_b64 s[6:7], vcc
	s_cbranch_execz .LBB65_92
; %bb.91:
	v_mov_b32_e32 v13, 0
	v_lshl_add_u64 v[22:23], v[8:9], 0, v[12:13]
	global_load_ushort v11, v[22:23], off offset:96
	v_lshl_add_u64 v[12:13], v[6:7], 0, v[12:13]
	s_waitcnt vmcnt(0)
	v_lshlrev_b32_e32 v11, 16, v11
	v_sub_f32_e32 v2, v11, v2
	global_store_short_d16_hi v[12:13], v2, off offset:96
	v_mul_f32_e32 v2, v31, v2
	v_lshrrev_b32_e32 v13, 16, v2
.LBB65_92:
	s_or_b64 exec, exec, s[6:7]
	s_and_saveexec_b64 s[6:7], s[2:3]
	s_cbranch_execz .LBB65_94
; %bb.93:
	v_mov_b32_e32 v15, 0
	v_lshl_add_u64 v[22:23], v[8:9], 0, v[14:15]
	global_load_ushort v2, v[22:23], off offset:96
	v_lshl_add_u64 v[14:15], v[6:7], 0, v[14:15]
	s_waitcnt vmcnt(0)
	v_lshlrev_b32_e32 v2, 16, v2
	v_sub_f32_e32 v2, v2, v3
	global_store_short_d16_hi v[14:15], v2, off offset:96
	v_mul_f32_e32 v2, v30, v2
	v_lshrrev_b32_e32 v15, 16, v2
.LBB65_94:
	s_or_b64 exec, exec, s[6:7]
	v_mov_b32_e32 v11, 0
	v_mov_b32_e32 v14, 0
	s_and_saveexec_b64 s[2:3], s[4:5]
	s_cbranch_execz .LBB65_96
; %bb.95:
	v_mov_b32_e32 v17, 0
	v_lshl_add_u64 v[2:3], v[8:9], 0, v[16:17]
	global_load_ushort v12, v[2:3], off offset:96
	v_lshl_add_u64 v[2:3], v[6:7], 0, v[16:17]
	s_waitcnt vmcnt(0)
	v_lshlrev_b32_e32 v12, 16, v12
	v_sub_f32_e32 v4, v12, v4
	global_store_short_d16_hi v[2:3], v4, off offset:96
	v_mul_f32_e32 v2, v32, v4
	v_lshrrev_b32_e32 v14, 16, v2
.LBB65_96:
	s_or_b64 exec, exec, s[2:3]
	v_or_b32_e32 v12, 0x6000, v26
	v_or_b32_e32 v2, 0x6000, v27
	;; [unrolled: 1-line block ×4, first 2 shown]
	s_and_saveexec_b64 s[2:3], s[0:1]
	s_cbranch_execz .LBB65_98
; %bb.97:
	v_mov_b32_e32 v11, 0
	v_lshl_add_u64 v[8:9], v[8:9], 0, v[10:11]
	global_load_ushort v8, v[8:9], off offset:96
	v_lshl_add_u64 v[6:7], v[6:7], 0, v[10:11]
	s_waitcnt vmcnt(0)
	v_lshlrev_b32_e32 v8, 16, v8
	v_sub_f32_e32 v5, v8, v5
	global_store_short_d16_hi v[6:7], v5, off offset:96
	v_mul_f32_e32 v5, v21, v5
	v_lshrrev_b32_e32 v11, 16, v5
.LBB65_98:
	s_or_b64 exec, exec, s[2:3]
	s_mov_b32 s0, 0x5040100
	v_or_b32_e32 v5, v33, v19
	v_perm_b32 v7, v11, v14, s0
	v_perm_b32 v6, v15, v13, s0
	v_lshlrev_b32_e32 v5, 1, v5
	ds_write_b64 v5, v[6:7] offset:24576
	v_and_b32_e32 v5, 7, v0
	v_and_b32_e32 v10, 8, v0
	v_lshlrev_b32_e32 v13, 3, v5
	v_lshlrev_b32_e32 v19, 7, v5
	v_lshrrev_b32_e32 v5, 1, v0
	v_and_b32_e32 v5, 24, v5
	v_mov_b32_e32 v11, 0x400
	v_cmp_eq_u32_e32 vcc, 0, v10
	s_movk_i32 s2, 0x100
	v_lshlrev_b32_e32 v25, 3, v1
	v_cndmask_b32_e64 v21, v11, 64, vcc
	v_mov_b32_e32 v10, 0xa000
	v_mov_b32_e32 v11, 0x8000
	v_cmp_gt_u32_e64 s[0:1], s2, v0
	v_xor_b32_e32 v42, v25, v5
	v_or_b32_e32 v14, 32, v5
	v_cndmask_b32_e64 v0, v10, v11, s[0:1]
	v_or_b32_e32 v10, 0x440, v42
	v_cndmask_b32_e32 v10, v10, v42, vcc
	v_or_b32_e32 v10, v10, v24
	v_xor_b32_e32 v47, v10, v13
	v_xor_b32_e32 v14, v25, v14
	v_add3_u32 v10, v0, v47, v19
	v_or_b32_e32 v15, 0x440, v14
	s_waitcnt lgkmcnt(0)
	s_barrier
	ds_read_b64 v[10:11], v10
	v_cndmask_b32_e32 v14, v15, v14, vcc
	v_or_b32_e32 v14, v14, v24
	v_xor_b32_e32 v88, v14, v13
	v_add3_u32 v14, v0, v88, v19
	ds_read_b64 v[22:23], v14
	ds_read2_b64 v[6:9], v12 offset1:16
	ds_read2_b64 v[14:17], v12 offset0:32 offset1:48
	v_or_b32_e32 v5, 0x60, v5
	v_xor_b32_e32 v5, v25, v5
	s_waitcnt lgkmcnt(1)
	v_mfma_f32_16x16x16_bf16 a[0:3], v[10:11], v[6:7], 0
	s_mul_i32 s0, s17, s29
	ds_read2st64_b64 v[26:29], v12 offset0:4 offset1:8
	ds_read2st64_b64 v[30:33], v2 offset0:4 offset1:8
	v_mfma_f32_16x16x16_bf16 a[4:7], v[10:11], v[8:9], 0
	s_mul_hi_i32 s1, s17, s29
	ds_read2st64_b64 v[34:37], v3 offset0:4 offset1:8
	ds_read2st64_b64 v[38:41], v4 offset0:4 offset1:8
	s_waitcnt lgkmcnt(4)
	v_mfma_f32_16x16x16_bf16 a[8:11], v[10:11], v[14:15], 0
	s_add_u32 s0, s0, s33
	s_addc_u32 s1, s1, s48
	s_lshl_b64 s[0:1], s[0:1], 9
	v_mfma_f32_16x16x16_bf16 a[12:15], v[10:11], v[16:17], 0
	v_or3_b32 v10, v24, v21, v42
	v_xor_b32_e32 v21, 0x440, v5
	v_cndmask_b32_e32 v5, v21, v5, vcc
	v_xor_b32_e32 v10, v10, v13
	v_or_b32_e32 v5, v5, v24
	v_or_b32_e32 v90, v10, v19
	v_xor_b32_e32 v89, v5, v13
	v_or_b32_e32 v10, v0, v90
	v_add3_u32 v0, v0, v89, v19
	s_add_u32 s0, s8, s0
	ds_read_b64 v[10:11], v10
	ds_read_b64 v[24:25], v0
	s_addc_u32 s1, s9, s1
	v_lshlrev_b32_e32 v0, 2, v20
	s_waitcnt lgkmcnt(5)
	v_mfma_f32_16x16x16_bf16 a[0:3], v[22:23], v[26:27], a[0:3]
	ds_read_b64 v[12:13], v12 offset:6144
	s_waitcnt lgkmcnt(5)
	v_mfma_f32_16x16x16_bf16 a[4:7], v[22:23], v[30:31], a[4:7]
	s_waitcnt lgkmcnt(4)
	v_mfma_f32_16x16x16_bf16 a[8:11], v[22:23], v[34:35], a[8:11]
	;; [unrolled: 2-line block ×3, first 2 shown]
	global_load_dwordx4 v[20:23], v0, s[0:1]
	v_lshlrev_b32_e32 v0, 6, v1
	v_lshlrev_b32_e32 v1, 2, v18
	v_or3_b32 v0, v0, v1, s2
	s_waitcnt lgkmcnt(2)
	v_mfma_f32_16x16x16_bf16 a[0:3], v[10:11], v[28:29], a[0:3]
	s_waitcnt vmcnt(0)
	v_mul_f32_e32 v20, 0x3fb8aa3b, v20
	v_mfma_f32_16x16x16_bf16 a[4:7], v[10:11], v[32:33], a[4:7]
	v_mul_f32_e32 v21, 0x3fb8aa3b, v21
	v_exp_f32_e32 v20, v20
	v_exp_f32_e32 v21, v21
	v_mfma_f32_16x16x16_bf16 a[8:11], v[10:11], v[36:37], a[8:11]
	v_mfma_f32_16x16x16_bf16 a[12:15], v[10:11], v[40:41], a[12:15]
	ds_read_b64 v[10:11], v2 offset:6144
	ds_read_b64 v[42:43], v3 offset:6144
	;; [unrolled: 1-line block ×3, first 2 shown]
	global_load_dwordx4 v[0:3], v0, s[0:1]
	v_mov_b32_e32 v4, 0x3fb8aa3b
	v_mul_f32_e32 v4, s16, v4
	v_exp_f32_e32 v18, v4
	v_add_u32_e32 v4, v47, v19
	ds_read_b64 v[4:5], v4 offset:40960
	s_waitcnt lgkmcnt(4)
	v_mfma_f32_16x16x16_bf16 a[0:3], v[24:25], v[12:13], a[0:3]
	s_waitcnt vmcnt(0)
	v_mul_f32_e32 v0, 0x3fb8aa3b, v0
	s_waitcnt lgkmcnt(3)
	v_mfma_f32_16x16x16_bf16 a[4:7], v[24:25], v[10:11], a[4:7]
	v_exp_f32_e32 v0, v0
	s_waitcnt lgkmcnt(2)
	v_mfma_f32_16x16x16_bf16 a[8:11], v[24:25], v[42:43], a[8:11]
	s_waitcnt lgkmcnt(1)
	v_mfma_f32_16x16x16_bf16 a[12:15], v[24:25], v[44:45], a[12:15]
	v_add_u32_e32 v24, v88, v19
	v_add_u32_e32 v19, v89, v19
	ds_read_b64 v[24:25], v24 offset:40960
	ds_read_b64 v[88:89], v19 offset:40960
	s_waitcnt lgkmcnt(2)
	v_mfma_f32_16x16x16_bf16 a[16:19], v[4:5], v[6:7], 0
	v_mul_f32_e32 v6, 0x3fb8aa3b, v22
	v_mul_f32_e32 v7, 0x3fb8aa3b, v23
	v_accvgpr_read_b32 v23, a1
	v_mfma_f32_16x16x16_bf16 a[20:23], v[4:5], v[8:9], 0
	v_pk_mul_f32 v[8:9], v[18:19], v[20:21] op_sel_hi:[0,1]
	v_accvgpr_read_b32 v22, a0
	v_pk_fma_f32 v[82:83], v[82:83], v[8:9], v[22:23]
	ds_read_b64 v[22:23], v90 offset:40960
	v_exp_f32_e32 v6, v6
	v_exp_f32_e32 v7, v7
	v_mfma_f32_16x16x16_bf16 a[24:27], v[4:5], v[14:15], 0
	v_accvgpr_read_b32 v15, a3
	v_accvgpr_read_b32 v14, a2
	v_pk_mul_f32 v[6:7], v[18:19], v[6:7] op_sel_hi:[0,1]
	v_mfma_f32_16x16x16_bf16 a[28:31], v[4:5], v[16:17], 0
	v_accvgpr_read_b32 v5, a7
	v_accvgpr_read_b32 v4, a6
	v_pk_fma_f32 v[78:79], v[6:7], v[78:79], v[4:5]
	s_waitcnt lgkmcnt(2)
	v_mfma_f32_16x16x16_bf16 a[16:19], v[24:25], v[26:27], a[16:19]
	v_accvgpr_read_b32 v4, a8
	v_accvgpr_read_b32 v5, a9
	v_pk_fma_f32 v[66:67], v[8:9], v[66:67], v[4:5]
	v_mfma_f32_16x16x16_bf16 a[20:23], v[24:25], v[30:31], a[20:23]
	v_accvgpr_read_b32 v4, a12
	v_accvgpr_read_b32 v17, a11
	v_accvgpr_read_b32 v16, a10
	v_mfma_f32_16x16x16_bf16 a[0:3], v[24:25], v[34:35], a[24:27]
	v_pk_fma_f32 v[86:87], v[86:87], v[6:7], v[14:15]
	v_accvgpr_read_b32 v15, a5
	v_accvgpr_read_b32 v5, a13
	s_waitcnt lgkmcnt(0)
	v_mfma_f32_16x16x16_bf16 a[8:11], v[22:23], v[28:29], a[16:19]
	v_accvgpr_read_b32 v21, a15
	v_accvgpr_read_b32 v20, a14
	;; [unrolled: 1-line block ×3, first 2 shown]
	v_mfma_f32_16x16x16_bf16 a[4:7], v[24:25], v[38:39], a[28:31]
	v_pk_fma_f32 v[58:59], v[8:9], v[58:59], v[4:5]
	v_mov_b32_e32 v4, v3
	v_mov_b32_e32 v3, v2
	v_mfma_f32_16x16x16_bf16 a[12:15], v[22:23], v[32:33], a[20:23]
	v_mov_b32_e32 v2, v1
	v_mul_f32_e32 v1, 0x3fb8aa3b, v2
	v_mul_f32_e32 v2, 0x3fb8aa3b, v3
	v_mfma_f32_16x16x16_bf16 a[0:3], v[22:23], v[36:37], a[0:3]
	v_mul_f32_e32 v3, 0x3fb8aa3b, v4
	v_exp_f32_e32 v2, v2
	v_exp_f32_e32 v3, v3
	v_mfma_f32_16x16x16_bf16 a[8:11], v[88:89], v[12:13], a[8:11]
	v_exp_f32_e32 v1, v1
	v_pk_fma_f32 v[74:75], v[8:9], v[74:75], v[14:15]
	v_pk_mul_f32 v[2:3], v[18:19], v[2:3] op_sel_hi:[0,1]
	v_mfma_f32_16x16x16_bf16 a[4:7], v[22:23], v[40:41], a[4:7]
	v_pk_mul_f32 v[0:1], v[18:19], v[0:1] op_sel_hi:[0,1]
	v_pk_fma_f32 v[70:71], v[6:7], v[70:71], v[16:17]
	v_pk_fma_f32 v[62:63], v[6:7], v[62:63], v[20:21]
	v_mfma_f32_16x16x16_bf16 a[12:15], v[88:89], v[10:11], a[12:15]
	v_accvgpr_read_b32 v5, a11
	v_accvgpr_read_b32 v4, a10
	v_pk_fma_f32 v[84:85], v[84:85], v[2:3], v[4:5]
	v_mfma_f32_16x16x16_bf16 a[0:3], v[88:89], v[42:43], a[0:3]
	v_accvgpr_read_b32 v13, a9
	v_accvgpr_read_b32 v12, a8
	v_pk_fma_f32 v[80:81], v[80:81], v[0:1], v[12:13]
	v_accvgpr_read_b32 v4, a12
	v_accvgpr_read_b32 v5, a13
	v_pk_fma_f32 v[72:73], v[0:1], v[72:73], v[4:5]
	v_accvgpr_read_b32 v7, a15
	v_accvgpr_read_b32 v9, a3
	v_accvgpr_read_b32 v8, a2
	v_mfma_f32_16x16x16_bf16 a[2:5], v[88:89], v[44:45], a[4:7]
	v_accvgpr_read_b32 v5, a1
	v_accvgpr_read_b32 v4, a0
	v_pk_fma_f32 v[64:65], v[0:1], v[64:65], v[4:5]
	v_accvgpr_read_b32 v6, a14
	v_pk_fma_f32 v[76:77], v[2:3], v[76:77], v[6:7]
	v_pk_fma_f32 v[68:69], v[2:3], v[68:69], v[8:9]
	s_nop 0
	v_accvgpr_read_b32 v5, a3
	v_accvgpr_read_b32 v11, a5
	;; [unrolled: 1-line block ×4, first 2 shown]
	v_pk_fma_f32 v[56:57], v[0:1], v[56:57], v[4:5]
	v_pk_fma_f32 v[60:61], v[2:3], v[60:61], v[10:11]
.LBB65_99:
	s_add_u32 s0, s24, s26
	s_addc_u32 s1, s25, s27
	v_lshl_add_u64 v[0:1], v[48:49], 1, s[0:1]
	v_mov_b32_e32 v47, 0
	s_mov_b32 s2, 0x7060302
	v_lshl_add_u64 v[0:1], v[0:1], 0, v[46:47]
	v_perm_b32 v3, v87, v86, s2
	v_perm_b32 v2, v83, v82, s2
	global_store_dwordx2 v[0:1], v[2:3], off
	v_perm_b32 v3, v85, v84, s2
	v_perm_b32 v2, v81, v80, s2
	global_store_dwordx2 v[0:1], v[2:3], off offset:128
	v_lshl_add_u64 v[0:1], v[50:51], 1, s[0:1]
	v_lshl_add_u64 v[0:1], v[0:1], 0, v[46:47]
	v_perm_b32 v3, v79, v78, s2
	v_perm_b32 v2, v75, v74, s2
	global_store_dwordx2 v[0:1], v[2:3], off
	v_perm_b32 v3, v77, v76, s2
	v_perm_b32 v2, v73, v72, s2
	global_store_dwordx2 v[0:1], v[2:3], off offset:128
	v_lshl_add_u64 v[0:1], v[52:53], 1, s[0:1]
	;; [unrolled: 8-line block ×3, first 2 shown]
	v_lshl_add_u64 v[0:1], v[0:1], 0, v[46:47]
	v_perm_b32 v3, v63, v62, s2
	v_perm_b32 v2, v59, v58, s2
	global_store_dwordx2 v[0:1], v[2:3], off
	v_perm_b32 v3, v61, v60, s2
	v_perm_b32 v2, v57, v56, s2
	global_store_dwordx2 v[0:1], v[2:3], off offset:128
	s_endpgm
	.section	.rodata,"a",@progbits
	.p2align	6, 0x0
	.amdhsa_kernel _ZN12_GLOBAL__N_139chunk_gated_delta_rule_fwd_h_hip_kernelILi64ELb1ELb1ELb1ELb1ELb0ELb1ELb1ELb1EEEvPK12hip_bfloat16S3_S3_PKfS5_PKvPS1_S8_PvPKiSB_iiiiilll
		.amdhsa_group_segment_fixed_size 65536
		.amdhsa_private_segment_fixed_size 0
		.amdhsa_kernarg_size 136
		.amdhsa_user_sgpr_count 2
		.amdhsa_user_sgpr_dispatch_ptr 0
		.amdhsa_user_sgpr_queue_ptr 0
		.amdhsa_user_sgpr_kernarg_segment_ptr 1
		.amdhsa_user_sgpr_dispatch_id 0
		.amdhsa_user_sgpr_kernarg_preload_length 0
		.amdhsa_user_sgpr_kernarg_preload_offset 0
		.amdhsa_user_sgpr_private_segment_size 0
		.amdhsa_uses_dynamic_stack 0
		.amdhsa_enable_private_segment 0
		.amdhsa_system_sgpr_workgroup_id_x 1
		.amdhsa_system_sgpr_workgroup_id_y 1
		.amdhsa_system_sgpr_workgroup_id_z 0
		.amdhsa_system_sgpr_workgroup_info 0
		.amdhsa_system_vgpr_workitem_id 0
		.amdhsa_next_free_vgpr 240
		.amdhsa_next_free_sgpr 69
		.amdhsa_accum_offset 200
		.amdhsa_reserve_vcc 1
		.amdhsa_float_round_mode_32 0
		.amdhsa_float_round_mode_16_64 0
		.amdhsa_float_denorm_mode_32 3
		.amdhsa_float_denorm_mode_16_64 3
		.amdhsa_dx10_clamp 1
		.amdhsa_ieee_mode 1
		.amdhsa_fp16_overflow 0
		.amdhsa_tg_split 0
		.amdhsa_exception_fp_ieee_invalid_op 0
		.amdhsa_exception_fp_denorm_src 0
		.amdhsa_exception_fp_ieee_div_zero 0
		.amdhsa_exception_fp_ieee_overflow 0
		.amdhsa_exception_fp_ieee_underflow 0
		.amdhsa_exception_fp_ieee_inexact 0
		.amdhsa_exception_int_div_zero 0
	.end_amdhsa_kernel
	.section	.text._ZN12_GLOBAL__N_139chunk_gated_delta_rule_fwd_h_hip_kernelILi64ELb1ELb1ELb1ELb1ELb0ELb1ELb1ELb1EEEvPK12hip_bfloat16S3_S3_PKfS5_PKvPS1_S8_PvPKiSB_iiiiilll,"axG",@progbits,_ZN12_GLOBAL__N_139chunk_gated_delta_rule_fwd_h_hip_kernelILi64ELb1ELb1ELb1ELb1ELb0ELb1ELb1ELb1EEEvPK12hip_bfloat16S3_S3_PKfS5_PKvPS1_S8_PvPKiSB_iiiiilll,comdat
.Lfunc_end65:
	.size	_ZN12_GLOBAL__N_139chunk_gated_delta_rule_fwd_h_hip_kernelILi64ELb1ELb1ELb1ELb1ELb0ELb1ELb1ELb1EEEvPK12hip_bfloat16S3_S3_PKfS5_PKvPS1_S8_PvPKiSB_iiiiilll, .Lfunc_end65-_ZN12_GLOBAL__N_139chunk_gated_delta_rule_fwd_h_hip_kernelILi64ELb1ELb1ELb1ELb1ELb0ELb1ELb1ELb1EEEvPK12hip_bfloat16S3_S3_PKfS5_PKvPS1_S8_PvPKiSB_iiiiilll
                                        ; -- End function
	.section	.AMDGPU.csdata,"",@progbits
; Kernel info:
; codeLenInByte = 13216
; NumSgprs: 75
; NumVgprs: 200
; NumAgprs: 40
; TotalNumVgprs: 240
; ScratchSize: 0
; MemoryBound: 0
; FloatMode: 240
; IeeeMode: 1
; LDSByteSize: 65536 bytes/workgroup (compile time only)
; SGPRBlocks: 9
; VGPRBlocks: 29
; NumSGPRsForWavesPerEU: 75
; NumVGPRsForWavesPerEU: 240
; AccumOffset: 200
; Occupancy: 1
; WaveLimiterHint : 1
; COMPUTE_PGM_RSRC2:SCRATCH_EN: 0
; COMPUTE_PGM_RSRC2:USER_SGPR: 2
; COMPUTE_PGM_RSRC2:TRAP_HANDLER: 0
; COMPUTE_PGM_RSRC2:TGID_X_EN: 1
; COMPUTE_PGM_RSRC2:TGID_Y_EN: 1
; COMPUTE_PGM_RSRC2:TGID_Z_EN: 0
; COMPUTE_PGM_RSRC2:TIDIG_COMP_CNT: 0
; COMPUTE_PGM_RSRC3_GFX90A:ACCUM_OFFSET: 49
; COMPUTE_PGM_RSRC3_GFX90A:TG_SPLIT: 0
	.section	.text._ZN12_GLOBAL__N_139chunk_gated_delta_rule_fwd_h_hip_kernelILi64ELb1ELb1ELb0ELb1ELb0ELb1ELb1ELb1EEEvPK12hip_bfloat16S3_S3_PKfS5_PKvPS1_S8_PvPKiSB_iiiiilll,"axG",@progbits,_ZN12_GLOBAL__N_139chunk_gated_delta_rule_fwd_h_hip_kernelILi64ELb1ELb1ELb0ELb1ELb0ELb1ELb1ELb1EEEvPK12hip_bfloat16S3_S3_PKfS5_PKvPS1_S8_PvPKiSB_iiiiilll,comdat
	.globl	_ZN12_GLOBAL__N_139chunk_gated_delta_rule_fwd_h_hip_kernelILi64ELb1ELb1ELb0ELb1ELb0ELb1ELb1ELb1EEEvPK12hip_bfloat16S3_S3_PKfS5_PKvPS1_S8_PvPKiSB_iiiiilll ; -- Begin function _ZN12_GLOBAL__N_139chunk_gated_delta_rule_fwd_h_hip_kernelILi64ELb1ELb1ELb0ELb1ELb0ELb1ELb1ELb1EEEvPK12hip_bfloat16S3_S3_PKfS5_PKvPS1_S8_PvPKiSB_iiiiilll
	.p2align	8
	.type	_ZN12_GLOBAL__N_139chunk_gated_delta_rule_fwd_h_hip_kernelILi64ELb1ELb1ELb0ELb1ELb0ELb1ELb1ELb1EEEvPK12hip_bfloat16S3_S3_PKfS5_PKvPS1_S8_PvPKiSB_iiiiilll,@function
_ZN12_GLOBAL__N_139chunk_gated_delta_rule_fwd_h_hip_kernelILi64ELb1ELb1ELb0ELb1ELb0ELb1ELb1ELb1EEEvPK12hip_bfloat16S3_S3_PKfS5_PKvPS1_S8_PvPKiSB_iiiiilll: ; @_ZN12_GLOBAL__N_139chunk_gated_delta_rule_fwd_h_hip_kernelILi64ELb1ELb1ELb0ELb1ELb0ELb1ELb1ELb1EEEvPK12hip_bfloat16S3_S3_PKfS5_PKvPS1_S8_PvPKiSB_iiiiilll
; %bb.0:
	s_load_dwordx4 s[16:19], s[0:1], 0x5c
	s_load_dwordx4 s[24:27], s[0:1], 0x70
	s_abs_i32 s7, s3
	s_ashr_i32 s6, s3, 31
	s_load_dwordx4 s[12:15], s[0:1], 0x40
	s_load_dwordx2 s[4:5], s[0:1], 0x50
	s_waitcnt lgkmcnt(0)
	s_abs_i32 s10, s17
	v_cvt_f32_u32_e32 v1, s10
	s_sub_i32 s8, 0, s10
	s_ashr_i32 s11, s17, 31
	s_xor_b32 s6, s6, s11
	v_rcp_iflag_f32_e32 v1, v1
	v_and_b32_e32 v97, 15, v0
	v_bfe_u32 v96, v0, 4, 2
	v_mov_b32_e32 v47, 0
	v_mul_f32_e32 v1, 0x4f7ffffe, v1
	v_cvt_u32_f32_e32 v1, v1
	v_lshlrev_b32_e32 v98, 3, v0
	v_readfirstlane_b32 s9, v1
	s_mul_i32 s8, s8, s9
	s_mul_hi_u32 s8, s9, s8
	s_add_i32 s9, s9, s8
	s_mul_hi_u32 s8, s7, s9
	s_mul_i32 s9, s8, s10
	s_sub_i32 s7, s7, s9
	s_add_i32 s20, s8, 1
	s_sub_i32 s9, s7, s10
	s_cmp_ge_u32 s7, s10
	s_cselect_b32 s8, s20, s8
	s_cselect_b32 s7, s9, s7
	s_add_i32 s9, s8, 1
	s_cmp_ge_u32 s7, s10
	s_cselect_b32 s7, s9, s8
	s_xor_b32 s7, s7, s6
	s_sub_i32 s28, s7, s6
	s_mul_i32 s36, s28, s17
	s_ashr_i32 s29, s28, 31
	s_sub_i32 s33, s3, s36
	s_lshl_b64 s[6:7], s[28:29], 2
	s_add_u32 s8, s14, s6
	s_addc_u32 s9, s15, s7
	s_add_u32 s30, s4, s6
	s_addc_u32 s31, s5, s7
	s_abs_i32 s3, s18
	v_cvt_f32_u32_e32 v1, s3
	s_load_dwordx2 s[34:35], s[8:9], 0x0
	s_sub_i32 s5, 0, s3
	s_lshl_b32 s2, s2, 6
	v_rcp_iflag_f32_e32 v1, v1
	s_load_dwordx4 s[20:23], s[0:1], 0x20
	s_load_dwordx2 s[40:41], s[0:1], 0x30
	s_waitcnt lgkmcnt(0)
	s_sub_i32 s54, s35, s34
	s_ashr_i32 s4, s54, 31
	v_mul_f32_e32 v1, 0x4f7ffffe, v1
	v_cvt_u32_f32_e32 v1, v1
	s_lshr_b32 s4, s4, 26
	s_add_i32 s4, s54, s4
	s_ashr_i32 s53, s4, 6
	v_readfirstlane_b32 s6, v1
	s_mul_i32 s5, s5, s6
	s_mul_hi_u32 s5, s6, s5
	s_add_i32 s6, s6, s5
	s_mul_hi_u32 s5, s10, s6
	s_mul_i32 s6, s5, s3
	s_ashr_i32 s4, s18, 31
	s_sub_i32 s6, s10, s6
	s_xor_b32 s4, s11, s4
	s_add_i32 s7, s5, 1
	s_sub_i32 s8, s6, s3
	s_cmp_ge_u32 s6, s3
	s_cselect_b32 s5, s7, s5
	s_cselect_b32 s6, s8, s6
	s_add_i32 s7, s5, 1
	s_cmp_ge_u32 s6, s3
	s_cselect_b32 s3, s7, s5
	s_xor_b32 s3, s3, s4
	s_sub_i32 s3, s3, s4
	s_abs_i32 s4, s3
	v_cvt_f32_u32_e32 v1, s4
	s_sub_i32 s6, 0, s4
	s_abs_i32 s5, s33
	s_xor_b32 s3, s33, s3
	v_rcp_iflag_f32_e32 v2, v1
	s_ashr_i32 s3, s3, 31
	v_or_b32_e32 v88, s2, v97
	v_lshrrev_b32_e32 v1, 6, v0
	v_mul_f32_e32 v2, 0x4f7ffffe, v2
	v_cvt_u32_f32_e32 v2, v2
	v_lshlrev_b32_e32 v48, 7, v88
	v_lshlrev_b32_e32 v45, 4, v1
	v_or_b32_e32 v50, 0x800, v48
	v_readfirstlane_b32 s7, v2
	s_mul_i32 s6, s6, s7
	s_mul_hi_u32 s6, s7, s6
	s_add_i32 s7, s7, s6
	s_mul_hi_u32 s6, s5, s7
	s_mul_i32 s7, s6, s4
	s_sub_i32 s5, s5, s7
	s_add_i32 s7, s6, 1
	s_sub_i32 s8, s5, s4
	s_cmp_ge_u32 s5, s4
	s_cselect_b32 s6, s7, s6
	s_cselect_b32 s5, s8, s5
	s_add_i32 s7, s6, 1
	s_cmp_ge_u32 s5, s4
	s_cselect_b32 s4, s7, s6
	s_xor_b32 s4, s4, s3
	s_sub_i32 s55, s4, s3
	s_ashr_i32 s46, s33, 31
	s_mul_hi_i32 s3, s28, s17
	s_add_u32 s4, s36, s33
	s_addc_u32 s5, s3, s46
	s_lshl_b64 s[14:15], s[4:5], 15
	s_add_u32 s4, s22, s14
	v_lshl_or_b32 v100, v96, 2, v45
	s_addc_u32 s5, s23, s15
	v_ashrrev_i32_e32 v49, 31, v48
	v_ashrrev_i32_e32 v51, 31, v50
	v_lshl_add_u64 v[2:3], v[48:49], 1, s[4:5]
	v_lshlrev_b32_e32 v46, 1, v100
	v_lshl_add_u64 v[6:7], v[50:51], 1, s[4:5]
	v_or_b32_e32 v52, 0x1000, v48
	v_or_b32_e32 v54, 0x1800, v48
	v_lshl_add_u64 v[2:3], v[2:3], 0, v[46:47]
	v_lshl_add_u64 v[6:7], v[6:7], 0, v[46:47]
	v_ashrrev_i32_e32 v53, 31, v52
	v_ashrrev_i32_e32 v55, 31, v54
	global_load_dwordx2 v[4:5], v[2:3], off
	v_lshl_add_u64 v[14:15], v[54:55], 1, s[4:5]
	global_load_dwordx2 v[2:3], v[2:3], off offset:128
	s_nop 0
	global_load_dwordx2 v[8:9], v[6:7], off
	global_load_dwordx2 v[10:11], v[6:7], off offset:128
	v_lshl_add_u64 v[6:7], v[52:53], 1, s[4:5]
	v_lshl_add_u64 v[6:7], v[6:7], 0, v[46:47]
	;; [unrolled: 1-line block ×3, first 2 shown]
	global_load_dwordx2 v[12:13], v[6:7], off
	v_and_b32_e32 v47, 63, v0
	global_load_dwordx2 v[6:7], v[6:7], off offset:128
	s_nop 0
	global_load_dwordx2 v[16:17], v[14:15], off
	global_load_dwordx2 v[18:19], v[14:15], off offset:128
	s_load_dwordx8 s[4:11], s[0:1], 0x0
	s_load_dwordx2 s[22:23], s[0:1], 0x80
	s_load_dword s58, s[30:31], 0x0
	v_lshrrev_b32_e32 v99, 3, v47
	v_or_b32_e32 v101, 64, v100
	s_mul_i32 s47, s28, s25
	s_mul_hi_i32 s56, s33, s16
	s_mul_i32 s57, s33, s16
	s_cmp_lt_i32 s54, 64
	s_mul_hi_u32 s49, s28, s24
	s_mul_i32 s48, s29, s24
	s_mul_i32 s38, s28, s24
	;; [unrolled: 1-line block ×3, first 2 shown]
	s_mul_hi_u32 s51, s33, s26
	s_mul_i32 s52, s46, s26
	s_mul_i32 s36, s33, s26
	s_waitcnt vmcnt(7)
	v_and_b32_e32 v83, 0xffff0000, v4
	v_lshlrev_b32_e32 v82, 16, v4
	v_and_b32_e32 v87, 0xffff0000, v5
	v_lshlrev_b32_e32 v86, 16, v5
	s_waitcnt vmcnt(6)
	v_and_b32_e32 v81, 0xffff0000, v2
	v_lshlrev_b32_e32 v80, 16, v2
	v_and_b32_e32 v85, 0xffff0000, v3
	v_lshlrev_b32_e32 v84, 16, v3
	;; [unrolled: 5-line block ×8, first 2 shown]
	s_cbranch_scc1 .LBB66_18
; %bb.1:
	s_ashr_i32 s1, s34, 31
	s_add_u32 s0, s57, s34
	s_addc_u32 s1, s56, s1
	s_lshl_b64 s[0:1], s[0:1], 8
	v_and_b32_e32 v103, 56, v98
	s_waitcnt lgkmcnt(0)
	s_add_u32 s24, s6, s0
	v_lshl_or_b32 v102, v1, 3, v99
	v_lshlrev_b32_e32 v2, 1, v103
	s_addc_u32 s0, s7, s1
	v_lshl_or_b32 v104, v102, 8, v2
	s_and_b32 s25, s0, 0xffff
	s_mov_b32 s27, 0x20000
	s_movk_i32 s26, 0x4000
	s_movk_i32 s0, 0x80
	v_or_b32_e32 v105, 0x2000, v104
	buffer_load_dwordx4 v[4:7], v104, s[24:27], 0 offen
	buffer_load_dwordx4 v[8:11], v104, s[24:27], s0 offen
	;; [unrolled: 1-line block ×4, first 2 shown]
	v_lshlrev_b32_e32 v3, 3, v102
	v_and_or_b32 v21, v0, 7, v3
	v_and_b32_e32 v3, 0x78, v3
	v_lshlrev_b32_e32 v21, 4, v21
	v_xor_b32_e32 v106, v21, v3
	v_mul_lo_u32 v20, v102, s19
	v_or_b32_e32 v107, 0x1000, v106
	v_xor_b32_e32 v3, 8, v106
	s_cmpk_eq_i32 s19, 0x80
	s_mov_b32 s59, s34
	v_xor_b32_e32 v21, 8, v107
	s_cselect_b64 s[0:1], -1, 0
	s_cmpk_lg_i32 s19, 0x80
	s_waitcnt vmcnt(3)
	ds_write_b64 v106, v[4:5] offset:49152
	ds_write_b64 v3, v[6:7] offset:49152
	s_waitcnt vmcnt(2)
	ds_write_b64 v106, v[8:9] offset:57344
	ds_write_b64 v3, v[10:11] offset:57344
	;; [unrolled: 3-line block ×4, first 2 shown]
	v_lshl_add_u32 v3, v20, 1, v103
	s_cbranch_scc0 .LBB66_3
; %bb.2:
	v_lshlrev_b32_e32 v5, 1, v3
	v_add_lshl_u32 v4, v3, s19, 1
	s_lshl_b32 s26, s19, 7
	v_lshl_or_b32 v2, v102, 9, v2
	s_cbranch_execz .LBB66_4
	s_branch .LBB66_5
.LBB66_3:
                                        ; implicit-def: $vgpr4
                                        ; implicit-def: $vgpr5
                                        ; implicit-def: $sgpr26
	v_lshl_or_b32 v2, v102, 9, v2
.LBB66_4:
	v_or_b32_e32 v4, 0x100, v2
	s_movk_i32 s26, 0x4000
	v_mov_b32_e32 v5, v2
.LBB66_5:
	s_mul_i32 s24, s34, s18
	s_ashr_i32 s60, s55, 31
	s_mul_hi_i32 s3, s34, s18
	s_add_u32 s24, s24, s55
	s_addc_u32 s25, s3, s60
	s_lshl_b64 s[24:25], s[24:25], 8
	s_add_u32 s24, s4, s24
	s_addc_u32 s3, s5, s25
	s_and_b32 s25, s3, 0xffff
	s_movk_i32 s61, 0x80
	buffer_load_dwordx4 v[6:9], v5, s[24:27], 0 offen
	buffer_load_dwordx4 v[10:13], v5, s[24:27], s61 offen
	;; [unrolled: 1-line block ×4, first 2 shown]
	v_and_b32_e32 v5, 6, v0
	v_lshlrev_b32_e32 v4, 7, v100
	v_xor_b32_e32 v27, v102, v5
	v_and_b32_e32 v22, 1, v0
	v_lshl_or_b32 v30, v97, 3, v4
	v_lshlrev_b32_e32 v27, 2, v27
	v_lshlrev_b32_e32 v23, 2, v97
	v_or_b32_e32 v108, 0x4000, v30
	v_or_b32_e32 v109, 0x6000, v30
	v_xor_b32_e32 v30, 0x440, v27
	v_cmp_eq_u32_e32 vcc, 0, v22
	v_or_b32_e32 v25, 16, v97
	v_or_b32_e32 v26, 32, v97
	v_xor_b32_e32 v28, v100, v23
	v_xor_b32_e32 v29, v101, v23
	v_cndmask_b32_e32 v22, v30, v27, vcc
	s_mov_b32 s62, 0x1000504
	v_lshl_or_b32 v31, v25, 3, v4
	v_lshlrev_b32_e32 v25, 8, v25
	v_lshl_or_b32 v32, v26, 3, v4
	v_lshlrev_b32_e32 v28, 1, v28
	v_lshlrev_b32_e32 v29, 1, v29
	v_lshl_or_b32 v5, v5, 10, v22
	s_add_i32 s3, s49, s47
	s_mov_b32 s63, 0x3020706
	v_lshlrev_b32_e32 v24, 8, v97
	v_or_b32_e32 v112, 0x4000, v32
	v_or_b32_e32 v113, 0x6000, v32
	v_or_b32_e32 v116, v25, v28
	v_or_b32_e32 v117, v25, v29
	v_xor_b32_e32 v22, 8, v5
	v_xor_b32_e32 v25, 24, v5
	;; [unrolled: 1-line block ×4, first 2 shown]
	s_add_i32 s39, s3, s48
	s_add_i32 s3, s51, s50
	v_or_b32_e32 v110, 0x4000, v31
	v_or_b32_e32 v111, 0x6000, v31
	;; [unrolled: 1-line block ×4, first 2 shown]
	v_xor_b32_e32 v24, 16, v5
	v_xor_b32_e32 v27, 32, v5
	;; [unrolled: 1-line block ×3, first 2 shown]
	v_add_u32_e32 v22, 0x80, v22
	v_add_u32_e32 v25, 0x80, v25
	;; [unrolled: 1-line block ×4, first 2 shown]
	s_add_i32 s37, s3, s52
	s_lshl_b64 s[24:25], s[38:39], 2
	s_add_u32 s3, s10, s24
	s_addc_u32 s28, s11, s25
	s_lshl_b64 s[24:25], s[36:37], 2
	s_add_u32 s42, s3, s24
	s_movk_i32 s3, 0xf8
	s_addc_u32 s43, s28, s25
	s_lshl_b32 s30, s19, 7
	s_movk_i32 s28, 0x100
	v_mov_b32_e32 v91, 0
	v_lshlrev_b32_e32 v90, 4, v97
	v_lshlrev_b32_e32 v26, 8, v26
	v_ashrrev_i32_e32 v89, 31, v88
	s_mov_b32 s64, 0
	s_movk_i32 s26, 0x4000
	v_or_b32_e32 v118, v26, v28
	v_or_b32_e32 v119, v26, v29
	v_lshl_add_u64 v[92:93], v[88:89], 1, s[8:9]
	s_movk_i32 s37, 0x2000
	s_movk_i32 s39, 0x3000
	v_mov_b32_e32 v153, 0x3fb8aa3b
	s_waitcnt vmcnt(1)
	v_perm_b32 v33, v6, v14, s62
	s_waitcnt vmcnt(0)
	v_perm_b32 v34, v10, v18, s62
	v_perm_b32 v6, v6, v14, s63
	v_perm_b32 v10, v10, v18, s63
	v_perm_b32 v14, v7, v15, s62
	v_perm_b32 v18, v11, v19, s62
	v_perm_b32 v7, v7, v15, s63
	v_perm_b32 v11, v11, v19, s63
	v_perm_b32 v15, v8, v16, s62
	v_perm_b32 v19, v12, v20, s62
	v_perm_b32 v8, v8, v16, s63
	v_perm_b32 v12, v12, v20, s63
	v_perm_b32 v16, v9, v17, s62
	v_perm_b32 v20, v13, v21, s62
	v_perm_b32 v9, v9, v17, s63
	v_perm_b32 v13, v13, v21, s63
	ds_write2st64_b32 v5, v33, v34 offset0:128 offset1:160
	ds_write2st64_b32 v22, v6, v10 offset0:128 offset1:160
	ds_write2st64_b32 v24, v14, v18 offset0:129 offset1:161
	ds_write2st64_b32 v25, v7, v11 offset0:129 offset1:161
	ds_write2st64_b32 v27, v15, v19 offset0:130 offset1:162
	ds_write2st64_b32 v30, v8, v12 offset0:130 offset1:162
	ds_write2st64_b32 v31, v16, v20 offset0:131 offset1:163
	ds_write2st64_b32 v32, v9, v13 offset0:131 offset1:163
	v_or_b32_e32 v5, 48, v97
	v_lshl_or_b32 v6, v5, 3, v4
	v_lshlrev_b32_e32 v5, 8, v5
	v_or_b32_e32 v122, v5, v28
	v_or_b32_e32 v123, v5, v29
	;; [unrolled: 1-line block ×3, first 2 shown]
	v_lshlrev_b32_e32 v5, 3, v5
	v_lshrrev_b32_e32 v7, 5, v47
	v_and_or_b32 v7, v5, s3, v7
	v_lshlrev_b32_e32 v7, 4, v7
	v_or_b32_e32 v120, 0x4000, v6
	v_or_b32_e32 v121, 0x6000, v6
	v_lshrrev_b32_e32 v6, 2, v47
	v_lshlrev_b32_e32 v9, 11, v1
	v_and_b32_e32 v5, 0x78, v5
	v_or_b32_e32 v13, 32, v7
	v_and_b32_e32 v8, 12, v6
	v_and_b32_e32 v6, 0x1000, v9
	v_lshrrev_b32_e32 v11, 1, v47
	v_xor_b32_e32 v13, v13, v5
	v_xor_b32_e32 v10, v7, v5
	v_and_b32_e32 v11, 8, v11
	v_or_b32_e32 v13, v13, v6
	v_or_b32_e32 v10, v10, v6
	v_xor_b32_e32 v126, v13, v11
	v_or_b32_e32 v13, 64, v7
	v_or_b32_e32 v7, 0x60, v7
	v_xor_b32_e32 v124, v10, v11
	v_lshlrev_b32_e32 v10, 8, v96
	v_xor_b32_e32 v13, v13, v5
	v_xor_b32_e32 v5, v7, v5
	s_ashr_i32 s3, s2, 31
	v_or_b32_e32 v12, v10, v23
	v_or_b32_e32 v13, v13, v6
	;; [unrolled: 1-line block ×3, first 2 shown]
	s_lshl_b64 s[24:25], s[2:3], 8
	v_lshlrev_b32_e32 v15, 2, v0
	v_lshlrev_b32_e32 v12, 1, v12
	v_xor_b32_e32 v130, v13, v11
	v_xor_b32_e32 v131, v5, v11
	v_lshlrev_b32_e32 v5, 1, v3
	v_add_lshl_u32 v3, v3, s19, 1
	v_or_b32_e32 v11, 0x100, v2
	s_add_u32 s24, s40, s24
	v_lshlrev_b32_e32 v6, 1, v97
	v_lshrrev_b32_e32 v16, 1, v0
	v_and_or_b32 v10, v15, 60, v10
	v_or_b32_e32 v125, 0x4000, v12
	v_or_b32_e32 v127, 0x4080, v12
	;; [unrolled: 1-line block ×8, first 2 shown]
	v_lshrrev_b32_e32 v12, 4, v0
	s_addc_u32 s25, s41, s25
	v_or_b32_e32 v7, 1, v6
	v_and_b32_e32 v16, 24, v16
	v_lshlrev_b32_e32 v10, 1, v10
	v_cndmask_b32_e64 v142, v5, v2, s[0:1]
	v_cndmask_b32_e64 v143, v3, v11, s[0:1]
	v_mov_b32_e32 v3, 0xa000
	v_mov_b32_e32 v5, 0x8000
	v_cmp_gt_u32_e64 s[0:1], s28, v0
	v_xor_b32_e32 v13, v12, v6
	v_xor_b32_e32 v14, v7, v12
	v_lshl_add_u64 v[6:7], s[24:25], 0, v[90:91]
	v_lshlrev_b32_e32 v90, 8, v12
	v_or_b32_e32 v138, 0x6000, v10
	v_or_b32_e32 v15, 32, v16
	;; [unrolled: 1-line block ×6, first 2 shown]
	v_cndmask_b32_e64 v3, v3, v5, s[0:1]
	v_lshlrev_b32_e32 v5, 3, v1
	v_lshl_or_b32 v136, v13, 3, v90
	v_and_b32_e32 v13, 8, v0
	v_xor_b32_e32 v11, v5, v16
	v_xor_b32_e32 v15, v5, v15
	;; [unrolled: 1-line block ×3, first 2 shown]
	v_mov_b32_e32 v17, 0x400
	v_cmp_eq_u32_e32 vcc, 0, v13
	v_or_b32_e32 v16, 0x440, v11
	v_or_b32_e32 v18, 0x440, v15
	v_xor_b32_e32 v10, 0x440, v5
	v_and_b32_e32 v12, 7, v0
	v_cndmask_b32_e64 v13, v17, 64, vcc
	v_cndmask_b32_e32 v16, v16, v11, vcc
	v_cndmask_b32_e32 v15, v18, v15, vcc
	;; [unrolled: 1-line block ×3, first 2 shown]
	v_lshl_or_b32 v137, v14, 3, v90
	v_lshlrev_b32_e32 v14, 3, v12
	v_or_b32_e32 v16, v16, v9
	v_or_b32_e32 v15, v15, v9
	v_or3_b32 v11, v9, v13, v11
	v_or_b32_e32 v5, v5, v9
	v_lshlrev_b32_e32 v12, 7, v12
	v_xor_b32_e32 v16, v16, v14
	v_xor_b32_e32 v15, v15, v14
	;; [unrolled: 1-line block ×4, first 2 shown]
	v_or_b32_e32 v2, v45, v8
	v_add_u32_e32 v17, v3, v16
	v_add_u32_e32 v18, v3, v15
	v_or_b32_e32 v144, v11, v12
	v_add_u32_e32 v9, v3, v5
	v_or3_b32 v8, v45, v8, 64
	v_add_u32_e32 v10, 0xa000, v16
	v_add_u32_e32 v11, 0xa000, v15
	;; [unrolled: 1-line block ×3, first 2 shown]
	v_lshl_add_u64 v[94:95], v[6:7], 0, v[90:91]
	s_mov_b32 s3, 0x7060302
	v_lshlrev_b32_e32 v90, 1, v4
	v_lshlrev_b32_e32 v89, 2, v2
	v_add_u32_e32 v145, v17, v12
	v_add_u32_e32 v146, v18, v12
	;; [unrolled: 1-line block ×4, first 2 shown]
	v_lshlrev_b32_e32 v149, 2, v8
	v_add_u32_e32 v150, v10, v12
	v_add_u32_e32 v151, v11, v12
	;; [unrolled: 1-line block ×3, first 2 shown]
	s_waitcnt lgkmcnt(0)
	s_barrier
.LBB66_6:                               ; =>This Inner Loop Header: Depth=1
	s_add_i32 s65, s64, 1
	s_cmp_lt_i32 s65, s53
	s_mov_b64 s[28:29], 0
	s_cselect_b64 s[44:45], -1, 0
	s_cmp_ge_i32 s65, s53
	s_mov_b64 s[24:25], 0
	s_cbranch_scc1 .LBB66_8
; %bb.7:                                ;   in Loop: Header=BB66_6 Depth=1
	s_add_i32 s0, s59, 64
	s_ashr_i32 s1, s0, 31
	s_add_u32 s0, s57, s0
	s_addc_u32 s1, s56, s1
	s_lshl_b64 s[0:1], s[0:1], 8
	s_add_u32 s24, s6, s0
	s_addc_u32 s25, s7, s1
.LBB66_8:                               ;   in Loop: Header=BB66_6 Depth=1
	v_cndmask_b32_e64 v2, 0, 1, s[44:45]
	v_cmp_ne_u32_e64 s[0:1], 1, v2
	s_andn2_b64 vcc, exec, s[44:45]
	s_cbranch_vccnz .LBB66_10
; %bb.9:                                ;   in Loop: Header=BB66_6 Depth=1
	s_add_i32 s28, s59, 64
	s_mul_hi_i32 s29, s28, s18
	s_mul_i32 s28, s28, s18
	s_add_u32 s28, s28, s55
	s_addc_u32 s29, s29, s60
	s_lshl_b64 s[28:29], s[28:29], 8
	s_add_u32 s28, s4, s28
	s_addc_u32 s29, s5, s29
.LBB66_10:                              ;   in Loop: Header=BB66_6 Depth=1
	v_perm_b32 v3, v87, v86, s3
	v_perm_b32 v2, v83, v82, s3
	v_perm_b32 v5, v85, v84, s3
	v_perm_b32 v4, v81, v80, s3
	ds_write_b64 v108, v[2:3]
	ds_write_b64 v109, v[4:5]
	ds_write_b64 v114, v[2:3]
	ds_write_b64 v115, v[4:5]
	v_perm_b32 v3, v79, v78, s3
	v_perm_b32 v2, v75, v74, s3
	v_perm_b32 v5, v77, v76, s3
	v_perm_b32 v4, v73, v72, s3
	ds_write_b64 v110, v[2:3]
	ds_write_b64 v111, v[4:5]
	ds_write_b64 v116, v[2:3]
	ds_write_b64 v117, v[4:5]
	;; [unrolled: 8-line block ×4, first 2 shown]
	s_waitcnt lgkmcnt(0)
	s_barrier
	ds_read_b64 v[6:7], v124 offset:49152
	ds_read2_b64 v[2:5], v125 offset1:16
	ds_read_b64 v[18:19], v127 offset:6144
	ds_read_b64 v[20:21], v125 offset:6144
	s_waitcnt lgkmcnt(2)
	v_mfma_f32_16x16x16_bf16 a[0:3], v[6:7], v[2:3], 0
	ds_read_b64 v[22:23], v126 offset:49152
	ds_read2st64_b64 v[10:13], v128 offset0:4 offset1:8
	ds_read2st64_b64 v[14:17], v129 offset0:4 offset1:8
	v_mfma_f32_16x16x16_bf16 a[4:7], v[6:7], v[4:5], 0
	ds_read2_b64 v[2:5], v125 offset0:32 offset1:48
	s_add_i32 s66, s59, 63
	s_ashr_i32 s31, s66, 31
	s_waitcnt lgkmcnt(0)
	v_mfma_f32_16x16x16_bf16 a[8:11], v[6:7], v[2:3], 0
	s_mul_i32 s44, s66, s23
	s_mul_hi_u32 s45, s66, s22
	s_add_i32 s44, s45, s44
	v_mfma_f32_16x16x16_bf16 a[12:15], v[6:7], v[4:5], 0
	ds_read2st64_b64 v[2:5], v125 offset0:4 offset1:8
	ds_read2st64_b64 v[6:9], v127 offset0:4 offset1:8
	s_mul_i32 s31, s31, s22
	s_waitcnt lgkmcnt(1)
	v_mfma_f32_16x16x16_bf16 a[0:3], v[22:23], v[2:3], a[0:3]
	s_add_i32 s45, s44, s31
	s_mul_i32 s44, s66, s22
	s_lshl_b64 s[44:45], s[44:45], 2
	s_waitcnt lgkmcnt(0)
	v_mfma_f32_16x16x16_bf16 a[4:7], v[22:23], v[6:7], a[4:7]
	s_add_u32 s44, s42, s44
	s_addc_u32 s45, s43, s45
	s_and_b64 vcc, exec, s[0:1]
	v_mfma_f32_16x16x16_bf16 a[8:11], v[22:23], v[10:11], a[8:11]
	ds_read_b64 v[2:3], v130 offset:49152
	ds_read_b64 v[6:7], v131 offset:49152
	ds_read_b64 v[10:11], v129 offset:6144
	v_mov_b32_e32 v156, 0
	v_mov_b32_e32 v155, 0
	v_mfma_f32_16x16x16_bf16 a[12:15], v[22:23], v[14:15], a[12:15]
	v_mov_b32_e32 v154, 0
	v_mov_b32_e32 v14, 0
	;; [unrolled: 1-line block ×3, first 2 shown]
	s_waitcnt lgkmcnt(2)
	v_mfma_f32_16x16x16_bf16 a[0:3], v[2:3], v[4:5], a[0:3]
	v_mov_b32_e32 v4, 0
	v_mov_b32_e32 v5, 0
	v_mfma_f32_16x16x16_bf16 a[16:19], v[2:3], v[8:9], a[4:7]
	v_mov_b32_e32 v8, 0
	v_mov_b32_e32 v9, 0
	;; [unrolled: 3-line block ×3, first 2 shown]
	v_mfma_f32_16x16x16_bf16 a[24:27], v[2:3], v[16:17], a[12:15]
	ds_read_b64 v[2:3], v128 offset:6144
	v_mov_b32_e32 v16, 0
	v_mov_b32_e32 v17, 0
	s_waitcnt lgkmcnt(2)
	v_mfma_f32_16x16x16_bf16 a[4:7], v[6:7], v[20:21], a[0:3]
	v_mfma_f32_16x16x16_bf16 a[8:11], v[6:7], v[18:19], a[16:19]
	s_waitcnt lgkmcnt(0)
	v_mfma_f32_16x16x16_bf16 a[12:15], v[6:7], v[2:3], a[20:23]
	v_mov_b32_e32 v2, 0
	v_mov_b32_e32 v3, 0
	v_mfma_f32_16x16x16_bf16 a[0:3], v[6:7], v[10:11], a[24:27]
	v_mov_b32_e32 v6, 0
	v_mov_b32_e32 v7, 0
	;; [unrolled: 1-line block ×4, first 2 shown]
	s_cbranch_vccnz .LBB66_12
; %bb.11:                               ;   in Loop: Header=BB66_6 Depth=1
	s_and_b32 s25, s25, 0xffff
	buffer_load_dwordx4 v[14:17], v104, s[24:27], 0 offen
	buffer_load_dwordx4 v[10:13], v104, s[24:27], s61 offen
	;; [unrolled: 1-line block ×4, first 2 shown]
	v_mov_b32_e32 v155, v106
	v_mov_b32_e32 v154, v107
.LBB66_12:                              ;   in Loop: Header=BB66_6 Depth=1
	ds_read_b64 v[34:35], v124 offset:57344
	ds_read2_b64 v[18:21], v132 offset1:16
	ds_read_b64 v[36:37], v126 offset:57344
	ds_read_b64 v[38:39], v130 offset:57344
	;; [unrolled: 1-line block ×3, first 2 shown]
	v_add_u32_e32 v42, s59, v100
	s_waitcnt lgkmcnt(3)
	v_mfma_f32_16x16x16_bf16 a[4:7], v[34:35], v[18:19], a[4:7]
	v_mfma_f32_16x16x16_bf16 a[8:11], v[34:35], v[20:21], a[8:11]
	ds_read2_b64 v[18:21], v132 offset0:32 offset1:48
	ds_read2st64_b64 v[22:25], v132 offset0:4 offset1:8
	ds_read2st64_b64 v[26:29], v133 offset0:4 offset1:8
	;; [unrolled: 1-line block ×3, first 2 shown]
	s_waitcnt lgkmcnt(3)
	v_mfma_f32_16x16x16_bf16 a[12:15], v[34:35], v[18:19], a[12:15]
	v_ashrrev_i32_e32 v18, 31, v42
	v_mfma_f32_16x16x16_bf16 a[0:3], v[34:35], v[20:21], a[0:3]
	v_mul_lo_u32 v20, v18, s22
	v_mul_lo_u32 v21, v42, s23
	v_mad_u64_u32 v[18:19], s[24:25], v42, s22, 0
	v_add3_u32 v19, v19, v21, v20
	v_add_u32_e32 v20, 1, v42
	v_ashrrev_i32_e32 v21, 31, v20
	s_waitcnt lgkmcnt(2)
	v_mfma_f32_16x16x16_bf16 a[4:7], v[36:37], v[22:23], a[4:7]
	v_mul_lo_u32 v22, v21, s22
	v_mul_lo_u32 v23, v20, s23
	v_mad_u64_u32 v[20:21], s[24:25], v20, s22, 0
	v_add3_u32 v21, v21, v23, v22
	v_add_u32_e32 v22, 2, v42
	v_ashrrev_i32_e32 v23, 31, v22
	s_waitcnt lgkmcnt(1)
	v_mfma_f32_16x16x16_bf16 a[8:11], v[36:37], v[26:27], a[8:11]
	v_mul_lo_u32 v26, v23, s22
	v_mul_lo_u32 v27, v22, s23
	v_mad_u64_u32 v[22:23], s[24:25], v22, s22, 0
	v_add3_u32 v23, v23, v27, v26
	v_add_u32_e32 v26, 3, v42
	v_ashrrev_i32_e32 v27, 31, v26
	v_mul_lo_u32 v34, v27, s22
	v_mul_lo_u32 v35, v26, s23
	v_mad_u64_u32 v[26:27], s[24:25], v26, s22, 0
	s_ashr_i32 s25, s59, 31
	s_add_u32 s24, s57, s59
	v_lshl_add_u64 v[18:19], v[18:19], 2, s[42:43]
	v_add3_u32 v27, v27, v35, v34
	s_addc_u32 s25, s56, s25
	v_lshl_add_u64 v[20:21], v[20:21], 2, s[42:43]
	global_load_dword v42, v[18:19], off
	v_lshl_add_u64 v[18:19], v[26:27], 2, s[42:43]
	s_lshl_b64 s[24:25], s[24:25], 8
	v_lshl_add_u64 v[22:23], v[22:23], 2, s[42:43]
	global_load_dword v34, v[20:21], off
	global_load_dword v35, v[22:23], off
	;; [unrolled: 1-line block ×3, first 2 shown]
	v_lshl_add_u64 v[18:19], v[92:93], 0, s[24:25]
	v_lshl_add_u64 v[22:23], v[18:19], 0, v[90:91]
	global_load_ushort v44, v[22:23], off offset:256
	global_load_ushort v157, v[22:23], off
	ds_read2st64_b64 v[18:21], v135 offset0:4 offset1:8
	global_load_ushort v158, v[22:23], off offset:768
	global_load_ushort v159, v[22:23], off offset:512
	s_waitcnt lgkmcnt(1)
	v_mfma_f32_16x16x16_bf16 a[12:15], v[36:37], v[30:31], a[12:15]
	s_and_b64 vcc, exec, s[0:1]
	s_waitcnt vmcnt(3)
	v_lshlrev_b32_e32 v31, 16, v44
	s_waitcnt lgkmcnt(0)
	v_mfma_f32_16x16x16_bf16 a[0:3], v[36:37], v[18:19], a[0:3]
	global_load_ushort v36, v[22:23], off offset:288
	global_load_ushort v37, v[22:23], off offset:32
	;; [unrolled: 1-line block ×8, first 2 shown]
	v_mfma_f32_16x16x16_bf16 a[4:7], v[38:39], v[24:25], a[4:7]
	ds_read_b64 v[18:19], v132 offset:6144
	s_waitcnt vmcnt(10)
	v_lshlrev_b32_e32 v30, 16, v157
	v_mov_b32_e32 v157, 0
	v_mfma_f32_16x16x16_bf16 a[8:11], v[38:39], v[28:29], a[8:11]
	v_mfma_f32_16x16x16_bf16 a[12:15], v[38:39], v[32:33], a[12:15]
	;; [unrolled: 1-line block ×3, first 2 shown]
	global_load_ushort v38, v[22:23], off offset:352
	global_load_ushort v39, v[22:23], off offset:96
	ds_read_b64 v[20:21], v133 offset:6144
	ds_read_b64 v[24:25], v134 offset:6144
	;; [unrolled: 1-line block ×3, first 2 shown]
	global_load_ushort v166, v[22:23], off offset:864
	global_load_ushort v167, v[22:23], off offset:608
	s_load_dword s24, s[44:45], 0x0
	s_waitcnt lgkmcnt(0)
	v_mfma_f32_16x16x16_bf16 a[4:7], v[40:41], v[18:19], a[4:7]
	v_sub_f32_e32 v28, s24, v35
	v_mfma_f32_16x16x16_bf16 a[0:3], v[40:41], v[26:27], a[0:3]
	v_sub_f32_e32 v26, s24, v42
	v_sub_f32_e32 v27, s24, v34
	;; [unrolled: 1-line block ×3, first 2 shown]
	v_mul_f32_e32 v26, 0x3fb8aa3b, v26
	v_mul_f32_e32 v27, 0x3fb8aa3b, v27
	;; [unrolled: 1-line block ×4, first 2 shown]
	v_mfma_f32_16x16x16_bf16 a[8:11], v[40:41], v[20:21], a[8:11]
	v_exp_f32_e32 v26, v26
	v_exp_f32_e32 v27, v27
	;; [unrolled: 1-line block ×4, first 2 shown]
	v_accvgpr_read_b32 v33, a5
	v_accvgpr_read_b32 v32, a4
	v_accvgpr_read_b32 v19, a7
	v_accvgpr_read_b32 v18, a6
	v_pk_add_f32 v[30:31], v[30:31], v[32:33] neg_lo:[0,1] neg_hi:[0,1]
	s_waitcnt vmcnt(13)
	v_lshlrev_b32_e32 v33, 16, v158
	s_waitcnt vmcnt(12)
	v_lshlrev_b32_e32 v32, 16, v159
	v_pk_add_f32 v[18:19], v[32:33], v[18:19] neg_lo:[0,1] neg_hi:[0,1]
	v_pk_mul_f32 v[30:31], v[26:27], v[30:31]
	v_pk_mul_f32 v[18:19], v[28:29], v[18:19]
	v_accvgpr_read_b32 v33, a9
	v_perm_b32 v19, v19, v18, s3
	v_perm_b32 v18, v31, v30, s3
	v_accvgpr_read_b32 v32, a8
	v_accvgpr_read_b32 v21, a11
	v_mfma_f32_16x16x16_bf16 a[12:15], v[40:41], v[24:25], a[12:15]
	v_accvgpr_read_b32 v20, a10
	v_accvgpr_read_b32 v25, a3
	;; [unrolled: 1-line block ×3, first 2 shown]
	s_waitcnt vmcnt(11)
	v_lshlrev_b32_e32 v31, 16, v36
	s_waitcnt vmcnt(10)
	v_lshlrev_b32_e32 v30, 16, v37
	v_pk_add_f32 v[30:31], v[30:31], v[32:33] neg_lo:[0,1] neg_hi:[0,1]
	s_waitcnt vmcnt(9)
	v_lshlrev_b32_e32 v33, 16, v160
	s_waitcnt vmcnt(8)
	v_lshlrev_b32_e32 v32, 16, v161
	v_pk_add_f32 v[20:21], v[32:33], v[20:21] neg_lo:[0,1] neg_hi:[0,1]
	v_pk_mul_f32 v[30:31], v[26:27], v[30:31]
	v_pk_mul_f32 v[20:21], v[28:29], v[20:21]
	v_accvgpr_read_b32 v23, a15
	v_perm_b32 v21, v21, v20, s3
	v_perm_b32 v20, v31, v30, s3
	ds_write2_b64 v109, v[18:19], v[20:21] offset1:16
	v_accvgpr_read_b32 v21, a13
	s_waitcnt vmcnt(7)
	v_lshlrev_b32_e32 v19, 16, v162
	s_waitcnt vmcnt(6)
	v_lshlrev_b32_e32 v18, 16, v163
	v_accvgpr_read_b32 v20, a12
	v_accvgpr_read_b32 v22, a14
	v_pk_add_f32 v[18:19], v[18:19], v[20:21] neg_lo:[0,1] neg_hi:[0,1]
	s_waitcnt vmcnt(5)
	v_lshlrev_b32_e32 v21, 16, v164
	s_waitcnt vmcnt(4)
	v_lshlrev_b32_e32 v20, 16, v165
	v_pk_add_f32 v[20:21], v[20:21], v[22:23] neg_lo:[0,1] neg_hi:[0,1]
	v_pk_mul_f32 v[18:19], v[26:27], v[18:19]
	v_pk_mul_f32 v[20:21], v[28:29], v[20:21]
	v_accvgpr_read_b32 v23, a1
	v_perm_b32 v21, v21, v20, s3
	v_perm_b32 v20, v19, v18, s3
	s_waitcnt vmcnt(3)
	v_lshlrev_b32_e32 v19, 16, v38
	s_waitcnt vmcnt(2)
	v_lshlrev_b32_e32 v18, 16, v39
	v_accvgpr_read_b32 v22, a0
	v_pk_add_f32 v[18:19], v[18:19], v[22:23] neg_lo:[0,1] neg_hi:[0,1]
	s_waitcnt vmcnt(1)
	v_lshlrev_b32_e32 v23, 16, v166
	s_waitcnt vmcnt(0)
	v_lshlrev_b32_e32 v22, 16, v167
	v_pk_add_f32 v[22:23], v[22:23], v[24:25] neg_lo:[0,1] neg_hi:[0,1]
	v_pk_mul_f32 v[18:19], v[26:27], v[18:19]
	v_pk_mul_f32 v[22:23], v[28:29], v[22:23]
	v_mov_b32_e32 v24, 0
	v_perm_b32 v23, v23, v22, s3
	v_perm_b32 v22, v19, v18, s3
	ds_write2_b64 v109, v[20:21], v[22:23] offset0:32 offset1:48
	v_mov_b32_e32 v18, 0
	v_mov_b32_e32 v19, 0
	;; [unrolled: 1-line block ×15, first 2 shown]
	s_cbranch_vccnz .LBB66_14
; %bb.13:                               ;   in Loop: Header=BB66_6 Depth=1
	s_and_b32 s29, s29, 0xffff
	s_mov_b32 s31, s27
	buffer_load_dwordx4 v[30:33], v142, s[28:31], 0 offen
	buffer_load_dwordx4 v[22:25], v142, s[28:31], s61 offen
	buffer_load_dwordx4 v[26:29], v143, s[28:31], 0 offen
	buffer_load_dwordx4 v[18:21], v143, s[28:31], s61 offen
	v_mov_b32_e32 v156, v103
	v_mov_b32_e32 v157, v102
.LBB66_14:                              ;   in Loop: Header=BB66_6 Depth=1
	s_waitcnt lgkmcnt(0)
	s_barrier
	ds_read_b64 v[42:43], v145
	ds_read2_b64 v[34:37], v138 offset1:16
	ds_read_b64 v[174:175], v146
	ds_read_b64 v[176:177], v147
	;; [unrolled: 1-line block ×3, first 2 shown]
	ds_read2_b64 v[38:41], v138 offset0:32 offset1:48
	ds_read2st64_b64 v[158:161], v138 offset0:4 offset1:8
	ds_read2st64_b64 v[162:165], v139 offset0:4 offset1:8
	;; [unrolled: 1-line block ×4, first 2 shown]
	s_waitcnt lgkmcnt(8)
	v_mfma_f32_16x16x16_bf16 a[0:3], v[42:43], v[34:35], 0
	s_add_i32 s25, s58, s64
	s_mul_hi_i32 s29, s25, s17
	s_mul_i32 s25, s25, s17
	v_mfma_f32_16x16x16_bf16 a[4:7], v[42:43], v[36:37], 0
	s_add_u32 s28, s25, s33
	s_addc_u32 s29, s29, s46
	s_lshl_b64 s[28:29], s[28:29], 15
	s_waitcnt lgkmcnt(4)
	v_mfma_f32_16x16x16_bf16 a[8:11], v[42:43], v[38:39], 0
	s_mul_i32 s31, s66, s17
	s_mul_hi_i32 s25, s66, s17
	s_add_u32 s44, s31, s33
	v_mfma_f32_16x16x16_bf16 a[12:15], v[42:43], v[40:41], 0
	ds_read_b64 v[42:43], v138 offset:6144
	ds_read_b64 v[186:187], v139 offset:6144
	;; [unrolled: 1-line block ×4, first 2 shown]
	s_addc_u32 s45, s25, s46
	s_waitcnt lgkmcnt(7)
	v_mfma_f32_16x16x16_bf16 a[0:3], v[174:175], v[158:159], a[0:3]
	s_lshl_b64 s[44:45], s[44:45], 9
	s_add_u32 s44, s20, s44
	s_addc_u32 s45, s21, s45
	s_waitcnt lgkmcnt(6)
	v_mfma_f32_16x16x16_bf16 a[4:7], v[174:175], v[162:163], a[4:7]
	v_lshl_add_u64 v[196:197], v[94:95], 0, s[28:29]
	s_waitcnt lgkmcnt(5)
	v_mfma_f32_16x16x16_bf16 a[8:11], v[174:175], v[166:167], a[8:11]
	s_waitcnt lgkmcnt(4)
	v_mfma_f32_16x16x16_bf16 a[12:15], v[174:175], v[170:171], a[12:15]
	ds_read_b64 v[174:175], v150
	ds_read_b64 v[184:185], v151
	;; [unrolled: 1-line block ×3, first 2 shown]
	s_waitcnt lgkmcnt(2)
	v_mfma_f32_16x16x16_bf16 a[16:19], v[174:175], v[34:35], 0
	v_mfma_f32_16x16x16_bf16 a[20:23], v[174:175], v[36:37], 0
	global_load_dwordx4 v[34:37], v149, s[44:45]
	v_mfma_f32_16x16x16_bf16 a[24:27], v[174:175], v[38:39], 0
	v_mfma_f32_16x16x16_bf16 a[28:31], v[174:175], v[40:41], 0
	global_load_dwordx4 v[38:41], v89, s[44:45]
	v_mfma_f32_16x16x16_bf16 a[0:3], v[176:177], v[160:161], a[0:3]
	v_mfma_f32_16x16x16_bf16 a[4:7], v[176:177], v[164:165], a[4:7]
	;; [unrolled: 1-line block ×8, first 2 shown]
	ds_read2st64_b64 v[174:177], v136 offset1:8
	ds_read2st64_b64 v[178:181], v137 offset1:8
	ds_read_b64 v[194:195], v144 offset:40960
	s_waitcnt lgkmcnt(2)
	v_mov_b32_e32 v182, v174
	v_mfma_f32_16x16x16_bf16 a[16:19], v[184:185], v[158:159], a[16:19]
	v_mov_b32_e32 v183, v175
	v_mfma_f32_16x16x16_bf16 a[20:23], v[184:185], v[162:163], a[20:23]
	v_mfma_f32_16x16x16_bf16 a[24:27], v[184:185], v[166:167], a[24:27]
	;; [unrolled: 1-line block ×3, first 2 shown]
	v_add_co_u32_e32 v170, vcc, s37, v196
	s_waitcnt lgkmcnt(1)
	v_mov_b32_e32 v184, v178
	s_waitcnt lgkmcnt(0)
	v_mfma_f32_16x16x16_bf16 a[16:19], v[194:195], v[160:161], a[16:19]
	ds_read2st64_b64 v[158:161], v136 offset0:16 offset1:24
	v_addc_co_u32_e32 v171, vcc, 0, v197, vcc
	v_mfma_f32_16x16x16_bf16 a[20:23], v[194:195], v[164:165], a[20:23]
	ds_read2st64_b64 v[162:165], v137 offset0:16 offset1:24
	v_mov_b32_e32 v185, v179
	v_mov_b32_e32 v178, v176
	v_mfma_f32_16x16x16_bf16 a[32:35], v[194:195], v[168:169], a[24:27]
	v_mov_b32_e32 v179, v177
	s_waitcnt lgkmcnt(0)
	v_mov_b32_e32 v168, v162
	v_mov_b32_e32 v169, v163
	v_mfma_f32_16x16x16_bf16 a[36:39], v[194:195], v[172:173], a[28:31]
	v_mov_b32_e32 v162, v160
	v_mov_b32_e32 v163, v161
	;; [unrolled: 1-line block ×3, first 2 shown]
	v_mfma_f32_16x16x16_bf16 a[24:27], v[192:193], v[42:43], a[16:19]
	v_add_co_u32_e32 v42, vcc, s39, v196
	v_mov_b32_e32 v167, v159
	v_mfma_f32_16x16x16_bf16 a[28:31], v[192:193], v[186:187], a[20:23]
	v_addc_co_u32_e32 v43, vcc, 0, v197, vcc
	global_store_dwordx4 v[42:43], v[162:165], off
	v_mfma_f32_16x16x16_bf16 a[16:19], v[192:193], v[188:189], a[32:35]
	s_waitcnt vmcnt(2)
	v_mov_b32_e32 v44, v37
	v_mov_b32_e32 v43, v36
	;; [unrolled: 1-line block ×3, first 2 shown]
	v_mfma_f32_16x16x16_bf16 a[20:23], v[192:193], v[190:191], a[36:39]
	s_and_b64 vcc, exec, s[0:1]
	global_store_dwordx4 v[196:197], v[182:185], off
	global_store_dwordx4 v[170:171], v[178:181], off offset:-4096
	global_store_dwordx4 v[170:171], v[166:169], off
	s_cbranch_vccnz .LBB66_16
; %bb.15:                               ;   in Loop: Header=BB66_6 Depth=1
	v_lshrrev_b32_e32 v35, 3, v156
	v_and_b32_e32 v35, 6, v35
	v_xor_b32_e32 v36, v35, v157
	v_lshlrev_b32_e32 v36, 2, v36
	v_and_b32_e32 v37, 8, v156
	v_xor_b32_e32 v156, 0x440, v36
	v_cmp_eq_u32_e32 vcc, 0, v37
	v_perm_b32 v37, v22, v18, s62
	s_nop 0
	v_cndmask_b32_e32 v36, v156, v36, vcc
	v_lshl_or_b32 v35, v35, 10, v36
	v_perm_b32 v36, v30, v26, s62
	s_barrier
	ds_write2st64_b32 v35, v36, v37 offset0:128 offset1:160
	v_xor_b32_e32 v36, 8, v35
	v_perm_b32 v26, v30, v26, s63
	v_perm_b32 v18, v22, v18, s63
	v_add_u32_e32 v22, 0x80, v36
	ds_write2st64_b32 v22, v26, v18 offset0:128 offset1:160
	v_xor_b32_e32 v18, 16, v35
	v_perm_b32 v22, v31, v27, s62
	v_perm_b32 v26, v23, v19, s62
	ds_write2st64_b32 v18, v22, v26 offset0:129 offset1:161
	v_xor_b32_e32 v18, 24, v35
	v_perm_b32 v22, v31, v27, s63
	v_perm_b32 v19, v23, v19, s63
	v_add_u32_e32 v18, 0x80, v18
	ds_write2st64_b32 v18, v22, v19 offset0:129 offset1:161
	v_xor_b32_e32 v18, 32, v35
	v_perm_b32 v19, v32, v28, s62
	v_perm_b32 v22, v24, v20, s62
	;; [unrolled: 9-line block ×3, first 2 shown]
	ds_write2st64_b32 v18, v19, v20 offset0:131 offset1:163
	v_xor_b32_e32 v18, 56, v35
	v_perm_b32 v19, v33, v29, s63
	v_perm_b32 v20, v25, v21, s63
	v_add_u32_e32 v18, 0x80, v18
	ds_write2st64_b32 v18, v19, v20 offset0:131 offset1:163
	ds_write_b64 v155, v[14:15] offset:49152
	v_xor_b32_e32 v14, 8, v155
	ds_write_b64 v14, v[16:17] offset:49152
	ds_write_b64 v155, v[10:11] offset:57344
	;; [unrolled: 1-line block ×4, first 2 shown]
	v_xor_b32_e32 v6, 8, v154
	ds_write_b64 v6, v[8:9] offset:49152
	ds_write_b64 v154, v[2:3] offset:57344
	;; [unrolled: 1-line block ×3, first 2 shown]
.LBB66_16:                              ;   in Loop: Header=BB66_6 Depth=1
	v_mul_f32_e32 v26, s24, v153
	v_exp_f32_e32 v36, v26
	s_waitcnt vmcnt(4)
	v_mul_f32_e32 v26, 0x3fb8aa3b, v38
	v_exp_f32_e32 v38, v26
	v_mul_f32_e32 v26, 0x3fb8aa3b, v39
	v_exp_f32_e32 v39, v26
	;; [unrolled: 2-line block ×4, first 2 shown]
	v_accvgpr_read_b32 v5, a3
	v_accvgpr_read_b32 v4, a2
	;; [unrolled: 1-line block ×4, first 2 shown]
	v_pk_mul_f32 v[38:39], v[36:37], v[38:39] op_sel_hi:[0,1]
	v_pk_mul_f32 v[40:41], v[36:37], v[40:41] op_sel_hi:[0,1]
	v_pk_fma_f32 v[82:83], v[82:83], v[38:39], v[2:3]
	v_pk_fma_f32 v[86:87], v[86:87], v[40:41], v[4:5]
	v_mul_f32_e32 v2, 0x3fb8aa3b, v34
	v_mul_f32_e32 v3, 0x3fb8aa3b, v42
	;; [unrolled: 1-line block ×4, first 2 shown]
	v_exp_f32_e32 v2, v2
	v_exp_f32_e32 v3, v3
	;; [unrolled: 1-line block ×4, first 2 shown]
	v_accvgpr_read_b32 v9, a7
	v_accvgpr_read_b32 v13, a11
	v_accvgpr_read_b32 v17, a15
	v_accvgpr_read_b32 v18, a24
	v_accvgpr_read_b32 v22, a28
	v_accvgpr_read_b32 v29, a19
	v_accvgpr_read_b32 v33, a23
	v_accvgpr_read_b32 v8, a6
	v_accvgpr_read_b32 v7, a5
	v_accvgpr_read_b32 v6, a4
	v_accvgpr_read_b32 v12, a10
	v_accvgpr_read_b32 v11, a9
	v_accvgpr_read_b32 v10, a8
	v_accvgpr_read_b32 v16, a14
	v_accvgpr_read_b32 v15, a13
	v_accvgpr_read_b32 v14, a12
	v_accvgpr_read_b32 v19, a25
	v_accvgpr_read_b32 v20, a26
	v_accvgpr_read_b32 v21, a27
	v_accvgpr_read_b32 v23, a29
	v_accvgpr_read_b32 v24, a30
	v_accvgpr_read_b32 v25, a31
	v_accvgpr_read_b32 v28, a18
	v_accvgpr_read_b32 v27, a17
	v_accvgpr_read_b32 v26, a16
	v_accvgpr_read_b32 v32, a22
	v_accvgpr_read_b32 v31, a21
	v_accvgpr_read_b32 v30, a20
	v_pk_mul_f32 v[2:3], v[36:37], v[2:3] op_sel_hi:[0,1]
	v_pk_mul_f32 v[4:5], v[36:37], v[4:5] op_sel_hi:[0,1]
	s_add_i32 s59, s59, 64
	v_pk_fma_f32 v[74:75], v[38:39], v[74:75], v[6:7]
	v_pk_fma_f32 v[78:79], v[40:41], v[78:79], v[8:9]
	;; [unrolled: 1-line block ×13, first 2 shown]
	s_cmp_eq_u32 s53, s65
	v_pk_fma_f32 v[60:61], v[4:5], v[60:61], v[32:33]
	s_cbranch_scc1 .LBB66_18
; %bb.17:                               ;   in Loop: Header=BB66_6 Depth=1
	s_mov_b32 s64, s65
	s_branch .LBB66_6
.LBB66_18:
	s_lshl_b32 s0, s53, 6
	s_sub_i32 s44, s54, s0
	s_cmp_gt_i32 s44, 0
	s_cbranch_scc0 .LBB66_99
; %bb.19:
	s_add_i32 s34, s0, s34
	s_ashr_i32 s3, s34, 31
	s_cmpk_lg_i32 s19, 0x80
	s_cselect_b64 s[30:31], -1, 0
	s_and_b64 vcc, exec, s[30:31]
	s_cbranch_vccz .LBB66_21
; %bb.20:
	s_mul_hi_i32 s0, s34, s18
	s_mul_i32 s1, s34, s18
	s_ashr_i32 s18, s55, 31
	s_add_u32 s42, s1, s55
	s_addc_u32 s43, s0, s18
	s_cbranch_execz .LBB66_22
	s_branch .LBB66_23
.LBB66_21:
                                        ; implicit-def: $sgpr42_sgpr43
.LBB66_22:
	s_mul_i32 s1, s55, s16
	s_mul_hi_i32 s0, s55, s16
	s_add_u32 s42, s1, s34
	s_addc_u32 s43, s0, s3
.LBB66_23:
	s_waitcnt lgkmcnt(0)
	s_add_i32 s16, s53, s58
	s_add_u32 s0, s57, s34
	v_lshlrev_b32_e32 v6, 6, v100
	v_lshlrev_b32_e32 v24, 2, v97
	s_addc_u32 s1, s56, s3
	s_mov_b32 s3, 0x7060302
	v_or_b32_e32 v9, v6, v24
	v_xor_b32_e32 v7, v100, v24
	v_perm_b32 v3, v87, v86, s3
	v_perm_b32 v2, v83, v82, s3
	;; [unrolled: 1-line block ×4, first 2 shown]
	v_lshlrev_b32_e32 v9, 1, v9
	v_xor_b32_e32 v8, v101, v24
	ds_write2st64_b64 v9, v[2:3], v[4:5] offset0:32 offset1:48
	v_lshlrev_b32_e32 v7, 1, v7
	v_lshlrev_b32_e32 v9, 8, v97
	v_or_b32_e32 v10, v7, v9
	v_lshlrev_b32_e32 v8, 1, v8
	ds_write_b64 v10, v[2:3]
	v_or_b32_e32 v2, v8, v9
	v_or_b32_e32 v9, 16, v97
	v_lshlrev_b32_e32 v23, 2, v9
	v_or_b32_e32 v10, v6, v23
	ds_write_b64 v2, v[4:5]
	v_perm_b32 v3, v79, v78, s3
	v_perm_b32 v2, v75, v74, s3
	;; [unrolled: 1-line block ×4, first 2 shown]
	v_lshlrev_b32_e32 v10, 1, v10
	v_lshlrev_b32_e32 v9, 8, v9
	ds_write2st64_b64 v10, v[2:3], v[4:5] offset0:32 offset1:48
	v_or_b32_e32 v10, v7, v9
	ds_write_b64 v10, v[2:3]
	v_or_b32_e32 v2, v8, v9
	v_or_b32_e32 v9, 32, v97
	v_lshlrev_b32_e32 v22, 2, v9
	v_or_b32_e32 v10, v6, v22
	ds_write_b64 v2, v[4:5]
	v_perm_b32 v3, v71, v70, s3
	v_perm_b32 v2, v67, v66, s3
	;; [unrolled: 1-line block ×4, first 2 shown]
	v_lshlrev_b32_e32 v10, 1, v10
	v_lshlrev_b32_e32 v9, 8, v9
	s_lshl_b64 s[28:29], s[0:1], 8
	ds_write2st64_b64 v10, v[2:3], v[4:5] offset0:32 offset1:48
	v_or_b32_e32 v10, v7, v9
	s_add_u32 s0, s6, s28
	ds_write_b64 v10, v[2:3]
	v_or_b32_e32 v2, v8, v9
	s_addc_u32 s1, s7, s29
	ds_write_b64 v2, v[4:5]
	v_perm_b32 v3, v63, v62, s3
	v_perm_b32 v2, v59, v58, s3
	;; [unrolled: 1-line block ×4, first 2 shown]
	v_or_b32_e32 v9, 48, v97
	s_mul_hi_i32 s3, s16, s17
	s_mul_i32 s16, s16, s17
	v_lshlrev_b32_e32 v19, 2, v9
	s_add_u32 s6, s16, s33
	v_or_b32_e32 v6, v6, v19
	s_addc_u32 s7, s3, s46
	v_lshlrev_b32_e32 v6, 1, v6
	s_ashr_i32 s3, s2, 31
	s_lshl_b64 s[6:7], s[6:7], 15
	ds_write2st64_b64 v6, v[2:3], v[4:5] offset0:32 offset1:48
	v_lshlrev_b32_e32 v6, 8, v9
	s_add_u32 s6, s40, s6
	v_or_b32_e32 v7, v7, v6
	s_addc_u32 s7, s41, s7
	s_lshl_b64 s[2:3], s[2:3], 8
	ds_write_b64 v7, v[2:3]
	v_or_b32_e32 v2, v8, v6
	s_add_u32 s2, s6, s2
	v_lshlrev_b32_e32 v3, 1, v97
	ds_write_b64 v2, v[4:5]
	v_lshrrev_b32_e32 v2, 4, v0
	s_addc_u32 s3, s7, s3
	v_or_b32_e32 v4, 1, v3
	v_lshlrev_b32_e32 v10, 4, v97
	v_mov_b32_e32 v11, 0
	v_xor_b32_e32 v3, v2, v3
	v_xor_b32_e32 v6, v4, v2
	v_lshl_add_u64 v[12:13], s[2:3], 0, v[10:11]
	v_lshlrev_b32_e32 v10, 8, v2
	v_lshl_or_b32 v16, v3, 3, v10
	v_lshl_or_b32 v17, v6, 3, v10
	s_waitcnt lgkmcnt(0)
	s_barrier
	ds_read2st64_b64 v[2:5], v16 offset1:8
	ds_read2st64_b64 v[6:9], v17 offset1:8
	v_lshl_add_u64 v[14:15], v[12:13], 0, v[10:11]
	s_movk_i32 s2, 0x2000
	s_cmp_lg_u32 s44, 64
	s_waitcnt lgkmcnt(1)
	v_mov_b32_e32 v10, v2
	v_mov_b32_e32 v11, v3
	s_waitcnt lgkmcnt(0)
	v_mov_b32_e32 v12, v6
	v_mov_b32_e32 v13, v7
	global_store_dwordx4 v[14:15], v[10:13], off
	v_mov_b32_e32 v6, v4
	v_mov_b32_e32 v7, v5
	ds_read2st64_b64 v[2:5], v16 offset0:16 offset1:24
	ds_read2st64_b64 v[10:13], v17 offset0:16 offset1:24
	v_add_co_u32_e32 v16, vcc, s2, v14
	s_cselect_b64 s[6:7], -1, 0
	s_nop 0
	v_addc_co_u32_e32 v17, vcc, 0, v15, vcc
	global_store_dwordx4 v[16:17], v[6:9], off offset:-4096
	v_lshl_or_b32 v30, v1, 3, v99
	s_mov_b32 s24, 0
	s_waitcnt lgkmcnt(1)
	v_mov_b32_e32 v6, v2
	v_add_co_u32_e32 v2, vcc, 0x3000, v14
	v_mov_b32_e32 v7, v3
	s_nop 0
	v_addc_co_u32_e32 v3, vcc, 0, v15, vcc
	s_waitcnt lgkmcnt(0)
	v_mov_b32_e32 v8, v10
	v_mov_b32_e32 v9, v11
	v_mov_b32_e32 v10, v4
	v_mov_b32_e32 v11, v5
	v_or_b32_e32 v20, 32, v30
	v_and_b32_e32 v18, 56, v98
	s_and_b64 vcc, exec, s[6:7]
	global_store_dwordx4 v[16:17], v[6:9], off
	global_store_dwordx4 v[2:3], v[10:13], off
	s_cbranch_vccz .LBB66_29
; %bb.24:
	s_mov_b32 s25, s24
	s_mov_b32 s26, s24
	;; [unrolled: 1-line block ×3, first 2 shown]
	v_mov_b64_e32 v[6:7], s[24:25]
	v_mov_b64_e32 v[8:9], s[26:27]
	;; [unrolled: 1-line block ×3, first 2 shown]
	v_cmp_gt_i32_e32 vcc, s44, v30
	v_mov_b64_e32 v[4:5], v[8:9]
	s_and_saveexec_b64 s[2:3], vcc
	s_cbranch_execz .LBB66_26
; %bb.25:
	v_lshlrev_b32_e32 v2, 8, v30
	v_mov_b32_e32 v3, 0
	v_lshl_add_u64 v[4:5], s[0:1], 0, v[2:3]
	v_lshlrev_b32_e32 v2, 1, v18
	v_lshl_add_u64 v[10:11], v[4:5], 0, v[2:3]
	global_load_dwordx4 v[6:9], v[10:11], off
	global_load_dwordx4 v[2:5], v[10:11], off offset:128
.LBB66_26:
	s_or_b64 exec, exec, s[2:3]
	s_mov_b32 s25, s24
	s_mov_b32 s26, s24
	;; [unrolled: 1-line block ×3, first 2 shown]
	v_mov_b64_e32 v[14:15], s[24:25]
	v_mov_b64_e32 v[16:17], s[26:27]
	;; [unrolled: 1-line block ×3, first 2 shown]
	v_cmp_gt_i32_e32 vcc, s44, v20
	v_lshlrev_b32_e32 v21, 7, v20
	v_mov_b64_e32 v[12:13], v[16:17]
	s_and_saveexec_b64 s[2:3], vcc
	s_cbranch_execz .LBB66_28
; %bb.27:
	v_lshlrev_b32_e32 v10, 1, v21
	v_mov_b32_e32 v11, 0
	v_lshl_add_u64 v[12:13], s[0:1], 0, v[10:11]
	v_lshlrev_b32_e32 v10, 1, v18
	v_lshl_add_u64 v[26:27], v[12:13], 0, v[10:11]
	global_load_dwordx4 v[14:17], v[26:27], off
	global_load_dwordx4 v[10:13], v[26:27], off offset:128
.LBB66_28:
	s_or_b64 exec, exec, s[2:3]
	v_lshrrev_b32_e32 v25, 3, v18
	v_lshlrev_b32_e32 v26, 3, v30
	v_or_b32_e32 v25, v26, v25
	v_lshlrev_b32_e32 v25, 4, v25
	v_and_b32_e32 v26, 0x78, v26
	v_xor_b32_e32 v25, v25, v26
	s_branch .LBB66_31
.LBB66_29:
                                        ; implicit-def: $vgpr25
                                        ; implicit-def: $vgpr21
                                        ; implicit-def: $vgpr6_vgpr7_vgpr8_vgpr9
                                        ; implicit-def: $vgpr2_vgpr3_vgpr4_vgpr5
                                        ; implicit-def: $vgpr14_vgpr15_vgpr16_vgpr17
                                        ; implicit-def: $vgpr10_vgpr11_vgpr12_vgpr13
	s_cbranch_execz .LBB66_31
; %bb.30:
	s_waitcnt vmcnt(0)
	v_lshlrev_b32_e32 v2, 1, v18
	v_lshl_or_b32 v21, v30, 8, v2
	s_and_b32 s1, s1, 0xffff
	s_mov_b32 s3, 0x20000
	s_movk_i32 s2, 0x4000
	v_lshl_or_b32 v25, v20, 8, v2
	s_movk_i32 s16, 0x80
	buffer_load_dwordx4 v[6:9], v21, s[0:3], 0 offen
	buffer_load_dwordx4 v[2:5], v21, s[0:3], s16 offen
	;; [unrolled: 1-line block ×4, first 2 shown]
	v_lshrrev_b32_e32 v21, 3, v18
	v_lshlrev_b32_e32 v25, 3, v30
	v_or_b32_e32 v21, v25, v21
	v_lshlrev_b32_e32 v21, 4, v21
	v_and_b32_e32 v25, 0x78, v25
	v_xor_b32_e32 v25, v21, v25
	v_lshlrev_b32_e32 v21, 7, v20
.LBB66_31:
	s_movk_i32 s0, 0x1000
	v_and_or_b32 v20, v21, s0, v25
	s_waitcnt vmcnt(1)
	ds_write_b64 v25, v[6:7] offset:49152
	v_xor_b32_e32 v6, 8, v25
	ds_write_b64 v6, v[8:9] offset:49152
	s_waitcnt vmcnt(0)
	ds_write_b64 v25, v[2:3] offset:57344
	ds_write_b64 v6, v[4:5] offset:57344
	;; [unrolled: 1-line block ×3, first 2 shown]
	v_xor_b32_e32 v2, 8, v20
	ds_write_b64 v2, v[16:17] offset:49152
	ds_write_b64 v20, v[10:11] offset:57344
	;; [unrolled: 1-line block ×3, first 2 shown]
	v_or_b32_e32 v2, v45, v97
	v_lshlrev_b32_e32 v2, 3, v2
	v_lshrrev_b32_e32 v3, 5, v47
	s_movk_i32 s0, 0xf8
	v_and_or_b32 v3, v2, s0, v3
	v_lshlrev_b32_e32 v7, 4, v3
	v_lshlrev_b32_e32 v25, 11, v1
	v_and_b32_e32 v8, 0x78, v2
	v_or_b32_e32 v10, 32, v7
	v_and_b32_e32 v6, 0x1000, v25
	v_lshrrev_b32_e32 v3, 1, v47
	v_xor_b32_e32 v10, v10, v8
	v_xor_b32_e32 v2, v7, v8
	v_and_b32_e32 v9, 8, v3
	v_or_b32_e32 v10, v10, v6
	v_or_b32_e32 v2, v2, v6
	v_xor_b32_e32 v32, v10, v9
	v_or_b32_e32 v10, 64, v7
	v_xor_b32_e32 v31, v2, v9
	v_xor_b32_e32 v10, v10, v8
	s_waitcnt lgkmcnt(0)
	s_barrier
	v_or_b32_e32 v13, v10, v6
	ds_read_b64 v[10:11], v31 offset:49152
	v_lshl_or_b32 v14, v96, 8, v24
	v_lshlrev_b32_e32 v26, 1, v14
	v_add_u32_e32 v12, 0x4000, v26
	ds_read2_b64 v[2:5], v12 offset1:16
	v_or_b32_e32 v7, 0x60, v7
	v_xor_b32_e32 v7, v7, v8
	v_or_b32_e32 v6, v7, v6
	v_xor_b32_e32 v33, v13, v9
	v_xor_b32_e32 v34, v6, v9
	ds_read_b64 v[20:21], v32 offset:49152
	ds_read_b64 v[36:37], v33 offset:49152
	;; [unrolled: 1-line block ×3, first 2 shown]
	s_waitcnt lgkmcnt(3)
	v_mfma_f32_16x16x16_bf16 a[0:3], v[10:11], v[2:3], 0
	ds_read2st64_b64 v[6:9], v26 offset0:36 offset1:40
	s_lshl_b64 s[0:1], s[42:43], 8
	s_add_u32 s4, s4, s0
	v_mfma_f32_16x16x16_bf16 a[4:7], v[10:11], v[4:5], 0
	ds_read2_b64 v[2:5], v12 offset0:32 offset1:48
	s_addc_u32 s5, s5, s1
	s_add_i32 s0, s49, s47
	s_waitcnt lgkmcnt(0)
	v_mfma_f32_16x16x16_bf16 a[8:11], v[10:11], v[2:3], 0
	v_or_b32_e32 v2, 64, v14
	v_lshlrev_b32_e32 v27, 1, v2
	s_add_i32 s18, s35, -1
	v_mfma_f32_16x16x16_bf16 a[12:15], v[10:11], v[4:5], 0
	ds_read2st64_b64 v[2:5], v27 offset0:36 offset1:40
	s_add_i32 s39, s0, s48
	s_add_i32 s0, s51, s50
	v_mfma_f32_16x16x16_bf16 a[0:3], v[20:21], v[6:7], a[0:3]
	v_or_b32_e32 v6, 0x80, v14
	v_lshlrev_b32_e32 v28, 1, v6
	ds_read2st64_b64 v[10:13], v28 offset0:36 offset1:40
	s_waitcnt lgkmcnt(1)
	v_mfma_f32_16x16x16_bf16 a[4:7], v[20:21], v[2:3], a[4:7]
	v_or_b32_e32 v2, 0xc0, v14
	v_lshlrev_b32_e32 v29, 1, v2
	ds_read2st64_b64 v[14:17], v29 offset0:36 offset1:40
	s_add_i32 s37, s0, s52
	s_ashr_i32 s0, s18, 31
	s_mul_i32 s1, s18, s23
	s_mul_hi_u32 s2, s18, s22
	s_add_i32 s1, s2, s1
	s_mul_i32 s0, s0, s22
	s_waitcnt lgkmcnt(1)
	v_mfma_f32_16x16x16_bf16 a[8:11], v[20:21], v[10:11], a[8:11]
	s_add_i32 s1, s1, s0
	s_lshl_b64 s[2:3], s[38:39], 2
	s_add_u32 s10, s10, s2
	s_waitcnt lgkmcnt(0)
	v_mfma_f32_16x16x16_bf16 a[12:15], v[20:21], v[14:15], a[12:15]
	s_addc_u32 s11, s11, s3
	s_lshl_b64 s[2:3], s[36:37], 2
	s_mul_i32 s0, s18, s22
	v_mfma_f32_16x16x16_bf16 a[0:3], v[36:37], v[8:9], a[0:3]
	ds_read_b64 v[2:3], v26 offset:22528
	s_add_u32 s10, s10, s2
	s_addc_u32 s11, s11, s3
	v_mfma_f32_16x16x16_bf16 a[4:7], v[36:37], v[4:5], a[4:7]
	ds_read_b64 v[4:5], v27 offset:22528
	ds_read_b64 v[6:7], v28 offset:22528
	;; [unrolled: 1-line block ×3, first 2 shown]
	s_lshl_b64 s[0:1], s[0:1], 2
	s_add_u32 s0, s10, s0
	v_mfma_f32_16x16x16_bf16 a[8:11], v[36:37], v[12:13], a[8:11]
	s_addc_u32 s1, s11, s1
	s_load_dword s16, s[0:1], 0x0
	s_and_b64 vcc, exec, s[30:31]
	v_mfma_f32_16x16x16_bf16 a[12:15], v[36:37], v[16:17], a[12:15]
	s_waitcnt lgkmcnt(0)
	v_mfma_f32_16x16x16_bf16 a[0:3], v[38:39], v[2:3], a[0:3]
	v_mfma_f32_16x16x16_bf16 a[4:7], v[38:39], v[4:5], a[4:7]
	;; [unrolled: 1-line block ×4, first 2 shown]
	s_cbranch_vccz .LBB66_42
; %bb.32:
	v_lshlrev_b32_e32 v20, 1, v30
	s_and_b64 vcc, exec, s[6:7]
	s_cbranch_vccz .LBB66_43
; %bb.33:
	v_cmp_gt_i32_e32 vcc, s44, v20
	v_mov_b32_e32 v6, 0
	v_mov_b32_e32 v2, 0
	;; [unrolled: 1-line block ×5, first 2 shown]
	s_and_saveexec_b64 s[0:1], vcc
	s_cbranch_execz .LBB66_35
; %bb.34:
	v_mad_i64_i32 v[2:3], s[2:3], s19, v20, 0
	v_lshl_add_u64 v[2:3], v[2:3], 1, s[4:5]
	v_lshlrev_b32_e32 v4, 1, v18
	v_mov_b32_e32 v5, 0
	v_lshl_add_u64 v[2:3], v[2:3], 0, v[4:5]
	global_load_dwordx4 v[2:5], v[2:3], off
.LBB66_35:
	s_or_b64 exec, exec, s[0:1]
	v_or_b32_e32 v21, 1, v20
	v_cmp_gt_i32_e64 s[0:1], s44, v21
	v_mov_b32_e32 v7, 0
	v_mov_b32_e32 v8, 0
	;; [unrolled: 1-line block ×3, first 2 shown]
	s_and_saveexec_b64 s[2:3], s[0:1]
	s_cbranch_execz .LBB66_37
; %bb.36:
	v_mad_i64_i32 v[6:7], s[24:25], s19, v21, 0
	v_lshl_add_u64 v[6:7], v[6:7], 1, s[4:5]
	v_lshlrev_b32_e32 v8, 1, v18
	v_mov_b32_e32 v9, 0
	v_lshl_add_u64 v[6:7], v[6:7], 0, v[8:9]
	global_load_dwordx4 v[6:9], v[6:7], off
.LBB66_37:
	s_or_b64 exec, exec, s[2:3]
	v_mov_b32_e32 v17, 0
	v_mov_b32_e32 v10, 0
	;; [unrolled: 1-line block ×5, first 2 shown]
	s_and_saveexec_b64 s[2:3], vcc
	s_cbranch_execz .LBB66_39
; %bb.38:
	v_mad_i64_i32 v[10:11], s[24:25], s19, v20, 0
	v_lshl_add_u64 v[10:11], v[10:11], 1, s[4:5]
	v_lshlrev_b32_e32 v12, 1, v18
	v_mov_b32_e32 v13, 0
	v_lshl_add_u64 v[10:11], v[10:11], 0, v[12:13]
	global_load_dwordx4 v[10:13], v[10:11], off offset:128
.LBB66_39:
	s_or_b64 exec, exec, s[2:3]
	v_mov_b32_e32 v16, 0
	v_mov_b32_e32 v15, 0
	;; [unrolled: 1-line block ×3, first 2 shown]
	s_and_saveexec_b64 s[2:3], s[0:1]
	s_cbranch_execz .LBB66_41
; %bb.40:
	v_mad_i64_i32 v[14:15], s[0:1], s19, v21, 0
	v_lshl_add_u64 v[14:15], v[14:15], 1, s[4:5]
	v_lshlrev_b32_e32 v16, 1, v18
	v_mov_b32_e32 v17, 0
	v_lshl_add_u64 v[14:15], v[14:15], 0, v[16:17]
	global_load_dwordx4 v[14:17], v[14:15], off offset:128
.LBB66_41:
	s_or_b64 exec, exec, s[2:3]
	s_branch .LBB66_45
.LBB66_42:
                                        ; implicit-def: $vgpr5
                                        ; implicit-def: $vgpr9
                                        ; implicit-def: $vgpr13
                                        ; implicit-def: $vgpr17
	v_lshrrev_b32_e32 v35, 2, v47
	s_branch .LBB66_46
.LBB66_43:
                                        ; implicit-def: $vgpr5
                                        ; implicit-def: $vgpr9
                                        ; implicit-def: $vgpr13
                                        ; implicit-def: $vgpr17
	s_cbranch_execz .LBB66_45
; %bb.44:
	s_waitcnt vmcnt(0)
	v_mad_u64_u32 v[2:3], s[0:1], v20, s19, v[18:19]
	v_lshlrev_b32_e32 v20, 1, v2
	s_lshl_b32 s2, s19, 7
	s_and_b32 s1, s5, 0xffff
	s_mov_b32 s3, 0x20000
	s_mov_b32 s0, s4
	v_add_lshl_u32 v21, v2, s19, 1
	s_movk_i32 s19, 0x80
	buffer_load_dwordx4 v[2:5], v20, s[0:3], 0 offen
	buffer_load_dwordx4 v[10:13], v20, s[0:3], s19 offen
	;; [unrolled: 1-line block ×4, first 2 shown]
.LBB66_45:
	v_lshrrev_b32_e32 v35, 2, v47
	s_cbranch_execnz .LBB66_58
.LBB66_46:
	s_and_b64 vcc, exec, s[6:7]
	s_cbranch_vccz .LBB66_56
; %bb.47:
	s_waitcnt vmcnt(0)
	v_lshlrev_b32_e32 v7, 1, v30
	v_cmp_gt_i32_e32 vcc, s44, v7
	v_mov_b32_e32 v6, 0
	v_lshlrev_b32_e32 v14, 9, v30
	v_mov_b32_e32 v2, 0
	v_mov_b32_e32 v3, 0
	;; [unrolled: 1-line block ×4, first 2 shown]
	s_and_saveexec_b64 s[0:1], vcc
	s_cbranch_execz .LBB66_49
; %bb.48:
	v_mov_b32_e32 v15, 0
	v_lshl_add_u64 v[2:3], s[4:5], 0, v[14:15]
	v_lshlrev_b32_e32 v4, 1, v18
	v_mov_b32_e32 v5, v15
	v_lshl_add_u64 v[2:3], v[2:3], 0, v[4:5]
	global_load_dwordx4 v[2:5], v[2:3], off
.LBB66_49:
	s_or_b64 exec, exec, s[0:1]
	v_or_b32_e32 v7, 1, v7
	v_cmp_gt_i32_e64 s[0:1], s44, v7
	v_lshlrev_b32_e32 v20, 8, v7
	v_mov_b32_e32 v7, 0
	v_mov_b32_e32 v8, 0
	;; [unrolled: 1-line block ×3, first 2 shown]
	s_and_saveexec_b64 s[2:3], s[0:1]
	s_cbranch_execz .LBB66_51
; %bb.50:
	v_mov_b32_e32 v21, 0
	v_lshl_add_u64 v[6:7], s[4:5], 0, v[20:21]
	v_lshlrev_b32_e32 v8, 1, v18
	v_mov_b32_e32 v9, v21
	v_lshl_add_u64 v[6:7], v[6:7], 0, v[8:9]
	global_load_dwordx4 v[6:9], v[6:7], off
.LBB66_51:
	s_or_b64 exec, exec, s[2:3]
	v_mov_b32_e32 v17, 0
	v_mov_b32_e32 v10, 0
	;; [unrolled: 1-line block ×5, first 2 shown]
	s_and_saveexec_b64 s[2:3], vcc
	s_cbranch_execz .LBB66_53
; %bb.52:
	v_mov_b32_e32 v15, 0
	v_lshl_add_u64 v[10:11], s[4:5], 0, v[14:15]
	v_lshlrev_b32_e32 v14, 1, v18
	v_lshl_add_u64 v[10:11], v[10:11], 0, v[14:15]
	global_load_dwordx4 v[10:13], v[10:11], off offset:128
.LBB66_53:
	s_or_b64 exec, exec, s[2:3]
	v_mov_b32_e32 v16, 0
	v_mov_b32_e32 v15, 0
	;; [unrolled: 1-line block ×3, first 2 shown]
	s_and_saveexec_b64 s[2:3], s[0:1]
	s_cbranch_execz .LBB66_55
; %bb.54:
	v_mov_b32_e32 v21, 0
	v_lshl_add_u64 v[14:15], s[4:5], 0, v[20:21]
	v_lshlrev_b32_e32 v20, 1, v18
	v_lshl_add_u64 v[14:15], v[14:15], 0, v[20:21]
	global_load_dwordx4 v[14:17], v[14:15], off offset:128
.LBB66_55:
	s_or_b64 exec, exec, s[2:3]
	s_branch .LBB66_58
.LBB66_56:
                                        ; implicit-def: $vgpr5
                                        ; implicit-def: $vgpr9
                                        ; implicit-def: $vgpr13
                                        ; implicit-def: $vgpr17
	s_cbranch_execz .LBB66_58
; %bb.57:
	s_waitcnt vmcnt(0)
	v_lshlrev_b32_e32 v2, 1, v18
	v_lshl_or_b32 v18, v30, 9, v2
	s_and_b32 s5, s5, 0xffff
	s_mov_b32 s7, 0x20000
	s_movk_i32 s6, 0x4000
	s_movk_i32 s0, 0x80
	buffer_load_dwordx4 v[2:5], v18, s[4:7], 0 offen
	buffer_load_dwordx4 v[6:9], v18, s[4:7], 0 offen offset:256
	buffer_load_dwordx4 v[10:13], v18, s[4:7], s0 offen
	buffer_load_dwordx4 v[14:17], v18, s[4:7], s0 offen offset:256
.LBB66_58:
	ds_read_b64 v[20:21], v31 offset:57344
	v_add_u32_e32 v18, 0x6000, v26
	ds_read2_b64 v[36:39], v18 offset1:16
	ds_read_b64 v[94:95], v32 offset:57344
	ds_read_b64 v[96:97], v33 offset:57344
	ds_read_b64 v[98:99], v34 offset:57344
	v_and_b32_e32 v31, 6, v0
	v_xor_b32_e32 v30, v30, v31
	v_lshlrev_b32_e32 v30, 2, v30
	s_mov_b32 s0, 0x1000504
	s_mov_b32 s1, 0x3020706
	s_waitcnt lgkmcnt(3)
	v_mfma_f32_16x16x16_bf16 a[0:3], v[20:21], v[36:37], a[0:3]
	v_mfma_f32_16x16x16_bf16 a[4:7], v[20:21], v[38:39], a[4:7]
	ds_read2_b64 v[36:39], v18 offset0:32 offset1:48
	v_and_b32_e32 v18, 12, v35
	ds_read2st64_b64 v[32:35], v26 offset0:52 offset1:56
	s_waitcnt lgkmcnt(1)
	v_mfma_f32_16x16x16_bf16 a[8:11], v[20:21], v[36:37], a[8:11]
	v_mfma_f32_16x16x16_bf16 a[12:15], v[20:21], v[38:39], a[12:15]
	ds_read2st64_b64 v[36:39], v27 offset0:52 offset1:56
	ds_read2st64_b64 v[40:43], v28 offset0:52 offset1:56
	;; [unrolled: 1-line block ×3, first 2 shown]
	s_waitcnt lgkmcnt(3)
	v_mfma_f32_16x16x16_bf16 a[0:3], v[94:95], v[32:33], a[0:3]
	ds_read_b64 v[20:21], v26 offset:30720
	ds_read_b64 v[32:33], v27 offset:30720
	;; [unrolled: 1-line block ×4, first 2 shown]
	s_waitcnt lgkmcnt(6)
	v_mfma_f32_16x16x16_bf16 a[4:7], v[94:95], v[36:37], a[4:7]
	v_and_b32_e32 v36, 1, v0
	v_xor_b32_e32 v37, 0x440, v30
	v_cmp_eq_u32_e32 vcc, 0, v36
	s_waitcnt lgkmcnt(5)
	v_mfma_f32_16x16x16_bf16 a[8:11], v[94:95], v[40:41], a[8:11]
	v_cndmask_b32_e32 v30, v37, v30, vcc
	v_lshl_or_b32 v30, v31, 10, v30
	s_waitcnt lgkmcnt(4)
	v_mfma_f32_16x16x16_bf16 a[12:15], v[94:95], v[90:91], a[12:15]
	s_waitcnt vmcnt(0)
	v_perm_b32 v31, v2, v6, s0
	v_perm_b32 v2, v2, v6, s1
	;; [unrolled: 1-line block ×3, first 2 shown]
	v_mfma_f32_16x16x16_bf16 a[0:3], v[96:97], v[34:35], a[0:3]
	v_perm_b32 v34, v10, v14, s0
	ds_write2st64_b32 v30, v31, v34 offset0:128 offset1:160
	v_xor_b32_e32 v31, 8, v30
	v_add_u32_e32 v10, 0x80, v31
	ds_write2st64_b32 v10, v2, v6 offset0:128 offset1:160
	v_xor_b32_e32 v2, 16, v30
	v_perm_b32 v6, v3, v7, s0
	v_perm_b32 v10, v11, v15, s0
	v_mfma_f32_16x16x16_bf16 a[4:7], v[96:97], v[38:39], a[4:7]
	ds_write2st64_b32 v2, v6, v10 offset0:129 offset1:161
	v_xor_b32_e32 v2, 24, v30
	v_perm_b32 v3, v3, v7, s1
	v_mfma_f32_16x16x16_bf16 a[16:19], v[96:97], v[42:43], a[8:11]
	v_perm_b32 v6, v11, v15, s1
	v_add_u32_e32 v2, 0x80, v2
	ds_write2st64_b32 v2, v3, v6 offset0:129 offset1:161
	v_mfma_f32_16x16x16_bf16 a[20:23], v[96:97], v[92:93], a[12:15]
	v_xor_b32_e32 v2, 32, v30
	v_perm_b32 v3, v4, v8, s0
	v_perm_b32 v6, v12, v16, s0
	ds_write2st64_b32 v2, v3, v6 offset0:130 offset1:162
	v_xor_b32_e32 v2, 40, v30
	s_waitcnt lgkmcnt(8)
	v_mfma_f32_16x16x16_bf16 a[12:15], v[98:99], v[20:21], a[0:3]
	v_perm_b32 v3, v4, v8, s1
	v_perm_b32 v4, v12, v16, s1
	v_add_u32_e32 v2, 0x80, v2
	s_waitcnt lgkmcnt(7)
	v_mfma_f32_16x16x16_bf16 a[8:11], v[98:99], v[32:33], a[4:7]
	ds_write2st64_b32 v2, v3, v4 offset0:130 offset1:162
	v_xor_b32_e32 v2, 48, v30
	v_perm_b32 v3, v5, v9, s0
	s_waitcnt lgkmcnt(7)
	v_mfma_f32_16x16x16_bf16 a[4:7], v[98:99], v[100:101], a[16:19]
	v_perm_b32 v4, v13, v17, s0
	ds_write2st64_b32 v2, v3, v4 offset0:131 offset1:163
	v_xor_b32_e32 v2, 56, v30
	s_waitcnt lgkmcnt(7)
	v_mfma_f32_16x16x16_bf16 a[0:3], v[98:99], v[102:103], a[20:23]
	v_or_b32_e32 v16, v18, v45
	v_perm_b32 v3, v5, v9, s1
	v_perm_b32 v4, v13, v17, s1
	v_add_u32_e32 v2, 0x80, v2
	v_cmp_gt_i32_e32 vcc, s44, v16
	v_mov_b32_e32 v17, 0
	v_mov_b32_e32 v21, 0
	ds_write2st64_b32 v2, v3, v4 offset0:131 offset1:163
	s_and_saveexec_b64 s[0:1], vcc
	s_cbranch_execz .LBB66_60
; %bb.59:
	v_add_u32_e32 v2, s34, v16
	v_ashrrev_i32_e32 v3, 31, v2
	v_mul_lo_u32 v4, v3, s22
	v_mul_lo_u32 v5, v2, s23
	v_mad_u64_u32 v[2:3], s[2:3], v2, s22, 0
	v_add3_u32 v3, v3, v5, v4
	v_lshl_add_u64 v[2:3], v[2:3], 2, s[10:11]
	global_load_dword v2, v[2:3], off
	s_waitcnt vmcnt(0)
	v_sub_f32_e32 v2, s16, v2
	v_mul_f32_e32 v2, 0x3fb8aa3b, v2
	v_exp_f32_e32 v21, v2
.LBB66_60:
	s_or_b64 exec, exec, s[0:1]
	v_or_b32_e32 v8, 1, v16
	v_cmp_gt_i32_e64 s[0:1], s44, v8
	s_and_saveexec_b64 s[2:3], s[0:1]
	s_cbranch_execz .LBB66_62
; %bb.61:
	v_add_u32_e32 v2, s34, v8
	v_ashrrev_i32_e32 v3, 31, v2
	v_mul_lo_u32 v4, v3, s22
	v_mul_lo_u32 v5, v2, s23
	v_mad_u64_u32 v[2:3], s[4:5], v2, s22, 0
	v_add3_u32 v3, v3, v5, v4
	v_lshl_add_u64 v[2:3], v[2:3], 2, s[10:11]
	global_load_dword v2, v[2:3], off
	s_waitcnt vmcnt(0)
	v_sub_f32_e32 v2, s16, v2
	v_mul_f32_e32 v2, 0x3fb8aa3b, v2
	v_exp_f32_e32 v17, v2
.LBB66_62:
	s_or_b64 exec, exec, s[2:3]
	v_or_b32_e32 v9, 2, v16
	v_cmp_gt_i32_e64 s[2:3], s44, v9
	v_mov_b32_e32 v20, 0
	v_mov_b32_e32 v30, 0
	s_and_saveexec_b64 s[4:5], s[2:3]
	s_cbranch_execz .LBB66_64
; %bb.63:
	v_add_u32_e32 v2, s34, v9
	v_ashrrev_i32_e32 v3, 31, v2
	v_mul_lo_u32 v4, v3, s22
	v_mul_lo_u32 v5, v2, s23
	v_mad_u64_u32 v[2:3], s[6:7], v2, s22, 0
	v_add3_u32 v3, v3, v5, v4
	v_lshl_add_u64 v[2:3], v[2:3], 2, s[10:11]
	global_load_dword v2, v[2:3], off
	s_waitcnt vmcnt(0)
	v_sub_f32_e32 v2, s16, v2
	v_mul_f32_e32 v2, 0x3fb8aa3b, v2
	v_exp_f32_e32 v30, v2
.LBB66_64:
	s_or_b64 exec, exec, s[4:5]
	v_or_b32_e32 v31, 3, v16
	v_cmp_gt_i32_e64 s[4:5], s44, v31
	s_and_saveexec_b64 s[6:7], s[4:5]
	s_cbranch_execz .LBB66_66
; %bb.65:
	v_add_u32_e32 v2, s34, v31
	v_ashrrev_i32_e32 v3, 31, v2
	v_mul_lo_u32 v4, v3, s22
	v_mul_lo_u32 v5, v2, s23
	v_mad_u64_u32 v[2:3], s[22:23], v2, s22, 0
	v_add3_u32 v3, v3, v5, v4
	v_lshl_add_u64 v[2:3], v[2:3], 2, s[10:11]
	global_load_dword v2, v[2:3], off
	s_waitcnt vmcnt(0)
	v_sub_f32_e32 v2, s16, v2
	v_mul_f32_e32 v2, 0x3fb8aa3b, v2
	v_exp_f32_e32 v20, v2
.LBB66_66:
	s_or_b64 exec, exec, s[6:7]
	s_add_u32 s6, s8, s28
	v_accvgpr_read_b32 v2, a12
	s_addc_u32 s7, s9, s29
	v_ashrrev_i32_e32 v89, 31, v88
	v_accvgpr_read_b32 v3, a13
	v_accvgpr_read_b32 v4, a14
	;; [unrolled: 1-line block ×3, first 2 shown]
	v_lshl_add_u64 v[6:7], v[88:89], 1, s[6:7]
	v_mov_b32_e32 v13, 0
	v_lshlrev_b32_e32 v10, 8, v16
	v_mov_b32_e32 v11, 0
	s_and_saveexec_b64 s[6:7], vcc
	s_cbranch_execz .LBB66_68
; %bb.67:
	v_mov_b32_e32 v11, 0
	v_lshl_add_u64 v[14:15], v[6:7], 0, v[10:11]
	global_load_ushort v11, v[14:15], off
	s_waitcnt vmcnt(0)
	v_lshlrev_b32_e32 v11, 16, v11
	v_sub_f32_e32 v2, v11, v2
	v_mul_f32_e32 v2, v21, v2
	v_lshrrev_b32_e32 v11, 16, v2
.LBB66_68:
	s_or_b64 exec, exec, s[6:7]
	v_lshlrev_b32_e32 v12, 8, v8
	s_and_saveexec_b64 s[6:7], s[0:1]
	s_cbranch_execz .LBB66_70
; %bb.69:
	v_mov_b32_e32 v13, 0
	v_lshl_add_u64 v[14:15], v[6:7], 0, v[12:13]
	global_load_ushort v2, v[14:15], off
	s_waitcnt vmcnt(0)
	v_lshlrev_b32_e32 v2, 16, v2
	v_sub_f32_e32 v2, v2, v3
	v_mul_f32_e32 v2, v17, v2
	v_lshrrev_b32_e32 v13, 16, v2
.LBB66_70:
	s_or_b64 exec, exec, s[6:7]
	v_mov_b32_e32 v32, 0
	v_lshlrev_b32_e32 v14, 8, v9
	v_mov_b32_e32 v15, 0
	s_and_saveexec_b64 s[6:7], s[2:3]
	s_cbranch_execz .LBB66_72
; %bb.71:
	v_mov_b32_e32 v15, 0
	v_lshl_add_u64 v[2:3], v[6:7], 0, v[14:15]
	global_load_ushort v2, v[2:3], off
	s_waitcnt vmcnt(0)
	v_lshlrev_b32_e32 v2, 16, v2
	v_sub_f32_e32 v2, v2, v4
	v_mul_f32_e32 v2, v30, v2
	v_lshrrev_b32_e32 v15, 16, v2
.LBB66_72:
	s_or_b64 exec, exec, s[6:7]
	v_lshlrev_b32_e32 v8, 8, v31
	s_and_saveexec_b64 s[6:7], s[4:5]
	s_cbranch_execz .LBB66_74
; %bb.73:
	v_mov_b32_e32 v9, 0
	v_lshl_add_u64 v[2:3], v[6:7], 0, v[8:9]
	global_load_ushort v2, v[2:3], off
	s_waitcnt vmcnt(0)
	v_lshlrev_b32_e32 v2, 16, v2
	v_sub_f32_e32 v2, v2, v5
	v_mul_f32_e32 v2, v20, v2
	v_lshrrev_b32_e32 v32, 16, v2
.LBB66_74:
	s_or_b64 exec, exec, s[6:7]
	v_lshlrev_b32_e32 v31, 6, v16
	v_accvgpr_read_b32 v2, a8
	s_mov_b32 s6, 0x5040100
	v_or_b32_e32 v9, v31, v24
	v_accvgpr_read_b32 v3, a9
	v_accvgpr_read_b32 v4, a10
	;; [unrolled: 1-line block ×3, first 2 shown]
	v_perm_b32 v33, v32, v15, s6
	v_perm_b32 v32, v13, v11, s6
	v_lshlrev_b32_e32 v9, 1, v9
	v_mov_b32_e32 v13, 0
	v_mov_b32_e32 v11, 0
	ds_write_b64 v9, v[32:33] offset:24576
	s_and_saveexec_b64 s[6:7], vcc
	s_cbranch_execz .LBB66_76
; %bb.75:
	v_mov_b32_e32 v11, 0
	v_lshl_add_u64 v[32:33], v[6:7], 0, v[10:11]
	global_load_ushort v9, v[32:33], off offset:32
	s_waitcnt vmcnt(0)
	v_lshlrev_b32_e32 v9, 16, v9
	v_sub_f32_e32 v2, v9, v2
	v_mul_f32_e32 v2, v21, v2
	v_lshrrev_b32_e32 v11, 16, v2
.LBB66_76:
	s_or_b64 exec, exec, s[6:7]
	s_and_saveexec_b64 s[6:7], s[0:1]
	s_cbranch_execz .LBB66_78
; %bb.77:
	v_mov_b32_e32 v13, 0
	v_lshl_add_u64 v[32:33], v[6:7], 0, v[12:13]
	global_load_ushort v2, v[32:33], off offset:32
	s_waitcnt vmcnt(0)
	v_lshlrev_b32_e32 v2, 16, v2
	v_sub_f32_e32 v2, v2, v3
	v_mul_f32_e32 v2, v17, v2
	v_lshrrev_b32_e32 v13, 16, v2
.LBB66_78:
	s_or_b64 exec, exec, s[6:7]
	v_mov_b32_e32 v9, 0
	v_mov_b32_e32 v15, 0
	s_and_saveexec_b64 s[6:7], s[2:3]
	s_cbranch_execz .LBB66_80
; %bb.79:
	v_mov_b32_e32 v15, 0
	v_lshl_add_u64 v[2:3], v[6:7], 0, v[14:15]
	global_load_ushort v2, v[2:3], off offset:32
	s_waitcnt vmcnt(0)
	v_lshlrev_b32_e32 v2, 16, v2
	v_sub_f32_e32 v2, v2, v4
	v_mul_f32_e32 v2, v30, v2
	v_lshrrev_b32_e32 v15, 16, v2
.LBB66_80:
	s_or_b64 exec, exec, s[6:7]
	s_and_saveexec_b64 s[6:7], s[4:5]
	s_cbranch_execz .LBB66_82
; %bb.81:
	v_mov_b32_e32 v9, 0
	v_lshl_add_u64 v[2:3], v[6:7], 0, v[8:9]
	global_load_ushort v2, v[2:3], off offset:32
	s_waitcnt vmcnt(0)
	v_lshlrev_b32_e32 v2, 16, v2
	v_sub_f32_e32 v2, v2, v5
	v_mul_f32_e32 v2, v20, v2
	v_lshrrev_b32_e32 v9, 16, v2
.LBB66_82:
	s_or_b64 exec, exec, s[6:7]
	s_mov_b32 s6, 0x5040100
	v_accvgpr_read_b32 v2, a4
	v_perm_b32 v33, v9, v15, s6
	v_or_b32_e32 v9, v31, v23
	v_accvgpr_read_b32 v3, a5
	v_accvgpr_read_b32 v4, a6
	;; [unrolled: 1-line block ×3, first 2 shown]
	v_perm_b32 v32, v13, v11, s6
	v_lshlrev_b32_e32 v9, 1, v9
	v_mov_b32_e32 v13, 0
	v_mov_b32_e32 v11, 0
	ds_write_b64 v9, v[32:33] offset:24576
	s_and_saveexec_b64 s[6:7], vcc
	s_cbranch_execz .LBB66_84
; %bb.83:
	v_mov_b32_e32 v11, 0
	v_lshl_add_u64 v[32:33], v[6:7], 0, v[10:11]
	global_load_ushort v9, v[32:33], off offset:64
	s_waitcnt vmcnt(0)
	v_lshlrev_b32_e32 v9, 16, v9
	v_sub_f32_e32 v2, v9, v2
	v_mul_f32_e32 v2, v21, v2
	v_lshrrev_b32_e32 v11, 16, v2
.LBB66_84:
	s_or_b64 exec, exec, s[6:7]
	s_and_saveexec_b64 s[6:7], s[0:1]
	s_cbranch_execz .LBB66_86
; %bb.85:
	v_mov_b32_e32 v13, 0
	v_lshl_add_u64 v[32:33], v[6:7], 0, v[12:13]
	global_load_ushort v2, v[32:33], off offset:64
	s_waitcnt vmcnt(0)
	v_lshlrev_b32_e32 v2, 16, v2
	v_sub_f32_e32 v2, v2, v3
	v_mul_f32_e32 v2, v17, v2
	v_lshrrev_b32_e32 v13, 16, v2
.LBB66_86:
	s_or_b64 exec, exec, s[6:7]
	v_mov_b32_e32 v9, 0
	v_mov_b32_e32 v15, 0
	s_and_saveexec_b64 s[6:7], s[2:3]
	s_cbranch_execz .LBB66_88
; %bb.87:
	v_mov_b32_e32 v15, 0
	v_lshl_add_u64 v[2:3], v[6:7], 0, v[14:15]
	global_load_ushort v2, v[2:3], off offset:64
	s_waitcnt vmcnt(0)
	v_lshlrev_b32_e32 v2, 16, v2
	v_sub_f32_e32 v2, v2, v4
	v_mul_f32_e32 v2, v30, v2
	v_lshrrev_b32_e32 v15, 16, v2
.LBB66_88:
	s_or_b64 exec, exec, s[6:7]
	s_and_saveexec_b64 s[6:7], s[4:5]
	s_cbranch_execz .LBB66_90
; %bb.89:
	v_mov_b32_e32 v9, 0
	v_lshl_add_u64 v[2:3], v[6:7], 0, v[8:9]
	global_load_ushort v2, v[2:3], off offset:64
	s_waitcnt vmcnt(0)
	v_lshlrev_b32_e32 v2, 16, v2
	v_sub_f32_e32 v2, v2, v5
	v_mul_f32_e32 v2, v20, v2
	v_lshrrev_b32_e32 v9, 16, v2
.LBB66_90:
	s_or_b64 exec, exec, s[6:7]
	s_mov_b32 s6, 0x5040100
	v_accvgpr_read_b32 v5, a3
	v_perm_b32 v33, v9, v15, s6
	v_or_b32_e32 v9, v31, v22
	v_accvgpr_read_b32 v4, a2
	v_accvgpr_read_b32 v3, a1
	;; [unrolled: 1-line block ×3, first 2 shown]
	v_perm_b32 v32, v13, v11, s6
	v_lshlrev_b32_e32 v9, 1, v9
	v_mov_b32_e32 v13, 0
	v_mov_b32_e32 v11, 0
	ds_write_b64 v9, v[32:33] offset:24576
	s_and_saveexec_b64 s[6:7], vcc
	s_cbranch_execz .LBB66_92
; %bb.91:
	v_mov_b32_e32 v11, 0
	v_lshl_add_u64 v[10:11], v[6:7], 0, v[10:11]
	global_load_ushort v9, v[10:11], off offset:96
	s_waitcnt vmcnt(0)
	v_lshlrev_b32_e32 v9, 16, v9
	v_sub_f32_e32 v2, v9, v2
	v_mul_f32_e32 v2, v21, v2
	v_lshrrev_b32_e32 v11, 16, v2
.LBB66_92:
	s_or_b64 exec, exec, s[6:7]
	s_and_saveexec_b64 s[6:7], s[0:1]
	s_cbranch_execz .LBB66_94
; %bb.93:
	v_mov_b32_e32 v13, 0
	v_lshl_add_u64 v[12:13], v[6:7], 0, v[12:13]
	global_load_ushort v2, v[12:13], off offset:96
	s_waitcnt vmcnt(0)
	v_lshlrev_b32_e32 v2, 16, v2
	v_sub_f32_e32 v2, v2, v3
	v_mul_f32_e32 v2, v17, v2
	v_lshrrev_b32_e32 v13, 16, v2
.LBB66_94:
	s_or_b64 exec, exec, s[6:7]
	v_mov_b32_e32 v9, 0
	v_mov_b32_e32 v12, 0
	s_and_saveexec_b64 s[0:1], s[2:3]
	s_cbranch_execz .LBB66_96
; %bb.95:
	v_mov_b32_e32 v15, 0
	v_lshl_add_u64 v[2:3], v[6:7], 0, v[14:15]
	global_load_ushort v2, v[2:3], off offset:96
	s_waitcnt vmcnt(0)
	v_lshlrev_b32_e32 v2, 16, v2
	v_sub_f32_e32 v2, v2, v4
	v_mul_f32_e32 v2, v30, v2
	v_lshrrev_b32_e32 v12, 16, v2
.LBB66_96:
	s_or_b64 exec, exec, s[0:1]
	v_or_b32_e32 v10, 0x6000, v26
	v_or_b32_e32 v2, 0x6000, v27
	;; [unrolled: 1-line block ×4, first 2 shown]
	s_and_saveexec_b64 s[0:1], s[4:5]
	s_cbranch_execz .LBB66_98
; %bb.97:
	v_mov_b32_e32 v9, 0
	v_lshl_add_u64 v[6:7], v[6:7], 0, v[8:9]
	global_load_ushort v6, v[6:7], off offset:96
	s_waitcnt vmcnt(0)
	v_lshlrev_b32_e32 v6, 16, v6
	v_sub_f32_e32 v5, v6, v5
	v_mul_f32_e32 v5, v20, v5
	v_lshrrev_b32_e32 v9, 16, v5
.LBB66_98:
	s_or_b64 exec, exec, s[0:1]
	s_mov_b32 s0, 0x5040100
	v_or_b32_e32 v5, v31, v19
	v_perm_b32 v7, v9, v12, s0
	v_perm_b32 v6, v13, v11, s0
	v_lshlrev_b32_e32 v5, 1, v5
	ds_write_b64 v5, v[6:7] offset:24576
	v_and_b32_e32 v5, 7, v0
	v_and_b32_e32 v11, 8, v0
	v_lshlrev_b32_e32 v17, 3, v5
	v_lshlrev_b32_e32 v19, 7, v5
	v_lshrrev_b32_e32 v5, 1, v0
	v_and_b32_e32 v5, 24, v5
	v_mov_b32_e32 v12, 0x400
	v_cmp_eq_u32_e32 vcc, 0, v11
	s_movk_i32 s2, 0x100
	v_lshlrev_b32_e32 v24, 3, v1
	v_cndmask_b32_e64 v11, v12, 64, vcc
	v_mov_b32_e32 v12, 0xa000
	v_mov_b32_e32 v13, 0x8000
	v_cmp_gt_u32_e64 s[0:1], s2, v0
	v_xor_b32_e32 v40, v24, v5
	v_or3_b32 v11, v25, v11, v40
	v_cndmask_b32_e64 v0, v12, v13, s[0:1]
	v_or_b32_e32 v12, 0x440, v40
	v_cndmask_b32_e32 v12, v12, v40, vcc
	v_or_b32_e32 v12, v12, v25
	v_xor_b32_e32 v11, v11, v17
	v_xor_b32_e32 v47, v12, v17
	v_or_b32_e32 v90, v11, v19
	v_add3_u32 v12, v0, v47, v19
	v_or_b32_e32 v11, v0, v90
	s_waitcnt lgkmcnt(0)
	s_barrier
	ds_read_b64 v[20:21], v12
	ds_read_b64 v[42:43], v11
	v_or_b32_e32 v12, 32, v5
	v_xor_b32_e32 v12, v24, v12
	v_or_b32_e32 v13, 0x440, v12
	v_cndmask_b32_e32 v12, v13, v12, vcc
	v_or_b32_e32 v12, v12, v25
	v_xor_b32_e32 v88, v12, v17
	v_add3_u32 v12, v0, v88, v19
	ds_read2_b64 v[6:9], v10 offset1:16
	ds_read_b64 v[38:39], v12
	ds_read2_b64 v[12:15], v10 offset0:32 offset1:48
	v_or_b32_e32 v5, 0x60, v5
	v_xor_b32_e32 v5, v24, v5
	s_mul_i32 s0, s18, s17
	v_xor_b32_e32 v11, 0x440, v5
	s_waitcnt lgkmcnt(2)
	v_mfma_f32_16x16x16_bf16 a[0:3], v[20:21], v[6:7], 0
	ds_read2st64_b64 v[26:29], v2 offset0:4 offset1:8
	s_mul_hi_i32 s1, s18, s17
	ds_read2st64_b64 v[30:33], v3 offset0:4 offset1:8
	v_mfma_f32_16x16x16_bf16 a[4:7], v[20:21], v[8:9], 0
	ds_read2st64_b64 v[34:37], v4 offset0:4 offset1:8
	v_cndmask_b32_e32 v5, v11, v5, vcc
	s_add_u32 s0, s0, s33
	s_waitcnt lgkmcnt(3)
	v_mfma_f32_16x16x16_bf16 a[8:11], v[20:21], v[12:13], 0
	v_or_b32_e32 v5, v5, v25
	s_addc_u32 s1, s1, s46
	v_xor_b32_e32 v89, v5, v17
	v_mfma_f32_16x16x16_bf16 a[12:15], v[20:21], v[14:15], 0
	ds_read2st64_b64 v[20:23], v10 offset0:4 offset1:8
	s_lshl_b64 s[0:1], s[0:1], 9
	v_add3_u32 v0, v0, v89, v19
	s_add_u32 s0, s20, s0
	ds_read_b64 v[24:25], v0
	s_addc_u32 s1, s21, s1
	v_lshlrev_b32_e32 v0, 2, v16
	s_waitcnt lgkmcnt(1)
	v_mfma_f32_16x16x16_bf16 a[0:3], v[38:39], v[20:21], a[0:3]
	ds_read_b64 v[10:11], v10 offset:6144
	v_mfma_f32_16x16x16_bf16 a[4:7], v[38:39], v[26:27], a[4:7]
	v_mfma_f32_16x16x16_bf16 a[8:11], v[38:39], v[30:31], a[8:11]
	;; [unrolled: 1-line block ×3, first 2 shown]
	global_load_dwordx4 v[38:41], v0, s[0:1]
	v_lshlrev_b32_e32 v0, 6, v1
	v_lshlrev_b32_e32 v1, 2, v18
	v_or3_b32 v0, v0, v1, s2
	v_mfma_f32_16x16x16_bf16 a[0:3], v[42:43], v[22:23], a[0:3]
	s_waitcnt vmcnt(0)
	v_mul_f32_e32 v38, 0x3fb8aa3b, v38
	v_mfma_f32_16x16x16_bf16 a[4:7], v[42:43], v[28:29], a[4:7]
	v_mul_f32_e32 v39, 0x3fb8aa3b, v39
	v_exp_f32_e32 v38, v38
	v_exp_f32_e32 v39, v39
	v_mfma_f32_16x16x16_bf16 a[8:11], v[42:43], v[32:33], a[8:11]
	v_mfma_f32_16x16x16_bf16 a[12:15], v[42:43], v[36:37], a[12:15]
	ds_read_b64 v[16:17], v2 offset:6144
	ds_read_b64 v[42:43], v3 offset:6144
	;; [unrolled: 1-line block ×3, first 2 shown]
	global_load_dwordx4 v[0:3], v0, s[0:1]
	v_mov_b32_e32 v4, 0x3fb8aa3b
	v_mul_f32_e32 v4, s16, v4
	v_exp_f32_e32 v18, v4
	v_add_u32_e32 v4, v47, v19
	ds_read_b64 v[4:5], v4 offset:40960
	s_waitcnt lgkmcnt(4)
	v_mfma_f32_16x16x16_bf16 a[0:3], v[24:25], v[10:11], a[0:3]
	s_waitcnt vmcnt(0)
	v_mul_f32_e32 v0, 0x3fb8aa3b, v0
	s_waitcnt lgkmcnt(3)
	v_mfma_f32_16x16x16_bf16 a[4:7], v[24:25], v[16:17], a[4:7]
	v_exp_f32_e32 v0, v0
	s_waitcnt lgkmcnt(2)
	v_mfma_f32_16x16x16_bf16 a[8:11], v[24:25], v[42:43], a[8:11]
	s_waitcnt lgkmcnt(1)
	v_mfma_f32_16x16x16_bf16 a[12:15], v[24:25], v[44:45], a[12:15]
	v_add_u32_e32 v24, v88, v19
	v_add_u32_e32 v19, v89, v19
	ds_read_b64 v[24:25], v24 offset:40960
	ds_read_b64 v[88:89], v19 offset:40960
	s_waitcnt lgkmcnt(2)
	v_mfma_f32_16x16x16_bf16 a[20:23], v[4:5], v[8:9], 0
	v_pk_mul_f32 v[8:9], v[18:19], v[38:39] op_sel_hi:[0,1]
	s_waitcnt lgkmcnt(1)
	v_mfma_f32_16x16x16_bf16 a[20:23], v[24:25], v[26:27], a[20:23]
	v_accvgpr_read_b32 v27, a1
	v_accvgpr_read_b32 v26, a0
	v_pk_fma_f32 v[82:83], v[82:83], v[8:9], v[26:27]
	v_mfma_f32_16x16x16_bf16 a[16:19], v[4:5], v[6:7], 0
	v_mul_f32_e32 v6, 0x3fb8aa3b, v40
	v_mul_f32_e32 v7, 0x3fb8aa3b, v41
	ds_read_b64 v[26:27], v90 offset:40960
	v_exp_f32_e32 v6, v6
	v_exp_f32_e32 v7, v7
	v_mfma_f32_16x16x16_bf16 a[24:27], v[4:5], v[12:13], 0
	v_accvgpr_read_b32 v13, a3
	v_accvgpr_read_b32 v12, a2
	v_pk_mul_f32 v[6:7], v[18:19], v[6:7] op_sel_hi:[0,1]
	v_mfma_f32_16x16x16_bf16 a[28:31], v[4:5], v[14:15], 0
	v_accvgpr_read_b32 v5, a7
	v_accvgpr_read_b32 v4, a6
	v_pk_fma_f32 v[78:79], v[6:7], v[78:79], v[4:5]
	v_mfma_f32_16x16x16_bf16 a[16:19], v[24:25], v[20:21], a[16:19]
	v_accvgpr_read_b32 v4, a8
	v_accvgpr_read_b32 v5, a9
	v_pk_fma_f32 v[66:67], v[8:9], v[66:67], v[4:5]
	v_mfma_f32_16x16x16_bf16 a[0:3], v[24:25], v[30:31], a[24:27]
	v_accvgpr_read_b32 v4, a12
	v_accvgpr_read_b32 v15, a11
	;; [unrolled: 1-line block ×3, first 2 shown]
	v_pk_fma_f32 v[86:87], v[86:87], v[6:7], v[12:13]
	v_accvgpr_read_b32 v13, a5
	s_waitcnt lgkmcnt(0)
	v_mfma_f32_16x16x16_bf16 a[8:11], v[26:27], v[22:23], a[16:19]
	v_accvgpr_read_b32 v5, a13
	v_accvgpr_read_b32 v21, a15
	v_accvgpr_read_b32 v20, a14
	v_accvgpr_read_b32 v12, a4
	v_mfma_f32_16x16x16_bf16 a[4:7], v[24:25], v[34:35], a[28:31]
	v_pk_fma_f32 v[58:59], v[8:9], v[58:59], v[4:5]
	v_mov_b32_e32 v4, v3
	v_mov_b32_e32 v3, v2
	v_mfma_f32_16x16x16_bf16 a[12:15], v[26:27], v[28:29], a[20:23]
	v_mov_b32_e32 v2, v1
	v_mul_f32_e32 v1, 0x3fb8aa3b, v2
	v_mul_f32_e32 v2, 0x3fb8aa3b, v3
	v_mfma_f32_16x16x16_bf16 a[0:3], v[26:27], v[32:33], a[0:3]
	v_mul_f32_e32 v3, 0x3fb8aa3b, v4
	v_exp_f32_e32 v2, v2
	v_exp_f32_e32 v3, v3
	v_mfma_f32_16x16x16_bf16 a[8:11], v[88:89], v[10:11], a[8:11]
	v_exp_f32_e32 v1, v1
	v_pk_fma_f32 v[74:75], v[8:9], v[74:75], v[12:13]
	v_pk_mul_f32 v[2:3], v[18:19], v[2:3] op_sel_hi:[0,1]
	v_mfma_f32_16x16x16_bf16 a[4:7], v[26:27], v[36:37], a[4:7]
	v_pk_mul_f32 v[0:1], v[18:19], v[0:1] op_sel_hi:[0,1]
	v_pk_fma_f32 v[70:71], v[6:7], v[70:71], v[14:15]
	v_pk_fma_f32 v[62:63], v[6:7], v[62:63], v[20:21]
	v_mfma_f32_16x16x16_bf16 a[12:15], v[88:89], v[16:17], a[12:15]
	v_accvgpr_read_b32 v5, a11
	v_accvgpr_read_b32 v4, a10
	v_pk_fma_f32 v[84:85], v[84:85], v[2:3], v[4:5]
	v_mfma_f32_16x16x16_bf16 a[0:3], v[88:89], v[42:43], a[0:3]
	v_accvgpr_read_b32 v13, a9
	v_accvgpr_read_b32 v12, a8
	v_pk_fma_f32 v[80:81], v[80:81], v[0:1], v[12:13]
	v_accvgpr_read_b32 v4, a12
	v_accvgpr_read_b32 v5, a13
	v_pk_fma_f32 v[72:73], v[0:1], v[72:73], v[4:5]
	v_accvgpr_read_b32 v7, a15
	v_accvgpr_read_b32 v9, a3
	v_accvgpr_read_b32 v8, a2
	v_mfma_f32_16x16x16_bf16 a[2:5], v[88:89], v[44:45], a[4:7]
	v_accvgpr_read_b32 v5, a1
	v_accvgpr_read_b32 v4, a0
	v_pk_fma_f32 v[64:65], v[0:1], v[64:65], v[4:5]
	v_accvgpr_read_b32 v6, a14
	v_pk_fma_f32 v[76:77], v[2:3], v[76:77], v[6:7]
	v_pk_fma_f32 v[68:69], v[2:3], v[68:69], v[8:9]
	s_nop 0
	v_accvgpr_read_b32 v5, a3
	v_accvgpr_read_b32 v11, a5
	;; [unrolled: 1-line block ×4, first 2 shown]
	v_pk_fma_f32 v[56:57], v[0:1], v[56:57], v[4:5]
	v_pk_fma_f32 v[60:61], v[2:3], v[60:61], v[10:11]
.LBB66_99:
	s_add_u32 s0, s12, s14
	s_addc_u32 s1, s13, s15
	v_lshl_add_u64 v[0:1], v[48:49], 1, s[0:1]
	v_mov_b32_e32 v47, 0
	s_mov_b32 s2, 0x7060302
	v_lshl_add_u64 v[0:1], v[0:1], 0, v[46:47]
	v_perm_b32 v3, v87, v86, s2
	v_perm_b32 v2, v83, v82, s2
	global_store_dwordx2 v[0:1], v[2:3], off
	v_perm_b32 v3, v85, v84, s2
	v_perm_b32 v2, v81, v80, s2
	global_store_dwordx2 v[0:1], v[2:3], off offset:128
	v_lshl_add_u64 v[0:1], v[50:51], 1, s[0:1]
	v_lshl_add_u64 v[0:1], v[0:1], 0, v[46:47]
	v_perm_b32 v3, v79, v78, s2
	v_perm_b32 v2, v75, v74, s2
	global_store_dwordx2 v[0:1], v[2:3], off
	v_perm_b32 v3, v77, v76, s2
	v_perm_b32 v2, v73, v72, s2
	global_store_dwordx2 v[0:1], v[2:3], off offset:128
	v_lshl_add_u64 v[0:1], v[52:53], 1, s[0:1]
	;; [unrolled: 8-line block ×3, first 2 shown]
	v_lshl_add_u64 v[0:1], v[0:1], 0, v[46:47]
	v_perm_b32 v3, v63, v62, s2
	v_perm_b32 v2, v59, v58, s2
	global_store_dwordx2 v[0:1], v[2:3], off
	v_perm_b32 v3, v61, v60, s2
	v_perm_b32 v2, v57, v56, s2
	global_store_dwordx2 v[0:1], v[2:3], off offset:128
	s_endpgm
	.section	.rodata,"a",@progbits
	.p2align	6, 0x0
	.amdhsa_kernel _ZN12_GLOBAL__N_139chunk_gated_delta_rule_fwd_h_hip_kernelILi64ELb1ELb1ELb0ELb1ELb0ELb1ELb1ELb1EEEvPK12hip_bfloat16S3_S3_PKfS5_PKvPS1_S8_PvPKiSB_iiiiilll
		.amdhsa_group_segment_fixed_size 65536
		.amdhsa_private_segment_fixed_size 0
		.amdhsa_kernarg_size 136
		.amdhsa_user_sgpr_count 2
		.amdhsa_user_sgpr_dispatch_ptr 0
		.amdhsa_user_sgpr_queue_ptr 0
		.amdhsa_user_sgpr_kernarg_segment_ptr 1
		.amdhsa_user_sgpr_dispatch_id 0
		.amdhsa_user_sgpr_kernarg_preload_length 0
		.amdhsa_user_sgpr_kernarg_preload_offset 0
		.amdhsa_user_sgpr_private_segment_size 0
		.amdhsa_uses_dynamic_stack 0
		.amdhsa_enable_private_segment 0
		.amdhsa_system_sgpr_workgroup_id_x 1
		.amdhsa_system_sgpr_workgroup_id_y 1
		.amdhsa_system_sgpr_workgroup_id_z 0
		.amdhsa_system_sgpr_workgroup_info 0
		.amdhsa_system_vgpr_workitem_id 0
		.amdhsa_next_free_vgpr 240
		.amdhsa_next_free_sgpr 67
		.amdhsa_accum_offset 200
		.amdhsa_reserve_vcc 1
		.amdhsa_float_round_mode_32 0
		.amdhsa_float_round_mode_16_64 0
		.amdhsa_float_denorm_mode_32 3
		.amdhsa_float_denorm_mode_16_64 3
		.amdhsa_dx10_clamp 1
		.amdhsa_ieee_mode 1
		.amdhsa_fp16_overflow 0
		.amdhsa_tg_split 0
		.amdhsa_exception_fp_ieee_invalid_op 0
		.amdhsa_exception_fp_denorm_src 0
		.amdhsa_exception_fp_ieee_div_zero 0
		.amdhsa_exception_fp_ieee_overflow 0
		.amdhsa_exception_fp_ieee_underflow 0
		.amdhsa_exception_fp_ieee_inexact 0
		.amdhsa_exception_int_div_zero 0
	.end_amdhsa_kernel
	.section	.text._ZN12_GLOBAL__N_139chunk_gated_delta_rule_fwd_h_hip_kernelILi64ELb1ELb1ELb0ELb1ELb0ELb1ELb1ELb1EEEvPK12hip_bfloat16S3_S3_PKfS5_PKvPS1_S8_PvPKiSB_iiiiilll,"axG",@progbits,_ZN12_GLOBAL__N_139chunk_gated_delta_rule_fwd_h_hip_kernelILi64ELb1ELb1ELb0ELb1ELb0ELb1ELb1ELb1EEEvPK12hip_bfloat16S3_S3_PKfS5_PKvPS1_S8_PvPKiSB_iiiiilll,comdat
.Lfunc_end66:
	.size	_ZN12_GLOBAL__N_139chunk_gated_delta_rule_fwd_h_hip_kernelILi64ELb1ELb1ELb0ELb1ELb0ELb1ELb1ELb1EEEvPK12hip_bfloat16S3_S3_PKfS5_PKvPS1_S8_PvPKiSB_iiiiilll, .Lfunc_end66-_ZN12_GLOBAL__N_139chunk_gated_delta_rule_fwd_h_hip_kernelILi64ELb1ELb1ELb0ELb1ELb0ELb1ELb1ELb1EEEvPK12hip_bfloat16S3_S3_PKfS5_PKvPS1_S8_PvPKiSB_iiiiilll
                                        ; -- End function
	.section	.AMDGPU.csdata,"",@progbits
; Kernel info:
; codeLenInByte = 12756
; NumSgprs: 73
; NumVgprs: 198
; NumAgprs: 40
; TotalNumVgprs: 240
; ScratchSize: 0
; MemoryBound: 0
; FloatMode: 240
; IeeeMode: 1
; LDSByteSize: 65536 bytes/workgroup (compile time only)
; SGPRBlocks: 9
; VGPRBlocks: 29
; NumSGPRsForWavesPerEU: 73
; NumVGPRsForWavesPerEU: 240
; AccumOffset: 200
; Occupancy: 1
; WaveLimiterHint : 1
; COMPUTE_PGM_RSRC2:SCRATCH_EN: 0
; COMPUTE_PGM_RSRC2:USER_SGPR: 2
; COMPUTE_PGM_RSRC2:TRAP_HANDLER: 0
; COMPUTE_PGM_RSRC2:TGID_X_EN: 1
; COMPUTE_PGM_RSRC2:TGID_Y_EN: 1
; COMPUTE_PGM_RSRC2:TGID_Z_EN: 0
; COMPUTE_PGM_RSRC2:TIDIG_COMP_CNT: 0
; COMPUTE_PGM_RSRC3_GFX90A:ACCUM_OFFSET: 49
; COMPUTE_PGM_RSRC3_GFX90A:TG_SPLIT: 0
	.section	.text._ZN12_GLOBAL__N_139chunk_gated_delta_rule_fwd_h_hip_kernelILi64ELb1ELb0ELb1ELb1ELb0ELb1ELb1ELb1EEEvPK12hip_bfloat16S3_S3_PKfS5_PKvPS1_S8_PvPKiSB_iiiiilll,"axG",@progbits,_ZN12_GLOBAL__N_139chunk_gated_delta_rule_fwd_h_hip_kernelILi64ELb1ELb0ELb1ELb1ELb0ELb1ELb1ELb1EEEvPK12hip_bfloat16S3_S3_PKfS5_PKvPS1_S8_PvPKiSB_iiiiilll,comdat
	.globl	_ZN12_GLOBAL__N_139chunk_gated_delta_rule_fwd_h_hip_kernelILi64ELb1ELb0ELb1ELb1ELb0ELb1ELb1ELb1EEEvPK12hip_bfloat16S3_S3_PKfS5_PKvPS1_S8_PvPKiSB_iiiiilll ; -- Begin function _ZN12_GLOBAL__N_139chunk_gated_delta_rule_fwd_h_hip_kernelILi64ELb1ELb0ELb1ELb1ELb0ELb1ELb1ELb1EEEvPK12hip_bfloat16S3_S3_PKfS5_PKvPS1_S8_PvPKiSB_iiiiilll
	.p2align	8
	.type	_ZN12_GLOBAL__N_139chunk_gated_delta_rule_fwd_h_hip_kernelILi64ELb1ELb0ELb1ELb1ELb0ELb1ELb1ELb1EEEvPK12hip_bfloat16S3_S3_PKfS5_PKvPS1_S8_PvPKiSB_iiiiilll,@function
_ZN12_GLOBAL__N_139chunk_gated_delta_rule_fwd_h_hip_kernelILi64ELb1ELb0ELb1ELb1ELb0ELb1ELb1ELb1EEEvPK12hip_bfloat16S3_S3_PKfS5_PKvPS1_S8_PvPKiSB_iiiiilll: ; @_ZN12_GLOBAL__N_139chunk_gated_delta_rule_fwd_h_hip_kernelILi64ELb1ELb0ELb1ELb1ELb0ELb1ELb1ELb1EEEvPK12hip_bfloat16S3_S3_PKfS5_PKvPS1_S8_PvPKiSB_iiiiilll
; %bb.0:
	s_load_dwordx4 s[12:15], s[0:1], 0x5c
	s_load_dwordx4 s[4:7], s[0:1], 0x48
	s_abs_i32 s9, s3
	s_ashr_i32 s8, s3, 31
	v_and_b32_e32 v90, 15, v0
	s_waitcnt lgkmcnt(0)
	s_abs_i32 s10, s13
	v_cvt_f32_u32_e32 v1, s10
	s_sub_i32 s16, 0, s10
	s_ashr_i32 s11, s13, 31
	s_xor_b32 s8, s8, s11
	v_rcp_iflag_f32_e32 v1, v1
	v_lshrrev_b32_e32 v88, 6, v0
	v_bfe_u32 v89, v0, 4, 2
	v_mov_b32_e32 v7, 0
	v_mul_f32_e32 v1, 0x4f7ffffe, v1
	v_cvt_u32_f32_e32 v1, v1
	v_and_b32_e32 v45, 63, v0
	v_lshlrev_b32_e32 v91, 3, v0
	v_lshrrev_b32_e32 v92, 3, v45
	v_readfirstlane_b32 s17, v1
	s_mul_i32 s16, s16, s17
	s_mul_hi_u32 s16, s17, s16
	s_add_i32 s17, s17, s16
	s_mul_hi_u32 s16, s9, s17
	s_mul_i32 s17, s16, s10
	s_sub_i32 s9, s9, s17
	s_add_i32 s18, s16, 1
	s_sub_i32 s17, s9, s10
	s_cmp_ge_u32 s9, s10
	s_cselect_b32 s16, s18, s16
	s_cselect_b32 s9, s17, s9
	s_add_i32 s17, s16, 1
	s_cmp_ge_u32 s9, s10
	s_cselect_b32 s9, s17, s16
	s_xor_b32 s9, s9, s8
	s_sub_i32 s24, s9, s8
	s_mul_i32 s20, s24, s13
	s_ashr_i32 s25, s24, 31
	s_sub_i32 s49, s3, s20
	s_lshl_b64 s[8:9], s[24:25], 2
	s_add_u32 s4, s4, s8
	s_addc_u32 s5, s5, s9
	s_add_u32 s26, s6, s8
	s_addc_u32 s27, s7, s9
	s_abs_i32 s3, s14
	v_cvt_f32_u32_e32 v1, s3
	s_load_dwordx2 s[34:35], s[4:5], 0x0
	s_lshl_b32 s40, s2, 6
	s_ashr_i32 s2, s14, 31
	v_rcp_iflag_f32_e32 v1, v1
	s_xor_b32 s2, s11, s2
	s_waitcnt lgkmcnt(0)
	s_sub_i32 s52, s35, s34
	s_ashr_i32 s4, s52, 31
	v_mul_f32_e32 v1, 0x4f7ffffe, v1
	v_cvt_u32_f32_e32 v1, v1
	s_lshr_b32 s4, s4, 26
	s_add_i32 s4, s52, s4
	s_ashr_i32 s51, s4, 6
	s_sub_i32 s4, 0, s3
	v_readfirstlane_b32 s5, v1
	s_mul_i32 s4, s4, s5
	s_mul_hi_u32 s4, s5, s4
	s_add_i32 s5, s5, s4
	s_mul_hi_u32 s4, s10, s5
	s_mul_i32 s5, s4, s3
	s_sub_i32 s5, s10, s5
	s_add_i32 s6, s4, 1
	s_sub_i32 s7, s5, s3
	s_cmp_ge_u32 s5, s3
	s_cselect_b32 s4, s6, s4
	s_cselect_b32 s5, s7, s5
	s_add_i32 s6, s4, 1
	s_cmp_ge_u32 s5, s3
	s_cselect_b32 s3, s6, s4
	s_xor_b32 s3, s3, s2
	s_sub_i32 s2, s3, s2
	s_abs_i32 s3, s2
	v_cvt_f32_u32_e32 v1, s3
	s_sub_i32 s5, 0, s3
	s_abs_i32 s4, s49
	s_xor_b32 s2, s49, s2
	v_rcp_iflag_f32_e32 v1, v1
	s_ashr_i32 s2, s2, 31
	s_load_dwordx4 s[16:19], s[0:1], 0x28
	s_load_dwordx2 s[28:29], s[0:1], 0x38
	v_or_b32_e32 v46, s40, v90
	v_mul_f32_e32 v1, 0x4f7ffffe, v1
	v_cvt_u32_f32_e32 v1, v1
	v_lshlrev_b32_e32 v2, 7, v46
	v_or_b32_e32 v10, 0x800, v2
	v_ashrrev_i32_e32 v3, 31, v2
	v_readfirstlane_b32 s6, v1
	s_mul_i32 s5, s5, s6
	s_mul_hi_u32 s5, s6, s5
	s_add_i32 s6, s6, s5
	s_mul_hi_u32 s5, s4, s6
	s_mul_i32 s6, s5, s3
	s_sub_i32 s4, s4, s6
	s_add_i32 s6, s5, 1
	s_sub_i32 s7, s4, s3
	s_cmp_ge_u32 s4, s3
	s_cselect_b32 s5, s6, s5
	s_cselect_b32 s4, s7, s4
	s_add_i32 s6, s5, 1
	s_cmp_ge_u32 s4, s3
	s_cselect_b32 s3, s6, s5
	s_xor_b32 s3, s3, s2
	s_sub_i32 s53, s3, s2
	s_ashr_i32 s50, s49, 31
	s_mul_hi_i32 s3, s24, s13
	s_add_u32 s2, s20, s49
	s_addc_u32 s3, s3, s50
	s_lshl_b64 s[2:3], s[2:3], 15
	v_lshlrev_b32_e32 v1, 4, v88
	s_waitcnt lgkmcnt(0)
	s_add_u32 s2, s16, s2
	v_lshl_or_b32 v93, v89, 2, v1
	s_addc_u32 s3, s17, s3
	v_ashrrev_i32_e32 v11, 31, v10
	v_lshl_add_u64 v[4:5], v[2:3], 1, s[2:3]
	v_lshlrev_b32_e32 v6, 1, v93
	v_lshl_add_u64 v[10:11], v[10:11], 1, s[2:3]
	v_lshl_add_u64 v[4:5], v[4:5], 0, v[6:7]
	v_lshl_add_u64 v[10:11], v[10:11], 0, v[6:7]
	global_load_dwordx2 v[8:9], v[4:5], off
	v_or_b32_e32 v94, 64, v93
	global_load_dwordx2 v[4:5], v[4:5], off offset:128
	s_nop 0
	global_load_dwordx2 v[12:13], v[10:11], off
	global_load_dwordx2 v[14:15], v[10:11], off offset:128
	v_or_b32_e32 v10, 0x1000, v2
	v_or_b32_e32 v2, 0x1800, v2
	v_ashrrev_i32_e32 v11, 31, v10
	v_ashrrev_i32_e32 v3, 31, v2
	v_lshl_add_u64 v[10:11], v[10:11], 1, s[2:3]
	v_lshl_add_u64 v[2:3], v[2:3], 1, s[2:3]
	;; [unrolled: 1-line block ×4, first 2 shown]
	global_load_dwordx2 v[16:17], v[10:11], off
	s_mul_hi_i32 s54, s49, s12
	global_load_dwordx2 v[10:11], v[10:11], off offset:128
	s_nop 0
	global_load_dwordx2 v[6:7], v[2:3], off
	global_load_dwordx2 v[18:19], v[2:3], off offset:128
	s_load_dwordx8 s[4:11], s[0:1], 0x0
	s_load_dwordx2 s[30:31], s[0:1], 0x80
	s_load_dwordx4 s[20:23], s[0:1], 0x70
	s_load_dword s56, s[26:27], 0x0
	s_mul_i32 s55, s49, s12
	s_cmp_lt_i32 s52, 64
	s_waitcnt lgkmcnt(0)
	s_mul_i32 s33, s24, s21
	s_mul_hi_u32 s44, s24, s20
	s_mul_i32 s45, s25, s20
	s_mul_i32 s38, s24, s20
	;; [unrolled: 1-line block ×3, first 2 shown]
	s_mul_hi_u32 s47, s49, s22
	s_mul_i32 s48, s50, s22
	s_mul_i32 s36, s49, s22
	s_waitcnt vmcnt(7)
	v_and_b32_e32 v75, 0xffff0000, v8
	v_lshlrev_b32_e32 v74, 16, v8
	v_and_b32_e32 v79, 0xffff0000, v9
	v_lshlrev_b32_e32 v78, 16, v9
	s_waitcnt vmcnt(6)
	v_and_b32_e32 v73, 0xffff0000, v4
	v_lshlrev_b32_e32 v72, 16, v4
	v_and_b32_e32 v77, 0xffff0000, v5
	v_lshlrev_b32_e32 v76, 16, v5
	;; [unrolled: 5-line block ×8, first 2 shown]
	s_cbranch_scc1 .LBB67_18
; %bb.1:
	s_ashr_i32 s3, s34, 31
	s_add_u32 s2, s55, s34
	s_addc_u32 s3, s54, s3
	s_lshl_b64 s[2:3], s[2:3], 8
	v_and_b32_e32 v96, 56, v91
	s_add_u32 s20, s6, s2
	v_lshl_or_b32 v95, v88, 3, v92
	v_lshlrev_b32_e32 v2, 1, v96
	s_addc_u32 s2, s7, s3
	v_lshl_or_b32 v97, v95, 8, v2
	s_and_b32 s21, s2, 0xffff
	s_mov_b32 s23, 0x20000
	s_movk_i32 s22, 0x4000
	s_movk_i32 s2, 0x80
	v_or_b32_e32 v98, 0x2000, v97
	buffer_load_dwordx4 v[4:7], v97, s[20:23], 0 offen
	buffer_load_dwordx4 v[8:11], v97, s[20:23], s2 offen
	;; [unrolled: 1-line block ×4, first 2 shown]
	v_lshlrev_b32_e32 v3, 3, v95
	v_and_or_b32 v21, v0, 7, v3
	v_and_b32_e32 v3, 0x78, v3
	v_lshlrev_b32_e32 v21, 4, v21
	v_xor_b32_e32 v99, v21, v3
	v_mul_lo_u32 v20, v95, s15
	v_or_b32_e32 v100, 0x1000, v99
	v_xor_b32_e32 v3, 8, v99
	s_cmpk_eq_i32 s15, 0x80
	s_mov_b32 s57, s34
	v_xor_b32_e32 v21, 8, v100
	s_cselect_b64 s[2:3], -1, 0
	s_cmpk_lg_i32 s15, 0x80
	s_waitcnt vmcnt(3)
	ds_write_b64 v99, v[4:5] offset:49152
	ds_write_b64 v3, v[6:7] offset:49152
	s_waitcnt vmcnt(2)
	ds_write_b64 v99, v[8:9] offset:57344
	ds_write_b64 v3, v[10:11] offset:57344
	;; [unrolled: 3-line block ×4, first 2 shown]
	v_lshl_add_u32 v3, v20, 1, v96
	s_cbranch_scc0 .LBB67_3
; %bb.2:
	v_lshlrev_b32_e32 v5, 1, v3
	v_add_lshl_u32 v4, v3, s15, 1
	s_lshl_b32 s22, s15, 7
	s_load_dwordx2 s[16:17], s[0:1], 0x20
	v_lshl_or_b32 v2, v95, 9, v2
	s_cbranch_execz .LBB67_4
	s_branch .LBB67_5
.LBB67_3:
                                        ; implicit-def: $vgpr4
                                        ; implicit-def: $vgpr5
                                        ; implicit-def: $sgpr22
	s_load_dwordx2 s[16:17], s[0:1], 0x20
	v_lshl_or_b32 v2, v95, 9, v2
.LBB67_4:
	v_or_b32_e32 v4, 0x100, v2
	s_movk_i32 s22, 0x4000
	v_mov_b32_e32 v5, v2
.LBB67_5:
	s_mul_i32 s0, s34, s14
	s_ashr_i32 s58, s53, 31
	s_mul_hi_i32 s1, s34, s14
	s_add_u32 s0, s0, s53
	s_addc_u32 s1, s1, s58
	s_lshl_b64 s[0:1], s[0:1], 8
	s_add_u32 s20, s4, s0
	s_addc_u32 s0, s5, s1
	s_and_b32 s21, s0, 0xffff
	s_movk_i32 s59, 0x80
	buffer_load_dwordx4 v[6:9], v5, s[20:23], 0 offen
	buffer_load_dwordx4 v[10:13], v5, s[20:23], s59 offen
	buffer_load_dwordx4 v[14:17], v4, s[20:23], 0 offen
	buffer_load_dwordx4 v[18:21], v4, s[20:23], s59 offen
	v_and_b32_e32 v5, 6, v0
	v_lshlrev_b32_e32 v4, 7, v93
	v_xor_b32_e32 v27, v95, v5
	v_and_b32_e32 v22, 1, v0
	v_lshl_or_b32 v30, v90, 3, v4
	v_lshlrev_b32_e32 v27, 2, v27
	v_lshlrev_b32_e32 v23, 2, v90
	v_or_b32_e32 v101, 0x4000, v30
	v_or_b32_e32 v102, 0x6000, v30
	v_xor_b32_e32 v30, 0x440, v27
	v_cmp_eq_u32_e32 vcc, 0, v22
	v_or_b32_e32 v25, 16, v90
	v_or_b32_e32 v26, 32, v90
	v_xor_b32_e32 v28, v93, v23
	v_xor_b32_e32 v29, v94, v23
	v_cndmask_b32_e32 v22, v30, v27, vcc
	s_mov_b32 s60, 0x1000504
	v_lshl_or_b32 v31, v25, 3, v4
	v_lshlrev_b32_e32 v25, 8, v25
	v_lshl_or_b32 v32, v26, 3, v4
	v_lshlrev_b32_e32 v28, 1, v28
	v_lshlrev_b32_e32 v29, 1, v29
	v_lshl_or_b32 v5, v5, 10, v22
	s_add_i32 s0, s44, s33
	s_mov_b32 s61, 0x3020706
	v_lshlrev_b32_e32 v24, 8, v90
	v_or_b32_e32 v105, 0x4000, v32
	v_or_b32_e32 v106, 0x6000, v32
	;; [unrolled: 1-line block ×4, first 2 shown]
	v_xor_b32_e32 v22, 8, v5
	v_xor_b32_e32 v25, 24, v5
	;; [unrolled: 1-line block ×4, first 2 shown]
	s_add_i32 s39, s0, s45
	s_add_i32 s0, s47, s46
	v_or_b32_e32 v103, 0x4000, v31
	v_or_b32_e32 v104, 0x6000, v31
	;; [unrolled: 1-line block ×4, first 2 shown]
	v_xor_b32_e32 v24, 16, v5
	v_xor_b32_e32 v27, 32, v5
	;; [unrolled: 1-line block ×3, first 2 shown]
	v_add_u32_e32 v22, 0x80, v22
	v_add_u32_e32 v25, 0x80, v25
	;; [unrolled: 1-line block ×4, first 2 shown]
	s_add_i32 s37, s0, s48
	s_lshl_b64 s[0:1], s[38:39], 2
	s_add_u32 s20, s10, s0
	s_addc_u32 s21, s11, s1
	s_lshl_b64 s[0:1], s[36:37], 2
	s_add_u32 s42, s20, s0
	s_movk_i32 s0, 0xf8
	s_addc_u32 s43, s21, s1
	s_ashr_i32 s41, s40, 31
	s_lshl_b32 s26, s15, 7
	v_mov_b32_e32 v81, 0
	s_movk_i32 s20, 0x100
	v_lshlrev_b32_e32 v80, 4, v90
	v_ashrrev_i32_e32 v47, 31, v46
	v_lshlrev_b32_e32 v26, 8, v26
	s_mov_b32 s62, 0
	s_movk_i32 s22, 0x4000
	v_or_b32_e32 v111, v26, v28
	v_or_b32_e32 v112, v26, v29
	s_mov_b32 s37, 0x7060302
	s_movk_i32 s39, 0x2000
	v_mov_b32_e32 v146, 0x3fb8aa3b
	s_waitcnt vmcnt(1)
	v_perm_b32 v33, v6, v14, s60
	s_waitcnt vmcnt(0)
	v_perm_b32 v34, v10, v18, s60
	v_perm_b32 v6, v6, v14, s61
	;; [unrolled: 1-line block ×15, first 2 shown]
	ds_write2st64_b32 v5, v33, v34 offset0:128 offset1:160
	ds_write2st64_b32 v22, v6, v10 offset0:128 offset1:160
	;; [unrolled: 1-line block ×8, first 2 shown]
	v_or_b32_e32 v5, 48, v90
	v_lshl_or_b32 v6, v5, 3, v4
	v_lshlrev_b32_e32 v5, 8, v5
	v_or_b32_e32 v115, v5, v28
	v_or_b32_e32 v116, v5, v29
	;; [unrolled: 1-line block ×3, first 2 shown]
	v_lshlrev_b32_e32 v5, 3, v5
	v_lshrrev_b32_e32 v7, 5, v45
	v_and_or_b32 v7, v5, s0, v7
	v_lshlrev_b32_e32 v7, 4, v7
	v_or_b32_e32 v113, 0x4000, v6
	v_or_b32_e32 v114, 0x6000, v6
	v_lshrrev_b32_e32 v6, 2, v45
	v_lshlrev_b32_e32 v9, 11, v88
	v_and_b32_e32 v5, 0x78, v5
	v_or_b32_e32 v13, 32, v7
	v_and_b32_e32 v8, 12, v6
	v_and_b32_e32 v6, 0x1000, v9
	v_xor_b32_e32 v10, v7, v5
	v_lshrrev_b32_e32 v11, 1, v45
	v_xor_b32_e32 v13, v13, v5
	v_or_b32_e32 v10, v10, v6
	v_and_b32_e32 v11, 8, v11
	v_or_b32_e32 v13, v13, v6
	v_xor_b32_e32 v117, v10, v11
	v_lshlrev_b32_e32 v10, 8, v89
	v_xor_b32_e32 v119, v13, v11
	v_or_b32_e32 v13, 64, v7
	v_or_b32_e32 v7, 0x60, v7
	v_or_b32_e32 v12, v10, v23
	v_xor_b32_e32 v13, v13, v5
	v_xor_b32_e32 v5, v7, v5
	s_lshl_b64 s[0:1], s[40:41], 8
	v_lshlrev_b32_e32 v12, 1, v12
	v_or_b32_e32 v13, v13, v6
	v_or_b32_e32 v5, v5, v6
	s_add_u32 s0, s18, s0
	v_lshlrev_b32_e32 v6, 1, v90
	v_lshlrev_b32_e32 v15, 2, v0
	v_or_b32_e32 v118, 0x4000, v12
	v_or_b32_e32 v120, 0x4080, v12
	;; [unrolled: 1-line block ×4, first 2 shown]
	v_xor_b32_e32 v123, v13, v11
	v_xor_b32_e32 v124, v5, v11
	v_or_b32_e32 v125, 0x6000, v12
	v_or_b32_e32 v126, 0x6080, v12
	;; [unrolled: 1-line block ×4, first 2 shown]
	v_lshlrev_b32_e32 v5, 1, v3
	v_add_lshl_u32 v3, v3, s15, 1
	v_or_b32_e32 v11, 0x100, v2
	v_lshrrev_b32_e32 v12, 4, v0
	s_addc_u32 s1, s19, s1
	v_or_b32_e32 v7, 1, v6
	v_lshrrev_b32_e32 v16, 1, v0
	v_and_or_b32 v10, v15, 60, v10
	v_xor_b32_e32 v13, v12, v6
	v_xor_b32_e32 v14, v7, v12
	v_lshl_add_u64 v[6:7], s[0:1], 0, v[80:81]
	v_and_b32_e32 v16, 24, v16
	v_lshlrev_b32_e32 v10, 1, v10
	v_cndmask_b32_e64 v135, v5, v2, s[2:3]
	v_cndmask_b32_e64 v136, v3, v11, s[2:3]
	v_mov_b32_e32 v3, 0xa000
	v_mov_b32_e32 v5, 0x8000
	v_cmp_gt_u32_e64 s[0:1], s20, v0
	v_lshlrev_b32_e32 v80, 8, v12
	v_or_b32_e32 v131, 0x6000, v10
	v_or_b32_e32 v15, 32, v16
	;; [unrolled: 1-line block ×6, first 2 shown]
	v_cndmask_b32_e64 v3, v3, v5, s[0:1]
	v_lshlrev_b32_e32 v5, 3, v88
	v_lshl_or_b32 v129, v13, 3, v80
	v_and_b32_e32 v13, 8, v0
	v_xor_b32_e32 v11, v5, v16
	v_xor_b32_e32 v15, v5, v15
	v_xor_b32_e32 v5, v5, v10
	v_mov_b32_e32 v17, 0x400
	v_cmp_eq_u32_e32 vcc, 0, v13
	v_or_b32_e32 v16, 0x440, v11
	v_or_b32_e32 v18, 0x440, v15
	v_xor_b32_e32 v10, 0x440, v5
	v_and_b32_e32 v12, 7, v0
	v_cndmask_b32_e64 v13, v17, 64, vcc
	v_cndmask_b32_e32 v16, v16, v11, vcc
	v_cndmask_b32_e32 v15, v18, v15, vcc
	;; [unrolled: 1-line block ×3, first 2 shown]
	v_lshl_or_b32 v130, v14, 3, v80
	v_lshlrev_b32_e32 v14, 3, v12
	v_or_b32_e32 v16, v16, v9
	v_or_b32_e32 v15, v15, v9
	v_or3_b32 v11, v9, v13, v11
	v_or_b32_e32 v5, v5, v9
	v_lshlrev_b32_e32 v12, 7, v12
	v_xor_b32_e32 v16, v16, v14
	v_xor_b32_e32 v15, v15, v14
	v_xor_b32_e32 v11, v11, v14
	v_xor_b32_e32 v5, v5, v14
	v_or_b32_e32 v2, v1, v8
	v_add_u32_e32 v17, v3, v16
	v_add_u32_e32 v18, v3, v15
	v_or_b32_e32 v137, v11, v12
	v_add_u32_e32 v9, v3, v5
	v_or3_b32 v8, v1, v8, 64
	v_add_u32_e32 v13, 0xa000, v16
	v_add_u32_e32 v14, 0xa000, v15
	v_add_u32_e32 v5, 0xa000, v5
	v_lshlrev_b64 v[10:11], 1, v[46:47]
	v_lshl_add_u64 v[82:83], s[8:9], 0, v[10:11]
	v_lshl_add_u64 v[84:85], s[28:29], 0, v[10:11]
	;; [unrolled: 1-line block ×3, first 2 shown]
	v_lshlrev_b32_e32 v80, 1, v4
	s_movk_i32 s41, 0x3000
	v_lshlrev_b32_e32 v47, 2, v2
	v_add_u32_e32 v138, v17, v12
	v_add_u32_e32 v139, v18, v12
	;; [unrolled: 1-line block ×4, first 2 shown]
	v_lshlrev_b32_e32 v142, 2, v8
	v_add_u32_e32 v143, v13, v12
	v_add_u32_e32 v144, v14, v12
	;; [unrolled: 1-line block ×3, first 2 shown]
	s_waitcnt lgkmcnt(0)
	s_barrier
.LBB67_6:                               ; =>This Inner Loop Header: Depth=1
	s_add_i32 s63, s62, 1
	s_cmp_lt_i32 s63, s51
	s_mov_b64 s[24:25], 0
	s_cselect_b64 s[2:3], -1, 0
	s_cmp_ge_i32 s63, s51
	s_mov_b64 s[20:21], 0
	s_cbranch_scc1 .LBB67_8
; %bb.7:                                ;   in Loop: Header=BB67_6 Depth=1
	s_add_i32 s0, s57, 64
	s_ashr_i32 s1, s0, 31
	s_add_u32 s0, s55, s0
	s_addc_u32 s1, s54, s1
	s_lshl_b64 s[0:1], s[0:1], 8
	s_add_u32 s20, s6, s0
	s_addc_u32 s21, s7, s1
.LBB67_8:                               ;   in Loop: Header=BB67_6 Depth=1
	v_cndmask_b32_e64 v2, 0, 1, s[2:3]
	v_cmp_ne_u32_e64 s[0:1], 1, v2
	s_andn2_b64 vcc, exec, s[2:3]
	s_cbranch_vccnz .LBB67_10
; %bb.9:                                ;   in Loop: Header=BB67_6 Depth=1
	s_add_i32 s2, s57, 64
	s_mul_hi_i32 s3, s2, s14
	s_mul_i32 s2, s2, s14
	s_add_u32 s2, s2, s53
	s_addc_u32 s3, s3, s58
	s_lshl_b64 s[2:3], s[2:3], 8
	s_add_u32 s24, s4, s2
	s_addc_u32 s25, s5, s3
.LBB67_10:                              ;   in Loop: Header=BB67_6 Depth=1
	v_perm_b32 v3, v79, v78, s37
	v_perm_b32 v2, v75, v74, s37
	v_perm_b32 v5, v77, v76, s37
	v_perm_b32 v4, v73, v72, s37
	ds_write_b64 v101, v[2:3]
	ds_write_b64 v102, v[4:5]
	ds_write_b64 v107, v[2:3]
	ds_write_b64 v108, v[4:5]
	v_perm_b32 v3, v71, v70, s37
	v_perm_b32 v2, v67, v66, s37
	v_perm_b32 v5, v69, v68, s37
	v_perm_b32 v4, v65, v64, s37
	ds_write_b64 v103, v[2:3]
	ds_write_b64 v104, v[4:5]
	ds_write_b64 v109, v[2:3]
	ds_write_b64 v110, v[4:5]
	;; [unrolled: 8-line block ×4, first 2 shown]
	s_waitcnt lgkmcnt(0)
	s_barrier
	ds_read_b64 v[6:7], v117 offset:49152
	ds_read2_b64 v[2:5], v118 offset1:16
	ds_read_b64 v[18:19], v120 offset:6144
	ds_read_b64 v[20:21], v118 offset:6144
	s_waitcnt lgkmcnt(2)
	v_mfma_f32_16x16x16_bf16 a[0:3], v[6:7], v[2:3], 0
	ds_read_b64 v[22:23], v119 offset:49152
	ds_read2st64_b64 v[10:13], v121 offset0:4 offset1:8
	ds_read2st64_b64 v[14:17], v122 offset0:4 offset1:8
	v_mfma_f32_16x16x16_bf16 a[4:7], v[6:7], v[4:5], 0
	ds_read2_b64 v[2:5], v118 offset0:32 offset1:48
	s_add_i32 s64, s57, 63
	s_ashr_i32 s2, s64, 31
	s_waitcnt lgkmcnt(0)
	v_mfma_f32_16x16x16_bf16 a[8:11], v[6:7], v[2:3], 0
	s_mul_i32 s3, s64, s31
	s_mul_hi_u32 s27, s64, s30
	s_add_i32 s3, s27, s3
	v_mfma_f32_16x16x16_bf16 a[12:15], v[6:7], v[4:5], 0
	ds_read2st64_b64 v[2:5], v118 offset0:4 offset1:8
	ds_read2st64_b64 v[6:9], v120 offset0:4 offset1:8
	s_mul_i32 s2, s2, s30
	s_waitcnt lgkmcnt(1)
	v_mfma_f32_16x16x16_bf16 a[0:3], v[22:23], v[2:3], a[0:3]
	s_add_i32 s3, s3, s2
	s_mul_i32 s2, s64, s30
	s_lshl_b64 s[2:3], s[2:3], 2
	s_waitcnt lgkmcnt(0)
	v_mfma_f32_16x16x16_bf16 a[4:7], v[22:23], v[6:7], a[4:7]
	s_add_u32 s2, s42, s2
	s_addc_u32 s3, s43, s3
	s_and_b64 vcc, exec, s[0:1]
	v_mfma_f32_16x16x16_bf16 a[8:11], v[22:23], v[10:11], a[8:11]
	ds_read_b64 v[2:3], v123 offset:49152
	ds_read_b64 v[6:7], v124 offset:49152
	;; [unrolled: 1-line block ×3, first 2 shown]
	v_mov_b32_e32 v149, 0
	v_mov_b32_e32 v148, 0
	v_mfma_f32_16x16x16_bf16 a[12:15], v[22:23], v[14:15], a[12:15]
	v_mov_b32_e32 v147, 0
	v_mov_b32_e32 v14, 0
	;; [unrolled: 1-line block ×3, first 2 shown]
	s_waitcnt lgkmcnt(2)
	v_mfma_f32_16x16x16_bf16 a[0:3], v[2:3], v[4:5], a[0:3]
	v_mov_b32_e32 v4, 0
	v_mov_b32_e32 v5, 0
	v_mfma_f32_16x16x16_bf16 a[4:7], v[2:3], v[8:9], a[4:7]
	v_mov_b32_e32 v8, 0
	v_mov_b32_e32 v9, 0
	;; [unrolled: 3-line block ×3, first 2 shown]
	v_mfma_f32_16x16x16_bf16 a[12:15], v[2:3], v[16:17], a[12:15]
	ds_read_b64 v[2:3], v121 offset:6144
	v_mov_b32_e32 v16, 0
	v_mov_b32_e32 v17, 0
	s_waitcnt lgkmcnt(2)
	v_mfma_f32_16x16x16_bf16 a[0:3], v[6:7], v[20:21], a[0:3]
	v_mfma_f32_16x16x16_bf16 a[4:7], v[6:7], v[18:19], a[4:7]
	s_waitcnt lgkmcnt(0)
	v_mfma_f32_16x16x16_bf16 a[8:11], v[6:7], v[2:3], a[8:11]
	v_mov_b32_e32 v2, 0
	v_mov_b32_e32 v3, 0
	v_mfma_f32_16x16x16_bf16 a[12:15], v[6:7], v[10:11], a[12:15]
	v_mov_b32_e32 v6, 0
	v_mov_b32_e32 v7, 0
	;; [unrolled: 1-line block ×4, first 2 shown]
	s_cbranch_vccnz .LBB67_12
; %bb.11:                               ;   in Loop: Header=BB67_6 Depth=1
	s_and_b32 s21, s21, 0xffff
	buffer_load_dwordx4 v[14:17], v97, s[20:23], 0 offen
	buffer_load_dwordx4 v[10:13], v97, s[20:23], s59 offen
	;; [unrolled: 1-line block ×4, first 2 shown]
	v_mov_b32_e32 v148, v99
	v_mov_b32_e32 v147, v100
.LBB67_12:                              ;   in Loop: Header=BB67_6 Depth=1
	ds_read_b64 v[38:39], v117 offset:57344
	ds_read2_b64 v[18:21], v125 offset1:16
	ds_read_b64 v[40:41], v119 offset:57344
	ds_read_b64 v[42:43], v123 offset:57344
	ds_read_b64 v[150:151], v124 offset:57344
	s_waitcnt lgkmcnt(3)
	v_mfma_f32_16x16x16_bf16 a[0:3], v[38:39], v[18:19], a[0:3]
	v_mfma_f32_16x16x16_bf16 a[4:7], v[38:39], v[20:21], a[4:7]
	ds_read2_b64 v[18:21], v125 offset0:32 offset1:48
	ds_read2st64_b64 v[22:25], v125 offset0:4 offset1:8
	ds_read2st64_b64 v[26:29], v126 offset0:4 offset1:8
	;; [unrolled: 1-line block ×4, first 2 shown]
	s_waitcnt lgkmcnt(4)
	v_mfma_f32_16x16x16_bf16 a[8:11], v[38:39], v[18:19], a[8:11]
	v_mfma_f32_16x16x16_bf16 a[12:15], v[38:39], v[20:21], a[12:15]
	v_add_u32_e32 v38, s57, v93
	v_ashrrev_i32_e32 v18, 31, v38
	v_mul_lo_u32 v20, v18, s30
	v_mul_lo_u32 v21, v38, s31
	v_mad_u64_u32 v[18:19], s[20:21], v38, s30, 0
	v_add3_u32 v19, v19, v21, v20
	v_add_u32_e32 v20, 1, v38
	v_ashrrev_i32_e32 v21, 31, v20
	s_waitcnt lgkmcnt(3)
	v_mfma_f32_16x16x16_bf16 a[0:3], v[40:41], v[22:23], a[0:3]
	v_mul_lo_u32 v22, v21, s30
	v_mul_lo_u32 v23, v20, s31
	v_mad_u64_u32 v[20:21], s[20:21], v20, s30, 0
	v_add3_u32 v21, v21, v23, v22
	v_add_u32_e32 v22, 2, v38
	v_ashrrev_i32_e32 v23, 31, v22
	s_waitcnt lgkmcnt(2)
	v_mfma_f32_16x16x16_bf16 a[4:7], v[40:41], v[26:27], a[4:7]
	v_mul_lo_u32 v26, v23, s30
	v_mul_lo_u32 v27, v22, s31
	v_mad_u64_u32 v[22:23], s[20:21], v22, s30, 0
	v_lshl_add_u64 v[18:19], v[18:19], 2, s[42:43]
	v_lshl_add_u64 v[20:21], v[20:21], 2, s[42:43]
	v_add3_u32 v23, v23, v27, v26
	v_add_u32_e32 v26, 3, v38
	s_waitcnt lgkmcnt(1)
	v_mfma_f32_16x16x16_bf16 a[8:11], v[40:41], v[30:31], a[8:11]
	global_load_dword v31, v[18:19], off
	v_ashrrev_i32_e32 v27, 31, v26
	v_mul_lo_u32 v27, v27, s30
	s_waitcnt lgkmcnt(0)
	v_mfma_f32_16x16x16_bf16 a[12:15], v[40:41], v[34:35], a[12:15]
	global_load_dword v34, v[20:21], off
	v_mad_u64_u32 v[18:19], s[20:21], v26, s30, 0
	s_ashr_i32 s21, s57, 31
	v_mul_lo_u32 v30, v26, s31
	s_add_u32 s20, s55, s57
	v_lshl_add_u64 v[22:23], v[22:23], 2, s[42:43]
	v_add3_u32 v19, v19, v30, v27
	s_addc_u32 s21, s54, s21
	v_lshl_add_u64 v[18:19], v[18:19], 2, s[42:43]
	global_load_dword v30, v[22:23], off
	global_load_dword v35, v[18:19], off
	s_lshl_b64 s[20:21], s[20:21], 8
	v_lshl_add_u64 v[18:19], v[82:83], 0, s[20:21]
	v_lshl_add_u64 v[18:19], v[18:19], 0, v[80:81]
	global_load_ushort v38, v[18:19], off offset:256
	global_load_ushort v39, v[18:19], off
	global_load_ushort v40, v[18:19], off offset:768
	global_load_ushort v41, v[18:19], off offset:512
	;; [unrolled: 1-line block ×6, first 2 shown]
	s_load_dword s2, s[2:3], 0x0
	v_mfma_f32_16x16x16_bf16 a[12:15], v[42:43], v[36:37], a[12:15]
	global_load_ushort v36, v[18:19], off offset:320
	global_load_ushort v37, v[18:19], off offset:64
	s_and_b64 vcc, exec, s[0:1]
	v_mfma_f32_16x16x16_bf16 a[0:3], v[42:43], v[24:25], a[0:3]
	ds_read_b64 v[20:21], v125 offset:6144
	ds_read_b64 v[22:23], v126 offset:6144
	;; [unrolled: 1-line block ×4, first 2 shown]
	v_mfma_f32_16x16x16_bf16 a[4:7], v[42:43], v[28:29], a[4:7]
	s_waitcnt vmcnt(11) lgkmcnt(0)
	v_sub_f32_e32 v28, s2, v30
	v_mfma_f32_16x16x16_bf16 a[8:11], v[42:43], v[32:33], a[8:11]
	global_load_ushort v42, v[18:19], off offset:832
	global_load_ushort v43, v[18:19], off offset:576
	;; [unrolled: 1-line block ×6, first 2 shown]
	v_mfma_f32_16x16x16_bf16 a[0:3], v[150:151], v[20:21], a[0:3]
	s_waitcnt vmcnt(16)
	v_sub_f32_e32 v29, s2, v35
	v_mul_f32_e32 v28, 0x3fb8aa3b, v28
	v_mul_f32_e32 v29, 0x3fb8aa3b, v29
	v_exp_f32_e32 v28, v28
	v_exp_f32_e32 v29, v29
	s_waitcnt vmcnt(15)
	v_lshlrev_b32_e32 v33, 16, v38
	s_waitcnt vmcnt(14)
	v_lshlrev_b32_e32 v32, 16, v39
	v_accvgpr_read_b32 v21, a3
	v_accvgpr_read_b32 v20, a2
	v_mfma_f32_16x16x16_bf16 a[2:5], v[150:151], v[22:23], a[4:7]
	v_mfma_f32_16x16x16_bf16 a[6:9], v[150:151], v[24:25], a[8:11]
	s_nop 5
	v_accvgpr_read_b32 v23, a5
	v_accvgpr_read_b32 v22, a4
	v_accvgpr_read_b32 v19, a9
	v_accvgpr_read_b32 v18, a8
	v_mfma_f32_16x16x16_bf16 a[8:11], v[150:151], v[26:27], a[12:15]
	v_sub_f32_e32 v26, s2, v31
	v_sub_f32_e32 v27, s2, v34
	v_mul_f32_e32 v26, 0x3fb8aa3b, v26
	v_mul_f32_e32 v27, 0x3fb8aa3b, v27
	v_exp_f32_e32 v26, v26
	v_exp_f32_e32 v27, v27
	v_accvgpr_read_b32 v35, a1
	v_accvgpr_read_b32 v34, a0
	v_lshl_add_u64 v[30:31], v[84:85], 0, s[20:21]
	v_pk_add_f32 v[32:33], v[32:33], v[34:35] neg_lo:[0,1] neg_hi:[0,1]
	s_waitcnt vmcnt(13)
	v_lshlrev_b32_e32 v35, 16, v40
	s_waitcnt vmcnt(12)
	v_lshlrev_b32_e32 v34, 16, v41
	v_lshl_add_u64 v[30:31], v[30:31], 0, v[80:81]
	v_pk_add_f32 v[20:21], v[34:35], v[20:21] neg_lo:[0,1] neg_hi:[0,1]
	global_store_short_d16_hi v[30:31], v32, off
	global_store_short_d16_hi v[30:31], v33, off offset:256
	global_store_short_d16_hi v[30:31], v20, off offset:512
	;; [unrolled: 1-line block ×3, first 2 shown]
	v_pk_mul_f32 v[32:33], v[26:27], v[32:33]
	v_pk_mul_f32 v[20:21], v[28:29], v[20:21]
	v_accvgpr_read_b32 v35, a3
	v_perm_b32 v21, v21, v20, s37
	v_perm_b32 v20, v33, v32, s37
	s_waitcnt vmcnt(15)
	v_lshlrev_b32_e32 v33, 16, v44
	s_waitcnt vmcnt(14)
	v_lshlrev_b32_e32 v32, 16, v152
	v_accvgpr_read_b32 v34, a2
	v_pk_add_f32 v[32:33], v[32:33], v[34:35] neg_lo:[0,1] neg_hi:[0,1]
	s_waitcnt vmcnt(13)
	v_lshlrev_b32_e32 v35, 16, v153
	s_waitcnt vmcnt(12)
	v_lshlrev_b32_e32 v34, 16, v154
	v_pk_add_f32 v[22:23], v[34:35], v[22:23] neg_lo:[0,1] neg_hi:[0,1]
	global_store_short_d16_hi v[30:31], v32, off offset:32
	global_store_short_d16_hi v[30:31], v33, off offset:288
	;; [unrolled: 1-line block ×4, first 2 shown]
	v_pk_mul_f32 v[32:33], v[26:27], v[32:33]
	v_pk_mul_f32 v[22:23], v[28:29], v[22:23]
	v_accvgpr_read_b32 v25, a11
	v_perm_b32 v23, v23, v22, s37
	v_perm_b32 v22, v33, v32, s37
	ds_write2_b64 v102, v[20:21], v[22:23] offset1:16
	v_accvgpr_read_b32 v23, a7
	s_waitcnt vmcnt(15)
	v_lshlrev_b32_e32 v21, 16, v36
	s_waitcnt vmcnt(14)
	v_lshlrev_b32_e32 v20, 16, v37
	v_accvgpr_read_b32 v22, a6
	v_pk_add_f32 v[20:21], v[20:21], v[22:23] neg_lo:[0,1] neg_hi:[0,1]
	global_store_short_d16_hi v[30:31], v20, off offset:64
	global_store_short_d16_hi v[30:31], v21, off offset:320
	v_pk_mul_f32 v[20:21], v[26:27], v[20:21]
	v_accvgpr_read_b32 v24, a10
	v_perm_b32 v20, v21, v20, s37
	v_mov_b32_e32 v150, 0
	v_mov_b32_e32 v32, 0
	;; [unrolled: 1-line block ×3, first 2 shown]
	s_waitcnt vmcnt(15)
	v_lshlrev_b32_e32 v23, 16, v42
	s_waitcnt vmcnt(14)
	v_lshlrev_b32_e32 v22, 16, v43
	v_pk_add_f32 v[18:19], v[22:23], v[18:19] neg_lo:[0,1] neg_hi:[0,1]
	global_store_short_d16_hi v[30:31], v18, off offset:576
	global_store_short_d16_hi v[30:31], v19, off offset:832
	v_pk_mul_f32 v[18:19], v[28:29], v[18:19]
	v_accvgpr_read_b32 v23, a9
	v_perm_b32 v21, v19, v18, s37
	s_waitcnt vmcnt(15)
	v_lshlrev_b32_e32 v19, 16, v155
	s_waitcnt vmcnt(14)
	v_lshlrev_b32_e32 v18, 16, v156
	v_accvgpr_read_b32 v22, a8
	v_pk_add_f32 v[18:19], v[18:19], v[22:23] neg_lo:[0,1] neg_hi:[0,1]
	s_waitcnt vmcnt(13)
	v_lshlrev_b32_e32 v23, 16, v157
	s_waitcnt vmcnt(12)
	v_lshlrev_b32_e32 v22, 16, v158
	v_pk_add_f32 v[22:23], v[22:23], v[24:25] neg_lo:[0,1] neg_hi:[0,1]
	global_store_short_d16_hi v[30:31], v18, off offset:96
	global_store_short_d16_hi v[30:31], v19, off offset:352
	;; [unrolled: 1-line block ×4, first 2 shown]
	v_pk_mul_f32 v[18:19], v[26:27], v[18:19]
	v_pk_mul_f32 v[22:23], v[28:29], v[22:23]
	v_mov_b32_e32 v24, 0
	v_perm_b32 v23, v23, v22, s37
	v_perm_b32 v22, v19, v18, s37
	ds_write2_b64 v102, v[20:21], v[22:23] offset0:32 offset1:48
	v_mov_b32_e32 v18, 0
	v_mov_b32_e32 v19, 0
	;; [unrolled: 1-line block ×13, first 2 shown]
	s_cbranch_vccnz .LBB67_14
; %bb.13:                               ;   in Loop: Header=BB67_6 Depth=1
	s_and_b32 s25, s25, 0xffff
	s_mov_b32 s27, s23
	buffer_load_dwordx4 v[30:33], v135, s[24:27], 0 offen
	buffer_load_dwordx4 v[22:25], v135, s[24:27], s59 offen
	;; [unrolled: 1-line block ×4, first 2 shown]
	v_mov_b32_e32 v149, v96
	v_mov_b32_e32 v150, v95
.LBB67_14:                              ;   in Loop: Header=BB67_6 Depth=1
	s_waitcnt lgkmcnt(0)
	s_barrier
	ds_read_b64 v[42:43], v138
	ds_read2_b64 v[34:37], v131 offset1:16
	ds_read_b64 v[168:169], v139
	ds_read_b64 v[170:171], v140
	;; [unrolled: 1-line block ×3, first 2 shown]
	ds_read2_b64 v[38:41], v131 offset0:32 offset1:48
	ds_read2st64_b64 v[152:155], v131 offset0:4 offset1:8
	ds_read2st64_b64 v[156:159], v132 offset0:4 offset1:8
	;; [unrolled: 1-line block ×4, first 2 shown]
	s_waitcnt lgkmcnt(8)
	v_mfma_f32_16x16x16_bf16 a[0:3], v[42:43], v[34:35], 0
	s_add_i32 s3, s56, s62
	s_mul_hi_i32 s21, s3, s13
	s_mul_i32 s3, s3, s13
	v_mfma_f32_16x16x16_bf16 a[4:7], v[42:43], v[36:37], 0
	s_add_u32 s20, s3, s49
	s_addc_u32 s21, s21, s50
	s_lshl_b64 s[20:21], s[20:21], 15
	s_waitcnt lgkmcnt(4)
	v_mfma_f32_16x16x16_bf16 a[8:11], v[42:43], v[38:39], 0
	s_mul_i32 s24, s64, s13
	s_mul_hi_i32 s3, s64, s13
	s_add_u32 s24, s24, s49
	v_mfma_f32_16x16x16_bf16 a[12:15], v[42:43], v[40:41], 0
	ds_read_b64 v[42:43], v131 offset:6144
	ds_read_b64 v[180:181], v132 offset:6144
	;; [unrolled: 1-line block ×4, first 2 shown]
	s_addc_u32 s25, s3, s50
	s_waitcnt lgkmcnt(7)
	v_mfma_f32_16x16x16_bf16 a[0:3], v[168:169], v[152:153], a[0:3]
	s_lshl_b64 s[24:25], s[24:25], 9
	s_add_u32 s24, s16, s24
	s_addc_u32 s25, s17, s25
	s_waitcnt lgkmcnt(6)
	v_mfma_f32_16x16x16_bf16 a[4:7], v[168:169], v[156:157], a[4:7]
	v_lshl_add_u64 v[190:191], v[86:87], 0, s[20:21]
	s_waitcnt lgkmcnt(5)
	v_mfma_f32_16x16x16_bf16 a[8:11], v[168:169], v[160:161], a[8:11]
	s_waitcnt lgkmcnt(4)
	v_mfma_f32_16x16x16_bf16 a[12:15], v[168:169], v[164:165], a[12:15]
	ds_read_b64 v[168:169], v143
	ds_read_b64 v[178:179], v144
	;; [unrolled: 1-line block ×3, first 2 shown]
	s_waitcnt lgkmcnt(2)
	v_mfma_f32_16x16x16_bf16 a[16:19], v[168:169], v[34:35], 0
	v_mfma_f32_16x16x16_bf16 a[20:23], v[168:169], v[36:37], 0
	global_load_dwordx4 v[34:37], v142, s[24:25]
	v_mfma_f32_16x16x16_bf16 a[24:27], v[168:169], v[38:39], 0
	v_mfma_f32_16x16x16_bf16 a[28:31], v[168:169], v[40:41], 0
	global_load_dwordx4 v[38:41], v47, s[24:25]
	v_mfma_f32_16x16x16_bf16 a[0:3], v[170:171], v[154:155], a[0:3]
	v_mfma_f32_16x16x16_bf16 a[4:7], v[170:171], v[158:159], a[4:7]
	;; [unrolled: 1-line block ×8, first 2 shown]
	ds_read2st64_b64 v[168:171], v129 offset1:8
	ds_read2st64_b64 v[172:175], v130 offset1:8
	ds_read_b64 v[188:189], v137 offset:40960
	s_waitcnt lgkmcnt(2)
	v_mov_b32_e32 v176, v168
	v_mfma_f32_16x16x16_bf16 a[16:19], v[178:179], v[152:153], a[16:19]
	v_mov_b32_e32 v177, v169
	v_mfma_f32_16x16x16_bf16 a[20:23], v[178:179], v[156:157], a[20:23]
	v_mfma_f32_16x16x16_bf16 a[24:27], v[178:179], v[160:161], a[24:27]
	;; [unrolled: 1-line block ×3, first 2 shown]
	v_add_co_u32_e32 v164, vcc, s39, v190
	s_waitcnt lgkmcnt(1)
	v_mov_b32_e32 v178, v172
	s_waitcnt lgkmcnt(0)
	v_mfma_f32_16x16x16_bf16 a[16:19], v[188:189], v[154:155], a[16:19]
	ds_read2st64_b64 v[152:155], v129 offset0:16 offset1:24
	v_addc_co_u32_e32 v165, vcc, 0, v191, vcc
	v_mfma_f32_16x16x16_bf16 a[20:23], v[188:189], v[158:159], a[20:23]
	ds_read2st64_b64 v[156:159], v130 offset0:16 offset1:24
	v_mov_b32_e32 v179, v173
	v_mov_b32_e32 v172, v170
	v_mfma_f32_16x16x16_bf16 a[32:35], v[188:189], v[162:163], a[24:27]
	v_mov_b32_e32 v173, v171
	s_waitcnt lgkmcnt(0)
	v_mov_b32_e32 v162, v156
	v_mov_b32_e32 v163, v157
	v_mfma_f32_16x16x16_bf16 a[36:39], v[188:189], v[166:167], a[28:31]
	v_mov_b32_e32 v156, v154
	v_mov_b32_e32 v157, v155
	;; [unrolled: 1-line block ×3, first 2 shown]
	v_mfma_f32_16x16x16_bf16 a[24:27], v[186:187], v[42:43], a[16:19]
	v_add_co_u32_e32 v42, vcc, s41, v190
	v_mov_b32_e32 v161, v153
	v_mfma_f32_16x16x16_bf16 a[28:31], v[186:187], v[180:181], a[20:23]
	v_addc_co_u32_e32 v43, vcc, 0, v191, vcc
	global_store_dwordx4 v[42:43], v[156:159], off
	v_mfma_f32_16x16x16_bf16 a[16:19], v[186:187], v[182:183], a[32:35]
	s_waitcnt vmcnt(2)
	v_mov_b32_e32 v44, v37
	v_mov_b32_e32 v43, v36
	;; [unrolled: 1-line block ×3, first 2 shown]
	v_mfma_f32_16x16x16_bf16 a[20:23], v[186:187], v[184:185], a[36:39]
	s_and_b64 vcc, exec, s[0:1]
	global_store_dwordx4 v[190:191], v[176:179], off
	global_store_dwordx4 v[164:165], v[172:175], off offset:-4096
	global_store_dwordx4 v[164:165], v[160:163], off
	s_cbranch_vccnz .LBB67_16
; %bb.15:                               ;   in Loop: Header=BB67_6 Depth=1
	v_lshrrev_b32_e32 v35, 3, v149
	v_and_b32_e32 v35, 6, v35
	v_xor_b32_e32 v36, v35, v150
	v_lshlrev_b32_e32 v36, 2, v36
	v_and_b32_e32 v37, 8, v149
	v_xor_b32_e32 v149, 0x440, v36
	v_cmp_eq_u32_e32 vcc, 0, v37
	v_perm_b32 v37, v22, v18, s60
	s_nop 0
	v_cndmask_b32_e32 v36, v149, v36, vcc
	v_lshl_or_b32 v35, v35, 10, v36
	v_perm_b32 v36, v30, v26, s60
	s_barrier
	ds_write2st64_b32 v35, v36, v37 offset0:128 offset1:160
	v_xor_b32_e32 v36, 8, v35
	v_perm_b32 v26, v30, v26, s61
	v_perm_b32 v18, v22, v18, s61
	v_add_u32_e32 v22, 0x80, v36
	ds_write2st64_b32 v22, v26, v18 offset0:128 offset1:160
	v_xor_b32_e32 v18, 16, v35
	v_perm_b32 v22, v31, v27, s60
	v_perm_b32 v26, v23, v19, s60
	ds_write2st64_b32 v18, v22, v26 offset0:129 offset1:161
	v_xor_b32_e32 v18, 24, v35
	v_perm_b32 v22, v31, v27, s61
	v_perm_b32 v19, v23, v19, s61
	v_add_u32_e32 v18, 0x80, v18
	ds_write2st64_b32 v18, v22, v19 offset0:129 offset1:161
	v_xor_b32_e32 v18, 32, v35
	v_perm_b32 v19, v32, v28, s60
	v_perm_b32 v22, v24, v20, s60
	;; [unrolled: 9-line block ×3, first 2 shown]
	ds_write2st64_b32 v18, v19, v20 offset0:131 offset1:163
	v_xor_b32_e32 v18, 56, v35
	v_perm_b32 v19, v33, v29, s61
	v_perm_b32 v20, v25, v21, s61
	v_add_u32_e32 v18, 0x80, v18
	ds_write2st64_b32 v18, v19, v20 offset0:131 offset1:163
	ds_write_b64 v148, v[14:15] offset:49152
	v_xor_b32_e32 v14, 8, v148
	ds_write_b64 v14, v[16:17] offset:49152
	ds_write_b64 v148, v[10:11] offset:57344
	;; [unrolled: 1-line block ×4, first 2 shown]
	v_xor_b32_e32 v6, 8, v147
	ds_write_b64 v6, v[8:9] offset:49152
	ds_write_b64 v147, v[2:3] offset:57344
	;; [unrolled: 1-line block ×3, first 2 shown]
.LBB67_16:                              ;   in Loop: Header=BB67_6 Depth=1
	v_mul_f32_e32 v26, s2, v146
	v_exp_f32_e32 v36, v26
	s_waitcnt vmcnt(4)
	v_mul_f32_e32 v26, 0x3fb8aa3b, v38
	v_exp_f32_e32 v38, v26
	v_mul_f32_e32 v26, 0x3fb8aa3b, v39
	v_exp_f32_e32 v39, v26
	;; [unrolled: 2-line block ×4, first 2 shown]
	v_accvgpr_read_b32 v5, a3
	v_accvgpr_read_b32 v4, a2
	;; [unrolled: 1-line block ×4, first 2 shown]
	v_pk_mul_f32 v[38:39], v[36:37], v[38:39] op_sel_hi:[0,1]
	v_pk_mul_f32 v[40:41], v[36:37], v[40:41] op_sel_hi:[0,1]
	v_pk_fma_f32 v[74:75], v[74:75], v[38:39], v[2:3]
	v_pk_fma_f32 v[78:79], v[78:79], v[40:41], v[4:5]
	v_mul_f32_e32 v2, 0x3fb8aa3b, v34
	v_mul_f32_e32 v3, 0x3fb8aa3b, v42
	;; [unrolled: 1-line block ×4, first 2 shown]
	v_exp_f32_e32 v2, v2
	v_exp_f32_e32 v3, v3
	;; [unrolled: 1-line block ×4, first 2 shown]
	v_accvgpr_read_b32 v9, a7
	v_accvgpr_read_b32 v13, a11
	;; [unrolled: 1-line block ×28, first 2 shown]
	v_pk_mul_f32 v[2:3], v[36:37], v[2:3] op_sel_hi:[0,1]
	v_pk_mul_f32 v[4:5], v[36:37], v[4:5] op_sel_hi:[0,1]
	s_add_i32 s57, s57, 64
	v_pk_fma_f32 v[66:67], v[38:39], v[66:67], v[6:7]
	v_pk_fma_f32 v[70:71], v[40:41], v[70:71], v[8:9]
	;; [unrolled: 1-line block ×13, first 2 shown]
	s_cmp_eq_u32 s51, s63
	v_pk_fma_f32 v[52:53], v[4:5], v[52:53], v[32:33]
	s_cbranch_scc1 .LBB67_18
; %bb.17:                               ;   in Loop: Header=BB67_6 Depth=1
	s_mov_b32 s62, s63
	s_branch .LBB67_6
.LBB67_18:
	s_lshl_b32 s26, s51, 6
	s_sub_i32 s27, s52, s26
	s_cmp_gt_i32 s27, 0
	s_cbranch_scc0 .LBB67_99
; %bb.19:
	s_add_i32 s26, s26, s34
	s_ashr_i32 s2, s26, 31
	s_cmpk_lg_i32 s15, 0x80
	s_cselect_b64 s[22:23], -1, 0
	s_and_b64 vcc, exec, s[22:23]
	s_cbranch_vccz .LBB67_21
; %bb.20:
	s_mul_i32 s1, s26, s14
	s_ashr_i32 s3, s53, 31
	s_mul_hi_i32 s0, s26, s14
	s_add_u32 s24, s1, s53
	s_addc_u32 s25, s0, s3
	s_cbranch_execz .LBB67_22
	s_branch .LBB67_23
.LBB67_21:
                                        ; implicit-def: $sgpr24_sgpr25
.LBB67_22:
	s_mul_i32 s1, s53, s12
	s_mul_hi_i32 s0, s53, s12
	s_add_u32 s24, s1, s26
	s_addc_u32 s25, s0, s2
.LBB67_23:
	s_add_i32 s3, s51, s56
	s_add_u32 s0, s55, s26
	v_lshlrev_b32_e32 v6, 6, v93
	v_lshlrev_b32_e32 v24, 2, v90
	s_addc_u32 s1, s54, s2
	s_mov_b32 s2, 0x7060302
	v_or_b32_e32 v9, v6, v24
	v_xor_b32_e32 v7, v93, v24
	v_perm_b32 v3, v79, v78, s2
	v_perm_b32 v2, v75, v74, s2
	;; [unrolled: 1-line block ×4, first 2 shown]
	v_lshlrev_b32_e32 v9, 1, v9
	v_xor_b32_e32 v8, v94, v24
	ds_write2st64_b64 v9, v[2:3], v[4:5] offset0:32 offset1:48
	v_lshlrev_b32_e32 v7, 1, v7
	v_lshlrev_b32_e32 v9, 8, v90
	v_or_b32_e32 v10, v7, v9
	v_lshlrev_b32_e32 v8, 1, v8
	ds_write_b64 v10, v[2:3]
	v_or_b32_e32 v2, v8, v9
	v_or_b32_e32 v9, 16, v90
	v_lshlrev_b32_e32 v23, 2, v9
	v_or_b32_e32 v10, v6, v23
	ds_write_b64 v2, v[4:5]
	v_perm_b32 v3, v71, v70, s2
	v_perm_b32 v2, v67, v66, s2
	;; [unrolled: 1-line block ×4, first 2 shown]
	v_lshlrev_b32_e32 v10, 1, v10
	v_lshlrev_b32_e32 v9, 8, v9
	ds_write2st64_b64 v10, v[2:3], v[4:5] offset0:32 offset1:48
	v_or_b32_e32 v10, v7, v9
	ds_write_b64 v10, v[2:3]
	v_or_b32_e32 v2, v8, v9
	v_or_b32_e32 v9, 32, v90
	v_lshlrev_b32_e32 v22, 2, v9
	v_or_b32_e32 v10, v6, v22
	s_lshl_b64 s[20:21], s[0:1], 8
	ds_write_b64 v2, v[4:5]
	v_perm_b32 v3, v63, v62, s2
	v_perm_b32 v2, v59, v58, s2
	;; [unrolled: 1-line block ×4, first 2 shown]
	v_lshlrev_b32_e32 v10, 1, v10
	v_lshlrev_b32_e32 v9, 8, v9
	s_add_u32 s0, s6, s20
	ds_write2st64_b64 v10, v[2:3], v[4:5] offset0:32 offset1:48
	v_or_b32_e32 v10, v7, v9
	s_addc_u32 s1, s7, s21
	ds_write_b64 v10, v[2:3]
	v_or_b32_e32 v2, v8, v9
	v_or_b32_e32 v9, 48, v90
	s_mul_hi_i32 s6, s3, s13
	s_mul_i32 s3, s3, s13
	ds_write_b64 v2, v[4:5]
	v_perm_b32 v3, v55, v54, s2
	v_perm_b32 v2, v51, v50, s2
	v_perm_b32 v5, v53, v52, s2
	v_perm_b32 v4, v49, v48, s2
	v_lshlrev_b32_e32 v19, 2, v9
	s_add_u32 s2, s3, s49
	v_or_b32_e32 v6, v6, v19
	s_addc_u32 s3, s6, s50
	v_lshlrev_b32_e32 v6, 1, v6
	s_ashr_i32 s41, s40, 31
	s_lshl_b64 s[2:3], s[2:3], 15
	ds_write2st64_b64 v6, v[2:3], v[4:5] offset0:32 offset1:48
	v_lshlrev_b32_e32 v6, 8, v9
	s_add_u32 s6, s18, s2
	v_or_b32_e32 v7, v7, v6
	s_addc_u32 s7, s19, s3
	s_lshl_b64 s[2:3], s[40:41], 8
	ds_write_b64 v7, v[2:3]
	v_or_b32_e32 v2, v8, v6
	s_add_u32 s2, s6, s2
	v_lshlrev_b32_e32 v3, 1, v90
	ds_write_b64 v2, v[4:5]
	v_lshrrev_b32_e32 v2, 4, v0
	s_addc_u32 s3, s7, s3
	v_or_b32_e32 v4, 1, v3
	v_lshlrev_b32_e32 v10, 4, v90
	v_mov_b32_e32 v11, 0
	v_xor_b32_e32 v3, v2, v3
	v_xor_b32_e32 v6, v4, v2
	v_lshl_add_u64 v[12:13], s[2:3], 0, v[10:11]
	v_lshlrev_b32_e32 v10, 8, v2
	v_lshl_or_b32 v16, v3, 3, v10
	v_lshl_or_b32 v17, v6, 3, v10
	s_waitcnt lgkmcnt(0)
	s_barrier
	ds_read2st64_b64 v[2:5], v16 offset1:8
	ds_read2st64_b64 v[6:9], v17 offset1:8
	v_lshl_add_u64 v[14:15], v[12:13], 0, v[10:11]
	s_movk_i32 s2, 0x2000
	s_cmp_lg_u32 s27, 64
	s_waitcnt lgkmcnt(1)
	v_mov_b32_e32 v10, v2
	v_mov_b32_e32 v11, v3
	s_waitcnt lgkmcnt(0)
	v_mov_b32_e32 v12, v6
	v_mov_b32_e32 v13, v7
	global_store_dwordx4 v[14:15], v[10:13], off
	v_mov_b32_e32 v6, v4
	v_mov_b32_e32 v7, v5
	ds_read2st64_b64 v[2:5], v16 offset0:16 offset1:24
	ds_read2st64_b64 v[10:13], v17 offset0:16 offset1:24
	v_add_co_u32_e32 v16, vcc, s2, v14
	s_cselect_b64 s[6:7], -1, 0
	s_nop 0
	v_addc_co_u32_e32 v17, vcc, 0, v15, vcc
	global_store_dwordx4 v[16:17], v[6:9], off offset:-4096
	v_lshl_or_b32 v25, v88, 3, v92
	s_mov_b32 s16, 0
	s_waitcnt lgkmcnt(1)
	v_mov_b32_e32 v6, v2
	v_add_co_u32_e32 v2, vcc, 0x3000, v14
	v_mov_b32_e32 v7, v3
	s_nop 0
	v_addc_co_u32_e32 v3, vcc, 0, v15, vcc
	s_waitcnt lgkmcnt(0)
	v_mov_b32_e32 v8, v10
	v_mov_b32_e32 v9, v11
	;; [unrolled: 1-line block ×4, first 2 shown]
	v_or_b32_e32 v20, 32, v25
	v_and_b32_e32 v18, 56, v91
	s_and_b64 vcc, exec, s[6:7]
	global_store_dwordx4 v[16:17], v[6:9], off
	global_store_dwordx4 v[2:3], v[10:13], off
	s_cbranch_vccz .LBB67_29
; %bb.24:
	s_mov_b32 s17, s16
	s_mov_b32 s18, s16
	;; [unrolled: 1-line block ×3, first 2 shown]
	v_mov_b64_e32 v[6:7], s[16:17]
	v_mov_b64_e32 v[8:9], s[18:19]
	;; [unrolled: 1-line block ×3, first 2 shown]
	v_cmp_gt_i32_e32 vcc, s27, v25
	v_mov_b64_e32 v[4:5], v[8:9]
	s_and_saveexec_b64 s[2:3], vcc
	s_cbranch_execz .LBB67_26
; %bb.25:
	v_lshlrev_b32_e32 v2, 8, v25
	v_mov_b32_e32 v3, 0
	v_lshl_add_u64 v[4:5], s[0:1], 0, v[2:3]
	v_lshlrev_b32_e32 v2, 1, v18
	v_lshl_add_u64 v[10:11], v[4:5], 0, v[2:3]
	global_load_dwordx4 v[6:9], v[10:11], off
	global_load_dwordx4 v[2:5], v[10:11], off offset:128
.LBB67_26:
	s_or_b64 exec, exec, s[2:3]
	s_mov_b32 s17, s16
	s_mov_b32 s18, s16
	;; [unrolled: 1-line block ×3, first 2 shown]
	v_mov_b64_e32 v[14:15], s[16:17]
	v_mov_b64_e32 v[16:17], s[18:19]
	;; [unrolled: 1-line block ×3, first 2 shown]
	v_cmp_gt_i32_e32 vcc, s27, v20
	v_lshlrev_b32_e32 v21, 7, v20
	v_mov_b64_e32 v[12:13], v[16:17]
	s_and_saveexec_b64 s[2:3], vcc
	s_cbranch_execz .LBB67_28
; %bb.27:
	v_lshlrev_b32_e32 v10, 1, v21
	v_mov_b32_e32 v11, 0
	v_lshl_add_u64 v[12:13], s[0:1], 0, v[10:11]
	v_lshlrev_b32_e32 v10, 1, v18
	v_lshl_add_u64 v[26:27], v[12:13], 0, v[10:11]
	global_load_dwordx4 v[14:17], v[26:27], off
	global_load_dwordx4 v[10:13], v[26:27], off offset:128
.LBB67_28:
	s_or_b64 exec, exec, s[2:3]
	v_lshrrev_b32_e32 v26, 3, v18
	v_lshlrev_b32_e32 v27, 3, v25
	v_or_b32_e32 v26, v27, v26
	v_lshlrev_b32_e32 v26, 4, v26
	v_and_b32_e32 v27, 0x78, v27
	v_xor_b32_e32 v26, v26, v27
	s_branch .LBB67_31
.LBB67_29:
                                        ; implicit-def: $vgpr26
                                        ; implicit-def: $vgpr21
                                        ; implicit-def: $vgpr6_vgpr7_vgpr8_vgpr9
                                        ; implicit-def: $vgpr2_vgpr3_vgpr4_vgpr5
                                        ; implicit-def: $vgpr14_vgpr15_vgpr16_vgpr17
                                        ; implicit-def: $vgpr10_vgpr11_vgpr12_vgpr13
	s_cbranch_execz .LBB67_31
; %bb.30:
	s_waitcnt vmcnt(0)
	v_lshlrev_b32_e32 v2, 1, v18
	v_lshl_or_b32 v21, v25, 8, v2
	s_and_b32 s1, s1, 0xffff
	s_mov_b32 s3, 0x20000
	s_movk_i32 s2, 0x4000
	v_lshl_or_b32 v26, v20, 8, v2
	s_movk_i32 s12, 0x80
	buffer_load_dwordx4 v[6:9], v21, s[0:3], 0 offen
	buffer_load_dwordx4 v[2:5], v21, s[0:3], s12 offen
	;; [unrolled: 1-line block ×4, first 2 shown]
	v_lshrrev_b32_e32 v21, 3, v18
	v_lshlrev_b32_e32 v26, 3, v25
	v_or_b32_e32 v21, v26, v21
	v_lshlrev_b32_e32 v21, 4, v21
	v_and_b32_e32 v26, 0x78, v26
	v_xor_b32_e32 v26, v21, v26
	v_lshlrev_b32_e32 v21, 7, v20
.LBB67_31:
	s_movk_i32 s0, 0x1000
	v_and_or_b32 v20, v21, s0, v26
	s_waitcnt vmcnt(1)
	ds_write_b64 v26, v[6:7] offset:49152
	v_xor_b32_e32 v6, 8, v26
	ds_write_b64 v6, v[8:9] offset:49152
	s_waitcnt vmcnt(0)
	ds_write_b64 v26, v[2:3] offset:57344
	ds_write_b64 v6, v[4:5] offset:57344
	;; [unrolled: 1-line block ×3, first 2 shown]
	v_xor_b32_e32 v2, 8, v20
	ds_write_b64 v2, v[16:17] offset:49152
	ds_write_b64 v20, v[10:11] offset:57344
	;; [unrolled: 1-line block ×3, first 2 shown]
	v_or_b32_e32 v2, v1, v90
	v_lshlrev_b32_e32 v3, 11, v88
	v_lshlrev_b32_e32 v2, 3, v2
	v_and_b32_e32 v6, 0x1000, v3
	v_lshrrev_b32_e32 v3, 5, v45
	s_movk_i32 s0, 0xf8
	v_and_or_b32 v3, v2, s0, v3
	v_lshlrev_b32_e32 v7, 4, v3
	v_and_b32_e32 v8, 0x78, v2
	v_or_b32_e32 v10, 32, v7
	v_lshrrev_b32_e32 v3, 1, v45
	v_xor_b32_e32 v10, v10, v8
	v_xor_b32_e32 v2, v7, v8
	v_and_b32_e32 v9, 8, v3
	v_or_b32_e32 v10, v10, v6
	v_or_b32_e32 v2, v2, v6
	v_xor_b32_e32 v28, v10, v9
	v_or_b32_e32 v10, 64, v7
	v_xor_b32_e32 v27, v2, v9
	v_xor_b32_e32 v10, v10, v8
	s_waitcnt lgkmcnt(0)
	s_barrier
	v_or_b32_e32 v13, v10, v6
	ds_read_b64 v[10:11], v27 offset:49152
	v_lshl_or_b32 v14, v89, 8, v24
	v_lshlrev_b32_e32 v26, 1, v14
	v_add_u32_e32 v12, 0x4000, v26
	ds_read2_b64 v[2:5], v12 offset1:16
	v_or_b32_e32 v7, 0x60, v7
	v_xor_b32_e32 v7, v7, v8
	v_or_b32_e32 v6, v7, v6
	v_xor_b32_e32 v29, v13, v9
	v_xor_b32_e32 v30, v6, v9
	ds_read_b64 v[20:21], v28 offset:49152
	ds_read_b64 v[34:35], v29 offset:49152
	;; [unrolled: 1-line block ×3, first 2 shown]
	s_waitcnt lgkmcnt(3)
	v_mfma_f32_16x16x16_bf16 a[0:3], v[10:11], v[2:3], 0
	ds_read2st64_b64 v[6:9], v26 offset0:36 offset1:40
	s_lshl_b64 s[0:1], s[24:25], 8
	s_add_u32 s4, s4, s0
	v_mfma_f32_16x16x16_bf16 a[4:7], v[10:11], v[4:5], 0
	ds_read2_b64 v[2:5], v12 offset0:32 offset1:48
	s_addc_u32 s5, s5, s1
	s_add_i32 s1, s44, s33
	s_waitcnt lgkmcnt(0)
	v_mfma_f32_16x16x16_bf16 a[8:11], v[10:11], v[2:3], 0
	v_or_b32_e32 v2, 64, v14
	v_lshlrev_b32_e32 v31, 1, v2
	s_add_i32 s0, s35, -1
	v_mfma_f32_16x16x16_bf16 a[12:15], v[10:11], v[4:5], 0
	ds_read2st64_b64 v[2:5], v31 offset0:36 offset1:40
	s_add_i32 s39, s1, s45
	s_add_i32 s1, s47, s46
	v_mfma_f32_16x16x16_bf16 a[0:3], v[20:21], v[6:7], a[0:3]
	v_or_b32_e32 v6, 0x80, v14
	v_lshlrev_b32_e32 v32, 1, v6
	ds_read2st64_b64 v[10:13], v32 offset0:36 offset1:40
	s_waitcnt lgkmcnt(1)
	v_mfma_f32_16x16x16_bf16 a[4:7], v[20:21], v[2:3], a[4:7]
	v_or_b32_e32 v2, 0xc0, v14
	v_lshlrev_b32_e32 v33, 1, v2
	ds_read2st64_b64 v[14:17], v33 offset0:36 offset1:40
	s_add_i32 s37, s1, s48
	s_ashr_i32 s1, s0, 31
	s_mul_i32 s2, s0, s31
	s_mul_hi_u32 s3, s0, s30
	s_add_i32 s2, s3, s2
	s_mul_i32 s1, s1, s30
	s_waitcnt lgkmcnt(1)
	v_mfma_f32_16x16x16_bf16 a[8:11], v[20:21], v[10:11], a[8:11]
	s_add_i32 s1, s2, s1
	s_lshl_b64 s[2:3], s[38:39], 2
	s_add_u32 s10, s10, s2
	s_waitcnt lgkmcnt(0)
	v_mfma_f32_16x16x16_bf16 a[12:15], v[20:21], v[14:15], a[12:15]
	s_addc_u32 s11, s11, s3
	s_lshl_b64 s[2:3], s[36:37], 2
	s_mul_i32 s0, s0, s30
	v_mfma_f32_16x16x16_bf16 a[0:3], v[34:35], v[8:9], a[0:3]
	ds_read_b64 v[2:3], v26 offset:22528
	s_add_u32 s10, s10, s2
	s_addc_u32 s11, s11, s3
	v_mfma_f32_16x16x16_bf16 a[4:7], v[34:35], v[4:5], a[4:7]
	ds_read_b64 v[4:5], v31 offset:22528
	ds_read_b64 v[6:7], v32 offset:22528
	ds_read_b64 v[8:9], v33 offset:22528
	s_lshl_b64 s[0:1], s[0:1], 2
	s_add_u32 s0, s10, s0
	v_mfma_f32_16x16x16_bf16 a[8:11], v[34:35], v[12:13], a[8:11]
	s_addc_u32 s1, s11, s1
	s_load_dword s12, s[0:1], 0x0
	s_and_b64 vcc, exec, s[22:23]
	v_mfma_f32_16x16x16_bf16 a[12:15], v[34:35], v[16:17], a[12:15]
	s_waitcnt lgkmcnt(0)
	v_mfma_f32_16x16x16_bf16 a[0:3], v[36:37], v[2:3], a[0:3]
	v_mfma_f32_16x16x16_bf16 a[4:7], v[36:37], v[4:5], a[4:7]
	v_mfma_f32_16x16x16_bf16 a[8:11], v[36:37], v[6:7], a[8:11]
	v_mfma_f32_16x16x16_bf16 a[12:15], v[36:37], v[8:9], a[12:15]
	s_cbranch_vccz .LBB67_42
; %bb.32:
	v_lshlrev_b32_e32 v20, 1, v25
	s_and_b64 vcc, exec, s[6:7]
	s_cbranch_vccz .LBB67_43
; %bb.33:
	v_cmp_gt_i32_e32 vcc, s27, v20
	v_mov_b32_e32 v6, 0
	v_mov_b32_e32 v2, 0
	;; [unrolled: 1-line block ×5, first 2 shown]
	s_and_saveexec_b64 s[0:1], vcc
	s_cbranch_execz .LBB67_35
; %bb.34:
	v_mad_i64_i32 v[2:3], s[2:3], s15, v20, 0
	v_lshl_add_u64 v[2:3], v[2:3], 1, s[4:5]
	v_lshlrev_b32_e32 v4, 1, v18
	v_mov_b32_e32 v5, 0
	v_lshl_add_u64 v[2:3], v[2:3], 0, v[4:5]
	global_load_dwordx4 v[2:5], v[2:3], off
.LBB67_35:
	s_or_b64 exec, exec, s[0:1]
	v_or_b32_e32 v21, 1, v20
	v_cmp_gt_i32_e64 s[0:1], s27, v21
	v_mov_b32_e32 v7, 0
	v_mov_b32_e32 v8, 0
	;; [unrolled: 1-line block ×3, first 2 shown]
	s_and_saveexec_b64 s[2:3], s[0:1]
	s_cbranch_execz .LBB67_37
; %bb.36:
	v_mad_i64_i32 v[6:7], s[16:17], s15, v21, 0
	v_lshl_add_u64 v[6:7], v[6:7], 1, s[4:5]
	v_lshlrev_b32_e32 v8, 1, v18
	v_mov_b32_e32 v9, 0
	v_lshl_add_u64 v[6:7], v[6:7], 0, v[8:9]
	global_load_dwordx4 v[6:9], v[6:7], off
.LBB67_37:
	s_or_b64 exec, exec, s[2:3]
	v_mov_b32_e32 v17, 0
	v_mov_b32_e32 v10, 0
	;; [unrolled: 1-line block ×5, first 2 shown]
	s_and_saveexec_b64 s[2:3], vcc
	s_cbranch_execz .LBB67_39
; %bb.38:
	v_mad_i64_i32 v[10:11], s[16:17], s15, v20, 0
	v_lshl_add_u64 v[10:11], v[10:11], 1, s[4:5]
	v_lshlrev_b32_e32 v12, 1, v18
	v_mov_b32_e32 v13, 0
	v_lshl_add_u64 v[10:11], v[10:11], 0, v[12:13]
	global_load_dwordx4 v[10:13], v[10:11], off offset:128
.LBB67_39:
	s_or_b64 exec, exec, s[2:3]
	v_mov_b32_e32 v16, 0
	v_mov_b32_e32 v15, 0
	;; [unrolled: 1-line block ×3, first 2 shown]
	s_and_saveexec_b64 s[2:3], s[0:1]
	s_cbranch_execz .LBB67_41
; %bb.40:
	v_mad_i64_i32 v[14:15], s[0:1], s15, v21, 0
	v_lshl_add_u64 v[14:15], v[14:15], 1, s[4:5]
	v_lshlrev_b32_e32 v16, 1, v18
	v_mov_b32_e32 v17, 0
	v_lshl_add_u64 v[14:15], v[14:15], 0, v[16:17]
	global_load_dwordx4 v[14:17], v[14:15], off offset:128
.LBB67_41:
	s_or_b64 exec, exec, s[2:3]
	s_branch .LBB67_45
.LBB67_42:
                                        ; implicit-def: $vgpr5
                                        ; implicit-def: $vgpr9
                                        ; implicit-def: $vgpr13
                                        ; implicit-def: $vgpr17
	v_lshrrev_b32_e32 v34, 2, v45
	s_branch .LBB67_46
.LBB67_43:
                                        ; implicit-def: $vgpr5
                                        ; implicit-def: $vgpr9
                                        ; implicit-def: $vgpr13
                                        ; implicit-def: $vgpr17
	s_cbranch_execz .LBB67_45
; %bb.44:
	s_waitcnt vmcnt(0)
	v_mad_u64_u32 v[2:3], s[0:1], v20, s15, v[18:19]
	v_lshlrev_b32_e32 v20, 1, v2
	s_lshl_b32 s2, s15, 7
	s_and_b32 s1, s5, 0xffff
	s_mov_b32 s3, 0x20000
	s_mov_b32 s0, s4
	v_add_lshl_u32 v21, v2, s15, 1
	s_movk_i32 s13, 0x80
	buffer_load_dwordx4 v[2:5], v20, s[0:3], 0 offen
	buffer_load_dwordx4 v[10:13], v20, s[0:3], s13 offen
	;; [unrolled: 1-line block ×4, first 2 shown]
.LBB67_45:
	v_lshrrev_b32_e32 v34, 2, v45
	s_cbranch_execnz .LBB67_58
.LBB67_46:
	s_and_b64 vcc, exec, s[6:7]
	s_cbranch_vccz .LBB67_56
; %bb.47:
	s_waitcnt vmcnt(0)
	v_lshlrev_b32_e32 v7, 1, v25
	v_cmp_gt_i32_e32 vcc, s27, v7
	v_mov_b32_e32 v6, 0
	v_lshlrev_b32_e32 v14, 9, v25
	v_mov_b32_e32 v2, 0
	v_mov_b32_e32 v3, 0
	;; [unrolled: 1-line block ×4, first 2 shown]
	s_and_saveexec_b64 s[0:1], vcc
	s_cbranch_execz .LBB67_49
; %bb.48:
	v_mov_b32_e32 v15, 0
	v_lshl_add_u64 v[2:3], s[4:5], 0, v[14:15]
	v_lshlrev_b32_e32 v4, 1, v18
	v_mov_b32_e32 v5, v15
	v_lshl_add_u64 v[2:3], v[2:3], 0, v[4:5]
	global_load_dwordx4 v[2:5], v[2:3], off
.LBB67_49:
	s_or_b64 exec, exec, s[0:1]
	v_or_b32_e32 v7, 1, v7
	v_cmp_gt_i32_e64 s[0:1], s27, v7
	v_lshlrev_b32_e32 v20, 8, v7
	v_mov_b32_e32 v7, 0
	v_mov_b32_e32 v8, 0
	;; [unrolled: 1-line block ×3, first 2 shown]
	s_and_saveexec_b64 s[2:3], s[0:1]
	s_cbranch_execz .LBB67_51
; %bb.50:
	v_mov_b32_e32 v21, 0
	v_lshl_add_u64 v[6:7], s[4:5], 0, v[20:21]
	v_lshlrev_b32_e32 v8, 1, v18
	v_mov_b32_e32 v9, v21
	v_lshl_add_u64 v[6:7], v[6:7], 0, v[8:9]
	global_load_dwordx4 v[6:9], v[6:7], off
.LBB67_51:
	s_or_b64 exec, exec, s[2:3]
	v_mov_b32_e32 v17, 0
	v_mov_b32_e32 v10, 0
	;; [unrolled: 1-line block ×5, first 2 shown]
	s_and_saveexec_b64 s[2:3], vcc
	s_cbranch_execz .LBB67_53
; %bb.52:
	v_mov_b32_e32 v15, 0
	v_lshl_add_u64 v[10:11], s[4:5], 0, v[14:15]
	v_lshlrev_b32_e32 v14, 1, v18
	v_lshl_add_u64 v[10:11], v[10:11], 0, v[14:15]
	global_load_dwordx4 v[10:13], v[10:11], off offset:128
.LBB67_53:
	s_or_b64 exec, exec, s[2:3]
	v_mov_b32_e32 v16, 0
	v_mov_b32_e32 v15, 0
	;; [unrolled: 1-line block ×3, first 2 shown]
	s_and_saveexec_b64 s[2:3], s[0:1]
	s_cbranch_execz .LBB67_55
; %bb.54:
	v_mov_b32_e32 v21, 0
	v_lshl_add_u64 v[14:15], s[4:5], 0, v[20:21]
	v_lshlrev_b32_e32 v20, 1, v18
	v_lshl_add_u64 v[14:15], v[14:15], 0, v[20:21]
	global_load_dwordx4 v[14:17], v[14:15], off offset:128
.LBB67_55:
	s_or_b64 exec, exec, s[2:3]
	s_branch .LBB67_58
.LBB67_56:
                                        ; implicit-def: $vgpr5
                                        ; implicit-def: $vgpr9
                                        ; implicit-def: $vgpr13
                                        ; implicit-def: $vgpr17
	s_cbranch_execz .LBB67_58
; %bb.57:
	s_waitcnt vmcnt(0)
	v_lshlrev_b32_e32 v2, 1, v18
	v_lshl_or_b32 v18, v25, 9, v2
	s_and_b32 s5, s5, 0xffff
	s_mov_b32 s7, 0x20000
	s_movk_i32 s6, 0x4000
	s_movk_i32 s0, 0x80
	buffer_load_dwordx4 v[2:5], v18, s[4:7], 0 offen
	buffer_load_dwordx4 v[6:9], v18, s[4:7], 0 offen offset:256
	buffer_load_dwordx4 v[10:13], v18, s[4:7], s0 offen
	buffer_load_dwordx4 v[14:17], v18, s[4:7], s0 offen offset:256
.LBB67_58:
	ds_read_b64 v[20:21], v27 offset:57344
	v_add_u32_e32 v18, 0x6000, v26
	ds_read2_b64 v[36:39], v18 offset1:16
	ds_read_b64 v[44:45], v28 offset:57344
	ds_read_b64 v[28:29], v29 offset:57344
	;; [unrolled: 1-line block ×3, first 2 shown]
	ds_read2st64_b64 v[40:43], v26 offset0:52 offset1:56
	s_mov_b32 s0, 0x1000504
	s_mov_b32 s1, 0x3020706
	s_waitcnt lgkmcnt(4)
	v_mfma_f32_16x16x16_bf16 a[0:3], v[20:21], v[36:37], a[0:3]
	v_mfma_f32_16x16x16_bf16 a[4:7], v[20:21], v[38:39], a[4:7]
	ds_read2_b64 v[36:39], v18 offset0:32 offset1:48
	v_and_b32_e32 v18, 6, v0
	v_xor_b32_e32 v25, v25, v18
	s_waitcnt lgkmcnt(0)
	v_mfma_f32_16x16x16_bf16 a[8:11], v[20:21], v[36:37], a[8:11]
	v_lshlrev_b32_e32 v25, 2, v25
	v_and_b32_e32 v0, 1, v0
	v_xor_b32_e32 v35, 0x440, v25
	v_mfma_f32_16x16x16_bf16 a[12:15], v[20:21], v[38:39], a[12:15]
	ds_read2st64_b64 v[36:39], v31 offset0:52 offset1:56
	ds_read2st64_b64 v[48:51], v32 offset0:52 offset1:56
	;; [unrolled: 1-line block ×3, first 2 shown]
	v_cmp_eq_u32_e32 vcc, 0, v0
	ds_read_b64 v[20:21], v26 offset:30720
	ds_read_b64 v[26:27], v31 offset:30720
	;; [unrolled: 1-line block ×4, first 2 shown]
	v_mfma_f32_16x16x16_bf16 a[0:3], v[44:45], v[40:41], a[0:3]
	v_cndmask_b32_e32 v0, v35, v25, vcc
	v_lshl_or_b32 v0, v18, 10, v0
	s_waitcnt vmcnt(0)
	v_perm_b32 v18, v2, v6, s0
	s_waitcnt lgkmcnt(6)
	v_mfma_f32_16x16x16_bf16 a[4:7], v[44:45], v[36:37], a[4:7]
	v_perm_b32 v25, v10, v14, s0
	ds_write2st64_b32 v0, v18, v25 offset0:128 offset1:160
	v_xor_b32_e32 v18, 8, v0
	s_waitcnt lgkmcnt(6)
	v_mfma_f32_16x16x16_bf16 a[8:11], v[44:45], v[48:49], a[8:11]
	v_perm_b32 v2, v2, v6, s1
	v_perm_b32 v6, v10, v14, s1
	v_add_u32_e32 v10, 0x80, v18
	s_waitcnt lgkmcnt(5)
	v_mfma_f32_16x16x16_bf16 a[12:15], v[44:45], v[52:53], a[12:15]
	ds_write2st64_b32 v10, v2, v6 offset0:128 offset1:160
	v_xor_b32_e32 v2, 16, v0
	v_perm_b32 v6, v3, v7, s0
	v_mfma_f32_16x16x16_bf16 a[0:3], v[28:29], v[42:43], a[0:3]
	v_perm_b32 v10, v11, v15, s0
	ds_write2st64_b32 v2, v6, v10 offset0:129 offset1:161
	v_xor_b32_e32 v2, 24, v0
	v_mfma_f32_16x16x16_bf16 a[4:7], v[28:29], v[38:39], a[4:7]
	v_perm_b32 v3, v3, v7, s1
	v_perm_b32 v6, v11, v15, s1
	v_add_u32_e32 v2, 0x80, v2
	v_mfma_f32_16x16x16_bf16 a[16:19], v[28:29], v[50:51], a[8:11]
	ds_write2st64_b32 v2, v3, v6 offset0:129 offset1:161
	v_xor_b32_e32 v2, 32, v0
	v_perm_b32 v3, v4, v8, s0
	v_mfma_f32_16x16x16_bf16 a[20:23], v[28:29], v[54:55], a[12:15]
	v_perm_b32 v6, v12, v16, s0
	ds_write2st64_b32 v2, v3, v6 offset0:130 offset1:162
	v_xor_b32_e32 v2, 40, v0
	s_waitcnt lgkmcnt(8)
	v_mfma_f32_16x16x16_bf16 a[12:15], v[56:57], v[20:21], a[0:3]
	v_perm_b32 v3, v4, v8, s1
	v_perm_b32 v4, v12, v16, s1
	v_add_u32_e32 v2, 0x80, v2
	s_waitcnt lgkmcnt(7)
	v_mfma_f32_16x16x16_bf16 a[8:11], v[56:57], v[26:27], a[4:7]
	ds_write2st64_b32 v2, v3, v4 offset0:130 offset1:162
	v_xor_b32_e32 v2, 48, v0
	v_perm_b32 v3, v5, v9, s0
	s_waitcnt lgkmcnt(7)
	v_mfma_f32_16x16x16_bf16 a[4:7], v[56:57], v[30:31], a[16:19]
	v_perm_b32 v4, v13, v17, s0
	v_xor_b32_e32 v0, 56, v0
	v_and_or_b32 v21, v34, 12, v1
	s_waitcnt lgkmcnt(6)
	v_mfma_f32_16x16x16_bf16 a[0:3], v[56:57], v[32:33], a[20:23]
	ds_write2st64_b32 v2, v3, v4 offset0:131 offset1:163
	v_perm_b32 v2, v5, v9, s1
	v_perm_b32 v3, v13, v17, s1
	v_add_u32_e32 v0, 0x80, v0
	v_cmp_gt_i32_e32 vcc, s27, v21
	v_mov_b32_e32 v16, 0
	v_mov_b32_e32 v18, 0
	ds_write2st64_b32 v0, v2, v3 offset0:131 offset1:163
	s_and_saveexec_b64 s[0:1], vcc
	s_cbranch_execz .LBB67_60
; %bb.59:
	v_add_u32_e32 v0, s26, v21
	v_ashrrev_i32_e32 v1, 31, v0
	v_mul_lo_u32 v2, v1, s30
	v_mul_lo_u32 v3, v0, s31
	v_mad_u64_u32 v[0:1], s[2:3], v0, s30, 0
	v_add3_u32 v1, v1, v3, v2
	v_lshl_add_u64 v[0:1], v[0:1], 2, s[10:11]
	global_load_dword v0, v[0:1], off
	s_waitcnt vmcnt(0)
	v_sub_f32_e32 v0, s12, v0
	v_mul_f32_e32 v0, 0x3fb8aa3b, v0
	v_exp_f32_e32 v18, v0
.LBB67_60:
	s_or_b64 exec, exec, s[0:1]
	v_or_b32_e32 v10, 1, v21
	v_cmp_gt_i32_e64 s[0:1], s27, v10
	s_and_saveexec_b64 s[2:3], s[0:1]
	s_cbranch_execz .LBB67_62
; %bb.61:
	v_add_u32_e32 v0, s26, v10
	v_ashrrev_i32_e32 v1, 31, v0
	v_mul_lo_u32 v2, v1, s30
	v_mul_lo_u32 v3, v0, s31
	v_mad_u64_u32 v[0:1], s[4:5], v0, s30, 0
	v_add3_u32 v1, v1, v3, v2
	v_lshl_add_u64 v[0:1], v[0:1], 2, s[10:11]
	global_load_dword v0, v[0:1], off
	s_waitcnt vmcnt(0)
	v_sub_f32_e32 v0, s12, v0
	v_mul_f32_e32 v0, 0x3fb8aa3b, v0
	v_exp_f32_e32 v16, v0
.LBB67_62:
	s_or_b64 exec, exec, s[2:3]
	v_or_b32_e32 v12, 2, v21
	v_cmp_gt_i32_e64 s[2:3], s27, v12
	v_mov_b32_e32 v17, 0
	v_mov_b32_e32 v20, 0
	s_and_saveexec_b64 s[4:5], s[2:3]
	s_cbranch_execz .LBB67_64
; %bb.63:
	v_add_u32_e32 v0, s26, v12
	v_ashrrev_i32_e32 v1, 31, v0
	v_mul_lo_u32 v2, v1, s30
	v_mul_lo_u32 v3, v0, s31
	v_mad_u64_u32 v[0:1], s[6:7], v0, s30, 0
	v_add3_u32 v1, v1, v3, v2
	v_lshl_add_u64 v[0:1], v[0:1], 2, s[10:11]
	global_load_dword v0, v[0:1], off
	s_waitcnt vmcnt(0)
	v_sub_f32_e32 v0, s12, v0
	v_mul_f32_e32 v0, 0x3fb8aa3b, v0
	v_exp_f32_e32 v20, v0
.LBB67_64:
	s_or_b64 exec, exec, s[4:5]
	v_or_b32_e32 v14, 3, v21
	v_cmp_gt_i32_e64 s[4:5], s27, v14
	s_and_saveexec_b64 s[6:7], s[4:5]
	s_cbranch_execz .LBB67_66
; %bb.65:
	v_add_u32_e32 v0, s26, v14
	v_ashrrev_i32_e32 v1, 31, v0
	v_mul_lo_u32 v2, v1, s30
	v_mul_lo_u32 v3, v0, s31
	v_mad_u64_u32 v[0:1], s[14:15], v0, s30, 0
	v_add3_u32 v1, v1, v3, v2
	v_lshl_add_u64 v[0:1], v[0:1], 2, s[10:11]
	global_load_dword v0, v[0:1], off
	s_waitcnt vmcnt(0)
	v_sub_f32_e32 v0, s12, v0
	v_mul_f32_e32 v0, 0x3fb8aa3b, v0
	v_exp_f32_e32 v17, v0
.LBB67_66:
	s_or_b64 exec, exec, s[6:7]
	s_add_u32 s6, s8, s20
	s_addc_u32 s7, s9, s21
	s_add_u32 s8, s28, s20
	v_ashrrev_i32_e32 v47, 31, v46
	v_accvgpr_read_b32 v0, a12
	s_addc_u32 s9, s29, s21
	v_lshlrev_b64 v[4:5], 1, v[46:47]
	v_accvgpr_read_b32 v1, a13
	v_accvgpr_read_b32 v2, a14
	;; [unrolled: 1-line block ×3, first 2 shown]
	v_lshl_add_u64 v[6:7], s[6:7], 0, v[4:5]
	v_lshl_add_u64 v[4:5], s[8:9], 0, v[4:5]
	v_mov_b32_e32 v11, 0
	v_lshlrev_b32_e32 v8, 8, v21
	v_mov_b32_e32 v9, 0
	s_and_saveexec_b64 s[6:7], vcc
	s_cbranch_execz .LBB67_68
; %bb.67:
	v_mov_b32_e32 v9, 0
	v_lshl_add_u64 v[26:27], v[6:7], 0, v[8:9]
	global_load_ushort v13, v[26:27], off
	v_lshl_add_u64 v[26:27], v[4:5], 0, v[8:9]
	s_waitcnt vmcnt(0)
	v_lshlrev_b32_e32 v9, 16, v13
	v_sub_f32_e32 v0, v9, v0
	global_store_short_d16_hi v[26:27], v0, off
	v_mul_f32_e32 v0, v18, v0
	v_lshrrev_b32_e32 v9, 16, v0
.LBB67_68:
	s_or_b64 exec, exec, s[6:7]
	v_lshlrev_b32_e32 v10, 8, v10
	s_and_saveexec_b64 s[6:7], s[0:1]
	s_cbranch_execz .LBB67_70
; %bb.69:
	v_mov_b32_e32 v11, 0
	v_lshl_add_u64 v[26:27], v[6:7], 0, v[10:11]
	global_load_ushort v0, v[26:27], off
	v_lshl_add_u64 v[26:27], v[4:5], 0, v[10:11]
	s_waitcnt vmcnt(0)
	v_lshlrev_b32_e32 v0, 16, v0
	v_sub_f32_e32 v0, v0, v1
	global_store_short_d16_hi v[26:27], v0, off
	v_mul_f32_e32 v0, v16, v0
	v_lshrrev_b32_e32 v11, 16, v0
.LBB67_70:
	s_or_b64 exec, exec, s[6:7]
	v_mov_b32_e32 v15, 0
	v_lshlrev_b32_e32 v12, 8, v12
	v_mov_b32_e32 v13, 0
	s_and_saveexec_b64 s[6:7], s[2:3]
	s_cbranch_execz .LBB67_72
; %bb.71:
	v_mov_b32_e32 v13, 0
	v_lshl_add_u64 v[0:1], v[6:7], 0, v[12:13]
	global_load_ushort v25, v[0:1], off
	v_lshl_add_u64 v[0:1], v[4:5], 0, v[12:13]
	s_waitcnt vmcnt(0)
	v_lshlrev_b32_e32 v13, 16, v25
	v_sub_f32_e32 v2, v13, v2
	global_store_short_d16_hi v[0:1], v2, off
	v_mul_f32_e32 v0, v20, v2
	v_lshrrev_b32_e32 v13, 16, v0
.LBB67_72:
	s_or_b64 exec, exec, s[6:7]
	v_lshlrev_b32_e32 v14, 8, v14
	s_and_saveexec_b64 s[6:7], s[4:5]
	s_cbranch_execz .LBB67_74
; %bb.73:
	v_mov_b32_e32 v15, 0
	v_lshl_add_u64 v[0:1], v[6:7], 0, v[14:15]
	global_load_ushort v2, v[0:1], off
	v_lshl_add_u64 v[0:1], v[4:5], 0, v[14:15]
	s_waitcnt vmcnt(0)
	v_lshlrev_b32_e32 v2, 16, v2
	v_sub_f32_e32 v2, v2, v3
	global_store_short_d16_hi v[0:1], v2, off
	v_mul_f32_e32 v0, v17, v2
	v_lshrrev_b32_e32 v15, 16, v0
.LBB67_74:
	s_or_b64 exec, exec, s[6:7]
	v_lshlrev_b32_e32 v21, 6, v21
	s_mov_b32 s6, 0x5040100
	v_perm_b32 v26, v11, v9, s6
	v_or_b32_e32 v9, v21, v24
	v_accvgpr_read_b32 v0, a8
	v_perm_b32 v27, v15, v13, s6
	v_lshlrev_b32_e32 v9, 1, v9
	v_accvgpr_read_b32 v1, a9
	v_accvgpr_read_b32 v2, a10
	;; [unrolled: 1-line block ×3, first 2 shown]
	ds_write_b64 v9, v[26:27] offset:24576
	v_mov_b32_e32 v11, 0
	v_mov_b32_e32 v9, 0
	s_and_saveexec_b64 s[6:7], vcc
	s_cbranch_execz .LBB67_76
; %bb.75:
	v_mov_b32_e32 v9, 0
	v_lshl_add_u64 v[24:25], v[6:7], 0, v[8:9]
	global_load_ushort v13, v[24:25], off offset:32
	v_lshl_add_u64 v[24:25], v[4:5], 0, v[8:9]
	s_waitcnt vmcnt(0)
	v_lshlrev_b32_e32 v9, 16, v13
	v_sub_f32_e32 v0, v9, v0
	global_store_short_d16_hi v[24:25], v0, off offset:32
	v_mul_f32_e32 v0, v18, v0
	v_lshrrev_b32_e32 v9, 16, v0
.LBB67_76:
	s_or_b64 exec, exec, s[6:7]
	s_and_saveexec_b64 s[6:7], s[0:1]
	s_cbranch_execz .LBB67_78
; %bb.77:
	v_mov_b32_e32 v11, 0
	v_lshl_add_u64 v[24:25], v[6:7], 0, v[10:11]
	global_load_ushort v0, v[24:25], off offset:32
	v_lshl_add_u64 v[24:25], v[4:5], 0, v[10:11]
	s_waitcnt vmcnt(0)
	v_lshlrev_b32_e32 v0, 16, v0
	v_sub_f32_e32 v0, v0, v1
	global_store_short_d16_hi v[24:25], v0, off offset:32
	v_mul_f32_e32 v0, v16, v0
	v_lshrrev_b32_e32 v11, 16, v0
.LBB67_78:
	s_or_b64 exec, exec, s[6:7]
	v_mov_b32_e32 v15, 0
	v_mov_b32_e32 v13, 0
	s_and_saveexec_b64 s[6:7], s[2:3]
	s_cbranch_execz .LBB67_80
; %bb.79:
	v_mov_b32_e32 v13, 0
	v_lshl_add_u64 v[0:1], v[6:7], 0, v[12:13]
	global_load_ushort v24, v[0:1], off offset:32
	v_lshl_add_u64 v[0:1], v[4:5], 0, v[12:13]
	s_waitcnt vmcnt(0)
	v_lshlrev_b32_e32 v13, 16, v24
	v_sub_f32_e32 v2, v13, v2
	global_store_short_d16_hi v[0:1], v2, off offset:32
	v_mul_f32_e32 v0, v20, v2
	v_lshrrev_b32_e32 v13, 16, v0
.LBB67_80:
	s_or_b64 exec, exec, s[6:7]
	s_and_saveexec_b64 s[6:7], s[4:5]
	s_cbranch_execz .LBB67_82
; %bb.81:
	v_mov_b32_e32 v15, 0
	v_lshl_add_u64 v[0:1], v[6:7], 0, v[14:15]
	global_load_ushort v2, v[0:1], off offset:32
	v_lshl_add_u64 v[0:1], v[4:5], 0, v[14:15]
	s_waitcnt vmcnt(0)
	v_lshlrev_b32_e32 v2, 16, v2
	v_sub_f32_e32 v2, v2, v3
	global_store_short_d16_hi v[0:1], v2, off offset:32
	v_mul_f32_e32 v0, v17, v2
	v_lshrrev_b32_e32 v15, 16, v0
.LBB67_82:
	s_or_b64 exec, exec, s[6:7]
	s_mov_b32 s6, 0x5040100
	v_perm_b32 v24, v11, v9, s6
	v_or_b32_e32 v9, v21, v23
	v_accvgpr_read_b32 v0, a4
	v_perm_b32 v25, v15, v13, s6
	v_lshlrev_b32_e32 v9, 1, v9
	v_accvgpr_read_b32 v1, a5
	v_accvgpr_read_b32 v2, a6
	;; [unrolled: 1-line block ×3, first 2 shown]
	ds_write_b64 v9, v[24:25] offset:24576
	v_mov_b32_e32 v11, 0
	v_mov_b32_e32 v9, 0
	s_and_saveexec_b64 s[6:7], vcc
	s_cbranch_execz .LBB67_84
; %bb.83:
	v_mov_b32_e32 v9, 0
	v_lshl_add_u64 v[24:25], v[6:7], 0, v[8:9]
	global_load_ushort v13, v[24:25], off offset:64
	v_lshl_add_u64 v[24:25], v[4:5], 0, v[8:9]
	s_waitcnt vmcnt(0)
	v_lshlrev_b32_e32 v9, 16, v13
	v_sub_f32_e32 v0, v9, v0
	global_store_short_d16_hi v[24:25], v0, off offset:64
	v_mul_f32_e32 v0, v18, v0
	v_lshrrev_b32_e32 v9, 16, v0
.LBB67_84:
	s_or_b64 exec, exec, s[6:7]
	s_and_saveexec_b64 s[6:7], s[0:1]
	s_cbranch_execz .LBB67_86
; %bb.85:
	v_mov_b32_e32 v11, 0
	v_lshl_add_u64 v[24:25], v[6:7], 0, v[10:11]
	global_load_ushort v0, v[24:25], off offset:64
	v_lshl_add_u64 v[24:25], v[4:5], 0, v[10:11]
	s_waitcnt vmcnt(0)
	v_lshlrev_b32_e32 v0, 16, v0
	v_sub_f32_e32 v0, v0, v1
	global_store_short_d16_hi v[24:25], v0, off offset:64
	v_mul_f32_e32 v0, v16, v0
	v_lshrrev_b32_e32 v11, 16, v0
.LBB67_86:
	s_or_b64 exec, exec, s[6:7]
	v_mov_b32_e32 v15, 0
	v_mov_b32_e32 v13, 0
	s_and_saveexec_b64 s[6:7], s[2:3]
	s_cbranch_execz .LBB67_88
; %bb.87:
	v_mov_b32_e32 v13, 0
	v_lshl_add_u64 v[0:1], v[6:7], 0, v[12:13]
	global_load_ushort v23, v[0:1], off offset:64
	v_lshl_add_u64 v[0:1], v[4:5], 0, v[12:13]
	s_waitcnt vmcnt(0)
	v_lshlrev_b32_e32 v13, 16, v23
	v_sub_f32_e32 v2, v13, v2
	global_store_short_d16_hi v[0:1], v2, off offset:64
	v_mul_f32_e32 v0, v20, v2
	v_lshrrev_b32_e32 v13, 16, v0
.LBB67_88:
	s_or_b64 exec, exec, s[6:7]
	s_and_saveexec_b64 s[6:7], s[4:5]
	s_cbranch_execz .LBB67_90
; %bb.89:
	v_mov_b32_e32 v15, 0
	v_lshl_add_u64 v[0:1], v[6:7], 0, v[14:15]
	global_load_ushort v2, v[0:1], off offset:64
	v_lshl_add_u64 v[0:1], v[4:5], 0, v[14:15]
	s_waitcnt vmcnt(0)
	v_lshlrev_b32_e32 v2, 16, v2
	v_sub_f32_e32 v2, v2, v3
	global_store_short_d16_hi v[0:1], v2, off offset:64
	v_mul_f32_e32 v0, v17, v2
	v_lshrrev_b32_e32 v15, 16, v0
.LBB67_90:
	s_or_b64 exec, exec, s[6:7]
	s_mov_b32 s6, 0x5040100
	v_perm_b32 v24, v11, v9, s6
	v_or_b32_e32 v9, v21, v22
	v_accvgpr_read_b32 v0, a0
	v_perm_b32 v25, v15, v13, s6
	v_lshlrev_b32_e32 v9, 1, v9
	v_accvgpr_read_b32 v1, a1
	v_accvgpr_read_b32 v2, a2
	;; [unrolled: 1-line block ×3, first 2 shown]
	ds_write_b64 v9, v[24:25] offset:24576
	v_mov_b32_e32 v11, 0
	v_mov_b32_e32 v9, 0
	s_and_saveexec_b64 s[6:7], vcc
	s_cbranch_execz .LBB67_92
; %bb.91:
	v_mov_b32_e32 v9, 0
	v_lshl_add_u64 v[22:23], v[6:7], 0, v[8:9]
	global_load_ushort v13, v[22:23], off offset:96
	v_lshl_add_u64 v[8:9], v[4:5], 0, v[8:9]
	s_waitcnt vmcnt(0)
	v_lshlrev_b32_e32 v13, 16, v13
	v_sub_f32_e32 v0, v13, v0
	global_store_short_d16_hi v[8:9], v0, off offset:96
	v_mul_f32_e32 v0, v18, v0
	v_lshrrev_b32_e32 v9, 16, v0
.LBB67_92:
	s_or_b64 exec, exec, s[6:7]
	s_and_saveexec_b64 s[6:7], s[0:1]
	s_cbranch_execz .LBB67_94
; %bb.93:
	v_mov_b32_e32 v11, 0
	v_lshl_add_u64 v[22:23], v[6:7], 0, v[10:11]
	global_load_ushort v0, v[22:23], off offset:96
	v_lshl_add_u64 v[10:11], v[4:5], 0, v[10:11]
	s_waitcnt vmcnt(0)
	v_lshlrev_b32_e32 v0, 16, v0
	v_sub_f32_e32 v0, v0, v1
	global_store_short_d16_hi v[10:11], v0, off offset:96
	v_mul_f32_e32 v0, v16, v0
	v_lshrrev_b32_e32 v11, 16, v0
.LBB67_94:
	s_or_b64 exec, exec, s[6:7]
	v_mov_b32_e32 v0, 0
	v_mov_b32_e32 v1, 0
	s_and_saveexec_b64 s[0:1], s[2:3]
	s_cbranch_execz .LBB67_96
; %bb.95:
	v_mov_b32_e32 v13, 0
	v_lshl_add_u64 v[22:23], v[6:7], 0, v[12:13]
	global_load_ushort v1, v[22:23], off offset:96
	v_lshl_add_u64 v[12:13], v[4:5], 0, v[12:13]
	s_waitcnt vmcnt(0)
	v_lshlrev_b32_e32 v1, 16, v1
	v_sub_f32_e32 v1, v1, v2
	global_store_short_d16_hi v[12:13], v1, off offset:96
	v_mul_f32_e32 v1, v20, v1
	v_lshrrev_b32_e32 v1, 16, v1
.LBB67_96:
	s_or_b64 exec, exec, s[0:1]
	s_and_saveexec_b64 s[0:1], s[4:5]
	s_cbranch_execz .LBB67_98
; %bb.97:
	v_mov_b32_e32 v15, 0
	v_lshl_add_u64 v[6:7], v[6:7], 0, v[14:15]
	global_load_ushort v0, v[6:7], off offset:96
	v_lshl_add_u64 v[4:5], v[4:5], 0, v[14:15]
	s_waitcnt vmcnt(0)
	v_lshlrev_b32_e32 v0, 16, v0
	v_sub_f32_e32 v0, v0, v3
	global_store_short_d16_hi v[4:5], v0, off offset:96
	v_mul_f32_e32 v0, v17, v0
	v_lshrrev_b32_e32 v0, 16, v0
.LBB67_98:
	s_or_b64 exec, exec, s[0:1]
	s_mov_b32 s0, 0x5040100
	v_or_b32_e32 v2, v21, v19
	v_perm_b32 v1, v0, v1, s0
	v_perm_b32 v0, v11, v9, s0
	v_lshlrev_b32_e32 v2, 1, v2
	ds_write_b64 v2, v[0:1] offset:24576
	s_waitcnt lgkmcnt(0)
	s_barrier
.LBB67_99:
	s_endpgm
	.section	.rodata,"a",@progbits
	.p2align	6, 0x0
	.amdhsa_kernel _ZN12_GLOBAL__N_139chunk_gated_delta_rule_fwd_h_hip_kernelILi64ELb1ELb0ELb1ELb1ELb0ELb1ELb1ELb1EEEvPK12hip_bfloat16S3_S3_PKfS5_PKvPS1_S8_PvPKiSB_iiiiilll
		.amdhsa_group_segment_fixed_size 65536
		.amdhsa_private_segment_fixed_size 0
		.amdhsa_kernarg_size 136
		.amdhsa_user_sgpr_count 2
		.amdhsa_user_sgpr_dispatch_ptr 0
		.amdhsa_user_sgpr_queue_ptr 0
		.amdhsa_user_sgpr_kernarg_segment_ptr 1
		.amdhsa_user_sgpr_dispatch_id 0
		.amdhsa_user_sgpr_kernarg_preload_length 0
		.amdhsa_user_sgpr_kernarg_preload_offset 0
		.amdhsa_user_sgpr_private_segment_size 0
		.amdhsa_uses_dynamic_stack 0
		.amdhsa_enable_private_segment 0
		.amdhsa_system_sgpr_workgroup_id_x 1
		.amdhsa_system_sgpr_workgroup_id_y 1
		.amdhsa_system_sgpr_workgroup_id_z 0
		.amdhsa_system_sgpr_workgroup_info 0
		.amdhsa_system_vgpr_workitem_id 0
		.amdhsa_next_free_vgpr 232
		.amdhsa_next_free_sgpr 65
		.amdhsa_accum_offset 192
		.amdhsa_reserve_vcc 1
		.amdhsa_float_round_mode_32 0
		.amdhsa_float_round_mode_16_64 0
		.amdhsa_float_denorm_mode_32 3
		.amdhsa_float_denorm_mode_16_64 3
		.amdhsa_dx10_clamp 1
		.amdhsa_ieee_mode 1
		.amdhsa_fp16_overflow 0
		.amdhsa_tg_split 0
		.amdhsa_exception_fp_ieee_invalid_op 0
		.amdhsa_exception_fp_denorm_src 0
		.amdhsa_exception_fp_ieee_div_zero 0
		.amdhsa_exception_fp_ieee_overflow 0
		.amdhsa_exception_fp_ieee_underflow 0
		.amdhsa_exception_fp_ieee_inexact 0
		.amdhsa_exception_int_div_zero 0
	.end_amdhsa_kernel
	.section	.text._ZN12_GLOBAL__N_139chunk_gated_delta_rule_fwd_h_hip_kernelILi64ELb1ELb0ELb1ELb1ELb0ELb1ELb1ELb1EEEvPK12hip_bfloat16S3_S3_PKfS5_PKvPS1_S8_PvPKiSB_iiiiilll,"axG",@progbits,_ZN12_GLOBAL__N_139chunk_gated_delta_rule_fwd_h_hip_kernelILi64ELb1ELb0ELb1ELb1ELb0ELb1ELb1ELb1EEEvPK12hip_bfloat16S3_S3_PKfS5_PKvPS1_S8_PvPKiSB_iiiiilll,comdat
.Lfunc_end67:
	.size	_ZN12_GLOBAL__N_139chunk_gated_delta_rule_fwd_h_hip_kernelILi64ELb1ELb0ELb1ELb1ELb0ELb1ELb1ELb1EEEvPK12hip_bfloat16S3_S3_PKfS5_PKvPS1_S8_PvPKiSB_iiiiilll, .Lfunc_end67-_ZN12_GLOBAL__N_139chunk_gated_delta_rule_fwd_h_hip_kernelILi64ELb1ELb0ELb1ELb1ELb0ELb1ELb1ELb1EEEvPK12hip_bfloat16S3_S3_PKfS5_PKvPS1_S8_PvPKiSB_iiiiilll
                                        ; -- End function
	.section	.AMDGPU.csdata,"",@progbits
; Kernel info:
; codeLenInByte = 11620
; NumSgprs: 71
; NumVgprs: 192
; NumAgprs: 40
; TotalNumVgprs: 232
; ScratchSize: 0
; MemoryBound: 0
; FloatMode: 240
; IeeeMode: 1
; LDSByteSize: 65536 bytes/workgroup (compile time only)
; SGPRBlocks: 8
; VGPRBlocks: 28
; NumSGPRsForWavesPerEU: 71
; NumVGPRsForWavesPerEU: 232
; AccumOffset: 192
; Occupancy: 1
; WaveLimiterHint : 1
; COMPUTE_PGM_RSRC2:SCRATCH_EN: 0
; COMPUTE_PGM_RSRC2:USER_SGPR: 2
; COMPUTE_PGM_RSRC2:TRAP_HANDLER: 0
; COMPUTE_PGM_RSRC2:TGID_X_EN: 1
; COMPUTE_PGM_RSRC2:TGID_Y_EN: 1
; COMPUTE_PGM_RSRC2:TGID_Z_EN: 0
; COMPUTE_PGM_RSRC2:TIDIG_COMP_CNT: 0
; COMPUTE_PGM_RSRC3_GFX90A:ACCUM_OFFSET: 47
; COMPUTE_PGM_RSRC3_GFX90A:TG_SPLIT: 0
	.section	.text._ZN12_GLOBAL__N_139chunk_gated_delta_rule_fwd_h_hip_kernelILi64ELb1ELb0ELb0ELb1ELb0ELb1ELb1ELb1EEEvPK12hip_bfloat16S3_S3_PKfS5_PKvPS1_S8_PvPKiSB_iiiiilll,"axG",@progbits,_ZN12_GLOBAL__N_139chunk_gated_delta_rule_fwd_h_hip_kernelILi64ELb1ELb0ELb0ELb1ELb0ELb1ELb1ELb1EEEvPK12hip_bfloat16S3_S3_PKfS5_PKvPS1_S8_PvPKiSB_iiiiilll,comdat
	.globl	_ZN12_GLOBAL__N_139chunk_gated_delta_rule_fwd_h_hip_kernelILi64ELb1ELb0ELb0ELb1ELb0ELb1ELb1ELb1EEEvPK12hip_bfloat16S3_S3_PKfS5_PKvPS1_S8_PvPKiSB_iiiiilll ; -- Begin function _ZN12_GLOBAL__N_139chunk_gated_delta_rule_fwd_h_hip_kernelILi64ELb1ELb0ELb0ELb1ELb0ELb1ELb1ELb1EEEvPK12hip_bfloat16S3_S3_PKfS5_PKvPS1_S8_PvPKiSB_iiiiilll
	.p2align	8
	.type	_ZN12_GLOBAL__N_139chunk_gated_delta_rule_fwd_h_hip_kernelILi64ELb1ELb0ELb0ELb1ELb0ELb1ELb1ELb1EEEvPK12hip_bfloat16S3_S3_PKfS5_PKvPS1_S8_PvPKiSB_iiiiilll,@function
_ZN12_GLOBAL__N_139chunk_gated_delta_rule_fwd_h_hip_kernelILi64ELb1ELb0ELb0ELb1ELb0ELb1ELb1ELb1EEEvPK12hip_bfloat16S3_S3_PKfS5_PKvPS1_S8_PvPKiSB_iiiiilll: ; @_ZN12_GLOBAL__N_139chunk_gated_delta_rule_fwd_h_hip_kernelILi64ELb1ELb0ELb0ELb1ELb0ELb1ELb1ELb1EEEvPK12hip_bfloat16S3_S3_PKfS5_PKvPS1_S8_PvPKiSB_iiiiilll
; %bb.0:
	s_load_dwordx4 s[12:15], s[0:1], 0x5c
	s_load_dwordx4 s[20:23], s[0:1], 0x70
	s_abs_i32 s9, s3
	s_ashr_i32 s8, s3, 31
	s_load_dwordx4 s[4:7], s[0:1], 0x48
	s_waitcnt lgkmcnt(0)
	s_abs_i32 s10, s13
	v_cvt_f32_u32_e32 v1, s10
	s_sub_i32 s16, 0, s10
	s_ashr_i32 s11, s13, 31
	s_xor_b32 s8, s8, s11
	v_rcp_iflag_f32_e32 v1, v1
	v_and_b32_e32 v88, 15, v0
	v_lshrrev_b32_e32 v86, 6, v0
	v_bfe_u32 v87, v0, 4, 2
	v_mul_f32_e32 v1, 0x4f7ffffe, v1
	v_cvt_u32_f32_e32 v1, v1
	v_mov_b32_e32 v7, 0
	v_and_b32_e32 v45, 63, v0
	v_lshlrev_b32_e32 v89, 3, v0
	v_readfirstlane_b32 s17, v1
	s_mul_i32 s16, s16, s17
	s_mul_hi_u32 s16, s17, s16
	s_add_i32 s17, s17, s16
	s_mul_hi_u32 s16, s9, s17
	s_mul_i32 s17, s16, s10
	s_sub_i32 s9, s9, s17
	s_add_i32 s18, s16, 1
	s_sub_i32 s17, s9, s10
	s_cmp_ge_u32 s9, s10
	s_cselect_b32 s16, s18, s16
	s_cselect_b32 s9, s17, s9
	s_add_i32 s17, s16, 1
	s_cmp_ge_u32 s9, s10
	s_cselect_b32 s9, s17, s16
	s_load_dwordx4 s[16:19], s[0:1], 0x28
	s_xor_b32 s9, s9, s8
	s_sub_i32 s24, s9, s8
	s_mul_i32 s28, s24, s13
	s_ashr_i32 s25, s24, 31
	s_sub_i32 s47, s3, s28
	s_lshl_b64 s[8:9], s[24:25], 2
	s_add_u32 s4, s4, s8
	s_addc_u32 s5, s5, s9
	s_add_u32 s26, s6, s8
	s_addc_u32 s27, s7, s9
	s_abs_i32 s3, s14
	v_cvt_f32_u32_e32 v1, s3
	s_load_dwordx2 s[30:31], s[4:5], 0x0
	s_lshl_b32 s38, s2, 6
	s_ashr_i32 s2, s14, 31
	v_rcp_iflag_f32_e32 v1, v1
	s_xor_b32 s2, s11, s2
	s_waitcnt lgkmcnt(0)
	s_sub_i32 s50, s31, s30
	s_ashr_i32 s4, s50, 31
	v_mul_f32_e32 v1, 0x4f7ffffe, v1
	v_cvt_u32_f32_e32 v1, v1
	s_lshr_b32 s4, s4, 26
	s_add_i32 s4, s50, s4
	s_ashr_i32 s49, s4, 6
	s_sub_i32 s4, 0, s3
	v_readfirstlane_b32 s5, v1
	s_mul_i32 s4, s4, s5
	s_mul_hi_u32 s4, s5, s4
	s_add_i32 s5, s5, s4
	s_mul_hi_u32 s4, s10, s5
	s_mul_i32 s5, s4, s3
	s_sub_i32 s5, s10, s5
	s_add_i32 s6, s4, 1
	s_sub_i32 s7, s5, s3
	s_cmp_ge_u32 s5, s3
	s_cselect_b32 s4, s6, s4
	s_cselect_b32 s5, s7, s5
	s_add_i32 s6, s4, 1
	s_cmp_ge_u32 s5, s3
	s_cselect_b32 s3, s6, s4
	s_xor_b32 s3, s3, s2
	s_sub_i32 s2, s3, s2
	s_abs_i32 s3, s2
	v_cvt_f32_u32_e32 v1, s3
	s_sub_i32 s5, 0, s3
	s_abs_i32 s4, s47
	s_xor_b32 s2, s47, s2
	v_rcp_iflag_f32_e32 v1, v1
	s_ashr_i32 s2, s2, 31
	v_or_b32_e32 v46, s38, v88
	v_lshlrev_b32_e32 v2, 7, v46
	v_mul_f32_e32 v1, 0x4f7ffffe, v1
	v_cvt_u32_f32_e32 v1, v1
	v_or_b32_e32 v10, 0x800, v2
	v_ashrrev_i32_e32 v3, 31, v2
	v_ashrrev_i32_e32 v11, 31, v10
	v_readfirstlane_b32 s6, v1
	s_mul_i32 s5, s5, s6
	s_mul_hi_u32 s5, s6, s5
	s_add_i32 s6, s6, s5
	s_mul_hi_u32 s5, s4, s6
	s_mul_i32 s6, s5, s3
	s_sub_i32 s4, s4, s6
	s_add_i32 s6, s5, 1
	s_sub_i32 s7, s4, s3
	s_cmp_ge_u32 s4, s3
	s_cselect_b32 s5, s6, s5
	s_cselect_b32 s4, s7, s4
	s_add_i32 s6, s5, 1
	s_cmp_ge_u32 s4, s3
	s_cselect_b32 s3, s6, s5
	s_xor_b32 s3, s3, s2
	s_sub_i32 s51, s3, s2
	s_ashr_i32 s48, s47, 31
	s_mul_hi_i32 s3, s24, s13
	s_add_u32 s2, s28, s47
	s_addc_u32 s3, s3, s48
	s_lshl_b64 s[2:3], s[2:3], 15
	v_lshlrev_b32_e32 v1, 4, v86
	s_add_u32 s2, s16, s2
	v_lshl_or_b32 v91, v87, 2, v1
	s_addc_u32 s3, s17, s3
	v_lshl_add_u64 v[4:5], v[2:3], 1, s[2:3]
	v_lshlrev_b32_e32 v6, 1, v91
	v_lshl_add_u64 v[10:11], v[10:11], 1, s[2:3]
	v_lshl_add_u64 v[4:5], v[4:5], 0, v[6:7]
	;; [unrolled: 1-line block ×3, first 2 shown]
	global_load_dwordx2 v[8:9], v[4:5], off
	v_lshrrev_b32_e32 v90, 3, v45
	global_load_dwordx2 v[4:5], v[4:5], off offset:128
	s_nop 0
	global_load_dwordx2 v[12:13], v[10:11], off
	global_load_dwordx2 v[14:15], v[10:11], off offset:128
	v_or_b32_e32 v10, 0x1000, v2
	v_or_b32_e32 v2, 0x1800, v2
	v_ashrrev_i32_e32 v11, 31, v10
	v_ashrrev_i32_e32 v3, 31, v2
	v_lshl_add_u64 v[10:11], v[10:11], 1, s[2:3]
	v_lshl_add_u64 v[2:3], v[2:3], 1, s[2:3]
	;; [unrolled: 1-line block ×4, first 2 shown]
	global_load_dwordx2 v[16:17], v[10:11], off
	v_or_b32_e32 v92, 64, v91
	global_load_dwordx2 v[10:11], v[10:11], off offset:128
	s_nop 0
	global_load_dwordx2 v[6:7], v[2:3], off
	global_load_dwordx2 v[18:19], v[2:3], off offset:128
	s_load_dwordx8 s[4:11], s[0:1], 0x0
	s_load_dwordx2 s[28:29], s[0:1], 0x80
	s_load_dword s54, s[26:27], 0x0
	s_mul_i32 s33, s24, s21
	s_mul_hi_u32 s43, s24, s20
	s_mul_i32 s42, s25, s20
	s_mul_hi_i32 s52, s47, s12
	s_mul_i32 s53, s47, s12
	s_cmp_lt_i32 s50, 64
	s_mul_i32 s36, s24, s20
	s_mul_i32 s44, s47, s23
	s_mul_hi_u32 s45, s47, s22
	s_mul_i32 s46, s48, s22
	s_mul_i32 s34, s47, s22
	s_waitcnt vmcnt(7)
	v_and_b32_e32 v75, 0xffff0000, v8
	v_lshlrev_b32_e32 v74, 16, v8
	v_and_b32_e32 v79, 0xffff0000, v9
	v_lshlrev_b32_e32 v78, 16, v9
	s_waitcnt vmcnt(6)
	v_and_b32_e32 v73, 0xffff0000, v4
	v_lshlrev_b32_e32 v72, 16, v4
	v_and_b32_e32 v77, 0xffff0000, v5
	v_lshlrev_b32_e32 v76, 16, v5
	;; [unrolled: 5-line block ×8, first 2 shown]
	s_cbranch_scc1 .LBB68_18
; %bb.1:
	s_ashr_i32 s3, s30, 31
	s_add_u32 s2, s53, s30
	s_addc_u32 s3, s52, s3
	s_lshl_b64 s[2:3], s[2:3], 8
	v_and_b32_e32 v94, 56, v89
	s_waitcnt lgkmcnt(0)
	s_add_u32 s20, s6, s2
	v_lshl_or_b32 v93, v86, 3, v90
	v_lshlrev_b32_e32 v2, 1, v94
	s_addc_u32 s2, s7, s3
	v_lshl_or_b32 v95, v93, 8, v2
	s_and_b32 s21, s2, 0xffff
	s_mov_b32 s23, 0x20000
	s_movk_i32 s22, 0x4000
	s_movk_i32 s2, 0x80
	v_or_b32_e32 v96, 0x2000, v95
	buffer_load_dwordx4 v[4:7], v95, s[20:23], 0 offen
	buffer_load_dwordx4 v[8:11], v95, s[20:23], s2 offen
	;; [unrolled: 1-line block ×4, first 2 shown]
	v_lshlrev_b32_e32 v3, 3, v93
	v_and_or_b32 v21, v0, 7, v3
	v_and_b32_e32 v3, 0x78, v3
	v_lshlrev_b32_e32 v21, 4, v21
	v_xor_b32_e32 v97, v21, v3
	v_mul_lo_u32 v20, v93, s15
	v_or_b32_e32 v98, 0x1000, v97
	v_xor_b32_e32 v3, 8, v97
	s_cmpk_eq_i32 s15, 0x80
	s_mov_b32 s55, s30
	v_xor_b32_e32 v21, 8, v98
	s_cselect_b64 s[2:3], -1, 0
	s_cmpk_lg_i32 s15, 0x80
	s_waitcnt vmcnt(3)
	ds_write_b64 v97, v[4:5] offset:49152
	ds_write_b64 v3, v[6:7] offset:49152
	s_waitcnt vmcnt(2)
	ds_write_b64 v97, v[8:9] offset:57344
	ds_write_b64 v3, v[10:11] offset:57344
	;; [unrolled: 3-line block ×4, first 2 shown]
	v_lshl_add_u32 v3, v20, 1, v94
	s_cbranch_scc0 .LBB68_3
; %bb.2:
	v_lshlrev_b32_e32 v5, 1, v3
	v_add_lshl_u32 v4, v3, s15, 1
	s_lshl_b32 s22, s15, 7
	s_load_dwordx2 s[16:17], s[0:1], 0x20
	v_lshl_or_b32 v2, v93, 9, v2
	s_cbranch_execz .LBB68_4
	s_branch .LBB68_5
.LBB68_3:
                                        ; implicit-def: $vgpr4
                                        ; implicit-def: $vgpr5
                                        ; implicit-def: $sgpr22
	s_load_dwordx2 s[16:17], s[0:1], 0x20
	v_lshl_or_b32 v2, v93, 9, v2
.LBB68_4:
	v_or_b32_e32 v4, 0x100, v2
	s_movk_i32 s22, 0x4000
	v_mov_b32_e32 v5, v2
.LBB68_5:
	s_mul_i32 s0, s30, s14
	s_ashr_i32 s56, s51, 31
	s_mul_hi_i32 s1, s30, s14
	s_add_u32 s0, s0, s51
	s_addc_u32 s1, s1, s56
	s_lshl_b64 s[0:1], s[0:1], 8
	s_add_u32 s20, s4, s0
	s_addc_u32 s0, s5, s1
	s_and_b32 s21, s0, 0xffff
	s_movk_i32 s57, 0x80
	buffer_load_dwordx4 v[6:9], v5, s[20:23], 0 offen
	buffer_load_dwordx4 v[10:13], v5, s[20:23], s57 offen
	;; [unrolled: 1-line block ×4, first 2 shown]
	v_and_b32_e32 v5, 6, v0
	v_lshlrev_b32_e32 v4, 7, v91
	v_xor_b32_e32 v27, v93, v5
	v_and_b32_e32 v22, 1, v0
	v_lshl_or_b32 v30, v88, 3, v4
	v_lshlrev_b32_e32 v27, 2, v27
	v_lshlrev_b32_e32 v23, 2, v88
	v_or_b32_e32 v99, 0x4000, v30
	v_or_b32_e32 v100, 0x6000, v30
	v_xor_b32_e32 v30, 0x440, v27
	v_cmp_eq_u32_e32 vcc, 0, v22
	v_or_b32_e32 v25, 16, v88
	v_or_b32_e32 v26, 32, v88
	v_xor_b32_e32 v28, v91, v23
	v_xor_b32_e32 v29, v92, v23
	v_cndmask_b32_e32 v22, v30, v27, vcc
	s_mov_b32 s58, 0x1000504
	v_lshl_or_b32 v31, v25, 3, v4
	v_lshlrev_b32_e32 v25, 8, v25
	v_lshl_or_b32 v32, v26, 3, v4
	v_lshlrev_b32_e32 v28, 1, v28
	v_lshlrev_b32_e32 v29, 1, v29
	v_lshl_or_b32 v5, v5, 10, v22
	s_add_i32 s0, s43, s33
	s_mov_b32 s59, 0x3020706
	v_lshlrev_b32_e32 v24, 8, v88
	v_or_b32_e32 v103, 0x4000, v32
	v_or_b32_e32 v104, 0x6000, v32
	;; [unrolled: 1-line block ×4, first 2 shown]
	v_xor_b32_e32 v22, 8, v5
	v_xor_b32_e32 v25, 24, v5
	;; [unrolled: 1-line block ×4, first 2 shown]
	s_add_i32 s37, s0, s42
	s_add_i32 s0, s45, s44
	v_or_b32_e32 v101, 0x4000, v31
	v_or_b32_e32 v102, 0x6000, v31
	;; [unrolled: 1-line block ×4, first 2 shown]
	v_xor_b32_e32 v24, 16, v5
	v_xor_b32_e32 v27, 32, v5
	v_xor_b32_e32 v31, 48, v5
	v_add_u32_e32 v22, 0x80, v22
	v_add_u32_e32 v25, 0x80, v25
	;; [unrolled: 1-line block ×4, first 2 shown]
	s_add_i32 s35, s0, s46
	s_lshl_b64 s[0:1], s[36:37], 2
	s_add_u32 s20, s10, s0
	s_addc_u32 s21, s11, s1
	s_lshl_b64 s[0:1], s[34:35], 2
	s_add_u32 s40, s20, s0
	s_movk_i32 s0, 0xf8
	s_addc_u32 s41, s21, s1
	s_ashr_i32 s39, s38, 31
	s_lshl_b32 s26, s15, 7
	v_mov_b32_e32 v81, 0
	s_movk_i32 s20, 0x100
	v_lshlrev_b32_e32 v80, 4, v88
	v_lshlrev_b32_e32 v26, 8, v26
	v_ashrrev_i32_e32 v47, 31, v46
	s_mov_b32 s60, 0
	s_movk_i32 s22, 0x4000
	v_or_b32_e32 v109, v26, v28
	v_or_b32_e32 v110, v26, v29
	v_lshl_add_u64 v[82:83], v[46:47], 1, s[8:9]
	s_mov_b32 s35, 0x7060302
	s_movk_i32 s37, 0x2000
	v_mov_b32_e32 v144, 0x3fb8aa3b
	s_waitcnt vmcnt(1)
	v_perm_b32 v33, v6, v14, s58
	s_waitcnt vmcnt(0)
	v_perm_b32 v34, v10, v18, s58
	v_perm_b32 v6, v6, v14, s59
	;; [unrolled: 1-line block ×15, first 2 shown]
	ds_write2st64_b32 v5, v33, v34 offset0:128 offset1:160
	ds_write2st64_b32 v22, v6, v10 offset0:128 offset1:160
	;; [unrolled: 1-line block ×8, first 2 shown]
	v_or_b32_e32 v5, 48, v88
	v_lshl_or_b32 v6, v5, 3, v4
	v_lshlrev_b32_e32 v5, 8, v5
	v_or_b32_e32 v113, v5, v28
	v_or_b32_e32 v114, v5, v29
	;; [unrolled: 1-line block ×3, first 2 shown]
	v_lshlrev_b32_e32 v5, 3, v5
	v_lshrrev_b32_e32 v7, 5, v45
	v_and_or_b32 v7, v5, s0, v7
	v_lshlrev_b32_e32 v7, 4, v7
	v_or_b32_e32 v111, 0x4000, v6
	v_or_b32_e32 v112, 0x6000, v6
	v_lshrrev_b32_e32 v6, 2, v45
	v_lshlrev_b32_e32 v9, 11, v86
	v_and_b32_e32 v5, 0x78, v5
	v_or_b32_e32 v13, 32, v7
	v_and_b32_e32 v8, 12, v6
	v_and_b32_e32 v6, 0x1000, v9
	v_xor_b32_e32 v10, v7, v5
	v_lshrrev_b32_e32 v11, 1, v45
	v_xor_b32_e32 v13, v13, v5
	v_or_b32_e32 v10, v10, v6
	v_and_b32_e32 v11, 8, v11
	v_or_b32_e32 v13, v13, v6
	v_xor_b32_e32 v115, v10, v11
	v_lshlrev_b32_e32 v10, 8, v87
	v_xor_b32_e32 v117, v13, v11
	v_or_b32_e32 v13, 64, v7
	v_or_b32_e32 v7, 0x60, v7
	;; [unrolled: 1-line block ×3, first 2 shown]
	v_xor_b32_e32 v13, v13, v5
	v_xor_b32_e32 v5, v7, v5
	s_lshl_b64 s[0:1], s[38:39], 8
	v_lshlrev_b32_e32 v12, 1, v12
	v_or_b32_e32 v13, v13, v6
	v_or_b32_e32 v5, v5, v6
	s_add_u32 s0, s18, s0
	v_lshlrev_b32_e32 v6, 1, v88
	v_lshlrev_b32_e32 v15, 2, v0
	v_or_b32_e32 v116, 0x4000, v12
	v_or_b32_e32 v118, 0x4080, v12
	;; [unrolled: 1-line block ×4, first 2 shown]
	v_xor_b32_e32 v121, v13, v11
	v_xor_b32_e32 v122, v5, v11
	v_or_b32_e32 v123, 0x6000, v12
	v_or_b32_e32 v124, 0x6080, v12
	;; [unrolled: 1-line block ×4, first 2 shown]
	v_lshlrev_b32_e32 v5, 1, v3
	v_add_lshl_u32 v3, v3, s15, 1
	v_or_b32_e32 v11, 0x100, v2
	v_lshrrev_b32_e32 v12, 4, v0
	s_addc_u32 s1, s19, s1
	v_or_b32_e32 v7, 1, v6
	v_lshrrev_b32_e32 v16, 1, v0
	v_and_or_b32 v10, v15, 60, v10
	v_xor_b32_e32 v13, v12, v6
	v_xor_b32_e32 v14, v7, v12
	v_lshl_add_u64 v[6:7], s[0:1], 0, v[80:81]
	v_and_b32_e32 v16, 24, v16
	v_lshlrev_b32_e32 v10, 1, v10
	v_cndmask_b32_e64 v133, v5, v2, s[2:3]
	v_cndmask_b32_e64 v134, v3, v11, s[2:3]
	v_mov_b32_e32 v3, 0xa000
	v_mov_b32_e32 v5, 0x8000
	v_cmp_gt_u32_e64 s[0:1], s20, v0
	v_lshlrev_b32_e32 v80, 8, v12
	v_or_b32_e32 v129, 0x6000, v10
	v_or_b32_e32 v15, 32, v16
	;; [unrolled: 1-line block ×6, first 2 shown]
	v_cndmask_b32_e64 v3, v3, v5, s[0:1]
	v_lshlrev_b32_e32 v5, 3, v86
	v_lshl_or_b32 v127, v13, 3, v80
	v_and_b32_e32 v13, 8, v0
	v_xor_b32_e32 v11, v5, v16
	v_xor_b32_e32 v15, v5, v15
	;; [unrolled: 1-line block ×3, first 2 shown]
	v_mov_b32_e32 v17, 0x400
	v_cmp_eq_u32_e32 vcc, 0, v13
	v_or_b32_e32 v16, 0x440, v11
	v_or_b32_e32 v18, 0x440, v15
	v_xor_b32_e32 v10, 0x440, v5
	v_and_b32_e32 v12, 7, v0
	v_cndmask_b32_e64 v13, v17, 64, vcc
	v_cndmask_b32_e32 v16, v16, v11, vcc
	v_cndmask_b32_e32 v15, v18, v15, vcc
	;; [unrolled: 1-line block ×3, first 2 shown]
	v_lshl_or_b32 v128, v14, 3, v80
	v_lshlrev_b32_e32 v14, 3, v12
	v_or_b32_e32 v16, v16, v9
	v_or_b32_e32 v15, v15, v9
	v_or3_b32 v11, v9, v13, v11
	v_or_b32_e32 v5, v5, v9
	v_lshlrev_b32_e32 v12, 7, v12
	v_xor_b32_e32 v16, v16, v14
	v_xor_b32_e32 v15, v15, v14
	;; [unrolled: 1-line block ×4, first 2 shown]
	v_or_b32_e32 v2, v1, v8
	v_add_u32_e32 v17, v3, v16
	v_add_u32_e32 v18, v3, v15
	v_or_b32_e32 v135, v11, v12
	v_add_u32_e32 v9, v3, v5
	v_or3_b32 v8, v1, v8, 64
	v_add_u32_e32 v10, 0xa000, v16
	v_add_u32_e32 v11, 0xa000, v15
	v_add_u32_e32 v5, 0xa000, v5
	v_lshl_add_u64 v[84:85], v[6:7], 0, v[80:81]
	v_lshlrev_b32_e32 v80, 1, v4
	s_movk_i32 s39, 0x3000
	v_lshlrev_b32_e32 v47, 2, v2
	v_add_u32_e32 v136, v17, v12
	v_add_u32_e32 v137, v18, v12
	;; [unrolled: 1-line block ×4, first 2 shown]
	v_lshlrev_b32_e32 v140, 2, v8
	v_add_u32_e32 v141, v10, v12
	v_add_u32_e32 v142, v11, v12
	;; [unrolled: 1-line block ×3, first 2 shown]
	s_waitcnt lgkmcnt(0)
	s_barrier
.LBB68_6:                               ; =>This Inner Loop Header: Depth=1
	s_add_i32 s61, s60, 1
	s_cmp_lt_i32 s61, s49
	s_mov_b64 s[24:25], 0
	s_cselect_b64 s[2:3], -1, 0
	s_cmp_ge_i32 s61, s49
	s_mov_b64 s[20:21], 0
	s_cbranch_scc1 .LBB68_8
; %bb.7:                                ;   in Loop: Header=BB68_6 Depth=1
	s_add_i32 s0, s55, 64
	s_ashr_i32 s1, s0, 31
	s_add_u32 s0, s53, s0
	s_addc_u32 s1, s52, s1
	s_lshl_b64 s[0:1], s[0:1], 8
	s_add_u32 s20, s6, s0
	s_addc_u32 s21, s7, s1
.LBB68_8:                               ;   in Loop: Header=BB68_6 Depth=1
	v_cndmask_b32_e64 v2, 0, 1, s[2:3]
	v_cmp_ne_u32_e64 s[0:1], 1, v2
	s_andn2_b64 vcc, exec, s[2:3]
	s_cbranch_vccnz .LBB68_10
; %bb.9:                                ;   in Loop: Header=BB68_6 Depth=1
	s_add_i32 s2, s55, 64
	s_mul_hi_i32 s3, s2, s14
	s_mul_i32 s2, s2, s14
	s_add_u32 s2, s2, s51
	s_addc_u32 s3, s3, s56
	s_lshl_b64 s[2:3], s[2:3], 8
	s_add_u32 s24, s4, s2
	s_addc_u32 s25, s5, s3
.LBB68_10:                              ;   in Loop: Header=BB68_6 Depth=1
	v_perm_b32 v3, v79, v78, s35
	v_perm_b32 v2, v75, v74, s35
	v_perm_b32 v5, v77, v76, s35
	v_perm_b32 v4, v73, v72, s35
	ds_write_b64 v99, v[2:3]
	ds_write_b64 v100, v[4:5]
	ds_write_b64 v105, v[2:3]
	ds_write_b64 v106, v[4:5]
	v_perm_b32 v3, v71, v70, s35
	v_perm_b32 v2, v67, v66, s35
	v_perm_b32 v5, v69, v68, s35
	v_perm_b32 v4, v65, v64, s35
	ds_write_b64 v101, v[2:3]
	ds_write_b64 v102, v[4:5]
	ds_write_b64 v107, v[2:3]
	ds_write_b64 v108, v[4:5]
	;; [unrolled: 8-line block ×4, first 2 shown]
	s_waitcnt lgkmcnt(0)
	s_barrier
	ds_read_b64 v[6:7], v115 offset:49152
	ds_read2_b64 v[2:5], v116 offset1:16
	ds_read_b64 v[18:19], v118 offset:6144
	ds_read_b64 v[20:21], v116 offset:6144
	s_waitcnt lgkmcnt(2)
	v_mfma_f32_16x16x16_bf16 a[0:3], v[6:7], v[2:3], 0
	ds_read_b64 v[22:23], v117 offset:49152
	ds_read2st64_b64 v[10:13], v119 offset0:4 offset1:8
	ds_read2st64_b64 v[14:17], v120 offset0:4 offset1:8
	v_mfma_f32_16x16x16_bf16 a[4:7], v[6:7], v[4:5], 0
	ds_read2_b64 v[2:5], v116 offset0:32 offset1:48
	s_add_i32 s62, s55, 63
	s_ashr_i32 s2, s62, 31
	s_waitcnt lgkmcnt(0)
	v_mfma_f32_16x16x16_bf16 a[8:11], v[6:7], v[2:3], 0
	s_mul_i32 s3, s62, s29
	s_mul_hi_u32 s27, s62, s28
	s_add_i32 s3, s27, s3
	v_mfma_f32_16x16x16_bf16 a[12:15], v[6:7], v[4:5], 0
	ds_read2st64_b64 v[2:5], v116 offset0:4 offset1:8
	ds_read2st64_b64 v[6:9], v118 offset0:4 offset1:8
	s_mul_i32 s2, s2, s28
	s_waitcnt lgkmcnt(1)
	v_mfma_f32_16x16x16_bf16 a[0:3], v[22:23], v[2:3], a[0:3]
	s_add_i32 s3, s3, s2
	s_mul_i32 s2, s62, s28
	s_lshl_b64 s[2:3], s[2:3], 2
	s_waitcnt lgkmcnt(0)
	v_mfma_f32_16x16x16_bf16 a[4:7], v[22:23], v[6:7], a[4:7]
	s_add_u32 s2, s40, s2
	s_addc_u32 s3, s41, s3
	s_and_b64 vcc, exec, s[0:1]
	v_mfma_f32_16x16x16_bf16 a[8:11], v[22:23], v[10:11], a[8:11]
	ds_read_b64 v[2:3], v121 offset:49152
	ds_read_b64 v[6:7], v122 offset:49152
	;; [unrolled: 1-line block ×3, first 2 shown]
	v_mov_b32_e32 v147, 0
	v_mov_b32_e32 v146, 0
	v_mfma_f32_16x16x16_bf16 a[12:15], v[22:23], v[14:15], a[12:15]
	v_mov_b32_e32 v145, 0
	v_mov_b32_e32 v14, 0
	;; [unrolled: 1-line block ×3, first 2 shown]
	s_waitcnt lgkmcnt(2)
	v_mfma_f32_16x16x16_bf16 a[0:3], v[2:3], v[4:5], a[0:3]
	v_mov_b32_e32 v4, 0
	v_mov_b32_e32 v5, 0
	v_mfma_f32_16x16x16_bf16 a[16:19], v[2:3], v[8:9], a[4:7]
	v_mov_b32_e32 v8, 0
	v_mov_b32_e32 v9, 0
	v_mfma_f32_16x16x16_bf16 a[20:23], v[2:3], v[12:13], a[8:11]
	v_mov_b32_e32 v12, 0
	v_mov_b32_e32 v13, 0
	v_mfma_f32_16x16x16_bf16 a[24:27], v[2:3], v[16:17], a[12:15]
	ds_read_b64 v[2:3], v119 offset:6144
	v_mov_b32_e32 v16, 0
	v_mov_b32_e32 v17, 0
	s_waitcnt lgkmcnt(2)
	v_mfma_f32_16x16x16_bf16 a[4:7], v[6:7], v[20:21], a[0:3]
	v_mfma_f32_16x16x16_bf16 a[8:11], v[6:7], v[18:19], a[16:19]
	s_waitcnt lgkmcnt(0)
	v_mfma_f32_16x16x16_bf16 a[12:15], v[6:7], v[2:3], a[20:23]
	v_mov_b32_e32 v2, 0
	v_mov_b32_e32 v3, 0
	v_mfma_f32_16x16x16_bf16 a[0:3], v[6:7], v[10:11], a[24:27]
	v_mov_b32_e32 v6, 0
	v_mov_b32_e32 v7, 0
	;; [unrolled: 1-line block ×4, first 2 shown]
	s_cbranch_vccnz .LBB68_12
; %bb.11:                               ;   in Loop: Header=BB68_6 Depth=1
	s_and_b32 s21, s21, 0xffff
	buffer_load_dwordx4 v[14:17], v95, s[20:23], 0 offen
	buffer_load_dwordx4 v[10:13], v95, s[20:23], s57 offen
	;; [unrolled: 1-line block ×4, first 2 shown]
	v_mov_b32_e32 v146, v97
	v_mov_b32_e32 v145, v98
.LBB68_12:                              ;   in Loop: Header=BB68_6 Depth=1
	ds_read_b64 v[34:35], v115 offset:57344
	ds_read2_b64 v[18:21], v123 offset1:16
	ds_read_b64 v[36:37], v117 offset:57344
	ds_read_b64 v[38:39], v121 offset:57344
	;; [unrolled: 1-line block ×3, first 2 shown]
	v_add_u32_e32 v42, s55, v91
	s_waitcnt lgkmcnt(3)
	v_mfma_f32_16x16x16_bf16 a[4:7], v[34:35], v[18:19], a[4:7]
	v_mfma_f32_16x16x16_bf16 a[8:11], v[34:35], v[20:21], a[8:11]
	ds_read2_b64 v[18:21], v123 offset0:32 offset1:48
	ds_read2st64_b64 v[22:25], v123 offset0:4 offset1:8
	ds_read2st64_b64 v[26:29], v124 offset0:4 offset1:8
	ds_read2st64_b64 v[30:33], v125 offset0:4 offset1:8
	s_waitcnt lgkmcnt(3)
	v_mfma_f32_16x16x16_bf16 a[12:15], v[34:35], v[18:19], a[12:15]
	v_ashrrev_i32_e32 v18, 31, v42
	v_mfma_f32_16x16x16_bf16 a[0:3], v[34:35], v[20:21], a[0:3]
	v_mul_lo_u32 v20, v18, s28
	v_mul_lo_u32 v21, v42, s29
	v_mad_u64_u32 v[18:19], s[20:21], v42, s28, 0
	v_add3_u32 v19, v19, v21, v20
	v_add_u32_e32 v20, 1, v42
	v_ashrrev_i32_e32 v21, 31, v20
	s_waitcnt lgkmcnt(2)
	v_mfma_f32_16x16x16_bf16 a[4:7], v[36:37], v[22:23], a[4:7]
	v_mul_lo_u32 v22, v21, s28
	v_mul_lo_u32 v23, v20, s29
	v_mad_u64_u32 v[20:21], s[20:21], v20, s28, 0
	v_add3_u32 v21, v21, v23, v22
	v_add_u32_e32 v22, 2, v42
	v_ashrrev_i32_e32 v23, 31, v22
	s_waitcnt lgkmcnt(1)
	v_mfma_f32_16x16x16_bf16 a[8:11], v[36:37], v[26:27], a[8:11]
	v_mul_lo_u32 v26, v23, s28
	v_mul_lo_u32 v27, v22, s29
	v_mad_u64_u32 v[22:23], s[20:21], v22, s28, 0
	v_add3_u32 v23, v23, v27, v26
	v_add_u32_e32 v26, 3, v42
	v_ashrrev_i32_e32 v27, 31, v26
	v_mul_lo_u32 v34, v27, s28
	v_mul_lo_u32 v35, v26, s29
	v_mad_u64_u32 v[26:27], s[20:21], v26, s28, 0
	s_ashr_i32 s21, s55, 31
	s_add_u32 s20, s53, s55
	v_lshl_add_u64 v[18:19], v[18:19], 2, s[40:41]
	v_add3_u32 v27, v27, v35, v34
	s_addc_u32 s21, s52, s21
	v_lshl_add_u64 v[20:21], v[20:21], 2, s[40:41]
	global_load_dword v42, v[18:19], off
	v_lshl_add_u64 v[18:19], v[26:27], 2, s[40:41]
	s_lshl_b64 s[20:21], s[20:21], 8
	v_lshl_add_u64 v[22:23], v[22:23], 2, s[40:41]
	global_load_dword v34, v[20:21], off
	global_load_dword v35, v[22:23], off
	;; [unrolled: 1-line block ×3, first 2 shown]
	v_lshl_add_u64 v[18:19], v[82:83], 0, s[20:21]
	v_lshl_add_u64 v[22:23], v[18:19], 0, v[80:81]
	global_load_ushort v44, v[22:23], off offset:256
	global_load_ushort v148, v[22:23], off
	ds_read2st64_b64 v[18:21], v126 offset0:4 offset1:8
	global_load_ushort v149, v[22:23], off offset:768
	global_load_ushort v150, v[22:23], off offset:512
	s_waitcnt lgkmcnt(1)
	v_mfma_f32_16x16x16_bf16 a[12:15], v[36:37], v[30:31], a[12:15]
	s_and_b64 vcc, exec, s[0:1]
	s_waitcnt vmcnt(3)
	v_lshlrev_b32_e32 v31, 16, v44
	s_waitcnt lgkmcnt(0)
	v_mfma_f32_16x16x16_bf16 a[0:3], v[36:37], v[18:19], a[0:3]
	global_load_ushort v36, v[22:23], off offset:288
	global_load_ushort v37, v[22:23], off offset:32
	;; [unrolled: 1-line block ×8, first 2 shown]
	v_mfma_f32_16x16x16_bf16 a[4:7], v[38:39], v[24:25], a[4:7]
	ds_read_b64 v[18:19], v123 offset:6144
	s_waitcnt vmcnt(10)
	v_lshlrev_b32_e32 v30, 16, v148
	v_mov_b32_e32 v148, 0
	v_mfma_f32_16x16x16_bf16 a[8:11], v[38:39], v[28:29], a[8:11]
	v_mfma_f32_16x16x16_bf16 a[12:15], v[38:39], v[32:33], a[12:15]
	;; [unrolled: 1-line block ×3, first 2 shown]
	global_load_ushort v38, v[22:23], off offset:352
	global_load_ushort v39, v[22:23], off offset:96
	ds_read_b64 v[20:21], v124 offset:6144
	ds_read_b64 v[24:25], v125 offset:6144
	ds_read_b64 v[26:27], v126 offset:6144
	global_load_ushort v157, v[22:23], off offset:864
	global_load_ushort v158, v[22:23], off offset:608
	s_load_dword s2, s[2:3], 0x0
	s_waitcnt lgkmcnt(0)
	v_mfma_f32_16x16x16_bf16 a[4:7], v[40:41], v[18:19], a[4:7]
	v_sub_f32_e32 v28, s2, v35
	v_mfma_f32_16x16x16_bf16 a[0:3], v[40:41], v[26:27], a[0:3]
	v_sub_f32_e32 v26, s2, v42
	v_sub_f32_e32 v27, s2, v34
	v_sub_f32_e32 v29, s2, v43
	v_mul_f32_e32 v26, 0x3fb8aa3b, v26
	v_mul_f32_e32 v27, 0x3fb8aa3b, v27
	;; [unrolled: 1-line block ×4, first 2 shown]
	v_mfma_f32_16x16x16_bf16 a[8:11], v[40:41], v[20:21], a[8:11]
	v_exp_f32_e32 v26, v26
	v_exp_f32_e32 v27, v27
	v_exp_f32_e32 v28, v28
	v_exp_f32_e32 v29, v29
	v_accvgpr_read_b32 v33, a5
	v_accvgpr_read_b32 v32, a4
	;; [unrolled: 1-line block ×4, first 2 shown]
	v_pk_add_f32 v[30:31], v[30:31], v[32:33] neg_lo:[0,1] neg_hi:[0,1]
	s_waitcnt vmcnt(13)
	v_lshlrev_b32_e32 v33, 16, v149
	s_waitcnt vmcnt(12)
	v_lshlrev_b32_e32 v32, 16, v150
	v_pk_add_f32 v[18:19], v[32:33], v[18:19] neg_lo:[0,1] neg_hi:[0,1]
	v_pk_mul_f32 v[30:31], v[26:27], v[30:31]
	v_pk_mul_f32 v[18:19], v[28:29], v[18:19]
	v_accvgpr_read_b32 v33, a9
	v_perm_b32 v19, v19, v18, s35
	v_perm_b32 v18, v31, v30, s35
	v_accvgpr_read_b32 v32, a8
	v_accvgpr_read_b32 v21, a11
	v_mfma_f32_16x16x16_bf16 a[12:15], v[40:41], v[24:25], a[12:15]
	v_accvgpr_read_b32 v20, a10
	v_accvgpr_read_b32 v25, a3
	v_accvgpr_read_b32 v24, a2
	s_waitcnt vmcnt(11)
	v_lshlrev_b32_e32 v31, 16, v36
	s_waitcnt vmcnt(10)
	v_lshlrev_b32_e32 v30, 16, v37
	v_pk_add_f32 v[30:31], v[30:31], v[32:33] neg_lo:[0,1] neg_hi:[0,1]
	s_waitcnt vmcnt(9)
	v_lshlrev_b32_e32 v33, 16, v151
	s_waitcnt vmcnt(8)
	v_lshlrev_b32_e32 v32, 16, v152
	v_pk_add_f32 v[20:21], v[32:33], v[20:21] neg_lo:[0,1] neg_hi:[0,1]
	v_pk_mul_f32 v[30:31], v[26:27], v[30:31]
	v_pk_mul_f32 v[20:21], v[28:29], v[20:21]
	v_accvgpr_read_b32 v23, a15
	v_perm_b32 v21, v21, v20, s35
	v_perm_b32 v20, v31, v30, s35
	ds_write2_b64 v100, v[18:19], v[20:21] offset1:16
	v_accvgpr_read_b32 v21, a13
	s_waitcnt vmcnt(7)
	v_lshlrev_b32_e32 v19, 16, v153
	s_waitcnt vmcnt(6)
	v_lshlrev_b32_e32 v18, 16, v154
	v_accvgpr_read_b32 v20, a12
	v_accvgpr_read_b32 v22, a14
	v_pk_add_f32 v[18:19], v[18:19], v[20:21] neg_lo:[0,1] neg_hi:[0,1]
	s_waitcnt vmcnt(5)
	v_lshlrev_b32_e32 v21, 16, v155
	s_waitcnt vmcnt(4)
	v_lshlrev_b32_e32 v20, 16, v156
	v_pk_add_f32 v[20:21], v[20:21], v[22:23] neg_lo:[0,1] neg_hi:[0,1]
	v_pk_mul_f32 v[18:19], v[26:27], v[18:19]
	v_pk_mul_f32 v[20:21], v[28:29], v[20:21]
	v_accvgpr_read_b32 v23, a1
	v_perm_b32 v21, v21, v20, s35
	v_perm_b32 v20, v19, v18, s35
	s_waitcnt vmcnt(3)
	v_lshlrev_b32_e32 v19, 16, v38
	s_waitcnt vmcnt(2)
	v_lshlrev_b32_e32 v18, 16, v39
	v_accvgpr_read_b32 v22, a0
	v_pk_add_f32 v[18:19], v[18:19], v[22:23] neg_lo:[0,1] neg_hi:[0,1]
	s_waitcnt vmcnt(1)
	v_lshlrev_b32_e32 v23, 16, v157
	s_waitcnt vmcnt(0)
	v_lshlrev_b32_e32 v22, 16, v158
	v_pk_add_f32 v[22:23], v[22:23], v[24:25] neg_lo:[0,1] neg_hi:[0,1]
	v_pk_mul_f32 v[18:19], v[26:27], v[18:19]
	v_pk_mul_f32 v[22:23], v[28:29], v[22:23]
	v_mov_b32_e32 v24, 0
	v_perm_b32 v23, v23, v22, s35
	v_perm_b32 v22, v19, v18, s35
	ds_write2_b64 v100, v[20:21], v[22:23] offset0:32 offset1:48
	v_mov_b32_e32 v18, 0
	v_mov_b32_e32 v19, 0
	;; [unrolled: 1-line block ×15, first 2 shown]
	s_cbranch_vccnz .LBB68_14
; %bb.13:                               ;   in Loop: Header=BB68_6 Depth=1
	s_and_b32 s25, s25, 0xffff
	s_mov_b32 s27, s23
	buffer_load_dwordx4 v[30:33], v133, s[24:27], 0 offen
	buffer_load_dwordx4 v[22:25], v133, s[24:27], s57 offen
	buffer_load_dwordx4 v[26:29], v134, s[24:27], 0 offen
	buffer_load_dwordx4 v[18:21], v134, s[24:27], s57 offen
	v_mov_b32_e32 v147, v94
	v_mov_b32_e32 v148, v93
.LBB68_14:                              ;   in Loop: Header=BB68_6 Depth=1
	s_waitcnt lgkmcnt(0)
	s_barrier
	ds_read_b64 v[42:43], v136
	ds_read2_b64 v[34:37], v129 offset1:16
	ds_read_b64 v[166:167], v137
	ds_read_b64 v[168:169], v138
	;; [unrolled: 1-line block ×3, first 2 shown]
	ds_read2_b64 v[38:41], v129 offset0:32 offset1:48
	ds_read2st64_b64 v[150:153], v129 offset0:4 offset1:8
	ds_read2st64_b64 v[154:157], v130 offset0:4 offset1:8
	;; [unrolled: 1-line block ×4, first 2 shown]
	s_waitcnt lgkmcnt(8)
	v_mfma_f32_16x16x16_bf16 a[0:3], v[42:43], v[34:35], 0
	s_add_i32 s3, s54, s60
	s_mul_hi_i32 s21, s3, s13
	s_mul_i32 s3, s3, s13
	v_mfma_f32_16x16x16_bf16 a[4:7], v[42:43], v[36:37], 0
	s_add_u32 s20, s3, s47
	s_addc_u32 s21, s21, s48
	s_lshl_b64 s[20:21], s[20:21], 15
	s_waitcnt lgkmcnt(4)
	v_mfma_f32_16x16x16_bf16 a[8:11], v[42:43], v[38:39], 0
	s_mul_i32 s24, s62, s13
	s_mul_hi_i32 s3, s62, s13
	s_add_u32 s24, s24, s47
	v_mfma_f32_16x16x16_bf16 a[12:15], v[42:43], v[40:41], 0
	ds_read_b64 v[42:43], v129 offset:6144
	ds_read_b64 v[178:179], v130 offset:6144
	;; [unrolled: 1-line block ×4, first 2 shown]
	s_addc_u32 s25, s3, s48
	s_waitcnt lgkmcnt(7)
	v_mfma_f32_16x16x16_bf16 a[0:3], v[166:167], v[150:151], a[0:3]
	s_lshl_b64 s[24:25], s[24:25], 9
	s_add_u32 s24, s16, s24
	s_addc_u32 s25, s17, s25
	s_waitcnt lgkmcnt(6)
	v_mfma_f32_16x16x16_bf16 a[4:7], v[166:167], v[154:155], a[4:7]
	v_lshl_add_u64 v[188:189], v[84:85], 0, s[20:21]
	s_waitcnt lgkmcnt(5)
	v_mfma_f32_16x16x16_bf16 a[8:11], v[166:167], v[158:159], a[8:11]
	s_waitcnt lgkmcnt(4)
	v_mfma_f32_16x16x16_bf16 a[12:15], v[166:167], v[162:163], a[12:15]
	ds_read_b64 v[166:167], v141
	ds_read_b64 v[176:177], v142
	;; [unrolled: 1-line block ×3, first 2 shown]
	s_waitcnt lgkmcnt(2)
	v_mfma_f32_16x16x16_bf16 a[16:19], v[166:167], v[34:35], 0
	v_mfma_f32_16x16x16_bf16 a[20:23], v[166:167], v[36:37], 0
	global_load_dwordx4 v[34:37], v140, s[24:25]
	v_mfma_f32_16x16x16_bf16 a[24:27], v[166:167], v[38:39], 0
	v_mfma_f32_16x16x16_bf16 a[28:31], v[166:167], v[40:41], 0
	global_load_dwordx4 v[38:41], v47, s[24:25]
	v_mfma_f32_16x16x16_bf16 a[0:3], v[168:169], v[152:153], a[0:3]
	v_mfma_f32_16x16x16_bf16 a[4:7], v[168:169], v[156:157], a[4:7]
	;; [unrolled: 1-line block ×8, first 2 shown]
	ds_read2st64_b64 v[166:169], v127 offset1:8
	ds_read2st64_b64 v[170:173], v128 offset1:8
	ds_read_b64 v[186:187], v135 offset:40960
	s_waitcnt lgkmcnt(2)
	v_mov_b32_e32 v174, v166
	v_mfma_f32_16x16x16_bf16 a[16:19], v[176:177], v[150:151], a[16:19]
	v_mov_b32_e32 v175, v167
	v_mfma_f32_16x16x16_bf16 a[20:23], v[176:177], v[154:155], a[20:23]
	v_mfma_f32_16x16x16_bf16 a[24:27], v[176:177], v[158:159], a[24:27]
	;; [unrolled: 1-line block ×3, first 2 shown]
	v_add_co_u32_e32 v162, vcc, s37, v188
	s_waitcnt lgkmcnt(1)
	v_mov_b32_e32 v176, v170
	s_waitcnt lgkmcnt(0)
	v_mfma_f32_16x16x16_bf16 a[16:19], v[186:187], v[152:153], a[16:19]
	ds_read2st64_b64 v[150:153], v127 offset0:16 offset1:24
	v_addc_co_u32_e32 v163, vcc, 0, v189, vcc
	v_mfma_f32_16x16x16_bf16 a[20:23], v[186:187], v[156:157], a[20:23]
	ds_read2st64_b64 v[154:157], v128 offset0:16 offset1:24
	v_mov_b32_e32 v177, v171
	v_mov_b32_e32 v170, v168
	v_mfma_f32_16x16x16_bf16 a[32:35], v[186:187], v[160:161], a[24:27]
	v_mov_b32_e32 v171, v169
	s_waitcnt lgkmcnt(0)
	v_mov_b32_e32 v160, v154
	v_mov_b32_e32 v161, v155
	v_mfma_f32_16x16x16_bf16 a[36:39], v[186:187], v[164:165], a[28:31]
	v_mov_b32_e32 v154, v152
	v_mov_b32_e32 v155, v153
	;; [unrolled: 1-line block ×3, first 2 shown]
	v_mfma_f32_16x16x16_bf16 a[24:27], v[184:185], v[42:43], a[16:19]
	v_add_co_u32_e32 v42, vcc, s39, v188
	v_mov_b32_e32 v159, v151
	v_mfma_f32_16x16x16_bf16 a[28:31], v[184:185], v[178:179], a[20:23]
	v_addc_co_u32_e32 v43, vcc, 0, v189, vcc
	global_store_dwordx4 v[42:43], v[154:157], off
	v_mfma_f32_16x16x16_bf16 a[16:19], v[184:185], v[180:181], a[32:35]
	s_waitcnt vmcnt(2)
	v_mov_b32_e32 v44, v37
	v_mov_b32_e32 v43, v36
	;; [unrolled: 1-line block ×3, first 2 shown]
	v_mfma_f32_16x16x16_bf16 a[20:23], v[184:185], v[182:183], a[36:39]
	s_and_b64 vcc, exec, s[0:1]
	global_store_dwordx4 v[188:189], v[174:177], off
	global_store_dwordx4 v[162:163], v[170:173], off offset:-4096
	global_store_dwordx4 v[162:163], v[158:161], off
	s_cbranch_vccnz .LBB68_16
; %bb.15:                               ;   in Loop: Header=BB68_6 Depth=1
	v_lshrrev_b32_e32 v35, 3, v147
	v_and_b32_e32 v35, 6, v35
	v_xor_b32_e32 v36, v35, v148
	v_lshlrev_b32_e32 v36, 2, v36
	v_and_b32_e32 v37, 8, v147
	v_xor_b32_e32 v147, 0x440, v36
	v_cmp_eq_u32_e32 vcc, 0, v37
	v_perm_b32 v37, v22, v18, s58
	s_nop 0
	v_cndmask_b32_e32 v36, v147, v36, vcc
	v_lshl_or_b32 v35, v35, 10, v36
	v_perm_b32 v36, v30, v26, s58
	s_barrier
	ds_write2st64_b32 v35, v36, v37 offset0:128 offset1:160
	v_xor_b32_e32 v36, 8, v35
	v_perm_b32 v26, v30, v26, s59
	v_perm_b32 v18, v22, v18, s59
	v_add_u32_e32 v22, 0x80, v36
	ds_write2st64_b32 v22, v26, v18 offset0:128 offset1:160
	v_xor_b32_e32 v18, 16, v35
	v_perm_b32 v22, v31, v27, s58
	v_perm_b32 v26, v23, v19, s58
	ds_write2st64_b32 v18, v22, v26 offset0:129 offset1:161
	v_xor_b32_e32 v18, 24, v35
	v_perm_b32 v22, v31, v27, s59
	v_perm_b32 v19, v23, v19, s59
	v_add_u32_e32 v18, 0x80, v18
	ds_write2st64_b32 v18, v22, v19 offset0:129 offset1:161
	v_xor_b32_e32 v18, 32, v35
	v_perm_b32 v19, v32, v28, s58
	v_perm_b32 v22, v24, v20, s58
	;; [unrolled: 9-line block ×3, first 2 shown]
	ds_write2st64_b32 v18, v19, v20 offset0:131 offset1:163
	v_xor_b32_e32 v18, 56, v35
	v_perm_b32 v19, v33, v29, s59
	v_perm_b32 v20, v25, v21, s59
	v_add_u32_e32 v18, 0x80, v18
	ds_write2st64_b32 v18, v19, v20 offset0:131 offset1:163
	ds_write_b64 v146, v[14:15] offset:49152
	v_xor_b32_e32 v14, 8, v146
	ds_write_b64 v14, v[16:17] offset:49152
	ds_write_b64 v146, v[10:11] offset:57344
	;; [unrolled: 1-line block ×4, first 2 shown]
	v_xor_b32_e32 v6, 8, v145
	ds_write_b64 v6, v[8:9] offset:49152
	ds_write_b64 v145, v[2:3] offset:57344
	;; [unrolled: 1-line block ×3, first 2 shown]
.LBB68_16:                              ;   in Loop: Header=BB68_6 Depth=1
	v_mul_f32_e32 v26, s2, v144
	v_exp_f32_e32 v36, v26
	s_waitcnt vmcnt(4)
	v_mul_f32_e32 v26, 0x3fb8aa3b, v38
	v_exp_f32_e32 v38, v26
	v_mul_f32_e32 v26, 0x3fb8aa3b, v39
	v_exp_f32_e32 v39, v26
	;; [unrolled: 2-line block ×4, first 2 shown]
	v_accvgpr_read_b32 v5, a3
	v_accvgpr_read_b32 v4, a2
	v_accvgpr_read_b32 v3, a1
	v_accvgpr_read_b32 v2, a0
	v_pk_mul_f32 v[38:39], v[36:37], v[38:39] op_sel_hi:[0,1]
	v_pk_mul_f32 v[40:41], v[36:37], v[40:41] op_sel_hi:[0,1]
	v_pk_fma_f32 v[74:75], v[74:75], v[38:39], v[2:3]
	v_pk_fma_f32 v[78:79], v[78:79], v[40:41], v[4:5]
	v_mul_f32_e32 v2, 0x3fb8aa3b, v34
	v_mul_f32_e32 v3, 0x3fb8aa3b, v42
	;; [unrolled: 1-line block ×4, first 2 shown]
	v_exp_f32_e32 v2, v2
	v_exp_f32_e32 v3, v3
	;; [unrolled: 1-line block ×4, first 2 shown]
	v_accvgpr_read_b32 v9, a7
	v_accvgpr_read_b32 v13, a11
	;; [unrolled: 1-line block ×28, first 2 shown]
	v_pk_mul_f32 v[2:3], v[36:37], v[2:3] op_sel_hi:[0,1]
	v_pk_mul_f32 v[4:5], v[36:37], v[4:5] op_sel_hi:[0,1]
	s_add_i32 s55, s55, 64
	v_pk_fma_f32 v[66:67], v[38:39], v[66:67], v[6:7]
	v_pk_fma_f32 v[70:71], v[40:41], v[70:71], v[8:9]
	;; [unrolled: 1-line block ×13, first 2 shown]
	s_cmp_eq_u32 s49, s61
	v_pk_fma_f32 v[52:53], v[4:5], v[52:53], v[32:33]
	s_cbranch_scc1 .LBB68_18
; %bb.17:                               ;   in Loop: Header=BB68_6 Depth=1
	s_mov_b32 s60, s61
	s_branch .LBB68_6
.LBB68_18:
	s_lshl_b32 s26, s49, 6
	s_sub_i32 s27, s50, s26
	s_cmp_gt_i32 s27, 0
	s_cbranch_scc0 .LBB68_99
; %bb.19:
	s_add_i32 s26, s26, s30
	s_ashr_i32 s2, s26, 31
	s_cmpk_lg_i32 s15, 0x80
	s_cselect_b64 s[22:23], -1, 0
	s_and_b64 vcc, exec, s[22:23]
	s_cbranch_vccz .LBB68_21
; %bb.20:
	s_mul_i32 s1, s26, s14
	s_ashr_i32 s3, s51, 31
	s_mul_hi_i32 s0, s26, s14
	s_add_u32 s24, s1, s51
	s_addc_u32 s25, s0, s3
	s_cbranch_execz .LBB68_22
	s_branch .LBB68_23
.LBB68_21:
                                        ; implicit-def: $sgpr24_sgpr25
.LBB68_22:
	s_mul_i32 s1, s51, s12
	s_mul_hi_i32 s0, s51, s12
	s_add_u32 s24, s1, s26
	s_addc_u32 s25, s0, s2
.LBB68_23:
	s_waitcnt lgkmcnt(0)
	s_add_i32 s3, s49, s54
	s_add_u32 s0, s53, s26
	v_lshlrev_b32_e32 v6, 6, v91
	v_lshlrev_b32_e32 v24, 2, v88
	s_addc_u32 s1, s52, s2
	s_mov_b32 s2, 0x7060302
	v_or_b32_e32 v9, v6, v24
	v_xor_b32_e32 v7, v91, v24
	v_perm_b32 v3, v79, v78, s2
	v_perm_b32 v2, v75, v74, s2
	;; [unrolled: 1-line block ×4, first 2 shown]
	v_lshlrev_b32_e32 v9, 1, v9
	v_xor_b32_e32 v8, v92, v24
	ds_write2st64_b64 v9, v[2:3], v[4:5] offset0:32 offset1:48
	v_lshlrev_b32_e32 v7, 1, v7
	v_lshlrev_b32_e32 v9, 8, v88
	v_or_b32_e32 v10, v7, v9
	v_lshlrev_b32_e32 v8, 1, v8
	ds_write_b64 v10, v[2:3]
	v_or_b32_e32 v2, v8, v9
	v_or_b32_e32 v9, 16, v88
	v_lshlrev_b32_e32 v23, 2, v9
	v_or_b32_e32 v10, v6, v23
	ds_write_b64 v2, v[4:5]
	v_perm_b32 v3, v71, v70, s2
	v_perm_b32 v2, v67, v66, s2
	;; [unrolled: 1-line block ×4, first 2 shown]
	v_lshlrev_b32_e32 v10, 1, v10
	v_lshlrev_b32_e32 v9, 8, v9
	ds_write2st64_b64 v10, v[2:3], v[4:5] offset0:32 offset1:48
	v_or_b32_e32 v10, v7, v9
	ds_write_b64 v10, v[2:3]
	v_or_b32_e32 v2, v8, v9
	v_or_b32_e32 v9, 32, v88
	v_lshlrev_b32_e32 v22, 2, v9
	v_or_b32_e32 v10, v6, v22
	s_lshl_b64 s[20:21], s[0:1], 8
	ds_write_b64 v2, v[4:5]
	v_perm_b32 v3, v63, v62, s2
	v_perm_b32 v2, v59, v58, s2
	;; [unrolled: 1-line block ×4, first 2 shown]
	v_lshlrev_b32_e32 v10, 1, v10
	v_lshlrev_b32_e32 v9, 8, v9
	s_add_u32 s0, s6, s20
	ds_write2st64_b64 v10, v[2:3], v[4:5] offset0:32 offset1:48
	v_or_b32_e32 v10, v7, v9
	s_addc_u32 s1, s7, s21
	ds_write_b64 v10, v[2:3]
	v_or_b32_e32 v2, v8, v9
	v_or_b32_e32 v9, 48, v88
	s_mul_hi_i32 s6, s3, s13
	s_mul_i32 s3, s3, s13
	ds_write_b64 v2, v[4:5]
	v_perm_b32 v3, v55, v54, s2
	v_perm_b32 v2, v51, v50, s2
	;; [unrolled: 1-line block ×4, first 2 shown]
	v_lshlrev_b32_e32 v19, 2, v9
	s_add_u32 s2, s3, s47
	v_or_b32_e32 v6, v6, v19
	s_addc_u32 s3, s6, s48
	v_lshlrev_b32_e32 v6, 1, v6
	s_ashr_i32 s39, s38, 31
	s_lshl_b64 s[2:3], s[2:3], 15
	ds_write2st64_b64 v6, v[2:3], v[4:5] offset0:32 offset1:48
	v_lshlrev_b32_e32 v6, 8, v9
	s_add_u32 s6, s18, s2
	v_or_b32_e32 v7, v7, v6
	s_addc_u32 s7, s19, s3
	s_lshl_b64 s[2:3], s[38:39], 8
	ds_write_b64 v7, v[2:3]
	v_or_b32_e32 v2, v8, v6
	s_add_u32 s2, s6, s2
	v_lshlrev_b32_e32 v3, 1, v88
	ds_write_b64 v2, v[4:5]
	v_lshrrev_b32_e32 v2, 4, v0
	s_addc_u32 s3, s7, s3
	v_or_b32_e32 v4, 1, v3
	v_lshlrev_b32_e32 v10, 4, v88
	v_mov_b32_e32 v11, 0
	v_xor_b32_e32 v3, v2, v3
	v_xor_b32_e32 v6, v4, v2
	v_lshl_add_u64 v[12:13], s[2:3], 0, v[10:11]
	v_lshlrev_b32_e32 v10, 8, v2
	v_lshl_or_b32 v16, v3, 3, v10
	v_lshl_or_b32 v17, v6, 3, v10
	s_waitcnt lgkmcnt(0)
	s_barrier
	ds_read2st64_b64 v[2:5], v16 offset1:8
	ds_read2st64_b64 v[6:9], v17 offset1:8
	v_lshl_add_u64 v[14:15], v[12:13], 0, v[10:11]
	s_movk_i32 s2, 0x2000
	s_cmp_lg_u32 s27, 64
	s_waitcnt lgkmcnt(1)
	v_mov_b32_e32 v10, v2
	v_mov_b32_e32 v11, v3
	s_waitcnt lgkmcnt(0)
	v_mov_b32_e32 v12, v6
	v_mov_b32_e32 v13, v7
	global_store_dwordx4 v[14:15], v[10:13], off
	v_mov_b32_e32 v6, v4
	v_mov_b32_e32 v7, v5
	ds_read2st64_b64 v[2:5], v16 offset0:16 offset1:24
	ds_read2st64_b64 v[10:13], v17 offset0:16 offset1:24
	v_add_co_u32_e32 v16, vcc, s2, v14
	s_cselect_b64 s[6:7], -1, 0
	s_nop 0
	v_addc_co_u32_e32 v17, vcc, 0, v15, vcc
	global_store_dwordx4 v[16:17], v[6:9], off offset:-4096
	v_lshl_or_b32 v25, v86, 3, v90
	s_mov_b32 s16, 0
	s_waitcnt lgkmcnt(1)
	v_mov_b32_e32 v6, v2
	v_add_co_u32_e32 v2, vcc, 0x3000, v14
	v_mov_b32_e32 v7, v3
	s_nop 0
	v_addc_co_u32_e32 v3, vcc, 0, v15, vcc
	s_waitcnt lgkmcnt(0)
	v_mov_b32_e32 v8, v10
	v_mov_b32_e32 v9, v11
	;; [unrolled: 1-line block ×4, first 2 shown]
	v_or_b32_e32 v20, 32, v25
	v_and_b32_e32 v18, 56, v89
	s_and_b64 vcc, exec, s[6:7]
	global_store_dwordx4 v[16:17], v[6:9], off
	global_store_dwordx4 v[2:3], v[10:13], off
	s_cbranch_vccz .LBB68_29
; %bb.24:
	s_mov_b32 s17, s16
	s_mov_b32 s18, s16
	s_mov_b32 s19, s16
	v_mov_b64_e32 v[6:7], s[16:17]
	v_mov_b64_e32 v[8:9], s[18:19]
	;; [unrolled: 1-line block ×3, first 2 shown]
	v_cmp_gt_i32_e32 vcc, s27, v25
	v_mov_b64_e32 v[4:5], v[8:9]
	s_and_saveexec_b64 s[2:3], vcc
	s_cbranch_execz .LBB68_26
; %bb.25:
	v_lshlrev_b32_e32 v2, 8, v25
	v_mov_b32_e32 v3, 0
	v_lshl_add_u64 v[4:5], s[0:1], 0, v[2:3]
	v_lshlrev_b32_e32 v2, 1, v18
	v_lshl_add_u64 v[10:11], v[4:5], 0, v[2:3]
	global_load_dwordx4 v[6:9], v[10:11], off
	global_load_dwordx4 v[2:5], v[10:11], off offset:128
.LBB68_26:
	s_or_b64 exec, exec, s[2:3]
	s_mov_b32 s17, s16
	s_mov_b32 s18, s16
	;; [unrolled: 1-line block ×3, first 2 shown]
	v_mov_b64_e32 v[14:15], s[16:17]
	v_mov_b64_e32 v[16:17], s[18:19]
	;; [unrolled: 1-line block ×3, first 2 shown]
	v_cmp_gt_i32_e32 vcc, s27, v20
	v_lshlrev_b32_e32 v21, 7, v20
	v_mov_b64_e32 v[12:13], v[16:17]
	s_and_saveexec_b64 s[2:3], vcc
	s_cbranch_execz .LBB68_28
; %bb.27:
	v_lshlrev_b32_e32 v10, 1, v21
	v_mov_b32_e32 v11, 0
	v_lshl_add_u64 v[12:13], s[0:1], 0, v[10:11]
	v_lshlrev_b32_e32 v10, 1, v18
	v_lshl_add_u64 v[26:27], v[12:13], 0, v[10:11]
	global_load_dwordx4 v[14:17], v[26:27], off
	global_load_dwordx4 v[10:13], v[26:27], off offset:128
.LBB68_28:
	s_or_b64 exec, exec, s[2:3]
	v_lshrrev_b32_e32 v26, 3, v18
	v_lshlrev_b32_e32 v27, 3, v25
	v_or_b32_e32 v26, v27, v26
	v_lshlrev_b32_e32 v26, 4, v26
	v_and_b32_e32 v27, 0x78, v27
	v_xor_b32_e32 v26, v26, v27
	s_branch .LBB68_31
.LBB68_29:
                                        ; implicit-def: $vgpr26
                                        ; implicit-def: $vgpr21
                                        ; implicit-def: $vgpr6_vgpr7_vgpr8_vgpr9
                                        ; implicit-def: $vgpr2_vgpr3_vgpr4_vgpr5
                                        ; implicit-def: $vgpr14_vgpr15_vgpr16_vgpr17
                                        ; implicit-def: $vgpr10_vgpr11_vgpr12_vgpr13
	s_cbranch_execz .LBB68_31
; %bb.30:
	s_waitcnt vmcnt(0)
	v_lshlrev_b32_e32 v2, 1, v18
	v_lshl_or_b32 v21, v25, 8, v2
	s_and_b32 s1, s1, 0xffff
	s_mov_b32 s3, 0x20000
	s_movk_i32 s2, 0x4000
	v_lshl_or_b32 v26, v20, 8, v2
	s_movk_i32 s12, 0x80
	buffer_load_dwordx4 v[6:9], v21, s[0:3], 0 offen
	buffer_load_dwordx4 v[2:5], v21, s[0:3], s12 offen
	;; [unrolled: 1-line block ×4, first 2 shown]
	v_lshrrev_b32_e32 v21, 3, v18
	v_lshlrev_b32_e32 v26, 3, v25
	v_or_b32_e32 v21, v26, v21
	v_lshlrev_b32_e32 v21, 4, v21
	v_and_b32_e32 v26, 0x78, v26
	v_xor_b32_e32 v26, v21, v26
	v_lshlrev_b32_e32 v21, 7, v20
.LBB68_31:
	s_movk_i32 s0, 0x1000
	v_and_or_b32 v20, v21, s0, v26
	s_waitcnt vmcnt(1)
	ds_write_b64 v26, v[6:7] offset:49152
	v_xor_b32_e32 v6, 8, v26
	ds_write_b64 v6, v[8:9] offset:49152
	s_waitcnt vmcnt(0)
	ds_write_b64 v26, v[2:3] offset:57344
	ds_write_b64 v6, v[4:5] offset:57344
	;; [unrolled: 1-line block ×3, first 2 shown]
	v_xor_b32_e32 v2, 8, v20
	ds_write_b64 v2, v[16:17] offset:49152
	ds_write_b64 v20, v[10:11] offset:57344
	;; [unrolled: 1-line block ×3, first 2 shown]
	v_or_b32_e32 v2, v1, v88
	v_lshlrev_b32_e32 v3, 11, v86
	v_lshlrev_b32_e32 v2, 3, v2
	v_and_b32_e32 v6, 0x1000, v3
	v_lshrrev_b32_e32 v3, 5, v45
	s_movk_i32 s0, 0xf8
	v_and_or_b32 v3, v2, s0, v3
	v_lshlrev_b32_e32 v7, 4, v3
	v_and_b32_e32 v8, 0x78, v2
	v_or_b32_e32 v10, 32, v7
	v_lshrrev_b32_e32 v3, 1, v45
	v_xor_b32_e32 v10, v10, v8
	v_xor_b32_e32 v2, v7, v8
	v_and_b32_e32 v9, 8, v3
	v_or_b32_e32 v10, v10, v6
	v_or_b32_e32 v2, v2, v6
	v_xor_b32_e32 v28, v10, v9
	v_or_b32_e32 v10, 64, v7
	v_xor_b32_e32 v27, v2, v9
	v_xor_b32_e32 v10, v10, v8
	s_waitcnt lgkmcnt(0)
	s_barrier
	v_or_b32_e32 v13, v10, v6
	ds_read_b64 v[10:11], v27 offset:49152
	v_lshl_or_b32 v14, v87, 8, v24
	v_lshlrev_b32_e32 v26, 1, v14
	v_add_u32_e32 v12, 0x4000, v26
	ds_read2_b64 v[2:5], v12 offset1:16
	v_or_b32_e32 v7, 0x60, v7
	v_xor_b32_e32 v7, v7, v8
	v_or_b32_e32 v6, v7, v6
	v_xor_b32_e32 v29, v13, v9
	v_xor_b32_e32 v30, v6, v9
	ds_read_b64 v[20:21], v28 offset:49152
	ds_read_b64 v[34:35], v29 offset:49152
	ds_read_b64 v[36:37], v30 offset:49152
	s_waitcnt lgkmcnt(3)
	v_mfma_f32_16x16x16_bf16 a[0:3], v[10:11], v[2:3], 0
	ds_read2st64_b64 v[6:9], v26 offset0:36 offset1:40
	s_lshl_b64 s[0:1], s[24:25], 8
	s_add_u32 s4, s4, s0
	v_mfma_f32_16x16x16_bf16 a[4:7], v[10:11], v[4:5], 0
	ds_read2_b64 v[2:5], v12 offset0:32 offset1:48
	s_addc_u32 s5, s5, s1
	s_add_i32 s1, s43, s33
	s_waitcnt lgkmcnt(0)
	v_mfma_f32_16x16x16_bf16 a[8:11], v[10:11], v[2:3], 0
	v_or_b32_e32 v2, 64, v14
	v_lshlrev_b32_e32 v31, 1, v2
	s_add_i32 s0, s31, -1
	v_mfma_f32_16x16x16_bf16 a[12:15], v[10:11], v[4:5], 0
	ds_read2st64_b64 v[2:5], v31 offset0:36 offset1:40
	s_add_i32 s37, s1, s42
	s_add_i32 s1, s45, s44
	v_mfma_f32_16x16x16_bf16 a[0:3], v[20:21], v[6:7], a[0:3]
	v_or_b32_e32 v6, 0x80, v14
	v_lshlrev_b32_e32 v32, 1, v6
	ds_read2st64_b64 v[10:13], v32 offset0:36 offset1:40
	s_waitcnt lgkmcnt(1)
	v_mfma_f32_16x16x16_bf16 a[4:7], v[20:21], v[2:3], a[4:7]
	v_or_b32_e32 v2, 0xc0, v14
	v_lshlrev_b32_e32 v33, 1, v2
	ds_read2st64_b64 v[14:17], v33 offset0:36 offset1:40
	s_add_i32 s35, s1, s46
	s_ashr_i32 s1, s0, 31
	s_mul_i32 s2, s0, s29
	s_mul_hi_u32 s3, s0, s28
	s_add_i32 s2, s3, s2
	s_mul_i32 s1, s1, s28
	s_waitcnt lgkmcnt(1)
	v_mfma_f32_16x16x16_bf16 a[8:11], v[20:21], v[10:11], a[8:11]
	s_add_i32 s1, s2, s1
	s_lshl_b64 s[2:3], s[36:37], 2
	s_add_u32 s10, s10, s2
	s_waitcnt lgkmcnt(0)
	v_mfma_f32_16x16x16_bf16 a[12:15], v[20:21], v[14:15], a[12:15]
	s_addc_u32 s11, s11, s3
	s_lshl_b64 s[2:3], s[34:35], 2
	s_mul_i32 s0, s0, s28
	v_mfma_f32_16x16x16_bf16 a[0:3], v[34:35], v[8:9], a[0:3]
	ds_read_b64 v[2:3], v26 offset:22528
	s_add_u32 s10, s10, s2
	s_addc_u32 s11, s11, s3
	v_mfma_f32_16x16x16_bf16 a[4:7], v[34:35], v[4:5], a[4:7]
	ds_read_b64 v[4:5], v31 offset:22528
	ds_read_b64 v[6:7], v32 offset:22528
	;; [unrolled: 1-line block ×3, first 2 shown]
	s_lshl_b64 s[0:1], s[0:1], 2
	s_add_u32 s0, s10, s0
	v_mfma_f32_16x16x16_bf16 a[8:11], v[34:35], v[12:13], a[8:11]
	s_addc_u32 s1, s11, s1
	s_load_dword s12, s[0:1], 0x0
	s_and_b64 vcc, exec, s[22:23]
	v_mfma_f32_16x16x16_bf16 a[12:15], v[34:35], v[16:17], a[12:15]
	s_waitcnt lgkmcnt(0)
	v_mfma_f32_16x16x16_bf16 a[0:3], v[36:37], v[2:3], a[0:3]
	v_mfma_f32_16x16x16_bf16 a[4:7], v[36:37], v[4:5], a[4:7]
	;; [unrolled: 1-line block ×4, first 2 shown]
	s_cbranch_vccz .LBB68_42
; %bb.32:
	v_lshlrev_b32_e32 v20, 1, v25
	s_and_b64 vcc, exec, s[6:7]
	s_cbranch_vccz .LBB68_43
; %bb.33:
	v_cmp_gt_i32_e32 vcc, s27, v20
	v_mov_b32_e32 v6, 0
	v_mov_b32_e32 v2, 0
	;; [unrolled: 1-line block ×5, first 2 shown]
	s_and_saveexec_b64 s[0:1], vcc
	s_cbranch_execz .LBB68_35
; %bb.34:
	v_mad_i64_i32 v[2:3], s[2:3], s15, v20, 0
	v_lshl_add_u64 v[2:3], v[2:3], 1, s[4:5]
	v_lshlrev_b32_e32 v4, 1, v18
	v_mov_b32_e32 v5, 0
	v_lshl_add_u64 v[2:3], v[2:3], 0, v[4:5]
	global_load_dwordx4 v[2:5], v[2:3], off
.LBB68_35:
	s_or_b64 exec, exec, s[0:1]
	v_or_b32_e32 v21, 1, v20
	v_cmp_gt_i32_e64 s[0:1], s27, v21
	v_mov_b32_e32 v7, 0
	v_mov_b32_e32 v8, 0
	;; [unrolled: 1-line block ×3, first 2 shown]
	s_and_saveexec_b64 s[2:3], s[0:1]
	s_cbranch_execz .LBB68_37
; %bb.36:
	v_mad_i64_i32 v[6:7], s[16:17], s15, v21, 0
	v_lshl_add_u64 v[6:7], v[6:7], 1, s[4:5]
	v_lshlrev_b32_e32 v8, 1, v18
	v_mov_b32_e32 v9, 0
	v_lshl_add_u64 v[6:7], v[6:7], 0, v[8:9]
	global_load_dwordx4 v[6:9], v[6:7], off
.LBB68_37:
	s_or_b64 exec, exec, s[2:3]
	v_mov_b32_e32 v17, 0
	v_mov_b32_e32 v10, 0
	;; [unrolled: 1-line block ×5, first 2 shown]
	s_and_saveexec_b64 s[2:3], vcc
	s_cbranch_execz .LBB68_39
; %bb.38:
	v_mad_i64_i32 v[10:11], s[16:17], s15, v20, 0
	v_lshl_add_u64 v[10:11], v[10:11], 1, s[4:5]
	v_lshlrev_b32_e32 v12, 1, v18
	v_mov_b32_e32 v13, 0
	v_lshl_add_u64 v[10:11], v[10:11], 0, v[12:13]
	global_load_dwordx4 v[10:13], v[10:11], off offset:128
.LBB68_39:
	s_or_b64 exec, exec, s[2:3]
	v_mov_b32_e32 v16, 0
	v_mov_b32_e32 v15, 0
	;; [unrolled: 1-line block ×3, first 2 shown]
	s_and_saveexec_b64 s[2:3], s[0:1]
	s_cbranch_execz .LBB68_41
; %bb.40:
	v_mad_i64_i32 v[14:15], s[0:1], s15, v21, 0
	v_lshl_add_u64 v[14:15], v[14:15], 1, s[4:5]
	v_lshlrev_b32_e32 v16, 1, v18
	v_mov_b32_e32 v17, 0
	v_lshl_add_u64 v[14:15], v[14:15], 0, v[16:17]
	global_load_dwordx4 v[14:17], v[14:15], off offset:128
.LBB68_41:
	s_or_b64 exec, exec, s[2:3]
	s_branch .LBB68_45
.LBB68_42:
                                        ; implicit-def: $vgpr5
                                        ; implicit-def: $vgpr9
                                        ; implicit-def: $vgpr13
                                        ; implicit-def: $vgpr17
	v_lshrrev_b32_e32 v34, 2, v45
	s_branch .LBB68_46
.LBB68_43:
                                        ; implicit-def: $vgpr5
                                        ; implicit-def: $vgpr9
                                        ; implicit-def: $vgpr13
                                        ; implicit-def: $vgpr17
	s_cbranch_execz .LBB68_45
; %bb.44:
	s_waitcnt vmcnt(0)
	v_mad_u64_u32 v[2:3], s[0:1], v20, s15, v[18:19]
	v_lshlrev_b32_e32 v20, 1, v2
	s_lshl_b32 s2, s15, 7
	s_and_b32 s1, s5, 0xffff
	s_mov_b32 s3, 0x20000
	s_mov_b32 s0, s4
	v_add_lshl_u32 v21, v2, s15, 1
	s_movk_i32 s13, 0x80
	buffer_load_dwordx4 v[2:5], v20, s[0:3], 0 offen
	buffer_load_dwordx4 v[10:13], v20, s[0:3], s13 offen
	;; [unrolled: 1-line block ×4, first 2 shown]
.LBB68_45:
	v_lshrrev_b32_e32 v34, 2, v45
	s_cbranch_execnz .LBB68_58
.LBB68_46:
	s_and_b64 vcc, exec, s[6:7]
	s_cbranch_vccz .LBB68_56
; %bb.47:
	s_waitcnt vmcnt(0)
	v_lshlrev_b32_e32 v7, 1, v25
	v_cmp_gt_i32_e32 vcc, s27, v7
	v_mov_b32_e32 v6, 0
	v_lshlrev_b32_e32 v14, 9, v25
	v_mov_b32_e32 v2, 0
	v_mov_b32_e32 v3, 0
	;; [unrolled: 1-line block ×4, first 2 shown]
	s_and_saveexec_b64 s[0:1], vcc
	s_cbranch_execz .LBB68_49
; %bb.48:
	v_mov_b32_e32 v15, 0
	v_lshl_add_u64 v[2:3], s[4:5], 0, v[14:15]
	v_lshlrev_b32_e32 v4, 1, v18
	v_mov_b32_e32 v5, v15
	v_lshl_add_u64 v[2:3], v[2:3], 0, v[4:5]
	global_load_dwordx4 v[2:5], v[2:3], off
.LBB68_49:
	s_or_b64 exec, exec, s[0:1]
	v_or_b32_e32 v7, 1, v7
	v_cmp_gt_i32_e64 s[0:1], s27, v7
	v_lshlrev_b32_e32 v20, 8, v7
	v_mov_b32_e32 v7, 0
	v_mov_b32_e32 v8, 0
	;; [unrolled: 1-line block ×3, first 2 shown]
	s_and_saveexec_b64 s[2:3], s[0:1]
	s_cbranch_execz .LBB68_51
; %bb.50:
	v_mov_b32_e32 v21, 0
	v_lshl_add_u64 v[6:7], s[4:5], 0, v[20:21]
	v_lshlrev_b32_e32 v8, 1, v18
	v_mov_b32_e32 v9, v21
	v_lshl_add_u64 v[6:7], v[6:7], 0, v[8:9]
	global_load_dwordx4 v[6:9], v[6:7], off
.LBB68_51:
	s_or_b64 exec, exec, s[2:3]
	v_mov_b32_e32 v17, 0
	v_mov_b32_e32 v10, 0
	;; [unrolled: 1-line block ×5, first 2 shown]
	s_and_saveexec_b64 s[2:3], vcc
	s_cbranch_execz .LBB68_53
; %bb.52:
	v_mov_b32_e32 v15, 0
	v_lshl_add_u64 v[10:11], s[4:5], 0, v[14:15]
	v_lshlrev_b32_e32 v14, 1, v18
	v_lshl_add_u64 v[10:11], v[10:11], 0, v[14:15]
	global_load_dwordx4 v[10:13], v[10:11], off offset:128
.LBB68_53:
	s_or_b64 exec, exec, s[2:3]
	v_mov_b32_e32 v16, 0
	v_mov_b32_e32 v15, 0
	;; [unrolled: 1-line block ×3, first 2 shown]
	s_and_saveexec_b64 s[2:3], s[0:1]
	s_cbranch_execz .LBB68_55
; %bb.54:
	v_mov_b32_e32 v21, 0
	v_lshl_add_u64 v[14:15], s[4:5], 0, v[20:21]
	v_lshlrev_b32_e32 v20, 1, v18
	v_lshl_add_u64 v[14:15], v[14:15], 0, v[20:21]
	global_load_dwordx4 v[14:17], v[14:15], off offset:128
.LBB68_55:
	s_or_b64 exec, exec, s[2:3]
	s_branch .LBB68_58
.LBB68_56:
                                        ; implicit-def: $vgpr5
                                        ; implicit-def: $vgpr9
                                        ; implicit-def: $vgpr13
                                        ; implicit-def: $vgpr17
	s_cbranch_execz .LBB68_58
; %bb.57:
	s_waitcnt vmcnt(0)
	v_lshlrev_b32_e32 v2, 1, v18
	v_lshl_or_b32 v18, v25, 9, v2
	s_and_b32 s5, s5, 0xffff
	s_mov_b32 s7, 0x20000
	s_movk_i32 s6, 0x4000
	s_movk_i32 s0, 0x80
	buffer_load_dwordx4 v[2:5], v18, s[4:7], 0 offen
	buffer_load_dwordx4 v[6:9], v18, s[4:7], 0 offen offset:256
	buffer_load_dwordx4 v[10:13], v18, s[4:7], s0 offen
	buffer_load_dwordx4 v[14:17], v18, s[4:7], s0 offen offset:256
.LBB68_58:
	ds_read_b64 v[20:21], v27 offset:57344
	v_add_u32_e32 v18, 0x6000, v26
	ds_read2_b64 v[36:39], v18 offset1:16
	ds_read_b64 v[44:45], v28 offset:57344
	ds_read_b64 v[28:29], v29 offset:57344
	ds_read_b64 v[56:57], v30 offset:57344
	ds_read2st64_b64 v[40:43], v26 offset0:52 offset1:56
	s_mov_b32 s0, 0x1000504
	s_mov_b32 s1, 0x3020706
	s_waitcnt lgkmcnt(4)
	v_mfma_f32_16x16x16_bf16 a[0:3], v[20:21], v[36:37], a[0:3]
	v_mfma_f32_16x16x16_bf16 a[4:7], v[20:21], v[38:39], a[4:7]
	ds_read2_b64 v[36:39], v18 offset0:32 offset1:48
	v_and_b32_e32 v18, 6, v0
	v_xor_b32_e32 v25, v25, v18
	s_waitcnt lgkmcnt(0)
	v_mfma_f32_16x16x16_bf16 a[8:11], v[20:21], v[36:37], a[8:11]
	v_lshlrev_b32_e32 v25, 2, v25
	v_and_b32_e32 v0, 1, v0
	v_xor_b32_e32 v35, 0x440, v25
	v_mfma_f32_16x16x16_bf16 a[12:15], v[20:21], v[38:39], a[12:15]
	ds_read2st64_b64 v[36:39], v31 offset0:52 offset1:56
	ds_read2st64_b64 v[48:51], v32 offset0:52 offset1:56
	;; [unrolled: 1-line block ×3, first 2 shown]
	v_cmp_eq_u32_e32 vcc, 0, v0
	ds_read_b64 v[20:21], v26 offset:30720
	ds_read_b64 v[26:27], v31 offset:30720
	;; [unrolled: 1-line block ×4, first 2 shown]
	v_mfma_f32_16x16x16_bf16 a[0:3], v[44:45], v[40:41], a[0:3]
	v_cndmask_b32_e32 v0, v35, v25, vcc
	v_lshl_or_b32 v0, v18, 10, v0
	s_waitcnt vmcnt(0)
	v_perm_b32 v18, v2, v6, s0
	s_waitcnt lgkmcnt(6)
	v_mfma_f32_16x16x16_bf16 a[4:7], v[44:45], v[36:37], a[4:7]
	v_perm_b32 v25, v10, v14, s0
	ds_write2st64_b32 v0, v18, v25 offset0:128 offset1:160
	v_xor_b32_e32 v18, 8, v0
	s_waitcnt lgkmcnt(6)
	v_mfma_f32_16x16x16_bf16 a[8:11], v[44:45], v[48:49], a[8:11]
	v_perm_b32 v2, v2, v6, s1
	v_perm_b32 v6, v10, v14, s1
	v_add_u32_e32 v10, 0x80, v18
	s_waitcnt lgkmcnt(5)
	v_mfma_f32_16x16x16_bf16 a[12:15], v[44:45], v[52:53], a[12:15]
	ds_write2st64_b32 v10, v2, v6 offset0:128 offset1:160
	v_xor_b32_e32 v2, 16, v0
	v_perm_b32 v6, v3, v7, s0
	v_mfma_f32_16x16x16_bf16 a[0:3], v[28:29], v[42:43], a[0:3]
	v_perm_b32 v10, v11, v15, s0
	ds_write2st64_b32 v2, v6, v10 offset0:129 offset1:161
	v_xor_b32_e32 v2, 24, v0
	v_mfma_f32_16x16x16_bf16 a[4:7], v[28:29], v[38:39], a[4:7]
	v_perm_b32 v3, v3, v7, s1
	v_perm_b32 v6, v11, v15, s1
	v_add_u32_e32 v2, 0x80, v2
	v_mfma_f32_16x16x16_bf16 a[16:19], v[28:29], v[50:51], a[8:11]
	ds_write2st64_b32 v2, v3, v6 offset0:129 offset1:161
	v_xor_b32_e32 v2, 32, v0
	v_perm_b32 v3, v4, v8, s0
	v_mfma_f32_16x16x16_bf16 a[20:23], v[28:29], v[54:55], a[12:15]
	v_perm_b32 v6, v12, v16, s0
	ds_write2st64_b32 v2, v3, v6 offset0:130 offset1:162
	v_xor_b32_e32 v2, 40, v0
	s_waitcnt lgkmcnt(8)
	v_mfma_f32_16x16x16_bf16 a[12:15], v[56:57], v[20:21], a[0:3]
	v_perm_b32 v3, v4, v8, s1
	v_perm_b32 v4, v12, v16, s1
	v_add_u32_e32 v2, 0x80, v2
	s_waitcnt lgkmcnt(7)
	v_mfma_f32_16x16x16_bf16 a[8:11], v[56:57], v[26:27], a[4:7]
	ds_write2st64_b32 v2, v3, v4 offset0:130 offset1:162
	v_xor_b32_e32 v2, 48, v0
	v_perm_b32 v3, v5, v9, s0
	s_waitcnt lgkmcnt(7)
	v_mfma_f32_16x16x16_bf16 a[4:7], v[56:57], v[30:31], a[16:19]
	v_perm_b32 v4, v13, v17, s0
	v_xor_b32_e32 v0, 56, v0
	v_and_or_b32 v18, v34, 12, v1
	s_waitcnt lgkmcnt(6)
	v_mfma_f32_16x16x16_bf16 a[0:3], v[56:57], v[32:33], a[20:23]
	ds_write2st64_b32 v2, v3, v4 offset0:131 offset1:163
	v_perm_b32 v2, v5, v9, s1
	v_perm_b32 v3, v13, v17, s1
	v_add_u32_e32 v0, 0x80, v0
	v_cmp_gt_i32_e32 vcc, s27, v18
	v_mov_b32_e32 v14, 0
	v_mov_b32_e32 v16, 0
	ds_write2st64_b32 v0, v2, v3 offset0:131 offset1:163
	s_and_saveexec_b64 s[0:1], vcc
	s_cbranch_execz .LBB68_60
; %bb.59:
	v_add_u32_e32 v0, s26, v18
	v_ashrrev_i32_e32 v1, 31, v0
	v_mul_lo_u32 v2, v1, s28
	v_mul_lo_u32 v3, v0, s29
	v_mad_u64_u32 v[0:1], s[2:3], v0, s28, 0
	v_add3_u32 v1, v1, v3, v2
	v_lshl_add_u64 v[0:1], v[0:1], 2, s[10:11]
	global_load_dword v0, v[0:1], off
	s_waitcnt vmcnt(0)
	v_sub_f32_e32 v0, s12, v0
	v_mul_f32_e32 v0, 0x3fb8aa3b, v0
	v_exp_f32_e32 v16, v0
.LBB68_60:
	s_or_b64 exec, exec, s[0:1]
	v_or_b32_e32 v8, 1, v18
	v_cmp_gt_i32_e64 s[0:1], s27, v8
	s_and_saveexec_b64 s[2:3], s[0:1]
	s_cbranch_execz .LBB68_62
; %bb.61:
	v_add_u32_e32 v0, s26, v8
	v_ashrrev_i32_e32 v1, 31, v0
	v_mul_lo_u32 v2, v1, s28
	v_mul_lo_u32 v3, v0, s29
	v_mad_u64_u32 v[0:1], s[4:5], v0, s28, 0
	v_add3_u32 v1, v1, v3, v2
	v_lshl_add_u64 v[0:1], v[0:1], 2, s[10:11]
	global_load_dword v0, v[0:1], off
	s_waitcnt vmcnt(0)
	v_sub_f32_e32 v0, s12, v0
	v_mul_f32_e32 v0, 0x3fb8aa3b, v0
	v_exp_f32_e32 v14, v0
.LBB68_62:
	s_or_b64 exec, exec, s[2:3]
	v_or_b32_e32 v10, 2, v18
	v_cmp_gt_i32_e64 s[2:3], s27, v10
	v_mov_b32_e32 v15, 0
	v_mov_b32_e32 v17, 0
	s_and_saveexec_b64 s[4:5], s[2:3]
	s_cbranch_execz .LBB68_64
; %bb.63:
	v_add_u32_e32 v0, s26, v10
	v_ashrrev_i32_e32 v1, 31, v0
	v_mul_lo_u32 v2, v1, s28
	v_mul_lo_u32 v3, v0, s29
	v_mad_u64_u32 v[0:1], s[6:7], v0, s28, 0
	v_add3_u32 v1, v1, v3, v2
	v_lshl_add_u64 v[0:1], v[0:1], 2, s[10:11]
	global_load_dword v0, v[0:1], off
	s_waitcnt vmcnt(0)
	v_sub_f32_e32 v0, s12, v0
	v_mul_f32_e32 v0, 0x3fb8aa3b, v0
	v_exp_f32_e32 v17, v0
.LBB68_64:
	s_or_b64 exec, exec, s[4:5]
	v_or_b32_e32 v12, 3, v18
	v_cmp_gt_i32_e64 s[4:5], s27, v12
	s_and_saveexec_b64 s[6:7], s[4:5]
	s_cbranch_execz .LBB68_66
; %bb.65:
	v_add_u32_e32 v0, s26, v12
	v_ashrrev_i32_e32 v1, 31, v0
	v_mul_lo_u32 v2, v1, s28
	v_mul_lo_u32 v3, v0, s29
	v_mad_u64_u32 v[0:1], s[14:15], v0, s28, 0
	v_add3_u32 v1, v1, v3, v2
	v_lshl_add_u64 v[0:1], v[0:1], 2, s[10:11]
	global_load_dword v0, v[0:1], off
	s_waitcnt vmcnt(0)
	v_sub_f32_e32 v0, s12, v0
	v_mul_f32_e32 v0, 0x3fb8aa3b, v0
	v_exp_f32_e32 v15, v0
.LBB68_66:
	s_or_b64 exec, exec, s[6:7]
	s_add_u32 s6, s8, s20
	v_accvgpr_read_b32 v0, a12
	s_addc_u32 s7, s9, s21
	v_ashrrev_i32_e32 v47, 31, v46
	v_accvgpr_read_b32 v1, a13
	v_accvgpr_read_b32 v2, a14
	;; [unrolled: 1-line block ×3, first 2 shown]
	v_lshl_add_u64 v[4:5], v[46:47], 1, s[6:7]
	v_mov_b32_e32 v9, 0
	v_lshlrev_b32_e32 v6, 8, v18
	v_mov_b32_e32 v7, 0
	s_and_saveexec_b64 s[6:7], vcc
	s_cbranch_execz .LBB68_68
; %bb.67:
	v_mov_b32_e32 v7, 0
	v_lshl_add_u64 v[20:21], v[4:5], 0, v[6:7]
	global_load_ushort v7, v[20:21], off
	s_waitcnt vmcnt(0)
	v_lshlrev_b32_e32 v7, 16, v7
	v_sub_f32_e32 v0, v7, v0
	v_mul_f32_e32 v0, v16, v0
	v_lshrrev_b32_e32 v7, 16, v0
.LBB68_68:
	s_or_b64 exec, exec, s[6:7]
	v_lshlrev_b32_e32 v8, 8, v8
	s_and_saveexec_b64 s[6:7], s[0:1]
	s_cbranch_execz .LBB68_70
; %bb.69:
	v_mov_b32_e32 v9, 0
	v_lshl_add_u64 v[20:21], v[4:5], 0, v[8:9]
	global_load_ushort v0, v[20:21], off
	s_waitcnt vmcnt(0)
	v_lshlrev_b32_e32 v0, 16, v0
	v_sub_f32_e32 v0, v0, v1
	v_mul_f32_e32 v0, v14, v0
	v_lshrrev_b32_e32 v9, 16, v0
.LBB68_70:
	s_or_b64 exec, exec, s[6:7]
	v_mov_b32_e32 v13, 0
	v_lshlrev_b32_e32 v10, 8, v10
	v_mov_b32_e32 v11, 0
	s_and_saveexec_b64 s[6:7], s[2:3]
	s_cbranch_execz .LBB68_72
; %bb.71:
	v_mov_b32_e32 v11, 0
	v_lshl_add_u64 v[0:1], v[4:5], 0, v[10:11]
	global_load_ushort v0, v[0:1], off
	s_waitcnt vmcnt(0)
	v_lshlrev_b32_e32 v0, 16, v0
	v_sub_f32_e32 v0, v0, v2
	v_mul_f32_e32 v0, v17, v0
	v_lshrrev_b32_e32 v11, 16, v0
.LBB68_72:
	s_or_b64 exec, exec, s[6:7]
	v_lshlrev_b32_e32 v12, 8, v12
	s_and_saveexec_b64 s[6:7], s[4:5]
	s_cbranch_execz .LBB68_74
; %bb.73:
	v_mov_b32_e32 v13, 0
	v_lshl_add_u64 v[0:1], v[4:5], 0, v[12:13]
	global_load_ushort v0, v[0:1], off
	s_waitcnt vmcnt(0)
	v_lshlrev_b32_e32 v0, 16, v0
	v_sub_f32_e32 v0, v0, v3
	v_mul_f32_e32 v0, v15, v0
	v_lshrrev_b32_e32 v13, 16, v0
.LBB68_74:
	s_or_b64 exec, exec, s[6:7]
	v_lshlrev_b32_e32 v18, 6, v18
	s_mov_b32 s6, 0x5040100
	v_perm_b32 v20, v9, v7, s6
	v_or_b32_e32 v7, v18, v24
	v_accvgpr_read_b32 v0, a8
	v_perm_b32 v21, v13, v11, s6
	v_lshlrev_b32_e32 v7, 1, v7
	v_accvgpr_read_b32 v1, a9
	v_accvgpr_read_b32 v2, a10
	;; [unrolled: 1-line block ×3, first 2 shown]
	ds_write_b64 v7, v[20:21] offset:24576
	v_mov_b32_e32 v9, 0
	v_mov_b32_e32 v7, 0
	s_and_saveexec_b64 s[6:7], vcc
	s_cbranch_execz .LBB68_76
; %bb.75:
	v_mov_b32_e32 v7, 0
	v_lshl_add_u64 v[20:21], v[4:5], 0, v[6:7]
	global_load_ushort v7, v[20:21], off offset:32
	s_waitcnt vmcnt(0)
	v_lshlrev_b32_e32 v7, 16, v7
	v_sub_f32_e32 v0, v7, v0
	v_mul_f32_e32 v0, v16, v0
	v_lshrrev_b32_e32 v7, 16, v0
.LBB68_76:
	s_or_b64 exec, exec, s[6:7]
	s_and_saveexec_b64 s[6:7], s[0:1]
	s_cbranch_execz .LBB68_78
; %bb.77:
	v_mov_b32_e32 v9, 0
	v_lshl_add_u64 v[20:21], v[4:5], 0, v[8:9]
	global_load_ushort v0, v[20:21], off offset:32
	s_waitcnt vmcnt(0)
	v_lshlrev_b32_e32 v0, 16, v0
	v_sub_f32_e32 v0, v0, v1
	v_mul_f32_e32 v0, v14, v0
	v_lshrrev_b32_e32 v9, 16, v0
.LBB68_78:
	s_or_b64 exec, exec, s[6:7]
	v_mov_b32_e32 v13, 0
	v_mov_b32_e32 v11, 0
	s_and_saveexec_b64 s[6:7], s[2:3]
	s_cbranch_execz .LBB68_80
; %bb.79:
	v_mov_b32_e32 v11, 0
	v_lshl_add_u64 v[0:1], v[4:5], 0, v[10:11]
	global_load_ushort v0, v[0:1], off offset:32
	s_waitcnt vmcnt(0)
	v_lshlrev_b32_e32 v0, 16, v0
	v_sub_f32_e32 v0, v0, v2
	v_mul_f32_e32 v0, v17, v0
	v_lshrrev_b32_e32 v11, 16, v0
.LBB68_80:
	s_or_b64 exec, exec, s[6:7]
	s_and_saveexec_b64 s[6:7], s[4:5]
	s_cbranch_execz .LBB68_82
; %bb.81:
	v_mov_b32_e32 v13, 0
	v_lshl_add_u64 v[0:1], v[4:5], 0, v[12:13]
	global_load_ushort v0, v[0:1], off offset:32
	s_waitcnt vmcnt(0)
	v_lshlrev_b32_e32 v0, 16, v0
	v_sub_f32_e32 v0, v0, v3
	v_mul_f32_e32 v0, v15, v0
	v_lshrrev_b32_e32 v13, 16, v0
.LBB68_82:
	s_or_b64 exec, exec, s[6:7]
	s_mov_b32 s6, 0x5040100
	v_perm_b32 v20, v9, v7, s6
	v_or_b32_e32 v7, v18, v23
	v_accvgpr_read_b32 v0, a4
	v_perm_b32 v21, v13, v11, s6
	v_lshlrev_b32_e32 v7, 1, v7
	v_accvgpr_read_b32 v1, a5
	v_accvgpr_read_b32 v2, a6
	;; [unrolled: 1-line block ×3, first 2 shown]
	ds_write_b64 v7, v[20:21] offset:24576
	v_mov_b32_e32 v9, 0
	v_mov_b32_e32 v7, 0
	s_and_saveexec_b64 s[6:7], vcc
	s_cbranch_execz .LBB68_84
; %bb.83:
	v_mov_b32_e32 v7, 0
	v_lshl_add_u64 v[20:21], v[4:5], 0, v[6:7]
	global_load_ushort v7, v[20:21], off offset:64
	s_waitcnt vmcnt(0)
	v_lshlrev_b32_e32 v7, 16, v7
	v_sub_f32_e32 v0, v7, v0
	v_mul_f32_e32 v0, v16, v0
	v_lshrrev_b32_e32 v7, 16, v0
.LBB68_84:
	s_or_b64 exec, exec, s[6:7]
	s_and_saveexec_b64 s[6:7], s[0:1]
	s_cbranch_execz .LBB68_86
; %bb.85:
	v_mov_b32_e32 v9, 0
	v_lshl_add_u64 v[20:21], v[4:5], 0, v[8:9]
	global_load_ushort v0, v[20:21], off offset:64
	s_waitcnt vmcnt(0)
	v_lshlrev_b32_e32 v0, 16, v0
	v_sub_f32_e32 v0, v0, v1
	v_mul_f32_e32 v0, v14, v0
	v_lshrrev_b32_e32 v9, 16, v0
.LBB68_86:
	s_or_b64 exec, exec, s[6:7]
	v_mov_b32_e32 v13, 0
	v_mov_b32_e32 v11, 0
	s_and_saveexec_b64 s[6:7], s[2:3]
	s_cbranch_execz .LBB68_88
; %bb.87:
	v_mov_b32_e32 v11, 0
	v_lshl_add_u64 v[0:1], v[4:5], 0, v[10:11]
	global_load_ushort v0, v[0:1], off offset:64
	s_waitcnt vmcnt(0)
	v_lshlrev_b32_e32 v0, 16, v0
	v_sub_f32_e32 v0, v0, v2
	v_mul_f32_e32 v0, v17, v0
	v_lshrrev_b32_e32 v11, 16, v0
.LBB68_88:
	s_or_b64 exec, exec, s[6:7]
	s_and_saveexec_b64 s[6:7], s[4:5]
	s_cbranch_execz .LBB68_90
; %bb.89:
	v_mov_b32_e32 v13, 0
	v_lshl_add_u64 v[0:1], v[4:5], 0, v[12:13]
	global_load_ushort v0, v[0:1], off offset:64
	s_waitcnt vmcnt(0)
	v_lshlrev_b32_e32 v0, 16, v0
	v_sub_f32_e32 v0, v0, v3
	v_mul_f32_e32 v0, v15, v0
	v_lshrrev_b32_e32 v13, 16, v0
.LBB68_90:
	s_or_b64 exec, exec, s[6:7]
	s_mov_b32 s6, 0x5040100
	v_perm_b32 v20, v9, v7, s6
	v_or_b32_e32 v7, v18, v22
	v_accvgpr_read_b32 v0, a0
	v_perm_b32 v21, v13, v11, s6
	v_lshlrev_b32_e32 v7, 1, v7
	v_accvgpr_read_b32 v1, a1
	v_accvgpr_read_b32 v2, a2
	;; [unrolled: 1-line block ×3, first 2 shown]
	ds_write_b64 v7, v[20:21] offset:24576
	v_mov_b32_e32 v9, 0
	v_mov_b32_e32 v7, 0
	s_and_saveexec_b64 s[6:7], vcc
	s_cbranch_execz .LBB68_92
; %bb.91:
	v_mov_b32_e32 v7, 0
	v_lshl_add_u64 v[6:7], v[4:5], 0, v[6:7]
	global_load_ushort v6, v[6:7], off offset:96
	s_waitcnt vmcnt(0)
	v_lshlrev_b32_e32 v6, 16, v6
	v_sub_f32_e32 v0, v6, v0
	v_mul_f32_e32 v0, v16, v0
	v_lshrrev_b32_e32 v7, 16, v0
.LBB68_92:
	s_or_b64 exec, exec, s[6:7]
	s_and_saveexec_b64 s[6:7], s[0:1]
	s_cbranch_execz .LBB68_94
; %bb.93:
	v_mov_b32_e32 v9, 0
	v_lshl_add_u64 v[8:9], v[4:5], 0, v[8:9]
	global_load_ushort v0, v[8:9], off offset:96
	s_waitcnt vmcnt(0)
	v_lshlrev_b32_e32 v0, 16, v0
	v_sub_f32_e32 v0, v0, v1
	v_mul_f32_e32 v0, v14, v0
	v_lshrrev_b32_e32 v9, 16, v0
.LBB68_94:
	s_or_b64 exec, exec, s[6:7]
	v_mov_b32_e32 v0, 0
	v_mov_b32_e32 v1, 0
	s_and_saveexec_b64 s[0:1], s[2:3]
	s_cbranch_execz .LBB68_96
; %bb.95:
	v_mov_b32_e32 v11, 0
	v_lshl_add_u64 v[10:11], v[4:5], 0, v[10:11]
	global_load_ushort v1, v[10:11], off offset:96
	s_waitcnt vmcnt(0)
	v_lshlrev_b32_e32 v1, 16, v1
	v_sub_f32_e32 v1, v1, v2
	v_mul_f32_e32 v1, v17, v1
	v_lshrrev_b32_e32 v1, 16, v1
.LBB68_96:
	s_or_b64 exec, exec, s[0:1]
	s_and_saveexec_b64 s[0:1], s[4:5]
	s_cbranch_execz .LBB68_98
; %bb.97:
	v_mov_b32_e32 v13, 0
	v_lshl_add_u64 v[4:5], v[4:5], 0, v[12:13]
	global_load_ushort v0, v[4:5], off offset:96
	s_waitcnt vmcnt(0)
	v_lshlrev_b32_e32 v0, 16, v0
	v_sub_f32_e32 v0, v0, v3
	v_mul_f32_e32 v0, v15, v0
	v_lshrrev_b32_e32 v0, 16, v0
.LBB68_98:
	s_or_b64 exec, exec, s[0:1]
	s_mov_b32 s0, 0x5040100
	v_or_b32_e32 v2, v18, v19
	v_perm_b32 v1, v0, v1, s0
	v_perm_b32 v0, v9, v7, s0
	v_lshlrev_b32_e32 v2, 1, v2
	ds_write_b64 v2, v[0:1] offset:24576
	s_waitcnt lgkmcnt(0)
	s_barrier
.LBB68_99:
	s_endpgm
	.section	.rodata,"a",@progbits
	.p2align	6, 0x0
	.amdhsa_kernel _ZN12_GLOBAL__N_139chunk_gated_delta_rule_fwd_h_hip_kernelILi64ELb1ELb0ELb0ELb1ELb0ELb1ELb1ELb1EEEvPK12hip_bfloat16S3_S3_PKfS5_PKvPS1_S8_PvPKiSB_iiiiilll
		.amdhsa_group_segment_fixed_size 65536
		.amdhsa_private_segment_fixed_size 0
		.amdhsa_kernarg_size 136
		.amdhsa_user_sgpr_count 2
		.amdhsa_user_sgpr_dispatch_ptr 0
		.amdhsa_user_sgpr_queue_ptr 0
		.amdhsa_user_sgpr_kernarg_segment_ptr 1
		.amdhsa_user_sgpr_dispatch_id 0
		.amdhsa_user_sgpr_kernarg_preload_length 0
		.amdhsa_user_sgpr_kernarg_preload_offset 0
		.amdhsa_user_sgpr_private_segment_size 0
		.amdhsa_uses_dynamic_stack 0
		.amdhsa_enable_private_segment 0
		.amdhsa_system_sgpr_workgroup_id_x 1
		.amdhsa_system_sgpr_workgroup_id_y 1
		.amdhsa_system_sgpr_workgroup_id_z 0
		.amdhsa_system_sgpr_workgroup_info 0
		.amdhsa_system_vgpr_workitem_id 0
		.amdhsa_next_free_vgpr 232
		.amdhsa_next_free_sgpr 63
		.amdhsa_accum_offset 192
		.amdhsa_reserve_vcc 1
		.amdhsa_float_round_mode_32 0
		.amdhsa_float_round_mode_16_64 0
		.amdhsa_float_denorm_mode_32 3
		.amdhsa_float_denorm_mode_16_64 3
		.amdhsa_dx10_clamp 1
		.amdhsa_ieee_mode 1
		.amdhsa_fp16_overflow 0
		.amdhsa_tg_split 0
		.amdhsa_exception_fp_ieee_invalid_op 0
		.amdhsa_exception_fp_denorm_src 0
		.amdhsa_exception_fp_ieee_div_zero 0
		.amdhsa_exception_fp_ieee_overflow 0
		.amdhsa_exception_fp_ieee_underflow 0
		.amdhsa_exception_fp_ieee_inexact 0
		.amdhsa_exception_int_div_zero 0
	.end_amdhsa_kernel
	.section	.text._ZN12_GLOBAL__N_139chunk_gated_delta_rule_fwd_h_hip_kernelILi64ELb1ELb0ELb0ELb1ELb0ELb1ELb1ELb1EEEvPK12hip_bfloat16S3_S3_PKfS5_PKvPS1_S8_PvPKiSB_iiiiilll,"axG",@progbits,_ZN12_GLOBAL__N_139chunk_gated_delta_rule_fwd_h_hip_kernelILi64ELb1ELb0ELb0ELb1ELb0ELb1ELb1ELb1EEEvPK12hip_bfloat16S3_S3_PKfS5_PKvPS1_S8_PvPKiSB_iiiiilll,comdat
.Lfunc_end68:
	.size	_ZN12_GLOBAL__N_139chunk_gated_delta_rule_fwd_h_hip_kernelILi64ELb1ELb0ELb0ELb1ELb0ELb1ELb1ELb1EEEvPK12hip_bfloat16S3_S3_PKfS5_PKvPS1_S8_PvPKiSB_iiiiilll, .Lfunc_end68-_ZN12_GLOBAL__N_139chunk_gated_delta_rule_fwd_h_hip_kernelILi64ELb1ELb0ELb0ELb1ELb0ELb1ELb1ELb1EEEvPK12hip_bfloat16S3_S3_PKfS5_PKvPS1_S8_PvPKiSB_iiiiilll
                                        ; -- End function
	.section	.AMDGPU.csdata,"",@progbits
; Kernel info:
; codeLenInByte = 11164
; NumSgprs: 69
; NumVgprs: 190
; NumAgprs: 40
; TotalNumVgprs: 232
; ScratchSize: 0
; MemoryBound: 0
; FloatMode: 240
; IeeeMode: 1
; LDSByteSize: 65536 bytes/workgroup (compile time only)
; SGPRBlocks: 8
; VGPRBlocks: 28
; NumSGPRsForWavesPerEU: 69
; NumVGPRsForWavesPerEU: 232
; AccumOffset: 192
; Occupancy: 1
; WaveLimiterHint : 1
; COMPUTE_PGM_RSRC2:SCRATCH_EN: 0
; COMPUTE_PGM_RSRC2:USER_SGPR: 2
; COMPUTE_PGM_RSRC2:TRAP_HANDLER: 0
; COMPUTE_PGM_RSRC2:TGID_X_EN: 1
; COMPUTE_PGM_RSRC2:TGID_Y_EN: 1
; COMPUTE_PGM_RSRC2:TGID_Z_EN: 0
; COMPUTE_PGM_RSRC2:TIDIG_COMP_CNT: 0
; COMPUTE_PGM_RSRC3_GFX90A:ACCUM_OFFSET: 47
; COMPUTE_PGM_RSRC3_GFX90A:TG_SPLIT: 0
	.section	.text._ZN12_GLOBAL__N_139chunk_gated_delta_rule_fwd_h_hip_kernelILi64ELb0ELb1ELb1ELb1ELb0ELb1ELb1ELb1EEEvPK12hip_bfloat16S3_S3_PKfS5_PKvPS1_S8_PvPKiSB_iiiiilll,"axG",@progbits,_ZN12_GLOBAL__N_139chunk_gated_delta_rule_fwd_h_hip_kernelILi64ELb0ELb1ELb1ELb1ELb0ELb1ELb1ELb1EEEvPK12hip_bfloat16S3_S3_PKfS5_PKvPS1_S8_PvPKiSB_iiiiilll,comdat
	.globl	_ZN12_GLOBAL__N_139chunk_gated_delta_rule_fwd_h_hip_kernelILi64ELb0ELb1ELb1ELb1ELb0ELb1ELb1ELb1EEEvPK12hip_bfloat16S3_S3_PKfS5_PKvPS1_S8_PvPKiSB_iiiiilll ; -- Begin function _ZN12_GLOBAL__N_139chunk_gated_delta_rule_fwd_h_hip_kernelILi64ELb0ELb1ELb1ELb1ELb0ELb1ELb1ELb1EEEvPK12hip_bfloat16S3_S3_PKfS5_PKvPS1_S8_PvPKiSB_iiiiilll
	.p2align	8
	.type	_ZN12_GLOBAL__N_139chunk_gated_delta_rule_fwd_h_hip_kernelILi64ELb0ELb1ELb1ELb1ELb0ELb1ELb1ELb1EEEvPK12hip_bfloat16S3_S3_PKfS5_PKvPS1_S8_PvPKiSB_iiiiilll,@function
_ZN12_GLOBAL__N_139chunk_gated_delta_rule_fwd_h_hip_kernelILi64ELb0ELb1ELb1ELb1ELb0ELb1ELb1ELb1EEEvPK12hip_bfloat16S3_S3_PKfS5_PKvPS1_S8_PvPKiSB_iiiiilll: ; @_ZN12_GLOBAL__N_139chunk_gated_delta_rule_fwd_h_hip_kernelILi64ELb0ELb1ELb1ELb1ELb0ELb1ELb1ELb1EEEvPK12hip_bfloat16S3_S3_PKfS5_PKvPS1_S8_PvPKiSB_iiiiilll
; %bb.0:
	s_load_dwordx4 s[20:23], s[0:1], 0x5c
	s_load_dwordx2 s[24:25], s[0:1], 0x50
	s_abs_i32 s27, s3
	s_ashr_i32 s26, s3, 31
	s_load_dwordx8 s[4:11], s[0:1], 0x30
	s_load_dwordx8 s[12:19], s[0:1], 0x0
	s_load_dwordx2 s[40:41], s[0:1], 0x20
	s_waitcnt lgkmcnt(0)
	s_abs_i32 s30, s21
	v_cvt_f32_u32_e32 v1, s30
	s_sub_i32 s28, 0, s30
	s_ashr_i32 s48, s21, 31
	s_xor_b32 s26, s26, s48
	v_rcp_iflag_f32_e32 v1, v1
	v_lshrrev_b32_e32 v45, 6, v0
	v_bfe_u32 v88, v0, 4, 2
	v_lshlrev_b32_e32 v86, 4, v45
	v_mul_f32_e32 v1, 0x4f7ffffe, v1
	v_cvt_u32_f32_e32 v1, v1
	v_lshlrev_b32_e32 v2, 2, v88
	v_and_b32_e32 v87, 63, v0
	s_mov_b32 s33, s21
	v_readfirstlane_b32 s29, v1
	s_mul_i32 s28, s28, s29
	s_mul_hi_u32 s28, s29, s28
	s_add_i32 s29, s29, s28
	s_mul_hi_u32 s28, s27, s29
	s_mul_i32 s29, s28, s30
	s_sub_i32 s27, s27, s29
	s_add_i32 s29, s28, 1
	s_sub_i32 s31, s27, s30
	s_cmp_ge_u32 s27, s30
	s_cselect_b32 s28, s29, s28
	s_cselect_b32 s27, s31, s27
	s_add_i32 s29, s28, 1
	s_cmp_ge_u32 s27, s30
	s_cselect_b32 s27, s29, s28
	s_xor_b32 s27, s27, s26
	s_sub_i32 s34, s27, s26
	s_mul_i32 s26, s34, s21
	s_ashr_i32 s35, s34, 31
	s_sub_i32 s49, s3, s26
	s_lshl_b64 s[26:27], s[34:35], 2
	s_add_u32 s10, s10, s26
	s_addc_u32 s11, s11, s27
	s_add_u32 s28, s24, s26
	s_addc_u32 s29, s25, s27
	s_abs_i32 s3, s22
	v_cvt_f32_u32_e32 v1, s3
	s_load_dwordx2 s[42:43], s[10:11], 0x0
	s_nop 0
	s_load_dwordx2 s[10:11], s[0:1], 0x80
	s_load_dwordx4 s[24:27], s[0:1], 0x70
	s_sub_i32 s1, 0, s3
	v_rcp_iflag_f32_e32 v1, v1
	s_load_dword s54, s[28:29], 0x0
	s_waitcnt lgkmcnt(0)
	s_sub_i32 s58, s43, s42
	s_ashr_i32 s0, s58, 31
	v_mul_f32_e32 v1, 0x4f7ffffe, v1
	v_cvt_u32_f32_e32 v1, v1
	s_lshr_b32 s0, s0, 26
	s_add_i32 s0, s58, s0
	s_ashr_i32 s53, s0, 6
	v_readfirstlane_b32 s31, v1
	s_mul_i32 s1, s1, s31
	s_mul_hi_u32 s1, s31, s1
	s_add_i32 s31, s31, s1
	s_mul_hi_u32 s1, s30, s31
	s_mul_i32 s31, s1, s3
	s_ashr_i32 s0, s22, 31
	s_sub_i32 s30, s30, s31
	s_xor_b32 s0, s48, s0
	s_add_i32 s31, s1, 1
	s_sub_i32 s36, s30, s3
	s_cmp_ge_u32 s30, s3
	s_cselect_b32 s1, s31, s1
	s_cselect_b32 s30, s36, s30
	s_add_i32 s31, s1, 1
	s_cmp_ge_u32 s30, s3
	s_cselect_b32 s1, s31, s1
	s_xor_b32 s1, s1, s0
	s_sub_i32 s1, s1, s0
	s_abs_i32 s3, s1
	v_cvt_f32_u32_e32 v1, s3
	s_sub_i32 s29, 0, s3
	s_abs_i32 s28, s49
	s_xor_b32 s1, s49, s1
	v_rcp_iflag_f32_e32 v1, v1
	s_ashr_i32 s1, s1, 31
	s_mov_b32 s0, 0
	v_and_b32_e32 v89, 15, v0
	v_mul_f32_e32 v1, 0x4f7ffffe, v1
	v_cvt_u32_f32_e32 v1, v1
	s_mul_hi_i32 s55, s49, s20
	s_mul_i32 s56, s49, s20
	v_lshrrev_b32_e32 v91, 3, v87
	v_readfirstlane_b32 s30, v1
	s_mul_i32 s29, s29, s30
	s_mul_hi_u32 s29, s30, s29
	s_add_i32 s30, s30, s29
	s_mul_hi_u32 s29, s28, s30
	s_mul_i32 s30, s29, s3
	s_sub_i32 s28, s28, s30
	s_add_i32 s30, s29, 1
	s_sub_i32 s31, s28, s3
	s_cmp_ge_u32 s28, s3
	s_cselect_b32 s29, s30, s29
	s_cselect_b32 s28, s31, s28
	s_add_i32 s30, s29, 1
	s_cmp_ge_u32 s28, s3
	s_cselect_b32 s3, s30, s29
	s_xor_b32 s3, s3, s1
	s_sub_i32 s57, s3, s1
	v_or_b32_e32 v1, v2, v86
	s_lshl_b32 s2, s2, 6
	s_mov_b32 s1, s0
	v_or_b32_e32 v92, 64, v1
	s_cmp_lt_i32 s58, 64
	v_mov_b64_e32 v[54:55], s[0:1]
	v_lshlrev_b32_e32 v90, 3, v0
	s_mul_i32 s50, s34, s25
	s_mul_hi_u32 s51, s34, s24
	s_mul_i32 s52, s35, s24
	s_mul_i32 s24, s34, s24
	v_mov_b64_e32 v[56:57], s[0:1]
	v_mov_b64_e32 v[60:61], s[0:1]
	;; [unrolled: 1-line block ×15, first 2 shown]
	s_cbranch_scc1 .LBB69_17
; %bb.1:
	s_ashr_i32 s60, s49, 31
	s_ashr_i32 s1, s42, 31
	s_add_u32 s0, s56, s42
	s_addc_u32 s1, s55, s1
	s_lshl_b64 s[0:1], s[0:1], 8
	v_and_b32_e32 v94, 56, v90
	s_add_u32 s28, s14, s0
	v_lshl_or_b32 v93, v45, 3, v91
	v_lshlrev_b32_e32 v3, 1, v94
	s_addc_u32 s0, s15, s1
	v_lshl_or_b32 v95, v93, 8, v3
	s_and_b32 s29, s0, 0xffff
	s_mov_b32 s31, 0x20000
	s_movk_i32 s30, 0x4000
	s_movk_i32 s0, 0x80
	v_or_b32_e32 v96, 0x2000, v95
	buffer_load_dwordx4 v[4:7], v95, s[28:31], 0 offen
	buffer_load_dwordx4 v[8:11], v95, s[28:31], s0 offen
	;; [unrolled: 1-line block ×4, first 2 shown]
	v_lshlrev_b32_e32 v20, 3, v93
	v_and_or_b32 v22, v0, 7, v20
	v_and_b32_e32 v20, 0x78, v20
	v_lshlrev_b32_e32 v22, 4, v22
	v_xor_b32_e32 v97, v22, v20
	v_mul_lo_u32 v21, v93, s23
	v_or_b32_e32 v98, 0x1000, v97
	s_cmpk_eq_i32 s23, 0x80
	s_mov_b32 s59, s42
	v_xor_b32_e32 v20, 8, v97
	v_xor_b32_e32 v22, 8, v98
	s_cselect_b64 s[0:1], -1, 0
	s_cmpk_lg_i32 s23, 0x80
	s_waitcnt vmcnt(3)
	ds_write_b64 v97, v[4:5] offset:49152
	ds_write_b64 v20, v[6:7] offset:49152
	s_waitcnt vmcnt(2)
	ds_write_b64 v97, v[8:9] offset:57344
	ds_write_b64 v20, v[10:11] offset:57344
	;; [unrolled: 3-line block ×4, first 2 shown]
	v_lshl_add_u32 v4, v21, 1, v94
	s_cbranch_scc0 .LBB69_3
; %bb.2:
	v_lshlrev_b32_e32 v6, 1, v4
	v_add_lshl_u32 v5, v4, s23, 1
	s_lshl_b32 s30, s23, 7
	v_lshl_or_b32 v3, v93, 9, v3
	s_cbranch_execz .LBB69_4
	s_branch .LBB69_5
.LBB69_3:
                                        ; implicit-def: $vgpr5
                                        ; implicit-def: $vgpr6
                                        ; implicit-def: $sgpr30
	v_lshl_or_b32 v3, v93, 9, v3
.LBB69_4:
	v_or_b32_e32 v5, 0x100, v3
	s_movk_i32 s30, 0x4000
	v_mov_b32_e32 v6, v3
.LBB69_5:
	s_mul_i32 s25, s42, s22
	s_ashr_i32 s61, s57, 31
	s_mul_hi_i32 s3, s42, s22
	s_add_u32 s28, s25, s57
	s_addc_u32 s29, s3, s61
	s_lshl_b64 s[28:29], s[28:29], 8
	s_add_u32 s28, s12, s28
	s_addc_u32 s3, s13, s29
	s_and_b32 s29, s3, 0xffff
	s_movk_i32 s62, 0x80
	buffer_load_dwordx4 v[8:11], v6, s[28:31], 0 offen
	buffer_load_dwordx4 v[12:15], v6, s[28:31], s62 offen
	;; [unrolled: 1-line block ×4, first 2 shown]
	v_and_b32_e32 v5, 6, v0
	v_lshlrev_b32_e32 v6, 7, v1
	v_xor_b32_e32 v28, v93, v5
	v_and_b32_e32 v7, 1, v0
	v_lshl_or_b32 v31, v89, 3, v6
	v_lshlrev_b32_e32 v28, 2, v28
	v_lshlrev_b32_e32 v24, 2, v89
	v_or_b32_e32 v99, 0x4000, v31
	v_or_b32_e32 v100, 0x6000, v31
	v_xor_b32_e32 v31, 0x440, v28
	v_cmp_eq_u32_e32 vcc, 0, v7
	v_or_b32_e32 v26, 16, v89
	v_or_b32_e32 v27, 32, v89
	v_xor_b32_e32 v29, v1, v24
	v_xor_b32_e32 v30, v92, v24
	v_cndmask_b32_e32 v7, v31, v28, vcc
	s_add_i32 s3, s51, s50
	s_mov_b32 s63, 0x1000504
	v_lshl_or_b32 v32, v26, 3, v6
	v_lshlrev_b32_e32 v26, 8, v26
	v_lshl_or_b32 v33, v27, 3, v6
	v_lshlrev_b32_e32 v29, 1, v29
	v_lshlrev_b32_e32 v30, 1, v30
	v_lshl_or_b32 v5, v5, 10, v7
	s_add_i32 s25, s3, s52
	s_mul_i32 s3, s49, s27
	s_mul_hi_u32 s28, s49, s26
	s_mov_b32 s64, 0x3020706
	v_lshlrev_b32_e32 v25, 8, v89
	v_or_b32_e32 v103, 0x4000, v33
	v_or_b32_e32 v104, 0x6000, v33
	;; [unrolled: 1-line block ×4, first 2 shown]
	v_xor_b32_e32 v7, 8, v5
	v_xor_b32_e32 v26, 24, v5
	;; [unrolled: 1-line block ×4, first 2 shown]
	s_add_i32 s3, s28, s3
	s_mul_i32 s28, s60, s26
	v_or_b32_e32 v101, 0x4000, v32
	v_or_b32_e32 v102, 0x6000, v32
	;; [unrolled: 1-line block ×4, first 2 shown]
	v_xor_b32_e32 v25, 16, v5
	v_xor_b32_e32 v28, 32, v5
	;; [unrolled: 1-line block ×3, first 2 shown]
	v_add_u32_e32 v7, 0x80, v7
	v_add_u32_e32 v26, 0x80, v26
	;; [unrolled: 1-line block ×4, first 2 shown]
	s_add_i32 s29, s3, s28
	s_lshl_b64 s[36:37], s[24:25], 2
	s_mul_i32 s28, s49, s26
	s_add_u32 s3, s18, s36
	s_addc_u32 s25, s19, s37
	s_lshl_b64 s[28:29], s[28:29], 2
	s_add_u32 s44, s3, s28
	s_movk_i32 s3, 0xf8
	s_addc_u32 s45, s25, s29
	s_lshl_b32 s38, s23, 7
	v_mov_b32_e32 v79, 0
	s_movk_i32 s25, 0x100
	v_lshlrev_b32_e32 v78, 4, v89
	v_lshlrev_b32_e32 v27, 8, v27
	s_mov_b32 s66, 0
	s_movk_i32 s30, 0x4000
	v_or_b32_e32 v109, v27, v29
	v_or_b32_e32 v110, v27, v30
	v_add_u32_e32 v136, v86, v2
	s_movk_i32 s65, 0x3000
	v_mov_b32_e32 v146, 0x3fb8aa3b
	v_mov_b32_e32 v48, v79
	;; [unrolled: 1-line block ×8, first 2 shown]
	s_waitcnt vmcnt(1)
	v_perm_b32 v34, v8, v16, s63
	s_waitcnt vmcnt(0)
	v_perm_b32 v35, v12, v20, s63
	v_perm_b32 v8, v8, v16, s64
	;; [unrolled: 1-line block ×15, first 2 shown]
	ds_write2st64_b32 v5, v34, v35 offset0:128 offset1:160
	ds_write2st64_b32 v7, v8, v12 offset0:128 offset1:160
	ds_write2st64_b32 v25, v16, v20 offset0:129 offset1:161
	ds_write2st64_b32 v26, v9, v13 offset0:129 offset1:161
	ds_write2st64_b32 v28, v17, v21 offset0:130 offset1:162
	ds_write2st64_b32 v31, v10, v14 offset0:130 offset1:162
	ds_write2st64_b32 v32, v18, v22 offset0:131 offset1:163
	ds_write2st64_b32 v33, v11, v15 offset0:131 offset1:163
	v_or_b32_e32 v5, 48, v89
	v_lshl_or_b32 v7, v5, 3, v6
	v_lshlrev_b32_e32 v5, 8, v5
	v_or_b32_e32 v113, v5, v29
	v_or_b32_e32 v114, v5, v30
	;; [unrolled: 1-line block ×3, first 2 shown]
	v_lshlrev_b32_e32 v5, 3, v5
	v_lshrrev_b32_e32 v9, 5, v87
	v_and_or_b32 v9, v5, s3, v9
	v_lshlrev_b32_e32 v9, 4, v9
	v_lshlrev_b32_e32 v11, 11, v45
	v_and_b32_e32 v5, 0x78, v5
	v_or_b32_e32 v14, 32, v9
	v_and_b32_e32 v8, 0x1000, v11
	v_xor_b32_e32 v10, v9, v5
	v_lshrrev_b32_e32 v12, 1, v87
	v_xor_b32_e32 v14, v14, v5
	v_or_b32_e32 v10, v10, v8
	v_and_b32_e32 v12, 8, v12
	v_or_b32_e32 v14, v14, v8
	v_xor_b32_e32 v115, v10, v12
	v_lshlrev_b32_e32 v10, 8, v88
	v_xor_b32_e32 v117, v14, v12
	v_or_b32_e32 v14, 64, v9
	v_or_b32_e32 v9, 0x60, v9
	;; [unrolled: 1-line block ×3, first 2 shown]
	v_xor_b32_e32 v14, v14, v5
	v_xor_b32_e32 v5, v9, v5
	s_ashr_i32 s3, s2, 31
	v_lshlrev_b32_e32 v13, 1, v13
	v_or_b32_e32 v14, v14, v8
	v_or_b32_e32 v5, v5, v8
	s_lshl_b64 s[28:29], s[2:3], 8
	v_or_b32_e32 v116, 0x4000, v13
	v_or_b32_e32 v118, 0x4080, v13
	;; [unrolled: 1-line block ×4, first 2 shown]
	v_xor_b32_e32 v121, v14, v12
	v_xor_b32_e32 v122, v5, v12
	v_or_b32_e32 v123, 0x6000, v13
	v_or_b32_e32 v124, 0x6080, v13
	;; [unrolled: 1-line block ×4, first 2 shown]
	v_lshlrev_b32_e32 v12, 1, v4
	v_add_lshl_u32 v13, v4, s23, 1
	s_add_u32 s28, s4, s28
	v_lshlrev_b32_e32 v4, 1, v89
	v_or_b32_e32 v14, 0x100, v3
	v_lshrrev_b32_e32 v15, 4, v0
	s_addc_u32 s29, s5, s29
	v_or_b32_e32 v5, 1, v4
	v_lshlrev_b32_e32 v18, 2, v0
	v_xor_b32_e32 v16, v15, v4
	v_xor_b32_e32 v17, v5, v15
	v_lshl_add_u64 v[4:5], s[28:29], 0, v[78:79]
	v_lshlrev_b32_e32 v78, 8, v15
	v_lshrrev_b32_e32 v19, 1, v0
	v_and_or_b32 v10, v18, 60, v10
	v_cndmask_b32_e64 v133, v12, v3, s[0:1]
	v_cndmask_b32_e64 v134, v13, v14, s[0:1]
	v_mov_b32_e32 v3, 0xa000
	v_mov_b32_e32 v12, 0x8000
	v_cmp_gt_u32_e64 s[0:1], s25, v0
	v_lshl_or_b32 v127, v16, 3, v78
	v_and_b32_e32 v16, 8, v0
	v_and_b32_e32 v19, 24, v19
	v_lshlrev_b32_e32 v10, 1, v10
	v_cndmask_b32_e64 v3, v3, v12, s[0:1]
	v_lshlrev_b32_e32 v12, 3, v45
	v_or_b32_e32 v129, 0x6000, v10
	v_or_b32_e32 v130, 0x6080, v10
	;; [unrolled: 1-line block ×4, first 2 shown]
	v_mov_b32_e32 v10, 0x400
	v_cmp_eq_u32_e32 vcc, 0, v16
	v_xor_b32_e32 v13, v12, v19
	v_and_b32_e32 v15, 7, v0
	v_cndmask_b32_e64 v16, v10, 64, vcc
	v_or_b32_e32 v14, 0x440, v13
	v_lshl_or_b32 v128, v17, 3, v78
	v_lshlrev_b32_e32 v17, 3, v15
	v_or_b32_e32 v18, 32, v19
	v_or_b32_e32 v20, 0x60, v19
	v_cndmask_b32_e32 v14, v14, v13, vcc
	v_or3_b32 v13, v11, v16, v13
	v_lshlrev_b32_e32 v15, 7, v15
	v_xor_b32_e32 v18, v12, v18
	v_xor_b32_e32 v13, v13, v17
	;; [unrolled: 1-line block ×3, first 2 shown]
	v_or_b32_e32 v21, 0x440, v18
	v_or_b32_e32 v135, v13, v15
	v_xor_b32_e32 v13, 0x440, v12
	v_cndmask_b32_e32 v18, v21, v18, vcc
	v_cndmask_b32_e32 v12, v13, v12, vcc
	v_or_b32_e32 v111, 0x4000, v7
	v_or_b32_e32 v112, 0x6000, v7
	v_lshrrev_b32_e32 v7, 2, v87
	v_or_b32_e32 v8, s2, v89
	v_or_b32_e32 v14, v14, v11
	;; [unrolled: 1-line block ×4, first 2 shown]
	v_and_b32_e32 v7, 12, v7
	v_ashrrev_i32_e32 v9, 31, v8
	v_xor_b32_e32 v14, v14, v17
	v_xor_b32_e32 v18, v18, v17
	;; [unrolled: 1-line block ×3, first 2 shown]
	v_or_b32_e32 v10, v86, v7
	v_add_u32_e32 v19, v3, v14
	v_add_u32_e32 v21, v3, v18
	v_add_u32_e32 v13, v3, v11
	v_or3_b32 v12, v86, v7, 64
	v_add_u32_e32 v7, 0xa000, v14
	v_add_u32_e32 v14, 0xa000, v18
	;; [unrolled: 1-line block ×3, first 2 shown]
	v_lshlrev_b64 v[8:9], 1, v[8:9]
	v_lshl_add_u64 v[80:81], s[16:17], 0, v[8:9]
	v_lshl_add_u64 v[82:83], s[6:7], 0, v[8:9]
	;; [unrolled: 1-line block ×3, first 2 shown]
	s_mov_b32 s3, 0x7060302
	v_lshlrev_b32_e32 v78, 1, v6
	s_movk_i32 s25, 0x2000
	v_lshlrev_b32_e32 v137, 2, v10
	v_add_u32_e32 v138, v19, v15
	v_add_u32_e32 v139, v21, v15
	;; [unrolled: 1-line block ×4, first 2 shown]
	v_lshlrev_b32_e32 v142, 2, v12
	v_add_u32_e32 v143, v7, v15
	v_add_u32_e32 v144, v14, v15
	;; [unrolled: 1-line block ×3, first 2 shown]
	v_mov_b32_e32 v51, v79
	v_mov_b32_e32 v74, v79
	;; [unrolled: 1-line block ×25, first 2 shown]
	s_waitcnt lgkmcnt(0)
	s_barrier
	s_branch .LBB69_7
.LBB69_6:                               ;   in Loop: Header=BB69_7 Depth=1
	v_mul_f32_e32 v26, s46, v146
	v_exp_f32_e32 v36, v26
	s_waitcnt vmcnt(4)
	v_mul_f32_e32 v26, 0x3fb8aa3b, v38
	v_exp_f32_e32 v38, v26
	v_mul_f32_e32 v26, 0x3fb8aa3b, v39
	v_exp_f32_e32 v39, v26
	;; [unrolled: 2-line block ×4, first 2 shown]
	v_accvgpr_read_b32 v5, a3
	v_accvgpr_read_b32 v4, a2
	;; [unrolled: 1-line block ×4, first 2 shown]
	v_pk_mul_f32 v[38:39], v[36:37], v[38:39] op_sel_hi:[0,1]
	v_pk_mul_f32 v[40:41], v[36:37], v[40:41] op_sel_hi:[0,1]
	v_pk_fma_f32 v[74:75], v[74:75], v[38:39], v[2:3]
	v_pk_fma_f32 v[76:77], v[76:77], v[40:41], v[4:5]
	v_mul_f32_e32 v2, 0x3fb8aa3b, v34
	v_mul_f32_e32 v3, 0x3fb8aa3b, v42
	;; [unrolled: 1-line block ×4, first 2 shown]
	v_exp_f32_e32 v2, v2
	v_exp_f32_e32 v3, v3
	;; [unrolled: 1-line block ×4, first 2 shown]
	v_accvgpr_read_b32 v9, a7
	v_accvgpr_read_b32 v13, a11
	;; [unrolled: 1-line block ×28, first 2 shown]
	v_pk_mul_f32 v[2:3], v[36:37], v[2:3] op_sel_hi:[0,1]
	v_pk_mul_f32 v[4:5], v[36:37], v[4:5] op_sel_hi:[0,1]
	s_add_i32 s59, s59, 64
	v_pk_fma_f32 v[66:67], v[38:39], v[66:67], v[6:7]
	v_pk_fma_f32 v[68:69], v[40:41], v[68:69], v[8:9]
	;; [unrolled: 1-line block ×14, first 2 shown]
	s_cmp_eq_u32 s53, s67
	s_mov_b32 s66, s67
	s_cbranch_scc1 .LBB69_17
.LBB69_7:                               ; =>This Inner Loop Header: Depth=1
	s_add_i32 s67, s66, 1
	s_cmp_lt_i32 s67, s53
	s_mov_b64 s[36:37], 0
	s_cselect_b64 s[46:47], -1, 0
	s_cmp_ge_i32 s67, s53
	s_mov_b64 s[28:29], 0
	s_cbranch_scc1 .LBB69_9
; %bb.8:                                ;   in Loop: Header=BB69_7 Depth=1
	s_add_i32 s0, s59, 64
	s_ashr_i32 s1, s0, 31
	s_add_u32 s0, s56, s0
	s_addc_u32 s1, s55, s1
	s_lshl_b64 s[0:1], s[0:1], 8
	s_add_u32 s28, s14, s0
	s_addc_u32 s29, s15, s1
.LBB69_9:                               ;   in Loop: Header=BB69_7 Depth=1
	v_cndmask_b32_e64 v2, 0, 1, s[46:47]
	v_cmp_ne_u32_e64 s[0:1], 1, v2
	s_andn2_b64 vcc, exec, s[46:47]
	s_cbranch_vccnz .LBB69_11
; %bb.10:                               ;   in Loop: Header=BB69_7 Depth=1
	s_add_i32 s36, s59, 64
	s_mul_hi_i32 s37, s36, s22
	s_mul_i32 s36, s36, s22
	s_add_u32 s36, s36, s57
	s_addc_u32 s37, s37, s61
	s_lshl_b64 s[36:37], s[36:37], 8
	s_add_u32 s36, s12, s36
	s_addc_u32 s37, s13, s37
.LBB69_11:                              ;   in Loop: Header=BB69_7 Depth=1
	v_perm_b32 v3, v77, v76, s3
	v_perm_b32 v2, v75, v74, s3
	v_perm_b32 v5, v73, v72, s3
	v_perm_b32 v4, v71, v70, s3
	ds_write_b64 v99, v[2:3]
	ds_write_b64 v100, v[4:5]
	ds_write_b64 v105, v[2:3]
	ds_write_b64 v106, v[4:5]
	v_perm_b32 v3, v69, v68, s3
	v_perm_b32 v2, v67, v66, s3
	v_perm_b32 v5, v65, v64, s3
	v_perm_b32 v4, v63, v62, s3
	ds_write_b64 v101, v[2:3]
	ds_write_b64 v102, v[4:5]
	ds_write_b64 v107, v[2:3]
	ds_write_b64 v108, v[4:5]
	;; [unrolled: 8-line block ×4, first 2 shown]
	s_waitcnt lgkmcnt(0)
	s_barrier
	ds_read_b64 v[6:7], v115 offset:49152
	ds_read2_b64 v[2:5], v116 offset1:16
	ds_read_b64 v[18:19], v118 offset:6144
	ds_read_b64 v[20:21], v116 offset:6144
	s_waitcnt lgkmcnt(2)
	v_mfma_f32_16x16x16_bf16 a[0:3], v[6:7], v[2:3], 0
	ds_read_b64 v[22:23], v117 offset:49152
	ds_read2st64_b64 v[10:13], v119 offset0:4 offset1:8
	ds_read2st64_b64 v[14:17], v120 offset0:4 offset1:8
	v_mfma_f32_16x16x16_bf16 a[4:7], v[6:7], v[4:5], 0
	ds_read2_b64 v[2:5], v116 offset0:32 offset1:48
	s_add_i32 s68, s59, 63
	s_ashr_i32 s39, s68, 31
	s_waitcnt lgkmcnt(0)
	v_mfma_f32_16x16x16_bf16 a[8:11], v[6:7], v[2:3], 0
	s_mul_i32 s46, s68, s11
	s_mul_hi_u32 s47, s68, s10
	s_add_i32 s46, s47, s46
	v_mfma_f32_16x16x16_bf16 a[12:15], v[6:7], v[4:5], 0
	ds_read2st64_b64 v[2:5], v116 offset0:4 offset1:8
	ds_read2st64_b64 v[6:9], v118 offset0:4 offset1:8
	s_mul_i32 s39, s39, s10
	s_waitcnt lgkmcnt(1)
	v_mfma_f32_16x16x16_bf16 a[0:3], v[22:23], v[2:3], a[0:3]
	s_add_i32 s47, s46, s39
	s_mul_i32 s46, s68, s10
	s_lshl_b64 s[46:47], s[46:47], 2
	s_waitcnt lgkmcnt(0)
	v_mfma_f32_16x16x16_bf16 a[4:7], v[22:23], v[6:7], a[4:7]
	s_add_u32 s46, s44, s46
	s_addc_u32 s47, s45, s47
	s_and_b64 vcc, exec, s[0:1]
	v_mfma_f32_16x16x16_bf16 a[8:11], v[22:23], v[10:11], a[8:11]
	ds_read_b64 v[2:3], v121 offset:49152
	ds_read_b64 v[6:7], v122 offset:49152
	;; [unrolled: 1-line block ×3, first 2 shown]
	v_mov_b32_e32 v149, 0
	v_mov_b32_e32 v148, 0
	v_mfma_f32_16x16x16_bf16 a[12:15], v[22:23], v[14:15], a[12:15]
	v_mov_b32_e32 v147, 0
	v_mov_b32_e32 v14, 0
	v_mov_b32_e32 v15, 0
	s_waitcnt lgkmcnt(2)
	v_mfma_f32_16x16x16_bf16 a[0:3], v[2:3], v[4:5], a[0:3]
	v_mov_b32_e32 v4, 0
	v_mov_b32_e32 v5, 0
	v_mfma_f32_16x16x16_bf16 a[4:7], v[2:3], v[8:9], a[4:7]
	v_mov_b32_e32 v8, 0
	v_mov_b32_e32 v9, 0
	;; [unrolled: 3-line block ×3, first 2 shown]
	v_mfma_f32_16x16x16_bf16 a[12:15], v[2:3], v[16:17], a[12:15]
	ds_read_b64 v[2:3], v119 offset:6144
	v_mov_b32_e32 v16, 0
	v_mov_b32_e32 v17, 0
	s_waitcnt lgkmcnt(2)
	v_mfma_f32_16x16x16_bf16 a[0:3], v[6:7], v[20:21], a[0:3]
	v_mfma_f32_16x16x16_bf16 a[4:7], v[6:7], v[18:19], a[4:7]
	s_waitcnt lgkmcnt(0)
	v_mfma_f32_16x16x16_bf16 a[8:11], v[6:7], v[2:3], a[8:11]
	v_mov_b32_e32 v2, 0
	v_mov_b32_e32 v3, 0
	v_mfma_f32_16x16x16_bf16 a[12:15], v[6:7], v[10:11], a[12:15]
	v_mov_b32_e32 v6, 0
	v_mov_b32_e32 v7, 0
	;; [unrolled: 1-line block ×4, first 2 shown]
	s_cbranch_vccnz .LBB69_13
; %bb.12:                               ;   in Loop: Header=BB69_7 Depth=1
	s_and_b32 s29, s29, 0xffff
	buffer_load_dwordx4 v[14:17], v95, s[28:31], 0 offen
	buffer_load_dwordx4 v[10:13], v95, s[28:31], s62 offen
	;; [unrolled: 1-line block ×4, first 2 shown]
	v_mov_b32_e32 v148, v97
	v_mov_b32_e32 v147, v98
.LBB69_13:                              ;   in Loop: Header=BB69_7 Depth=1
	ds_read_b64 v[38:39], v115 offset:57344
	ds_read2_b64 v[18:21], v123 offset1:16
	ds_read_b64 v[40:41], v117 offset:57344
	ds_read_b64 v[42:43], v121 offset:57344
	;; [unrolled: 1-line block ×3, first 2 shown]
	s_waitcnt lgkmcnt(3)
	v_mfma_f32_16x16x16_bf16 a[0:3], v[38:39], v[18:19], a[0:3]
	v_mfma_f32_16x16x16_bf16 a[4:7], v[38:39], v[20:21], a[4:7]
	ds_read2_b64 v[18:21], v123 offset0:32 offset1:48
	ds_read2st64_b64 v[22:25], v123 offset0:4 offset1:8
	ds_read2st64_b64 v[26:29], v124 offset0:4 offset1:8
	;; [unrolled: 1-line block ×4, first 2 shown]
	s_waitcnt lgkmcnt(4)
	v_mfma_f32_16x16x16_bf16 a[8:11], v[38:39], v[18:19], a[8:11]
	v_mfma_f32_16x16x16_bf16 a[12:15], v[38:39], v[20:21], a[12:15]
	v_add_u32_e32 v38, s59, v136
	v_ashrrev_i32_e32 v18, 31, v38
	v_mul_lo_u32 v20, v18, s10
	v_mul_lo_u32 v21, v38, s11
	v_mad_u64_u32 v[18:19], s[28:29], v38, s10, 0
	v_add3_u32 v19, v19, v21, v20
	v_add_u32_e32 v20, 1, v38
	v_ashrrev_i32_e32 v21, 31, v20
	s_waitcnt lgkmcnt(3)
	v_mfma_f32_16x16x16_bf16 a[0:3], v[40:41], v[22:23], a[0:3]
	v_mul_lo_u32 v22, v21, s10
	v_mul_lo_u32 v23, v20, s11
	v_mad_u64_u32 v[20:21], s[28:29], v20, s10, 0
	v_add3_u32 v21, v21, v23, v22
	v_add_u32_e32 v22, 2, v38
	v_ashrrev_i32_e32 v23, 31, v22
	s_waitcnt lgkmcnt(2)
	v_mfma_f32_16x16x16_bf16 a[4:7], v[40:41], v[26:27], a[4:7]
	v_mul_lo_u32 v26, v23, s10
	v_mul_lo_u32 v27, v22, s11
	v_mad_u64_u32 v[22:23], s[28:29], v22, s10, 0
	v_lshl_add_u64 v[18:19], v[18:19], 2, s[44:45]
	v_lshl_add_u64 v[20:21], v[20:21], 2, s[44:45]
	v_add3_u32 v23, v23, v27, v26
	v_add_u32_e32 v26, 3, v38
	s_waitcnt lgkmcnt(1)
	v_mfma_f32_16x16x16_bf16 a[8:11], v[40:41], v[30:31], a[8:11]
	global_load_dword v31, v[18:19], off
	v_ashrrev_i32_e32 v27, 31, v26
	v_mul_lo_u32 v27, v27, s10
	s_waitcnt lgkmcnt(0)
	v_mfma_f32_16x16x16_bf16 a[12:15], v[40:41], v[34:35], a[12:15]
	global_load_dword v34, v[20:21], off
	v_mad_u64_u32 v[18:19], s[28:29], v26, s10, 0
	s_ashr_i32 s29, s59, 31
	v_mul_lo_u32 v30, v26, s11
	s_add_u32 s28, s56, s59
	v_lshl_add_u64 v[22:23], v[22:23], 2, s[44:45]
	v_add3_u32 v19, v19, v30, v27
	s_addc_u32 s29, s55, s29
	v_lshl_add_u64 v[18:19], v[18:19], 2, s[44:45]
	global_load_dword v30, v[22:23], off
	global_load_dword v35, v[18:19], off
	s_lshl_b64 s[28:29], s[28:29], 8
	v_lshl_add_u64 v[18:19], v[80:81], 0, s[28:29]
	v_lshl_add_u64 v[18:19], v[18:19], 0, v[78:79]
	global_load_ushort v38, v[18:19], off offset:256
	global_load_ushort v39, v[18:19], off
	global_load_ushort v40, v[18:19], off offset:768
	global_load_ushort v41, v[18:19], off offset:512
	;; [unrolled: 1-line block ×6, first 2 shown]
	s_load_dword s46, s[46:47], 0x0
	v_mfma_f32_16x16x16_bf16 a[12:15], v[42:43], v[36:37], a[12:15]
	global_load_ushort v36, v[18:19], off offset:320
	global_load_ushort v37, v[18:19], off offset:64
	s_and_b64 vcc, exec, s[0:1]
	v_mfma_f32_16x16x16_bf16 a[0:3], v[42:43], v[24:25], a[0:3]
	ds_read_b64 v[20:21], v123 offset:6144
	ds_read_b64 v[22:23], v124 offset:6144
	;; [unrolled: 1-line block ×4, first 2 shown]
	v_mfma_f32_16x16x16_bf16 a[4:7], v[42:43], v[28:29], a[4:7]
	s_waitcnt vmcnt(11) lgkmcnt(0)
	v_sub_f32_e32 v28, s46, v30
	v_mfma_f32_16x16x16_bf16 a[8:11], v[42:43], v[32:33], a[8:11]
	global_load_ushort v42, v[18:19], off offset:832
	global_load_ushort v43, v[18:19], off offset:576
	;; [unrolled: 1-line block ×6, first 2 shown]
	v_mfma_f32_16x16x16_bf16 a[0:3], v[150:151], v[20:21], a[0:3]
	s_waitcnt vmcnt(16)
	v_sub_f32_e32 v29, s46, v35
	v_mul_f32_e32 v28, 0x3fb8aa3b, v28
	v_mul_f32_e32 v29, 0x3fb8aa3b, v29
	v_exp_f32_e32 v28, v28
	v_exp_f32_e32 v29, v29
	s_waitcnt vmcnt(15)
	v_lshlrev_b32_e32 v33, 16, v38
	s_waitcnt vmcnt(14)
	v_lshlrev_b32_e32 v32, 16, v39
	v_accvgpr_read_b32 v21, a3
	v_accvgpr_read_b32 v20, a2
	v_mfma_f32_16x16x16_bf16 a[2:5], v[150:151], v[22:23], a[4:7]
	v_mfma_f32_16x16x16_bf16 a[6:9], v[150:151], v[24:25], a[8:11]
	s_nop 5
	v_accvgpr_read_b32 v23, a5
	v_accvgpr_read_b32 v22, a4
	;; [unrolled: 1-line block ×4, first 2 shown]
	v_mfma_f32_16x16x16_bf16 a[8:11], v[150:151], v[26:27], a[12:15]
	v_sub_f32_e32 v26, s46, v31
	v_sub_f32_e32 v27, s46, v34
	v_mul_f32_e32 v26, 0x3fb8aa3b, v26
	v_mul_f32_e32 v27, 0x3fb8aa3b, v27
	v_exp_f32_e32 v26, v26
	v_exp_f32_e32 v27, v27
	v_accvgpr_read_b32 v35, a1
	v_accvgpr_read_b32 v34, a0
	v_lshl_add_u64 v[30:31], v[82:83], 0, s[28:29]
	v_pk_add_f32 v[32:33], v[32:33], v[34:35] neg_lo:[0,1] neg_hi:[0,1]
	s_waitcnt vmcnt(13)
	v_lshlrev_b32_e32 v35, 16, v40
	s_waitcnt vmcnt(12)
	v_lshlrev_b32_e32 v34, 16, v41
	v_lshl_add_u64 v[30:31], v[30:31], 0, v[78:79]
	v_pk_add_f32 v[20:21], v[34:35], v[20:21] neg_lo:[0,1] neg_hi:[0,1]
	global_store_short_d16_hi v[30:31], v32, off
	global_store_short_d16_hi v[30:31], v33, off offset:256
	global_store_short_d16_hi v[30:31], v20, off offset:512
	;; [unrolled: 1-line block ×3, first 2 shown]
	v_pk_mul_f32 v[32:33], v[26:27], v[32:33]
	v_pk_mul_f32 v[20:21], v[28:29], v[20:21]
	v_accvgpr_read_b32 v35, a3
	v_perm_b32 v21, v21, v20, s3
	v_perm_b32 v20, v33, v32, s3
	s_waitcnt vmcnt(15)
	v_lshlrev_b32_e32 v33, 16, v44
	s_waitcnt vmcnt(14)
	v_lshlrev_b32_e32 v32, 16, v152
	v_accvgpr_read_b32 v34, a2
	v_pk_add_f32 v[32:33], v[32:33], v[34:35] neg_lo:[0,1] neg_hi:[0,1]
	s_waitcnt vmcnt(13)
	v_lshlrev_b32_e32 v35, 16, v153
	s_waitcnt vmcnt(12)
	v_lshlrev_b32_e32 v34, 16, v154
	v_pk_add_f32 v[22:23], v[34:35], v[22:23] neg_lo:[0,1] neg_hi:[0,1]
	global_store_short_d16_hi v[30:31], v32, off offset:32
	global_store_short_d16_hi v[30:31], v33, off offset:288
	;; [unrolled: 1-line block ×4, first 2 shown]
	v_pk_mul_f32 v[32:33], v[26:27], v[32:33]
	v_pk_mul_f32 v[22:23], v[28:29], v[22:23]
	v_accvgpr_read_b32 v25, a11
	v_perm_b32 v23, v23, v22, s3
	v_perm_b32 v22, v33, v32, s3
	ds_write2_b64 v100, v[20:21], v[22:23] offset1:16
	v_accvgpr_read_b32 v23, a7
	s_waitcnt vmcnt(15)
	v_lshlrev_b32_e32 v21, 16, v36
	s_waitcnt vmcnt(14)
	v_lshlrev_b32_e32 v20, 16, v37
	v_accvgpr_read_b32 v22, a6
	v_pk_add_f32 v[20:21], v[20:21], v[22:23] neg_lo:[0,1] neg_hi:[0,1]
	global_store_short_d16_hi v[30:31], v20, off offset:64
	global_store_short_d16_hi v[30:31], v21, off offset:320
	v_pk_mul_f32 v[20:21], v[26:27], v[20:21]
	v_accvgpr_read_b32 v24, a10
	v_perm_b32 v20, v21, v20, s3
	v_mov_b32_e32 v150, 0
	v_mov_b32_e32 v32, 0
	;; [unrolled: 1-line block ×3, first 2 shown]
	s_waitcnt vmcnt(15)
	v_lshlrev_b32_e32 v23, 16, v42
	s_waitcnt vmcnt(14)
	v_lshlrev_b32_e32 v22, 16, v43
	v_pk_add_f32 v[18:19], v[22:23], v[18:19] neg_lo:[0,1] neg_hi:[0,1]
	global_store_short_d16_hi v[30:31], v18, off offset:576
	global_store_short_d16_hi v[30:31], v19, off offset:832
	v_pk_mul_f32 v[18:19], v[28:29], v[18:19]
	v_accvgpr_read_b32 v23, a9
	v_perm_b32 v21, v19, v18, s3
	s_waitcnt vmcnt(15)
	v_lshlrev_b32_e32 v19, 16, v155
	s_waitcnt vmcnt(14)
	v_lshlrev_b32_e32 v18, 16, v156
	v_accvgpr_read_b32 v22, a8
	v_pk_add_f32 v[18:19], v[18:19], v[22:23] neg_lo:[0,1] neg_hi:[0,1]
	s_waitcnt vmcnt(13)
	v_lshlrev_b32_e32 v23, 16, v157
	s_waitcnt vmcnt(12)
	v_lshlrev_b32_e32 v22, 16, v158
	v_pk_add_f32 v[22:23], v[22:23], v[24:25] neg_lo:[0,1] neg_hi:[0,1]
	global_store_short_d16_hi v[30:31], v18, off offset:96
	global_store_short_d16_hi v[30:31], v19, off offset:352
	;; [unrolled: 1-line block ×4, first 2 shown]
	v_pk_mul_f32 v[18:19], v[26:27], v[18:19]
	v_pk_mul_f32 v[22:23], v[28:29], v[22:23]
	v_mov_b32_e32 v24, 0
	v_perm_b32 v23, v23, v22, s3
	v_perm_b32 v22, v19, v18, s3
	ds_write2_b64 v100, v[20:21], v[22:23] offset0:32 offset1:48
	v_mov_b32_e32 v18, 0
	v_mov_b32_e32 v19, 0
	;; [unrolled: 1-line block ×13, first 2 shown]
	s_cbranch_vccnz .LBB69_15
; %bb.14:                               ;   in Loop: Header=BB69_7 Depth=1
	s_and_b32 s37, s37, 0xffff
	s_mov_b32 s39, s31
	buffer_load_dwordx4 v[30:33], v133, s[36:39], 0 offen
	buffer_load_dwordx4 v[22:25], v133, s[36:39], s62 offen
	;; [unrolled: 1-line block ×4, first 2 shown]
	v_mov_b32_e32 v149, v94
	v_mov_b32_e32 v150, v93
.LBB69_15:                              ;   in Loop: Header=BB69_7 Depth=1
	s_waitcnt lgkmcnt(0)
	s_barrier
	ds_read_b64 v[42:43], v138
	ds_read2_b64 v[34:37], v129 offset1:16
	ds_read_b64 v[168:169], v139
	ds_read_b64 v[170:171], v140
	;; [unrolled: 1-line block ×3, first 2 shown]
	ds_read2_b64 v[38:41], v129 offset0:32 offset1:48
	ds_read2st64_b64 v[152:155], v129 offset0:4 offset1:8
	ds_read2st64_b64 v[156:159], v130 offset0:4 offset1:8
	;; [unrolled: 1-line block ×4, first 2 shown]
	s_waitcnt lgkmcnt(8)
	v_mfma_f32_16x16x16_bf16 a[0:3], v[42:43], v[34:35], 0
	s_add_i32 s28, s54, s66
	s_mul_hi_i32 s29, s28, s33
	s_mul_i32 s28, s28, s33
	v_mfma_f32_16x16x16_bf16 a[4:7], v[42:43], v[36:37], 0
	s_add_u32 s28, s28, s49
	s_addc_u32 s29, s29, s60
	s_lshl_b64 s[28:29], s[28:29], 15
	s_waitcnt lgkmcnt(4)
	v_mfma_f32_16x16x16_bf16 a[8:11], v[42:43], v[38:39], 0
	s_mul_i32 s36, s68, s33
	s_mul_hi_i32 s37, s68, s33
	s_add_u32 s36, s36, s49
	v_mfma_f32_16x16x16_bf16 a[12:15], v[42:43], v[40:41], 0
	ds_read_b64 v[42:43], v129 offset:6144
	ds_read_b64 v[180:181], v130 offset:6144
	;; [unrolled: 1-line block ×4, first 2 shown]
	s_addc_u32 s37, s37, s60
	s_waitcnt lgkmcnt(7)
	v_mfma_f32_16x16x16_bf16 a[0:3], v[168:169], v[152:153], a[0:3]
	s_lshl_b64 s[36:37], s[36:37], 9
	s_add_u32 s36, s40, s36
	s_addc_u32 s37, s41, s37
	s_waitcnt lgkmcnt(6)
	v_mfma_f32_16x16x16_bf16 a[4:7], v[168:169], v[156:157], a[4:7]
	v_lshl_add_u64 v[190:191], v[84:85], 0, s[28:29]
	s_waitcnt lgkmcnt(5)
	v_mfma_f32_16x16x16_bf16 a[8:11], v[168:169], v[160:161], a[8:11]
	s_waitcnt lgkmcnt(4)
	v_mfma_f32_16x16x16_bf16 a[12:15], v[168:169], v[164:165], a[12:15]
	ds_read_b64 v[168:169], v143
	ds_read_b64 v[178:179], v144
	ds_read_b64 v[186:187], v145
	s_waitcnt lgkmcnt(2)
	v_mfma_f32_16x16x16_bf16 a[16:19], v[168:169], v[34:35], 0
	v_mfma_f32_16x16x16_bf16 a[20:23], v[168:169], v[36:37], 0
	global_load_dwordx4 v[34:37], v142, s[36:37]
	v_mfma_f32_16x16x16_bf16 a[24:27], v[168:169], v[38:39], 0
	v_mfma_f32_16x16x16_bf16 a[28:31], v[168:169], v[40:41], 0
	global_load_dwordx4 v[38:41], v137, s[36:37]
	v_mfma_f32_16x16x16_bf16 a[0:3], v[170:171], v[154:155], a[0:3]
	v_mfma_f32_16x16x16_bf16 a[4:7], v[170:171], v[158:159], a[4:7]
	;; [unrolled: 1-line block ×8, first 2 shown]
	ds_read2st64_b64 v[168:171], v127 offset1:8
	ds_read2st64_b64 v[172:175], v128 offset1:8
	ds_read_b64 v[188:189], v135 offset:40960
	s_waitcnt lgkmcnt(2)
	v_mov_b32_e32 v176, v168
	v_mfma_f32_16x16x16_bf16 a[16:19], v[178:179], v[152:153], a[16:19]
	v_mov_b32_e32 v177, v169
	v_mfma_f32_16x16x16_bf16 a[20:23], v[178:179], v[156:157], a[20:23]
	v_mfma_f32_16x16x16_bf16 a[24:27], v[178:179], v[160:161], a[24:27]
	;; [unrolled: 1-line block ×3, first 2 shown]
	v_add_co_u32_e32 v164, vcc, s25, v190
	s_waitcnt lgkmcnt(1)
	v_mov_b32_e32 v178, v172
	s_waitcnt lgkmcnt(0)
	v_mfma_f32_16x16x16_bf16 a[16:19], v[188:189], v[154:155], a[16:19]
	ds_read2st64_b64 v[152:155], v127 offset0:16 offset1:24
	v_addc_co_u32_e32 v165, vcc, 0, v191, vcc
	v_mfma_f32_16x16x16_bf16 a[20:23], v[188:189], v[158:159], a[20:23]
	ds_read2st64_b64 v[156:159], v128 offset0:16 offset1:24
	v_mov_b32_e32 v179, v173
	v_mov_b32_e32 v172, v170
	v_mfma_f32_16x16x16_bf16 a[32:35], v[188:189], v[162:163], a[24:27]
	v_mov_b32_e32 v173, v171
	s_waitcnt lgkmcnt(0)
	v_mov_b32_e32 v162, v156
	v_mov_b32_e32 v163, v157
	v_mfma_f32_16x16x16_bf16 a[36:39], v[188:189], v[166:167], a[28:31]
	v_mov_b32_e32 v156, v154
	v_mov_b32_e32 v157, v155
	;; [unrolled: 1-line block ×3, first 2 shown]
	v_mfma_f32_16x16x16_bf16 a[24:27], v[186:187], v[42:43], a[16:19]
	v_add_co_u32_e32 v42, vcc, s65, v190
	v_mov_b32_e32 v161, v153
	v_mfma_f32_16x16x16_bf16 a[28:31], v[186:187], v[180:181], a[20:23]
	v_addc_co_u32_e32 v43, vcc, 0, v191, vcc
	global_store_dwordx4 v[42:43], v[156:159], off
	v_mfma_f32_16x16x16_bf16 a[16:19], v[186:187], v[182:183], a[32:35]
	s_waitcnt vmcnt(2)
	v_mov_b32_e32 v44, v37
	v_mov_b32_e32 v43, v36
	;; [unrolled: 1-line block ×3, first 2 shown]
	v_mfma_f32_16x16x16_bf16 a[20:23], v[186:187], v[184:185], a[36:39]
	s_and_b64 vcc, exec, s[0:1]
	global_store_dwordx4 v[190:191], v[176:179], off
	global_store_dwordx4 v[164:165], v[172:175], off offset:-4096
	global_store_dwordx4 v[164:165], v[160:163], off
	s_cbranch_vccnz .LBB69_6
; %bb.16:                               ;   in Loop: Header=BB69_7 Depth=1
	v_lshrrev_b32_e32 v35, 3, v149
	v_and_b32_e32 v35, 6, v35
	v_xor_b32_e32 v36, v35, v150
	v_lshlrev_b32_e32 v36, 2, v36
	v_and_b32_e32 v37, 8, v149
	v_xor_b32_e32 v149, 0x440, v36
	v_cmp_eq_u32_e32 vcc, 0, v37
	v_perm_b32 v37, v22, v18, s63
	s_nop 0
	v_cndmask_b32_e32 v36, v149, v36, vcc
	v_lshl_or_b32 v35, v35, 10, v36
	v_perm_b32 v36, v30, v26, s63
	s_barrier
	ds_write2st64_b32 v35, v36, v37 offset0:128 offset1:160
	v_xor_b32_e32 v36, 8, v35
	v_perm_b32 v26, v30, v26, s64
	v_perm_b32 v18, v22, v18, s64
	v_add_u32_e32 v22, 0x80, v36
	ds_write2st64_b32 v22, v26, v18 offset0:128 offset1:160
	v_xor_b32_e32 v18, 16, v35
	v_perm_b32 v22, v31, v27, s63
	v_perm_b32 v26, v23, v19, s63
	ds_write2st64_b32 v18, v22, v26 offset0:129 offset1:161
	v_xor_b32_e32 v18, 24, v35
	v_perm_b32 v22, v31, v27, s64
	v_perm_b32 v19, v23, v19, s64
	v_add_u32_e32 v18, 0x80, v18
	ds_write2st64_b32 v18, v22, v19 offset0:129 offset1:161
	v_xor_b32_e32 v18, 32, v35
	v_perm_b32 v19, v32, v28, s63
	v_perm_b32 v22, v24, v20, s63
	;; [unrolled: 9-line block ×3, first 2 shown]
	ds_write2st64_b32 v18, v19, v20 offset0:131 offset1:163
	v_xor_b32_e32 v18, 56, v35
	v_perm_b32 v19, v33, v29, s64
	v_perm_b32 v20, v25, v21, s64
	v_add_u32_e32 v18, 0x80, v18
	ds_write2st64_b32 v18, v19, v20 offset0:131 offset1:163
	ds_write_b64 v148, v[14:15] offset:49152
	v_xor_b32_e32 v14, 8, v148
	ds_write_b64 v14, v[16:17] offset:49152
	ds_write_b64 v148, v[10:11] offset:57344
	;; [unrolled: 1-line block ×4, first 2 shown]
	v_xor_b32_e32 v6, 8, v147
	ds_write_b64 v6, v[8:9] offset:49152
	ds_write_b64 v147, v[2:3] offset:57344
	;; [unrolled: 1-line block ×3, first 2 shown]
	s_branch .LBB69_6
.LBB69_17:
	s_lshl_b32 s3, s53, 6
	s_sub_i32 s58, s58, s3
	s_cmp_gt_i32 s58, 0
	v_or_b32_e32 v18, s2, v89
	s_cbranch_scc1 .LBB69_19
; %bb.18:
	s_ashr_i32 s37, s49, 31
	v_or_b32_e32 v2, s2, v89
	s_cbranch_execz .LBB69_20
	s_branch .LBB69_100
.LBB69_19:
                                        ; implicit-def: $vgpr2
                                        ; implicit-def: $sgpr36_sgpr37
.LBB69_20:
	s_add_i32 s36, s3, s42
	s_ashr_i32 s3, s36, 31
	s_cmpk_lg_i32 s23, 0x80
	s_cselect_b64 s[44:45], -1, 0
	s_and_b64 vcc, exec, s[44:45]
	s_cbranch_vccz .LBB69_22
; %bb.21:
	s_mul_hi_i32 s0, s36, s22
	s_mul_i32 s1, s36, s22
	s_ashr_i32 s22, s57, 31
	s_add_u32 s46, s1, s57
	s_addc_u32 s47, s0, s22
	s_cbranch_execz .LBB69_23
	s_branch .LBB69_24
.LBB69_22:
                                        ; implicit-def: $sgpr46_sgpr47
.LBB69_23:
	s_mul_i32 s1, s57, s20
	s_mul_hi_i32 s0, s57, s20
	s_add_u32 s46, s1, s36
	s_addc_u32 s47, s0, s3
.LBB69_24:
	s_add_i32 s20, s53, s54
	s_ashr_i32 s37, s49, 31
	s_add_u32 s0, s56, s36
	v_lshlrev_b32_e32 v6, 6, v1
	v_lshlrev_b32_e32 v27, 2, v89
	s_addc_u32 s1, s55, s3
	s_mov_b32 s3, 0x7060302
	v_or_b32_e32 v9, v6, v27
	v_xor_b32_e32 v7, v1, v27
	v_perm_b32 v3, v77, v76, s3
	v_perm_b32 v2, v75, v74, s3
	;; [unrolled: 1-line block ×4, first 2 shown]
	v_lshlrev_b32_e32 v9, 1, v9
	v_xor_b32_e32 v8, v92, v27
	ds_write2st64_b64 v9, v[2:3], v[4:5] offset0:32 offset1:48
	v_lshlrev_b32_e32 v7, 1, v7
	v_lshlrev_b32_e32 v9, 8, v89
	v_or_b32_e32 v10, v7, v9
	v_lshlrev_b32_e32 v8, 1, v8
	ds_write_b64 v10, v[2:3]
	v_or_b32_e32 v2, v8, v9
	v_or_b32_e32 v9, 16, v89
	v_lshlrev_b32_e32 v25, 2, v9
	v_or_b32_e32 v10, v6, v25
	ds_write_b64 v2, v[4:5]
	v_perm_b32 v3, v69, v68, s3
	v_perm_b32 v2, v67, v66, s3
	;; [unrolled: 1-line block ×4, first 2 shown]
	v_lshlrev_b32_e32 v10, 1, v10
	v_lshlrev_b32_e32 v9, 8, v9
	ds_write2st64_b64 v10, v[2:3], v[4:5] offset0:32 offset1:48
	v_or_b32_e32 v10, v7, v9
	ds_write_b64 v10, v[2:3]
	v_or_b32_e32 v2, v8, v9
	v_or_b32_e32 v9, 32, v89
	v_lshlrev_b32_e32 v24, 2, v9
	v_or_b32_e32 v10, v6, v24
	ds_write_b64 v2, v[4:5]
	v_perm_b32 v3, v61, v60, s3
	v_perm_b32 v2, v59, v58, s3
	;; [unrolled: 1-line block ×4, first 2 shown]
	v_lshlrev_b32_e32 v10, 1, v10
	v_lshlrev_b32_e32 v9, 8, v9
	s_lshl_b64 s[38:39], s[0:1], 8
	ds_write2st64_b64 v10, v[2:3], v[4:5] offset0:32 offset1:48
	v_or_b32_e32 v10, v7, v9
	s_add_u32 s0, s14, s38
	ds_write_b64 v10, v[2:3]
	v_or_b32_e32 v2, v8, v9
	s_addc_u32 s1, s15, s39
	ds_write_b64 v2, v[4:5]
	v_perm_b32 v3, v53, v52, s3
	v_perm_b32 v2, v51, v50, s3
	;; [unrolled: 1-line block ×4, first 2 shown]
	v_or_b32_e32 v9, 48, v89
	s_mul_hi_i32 s3, s20, s21
	s_mul_i32 s20, s20, s21
	v_lshlrev_b32_e32 v21, 2, v9
	s_add_u32 s14, s20, s49
	v_or_b32_e32 v6, v6, v21
	s_addc_u32 s15, s3, s37
	v_lshlrev_b32_e32 v6, 1, v6
	s_ashr_i32 s3, s2, 31
	s_lshl_b64 s[14:15], s[14:15], 15
	ds_write2st64_b64 v6, v[2:3], v[4:5] offset0:32 offset1:48
	v_lshlrev_b32_e32 v6, 8, v9
	s_add_u32 s4, s4, s14
	v_or_b32_e32 v7, v7, v6
	s_addc_u32 s5, s5, s15
	s_lshl_b64 s[2:3], s[2:3], 8
	ds_write_b64 v7, v[2:3]
	v_or_b32_e32 v2, v8, v6
	s_add_u32 s2, s4, s2
	v_lshlrev_b32_e32 v3, 1, v89
	ds_write_b64 v2, v[4:5]
	v_lshrrev_b32_e32 v2, 4, v0
	s_addc_u32 s3, s5, s3
	v_or_b32_e32 v4, 1, v3
	v_lshlrev_b32_e32 v10, 4, v89
	v_mov_b32_e32 v11, 0
	v_xor_b32_e32 v3, v2, v3
	v_xor_b32_e32 v6, v4, v2
	v_lshl_add_u64 v[12:13], s[2:3], 0, v[10:11]
	v_lshlrev_b32_e32 v10, 8, v2
	v_lshl_or_b32 v16, v3, 3, v10
	v_lshl_or_b32 v17, v6, 3, v10
	s_waitcnt lgkmcnt(0)
	s_barrier
	ds_read2st64_b64 v[2:5], v16 offset1:8
	ds_read2st64_b64 v[6:9], v17 offset1:8
	v_lshl_add_u64 v[14:15], v[12:13], 0, v[10:11]
	s_movk_i32 s2, 0x2000
	s_cmp_lg_u32 s58, 64
	s_waitcnt lgkmcnt(1)
	v_mov_b32_e32 v10, v2
	v_mov_b32_e32 v11, v3
	s_waitcnt lgkmcnt(0)
	v_mov_b32_e32 v12, v6
	v_mov_b32_e32 v13, v7
	global_store_dwordx4 v[14:15], v[10:13], off
	v_mov_b32_e32 v6, v4
	v_mov_b32_e32 v7, v5
	ds_read2st64_b64 v[2:5], v16 offset0:16 offset1:24
	ds_read2st64_b64 v[10:13], v17 offset0:16 offset1:24
	v_add_co_u32_e32 v16, vcc, s2, v14
	s_cselect_b64 s[4:5], -1, 0
	s_nop 0
	v_addc_co_u32_e32 v17, vcc, 0, v15, vcc
	global_store_dwordx4 v[16:17], v[6:9], off offset:-4096
	v_lshl_or_b32 v19, v45, 3, v91
	s_mov_b32 s28, 0
	s_waitcnt lgkmcnt(1)
	v_mov_b32_e32 v6, v2
	v_add_co_u32_e32 v2, vcc, 0x3000, v14
	v_mov_b32_e32 v7, v3
	s_nop 0
	v_addc_co_u32_e32 v3, vcc, 0, v15, vcc
	s_waitcnt lgkmcnt(0)
	v_mov_b32_e32 v8, v10
	v_mov_b32_e32 v9, v11
	;; [unrolled: 1-line block ×4, first 2 shown]
	v_or_b32_e32 v22, 32, v19
	v_and_b32_e32 v20, 56, v90
	s_and_b64 vcc, exec, s[4:5]
	global_store_dwordx4 v[16:17], v[6:9], off
	global_store_dwordx4 v[2:3], v[10:13], off
	s_cbranch_vccz .LBB69_30
; %bb.25:
	s_mov_b32 s29, s28
	s_mov_b32 s30, s28
	;; [unrolled: 1-line block ×3, first 2 shown]
	v_mov_b64_e32 v[6:7], s[28:29]
	v_mov_b64_e32 v[8:9], s[30:31]
	;; [unrolled: 1-line block ×3, first 2 shown]
	v_cmp_gt_i32_e32 vcc, s58, v19
	v_mov_b64_e32 v[4:5], v[8:9]
	s_and_saveexec_b64 s[2:3], vcc
	s_cbranch_execz .LBB69_27
; %bb.26:
	v_lshlrev_b32_e32 v2, 8, v19
	v_mov_b32_e32 v3, 0
	v_lshl_add_u64 v[4:5], s[0:1], 0, v[2:3]
	v_lshlrev_b32_e32 v2, 1, v20
	v_lshl_add_u64 v[10:11], v[4:5], 0, v[2:3]
	global_load_dwordx4 v[6:9], v[10:11], off
	global_load_dwordx4 v[2:5], v[10:11], off offset:128
.LBB69_27:
	s_or_b64 exec, exec, s[2:3]
	s_mov_b32 s29, s28
	s_mov_b32 s30, s28
	;; [unrolled: 1-line block ×3, first 2 shown]
	v_mov_b64_e32 v[14:15], s[28:29]
	v_mov_b64_e32 v[16:17], s[30:31]
	;; [unrolled: 1-line block ×3, first 2 shown]
	v_cmp_gt_i32_e32 vcc, s58, v22
	v_lshlrev_b32_e32 v23, 7, v22
	v_mov_b64_e32 v[12:13], v[16:17]
	s_and_saveexec_b64 s[2:3], vcc
	s_cbranch_execz .LBB69_29
; %bb.28:
	v_lshlrev_b32_e32 v10, 1, v23
	v_mov_b32_e32 v11, 0
	v_lshl_add_u64 v[12:13], s[0:1], 0, v[10:11]
	v_lshlrev_b32_e32 v10, 1, v20
	v_lshl_add_u64 v[28:29], v[12:13], 0, v[10:11]
	global_load_dwordx4 v[14:17], v[28:29], off
	global_load_dwordx4 v[10:13], v[28:29], off offset:128
.LBB69_29:
	s_or_b64 exec, exec, s[2:3]
	v_lshrrev_b32_e32 v26, 3, v20
	v_lshlrev_b32_e32 v28, 3, v19
	v_or_b32_e32 v26, v28, v26
	v_lshlrev_b32_e32 v26, 4, v26
	v_and_b32_e32 v28, 0x78, v28
	v_xor_b32_e32 v26, v26, v28
	s_branch .LBB69_32
.LBB69_30:
                                        ; implicit-def: $vgpr26
                                        ; implicit-def: $vgpr23
                                        ; implicit-def: $vgpr6_vgpr7_vgpr8_vgpr9
                                        ; implicit-def: $vgpr2_vgpr3_vgpr4_vgpr5
                                        ; implicit-def: $vgpr14_vgpr15_vgpr16_vgpr17
                                        ; implicit-def: $vgpr10_vgpr11_vgpr12_vgpr13
	s_cbranch_execz .LBB69_32
; %bb.31:
	s_waitcnt vmcnt(0)
	v_lshlrev_b32_e32 v2, 1, v20
	v_lshl_or_b32 v23, v19, 8, v2
	s_and_b32 s1, s1, 0xffff
	s_mov_b32 s3, 0x20000
	s_movk_i32 s2, 0x4000
	v_lshl_or_b32 v26, v22, 8, v2
	s_movk_i32 s14, 0x80
	buffer_load_dwordx4 v[6:9], v23, s[0:3], 0 offen
	buffer_load_dwordx4 v[2:5], v23, s[0:3], s14 offen
	;; [unrolled: 1-line block ×4, first 2 shown]
	v_lshrrev_b32_e32 v23, 3, v20
	v_lshlrev_b32_e32 v26, 3, v19
	v_or_b32_e32 v23, v26, v23
	v_lshlrev_b32_e32 v23, 4, v23
	v_and_b32_e32 v26, 0x78, v26
	v_xor_b32_e32 v26, v23, v26
	v_lshlrev_b32_e32 v23, 7, v22
.LBB69_32:
	s_movk_i32 s0, 0x1000
	v_and_or_b32 v22, v23, s0, v26
	s_waitcnt vmcnt(1)
	ds_write_b64 v26, v[6:7] offset:49152
	v_xor_b32_e32 v6, 8, v26
	ds_write_b64 v6, v[8:9] offset:49152
	s_waitcnt vmcnt(0)
	ds_write_b64 v26, v[2:3] offset:57344
	ds_write_b64 v6, v[4:5] offset:57344
	;; [unrolled: 1-line block ×3, first 2 shown]
	v_xor_b32_e32 v2, 8, v22
	ds_write_b64 v2, v[16:17] offset:49152
	ds_write_b64 v22, v[10:11] offset:57344
	;; [unrolled: 1-line block ×3, first 2 shown]
	v_or_b32_e32 v2, v86, v89
	v_lshlrev_b32_e32 v2, 3, v2
	v_lshrrev_b32_e32 v3, 5, v87
	s_movk_i32 s0, 0xf8
	v_and_or_b32 v3, v2, s0, v3
	v_lshlrev_b32_e32 v7, 4, v3
	v_lshlrev_b32_e32 v26, 11, v45
	v_and_b32_e32 v8, 0x78, v2
	v_or_b32_e32 v10, 32, v7
	v_and_b32_e32 v6, 0x1000, v26
	v_lshrrev_b32_e32 v3, 1, v87
	v_xor_b32_e32 v10, v10, v8
	v_xor_b32_e32 v2, v7, v8
	v_and_b32_e32 v9, 8, v3
	v_or_b32_e32 v10, v10, v6
	v_or_b32_e32 v2, v2, v6
	v_xor_b32_e32 v33, v10, v9
	v_or_b32_e32 v10, 64, v7
	v_xor_b32_e32 v32, v2, v9
	v_xor_b32_e32 v10, v10, v8
	s_waitcnt lgkmcnt(0)
	s_barrier
	v_or_b32_e32 v13, v10, v6
	ds_read_b64 v[10:11], v32 offset:49152
	v_lshl_or_b32 v14, v88, 8, v27
	v_lshlrev_b32_e32 v28, 1, v14
	v_add_u32_e32 v12, 0x4000, v28
	ds_read2_b64 v[2:5], v12 offset1:16
	v_or_b32_e32 v7, 0x60, v7
	v_xor_b32_e32 v7, v7, v8
	v_or_b32_e32 v6, v7, v6
	v_xor_b32_e32 v34, v13, v9
	v_xor_b32_e32 v35, v6, v9
	ds_read_b64 v[22:23], v33 offset:49152
	ds_read_b64 v[36:37], v34 offset:49152
	;; [unrolled: 1-line block ×3, first 2 shown]
	s_waitcnt lgkmcnt(3)
	v_mfma_f32_16x16x16_bf16 a[0:3], v[10:11], v[2:3], 0
	ds_read2_b64 v[6:9], v12 offset0:32 offset1:48
	s_lshl_b64 s[0:1], s[46:47], 8
	s_add_u32 s12, s12, s0
	v_mfma_f32_16x16x16_bf16 a[4:7], v[10:11], v[4:5], 0
	ds_read2st64_b64 v[2:5], v28 offset0:36 offset1:40
	s_addc_u32 s13, s13, s1
	s_add_i32 s22, s43, -1
	s_waitcnt lgkmcnt(1)
	v_mfma_f32_16x16x16_bf16 a[8:11], v[10:11], v[6:7], 0
	v_or_b32_e32 v6, 64, v14
	v_lshlrev_b32_e32 v29, 1, v6
	s_add_i32 s0, s51, s50
	s_waitcnt lgkmcnt(0)
	v_mfma_f32_16x16x16_bf16 a[0:3], v[22:23], v[2:3], a[0:3]
	v_or_b32_e32 v2, 0x80, v14
	v_lshlrev_b32_e32 v30, 1, v2
	v_or_b32_e32 v2, 0xc0, v14
	v_mfma_f32_16x16x16_bf16 a[12:15], v[10:11], v[8:9], 0
	ds_read2st64_b64 v[6:9], v29 offset0:36 offset1:40
	v_lshlrev_b32_e32 v31, 1, v2
	ds_read2st64_b64 v[10:13], v30 offset0:36 offset1:40
	ds_read2st64_b64 v[14:17], v31 offset0:36 offset1:40
	s_add_i32 s25, s0, s52
	s_mul_i32 s0, s49, s27
	s_mul_hi_u32 s1, s49, s26
	s_ashr_i32 s2, s22, 31
	s_mul_i32 s3, s22, s11
	s_mul_hi_u32 s14, s22, s10
	s_waitcnt lgkmcnt(2)
	v_mfma_f32_16x16x16_bf16 a[4:7], v[22:23], v[6:7], a[4:7]
	s_add_i32 s0, s1, s0
	s_mul_i32 s1, s37, s26
	s_add_i32 s3, s14, s3
	s_mul_i32 s2, s2, s10
	s_waitcnt lgkmcnt(1)
	v_mfma_f32_16x16x16_bf16 a[8:11], v[22:23], v[10:11], a[8:11]
	s_add_i32 s1, s0, s1
	s_add_i32 s3, s3, s2
	s_lshl_b64 s[14:15], s[24:25], 2
	s_waitcnt lgkmcnt(0)
	v_mfma_f32_16x16x16_bf16 a[12:15], v[22:23], v[14:15], a[12:15]
	s_mul_i32 s0, s49, s26
	s_add_u32 s14, s18, s14
	s_addc_u32 s15, s19, s15
	s_lshl_b64 s[0:1], s[0:1], 2
	v_mfma_f32_16x16x16_bf16 a[0:3], v[36:37], v[4:5], a[0:3]
	s_mul_i32 s2, s22, s10
	ds_read_b64 v[2:3], v28 offset:22528
	s_add_u32 s18, s14, s0
	v_mfma_f32_16x16x16_bf16 a[4:7], v[36:37], v[8:9], a[4:7]
	ds_read_b64 v[4:5], v29 offset:22528
	ds_read_b64 v[6:7], v30 offset:22528
	;; [unrolled: 1-line block ×3, first 2 shown]
	s_addc_u32 s19, s15, s1
	s_lshl_b64 s[0:1], s[2:3], 2
	v_mfma_f32_16x16x16_bf16 a[8:11], v[36:37], v[12:13], a[8:11]
	s_add_u32 s0, s18, s0
	s_addc_u32 s1, s19, s1
	s_load_dword s20, s[0:1], 0x0
	v_mfma_f32_16x16x16_bf16 a[12:15], v[36:37], v[16:17], a[12:15]
	s_and_b64 vcc, exec, s[44:45]
	s_waitcnt lgkmcnt(0)
	v_mfma_f32_16x16x16_bf16 a[0:3], v[38:39], v[2:3], a[0:3]
	v_mfma_f32_16x16x16_bf16 a[4:7], v[38:39], v[4:5], a[4:7]
	;; [unrolled: 1-line block ×4, first 2 shown]
	s_cbranch_vccz .LBB69_43
; %bb.33:
	v_lshlrev_b32_e32 v22, 1, v19
	s_and_b64 vcc, exec, s[4:5]
	s_cbranch_vccz .LBB69_44
; %bb.34:
	v_cmp_gt_i32_e32 vcc, s58, v22
	v_mov_b32_e32 v6, 0
	v_mov_b32_e32 v2, 0
	;; [unrolled: 1-line block ×5, first 2 shown]
	s_and_saveexec_b64 s[0:1], vcc
	s_cbranch_execz .LBB69_36
; %bb.35:
	v_mad_i64_i32 v[2:3], s[2:3], s23, v22, 0
	v_lshl_add_u64 v[2:3], v[2:3], 1, s[12:13]
	v_lshlrev_b32_e32 v4, 1, v20
	v_mov_b32_e32 v5, 0
	v_lshl_add_u64 v[2:3], v[2:3], 0, v[4:5]
	global_load_dwordx4 v[2:5], v[2:3], off
.LBB69_36:
	s_or_b64 exec, exec, s[0:1]
	v_or_b32_e32 v23, 1, v22
	v_cmp_gt_i32_e64 s[0:1], s58, v23
	v_mov_b32_e32 v7, 0
	v_mov_b32_e32 v8, 0
	;; [unrolled: 1-line block ×3, first 2 shown]
	s_and_saveexec_b64 s[2:3], s[0:1]
	s_cbranch_execz .LBB69_38
; %bb.37:
	v_mad_i64_i32 v[6:7], s[14:15], s23, v23, 0
	v_lshl_add_u64 v[6:7], v[6:7], 1, s[12:13]
	v_lshlrev_b32_e32 v8, 1, v20
	v_mov_b32_e32 v9, 0
	v_lshl_add_u64 v[6:7], v[6:7], 0, v[8:9]
	global_load_dwordx4 v[6:9], v[6:7], off
.LBB69_38:
	s_or_b64 exec, exec, s[2:3]
	v_mov_b32_e32 v17, 0
	v_mov_b32_e32 v10, 0
	;; [unrolled: 1-line block ×5, first 2 shown]
	s_and_saveexec_b64 s[2:3], vcc
	s_cbranch_execz .LBB69_40
; %bb.39:
	v_mad_i64_i32 v[10:11], s[14:15], s23, v22, 0
	v_lshl_add_u64 v[10:11], v[10:11], 1, s[12:13]
	v_lshlrev_b32_e32 v12, 1, v20
	v_mov_b32_e32 v13, 0
	v_lshl_add_u64 v[10:11], v[10:11], 0, v[12:13]
	global_load_dwordx4 v[10:13], v[10:11], off offset:128
.LBB69_40:
	s_or_b64 exec, exec, s[2:3]
	v_mov_b32_e32 v16, 0
	v_mov_b32_e32 v15, 0
	;; [unrolled: 1-line block ×3, first 2 shown]
	s_and_saveexec_b64 s[2:3], s[0:1]
	s_cbranch_execz .LBB69_42
; %bb.41:
	v_mad_i64_i32 v[14:15], s[0:1], s23, v23, 0
	v_lshl_add_u64 v[14:15], v[14:15], 1, s[12:13]
	v_lshlrev_b32_e32 v16, 1, v20
	v_mov_b32_e32 v17, 0
	v_lshl_add_u64 v[14:15], v[14:15], 0, v[16:17]
	global_load_dwordx4 v[14:17], v[14:15], off offset:128
.LBB69_42:
	s_or_b64 exec, exec, s[2:3]
	s_branch .LBB69_46
.LBB69_43:
                                        ; implicit-def: $vgpr5
                                        ; implicit-def: $vgpr9
                                        ; implicit-def: $vgpr13
                                        ; implicit-def: $vgpr17
	v_lshrrev_b32_e32 v36, 2, v87
	s_branch .LBB69_47
.LBB69_44:
                                        ; implicit-def: $vgpr5
                                        ; implicit-def: $vgpr9
                                        ; implicit-def: $vgpr13
                                        ; implicit-def: $vgpr17
	s_cbranch_execz .LBB69_46
; %bb.45:
	s_waitcnt vmcnt(0)
	v_mad_u64_u32 v[2:3], s[0:1], v22, s23, v[20:21]
	v_lshlrev_b32_e32 v22, 1, v2
	s_lshl_b32 s2, s23, 7
	s_and_b32 s1, s13, 0xffff
	s_mov_b32 s3, 0x20000
	s_mov_b32 s0, s12
	v_add_lshl_u32 v23, v2, s23, 1
	s_movk_i32 s14, 0x80
	buffer_load_dwordx4 v[2:5], v22, s[0:3], 0 offen
	buffer_load_dwordx4 v[10:13], v22, s[0:3], s14 offen
	;; [unrolled: 1-line block ×4, first 2 shown]
.LBB69_46:
	v_lshrrev_b32_e32 v36, 2, v87
	s_cbranch_execnz .LBB69_59
.LBB69_47:
	s_and_b64 vcc, exec, s[4:5]
	s_cbranch_vccz .LBB69_57
; %bb.48:
	s_waitcnt vmcnt(0)
	v_lshlrev_b32_e32 v7, 1, v19
	v_cmp_gt_i32_e32 vcc, s58, v7
	v_mov_b32_e32 v6, 0
	v_lshlrev_b32_e32 v14, 9, v19
	v_mov_b32_e32 v2, 0
	v_mov_b32_e32 v3, 0
	;; [unrolled: 1-line block ×4, first 2 shown]
	s_and_saveexec_b64 s[0:1], vcc
	s_cbranch_execz .LBB69_50
; %bb.49:
	v_mov_b32_e32 v15, 0
	v_lshl_add_u64 v[2:3], s[12:13], 0, v[14:15]
	v_lshlrev_b32_e32 v4, 1, v20
	v_mov_b32_e32 v5, v15
	v_lshl_add_u64 v[2:3], v[2:3], 0, v[4:5]
	global_load_dwordx4 v[2:5], v[2:3], off
.LBB69_50:
	s_or_b64 exec, exec, s[0:1]
	v_or_b32_e32 v7, 1, v7
	v_cmp_gt_i32_e64 s[0:1], s58, v7
	v_lshlrev_b32_e32 v22, 8, v7
	v_mov_b32_e32 v7, 0
	v_mov_b32_e32 v8, 0
	v_mov_b32_e32 v9, 0
	s_and_saveexec_b64 s[2:3], s[0:1]
	s_cbranch_execz .LBB69_52
; %bb.51:
	v_mov_b32_e32 v23, 0
	v_lshl_add_u64 v[6:7], s[12:13], 0, v[22:23]
	v_lshlrev_b32_e32 v8, 1, v20
	v_mov_b32_e32 v9, v23
	v_lshl_add_u64 v[6:7], v[6:7], 0, v[8:9]
	global_load_dwordx4 v[6:9], v[6:7], off
.LBB69_52:
	s_or_b64 exec, exec, s[2:3]
	v_mov_b32_e32 v17, 0
	v_mov_b32_e32 v10, 0
	;; [unrolled: 1-line block ×5, first 2 shown]
	s_and_saveexec_b64 s[2:3], vcc
	s_cbranch_execz .LBB69_54
; %bb.53:
	v_mov_b32_e32 v15, 0
	v_lshl_add_u64 v[10:11], s[12:13], 0, v[14:15]
	v_lshlrev_b32_e32 v14, 1, v20
	v_lshl_add_u64 v[10:11], v[10:11], 0, v[14:15]
	global_load_dwordx4 v[10:13], v[10:11], off offset:128
.LBB69_54:
	s_or_b64 exec, exec, s[2:3]
	v_mov_b32_e32 v16, 0
	v_mov_b32_e32 v15, 0
	;; [unrolled: 1-line block ×3, first 2 shown]
	s_and_saveexec_b64 s[2:3], s[0:1]
	s_cbranch_execz .LBB69_56
; %bb.55:
	v_mov_b32_e32 v23, 0
	v_lshl_add_u64 v[14:15], s[12:13], 0, v[22:23]
	v_lshlrev_b32_e32 v22, 1, v20
	v_lshl_add_u64 v[14:15], v[14:15], 0, v[22:23]
	global_load_dwordx4 v[14:17], v[14:15], off offset:128
.LBB69_56:
	s_or_b64 exec, exec, s[2:3]
	s_branch .LBB69_59
.LBB69_57:
                                        ; implicit-def: $vgpr5
                                        ; implicit-def: $vgpr9
                                        ; implicit-def: $vgpr13
                                        ; implicit-def: $vgpr17
	s_cbranch_execz .LBB69_59
; %bb.58:
	s_waitcnt vmcnt(0)
	v_lshlrev_b32_e32 v2, 1, v20
	v_lshl_or_b32 v20, v19, 9, v2
	s_and_b32 s13, s13, 0xffff
	s_mov_b32 s15, 0x20000
	s_movk_i32 s14, 0x4000
	s_movk_i32 s0, 0x80
	buffer_load_dwordx4 v[2:5], v20, s[12:15], 0 offen
	buffer_load_dwordx4 v[6:9], v20, s[12:15], 0 offen offset:256
	buffer_load_dwordx4 v[10:13], v20, s[12:15], s0 offen
	buffer_load_dwordx4 v[14:17], v20, s[12:15], s0 offen offset:256
.LBB69_59:
	ds_read_b64 v[22:23], v32 offset:57344
	v_add_u32_e32 v20, 0x6000, v28
	ds_read2_b64 v[38:41], v20 offset1:16
	ds_read_b64 v[82:83], v33 offset:57344
	ds_read_b64 v[84:85], v34 offset:57344
	ds_read_b64 v[88:89], v35 offset:57344
	ds_read2_b64 v[32:35], v20 offset0:32 offset1:48
	v_and_b32_e32 v20, 12, v36
	v_and_b32_e32 v44, 6, v0
	v_xor_b32_e32 v19, v19, v44
	v_lshlrev_b32_e32 v19, 2, v19
	s_mov_b32 s0, 0x1000504
	s_waitcnt lgkmcnt(4)
	v_mfma_f32_16x16x16_bf16 a[4:7], v[22:23], v[40:41], a[4:7]
	s_mov_b32 s1, 0x3020706
	v_mfma_f32_16x16x16_bf16 a[0:3], v[22:23], v[38:39], a[0:3]
	ds_read2st64_b64 v[36:39], v28 offset0:52 offset1:56
	s_waitcnt lgkmcnt(1)
	v_mfma_f32_16x16x16_bf16 a[8:11], v[22:23], v[32:33], a[8:11]
	v_mfma_f32_16x16x16_bf16 a[12:15], v[22:23], v[34:35], a[12:15]
	ds_read2st64_b64 v[32:35], v29 offset0:52 offset1:56
	ds_read2st64_b64 v[40:43], v30 offset0:52 offset1:56
	;; [unrolled: 1-line block ×3, first 2 shown]
	s_waitcnt lgkmcnt(2)
	v_mfma_f32_16x16x16_bf16 a[4:7], v[82:83], v[32:33], a[4:7]
	v_and_b32_e32 v32, 1, v0
	v_xor_b32_e32 v33, 0x440, v19
	v_cmp_eq_u32_e32 vcc, 0, v32
	v_mfma_f32_16x16x16_bf16 a[0:3], v[82:83], v[36:37], a[0:3]
	s_waitcnt vmcnt(0)
	v_perm_b32 v32, v2, v6, s0
	v_cndmask_b32_e32 v19, v33, v19, vcc
	v_lshl_or_b32 v19, v44, 10, v19
	s_waitcnt lgkmcnt(1)
	v_mfma_f32_16x16x16_bf16 a[8:11], v[82:83], v[40:41], a[8:11]
	v_perm_b32 v33, v10, v14, s0
	ds_read_b64 v[22:23], v28 offset:30720
	ds_read_b64 v[36:37], v29 offset:30720
	;; [unrolled: 1-line block ×4, first 2 shown]
	ds_write2st64_b32 v19, v32, v33 offset0:128 offset1:160
	s_waitcnt lgkmcnt(5)
	v_mfma_f32_16x16x16_bf16 a[12:15], v[82:83], v[78:79], a[12:15]
	v_xor_b32_e32 v32, 8, v19
	v_perm_b32 v2, v2, v6, s1
	v_perm_b32 v6, v10, v14, s1
	v_add_u32_e32 v10, 0x80, v32
	ds_write2st64_b32 v10, v2, v6 offset0:128 offset1:160
	v_xor_b32_e32 v2, 16, v19
	v_perm_b32 v6, v3, v7, s0
	v_perm_b32 v10, v11, v15, s0
	v_mfma_f32_16x16x16_bf16 a[0:3], v[84:85], v[38:39], a[0:3]
	ds_write2st64_b32 v2, v6, v10 offset0:129 offset1:161
	v_xor_b32_e32 v2, 24, v19
	v_perm_b32 v3, v3, v7, s1
	v_mfma_f32_16x16x16_bf16 a[4:7], v[84:85], v[34:35], a[4:7]
	v_perm_b32 v6, v11, v15, s1
	v_add_u32_e32 v2, 0x80, v2
	ds_write2st64_b32 v2, v3, v6 offset0:129 offset1:161
	v_mfma_f32_16x16x16_bf16 a[16:19], v[84:85], v[42:43], a[8:11]
	v_xor_b32_e32 v2, 32, v19
	v_perm_b32 v3, v4, v8, s0
	v_perm_b32 v6, v12, v16, s0
	v_mfma_f32_16x16x16_bf16 a[20:23], v[84:85], v[80:81], a[12:15]
	ds_write2st64_b32 v2, v3, v6 offset0:130 offset1:162
	v_xor_b32_e32 v2, 40, v19
	v_perm_b32 v3, v4, v8, s1
	s_waitcnt lgkmcnt(8)
	v_mfma_f32_16x16x16_bf16 a[12:15], v[88:89], v[22:23], a[0:3]
	v_perm_b32 v4, v12, v16, s1
	v_add_u32_e32 v2, 0x80, v2
	ds_write2st64_b32 v2, v3, v4 offset0:130 offset1:162
	s_waitcnt lgkmcnt(8)
	v_mfma_f32_16x16x16_bf16 a[8:11], v[88:89], v[36:37], a[4:7]
	v_xor_b32_e32 v2, 48, v19
	v_perm_b32 v3, v5, v9, s0
	v_perm_b32 v4, v13, v17, s0
	s_waitcnt lgkmcnt(7)
	v_mfma_f32_16x16x16_bf16 a[4:7], v[88:89], v[90:91], a[16:19]
	ds_write2st64_b32 v2, v3, v4 offset0:131 offset1:163
	v_xor_b32_e32 v2, 56, v19
	v_or_b32_e32 v22, v20, v86
	s_waitcnt lgkmcnt(7)
	v_mfma_f32_16x16x16_bf16 a[0:3], v[88:89], v[92:93], a[20:23]
	v_perm_b32 v3, v5, v9, s1
	v_perm_b32 v4, v13, v17, s1
	v_add_u32_e32 v2, 0x80, v2
	v_cmp_gt_i32_e64 s[0:1], s58, v22
	v_mov_b32_e32 v32, 0
	v_mov_b32_e32 v33, 0
	ds_write2st64_b32 v2, v3, v4 offset0:131 offset1:163
	s_and_saveexec_b64 s[2:3], s[0:1]
	s_cbranch_execz .LBB69_61
; %bb.60:
	v_add_u32_e32 v2, s36, v22
	v_ashrrev_i32_e32 v3, 31, v2
	v_mul_lo_u32 v4, v3, s10
	v_mul_lo_u32 v5, v2, s11
	v_mad_u64_u32 v[2:3], s[4:5], v2, s10, 0
	v_add3_u32 v3, v3, v5, v4
	v_lshl_add_u64 v[2:3], v[2:3], 2, s[18:19]
	global_load_dword v2, v[2:3], off
	s_waitcnt vmcnt(0)
	v_sub_f32_e32 v2, s20, v2
	v_mul_f32_e32 v2, 0x3fb8aa3b, v2
	v_exp_f32_e32 v33, v2
.LBB69_61:
	s_or_b64 exec, exec, s[2:3]
	v_or_b32_e32 v11, 1, v22
	v_cmp_gt_i32_e64 s[2:3], s58, v11
	s_and_saveexec_b64 s[4:5], s[2:3]
	s_cbranch_execz .LBB69_63
; %bb.62:
	v_add_u32_e32 v2, s36, v11
	v_ashrrev_i32_e32 v3, 31, v2
	v_mul_lo_u32 v4, v3, s10
	v_mul_lo_u32 v5, v2, s11
	v_mad_u64_u32 v[2:3], s[12:13], v2, s10, 0
	v_add3_u32 v3, v3, v5, v4
	v_lshl_add_u64 v[2:3], v[2:3], 2, s[18:19]
	global_load_dword v2, v[2:3], off
	s_waitcnt vmcnt(0)
	v_sub_f32_e32 v2, s20, v2
	v_mul_f32_e32 v2, 0x3fb8aa3b, v2
	v_exp_f32_e32 v32, v2
.LBB69_63:
	s_or_b64 exec, exec, s[4:5]
	v_or_b32_e32 v10, 2, v22
	v_cmp_gt_i32_e64 s[4:5], s58, v10
	v_mov_b32_e32 v23, 0
	v_mov_b32_e32 v34, 0
	s_and_saveexec_b64 s[12:13], s[4:5]
	s_cbranch_execz .LBB69_65
; %bb.64:
	v_add_u32_e32 v2, s36, v10
	v_ashrrev_i32_e32 v3, 31, v2
	v_mul_lo_u32 v4, v3, s10
	v_mul_lo_u32 v5, v2, s11
	v_mad_u64_u32 v[2:3], s[14:15], v2, s10, 0
	v_add3_u32 v3, v3, v5, v4
	v_lshl_add_u64 v[2:3], v[2:3], 2, s[18:19]
	global_load_dword v2, v[2:3], off
	s_waitcnt vmcnt(0)
	v_sub_f32_e32 v2, s20, v2
	v_mul_f32_e32 v2, 0x3fb8aa3b, v2
	v_exp_f32_e32 v34, v2
.LBB69_65:
	s_or_b64 exec, exec, s[12:13]
	v_or_b32_e32 v35, 3, v22
	v_cmp_gt_i32_e32 vcc, s58, v35
	s_and_saveexec_b64 s[12:13], vcc
	s_cbranch_execz .LBB69_67
; %bb.66:
	v_add_u32_e32 v2, s36, v35
	v_ashrrev_i32_e32 v3, 31, v2
	v_mul_lo_u32 v4, v3, s10
	v_mul_lo_u32 v5, v2, s11
	v_mad_u64_u32 v[2:3], s[10:11], v2, s10, 0
	v_add3_u32 v3, v3, v5, v4
	v_lshl_add_u64 v[2:3], v[2:3], 2, s[18:19]
	global_load_dword v2, v[2:3], off
	s_waitcnt vmcnt(0)
	v_sub_f32_e32 v2, s20, v2
	v_mul_f32_e32 v2, 0x3fb8aa3b, v2
	v_exp_f32_e32 v23, v2
.LBB69_67:
	s_or_b64 exec, exec, s[12:13]
	s_add_u32 s10, s16, s38
	s_addc_u32 s11, s17, s39
	s_add_u32 s6, s6, s38
	v_ashrrev_i32_e32 v19, 31, v18
	v_accvgpr_read_b32 v2, a12
	s_addc_u32 s7, s7, s39
	v_lshlrev_b64 v[6:7], 1, v[18:19]
	v_accvgpr_read_b32 v3, a13
	v_accvgpr_read_b32 v4, a14
	;; [unrolled: 1-line block ×3, first 2 shown]
	v_lshl_add_u64 v[8:9], s[10:11], 0, v[6:7]
	v_lshl_add_u64 v[6:7], s[6:7], 0, v[6:7]
	v_mov_b32_e32 v15, 0
	v_lshlrev_b32_e32 v12, 8, v22
	v_mov_b32_e32 v13, 0
	s_and_saveexec_b64 s[6:7], s[0:1]
	s_cbranch_execz .LBB69_69
; %bb.68:
	v_mov_b32_e32 v13, 0
	v_lshl_add_u64 v[16:17], v[8:9], 0, v[12:13]
	global_load_ushort v14, v[16:17], off
	v_lshl_add_u64 v[16:17], v[6:7], 0, v[12:13]
	s_waitcnt vmcnt(0)
	v_lshlrev_b32_e32 v13, 16, v14
	v_sub_f32_e32 v2, v13, v2
	global_store_short_d16_hi v[16:17], v2, off
	v_mul_f32_e32 v2, v33, v2
	v_lshrrev_b32_e32 v13, 16, v2
.LBB69_69:
	s_or_b64 exec, exec, s[6:7]
	v_lshlrev_b32_e32 v14, 8, v11
	s_and_saveexec_b64 s[6:7], s[2:3]
	s_cbranch_execz .LBB69_71
; %bb.70:
	v_mov_b32_e32 v15, 0
	v_lshl_add_u64 v[16:17], v[8:9], 0, v[14:15]
	global_load_ushort v2, v[16:17], off
	v_lshl_add_u64 v[16:17], v[6:7], 0, v[14:15]
	s_waitcnt vmcnt(0)
	v_lshlrev_b32_e32 v2, 16, v2
	v_sub_f32_e32 v2, v2, v3
	global_store_short_d16_hi v[16:17], v2, off
	v_mul_f32_e32 v2, v32, v2
	v_lshrrev_b32_e32 v15, 16, v2
.LBB69_71:
	s_or_b64 exec, exec, s[6:7]
	v_mov_b32_e32 v11, 0
	v_lshlrev_b32_e32 v16, 8, v10
	v_mov_b32_e32 v17, 0
	s_and_saveexec_b64 s[6:7], s[4:5]
	s_cbranch_execz .LBB69_73
; %bb.72:
	v_mov_b32_e32 v17, 0
	v_lshl_add_u64 v[2:3], v[8:9], 0, v[16:17]
	global_load_ushort v10, v[2:3], off
	v_lshl_add_u64 v[2:3], v[6:7], 0, v[16:17]
	s_waitcnt vmcnt(0)
	v_lshlrev_b32_e32 v10, 16, v10
	v_sub_f32_e32 v4, v10, v4
	global_store_short_d16_hi v[2:3], v4, off
	v_mul_f32_e32 v2, v34, v4
	v_lshrrev_b32_e32 v17, 16, v2
.LBB69_73:
	s_or_b64 exec, exec, s[6:7]
	v_lshlrev_b32_e32 v10, 8, v35
	s_and_saveexec_b64 s[6:7], vcc
	s_cbranch_execz .LBB69_75
; %bb.74:
	v_mov_b32_e32 v11, 0
	v_lshl_add_u64 v[2:3], v[8:9], 0, v[10:11]
	global_load_ushort v4, v[2:3], off
	v_lshl_add_u64 v[2:3], v[6:7], 0, v[10:11]
	s_waitcnt vmcnt(0)
	v_lshlrev_b32_e32 v4, 16, v4
	v_sub_f32_e32 v4, v4, v5
	global_store_short_d16_hi v[2:3], v4, off
	v_mul_f32_e32 v2, v23, v4
	v_lshrrev_b32_e32 v11, 16, v2
.LBB69_75:
	s_or_b64 exec, exec, s[6:7]
	v_lshlrev_b32_e32 v19, 6, v22
	s_mov_b32 s6, 0x5040100
	v_accvgpr_read_b32 v2, a8
	v_perm_b32 v37, v11, v17, s6
	v_or_b32_e32 v11, v19, v27
	v_accvgpr_read_b32 v3, a9
	v_accvgpr_read_b32 v4, a10
	;; [unrolled: 1-line block ×3, first 2 shown]
	v_perm_b32 v36, v15, v13, s6
	v_lshlrev_b32_e32 v11, 1, v11
	v_mov_b32_e32 v15, 0
	v_mov_b32_e32 v13, 0
	ds_write_b64 v11, v[36:37] offset:24576
	s_and_saveexec_b64 s[6:7], s[0:1]
	s_cbranch_execz .LBB69_77
; %bb.76:
	v_mov_b32_e32 v13, 0
	v_lshl_add_u64 v[36:37], v[8:9], 0, v[12:13]
	global_load_ushort v11, v[36:37], off offset:32
	v_lshl_add_u64 v[36:37], v[6:7], 0, v[12:13]
	s_waitcnt vmcnt(0)
	v_lshlrev_b32_e32 v11, 16, v11
	v_sub_f32_e32 v2, v11, v2
	global_store_short_d16_hi v[36:37], v2, off offset:32
	v_mul_f32_e32 v2, v33, v2
	v_lshrrev_b32_e32 v13, 16, v2
.LBB69_77:
	s_or_b64 exec, exec, s[6:7]
	s_and_saveexec_b64 s[6:7], s[2:3]
	s_cbranch_execz .LBB69_79
; %bb.78:
	v_mov_b32_e32 v15, 0
	v_lshl_add_u64 v[36:37], v[8:9], 0, v[14:15]
	global_load_ushort v2, v[36:37], off offset:32
	v_lshl_add_u64 v[36:37], v[6:7], 0, v[14:15]
	s_waitcnt vmcnt(0)
	v_lshlrev_b32_e32 v2, 16, v2
	v_sub_f32_e32 v2, v2, v3
	global_store_short_d16_hi v[36:37], v2, off offset:32
	v_mul_f32_e32 v2, v32, v2
	v_lshrrev_b32_e32 v15, 16, v2
.LBB69_79:
	s_or_b64 exec, exec, s[6:7]
	v_mov_b32_e32 v11, 0
	v_mov_b32_e32 v17, 0
	s_and_saveexec_b64 s[6:7], s[4:5]
	s_cbranch_execz .LBB69_81
; %bb.80:
	v_mov_b32_e32 v17, 0
	v_lshl_add_u64 v[2:3], v[8:9], 0, v[16:17]
	global_load_ushort v27, v[2:3], off offset:32
	v_lshl_add_u64 v[2:3], v[6:7], 0, v[16:17]
	s_waitcnt vmcnt(0)
	v_lshlrev_b32_e32 v17, 16, v27
	v_sub_f32_e32 v4, v17, v4
	global_store_short_d16_hi v[2:3], v4, off offset:32
	v_mul_f32_e32 v2, v34, v4
	v_lshrrev_b32_e32 v17, 16, v2
.LBB69_81:
	s_or_b64 exec, exec, s[6:7]
	s_and_saveexec_b64 s[6:7], vcc
	s_cbranch_execz .LBB69_83
; %bb.82:
	v_mov_b32_e32 v11, 0
	v_lshl_add_u64 v[2:3], v[8:9], 0, v[10:11]
	global_load_ushort v4, v[2:3], off offset:32
	v_lshl_add_u64 v[2:3], v[6:7], 0, v[10:11]
	s_waitcnt vmcnt(0)
	v_lshlrev_b32_e32 v4, 16, v4
	v_sub_f32_e32 v4, v4, v5
	global_store_short_d16_hi v[2:3], v4, off offset:32
	v_mul_f32_e32 v2, v23, v4
	v_lshrrev_b32_e32 v11, 16, v2
.LBB69_83:
	s_or_b64 exec, exec, s[6:7]
	s_mov_b32 s6, 0x5040100
	v_accvgpr_read_b32 v2, a4
	v_perm_b32 v37, v11, v17, s6
	v_or_b32_e32 v11, v19, v25
	v_accvgpr_read_b32 v3, a5
	v_accvgpr_read_b32 v4, a6
	;; [unrolled: 1-line block ×3, first 2 shown]
	v_perm_b32 v36, v15, v13, s6
	v_lshlrev_b32_e32 v11, 1, v11
	v_mov_b32_e32 v15, 0
	v_mov_b32_e32 v13, 0
	ds_write_b64 v11, v[36:37] offset:24576
	s_and_saveexec_b64 s[6:7], s[0:1]
	s_cbranch_execz .LBB69_85
; %bb.84:
	v_mov_b32_e32 v13, 0
	v_lshl_add_u64 v[36:37], v[8:9], 0, v[12:13]
	global_load_ushort v11, v[36:37], off offset:64
	v_lshl_add_u64 v[36:37], v[6:7], 0, v[12:13]
	s_waitcnt vmcnt(0)
	v_lshlrev_b32_e32 v11, 16, v11
	v_sub_f32_e32 v2, v11, v2
	global_store_short_d16_hi v[36:37], v2, off offset:64
	v_mul_f32_e32 v2, v33, v2
	v_lshrrev_b32_e32 v13, 16, v2
.LBB69_85:
	s_or_b64 exec, exec, s[6:7]
	s_and_saveexec_b64 s[6:7], s[2:3]
	s_cbranch_execz .LBB69_87
; %bb.86:
	v_mov_b32_e32 v15, 0
	v_lshl_add_u64 v[36:37], v[8:9], 0, v[14:15]
	global_load_ushort v2, v[36:37], off offset:64
	v_lshl_add_u64 v[36:37], v[6:7], 0, v[14:15]
	s_waitcnt vmcnt(0)
	v_lshlrev_b32_e32 v2, 16, v2
	v_sub_f32_e32 v2, v2, v3
	global_store_short_d16_hi v[36:37], v2, off offset:64
	v_mul_f32_e32 v2, v32, v2
	v_lshrrev_b32_e32 v15, 16, v2
.LBB69_87:
	s_or_b64 exec, exec, s[6:7]
	v_mov_b32_e32 v11, 0
	v_mov_b32_e32 v17, 0
	s_and_saveexec_b64 s[6:7], s[4:5]
	s_cbranch_execz .LBB69_89
; %bb.88:
	v_mov_b32_e32 v17, 0
	v_lshl_add_u64 v[2:3], v[8:9], 0, v[16:17]
	global_load_ushort v25, v[2:3], off offset:64
	v_lshl_add_u64 v[2:3], v[6:7], 0, v[16:17]
	s_waitcnt vmcnt(0)
	v_lshlrev_b32_e32 v17, 16, v25
	v_sub_f32_e32 v4, v17, v4
	global_store_short_d16_hi v[2:3], v4, off offset:64
	v_mul_f32_e32 v2, v34, v4
	v_lshrrev_b32_e32 v17, 16, v2
.LBB69_89:
	s_or_b64 exec, exec, s[6:7]
	s_and_saveexec_b64 s[6:7], vcc
	s_cbranch_execz .LBB69_91
; %bb.90:
	v_mov_b32_e32 v11, 0
	v_lshl_add_u64 v[2:3], v[8:9], 0, v[10:11]
	global_load_ushort v4, v[2:3], off offset:64
	v_lshl_add_u64 v[2:3], v[6:7], 0, v[10:11]
	s_waitcnt vmcnt(0)
	v_lshlrev_b32_e32 v4, 16, v4
	v_sub_f32_e32 v4, v4, v5
	global_store_short_d16_hi v[2:3], v4, off offset:64
	v_mul_f32_e32 v2, v23, v4
	v_lshrrev_b32_e32 v11, 16, v2
.LBB69_91:
	s_or_b64 exec, exec, s[6:7]
	s_mov_b32 s6, 0x5040100
	v_accvgpr_read_b32 v5, a3
	v_perm_b32 v37, v11, v17, s6
	v_or_b32_e32 v11, v19, v24
	v_accvgpr_read_b32 v4, a2
	v_accvgpr_read_b32 v3, a1
	;; [unrolled: 1-line block ×3, first 2 shown]
	v_perm_b32 v36, v15, v13, s6
	v_lshlrev_b32_e32 v11, 1, v11
	v_mov_b32_e32 v15, 0
	v_mov_b32_e32 v13, 0
	ds_write_b64 v11, v[36:37] offset:24576
	s_and_saveexec_b64 s[6:7], s[0:1]
	s_cbranch_execz .LBB69_93
; %bb.92:
	v_mov_b32_e32 v13, 0
	v_lshl_add_u64 v[24:25], v[8:9], 0, v[12:13]
	global_load_ushort v11, v[24:25], off offset:96
	v_lshl_add_u64 v[12:13], v[6:7], 0, v[12:13]
	s_waitcnt vmcnt(0)
	v_lshlrev_b32_e32 v11, 16, v11
	v_sub_f32_e32 v2, v11, v2
	global_store_short_d16_hi v[12:13], v2, off offset:96
	v_mul_f32_e32 v2, v33, v2
	v_lshrrev_b32_e32 v13, 16, v2
.LBB69_93:
	s_or_b64 exec, exec, s[6:7]
	s_and_saveexec_b64 s[0:1], s[2:3]
	s_cbranch_execz .LBB69_95
; %bb.94:
	v_mov_b32_e32 v15, 0
	v_lshl_add_u64 v[24:25], v[8:9], 0, v[14:15]
	global_load_ushort v2, v[24:25], off offset:96
	v_lshl_add_u64 v[14:15], v[6:7], 0, v[14:15]
	s_waitcnt vmcnt(0)
	v_lshlrev_b32_e32 v2, 16, v2
	v_sub_f32_e32 v2, v2, v3
	global_store_short_d16_hi v[14:15], v2, off offset:96
	v_mul_f32_e32 v2, v32, v2
	v_lshrrev_b32_e32 v15, 16, v2
.LBB69_95:
	s_or_b64 exec, exec, s[0:1]
	v_mov_b32_e32 v11, 0
	v_mov_b32_e32 v14, 0
	s_and_saveexec_b64 s[0:1], s[4:5]
	s_cbranch_execz .LBB69_97
; %bb.96:
	v_mov_b32_e32 v17, 0
	v_lshl_add_u64 v[2:3], v[8:9], 0, v[16:17]
	global_load_ushort v12, v[2:3], off offset:96
	v_lshl_add_u64 v[2:3], v[6:7], 0, v[16:17]
	s_waitcnt vmcnt(0)
	v_lshlrev_b32_e32 v12, 16, v12
	v_sub_f32_e32 v4, v12, v4
	global_store_short_d16_hi v[2:3], v4, off offset:96
	v_mul_f32_e32 v2, v34, v4
	v_lshrrev_b32_e32 v14, 16, v2
.LBB69_97:
	s_or_b64 exec, exec, s[0:1]
	v_or_b32_e32 v12, 0x6000, v28
	v_or_b32_e32 v2, 0x6000, v29
	;; [unrolled: 1-line block ×4, first 2 shown]
	s_and_saveexec_b64 s[0:1], vcc
	s_cbranch_execz .LBB69_99
; %bb.98:
	v_mov_b32_e32 v11, 0
	v_lshl_add_u64 v[8:9], v[8:9], 0, v[10:11]
	global_load_ushort v8, v[8:9], off offset:96
	v_lshl_add_u64 v[6:7], v[6:7], 0, v[10:11]
	s_waitcnt vmcnt(0)
	v_lshlrev_b32_e32 v8, 16, v8
	v_sub_f32_e32 v5, v8, v5
	global_store_short_d16_hi v[6:7], v5, off offset:96
	v_mul_f32_e32 v5, v23, v5
	v_lshrrev_b32_e32 v11, 16, v5
.LBB69_99:
	s_or_b64 exec, exec, s[0:1]
	s_mov_b32 s0, 0x5040100
	v_or_b32_e32 v5, v19, v21
	v_perm_b32 v7, v11, v14, s0
	v_perm_b32 v6, v15, v13, s0
	v_lshlrev_b32_e32 v5, 1, v5
	ds_write_b64 v5, v[6:7] offset:24576
	v_and_b32_e32 v5, 7, v0
	v_and_b32_e32 v10, 8, v0
	v_lshlrev_b32_e32 v13, 3, v5
	v_lshlrev_b32_e32 v19, 7, v5
	v_lshrrev_b32_e32 v5, 1, v0
	v_and_b32_e32 v5, 24, v5
	v_mov_b32_e32 v11, 0x400
	v_cmp_eq_u32_e32 vcc, 0, v10
	s_movk_i32 s2, 0x100
	v_lshlrev_b32_e32 v23, 3, v45
	v_cndmask_b32_e64 v21, v11, 64, vcc
	v_mov_b32_e32 v10, 0xa000
	v_mov_b32_e32 v11, 0x8000
	v_cmp_gt_u32_e64 s[0:1], s2, v0
	v_xor_b32_e32 v27, v23, v5
	v_or_b32_e32 v14, 32, v5
	v_cndmask_b32_e64 v0, v10, v11, s[0:1]
	v_or_b32_e32 v10, 0x440, v27
	v_cndmask_b32_e32 v10, v10, v27, vcc
	v_or_b32_e32 v10, v10, v26
	v_xor_b32_e32 v44, v10, v13
	v_xor_b32_e32 v14, v23, v14
	v_add3_u32 v10, v0, v44, v19
	v_or_b32_e32 v15, 0x440, v14
	s_waitcnt lgkmcnt(0)
	s_barrier
	ds_read_b64 v[10:11], v10
	v_cndmask_b32_e32 v14, v15, v14, vcc
	v_or_b32_e32 v14, v14, v26
	v_xor_b32_e32 v82, v14, v13
	v_add3_u32 v14, v0, v82, v19
	ds_read_b64 v[24:25], v14
	ds_read2_b64 v[6:9], v12 offset1:16
	ds_read2_b64 v[14:17], v12 offset0:32 offset1:48
	v_or_b32_e32 v5, 0x60, v5
	v_xor_b32_e32 v5, v23, v5
	s_waitcnt lgkmcnt(1)
	v_mfma_f32_16x16x16_bf16 a[0:3], v[10:11], v[6:7], 0
	s_mul_i32 s0, s22, s21
	ds_read2st64_b64 v[28:31], v12 offset0:4 offset1:8
	ds_read2st64_b64 v[32:35], v2 offset0:4 offset1:8
	v_mfma_f32_16x16x16_bf16 a[4:7], v[10:11], v[8:9], 0
	s_mul_hi_i32 s1, s22, s21
	ds_read2st64_b64 v[36:39], v3 offset0:4 offset1:8
	ds_read2st64_b64 v[40:43], v4 offset0:4 offset1:8
	s_waitcnt lgkmcnt(4)
	v_mfma_f32_16x16x16_bf16 a[8:11], v[10:11], v[14:15], 0
	s_add_u32 s0, s0, s49
	s_addc_u32 s1, s1, s37
	s_lshl_b64 s[0:1], s[0:1], 9
	v_mfma_f32_16x16x16_bf16 a[12:15], v[10:11], v[16:17], 0
	v_or3_b32 v10, v26, v21, v27
	v_xor_b32_e32 v21, 0x440, v5
	v_cndmask_b32_e32 v5, v21, v5, vcc
	v_xor_b32_e32 v10, v10, v13
	v_or_b32_e32 v5, v5, v26
	v_or_b32_e32 v83, v10, v19
	v_xor_b32_e32 v84, v5, v13
	v_or_b32_e32 v10, v0, v83
	v_add3_u32 v0, v0, v84, v19
	s_add_u32 s0, s40, s0
	ds_read_b64 v[10:11], v10
	ds_read_b64 v[26:27], v0
	s_addc_u32 s1, s41, s1
	v_lshlrev_b32_e32 v0, 2, v22
	s_waitcnt lgkmcnt(5)
	v_mfma_f32_16x16x16_bf16 a[0:3], v[24:25], v[28:29], a[0:3]
	ds_read_b64 v[12:13], v12 offset:6144
	s_waitcnt lgkmcnt(5)
	v_mfma_f32_16x16x16_bf16 a[4:7], v[24:25], v[32:33], a[4:7]
	s_waitcnt lgkmcnt(4)
	v_mfma_f32_16x16x16_bf16 a[8:11], v[24:25], v[36:37], a[8:11]
	;; [unrolled: 2-line block ×3, first 2 shown]
	global_load_dwordx4 v[22:25], v0, s[0:1]
	v_lshlrev_b32_e32 v0, 6, v45
	s_waitcnt vmcnt(0)
	v_mul_f32_e32 v22, 0x3fb8aa3b, v22
	s_waitcnt lgkmcnt(2)
	v_mfma_f32_16x16x16_bf16 a[0:3], v[10:11], v[30:31], a[0:3]
	v_mul_f32_e32 v23, 0x3fb8aa3b, v23
	v_exp_f32_e32 v22, v22
	v_exp_f32_e32 v23, v23
	v_mfma_f32_16x16x16_bf16 a[4:7], v[10:11], v[34:35], a[4:7]
	v_mfma_f32_16x16x16_bf16 a[8:11], v[10:11], v[38:39], a[8:11]
	;; [unrolled: 1-line block ×3, first 2 shown]
	ds_read_b64 v[10:11], v2 offset:6144
	ds_read_b64 v[78:79], v3 offset:6144
	ds_read_b64 v[80:81], v4 offset:6144
	v_lshlrev_b32_e32 v2, 2, v20
	v_or3_b32 v0, v0, v2, s2
	global_load_dwordx4 v[2:5], v0, s[0:1]
	v_add_u32_e32 v20, v44, v19
	ds_read_b64 v[20:21], v20 offset:40960
	v_mov_b32_e32 v0, 0x3fb8aa3b
	s_waitcnt lgkmcnt(4)
	v_mfma_f32_16x16x16_bf16 a[0:3], v[26:27], v[12:13], a[0:3]
	v_mul_f32_e32 v0, s20, v0
	v_exp_f32_e32 v0, v0
	s_waitcnt vmcnt(0)
	v_mul_f32_e32 v2, 0x3fb8aa3b, v2
	s_waitcnt lgkmcnt(0)
	v_mfma_f32_16x16x16_bf16 a[16:19], v[20:21], v[6:7], 0
	v_mul_f32_e32 v6, 0x3fb8aa3b, v24
	v_mul_f32_e32 v7, 0x3fb8aa3b, v25
	v_accvgpr_read_b32 v25, a1
	v_mfma_f32_16x16x16_bf16 a[4:7], v[26:27], v[10:11], a[4:7]
	v_exp_f32_e32 v6, v6
	v_exp_f32_e32 v7, v7
	v_accvgpr_read_b32 v24, a0
	v_mfma_f32_16x16x16_bf16 a[8:11], v[26:27], v[78:79], a[8:11]
	v_exp_f32_e32 v2, v2
	v_mfma_f32_16x16x16_bf16 a[12:15], v[26:27], v[80:81], a[12:15]
	v_add_u32_e32 v26, v82, v19
	v_add_u32_e32 v19, v84, v19
	ds_read_b64 v[26:27], v26 offset:40960
	ds_read_b64 v[44:45], v19 offset:40960
	v_mfma_f32_16x16x16_bf16 a[20:23], v[20:21], v[8:9], 0
	v_pk_mul_f32 v[8:9], v[0:1], v[22:23] op_sel_hi:[0,1]
	v_pk_fma_f32 v[74:75], v[74:75], v[8:9], v[24:25]
	ds_read_b64 v[24:25], v83 offset:40960
	v_mfma_f32_16x16x16_bf16 a[24:27], v[20:21], v[14:15], 0
	v_pk_mul_f32 v[14:15], v[0:1], v[6:7] op_sel_hi:[0,1]
	v_accvgpr_read_b32 v7, a3
	v_accvgpr_read_b32 v6, a2
	v_pk_fma_f32 v[76:77], v[76:77], v[14:15], v[6:7]
	v_accvgpr_read_b32 v7, a5
	s_waitcnt lgkmcnt(2)
	v_mfma_f32_16x16x16_bf16 a[16:19], v[26:27], v[28:29], a[16:19]
	v_accvgpr_read_b32 v6, a4
	v_pk_fma_f32 v[66:67], v[8:9], v[66:67], v[6:7]
	v_accvgpr_read_b32 v6, a8
	v_mfma_f32_16x16x16_bf16 a[28:31], v[20:21], v[16:17], 0
	v_accvgpr_read_b32 v7, a9
	v_pk_fma_f32 v[58:59], v[8:9], v[58:59], v[6:7]
	v_accvgpr_read_b32 v6, a12
	v_mfma_f32_16x16x16_bf16 a[20:23], v[26:27], v[32:33], a[20:23]
	v_accvgpr_read_b32 v21, a11
	v_accvgpr_read_b32 v20, a10
	;; [unrolled: 1-line block ×3, first 2 shown]
	v_mfma_f32_16x16x16_bf16 a[0:3], v[26:27], v[36:37], a[24:27]
	v_accvgpr_read_b32 v17, a7
	v_accvgpr_read_b32 v16, a6
	v_accvgpr_read_b32 v23, a15
	s_waitcnt lgkmcnt(0)
	v_mfma_f32_16x16x16_bf16 a[8:11], v[24:25], v[30:31], a[16:19]
	v_accvgpr_read_b32 v22, a14
	v_pk_fma_f32 v[50:51], v[8:9], v[50:51], v[6:7]
	v_mov_b32_e32 v6, v5
	v_mfma_f32_16x16x16_bf16 a[4:7], v[26:27], v[40:41], a[28:31]
	v_mov_b32_e32 v5, v4
	v_mov_b32_e32 v4, v3
	v_mul_f32_e32 v3, 0x3fb8aa3b, v4
	v_mfma_f32_16x16x16_bf16 a[12:15], v[24:25], v[34:35], a[20:23]
	v_mul_f32_e32 v4, 0x3fb8aa3b, v5
	v_mul_f32_e32 v5, 0x3fb8aa3b, v6
	v_exp_f32_e32 v4, v4
	v_mfma_f32_16x16x16_bf16 a[0:3], v[24:25], v[38:39], a[0:3]
	v_exp_f32_e32 v5, v5
	v_exp_f32_e32 v3, v3
	v_pk_fma_f32 v[68:69], v[14:15], v[68:69], v[16:17]
	v_mfma_f32_16x16x16_bf16 a[8:11], v[44:45], v[12:13], a[8:11]
	v_pk_mul_f32 v[4:5], v[0:1], v[4:5] op_sel_hi:[0,1]
	v_pk_mul_f32 v[2:3], v[0:1], v[2:3] op_sel_hi:[0,1]
	v_pk_fma_f32 v[60:61], v[14:15], v[60:61], v[20:21]
	v_mfma_f32_16x16x16_bf16 a[4:7], v[24:25], v[42:43], a[4:7]
	v_pk_fma_f32 v[52:53], v[14:15], v[52:53], v[22:23]
	v_mfma_f32_16x16x16_bf16 a[12:15], v[44:45], v[10:11], a[12:15]
	s_nop 0
	v_accvgpr_read_b32 v7, a11
	v_accvgpr_read_b32 v6, a10
	v_pk_fma_f32 v[72:73], v[72:73], v[4:5], v[6:7]
	v_mfma_f32_16x16x16_bf16 a[0:3], v[44:45], v[78:79], a[0:3]
	v_accvgpr_read_b32 v15, a9
	v_accvgpr_read_b32 v14, a8
	v_pk_fma_f32 v[70:71], v[70:71], v[2:3], v[14:15]
	v_accvgpr_read_b32 v6, a12
	v_accvgpr_read_b32 v7, a13
	v_pk_fma_f32 v[62:63], v[2:3], v[62:63], v[6:7]
	v_accvgpr_read_b32 v9, a15
	v_accvgpr_read_b32 v11, a3
	;; [unrolled: 1-line block ×3, first 2 shown]
	v_mfma_f32_16x16x16_bf16 a[2:5], v[44:45], v[80:81], a[4:7]
	v_accvgpr_read_b32 v7, a1
	v_accvgpr_read_b32 v6, a0
	v_pk_fma_f32 v[56:57], v[2:3], v[56:57], v[6:7]
	v_accvgpr_read_b32 v8, a14
	v_pk_fma_f32 v[64:65], v[4:5], v[64:65], v[8:9]
	v_pk_fma_f32 v[54:55], v[4:5], v[54:55], v[10:11]
	s_nop 0
	v_accvgpr_read_b32 v7, a3
	v_accvgpr_read_b32 v13, a5
	;; [unrolled: 1-line block ×4, first 2 shown]
	v_pk_fma_f32 v[46:47], v[2:3], v[46:47], v[6:7]
	v_pk_fma_f32 v[48:49], v[4:5], v[48:49], v[12:13]
	v_mov_b32_e32 v2, v18
.LBB69_100:
	s_mul_i32 s0, s33, s35
	s_mul_hi_u32 s1, s33, s34
	s_add_i32 s0, s1, s0
	s_mul_i32 s1, s48, s34
	s_add_i32 s1, s0, s1
	s_mul_i32 s0, s33, s34
	s_add_u32 s0, s0, s49
	s_addc_u32 s1, s1, s37
	s_lshl_b64 s[0:1], s[0:1], 15
	s_add_u32 s0, s8, s0
	v_lshlrev_b32_e32 v2, 7, v2
	s_addc_u32 s1, s9, s1
	v_ashrrev_i32_e32 v3, 31, v2
	v_lshl_add_u64 v[4:5], v[2:3], 1, s[0:1]
	v_lshlrev_b32_e32 v0, 1, v1
	v_mov_b32_e32 v1, 0
	s_mov_b32 s2, 0x7060302
	v_lshl_add_u64 v[4:5], v[4:5], 0, v[0:1]
	v_perm_b32 v7, v77, v76, s2
	v_perm_b32 v6, v75, v74, s2
	global_store_dwordx2 v[4:5], v[6:7], off
	v_perm_b32 v7, v73, v72, s2
	v_perm_b32 v6, v71, v70, s2
	global_store_dwordx2 v[4:5], v[6:7], off offset:128
	v_or_b32_e32 v4, 0x800, v2
	v_ashrrev_i32_e32 v5, 31, v4
	v_lshl_add_u64 v[4:5], v[4:5], 1, s[0:1]
	v_lshl_add_u64 v[4:5], v[4:5], 0, v[0:1]
	v_perm_b32 v7, v69, v68, s2
	v_perm_b32 v6, v67, v66, s2
	global_store_dwordx2 v[4:5], v[6:7], off
	v_perm_b32 v7, v65, v64, s2
	v_perm_b32 v6, v63, v62, s2
	global_store_dwordx2 v[4:5], v[6:7], off offset:128
	v_or_b32_e32 v4, 0x1000, v2
	v_or_b32_e32 v2, 0x1800, v2
	v_ashrrev_i32_e32 v5, 31, v4
	v_ashrrev_i32_e32 v3, 31, v2
	v_lshl_add_u64 v[4:5], v[4:5], 1, s[0:1]
	v_lshl_add_u64 v[2:3], v[2:3], 1, s[0:1]
	;; [unrolled: 1-line block ×3, first 2 shown]
	v_perm_b32 v7, v61, v60, s2
	v_perm_b32 v6, v59, v58, s2
	v_lshl_add_u64 v[0:1], v[2:3], 0, v[0:1]
	v_perm_b32 v3, v53, v52, s2
	v_perm_b32 v2, v51, v50, s2
	global_store_dwordx2 v[4:5], v[6:7], off
	v_perm_b32 v7, v55, v54, s2
	v_perm_b32 v6, v57, v56, s2
	global_store_dwordx2 v[0:1], v[2:3], off
	v_perm_b32 v3, v49, v48, s2
	v_perm_b32 v2, v47, v46, s2
	global_store_dwordx2 v[4:5], v[6:7], off offset:128
	global_store_dwordx2 v[0:1], v[2:3], off offset:128
	s_endpgm
	.section	.rodata,"a",@progbits
	.p2align	6, 0x0
	.amdhsa_kernel _ZN12_GLOBAL__N_139chunk_gated_delta_rule_fwd_h_hip_kernelILi64ELb0ELb1ELb1ELb1ELb0ELb1ELb1ELb1EEEvPK12hip_bfloat16S3_S3_PKfS5_PKvPS1_S8_PvPKiSB_iiiiilll
		.amdhsa_group_segment_fixed_size 65536
		.amdhsa_private_segment_fixed_size 0
		.amdhsa_kernarg_size 136
		.amdhsa_user_sgpr_count 2
		.amdhsa_user_sgpr_dispatch_ptr 0
		.amdhsa_user_sgpr_queue_ptr 0
		.amdhsa_user_sgpr_kernarg_segment_ptr 1
		.amdhsa_user_sgpr_dispatch_id 0
		.amdhsa_user_sgpr_kernarg_preload_length 0
		.amdhsa_user_sgpr_kernarg_preload_offset 0
		.amdhsa_user_sgpr_private_segment_size 0
		.amdhsa_uses_dynamic_stack 0
		.amdhsa_enable_private_segment 0
		.amdhsa_system_sgpr_workgroup_id_x 1
		.amdhsa_system_sgpr_workgroup_id_y 1
		.amdhsa_system_sgpr_workgroup_id_z 0
		.amdhsa_system_sgpr_workgroup_info 0
		.amdhsa_system_vgpr_workitem_id 0
		.amdhsa_next_free_vgpr 232
		.amdhsa_next_free_sgpr 69
		.amdhsa_accum_offset 192
		.amdhsa_reserve_vcc 1
		.amdhsa_float_round_mode_32 0
		.amdhsa_float_round_mode_16_64 0
		.amdhsa_float_denorm_mode_32 3
		.amdhsa_float_denorm_mode_16_64 3
		.amdhsa_dx10_clamp 1
		.amdhsa_ieee_mode 1
		.amdhsa_fp16_overflow 0
		.amdhsa_tg_split 0
		.amdhsa_exception_fp_ieee_invalid_op 0
		.amdhsa_exception_fp_denorm_src 0
		.amdhsa_exception_fp_ieee_div_zero 0
		.amdhsa_exception_fp_ieee_overflow 0
		.amdhsa_exception_fp_ieee_underflow 0
		.amdhsa_exception_fp_ieee_inexact 0
		.amdhsa_exception_int_div_zero 0
	.end_amdhsa_kernel
	.section	.text._ZN12_GLOBAL__N_139chunk_gated_delta_rule_fwd_h_hip_kernelILi64ELb0ELb1ELb1ELb1ELb0ELb1ELb1ELb1EEEvPK12hip_bfloat16S3_S3_PKfS5_PKvPS1_S8_PvPKiSB_iiiiilll,"axG",@progbits,_ZN12_GLOBAL__N_139chunk_gated_delta_rule_fwd_h_hip_kernelILi64ELb0ELb1ELb1ELb1ELb0ELb1ELb1ELb1EEEvPK12hip_bfloat16S3_S3_PKfS5_PKvPS1_S8_PvPKiSB_iiiiilll,comdat
.Lfunc_end69:
	.size	_ZN12_GLOBAL__N_139chunk_gated_delta_rule_fwd_h_hip_kernelILi64ELb0ELb1ELb1ELb1ELb0ELb1ELb1ELb1EEEvPK12hip_bfloat16S3_S3_PKfS5_PKvPS1_S8_PvPKiSB_iiiiilll, .Lfunc_end69-_ZN12_GLOBAL__N_139chunk_gated_delta_rule_fwd_h_hip_kernelILi64ELb0ELb1ELb1ELb1ELb0ELb1ELb1ELb1EEEvPK12hip_bfloat16S3_S3_PKfS5_PKvPS1_S8_PvPKiSB_iiiiilll
                                        ; -- End function
	.section	.AMDGPU.csdata,"",@progbits
; Kernel info:
; codeLenInByte = 13104
; NumSgprs: 75
; NumVgprs: 192
; NumAgprs: 40
; TotalNumVgprs: 232
; ScratchSize: 0
; MemoryBound: 0
; FloatMode: 240
; IeeeMode: 1
; LDSByteSize: 65536 bytes/workgroup (compile time only)
; SGPRBlocks: 9
; VGPRBlocks: 28
; NumSGPRsForWavesPerEU: 75
; NumVGPRsForWavesPerEU: 232
; AccumOffset: 192
; Occupancy: 1
; WaveLimiterHint : 1
; COMPUTE_PGM_RSRC2:SCRATCH_EN: 0
; COMPUTE_PGM_RSRC2:USER_SGPR: 2
; COMPUTE_PGM_RSRC2:TRAP_HANDLER: 0
; COMPUTE_PGM_RSRC2:TGID_X_EN: 1
; COMPUTE_PGM_RSRC2:TGID_Y_EN: 1
; COMPUTE_PGM_RSRC2:TGID_Z_EN: 0
; COMPUTE_PGM_RSRC2:TIDIG_COMP_CNT: 0
; COMPUTE_PGM_RSRC3_GFX90A:ACCUM_OFFSET: 47
; COMPUTE_PGM_RSRC3_GFX90A:TG_SPLIT: 0
	.section	.text._ZN12_GLOBAL__N_139chunk_gated_delta_rule_fwd_h_hip_kernelILi64ELb0ELb1ELb0ELb1ELb0ELb1ELb1ELb1EEEvPK12hip_bfloat16S3_S3_PKfS5_PKvPS1_S8_PvPKiSB_iiiiilll,"axG",@progbits,_ZN12_GLOBAL__N_139chunk_gated_delta_rule_fwd_h_hip_kernelILi64ELb0ELb1ELb0ELb1ELb0ELb1ELb1ELb1EEEvPK12hip_bfloat16S3_S3_PKfS5_PKvPS1_S8_PvPKiSB_iiiiilll,comdat
	.globl	_ZN12_GLOBAL__N_139chunk_gated_delta_rule_fwd_h_hip_kernelILi64ELb0ELb1ELb0ELb1ELb0ELb1ELb1ELb1EEEvPK12hip_bfloat16S3_S3_PKfS5_PKvPS1_S8_PvPKiSB_iiiiilll ; -- Begin function _ZN12_GLOBAL__N_139chunk_gated_delta_rule_fwd_h_hip_kernelILi64ELb0ELb1ELb0ELb1ELb0ELb1ELb1ELb1EEEvPK12hip_bfloat16S3_S3_PKfS5_PKvPS1_S8_PvPKiSB_iiiiilll
	.p2align	8
	.type	_ZN12_GLOBAL__N_139chunk_gated_delta_rule_fwd_h_hip_kernelILi64ELb0ELb1ELb0ELb1ELb0ELb1ELb1ELb1EEEvPK12hip_bfloat16S3_S3_PKfS5_PKvPS1_S8_PvPKiSB_iiiiilll,@function
_ZN12_GLOBAL__N_139chunk_gated_delta_rule_fwd_h_hip_kernelILi64ELb0ELb1ELb0ELb1ELb0ELb1ELb1ELb1EEEvPK12hip_bfloat16S3_S3_PKfS5_PKvPS1_S8_PvPKiSB_iiiiilll: ; @_ZN12_GLOBAL__N_139chunk_gated_delta_rule_fwd_h_hip_kernelILi64ELb0ELb1ELb0ELb1ELb0ELb1ELb1ELb1EEEvPK12hip_bfloat16S3_S3_PKfS5_PKvPS1_S8_PvPKiSB_iiiiilll
; %bb.0:
	s_load_dwordx4 s[16:19], s[0:1], 0x5c
	s_load_dwordx8 s[4:11], s[0:1], 0x0
	s_load_dwordx4 s[20:23], s[0:1], 0x70
	s_abs_i32 s27, s3
	s_ashr_i32 s26, s3, 31
	s_waitcnt lgkmcnt(0)
	s_abs_i32 s28, s17
	v_cvt_f32_u32_e32 v1, s28
	s_sub_i32 s29, 0, s28
	s_ashr_i32 s46, s17, 31
	s_xor_b32 s26, s26, s46
	v_rcp_iflag_f32_e32 v1, v1
	s_load_dwordx2 s[36:37], s[0:1], 0x20
	s_load_dwordx2 s[40:41], s[0:1], 0x30
	s_load_dwordx4 s[12:15], s[0:1], 0x40
	s_load_dwordx2 s[24:25], s[0:1], 0x50
	v_lshrrev_b32_e32 v45, 6, v0
	v_bfe_u32 v86, v0, 4, 2
	v_mul_f32_e32 v1, 0x4f7ffffe, v1
	v_cvt_u32_f32_e32 v1, v1
	v_lshlrev_b32_e32 v84, 4, v45
	v_lshlrev_b32_e32 v2, 2, v86
	v_and_b32_e32 v85, 63, v0
	v_readfirstlane_b32 s30, v1
	s_mul_i32 s29, s29, s30
	s_mul_hi_u32 s29, s30, s29
	s_add_i32 s30, s30, s29
	s_mul_hi_u32 s29, s27, s30
	s_mul_i32 s30, s29, s28
	s_sub_i32 s27, s27, s30
	s_add_i32 s30, s29, 1
	s_sub_i32 s31, s27, s28
	s_cmp_ge_u32 s27, s28
	s_cselect_b32 s29, s30, s29
	s_cselect_b32 s27, s31, s27
	s_add_i32 s30, s29, 1
	s_cmp_ge_u32 s27, s28
	s_cselect_b32 s27, s30, s29
	s_xor_b32 s27, s27, s26
	s_sub_i32 s34, s27, s26
	s_mul_i32 s26, s34, s17
	s_ashr_i32 s35, s34, 31
	s_sub_i32 s47, s3, s26
	s_lshl_b64 s[26:27], s[34:35], 2
	s_waitcnt lgkmcnt(0)
	s_add_u32 s14, s14, s26
	s_addc_u32 s15, s15, s27
	s_add_u32 s24, s24, s26
	s_addc_u32 s25, s25, s27
	s_abs_i32 s3, s18
	v_cvt_f32_u32_e32 v1, s3
	s_load_dwordx2 s[38:39], s[14:15], 0x0
	s_load_dword s52, s[24:25], 0x0
	s_mov_b32 s33, s17
	v_rcp_iflag_f32_e32 v1, v1
	s_load_dwordx2 s[14:15], s[0:1], 0x80
	s_sub_i32 s1, 0, s3
	s_waitcnt lgkmcnt(0)
	s_sub_i32 s56, s39, s38
	v_mul_f32_e32 v1, 0x4f7ffffe, v1
	v_cvt_u32_f32_e32 v1, v1
	s_ashr_i32 s0, s56, 31
	s_lshr_b32 s0, s0, 26
	s_add_i32 s0, s56, s0
	v_readfirstlane_b32 s26, v1
	s_mul_i32 s1, s1, s26
	s_mul_hi_u32 s1, s26, s1
	s_add_i32 s26, s26, s1
	s_mul_hi_u32 s1, s28, s26
	s_mul_i32 s26, s1, s3
	s_ashr_i32 s51, s0, 6
	s_ashr_i32 s0, s18, 31
	s_sub_i32 s26, s28, s26
	s_xor_b32 s0, s46, s0
	s_add_i32 s27, s1, 1
	s_sub_i32 s28, s26, s3
	s_cmp_ge_u32 s26, s3
	s_cselect_b32 s1, s27, s1
	s_cselect_b32 s26, s28, s26
	s_add_i32 s27, s1, 1
	s_cmp_ge_u32 s26, s3
	s_cselect_b32 s1, s27, s1
	s_xor_b32 s1, s1, s0
	s_sub_i32 s1, s1, s0
	s_abs_i32 s3, s1
	v_cvt_f32_u32_e32 v1, s3
	s_sub_i32 s25, 0, s3
	s_abs_i32 s24, s47
	s_xor_b32 s1, s47, s1
	v_rcp_iflag_f32_e32 v1, v1
	s_ashr_i32 s1, s1, 31
	s_mov_b32 s0, 0
	v_and_b32_e32 v87, 15, v0
	v_mul_f32_e32 v1, 0x4f7ffffe, v1
	v_cvt_u32_f32_e32 v1, v1
	s_mul_hi_i32 s53, s47, s16
	s_mul_i32 s54, s47, s16
	v_lshrrev_b32_e32 v89, 3, v85
	v_readfirstlane_b32 s26, v1
	s_mul_i32 s25, s25, s26
	s_mul_hi_u32 s25, s26, s25
	s_add_i32 s26, s26, s25
	s_mul_hi_u32 s25, s24, s26
	s_mul_i32 s26, s25, s3
	s_sub_i32 s24, s24, s26
	s_add_i32 s26, s25, 1
	s_sub_i32 s27, s24, s3
	s_cmp_ge_u32 s24, s3
	s_cselect_b32 s25, s26, s25
	s_cselect_b32 s24, s27, s24
	s_add_i32 s26, s25, 1
	s_cmp_ge_u32 s24, s3
	s_cselect_b32 s3, s26, s25
	s_xor_b32 s3, s3, s1
	s_sub_i32 s55, s3, s1
	v_or_b32_e32 v1, v2, v84
	s_lshl_b32 s2, s2, 6
	s_mov_b32 s1, s0
	v_or_b32_e32 v90, 64, v1
	s_cmp_lt_i32 s56, 64
	v_mov_b64_e32 v[54:55], s[0:1]
	v_lshlrev_b32_e32 v88, 3, v0
	s_mul_i32 s48, s34, s21
	s_mul_hi_u32 s49, s34, s20
	s_mul_i32 s50, s35, s20
	s_mul_i32 s20, s34, s20
	v_mov_b64_e32 v[56:57], s[0:1]
	v_mov_b64_e32 v[60:61], s[0:1]
	;; [unrolled: 1-line block ×15, first 2 shown]
	s_cbranch_scc1 .LBB70_17
; %bb.1:
	s_ashr_i32 s58, s47, 31
	s_ashr_i32 s1, s38, 31
	s_add_u32 s0, s54, s38
	s_addc_u32 s1, s53, s1
	s_lshl_b64 s[0:1], s[0:1], 8
	v_and_b32_e32 v92, 56, v88
	s_add_u32 s24, s6, s0
	v_lshl_or_b32 v91, v45, 3, v89
	v_lshlrev_b32_e32 v3, 1, v92
	s_addc_u32 s0, s7, s1
	v_lshl_or_b32 v93, v91, 8, v3
	s_and_b32 s25, s0, 0xffff
	s_mov_b32 s27, 0x20000
	s_movk_i32 s26, 0x4000
	s_movk_i32 s0, 0x80
	v_or_b32_e32 v94, 0x2000, v93
	buffer_load_dwordx4 v[4:7], v93, s[24:27], 0 offen
	buffer_load_dwordx4 v[8:11], v93, s[24:27], s0 offen
	;; [unrolled: 1-line block ×4, first 2 shown]
	v_lshlrev_b32_e32 v20, 3, v91
	v_and_or_b32 v22, v0, 7, v20
	v_and_b32_e32 v20, 0x78, v20
	v_lshlrev_b32_e32 v22, 4, v22
	v_xor_b32_e32 v95, v22, v20
	v_mul_lo_u32 v21, v91, s19
	v_or_b32_e32 v96, 0x1000, v95
	s_cmpk_eq_i32 s19, 0x80
	s_mov_b32 s57, s38
	v_xor_b32_e32 v20, 8, v95
	v_xor_b32_e32 v22, 8, v96
	s_cselect_b64 s[0:1], -1, 0
	s_cmpk_lg_i32 s19, 0x80
	s_waitcnt vmcnt(3)
	ds_write_b64 v95, v[4:5] offset:49152
	ds_write_b64 v20, v[6:7] offset:49152
	s_waitcnt vmcnt(2)
	ds_write_b64 v95, v[8:9] offset:57344
	ds_write_b64 v20, v[10:11] offset:57344
	;; [unrolled: 3-line block ×4, first 2 shown]
	v_lshl_add_u32 v4, v21, 1, v92
	s_cbranch_scc0 .LBB70_3
; %bb.2:
	v_lshlrev_b32_e32 v6, 1, v4
	v_add_lshl_u32 v5, v4, s19, 1
	s_lshl_b32 s26, s19, 7
	v_lshl_or_b32 v3, v91, 9, v3
	s_cbranch_execz .LBB70_4
	s_branch .LBB70_5
.LBB70_3:
                                        ; implicit-def: $vgpr5
                                        ; implicit-def: $vgpr6
                                        ; implicit-def: $sgpr26
	v_lshl_or_b32 v3, v91, 9, v3
.LBB70_4:
	v_or_b32_e32 v5, 0x100, v3
	s_movk_i32 s26, 0x4000
	v_mov_b32_e32 v6, v3
.LBB70_5:
	s_mul_i32 s21, s38, s18
	s_ashr_i32 s59, s55, 31
	s_mul_hi_i32 s3, s38, s18
	s_add_u32 s24, s21, s55
	s_addc_u32 s25, s3, s59
	s_lshl_b64 s[24:25], s[24:25], 8
	s_add_u32 s24, s4, s24
	s_addc_u32 s3, s5, s25
	s_and_b32 s25, s3, 0xffff
	s_movk_i32 s60, 0x80
	buffer_load_dwordx4 v[8:11], v6, s[24:27], 0 offen
	buffer_load_dwordx4 v[12:15], v6, s[24:27], s60 offen
	;; [unrolled: 1-line block ×4, first 2 shown]
	v_and_b32_e32 v5, 6, v0
	v_lshlrev_b32_e32 v6, 7, v1
	v_xor_b32_e32 v28, v91, v5
	v_and_b32_e32 v7, 1, v0
	v_lshl_or_b32 v31, v87, 3, v6
	v_lshlrev_b32_e32 v28, 2, v28
	v_lshlrev_b32_e32 v24, 2, v87
	v_or_b32_e32 v97, 0x4000, v31
	v_or_b32_e32 v98, 0x6000, v31
	v_xor_b32_e32 v31, 0x440, v28
	v_cmp_eq_u32_e32 vcc, 0, v7
	v_or_b32_e32 v26, 16, v87
	v_or_b32_e32 v27, 32, v87
	v_xor_b32_e32 v29, v1, v24
	v_xor_b32_e32 v30, v90, v24
	v_cndmask_b32_e32 v7, v31, v28, vcc
	s_add_i32 s3, s49, s48
	s_mov_b32 s61, 0x1000504
	v_lshl_or_b32 v32, v26, 3, v6
	v_lshlrev_b32_e32 v26, 8, v26
	v_lshl_or_b32 v33, v27, 3, v6
	v_lshlrev_b32_e32 v29, 1, v29
	v_lshlrev_b32_e32 v30, 1, v30
	v_lshl_or_b32 v5, v5, 10, v7
	s_add_i32 s21, s3, s50
	s_mul_i32 s3, s47, s23
	s_mul_hi_u32 s24, s47, s22
	s_mov_b32 s62, 0x3020706
	v_lshlrev_b32_e32 v25, 8, v87
	v_or_b32_e32 v101, 0x4000, v33
	v_or_b32_e32 v102, 0x6000, v33
	v_or_b32_e32 v105, v26, v29
	v_or_b32_e32 v106, v26, v30
	v_xor_b32_e32 v7, 8, v5
	v_xor_b32_e32 v26, 24, v5
	;; [unrolled: 1-line block ×4, first 2 shown]
	s_add_i32 s3, s24, s3
	s_mul_i32 s24, s58, s22
	v_or_b32_e32 v99, 0x4000, v32
	v_or_b32_e32 v100, 0x6000, v32
	;; [unrolled: 1-line block ×4, first 2 shown]
	v_xor_b32_e32 v25, 16, v5
	v_xor_b32_e32 v28, 32, v5
	;; [unrolled: 1-line block ×3, first 2 shown]
	v_add_u32_e32 v7, 0x80, v7
	v_add_u32_e32 v26, 0x80, v26
	;; [unrolled: 1-line block ×4, first 2 shown]
	s_add_i32 s25, s3, s24
	s_lshl_b64 s[28:29], s[20:21], 2
	s_mul_i32 s24, s47, s22
	s_add_u32 s3, s10, s28
	s_addc_u32 s21, s11, s29
	s_lshl_b64 s[24:25], s[24:25], 2
	s_add_u32 s42, s3, s24
	s_movk_i32 s3, 0xf8
	s_addc_u32 s43, s21, s25
	s_lshl_b32 s30, s19, 7
	v_mov_b32_e32 v79, 0
	s_movk_i32 s21, 0x100
	v_lshlrev_b32_e32 v78, 4, v87
	v_lshlrev_b32_e32 v27, 8, v27
	s_mov_b32 s64, 0
	s_movk_i32 s26, 0x4000
	v_or_b32_e32 v107, v27, v29
	v_or_b32_e32 v108, v27, v30
	v_add_u32_e32 v134, v84, v2
	s_movk_i32 s63, 0x3000
	v_mov_b32_e32 v144, 0x3fb8aa3b
	v_mov_b32_e32 v48, v79
	;; [unrolled: 1-line block ×8, first 2 shown]
	s_waitcnt vmcnt(1)
	v_perm_b32 v34, v8, v16, s61
	s_waitcnt vmcnt(0)
	v_perm_b32 v35, v12, v20, s61
	v_perm_b32 v8, v8, v16, s62
	;; [unrolled: 1-line block ×15, first 2 shown]
	ds_write2st64_b32 v5, v34, v35 offset0:128 offset1:160
	ds_write2st64_b32 v7, v8, v12 offset0:128 offset1:160
	;; [unrolled: 1-line block ×8, first 2 shown]
	v_or_b32_e32 v5, 48, v87
	v_lshl_or_b32 v7, v5, 3, v6
	v_lshlrev_b32_e32 v5, 8, v5
	v_or_b32_e32 v111, v5, v29
	v_or_b32_e32 v112, v5, v30
	;; [unrolled: 1-line block ×3, first 2 shown]
	v_lshlrev_b32_e32 v5, 3, v5
	v_lshrrev_b32_e32 v9, 5, v85
	v_and_or_b32 v9, v5, s3, v9
	v_lshlrev_b32_e32 v9, 4, v9
	v_lshlrev_b32_e32 v11, 11, v45
	v_and_b32_e32 v5, 0x78, v5
	v_or_b32_e32 v14, 32, v9
	v_and_b32_e32 v8, 0x1000, v11
	v_xor_b32_e32 v10, v9, v5
	v_lshrrev_b32_e32 v12, 1, v85
	v_xor_b32_e32 v14, v14, v5
	v_or_b32_e32 v10, v10, v8
	v_and_b32_e32 v12, 8, v12
	v_or_b32_e32 v14, v14, v8
	v_xor_b32_e32 v113, v10, v12
	v_lshlrev_b32_e32 v10, 8, v86
	v_xor_b32_e32 v115, v14, v12
	v_or_b32_e32 v14, 64, v9
	v_or_b32_e32 v9, 0x60, v9
	;; [unrolled: 1-line block ×3, first 2 shown]
	v_xor_b32_e32 v14, v14, v5
	v_xor_b32_e32 v5, v9, v5
	s_ashr_i32 s3, s2, 31
	v_lshlrev_b32_e32 v13, 1, v13
	v_or_b32_e32 v14, v14, v8
	v_or_b32_e32 v5, v5, v8
	s_lshl_b64 s[24:25], s[2:3], 8
	v_or_b32_e32 v114, 0x4000, v13
	v_or_b32_e32 v116, 0x4080, v13
	;; [unrolled: 1-line block ×4, first 2 shown]
	v_xor_b32_e32 v119, v14, v12
	v_xor_b32_e32 v120, v5, v12
	v_or_b32_e32 v121, 0x6000, v13
	v_or_b32_e32 v122, 0x6080, v13
	;; [unrolled: 1-line block ×4, first 2 shown]
	v_lshlrev_b32_e32 v12, 1, v4
	v_add_lshl_u32 v13, v4, s19, 1
	s_add_u32 s24, s40, s24
	v_lshlrev_b32_e32 v4, 1, v87
	v_or_b32_e32 v14, 0x100, v3
	v_lshrrev_b32_e32 v15, 4, v0
	s_addc_u32 s25, s41, s25
	v_or_b32_e32 v5, 1, v4
	v_lshlrev_b32_e32 v18, 2, v0
	v_xor_b32_e32 v16, v15, v4
	v_xor_b32_e32 v17, v5, v15
	v_lshl_add_u64 v[4:5], s[24:25], 0, v[78:79]
	v_lshlrev_b32_e32 v78, 8, v15
	v_lshrrev_b32_e32 v19, 1, v0
	v_and_or_b32 v10, v18, 60, v10
	v_cndmask_b32_e64 v131, v12, v3, s[0:1]
	v_cndmask_b32_e64 v132, v13, v14, s[0:1]
	v_mov_b32_e32 v3, 0xa000
	v_mov_b32_e32 v12, 0x8000
	v_cmp_gt_u32_e64 s[0:1], s21, v0
	v_lshl_or_b32 v125, v16, 3, v78
	v_and_b32_e32 v16, 8, v0
	v_and_b32_e32 v19, 24, v19
	v_lshlrev_b32_e32 v10, 1, v10
	v_cndmask_b32_e64 v3, v3, v12, s[0:1]
	v_lshlrev_b32_e32 v12, 3, v45
	v_or_b32_e32 v127, 0x6000, v10
	v_or_b32_e32 v128, 0x6080, v10
	;; [unrolled: 1-line block ×4, first 2 shown]
	v_mov_b32_e32 v10, 0x400
	v_cmp_eq_u32_e32 vcc, 0, v16
	v_xor_b32_e32 v13, v12, v19
	v_and_b32_e32 v15, 7, v0
	v_cndmask_b32_e64 v16, v10, 64, vcc
	v_or_b32_e32 v14, 0x440, v13
	v_lshl_or_b32 v126, v17, 3, v78
	v_lshlrev_b32_e32 v17, 3, v15
	v_or_b32_e32 v18, 32, v19
	v_or_b32_e32 v20, 0x60, v19
	v_cndmask_b32_e32 v14, v14, v13, vcc
	v_or3_b32 v13, v11, v16, v13
	v_lshlrev_b32_e32 v15, 7, v15
	v_xor_b32_e32 v18, v12, v18
	v_xor_b32_e32 v13, v13, v17
	;; [unrolled: 1-line block ×3, first 2 shown]
	v_or_b32_e32 v21, 0x440, v18
	v_or_b32_e32 v133, v13, v15
	v_xor_b32_e32 v13, 0x440, v12
	v_cndmask_b32_e32 v18, v21, v18, vcc
	v_cndmask_b32_e32 v12, v13, v12, vcc
	v_or_b32_e32 v109, 0x4000, v7
	v_or_b32_e32 v110, 0x6000, v7
	v_lshrrev_b32_e32 v7, 2, v85
	v_or_b32_e32 v14, v14, v11
	v_or_b32_e32 v18, v18, v11
	;; [unrolled: 1-line block ×3, first 2 shown]
	v_and_b32_e32 v7, 12, v7
	v_or_b32_e32 v8, s2, v87
	v_xor_b32_e32 v14, v14, v17
	v_xor_b32_e32 v18, v18, v17
	;; [unrolled: 1-line block ×3, first 2 shown]
	v_ashrrev_i32_e32 v9, 31, v8
	v_or_b32_e32 v10, v84, v7
	v_add_u32_e32 v19, v3, v14
	v_add_u32_e32 v21, v3, v18
	;; [unrolled: 1-line block ×3, first 2 shown]
	v_or3_b32 v12, v84, v7, 64
	v_add_u32_e32 v7, 0xa000, v14
	v_add_u32_e32 v14, 0xa000, v18
	;; [unrolled: 1-line block ×3, first 2 shown]
	v_lshl_add_u64 v[80:81], v[8:9], 1, s[8:9]
	v_lshl_add_u64 v[82:83], v[4:5], 0, v[78:79]
	s_mov_b32 s3, 0x7060302
	v_lshlrev_b32_e32 v78, 1, v6
	s_movk_i32 s21, 0x2000
	v_lshlrev_b32_e32 v135, 2, v10
	v_add_u32_e32 v136, v19, v15
	v_add_u32_e32 v137, v21, v15
	;; [unrolled: 1-line block ×4, first 2 shown]
	v_lshlrev_b32_e32 v140, 2, v12
	v_add_u32_e32 v141, v7, v15
	v_add_u32_e32 v142, v14, v15
	v_add_u32_e32 v143, v11, v15
	v_mov_b32_e32 v51, v79
	v_mov_b32_e32 v74, v79
	;; [unrolled: 1-line block ×25, first 2 shown]
	s_waitcnt lgkmcnt(0)
	s_barrier
	s_branch .LBB70_7
.LBB70_6:                               ;   in Loop: Header=BB70_7 Depth=1
	v_mul_f32_e32 v26, s24, v144
	v_exp_f32_e32 v36, v26
	s_waitcnt vmcnt(4)
	v_mul_f32_e32 v26, 0x3fb8aa3b, v38
	v_exp_f32_e32 v38, v26
	v_mul_f32_e32 v26, 0x3fb8aa3b, v39
	v_exp_f32_e32 v39, v26
	;; [unrolled: 2-line block ×4, first 2 shown]
	v_accvgpr_read_b32 v5, a3
	v_accvgpr_read_b32 v4, a2
	;; [unrolled: 1-line block ×4, first 2 shown]
	v_pk_mul_f32 v[38:39], v[36:37], v[38:39] op_sel_hi:[0,1]
	v_pk_mul_f32 v[40:41], v[36:37], v[40:41] op_sel_hi:[0,1]
	v_pk_fma_f32 v[74:75], v[74:75], v[38:39], v[2:3]
	v_pk_fma_f32 v[76:77], v[76:77], v[40:41], v[4:5]
	v_mul_f32_e32 v2, 0x3fb8aa3b, v34
	v_mul_f32_e32 v3, 0x3fb8aa3b, v42
	;; [unrolled: 1-line block ×4, first 2 shown]
	v_exp_f32_e32 v2, v2
	v_exp_f32_e32 v3, v3
	;; [unrolled: 1-line block ×4, first 2 shown]
	v_accvgpr_read_b32 v9, a7
	v_accvgpr_read_b32 v13, a11
	;; [unrolled: 1-line block ×28, first 2 shown]
	v_pk_mul_f32 v[2:3], v[36:37], v[2:3] op_sel_hi:[0,1]
	v_pk_mul_f32 v[4:5], v[36:37], v[4:5] op_sel_hi:[0,1]
	s_add_i32 s57, s57, 64
	v_pk_fma_f32 v[66:67], v[38:39], v[66:67], v[6:7]
	v_pk_fma_f32 v[68:69], v[40:41], v[68:69], v[8:9]
	v_pk_fma_f32 v[58:59], v[38:39], v[58:59], v[10:11]
	v_pk_fma_f32 v[60:61], v[40:41], v[60:61], v[12:13]
	v_pk_fma_f32 v[50:51], v[38:39], v[50:51], v[14:15]
	v_pk_fma_f32 v[52:53], v[40:41], v[52:53], v[16:17]
	v_pk_fma_f32 v[70:71], v[70:71], v[2:3], v[18:19]
	v_pk_fma_f32 v[72:73], v[72:73], v[4:5], v[20:21]
	v_pk_fma_f32 v[62:63], v[2:3], v[62:63], v[22:23]
	v_pk_fma_f32 v[64:65], v[4:5], v[64:65], v[24:25]
	v_pk_fma_f32 v[56:57], v[2:3], v[56:57], v[26:27]
	v_pk_fma_f32 v[54:55], v[4:5], v[54:55], v[28:29]
	v_pk_fma_f32 v[46:47], v[2:3], v[46:47], v[30:31]
	v_pk_fma_f32 v[48:49], v[4:5], v[48:49], v[32:33]
	s_cmp_eq_u32 s51, s65
	s_mov_b32 s64, s65
	s_cbranch_scc1 .LBB70_17
.LBB70_7:                               ; =>This Inner Loop Header: Depth=1
	s_add_i32 s65, s64, 1
	s_cmp_lt_i32 s65, s51
	s_mov_b64 s[28:29], 0
	s_cselect_b64 s[44:45], -1, 0
	s_cmp_ge_i32 s65, s51
	s_mov_b64 s[24:25], 0
	s_cbranch_scc1 .LBB70_9
; %bb.8:                                ;   in Loop: Header=BB70_7 Depth=1
	s_add_i32 s0, s57, 64
	s_ashr_i32 s1, s0, 31
	s_add_u32 s0, s54, s0
	s_addc_u32 s1, s53, s1
	s_lshl_b64 s[0:1], s[0:1], 8
	s_add_u32 s24, s6, s0
	s_addc_u32 s25, s7, s1
.LBB70_9:                               ;   in Loop: Header=BB70_7 Depth=1
	v_cndmask_b32_e64 v2, 0, 1, s[44:45]
	v_cmp_ne_u32_e64 s[0:1], 1, v2
	s_andn2_b64 vcc, exec, s[44:45]
	s_cbranch_vccnz .LBB70_11
; %bb.10:                               ;   in Loop: Header=BB70_7 Depth=1
	s_add_i32 s28, s57, 64
	s_mul_hi_i32 s29, s28, s18
	s_mul_i32 s28, s28, s18
	s_add_u32 s28, s28, s55
	s_addc_u32 s29, s29, s59
	s_lshl_b64 s[28:29], s[28:29], 8
	s_add_u32 s28, s4, s28
	s_addc_u32 s29, s5, s29
.LBB70_11:                              ;   in Loop: Header=BB70_7 Depth=1
	v_perm_b32 v3, v77, v76, s3
	v_perm_b32 v2, v75, v74, s3
	v_perm_b32 v5, v73, v72, s3
	v_perm_b32 v4, v71, v70, s3
	ds_write_b64 v97, v[2:3]
	ds_write_b64 v98, v[4:5]
	ds_write_b64 v103, v[2:3]
	ds_write_b64 v104, v[4:5]
	v_perm_b32 v3, v69, v68, s3
	v_perm_b32 v2, v67, v66, s3
	v_perm_b32 v5, v65, v64, s3
	v_perm_b32 v4, v63, v62, s3
	ds_write_b64 v99, v[2:3]
	ds_write_b64 v100, v[4:5]
	ds_write_b64 v105, v[2:3]
	ds_write_b64 v106, v[4:5]
	;; [unrolled: 8-line block ×4, first 2 shown]
	s_waitcnt lgkmcnt(0)
	s_barrier
	ds_read_b64 v[6:7], v113 offset:49152
	ds_read2_b64 v[2:5], v114 offset1:16
	ds_read_b64 v[18:19], v116 offset:6144
	ds_read_b64 v[20:21], v114 offset:6144
	s_waitcnt lgkmcnt(2)
	v_mfma_f32_16x16x16_bf16 a[0:3], v[6:7], v[2:3], 0
	ds_read_b64 v[22:23], v115 offset:49152
	ds_read2st64_b64 v[10:13], v117 offset0:4 offset1:8
	ds_read2st64_b64 v[14:17], v118 offset0:4 offset1:8
	v_mfma_f32_16x16x16_bf16 a[4:7], v[6:7], v[4:5], 0
	ds_read2_b64 v[2:5], v114 offset0:32 offset1:48
	s_add_i32 s66, s57, 63
	s_ashr_i32 s31, s66, 31
	s_waitcnt lgkmcnt(0)
	v_mfma_f32_16x16x16_bf16 a[8:11], v[6:7], v[2:3], 0
	s_mul_i32 s44, s66, s15
	s_mul_hi_u32 s45, s66, s14
	s_add_i32 s44, s45, s44
	v_mfma_f32_16x16x16_bf16 a[12:15], v[6:7], v[4:5], 0
	ds_read2st64_b64 v[2:5], v114 offset0:4 offset1:8
	ds_read2st64_b64 v[6:9], v116 offset0:4 offset1:8
	s_mul_i32 s31, s31, s14
	s_waitcnt lgkmcnt(1)
	v_mfma_f32_16x16x16_bf16 a[0:3], v[22:23], v[2:3], a[0:3]
	s_add_i32 s45, s44, s31
	s_mul_i32 s44, s66, s14
	s_lshl_b64 s[44:45], s[44:45], 2
	s_waitcnt lgkmcnt(0)
	v_mfma_f32_16x16x16_bf16 a[4:7], v[22:23], v[6:7], a[4:7]
	s_add_u32 s44, s42, s44
	s_addc_u32 s45, s43, s45
	s_and_b64 vcc, exec, s[0:1]
	v_mfma_f32_16x16x16_bf16 a[8:11], v[22:23], v[10:11], a[8:11]
	ds_read_b64 v[2:3], v119 offset:49152
	ds_read_b64 v[6:7], v120 offset:49152
	;; [unrolled: 1-line block ×3, first 2 shown]
	v_mov_b32_e32 v147, 0
	v_mov_b32_e32 v146, 0
	v_mfma_f32_16x16x16_bf16 a[12:15], v[22:23], v[14:15], a[12:15]
	v_mov_b32_e32 v145, 0
	v_mov_b32_e32 v14, 0
	;; [unrolled: 1-line block ×3, first 2 shown]
	s_waitcnt lgkmcnt(2)
	v_mfma_f32_16x16x16_bf16 a[0:3], v[2:3], v[4:5], a[0:3]
	v_mov_b32_e32 v4, 0
	v_mov_b32_e32 v5, 0
	v_mfma_f32_16x16x16_bf16 a[16:19], v[2:3], v[8:9], a[4:7]
	v_mov_b32_e32 v8, 0
	v_mov_b32_e32 v9, 0
	;; [unrolled: 3-line block ×3, first 2 shown]
	v_mfma_f32_16x16x16_bf16 a[24:27], v[2:3], v[16:17], a[12:15]
	ds_read_b64 v[2:3], v117 offset:6144
	v_mov_b32_e32 v16, 0
	v_mov_b32_e32 v17, 0
	s_waitcnt lgkmcnt(2)
	v_mfma_f32_16x16x16_bf16 a[4:7], v[6:7], v[20:21], a[0:3]
	v_mfma_f32_16x16x16_bf16 a[8:11], v[6:7], v[18:19], a[16:19]
	s_waitcnt lgkmcnt(0)
	v_mfma_f32_16x16x16_bf16 a[12:15], v[6:7], v[2:3], a[20:23]
	v_mov_b32_e32 v2, 0
	v_mov_b32_e32 v3, 0
	v_mfma_f32_16x16x16_bf16 a[0:3], v[6:7], v[10:11], a[24:27]
	v_mov_b32_e32 v6, 0
	v_mov_b32_e32 v7, 0
	;; [unrolled: 1-line block ×4, first 2 shown]
	s_cbranch_vccnz .LBB70_13
; %bb.12:                               ;   in Loop: Header=BB70_7 Depth=1
	s_and_b32 s25, s25, 0xffff
	buffer_load_dwordx4 v[14:17], v93, s[24:27], 0 offen
	buffer_load_dwordx4 v[10:13], v93, s[24:27], s60 offen
	;; [unrolled: 1-line block ×4, first 2 shown]
	v_mov_b32_e32 v146, v95
	v_mov_b32_e32 v145, v96
.LBB70_13:                              ;   in Loop: Header=BB70_7 Depth=1
	ds_read_b64 v[34:35], v113 offset:57344
	ds_read2_b64 v[18:21], v121 offset1:16
	ds_read_b64 v[36:37], v115 offset:57344
	ds_read_b64 v[38:39], v119 offset:57344
	;; [unrolled: 1-line block ×3, first 2 shown]
	v_add_u32_e32 v42, s57, v134
	s_waitcnt lgkmcnt(3)
	v_mfma_f32_16x16x16_bf16 a[4:7], v[34:35], v[18:19], a[4:7]
	v_mfma_f32_16x16x16_bf16 a[8:11], v[34:35], v[20:21], a[8:11]
	ds_read2_b64 v[18:21], v121 offset0:32 offset1:48
	ds_read2st64_b64 v[22:25], v121 offset0:4 offset1:8
	ds_read2st64_b64 v[26:29], v122 offset0:4 offset1:8
	;; [unrolled: 1-line block ×3, first 2 shown]
	s_waitcnt lgkmcnt(3)
	v_mfma_f32_16x16x16_bf16 a[12:15], v[34:35], v[18:19], a[12:15]
	v_ashrrev_i32_e32 v18, 31, v42
	v_mfma_f32_16x16x16_bf16 a[0:3], v[34:35], v[20:21], a[0:3]
	v_mul_lo_u32 v20, v18, s14
	v_mul_lo_u32 v21, v42, s15
	v_mad_u64_u32 v[18:19], s[24:25], v42, s14, 0
	v_add3_u32 v19, v19, v21, v20
	v_add_u32_e32 v20, 1, v42
	v_ashrrev_i32_e32 v21, 31, v20
	s_waitcnt lgkmcnt(2)
	v_mfma_f32_16x16x16_bf16 a[4:7], v[36:37], v[22:23], a[4:7]
	v_mul_lo_u32 v22, v21, s14
	v_mul_lo_u32 v23, v20, s15
	v_mad_u64_u32 v[20:21], s[24:25], v20, s14, 0
	v_add3_u32 v21, v21, v23, v22
	v_add_u32_e32 v22, 2, v42
	v_ashrrev_i32_e32 v23, 31, v22
	s_waitcnt lgkmcnt(1)
	v_mfma_f32_16x16x16_bf16 a[8:11], v[36:37], v[26:27], a[8:11]
	v_mul_lo_u32 v26, v23, s14
	v_mul_lo_u32 v27, v22, s15
	v_mad_u64_u32 v[22:23], s[24:25], v22, s14, 0
	v_add3_u32 v23, v23, v27, v26
	v_add_u32_e32 v26, 3, v42
	v_ashrrev_i32_e32 v27, 31, v26
	v_mul_lo_u32 v34, v27, s14
	v_mul_lo_u32 v35, v26, s15
	v_mad_u64_u32 v[26:27], s[24:25], v26, s14, 0
	s_ashr_i32 s25, s57, 31
	s_add_u32 s24, s54, s57
	v_lshl_add_u64 v[18:19], v[18:19], 2, s[42:43]
	v_add3_u32 v27, v27, v35, v34
	s_addc_u32 s25, s53, s25
	v_lshl_add_u64 v[20:21], v[20:21], 2, s[42:43]
	global_load_dword v42, v[18:19], off
	v_lshl_add_u64 v[18:19], v[26:27], 2, s[42:43]
	s_lshl_b64 s[24:25], s[24:25], 8
	v_lshl_add_u64 v[22:23], v[22:23], 2, s[42:43]
	global_load_dword v34, v[20:21], off
	global_load_dword v35, v[22:23], off
	;; [unrolled: 1-line block ×3, first 2 shown]
	v_lshl_add_u64 v[18:19], v[80:81], 0, s[24:25]
	v_lshl_add_u64 v[22:23], v[18:19], 0, v[78:79]
	global_load_ushort v44, v[22:23], off offset:256
	global_load_ushort v148, v[22:23], off
	ds_read2st64_b64 v[18:21], v124 offset0:4 offset1:8
	global_load_ushort v149, v[22:23], off offset:768
	global_load_ushort v150, v[22:23], off offset:512
	s_waitcnt lgkmcnt(1)
	v_mfma_f32_16x16x16_bf16 a[12:15], v[36:37], v[30:31], a[12:15]
	s_and_b64 vcc, exec, s[0:1]
	s_waitcnt vmcnt(3)
	v_lshlrev_b32_e32 v31, 16, v44
	s_waitcnt lgkmcnt(0)
	v_mfma_f32_16x16x16_bf16 a[0:3], v[36:37], v[18:19], a[0:3]
	global_load_ushort v36, v[22:23], off offset:288
	global_load_ushort v37, v[22:23], off offset:32
	;; [unrolled: 1-line block ×8, first 2 shown]
	v_mfma_f32_16x16x16_bf16 a[4:7], v[38:39], v[24:25], a[4:7]
	ds_read_b64 v[18:19], v121 offset:6144
	s_waitcnt vmcnt(10)
	v_lshlrev_b32_e32 v30, 16, v148
	v_mov_b32_e32 v148, 0
	v_mfma_f32_16x16x16_bf16 a[8:11], v[38:39], v[28:29], a[8:11]
	v_mfma_f32_16x16x16_bf16 a[12:15], v[38:39], v[32:33], a[12:15]
	;; [unrolled: 1-line block ×3, first 2 shown]
	global_load_ushort v38, v[22:23], off offset:352
	global_load_ushort v39, v[22:23], off offset:96
	ds_read_b64 v[20:21], v122 offset:6144
	ds_read_b64 v[24:25], v123 offset:6144
	;; [unrolled: 1-line block ×3, first 2 shown]
	global_load_ushort v157, v[22:23], off offset:864
	global_load_ushort v158, v[22:23], off offset:608
	s_load_dword s24, s[44:45], 0x0
	s_waitcnt lgkmcnt(0)
	v_mfma_f32_16x16x16_bf16 a[4:7], v[40:41], v[18:19], a[4:7]
	v_sub_f32_e32 v28, s24, v35
	v_mfma_f32_16x16x16_bf16 a[0:3], v[40:41], v[26:27], a[0:3]
	v_sub_f32_e32 v26, s24, v42
	v_sub_f32_e32 v27, s24, v34
	;; [unrolled: 1-line block ×3, first 2 shown]
	v_mul_f32_e32 v26, 0x3fb8aa3b, v26
	v_mul_f32_e32 v27, 0x3fb8aa3b, v27
	;; [unrolled: 1-line block ×4, first 2 shown]
	v_mfma_f32_16x16x16_bf16 a[8:11], v[40:41], v[20:21], a[8:11]
	v_exp_f32_e32 v26, v26
	v_exp_f32_e32 v27, v27
	;; [unrolled: 1-line block ×4, first 2 shown]
	v_accvgpr_read_b32 v33, a5
	v_accvgpr_read_b32 v32, a4
	;; [unrolled: 1-line block ×4, first 2 shown]
	v_pk_add_f32 v[30:31], v[30:31], v[32:33] neg_lo:[0,1] neg_hi:[0,1]
	s_waitcnt vmcnt(13)
	v_lshlrev_b32_e32 v33, 16, v149
	s_waitcnt vmcnt(12)
	v_lshlrev_b32_e32 v32, 16, v150
	v_pk_add_f32 v[18:19], v[32:33], v[18:19] neg_lo:[0,1] neg_hi:[0,1]
	v_pk_mul_f32 v[30:31], v[26:27], v[30:31]
	v_pk_mul_f32 v[18:19], v[28:29], v[18:19]
	v_accvgpr_read_b32 v33, a9
	v_perm_b32 v19, v19, v18, s3
	v_perm_b32 v18, v31, v30, s3
	v_accvgpr_read_b32 v32, a8
	v_accvgpr_read_b32 v21, a11
	v_mfma_f32_16x16x16_bf16 a[12:15], v[40:41], v[24:25], a[12:15]
	v_accvgpr_read_b32 v20, a10
	v_accvgpr_read_b32 v25, a3
	;; [unrolled: 1-line block ×3, first 2 shown]
	s_waitcnt vmcnt(11)
	v_lshlrev_b32_e32 v31, 16, v36
	s_waitcnt vmcnt(10)
	v_lshlrev_b32_e32 v30, 16, v37
	v_pk_add_f32 v[30:31], v[30:31], v[32:33] neg_lo:[0,1] neg_hi:[0,1]
	s_waitcnt vmcnt(9)
	v_lshlrev_b32_e32 v33, 16, v151
	s_waitcnt vmcnt(8)
	v_lshlrev_b32_e32 v32, 16, v152
	v_pk_add_f32 v[20:21], v[32:33], v[20:21] neg_lo:[0,1] neg_hi:[0,1]
	v_pk_mul_f32 v[30:31], v[26:27], v[30:31]
	v_pk_mul_f32 v[20:21], v[28:29], v[20:21]
	v_accvgpr_read_b32 v23, a15
	v_perm_b32 v21, v21, v20, s3
	v_perm_b32 v20, v31, v30, s3
	ds_write2_b64 v98, v[18:19], v[20:21] offset1:16
	v_accvgpr_read_b32 v21, a13
	s_waitcnt vmcnt(7)
	v_lshlrev_b32_e32 v19, 16, v153
	s_waitcnt vmcnt(6)
	v_lshlrev_b32_e32 v18, 16, v154
	v_accvgpr_read_b32 v20, a12
	v_accvgpr_read_b32 v22, a14
	v_pk_add_f32 v[18:19], v[18:19], v[20:21] neg_lo:[0,1] neg_hi:[0,1]
	s_waitcnt vmcnt(5)
	v_lshlrev_b32_e32 v21, 16, v155
	s_waitcnt vmcnt(4)
	v_lshlrev_b32_e32 v20, 16, v156
	v_pk_add_f32 v[20:21], v[20:21], v[22:23] neg_lo:[0,1] neg_hi:[0,1]
	v_pk_mul_f32 v[18:19], v[26:27], v[18:19]
	v_pk_mul_f32 v[20:21], v[28:29], v[20:21]
	v_accvgpr_read_b32 v23, a1
	v_perm_b32 v21, v21, v20, s3
	v_perm_b32 v20, v19, v18, s3
	s_waitcnt vmcnt(3)
	v_lshlrev_b32_e32 v19, 16, v38
	s_waitcnt vmcnt(2)
	v_lshlrev_b32_e32 v18, 16, v39
	v_accvgpr_read_b32 v22, a0
	v_pk_add_f32 v[18:19], v[18:19], v[22:23] neg_lo:[0,1] neg_hi:[0,1]
	s_waitcnt vmcnt(1)
	v_lshlrev_b32_e32 v23, 16, v157
	s_waitcnt vmcnt(0)
	v_lshlrev_b32_e32 v22, 16, v158
	v_pk_add_f32 v[22:23], v[22:23], v[24:25] neg_lo:[0,1] neg_hi:[0,1]
	v_pk_mul_f32 v[18:19], v[26:27], v[18:19]
	v_pk_mul_f32 v[22:23], v[28:29], v[22:23]
	v_mov_b32_e32 v24, 0
	v_perm_b32 v23, v23, v22, s3
	v_perm_b32 v22, v19, v18, s3
	ds_write2_b64 v98, v[20:21], v[22:23] offset0:32 offset1:48
	v_mov_b32_e32 v18, 0
	v_mov_b32_e32 v19, 0
	;; [unrolled: 1-line block ×15, first 2 shown]
	s_cbranch_vccnz .LBB70_15
; %bb.14:                               ;   in Loop: Header=BB70_7 Depth=1
	s_and_b32 s29, s29, 0xffff
	s_mov_b32 s31, s27
	buffer_load_dwordx4 v[30:33], v131, s[28:31], 0 offen
	buffer_load_dwordx4 v[22:25], v131, s[28:31], s60 offen
	;; [unrolled: 1-line block ×4, first 2 shown]
	v_mov_b32_e32 v147, v92
	v_mov_b32_e32 v148, v91
.LBB70_15:                              ;   in Loop: Header=BB70_7 Depth=1
	s_waitcnt lgkmcnt(0)
	s_barrier
	ds_read_b64 v[42:43], v136
	ds_read2_b64 v[34:37], v127 offset1:16
	ds_read_b64 v[166:167], v137
	ds_read_b64 v[168:169], v138
	;; [unrolled: 1-line block ×3, first 2 shown]
	ds_read2_b64 v[38:41], v127 offset0:32 offset1:48
	ds_read2st64_b64 v[150:153], v127 offset0:4 offset1:8
	ds_read2st64_b64 v[154:157], v128 offset0:4 offset1:8
	;; [unrolled: 1-line block ×4, first 2 shown]
	s_waitcnt lgkmcnt(8)
	v_mfma_f32_16x16x16_bf16 a[0:3], v[42:43], v[34:35], 0
	s_add_i32 s25, s52, s64
	s_mul_hi_i32 s29, s25, s33
	s_mul_i32 s25, s25, s33
	v_mfma_f32_16x16x16_bf16 a[4:7], v[42:43], v[36:37], 0
	s_add_u32 s28, s25, s47
	s_addc_u32 s29, s29, s58
	s_lshl_b64 s[28:29], s[28:29], 15
	s_waitcnt lgkmcnt(4)
	v_mfma_f32_16x16x16_bf16 a[8:11], v[42:43], v[38:39], 0
	s_mul_i32 s31, s66, s33
	s_mul_hi_i32 s25, s66, s33
	s_add_u32 s44, s31, s47
	v_mfma_f32_16x16x16_bf16 a[12:15], v[42:43], v[40:41], 0
	ds_read_b64 v[42:43], v127 offset:6144
	ds_read_b64 v[178:179], v128 offset:6144
	;; [unrolled: 1-line block ×4, first 2 shown]
	s_addc_u32 s45, s25, s58
	s_waitcnt lgkmcnt(7)
	v_mfma_f32_16x16x16_bf16 a[0:3], v[166:167], v[150:151], a[0:3]
	s_lshl_b64 s[44:45], s[44:45], 9
	s_add_u32 s44, s36, s44
	s_addc_u32 s45, s37, s45
	s_waitcnt lgkmcnt(6)
	v_mfma_f32_16x16x16_bf16 a[4:7], v[166:167], v[154:155], a[4:7]
	v_lshl_add_u64 v[188:189], v[82:83], 0, s[28:29]
	s_waitcnt lgkmcnt(5)
	v_mfma_f32_16x16x16_bf16 a[8:11], v[166:167], v[158:159], a[8:11]
	s_waitcnt lgkmcnt(4)
	v_mfma_f32_16x16x16_bf16 a[12:15], v[166:167], v[162:163], a[12:15]
	ds_read_b64 v[166:167], v141
	ds_read_b64 v[176:177], v142
	;; [unrolled: 1-line block ×3, first 2 shown]
	s_waitcnt lgkmcnt(2)
	v_mfma_f32_16x16x16_bf16 a[16:19], v[166:167], v[34:35], 0
	v_mfma_f32_16x16x16_bf16 a[20:23], v[166:167], v[36:37], 0
	global_load_dwordx4 v[34:37], v140, s[44:45]
	v_mfma_f32_16x16x16_bf16 a[24:27], v[166:167], v[38:39], 0
	v_mfma_f32_16x16x16_bf16 a[28:31], v[166:167], v[40:41], 0
	global_load_dwordx4 v[38:41], v135, s[44:45]
	v_mfma_f32_16x16x16_bf16 a[0:3], v[168:169], v[152:153], a[0:3]
	v_mfma_f32_16x16x16_bf16 a[4:7], v[168:169], v[156:157], a[4:7]
	;; [unrolled: 1-line block ×8, first 2 shown]
	ds_read2st64_b64 v[166:169], v125 offset1:8
	ds_read2st64_b64 v[170:173], v126 offset1:8
	ds_read_b64 v[186:187], v133 offset:40960
	s_waitcnt lgkmcnt(2)
	v_mov_b32_e32 v174, v166
	v_mfma_f32_16x16x16_bf16 a[16:19], v[176:177], v[150:151], a[16:19]
	v_mov_b32_e32 v175, v167
	v_mfma_f32_16x16x16_bf16 a[20:23], v[176:177], v[154:155], a[20:23]
	v_mfma_f32_16x16x16_bf16 a[24:27], v[176:177], v[158:159], a[24:27]
	;; [unrolled: 1-line block ×3, first 2 shown]
	v_add_co_u32_e32 v162, vcc, s21, v188
	s_waitcnt lgkmcnt(1)
	v_mov_b32_e32 v176, v170
	s_waitcnt lgkmcnt(0)
	v_mfma_f32_16x16x16_bf16 a[16:19], v[186:187], v[152:153], a[16:19]
	ds_read2st64_b64 v[150:153], v125 offset0:16 offset1:24
	v_addc_co_u32_e32 v163, vcc, 0, v189, vcc
	v_mfma_f32_16x16x16_bf16 a[20:23], v[186:187], v[156:157], a[20:23]
	ds_read2st64_b64 v[154:157], v126 offset0:16 offset1:24
	v_mov_b32_e32 v177, v171
	v_mov_b32_e32 v170, v168
	v_mfma_f32_16x16x16_bf16 a[32:35], v[186:187], v[160:161], a[24:27]
	v_mov_b32_e32 v171, v169
	s_waitcnt lgkmcnt(0)
	v_mov_b32_e32 v160, v154
	v_mov_b32_e32 v161, v155
	v_mfma_f32_16x16x16_bf16 a[36:39], v[186:187], v[164:165], a[28:31]
	v_mov_b32_e32 v154, v152
	v_mov_b32_e32 v155, v153
	;; [unrolled: 1-line block ×3, first 2 shown]
	v_mfma_f32_16x16x16_bf16 a[24:27], v[184:185], v[42:43], a[16:19]
	v_add_co_u32_e32 v42, vcc, s63, v188
	v_mov_b32_e32 v159, v151
	v_mfma_f32_16x16x16_bf16 a[28:31], v[184:185], v[178:179], a[20:23]
	v_addc_co_u32_e32 v43, vcc, 0, v189, vcc
	global_store_dwordx4 v[42:43], v[154:157], off
	v_mfma_f32_16x16x16_bf16 a[16:19], v[184:185], v[180:181], a[32:35]
	s_waitcnt vmcnt(2)
	v_mov_b32_e32 v44, v37
	v_mov_b32_e32 v43, v36
	;; [unrolled: 1-line block ×3, first 2 shown]
	v_mfma_f32_16x16x16_bf16 a[20:23], v[184:185], v[182:183], a[36:39]
	s_and_b64 vcc, exec, s[0:1]
	global_store_dwordx4 v[188:189], v[174:177], off
	global_store_dwordx4 v[162:163], v[170:173], off offset:-4096
	global_store_dwordx4 v[162:163], v[158:161], off
	s_cbranch_vccnz .LBB70_6
; %bb.16:                               ;   in Loop: Header=BB70_7 Depth=1
	v_lshrrev_b32_e32 v35, 3, v147
	v_and_b32_e32 v35, 6, v35
	v_xor_b32_e32 v36, v35, v148
	v_lshlrev_b32_e32 v36, 2, v36
	v_and_b32_e32 v37, 8, v147
	v_xor_b32_e32 v147, 0x440, v36
	v_cmp_eq_u32_e32 vcc, 0, v37
	v_perm_b32 v37, v22, v18, s61
	s_nop 0
	v_cndmask_b32_e32 v36, v147, v36, vcc
	v_lshl_or_b32 v35, v35, 10, v36
	v_perm_b32 v36, v30, v26, s61
	s_barrier
	ds_write2st64_b32 v35, v36, v37 offset0:128 offset1:160
	v_xor_b32_e32 v36, 8, v35
	v_perm_b32 v26, v30, v26, s62
	v_perm_b32 v18, v22, v18, s62
	v_add_u32_e32 v22, 0x80, v36
	ds_write2st64_b32 v22, v26, v18 offset0:128 offset1:160
	v_xor_b32_e32 v18, 16, v35
	v_perm_b32 v22, v31, v27, s61
	v_perm_b32 v26, v23, v19, s61
	ds_write2st64_b32 v18, v22, v26 offset0:129 offset1:161
	v_xor_b32_e32 v18, 24, v35
	v_perm_b32 v22, v31, v27, s62
	v_perm_b32 v19, v23, v19, s62
	v_add_u32_e32 v18, 0x80, v18
	ds_write2st64_b32 v18, v22, v19 offset0:129 offset1:161
	v_xor_b32_e32 v18, 32, v35
	v_perm_b32 v19, v32, v28, s61
	v_perm_b32 v22, v24, v20, s61
	;; [unrolled: 9-line block ×3, first 2 shown]
	ds_write2st64_b32 v18, v19, v20 offset0:131 offset1:163
	v_xor_b32_e32 v18, 56, v35
	v_perm_b32 v19, v33, v29, s62
	v_perm_b32 v20, v25, v21, s62
	v_add_u32_e32 v18, 0x80, v18
	ds_write2st64_b32 v18, v19, v20 offset0:131 offset1:163
	ds_write_b64 v146, v[14:15] offset:49152
	v_xor_b32_e32 v14, 8, v146
	ds_write_b64 v14, v[16:17] offset:49152
	ds_write_b64 v146, v[10:11] offset:57344
	;; [unrolled: 1-line block ×4, first 2 shown]
	v_xor_b32_e32 v6, 8, v145
	ds_write_b64 v6, v[8:9] offset:49152
	ds_write_b64 v145, v[2:3] offset:57344
	;; [unrolled: 1-line block ×3, first 2 shown]
	s_branch .LBB70_6
.LBB70_17:
	s_lshl_b32 s3, s51, 6
	s_sub_i32 s56, s56, s3
	s_cmp_gt_i32 s56, 0
	v_or_b32_e32 v18, s2, v87
	s_cbranch_scc1 .LBB70_19
; %bb.18:
	s_ashr_i32 s29, s47, 31
	v_or_b32_e32 v2, s2, v87
	s_cbranch_execz .LBB70_20
	s_branch .LBB70_100
.LBB70_19:
                                        ; implicit-def: $vgpr2
                                        ; implicit-def: $sgpr28_sgpr29
.LBB70_20:
	s_add_i32 s28, s3, s38
	s_ashr_i32 s3, s28, 31
	s_cmpk_lg_i32 s19, 0x80
	s_cselect_b64 s[42:43], -1, 0
	s_and_b64 vcc, exec, s[42:43]
	s_cbranch_vccz .LBB70_22
; %bb.21:
	s_mul_hi_i32 s0, s28, s18
	s_mul_i32 s1, s28, s18
	s_ashr_i32 s18, s55, 31
	s_add_u32 s44, s1, s55
	s_addc_u32 s45, s0, s18
	s_cbranch_execz .LBB70_23
	s_branch .LBB70_24
.LBB70_22:
                                        ; implicit-def: $sgpr44_sgpr45
.LBB70_23:
	s_mul_i32 s1, s55, s16
	s_mul_hi_i32 s0, s55, s16
	s_add_u32 s44, s1, s28
	s_addc_u32 s45, s0, s3
.LBB70_24:
	s_add_i32 s16, s51, s52
	s_ashr_i32 s29, s47, 31
	s_add_u32 s0, s54, s28
	v_lshlrev_b32_e32 v6, 6, v1
	v_lshlrev_b32_e32 v26, 2, v87
	s_addc_u32 s1, s53, s3
	s_mov_b32 s3, 0x7060302
	v_or_b32_e32 v9, v6, v26
	v_xor_b32_e32 v7, v1, v26
	v_perm_b32 v3, v77, v76, s3
	v_perm_b32 v2, v75, v74, s3
	v_perm_b32 v5, v73, v72, s3
	v_perm_b32 v4, v71, v70, s3
	v_lshlrev_b32_e32 v9, 1, v9
	v_xor_b32_e32 v8, v90, v26
	ds_write2st64_b64 v9, v[2:3], v[4:5] offset0:32 offset1:48
	v_lshlrev_b32_e32 v7, 1, v7
	v_lshlrev_b32_e32 v9, 8, v87
	v_or_b32_e32 v10, v7, v9
	v_lshlrev_b32_e32 v8, 1, v8
	ds_write_b64 v10, v[2:3]
	v_or_b32_e32 v2, v8, v9
	v_or_b32_e32 v9, 16, v87
	v_lshlrev_b32_e32 v25, 2, v9
	v_or_b32_e32 v10, v6, v25
	ds_write_b64 v2, v[4:5]
	v_perm_b32 v3, v69, v68, s3
	v_perm_b32 v2, v67, v66, s3
	;; [unrolled: 1-line block ×4, first 2 shown]
	v_lshlrev_b32_e32 v10, 1, v10
	v_lshlrev_b32_e32 v9, 8, v9
	ds_write2st64_b64 v10, v[2:3], v[4:5] offset0:32 offset1:48
	v_or_b32_e32 v10, v7, v9
	ds_write_b64 v10, v[2:3]
	v_or_b32_e32 v2, v8, v9
	v_or_b32_e32 v9, 32, v87
	v_lshlrev_b32_e32 v24, 2, v9
	v_or_b32_e32 v10, v6, v24
	ds_write_b64 v2, v[4:5]
	v_perm_b32 v3, v61, v60, s3
	v_perm_b32 v2, v59, v58, s3
	;; [unrolled: 1-line block ×4, first 2 shown]
	v_lshlrev_b32_e32 v10, 1, v10
	v_lshlrev_b32_e32 v9, 8, v9
	s_lshl_b64 s[30:31], s[0:1], 8
	ds_write2st64_b64 v10, v[2:3], v[4:5] offset0:32 offset1:48
	v_or_b32_e32 v10, v7, v9
	s_add_u32 s0, s6, s30
	ds_write_b64 v10, v[2:3]
	v_or_b32_e32 v2, v8, v9
	s_addc_u32 s1, s7, s31
	ds_write_b64 v2, v[4:5]
	v_perm_b32 v3, v53, v52, s3
	v_perm_b32 v2, v51, v50, s3
	;; [unrolled: 1-line block ×4, first 2 shown]
	v_or_b32_e32 v9, 48, v87
	s_mul_hi_i32 s3, s16, s17
	s_mul_i32 s16, s16, s17
	v_lshlrev_b32_e32 v21, 2, v9
	s_add_u32 s6, s16, s47
	v_or_b32_e32 v6, v6, v21
	s_addc_u32 s7, s3, s29
	v_lshlrev_b32_e32 v6, 1, v6
	s_ashr_i32 s3, s2, 31
	s_lshl_b64 s[6:7], s[6:7], 15
	ds_write2st64_b64 v6, v[2:3], v[4:5] offset0:32 offset1:48
	v_lshlrev_b32_e32 v6, 8, v9
	s_add_u32 s6, s40, s6
	v_or_b32_e32 v7, v7, v6
	s_addc_u32 s7, s41, s7
	s_lshl_b64 s[2:3], s[2:3], 8
	ds_write_b64 v7, v[2:3]
	v_or_b32_e32 v2, v8, v6
	s_add_u32 s2, s6, s2
	v_lshlrev_b32_e32 v3, 1, v87
	ds_write_b64 v2, v[4:5]
	v_lshrrev_b32_e32 v2, 4, v0
	s_addc_u32 s3, s7, s3
	v_or_b32_e32 v4, 1, v3
	v_lshlrev_b32_e32 v10, 4, v87
	v_mov_b32_e32 v11, 0
	v_xor_b32_e32 v3, v2, v3
	v_xor_b32_e32 v6, v4, v2
	v_lshl_add_u64 v[12:13], s[2:3], 0, v[10:11]
	v_lshlrev_b32_e32 v10, 8, v2
	v_lshl_or_b32 v16, v3, 3, v10
	v_lshl_or_b32 v17, v6, 3, v10
	s_waitcnt lgkmcnt(0)
	s_barrier
	ds_read2st64_b64 v[2:5], v16 offset1:8
	ds_read2st64_b64 v[6:9], v17 offset1:8
	v_lshl_add_u64 v[14:15], v[12:13], 0, v[10:11]
	s_movk_i32 s2, 0x2000
	s_cmp_lg_u32 s56, 64
	s_waitcnt lgkmcnt(1)
	v_mov_b32_e32 v10, v2
	v_mov_b32_e32 v11, v3
	s_waitcnt lgkmcnt(0)
	v_mov_b32_e32 v12, v6
	v_mov_b32_e32 v13, v7
	global_store_dwordx4 v[14:15], v[10:13], off
	v_mov_b32_e32 v6, v4
	v_mov_b32_e32 v7, v5
	ds_read2st64_b64 v[2:5], v16 offset0:16 offset1:24
	ds_read2st64_b64 v[10:13], v17 offset0:16 offset1:24
	v_add_co_u32_e32 v16, vcc, s2, v14
	s_cselect_b64 s[6:7], -1, 0
	s_nop 0
	v_addc_co_u32_e32 v17, vcc, 0, v15, vcc
	global_store_dwordx4 v[16:17], v[6:9], off offset:-4096
	v_lshl_or_b32 v19, v45, 3, v89
	s_mov_b32 s24, 0
	s_waitcnt lgkmcnt(1)
	v_mov_b32_e32 v6, v2
	v_add_co_u32_e32 v2, vcc, 0x3000, v14
	v_mov_b32_e32 v7, v3
	s_nop 0
	v_addc_co_u32_e32 v3, vcc, 0, v15, vcc
	s_waitcnt lgkmcnt(0)
	v_mov_b32_e32 v8, v10
	v_mov_b32_e32 v9, v11
	;; [unrolled: 1-line block ×4, first 2 shown]
	v_or_b32_e32 v22, 32, v19
	v_and_b32_e32 v20, 56, v88
	s_and_b64 vcc, exec, s[6:7]
	global_store_dwordx4 v[16:17], v[6:9], off
	global_store_dwordx4 v[2:3], v[10:13], off
	s_cbranch_vccz .LBB70_30
; %bb.25:
	s_mov_b32 s25, s24
	s_mov_b32 s26, s24
	;; [unrolled: 1-line block ×3, first 2 shown]
	v_mov_b64_e32 v[6:7], s[24:25]
	v_mov_b64_e32 v[8:9], s[26:27]
	;; [unrolled: 1-line block ×3, first 2 shown]
	v_cmp_gt_i32_e32 vcc, s56, v19
	v_mov_b64_e32 v[4:5], v[8:9]
	s_and_saveexec_b64 s[2:3], vcc
	s_cbranch_execz .LBB70_27
; %bb.26:
	v_lshlrev_b32_e32 v2, 8, v19
	v_mov_b32_e32 v3, 0
	v_lshl_add_u64 v[4:5], s[0:1], 0, v[2:3]
	v_lshlrev_b32_e32 v2, 1, v20
	v_lshl_add_u64 v[10:11], v[4:5], 0, v[2:3]
	global_load_dwordx4 v[6:9], v[10:11], off
	global_load_dwordx4 v[2:5], v[10:11], off offset:128
.LBB70_27:
	s_or_b64 exec, exec, s[2:3]
	s_mov_b32 s25, s24
	s_mov_b32 s26, s24
	;; [unrolled: 1-line block ×3, first 2 shown]
	v_mov_b64_e32 v[14:15], s[24:25]
	v_mov_b64_e32 v[16:17], s[26:27]
	;; [unrolled: 1-line block ×3, first 2 shown]
	v_cmp_gt_i32_e32 vcc, s56, v22
	v_lshlrev_b32_e32 v23, 7, v22
	v_mov_b64_e32 v[12:13], v[16:17]
	s_and_saveexec_b64 s[2:3], vcc
	s_cbranch_execz .LBB70_29
; %bb.28:
	v_lshlrev_b32_e32 v10, 1, v23
	v_mov_b32_e32 v11, 0
	v_lshl_add_u64 v[12:13], s[0:1], 0, v[10:11]
	v_lshlrev_b32_e32 v10, 1, v20
	v_lshl_add_u64 v[28:29], v[12:13], 0, v[10:11]
	global_load_dwordx4 v[14:17], v[28:29], off
	global_load_dwordx4 v[10:13], v[28:29], off offset:128
.LBB70_29:
	s_or_b64 exec, exec, s[2:3]
	v_lshrrev_b32_e32 v27, 3, v20
	v_lshlrev_b32_e32 v28, 3, v19
	v_or_b32_e32 v27, v28, v27
	v_lshlrev_b32_e32 v27, 4, v27
	v_and_b32_e32 v28, 0x78, v28
	v_xor_b32_e32 v27, v27, v28
	s_branch .LBB70_32
.LBB70_30:
                                        ; implicit-def: $vgpr27
                                        ; implicit-def: $vgpr23
                                        ; implicit-def: $vgpr6_vgpr7_vgpr8_vgpr9
                                        ; implicit-def: $vgpr2_vgpr3_vgpr4_vgpr5
                                        ; implicit-def: $vgpr14_vgpr15_vgpr16_vgpr17
                                        ; implicit-def: $vgpr10_vgpr11_vgpr12_vgpr13
	s_cbranch_execz .LBB70_32
; %bb.31:
	s_waitcnt vmcnt(0)
	v_lshlrev_b32_e32 v2, 1, v20
	v_lshl_or_b32 v23, v19, 8, v2
	s_and_b32 s1, s1, 0xffff
	s_mov_b32 s3, 0x20000
	s_movk_i32 s2, 0x4000
	v_lshl_or_b32 v27, v22, 8, v2
	s_movk_i32 s16, 0x80
	buffer_load_dwordx4 v[6:9], v23, s[0:3], 0 offen
	buffer_load_dwordx4 v[2:5], v23, s[0:3], s16 offen
	;; [unrolled: 1-line block ×4, first 2 shown]
	v_lshrrev_b32_e32 v23, 3, v20
	v_lshlrev_b32_e32 v27, 3, v19
	v_or_b32_e32 v23, v27, v23
	v_lshlrev_b32_e32 v23, 4, v23
	v_and_b32_e32 v27, 0x78, v27
	v_xor_b32_e32 v27, v23, v27
	v_lshlrev_b32_e32 v23, 7, v22
.LBB70_32:
	s_movk_i32 s0, 0x1000
	v_and_or_b32 v22, v23, s0, v27
	s_waitcnt vmcnt(1)
	ds_write_b64 v27, v[6:7] offset:49152
	v_xor_b32_e32 v6, 8, v27
	ds_write_b64 v6, v[8:9] offset:49152
	s_waitcnt vmcnt(0)
	ds_write_b64 v27, v[2:3] offset:57344
	ds_write_b64 v6, v[4:5] offset:57344
	;; [unrolled: 1-line block ×3, first 2 shown]
	v_xor_b32_e32 v2, 8, v22
	ds_write_b64 v2, v[16:17] offset:49152
	ds_write_b64 v22, v[10:11] offset:57344
	;; [unrolled: 1-line block ×3, first 2 shown]
	v_or_b32_e32 v2, v84, v87
	v_lshlrev_b32_e32 v2, 3, v2
	v_lshrrev_b32_e32 v3, 5, v85
	s_movk_i32 s0, 0xf8
	v_and_or_b32 v3, v2, s0, v3
	v_lshlrev_b32_e32 v7, 4, v3
	v_lshlrev_b32_e32 v27, 11, v45
	v_and_b32_e32 v8, 0x78, v2
	v_or_b32_e32 v10, 32, v7
	v_and_b32_e32 v6, 0x1000, v27
	v_lshrrev_b32_e32 v3, 1, v85
	v_xor_b32_e32 v10, v10, v8
	v_xor_b32_e32 v2, v7, v8
	v_and_b32_e32 v9, 8, v3
	v_or_b32_e32 v10, v10, v6
	v_or_b32_e32 v2, v2, v6
	v_xor_b32_e32 v33, v10, v9
	v_or_b32_e32 v10, 64, v7
	v_xor_b32_e32 v32, v2, v9
	v_xor_b32_e32 v10, v10, v8
	s_waitcnt lgkmcnt(0)
	s_barrier
	v_or_b32_e32 v13, v10, v6
	ds_read_b64 v[10:11], v32 offset:49152
	v_lshl_or_b32 v14, v86, 8, v26
	v_lshlrev_b32_e32 v28, 1, v14
	v_add_u32_e32 v12, 0x4000, v28
	ds_read2_b64 v[2:5], v12 offset1:16
	v_or_b32_e32 v7, 0x60, v7
	v_xor_b32_e32 v7, v7, v8
	v_or_b32_e32 v6, v7, v6
	v_xor_b32_e32 v34, v13, v9
	v_xor_b32_e32 v35, v6, v9
	ds_read_b64 v[22:23], v33 offset:49152
	ds_read_b64 v[36:37], v34 offset:49152
	;; [unrolled: 1-line block ×3, first 2 shown]
	s_waitcnt lgkmcnt(3)
	v_mfma_f32_16x16x16_bf16 a[0:3], v[10:11], v[2:3], 0
	ds_read2_b64 v[6:9], v12 offset0:32 offset1:48
	s_lshl_b64 s[0:1], s[44:45], 8
	s_add_u32 s4, s4, s0
	v_mfma_f32_16x16x16_bf16 a[4:7], v[10:11], v[4:5], 0
	ds_read2st64_b64 v[2:5], v28 offset0:36 offset1:40
	s_addc_u32 s5, s5, s1
	s_add_i32 s18, s39, -1
	s_waitcnt lgkmcnt(1)
	v_mfma_f32_16x16x16_bf16 a[8:11], v[10:11], v[6:7], 0
	v_or_b32_e32 v6, 64, v14
	v_lshlrev_b32_e32 v29, 1, v6
	s_add_i32 s0, s49, s48
	s_waitcnt lgkmcnt(0)
	v_mfma_f32_16x16x16_bf16 a[0:3], v[22:23], v[2:3], a[0:3]
	v_or_b32_e32 v2, 0x80, v14
	v_lshlrev_b32_e32 v30, 1, v2
	v_or_b32_e32 v2, 0xc0, v14
	v_mfma_f32_16x16x16_bf16 a[12:15], v[10:11], v[8:9], 0
	ds_read2st64_b64 v[6:9], v29 offset0:36 offset1:40
	v_lshlrev_b32_e32 v31, 1, v2
	ds_read2st64_b64 v[10:13], v30 offset0:36 offset1:40
	ds_read2st64_b64 v[14:17], v31 offset0:36 offset1:40
	s_add_i32 s21, s0, s50
	s_mul_i32 s0, s47, s23
	s_mul_hi_u32 s1, s47, s22
	s_ashr_i32 s2, s18, 31
	s_mul_i32 s3, s18, s15
	s_mul_hi_u32 s16, s18, s14
	s_waitcnt lgkmcnt(2)
	v_mfma_f32_16x16x16_bf16 a[4:7], v[22:23], v[6:7], a[4:7]
	s_add_i32 s0, s1, s0
	s_mul_i32 s1, s29, s22
	s_add_i32 s3, s16, s3
	s_mul_i32 s2, s2, s14
	s_waitcnt lgkmcnt(1)
	v_mfma_f32_16x16x16_bf16 a[8:11], v[22:23], v[10:11], a[8:11]
	s_add_i32 s1, s0, s1
	s_add_i32 s3, s3, s2
	s_lshl_b64 s[20:21], s[20:21], 2
	s_waitcnt lgkmcnt(0)
	v_mfma_f32_16x16x16_bf16 a[12:15], v[22:23], v[14:15], a[12:15]
	s_mul_i32 s0, s47, s22
	s_add_u32 s10, s10, s20
	s_addc_u32 s11, s11, s21
	s_lshl_b64 s[0:1], s[0:1], 2
	v_mfma_f32_16x16x16_bf16 a[0:3], v[36:37], v[4:5], a[0:3]
	s_mul_i32 s2, s18, s14
	ds_read_b64 v[2:3], v28 offset:22528
	s_add_u32 s10, s10, s0
	v_mfma_f32_16x16x16_bf16 a[4:7], v[36:37], v[8:9], a[4:7]
	ds_read_b64 v[4:5], v29 offset:22528
	ds_read_b64 v[6:7], v30 offset:22528
	ds_read_b64 v[8:9], v31 offset:22528
	s_addc_u32 s11, s11, s1
	s_lshl_b64 s[0:1], s[2:3], 2
	v_mfma_f32_16x16x16_bf16 a[8:11], v[36:37], v[12:13], a[8:11]
	s_add_u32 s0, s10, s0
	s_addc_u32 s1, s11, s1
	s_load_dword s16, s[0:1], 0x0
	v_mfma_f32_16x16x16_bf16 a[12:15], v[36:37], v[16:17], a[12:15]
	s_and_b64 vcc, exec, s[42:43]
	s_waitcnt lgkmcnt(0)
	v_mfma_f32_16x16x16_bf16 a[0:3], v[38:39], v[2:3], a[0:3]
	v_mfma_f32_16x16x16_bf16 a[4:7], v[38:39], v[4:5], a[4:7]
	;; [unrolled: 1-line block ×4, first 2 shown]
	s_cbranch_vccz .LBB70_43
; %bb.33:
	v_lshlrev_b32_e32 v22, 1, v19
	s_and_b64 vcc, exec, s[6:7]
	s_cbranch_vccz .LBB70_44
; %bb.34:
	v_cmp_gt_i32_e32 vcc, s56, v22
	v_mov_b32_e32 v6, 0
	v_mov_b32_e32 v2, 0
	;; [unrolled: 1-line block ×5, first 2 shown]
	s_and_saveexec_b64 s[0:1], vcc
	s_cbranch_execz .LBB70_36
; %bb.35:
	v_mad_i64_i32 v[2:3], s[2:3], s19, v22, 0
	v_lshl_add_u64 v[2:3], v[2:3], 1, s[4:5]
	v_lshlrev_b32_e32 v4, 1, v20
	v_mov_b32_e32 v5, 0
	v_lshl_add_u64 v[2:3], v[2:3], 0, v[4:5]
	global_load_dwordx4 v[2:5], v[2:3], off
.LBB70_36:
	s_or_b64 exec, exec, s[0:1]
	v_or_b32_e32 v23, 1, v22
	v_cmp_gt_i32_e64 s[0:1], s56, v23
	v_mov_b32_e32 v7, 0
	v_mov_b32_e32 v8, 0
	;; [unrolled: 1-line block ×3, first 2 shown]
	s_and_saveexec_b64 s[2:3], s[0:1]
	s_cbranch_execz .LBB70_38
; %bb.37:
	v_mad_i64_i32 v[6:7], s[20:21], s19, v23, 0
	v_lshl_add_u64 v[6:7], v[6:7], 1, s[4:5]
	v_lshlrev_b32_e32 v8, 1, v20
	v_mov_b32_e32 v9, 0
	v_lshl_add_u64 v[6:7], v[6:7], 0, v[8:9]
	global_load_dwordx4 v[6:9], v[6:7], off
.LBB70_38:
	s_or_b64 exec, exec, s[2:3]
	v_mov_b32_e32 v17, 0
	v_mov_b32_e32 v10, 0
	;; [unrolled: 1-line block ×5, first 2 shown]
	s_and_saveexec_b64 s[2:3], vcc
	s_cbranch_execz .LBB70_40
; %bb.39:
	v_mad_i64_i32 v[10:11], s[20:21], s19, v22, 0
	v_lshl_add_u64 v[10:11], v[10:11], 1, s[4:5]
	v_lshlrev_b32_e32 v12, 1, v20
	v_mov_b32_e32 v13, 0
	v_lshl_add_u64 v[10:11], v[10:11], 0, v[12:13]
	global_load_dwordx4 v[10:13], v[10:11], off offset:128
.LBB70_40:
	s_or_b64 exec, exec, s[2:3]
	v_mov_b32_e32 v16, 0
	v_mov_b32_e32 v15, 0
	;; [unrolled: 1-line block ×3, first 2 shown]
	s_and_saveexec_b64 s[2:3], s[0:1]
	s_cbranch_execz .LBB70_42
; %bb.41:
	v_mad_i64_i32 v[14:15], s[0:1], s19, v23, 0
	v_lshl_add_u64 v[14:15], v[14:15], 1, s[4:5]
	v_lshlrev_b32_e32 v16, 1, v20
	v_mov_b32_e32 v17, 0
	v_lshl_add_u64 v[14:15], v[14:15], 0, v[16:17]
	global_load_dwordx4 v[14:17], v[14:15], off offset:128
.LBB70_42:
	s_or_b64 exec, exec, s[2:3]
	s_branch .LBB70_46
.LBB70_43:
                                        ; implicit-def: $vgpr5
                                        ; implicit-def: $vgpr9
                                        ; implicit-def: $vgpr13
                                        ; implicit-def: $vgpr17
	v_lshrrev_b32_e32 v36, 2, v85
	s_branch .LBB70_47
.LBB70_44:
                                        ; implicit-def: $vgpr5
                                        ; implicit-def: $vgpr9
                                        ; implicit-def: $vgpr13
                                        ; implicit-def: $vgpr17
	s_cbranch_execz .LBB70_46
; %bb.45:
	s_waitcnt vmcnt(0)
	v_mad_u64_u32 v[2:3], s[0:1], v22, s19, v[20:21]
	v_lshlrev_b32_e32 v22, 1, v2
	s_lshl_b32 s2, s19, 7
	s_and_b32 s1, s5, 0xffff
	s_mov_b32 s3, 0x20000
	s_mov_b32 s0, s4
	v_add_lshl_u32 v23, v2, s19, 1
	s_movk_i32 s19, 0x80
	buffer_load_dwordx4 v[2:5], v22, s[0:3], 0 offen
	buffer_load_dwordx4 v[10:13], v22, s[0:3], s19 offen
	;; [unrolled: 1-line block ×4, first 2 shown]
.LBB70_46:
	v_lshrrev_b32_e32 v36, 2, v85
	s_cbranch_execnz .LBB70_59
.LBB70_47:
	s_and_b64 vcc, exec, s[6:7]
	s_cbranch_vccz .LBB70_57
; %bb.48:
	s_waitcnt vmcnt(0)
	v_lshlrev_b32_e32 v7, 1, v19
	v_cmp_gt_i32_e32 vcc, s56, v7
	v_mov_b32_e32 v6, 0
	v_lshlrev_b32_e32 v14, 9, v19
	v_mov_b32_e32 v2, 0
	v_mov_b32_e32 v3, 0
	;; [unrolled: 1-line block ×4, first 2 shown]
	s_and_saveexec_b64 s[0:1], vcc
	s_cbranch_execz .LBB70_50
; %bb.49:
	v_mov_b32_e32 v15, 0
	v_lshl_add_u64 v[2:3], s[4:5], 0, v[14:15]
	v_lshlrev_b32_e32 v4, 1, v20
	v_mov_b32_e32 v5, v15
	v_lshl_add_u64 v[2:3], v[2:3], 0, v[4:5]
	global_load_dwordx4 v[2:5], v[2:3], off
.LBB70_50:
	s_or_b64 exec, exec, s[0:1]
	v_or_b32_e32 v7, 1, v7
	v_cmp_gt_i32_e64 s[0:1], s56, v7
	v_lshlrev_b32_e32 v22, 8, v7
	v_mov_b32_e32 v7, 0
	v_mov_b32_e32 v8, 0
	;; [unrolled: 1-line block ×3, first 2 shown]
	s_and_saveexec_b64 s[2:3], s[0:1]
	s_cbranch_execz .LBB70_52
; %bb.51:
	v_mov_b32_e32 v23, 0
	v_lshl_add_u64 v[6:7], s[4:5], 0, v[22:23]
	v_lshlrev_b32_e32 v8, 1, v20
	v_mov_b32_e32 v9, v23
	v_lshl_add_u64 v[6:7], v[6:7], 0, v[8:9]
	global_load_dwordx4 v[6:9], v[6:7], off
.LBB70_52:
	s_or_b64 exec, exec, s[2:3]
	v_mov_b32_e32 v17, 0
	v_mov_b32_e32 v10, 0
	;; [unrolled: 1-line block ×5, first 2 shown]
	s_and_saveexec_b64 s[2:3], vcc
	s_cbranch_execz .LBB70_54
; %bb.53:
	v_mov_b32_e32 v15, 0
	v_lshl_add_u64 v[10:11], s[4:5], 0, v[14:15]
	v_lshlrev_b32_e32 v14, 1, v20
	v_lshl_add_u64 v[10:11], v[10:11], 0, v[14:15]
	global_load_dwordx4 v[10:13], v[10:11], off offset:128
.LBB70_54:
	s_or_b64 exec, exec, s[2:3]
	v_mov_b32_e32 v16, 0
	v_mov_b32_e32 v15, 0
	;; [unrolled: 1-line block ×3, first 2 shown]
	s_and_saveexec_b64 s[2:3], s[0:1]
	s_cbranch_execz .LBB70_56
; %bb.55:
	v_mov_b32_e32 v23, 0
	v_lshl_add_u64 v[14:15], s[4:5], 0, v[22:23]
	v_lshlrev_b32_e32 v22, 1, v20
	v_lshl_add_u64 v[14:15], v[14:15], 0, v[22:23]
	global_load_dwordx4 v[14:17], v[14:15], off offset:128
.LBB70_56:
	s_or_b64 exec, exec, s[2:3]
	s_branch .LBB70_59
.LBB70_57:
                                        ; implicit-def: $vgpr5
                                        ; implicit-def: $vgpr9
                                        ; implicit-def: $vgpr13
                                        ; implicit-def: $vgpr17
	s_cbranch_execz .LBB70_59
; %bb.58:
	s_waitcnt vmcnt(0)
	v_lshlrev_b32_e32 v2, 1, v20
	v_lshl_or_b32 v20, v19, 9, v2
	s_and_b32 s5, s5, 0xffff
	s_mov_b32 s7, 0x20000
	s_movk_i32 s6, 0x4000
	s_movk_i32 s0, 0x80
	buffer_load_dwordx4 v[2:5], v20, s[4:7], 0 offen
	buffer_load_dwordx4 v[6:9], v20, s[4:7], 0 offen offset:256
	buffer_load_dwordx4 v[10:13], v20, s[4:7], s0 offen
	buffer_load_dwordx4 v[14:17], v20, s[4:7], s0 offen offset:256
.LBB70_59:
	ds_read_b64 v[22:23], v32 offset:57344
	v_add_u32_e32 v20, 0x6000, v28
	ds_read2_b64 v[38:41], v20 offset1:16
	ds_read_b64 v[82:83], v33 offset:57344
	ds_read_b64 v[86:87], v34 offset:57344
	;; [unrolled: 1-line block ×3, first 2 shown]
	ds_read2_b64 v[32:35], v20 offset0:32 offset1:48
	v_and_b32_e32 v20, 12, v36
	v_and_b32_e32 v44, 6, v0
	v_xor_b32_e32 v19, v19, v44
	v_lshlrev_b32_e32 v19, 2, v19
	s_mov_b32 s0, 0x1000504
	s_waitcnt lgkmcnt(4)
	v_mfma_f32_16x16x16_bf16 a[4:7], v[22:23], v[40:41], a[4:7]
	s_mov_b32 s1, 0x3020706
	v_mfma_f32_16x16x16_bf16 a[0:3], v[22:23], v[38:39], a[0:3]
	ds_read2st64_b64 v[36:39], v28 offset0:52 offset1:56
	s_waitcnt lgkmcnt(1)
	v_mfma_f32_16x16x16_bf16 a[8:11], v[22:23], v[32:33], a[8:11]
	v_mfma_f32_16x16x16_bf16 a[12:15], v[22:23], v[34:35], a[12:15]
	ds_read2st64_b64 v[32:35], v29 offset0:52 offset1:56
	ds_read2st64_b64 v[40:43], v30 offset0:52 offset1:56
	;; [unrolled: 1-line block ×3, first 2 shown]
	s_waitcnt lgkmcnt(2)
	v_mfma_f32_16x16x16_bf16 a[4:7], v[82:83], v[32:33], a[4:7]
	v_and_b32_e32 v32, 1, v0
	v_xor_b32_e32 v33, 0x440, v19
	v_cmp_eq_u32_e32 vcc, 0, v32
	v_mfma_f32_16x16x16_bf16 a[0:3], v[82:83], v[36:37], a[0:3]
	s_waitcnt vmcnt(0)
	v_perm_b32 v32, v2, v6, s0
	v_cndmask_b32_e32 v19, v33, v19, vcc
	v_lshl_or_b32 v19, v44, 10, v19
	s_waitcnt lgkmcnt(1)
	v_mfma_f32_16x16x16_bf16 a[8:11], v[82:83], v[40:41], a[8:11]
	v_perm_b32 v33, v10, v14, s0
	ds_read_b64 v[22:23], v28 offset:30720
	ds_read_b64 v[36:37], v29 offset:30720
	;; [unrolled: 1-line block ×4, first 2 shown]
	ds_write2st64_b32 v19, v32, v33 offset0:128 offset1:160
	s_waitcnt lgkmcnt(5)
	v_mfma_f32_16x16x16_bf16 a[12:15], v[82:83], v[78:79], a[12:15]
	v_xor_b32_e32 v32, 8, v19
	v_perm_b32 v2, v2, v6, s1
	v_perm_b32 v6, v10, v14, s1
	v_add_u32_e32 v10, 0x80, v32
	ds_write2st64_b32 v10, v2, v6 offset0:128 offset1:160
	v_xor_b32_e32 v2, 16, v19
	v_perm_b32 v6, v3, v7, s0
	v_perm_b32 v10, v11, v15, s0
	v_mfma_f32_16x16x16_bf16 a[0:3], v[86:87], v[38:39], a[0:3]
	ds_write2st64_b32 v2, v6, v10 offset0:129 offset1:161
	v_xor_b32_e32 v2, 24, v19
	v_perm_b32 v3, v3, v7, s1
	v_mfma_f32_16x16x16_bf16 a[4:7], v[86:87], v[34:35], a[4:7]
	v_perm_b32 v6, v11, v15, s1
	v_add_u32_e32 v2, 0x80, v2
	ds_write2st64_b32 v2, v3, v6 offset0:129 offset1:161
	v_mfma_f32_16x16x16_bf16 a[16:19], v[86:87], v[42:43], a[8:11]
	v_xor_b32_e32 v2, 32, v19
	v_perm_b32 v3, v4, v8, s0
	v_perm_b32 v6, v12, v16, s0
	v_mfma_f32_16x16x16_bf16 a[20:23], v[86:87], v[80:81], a[12:15]
	ds_write2st64_b32 v2, v3, v6 offset0:130 offset1:162
	v_xor_b32_e32 v2, 40, v19
	v_perm_b32 v3, v4, v8, s1
	s_waitcnt lgkmcnt(8)
	v_mfma_f32_16x16x16_bf16 a[12:15], v[88:89], v[22:23], a[0:3]
	v_perm_b32 v4, v12, v16, s1
	v_add_u32_e32 v2, 0x80, v2
	ds_write2st64_b32 v2, v3, v4 offset0:130 offset1:162
	s_waitcnt lgkmcnt(8)
	v_mfma_f32_16x16x16_bf16 a[8:11], v[88:89], v[36:37], a[4:7]
	v_xor_b32_e32 v2, 48, v19
	v_perm_b32 v3, v5, v9, s0
	v_perm_b32 v4, v13, v17, s0
	s_waitcnt lgkmcnt(7)
	v_mfma_f32_16x16x16_bf16 a[4:7], v[88:89], v[90:91], a[16:19]
	ds_write2st64_b32 v2, v3, v4 offset0:131 offset1:163
	v_xor_b32_e32 v2, 56, v19
	v_or_b32_e32 v16, v20, v84
	s_waitcnt lgkmcnt(7)
	v_mfma_f32_16x16x16_bf16 a[0:3], v[88:89], v[92:93], a[20:23]
	v_perm_b32 v3, v5, v9, s1
	v_perm_b32 v4, v13, v17, s1
	v_add_u32_e32 v2, 0x80, v2
	v_cmp_gt_i32_e32 vcc, s56, v16
	v_mov_b32_e32 v17, 0
	v_mov_b32_e32 v23, 0
	ds_write2st64_b32 v2, v3, v4 offset0:131 offset1:163
	s_and_saveexec_b64 s[0:1], vcc
	s_cbranch_execz .LBB70_61
; %bb.60:
	v_add_u32_e32 v2, s28, v16
	v_ashrrev_i32_e32 v3, 31, v2
	v_mul_lo_u32 v4, v3, s14
	v_mul_lo_u32 v5, v2, s15
	v_mad_u64_u32 v[2:3], s[2:3], v2, s14, 0
	v_add3_u32 v3, v3, v5, v4
	v_lshl_add_u64 v[2:3], v[2:3], 2, s[10:11]
	global_load_dword v2, v[2:3], off
	s_waitcnt vmcnt(0)
	v_sub_f32_e32 v2, s16, v2
	v_mul_f32_e32 v2, 0x3fb8aa3b, v2
	v_exp_f32_e32 v23, v2
.LBB70_61:
	s_or_b64 exec, exec, s[0:1]
	v_or_b32_e32 v8, 1, v16
	v_cmp_gt_i32_e64 s[0:1], s56, v8
	s_and_saveexec_b64 s[2:3], s[0:1]
	s_cbranch_execz .LBB70_63
; %bb.62:
	v_add_u32_e32 v2, s28, v8
	v_ashrrev_i32_e32 v3, 31, v2
	v_mul_lo_u32 v4, v3, s14
	v_mul_lo_u32 v5, v2, s15
	v_mad_u64_u32 v[2:3], s[4:5], v2, s14, 0
	v_add3_u32 v3, v3, v5, v4
	v_lshl_add_u64 v[2:3], v[2:3], 2, s[10:11]
	global_load_dword v2, v[2:3], off
	s_waitcnt vmcnt(0)
	v_sub_f32_e32 v2, s16, v2
	v_mul_f32_e32 v2, 0x3fb8aa3b, v2
	v_exp_f32_e32 v17, v2
.LBB70_63:
	s_or_b64 exec, exec, s[2:3]
	v_or_b32_e32 v9, 2, v16
	v_cmp_gt_i32_e64 s[2:3], s56, v9
	v_mov_b32_e32 v22, 0
	v_mov_b32_e32 v32, 0
	s_and_saveexec_b64 s[4:5], s[2:3]
	s_cbranch_execz .LBB70_65
; %bb.64:
	v_add_u32_e32 v2, s28, v9
	v_ashrrev_i32_e32 v3, 31, v2
	v_mul_lo_u32 v4, v3, s14
	v_mul_lo_u32 v5, v2, s15
	v_mad_u64_u32 v[2:3], s[6:7], v2, s14, 0
	v_add3_u32 v3, v3, v5, v4
	v_lshl_add_u64 v[2:3], v[2:3], 2, s[10:11]
	global_load_dword v2, v[2:3], off
	s_waitcnt vmcnt(0)
	v_sub_f32_e32 v2, s16, v2
	v_mul_f32_e32 v2, 0x3fb8aa3b, v2
	v_exp_f32_e32 v32, v2
.LBB70_65:
	s_or_b64 exec, exec, s[4:5]
	v_or_b32_e32 v33, 3, v16
	v_cmp_gt_i32_e64 s[4:5], s56, v33
	s_and_saveexec_b64 s[6:7], s[4:5]
	s_cbranch_execz .LBB70_67
; %bb.66:
	v_add_u32_e32 v2, s28, v33
	v_ashrrev_i32_e32 v3, 31, v2
	v_mul_lo_u32 v4, v3, s14
	v_mul_lo_u32 v5, v2, s15
	v_mad_u64_u32 v[2:3], s[14:15], v2, s14, 0
	v_add3_u32 v3, v3, v5, v4
	v_lshl_add_u64 v[2:3], v[2:3], 2, s[10:11]
	global_load_dword v2, v[2:3], off
	s_waitcnt vmcnt(0)
	v_sub_f32_e32 v2, s16, v2
	v_mul_f32_e32 v2, 0x3fb8aa3b, v2
	v_exp_f32_e32 v22, v2
.LBB70_67:
	s_or_b64 exec, exec, s[6:7]
	s_add_u32 s6, s8, s30
	v_accvgpr_read_b32 v2, a12
	s_addc_u32 s7, s9, s31
	v_ashrrev_i32_e32 v19, 31, v18
	v_accvgpr_read_b32 v3, a13
	v_accvgpr_read_b32 v4, a14
	;; [unrolled: 1-line block ×3, first 2 shown]
	v_lshl_add_u64 v[6:7], v[18:19], 1, s[6:7]
	v_mov_b32_e32 v13, 0
	v_lshlrev_b32_e32 v10, 8, v16
	v_mov_b32_e32 v11, 0
	s_and_saveexec_b64 s[6:7], vcc
	s_cbranch_execz .LBB70_69
; %bb.68:
	v_mov_b32_e32 v11, 0
	v_lshl_add_u64 v[14:15], v[6:7], 0, v[10:11]
	global_load_ushort v11, v[14:15], off
	s_waitcnt vmcnt(0)
	v_lshlrev_b32_e32 v11, 16, v11
	v_sub_f32_e32 v2, v11, v2
	v_mul_f32_e32 v2, v23, v2
	v_lshrrev_b32_e32 v11, 16, v2
.LBB70_69:
	s_or_b64 exec, exec, s[6:7]
	v_lshlrev_b32_e32 v12, 8, v8
	s_and_saveexec_b64 s[6:7], s[0:1]
	s_cbranch_execz .LBB70_71
; %bb.70:
	v_mov_b32_e32 v13, 0
	v_lshl_add_u64 v[14:15], v[6:7], 0, v[12:13]
	global_load_ushort v2, v[14:15], off
	s_waitcnt vmcnt(0)
	v_lshlrev_b32_e32 v2, 16, v2
	v_sub_f32_e32 v2, v2, v3
	v_mul_f32_e32 v2, v17, v2
	v_lshrrev_b32_e32 v13, 16, v2
.LBB70_71:
	s_or_b64 exec, exec, s[6:7]
	v_mov_b32_e32 v34, 0
	v_lshlrev_b32_e32 v14, 8, v9
	v_mov_b32_e32 v15, 0
	s_and_saveexec_b64 s[6:7], s[2:3]
	s_cbranch_execz .LBB70_73
; %bb.72:
	v_mov_b32_e32 v15, 0
	v_lshl_add_u64 v[2:3], v[6:7], 0, v[14:15]
	global_load_ushort v2, v[2:3], off
	s_waitcnt vmcnt(0)
	v_lshlrev_b32_e32 v2, 16, v2
	v_sub_f32_e32 v2, v2, v4
	v_mul_f32_e32 v2, v32, v2
	v_lshrrev_b32_e32 v15, 16, v2
.LBB70_73:
	s_or_b64 exec, exec, s[6:7]
	v_lshlrev_b32_e32 v8, 8, v33
	s_and_saveexec_b64 s[6:7], s[4:5]
	s_cbranch_execz .LBB70_75
; %bb.74:
	v_mov_b32_e32 v9, 0
	v_lshl_add_u64 v[2:3], v[6:7], 0, v[8:9]
	global_load_ushort v2, v[2:3], off
	s_waitcnt vmcnt(0)
	v_lshlrev_b32_e32 v2, 16, v2
	v_sub_f32_e32 v2, v2, v5
	v_mul_f32_e32 v2, v22, v2
	v_lshrrev_b32_e32 v34, 16, v2
.LBB70_75:
	s_or_b64 exec, exec, s[6:7]
	v_lshlrev_b32_e32 v19, 6, v16
	v_accvgpr_read_b32 v2, a8
	s_mov_b32 s6, 0x5040100
	v_or_b32_e32 v9, v19, v26
	v_accvgpr_read_b32 v3, a9
	v_accvgpr_read_b32 v4, a10
	;; [unrolled: 1-line block ×3, first 2 shown]
	v_perm_b32 v35, v34, v15, s6
	v_perm_b32 v34, v13, v11, s6
	v_lshlrev_b32_e32 v9, 1, v9
	v_mov_b32_e32 v13, 0
	v_mov_b32_e32 v11, 0
	ds_write_b64 v9, v[34:35] offset:24576
	s_and_saveexec_b64 s[6:7], vcc
	s_cbranch_execz .LBB70_77
; %bb.76:
	v_mov_b32_e32 v11, 0
	v_lshl_add_u64 v[34:35], v[6:7], 0, v[10:11]
	global_load_ushort v9, v[34:35], off offset:32
	s_waitcnt vmcnt(0)
	v_lshlrev_b32_e32 v9, 16, v9
	v_sub_f32_e32 v2, v9, v2
	v_mul_f32_e32 v2, v23, v2
	v_lshrrev_b32_e32 v11, 16, v2
.LBB70_77:
	s_or_b64 exec, exec, s[6:7]
	s_and_saveexec_b64 s[6:7], s[0:1]
	s_cbranch_execz .LBB70_79
; %bb.78:
	v_mov_b32_e32 v13, 0
	v_lshl_add_u64 v[34:35], v[6:7], 0, v[12:13]
	global_load_ushort v2, v[34:35], off offset:32
	s_waitcnt vmcnt(0)
	v_lshlrev_b32_e32 v2, 16, v2
	v_sub_f32_e32 v2, v2, v3
	v_mul_f32_e32 v2, v17, v2
	v_lshrrev_b32_e32 v13, 16, v2
.LBB70_79:
	s_or_b64 exec, exec, s[6:7]
	v_mov_b32_e32 v9, 0
	v_mov_b32_e32 v15, 0
	s_and_saveexec_b64 s[6:7], s[2:3]
	s_cbranch_execz .LBB70_81
; %bb.80:
	v_mov_b32_e32 v15, 0
	v_lshl_add_u64 v[2:3], v[6:7], 0, v[14:15]
	global_load_ushort v2, v[2:3], off offset:32
	s_waitcnt vmcnt(0)
	v_lshlrev_b32_e32 v2, 16, v2
	v_sub_f32_e32 v2, v2, v4
	v_mul_f32_e32 v2, v32, v2
	v_lshrrev_b32_e32 v15, 16, v2
.LBB70_81:
	s_or_b64 exec, exec, s[6:7]
	s_and_saveexec_b64 s[6:7], s[4:5]
	s_cbranch_execz .LBB70_83
; %bb.82:
	v_mov_b32_e32 v9, 0
	v_lshl_add_u64 v[2:3], v[6:7], 0, v[8:9]
	global_load_ushort v2, v[2:3], off offset:32
	s_waitcnt vmcnt(0)
	v_lshlrev_b32_e32 v2, 16, v2
	v_sub_f32_e32 v2, v2, v5
	v_mul_f32_e32 v2, v22, v2
	v_lshrrev_b32_e32 v9, 16, v2
.LBB70_83:
	s_or_b64 exec, exec, s[6:7]
	s_mov_b32 s6, 0x5040100
	v_accvgpr_read_b32 v2, a4
	v_perm_b32 v35, v9, v15, s6
	v_or_b32_e32 v9, v19, v25
	v_accvgpr_read_b32 v3, a5
	v_accvgpr_read_b32 v4, a6
	;; [unrolled: 1-line block ×3, first 2 shown]
	v_perm_b32 v34, v13, v11, s6
	v_lshlrev_b32_e32 v9, 1, v9
	v_mov_b32_e32 v13, 0
	v_mov_b32_e32 v11, 0
	ds_write_b64 v9, v[34:35] offset:24576
	s_and_saveexec_b64 s[6:7], vcc
	s_cbranch_execz .LBB70_85
; %bb.84:
	v_mov_b32_e32 v11, 0
	v_lshl_add_u64 v[34:35], v[6:7], 0, v[10:11]
	global_load_ushort v9, v[34:35], off offset:64
	s_waitcnt vmcnt(0)
	v_lshlrev_b32_e32 v9, 16, v9
	v_sub_f32_e32 v2, v9, v2
	v_mul_f32_e32 v2, v23, v2
	v_lshrrev_b32_e32 v11, 16, v2
.LBB70_85:
	s_or_b64 exec, exec, s[6:7]
	s_and_saveexec_b64 s[6:7], s[0:1]
	s_cbranch_execz .LBB70_87
; %bb.86:
	v_mov_b32_e32 v13, 0
	v_lshl_add_u64 v[34:35], v[6:7], 0, v[12:13]
	global_load_ushort v2, v[34:35], off offset:64
	s_waitcnt vmcnt(0)
	v_lshlrev_b32_e32 v2, 16, v2
	v_sub_f32_e32 v2, v2, v3
	v_mul_f32_e32 v2, v17, v2
	v_lshrrev_b32_e32 v13, 16, v2
.LBB70_87:
	s_or_b64 exec, exec, s[6:7]
	v_mov_b32_e32 v9, 0
	v_mov_b32_e32 v15, 0
	s_and_saveexec_b64 s[6:7], s[2:3]
	s_cbranch_execz .LBB70_89
; %bb.88:
	v_mov_b32_e32 v15, 0
	v_lshl_add_u64 v[2:3], v[6:7], 0, v[14:15]
	global_load_ushort v2, v[2:3], off offset:64
	s_waitcnt vmcnt(0)
	v_lshlrev_b32_e32 v2, 16, v2
	v_sub_f32_e32 v2, v2, v4
	v_mul_f32_e32 v2, v32, v2
	v_lshrrev_b32_e32 v15, 16, v2
.LBB70_89:
	s_or_b64 exec, exec, s[6:7]
	s_and_saveexec_b64 s[6:7], s[4:5]
	s_cbranch_execz .LBB70_91
; %bb.90:
	v_mov_b32_e32 v9, 0
	v_lshl_add_u64 v[2:3], v[6:7], 0, v[8:9]
	global_load_ushort v2, v[2:3], off offset:64
	s_waitcnt vmcnt(0)
	v_lshlrev_b32_e32 v2, 16, v2
	v_sub_f32_e32 v2, v2, v5
	v_mul_f32_e32 v2, v22, v2
	v_lshrrev_b32_e32 v9, 16, v2
.LBB70_91:
	s_or_b64 exec, exec, s[6:7]
	s_mov_b32 s6, 0x5040100
	v_accvgpr_read_b32 v5, a3
	v_perm_b32 v35, v9, v15, s6
	v_or_b32_e32 v9, v19, v24
	v_accvgpr_read_b32 v4, a2
	v_accvgpr_read_b32 v3, a1
	;; [unrolled: 1-line block ×3, first 2 shown]
	v_perm_b32 v34, v13, v11, s6
	v_lshlrev_b32_e32 v9, 1, v9
	v_mov_b32_e32 v13, 0
	v_mov_b32_e32 v11, 0
	ds_write_b64 v9, v[34:35] offset:24576
	s_and_saveexec_b64 s[6:7], vcc
	s_cbranch_execz .LBB70_93
; %bb.92:
	v_mov_b32_e32 v11, 0
	v_lshl_add_u64 v[10:11], v[6:7], 0, v[10:11]
	global_load_ushort v9, v[10:11], off offset:96
	s_waitcnt vmcnt(0)
	v_lshlrev_b32_e32 v9, 16, v9
	v_sub_f32_e32 v2, v9, v2
	v_mul_f32_e32 v2, v23, v2
	v_lshrrev_b32_e32 v11, 16, v2
.LBB70_93:
	s_or_b64 exec, exec, s[6:7]
	s_and_saveexec_b64 s[6:7], s[0:1]
	s_cbranch_execz .LBB70_95
; %bb.94:
	v_mov_b32_e32 v13, 0
	v_lshl_add_u64 v[12:13], v[6:7], 0, v[12:13]
	global_load_ushort v2, v[12:13], off offset:96
	s_waitcnt vmcnt(0)
	v_lshlrev_b32_e32 v2, 16, v2
	v_sub_f32_e32 v2, v2, v3
	v_mul_f32_e32 v2, v17, v2
	v_lshrrev_b32_e32 v13, 16, v2
.LBB70_95:
	s_or_b64 exec, exec, s[6:7]
	v_mov_b32_e32 v9, 0
	v_mov_b32_e32 v12, 0
	s_and_saveexec_b64 s[0:1], s[2:3]
	s_cbranch_execz .LBB70_97
; %bb.96:
	v_mov_b32_e32 v15, 0
	v_lshl_add_u64 v[2:3], v[6:7], 0, v[14:15]
	global_load_ushort v2, v[2:3], off offset:96
	s_waitcnt vmcnt(0)
	v_lshlrev_b32_e32 v2, 16, v2
	v_sub_f32_e32 v2, v2, v4
	v_mul_f32_e32 v2, v32, v2
	v_lshrrev_b32_e32 v12, 16, v2
.LBB70_97:
	s_or_b64 exec, exec, s[0:1]
	v_or_b32_e32 v10, 0x6000, v28
	v_or_b32_e32 v2, 0x6000, v29
	;; [unrolled: 1-line block ×4, first 2 shown]
	s_and_saveexec_b64 s[0:1], s[4:5]
	s_cbranch_execz .LBB70_99
; %bb.98:
	v_mov_b32_e32 v9, 0
	v_lshl_add_u64 v[6:7], v[6:7], 0, v[8:9]
	global_load_ushort v6, v[6:7], off offset:96
	s_waitcnt vmcnt(0)
	v_lshlrev_b32_e32 v6, 16, v6
	v_sub_f32_e32 v5, v6, v5
	v_mul_f32_e32 v5, v22, v5
	v_lshrrev_b32_e32 v9, 16, v5
.LBB70_99:
	s_or_b64 exec, exec, s[0:1]
	s_mov_b32 s0, 0x5040100
	v_or_b32_e32 v5, v19, v21
	v_perm_b32 v7, v9, v12, s0
	v_perm_b32 v6, v13, v11, s0
	v_lshlrev_b32_e32 v5, 1, v5
	ds_write_b64 v5, v[6:7] offset:24576
	v_and_b32_e32 v5, 7, v0
	v_and_b32_e32 v11, 8, v0
	v_lshlrev_b32_e32 v17, 3, v5
	v_lshlrev_b32_e32 v19, 7, v5
	v_lshrrev_b32_e32 v5, 1, v0
	v_and_b32_e32 v5, 24, v5
	v_mov_b32_e32 v12, 0x400
	v_cmp_eq_u32_e32 vcc, 0, v11
	s_movk_i32 s2, 0x100
	v_lshlrev_b32_e32 v21, 3, v45
	v_cndmask_b32_e64 v11, v12, 64, vcc
	v_mov_b32_e32 v12, 0xa000
	v_mov_b32_e32 v13, 0x8000
	v_cmp_gt_u32_e64 s[0:1], s2, v0
	v_xor_b32_e32 v26, v21, v5
	v_or3_b32 v11, v27, v11, v26
	v_cndmask_b32_e64 v0, v12, v13, s[0:1]
	v_or_b32_e32 v12, 0x440, v26
	v_cndmask_b32_e32 v12, v12, v26, vcc
	v_or_b32_e32 v12, v12, v27
	v_xor_b32_e32 v11, v11, v17
	v_xor_b32_e32 v44, v12, v17
	v_or_b32_e32 v83, v11, v19
	v_add3_u32 v12, v0, v44, v19
	v_or_b32_e32 v11, v0, v83
	s_waitcnt lgkmcnt(0)
	s_barrier
	ds_read_b64 v[22:23], v12
	ds_read_b64 v[78:79], v11
	v_or_b32_e32 v12, 32, v5
	v_xor_b32_e32 v12, v21, v12
	v_or_b32_e32 v13, 0x440, v12
	v_cndmask_b32_e32 v12, v13, v12, vcc
	v_or_b32_e32 v12, v12, v27
	v_xor_b32_e32 v82, v12, v17
	v_add3_u32 v12, v0, v82, v19
	ds_read2_b64 v[6:9], v10 offset1:16
	ds_read_b64 v[40:41], v12
	ds_read2_b64 v[12:15], v10 offset0:32 offset1:48
	v_or_b32_e32 v5, 0x60, v5
	v_xor_b32_e32 v5, v21, v5
	s_mul_i32 s0, s18, s17
	v_xor_b32_e32 v11, 0x440, v5
	s_waitcnt lgkmcnt(2)
	v_mfma_f32_16x16x16_bf16 a[0:3], v[22:23], v[6:7], 0
	ds_read2st64_b64 v[28:31], v2 offset0:4 offset1:8
	s_mul_hi_i32 s1, s18, s17
	ds_read2st64_b64 v[32:35], v3 offset0:4 offset1:8
	v_mfma_f32_16x16x16_bf16 a[4:7], v[22:23], v[8:9], 0
	ds_read2st64_b64 v[36:39], v4 offset0:4 offset1:8
	v_cndmask_b32_e32 v5, v11, v5, vcc
	s_add_u32 s0, s0, s47
	s_waitcnt lgkmcnt(3)
	v_mfma_f32_16x16x16_bf16 a[8:11], v[22:23], v[12:13], 0
	v_or_b32_e32 v5, v5, v27
	s_addc_u32 s1, s1, s29
	v_xor_b32_e32 v84, v5, v17
	v_mfma_f32_16x16x16_bf16 a[12:15], v[22:23], v[14:15], 0
	ds_read2st64_b64 v[22:25], v10 offset0:4 offset1:8
	s_lshl_b64 s[0:1], s[0:1], 9
	v_add3_u32 v0, v0, v84, v19
	s_add_u32 s0, s36, s0
	ds_read_b64 v[26:27], v0
	s_addc_u32 s1, s37, s1
	v_lshlrev_b32_e32 v0, 2, v16
	s_waitcnt lgkmcnt(1)
	v_mfma_f32_16x16x16_bf16 a[0:3], v[40:41], v[22:23], a[0:3]
	ds_read_b64 v[10:11], v10 offset:6144
	v_mfma_f32_16x16x16_bf16 a[4:7], v[40:41], v[28:29], a[4:7]
	v_mfma_f32_16x16x16_bf16 a[8:11], v[40:41], v[32:33], a[8:11]
	;; [unrolled: 1-line block ×3, first 2 shown]
	global_load_dwordx4 v[40:43], v0, s[0:1]
	v_lshlrev_b32_e32 v0, 6, v45
	s_waitcnt vmcnt(0)
	v_mul_f32_e32 v40, 0x3fb8aa3b, v40
	v_mfma_f32_16x16x16_bf16 a[0:3], v[78:79], v[24:25], a[0:3]
	v_mul_f32_e32 v41, 0x3fb8aa3b, v41
	v_exp_f32_e32 v40, v40
	v_exp_f32_e32 v41, v41
	v_mfma_f32_16x16x16_bf16 a[4:7], v[78:79], v[30:31], a[4:7]
	v_mfma_f32_16x16x16_bf16 a[8:11], v[78:79], v[34:35], a[8:11]
	;; [unrolled: 1-line block ×3, first 2 shown]
	ds_read_b64 v[16:17], v2 offset:6144
	ds_read_b64 v[78:79], v3 offset:6144
	;; [unrolled: 1-line block ×3, first 2 shown]
	v_lshlrev_b32_e32 v2, 2, v20
	v_or3_b32 v0, v0, v2, s2
	global_load_dwordx4 v[2:5], v0, s[0:1]
	v_add_u32_e32 v20, v44, v19
	ds_read_b64 v[20:21], v20 offset:40960
	s_waitcnt lgkmcnt(4)
	v_mfma_f32_16x16x16_bf16 a[0:3], v[26:27], v[10:11], a[0:3]
	v_mov_b32_e32 v0, 0x3fb8aa3b
	v_mul_f32_e32 v0, s16, v0
	v_exp_f32_e32 v0, v0
	s_waitcnt lgkmcnt(3)
	v_mfma_f32_16x16x16_bf16 a[4:7], v[26:27], v[16:17], a[4:7]
	s_waitcnt vmcnt(0)
	v_mul_f32_e32 v2, 0x3fb8aa3b, v2
	s_waitcnt lgkmcnt(2)
	v_mfma_f32_16x16x16_bf16 a[8:11], v[26:27], v[78:79], a[8:11]
	v_exp_f32_e32 v2, v2
	s_waitcnt lgkmcnt(1)
	v_mfma_f32_16x16x16_bf16 a[12:15], v[26:27], v[80:81], a[12:15]
	v_add_u32_e32 v26, v82, v19
	v_add_u32_e32 v19, v84, v19
	ds_read_b64 v[26:27], v26 offset:40960
	ds_read_b64 v[44:45], v19 offset:40960
	s_waitcnt lgkmcnt(2)
	v_mfma_f32_16x16x16_bf16 a[20:23], v[20:21], v[8:9], 0
	v_pk_mul_f32 v[8:9], v[0:1], v[40:41] op_sel_hi:[0,1]
	v_mfma_f32_16x16x16_bf16 a[16:19], v[20:21], v[6:7], 0
	v_mul_f32_e32 v6, 0x3fb8aa3b, v42
	v_mul_f32_e32 v7, 0x3fb8aa3b, v43
	v_exp_f32_e32 v6, v6
	s_waitcnt lgkmcnt(1)
	v_mfma_f32_16x16x16_bf16 a[20:23], v[26:27], v[28:29], a[20:23]
	v_accvgpr_read_b32 v29, a1
	v_exp_f32_e32 v7, v7
	v_accvgpr_read_b32 v28, a0
	v_pk_fma_f32 v[74:75], v[74:75], v[8:9], v[28:29]
	ds_read_b64 v[28:29], v83 offset:40960
	v_mfma_f32_16x16x16_bf16 a[24:27], v[20:21], v[12:13], 0
	v_pk_mul_f32 v[12:13], v[0:1], v[6:7] op_sel_hi:[0,1]
	v_accvgpr_read_b32 v7, a3
	v_accvgpr_read_b32 v6, a2
	v_pk_fma_f32 v[76:77], v[76:77], v[12:13], v[6:7]
	v_accvgpr_read_b32 v7, a5
	v_mfma_f32_16x16x16_bf16 a[16:19], v[26:27], v[22:23], a[16:19]
	v_accvgpr_read_b32 v6, a4
	v_pk_fma_f32 v[66:67], v[8:9], v[66:67], v[6:7]
	v_accvgpr_read_b32 v6, a8
	v_mfma_f32_16x16x16_bf16 a[28:31], v[20:21], v[14:15], 0
	;; [unrolled: 4-line block ×3, first 2 shown]
	v_accvgpr_read_b32 v21, a11
	v_accvgpr_read_b32 v20, a10
	;; [unrolled: 1-line block ×3, first 2 shown]
	s_waitcnt lgkmcnt(0)
	v_mfma_f32_16x16x16_bf16 a[8:11], v[28:29], v[24:25], a[16:19]
	v_accvgpr_read_b32 v15, a7
	v_accvgpr_read_b32 v14, a6
	;; [unrolled: 1-line block ×4, first 2 shown]
	v_mfma_f32_16x16x16_bf16 a[4:7], v[26:27], v[36:37], a[28:31]
	v_pk_fma_f32 v[50:51], v[8:9], v[50:51], v[6:7]
	v_mov_b32_e32 v6, v5
	v_mov_b32_e32 v5, v4
	v_mfma_f32_16x16x16_bf16 a[12:15], v[28:29], v[30:31], a[20:23]
	v_mov_b32_e32 v4, v3
	v_mul_f32_e32 v3, 0x3fb8aa3b, v4
	v_mul_f32_e32 v4, 0x3fb8aa3b, v5
	v_mfma_f32_16x16x16_bf16 a[0:3], v[28:29], v[34:35], a[0:3]
	v_mul_f32_e32 v5, 0x3fb8aa3b, v6
	v_exp_f32_e32 v4, v4
	v_exp_f32_e32 v5, v5
	v_mfma_f32_16x16x16_bf16 a[8:11], v[44:45], v[10:11], a[8:11]
	v_exp_f32_e32 v3, v3
	v_pk_fma_f32 v[68:69], v[12:13], v[68:69], v[14:15]
	v_pk_mul_f32 v[4:5], v[0:1], v[4:5] op_sel_hi:[0,1]
	v_mfma_f32_16x16x16_bf16 a[4:7], v[28:29], v[38:39], a[4:7]
	v_pk_mul_f32 v[2:3], v[0:1], v[2:3] op_sel_hi:[0,1]
	v_pk_fma_f32 v[60:61], v[12:13], v[60:61], v[20:21]
	v_pk_fma_f32 v[52:53], v[12:13], v[52:53], v[22:23]
	v_mfma_f32_16x16x16_bf16 a[12:15], v[44:45], v[16:17], a[12:15]
	v_accvgpr_read_b32 v7, a11
	v_accvgpr_read_b32 v6, a10
	v_pk_fma_f32 v[72:73], v[72:73], v[4:5], v[6:7]
	v_mfma_f32_16x16x16_bf16 a[0:3], v[44:45], v[78:79], a[0:3]
	v_accvgpr_read_b32 v15, a9
	v_accvgpr_read_b32 v14, a8
	v_pk_fma_f32 v[70:71], v[70:71], v[2:3], v[14:15]
	v_accvgpr_read_b32 v6, a12
	v_accvgpr_read_b32 v7, a13
	v_pk_fma_f32 v[62:63], v[2:3], v[62:63], v[6:7]
	v_accvgpr_read_b32 v9, a15
	v_accvgpr_read_b32 v11, a3
	;; [unrolled: 1-line block ×3, first 2 shown]
	v_mfma_f32_16x16x16_bf16 a[2:5], v[44:45], v[80:81], a[4:7]
	v_accvgpr_read_b32 v7, a1
	v_accvgpr_read_b32 v6, a0
	v_pk_fma_f32 v[56:57], v[2:3], v[56:57], v[6:7]
	v_accvgpr_read_b32 v8, a14
	v_pk_fma_f32 v[64:65], v[4:5], v[64:65], v[8:9]
	v_pk_fma_f32 v[54:55], v[4:5], v[54:55], v[10:11]
	s_nop 0
	v_accvgpr_read_b32 v7, a3
	v_accvgpr_read_b32 v13, a5
	;; [unrolled: 1-line block ×4, first 2 shown]
	v_pk_fma_f32 v[46:47], v[2:3], v[46:47], v[6:7]
	v_pk_fma_f32 v[48:49], v[4:5], v[48:49], v[12:13]
	v_mov_b32_e32 v2, v18
.LBB70_100:
	s_mul_i32 s0, s33, s35
	s_mul_hi_u32 s1, s33, s34
	s_add_i32 s0, s1, s0
	s_mul_i32 s1, s46, s34
	s_add_i32 s1, s0, s1
	s_mul_i32 s0, s33, s34
	s_add_u32 s0, s0, s47
	s_addc_u32 s1, s1, s29
	s_lshl_b64 s[0:1], s[0:1], 15
	s_add_u32 s0, s12, s0
	v_lshlrev_b32_e32 v2, 7, v2
	s_addc_u32 s1, s13, s1
	v_ashrrev_i32_e32 v3, 31, v2
	v_lshl_add_u64 v[4:5], v[2:3], 1, s[0:1]
	v_lshlrev_b32_e32 v0, 1, v1
	v_mov_b32_e32 v1, 0
	s_mov_b32 s2, 0x7060302
	v_lshl_add_u64 v[4:5], v[4:5], 0, v[0:1]
	v_perm_b32 v7, v77, v76, s2
	v_perm_b32 v6, v75, v74, s2
	global_store_dwordx2 v[4:5], v[6:7], off
	v_perm_b32 v7, v73, v72, s2
	v_perm_b32 v6, v71, v70, s2
	global_store_dwordx2 v[4:5], v[6:7], off offset:128
	v_or_b32_e32 v4, 0x800, v2
	v_ashrrev_i32_e32 v5, 31, v4
	v_lshl_add_u64 v[4:5], v[4:5], 1, s[0:1]
	v_lshl_add_u64 v[4:5], v[4:5], 0, v[0:1]
	v_perm_b32 v7, v69, v68, s2
	v_perm_b32 v6, v67, v66, s2
	global_store_dwordx2 v[4:5], v[6:7], off
	v_perm_b32 v7, v65, v64, s2
	v_perm_b32 v6, v63, v62, s2
	global_store_dwordx2 v[4:5], v[6:7], off offset:128
	v_or_b32_e32 v4, 0x1000, v2
	v_or_b32_e32 v2, 0x1800, v2
	v_ashrrev_i32_e32 v5, 31, v4
	v_ashrrev_i32_e32 v3, 31, v2
	v_lshl_add_u64 v[4:5], v[4:5], 1, s[0:1]
	v_lshl_add_u64 v[2:3], v[2:3], 1, s[0:1]
	;; [unrolled: 1-line block ×3, first 2 shown]
	v_perm_b32 v7, v61, v60, s2
	v_perm_b32 v6, v59, v58, s2
	v_lshl_add_u64 v[0:1], v[2:3], 0, v[0:1]
	v_perm_b32 v3, v53, v52, s2
	v_perm_b32 v2, v51, v50, s2
	global_store_dwordx2 v[4:5], v[6:7], off
	v_perm_b32 v7, v55, v54, s2
	v_perm_b32 v6, v57, v56, s2
	global_store_dwordx2 v[0:1], v[2:3], off
	v_perm_b32 v3, v49, v48, s2
	v_perm_b32 v2, v47, v46, s2
	global_store_dwordx2 v[4:5], v[6:7], off offset:128
	global_store_dwordx2 v[0:1], v[2:3], off offset:128
	s_endpgm
	.section	.rodata,"a",@progbits
	.p2align	6, 0x0
	.amdhsa_kernel _ZN12_GLOBAL__N_139chunk_gated_delta_rule_fwd_h_hip_kernelILi64ELb0ELb1ELb0ELb1ELb0ELb1ELb1ELb1EEEvPK12hip_bfloat16S3_S3_PKfS5_PKvPS1_S8_PvPKiSB_iiiiilll
		.amdhsa_group_segment_fixed_size 65536
		.amdhsa_private_segment_fixed_size 0
		.amdhsa_kernarg_size 136
		.amdhsa_user_sgpr_count 2
		.amdhsa_user_sgpr_dispatch_ptr 0
		.amdhsa_user_sgpr_queue_ptr 0
		.amdhsa_user_sgpr_kernarg_segment_ptr 1
		.amdhsa_user_sgpr_dispatch_id 0
		.amdhsa_user_sgpr_kernarg_preload_length 0
		.amdhsa_user_sgpr_kernarg_preload_offset 0
		.amdhsa_user_sgpr_private_segment_size 0
		.amdhsa_uses_dynamic_stack 0
		.amdhsa_enable_private_segment 0
		.amdhsa_system_sgpr_workgroup_id_x 1
		.amdhsa_system_sgpr_workgroup_id_y 1
		.amdhsa_system_sgpr_workgroup_id_z 0
		.amdhsa_system_sgpr_workgroup_info 0
		.amdhsa_system_vgpr_workitem_id 0
		.amdhsa_next_free_vgpr 232
		.amdhsa_next_free_sgpr 67
		.amdhsa_accum_offset 192
		.amdhsa_reserve_vcc 1
		.amdhsa_float_round_mode_32 0
		.amdhsa_float_round_mode_16_64 0
		.amdhsa_float_denorm_mode_32 3
		.amdhsa_float_denorm_mode_16_64 3
		.amdhsa_dx10_clamp 1
		.amdhsa_ieee_mode 1
		.amdhsa_fp16_overflow 0
		.amdhsa_tg_split 0
		.amdhsa_exception_fp_ieee_invalid_op 0
		.amdhsa_exception_fp_denorm_src 0
		.amdhsa_exception_fp_ieee_div_zero 0
		.amdhsa_exception_fp_ieee_overflow 0
		.amdhsa_exception_fp_ieee_underflow 0
		.amdhsa_exception_fp_ieee_inexact 0
		.amdhsa_exception_int_div_zero 0
	.end_amdhsa_kernel
	.section	.text._ZN12_GLOBAL__N_139chunk_gated_delta_rule_fwd_h_hip_kernelILi64ELb0ELb1ELb0ELb1ELb0ELb1ELb1ELb1EEEvPK12hip_bfloat16S3_S3_PKfS5_PKvPS1_S8_PvPKiSB_iiiiilll,"axG",@progbits,_ZN12_GLOBAL__N_139chunk_gated_delta_rule_fwd_h_hip_kernelILi64ELb0ELb1ELb0ELb1ELb0ELb1ELb1ELb1EEEvPK12hip_bfloat16S3_S3_PKfS5_PKvPS1_S8_PvPKiSB_iiiiilll,comdat
.Lfunc_end70:
	.size	_ZN12_GLOBAL__N_139chunk_gated_delta_rule_fwd_h_hip_kernelILi64ELb0ELb1ELb0ELb1ELb0ELb1ELb1ELb1EEEvPK12hip_bfloat16S3_S3_PKfS5_PKvPS1_S8_PvPKiSB_iiiiilll, .Lfunc_end70-_ZN12_GLOBAL__N_139chunk_gated_delta_rule_fwd_h_hip_kernelILi64ELb0ELb1ELb0ELb1ELb0ELb1ELb1ELb1EEEvPK12hip_bfloat16S3_S3_PKfS5_PKvPS1_S8_PvPKiSB_iiiiilll
                                        ; -- End function
	.section	.AMDGPU.csdata,"",@progbits
; Kernel info:
; codeLenInByte = 12656
; NumSgprs: 73
; NumVgprs: 190
; NumAgprs: 40
; TotalNumVgprs: 232
; ScratchSize: 0
; MemoryBound: 0
; FloatMode: 240
; IeeeMode: 1
; LDSByteSize: 65536 bytes/workgroup (compile time only)
; SGPRBlocks: 9
; VGPRBlocks: 28
; NumSGPRsForWavesPerEU: 73
; NumVGPRsForWavesPerEU: 232
; AccumOffset: 192
; Occupancy: 1
; WaveLimiterHint : 1
; COMPUTE_PGM_RSRC2:SCRATCH_EN: 0
; COMPUTE_PGM_RSRC2:USER_SGPR: 2
; COMPUTE_PGM_RSRC2:TRAP_HANDLER: 0
; COMPUTE_PGM_RSRC2:TGID_X_EN: 1
; COMPUTE_PGM_RSRC2:TGID_Y_EN: 1
; COMPUTE_PGM_RSRC2:TGID_Z_EN: 0
; COMPUTE_PGM_RSRC2:TIDIG_COMP_CNT: 0
; COMPUTE_PGM_RSRC3_GFX90A:ACCUM_OFFSET: 47
; COMPUTE_PGM_RSRC3_GFX90A:TG_SPLIT: 0
	.section	.text._ZN12_GLOBAL__N_139chunk_gated_delta_rule_fwd_h_hip_kernelILi64ELb0ELb0ELb1ELb1ELb0ELb1ELb1ELb1EEEvPK12hip_bfloat16S3_S3_PKfS5_PKvPS1_S8_PvPKiSB_iiiiilll,"axG",@progbits,_ZN12_GLOBAL__N_139chunk_gated_delta_rule_fwd_h_hip_kernelILi64ELb0ELb0ELb1ELb1ELb0ELb1ELb1ELb1EEEvPK12hip_bfloat16S3_S3_PKfS5_PKvPS1_S8_PvPKiSB_iiiiilll,comdat
	.globl	_ZN12_GLOBAL__N_139chunk_gated_delta_rule_fwd_h_hip_kernelILi64ELb0ELb0ELb1ELb1ELb0ELb1ELb1ELb1EEEvPK12hip_bfloat16S3_S3_PKfS5_PKvPS1_S8_PvPKiSB_iiiiilll ; -- Begin function _ZN12_GLOBAL__N_139chunk_gated_delta_rule_fwd_h_hip_kernelILi64ELb0ELb0ELb1ELb1ELb0ELb1ELb1ELb1EEEvPK12hip_bfloat16S3_S3_PKfS5_PKvPS1_S8_PvPKiSB_iiiiilll
	.p2align	8
	.type	_ZN12_GLOBAL__N_139chunk_gated_delta_rule_fwd_h_hip_kernelILi64ELb0ELb0ELb1ELb1ELb0ELb1ELb1ELb1EEEvPK12hip_bfloat16S3_S3_PKfS5_PKvPS1_S8_PvPKiSB_iiiiilll,@function
_ZN12_GLOBAL__N_139chunk_gated_delta_rule_fwd_h_hip_kernelILi64ELb0ELb0ELb1ELb1ELb0ELb1ELb1ELb1EEEvPK12hip_bfloat16S3_S3_PKfS5_PKvPS1_S8_PvPKiSB_iiiiilll: ; @_ZN12_GLOBAL__N_139chunk_gated_delta_rule_fwd_h_hip_kernelILi64ELb0ELb0ELb1ELb1ELb0ELb1ELb1ELb1EEEvPK12hip_bfloat16S3_S3_PKfS5_PKvPS1_S8_PvPKiSB_iiiiilll
; %bb.0:
	s_load_dwordx4 s[16:19], s[0:1], 0x5c
	s_load_dwordx4 s[20:23], s[0:1], 0x70
	s_abs_i32 s25, s3
	s_ashr_i32 s24, s3, 31
	s_load_dwordx4 s[12:15], s[0:1], 0x30
	s_load_dwordx4 s[28:31], s[0:1], 0x48
	s_waitcnt lgkmcnt(0)
	s_abs_i32 s34, s17
	v_cvt_f32_u32_e32 v1, s34
	s_sub_i32 s26, 0, s34
	s_ashr_i32 s35, s17, 31
	s_xor_b32 s24, s24, s35
	v_rcp_iflag_f32_e32 v1, v1
	s_load_dwordx8 s[4:11], s[0:1], 0x0
	v_lshrrev_b32_e32 v87, 6, v0
	v_bfe_u32 v88, v0, 4, 2
	v_mul_f32_e32 v1, 0x4f7ffffe, v1
	v_cvt_u32_f32_e32 v1, v1
	v_lshlrev_b32_e32 v2, 2, v88
	v_and_b32_e32 v86, 63, v0
	v_mov_b32_e32 v47, 0
	v_readfirstlane_b32 s27, v1
	s_mul_i32 s26, s26, s27
	s_mul_hi_u32 s26, s27, s26
	s_add_i32 s27, s27, s26
	s_mul_hi_u32 s26, s25, s27
	s_mul_i32 s27, s26, s34
	s_sub_i32 s25, s25, s27
	s_add_i32 s33, s26, 1
	s_sub_i32 s27, s25, s34
	s_cmp_ge_u32 s25, s34
	s_cselect_b32 s26, s33, s26
	s_cselect_b32 s25, s27, s25
	s_add_i32 s27, s26, 1
	s_cmp_ge_u32 s25, s34
	s_cselect_b32 s25, s27, s26
	s_xor_b32 s25, s25, s24
	s_sub_i32 s24, s25, s24
	s_mul_i32 s25, s24, s17
	s_sub_i32 s33, s3, s25
	s_ashr_i32 s25, s24, 31
	s_lshl_b64 s[26:27], s[24:25], 2
	s_add_u32 s28, s28, s26
	s_addc_u32 s29, s29, s27
	s_add_u32 s26, s30, s26
	s_addc_u32 s27, s31, s27
	s_abs_i32 s3, s18
	v_cvt_f32_u32_e32 v1, s3
	s_load_dwordx2 s[38:39], s[28:29], 0x0
	s_sub_i32 s29, 0, s3
	s_load_dword s48, s[26:27], 0x0
	v_rcp_iflag_f32_e32 v1, v1
	v_and_b32_e32 v45, 15, v0
	s_waitcnt lgkmcnt(0)
	s_sub_i32 s49, s39, s38
	s_ashr_i32 s28, s49, 31
	v_mul_f32_e32 v1, 0x4f7ffffe, v1
	v_cvt_u32_f32_e32 v1, v1
	s_lshr_b32 s28, s28, 26
	s_add_i32 s28, s49, s28
	s_ashr_i32 s47, s28, 6
	v_readfirstlane_b32 s30, v1
	s_mul_i32 s29, s29, s30
	s_mul_hi_u32 s29, s30, s29
	s_add_i32 s30, s30, s29
	s_mul_hi_u32 s29, s34, s30
	s_mul_i32 s30, s29, s3
	s_ashr_i32 s28, s18, 31
	s_sub_i32 s30, s34, s30
	s_xor_b32 s28, s35, s28
	s_add_i32 s31, s29, 1
	s_sub_i32 s34, s30, s3
	s_cmp_ge_u32 s30, s3
	s_cselect_b32 s29, s31, s29
	s_cselect_b32 s30, s34, s30
	s_add_i32 s31, s29, 1
	s_cmp_ge_u32 s30, s3
	s_cselect_b32 s3, s31, s29
	s_xor_b32 s3, s3, s28
	s_sub_i32 s3, s3, s28
	s_abs_i32 s28, s3
	v_cvt_f32_u32_e32 v1, s28
	s_sub_i32 s27, 0, s28
	s_abs_i32 s26, s33
	s_xor_b32 s3, s33, s3
	v_rcp_iflag_f32_e32 v1, v1
	s_ashr_i32 s3, s3, 31
	s_load_dwordx2 s[34:35], s[0:1], 0x80
	s_mul_hi_i32 s50, s33, s16
	v_mul_f32_e32 v1, 0x4f7ffffe, v1
	v_cvt_u32_f32_e32 v1, v1
	s_mul_i32 s51, s33, s16
	v_lshrrev_b32_e32 v90, 3, v86
	v_lshlrev_b32_e32 v89, 3, v0
	v_readfirstlane_b32 s29, v1
	s_mul_i32 s27, s27, s29
	s_mul_hi_u32 s27, s29, s27
	s_add_i32 s29, s29, s27
	s_mul_hi_u32 s27, s26, s29
	s_mul_i32 s29, s27, s28
	s_sub_i32 s26, s26, s29
	s_add_i32 s29, s27, 1
	s_sub_i32 s30, s26, s28
	s_cmp_ge_u32 s26, s28
	s_cselect_b32 s27, s29, s27
	s_cselect_b32 s26, s30, s26
	s_add_i32 s29, s27, 1
	s_cmp_ge_u32 s26, s28
	s_cselect_b32 s26, s29, s27
	s_xor_b32 s26, s26, s3
	v_lshlrev_b32_e32 v1, 4, v87
	s_sub_i32 s52, s26, s3
	v_or_b32_e32 v91, v2, v1
	s_lshl_b32 s36, s2, 6
	v_or_b32_e32 v92, 64, v91
	s_cmp_lt_i32 s49, 64
	s_mul_i32 s44, s24, s21
	s_mul_hi_u32 s45, s24, s20
	s_mul_i32 s46, s25, s20
	s_mul_i32 s20, s24, s20
	v_mov_b32_e32 v46, v47
	v_mov_b32_e32 v53, v47
	;; [unrolled: 1-line block ×31, first 2 shown]
	s_cbranch_scc1 .LBB71_18
; %bb.1:
	s_ashr_i32 s55, s33, 31
	s_ashr_i32 s3, s38, 31
	s_add_u32 s2, s51, s38
	s_addc_u32 s3, s50, s3
	s_lshl_b64 s[2:3], s[2:3], 8
	v_and_b32_e32 v94, 56, v89
	s_add_u32 s24, s6, s2
	v_lshl_or_b32 v93, v87, 3, v90
	v_lshlrev_b32_e32 v3, 1, v94
	s_addc_u32 s2, s7, s3
	v_lshl_or_b32 v95, v93, 8, v3
	s_and_b32 s25, s2, 0xffff
	s_mov_b32 s27, 0x20000
	s_movk_i32 s26, 0x4000
	s_movk_i32 s2, 0x80
	v_or_b32_e32 v96, 0x2000, v95
	buffer_load_dwordx4 v[4:7], v95, s[24:27], 0 offen
	buffer_load_dwordx4 v[8:11], v95, s[24:27], s2 offen
	;; [unrolled: 1-line block ×4, first 2 shown]
	v_lshlrev_b32_e32 v20, 3, v93
	v_and_or_b32 v22, v0, 7, v20
	v_and_b32_e32 v20, 0x78, v20
	v_lshlrev_b32_e32 v22, 4, v22
	v_xor_b32_e32 v97, v22, v20
	v_mul_lo_u32 v21, v93, s19
	v_or_b32_e32 v98, 0x1000, v97
	s_cmpk_eq_i32 s19, 0x80
	s_mov_b32 s53, s17
	s_mov_b32 s54, s38
	v_xor_b32_e32 v20, 8, v97
	v_xor_b32_e32 v22, 8, v98
	s_cselect_b64 s[2:3], -1, 0
	s_cmpk_lg_i32 s19, 0x80
	s_waitcnt vmcnt(3)
	ds_write_b64 v97, v[4:5] offset:49152
	ds_write_b64 v20, v[6:7] offset:49152
	s_waitcnt vmcnt(2)
	ds_write_b64 v97, v[8:9] offset:57344
	ds_write_b64 v20, v[10:11] offset:57344
	;; [unrolled: 3-line block ×4, first 2 shown]
	v_lshl_add_u32 v4, v21, 1, v94
	s_cbranch_scc0 .LBB71_3
; %bb.2:
	v_lshlrev_b32_e32 v6, 1, v4
	v_add_lshl_u32 v5, v4, s19, 1
	s_lshl_b32 s26, s19, 7
	s_load_dwordx2 s[40:41], s[0:1], 0x20
	v_lshl_or_b32 v3, v93, 9, v3
	s_cbranch_execz .LBB71_4
	s_branch .LBB71_5
.LBB71_3:
                                        ; implicit-def: $vgpr5
                                        ; implicit-def: $vgpr6
                                        ; implicit-def: $sgpr26
	s_load_dwordx2 s[40:41], s[0:1], 0x20
	v_lshl_or_b32 v3, v93, 9, v3
.LBB71_4:
	v_or_b32_e32 v5, 0x100, v3
	s_movk_i32 s26, 0x4000
	v_mov_b32_e32 v6, v3
.LBB71_5:
	s_mul_i32 s0, s38, s18
	s_ashr_i32 s56, s52, 31
	s_mul_hi_i32 s1, s38, s18
	s_add_u32 s0, s0, s52
	s_addc_u32 s1, s1, s56
	s_lshl_b64 s[0:1], s[0:1], 8
	s_add_u32 s24, s4, s0
	s_addc_u32 s0, s5, s1
	s_and_b32 s25, s0, 0xffff
	s_movk_i32 s57, 0x80
	buffer_load_dwordx4 v[8:11], v6, s[24:27], 0 offen
	buffer_load_dwordx4 v[12:15], v6, s[24:27], s57 offen
	;; [unrolled: 1-line block ×4, first 2 shown]
	v_and_b32_e32 v5, 6, v0
	v_lshlrev_b32_e32 v6, 7, v91
	v_xor_b32_e32 v28, v93, v5
	v_and_b32_e32 v7, 1, v0
	v_lshl_or_b32 v31, v45, 3, v6
	v_lshlrev_b32_e32 v28, 2, v28
	v_lshlrev_b32_e32 v24, 2, v45
	v_or_b32_e32 v99, 0x4000, v31
	v_or_b32_e32 v100, 0x6000, v31
	v_xor_b32_e32 v31, 0x440, v28
	v_cmp_eq_u32_e32 vcc, 0, v7
	v_or_b32_e32 v26, 16, v45
	v_or_b32_e32 v27, 32, v45
	v_xor_b32_e32 v29, v91, v24
	v_xor_b32_e32 v30, v92, v24
	v_cndmask_b32_e32 v7, v31, v28, vcc
	s_add_i32 s0, s45, s44
	s_mov_b32 s58, 0x1000504
	v_lshl_or_b32 v32, v26, 3, v6
	v_lshlrev_b32_e32 v26, 8, v26
	v_lshl_or_b32 v33, v27, 3, v6
	v_lshlrev_b32_e32 v29, 1, v29
	v_lshlrev_b32_e32 v30, 1, v30
	v_lshl_or_b32 v5, v5, 10, v7
	s_add_i32 s21, s0, s46
	s_mul_i32 s0, s33, s23
	s_mul_hi_u32 s1, s33, s22
	s_mov_b32 s59, 0x3020706
	v_lshlrev_b32_e32 v25, 8, v45
	v_or_b32_e32 v103, 0x4000, v33
	v_or_b32_e32 v104, 0x6000, v33
	;; [unrolled: 1-line block ×4, first 2 shown]
	v_xor_b32_e32 v7, 8, v5
	v_xor_b32_e32 v26, 24, v5
	;; [unrolled: 1-line block ×4, first 2 shown]
	s_add_i32 s0, s1, s0
	s_mul_i32 s1, s55, s22
	v_or_b32_e32 v101, 0x4000, v32
	v_or_b32_e32 v102, 0x6000, v32
	v_or_b32_e32 v105, v25, v29
	v_or_b32_e32 v106, v25, v30
	v_xor_b32_e32 v25, 16, v5
	v_xor_b32_e32 v28, 32, v5
	;; [unrolled: 1-line block ×3, first 2 shown]
	v_add_u32_e32 v7, 0x80, v7
	v_add_u32_e32 v26, 0x80, v26
	;; [unrolled: 1-line block ×4, first 2 shown]
	s_add_i32 s1, s0, s1
	s_lshl_b64 s[24:25], s[20:21], 2
	s_mul_i32 s0, s33, s22
	s_add_u32 s21, s10, s24
	s_addc_u32 s24, s11, s25
	s_lshl_b64 s[0:1], s[0:1], 2
	s_add_u32 s42, s21, s0
	s_movk_i32 s0, 0xf8
	s_addc_u32 s43, s24, s1
	s_ashr_i32 s37, s36, 31
	s_lshl_b32 s30, s19, 7
	v_mov_b32_e32 v79, 0
	s_movk_i32 s21, 0x100
	v_lshlrev_b32_e32 v78, 4, v45
	v_lshlrev_b32_e32 v27, 8, v27
	s_mov_b32 s61, 0
	s_movk_i32 s26, 0x4000
	v_or_b32_e32 v109, v27, v29
	v_or_b32_e32 v110, v27, v30
	v_add_u32_e32 v136, v1, v2
	s_movk_i32 s60, 0x3000
	v_mov_b32_e32 v146, 0x3fb8aa3b
	v_mov_b32_e32 v70, v79
	;; [unrolled: 1-line block ×7, first 2 shown]
	s_waitcnt vmcnt(1)
	v_perm_b32 v34, v8, v16, s58
	s_waitcnt vmcnt(0)
	v_perm_b32 v35, v12, v20, s58
	v_perm_b32 v8, v8, v16, s59
	;; [unrolled: 1-line block ×15, first 2 shown]
	ds_write2st64_b32 v5, v34, v35 offset0:128 offset1:160
	ds_write2st64_b32 v7, v8, v12 offset0:128 offset1:160
	;; [unrolled: 1-line block ×8, first 2 shown]
	v_or_b32_e32 v5, 48, v45
	v_lshl_or_b32 v7, v5, 3, v6
	v_lshlrev_b32_e32 v5, 8, v5
	v_or_b32_e32 v113, v5, v29
	v_or_b32_e32 v114, v5, v30
	;; [unrolled: 1-line block ×3, first 2 shown]
	v_lshlrev_b32_e32 v5, 3, v5
	v_lshrrev_b32_e32 v9, 5, v86
	v_and_or_b32 v9, v5, s0, v9
	v_lshlrev_b32_e32 v9, 4, v9
	v_lshlrev_b32_e32 v11, 11, v87
	v_and_b32_e32 v5, 0x78, v5
	v_or_b32_e32 v14, 32, v9
	v_and_b32_e32 v8, 0x1000, v11
	v_xor_b32_e32 v10, v9, v5
	v_lshrrev_b32_e32 v12, 1, v86
	v_xor_b32_e32 v14, v14, v5
	v_or_b32_e32 v10, v10, v8
	v_and_b32_e32 v12, 8, v12
	v_or_b32_e32 v14, v14, v8
	v_xor_b32_e32 v115, v10, v12
	v_lshlrev_b32_e32 v10, 8, v88
	v_xor_b32_e32 v117, v14, v12
	v_or_b32_e32 v14, 64, v9
	v_or_b32_e32 v9, 0x60, v9
	;; [unrolled: 1-line block ×3, first 2 shown]
	v_xor_b32_e32 v14, v14, v5
	v_xor_b32_e32 v5, v9, v5
	v_lshlrev_b32_e32 v13, 1, v13
	v_or_b32_e32 v14, v14, v8
	v_or_b32_e32 v5, v5, v8
	s_lshl_b64 s[0:1], s[36:37], 8
	v_or_b32_e32 v116, 0x4000, v13
	v_or_b32_e32 v118, 0x4080, v13
	;; [unrolled: 1-line block ×4, first 2 shown]
	v_xor_b32_e32 v121, v14, v12
	v_xor_b32_e32 v122, v5, v12
	v_or_b32_e32 v123, 0x6000, v13
	v_or_b32_e32 v124, 0x6080, v13
	;; [unrolled: 1-line block ×4, first 2 shown]
	v_lshlrev_b32_e32 v12, 1, v4
	v_add_lshl_u32 v13, v4, s19, 1
	s_add_u32 s0, s12, s0
	v_lshlrev_b32_e32 v4, 1, v45
	v_lshrrev_b32_e32 v15, 4, v0
	s_addc_u32 s1, s13, s1
	v_or_b32_e32 v5, 1, v4
	v_lshlrev_b32_e32 v18, 2, v0
	v_or_b32_e32 v14, 0x100, v3
	v_xor_b32_e32 v16, v15, v4
	v_xor_b32_e32 v17, v5, v15
	v_lshl_add_u64 v[4:5], s[0:1], 0, v[78:79]
	v_lshlrev_b32_e32 v78, 8, v15
	v_lshrrev_b32_e32 v19, 1, v0
	v_and_or_b32 v10, v18, 60, v10
	v_cndmask_b32_e64 v133, v12, v3, s[2:3]
	v_mov_b32_e32 v3, 0xa000
	v_mov_b32_e32 v12, 0x8000
	v_cmp_gt_u32_e64 s[0:1], s21, v0
	v_lshl_or_b32 v127, v16, 3, v78
	v_and_b32_e32 v16, 8, v0
	v_and_b32_e32 v19, 24, v19
	v_lshlrev_b32_e32 v10, 1, v10
	v_cndmask_b32_e64 v3, v3, v12, s[0:1]
	v_lshlrev_b32_e32 v12, 3, v87
	v_or_b32_e32 v129, 0x6000, v10
	v_or_b32_e32 v130, 0x6080, v10
	;; [unrolled: 1-line block ×4, first 2 shown]
	v_mov_b32_e32 v10, 0x400
	v_cmp_eq_u32_e32 vcc, 0, v16
	v_cndmask_b32_e64 v134, v13, v14, s[2:3]
	v_xor_b32_e32 v13, v12, v19
	v_and_b32_e32 v15, 7, v0
	v_cndmask_b32_e64 v16, v10, 64, vcc
	v_or_b32_e32 v14, 0x440, v13
	v_lshl_or_b32 v128, v17, 3, v78
	v_lshlrev_b32_e32 v17, 3, v15
	v_or_b32_e32 v18, 32, v19
	v_or_b32_e32 v20, 0x60, v19
	v_cndmask_b32_e32 v14, v14, v13, vcc
	v_or3_b32 v13, v11, v16, v13
	v_lshlrev_b32_e32 v15, 7, v15
	v_xor_b32_e32 v18, v12, v18
	v_xor_b32_e32 v13, v13, v17
	;; [unrolled: 1-line block ×3, first 2 shown]
	v_or_b32_e32 v21, 0x440, v18
	v_or_b32_e32 v135, v13, v15
	v_xor_b32_e32 v13, 0x440, v12
	v_cndmask_b32_e32 v18, v21, v18, vcc
	v_cndmask_b32_e32 v12, v13, v12, vcc
	v_or_b32_e32 v111, 0x4000, v7
	v_or_b32_e32 v112, 0x6000, v7
	v_lshrrev_b32_e32 v7, 2, v86
	v_or_b32_e32 v8, s36, v45
	v_or_b32_e32 v14, v14, v11
	;; [unrolled: 1-line block ×4, first 2 shown]
	v_and_b32_e32 v7, 12, v7
	v_ashrrev_i32_e32 v9, 31, v8
	v_xor_b32_e32 v14, v14, v17
	v_xor_b32_e32 v18, v18, v17
	;; [unrolled: 1-line block ×3, first 2 shown]
	v_or_b32_e32 v10, v1, v7
	v_add_u32_e32 v19, v3, v14
	v_add_u32_e32 v21, v3, v18
	;; [unrolled: 1-line block ×3, first 2 shown]
	v_or3_b32 v12, v1, v7, 64
	v_add_u32_e32 v7, 0xa000, v14
	v_add_u32_e32 v14, 0xa000, v18
	;; [unrolled: 1-line block ×3, first 2 shown]
	v_lshlrev_b64 v[8:9], 1, v[8:9]
	v_lshl_add_u64 v[80:81], s[8:9], 0, v[8:9]
	v_lshl_add_u64 v[82:83], s[14:15], 0, v[8:9]
	;; [unrolled: 1-line block ×3, first 2 shown]
	s_mov_b32 s21, 0x7060302
	v_lshlrev_b32_e32 v78, 1, v6
	s_movk_i32 s37, 0x2000
	v_lshlrev_b32_e32 v137, 2, v10
	v_add_u32_e32 v138, v19, v15
	v_add_u32_e32 v139, v21, v15
	;; [unrolled: 1-line block ×4, first 2 shown]
	v_lshlrev_b32_e32 v142, 2, v12
	v_add_u32_e32 v143, v7, v15
	v_add_u32_e32 v144, v14, v15
	;; [unrolled: 1-line block ×3, first 2 shown]
	v_mov_b32_e32 v76, v79
	v_mov_b32_e32 v77, v79
	;; [unrolled: 1-line block ×26, first 2 shown]
	s_waitcnt lgkmcnt(0)
	s_barrier
.LBB71_6:                               ; =>This Inner Loop Header: Depth=1
	s_add_i32 s62, s61, 1
	s_cmp_lt_i32 s62, s47
	s_mov_b64 s[28:29], 0
	s_cselect_b64 s[2:3], -1, 0
	s_cmp_ge_i32 s62, s47
	s_mov_b64 s[24:25], 0
	s_cbranch_scc1 .LBB71_8
; %bb.7:                                ;   in Loop: Header=BB71_6 Depth=1
	s_add_i32 s0, s54, 64
	s_ashr_i32 s1, s0, 31
	s_add_u32 s0, s51, s0
	s_addc_u32 s1, s50, s1
	s_lshl_b64 s[0:1], s[0:1], 8
	s_add_u32 s24, s6, s0
	s_addc_u32 s25, s7, s1
.LBB71_8:                               ;   in Loop: Header=BB71_6 Depth=1
	v_cndmask_b32_e64 v2, 0, 1, s[2:3]
	v_cmp_ne_u32_e64 s[0:1], 1, v2
	s_andn2_b64 vcc, exec, s[2:3]
	s_cbranch_vccnz .LBB71_10
; %bb.9:                                ;   in Loop: Header=BB71_6 Depth=1
	s_add_i32 s2, s54, 64
	s_mul_hi_i32 s3, s2, s18
	s_mul_i32 s2, s2, s18
	s_add_u32 s2, s2, s52
	s_addc_u32 s3, s3, s56
	s_lshl_b64 s[2:3], s[2:3], 8
	s_add_u32 s28, s4, s2
	s_addc_u32 s29, s5, s3
.LBB71_10:                              ;   in Loop: Header=BB71_6 Depth=1
	v_perm_b32 v3, v77, v76, s21
	v_perm_b32 v2, v75, v74, s21
	v_perm_b32 v5, v73, v72, s21
	v_perm_b32 v4, v71, v70, s21
	ds_write_b64 v99, v[2:3]
	ds_write_b64 v100, v[4:5]
	ds_write_b64 v105, v[2:3]
	ds_write_b64 v106, v[4:5]
	v_perm_b32 v3, v69, v68, s21
	v_perm_b32 v2, v67, v66, s21
	v_perm_b32 v5, v65, v64, s21
	v_perm_b32 v4, v63, v62, s21
	ds_write_b64 v101, v[2:3]
	ds_write_b64 v102, v[4:5]
	ds_write_b64 v107, v[2:3]
	ds_write_b64 v108, v[4:5]
	;; [unrolled: 8-line block ×4, first 2 shown]
	s_waitcnt lgkmcnt(0)
	s_barrier
	ds_read_b64 v[6:7], v115 offset:49152
	ds_read2_b64 v[2:5], v116 offset1:16
	ds_read_b64 v[18:19], v118 offset:6144
	ds_read_b64 v[20:21], v116 offset:6144
	s_waitcnt lgkmcnt(2)
	v_mfma_f32_16x16x16_bf16 a[0:3], v[6:7], v[2:3], 0
	ds_read_b64 v[22:23], v117 offset:49152
	ds_read2st64_b64 v[10:13], v119 offset0:4 offset1:8
	ds_read2st64_b64 v[14:17], v120 offset0:4 offset1:8
	v_mfma_f32_16x16x16_bf16 a[4:7], v[6:7], v[4:5], 0
	ds_read2_b64 v[2:5], v116 offset0:32 offset1:48
	s_add_i32 s63, s54, 63
	s_ashr_i32 s2, s63, 31
	s_waitcnt lgkmcnt(0)
	v_mfma_f32_16x16x16_bf16 a[8:11], v[6:7], v[2:3], 0
	s_mul_i32 s3, s63, s35
	s_mul_hi_u32 s31, s63, s34
	s_add_i32 s3, s31, s3
	v_mfma_f32_16x16x16_bf16 a[12:15], v[6:7], v[4:5], 0
	ds_read2st64_b64 v[2:5], v116 offset0:4 offset1:8
	ds_read2st64_b64 v[6:9], v118 offset0:4 offset1:8
	s_mul_i32 s2, s2, s34
	s_waitcnt lgkmcnt(1)
	v_mfma_f32_16x16x16_bf16 a[0:3], v[22:23], v[2:3], a[0:3]
	s_add_i32 s3, s3, s2
	s_mul_i32 s2, s63, s34
	s_lshl_b64 s[2:3], s[2:3], 2
	s_waitcnt lgkmcnt(0)
	v_mfma_f32_16x16x16_bf16 a[4:7], v[22:23], v[6:7], a[4:7]
	s_add_u32 s2, s42, s2
	s_addc_u32 s3, s43, s3
	s_and_b64 vcc, exec, s[0:1]
	v_mfma_f32_16x16x16_bf16 a[8:11], v[22:23], v[10:11], a[8:11]
	ds_read_b64 v[2:3], v121 offset:49152
	ds_read_b64 v[6:7], v122 offset:49152
	;; [unrolled: 1-line block ×3, first 2 shown]
	v_mov_b32_e32 v149, 0
	v_mov_b32_e32 v148, 0
	v_mfma_f32_16x16x16_bf16 a[12:15], v[22:23], v[14:15], a[12:15]
	v_mov_b32_e32 v147, 0
	v_mov_b32_e32 v14, 0
	;; [unrolled: 1-line block ×3, first 2 shown]
	s_waitcnt lgkmcnt(2)
	v_mfma_f32_16x16x16_bf16 a[0:3], v[2:3], v[4:5], a[0:3]
	v_mov_b32_e32 v4, 0
	v_mov_b32_e32 v5, 0
	v_mfma_f32_16x16x16_bf16 a[4:7], v[2:3], v[8:9], a[4:7]
	v_mov_b32_e32 v8, 0
	v_mov_b32_e32 v9, 0
	;; [unrolled: 3-line block ×3, first 2 shown]
	v_mfma_f32_16x16x16_bf16 a[12:15], v[2:3], v[16:17], a[12:15]
	ds_read_b64 v[2:3], v119 offset:6144
	v_mov_b32_e32 v16, 0
	v_mov_b32_e32 v17, 0
	s_waitcnt lgkmcnt(2)
	v_mfma_f32_16x16x16_bf16 a[0:3], v[6:7], v[20:21], a[0:3]
	v_mfma_f32_16x16x16_bf16 a[4:7], v[6:7], v[18:19], a[4:7]
	s_waitcnt lgkmcnt(0)
	v_mfma_f32_16x16x16_bf16 a[8:11], v[6:7], v[2:3], a[8:11]
	v_mov_b32_e32 v2, 0
	v_mov_b32_e32 v3, 0
	v_mfma_f32_16x16x16_bf16 a[12:15], v[6:7], v[10:11], a[12:15]
	v_mov_b32_e32 v6, 0
	v_mov_b32_e32 v7, 0
	;; [unrolled: 1-line block ×4, first 2 shown]
	s_cbranch_vccnz .LBB71_12
; %bb.11:                               ;   in Loop: Header=BB71_6 Depth=1
	s_and_b32 s25, s25, 0xffff
	buffer_load_dwordx4 v[14:17], v95, s[24:27], 0 offen
	buffer_load_dwordx4 v[10:13], v95, s[24:27], s57 offen
	;; [unrolled: 1-line block ×4, first 2 shown]
	v_mov_b32_e32 v148, v97
	v_mov_b32_e32 v147, v98
.LBB71_12:                              ;   in Loop: Header=BB71_6 Depth=1
	ds_read_b64 v[38:39], v115 offset:57344
	ds_read2_b64 v[18:21], v123 offset1:16
	ds_read_b64 v[40:41], v117 offset:57344
	ds_read_b64 v[42:43], v121 offset:57344
	;; [unrolled: 1-line block ×3, first 2 shown]
	s_waitcnt lgkmcnt(3)
	v_mfma_f32_16x16x16_bf16 a[0:3], v[38:39], v[18:19], a[0:3]
	v_mfma_f32_16x16x16_bf16 a[4:7], v[38:39], v[20:21], a[4:7]
	ds_read2_b64 v[18:21], v123 offset0:32 offset1:48
	ds_read2st64_b64 v[22:25], v123 offset0:4 offset1:8
	ds_read2st64_b64 v[26:29], v124 offset0:4 offset1:8
	ds_read2st64_b64 v[30:33], v125 offset0:4 offset1:8
	ds_read2st64_b64 v[34:37], v126 offset0:4 offset1:8
	s_waitcnt lgkmcnt(4)
	v_mfma_f32_16x16x16_bf16 a[8:11], v[38:39], v[18:19], a[8:11]
	v_mfma_f32_16x16x16_bf16 a[12:15], v[38:39], v[20:21], a[12:15]
	v_add_u32_e32 v38, s54, v136
	v_ashrrev_i32_e32 v18, 31, v38
	v_mul_lo_u32 v20, v18, s34
	v_mul_lo_u32 v21, v38, s35
	v_mad_u64_u32 v[18:19], s[24:25], v38, s34, 0
	v_add3_u32 v19, v19, v21, v20
	v_add_u32_e32 v20, 1, v38
	v_ashrrev_i32_e32 v21, 31, v20
	s_waitcnt lgkmcnt(3)
	v_mfma_f32_16x16x16_bf16 a[0:3], v[40:41], v[22:23], a[0:3]
	v_mul_lo_u32 v22, v21, s34
	v_mul_lo_u32 v23, v20, s35
	v_mad_u64_u32 v[20:21], s[24:25], v20, s34, 0
	v_add3_u32 v21, v21, v23, v22
	v_add_u32_e32 v22, 2, v38
	v_ashrrev_i32_e32 v23, 31, v22
	s_waitcnt lgkmcnt(2)
	v_mfma_f32_16x16x16_bf16 a[4:7], v[40:41], v[26:27], a[4:7]
	v_mul_lo_u32 v26, v23, s34
	v_mul_lo_u32 v27, v22, s35
	v_mad_u64_u32 v[22:23], s[24:25], v22, s34, 0
	v_lshl_add_u64 v[18:19], v[18:19], 2, s[42:43]
	v_lshl_add_u64 v[20:21], v[20:21], 2, s[42:43]
	v_add3_u32 v23, v23, v27, v26
	v_add_u32_e32 v26, 3, v38
	s_waitcnt lgkmcnt(1)
	v_mfma_f32_16x16x16_bf16 a[8:11], v[40:41], v[30:31], a[8:11]
	global_load_dword v31, v[18:19], off
	v_ashrrev_i32_e32 v27, 31, v26
	v_mul_lo_u32 v27, v27, s34
	s_waitcnt lgkmcnt(0)
	v_mfma_f32_16x16x16_bf16 a[12:15], v[40:41], v[34:35], a[12:15]
	global_load_dword v34, v[20:21], off
	v_mad_u64_u32 v[18:19], s[24:25], v26, s34, 0
	s_ashr_i32 s25, s54, 31
	v_mul_lo_u32 v30, v26, s35
	s_add_u32 s24, s51, s54
	v_lshl_add_u64 v[22:23], v[22:23], 2, s[42:43]
	v_add3_u32 v19, v19, v30, v27
	s_addc_u32 s25, s50, s25
	v_lshl_add_u64 v[18:19], v[18:19], 2, s[42:43]
	global_load_dword v30, v[22:23], off
	global_load_dword v35, v[18:19], off
	s_lshl_b64 s[24:25], s[24:25], 8
	v_lshl_add_u64 v[18:19], v[80:81], 0, s[24:25]
	v_lshl_add_u64 v[18:19], v[18:19], 0, v[78:79]
	global_load_ushort v38, v[18:19], off offset:256
	global_load_ushort v39, v[18:19], off
	global_load_ushort v40, v[18:19], off offset:768
	global_load_ushort v41, v[18:19], off offset:512
	;; [unrolled: 1-line block ×6, first 2 shown]
	s_load_dword s2, s[2:3], 0x0
	v_mfma_f32_16x16x16_bf16 a[12:15], v[42:43], v[36:37], a[12:15]
	global_load_ushort v36, v[18:19], off offset:320
	global_load_ushort v37, v[18:19], off offset:64
	s_and_b64 vcc, exec, s[0:1]
	v_mfma_f32_16x16x16_bf16 a[0:3], v[42:43], v[24:25], a[0:3]
	ds_read_b64 v[20:21], v123 offset:6144
	ds_read_b64 v[22:23], v124 offset:6144
	;; [unrolled: 1-line block ×4, first 2 shown]
	v_mfma_f32_16x16x16_bf16 a[4:7], v[42:43], v[28:29], a[4:7]
	s_waitcnt vmcnt(11) lgkmcnt(0)
	v_sub_f32_e32 v28, s2, v30
	v_mfma_f32_16x16x16_bf16 a[8:11], v[42:43], v[32:33], a[8:11]
	global_load_ushort v42, v[18:19], off offset:832
	global_load_ushort v43, v[18:19], off offset:576
	;; [unrolled: 1-line block ×6, first 2 shown]
	v_mfma_f32_16x16x16_bf16 a[0:3], v[150:151], v[20:21], a[0:3]
	s_waitcnt vmcnt(16)
	v_sub_f32_e32 v29, s2, v35
	v_mul_f32_e32 v28, 0x3fb8aa3b, v28
	v_mul_f32_e32 v29, 0x3fb8aa3b, v29
	v_exp_f32_e32 v28, v28
	v_exp_f32_e32 v29, v29
	s_waitcnt vmcnt(15)
	v_lshlrev_b32_e32 v33, 16, v38
	s_waitcnt vmcnt(14)
	v_lshlrev_b32_e32 v32, 16, v39
	v_accvgpr_read_b32 v21, a3
	v_accvgpr_read_b32 v20, a2
	v_mfma_f32_16x16x16_bf16 a[2:5], v[150:151], v[22:23], a[4:7]
	v_mfma_f32_16x16x16_bf16 a[6:9], v[150:151], v[24:25], a[8:11]
	s_nop 5
	v_accvgpr_read_b32 v23, a5
	v_accvgpr_read_b32 v22, a4
	;; [unrolled: 1-line block ×4, first 2 shown]
	v_mfma_f32_16x16x16_bf16 a[8:11], v[150:151], v[26:27], a[12:15]
	v_sub_f32_e32 v26, s2, v31
	v_sub_f32_e32 v27, s2, v34
	v_mul_f32_e32 v26, 0x3fb8aa3b, v26
	v_mul_f32_e32 v27, 0x3fb8aa3b, v27
	v_exp_f32_e32 v26, v26
	v_exp_f32_e32 v27, v27
	v_accvgpr_read_b32 v35, a1
	v_accvgpr_read_b32 v34, a0
	v_lshl_add_u64 v[30:31], v[82:83], 0, s[24:25]
	v_pk_add_f32 v[32:33], v[32:33], v[34:35] neg_lo:[0,1] neg_hi:[0,1]
	s_waitcnt vmcnt(13)
	v_lshlrev_b32_e32 v35, 16, v40
	s_waitcnt vmcnt(12)
	v_lshlrev_b32_e32 v34, 16, v41
	v_lshl_add_u64 v[30:31], v[30:31], 0, v[78:79]
	v_pk_add_f32 v[20:21], v[34:35], v[20:21] neg_lo:[0,1] neg_hi:[0,1]
	global_store_short_d16_hi v[30:31], v32, off
	global_store_short_d16_hi v[30:31], v33, off offset:256
	global_store_short_d16_hi v[30:31], v20, off offset:512
	;; [unrolled: 1-line block ×3, first 2 shown]
	v_pk_mul_f32 v[32:33], v[26:27], v[32:33]
	v_pk_mul_f32 v[20:21], v[28:29], v[20:21]
	v_accvgpr_read_b32 v35, a3
	v_perm_b32 v21, v21, v20, s21
	v_perm_b32 v20, v33, v32, s21
	s_waitcnt vmcnt(15)
	v_lshlrev_b32_e32 v33, 16, v44
	s_waitcnt vmcnt(14)
	v_lshlrev_b32_e32 v32, 16, v152
	v_accvgpr_read_b32 v34, a2
	v_pk_add_f32 v[32:33], v[32:33], v[34:35] neg_lo:[0,1] neg_hi:[0,1]
	s_waitcnt vmcnt(13)
	v_lshlrev_b32_e32 v35, 16, v153
	s_waitcnt vmcnt(12)
	v_lshlrev_b32_e32 v34, 16, v154
	v_pk_add_f32 v[22:23], v[34:35], v[22:23] neg_lo:[0,1] neg_hi:[0,1]
	global_store_short_d16_hi v[30:31], v32, off offset:32
	global_store_short_d16_hi v[30:31], v33, off offset:288
	;; [unrolled: 1-line block ×4, first 2 shown]
	v_pk_mul_f32 v[32:33], v[26:27], v[32:33]
	v_pk_mul_f32 v[22:23], v[28:29], v[22:23]
	v_accvgpr_read_b32 v25, a11
	v_perm_b32 v23, v23, v22, s21
	v_perm_b32 v22, v33, v32, s21
	ds_write2_b64 v100, v[20:21], v[22:23] offset1:16
	v_accvgpr_read_b32 v23, a7
	s_waitcnt vmcnt(15)
	v_lshlrev_b32_e32 v21, 16, v36
	s_waitcnt vmcnt(14)
	v_lshlrev_b32_e32 v20, 16, v37
	v_accvgpr_read_b32 v22, a6
	v_pk_add_f32 v[20:21], v[20:21], v[22:23] neg_lo:[0,1] neg_hi:[0,1]
	global_store_short_d16_hi v[30:31], v20, off offset:64
	global_store_short_d16_hi v[30:31], v21, off offset:320
	v_pk_mul_f32 v[20:21], v[26:27], v[20:21]
	v_accvgpr_read_b32 v24, a10
	v_perm_b32 v20, v21, v20, s21
	v_mov_b32_e32 v150, 0
	v_mov_b32_e32 v32, 0
	;; [unrolled: 1-line block ×3, first 2 shown]
	s_waitcnt vmcnt(15)
	v_lshlrev_b32_e32 v23, 16, v42
	s_waitcnt vmcnt(14)
	v_lshlrev_b32_e32 v22, 16, v43
	v_pk_add_f32 v[18:19], v[22:23], v[18:19] neg_lo:[0,1] neg_hi:[0,1]
	global_store_short_d16_hi v[30:31], v18, off offset:576
	global_store_short_d16_hi v[30:31], v19, off offset:832
	v_pk_mul_f32 v[18:19], v[28:29], v[18:19]
	v_accvgpr_read_b32 v23, a9
	v_perm_b32 v21, v19, v18, s21
	s_waitcnt vmcnt(15)
	v_lshlrev_b32_e32 v19, 16, v155
	s_waitcnt vmcnt(14)
	v_lshlrev_b32_e32 v18, 16, v156
	v_accvgpr_read_b32 v22, a8
	v_pk_add_f32 v[18:19], v[18:19], v[22:23] neg_lo:[0,1] neg_hi:[0,1]
	s_waitcnt vmcnt(13)
	v_lshlrev_b32_e32 v23, 16, v157
	s_waitcnt vmcnt(12)
	v_lshlrev_b32_e32 v22, 16, v158
	v_pk_add_f32 v[22:23], v[22:23], v[24:25] neg_lo:[0,1] neg_hi:[0,1]
	global_store_short_d16_hi v[30:31], v18, off offset:96
	global_store_short_d16_hi v[30:31], v19, off offset:352
	global_store_short_d16_hi v[30:31], v22, off offset:608
	global_store_short_d16_hi v[30:31], v23, off offset:864
	v_pk_mul_f32 v[18:19], v[26:27], v[18:19]
	v_pk_mul_f32 v[22:23], v[28:29], v[22:23]
	v_mov_b32_e32 v24, 0
	v_perm_b32 v23, v23, v22, s21
	v_perm_b32 v22, v19, v18, s21
	ds_write2_b64 v100, v[20:21], v[22:23] offset0:32 offset1:48
	v_mov_b32_e32 v18, 0
	v_mov_b32_e32 v19, 0
	;; [unrolled: 1-line block ×13, first 2 shown]
	s_cbranch_vccnz .LBB71_14
; %bb.13:                               ;   in Loop: Header=BB71_6 Depth=1
	s_and_b32 s29, s29, 0xffff
	s_mov_b32 s31, s27
	buffer_load_dwordx4 v[30:33], v133, s[28:31], 0 offen
	buffer_load_dwordx4 v[22:25], v133, s[28:31], s57 offen
	;; [unrolled: 1-line block ×4, first 2 shown]
	v_mov_b32_e32 v149, v94
	v_mov_b32_e32 v150, v93
.LBB71_14:                              ;   in Loop: Header=BB71_6 Depth=1
	s_waitcnt lgkmcnt(0)
	s_barrier
	ds_read_b64 v[42:43], v138
	ds_read2_b64 v[34:37], v129 offset1:16
	ds_read_b64 v[168:169], v139
	ds_read_b64 v[170:171], v140
	;; [unrolled: 1-line block ×3, first 2 shown]
	ds_read2_b64 v[38:41], v129 offset0:32 offset1:48
	ds_read2st64_b64 v[152:155], v129 offset0:4 offset1:8
	ds_read2st64_b64 v[156:159], v130 offset0:4 offset1:8
	;; [unrolled: 1-line block ×4, first 2 shown]
	s_waitcnt lgkmcnt(8)
	v_mfma_f32_16x16x16_bf16 a[0:3], v[42:43], v[34:35], 0
	s_add_i32 s3, s48, s61
	s_mul_hi_i32 s25, s3, s53
	s_mul_i32 s3, s3, s53
	v_mfma_f32_16x16x16_bf16 a[4:7], v[42:43], v[36:37], 0
	s_add_u32 s24, s3, s33
	s_addc_u32 s25, s25, s55
	s_lshl_b64 s[24:25], s[24:25], 15
	s_waitcnt lgkmcnt(4)
	v_mfma_f32_16x16x16_bf16 a[8:11], v[42:43], v[38:39], 0
	s_mul_i32 s28, s63, s53
	s_mul_hi_i32 s3, s63, s53
	s_add_u32 s28, s28, s33
	v_mfma_f32_16x16x16_bf16 a[12:15], v[42:43], v[40:41], 0
	ds_read_b64 v[42:43], v129 offset:6144
	ds_read_b64 v[180:181], v130 offset:6144
	;; [unrolled: 1-line block ×4, first 2 shown]
	s_addc_u32 s29, s3, s55
	s_waitcnt lgkmcnt(7)
	v_mfma_f32_16x16x16_bf16 a[0:3], v[168:169], v[152:153], a[0:3]
	s_lshl_b64 s[28:29], s[28:29], 9
	s_add_u32 s28, s40, s28
	s_addc_u32 s29, s41, s29
	s_waitcnt lgkmcnt(6)
	v_mfma_f32_16x16x16_bf16 a[4:7], v[168:169], v[156:157], a[4:7]
	v_lshl_add_u64 v[190:191], v[84:85], 0, s[24:25]
	s_waitcnt lgkmcnt(5)
	v_mfma_f32_16x16x16_bf16 a[8:11], v[168:169], v[160:161], a[8:11]
	s_waitcnt lgkmcnt(4)
	v_mfma_f32_16x16x16_bf16 a[12:15], v[168:169], v[164:165], a[12:15]
	ds_read_b64 v[168:169], v143
	ds_read_b64 v[178:179], v144
	;; [unrolled: 1-line block ×3, first 2 shown]
	s_waitcnt lgkmcnt(2)
	v_mfma_f32_16x16x16_bf16 a[16:19], v[168:169], v[34:35], 0
	v_mfma_f32_16x16x16_bf16 a[20:23], v[168:169], v[36:37], 0
	global_load_dwordx4 v[34:37], v142, s[28:29]
	v_mfma_f32_16x16x16_bf16 a[24:27], v[168:169], v[38:39], 0
	v_mfma_f32_16x16x16_bf16 a[28:31], v[168:169], v[40:41], 0
	global_load_dwordx4 v[38:41], v137, s[28:29]
	v_mfma_f32_16x16x16_bf16 a[0:3], v[170:171], v[154:155], a[0:3]
	v_mfma_f32_16x16x16_bf16 a[4:7], v[170:171], v[158:159], a[4:7]
	;; [unrolled: 1-line block ×8, first 2 shown]
	ds_read2st64_b64 v[168:171], v127 offset1:8
	ds_read2st64_b64 v[172:175], v128 offset1:8
	ds_read_b64 v[188:189], v135 offset:40960
	s_waitcnt lgkmcnt(2)
	v_mov_b32_e32 v176, v168
	v_mfma_f32_16x16x16_bf16 a[16:19], v[178:179], v[152:153], a[16:19]
	v_mov_b32_e32 v177, v169
	v_mfma_f32_16x16x16_bf16 a[20:23], v[178:179], v[156:157], a[20:23]
	v_mfma_f32_16x16x16_bf16 a[24:27], v[178:179], v[160:161], a[24:27]
	;; [unrolled: 1-line block ×3, first 2 shown]
	v_add_co_u32_e32 v164, vcc, s37, v190
	s_waitcnt lgkmcnt(1)
	v_mov_b32_e32 v178, v172
	s_waitcnt lgkmcnt(0)
	v_mfma_f32_16x16x16_bf16 a[16:19], v[188:189], v[154:155], a[16:19]
	ds_read2st64_b64 v[152:155], v127 offset0:16 offset1:24
	v_addc_co_u32_e32 v165, vcc, 0, v191, vcc
	v_mfma_f32_16x16x16_bf16 a[20:23], v[188:189], v[158:159], a[20:23]
	ds_read2st64_b64 v[156:159], v128 offset0:16 offset1:24
	v_mov_b32_e32 v179, v173
	v_mov_b32_e32 v172, v170
	v_mfma_f32_16x16x16_bf16 a[32:35], v[188:189], v[162:163], a[24:27]
	v_mov_b32_e32 v173, v171
	s_waitcnt lgkmcnt(0)
	v_mov_b32_e32 v162, v156
	v_mov_b32_e32 v163, v157
	v_mfma_f32_16x16x16_bf16 a[36:39], v[188:189], v[166:167], a[28:31]
	v_mov_b32_e32 v156, v154
	v_mov_b32_e32 v157, v155
	;; [unrolled: 1-line block ×3, first 2 shown]
	v_mfma_f32_16x16x16_bf16 a[24:27], v[186:187], v[42:43], a[16:19]
	v_add_co_u32_e32 v42, vcc, s60, v190
	v_mov_b32_e32 v161, v153
	v_mfma_f32_16x16x16_bf16 a[28:31], v[186:187], v[180:181], a[20:23]
	v_addc_co_u32_e32 v43, vcc, 0, v191, vcc
	global_store_dwordx4 v[42:43], v[156:159], off
	v_mfma_f32_16x16x16_bf16 a[16:19], v[186:187], v[182:183], a[32:35]
	s_waitcnt vmcnt(2)
	v_mov_b32_e32 v44, v37
	v_mov_b32_e32 v43, v36
	;; [unrolled: 1-line block ×3, first 2 shown]
	v_mfma_f32_16x16x16_bf16 a[20:23], v[186:187], v[184:185], a[36:39]
	s_and_b64 vcc, exec, s[0:1]
	global_store_dwordx4 v[190:191], v[176:179], off
	global_store_dwordx4 v[164:165], v[172:175], off offset:-4096
	global_store_dwordx4 v[164:165], v[160:163], off
	s_cbranch_vccnz .LBB71_16
; %bb.15:                               ;   in Loop: Header=BB71_6 Depth=1
	v_lshrrev_b32_e32 v35, 3, v149
	v_and_b32_e32 v35, 6, v35
	v_xor_b32_e32 v36, v35, v150
	v_lshlrev_b32_e32 v36, 2, v36
	v_and_b32_e32 v37, 8, v149
	v_xor_b32_e32 v149, 0x440, v36
	v_cmp_eq_u32_e32 vcc, 0, v37
	v_perm_b32 v37, v22, v18, s58
	s_nop 0
	v_cndmask_b32_e32 v36, v149, v36, vcc
	v_lshl_or_b32 v35, v35, 10, v36
	v_perm_b32 v36, v30, v26, s58
	s_barrier
	ds_write2st64_b32 v35, v36, v37 offset0:128 offset1:160
	v_xor_b32_e32 v36, 8, v35
	v_perm_b32 v26, v30, v26, s59
	v_perm_b32 v18, v22, v18, s59
	v_add_u32_e32 v22, 0x80, v36
	ds_write2st64_b32 v22, v26, v18 offset0:128 offset1:160
	v_xor_b32_e32 v18, 16, v35
	v_perm_b32 v22, v31, v27, s58
	v_perm_b32 v26, v23, v19, s58
	ds_write2st64_b32 v18, v22, v26 offset0:129 offset1:161
	v_xor_b32_e32 v18, 24, v35
	v_perm_b32 v22, v31, v27, s59
	v_perm_b32 v19, v23, v19, s59
	v_add_u32_e32 v18, 0x80, v18
	ds_write2st64_b32 v18, v22, v19 offset0:129 offset1:161
	v_xor_b32_e32 v18, 32, v35
	v_perm_b32 v19, v32, v28, s58
	v_perm_b32 v22, v24, v20, s58
	;; [unrolled: 9-line block ×3, first 2 shown]
	ds_write2st64_b32 v18, v19, v20 offset0:131 offset1:163
	v_xor_b32_e32 v18, 56, v35
	v_perm_b32 v19, v33, v29, s59
	v_perm_b32 v20, v25, v21, s59
	v_add_u32_e32 v18, 0x80, v18
	ds_write2st64_b32 v18, v19, v20 offset0:131 offset1:163
	ds_write_b64 v148, v[14:15] offset:49152
	v_xor_b32_e32 v14, 8, v148
	ds_write_b64 v14, v[16:17] offset:49152
	ds_write_b64 v148, v[10:11] offset:57344
	;; [unrolled: 1-line block ×4, first 2 shown]
	v_xor_b32_e32 v6, 8, v147
	ds_write_b64 v6, v[8:9] offset:49152
	ds_write_b64 v147, v[2:3] offset:57344
	;; [unrolled: 1-line block ×3, first 2 shown]
.LBB71_16:                              ;   in Loop: Header=BB71_6 Depth=1
	v_mul_f32_e32 v26, s2, v146
	v_exp_f32_e32 v36, v26
	s_waitcnt vmcnt(4)
	v_mul_f32_e32 v26, 0x3fb8aa3b, v38
	v_exp_f32_e32 v38, v26
	v_mul_f32_e32 v26, 0x3fb8aa3b, v39
	v_exp_f32_e32 v39, v26
	;; [unrolled: 2-line block ×4, first 2 shown]
	v_accvgpr_read_b32 v5, a3
	v_accvgpr_read_b32 v4, a2
	;; [unrolled: 1-line block ×4, first 2 shown]
	v_pk_mul_f32 v[38:39], v[36:37], v[38:39] op_sel_hi:[0,1]
	v_pk_mul_f32 v[40:41], v[36:37], v[40:41] op_sel_hi:[0,1]
	v_pk_fma_f32 v[74:75], v[74:75], v[38:39], v[2:3]
	v_pk_fma_f32 v[76:77], v[76:77], v[40:41], v[4:5]
	v_mul_f32_e32 v2, 0x3fb8aa3b, v34
	v_mul_f32_e32 v3, 0x3fb8aa3b, v42
	;; [unrolled: 1-line block ×4, first 2 shown]
	v_exp_f32_e32 v2, v2
	v_exp_f32_e32 v3, v3
	;; [unrolled: 1-line block ×4, first 2 shown]
	v_accvgpr_read_b32 v9, a7
	v_accvgpr_read_b32 v13, a11
	;; [unrolled: 1-line block ×28, first 2 shown]
	v_pk_mul_f32 v[2:3], v[36:37], v[2:3] op_sel_hi:[0,1]
	v_pk_mul_f32 v[4:5], v[36:37], v[4:5] op_sel_hi:[0,1]
	s_add_i32 s54, s54, 64
	v_pk_fma_f32 v[66:67], v[38:39], v[66:67], v[6:7]
	v_pk_fma_f32 v[68:69], v[40:41], v[68:69], v[8:9]
	;; [unrolled: 1-line block ×13, first 2 shown]
	s_cmp_eq_u32 s47, s62
	v_pk_fma_f32 v[50:51], v[4:5], v[50:51], v[32:33]
	s_cbranch_scc1 .LBB71_18
; %bb.17:                               ;   in Loop: Header=BB71_6 Depth=1
	s_mov_b32 s61, s62
	s_branch .LBB71_6
.LBB71_18:
	s_lshl_b32 s0, s47, 6
	s_sub_i32 s42, s49, s0
	s_cmp_gt_i32 s42, 0
	s_cbranch_scc0 .LBB71_99
; %bb.19:
	s_add_i32 s38, s0, s38
	s_ashr_i32 s2, s38, 31
	s_cmpk_lg_i32 s19, 0x80
	s_cselect_b64 s[30:31], -1, 0
	s_and_b64 vcc, exec, s[30:31]
	s_cbranch_vccz .LBB71_21
; %bb.20:
	s_mul_i32 s1, s38, s18
	s_ashr_i32 s3, s52, 31
	s_mul_hi_i32 s0, s38, s18
	s_add_u32 s40, s1, s52
	s_addc_u32 s41, s0, s3
	s_cbranch_execz .LBB71_22
	s_branch .LBB71_23
.LBB71_21:
                                        ; implicit-def: $sgpr40_sgpr41
.LBB71_22:
	s_mul_i32 s1, s52, s16
	s_mul_hi_i32 s0, s52, s16
	s_add_u32 s40, s1, s38
	s_addc_u32 s41, s0, s2
.LBB71_23:
	s_add_i32 s3, s47, s48
	s_ashr_i32 s16, s33, 31
	s_add_u32 s0, s51, s38
	v_lshlrev_b32_e32 v6, 6, v91
	v_lshlrev_b32_e32 v24, 2, v45
	s_addc_u32 s1, s50, s2
	s_mov_b32 s2, 0x7060302
	v_or_b32_e32 v9, v6, v24
	v_xor_b32_e32 v7, v91, v24
	v_perm_b32 v3, v77, v76, s2
	v_perm_b32 v2, v75, v74, s2
	;; [unrolled: 1-line block ×4, first 2 shown]
	v_lshlrev_b32_e32 v9, 1, v9
	v_xor_b32_e32 v8, v92, v24
	ds_write2st64_b64 v9, v[2:3], v[4:5] offset0:32 offset1:48
	v_lshlrev_b32_e32 v7, 1, v7
	v_lshlrev_b32_e32 v9, 8, v45
	v_or_b32_e32 v10, v7, v9
	v_lshlrev_b32_e32 v8, 1, v8
	ds_write_b64 v10, v[2:3]
	v_or_b32_e32 v2, v8, v9
	v_or_b32_e32 v9, 16, v45
	v_lshlrev_b32_e32 v23, 2, v9
	v_or_b32_e32 v10, v6, v23
	ds_write_b64 v2, v[4:5]
	v_perm_b32 v3, v69, v68, s2
	v_perm_b32 v2, v67, v66, s2
	;; [unrolled: 1-line block ×4, first 2 shown]
	v_lshlrev_b32_e32 v10, 1, v10
	v_lshlrev_b32_e32 v9, 8, v9
	ds_write2st64_b64 v10, v[2:3], v[4:5] offset0:32 offset1:48
	v_or_b32_e32 v10, v7, v9
	ds_write_b64 v10, v[2:3]
	v_or_b32_e32 v2, v8, v9
	v_or_b32_e32 v9, 32, v45
	v_lshlrev_b32_e32 v22, 2, v9
	v_or_b32_e32 v10, v6, v22
	s_lshl_b64 s[28:29], s[0:1], 8
	ds_write_b64 v2, v[4:5]
	v_perm_b32 v3, v61, v60, s2
	v_perm_b32 v2, v59, v58, s2
	;; [unrolled: 1-line block ×4, first 2 shown]
	v_lshlrev_b32_e32 v10, 1, v10
	v_lshlrev_b32_e32 v9, 8, v9
	s_add_u32 s0, s6, s28
	ds_write2st64_b64 v10, v[2:3], v[4:5] offset0:32 offset1:48
	v_or_b32_e32 v10, v7, v9
	s_addc_u32 s1, s7, s29
	ds_write_b64 v10, v[2:3]
	v_or_b32_e32 v2, v8, v9
	v_or_b32_e32 v9, 48, v45
	s_mul_hi_i32 s6, s3, s17
	s_mul_i32 s3, s3, s17
	ds_write_b64 v2, v[4:5]
	v_perm_b32 v3, v47, v46, s2
	v_perm_b32 v2, v53, v52, s2
	;; [unrolled: 1-line block ×4, first 2 shown]
	v_lshlrev_b32_e32 v19, 2, v9
	s_add_u32 s2, s3, s33
	v_or_b32_e32 v6, v6, v19
	s_addc_u32 s3, s6, s16
	v_lshlrev_b32_e32 v6, 1, v6
	s_ashr_i32 s37, s36, 31
	s_lshl_b64 s[2:3], s[2:3], 15
	ds_write2st64_b64 v6, v[2:3], v[4:5] offset0:32 offset1:48
	v_lshlrev_b32_e32 v6, 8, v9
	s_add_u32 s6, s12, s2
	v_or_b32_e32 v7, v7, v6
	s_addc_u32 s7, s13, s3
	s_lshl_b64 s[2:3], s[36:37], 8
	ds_write_b64 v7, v[2:3]
	v_or_b32_e32 v2, v8, v6
	s_add_u32 s2, s6, s2
	v_lshlrev_b32_e32 v3, 1, v45
	ds_write_b64 v2, v[4:5]
	v_lshrrev_b32_e32 v2, 4, v0
	s_addc_u32 s3, s7, s3
	v_or_b32_e32 v4, 1, v3
	v_lshlrev_b32_e32 v10, 4, v45
	v_mov_b32_e32 v11, 0
	v_xor_b32_e32 v3, v2, v3
	v_xor_b32_e32 v6, v4, v2
	v_lshl_add_u64 v[12:13], s[2:3], 0, v[10:11]
	v_lshlrev_b32_e32 v10, 8, v2
	v_lshl_or_b32 v16, v3, 3, v10
	v_lshl_or_b32 v17, v6, 3, v10
	s_waitcnt lgkmcnt(0)
	s_barrier
	ds_read2st64_b64 v[2:5], v16 offset1:8
	ds_read2st64_b64 v[6:9], v17 offset1:8
	v_lshl_add_u64 v[14:15], v[12:13], 0, v[10:11]
	s_movk_i32 s2, 0x2000
	s_cmp_lg_u32 s42, 64
	s_waitcnt lgkmcnt(1)
	v_mov_b32_e32 v10, v2
	v_mov_b32_e32 v11, v3
	s_waitcnt lgkmcnt(0)
	v_mov_b32_e32 v12, v6
	v_mov_b32_e32 v13, v7
	global_store_dwordx4 v[14:15], v[10:13], off
	v_mov_b32_e32 v6, v4
	v_mov_b32_e32 v7, v5
	ds_read2st64_b64 v[2:5], v16 offset0:16 offset1:24
	ds_read2st64_b64 v[10:13], v17 offset0:16 offset1:24
	v_add_co_u32_e32 v16, vcc, s2, v14
	s_cselect_b64 s[6:7], -1, 0
	s_nop 0
	v_addc_co_u32_e32 v17, vcc, 0, v15, vcc
	global_store_dwordx4 v[16:17], v[6:9], off offset:-4096
	v_lshl_or_b32 v25, v87, 3, v90
	s_mov_b32 s24, 0
	s_waitcnt lgkmcnt(1)
	v_mov_b32_e32 v6, v2
	v_add_co_u32_e32 v2, vcc, 0x3000, v14
	v_mov_b32_e32 v7, v3
	s_nop 0
	v_addc_co_u32_e32 v3, vcc, 0, v15, vcc
	s_waitcnt lgkmcnt(0)
	v_mov_b32_e32 v8, v10
	v_mov_b32_e32 v9, v11
	;; [unrolled: 1-line block ×4, first 2 shown]
	v_or_b32_e32 v20, 32, v25
	v_and_b32_e32 v18, 56, v89
	s_and_b64 vcc, exec, s[6:7]
	global_store_dwordx4 v[16:17], v[6:9], off
	global_store_dwordx4 v[2:3], v[10:13], off
	s_cbranch_vccz .LBB71_29
; %bb.24:
	s_mov_b32 s25, s24
	s_mov_b32 s26, s24
	;; [unrolled: 1-line block ×3, first 2 shown]
	v_mov_b64_e32 v[6:7], s[24:25]
	v_mov_b64_e32 v[8:9], s[26:27]
	;; [unrolled: 1-line block ×3, first 2 shown]
	v_cmp_gt_i32_e32 vcc, s42, v25
	v_mov_b64_e32 v[4:5], v[8:9]
	s_and_saveexec_b64 s[2:3], vcc
	s_cbranch_execz .LBB71_26
; %bb.25:
	v_lshlrev_b32_e32 v2, 8, v25
	v_mov_b32_e32 v3, 0
	v_lshl_add_u64 v[4:5], s[0:1], 0, v[2:3]
	v_lshlrev_b32_e32 v2, 1, v18
	v_lshl_add_u64 v[10:11], v[4:5], 0, v[2:3]
	global_load_dwordx4 v[6:9], v[10:11], off
	global_load_dwordx4 v[2:5], v[10:11], off offset:128
.LBB71_26:
	s_or_b64 exec, exec, s[2:3]
	s_mov_b32 s25, s24
	s_mov_b32 s26, s24
	;; [unrolled: 1-line block ×3, first 2 shown]
	v_mov_b64_e32 v[14:15], s[24:25]
	v_mov_b64_e32 v[16:17], s[26:27]
	;; [unrolled: 1-line block ×3, first 2 shown]
	v_cmp_gt_i32_e32 vcc, s42, v20
	v_lshlrev_b32_e32 v21, 7, v20
	v_mov_b64_e32 v[12:13], v[16:17]
	s_and_saveexec_b64 s[2:3], vcc
	s_cbranch_execz .LBB71_28
; %bb.27:
	v_lshlrev_b32_e32 v10, 1, v21
	v_mov_b32_e32 v11, 0
	v_lshl_add_u64 v[12:13], s[0:1], 0, v[10:11]
	v_lshlrev_b32_e32 v10, 1, v18
	v_lshl_add_u64 v[26:27], v[12:13], 0, v[10:11]
	global_load_dwordx4 v[14:17], v[26:27], off
	global_load_dwordx4 v[10:13], v[26:27], off offset:128
.LBB71_28:
	s_or_b64 exec, exec, s[2:3]
	v_lshrrev_b32_e32 v26, 3, v18
	v_lshlrev_b32_e32 v27, 3, v25
	v_or_b32_e32 v26, v27, v26
	v_lshlrev_b32_e32 v26, 4, v26
	v_and_b32_e32 v27, 0x78, v27
	v_xor_b32_e32 v26, v26, v27
	s_branch .LBB71_31
.LBB71_29:
                                        ; implicit-def: $vgpr26
                                        ; implicit-def: $vgpr21
                                        ; implicit-def: $vgpr6_vgpr7_vgpr8_vgpr9
                                        ; implicit-def: $vgpr2_vgpr3_vgpr4_vgpr5
                                        ; implicit-def: $vgpr14_vgpr15_vgpr16_vgpr17
                                        ; implicit-def: $vgpr10_vgpr11_vgpr12_vgpr13
	s_cbranch_execz .LBB71_31
; %bb.30:
	s_waitcnt vmcnt(0)
	v_lshlrev_b32_e32 v2, 1, v18
	v_lshl_or_b32 v21, v25, 8, v2
	s_and_b32 s1, s1, 0xffff
	s_mov_b32 s3, 0x20000
	s_movk_i32 s2, 0x4000
	v_lshl_or_b32 v26, v20, 8, v2
	s_movk_i32 s12, 0x80
	buffer_load_dwordx4 v[6:9], v21, s[0:3], 0 offen
	buffer_load_dwordx4 v[2:5], v21, s[0:3], s12 offen
	;; [unrolled: 1-line block ×4, first 2 shown]
	v_lshrrev_b32_e32 v21, 3, v18
	v_lshlrev_b32_e32 v26, 3, v25
	v_or_b32_e32 v21, v26, v21
	v_lshlrev_b32_e32 v21, 4, v21
	v_and_b32_e32 v26, 0x78, v26
	v_xor_b32_e32 v26, v21, v26
	v_lshlrev_b32_e32 v21, 7, v20
.LBB71_31:
	s_movk_i32 s0, 0x1000
	v_and_or_b32 v20, v21, s0, v26
	s_waitcnt vmcnt(1)
	ds_write_b64 v26, v[6:7] offset:49152
	v_xor_b32_e32 v6, 8, v26
	ds_write_b64 v6, v[8:9] offset:49152
	s_waitcnt vmcnt(0)
	ds_write_b64 v26, v[2:3] offset:57344
	ds_write_b64 v6, v[4:5] offset:57344
	;; [unrolled: 1-line block ×3, first 2 shown]
	v_xor_b32_e32 v2, 8, v20
	ds_write_b64 v2, v[16:17] offset:49152
	ds_write_b64 v20, v[10:11] offset:57344
	;; [unrolled: 1-line block ×3, first 2 shown]
	v_or_b32_e32 v2, v1, v45
	v_lshlrev_b32_e32 v3, 11, v87
	v_lshlrev_b32_e32 v2, 3, v2
	v_and_b32_e32 v6, 0x1000, v3
	v_lshrrev_b32_e32 v3, 5, v86
	s_movk_i32 s0, 0xf8
	v_and_or_b32 v3, v2, s0, v3
	v_lshlrev_b32_e32 v7, 4, v3
	v_and_b32_e32 v8, 0x78, v2
	v_or_b32_e32 v10, 32, v7
	v_lshrrev_b32_e32 v3, 1, v86
	v_xor_b32_e32 v10, v10, v8
	v_xor_b32_e32 v2, v7, v8
	v_and_b32_e32 v9, 8, v3
	v_or_b32_e32 v10, v10, v6
	v_or_b32_e32 v2, v2, v6
	v_xor_b32_e32 v28, v10, v9
	v_or_b32_e32 v10, 64, v7
	v_xor_b32_e32 v27, v2, v9
	v_xor_b32_e32 v10, v10, v8
	s_waitcnt lgkmcnt(0)
	s_barrier
	v_or_b32_e32 v13, v10, v6
	ds_read_b64 v[10:11], v27 offset:49152
	v_lshl_or_b32 v14, v88, 8, v24
	v_lshlrev_b32_e32 v26, 1, v14
	v_add_u32_e32 v12, 0x4000, v26
	ds_read2_b64 v[2:5], v12 offset1:16
	v_or_b32_e32 v7, 0x60, v7
	v_xor_b32_e32 v7, v7, v8
	v_or_b32_e32 v6, v7, v6
	v_xor_b32_e32 v29, v13, v9
	v_xor_b32_e32 v30, v6, v9
	ds_read_b64 v[20:21], v28 offset:49152
	ds_read_b64 v[34:35], v29 offset:49152
	;; [unrolled: 1-line block ×3, first 2 shown]
	s_waitcnt lgkmcnt(3)
	v_mfma_f32_16x16x16_bf16 a[0:3], v[10:11], v[2:3], 0
	ds_read2_b64 v[6:9], v12 offset0:32 offset1:48
	s_lshl_b64 s[0:1], s[40:41], 8
	s_add_u32 s4, s4, s0
	v_mfma_f32_16x16x16_bf16 a[4:7], v[10:11], v[4:5], 0
	ds_read2st64_b64 v[2:5], v26 offset0:36 offset1:40
	s_addc_u32 s5, s5, s1
	s_add_i32 s2, s39, -1
	s_waitcnt lgkmcnt(1)
	v_mfma_f32_16x16x16_bf16 a[8:11], v[10:11], v[6:7], 0
	v_or_b32_e32 v6, 64, v14
	v_lshlrev_b32_e32 v31, 1, v6
	s_add_i32 s0, s45, s44
	s_waitcnt lgkmcnt(0)
	v_mfma_f32_16x16x16_bf16 a[0:3], v[20:21], v[2:3], a[0:3]
	v_or_b32_e32 v2, 0x80, v14
	v_lshlrev_b32_e32 v32, 1, v2
	v_or_b32_e32 v2, 0xc0, v14
	v_mfma_f32_16x16x16_bf16 a[12:15], v[10:11], v[8:9], 0
	ds_read2st64_b64 v[6:9], v31 offset0:36 offset1:40
	v_lshlrev_b32_e32 v33, 1, v2
	ds_read2st64_b64 v[10:13], v32 offset0:36 offset1:40
	ds_read2st64_b64 v[14:17], v33 offset0:36 offset1:40
	s_add_i32 s21, s0, s46
	s_mul_i32 s0, s33, s23
	s_mul_hi_u32 s1, s33, s22
	s_ashr_i32 s3, s2, 31
	s_mul_i32 s12, s2, s35
	s_mul_hi_u32 s13, s2, s34
	s_waitcnt lgkmcnt(2)
	v_mfma_f32_16x16x16_bf16 a[4:7], v[20:21], v[6:7], a[4:7]
	s_add_i32 s0, s1, s0
	s_mul_i32 s1, s16, s22
	s_add_i32 s12, s13, s12
	s_mul_i32 s3, s3, s34
	s_waitcnt lgkmcnt(1)
	v_mfma_f32_16x16x16_bf16 a[8:11], v[20:21], v[10:11], a[8:11]
	s_add_i32 s1, s0, s1
	s_add_i32 s3, s12, s3
	s_lshl_b64 s[12:13], s[20:21], 2
	s_waitcnt lgkmcnt(0)
	v_mfma_f32_16x16x16_bf16 a[12:15], v[20:21], v[14:15], a[12:15]
	s_mul_i32 s0, s33, s22
	s_add_u32 s10, s10, s12
	s_addc_u32 s11, s11, s13
	s_lshl_b64 s[0:1], s[0:1], 2
	v_mfma_f32_16x16x16_bf16 a[0:3], v[34:35], v[4:5], a[0:3]
	s_mul_i32 s2, s2, s34
	ds_read_b64 v[2:3], v26 offset:22528
	s_add_u32 s10, s10, s0
	v_mfma_f32_16x16x16_bf16 a[4:7], v[34:35], v[8:9], a[4:7]
	ds_read_b64 v[4:5], v31 offset:22528
	ds_read_b64 v[6:7], v32 offset:22528
	;; [unrolled: 1-line block ×3, first 2 shown]
	s_addc_u32 s11, s11, s1
	s_lshl_b64 s[0:1], s[2:3], 2
	v_mfma_f32_16x16x16_bf16 a[8:11], v[34:35], v[12:13], a[8:11]
	s_add_u32 s0, s10, s0
	s_addc_u32 s1, s11, s1
	s_load_dword s12, s[0:1], 0x0
	v_mfma_f32_16x16x16_bf16 a[12:15], v[34:35], v[16:17], a[12:15]
	s_and_b64 vcc, exec, s[30:31]
	s_waitcnt lgkmcnt(0)
	v_mfma_f32_16x16x16_bf16 a[0:3], v[36:37], v[2:3], a[0:3]
	v_mfma_f32_16x16x16_bf16 a[4:7], v[36:37], v[4:5], a[4:7]
	;; [unrolled: 1-line block ×4, first 2 shown]
	s_cbranch_vccz .LBB71_42
; %bb.32:
	v_lshlrev_b32_e32 v20, 1, v25
	s_and_b64 vcc, exec, s[6:7]
	s_cbranch_vccz .LBB71_43
; %bb.33:
	v_cmp_gt_i32_e32 vcc, s42, v20
	v_mov_b32_e32 v6, 0
	v_mov_b32_e32 v2, 0
	;; [unrolled: 1-line block ×5, first 2 shown]
	s_and_saveexec_b64 s[0:1], vcc
	s_cbranch_execz .LBB71_35
; %bb.34:
	v_mad_i64_i32 v[2:3], s[2:3], s19, v20, 0
	v_lshl_add_u64 v[2:3], v[2:3], 1, s[4:5]
	v_lshlrev_b32_e32 v4, 1, v18
	v_mov_b32_e32 v5, 0
	v_lshl_add_u64 v[2:3], v[2:3], 0, v[4:5]
	global_load_dwordx4 v[2:5], v[2:3], off
.LBB71_35:
	s_or_b64 exec, exec, s[0:1]
	v_or_b32_e32 v21, 1, v20
	v_cmp_gt_i32_e64 s[0:1], s42, v21
	v_mov_b32_e32 v7, 0
	v_mov_b32_e32 v8, 0
	v_mov_b32_e32 v9, 0
	s_and_saveexec_b64 s[2:3], s[0:1]
	s_cbranch_execz .LBB71_37
; %bb.36:
	v_mad_i64_i32 v[6:7], s[16:17], s19, v21, 0
	v_lshl_add_u64 v[6:7], v[6:7], 1, s[4:5]
	v_lshlrev_b32_e32 v8, 1, v18
	v_mov_b32_e32 v9, 0
	v_lshl_add_u64 v[6:7], v[6:7], 0, v[8:9]
	global_load_dwordx4 v[6:9], v[6:7], off
.LBB71_37:
	s_or_b64 exec, exec, s[2:3]
	v_mov_b32_e32 v17, 0
	v_mov_b32_e32 v10, 0
	;; [unrolled: 1-line block ×5, first 2 shown]
	s_and_saveexec_b64 s[2:3], vcc
	s_cbranch_execz .LBB71_39
; %bb.38:
	v_mad_i64_i32 v[10:11], s[16:17], s19, v20, 0
	v_lshl_add_u64 v[10:11], v[10:11], 1, s[4:5]
	v_lshlrev_b32_e32 v12, 1, v18
	v_mov_b32_e32 v13, 0
	v_lshl_add_u64 v[10:11], v[10:11], 0, v[12:13]
	global_load_dwordx4 v[10:13], v[10:11], off offset:128
.LBB71_39:
	s_or_b64 exec, exec, s[2:3]
	v_mov_b32_e32 v16, 0
	v_mov_b32_e32 v15, 0
	;; [unrolled: 1-line block ×3, first 2 shown]
	s_and_saveexec_b64 s[2:3], s[0:1]
	s_cbranch_execz .LBB71_41
; %bb.40:
	v_mad_i64_i32 v[14:15], s[0:1], s19, v21, 0
	v_lshl_add_u64 v[14:15], v[14:15], 1, s[4:5]
	v_lshlrev_b32_e32 v16, 1, v18
	v_mov_b32_e32 v17, 0
	v_lshl_add_u64 v[14:15], v[14:15], 0, v[16:17]
	global_load_dwordx4 v[14:17], v[14:15], off offset:128
.LBB71_41:
	s_or_b64 exec, exec, s[2:3]
	s_branch .LBB71_45
.LBB71_42:
                                        ; implicit-def: $vgpr5
                                        ; implicit-def: $vgpr9
                                        ; implicit-def: $vgpr13
                                        ; implicit-def: $vgpr17
	v_lshrrev_b32_e32 v34, 2, v86
	s_branch .LBB71_46
.LBB71_43:
                                        ; implicit-def: $vgpr5
                                        ; implicit-def: $vgpr9
                                        ; implicit-def: $vgpr13
                                        ; implicit-def: $vgpr17
	s_cbranch_execz .LBB71_45
; %bb.44:
	s_waitcnt vmcnt(0)
	v_mad_u64_u32 v[2:3], s[0:1], v20, s19, v[18:19]
	v_lshlrev_b32_e32 v20, 1, v2
	s_lshl_b32 s2, s19, 7
	s_and_b32 s1, s5, 0xffff
	s_mov_b32 s3, 0x20000
	s_mov_b32 s0, s4
	v_add_lshl_u32 v21, v2, s19, 1
	s_movk_i32 s13, 0x80
	buffer_load_dwordx4 v[2:5], v20, s[0:3], 0 offen
	buffer_load_dwordx4 v[10:13], v20, s[0:3], s13 offen
	;; [unrolled: 1-line block ×4, first 2 shown]
.LBB71_45:
	v_lshrrev_b32_e32 v34, 2, v86
	s_cbranch_execnz .LBB71_58
.LBB71_46:
	s_and_b64 vcc, exec, s[6:7]
	s_cbranch_vccz .LBB71_56
; %bb.47:
	s_waitcnt vmcnt(0)
	v_lshlrev_b32_e32 v7, 1, v25
	v_cmp_gt_i32_e32 vcc, s42, v7
	v_mov_b32_e32 v6, 0
	v_lshlrev_b32_e32 v14, 9, v25
	v_mov_b32_e32 v2, 0
	v_mov_b32_e32 v3, 0
	;; [unrolled: 1-line block ×4, first 2 shown]
	s_and_saveexec_b64 s[0:1], vcc
	s_cbranch_execz .LBB71_49
; %bb.48:
	v_mov_b32_e32 v15, 0
	v_lshl_add_u64 v[2:3], s[4:5], 0, v[14:15]
	v_lshlrev_b32_e32 v4, 1, v18
	v_mov_b32_e32 v5, v15
	v_lshl_add_u64 v[2:3], v[2:3], 0, v[4:5]
	global_load_dwordx4 v[2:5], v[2:3], off
.LBB71_49:
	s_or_b64 exec, exec, s[0:1]
	v_or_b32_e32 v7, 1, v7
	v_cmp_gt_i32_e64 s[0:1], s42, v7
	v_lshlrev_b32_e32 v20, 8, v7
	v_mov_b32_e32 v7, 0
	v_mov_b32_e32 v8, 0
	;; [unrolled: 1-line block ×3, first 2 shown]
	s_and_saveexec_b64 s[2:3], s[0:1]
	s_cbranch_execz .LBB71_51
; %bb.50:
	v_mov_b32_e32 v21, 0
	v_lshl_add_u64 v[6:7], s[4:5], 0, v[20:21]
	v_lshlrev_b32_e32 v8, 1, v18
	v_mov_b32_e32 v9, v21
	v_lshl_add_u64 v[6:7], v[6:7], 0, v[8:9]
	global_load_dwordx4 v[6:9], v[6:7], off
.LBB71_51:
	s_or_b64 exec, exec, s[2:3]
	v_mov_b32_e32 v17, 0
	v_mov_b32_e32 v10, 0
	;; [unrolled: 1-line block ×5, first 2 shown]
	s_and_saveexec_b64 s[2:3], vcc
	s_cbranch_execz .LBB71_53
; %bb.52:
	v_mov_b32_e32 v15, 0
	v_lshl_add_u64 v[10:11], s[4:5], 0, v[14:15]
	v_lshlrev_b32_e32 v14, 1, v18
	v_lshl_add_u64 v[10:11], v[10:11], 0, v[14:15]
	global_load_dwordx4 v[10:13], v[10:11], off offset:128
.LBB71_53:
	s_or_b64 exec, exec, s[2:3]
	v_mov_b32_e32 v16, 0
	v_mov_b32_e32 v15, 0
	;; [unrolled: 1-line block ×3, first 2 shown]
	s_and_saveexec_b64 s[2:3], s[0:1]
	s_cbranch_execz .LBB71_55
; %bb.54:
	v_mov_b32_e32 v21, 0
	v_lshl_add_u64 v[14:15], s[4:5], 0, v[20:21]
	v_lshlrev_b32_e32 v20, 1, v18
	v_lshl_add_u64 v[14:15], v[14:15], 0, v[20:21]
	global_load_dwordx4 v[14:17], v[14:15], off offset:128
.LBB71_55:
	s_or_b64 exec, exec, s[2:3]
	s_branch .LBB71_58
.LBB71_56:
                                        ; implicit-def: $vgpr5
                                        ; implicit-def: $vgpr9
                                        ; implicit-def: $vgpr13
                                        ; implicit-def: $vgpr17
	s_cbranch_execz .LBB71_58
; %bb.57:
	s_waitcnt vmcnt(0)
	v_lshlrev_b32_e32 v2, 1, v18
	v_lshl_or_b32 v18, v25, 9, v2
	s_and_b32 s5, s5, 0xffff
	s_mov_b32 s7, 0x20000
	s_movk_i32 s6, 0x4000
	s_movk_i32 s0, 0x80
	buffer_load_dwordx4 v[2:5], v18, s[4:7], 0 offen
	buffer_load_dwordx4 v[6:9], v18, s[4:7], 0 offen offset:256
	buffer_load_dwordx4 v[10:13], v18, s[4:7], s0 offen
	buffer_load_dwordx4 v[14:17], v18, s[4:7], s0 offen offset:256
.LBB71_58:
	ds_read_b64 v[20:21], v27 offset:57344
	v_add_u32_e32 v18, 0x6000, v26
	ds_read2_b64 v[36:39], v18 offset1:16
	ds_read_b64 v[54:55], v28 offset:57344
	ds_read_b64 v[28:29], v29 offset:57344
	;; [unrolled: 1-line block ×3, first 2 shown]
	ds_read2st64_b64 v[40:43], v26 offset0:52 offset1:56
	s_mov_b32 s0, 0x1000504
	s_mov_b32 s1, 0x3020706
	s_waitcnt lgkmcnt(4)
	v_mfma_f32_16x16x16_bf16 a[0:3], v[20:21], v[36:37], a[0:3]
	v_mfma_f32_16x16x16_bf16 a[4:7], v[20:21], v[38:39], a[4:7]
	ds_read2_b64 v[36:39], v18 offset0:32 offset1:48
	v_and_b32_e32 v18, 6, v0
	v_xor_b32_e32 v25, v25, v18
	s_waitcnt lgkmcnt(0)
	v_mfma_f32_16x16x16_bf16 a[8:11], v[20:21], v[36:37], a[8:11]
	v_lshlrev_b32_e32 v25, 2, v25
	v_and_b32_e32 v0, 1, v0
	v_xor_b32_e32 v35, 0x440, v25
	v_mfma_f32_16x16x16_bf16 a[12:15], v[20:21], v[38:39], a[12:15]
	ds_read2st64_b64 v[36:39], v31 offset0:52 offset1:56
	ds_read2st64_b64 v[46:49], v32 offset0:52 offset1:56
	;; [unrolled: 1-line block ×3, first 2 shown]
	v_cmp_eq_u32_e32 vcc, 0, v0
	ds_read_b64 v[20:21], v26 offset:30720
	ds_read_b64 v[26:27], v31 offset:30720
	;; [unrolled: 1-line block ×4, first 2 shown]
	v_mfma_f32_16x16x16_bf16 a[0:3], v[54:55], v[40:41], a[0:3]
	v_cndmask_b32_e32 v0, v35, v25, vcc
	v_lshl_or_b32 v0, v18, 10, v0
	s_waitcnt vmcnt(0)
	v_perm_b32 v18, v2, v6, s0
	s_waitcnt lgkmcnt(6)
	v_mfma_f32_16x16x16_bf16 a[4:7], v[54:55], v[36:37], a[4:7]
	v_perm_b32 v25, v10, v14, s0
	ds_write2st64_b32 v0, v18, v25 offset0:128 offset1:160
	v_xor_b32_e32 v18, 8, v0
	s_waitcnt lgkmcnt(6)
	v_mfma_f32_16x16x16_bf16 a[8:11], v[54:55], v[46:47], a[8:11]
	v_perm_b32 v2, v2, v6, s1
	v_perm_b32 v6, v10, v14, s1
	v_add_u32_e32 v10, 0x80, v18
	s_waitcnt lgkmcnt(5)
	v_mfma_f32_16x16x16_bf16 a[12:15], v[54:55], v[50:51], a[12:15]
	ds_write2st64_b32 v10, v2, v6 offset0:128 offset1:160
	v_xor_b32_e32 v2, 16, v0
	v_perm_b32 v6, v3, v7, s0
	v_mfma_f32_16x16x16_bf16 a[0:3], v[28:29], v[42:43], a[0:3]
	v_perm_b32 v10, v11, v15, s0
	ds_write2st64_b32 v2, v6, v10 offset0:129 offset1:161
	v_xor_b32_e32 v2, 24, v0
	v_mfma_f32_16x16x16_bf16 a[4:7], v[28:29], v[38:39], a[4:7]
	v_perm_b32 v3, v3, v7, s1
	v_perm_b32 v6, v11, v15, s1
	v_add_u32_e32 v2, 0x80, v2
	v_mfma_f32_16x16x16_bf16 a[16:19], v[28:29], v[48:49], a[8:11]
	ds_write2st64_b32 v2, v3, v6 offset0:129 offset1:161
	v_xor_b32_e32 v2, 32, v0
	v_perm_b32 v3, v4, v8, s0
	v_mfma_f32_16x16x16_bf16 a[20:23], v[28:29], v[52:53], a[12:15]
	v_perm_b32 v6, v12, v16, s0
	ds_write2st64_b32 v2, v3, v6 offset0:130 offset1:162
	v_xor_b32_e32 v2, 40, v0
	s_waitcnt lgkmcnt(8)
	v_mfma_f32_16x16x16_bf16 a[12:15], v[56:57], v[20:21], a[0:3]
	v_perm_b32 v3, v4, v8, s1
	v_perm_b32 v4, v12, v16, s1
	v_add_u32_e32 v2, 0x80, v2
	s_waitcnt lgkmcnt(7)
	v_mfma_f32_16x16x16_bf16 a[8:11], v[56:57], v[26:27], a[4:7]
	ds_write2st64_b32 v2, v3, v4 offset0:130 offset1:162
	v_xor_b32_e32 v2, 48, v0
	v_perm_b32 v3, v5, v9, s0
	s_waitcnt lgkmcnt(7)
	v_mfma_f32_16x16x16_bf16 a[4:7], v[56:57], v[30:31], a[16:19]
	v_perm_b32 v4, v13, v17, s0
	v_xor_b32_e32 v0, 56, v0
	v_and_or_b32 v21, v34, 12, v1
	s_waitcnt lgkmcnt(6)
	v_mfma_f32_16x16x16_bf16 a[0:3], v[56:57], v[32:33], a[20:23]
	ds_write2st64_b32 v2, v3, v4 offset0:131 offset1:163
	v_perm_b32 v2, v5, v9, s1
	v_perm_b32 v3, v13, v17, s1
	v_add_u32_e32 v0, 0x80, v0
	v_cmp_gt_i32_e32 vcc, s42, v21
	v_mov_b32_e32 v16, 0
	v_mov_b32_e32 v18, 0
	ds_write2st64_b32 v0, v2, v3 offset0:131 offset1:163
	s_and_saveexec_b64 s[0:1], vcc
	s_cbranch_execz .LBB71_60
; %bb.59:
	v_add_u32_e32 v0, s38, v21
	v_ashrrev_i32_e32 v1, 31, v0
	v_mul_lo_u32 v2, v1, s34
	v_mul_lo_u32 v3, v0, s35
	v_mad_u64_u32 v[0:1], s[2:3], v0, s34, 0
	v_add3_u32 v1, v1, v3, v2
	v_lshl_add_u64 v[0:1], v[0:1], 2, s[10:11]
	global_load_dword v0, v[0:1], off
	s_waitcnt vmcnt(0)
	v_sub_f32_e32 v0, s12, v0
	v_mul_f32_e32 v0, 0x3fb8aa3b, v0
	v_exp_f32_e32 v18, v0
.LBB71_60:
	s_or_b64 exec, exec, s[0:1]
	v_or_b32_e32 v10, 1, v21
	v_cmp_gt_i32_e64 s[0:1], s42, v10
	s_and_saveexec_b64 s[2:3], s[0:1]
	s_cbranch_execz .LBB71_62
; %bb.61:
	v_add_u32_e32 v0, s38, v10
	v_ashrrev_i32_e32 v1, 31, v0
	v_mul_lo_u32 v2, v1, s34
	v_mul_lo_u32 v3, v0, s35
	v_mad_u64_u32 v[0:1], s[4:5], v0, s34, 0
	v_add3_u32 v1, v1, v3, v2
	v_lshl_add_u64 v[0:1], v[0:1], 2, s[10:11]
	global_load_dword v0, v[0:1], off
	s_waitcnt vmcnt(0)
	v_sub_f32_e32 v0, s12, v0
	v_mul_f32_e32 v0, 0x3fb8aa3b, v0
	v_exp_f32_e32 v16, v0
.LBB71_62:
	s_or_b64 exec, exec, s[2:3]
	v_or_b32_e32 v12, 2, v21
	v_cmp_gt_i32_e64 s[2:3], s42, v12
	v_mov_b32_e32 v17, 0
	v_mov_b32_e32 v20, 0
	s_and_saveexec_b64 s[4:5], s[2:3]
	s_cbranch_execz .LBB71_64
; %bb.63:
	v_add_u32_e32 v0, s38, v12
	v_ashrrev_i32_e32 v1, 31, v0
	v_mul_lo_u32 v2, v1, s34
	v_mul_lo_u32 v3, v0, s35
	v_mad_u64_u32 v[0:1], s[6:7], v0, s34, 0
	v_add3_u32 v1, v1, v3, v2
	v_lshl_add_u64 v[0:1], v[0:1], 2, s[10:11]
	global_load_dword v0, v[0:1], off
	s_waitcnt vmcnt(0)
	v_sub_f32_e32 v0, s12, v0
	v_mul_f32_e32 v0, 0x3fb8aa3b, v0
	v_exp_f32_e32 v20, v0
.LBB71_64:
	s_or_b64 exec, exec, s[4:5]
	v_or_b32_e32 v14, 3, v21
	v_cmp_gt_i32_e64 s[4:5], s42, v14
	s_and_saveexec_b64 s[6:7], s[4:5]
	s_cbranch_execz .LBB71_66
; %bb.65:
	v_add_u32_e32 v0, s38, v14
	v_ashrrev_i32_e32 v1, 31, v0
	v_mul_lo_u32 v2, v1, s34
	v_mul_lo_u32 v3, v0, s35
	v_mad_u64_u32 v[0:1], s[16:17], v0, s34, 0
	v_add3_u32 v1, v1, v3, v2
	v_lshl_add_u64 v[0:1], v[0:1], 2, s[10:11]
	global_load_dword v0, v[0:1], off
	s_waitcnt vmcnt(0)
	v_sub_f32_e32 v0, s12, v0
	v_mul_f32_e32 v0, 0x3fb8aa3b, v0
	v_exp_f32_e32 v17, v0
.LBB71_66:
	s_or_b64 exec, exec, s[6:7]
	s_add_u32 s6, s8, s28
	v_or_b32_e32 v4, s36, v45
	s_addc_u32 s7, s9, s29
	s_add_u32 s8, s14, s28
	v_ashrrev_i32_e32 v5, 31, v4
	v_accvgpr_read_b32 v0, a12
	s_addc_u32 s9, s15, s29
	v_lshlrev_b64 v[4:5], 1, v[4:5]
	v_accvgpr_read_b32 v1, a13
	v_accvgpr_read_b32 v2, a14
	;; [unrolled: 1-line block ×3, first 2 shown]
	v_lshl_add_u64 v[6:7], s[6:7], 0, v[4:5]
	v_lshl_add_u64 v[4:5], s[8:9], 0, v[4:5]
	v_mov_b32_e32 v11, 0
	v_lshlrev_b32_e32 v8, 8, v21
	v_mov_b32_e32 v9, 0
	s_and_saveexec_b64 s[6:7], vcc
	s_cbranch_execz .LBB71_68
; %bb.67:
	v_mov_b32_e32 v9, 0
	v_lshl_add_u64 v[26:27], v[6:7], 0, v[8:9]
	global_load_ushort v13, v[26:27], off
	v_lshl_add_u64 v[26:27], v[4:5], 0, v[8:9]
	s_waitcnt vmcnt(0)
	v_lshlrev_b32_e32 v9, 16, v13
	v_sub_f32_e32 v0, v9, v0
	global_store_short_d16_hi v[26:27], v0, off
	v_mul_f32_e32 v0, v18, v0
	v_lshrrev_b32_e32 v9, 16, v0
.LBB71_68:
	s_or_b64 exec, exec, s[6:7]
	v_lshlrev_b32_e32 v10, 8, v10
	s_and_saveexec_b64 s[6:7], s[0:1]
	s_cbranch_execz .LBB71_70
; %bb.69:
	v_mov_b32_e32 v11, 0
	v_lshl_add_u64 v[26:27], v[6:7], 0, v[10:11]
	global_load_ushort v0, v[26:27], off
	v_lshl_add_u64 v[26:27], v[4:5], 0, v[10:11]
	s_waitcnt vmcnt(0)
	v_lshlrev_b32_e32 v0, 16, v0
	v_sub_f32_e32 v0, v0, v1
	global_store_short_d16_hi v[26:27], v0, off
	v_mul_f32_e32 v0, v16, v0
	v_lshrrev_b32_e32 v11, 16, v0
.LBB71_70:
	s_or_b64 exec, exec, s[6:7]
	v_mov_b32_e32 v15, 0
	v_lshlrev_b32_e32 v12, 8, v12
	v_mov_b32_e32 v13, 0
	s_and_saveexec_b64 s[6:7], s[2:3]
	s_cbranch_execz .LBB71_72
; %bb.71:
	v_mov_b32_e32 v13, 0
	v_lshl_add_u64 v[0:1], v[6:7], 0, v[12:13]
	global_load_ushort v25, v[0:1], off
	v_lshl_add_u64 v[0:1], v[4:5], 0, v[12:13]
	s_waitcnt vmcnt(0)
	v_lshlrev_b32_e32 v13, 16, v25
	v_sub_f32_e32 v2, v13, v2
	global_store_short_d16_hi v[0:1], v2, off
	v_mul_f32_e32 v0, v20, v2
	v_lshrrev_b32_e32 v13, 16, v0
.LBB71_72:
	s_or_b64 exec, exec, s[6:7]
	v_lshlrev_b32_e32 v14, 8, v14
	s_and_saveexec_b64 s[6:7], s[4:5]
	s_cbranch_execz .LBB71_74
; %bb.73:
	v_mov_b32_e32 v15, 0
	v_lshl_add_u64 v[0:1], v[6:7], 0, v[14:15]
	global_load_ushort v2, v[0:1], off
	v_lshl_add_u64 v[0:1], v[4:5], 0, v[14:15]
	s_waitcnt vmcnt(0)
	v_lshlrev_b32_e32 v2, 16, v2
	v_sub_f32_e32 v2, v2, v3
	global_store_short_d16_hi v[0:1], v2, off
	v_mul_f32_e32 v0, v17, v2
	v_lshrrev_b32_e32 v15, 16, v0
.LBB71_74:
	s_or_b64 exec, exec, s[6:7]
	v_lshlrev_b32_e32 v21, 6, v21
	s_mov_b32 s6, 0x5040100
	v_perm_b32 v26, v11, v9, s6
	v_or_b32_e32 v9, v21, v24
	v_accvgpr_read_b32 v0, a8
	v_perm_b32 v27, v15, v13, s6
	v_lshlrev_b32_e32 v9, 1, v9
	v_accvgpr_read_b32 v1, a9
	v_accvgpr_read_b32 v2, a10
	;; [unrolled: 1-line block ×3, first 2 shown]
	ds_write_b64 v9, v[26:27] offset:24576
	v_mov_b32_e32 v11, 0
	v_mov_b32_e32 v9, 0
	s_and_saveexec_b64 s[6:7], vcc
	s_cbranch_execz .LBB71_76
; %bb.75:
	v_mov_b32_e32 v9, 0
	v_lshl_add_u64 v[24:25], v[6:7], 0, v[8:9]
	global_load_ushort v13, v[24:25], off offset:32
	v_lshl_add_u64 v[24:25], v[4:5], 0, v[8:9]
	s_waitcnt vmcnt(0)
	v_lshlrev_b32_e32 v9, 16, v13
	v_sub_f32_e32 v0, v9, v0
	global_store_short_d16_hi v[24:25], v0, off offset:32
	v_mul_f32_e32 v0, v18, v0
	v_lshrrev_b32_e32 v9, 16, v0
.LBB71_76:
	s_or_b64 exec, exec, s[6:7]
	s_and_saveexec_b64 s[6:7], s[0:1]
	s_cbranch_execz .LBB71_78
; %bb.77:
	v_mov_b32_e32 v11, 0
	v_lshl_add_u64 v[24:25], v[6:7], 0, v[10:11]
	global_load_ushort v0, v[24:25], off offset:32
	v_lshl_add_u64 v[24:25], v[4:5], 0, v[10:11]
	s_waitcnt vmcnt(0)
	v_lshlrev_b32_e32 v0, 16, v0
	v_sub_f32_e32 v0, v0, v1
	global_store_short_d16_hi v[24:25], v0, off offset:32
	v_mul_f32_e32 v0, v16, v0
	v_lshrrev_b32_e32 v11, 16, v0
.LBB71_78:
	s_or_b64 exec, exec, s[6:7]
	v_mov_b32_e32 v15, 0
	v_mov_b32_e32 v13, 0
	s_and_saveexec_b64 s[6:7], s[2:3]
	s_cbranch_execz .LBB71_80
; %bb.79:
	v_mov_b32_e32 v13, 0
	v_lshl_add_u64 v[0:1], v[6:7], 0, v[12:13]
	global_load_ushort v24, v[0:1], off offset:32
	v_lshl_add_u64 v[0:1], v[4:5], 0, v[12:13]
	s_waitcnt vmcnt(0)
	v_lshlrev_b32_e32 v13, 16, v24
	v_sub_f32_e32 v2, v13, v2
	global_store_short_d16_hi v[0:1], v2, off offset:32
	v_mul_f32_e32 v0, v20, v2
	v_lshrrev_b32_e32 v13, 16, v0
.LBB71_80:
	s_or_b64 exec, exec, s[6:7]
	s_and_saveexec_b64 s[6:7], s[4:5]
	s_cbranch_execz .LBB71_82
; %bb.81:
	v_mov_b32_e32 v15, 0
	v_lshl_add_u64 v[0:1], v[6:7], 0, v[14:15]
	global_load_ushort v2, v[0:1], off offset:32
	v_lshl_add_u64 v[0:1], v[4:5], 0, v[14:15]
	s_waitcnt vmcnt(0)
	v_lshlrev_b32_e32 v2, 16, v2
	v_sub_f32_e32 v2, v2, v3
	global_store_short_d16_hi v[0:1], v2, off offset:32
	v_mul_f32_e32 v0, v17, v2
	v_lshrrev_b32_e32 v15, 16, v0
.LBB71_82:
	s_or_b64 exec, exec, s[6:7]
	s_mov_b32 s6, 0x5040100
	v_perm_b32 v24, v11, v9, s6
	v_or_b32_e32 v9, v21, v23
	v_accvgpr_read_b32 v0, a4
	v_perm_b32 v25, v15, v13, s6
	v_lshlrev_b32_e32 v9, 1, v9
	v_accvgpr_read_b32 v1, a5
	v_accvgpr_read_b32 v2, a6
	;; [unrolled: 1-line block ×3, first 2 shown]
	ds_write_b64 v9, v[24:25] offset:24576
	v_mov_b32_e32 v11, 0
	v_mov_b32_e32 v9, 0
	s_and_saveexec_b64 s[6:7], vcc
	s_cbranch_execz .LBB71_84
; %bb.83:
	v_mov_b32_e32 v9, 0
	v_lshl_add_u64 v[24:25], v[6:7], 0, v[8:9]
	global_load_ushort v13, v[24:25], off offset:64
	v_lshl_add_u64 v[24:25], v[4:5], 0, v[8:9]
	s_waitcnt vmcnt(0)
	v_lshlrev_b32_e32 v9, 16, v13
	v_sub_f32_e32 v0, v9, v0
	global_store_short_d16_hi v[24:25], v0, off offset:64
	v_mul_f32_e32 v0, v18, v0
	v_lshrrev_b32_e32 v9, 16, v0
.LBB71_84:
	s_or_b64 exec, exec, s[6:7]
	s_and_saveexec_b64 s[6:7], s[0:1]
	s_cbranch_execz .LBB71_86
; %bb.85:
	v_mov_b32_e32 v11, 0
	v_lshl_add_u64 v[24:25], v[6:7], 0, v[10:11]
	global_load_ushort v0, v[24:25], off offset:64
	v_lshl_add_u64 v[24:25], v[4:5], 0, v[10:11]
	s_waitcnt vmcnt(0)
	v_lshlrev_b32_e32 v0, 16, v0
	v_sub_f32_e32 v0, v0, v1
	global_store_short_d16_hi v[24:25], v0, off offset:64
	v_mul_f32_e32 v0, v16, v0
	v_lshrrev_b32_e32 v11, 16, v0
.LBB71_86:
	s_or_b64 exec, exec, s[6:7]
	v_mov_b32_e32 v15, 0
	v_mov_b32_e32 v13, 0
	s_and_saveexec_b64 s[6:7], s[2:3]
	s_cbranch_execz .LBB71_88
; %bb.87:
	v_mov_b32_e32 v13, 0
	v_lshl_add_u64 v[0:1], v[6:7], 0, v[12:13]
	global_load_ushort v23, v[0:1], off offset:64
	v_lshl_add_u64 v[0:1], v[4:5], 0, v[12:13]
	s_waitcnt vmcnt(0)
	v_lshlrev_b32_e32 v13, 16, v23
	v_sub_f32_e32 v2, v13, v2
	global_store_short_d16_hi v[0:1], v2, off offset:64
	v_mul_f32_e32 v0, v20, v2
	v_lshrrev_b32_e32 v13, 16, v0
.LBB71_88:
	s_or_b64 exec, exec, s[6:7]
	s_and_saveexec_b64 s[6:7], s[4:5]
	s_cbranch_execz .LBB71_90
; %bb.89:
	v_mov_b32_e32 v15, 0
	v_lshl_add_u64 v[0:1], v[6:7], 0, v[14:15]
	global_load_ushort v2, v[0:1], off offset:64
	v_lshl_add_u64 v[0:1], v[4:5], 0, v[14:15]
	s_waitcnt vmcnt(0)
	v_lshlrev_b32_e32 v2, 16, v2
	v_sub_f32_e32 v2, v2, v3
	global_store_short_d16_hi v[0:1], v2, off offset:64
	v_mul_f32_e32 v0, v17, v2
	v_lshrrev_b32_e32 v15, 16, v0
.LBB71_90:
	s_or_b64 exec, exec, s[6:7]
	s_mov_b32 s6, 0x5040100
	v_perm_b32 v24, v11, v9, s6
	v_or_b32_e32 v9, v21, v22
	v_accvgpr_read_b32 v0, a0
	v_perm_b32 v25, v15, v13, s6
	v_lshlrev_b32_e32 v9, 1, v9
	v_accvgpr_read_b32 v1, a1
	v_accvgpr_read_b32 v2, a2
	;; [unrolled: 1-line block ×3, first 2 shown]
	ds_write_b64 v9, v[24:25] offset:24576
	v_mov_b32_e32 v11, 0
	v_mov_b32_e32 v9, 0
	s_and_saveexec_b64 s[6:7], vcc
	s_cbranch_execz .LBB71_92
; %bb.91:
	v_mov_b32_e32 v9, 0
	v_lshl_add_u64 v[22:23], v[6:7], 0, v[8:9]
	global_load_ushort v13, v[22:23], off offset:96
	v_lshl_add_u64 v[8:9], v[4:5], 0, v[8:9]
	s_waitcnt vmcnt(0)
	v_lshlrev_b32_e32 v13, 16, v13
	v_sub_f32_e32 v0, v13, v0
	global_store_short_d16_hi v[8:9], v0, off offset:96
	v_mul_f32_e32 v0, v18, v0
	v_lshrrev_b32_e32 v9, 16, v0
.LBB71_92:
	s_or_b64 exec, exec, s[6:7]
	s_and_saveexec_b64 s[6:7], s[0:1]
	s_cbranch_execz .LBB71_94
; %bb.93:
	v_mov_b32_e32 v11, 0
	v_lshl_add_u64 v[22:23], v[6:7], 0, v[10:11]
	global_load_ushort v0, v[22:23], off offset:96
	v_lshl_add_u64 v[10:11], v[4:5], 0, v[10:11]
	s_waitcnt vmcnt(0)
	v_lshlrev_b32_e32 v0, 16, v0
	v_sub_f32_e32 v0, v0, v1
	global_store_short_d16_hi v[10:11], v0, off offset:96
	v_mul_f32_e32 v0, v16, v0
	v_lshrrev_b32_e32 v11, 16, v0
.LBB71_94:
	s_or_b64 exec, exec, s[6:7]
	v_mov_b32_e32 v0, 0
	v_mov_b32_e32 v1, 0
	s_and_saveexec_b64 s[0:1], s[2:3]
	s_cbranch_execz .LBB71_96
; %bb.95:
	v_mov_b32_e32 v13, 0
	v_lshl_add_u64 v[22:23], v[6:7], 0, v[12:13]
	global_load_ushort v1, v[22:23], off offset:96
	v_lshl_add_u64 v[12:13], v[4:5], 0, v[12:13]
	s_waitcnt vmcnt(0)
	v_lshlrev_b32_e32 v1, 16, v1
	v_sub_f32_e32 v1, v1, v2
	global_store_short_d16_hi v[12:13], v1, off offset:96
	v_mul_f32_e32 v1, v20, v1
	v_lshrrev_b32_e32 v1, 16, v1
.LBB71_96:
	s_or_b64 exec, exec, s[0:1]
	s_and_saveexec_b64 s[0:1], s[4:5]
	s_cbranch_execz .LBB71_98
; %bb.97:
	v_mov_b32_e32 v15, 0
	v_lshl_add_u64 v[6:7], v[6:7], 0, v[14:15]
	global_load_ushort v0, v[6:7], off offset:96
	v_lshl_add_u64 v[4:5], v[4:5], 0, v[14:15]
	s_waitcnt vmcnt(0)
	v_lshlrev_b32_e32 v0, 16, v0
	v_sub_f32_e32 v0, v0, v3
	global_store_short_d16_hi v[4:5], v0, off offset:96
	v_mul_f32_e32 v0, v17, v0
	v_lshrrev_b32_e32 v0, 16, v0
.LBB71_98:
	s_or_b64 exec, exec, s[0:1]
	s_mov_b32 s0, 0x5040100
	v_or_b32_e32 v2, v21, v19
	v_perm_b32 v1, v0, v1, s0
	v_perm_b32 v0, v11, v9, s0
	v_lshlrev_b32_e32 v2, 1, v2
	ds_write_b64 v2, v[0:1] offset:24576
	s_waitcnt lgkmcnt(0)
	s_barrier
.LBB71_99:
	s_endpgm
	.section	.rodata,"a",@progbits
	.p2align	6, 0x0
	.amdhsa_kernel _ZN12_GLOBAL__N_139chunk_gated_delta_rule_fwd_h_hip_kernelILi64ELb0ELb0ELb1ELb1ELb0ELb1ELb1ELb1EEEvPK12hip_bfloat16S3_S3_PKfS5_PKvPS1_S8_PvPKiSB_iiiiilll
		.amdhsa_group_segment_fixed_size 65536
		.amdhsa_private_segment_fixed_size 0
		.amdhsa_kernarg_size 136
		.amdhsa_user_sgpr_count 2
		.amdhsa_user_sgpr_dispatch_ptr 0
		.amdhsa_user_sgpr_queue_ptr 0
		.amdhsa_user_sgpr_kernarg_segment_ptr 1
		.amdhsa_user_sgpr_dispatch_id 0
		.amdhsa_user_sgpr_kernarg_preload_length 0
		.amdhsa_user_sgpr_kernarg_preload_offset 0
		.amdhsa_user_sgpr_private_segment_size 0
		.amdhsa_uses_dynamic_stack 0
		.amdhsa_enable_private_segment 0
		.amdhsa_system_sgpr_workgroup_id_x 1
		.amdhsa_system_sgpr_workgroup_id_y 1
		.amdhsa_system_sgpr_workgroup_id_z 0
		.amdhsa_system_sgpr_workgroup_info 0
		.amdhsa_system_vgpr_workitem_id 0
		.amdhsa_next_free_vgpr 232
		.amdhsa_next_free_sgpr 64
		.amdhsa_accum_offset 192
		.amdhsa_reserve_vcc 1
		.amdhsa_float_round_mode_32 0
		.amdhsa_float_round_mode_16_64 0
		.amdhsa_float_denorm_mode_32 3
		.amdhsa_float_denorm_mode_16_64 3
		.amdhsa_dx10_clamp 1
		.amdhsa_ieee_mode 1
		.amdhsa_fp16_overflow 0
		.amdhsa_tg_split 0
		.amdhsa_exception_fp_ieee_invalid_op 0
		.amdhsa_exception_fp_denorm_src 0
		.amdhsa_exception_fp_ieee_div_zero 0
		.amdhsa_exception_fp_ieee_overflow 0
		.amdhsa_exception_fp_ieee_underflow 0
		.amdhsa_exception_fp_ieee_inexact 0
		.amdhsa_exception_int_div_zero 0
	.end_amdhsa_kernel
	.section	.text._ZN12_GLOBAL__N_139chunk_gated_delta_rule_fwd_h_hip_kernelILi64ELb0ELb0ELb1ELb1ELb0ELb1ELb1ELb1EEEvPK12hip_bfloat16S3_S3_PKfS5_PKvPS1_S8_PvPKiSB_iiiiilll,"axG",@progbits,_ZN12_GLOBAL__N_139chunk_gated_delta_rule_fwd_h_hip_kernelILi64ELb0ELb0ELb1ELb1ELb0ELb1ELb1ELb1EEEvPK12hip_bfloat16S3_S3_PKfS5_PKvPS1_S8_PvPKiSB_iiiiilll,comdat
.Lfunc_end71:
	.size	_ZN12_GLOBAL__N_139chunk_gated_delta_rule_fwd_h_hip_kernelILi64ELb0ELb0ELb1ELb1ELb0ELb1ELb1ELb1EEEvPK12hip_bfloat16S3_S3_PKfS5_PKvPS1_S8_PvPKiSB_iiiiilll, .Lfunc_end71-_ZN12_GLOBAL__N_139chunk_gated_delta_rule_fwd_h_hip_kernelILi64ELb0ELb0ELb1ELb1ELb0ELb1ELb1ELb1EEEvPK12hip_bfloat16S3_S3_PKfS5_PKvPS1_S8_PvPKiSB_iiiiilll
                                        ; -- End function
	.section	.AMDGPU.csdata,"",@progbits
; Kernel info:
; codeLenInByte = 11460
; NumSgprs: 70
; NumVgprs: 192
; NumAgprs: 40
; TotalNumVgprs: 232
; ScratchSize: 0
; MemoryBound: 0
; FloatMode: 240
; IeeeMode: 1
; LDSByteSize: 65536 bytes/workgroup (compile time only)
; SGPRBlocks: 8
; VGPRBlocks: 28
; NumSGPRsForWavesPerEU: 70
; NumVGPRsForWavesPerEU: 232
; AccumOffset: 192
; Occupancy: 1
; WaveLimiterHint : 1
; COMPUTE_PGM_RSRC2:SCRATCH_EN: 0
; COMPUTE_PGM_RSRC2:USER_SGPR: 2
; COMPUTE_PGM_RSRC2:TRAP_HANDLER: 0
; COMPUTE_PGM_RSRC2:TGID_X_EN: 1
; COMPUTE_PGM_RSRC2:TGID_Y_EN: 1
; COMPUTE_PGM_RSRC2:TGID_Z_EN: 0
; COMPUTE_PGM_RSRC2:TIDIG_COMP_CNT: 0
; COMPUTE_PGM_RSRC3_GFX90A:ACCUM_OFFSET: 47
; COMPUTE_PGM_RSRC3_GFX90A:TG_SPLIT: 0
	.section	.text._ZN12_GLOBAL__N_139chunk_gated_delta_rule_fwd_h_hip_kernelILi64ELb0ELb0ELb0ELb1ELb0ELb1ELb1ELb1EEEvPK12hip_bfloat16S3_S3_PKfS5_PKvPS1_S8_PvPKiSB_iiiiilll,"axG",@progbits,_ZN12_GLOBAL__N_139chunk_gated_delta_rule_fwd_h_hip_kernelILi64ELb0ELb0ELb0ELb1ELb0ELb1ELb1ELb1EEEvPK12hip_bfloat16S3_S3_PKfS5_PKvPS1_S8_PvPKiSB_iiiiilll,comdat
	.globl	_ZN12_GLOBAL__N_139chunk_gated_delta_rule_fwd_h_hip_kernelILi64ELb0ELb0ELb0ELb1ELb0ELb1ELb1ELb1EEEvPK12hip_bfloat16S3_S3_PKfS5_PKvPS1_S8_PvPKiSB_iiiiilll ; -- Begin function _ZN12_GLOBAL__N_139chunk_gated_delta_rule_fwd_h_hip_kernelILi64ELb0ELb0ELb0ELb1ELb0ELb1ELb1ELb1EEEvPK12hip_bfloat16S3_S3_PKfS5_PKvPS1_S8_PvPKiSB_iiiiilll
	.p2align	8
	.type	_ZN12_GLOBAL__N_139chunk_gated_delta_rule_fwd_h_hip_kernelILi64ELb0ELb0ELb0ELb1ELb0ELb1ELb1ELb1EEEvPK12hip_bfloat16S3_S3_PKfS5_PKvPS1_S8_PvPKiSB_iiiiilll,@function
_ZN12_GLOBAL__N_139chunk_gated_delta_rule_fwd_h_hip_kernelILi64ELb0ELb0ELb0ELb1ELb0ELb1ELb1ELb1EEEvPK12hip_bfloat16S3_S3_PKfS5_PKvPS1_S8_PvPKiSB_iiiiilll: ; @_ZN12_GLOBAL__N_139chunk_gated_delta_rule_fwd_h_hip_kernelILi64ELb0ELb0ELb0ELb1ELb0ELb1ELb1ELb1EEEvPK12hip_bfloat16S3_S3_PKfS5_PKvPS1_S8_PvPKiSB_iiiiilll
; %bb.0:
	s_load_dwordx4 s[12:15], s[0:1], 0x5c
	s_load_dwordx4 s[16:19], s[0:1], 0x70
	s_abs_i32 s21, s3
	s_ashr_i32 s20, s3, 31
	s_load_dwordx2 s[36:37], s[0:1], 0x30
	s_load_dwordx4 s[24:27], s[0:1], 0x48
	s_waitcnt lgkmcnt(0)
	s_abs_i32 s28, s13
	v_cvt_f32_u32_e32 v1, s28
	s_sub_i32 s22, 0, s28
	s_ashr_i32 s29, s13, 31
	s_xor_b32 s20, s20, s29
	v_rcp_iflag_f32_e32 v1, v1
	s_load_dwordx8 s[4:11], s[0:1], 0x0
	v_lshrrev_b32_e32 v85, 6, v0
	v_bfe_u32 v86, v0, 4, 2
	v_mul_f32_e32 v1, 0x4f7ffffe, v1
	v_cvt_u32_f32_e32 v1, v1
	v_lshlrev_b32_e32 v2, 2, v86
	v_and_b32_e32 v84, 63, v0
	v_mov_b32_e32 v47, 0
	v_readfirstlane_b32 s23, v1
	s_mul_i32 s22, s22, s23
	s_mul_hi_u32 s22, s23, s22
	s_add_i32 s23, s23, s22
	s_mul_hi_u32 s22, s21, s23
	s_mul_i32 s23, s22, s28
	s_sub_i32 s21, s21, s23
	s_add_i32 s30, s22, 1
	s_sub_i32 s23, s21, s28
	s_cmp_ge_u32 s21, s28
	s_cselect_b32 s22, s30, s22
	s_cselect_b32 s21, s23, s21
	s_add_i32 s23, s22, 1
	s_cmp_ge_u32 s21, s28
	s_cselect_b32 s21, s23, s22
	s_xor_b32 s21, s21, s20
	s_sub_i32 s20, s21, s20
	s_mul_i32 s21, s20, s13
	s_sub_i32 s33, s3, s21
	s_ashr_i32 s21, s20, 31
	s_lshl_b64 s[22:23], s[20:21], 2
	s_add_u32 s24, s24, s22
	s_addc_u32 s25, s25, s23
	s_add_u32 s22, s26, s22
	s_addc_u32 s23, s27, s23
	s_abs_i32 s3, s14
	v_cvt_f32_u32_e32 v1, s3
	s_load_dwordx2 s[34:35], s[24:25], 0x0
	s_sub_i32 s25, 0, s3
	s_load_dword s46, s[22:23], 0x0
	v_rcp_iflag_f32_e32 v1, v1
	v_and_b32_e32 v45, 15, v0
	s_waitcnt lgkmcnt(0)
	s_sub_i32 s47, s35, s34
	s_ashr_i32 s24, s47, 31
	v_mul_f32_e32 v1, 0x4f7ffffe, v1
	v_cvt_u32_f32_e32 v1, v1
	s_lshr_b32 s24, s24, 26
	s_add_i32 s24, s47, s24
	s_ashr_i32 s45, s24, 6
	v_readfirstlane_b32 s26, v1
	s_mul_i32 s25, s25, s26
	s_mul_hi_u32 s25, s26, s25
	s_add_i32 s26, s26, s25
	s_mul_hi_u32 s25, s28, s26
	s_mul_i32 s26, s25, s3
	s_ashr_i32 s24, s14, 31
	s_sub_i32 s26, s28, s26
	s_xor_b32 s24, s29, s24
	s_add_i32 s27, s25, 1
	s_sub_i32 s28, s26, s3
	s_cmp_ge_u32 s26, s3
	s_cselect_b32 s25, s27, s25
	s_cselect_b32 s26, s28, s26
	s_add_i32 s27, s25, 1
	s_cmp_ge_u32 s26, s3
	s_cselect_b32 s3, s27, s25
	s_xor_b32 s3, s3, s24
	s_sub_i32 s3, s3, s24
	s_abs_i32 s24, s3
	v_cvt_f32_u32_e32 v1, s24
	s_sub_i32 s23, 0, s24
	s_abs_i32 s22, s33
	s_xor_b32 s3, s33, s3
	v_rcp_iflag_f32_e32 v1, v1
	s_ashr_i32 s3, s3, 31
	s_load_dwordx2 s[28:29], s[0:1], 0x80
	s_mul_hi_i32 s48, s33, s12
	v_mul_f32_e32 v1, 0x4f7ffffe, v1
	v_cvt_u32_f32_e32 v1, v1
	s_mul_i32 s49, s33, s12
	v_lshrrev_b32_e32 v88, 3, v84
	v_lshlrev_b32_e32 v87, 3, v0
	v_readfirstlane_b32 s25, v1
	s_mul_i32 s23, s23, s25
	s_mul_hi_u32 s23, s25, s23
	s_add_i32 s25, s25, s23
	s_mul_hi_u32 s23, s22, s25
	s_mul_i32 s25, s23, s24
	s_sub_i32 s22, s22, s25
	s_add_i32 s25, s23, 1
	s_sub_i32 s26, s22, s24
	s_cmp_ge_u32 s22, s24
	s_cselect_b32 s23, s25, s23
	s_cselect_b32 s22, s26, s22
	s_add_i32 s25, s23, 1
	s_cmp_ge_u32 s22, s24
	s_cselect_b32 s22, s25, s23
	s_xor_b32 s22, s22, s3
	v_lshlrev_b32_e32 v1, 4, v85
	s_sub_i32 s50, s22, s3
	v_or_b32_e32 v89, v2, v1
	s_lshl_b32 s30, s2, 6
	v_or_b32_e32 v90, 64, v89
	s_cmp_lt_i32 s47, 64
	s_mul_i32 s42, s20, s17
	s_mul_hi_u32 s43, s20, s16
	s_mul_i32 s44, s21, s16
	s_mul_i32 s16, s20, s16
	v_mov_b32_e32 v46, v47
	v_mov_b32_e32 v53, v47
	;; [unrolled: 1-line block ×31, first 2 shown]
	s_cbranch_scc1 .LBB72_18
; %bb.1:
	s_ashr_i32 s53, s33, 31
	s_ashr_i32 s3, s34, 31
	s_add_u32 s2, s49, s34
	s_addc_u32 s3, s48, s3
	s_lshl_b64 s[2:3], s[2:3], 8
	v_and_b32_e32 v92, 56, v87
	s_add_u32 s20, s6, s2
	v_lshl_or_b32 v91, v85, 3, v88
	v_lshlrev_b32_e32 v3, 1, v92
	s_addc_u32 s2, s7, s3
	v_lshl_or_b32 v93, v91, 8, v3
	s_and_b32 s21, s2, 0xffff
	s_mov_b32 s23, 0x20000
	s_movk_i32 s22, 0x4000
	s_movk_i32 s2, 0x80
	v_or_b32_e32 v94, 0x2000, v93
	buffer_load_dwordx4 v[4:7], v93, s[20:23], 0 offen
	buffer_load_dwordx4 v[8:11], v93, s[20:23], s2 offen
	;; [unrolled: 1-line block ×4, first 2 shown]
	v_lshlrev_b32_e32 v20, 3, v91
	v_and_or_b32 v22, v0, 7, v20
	v_and_b32_e32 v20, 0x78, v20
	v_lshlrev_b32_e32 v22, 4, v22
	v_xor_b32_e32 v95, v22, v20
	v_mul_lo_u32 v21, v91, s15
	v_or_b32_e32 v96, 0x1000, v95
	s_cmpk_eq_i32 s15, 0x80
	s_mov_b32 s51, s13
	s_mov_b32 s52, s34
	v_xor_b32_e32 v20, 8, v95
	v_xor_b32_e32 v22, 8, v96
	s_cselect_b64 s[2:3], -1, 0
	s_cmpk_lg_i32 s15, 0x80
	s_waitcnt vmcnt(3)
	ds_write_b64 v95, v[4:5] offset:49152
	ds_write_b64 v20, v[6:7] offset:49152
	s_waitcnt vmcnt(2)
	ds_write_b64 v95, v[8:9] offset:57344
	ds_write_b64 v20, v[10:11] offset:57344
	;; [unrolled: 3-line block ×4, first 2 shown]
	v_lshl_add_u32 v4, v21, 1, v92
	s_cbranch_scc0 .LBB72_3
; %bb.2:
	v_lshlrev_b32_e32 v6, 1, v4
	v_add_lshl_u32 v5, v4, s15, 1
	s_lshl_b32 s22, s15, 7
	s_load_dwordx2 s[38:39], s[0:1], 0x20
	v_lshl_or_b32 v3, v91, 9, v3
	s_cbranch_execz .LBB72_4
	s_branch .LBB72_5
.LBB72_3:
                                        ; implicit-def: $vgpr5
                                        ; implicit-def: $vgpr6
                                        ; implicit-def: $sgpr22
	s_load_dwordx2 s[38:39], s[0:1], 0x20
	v_lshl_or_b32 v3, v91, 9, v3
.LBB72_4:
	v_or_b32_e32 v5, 0x100, v3
	s_movk_i32 s22, 0x4000
	v_mov_b32_e32 v6, v3
.LBB72_5:
	s_mul_i32 s0, s34, s14
	s_ashr_i32 s54, s50, 31
	s_mul_hi_i32 s1, s34, s14
	s_add_u32 s0, s0, s50
	s_addc_u32 s1, s1, s54
	s_lshl_b64 s[0:1], s[0:1], 8
	s_add_u32 s20, s4, s0
	s_addc_u32 s0, s5, s1
	s_and_b32 s21, s0, 0xffff
	s_movk_i32 s55, 0x80
	buffer_load_dwordx4 v[8:11], v6, s[20:23], 0 offen
	buffer_load_dwordx4 v[12:15], v6, s[20:23], s55 offen
	;; [unrolled: 1-line block ×4, first 2 shown]
	v_and_b32_e32 v5, 6, v0
	v_lshlrev_b32_e32 v6, 7, v89
	v_xor_b32_e32 v28, v91, v5
	v_and_b32_e32 v7, 1, v0
	v_lshl_or_b32 v31, v45, 3, v6
	v_lshlrev_b32_e32 v28, 2, v28
	v_lshlrev_b32_e32 v24, 2, v45
	v_or_b32_e32 v97, 0x4000, v31
	v_or_b32_e32 v98, 0x6000, v31
	v_xor_b32_e32 v31, 0x440, v28
	v_cmp_eq_u32_e32 vcc, 0, v7
	v_or_b32_e32 v26, 16, v45
	v_or_b32_e32 v27, 32, v45
	v_xor_b32_e32 v29, v89, v24
	v_xor_b32_e32 v30, v90, v24
	v_cndmask_b32_e32 v7, v31, v28, vcc
	s_add_i32 s0, s43, s42
	s_mov_b32 s56, 0x1000504
	v_lshl_or_b32 v32, v26, 3, v6
	v_lshlrev_b32_e32 v26, 8, v26
	v_lshl_or_b32 v33, v27, 3, v6
	v_lshlrev_b32_e32 v29, 1, v29
	v_lshlrev_b32_e32 v30, 1, v30
	v_lshl_or_b32 v5, v5, 10, v7
	s_add_i32 s17, s0, s44
	s_mul_i32 s0, s33, s19
	s_mul_hi_u32 s1, s33, s18
	s_mov_b32 s57, 0x3020706
	v_lshlrev_b32_e32 v25, 8, v45
	v_or_b32_e32 v101, 0x4000, v33
	v_or_b32_e32 v102, 0x6000, v33
	;; [unrolled: 1-line block ×4, first 2 shown]
	v_xor_b32_e32 v7, 8, v5
	v_xor_b32_e32 v26, 24, v5
	;; [unrolled: 1-line block ×4, first 2 shown]
	s_add_i32 s0, s1, s0
	s_mul_i32 s1, s53, s18
	v_or_b32_e32 v99, 0x4000, v32
	v_or_b32_e32 v100, 0x6000, v32
	;; [unrolled: 1-line block ×4, first 2 shown]
	v_xor_b32_e32 v25, 16, v5
	v_xor_b32_e32 v28, 32, v5
	;; [unrolled: 1-line block ×3, first 2 shown]
	v_add_u32_e32 v7, 0x80, v7
	v_add_u32_e32 v26, 0x80, v26
	;; [unrolled: 1-line block ×4, first 2 shown]
	s_add_i32 s1, s0, s1
	s_lshl_b64 s[20:21], s[16:17], 2
	s_mul_i32 s0, s33, s18
	s_add_u32 s17, s10, s20
	s_addc_u32 s20, s11, s21
	s_lshl_b64 s[0:1], s[0:1], 2
	s_add_u32 s40, s17, s0
	s_movk_i32 s0, 0xf8
	s_addc_u32 s41, s20, s1
	s_ashr_i32 s31, s30, 31
	s_lshl_b32 s26, s15, 7
	v_mov_b32_e32 v79, 0
	s_movk_i32 s17, 0x100
	v_lshlrev_b32_e32 v78, 4, v45
	v_lshlrev_b32_e32 v27, 8, v27
	s_mov_b32 s59, 0
	s_movk_i32 s22, 0x4000
	v_or_b32_e32 v107, v27, v29
	v_or_b32_e32 v108, v27, v30
	v_add_u32_e32 v134, v1, v2
	s_movk_i32 s58, 0x3000
	v_mov_b32_e32 v144, 0x3fb8aa3b
	v_mov_b32_e32 v70, v79
	;; [unrolled: 1-line block ×7, first 2 shown]
	s_waitcnt vmcnt(1)
	v_perm_b32 v34, v8, v16, s56
	s_waitcnt vmcnt(0)
	v_perm_b32 v35, v12, v20, s56
	v_perm_b32 v8, v8, v16, s57
	;; [unrolled: 1-line block ×15, first 2 shown]
	ds_write2st64_b32 v5, v34, v35 offset0:128 offset1:160
	ds_write2st64_b32 v7, v8, v12 offset0:128 offset1:160
	;; [unrolled: 1-line block ×8, first 2 shown]
	v_or_b32_e32 v5, 48, v45
	v_lshl_or_b32 v7, v5, 3, v6
	v_lshlrev_b32_e32 v5, 8, v5
	v_or_b32_e32 v111, v5, v29
	v_or_b32_e32 v112, v5, v30
	;; [unrolled: 1-line block ×3, first 2 shown]
	v_lshlrev_b32_e32 v5, 3, v5
	v_lshrrev_b32_e32 v9, 5, v84
	v_and_or_b32 v9, v5, s0, v9
	v_lshlrev_b32_e32 v9, 4, v9
	v_lshlrev_b32_e32 v11, 11, v85
	v_and_b32_e32 v5, 0x78, v5
	v_or_b32_e32 v14, 32, v9
	v_and_b32_e32 v8, 0x1000, v11
	v_xor_b32_e32 v10, v9, v5
	v_lshrrev_b32_e32 v12, 1, v84
	v_xor_b32_e32 v14, v14, v5
	v_or_b32_e32 v10, v10, v8
	v_and_b32_e32 v12, 8, v12
	v_or_b32_e32 v14, v14, v8
	v_xor_b32_e32 v113, v10, v12
	v_lshlrev_b32_e32 v10, 8, v86
	v_xor_b32_e32 v115, v14, v12
	v_or_b32_e32 v14, 64, v9
	v_or_b32_e32 v9, 0x60, v9
	;; [unrolled: 1-line block ×3, first 2 shown]
	v_xor_b32_e32 v14, v14, v5
	v_xor_b32_e32 v5, v9, v5
	v_lshlrev_b32_e32 v13, 1, v13
	v_or_b32_e32 v14, v14, v8
	v_or_b32_e32 v5, v5, v8
	s_lshl_b64 s[0:1], s[30:31], 8
	v_or_b32_e32 v114, 0x4000, v13
	v_or_b32_e32 v116, 0x4080, v13
	;; [unrolled: 1-line block ×4, first 2 shown]
	v_xor_b32_e32 v119, v14, v12
	v_xor_b32_e32 v120, v5, v12
	v_or_b32_e32 v121, 0x6000, v13
	v_or_b32_e32 v122, 0x6080, v13
	;; [unrolled: 1-line block ×4, first 2 shown]
	v_lshlrev_b32_e32 v12, 1, v4
	v_add_lshl_u32 v13, v4, s15, 1
	s_add_u32 s0, s36, s0
	v_lshlrev_b32_e32 v4, 1, v45
	v_lshrrev_b32_e32 v15, 4, v0
	s_addc_u32 s1, s37, s1
	v_or_b32_e32 v5, 1, v4
	v_lshlrev_b32_e32 v18, 2, v0
	v_or_b32_e32 v14, 0x100, v3
	v_xor_b32_e32 v16, v15, v4
	v_xor_b32_e32 v17, v5, v15
	v_lshl_add_u64 v[4:5], s[0:1], 0, v[78:79]
	v_lshlrev_b32_e32 v78, 8, v15
	v_lshrrev_b32_e32 v19, 1, v0
	v_and_or_b32 v10, v18, 60, v10
	v_cndmask_b32_e64 v131, v12, v3, s[2:3]
	v_mov_b32_e32 v3, 0xa000
	v_mov_b32_e32 v12, 0x8000
	v_cmp_gt_u32_e64 s[0:1], s17, v0
	v_lshl_or_b32 v125, v16, 3, v78
	v_and_b32_e32 v16, 8, v0
	v_and_b32_e32 v19, 24, v19
	v_lshlrev_b32_e32 v10, 1, v10
	v_cndmask_b32_e64 v3, v3, v12, s[0:1]
	v_lshlrev_b32_e32 v12, 3, v85
	v_or_b32_e32 v127, 0x6000, v10
	v_or_b32_e32 v128, 0x6080, v10
	;; [unrolled: 1-line block ×4, first 2 shown]
	v_mov_b32_e32 v10, 0x400
	v_cmp_eq_u32_e32 vcc, 0, v16
	v_cndmask_b32_e64 v132, v13, v14, s[2:3]
	v_xor_b32_e32 v13, v12, v19
	v_and_b32_e32 v15, 7, v0
	v_cndmask_b32_e64 v16, v10, 64, vcc
	v_or_b32_e32 v14, 0x440, v13
	v_lshl_or_b32 v126, v17, 3, v78
	v_lshlrev_b32_e32 v17, 3, v15
	v_or_b32_e32 v18, 32, v19
	v_or_b32_e32 v20, 0x60, v19
	v_cndmask_b32_e32 v14, v14, v13, vcc
	v_or3_b32 v13, v11, v16, v13
	v_lshlrev_b32_e32 v15, 7, v15
	v_xor_b32_e32 v18, v12, v18
	v_xor_b32_e32 v13, v13, v17
	;; [unrolled: 1-line block ×3, first 2 shown]
	v_or_b32_e32 v21, 0x440, v18
	v_or_b32_e32 v133, v13, v15
	v_xor_b32_e32 v13, 0x440, v12
	v_cndmask_b32_e32 v18, v21, v18, vcc
	v_cndmask_b32_e32 v12, v13, v12, vcc
	v_or_b32_e32 v109, 0x4000, v7
	v_or_b32_e32 v110, 0x6000, v7
	v_lshrrev_b32_e32 v7, 2, v84
	v_or_b32_e32 v14, v14, v11
	v_or_b32_e32 v18, v18, v11
	;; [unrolled: 1-line block ×3, first 2 shown]
	v_and_b32_e32 v7, 12, v7
	v_or_b32_e32 v8, s30, v45
	v_xor_b32_e32 v14, v14, v17
	v_xor_b32_e32 v18, v18, v17
	;; [unrolled: 1-line block ×3, first 2 shown]
	v_ashrrev_i32_e32 v9, 31, v8
	v_or_b32_e32 v10, v1, v7
	v_add_u32_e32 v19, v3, v14
	v_add_u32_e32 v21, v3, v18
	;; [unrolled: 1-line block ×3, first 2 shown]
	v_or3_b32 v12, v1, v7, 64
	v_add_u32_e32 v7, 0xa000, v14
	v_add_u32_e32 v14, 0xa000, v18
	;; [unrolled: 1-line block ×3, first 2 shown]
	v_lshl_add_u64 v[80:81], v[8:9], 1, s[8:9]
	v_lshl_add_u64 v[82:83], v[4:5], 0, v[78:79]
	s_mov_b32 s17, 0x7060302
	v_lshlrev_b32_e32 v78, 1, v6
	s_movk_i32 s31, 0x2000
	v_lshlrev_b32_e32 v135, 2, v10
	v_add_u32_e32 v136, v19, v15
	v_add_u32_e32 v137, v21, v15
	;; [unrolled: 1-line block ×4, first 2 shown]
	v_lshlrev_b32_e32 v140, 2, v12
	v_add_u32_e32 v141, v7, v15
	v_add_u32_e32 v142, v14, v15
	v_add_u32_e32 v143, v11, v15
	v_mov_b32_e32 v76, v79
	v_mov_b32_e32 v77, v79
	;; [unrolled: 1-line block ×26, first 2 shown]
	s_waitcnt lgkmcnt(0)
	s_barrier
.LBB72_6:                               ; =>This Inner Loop Header: Depth=1
	s_add_i32 s60, s59, 1
	s_cmp_lt_i32 s60, s45
	s_mov_b64 s[24:25], 0
	s_cselect_b64 s[2:3], -1, 0
	s_cmp_ge_i32 s60, s45
	s_mov_b64 s[20:21], 0
	s_cbranch_scc1 .LBB72_8
; %bb.7:                                ;   in Loop: Header=BB72_6 Depth=1
	s_add_i32 s0, s52, 64
	s_ashr_i32 s1, s0, 31
	s_add_u32 s0, s49, s0
	s_addc_u32 s1, s48, s1
	s_lshl_b64 s[0:1], s[0:1], 8
	s_add_u32 s20, s6, s0
	s_addc_u32 s21, s7, s1
.LBB72_8:                               ;   in Loop: Header=BB72_6 Depth=1
	v_cndmask_b32_e64 v2, 0, 1, s[2:3]
	v_cmp_ne_u32_e64 s[0:1], 1, v2
	s_andn2_b64 vcc, exec, s[2:3]
	s_cbranch_vccnz .LBB72_10
; %bb.9:                                ;   in Loop: Header=BB72_6 Depth=1
	s_add_i32 s2, s52, 64
	s_mul_hi_i32 s3, s2, s14
	s_mul_i32 s2, s2, s14
	s_add_u32 s2, s2, s50
	s_addc_u32 s3, s3, s54
	s_lshl_b64 s[2:3], s[2:3], 8
	s_add_u32 s24, s4, s2
	s_addc_u32 s25, s5, s3
.LBB72_10:                              ;   in Loop: Header=BB72_6 Depth=1
	v_perm_b32 v3, v77, v76, s17
	v_perm_b32 v2, v75, v74, s17
	v_perm_b32 v5, v73, v72, s17
	v_perm_b32 v4, v71, v70, s17
	ds_write_b64 v97, v[2:3]
	ds_write_b64 v98, v[4:5]
	ds_write_b64 v103, v[2:3]
	ds_write_b64 v104, v[4:5]
	v_perm_b32 v3, v69, v68, s17
	v_perm_b32 v2, v67, v66, s17
	v_perm_b32 v5, v65, v64, s17
	v_perm_b32 v4, v63, v62, s17
	ds_write_b64 v99, v[2:3]
	ds_write_b64 v100, v[4:5]
	ds_write_b64 v105, v[2:3]
	ds_write_b64 v106, v[4:5]
	;; [unrolled: 8-line block ×4, first 2 shown]
	s_waitcnt lgkmcnt(0)
	s_barrier
	ds_read_b64 v[6:7], v113 offset:49152
	ds_read2_b64 v[2:5], v114 offset1:16
	ds_read_b64 v[18:19], v116 offset:6144
	ds_read_b64 v[20:21], v114 offset:6144
	s_waitcnt lgkmcnt(2)
	v_mfma_f32_16x16x16_bf16 a[0:3], v[6:7], v[2:3], 0
	ds_read_b64 v[22:23], v115 offset:49152
	ds_read2st64_b64 v[10:13], v117 offset0:4 offset1:8
	ds_read2st64_b64 v[14:17], v118 offset0:4 offset1:8
	v_mfma_f32_16x16x16_bf16 a[4:7], v[6:7], v[4:5], 0
	ds_read2_b64 v[2:5], v114 offset0:32 offset1:48
	s_add_i32 s61, s52, 63
	s_ashr_i32 s2, s61, 31
	s_waitcnt lgkmcnt(0)
	v_mfma_f32_16x16x16_bf16 a[8:11], v[6:7], v[2:3], 0
	s_mul_i32 s3, s61, s29
	s_mul_hi_u32 s27, s61, s28
	s_add_i32 s3, s27, s3
	v_mfma_f32_16x16x16_bf16 a[12:15], v[6:7], v[4:5], 0
	ds_read2st64_b64 v[2:5], v114 offset0:4 offset1:8
	ds_read2st64_b64 v[6:9], v116 offset0:4 offset1:8
	s_mul_i32 s2, s2, s28
	s_waitcnt lgkmcnt(1)
	v_mfma_f32_16x16x16_bf16 a[0:3], v[22:23], v[2:3], a[0:3]
	s_add_i32 s3, s3, s2
	s_mul_i32 s2, s61, s28
	s_lshl_b64 s[2:3], s[2:3], 2
	s_waitcnt lgkmcnt(0)
	v_mfma_f32_16x16x16_bf16 a[4:7], v[22:23], v[6:7], a[4:7]
	s_add_u32 s2, s40, s2
	s_addc_u32 s3, s41, s3
	s_and_b64 vcc, exec, s[0:1]
	v_mfma_f32_16x16x16_bf16 a[8:11], v[22:23], v[10:11], a[8:11]
	ds_read_b64 v[2:3], v119 offset:49152
	ds_read_b64 v[6:7], v120 offset:49152
	;; [unrolled: 1-line block ×3, first 2 shown]
	v_mov_b32_e32 v147, 0
	v_mov_b32_e32 v146, 0
	v_mfma_f32_16x16x16_bf16 a[12:15], v[22:23], v[14:15], a[12:15]
	v_mov_b32_e32 v145, 0
	v_mov_b32_e32 v14, 0
	;; [unrolled: 1-line block ×3, first 2 shown]
	s_waitcnt lgkmcnt(2)
	v_mfma_f32_16x16x16_bf16 a[0:3], v[2:3], v[4:5], a[0:3]
	v_mov_b32_e32 v4, 0
	v_mov_b32_e32 v5, 0
	v_mfma_f32_16x16x16_bf16 a[16:19], v[2:3], v[8:9], a[4:7]
	v_mov_b32_e32 v8, 0
	v_mov_b32_e32 v9, 0
	;; [unrolled: 3-line block ×3, first 2 shown]
	v_mfma_f32_16x16x16_bf16 a[24:27], v[2:3], v[16:17], a[12:15]
	ds_read_b64 v[2:3], v117 offset:6144
	v_mov_b32_e32 v16, 0
	v_mov_b32_e32 v17, 0
	s_waitcnt lgkmcnt(2)
	v_mfma_f32_16x16x16_bf16 a[4:7], v[6:7], v[20:21], a[0:3]
	v_mfma_f32_16x16x16_bf16 a[8:11], v[6:7], v[18:19], a[16:19]
	s_waitcnt lgkmcnt(0)
	v_mfma_f32_16x16x16_bf16 a[12:15], v[6:7], v[2:3], a[20:23]
	v_mov_b32_e32 v2, 0
	v_mov_b32_e32 v3, 0
	v_mfma_f32_16x16x16_bf16 a[0:3], v[6:7], v[10:11], a[24:27]
	v_mov_b32_e32 v6, 0
	v_mov_b32_e32 v7, 0
	;; [unrolled: 1-line block ×4, first 2 shown]
	s_cbranch_vccnz .LBB72_12
; %bb.11:                               ;   in Loop: Header=BB72_6 Depth=1
	s_and_b32 s21, s21, 0xffff
	buffer_load_dwordx4 v[14:17], v93, s[20:23], 0 offen
	buffer_load_dwordx4 v[10:13], v93, s[20:23], s55 offen
	;; [unrolled: 1-line block ×4, first 2 shown]
	v_mov_b32_e32 v146, v95
	v_mov_b32_e32 v145, v96
.LBB72_12:                              ;   in Loop: Header=BB72_6 Depth=1
	ds_read_b64 v[34:35], v113 offset:57344
	ds_read2_b64 v[18:21], v121 offset1:16
	ds_read_b64 v[36:37], v115 offset:57344
	ds_read_b64 v[38:39], v119 offset:57344
	;; [unrolled: 1-line block ×3, first 2 shown]
	v_add_u32_e32 v42, s52, v134
	s_waitcnt lgkmcnt(3)
	v_mfma_f32_16x16x16_bf16 a[4:7], v[34:35], v[18:19], a[4:7]
	v_mfma_f32_16x16x16_bf16 a[8:11], v[34:35], v[20:21], a[8:11]
	ds_read2_b64 v[18:21], v121 offset0:32 offset1:48
	ds_read2st64_b64 v[22:25], v121 offset0:4 offset1:8
	ds_read2st64_b64 v[26:29], v122 offset0:4 offset1:8
	;; [unrolled: 1-line block ×3, first 2 shown]
	s_waitcnt lgkmcnt(3)
	v_mfma_f32_16x16x16_bf16 a[12:15], v[34:35], v[18:19], a[12:15]
	v_ashrrev_i32_e32 v18, 31, v42
	v_mfma_f32_16x16x16_bf16 a[0:3], v[34:35], v[20:21], a[0:3]
	v_mul_lo_u32 v20, v18, s28
	v_mul_lo_u32 v21, v42, s29
	v_mad_u64_u32 v[18:19], s[20:21], v42, s28, 0
	v_add3_u32 v19, v19, v21, v20
	v_add_u32_e32 v20, 1, v42
	v_ashrrev_i32_e32 v21, 31, v20
	s_waitcnt lgkmcnt(2)
	v_mfma_f32_16x16x16_bf16 a[4:7], v[36:37], v[22:23], a[4:7]
	v_mul_lo_u32 v22, v21, s28
	v_mul_lo_u32 v23, v20, s29
	v_mad_u64_u32 v[20:21], s[20:21], v20, s28, 0
	v_add3_u32 v21, v21, v23, v22
	v_add_u32_e32 v22, 2, v42
	v_ashrrev_i32_e32 v23, 31, v22
	s_waitcnt lgkmcnt(1)
	v_mfma_f32_16x16x16_bf16 a[8:11], v[36:37], v[26:27], a[8:11]
	v_mul_lo_u32 v26, v23, s28
	v_mul_lo_u32 v27, v22, s29
	v_mad_u64_u32 v[22:23], s[20:21], v22, s28, 0
	v_add3_u32 v23, v23, v27, v26
	v_add_u32_e32 v26, 3, v42
	v_ashrrev_i32_e32 v27, 31, v26
	v_mul_lo_u32 v34, v27, s28
	v_mul_lo_u32 v35, v26, s29
	v_mad_u64_u32 v[26:27], s[20:21], v26, s28, 0
	s_ashr_i32 s21, s52, 31
	s_add_u32 s20, s49, s52
	v_lshl_add_u64 v[18:19], v[18:19], 2, s[40:41]
	v_add3_u32 v27, v27, v35, v34
	s_addc_u32 s21, s48, s21
	v_lshl_add_u64 v[20:21], v[20:21], 2, s[40:41]
	global_load_dword v42, v[18:19], off
	v_lshl_add_u64 v[18:19], v[26:27], 2, s[40:41]
	s_lshl_b64 s[20:21], s[20:21], 8
	v_lshl_add_u64 v[22:23], v[22:23], 2, s[40:41]
	global_load_dword v34, v[20:21], off
	global_load_dword v35, v[22:23], off
	global_load_dword v43, v[18:19], off
	v_lshl_add_u64 v[18:19], v[80:81], 0, s[20:21]
	v_lshl_add_u64 v[22:23], v[18:19], 0, v[78:79]
	global_load_ushort v44, v[22:23], off offset:256
	global_load_ushort v148, v[22:23], off
	ds_read2st64_b64 v[18:21], v124 offset0:4 offset1:8
	global_load_ushort v149, v[22:23], off offset:768
	global_load_ushort v150, v[22:23], off offset:512
	s_waitcnt lgkmcnt(1)
	v_mfma_f32_16x16x16_bf16 a[12:15], v[36:37], v[30:31], a[12:15]
	s_and_b64 vcc, exec, s[0:1]
	s_waitcnt vmcnt(3)
	v_lshlrev_b32_e32 v31, 16, v44
	s_waitcnt lgkmcnt(0)
	v_mfma_f32_16x16x16_bf16 a[0:3], v[36:37], v[18:19], a[0:3]
	global_load_ushort v36, v[22:23], off offset:288
	global_load_ushort v37, v[22:23], off offset:32
	;; [unrolled: 1-line block ×8, first 2 shown]
	v_mfma_f32_16x16x16_bf16 a[4:7], v[38:39], v[24:25], a[4:7]
	ds_read_b64 v[18:19], v121 offset:6144
	s_waitcnt vmcnt(10)
	v_lshlrev_b32_e32 v30, 16, v148
	v_mov_b32_e32 v148, 0
	v_mfma_f32_16x16x16_bf16 a[8:11], v[38:39], v[28:29], a[8:11]
	v_mfma_f32_16x16x16_bf16 a[12:15], v[38:39], v[32:33], a[12:15]
	;; [unrolled: 1-line block ×3, first 2 shown]
	global_load_ushort v38, v[22:23], off offset:352
	global_load_ushort v39, v[22:23], off offset:96
	ds_read_b64 v[20:21], v122 offset:6144
	ds_read_b64 v[24:25], v123 offset:6144
	;; [unrolled: 1-line block ×3, first 2 shown]
	global_load_ushort v157, v[22:23], off offset:864
	global_load_ushort v158, v[22:23], off offset:608
	s_load_dword s2, s[2:3], 0x0
	s_waitcnt lgkmcnt(0)
	v_mfma_f32_16x16x16_bf16 a[4:7], v[40:41], v[18:19], a[4:7]
	v_sub_f32_e32 v28, s2, v35
	v_mfma_f32_16x16x16_bf16 a[0:3], v[40:41], v[26:27], a[0:3]
	v_sub_f32_e32 v26, s2, v42
	v_sub_f32_e32 v27, s2, v34
	;; [unrolled: 1-line block ×3, first 2 shown]
	v_mul_f32_e32 v26, 0x3fb8aa3b, v26
	v_mul_f32_e32 v27, 0x3fb8aa3b, v27
	;; [unrolled: 1-line block ×4, first 2 shown]
	v_mfma_f32_16x16x16_bf16 a[8:11], v[40:41], v[20:21], a[8:11]
	v_exp_f32_e32 v26, v26
	v_exp_f32_e32 v27, v27
	;; [unrolled: 1-line block ×4, first 2 shown]
	v_accvgpr_read_b32 v33, a5
	v_accvgpr_read_b32 v32, a4
	v_accvgpr_read_b32 v19, a7
	v_accvgpr_read_b32 v18, a6
	v_pk_add_f32 v[30:31], v[30:31], v[32:33] neg_lo:[0,1] neg_hi:[0,1]
	s_waitcnt vmcnt(13)
	v_lshlrev_b32_e32 v33, 16, v149
	s_waitcnt vmcnt(12)
	v_lshlrev_b32_e32 v32, 16, v150
	v_pk_add_f32 v[18:19], v[32:33], v[18:19] neg_lo:[0,1] neg_hi:[0,1]
	v_pk_mul_f32 v[30:31], v[26:27], v[30:31]
	v_pk_mul_f32 v[18:19], v[28:29], v[18:19]
	v_accvgpr_read_b32 v33, a9
	v_perm_b32 v19, v19, v18, s17
	v_perm_b32 v18, v31, v30, s17
	v_accvgpr_read_b32 v32, a8
	v_accvgpr_read_b32 v21, a11
	v_mfma_f32_16x16x16_bf16 a[12:15], v[40:41], v[24:25], a[12:15]
	v_accvgpr_read_b32 v20, a10
	v_accvgpr_read_b32 v25, a3
	;; [unrolled: 1-line block ×3, first 2 shown]
	s_waitcnt vmcnt(11)
	v_lshlrev_b32_e32 v31, 16, v36
	s_waitcnt vmcnt(10)
	v_lshlrev_b32_e32 v30, 16, v37
	v_pk_add_f32 v[30:31], v[30:31], v[32:33] neg_lo:[0,1] neg_hi:[0,1]
	s_waitcnt vmcnt(9)
	v_lshlrev_b32_e32 v33, 16, v151
	s_waitcnt vmcnt(8)
	v_lshlrev_b32_e32 v32, 16, v152
	v_pk_add_f32 v[20:21], v[32:33], v[20:21] neg_lo:[0,1] neg_hi:[0,1]
	v_pk_mul_f32 v[30:31], v[26:27], v[30:31]
	v_pk_mul_f32 v[20:21], v[28:29], v[20:21]
	v_accvgpr_read_b32 v23, a15
	v_perm_b32 v21, v21, v20, s17
	v_perm_b32 v20, v31, v30, s17
	ds_write2_b64 v98, v[18:19], v[20:21] offset1:16
	v_accvgpr_read_b32 v21, a13
	s_waitcnt vmcnt(7)
	v_lshlrev_b32_e32 v19, 16, v153
	s_waitcnt vmcnt(6)
	v_lshlrev_b32_e32 v18, 16, v154
	v_accvgpr_read_b32 v20, a12
	v_accvgpr_read_b32 v22, a14
	v_pk_add_f32 v[18:19], v[18:19], v[20:21] neg_lo:[0,1] neg_hi:[0,1]
	s_waitcnt vmcnt(5)
	v_lshlrev_b32_e32 v21, 16, v155
	s_waitcnt vmcnt(4)
	v_lshlrev_b32_e32 v20, 16, v156
	v_pk_add_f32 v[20:21], v[20:21], v[22:23] neg_lo:[0,1] neg_hi:[0,1]
	v_pk_mul_f32 v[18:19], v[26:27], v[18:19]
	v_pk_mul_f32 v[20:21], v[28:29], v[20:21]
	v_accvgpr_read_b32 v23, a1
	v_perm_b32 v21, v21, v20, s17
	v_perm_b32 v20, v19, v18, s17
	s_waitcnt vmcnt(3)
	v_lshlrev_b32_e32 v19, 16, v38
	s_waitcnt vmcnt(2)
	v_lshlrev_b32_e32 v18, 16, v39
	v_accvgpr_read_b32 v22, a0
	v_pk_add_f32 v[18:19], v[18:19], v[22:23] neg_lo:[0,1] neg_hi:[0,1]
	s_waitcnt vmcnt(1)
	v_lshlrev_b32_e32 v23, 16, v157
	s_waitcnt vmcnt(0)
	v_lshlrev_b32_e32 v22, 16, v158
	v_pk_add_f32 v[22:23], v[22:23], v[24:25] neg_lo:[0,1] neg_hi:[0,1]
	v_pk_mul_f32 v[18:19], v[26:27], v[18:19]
	v_pk_mul_f32 v[22:23], v[28:29], v[22:23]
	v_mov_b32_e32 v24, 0
	v_perm_b32 v23, v23, v22, s17
	v_perm_b32 v22, v19, v18, s17
	ds_write2_b64 v98, v[20:21], v[22:23] offset0:32 offset1:48
	v_mov_b32_e32 v18, 0
	v_mov_b32_e32 v19, 0
	;; [unrolled: 1-line block ×15, first 2 shown]
	s_cbranch_vccnz .LBB72_14
; %bb.13:                               ;   in Loop: Header=BB72_6 Depth=1
	s_and_b32 s25, s25, 0xffff
	s_mov_b32 s27, s23
	buffer_load_dwordx4 v[30:33], v131, s[24:27], 0 offen
	buffer_load_dwordx4 v[22:25], v131, s[24:27], s55 offen
	;; [unrolled: 1-line block ×4, first 2 shown]
	v_mov_b32_e32 v147, v92
	v_mov_b32_e32 v148, v91
.LBB72_14:                              ;   in Loop: Header=BB72_6 Depth=1
	s_waitcnt lgkmcnt(0)
	s_barrier
	ds_read_b64 v[42:43], v136
	ds_read2_b64 v[34:37], v127 offset1:16
	ds_read_b64 v[166:167], v137
	ds_read_b64 v[168:169], v138
	;; [unrolled: 1-line block ×3, first 2 shown]
	ds_read2_b64 v[38:41], v127 offset0:32 offset1:48
	ds_read2st64_b64 v[150:153], v127 offset0:4 offset1:8
	ds_read2st64_b64 v[154:157], v128 offset0:4 offset1:8
	;; [unrolled: 1-line block ×4, first 2 shown]
	s_waitcnt lgkmcnt(8)
	v_mfma_f32_16x16x16_bf16 a[0:3], v[42:43], v[34:35], 0
	s_add_i32 s3, s46, s59
	s_mul_hi_i32 s21, s3, s51
	s_mul_i32 s3, s3, s51
	v_mfma_f32_16x16x16_bf16 a[4:7], v[42:43], v[36:37], 0
	s_add_u32 s20, s3, s33
	s_addc_u32 s21, s21, s53
	s_lshl_b64 s[20:21], s[20:21], 15
	s_waitcnt lgkmcnt(4)
	v_mfma_f32_16x16x16_bf16 a[8:11], v[42:43], v[38:39], 0
	s_mul_i32 s24, s61, s51
	s_mul_hi_i32 s3, s61, s51
	s_add_u32 s24, s24, s33
	v_mfma_f32_16x16x16_bf16 a[12:15], v[42:43], v[40:41], 0
	ds_read_b64 v[42:43], v127 offset:6144
	ds_read_b64 v[178:179], v128 offset:6144
	ds_read_b64 v[180:181], v129 offset:6144
	ds_read_b64 v[182:183], v130 offset:6144
	s_addc_u32 s25, s3, s53
	s_waitcnt lgkmcnt(7)
	v_mfma_f32_16x16x16_bf16 a[0:3], v[166:167], v[150:151], a[0:3]
	s_lshl_b64 s[24:25], s[24:25], 9
	s_add_u32 s24, s38, s24
	s_addc_u32 s25, s39, s25
	s_waitcnt lgkmcnt(6)
	v_mfma_f32_16x16x16_bf16 a[4:7], v[166:167], v[154:155], a[4:7]
	v_lshl_add_u64 v[188:189], v[82:83], 0, s[20:21]
	s_waitcnt lgkmcnt(5)
	v_mfma_f32_16x16x16_bf16 a[8:11], v[166:167], v[158:159], a[8:11]
	s_waitcnt lgkmcnt(4)
	v_mfma_f32_16x16x16_bf16 a[12:15], v[166:167], v[162:163], a[12:15]
	ds_read_b64 v[166:167], v141
	ds_read_b64 v[176:177], v142
	;; [unrolled: 1-line block ×3, first 2 shown]
	s_waitcnt lgkmcnt(2)
	v_mfma_f32_16x16x16_bf16 a[16:19], v[166:167], v[34:35], 0
	v_mfma_f32_16x16x16_bf16 a[20:23], v[166:167], v[36:37], 0
	global_load_dwordx4 v[34:37], v140, s[24:25]
	v_mfma_f32_16x16x16_bf16 a[24:27], v[166:167], v[38:39], 0
	v_mfma_f32_16x16x16_bf16 a[28:31], v[166:167], v[40:41], 0
	global_load_dwordx4 v[38:41], v135, s[24:25]
	v_mfma_f32_16x16x16_bf16 a[0:3], v[168:169], v[152:153], a[0:3]
	v_mfma_f32_16x16x16_bf16 a[4:7], v[168:169], v[156:157], a[4:7]
	;; [unrolled: 1-line block ×8, first 2 shown]
	ds_read2st64_b64 v[166:169], v125 offset1:8
	ds_read2st64_b64 v[170:173], v126 offset1:8
	ds_read_b64 v[186:187], v133 offset:40960
	s_waitcnt lgkmcnt(2)
	v_mov_b32_e32 v174, v166
	v_mfma_f32_16x16x16_bf16 a[16:19], v[176:177], v[150:151], a[16:19]
	v_mov_b32_e32 v175, v167
	v_mfma_f32_16x16x16_bf16 a[20:23], v[176:177], v[154:155], a[20:23]
	v_mfma_f32_16x16x16_bf16 a[24:27], v[176:177], v[158:159], a[24:27]
	;; [unrolled: 1-line block ×3, first 2 shown]
	v_add_co_u32_e32 v162, vcc, s31, v188
	s_waitcnt lgkmcnt(1)
	v_mov_b32_e32 v176, v170
	s_waitcnt lgkmcnt(0)
	v_mfma_f32_16x16x16_bf16 a[16:19], v[186:187], v[152:153], a[16:19]
	ds_read2st64_b64 v[150:153], v125 offset0:16 offset1:24
	v_addc_co_u32_e32 v163, vcc, 0, v189, vcc
	v_mfma_f32_16x16x16_bf16 a[20:23], v[186:187], v[156:157], a[20:23]
	ds_read2st64_b64 v[154:157], v126 offset0:16 offset1:24
	v_mov_b32_e32 v177, v171
	v_mov_b32_e32 v170, v168
	v_mfma_f32_16x16x16_bf16 a[32:35], v[186:187], v[160:161], a[24:27]
	v_mov_b32_e32 v171, v169
	s_waitcnt lgkmcnt(0)
	v_mov_b32_e32 v160, v154
	v_mov_b32_e32 v161, v155
	v_mfma_f32_16x16x16_bf16 a[36:39], v[186:187], v[164:165], a[28:31]
	v_mov_b32_e32 v154, v152
	v_mov_b32_e32 v155, v153
	;; [unrolled: 1-line block ×3, first 2 shown]
	v_mfma_f32_16x16x16_bf16 a[24:27], v[184:185], v[42:43], a[16:19]
	v_add_co_u32_e32 v42, vcc, s58, v188
	v_mov_b32_e32 v159, v151
	v_mfma_f32_16x16x16_bf16 a[28:31], v[184:185], v[178:179], a[20:23]
	v_addc_co_u32_e32 v43, vcc, 0, v189, vcc
	global_store_dwordx4 v[42:43], v[154:157], off
	v_mfma_f32_16x16x16_bf16 a[16:19], v[184:185], v[180:181], a[32:35]
	s_waitcnt vmcnt(2)
	v_mov_b32_e32 v44, v37
	v_mov_b32_e32 v43, v36
	;; [unrolled: 1-line block ×3, first 2 shown]
	v_mfma_f32_16x16x16_bf16 a[20:23], v[184:185], v[182:183], a[36:39]
	s_and_b64 vcc, exec, s[0:1]
	global_store_dwordx4 v[188:189], v[174:177], off
	global_store_dwordx4 v[162:163], v[170:173], off offset:-4096
	global_store_dwordx4 v[162:163], v[158:161], off
	s_cbranch_vccnz .LBB72_16
; %bb.15:                               ;   in Loop: Header=BB72_6 Depth=1
	v_lshrrev_b32_e32 v35, 3, v147
	v_and_b32_e32 v35, 6, v35
	v_xor_b32_e32 v36, v35, v148
	v_lshlrev_b32_e32 v36, 2, v36
	v_and_b32_e32 v37, 8, v147
	v_xor_b32_e32 v147, 0x440, v36
	v_cmp_eq_u32_e32 vcc, 0, v37
	v_perm_b32 v37, v22, v18, s56
	s_nop 0
	v_cndmask_b32_e32 v36, v147, v36, vcc
	v_lshl_or_b32 v35, v35, 10, v36
	v_perm_b32 v36, v30, v26, s56
	s_barrier
	ds_write2st64_b32 v35, v36, v37 offset0:128 offset1:160
	v_xor_b32_e32 v36, 8, v35
	v_perm_b32 v26, v30, v26, s57
	v_perm_b32 v18, v22, v18, s57
	v_add_u32_e32 v22, 0x80, v36
	ds_write2st64_b32 v22, v26, v18 offset0:128 offset1:160
	v_xor_b32_e32 v18, 16, v35
	v_perm_b32 v22, v31, v27, s56
	v_perm_b32 v26, v23, v19, s56
	ds_write2st64_b32 v18, v22, v26 offset0:129 offset1:161
	v_xor_b32_e32 v18, 24, v35
	v_perm_b32 v22, v31, v27, s57
	v_perm_b32 v19, v23, v19, s57
	v_add_u32_e32 v18, 0x80, v18
	ds_write2st64_b32 v18, v22, v19 offset0:129 offset1:161
	v_xor_b32_e32 v18, 32, v35
	v_perm_b32 v19, v32, v28, s56
	v_perm_b32 v22, v24, v20, s56
	;; [unrolled: 9-line block ×3, first 2 shown]
	ds_write2st64_b32 v18, v19, v20 offset0:131 offset1:163
	v_xor_b32_e32 v18, 56, v35
	v_perm_b32 v19, v33, v29, s57
	v_perm_b32 v20, v25, v21, s57
	v_add_u32_e32 v18, 0x80, v18
	ds_write2st64_b32 v18, v19, v20 offset0:131 offset1:163
	ds_write_b64 v146, v[14:15] offset:49152
	v_xor_b32_e32 v14, 8, v146
	ds_write_b64 v14, v[16:17] offset:49152
	ds_write_b64 v146, v[10:11] offset:57344
	ds_write_b64 v14, v[12:13] offset:57344
	ds_write_b64 v145, v[6:7] offset:49152
	v_xor_b32_e32 v6, 8, v145
	ds_write_b64 v6, v[8:9] offset:49152
	ds_write_b64 v145, v[2:3] offset:57344
	;; [unrolled: 1-line block ×3, first 2 shown]
.LBB72_16:                              ;   in Loop: Header=BB72_6 Depth=1
	v_mul_f32_e32 v26, s2, v144
	v_exp_f32_e32 v36, v26
	s_waitcnt vmcnt(4)
	v_mul_f32_e32 v26, 0x3fb8aa3b, v38
	v_exp_f32_e32 v38, v26
	v_mul_f32_e32 v26, 0x3fb8aa3b, v39
	v_exp_f32_e32 v39, v26
	;; [unrolled: 2-line block ×4, first 2 shown]
	v_accvgpr_read_b32 v5, a3
	v_accvgpr_read_b32 v4, a2
	;; [unrolled: 1-line block ×4, first 2 shown]
	v_pk_mul_f32 v[38:39], v[36:37], v[38:39] op_sel_hi:[0,1]
	v_pk_mul_f32 v[40:41], v[36:37], v[40:41] op_sel_hi:[0,1]
	v_pk_fma_f32 v[74:75], v[74:75], v[38:39], v[2:3]
	v_pk_fma_f32 v[76:77], v[76:77], v[40:41], v[4:5]
	v_mul_f32_e32 v2, 0x3fb8aa3b, v34
	v_mul_f32_e32 v3, 0x3fb8aa3b, v42
	;; [unrolled: 1-line block ×4, first 2 shown]
	v_exp_f32_e32 v2, v2
	v_exp_f32_e32 v3, v3
	;; [unrolled: 1-line block ×4, first 2 shown]
	v_accvgpr_read_b32 v9, a7
	v_accvgpr_read_b32 v13, a11
	;; [unrolled: 1-line block ×28, first 2 shown]
	v_pk_mul_f32 v[2:3], v[36:37], v[2:3] op_sel_hi:[0,1]
	v_pk_mul_f32 v[4:5], v[36:37], v[4:5] op_sel_hi:[0,1]
	s_add_i32 s52, s52, 64
	v_pk_fma_f32 v[66:67], v[38:39], v[66:67], v[6:7]
	v_pk_fma_f32 v[68:69], v[40:41], v[68:69], v[8:9]
	;; [unrolled: 1-line block ×13, first 2 shown]
	s_cmp_eq_u32 s45, s60
	v_pk_fma_f32 v[50:51], v[4:5], v[50:51], v[32:33]
	s_cbranch_scc1 .LBB72_18
; %bb.17:                               ;   in Loop: Header=BB72_6 Depth=1
	s_mov_b32 s59, s60
	s_branch .LBB72_6
.LBB72_18:
	s_lshl_b32 s0, s45, 6
	s_sub_i32 s40, s47, s0
	s_cmp_gt_i32 s40, 0
	s_cbranch_scc0 .LBB72_99
; %bb.19:
	s_add_i32 s34, s0, s34
	s_ashr_i32 s2, s34, 31
	s_cmpk_lg_i32 s15, 0x80
	s_cselect_b64 s[26:27], -1, 0
	s_and_b64 vcc, exec, s[26:27]
	s_cbranch_vccz .LBB72_21
; %bb.20:
	s_mul_i32 s1, s34, s14
	s_ashr_i32 s3, s50, 31
	s_mul_hi_i32 s0, s34, s14
	s_add_u32 s38, s1, s50
	s_addc_u32 s39, s0, s3
	s_cbranch_execz .LBB72_22
	s_branch .LBB72_23
.LBB72_21:
                                        ; implicit-def: $sgpr38_sgpr39
.LBB72_22:
	s_mul_i32 s1, s50, s12
	s_mul_hi_i32 s0, s50, s12
	s_add_u32 s38, s1, s34
	s_addc_u32 s39, s0, s2
.LBB72_23:
	s_add_i32 s3, s45, s46
	s_ashr_i32 s12, s33, 31
	s_add_u32 s0, s49, s34
	v_lshlrev_b32_e32 v6, 6, v89
	v_lshlrev_b32_e32 v24, 2, v45
	s_addc_u32 s1, s48, s2
	s_mov_b32 s2, 0x7060302
	v_or_b32_e32 v9, v6, v24
	v_xor_b32_e32 v7, v89, v24
	v_perm_b32 v3, v77, v76, s2
	v_perm_b32 v2, v75, v74, s2
	;; [unrolled: 1-line block ×4, first 2 shown]
	v_lshlrev_b32_e32 v9, 1, v9
	v_xor_b32_e32 v8, v90, v24
	ds_write2st64_b64 v9, v[2:3], v[4:5] offset0:32 offset1:48
	v_lshlrev_b32_e32 v7, 1, v7
	v_lshlrev_b32_e32 v9, 8, v45
	v_or_b32_e32 v10, v7, v9
	v_lshlrev_b32_e32 v8, 1, v8
	ds_write_b64 v10, v[2:3]
	v_or_b32_e32 v2, v8, v9
	v_or_b32_e32 v9, 16, v45
	v_lshlrev_b32_e32 v23, 2, v9
	v_or_b32_e32 v10, v6, v23
	ds_write_b64 v2, v[4:5]
	v_perm_b32 v3, v69, v68, s2
	v_perm_b32 v2, v67, v66, s2
	;; [unrolled: 1-line block ×4, first 2 shown]
	v_lshlrev_b32_e32 v10, 1, v10
	v_lshlrev_b32_e32 v9, 8, v9
	ds_write2st64_b64 v10, v[2:3], v[4:5] offset0:32 offset1:48
	v_or_b32_e32 v10, v7, v9
	ds_write_b64 v10, v[2:3]
	v_or_b32_e32 v2, v8, v9
	v_or_b32_e32 v9, 32, v45
	v_lshlrev_b32_e32 v22, 2, v9
	v_or_b32_e32 v10, v6, v22
	s_lshl_b64 s[24:25], s[0:1], 8
	ds_write_b64 v2, v[4:5]
	v_perm_b32 v3, v61, v60, s2
	v_perm_b32 v2, v59, v58, s2
	;; [unrolled: 1-line block ×4, first 2 shown]
	v_lshlrev_b32_e32 v10, 1, v10
	v_lshlrev_b32_e32 v9, 8, v9
	s_add_u32 s0, s6, s24
	ds_write2st64_b64 v10, v[2:3], v[4:5] offset0:32 offset1:48
	v_or_b32_e32 v10, v7, v9
	s_addc_u32 s1, s7, s25
	ds_write_b64 v10, v[2:3]
	v_or_b32_e32 v2, v8, v9
	v_or_b32_e32 v9, 48, v45
	s_mul_hi_i32 s6, s3, s13
	s_mul_i32 s3, s3, s13
	ds_write_b64 v2, v[4:5]
	v_perm_b32 v3, v47, v46, s2
	v_perm_b32 v2, v53, v52, s2
	;; [unrolled: 1-line block ×4, first 2 shown]
	v_lshlrev_b32_e32 v19, 2, v9
	s_add_u32 s2, s3, s33
	v_or_b32_e32 v6, v6, v19
	s_addc_u32 s3, s6, s12
	v_lshlrev_b32_e32 v6, 1, v6
	s_ashr_i32 s31, s30, 31
	s_lshl_b64 s[2:3], s[2:3], 15
	ds_write2st64_b64 v6, v[2:3], v[4:5] offset0:32 offset1:48
	v_lshlrev_b32_e32 v6, 8, v9
	s_add_u32 s6, s36, s2
	v_or_b32_e32 v7, v7, v6
	s_addc_u32 s7, s37, s3
	s_lshl_b64 s[2:3], s[30:31], 8
	ds_write_b64 v7, v[2:3]
	v_or_b32_e32 v2, v8, v6
	s_add_u32 s2, s6, s2
	v_lshlrev_b32_e32 v3, 1, v45
	ds_write_b64 v2, v[4:5]
	v_lshrrev_b32_e32 v2, 4, v0
	s_addc_u32 s3, s7, s3
	v_or_b32_e32 v4, 1, v3
	v_lshlrev_b32_e32 v10, 4, v45
	v_mov_b32_e32 v11, 0
	v_xor_b32_e32 v3, v2, v3
	v_xor_b32_e32 v6, v4, v2
	v_lshl_add_u64 v[12:13], s[2:3], 0, v[10:11]
	v_lshlrev_b32_e32 v10, 8, v2
	v_lshl_or_b32 v16, v3, 3, v10
	v_lshl_or_b32 v17, v6, 3, v10
	s_waitcnt lgkmcnt(0)
	s_barrier
	ds_read2st64_b64 v[2:5], v16 offset1:8
	ds_read2st64_b64 v[6:9], v17 offset1:8
	v_lshl_add_u64 v[14:15], v[12:13], 0, v[10:11]
	s_movk_i32 s2, 0x2000
	s_cmp_lg_u32 s40, 64
	s_waitcnt lgkmcnt(1)
	v_mov_b32_e32 v10, v2
	v_mov_b32_e32 v11, v3
	s_waitcnt lgkmcnt(0)
	v_mov_b32_e32 v12, v6
	v_mov_b32_e32 v13, v7
	global_store_dwordx4 v[14:15], v[10:13], off
	v_mov_b32_e32 v6, v4
	v_mov_b32_e32 v7, v5
	ds_read2st64_b64 v[2:5], v16 offset0:16 offset1:24
	ds_read2st64_b64 v[10:13], v17 offset0:16 offset1:24
	v_add_co_u32_e32 v16, vcc, s2, v14
	s_cselect_b64 s[6:7], -1, 0
	s_nop 0
	v_addc_co_u32_e32 v17, vcc, 0, v15, vcc
	global_store_dwordx4 v[16:17], v[6:9], off offset:-4096
	v_lshl_or_b32 v25, v85, 3, v88
	s_mov_b32 s20, 0
	s_waitcnt lgkmcnt(1)
	v_mov_b32_e32 v6, v2
	v_add_co_u32_e32 v2, vcc, 0x3000, v14
	v_mov_b32_e32 v7, v3
	s_nop 0
	v_addc_co_u32_e32 v3, vcc, 0, v15, vcc
	s_waitcnt lgkmcnt(0)
	v_mov_b32_e32 v8, v10
	v_mov_b32_e32 v9, v11
	;; [unrolled: 1-line block ×4, first 2 shown]
	v_or_b32_e32 v20, 32, v25
	v_and_b32_e32 v18, 56, v87
	s_and_b64 vcc, exec, s[6:7]
	global_store_dwordx4 v[16:17], v[6:9], off
	global_store_dwordx4 v[2:3], v[10:13], off
	s_cbranch_vccz .LBB72_29
; %bb.24:
	s_mov_b32 s21, s20
	s_mov_b32 s22, s20
	;; [unrolled: 1-line block ×3, first 2 shown]
	v_mov_b64_e32 v[6:7], s[20:21]
	v_mov_b64_e32 v[8:9], s[22:23]
	;; [unrolled: 1-line block ×3, first 2 shown]
	v_cmp_gt_i32_e32 vcc, s40, v25
	v_mov_b64_e32 v[4:5], v[8:9]
	s_and_saveexec_b64 s[2:3], vcc
	s_cbranch_execz .LBB72_26
; %bb.25:
	v_lshlrev_b32_e32 v2, 8, v25
	v_mov_b32_e32 v3, 0
	v_lshl_add_u64 v[4:5], s[0:1], 0, v[2:3]
	v_lshlrev_b32_e32 v2, 1, v18
	v_lshl_add_u64 v[10:11], v[4:5], 0, v[2:3]
	global_load_dwordx4 v[6:9], v[10:11], off
	global_load_dwordx4 v[2:5], v[10:11], off offset:128
.LBB72_26:
	s_or_b64 exec, exec, s[2:3]
	s_mov_b32 s21, s20
	s_mov_b32 s22, s20
	;; [unrolled: 1-line block ×3, first 2 shown]
	v_mov_b64_e32 v[14:15], s[20:21]
	v_mov_b64_e32 v[16:17], s[22:23]
	v_mov_b64_e32 v[10:11], v[14:15]
	v_cmp_gt_i32_e32 vcc, s40, v20
	v_lshlrev_b32_e32 v21, 7, v20
	v_mov_b64_e32 v[12:13], v[16:17]
	s_and_saveexec_b64 s[2:3], vcc
	s_cbranch_execz .LBB72_28
; %bb.27:
	v_lshlrev_b32_e32 v10, 1, v21
	v_mov_b32_e32 v11, 0
	v_lshl_add_u64 v[12:13], s[0:1], 0, v[10:11]
	v_lshlrev_b32_e32 v10, 1, v18
	v_lshl_add_u64 v[26:27], v[12:13], 0, v[10:11]
	global_load_dwordx4 v[14:17], v[26:27], off
	global_load_dwordx4 v[10:13], v[26:27], off offset:128
.LBB72_28:
	s_or_b64 exec, exec, s[2:3]
	v_lshrrev_b32_e32 v26, 3, v18
	v_lshlrev_b32_e32 v27, 3, v25
	v_or_b32_e32 v26, v27, v26
	v_lshlrev_b32_e32 v26, 4, v26
	v_and_b32_e32 v27, 0x78, v27
	v_xor_b32_e32 v26, v26, v27
	s_branch .LBB72_31
.LBB72_29:
                                        ; implicit-def: $vgpr26
                                        ; implicit-def: $vgpr21
                                        ; implicit-def: $vgpr6_vgpr7_vgpr8_vgpr9
                                        ; implicit-def: $vgpr2_vgpr3_vgpr4_vgpr5
                                        ; implicit-def: $vgpr14_vgpr15_vgpr16_vgpr17
                                        ; implicit-def: $vgpr10_vgpr11_vgpr12_vgpr13
	s_cbranch_execz .LBB72_31
; %bb.30:
	s_waitcnt vmcnt(0)
	v_lshlrev_b32_e32 v2, 1, v18
	v_lshl_or_b32 v21, v25, 8, v2
	s_and_b32 s1, s1, 0xffff
	s_mov_b32 s3, 0x20000
	s_movk_i32 s2, 0x4000
	v_lshl_or_b32 v26, v20, 8, v2
	s_movk_i32 s13, 0x80
	buffer_load_dwordx4 v[6:9], v21, s[0:3], 0 offen
	buffer_load_dwordx4 v[2:5], v21, s[0:3], s13 offen
	buffer_load_dwordx4 v[14:17], v26, s[0:3], 0 offen
	buffer_load_dwordx4 v[10:13], v26, s[0:3], s13 offen
	v_lshrrev_b32_e32 v21, 3, v18
	v_lshlrev_b32_e32 v26, 3, v25
	v_or_b32_e32 v21, v26, v21
	v_lshlrev_b32_e32 v21, 4, v21
	v_and_b32_e32 v26, 0x78, v26
	v_xor_b32_e32 v26, v21, v26
	v_lshlrev_b32_e32 v21, 7, v20
.LBB72_31:
	s_movk_i32 s0, 0x1000
	v_and_or_b32 v20, v21, s0, v26
	s_waitcnt vmcnt(1)
	ds_write_b64 v26, v[6:7] offset:49152
	v_xor_b32_e32 v6, 8, v26
	ds_write_b64 v6, v[8:9] offset:49152
	s_waitcnt vmcnt(0)
	ds_write_b64 v26, v[2:3] offset:57344
	ds_write_b64 v6, v[4:5] offset:57344
	;; [unrolled: 1-line block ×3, first 2 shown]
	v_xor_b32_e32 v2, 8, v20
	ds_write_b64 v2, v[16:17] offset:49152
	ds_write_b64 v20, v[10:11] offset:57344
	;; [unrolled: 1-line block ×3, first 2 shown]
	v_or_b32_e32 v2, v1, v45
	v_lshlrev_b32_e32 v3, 11, v85
	v_lshlrev_b32_e32 v2, 3, v2
	v_and_b32_e32 v6, 0x1000, v3
	v_lshrrev_b32_e32 v3, 5, v84
	s_movk_i32 s0, 0xf8
	v_and_or_b32 v3, v2, s0, v3
	v_lshlrev_b32_e32 v7, 4, v3
	v_and_b32_e32 v8, 0x78, v2
	v_or_b32_e32 v10, 32, v7
	v_lshrrev_b32_e32 v3, 1, v84
	v_xor_b32_e32 v10, v10, v8
	v_xor_b32_e32 v2, v7, v8
	v_and_b32_e32 v9, 8, v3
	v_or_b32_e32 v10, v10, v6
	v_or_b32_e32 v2, v2, v6
	v_xor_b32_e32 v28, v10, v9
	v_or_b32_e32 v10, 64, v7
	v_xor_b32_e32 v27, v2, v9
	v_xor_b32_e32 v10, v10, v8
	s_waitcnt lgkmcnt(0)
	s_barrier
	v_or_b32_e32 v13, v10, v6
	ds_read_b64 v[10:11], v27 offset:49152
	v_lshl_or_b32 v14, v86, 8, v24
	v_lshlrev_b32_e32 v26, 1, v14
	v_add_u32_e32 v12, 0x4000, v26
	ds_read2_b64 v[2:5], v12 offset1:16
	v_or_b32_e32 v7, 0x60, v7
	v_xor_b32_e32 v7, v7, v8
	v_or_b32_e32 v6, v7, v6
	v_xor_b32_e32 v29, v13, v9
	v_xor_b32_e32 v30, v6, v9
	ds_read_b64 v[20:21], v28 offset:49152
	ds_read_b64 v[34:35], v29 offset:49152
	;; [unrolled: 1-line block ×3, first 2 shown]
	s_waitcnt lgkmcnt(3)
	v_mfma_f32_16x16x16_bf16 a[0:3], v[10:11], v[2:3], 0
	ds_read2_b64 v[6:9], v12 offset0:32 offset1:48
	s_lshl_b64 s[0:1], s[38:39], 8
	s_add_u32 s4, s4, s0
	v_mfma_f32_16x16x16_bf16 a[4:7], v[10:11], v[4:5], 0
	ds_read2st64_b64 v[2:5], v26 offset0:36 offset1:40
	s_addc_u32 s5, s5, s1
	s_add_i32 s0, s43, s42
	s_waitcnt lgkmcnt(1)
	v_mfma_f32_16x16x16_bf16 a[8:11], v[10:11], v[6:7], 0
	v_or_b32_e32 v6, 64, v14
	v_lshlrev_b32_e32 v31, 1, v6
	s_add_i32 s2, s35, -1
	s_waitcnt lgkmcnt(0)
	v_mfma_f32_16x16x16_bf16 a[0:3], v[20:21], v[2:3], a[0:3]
	v_or_b32_e32 v2, 0x80, v14
	v_lshlrev_b32_e32 v32, 1, v2
	v_or_b32_e32 v2, 0xc0, v14
	v_mfma_f32_16x16x16_bf16 a[12:15], v[10:11], v[8:9], 0
	ds_read2st64_b64 v[6:9], v31 offset0:36 offset1:40
	v_lshlrev_b32_e32 v33, 1, v2
	ds_read2st64_b64 v[10:13], v32 offset0:36 offset1:40
	ds_read2st64_b64 v[14:17], v33 offset0:36 offset1:40
	s_add_i32 s17, s0, s44
	s_mul_i32 s0, s33, s19
	s_mul_hi_u32 s1, s33, s18
	s_add_i32 s0, s1, s0
	s_mul_i32 s1, s12, s18
	s_ashr_i32 s3, s2, 31
	s_mul_i32 s12, s2, s29
	s_mul_hi_u32 s13, s2, s28
	s_waitcnt lgkmcnt(2)
	v_mfma_f32_16x16x16_bf16 a[4:7], v[20:21], v[6:7], a[4:7]
	s_add_i32 s12, s13, s12
	s_mul_i32 s3, s3, s28
	s_add_i32 s1, s0, s1
	s_waitcnt lgkmcnt(1)
	v_mfma_f32_16x16x16_bf16 a[8:11], v[20:21], v[10:11], a[8:11]
	s_add_i32 s3, s12, s3
	s_lshl_b64 s[12:13], s[16:17], 2
	s_mul_i32 s0, s33, s18
	s_waitcnt lgkmcnt(0)
	v_mfma_f32_16x16x16_bf16 a[12:15], v[20:21], v[14:15], a[12:15]
	s_add_u32 s10, s10, s12
	s_addc_u32 s11, s11, s13
	s_lshl_b64 s[0:1], s[0:1], 2
	v_mfma_f32_16x16x16_bf16 a[0:3], v[34:35], v[4:5], a[0:3]
	s_mul_i32 s2, s2, s28
	ds_read_b64 v[2:3], v26 offset:22528
	s_add_u32 s10, s10, s0
	v_mfma_f32_16x16x16_bf16 a[4:7], v[34:35], v[8:9], a[4:7]
	ds_read_b64 v[4:5], v31 offset:22528
	ds_read_b64 v[6:7], v32 offset:22528
	;; [unrolled: 1-line block ×3, first 2 shown]
	s_addc_u32 s11, s11, s1
	s_lshl_b64 s[0:1], s[2:3], 2
	v_mfma_f32_16x16x16_bf16 a[8:11], v[34:35], v[12:13], a[8:11]
	s_add_u32 s0, s10, s0
	s_addc_u32 s1, s11, s1
	s_load_dword s12, s[0:1], 0x0
	v_mfma_f32_16x16x16_bf16 a[12:15], v[34:35], v[16:17], a[12:15]
	s_and_b64 vcc, exec, s[26:27]
	s_waitcnt lgkmcnt(0)
	v_mfma_f32_16x16x16_bf16 a[0:3], v[36:37], v[2:3], a[0:3]
	v_mfma_f32_16x16x16_bf16 a[4:7], v[36:37], v[4:5], a[4:7]
	;; [unrolled: 1-line block ×4, first 2 shown]
	s_cbranch_vccz .LBB72_42
; %bb.32:
	v_lshlrev_b32_e32 v20, 1, v25
	s_and_b64 vcc, exec, s[6:7]
	s_cbranch_vccz .LBB72_43
; %bb.33:
	v_cmp_gt_i32_e32 vcc, s40, v20
	v_mov_b32_e32 v6, 0
	v_mov_b32_e32 v2, 0
	;; [unrolled: 1-line block ×5, first 2 shown]
	s_and_saveexec_b64 s[0:1], vcc
	s_cbranch_execz .LBB72_35
; %bb.34:
	v_mad_i64_i32 v[2:3], s[2:3], s15, v20, 0
	v_lshl_add_u64 v[2:3], v[2:3], 1, s[4:5]
	v_lshlrev_b32_e32 v4, 1, v18
	v_mov_b32_e32 v5, 0
	v_lshl_add_u64 v[2:3], v[2:3], 0, v[4:5]
	global_load_dwordx4 v[2:5], v[2:3], off
.LBB72_35:
	s_or_b64 exec, exec, s[0:1]
	v_or_b32_e32 v21, 1, v20
	v_cmp_gt_i32_e64 s[0:1], s40, v21
	v_mov_b32_e32 v7, 0
	v_mov_b32_e32 v8, 0
	;; [unrolled: 1-line block ×3, first 2 shown]
	s_and_saveexec_b64 s[2:3], s[0:1]
	s_cbranch_execz .LBB72_37
; %bb.36:
	v_mad_i64_i32 v[6:7], s[16:17], s15, v21, 0
	v_lshl_add_u64 v[6:7], v[6:7], 1, s[4:5]
	v_lshlrev_b32_e32 v8, 1, v18
	v_mov_b32_e32 v9, 0
	v_lshl_add_u64 v[6:7], v[6:7], 0, v[8:9]
	global_load_dwordx4 v[6:9], v[6:7], off
.LBB72_37:
	s_or_b64 exec, exec, s[2:3]
	v_mov_b32_e32 v17, 0
	v_mov_b32_e32 v10, 0
	;; [unrolled: 1-line block ×5, first 2 shown]
	s_and_saveexec_b64 s[2:3], vcc
	s_cbranch_execz .LBB72_39
; %bb.38:
	v_mad_i64_i32 v[10:11], s[16:17], s15, v20, 0
	v_lshl_add_u64 v[10:11], v[10:11], 1, s[4:5]
	v_lshlrev_b32_e32 v12, 1, v18
	v_mov_b32_e32 v13, 0
	v_lshl_add_u64 v[10:11], v[10:11], 0, v[12:13]
	global_load_dwordx4 v[10:13], v[10:11], off offset:128
.LBB72_39:
	s_or_b64 exec, exec, s[2:3]
	v_mov_b32_e32 v16, 0
	v_mov_b32_e32 v15, 0
	;; [unrolled: 1-line block ×3, first 2 shown]
	s_and_saveexec_b64 s[2:3], s[0:1]
	s_cbranch_execz .LBB72_41
; %bb.40:
	v_mad_i64_i32 v[14:15], s[0:1], s15, v21, 0
	v_lshl_add_u64 v[14:15], v[14:15], 1, s[4:5]
	v_lshlrev_b32_e32 v16, 1, v18
	v_mov_b32_e32 v17, 0
	v_lshl_add_u64 v[14:15], v[14:15], 0, v[16:17]
	global_load_dwordx4 v[14:17], v[14:15], off offset:128
.LBB72_41:
	s_or_b64 exec, exec, s[2:3]
	s_branch .LBB72_45
.LBB72_42:
                                        ; implicit-def: $vgpr5
                                        ; implicit-def: $vgpr9
                                        ; implicit-def: $vgpr13
                                        ; implicit-def: $vgpr17
	v_lshrrev_b32_e32 v34, 2, v84
	s_branch .LBB72_46
.LBB72_43:
                                        ; implicit-def: $vgpr5
                                        ; implicit-def: $vgpr9
                                        ; implicit-def: $vgpr13
                                        ; implicit-def: $vgpr17
	s_cbranch_execz .LBB72_45
; %bb.44:
	s_waitcnt vmcnt(0)
	v_mad_u64_u32 v[2:3], s[0:1], v20, s15, v[18:19]
	v_lshlrev_b32_e32 v20, 1, v2
	s_lshl_b32 s2, s15, 7
	s_and_b32 s1, s5, 0xffff
	s_mov_b32 s3, 0x20000
	s_mov_b32 s0, s4
	v_add_lshl_u32 v21, v2, s15, 1
	s_movk_i32 s13, 0x80
	buffer_load_dwordx4 v[2:5], v20, s[0:3], 0 offen
	buffer_load_dwordx4 v[10:13], v20, s[0:3], s13 offen
	;; [unrolled: 1-line block ×4, first 2 shown]
.LBB72_45:
	v_lshrrev_b32_e32 v34, 2, v84
	s_cbranch_execnz .LBB72_58
.LBB72_46:
	s_and_b64 vcc, exec, s[6:7]
	s_cbranch_vccz .LBB72_56
; %bb.47:
	s_waitcnt vmcnt(0)
	v_lshlrev_b32_e32 v7, 1, v25
	v_cmp_gt_i32_e32 vcc, s40, v7
	v_mov_b32_e32 v6, 0
	v_lshlrev_b32_e32 v14, 9, v25
	v_mov_b32_e32 v2, 0
	v_mov_b32_e32 v3, 0
	;; [unrolled: 1-line block ×4, first 2 shown]
	s_and_saveexec_b64 s[0:1], vcc
	s_cbranch_execz .LBB72_49
; %bb.48:
	v_mov_b32_e32 v15, 0
	v_lshl_add_u64 v[2:3], s[4:5], 0, v[14:15]
	v_lshlrev_b32_e32 v4, 1, v18
	v_mov_b32_e32 v5, v15
	v_lshl_add_u64 v[2:3], v[2:3], 0, v[4:5]
	global_load_dwordx4 v[2:5], v[2:3], off
.LBB72_49:
	s_or_b64 exec, exec, s[0:1]
	v_or_b32_e32 v7, 1, v7
	v_cmp_gt_i32_e64 s[0:1], s40, v7
	v_lshlrev_b32_e32 v20, 8, v7
	v_mov_b32_e32 v7, 0
	v_mov_b32_e32 v8, 0
	;; [unrolled: 1-line block ×3, first 2 shown]
	s_and_saveexec_b64 s[2:3], s[0:1]
	s_cbranch_execz .LBB72_51
; %bb.50:
	v_mov_b32_e32 v21, 0
	v_lshl_add_u64 v[6:7], s[4:5], 0, v[20:21]
	v_lshlrev_b32_e32 v8, 1, v18
	v_mov_b32_e32 v9, v21
	v_lshl_add_u64 v[6:7], v[6:7], 0, v[8:9]
	global_load_dwordx4 v[6:9], v[6:7], off
.LBB72_51:
	s_or_b64 exec, exec, s[2:3]
	v_mov_b32_e32 v17, 0
	v_mov_b32_e32 v10, 0
	;; [unrolled: 1-line block ×5, first 2 shown]
	s_and_saveexec_b64 s[2:3], vcc
	s_cbranch_execz .LBB72_53
; %bb.52:
	v_mov_b32_e32 v15, 0
	v_lshl_add_u64 v[10:11], s[4:5], 0, v[14:15]
	v_lshlrev_b32_e32 v14, 1, v18
	v_lshl_add_u64 v[10:11], v[10:11], 0, v[14:15]
	global_load_dwordx4 v[10:13], v[10:11], off offset:128
.LBB72_53:
	s_or_b64 exec, exec, s[2:3]
	v_mov_b32_e32 v16, 0
	v_mov_b32_e32 v15, 0
	;; [unrolled: 1-line block ×3, first 2 shown]
	s_and_saveexec_b64 s[2:3], s[0:1]
	s_cbranch_execz .LBB72_55
; %bb.54:
	v_mov_b32_e32 v21, 0
	v_lshl_add_u64 v[14:15], s[4:5], 0, v[20:21]
	v_lshlrev_b32_e32 v20, 1, v18
	v_lshl_add_u64 v[14:15], v[14:15], 0, v[20:21]
	global_load_dwordx4 v[14:17], v[14:15], off offset:128
.LBB72_55:
	s_or_b64 exec, exec, s[2:3]
	s_branch .LBB72_58
.LBB72_56:
                                        ; implicit-def: $vgpr5
                                        ; implicit-def: $vgpr9
                                        ; implicit-def: $vgpr13
                                        ; implicit-def: $vgpr17
	s_cbranch_execz .LBB72_58
; %bb.57:
	s_waitcnt vmcnt(0)
	v_lshlrev_b32_e32 v2, 1, v18
	v_lshl_or_b32 v18, v25, 9, v2
	s_and_b32 s5, s5, 0xffff
	s_mov_b32 s7, 0x20000
	s_movk_i32 s6, 0x4000
	s_movk_i32 s0, 0x80
	buffer_load_dwordx4 v[2:5], v18, s[4:7], 0 offen
	buffer_load_dwordx4 v[6:9], v18, s[4:7], 0 offen offset:256
	buffer_load_dwordx4 v[10:13], v18, s[4:7], s0 offen
	buffer_load_dwordx4 v[14:17], v18, s[4:7], s0 offen offset:256
.LBB72_58:
	ds_read_b64 v[20:21], v27 offset:57344
	v_add_u32_e32 v18, 0x6000, v26
	ds_read2_b64 v[36:39], v18 offset1:16
	ds_read_b64 v[54:55], v28 offset:57344
	ds_read_b64 v[28:29], v29 offset:57344
	;; [unrolled: 1-line block ×3, first 2 shown]
	ds_read2st64_b64 v[40:43], v26 offset0:52 offset1:56
	s_mov_b32 s0, 0x1000504
	s_mov_b32 s1, 0x3020706
	s_waitcnt lgkmcnt(4)
	v_mfma_f32_16x16x16_bf16 a[0:3], v[20:21], v[36:37], a[0:3]
	v_mfma_f32_16x16x16_bf16 a[4:7], v[20:21], v[38:39], a[4:7]
	ds_read2_b64 v[36:39], v18 offset0:32 offset1:48
	v_and_b32_e32 v18, 6, v0
	v_xor_b32_e32 v25, v25, v18
	s_waitcnt lgkmcnt(0)
	v_mfma_f32_16x16x16_bf16 a[8:11], v[20:21], v[36:37], a[8:11]
	v_lshlrev_b32_e32 v25, 2, v25
	v_and_b32_e32 v0, 1, v0
	v_xor_b32_e32 v35, 0x440, v25
	v_mfma_f32_16x16x16_bf16 a[12:15], v[20:21], v[38:39], a[12:15]
	ds_read2st64_b64 v[36:39], v31 offset0:52 offset1:56
	ds_read2st64_b64 v[46:49], v32 offset0:52 offset1:56
	;; [unrolled: 1-line block ×3, first 2 shown]
	v_cmp_eq_u32_e32 vcc, 0, v0
	ds_read_b64 v[20:21], v26 offset:30720
	ds_read_b64 v[26:27], v31 offset:30720
	;; [unrolled: 1-line block ×4, first 2 shown]
	v_mfma_f32_16x16x16_bf16 a[0:3], v[54:55], v[40:41], a[0:3]
	v_cndmask_b32_e32 v0, v35, v25, vcc
	v_lshl_or_b32 v0, v18, 10, v0
	s_waitcnt vmcnt(0)
	v_perm_b32 v18, v2, v6, s0
	s_waitcnt lgkmcnt(6)
	v_mfma_f32_16x16x16_bf16 a[4:7], v[54:55], v[36:37], a[4:7]
	v_perm_b32 v25, v10, v14, s0
	ds_write2st64_b32 v0, v18, v25 offset0:128 offset1:160
	v_xor_b32_e32 v18, 8, v0
	s_waitcnt lgkmcnt(6)
	v_mfma_f32_16x16x16_bf16 a[8:11], v[54:55], v[46:47], a[8:11]
	v_perm_b32 v2, v2, v6, s1
	v_perm_b32 v6, v10, v14, s1
	v_add_u32_e32 v10, 0x80, v18
	s_waitcnt lgkmcnt(5)
	v_mfma_f32_16x16x16_bf16 a[12:15], v[54:55], v[50:51], a[12:15]
	ds_write2st64_b32 v10, v2, v6 offset0:128 offset1:160
	v_xor_b32_e32 v2, 16, v0
	v_perm_b32 v6, v3, v7, s0
	v_mfma_f32_16x16x16_bf16 a[0:3], v[28:29], v[42:43], a[0:3]
	v_perm_b32 v10, v11, v15, s0
	ds_write2st64_b32 v2, v6, v10 offset0:129 offset1:161
	v_xor_b32_e32 v2, 24, v0
	v_mfma_f32_16x16x16_bf16 a[4:7], v[28:29], v[38:39], a[4:7]
	v_perm_b32 v3, v3, v7, s1
	v_perm_b32 v6, v11, v15, s1
	v_add_u32_e32 v2, 0x80, v2
	v_mfma_f32_16x16x16_bf16 a[16:19], v[28:29], v[48:49], a[8:11]
	ds_write2st64_b32 v2, v3, v6 offset0:129 offset1:161
	v_xor_b32_e32 v2, 32, v0
	v_perm_b32 v3, v4, v8, s0
	v_mfma_f32_16x16x16_bf16 a[20:23], v[28:29], v[52:53], a[12:15]
	v_perm_b32 v6, v12, v16, s0
	ds_write2st64_b32 v2, v3, v6 offset0:130 offset1:162
	v_xor_b32_e32 v2, 40, v0
	s_waitcnt lgkmcnt(8)
	v_mfma_f32_16x16x16_bf16 a[12:15], v[56:57], v[20:21], a[0:3]
	v_perm_b32 v3, v4, v8, s1
	v_perm_b32 v4, v12, v16, s1
	v_add_u32_e32 v2, 0x80, v2
	s_waitcnt lgkmcnt(7)
	v_mfma_f32_16x16x16_bf16 a[8:11], v[56:57], v[26:27], a[4:7]
	ds_write2st64_b32 v2, v3, v4 offset0:130 offset1:162
	v_xor_b32_e32 v2, 48, v0
	v_perm_b32 v3, v5, v9, s0
	s_waitcnt lgkmcnt(7)
	v_mfma_f32_16x16x16_bf16 a[4:7], v[56:57], v[30:31], a[16:19]
	v_perm_b32 v4, v13, v17, s0
	v_xor_b32_e32 v0, 56, v0
	v_and_or_b32 v18, v34, 12, v1
	s_waitcnt lgkmcnt(6)
	v_mfma_f32_16x16x16_bf16 a[0:3], v[56:57], v[32:33], a[20:23]
	ds_write2st64_b32 v2, v3, v4 offset0:131 offset1:163
	v_perm_b32 v2, v5, v9, s1
	v_perm_b32 v3, v13, v17, s1
	v_add_u32_e32 v0, 0x80, v0
	v_cmp_gt_i32_e32 vcc, s40, v18
	v_mov_b32_e32 v14, 0
	v_mov_b32_e32 v16, 0
	ds_write2st64_b32 v0, v2, v3 offset0:131 offset1:163
	s_and_saveexec_b64 s[0:1], vcc
	s_cbranch_execz .LBB72_60
; %bb.59:
	v_add_u32_e32 v0, s34, v18
	v_ashrrev_i32_e32 v1, 31, v0
	v_mul_lo_u32 v2, v1, s28
	v_mul_lo_u32 v3, v0, s29
	v_mad_u64_u32 v[0:1], s[2:3], v0, s28, 0
	v_add3_u32 v1, v1, v3, v2
	v_lshl_add_u64 v[0:1], v[0:1], 2, s[10:11]
	global_load_dword v0, v[0:1], off
	s_waitcnt vmcnt(0)
	v_sub_f32_e32 v0, s12, v0
	v_mul_f32_e32 v0, 0x3fb8aa3b, v0
	v_exp_f32_e32 v16, v0
.LBB72_60:
	s_or_b64 exec, exec, s[0:1]
	v_or_b32_e32 v8, 1, v18
	v_cmp_gt_i32_e64 s[0:1], s40, v8
	s_and_saveexec_b64 s[2:3], s[0:1]
	s_cbranch_execz .LBB72_62
; %bb.61:
	v_add_u32_e32 v0, s34, v8
	v_ashrrev_i32_e32 v1, 31, v0
	v_mul_lo_u32 v2, v1, s28
	v_mul_lo_u32 v3, v0, s29
	v_mad_u64_u32 v[0:1], s[4:5], v0, s28, 0
	v_add3_u32 v1, v1, v3, v2
	v_lshl_add_u64 v[0:1], v[0:1], 2, s[10:11]
	global_load_dword v0, v[0:1], off
	s_waitcnt vmcnt(0)
	v_sub_f32_e32 v0, s12, v0
	v_mul_f32_e32 v0, 0x3fb8aa3b, v0
	v_exp_f32_e32 v14, v0
.LBB72_62:
	s_or_b64 exec, exec, s[2:3]
	v_or_b32_e32 v10, 2, v18
	v_cmp_gt_i32_e64 s[2:3], s40, v10
	v_mov_b32_e32 v15, 0
	v_mov_b32_e32 v17, 0
	s_and_saveexec_b64 s[4:5], s[2:3]
	s_cbranch_execz .LBB72_64
; %bb.63:
	v_add_u32_e32 v0, s34, v10
	v_ashrrev_i32_e32 v1, 31, v0
	v_mul_lo_u32 v2, v1, s28
	v_mul_lo_u32 v3, v0, s29
	v_mad_u64_u32 v[0:1], s[6:7], v0, s28, 0
	v_add3_u32 v1, v1, v3, v2
	v_lshl_add_u64 v[0:1], v[0:1], 2, s[10:11]
	global_load_dword v0, v[0:1], off
	s_waitcnt vmcnt(0)
	v_sub_f32_e32 v0, s12, v0
	v_mul_f32_e32 v0, 0x3fb8aa3b, v0
	v_exp_f32_e32 v17, v0
.LBB72_64:
	s_or_b64 exec, exec, s[4:5]
	v_or_b32_e32 v12, 3, v18
	v_cmp_gt_i32_e64 s[4:5], s40, v12
	s_and_saveexec_b64 s[6:7], s[4:5]
	s_cbranch_execz .LBB72_66
; %bb.65:
	v_add_u32_e32 v0, s34, v12
	v_ashrrev_i32_e32 v1, 31, v0
	v_mul_lo_u32 v2, v1, s28
	v_mul_lo_u32 v3, v0, s29
	v_mad_u64_u32 v[0:1], s[14:15], v0, s28, 0
	v_add3_u32 v1, v1, v3, v2
	v_lshl_add_u64 v[0:1], v[0:1], 2, s[10:11]
	global_load_dword v0, v[0:1], off
	s_waitcnt vmcnt(0)
	v_sub_f32_e32 v0, s12, v0
	v_mul_f32_e32 v0, 0x3fb8aa3b, v0
	v_exp_f32_e32 v15, v0
.LBB72_66:
	s_or_b64 exec, exec, s[6:7]
	v_or_b32_e32 v4, s30, v45
	s_add_u32 s6, s8, s24
	v_accvgpr_read_b32 v0, a12
	s_addc_u32 s7, s9, s25
	v_ashrrev_i32_e32 v5, 31, v4
	v_accvgpr_read_b32 v1, a13
	v_accvgpr_read_b32 v2, a14
	;; [unrolled: 1-line block ×3, first 2 shown]
	v_lshl_add_u64 v[4:5], v[4:5], 1, s[6:7]
	v_mov_b32_e32 v9, 0
	v_lshlrev_b32_e32 v6, 8, v18
	v_mov_b32_e32 v7, 0
	s_and_saveexec_b64 s[6:7], vcc
	s_cbranch_execz .LBB72_68
; %bb.67:
	v_mov_b32_e32 v7, 0
	v_lshl_add_u64 v[20:21], v[4:5], 0, v[6:7]
	global_load_ushort v7, v[20:21], off
	s_waitcnt vmcnt(0)
	v_lshlrev_b32_e32 v7, 16, v7
	v_sub_f32_e32 v0, v7, v0
	v_mul_f32_e32 v0, v16, v0
	v_lshrrev_b32_e32 v7, 16, v0
.LBB72_68:
	s_or_b64 exec, exec, s[6:7]
	v_lshlrev_b32_e32 v8, 8, v8
	s_and_saveexec_b64 s[6:7], s[0:1]
	s_cbranch_execz .LBB72_70
; %bb.69:
	v_mov_b32_e32 v9, 0
	v_lshl_add_u64 v[20:21], v[4:5], 0, v[8:9]
	global_load_ushort v0, v[20:21], off
	s_waitcnt vmcnt(0)
	v_lshlrev_b32_e32 v0, 16, v0
	v_sub_f32_e32 v0, v0, v1
	v_mul_f32_e32 v0, v14, v0
	v_lshrrev_b32_e32 v9, 16, v0
.LBB72_70:
	s_or_b64 exec, exec, s[6:7]
	v_mov_b32_e32 v13, 0
	v_lshlrev_b32_e32 v10, 8, v10
	v_mov_b32_e32 v11, 0
	s_and_saveexec_b64 s[6:7], s[2:3]
	s_cbranch_execz .LBB72_72
; %bb.71:
	v_mov_b32_e32 v11, 0
	v_lshl_add_u64 v[0:1], v[4:5], 0, v[10:11]
	global_load_ushort v0, v[0:1], off
	s_waitcnt vmcnt(0)
	v_lshlrev_b32_e32 v0, 16, v0
	v_sub_f32_e32 v0, v0, v2
	v_mul_f32_e32 v0, v17, v0
	v_lshrrev_b32_e32 v11, 16, v0
.LBB72_72:
	s_or_b64 exec, exec, s[6:7]
	v_lshlrev_b32_e32 v12, 8, v12
	s_and_saveexec_b64 s[6:7], s[4:5]
	s_cbranch_execz .LBB72_74
; %bb.73:
	v_mov_b32_e32 v13, 0
	v_lshl_add_u64 v[0:1], v[4:5], 0, v[12:13]
	global_load_ushort v0, v[0:1], off
	s_waitcnt vmcnt(0)
	v_lshlrev_b32_e32 v0, 16, v0
	v_sub_f32_e32 v0, v0, v3
	v_mul_f32_e32 v0, v15, v0
	v_lshrrev_b32_e32 v13, 16, v0
.LBB72_74:
	s_or_b64 exec, exec, s[6:7]
	v_lshlrev_b32_e32 v18, 6, v18
	s_mov_b32 s6, 0x5040100
	v_perm_b32 v20, v9, v7, s6
	v_or_b32_e32 v7, v18, v24
	v_accvgpr_read_b32 v0, a8
	v_perm_b32 v21, v13, v11, s6
	v_lshlrev_b32_e32 v7, 1, v7
	v_accvgpr_read_b32 v1, a9
	v_accvgpr_read_b32 v2, a10
	;; [unrolled: 1-line block ×3, first 2 shown]
	ds_write_b64 v7, v[20:21] offset:24576
	v_mov_b32_e32 v9, 0
	v_mov_b32_e32 v7, 0
	s_and_saveexec_b64 s[6:7], vcc
	s_cbranch_execz .LBB72_76
; %bb.75:
	v_mov_b32_e32 v7, 0
	v_lshl_add_u64 v[20:21], v[4:5], 0, v[6:7]
	global_load_ushort v7, v[20:21], off offset:32
	s_waitcnt vmcnt(0)
	v_lshlrev_b32_e32 v7, 16, v7
	v_sub_f32_e32 v0, v7, v0
	v_mul_f32_e32 v0, v16, v0
	v_lshrrev_b32_e32 v7, 16, v0
.LBB72_76:
	s_or_b64 exec, exec, s[6:7]
	s_and_saveexec_b64 s[6:7], s[0:1]
	s_cbranch_execz .LBB72_78
; %bb.77:
	v_mov_b32_e32 v9, 0
	v_lshl_add_u64 v[20:21], v[4:5], 0, v[8:9]
	global_load_ushort v0, v[20:21], off offset:32
	s_waitcnt vmcnt(0)
	v_lshlrev_b32_e32 v0, 16, v0
	v_sub_f32_e32 v0, v0, v1
	v_mul_f32_e32 v0, v14, v0
	v_lshrrev_b32_e32 v9, 16, v0
.LBB72_78:
	s_or_b64 exec, exec, s[6:7]
	v_mov_b32_e32 v13, 0
	v_mov_b32_e32 v11, 0
	s_and_saveexec_b64 s[6:7], s[2:3]
	s_cbranch_execz .LBB72_80
; %bb.79:
	v_mov_b32_e32 v11, 0
	v_lshl_add_u64 v[0:1], v[4:5], 0, v[10:11]
	global_load_ushort v0, v[0:1], off offset:32
	s_waitcnt vmcnt(0)
	v_lshlrev_b32_e32 v0, 16, v0
	v_sub_f32_e32 v0, v0, v2
	v_mul_f32_e32 v0, v17, v0
	v_lshrrev_b32_e32 v11, 16, v0
.LBB72_80:
	s_or_b64 exec, exec, s[6:7]
	s_and_saveexec_b64 s[6:7], s[4:5]
	s_cbranch_execz .LBB72_82
; %bb.81:
	v_mov_b32_e32 v13, 0
	v_lshl_add_u64 v[0:1], v[4:5], 0, v[12:13]
	global_load_ushort v0, v[0:1], off offset:32
	s_waitcnt vmcnt(0)
	v_lshlrev_b32_e32 v0, 16, v0
	v_sub_f32_e32 v0, v0, v3
	v_mul_f32_e32 v0, v15, v0
	v_lshrrev_b32_e32 v13, 16, v0
.LBB72_82:
	s_or_b64 exec, exec, s[6:7]
	s_mov_b32 s6, 0x5040100
	v_perm_b32 v20, v9, v7, s6
	v_or_b32_e32 v7, v18, v23
	v_accvgpr_read_b32 v0, a4
	v_perm_b32 v21, v13, v11, s6
	v_lshlrev_b32_e32 v7, 1, v7
	v_accvgpr_read_b32 v1, a5
	v_accvgpr_read_b32 v2, a6
	;; [unrolled: 1-line block ×3, first 2 shown]
	ds_write_b64 v7, v[20:21] offset:24576
	v_mov_b32_e32 v9, 0
	v_mov_b32_e32 v7, 0
	s_and_saveexec_b64 s[6:7], vcc
	s_cbranch_execz .LBB72_84
; %bb.83:
	v_mov_b32_e32 v7, 0
	v_lshl_add_u64 v[20:21], v[4:5], 0, v[6:7]
	global_load_ushort v7, v[20:21], off offset:64
	s_waitcnt vmcnt(0)
	v_lshlrev_b32_e32 v7, 16, v7
	v_sub_f32_e32 v0, v7, v0
	v_mul_f32_e32 v0, v16, v0
	v_lshrrev_b32_e32 v7, 16, v0
.LBB72_84:
	s_or_b64 exec, exec, s[6:7]
	s_and_saveexec_b64 s[6:7], s[0:1]
	s_cbranch_execz .LBB72_86
; %bb.85:
	v_mov_b32_e32 v9, 0
	v_lshl_add_u64 v[20:21], v[4:5], 0, v[8:9]
	global_load_ushort v0, v[20:21], off offset:64
	s_waitcnt vmcnt(0)
	v_lshlrev_b32_e32 v0, 16, v0
	v_sub_f32_e32 v0, v0, v1
	v_mul_f32_e32 v0, v14, v0
	v_lshrrev_b32_e32 v9, 16, v0
.LBB72_86:
	s_or_b64 exec, exec, s[6:7]
	v_mov_b32_e32 v13, 0
	v_mov_b32_e32 v11, 0
	s_and_saveexec_b64 s[6:7], s[2:3]
	s_cbranch_execz .LBB72_88
; %bb.87:
	v_mov_b32_e32 v11, 0
	v_lshl_add_u64 v[0:1], v[4:5], 0, v[10:11]
	global_load_ushort v0, v[0:1], off offset:64
	s_waitcnt vmcnt(0)
	v_lshlrev_b32_e32 v0, 16, v0
	v_sub_f32_e32 v0, v0, v2
	v_mul_f32_e32 v0, v17, v0
	v_lshrrev_b32_e32 v11, 16, v0
.LBB72_88:
	s_or_b64 exec, exec, s[6:7]
	s_and_saveexec_b64 s[6:7], s[4:5]
	s_cbranch_execz .LBB72_90
; %bb.89:
	v_mov_b32_e32 v13, 0
	v_lshl_add_u64 v[0:1], v[4:5], 0, v[12:13]
	global_load_ushort v0, v[0:1], off offset:64
	s_waitcnt vmcnt(0)
	v_lshlrev_b32_e32 v0, 16, v0
	v_sub_f32_e32 v0, v0, v3
	v_mul_f32_e32 v0, v15, v0
	v_lshrrev_b32_e32 v13, 16, v0
.LBB72_90:
	s_or_b64 exec, exec, s[6:7]
	s_mov_b32 s6, 0x5040100
	v_perm_b32 v20, v9, v7, s6
	v_or_b32_e32 v7, v18, v22
	v_accvgpr_read_b32 v0, a0
	v_perm_b32 v21, v13, v11, s6
	v_lshlrev_b32_e32 v7, 1, v7
	v_accvgpr_read_b32 v1, a1
	v_accvgpr_read_b32 v2, a2
	v_accvgpr_read_b32 v3, a3
	ds_write_b64 v7, v[20:21] offset:24576
	v_mov_b32_e32 v9, 0
	v_mov_b32_e32 v7, 0
	s_and_saveexec_b64 s[6:7], vcc
	s_cbranch_execz .LBB72_92
; %bb.91:
	v_mov_b32_e32 v7, 0
	v_lshl_add_u64 v[6:7], v[4:5], 0, v[6:7]
	global_load_ushort v6, v[6:7], off offset:96
	s_waitcnt vmcnt(0)
	v_lshlrev_b32_e32 v6, 16, v6
	v_sub_f32_e32 v0, v6, v0
	v_mul_f32_e32 v0, v16, v0
	v_lshrrev_b32_e32 v7, 16, v0
.LBB72_92:
	s_or_b64 exec, exec, s[6:7]
	s_and_saveexec_b64 s[6:7], s[0:1]
	s_cbranch_execz .LBB72_94
; %bb.93:
	v_mov_b32_e32 v9, 0
	v_lshl_add_u64 v[8:9], v[4:5], 0, v[8:9]
	global_load_ushort v0, v[8:9], off offset:96
	s_waitcnt vmcnt(0)
	v_lshlrev_b32_e32 v0, 16, v0
	v_sub_f32_e32 v0, v0, v1
	v_mul_f32_e32 v0, v14, v0
	v_lshrrev_b32_e32 v9, 16, v0
.LBB72_94:
	s_or_b64 exec, exec, s[6:7]
	v_mov_b32_e32 v0, 0
	v_mov_b32_e32 v1, 0
	s_and_saveexec_b64 s[0:1], s[2:3]
	s_cbranch_execz .LBB72_96
; %bb.95:
	v_mov_b32_e32 v11, 0
	v_lshl_add_u64 v[10:11], v[4:5], 0, v[10:11]
	global_load_ushort v1, v[10:11], off offset:96
	s_waitcnt vmcnt(0)
	v_lshlrev_b32_e32 v1, 16, v1
	v_sub_f32_e32 v1, v1, v2
	v_mul_f32_e32 v1, v17, v1
	v_lshrrev_b32_e32 v1, 16, v1
.LBB72_96:
	s_or_b64 exec, exec, s[0:1]
	s_and_saveexec_b64 s[0:1], s[4:5]
	s_cbranch_execz .LBB72_98
; %bb.97:
	v_mov_b32_e32 v13, 0
	v_lshl_add_u64 v[4:5], v[4:5], 0, v[12:13]
	global_load_ushort v0, v[4:5], off offset:96
	s_waitcnt vmcnt(0)
	v_lshlrev_b32_e32 v0, 16, v0
	v_sub_f32_e32 v0, v0, v3
	v_mul_f32_e32 v0, v15, v0
	v_lshrrev_b32_e32 v0, 16, v0
.LBB72_98:
	s_or_b64 exec, exec, s[0:1]
	s_mov_b32 s0, 0x5040100
	v_or_b32_e32 v2, v18, v19
	v_perm_b32 v1, v0, v1, s0
	v_perm_b32 v0, v9, v7, s0
	v_lshlrev_b32_e32 v2, 1, v2
	ds_write_b64 v2, v[0:1] offset:24576
	s_waitcnt lgkmcnt(0)
	s_barrier
.LBB72_99:
	s_endpgm
	.section	.rodata,"a",@progbits
	.p2align	6, 0x0
	.amdhsa_kernel _ZN12_GLOBAL__N_139chunk_gated_delta_rule_fwd_h_hip_kernelILi64ELb0ELb0ELb0ELb1ELb0ELb1ELb1ELb1EEEvPK12hip_bfloat16S3_S3_PKfS5_PKvPS1_S8_PvPKiSB_iiiiilll
		.amdhsa_group_segment_fixed_size 65536
		.amdhsa_private_segment_fixed_size 0
		.amdhsa_kernarg_size 136
		.amdhsa_user_sgpr_count 2
		.amdhsa_user_sgpr_dispatch_ptr 0
		.amdhsa_user_sgpr_queue_ptr 0
		.amdhsa_user_sgpr_kernarg_segment_ptr 1
		.amdhsa_user_sgpr_dispatch_id 0
		.amdhsa_user_sgpr_kernarg_preload_length 0
		.amdhsa_user_sgpr_kernarg_preload_offset 0
		.amdhsa_user_sgpr_private_segment_size 0
		.amdhsa_uses_dynamic_stack 0
		.amdhsa_enable_private_segment 0
		.amdhsa_system_sgpr_workgroup_id_x 1
		.amdhsa_system_sgpr_workgroup_id_y 1
		.amdhsa_system_sgpr_workgroup_id_z 0
		.amdhsa_system_sgpr_workgroup_info 0
		.amdhsa_system_vgpr_workitem_id 0
		.amdhsa_next_free_vgpr 232
		.amdhsa_next_free_sgpr 62
		.amdhsa_accum_offset 192
		.amdhsa_reserve_vcc 1
		.amdhsa_float_round_mode_32 0
		.amdhsa_float_round_mode_16_64 0
		.amdhsa_float_denorm_mode_32 3
		.amdhsa_float_denorm_mode_16_64 3
		.amdhsa_dx10_clamp 1
		.amdhsa_ieee_mode 1
		.amdhsa_fp16_overflow 0
		.amdhsa_tg_split 0
		.amdhsa_exception_fp_ieee_invalid_op 0
		.amdhsa_exception_fp_denorm_src 0
		.amdhsa_exception_fp_ieee_div_zero 0
		.amdhsa_exception_fp_ieee_overflow 0
		.amdhsa_exception_fp_ieee_underflow 0
		.amdhsa_exception_fp_ieee_inexact 0
		.amdhsa_exception_int_div_zero 0
	.end_amdhsa_kernel
	.section	.text._ZN12_GLOBAL__N_139chunk_gated_delta_rule_fwd_h_hip_kernelILi64ELb0ELb0ELb0ELb1ELb0ELb1ELb1ELb1EEEvPK12hip_bfloat16S3_S3_PKfS5_PKvPS1_S8_PvPKiSB_iiiiilll,"axG",@progbits,_ZN12_GLOBAL__N_139chunk_gated_delta_rule_fwd_h_hip_kernelILi64ELb0ELb0ELb0ELb1ELb0ELb1ELb1ELb1EEEvPK12hip_bfloat16S3_S3_PKfS5_PKvPS1_S8_PvPKiSB_iiiiilll,comdat
.Lfunc_end72:
	.size	_ZN12_GLOBAL__N_139chunk_gated_delta_rule_fwd_h_hip_kernelILi64ELb0ELb0ELb0ELb1ELb0ELb1ELb1ELb1EEEvPK12hip_bfloat16S3_S3_PKfS5_PKvPS1_S8_PvPKiSB_iiiiilll, .Lfunc_end72-_ZN12_GLOBAL__N_139chunk_gated_delta_rule_fwd_h_hip_kernelILi64ELb0ELb0ELb0ELb1ELb0ELb1ELb1ELb1EEEvPK12hip_bfloat16S3_S3_PKfS5_PKvPS1_S8_PvPKiSB_iiiiilll
                                        ; -- End function
	.section	.AMDGPU.csdata,"",@progbits
; Kernel info:
; codeLenInByte = 11012
; NumSgprs: 68
; NumVgprs: 190
; NumAgprs: 40
; TotalNumVgprs: 232
; ScratchSize: 0
; MemoryBound: 0
; FloatMode: 240
; IeeeMode: 1
; LDSByteSize: 65536 bytes/workgroup (compile time only)
; SGPRBlocks: 8
; VGPRBlocks: 28
; NumSGPRsForWavesPerEU: 68
; NumVGPRsForWavesPerEU: 232
; AccumOffset: 192
; Occupancy: 1
; WaveLimiterHint : 1
; COMPUTE_PGM_RSRC2:SCRATCH_EN: 0
; COMPUTE_PGM_RSRC2:USER_SGPR: 2
; COMPUTE_PGM_RSRC2:TRAP_HANDLER: 0
; COMPUTE_PGM_RSRC2:TGID_X_EN: 1
; COMPUTE_PGM_RSRC2:TGID_Y_EN: 1
; COMPUTE_PGM_RSRC2:TGID_Z_EN: 0
; COMPUTE_PGM_RSRC2:TIDIG_COMP_CNT: 0
; COMPUTE_PGM_RSRC3_GFX90A:ACCUM_OFFSET: 47
; COMPUTE_PGM_RSRC3_GFX90A:TG_SPLIT: 0
	.section	.text._ZN12_GLOBAL__N_139chunk_gated_delta_rule_fwd_h_hip_kernelILi64ELb1ELb1ELb1ELb0ELb0ELb1ELb1ELb1EEEvPK12hip_bfloat16S3_S3_PKfS5_PKvPS1_S8_PvPKiSB_iiiiilll,"axG",@progbits,_ZN12_GLOBAL__N_139chunk_gated_delta_rule_fwd_h_hip_kernelILi64ELb1ELb1ELb1ELb0ELb0ELb1ELb1ELb1EEEvPK12hip_bfloat16S3_S3_PKfS5_PKvPS1_S8_PvPKiSB_iiiiilll,comdat
	.globl	_ZN12_GLOBAL__N_139chunk_gated_delta_rule_fwd_h_hip_kernelILi64ELb1ELb1ELb1ELb0ELb0ELb1ELb1ELb1EEEvPK12hip_bfloat16S3_S3_PKfS5_PKvPS1_S8_PvPKiSB_iiiiilll ; -- Begin function _ZN12_GLOBAL__N_139chunk_gated_delta_rule_fwd_h_hip_kernelILi64ELb1ELb1ELb1ELb0ELb0ELb1ELb1ELb1EEEvPK12hip_bfloat16S3_S3_PKfS5_PKvPS1_S8_PvPKiSB_iiiiilll
	.p2align	8
	.type	_ZN12_GLOBAL__N_139chunk_gated_delta_rule_fwd_h_hip_kernelILi64ELb1ELb1ELb1ELb0ELb0ELb1ELb1ELb1EEEvPK12hip_bfloat16S3_S3_PKfS5_PKvPS1_S8_PvPKiSB_iiiiilll,@function
_ZN12_GLOBAL__N_139chunk_gated_delta_rule_fwd_h_hip_kernelILi64ELb1ELb1ELb1ELb0ELb0ELb1ELb1ELb1EEEvPK12hip_bfloat16S3_S3_PKfS5_PKvPS1_S8_PvPKiSB_iiiiilll: ; @_ZN12_GLOBAL__N_139chunk_gated_delta_rule_fwd_h_hip_kernelILi64ELb1ELb1ELb1ELb0ELb0ELb1ELb1ELb1EEEvPK12hip_bfloat16S3_S3_PKfS5_PKvPS1_S8_PvPKiSB_iiiiilll
; %bb.0:
	s_load_dwordx4 s[24:27], s[0:1], 0x5c
	s_abs_i32 s6, s3
	s_ashr_i32 s5, s3, 31
	v_and_b32_e32 v99, 15, v0
	v_bfe_u32 v98, v0, 4, 2
	s_waitcnt lgkmcnt(0)
	s_abs_i32 s4, s25
	v_cvt_f32_u32_e32 v1, s4
	s_sub_i32 s8, 0, s4
	s_ashr_i32 s7, s25, 31
	s_xor_b32 s5, s5, s7
	v_rcp_iflag_f32_e32 v1, v1
	v_mov_b32_e32 v47, 0
	v_lshlrev_b32_e32 v100, 3, v0
	v_mul_f32_e32 v1, 0x4f7ffffe, v1
	v_cvt_u32_f32_e32 v1, v1
	s_nop 0
	v_readfirstlane_b32 s9, v1
	s_mul_i32 s8, s8, s9
	s_mul_hi_u32 s8, s9, s8
	s_add_i32 s9, s9, s8
	s_mul_hi_u32 s8, s6, s9
	s_mul_i32 s9, s8, s4
	s_sub_i32 s6, s6, s9
	s_add_i32 s10, s8, 1
	s_sub_i32 s9, s6, s4
	s_cmp_ge_u32 s6, s4
	s_cselect_b32 s8, s10, s8
	s_cselect_b32 s6, s9, s6
	s_add_i32 s9, s8, 1
	s_cmp_ge_u32 s6, s4
	s_cselect_b32 s6, s9, s8
	s_xor_b32 s6, s6, s5
	s_sub_i32 s58, s6, s5
	s_mul_i32 s6, s58, s25
	s_sub_i32 s33, s3, s6
	s_abs_i32 s3, s26
	v_cvt_f32_u32_e32 v1, s3
	s_add_i32 s8, s24, 63
	s_ashr_i32 s9, s8, 31
	s_lshr_b32 s5, s9, 26
	v_rcp_iflag_f32_e32 v1, v1
	s_ashr_i32 s57, s24, 31
	s_add_i32 s8, s8, s5
	s_lshr_b32 s5, s57, 26
	v_mul_f32_e32 v1, 0x4f7ffffe, v1
	v_cvt_u32_f32_e32 v1, v1
	s_add_i32 s5, s24, s5
	s_ashr_i32 s60, s26, 31
	s_ashr_i32 s28, s8, 6
	;; [unrolled: 1-line block ×3, first 2 shown]
	s_xor_b32 s5, s7, s60
	s_sub_i32 s7, 0, s3
	v_readfirstlane_b32 s8, v1
	s_mul_i32 s7, s7, s8
	s_mul_hi_u32 s7, s8, s7
	s_add_i32 s8, s8, s7
	s_mul_hi_u32 s7, s4, s8
	s_mul_i32 s8, s7, s3
	s_sub_i32 s4, s4, s8
	s_lshl_b32 s2, s2, 6
	s_add_i32 s8, s7, 1
	s_sub_i32 s9, s4, s3
	s_cmp_ge_u32 s4, s3
	s_cselect_b32 s7, s8, s7
	s_cselect_b32 s4, s9, s4
	s_add_i32 s8, s7, 1
	s_cmp_ge_u32 s4, s3
	s_cselect_b32 s3, s8, s7
	s_xor_b32 s3, s3, s5
	s_sub_i32 s3, s3, s5
	s_abs_i32 s4, s3
	v_cvt_f32_u32_e32 v1, s4
	s_sub_i32 s7, 0, s4
	s_abs_i32 s5, s33
	s_xor_b32 s3, s33, s3
	v_rcp_iflag_f32_e32 v2, v1
	s_ashr_i32 s3, s3, 31
	s_load_dwordx8 s[8:15], s[0:1], 0x20
	v_or_b32_e32 v88, s2, v99
	v_mul_f32_e32 v2, 0x4f7ffffe, v2
	v_cvt_u32_f32_e32 v2, v2
	v_lshrrev_b32_e32 v1, 6, v0
	v_lshlrev_b32_e32 v48, 7, v88
	v_lshlrev_b32_e32 v45, 4, v1
	v_readfirstlane_b32 s16, v2
	s_mul_i32 s7, s7, s16
	s_mul_hi_u32 s7, s16, s7
	s_add_i32 s16, s16, s7
	s_mul_hi_u32 s7, s5, s16
	s_mul_i32 s16, s7, s4
	s_sub_i32 s5, s5, s16
	s_add_i32 s16, s7, 1
	s_sub_i32 s17, s5, s4
	s_cmp_ge_u32 s5, s4
	s_cselect_b32 s7, s16, s7
	s_cselect_b32 s5, s17, s5
	s_add_i32 s16, s7, 1
	s_cmp_ge_u32 s5, s4
	s_cselect_b32 s4, s16, s7
	s_xor_b32 s4, s4, s3
	s_sub_i32 s61, s4, s3
	s_ashr_i32 s3, s58, 31
	s_ashr_i32 s50, s33, 31
	s_mul_hi_i32 s4, s58, s25
	s_add_u32 s42, s6, s33
	s_addc_u32 s43, s4, s50
	s_lshl_b64 s[34:35], s[42:43], 15
	s_waitcnt lgkmcnt(0)
	s_add_u32 s4, s10, s34
	v_or_b32_e32 v50, 0x800, v48
	v_lshl_or_b32 v102, v98, 2, v45
	s_addc_u32 s5, s11, s35
	v_ashrrev_i32_e32 v49, 31, v48
	v_ashrrev_i32_e32 v51, 31, v50
	v_lshl_add_u64 v[2:3], v[48:49], 1, s[4:5]
	v_lshlrev_b32_e32 v46, 1, v102
	v_lshl_add_u64 v[6:7], v[50:51], 1, s[4:5]
	v_or_b32_e32 v52, 0x1000, v48
	v_or_b32_e32 v54, 0x1800, v48
	v_lshl_add_u64 v[2:3], v[2:3], 0, v[46:47]
	v_lshl_add_u64 v[6:7], v[6:7], 0, v[46:47]
	v_ashrrev_i32_e32 v53, 31, v52
	v_ashrrev_i32_e32 v55, 31, v54
	global_load_dwordx2 v[4:5], v[2:3], off
	v_lshl_add_u64 v[14:15], v[54:55], 1, s[4:5]
	global_load_dwordx2 v[2:3], v[2:3], off offset:128
	s_nop 0
	global_load_dwordx2 v[8:9], v[6:7], off
	global_load_dwordx2 v[10:11], v[6:7], off offset:128
	v_lshl_add_u64 v[6:7], v[52:53], 1, s[4:5]
	v_lshl_add_u64 v[6:7], v[6:7], 0, v[46:47]
	;; [unrolled: 1-line block ×3, first 2 shown]
	global_load_dwordx2 v[12:13], v[6:7], off
	v_and_b32_e32 v47, 63, v0
	global_load_dwordx2 v[6:7], v[6:7], off offset:128
	s_nop 0
	global_load_dwordx2 v[16:17], v[14:15], off
	global_load_dwordx2 v[18:19], v[14:15], off offset:128
	s_load_dwordx2 s[10:11], s[0:1], 0x40
	s_load_dwordx8 s[16:23], s[0:1], 0x0
	s_load_dwordx2 s[36:37], s[0:1], 0x80
	s_load_dwordx4 s[4:7], s[0:1], 0x70
	v_or_b32_e32 v103, 64, v102
	s_mul_i32 s51, s58, s24
	s_mul_i32 s62, s58, s28
	s_cmp_lt_i32 s24, 64
	v_lshrrev_b32_e32 v101, 3, v47
	s_mul_i32 s63, s43, s24
	s_mul_hi_u32 s64, s42, s24
	s_mul_i32 s44, s42, s24
	s_waitcnt lgkmcnt(0)
	s_mul_i32 s43, s58, s5
	s_mul_hi_u32 s53, s58, s4
	s_mul_i32 s52, s3, s4
	s_mul_i32 s40, s58, s4
	;; [unrolled: 1-line block ×3, first 2 shown]
	s_mul_hi_u32 s55, s33, s6
	s_mul_i32 s56, s50, s6
	s_mul_i32 s38, s33, s6
	s_waitcnt vmcnt(7)
	v_and_b32_e32 v83, 0xffff0000, v4
	v_lshlrev_b32_e32 v82, 16, v4
	v_and_b32_e32 v87, 0xffff0000, v5
	v_lshlrev_b32_e32 v86, 16, v5
	s_waitcnt vmcnt(6)
	v_and_b32_e32 v81, 0xffff0000, v2
	v_lshlrev_b32_e32 v80, 16, v2
	v_and_b32_e32 v85, 0xffff0000, v3
	v_lshlrev_b32_e32 v84, 16, v3
	;; [unrolled: 5-line block ×8, first 2 shown]
	s_cbranch_scc1 .LBB73_18
; %bb.1:
	s_add_i32 s45, s64, s63
	s_lshl_b64 s[0:1], s[44:45], 8
	v_and_b32_e32 v105, 56, v100
	s_add_u32 s4, s18, s0
	v_lshl_or_b32 v104, v1, 3, v101
	v_lshlrev_b32_e32 v2, 1, v105
	s_addc_u32 s0, s19, s1
	v_lshl_or_b32 v106, v104, 8, v2
	s_and_b32 s5, s0, 0xffff
	s_mov_b32 s7, 0x20000
	s_movk_i32 s6, 0x4000
	s_movk_i32 s0, 0x80
	v_or_b32_e32 v107, 0x2000, v106
	buffer_load_dwordx4 v[4:7], v106, s[4:7], 0 offen
	buffer_load_dwordx4 v[8:11], v106, s[4:7], s0 offen
	;; [unrolled: 1-line block ×4, first 2 shown]
	v_lshlrev_b32_e32 v3, 3, v104
	v_and_or_b32 v21, v0, 7, v3
	v_and_b32_e32 v3, 0x78, v3
	v_lshlrev_b32_e32 v21, 4, v21
	v_xor_b32_e32 v108, v21, v3
	v_mul_lo_u32 v20, v104, s27
	v_or_b32_e32 v109, 0x1000, v108
	v_xor_b32_e32 v3, 8, v108
	s_cmpk_eq_i32 s27, 0x80
	s_mov_b32 s65, s26
	v_xor_b32_e32 v21, 8, v109
	s_cselect_b64 s[0:1], -1, 0
	s_cmpk_lg_i32 s27, 0x80
	s_waitcnt vmcnt(3)
	ds_write_b64 v108, v[4:5] offset:49152
	ds_write_b64 v3, v[6:7] offset:49152
	s_waitcnt vmcnt(2)
	ds_write_b64 v108, v[8:9] offset:57344
	ds_write_b64 v3, v[10:11] offset:57344
	;; [unrolled: 3-line block ×4, first 2 shown]
	v_lshl_add_u32 v3, v20, 1, v105
	s_cbranch_scc0 .LBB73_3
; %bb.2:
	v_lshlrev_b32_e32 v5, 1, v3
	v_add_lshl_u32 v4, v3, s27, 1
	s_lshl_b32 s6, s27, 7
	v_lshl_or_b32 v2, v104, 9, v2
	s_cbranch_execz .LBB73_4
	s_branch .LBB73_5
.LBB73_3:
                                        ; implicit-def: $vgpr4
                                        ; implicit-def: $vgpr5
                                        ; implicit-def: $sgpr6
	v_lshl_or_b32 v2, v104, 9, v2
.LBB73_4:
	v_or_b32_e32 v4, 0x100, v2
	s_movk_i32 s6, 0x4000
	v_mov_b32_e32 v5, v2
.LBB73_5:
	s_mul_hi_u32 s4, s26, s24
	s_mul_i32 s5, s60, s24
	s_add_i32 s4, s4, s5
	s_mul_i32 s5, s26, s24
	s_mul_i32 s7, s5, s3
	s_mul_hi_u32 s28, s5, s58
	s_add_i32 s7, s28, s7
	s_mul_i32 s4, s4, s58
	s_add_i32 s7, s7, s4
	s_mul_i32 s5, s5, s58
	s_ashr_i32 s66, s61, 31
	s_add_u32 s4, s5, s61
	s_addc_u32 s5, s7, s66
	s_lshl_b64 s[4:5], s[4:5], 8
	s_add_u32 s4, s16, s4
	s_addc_u32 s5, s17, s5
	s_and_b32 s5, s5, 0xffff
	s_mov_b32 s7, 0x20000
	s_movk_i32 s67, 0x80
	buffer_load_dwordx4 v[6:9], v5, s[4:7], 0 offen
	buffer_load_dwordx4 v[10:13], v5, s[4:7], s67 offen
	;; [unrolled: 1-line block ×4, first 2 shown]
	v_and_b32_e32 v5, 6, v0
	v_lshlrev_b32_e32 v4, 7, v102
	v_xor_b32_e32 v26, v104, v5
	v_and_b32_e32 v22, 1, v0
	v_lshl_or_b32 v29, v99, 3, v4
	v_lshlrev_b32_e32 v26, 2, v26
	v_or_b32_e32 v110, 0x4000, v29
	v_or_b32_e32 v111, 0x6000, v29
	v_xor_b32_e32 v29, 0x440, v26
	v_cmp_eq_u32_e32 vcc, 0, v22
	v_lshlrev_b32_e32 v23, 2, v99
	v_or_b32_e32 v25, 16, v99
	v_cndmask_b32_e32 v22, v29, v26, vcc
	s_mov_b32 s69, 0x1000504
	v_xor_b32_e32 v27, v102, v23
	v_xor_b32_e32 v28, v103, v23
	v_lshl_or_b32 v30, v25, 3, v4
	v_lshl_or_b32 v5, v5, 10, v22
	s_mov_b32 s70, 0x3020706
	v_lshlrev_b32_e32 v24, 8, v99
	v_lshlrev_b32_e32 v27, 1, v27
	;; [unrolled: 1-line block ×3, first 2 shown]
	v_or_b32_e32 v112, 0x4000, v30
	v_or_b32_e32 v113, 0x6000, v30
	v_xor_b32_e32 v22, 8, v5
	v_xor_b32_e32 v26, 24, v5
	;; [unrolled: 1-line block ×4, first 2 shown]
	s_mul_i32 s3, s3, s24
	s_mul_hi_u32 s4, s58, s24
	v_or_b32_e32 v114, v24, v27
	v_or_b32_e32 v115, v24, v28
	v_xor_b32_e32 v24, 16, v5
	v_xor_b32_e32 v29, 32, v5
	;; [unrolled: 1-line block ×3, first 2 shown]
	v_add_u32_e32 v22, 0x80, v22
	v_add_u32_e32 v26, 0x80, v26
	;; [unrolled: 1-line block ×4, first 2 shown]
	s_add_i32 s71, s4, s3
	s_add_i32 s3, s53, s43
	;; [unrolled: 1-line block ×5, first 2 shown]
	s_lshl_b64 s[4:5], s[40:41], 2
	s_add_u32 s3, s22, s4
	s_addc_u32 s28, s23, s5
	s_lshl_b64 s[4:5], s[38:39], 2
	s_add_u32 s46, s3, s4
	s_movk_i32 s3, 0xf8
	s_addc_u32 s47, s28, s5
	s_lshl_b32 s30, s27, 7
	s_movk_i32 s28, 0x100
	v_mov_b32_e32 v91, 0
	v_lshlrev_b32_e32 v90, 4, v99
	v_ashrrev_i32_e32 v89, 31, v88
	s_mov_b32 s68, 0
	s_movk_i32 s6, 0x4000
	s_mov_b32 s39, 0x7060302
	s_movk_i32 s41, 0x2000
	s_movk_i32 s72, 0x3000
	v_mov_b32_e32 v155, 0x3fb8aa3b
	s_mov_b32 s74, 0
	s_waitcnt vmcnt(1)
	v_perm_b32 v33, v6, v14, s69
	s_waitcnt vmcnt(0)
	v_perm_b32 v34, v10, v18, s69
	v_perm_b32 v6, v6, v14, s70
	;; [unrolled: 1-line block ×15, first 2 shown]
	ds_write2st64_b32 v5, v33, v34 offset0:128 offset1:160
	ds_write2st64_b32 v22, v6, v10 offset0:128 offset1:160
	;; [unrolled: 1-line block ×8, first 2 shown]
	v_lshlrev_b32_e32 v5, 8, v25
	v_or_b32_e32 v116, v5, v27
	v_or_b32_e32 v117, v5, v28
	;; [unrolled: 1-line block ×3, first 2 shown]
	v_lshl_or_b32 v6, v5, 3, v4
	v_lshlrev_b32_e32 v5, 8, v5
	v_or_b32_e32 v120, v5, v27
	v_or_b32_e32 v121, v5, v28
	;; [unrolled: 1-line block ×5, first 2 shown]
	v_lshl_or_b32 v6, v5, 3, v4
	v_lshlrev_b32_e32 v5, 8, v5
	v_or_b32_e32 v124, v5, v27
	v_or_b32_e32 v125, v5, v28
	;; [unrolled: 1-line block ×3, first 2 shown]
	v_lshlrev_b32_e32 v5, 3, v5
	v_lshrrev_b32_e32 v7, 5, v47
	v_and_or_b32 v7, v5, s3, v7
	v_lshlrev_b32_e32 v7, 4, v7
	v_or_b32_e32 v122, 0x4000, v6
	v_or_b32_e32 v123, 0x6000, v6
	v_lshrrev_b32_e32 v6, 2, v47
	v_lshlrev_b32_e32 v9, 11, v1
	v_and_b32_e32 v5, 0x78, v5
	v_or_b32_e32 v13, 32, v7
	v_and_b32_e32 v8, 12, v6
	v_and_b32_e32 v6, 0x1000, v9
	v_lshrrev_b32_e32 v11, 1, v47
	v_xor_b32_e32 v13, v13, v5
	v_xor_b32_e32 v10, v7, v5
	v_and_b32_e32 v11, 8, v11
	v_or_b32_e32 v13, v13, v6
	v_or_b32_e32 v10, v10, v6
	v_xor_b32_e32 v128, v13, v11
	v_or_b32_e32 v13, 64, v7
	v_or_b32_e32 v7, 0x60, v7
	v_xor_b32_e32 v126, v10, v11
	v_lshlrev_b32_e32 v10, 8, v98
	v_xor_b32_e32 v13, v13, v5
	v_xor_b32_e32 v5, v7, v5
	s_ashr_i32 s3, s2, 31
	v_or_b32_e32 v12, v10, v23
	v_or_b32_e32 v13, v13, v6
	;; [unrolled: 1-line block ×3, first 2 shown]
	s_lshl_b64 s[4:5], s[2:3], 8
	v_lshlrev_b32_e32 v15, 2, v0
	v_lshlrev_b32_e32 v12, 1, v12
	v_xor_b32_e32 v132, v13, v11
	v_xor_b32_e32 v133, v5, v11
	v_lshlrev_b32_e32 v5, 1, v3
	v_add_lshl_u32 v3, v3, s27, 1
	v_or_b32_e32 v11, 0x100, v2
	s_add_u32 s4, s12, s4
	v_lshlrev_b32_e32 v6, 1, v99
	v_lshrrev_b32_e32 v16, 1, v0
	v_and_or_b32 v10, v15, 60, v10
	v_or_b32_e32 v127, 0x4000, v12
	v_or_b32_e32 v129, 0x4080, v12
	;; [unrolled: 1-line block ×8, first 2 shown]
	v_lshrrev_b32_e32 v12, 4, v0
	s_addc_u32 s5, s13, s5
	v_or_b32_e32 v7, 1, v6
	v_and_b32_e32 v16, 24, v16
	v_lshlrev_b32_e32 v10, 1, v10
	v_cndmask_b32_e64 v144, v5, v2, s[0:1]
	v_cndmask_b32_e64 v145, v3, v11, s[0:1]
	v_mov_b32_e32 v3, 0xa000
	v_mov_b32_e32 v5, 0x8000
	v_cmp_gt_u32_e64 s[0:1], s28, v0
	v_xor_b32_e32 v13, v12, v6
	v_xor_b32_e32 v14, v7, v12
	v_lshl_add_u64 v[6:7], s[4:5], 0, v[90:91]
	v_lshlrev_b32_e32 v90, 8, v12
	v_or_b32_e32 v140, 0x6000, v10
	v_or_b32_e32 v15, 32, v16
	;; [unrolled: 1-line block ×6, first 2 shown]
	v_cndmask_b32_e64 v3, v3, v5, s[0:1]
	v_lshlrev_b32_e32 v5, 3, v1
	v_lshl_or_b32 v138, v13, 3, v90
	v_and_b32_e32 v13, 8, v0
	v_xor_b32_e32 v11, v5, v16
	v_xor_b32_e32 v15, v5, v15
	;; [unrolled: 1-line block ×3, first 2 shown]
	v_mov_b32_e32 v17, 0x400
	v_cmp_eq_u32_e32 vcc, 0, v13
	v_or_b32_e32 v16, 0x440, v11
	v_or_b32_e32 v18, 0x440, v15
	v_xor_b32_e32 v10, 0x440, v5
	v_and_b32_e32 v12, 7, v0
	v_cndmask_b32_e64 v13, v17, 64, vcc
	v_cndmask_b32_e32 v16, v16, v11, vcc
	v_cndmask_b32_e32 v15, v18, v15, vcc
	;; [unrolled: 1-line block ×3, first 2 shown]
	v_lshl_or_b32 v139, v14, 3, v90
	v_lshlrev_b32_e32 v14, 3, v12
	v_or_b32_e32 v16, v16, v9
	v_or_b32_e32 v15, v15, v9
	v_or3_b32 v11, v9, v13, v11
	v_or_b32_e32 v5, v5, v9
	v_lshlrev_b32_e32 v12, 7, v12
	v_xor_b32_e32 v16, v16, v14
	v_xor_b32_e32 v15, v15, v14
	v_xor_b32_e32 v11, v11, v14
	v_xor_b32_e32 v5, v5, v14
	v_or_b32_e32 v2, v45, v8
	v_add_u32_e32 v17, v3, v16
	v_add_u32_e32 v18, v3, v15
	v_or_b32_e32 v146, v11, v12
	v_add_u32_e32 v9, v3, v5
	v_or3_b32 v8, v45, v8, 64
	v_add_u32_e32 v13, 0xa000, v16
	v_add_u32_e32 v14, 0xa000, v15
	;; [unrolled: 1-line block ×3, first 2 shown]
	v_lshlrev_b64 v[10:11], 1, v[88:89]
	v_lshl_add_u64 v[92:93], s[20:21], 0, v[10:11]
	v_lshl_add_u64 v[94:95], s[14:15], 0, v[10:11]
	;; [unrolled: 1-line block ×3, first 2 shown]
	s_add_i32 s3, s51, 63
	v_lshlrev_b32_e32 v90, 1, v4
	v_lshlrev_b32_e32 v89, 2, v2
	v_add_u32_e32 v147, v17, v12
	v_add_u32_e32 v148, v18, v12
	;; [unrolled: 1-line block ×4, first 2 shown]
	v_lshlrev_b32_e32 v151, 2, v8
	v_add_u32_e32 v152, v13, v12
	v_add_u32_e32 v153, v14, v12
	;; [unrolled: 1-line block ×3, first 2 shown]
	s_waitcnt lgkmcnt(0)
	s_barrier
.LBB73_6:                               ; =>This Inner Loop Header: Depth=1
	s_add_i32 s73, s74, 1
	s_cmp_lt_i32 s73, s59
	s_mov_b64 s[28:29], 0
	s_cselect_b64 s[48:49], -1, 0
	s_cmp_ge_i32 s73, s59
	s_mov_b64 s[4:5], 0
	s_cbranch_scc1 .LBB73_8
; %bb.7:                                ;   in Loop: Header=BB73_6 Depth=1
	s_add_i32 s0, s68, 64
	s_add_u32 s0, s44, s0
	s_addc_u32 s1, s45, 0
	s_lshl_b64 s[0:1], s[0:1], 8
	s_add_u32 s4, s18, s0
	s_addc_u32 s5, s19, s1
.LBB73_8:                               ;   in Loop: Header=BB73_6 Depth=1
	v_cndmask_b32_e64 v2, 0, 1, s[48:49]
	v_cmp_ne_u32_e64 s[0:1], 1, v2
	s_andn2_b64 vcc, exec, s[48:49]
	s_cbranch_vccnz .LBB73_10
; %bb.9:                                ;   in Loop: Header=BB73_6 Depth=1
	s_add_i32 s28, s68, 64
	s_add_u32 s28, s51, s28
	s_addc_u32 s29, s71, 0
	s_mul_i32 s31, s28, s60
	s_mul_hi_u32 s48, s28, s65
	s_add_i32 s31, s48, s31
	s_mul_i32 s29, s29, s65
	s_add_i32 s31, s31, s29
	s_mul_i32 s28, s28, s65
	s_add_u32 s28, s28, s61
	s_addc_u32 s29, s31, s66
	s_lshl_b64 s[28:29], s[28:29], 8
	s_add_u32 s28, s16, s28
	s_addc_u32 s29, s17, s29
.LBB73_10:                              ;   in Loop: Header=BB73_6 Depth=1
	v_perm_b32 v3, v87, v86, s39
	v_perm_b32 v2, v83, v82, s39
	v_perm_b32 v5, v85, v84, s39
	v_perm_b32 v4, v81, v80, s39
	ds_write_b64 v110, v[2:3]
	ds_write_b64 v111, v[4:5]
	ds_write_b64 v114, v[2:3]
	ds_write_b64 v115, v[4:5]
	v_perm_b32 v3, v79, v78, s39
	v_perm_b32 v2, v75, v74, s39
	v_perm_b32 v5, v77, v76, s39
	v_perm_b32 v4, v73, v72, s39
	ds_write_b64 v112, v[2:3]
	ds_write_b64 v113, v[4:5]
	ds_write_b64 v116, v[2:3]
	ds_write_b64 v117, v[4:5]
	;; [unrolled: 8-line block ×4, first 2 shown]
	s_waitcnt lgkmcnt(0)
	s_barrier
	ds_read_b64 v[6:7], v126 offset:49152
	ds_read2_b64 v[2:5], v127 offset1:16
	ds_read_b64 v[18:19], v129 offset:6144
	ds_read_b64 v[20:21], v127 offset:6144
	s_waitcnt lgkmcnt(2)
	v_mfma_f32_16x16x16_bf16 a[0:3], v[6:7], v[2:3], 0
	ds_read_b64 v[22:23], v128 offset:49152
	ds_read2st64_b64 v[10:13], v130 offset0:4 offset1:8
	ds_read2st64_b64 v[14:17], v131 offset0:4 offset1:8
	v_mfma_f32_16x16x16_bf16 a[4:7], v[6:7], v[4:5], 0
	ds_read2_b64 v[2:5], v127 offset0:32 offset1:48
	s_add_i32 s31, s68, 63
	s_mul_i32 s48, s31, s37
	s_waitcnt lgkmcnt(0)
	v_mfma_f32_16x16x16_bf16 a[8:11], v[6:7], v[2:3], 0
	s_mul_hi_u32 s49, s31, s36
	s_add_i32 s49, s49, s48
	s_mul_i32 s48, s31, s36
	v_mfma_f32_16x16x16_bf16 a[12:15], v[6:7], v[4:5], 0
	ds_read2st64_b64 v[2:5], v127 offset0:4 offset1:8
	ds_read2st64_b64 v[6:9], v129 offset0:4 offset1:8
	s_lshl_b64 s[48:49], s[48:49], 2
	s_waitcnt lgkmcnt(1)
	v_mfma_f32_16x16x16_bf16 a[0:3], v[22:23], v[2:3], a[0:3]
	s_add_u32 s48, s46, s48
	s_addc_u32 s49, s47, s49
	s_and_b64 vcc, exec, s[0:1]
	s_waitcnt lgkmcnt(0)
	v_mfma_f32_16x16x16_bf16 a[4:7], v[22:23], v[6:7], a[4:7]
	v_mov_b32_e32 v158, 0
	v_mov_b32_e32 v157, 0
	;; [unrolled: 1-line block ×3, first 2 shown]
	v_mfma_f32_16x16x16_bf16 a[8:11], v[22:23], v[10:11], a[8:11]
	ds_read_b64 v[2:3], v132 offset:49152
	ds_read_b64 v[6:7], v133 offset:49152
	;; [unrolled: 1-line block ×3, first 2 shown]
	v_mfma_f32_16x16x16_bf16 a[12:15], v[22:23], v[14:15], a[12:15]
	v_mov_b32_e32 v14, 0
	v_mov_b32_e32 v15, 0
	s_waitcnt lgkmcnt(2)
	v_mfma_f32_16x16x16_bf16 a[0:3], v[2:3], v[4:5], a[0:3]
	v_mov_b32_e32 v4, 0
	v_mov_b32_e32 v5, 0
	v_mfma_f32_16x16x16_bf16 a[4:7], v[2:3], v[8:9], a[4:7]
	v_mov_b32_e32 v8, 0
	v_mov_b32_e32 v9, 0
	;; [unrolled: 3-line block ×3, first 2 shown]
	v_mfma_f32_16x16x16_bf16 a[12:15], v[2:3], v[16:17], a[12:15]
	ds_read_b64 v[2:3], v130 offset:6144
	v_mov_b32_e32 v16, 0
	v_mov_b32_e32 v17, 0
	s_waitcnt lgkmcnt(2)
	v_mfma_f32_16x16x16_bf16 a[0:3], v[6:7], v[20:21], a[0:3]
	v_mfma_f32_16x16x16_bf16 a[4:7], v[6:7], v[18:19], a[4:7]
	s_waitcnt lgkmcnt(0)
	v_mfma_f32_16x16x16_bf16 a[8:11], v[6:7], v[2:3], a[8:11]
	v_mov_b32_e32 v2, 0
	v_mov_b32_e32 v3, 0
	v_mfma_f32_16x16x16_bf16 a[12:15], v[6:7], v[10:11], a[12:15]
	v_mov_b32_e32 v6, 0
	v_mov_b32_e32 v7, 0
	;; [unrolled: 1-line block ×4, first 2 shown]
	s_cbranch_vccnz .LBB73_12
; %bb.11:                               ;   in Loop: Header=BB73_6 Depth=1
	s_and_b32 s5, s5, 0xffff
	buffer_load_dwordx4 v[14:17], v106, s[4:7], 0 offen
	buffer_load_dwordx4 v[10:13], v106, s[4:7], s67 offen
	;; [unrolled: 1-line block ×4, first 2 shown]
	v_mov_b32_e32 v157, v108
	v_mov_b32_e32 v156, v109
.LBB73_12:                              ;   in Loop: Header=BB73_6 Depth=1
	ds_read_b64 v[38:39], v126 offset:57344
	ds_read2_b64 v[18:21], v134 offset1:16
	ds_read_b64 v[40:41], v128 offset:57344
	ds_read_b64 v[42:43], v132 offset:57344
	;; [unrolled: 1-line block ×3, first 2 shown]
	s_waitcnt lgkmcnt(3)
	v_mfma_f32_16x16x16_bf16 a[0:3], v[38:39], v[18:19], a[0:3]
	v_mfma_f32_16x16x16_bf16 a[4:7], v[38:39], v[20:21], a[4:7]
	ds_read2_b64 v[18:21], v134 offset0:32 offset1:48
	ds_read2st64_b64 v[22:25], v134 offset0:4 offset1:8
	ds_read2st64_b64 v[26:29], v135 offset0:4 offset1:8
	;; [unrolled: 1-line block ×4, first 2 shown]
	s_waitcnt lgkmcnt(4)
	v_mfma_f32_16x16x16_bf16 a[8:11], v[38:39], v[18:19], a[8:11]
	v_mfma_f32_16x16x16_bf16 a[12:15], v[38:39], v[20:21], a[12:15]
	v_add_u32_e32 v38, s68, v102
	v_ashrrev_i32_e32 v18, 31, v38
	v_mul_lo_u32 v20, v18, s36
	v_mul_lo_u32 v21, v38, s37
	v_mad_u64_u32 v[18:19], s[4:5], v38, s36, 0
	v_add3_u32 v19, v19, v21, v20
	v_add_u32_e32 v20, 1, v38
	v_ashrrev_i32_e32 v21, 31, v20
	s_waitcnt lgkmcnt(3)
	v_mfma_f32_16x16x16_bf16 a[0:3], v[40:41], v[22:23], a[0:3]
	v_mul_lo_u32 v22, v21, s36
	v_mul_lo_u32 v23, v20, s37
	v_mad_u64_u32 v[20:21], s[4:5], v20, s36, 0
	v_add3_u32 v21, v21, v23, v22
	v_add_u32_e32 v22, 2, v38
	v_ashrrev_i32_e32 v23, 31, v22
	s_waitcnt lgkmcnt(2)
	v_mfma_f32_16x16x16_bf16 a[4:7], v[40:41], v[26:27], a[4:7]
	v_mul_lo_u32 v26, v23, s36
	v_mul_lo_u32 v27, v22, s37
	v_mad_u64_u32 v[22:23], s[4:5], v22, s36, 0
	v_add3_u32 v23, v23, v27, v26
	v_add_u32_e32 v26, 3, v38
	v_lshl_add_u64 v[18:19], v[18:19], 2, s[46:47]
	v_lshl_add_u64 v[20:21], v[20:21], 2, s[46:47]
	v_ashrrev_i32_e32 v27, 31, v26
	s_waitcnt lgkmcnt(1)
	v_mfma_f32_16x16x16_bf16 a[8:11], v[40:41], v[30:31], a[8:11]
	v_mul_lo_u32 v27, v27, s36
	global_load_dword v30, v[18:19], off
	v_mul_lo_u32 v31, v26, s37
	s_waitcnt lgkmcnt(0)
	v_mfma_f32_16x16x16_bf16 a[12:15], v[40:41], v[34:35], a[12:15]
	global_load_dword v34, v[20:21], off
	v_mad_u64_u32 v[18:19], s[4:5], v26, s36, 0
	v_add3_u32 v19, v19, v31, v27
	s_add_u32 s4, s44, s68
	v_lshl_add_u64 v[22:23], v[22:23], 2, s[46:47]
	v_lshl_add_u64 v[18:19], v[18:19], 2, s[46:47]
	s_addc_u32 s5, s45, 0
	global_load_dword v31, v[22:23], off
	global_load_dword v35, v[18:19], off
	s_lshl_b64 s[4:5], s[4:5], 8
	v_lshl_add_u64 v[18:19], v[92:93], 0, s[4:5]
	v_lshl_add_u64 v[18:19], v[18:19], 0, v[90:91]
	global_load_ushort v38, v[18:19], off offset:256
	global_load_ushort v39, v[18:19], off
	global_load_ushort v40, v[18:19], off offset:768
	global_load_ushort v41, v[18:19], off offset:512
	;; [unrolled: 1-line block ×6, first 2 shown]
	s_load_dword s48, s[48:49], 0x0
	v_mfma_f32_16x16x16_bf16 a[12:15], v[42:43], v[36:37], a[12:15]
	global_load_ushort v36, v[18:19], off offset:320
	global_load_ushort v37, v[18:19], off offset:64
	s_and_b64 vcc, exec, s[0:1]
	v_mfma_f32_16x16x16_bf16 a[0:3], v[42:43], v[24:25], a[0:3]
	ds_read_b64 v[20:21], v134 offset:6144
	ds_read_b64 v[22:23], v135 offset:6144
	;; [unrolled: 1-line block ×4, first 2 shown]
	v_mfma_f32_16x16x16_bf16 a[4:7], v[42:43], v[28:29], a[4:7]
	s_waitcnt vmcnt(11) lgkmcnt(0)
	v_sub_f32_e32 v28, s48, v31
	v_mfma_f32_16x16x16_bf16 a[8:11], v[42:43], v[32:33], a[8:11]
	global_load_ushort v42, v[18:19], off offset:832
	global_load_ushort v43, v[18:19], off offset:576
	;; [unrolled: 1-line block ×6, first 2 shown]
	v_mfma_f32_16x16x16_bf16 a[0:3], v[160:161], v[20:21], a[0:3]
	s_waitcnt vmcnt(16)
	v_sub_f32_e32 v29, s48, v35
	v_mul_f32_e32 v28, 0x3fb8aa3b, v28
	v_mul_f32_e32 v29, 0x3fb8aa3b, v29
	v_exp_f32_e32 v28, v28
	v_exp_f32_e32 v29, v29
	s_waitcnt vmcnt(15)
	v_lshlrev_b32_e32 v33, 16, v38
	s_waitcnt vmcnt(14)
	v_lshlrev_b32_e32 v32, 16, v39
	v_accvgpr_read_b32 v21, a3
	v_accvgpr_read_b32 v20, a2
	v_mfma_f32_16x16x16_bf16 a[2:5], v[160:161], v[22:23], a[4:7]
	v_mfma_f32_16x16x16_bf16 a[6:9], v[160:161], v[24:25], a[8:11]
	s_nop 5
	v_accvgpr_read_b32 v23, a5
	v_accvgpr_read_b32 v22, a4
	;; [unrolled: 1-line block ×4, first 2 shown]
	v_mfma_f32_16x16x16_bf16 a[8:11], v[160:161], v[26:27], a[12:15]
	v_sub_f32_e32 v26, s48, v30
	v_sub_f32_e32 v27, s48, v34
	v_mul_f32_e32 v26, 0x3fb8aa3b, v26
	v_mul_f32_e32 v27, 0x3fb8aa3b, v27
	v_exp_f32_e32 v26, v26
	v_exp_f32_e32 v27, v27
	v_accvgpr_read_b32 v35, a1
	v_accvgpr_read_b32 v34, a0
	v_lshl_add_u64 v[30:31], v[94:95], 0, s[4:5]
	v_pk_add_f32 v[32:33], v[32:33], v[34:35] neg_lo:[0,1] neg_hi:[0,1]
	s_waitcnt vmcnt(13)
	v_lshlrev_b32_e32 v35, 16, v40
	s_waitcnt vmcnt(12)
	v_lshlrev_b32_e32 v34, 16, v41
	v_lshl_add_u64 v[30:31], v[30:31], 0, v[90:91]
	v_pk_add_f32 v[20:21], v[34:35], v[20:21] neg_lo:[0,1] neg_hi:[0,1]
	global_store_short_d16_hi v[30:31], v32, off
	global_store_short_d16_hi v[30:31], v33, off offset:256
	global_store_short_d16_hi v[30:31], v20, off offset:512
	;; [unrolled: 1-line block ×3, first 2 shown]
	v_pk_mul_f32 v[32:33], v[26:27], v[32:33]
	v_pk_mul_f32 v[20:21], v[28:29], v[20:21]
	v_accvgpr_read_b32 v35, a3
	v_perm_b32 v21, v21, v20, s39
	v_perm_b32 v20, v33, v32, s39
	s_waitcnt vmcnt(15)
	v_lshlrev_b32_e32 v33, 16, v44
	s_waitcnt vmcnt(14)
	v_lshlrev_b32_e32 v32, 16, v159
	v_accvgpr_read_b32 v34, a2
	v_pk_add_f32 v[32:33], v[32:33], v[34:35] neg_lo:[0,1] neg_hi:[0,1]
	s_waitcnt vmcnt(13)
	v_lshlrev_b32_e32 v35, 16, v162
	s_waitcnt vmcnt(12)
	v_lshlrev_b32_e32 v34, 16, v163
	v_pk_add_f32 v[22:23], v[34:35], v[22:23] neg_lo:[0,1] neg_hi:[0,1]
	global_store_short_d16_hi v[30:31], v32, off offset:32
	global_store_short_d16_hi v[30:31], v33, off offset:288
	;; [unrolled: 1-line block ×4, first 2 shown]
	v_pk_mul_f32 v[32:33], v[26:27], v[32:33]
	v_pk_mul_f32 v[22:23], v[28:29], v[22:23]
	v_accvgpr_read_b32 v25, a11
	v_perm_b32 v23, v23, v22, s39
	v_perm_b32 v22, v33, v32, s39
	ds_write2_b64 v111, v[20:21], v[22:23] offset1:16
	v_accvgpr_read_b32 v23, a7
	s_waitcnt vmcnt(15)
	v_lshlrev_b32_e32 v21, 16, v36
	s_waitcnt vmcnt(14)
	v_lshlrev_b32_e32 v20, 16, v37
	v_accvgpr_read_b32 v22, a6
	v_pk_add_f32 v[20:21], v[20:21], v[22:23] neg_lo:[0,1] neg_hi:[0,1]
	global_store_short_d16_hi v[30:31], v20, off offset:64
	global_store_short_d16_hi v[30:31], v21, off offset:320
	v_pk_mul_f32 v[20:21], v[26:27], v[20:21]
	v_accvgpr_read_b32 v24, a10
	v_perm_b32 v20, v21, v20, s39
	v_mov_b32_e32 v159, 0
	v_mov_b32_e32 v32, 0
	;; [unrolled: 1-line block ×3, first 2 shown]
	s_waitcnt vmcnt(15)
	v_lshlrev_b32_e32 v23, 16, v42
	s_waitcnt vmcnt(14)
	v_lshlrev_b32_e32 v22, 16, v43
	v_pk_add_f32 v[18:19], v[22:23], v[18:19] neg_lo:[0,1] neg_hi:[0,1]
	global_store_short_d16_hi v[30:31], v18, off offset:576
	global_store_short_d16_hi v[30:31], v19, off offset:832
	v_pk_mul_f32 v[18:19], v[28:29], v[18:19]
	v_accvgpr_read_b32 v23, a9
	v_perm_b32 v21, v19, v18, s39
	s_waitcnt vmcnt(15)
	v_lshlrev_b32_e32 v19, 16, v164
	s_waitcnt vmcnt(14)
	v_lshlrev_b32_e32 v18, 16, v165
	v_accvgpr_read_b32 v22, a8
	v_pk_add_f32 v[18:19], v[18:19], v[22:23] neg_lo:[0,1] neg_hi:[0,1]
	s_waitcnt vmcnt(13)
	v_lshlrev_b32_e32 v23, 16, v166
	s_waitcnt vmcnt(12)
	v_lshlrev_b32_e32 v22, 16, v167
	v_pk_add_f32 v[22:23], v[22:23], v[24:25] neg_lo:[0,1] neg_hi:[0,1]
	global_store_short_d16_hi v[30:31], v18, off offset:96
	global_store_short_d16_hi v[30:31], v19, off offset:352
	;; [unrolled: 1-line block ×4, first 2 shown]
	v_pk_mul_f32 v[18:19], v[26:27], v[18:19]
	v_pk_mul_f32 v[22:23], v[28:29], v[22:23]
	v_mov_b32_e32 v24, 0
	v_perm_b32 v23, v23, v22, s39
	v_perm_b32 v22, v19, v18, s39
	ds_write2_b64 v111, v[20:21], v[22:23] offset0:32 offset1:48
	v_mov_b32_e32 v18, 0
	v_mov_b32_e32 v19, 0
	;; [unrolled: 1-line block ×13, first 2 shown]
	s_cbranch_vccnz .LBB73_14
; %bb.13:                               ;   in Loop: Header=BB73_6 Depth=1
	s_and_b32 s29, s29, 0xffff
	s_mov_b32 s31, s7
	buffer_load_dwordx4 v[30:33], v144, s[28:31], 0 offen
	buffer_load_dwordx4 v[22:25], v144, s[28:31], s67 offen
	;; [unrolled: 1-line block ×4, first 2 shown]
	v_mov_b32_e32 v158, v105
	v_mov_b32_e32 v159, v104
.LBB73_14:                              ;   in Loop: Header=BB73_6 Depth=1
	s_waitcnt lgkmcnt(0)
	s_barrier
	ds_read_b64 v[42:43], v147
	ds_read2_b64 v[34:37], v140 offset1:16
	ds_read_b64 v[176:177], v148
	ds_read_b64 v[178:179], v149
	;; [unrolled: 1-line block ×3, first 2 shown]
	ds_read2_b64 v[38:41], v140 offset0:32 offset1:48
	ds_read2st64_b64 v[160:163], v140 offset0:4 offset1:8
	ds_read2st64_b64 v[164:167], v141 offset0:4 offset1:8
	;; [unrolled: 1-line block ×4, first 2 shown]
	s_waitcnt lgkmcnt(8)
	v_mfma_f32_16x16x16_bf16 a[0:3], v[42:43], v[34:35], 0
	s_add_i32 s4, s62, s74
	s_mul_hi_i32 s5, s4, s25
	s_mul_i32 s4, s4, s25
	v_mfma_f32_16x16x16_bf16 a[4:7], v[42:43], v[36:37], 0
	s_add_u32 s4, s4, s33
	s_addc_u32 s5, s5, s50
	s_add_i32 s28, s3, s68
	s_waitcnt lgkmcnt(4)
	v_mfma_f32_16x16x16_bf16 a[8:11], v[42:43], v[38:39], 0
	s_lshl_b64 s[4:5], s[4:5], 15
	s_mul_hi_i32 s29, s28, s25
	s_mul_i32 s28, s28, s25
	v_mfma_f32_16x16x16_bf16 a[12:15], v[42:43], v[40:41], 0
	ds_read_b64 v[42:43], v140 offset:6144
	ds_read_b64 v[188:189], v141 offset:6144
	;; [unrolled: 1-line block ×4, first 2 shown]
	s_add_u32 s28, s28, s33
	s_waitcnt lgkmcnt(7)
	v_mfma_f32_16x16x16_bf16 a[0:3], v[176:177], v[160:161], a[0:3]
	s_addc_u32 s29, s29, s50
	s_lshl_b64 s[28:29], s[28:29], 9
	s_add_u32 s28, s8, s28
	s_waitcnt lgkmcnt(6)
	v_mfma_f32_16x16x16_bf16 a[4:7], v[176:177], v[164:165], a[4:7]
	s_addc_u32 s29, s9, s29
	v_lshl_add_u64 v[198:199], v[96:97], 0, s[4:5]
	s_waitcnt lgkmcnt(5)
	v_mfma_f32_16x16x16_bf16 a[8:11], v[176:177], v[168:169], a[8:11]
	s_waitcnt lgkmcnt(4)
	v_mfma_f32_16x16x16_bf16 a[12:15], v[176:177], v[172:173], a[12:15]
	ds_read_b64 v[176:177], v152
	ds_read_b64 v[186:187], v153
	;; [unrolled: 1-line block ×3, first 2 shown]
	s_waitcnt lgkmcnt(2)
	v_mfma_f32_16x16x16_bf16 a[16:19], v[176:177], v[34:35], 0
	v_mfma_f32_16x16x16_bf16 a[20:23], v[176:177], v[36:37], 0
	global_load_dwordx4 v[34:37], v151, s[28:29]
	v_mfma_f32_16x16x16_bf16 a[24:27], v[176:177], v[38:39], 0
	v_mfma_f32_16x16x16_bf16 a[28:31], v[176:177], v[40:41], 0
	global_load_dwordx4 v[38:41], v89, s[28:29]
	v_mfma_f32_16x16x16_bf16 a[0:3], v[178:179], v[162:163], a[0:3]
	v_mfma_f32_16x16x16_bf16 a[4:7], v[178:179], v[166:167], a[4:7]
	;; [unrolled: 1-line block ×8, first 2 shown]
	ds_read2st64_b64 v[176:179], v138 offset1:8
	ds_read2st64_b64 v[180:183], v139 offset1:8
	ds_read_b64 v[196:197], v146 offset:40960
	s_waitcnt lgkmcnt(2)
	v_mov_b32_e32 v184, v176
	v_mfma_f32_16x16x16_bf16 a[16:19], v[186:187], v[160:161], a[16:19]
	v_mov_b32_e32 v185, v177
	v_mfma_f32_16x16x16_bf16 a[20:23], v[186:187], v[164:165], a[20:23]
	v_mfma_f32_16x16x16_bf16 a[24:27], v[186:187], v[168:169], a[24:27]
	;; [unrolled: 1-line block ×3, first 2 shown]
	v_add_co_u32_e32 v172, vcc, s41, v198
	s_waitcnt lgkmcnt(1)
	v_mov_b32_e32 v186, v180
	s_waitcnt lgkmcnt(0)
	v_mfma_f32_16x16x16_bf16 a[16:19], v[196:197], v[162:163], a[16:19]
	ds_read2st64_b64 v[160:163], v138 offset0:16 offset1:24
	v_addc_co_u32_e32 v173, vcc, 0, v199, vcc
	v_mfma_f32_16x16x16_bf16 a[20:23], v[196:197], v[166:167], a[20:23]
	ds_read2st64_b64 v[164:167], v139 offset0:16 offset1:24
	v_mov_b32_e32 v187, v181
	v_mov_b32_e32 v180, v178
	v_mfma_f32_16x16x16_bf16 a[32:35], v[196:197], v[170:171], a[24:27]
	v_mov_b32_e32 v181, v179
	s_waitcnt lgkmcnt(0)
	v_mov_b32_e32 v170, v164
	v_mov_b32_e32 v171, v165
	v_mfma_f32_16x16x16_bf16 a[36:39], v[196:197], v[174:175], a[28:31]
	v_mov_b32_e32 v164, v162
	v_mov_b32_e32 v165, v163
	;; [unrolled: 1-line block ×3, first 2 shown]
	v_mfma_f32_16x16x16_bf16 a[24:27], v[194:195], v[42:43], a[16:19]
	v_add_co_u32_e32 v42, vcc, s72, v198
	v_mov_b32_e32 v169, v161
	v_mfma_f32_16x16x16_bf16 a[28:31], v[194:195], v[188:189], a[20:23]
	v_addc_co_u32_e32 v43, vcc, 0, v199, vcc
	global_store_dwordx4 v[42:43], v[164:167], off
	v_mfma_f32_16x16x16_bf16 a[16:19], v[194:195], v[190:191], a[32:35]
	s_waitcnt vmcnt(2)
	v_mov_b32_e32 v44, v37
	v_mov_b32_e32 v43, v36
	;; [unrolled: 1-line block ×3, first 2 shown]
	v_mfma_f32_16x16x16_bf16 a[20:23], v[194:195], v[192:193], a[36:39]
	s_and_b64 vcc, exec, s[0:1]
	global_store_dwordx4 v[198:199], v[184:187], off
	global_store_dwordx4 v[172:173], v[180:183], off offset:-4096
	global_store_dwordx4 v[172:173], v[168:171], off
	s_cbranch_vccnz .LBB73_16
; %bb.15:                               ;   in Loop: Header=BB73_6 Depth=1
	v_lshrrev_b32_e32 v35, 3, v158
	v_and_b32_e32 v35, 6, v35
	v_xor_b32_e32 v36, v35, v159
	v_lshlrev_b32_e32 v36, 2, v36
	v_and_b32_e32 v37, 8, v158
	v_xor_b32_e32 v158, 0x440, v36
	v_cmp_eq_u32_e32 vcc, 0, v37
	v_perm_b32 v37, v22, v18, s69
	s_nop 0
	v_cndmask_b32_e32 v36, v158, v36, vcc
	v_lshl_or_b32 v35, v35, 10, v36
	v_perm_b32 v36, v30, v26, s69
	s_barrier
	ds_write2st64_b32 v35, v36, v37 offset0:128 offset1:160
	v_xor_b32_e32 v36, 8, v35
	v_perm_b32 v26, v30, v26, s70
	v_perm_b32 v18, v22, v18, s70
	v_add_u32_e32 v22, 0x80, v36
	ds_write2st64_b32 v22, v26, v18 offset0:128 offset1:160
	v_xor_b32_e32 v18, 16, v35
	v_perm_b32 v22, v31, v27, s69
	v_perm_b32 v26, v23, v19, s69
	ds_write2st64_b32 v18, v22, v26 offset0:129 offset1:161
	v_xor_b32_e32 v18, 24, v35
	v_perm_b32 v22, v31, v27, s70
	v_perm_b32 v19, v23, v19, s70
	v_add_u32_e32 v18, 0x80, v18
	ds_write2st64_b32 v18, v22, v19 offset0:129 offset1:161
	v_xor_b32_e32 v18, 32, v35
	v_perm_b32 v19, v32, v28, s69
	v_perm_b32 v22, v24, v20, s69
	;; [unrolled: 9-line block ×3, first 2 shown]
	ds_write2st64_b32 v18, v19, v20 offset0:131 offset1:163
	v_xor_b32_e32 v18, 56, v35
	v_perm_b32 v19, v33, v29, s70
	v_perm_b32 v20, v25, v21, s70
	v_add_u32_e32 v18, 0x80, v18
	ds_write2st64_b32 v18, v19, v20 offset0:131 offset1:163
	ds_write_b64 v157, v[14:15] offset:49152
	v_xor_b32_e32 v14, 8, v157
	ds_write_b64 v14, v[16:17] offset:49152
	ds_write_b64 v157, v[10:11] offset:57344
	;; [unrolled: 1-line block ×4, first 2 shown]
	v_xor_b32_e32 v6, 8, v156
	ds_write_b64 v6, v[8:9] offset:49152
	ds_write_b64 v156, v[2:3] offset:57344
	;; [unrolled: 1-line block ×3, first 2 shown]
.LBB73_16:                              ;   in Loop: Header=BB73_6 Depth=1
	v_mul_f32_e32 v26, s48, v155
	v_exp_f32_e32 v36, v26
	s_waitcnt vmcnt(4)
	v_mul_f32_e32 v26, 0x3fb8aa3b, v38
	v_exp_f32_e32 v38, v26
	v_mul_f32_e32 v26, 0x3fb8aa3b, v39
	v_exp_f32_e32 v39, v26
	;; [unrolled: 2-line block ×4, first 2 shown]
	v_accvgpr_read_b32 v5, a3
	v_accvgpr_read_b32 v4, a2
	;; [unrolled: 1-line block ×4, first 2 shown]
	v_pk_mul_f32 v[38:39], v[36:37], v[38:39] op_sel_hi:[0,1]
	v_pk_mul_f32 v[40:41], v[36:37], v[40:41] op_sel_hi:[0,1]
	v_pk_fma_f32 v[82:83], v[82:83], v[38:39], v[2:3]
	v_pk_fma_f32 v[86:87], v[86:87], v[40:41], v[4:5]
	v_mul_f32_e32 v2, 0x3fb8aa3b, v34
	v_mul_f32_e32 v3, 0x3fb8aa3b, v42
	;; [unrolled: 1-line block ×4, first 2 shown]
	v_exp_f32_e32 v2, v2
	v_exp_f32_e32 v3, v3
	;; [unrolled: 1-line block ×4, first 2 shown]
	v_accvgpr_read_b32 v9, a7
	v_accvgpr_read_b32 v13, a11
	;; [unrolled: 1-line block ×28, first 2 shown]
	v_pk_mul_f32 v[2:3], v[36:37], v[2:3] op_sel_hi:[0,1]
	v_pk_mul_f32 v[4:5], v[36:37], v[4:5] op_sel_hi:[0,1]
	s_add_i32 s68, s68, 64
	v_pk_fma_f32 v[74:75], v[38:39], v[74:75], v[6:7]
	v_pk_fma_f32 v[78:79], v[40:41], v[78:79], v[8:9]
	;; [unrolled: 1-line block ×13, first 2 shown]
	s_cmp_eq_u32 s59, s73
	v_pk_fma_f32 v[60:61], v[4:5], v[60:61], v[32:33]
	s_cbranch_scc1 .LBB73_18
; %bb.17:                               ;   in Loop: Header=BB73_6 Depth=1
	s_mov_b32 s74, s73
	s_branch .LBB73_6
.LBB73_18:
	s_lshl_b32 s45, s59, 6
	s_sub_i32 s48, s24, s45
	s_cmp_gt_i32 s48, 0
	s_cbranch_scc0 .LBB73_99
; %bb.19:
	s_ashr_i32 s3, s45, 31
	s_cmpk_lg_i32 s27, 0x80
	s_cselect_b64 s[30:31], -1, 0
	s_and_b64 vcc, exec, s[30:31]
	s_cbranch_vccz .LBB73_21
; %bb.20:
	s_mul_hi_i32 s0, s58, s24
	s_add_u32 s1, s51, s45
	s_addc_u32 s0, s0, s3
	s_mul_i32 s4, s1, s60
	s_mul_hi_u32 s5, s1, s26
	s_add_i32 s4, s5, s4
	s_mul_i32 s0, s0, s26
	s_add_i32 s4, s4, s0
	s_mul_i32 s1, s1, s26
	s_ashr_i32 s0, s61, 31
	s_add_u32 s46, s1, s61
	s_addc_u32 s47, s4, s0
	s_cbranch_execz .LBB73_22
	s_branch .LBB73_23
.LBB73_21:
                                        ; implicit-def: $sgpr46_sgpr47
.LBB73_22:
	s_mul_hi_i32 s0, s58, s26
	s_mul_i32 s58, s58, s26
	s_ashr_i32 s1, s61, 31
	s_add_u32 s4, s58, s61
	s_addc_u32 s0, s0, s1
	s_mul_i32 s1, s4, s57
	s_mul_hi_u32 s5, s4, s24
	s_add_i32 s1, s5, s1
	s_mul_i32 s0, s0, s24
	s_add_i32 s1, s1, s0
	s_mul_i32 s4, s4, s24
	s_add_u32 s46, s4, s45
	s_addc_u32 s47, s1, s3
.LBB73_23:
	s_mul_i32 s0, s42, s57
	s_add_i32 s0, s64, s0
	s_add_i32 s4, s62, s59
	s_add_i32 s1, s0, s63
	s_add_u32 s0, s44, s45
	v_lshlrev_b32_e32 v6, 6, v102
	v_lshlrev_b32_e32 v25, 2, v99
	s_addc_u32 s1, s1, s3
	s_mov_b32 s3, 0x7060302
	v_or_b32_e32 v9, v6, v25
	v_xor_b32_e32 v7, v102, v25
	v_perm_b32 v3, v87, v86, s3
	v_perm_b32 v2, v83, v82, s3
	;; [unrolled: 1-line block ×4, first 2 shown]
	v_lshlrev_b32_e32 v9, 1, v9
	v_xor_b32_e32 v8, v103, v25
	ds_write2st64_b64 v9, v[2:3], v[4:5] offset0:32 offset1:48
	v_lshlrev_b32_e32 v7, 1, v7
	v_lshlrev_b32_e32 v9, 8, v99
	v_or_b32_e32 v10, v7, v9
	v_lshlrev_b32_e32 v8, 1, v8
	ds_write_b64 v10, v[2:3]
	v_or_b32_e32 v2, v8, v9
	v_or_b32_e32 v9, 16, v99
	v_lshlrev_b32_e32 v23, 2, v9
	v_or_b32_e32 v10, v6, v23
	ds_write_b64 v2, v[4:5]
	v_perm_b32 v3, v79, v78, s3
	v_perm_b32 v2, v75, v74, s3
	;; [unrolled: 1-line block ×4, first 2 shown]
	v_lshlrev_b32_e32 v10, 1, v10
	v_lshlrev_b32_e32 v9, 8, v9
	ds_write2st64_b64 v10, v[2:3], v[4:5] offset0:32 offset1:48
	v_or_b32_e32 v10, v7, v9
	ds_write_b64 v10, v[2:3]
	v_or_b32_e32 v2, v8, v9
	v_or_b32_e32 v9, 32, v99
	v_lshlrev_b32_e32 v22, 2, v9
	v_or_b32_e32 v10, v6, v22
	ds_write_b64 v2, v[4:5]
	v_perm_b32 v3, v71, v70, s3
	v_perm_b32 v2, v67, v66, s3
	;; [unrolled: 1-line block ×4, first 2 shown]
	v_lshlrev_b32_e32 v10, 1, v10
	v_lshlrev_b32_e32 v9, 8, v9
	s_lshl_b64 s[28:29], s[0:1], 8
	ds_write2st64_b64 v10, v[2:3], v[4:5] offset0:32 offset1:48
	v_or_b32_e32 v10, v7, v9
	s_add_u32 s0, s18, s28
	ds_write_b64 v10, v[2:3]
	v_or_b32_e32 v2, v8, v9
	s_addc_u32 s1, s19, s29
	ds_write_b64 v2, v[4:5]
	v_perm_b32 v3, v63, v62, s3
	v_perm_b32 v2, v59, v58, s3
	;; [unrolled: 1-line block ×4, first 2 shown]
	v_or_b32_e32 v9, 48, v99
	s_mul_hi_i32 s3, s4, s25
	s_mul_i32 s4, s4, s25
	v_lshlrev_b32_e32 v19, 2, v9
	s_add_u32 s4, s4, s33
	v_or_b32_e32 v6, v6, v19
	s_addc_u32 s5, s3, s50
	v_lshlrev_b32_e32 v6, 1, v6
	s_ashr_i32 s3, s2, 31
	s_lshl_b64 s[4:5], s[4:5], 15
	ds_write2st64_b64 v6, v[2:3], v[4:5] offset0:32 offset1:48
	v_lshlrev_b32_e32 v6, 8, v9
	s_add_u32 s4, s12, s4
	v_or_b32_e32 v7, v7, v6
	s_addc_u32 s5, s13, s5
	s_lshl_b64 s[2:3], s[2:3], 8
	ds_write_b64 v7, v[2:3]
	v_or_b32_e32 v2, v8, v6
	s_add_u32 s2, s4, s2
	v_lshlrev_b32_e32 v3, 1, v99
	ds_write_b64 v2, v[4:5]
	v_lshrrev_b32_e32 v2, 4, v0
	s_addc_u32 s3, s5, s3
	v_or_b32_e32 v4, 1, v3
	v_lshlrev_b32_e32 v10, 4, v99
	v_mov_b32_e32 v11, 0
	v_xor_b32_e32 v3, v2, v3
	v_xor_b32_e32 v6, v4, v2
	v_lshl_add_u64 v[12:13], s[2:3], 0, v[10:11]
	v_lshlrev_b32_e32 v10, 8, v2
	v_lshl_or_b32 v16, v3, 3, v10
	v_lshl_or_b32 v17, v6, 3, v10
	s_waitcnt lgkmcnt(0)
	s_barrier
	ds_read2st64_b64 v[2:5], v16 offset1:8
	ds_read2st64_b64 v[6:9], v17 offset1:8
	v_lshl_add_u64 v[14:15], v[12:13], 0, v[10:11]
	s_movk_i32 s2, 0x2000
	s_cmp_lg_u32 s48, 64
	s_waitcnt lgkmcnt(1)
	v_mov_b32_e32 v10, v2
	v_mov_b32_e32 v11, v3
	s_waitcnt lgkmcnt(0)
	v_mov_b32_e32 v12, v6
	v_mov_b32_e32 v13, v7
	global_store_dwordx4 v[14:15], v[10:13], off
	v_mov_b32_e32 v6, v4
	v_mov_b32_e32 v7, v5
	ds_read2st64_b64 v[2:5], v16 offset0:16 offset1:24
	ds_read2st64_b64 v[10:13], v17 offset0:16 offset1:24
	v_add_co_u32_e32 v16, vcc, s2, v14
	s_cselect_b64 s[18:19], -1, 0
	s_nop 0
	v_addc_co_u32_e32 v17, vcc, 0, v15, vcc
	global_store_dwordx4 v[16:17], v[6:9], off offset:-4096
	v_lshl_or_b32 v30, v1, 3, v101
	s_mov_b32 s4, 0
	s_waitcnt lgkmcnt(1)
	v_mov_b32_e32 v6, v2
	v_add_co_u32_e32 v2, vcc, 0x3000, v14
	v_mov_b32_e32 v7, v3
	s_nop 0
	v_addc_co_u32_e32 v3, vcc, 0, v15, vcc
	s_waitcnt lgkmcnt(0)
	v_mov_b32_e32 v8, v10
	v_mov_b32_e32 v9, v11
	;; [unrolled: 1-line block ×4, first 2 shown]
	v_or_b32_e32 v20, 32, v30
	v_and_b32_e32 v18, 56, v100
	s_and_b64 vcc, exec, s[18:19]
	global_store_dwordx4 v[16:17], v[6:9], off
	global_store_dwordx4 v[2:3], v[10:13], off
	s_cbranch_vccz .LBB73_29
; %bb.24:
	s_mov_b32 s6, s4
	s_mov_b32 s7, s4
	;; [unrolled: 1-line block ×3, first 2 shown]
	v_mov_b64_e32 v[8:9], s[6:7]
	v_mov_b64_e32 v[6:7], s[4:5]
	;; [unrolled: 1-line block ×3, first 2 shown]
	v_cmp_gt_i32_e32 vcc, s48, v30
	v_mov_b64_e32 v[4:5], v[8:9]
	s_and_saveexec_b64 s[2:3], vcc
	s_cbranch_execz .LBB73_26
; %bb.25:
	v_lshlrev_b32_e32 v2, 8, v30
	v_mov_b32_e32 v3, 0
	v_lshl_add_u64 v[4:5], s[0:1], 0, v[2:3]
	v_lshlrev_b32_e32 v2, 1, v18
	v_lshl_add_u64 v[10:11], v[4:5], 0, v[2:3]
	global_load_dwordx4 v[6:9], v[10:11], off
	global_load_dwordx4 v[2:5], v[10:11], off offset:128
.LBB73_26:
	s_or_b64 exec, exec, s[2:3]
	s_mov_b32 s6, s4
	s_mov_b32 s7, s4
	;; [unrolled: 1-line block ×3, first 2 shown]
	v_mov_b64_e32 v[16:17], s[6:7]
	v_mov_b64_e32 v[14:15], s[4:5]
	;; [unrolled: 1-line block ×3, first 2 shown]
	v_cmp_gt_i32_e32 vcc, s48, v20
	v_lshlrev_b32_e32 v21, 7, v20
	v_mov_b64_e32 v[12:13], v[16:17]
	s_and_saveexec_b64 s[2:3], vcc
	s_cbranch_execz .LBB73_28
; %bb.27:
	v_lshlrev_b32_e32 v10, 1, v21
	v_mov_b32_e32 v11, 0
	v_lshl_add_u64 v[12:13], s[0:1], 0, v[10:11]
	v_lshlrev_b32_e32 v10, 1, v18
	v_lshl_add_u64 v[26:27], v[12:13], 0, v[10:11]
	global_load_dwordx4 v[14:17], v[26:27], off
	global_load_dwordx4 v[10:13], v[26:27], off offset:128
.LBB73_28:
	s_or_b64 exec, exec, s[2:3]
	v_lshrrev_b32_e32 v24, 3, v18
	v_lshlrev_b32_e32 v26, 3, v30
	v_or_b32_e32 v24, v26, v24
	v_lshlrev_b32_e32 v24, 4, v24
	v_and_b32_e32 v26, 0x78, v26
	v_xor_b32_e32 v24, v24, v26
	s_branch .LBB73_31
.LBB73_29:
                                        ; implicit-def: $vgpr24
                                        ; implicit-def: $vgpr21
                                        ; implicit-def: $vgpr6_vgpr7_vgpr8_vgpr9
                                        ; implicit-def: $vgpr2_vgpr3_vgpr4_vgpr5
                                        ; implicit-def: $vgpr14_vgpr15_vgpr16_vgpr17
                                        ; implicit-def: $vgpr10_vgpr11_vgpr12_vgpr13
	s_cbranch_execz .LBB73_31
; %bb.30:
	s_waitcnt vmcnt(0)
	v_lshlrev_b32_e32 v2, 1, v18
	v_lshl_or_b32 v21, v30, 8, v2
	s_and_b32 s1, s1, 0xffff
	s_mov_b32 s3, 0x20000
	s_movk_i32 s2, 0x4000
	v_lshl_or_b32 v24, v20, 8, v2
	s_movk_i32 s4, 0x80
	buffer_load_dwordx4 v[6:9], v21, s[0:3], 0 offen
	buffer_load_dwordx4 v[2:5], v21, s[0:3], s4 offen
	;; [unrolled: 1-line block ×4, first 2 shown]
	v_lshrrev_b32_e32 v21, 3, v18
	v_lshlrev_b32_e32 v24, 3, v30
	v_or_b32_e32 v21, v24, v21
	v_lshlrev_b32_e32 v21, 4, v21
	v_and_b32_e32 v24, 0x78, v24
	v_xor_b32_e32 v24, v21, v24
	v_lshlrev_b32_e32 v21, 7, v20
.LBB73_31:
	s_movk_i32 s0, 0x1000
	v_and_or_b32 v20, v21, s0, v24
	s_waitcnt vmcnt(1)
	ds_write_b64 v24, v[6:7] offset:49152
	v_xor_b32_e32 v6, 8, v24
	ds_write_b64 v6, v[8:9] offset:49152
	s_waitcnt vmcnt(0)
	ds_write_b64 v24, v[2:3] offset:57344
	ds_write_b64 v6, v[4:5] offset:57344
	;; [unrolled: 1-line block ×3, first 2 shown]
	v_xor_b32_e32 v2, 8, v20
	ds_write_b64 v2, v[16:17] offset:49152
	ds_write_b64 v20, v[10:11] offset:57344
	;; [unrolled: 1-line block ×3, first 2 shown]
	v_or_b32_e32 v2, v45, v99
	v_lshlrev_b32_e32 v2, 3, v2
	v_lshrrev_b32_e32 v3, 5, v47
	s_movk_i32 s0, 0xf8
	v_and_or_b32 v3, v2, s0, v3
	v_lshlrev_b32_e32 v7, 4, v3
	v_lshlrev_b32_e32 v24, 11, v1
	v_and_b32_e32 v8, 0x78, v2
	v_or_b32_e32 v10, 32, v7
	v_and_b32_e32 v6, 0x1000, v24
	v_lshrrev_b32_e32 v3, 1, v47
	v_xor_b32_e32 v10, v10, v8
	v_xor_b32_e32 v2, v7, v8
	v_and_b32_e32 v9, 8, v3
	v_or_b32_e32 v10, v10, v6
	v_or_b32_e32 v2, v2, v6
	v_xor_b32_e32 v32, v10, v9
	v_or_b32_e32 v10, 64, v7
	v_xor_b32_e32 v31, v2, v9
	v_xor_b32_e32 v10, v10, v8
	s_waitcnt lgkmcnt(0)
	s_barrier
	v_or_b32_e32 v13, v10, v6
	ds_read_b64 v[10:11], v31 offset:49152
	v_lshl_or_b32 v14, v98, 8, v25
	v_lshlrev_b32_e32 v26, 1, v14
	v_add_u32_e32 v12, 0x4000, v26
	ds_read2_b64 v[2:5], v12 offset1:16
	v_or_b32_e32 v7, 0x60, v7
	v_xor_b32_e32 v7, v7, v8
	v_or_b32_e32 v6, v7, v6
	v_xor_b32_e32 v33, v13, v9
	v_xor_b32_e32 v34, v6, v9
	ds_read_b64 v[20:21], v32 offset:49152
	ds_read_b64 v[36:37], v33 offset:49152
	;; [unrolled: 1-line block ×3, first 2 shown]
	s_waitcnt lgkmcnt(3)
	v_mfma_f32_16x16x16_bf16 a[0:3], v[10:11], v[2:3], 0
	ds_read2st64_b64 v[6:9], v26 offset0:36 offset1:40
	s_lshl_b64 s[0:1], s[46:47], 8
	s_add_u32 s4, s16, s0
	v_mfma_f32_16x16x16_bf16 a[4:7], v[10:11], v[4:5], 0
	ds_read2_b64 v[2:5], v12 offset0:32 offset1:48
	s_addc_u32 s5, s17, s1
	s_add_i32 s0, s53, s43
	s_waitcnt lgkmcnt(0)
	v_mfma_f32_16x16x16_bf16 a[8:11], v[10:11], v[2:3], 0
	v_or_b32_e32 v2, 64, v14
	v_lshlrev_b32_e32 v27, 1, v2
	s_add_i32 s17, s24, -1
	v_mfma_f32_16x16x16_bf16 a[12:15], v[10:11], v[4:5], 0
	ds_read2st64_b64 v[2:5], v27 offset0:36 offset1:40
	s_add_i32 s41, s0, s52
	s_add_i32 s0, s55, s54
	v_mfma_f32_16x16x16_bf16 a[0:3], v[20:21], v[6:7], a[0:3]
	v_or_b32_e32 v6, 0x80, v14
	v_lshlrev_b32_e32 v28, 1, v6
	ds_read2st64_b64 v[10:13], v28 offset0:36 offset1:40
	s_waitcnt lgkmcnt(1)
	v_mfma_f32_16x16x16_bf16 a[4:7], v[20:21], v[2:3], a[4:7]
	v_or_b32_e32 v2, 0xc0, v14
	v_lshlrev_b32_e32 v29, 1, v2
	ds_read2st64_b64 v[14:17], v29 offset0:36 offset1:40
	s_add_i32 s39, s0, s56
	s_ashr_i32 s0, s17, 31
	s_mul_i32 s1, s17, s37
	s_mul_hi_u32 s2, s17, s36
	s_add_i32 s1, s2, s1
	s_mul_i32 s0, s0, s36
	s_waitcnt lgkmcnt(1)
	v_mfma_f32_16x16x16_bf16 a[8:11], v[20:21], v[10:11], a[8:11]
	s_add_i32 s1, s1, s0
	s_lshl_b64 s[2:3], s[40:41], 2
	s_add_u32 s6, s22, s2
	s_waitcnt lgkmcnt(0)
	v_mfma_f32_16x16x16_bf16 a[12:15], v[20:21], v[14:15], a[12:15]
	s_addc_u32 s7, s23, s3
	s_lshl_b64 s[2:3], s[38:39], 2
	s_mul_i32 s0, s17, s36
	v_mfma_f32_16x16x16_bf16 a[0:3], v[36:37], v[8:9], a[0:3]
	ds_read_b64 v[2:3], v26 offset:22528
	s_add_u32 s12, s6, s2
	s_addc_u32 s13, s7, s3
	v_mfma_f32_16x16x16_bf16 a[4:7], v[36:37], v[4:5], a[4:7]
	ds_read_b64 v[4:5], v27 offset:22528
	ds_read_b64 v[6:7], v28 offset:22528
	;; [unrolled: 1-line block ×3, first 2 shown]
	s_lshl_b64 s[0:1], s[0:1], 2
	s_add_u32 s0, s12, s0
	v_mfma_f32_16x16x16_bf16 a[8:11], v[36:37], v[12:13], a[8:11]
	s_addc_u32 s1, s13, s1
	s_load_dword s16, s[0:1], 0x0
	s_and_b64 vcc, exec, s[30:31]
	v_mfma_f32_16x16x16_bf16 a[12:15], v[36:37], v[16:17], a[12:15]
	s_waitcnt lgkmcnt(0)
	v_mfma_f32_16x16x16_bf16 a[0:3], v[38:39], v[2:3], a[0:3]
	v_mfma_f32_16x16x16_bf16 a[4:7], v[38:39], v[4:5], a[4:7]
	;; [unrolled: 1-line block ×4, first 2 shown]
	s_cbranch_vccz .LBB73_42
; %bb.32:
	v_lshlrev_b32_e32 v20, 1, v30
	s_and_b64 vcc, exec, s[18:19]
	s_cbranch_vccz .LBB73_43
; %bb.33:
	v_cmp_gt_i32_e32 vcc, s48, v20
	v_mov_b32_e32 v6, 0
	v_mov_b32_e32 v2, 0
	;; [unrolled: 1-line block ×5, first 2 shown]
	s_and_saveexec_b64 s[0:1], vcc
	s_cbranch_execz .LBB73_35
; %bb.34:
	v_mad_i64_i32 v[2:3], s[2:3], s27, v20, 0
	v_lshl_add_u64 v[2:3], v[2:3], 1, s[4:5]
	v_lshlrev_b32_e32 v4, 1, v18
	v_mov_b32_e32 v5, 0
	v_lshl_add_u64 v[2:3], v[2:3], 0, v[4:5]
	global_load_dwordx4 v[2:5], v[2:3], off
.LBB73_35:
	s_or_b64 exec, exec, s[0:1]
	v_or_b32_e32 v21, 1, v20
	v_cmp_gt_i32_e64 s[0:1], s48, v21
	v_mov_b32_e32 v7, 0
	v_mov_b32_e32 v8, 0
	;; [unrolled: 1-line block ×3, first 2 shown]
	s_and_saveexec_b64 s[2:3], s[0:1]
	s_cbranch_execz .LBB73_37
; %bb.36:
	v_mad_i64_i32 v[6:7], s[6:7], s27, v21, 0
	v_lshl_add_u64 v[6:7], v[6:7], 1, s[4:5]
	v_lshlrev_b32_e32 v8, 1, v18
	v_mov_b32_e32 v9, 0
	v_lshl_add_u64 v[6:7], v[6:7], 0, v[8:9]
	global_load_dwordx4 v[6:9], v[6:7], off
.LBB73_37:
	s_or_b64 exec, exec, s[2:3]
	v_mov_b32_e32 v17, 0
	v_mov_b32_e32 v10, 0
	;; [unrolled: 1-line block ×5, first 2 shown]
	s_and_saveexec_b64 s[2:3], vcc
	s_cbranch_execz .LBB73_39
; %bb.38:
	v_mad_i64_i32 v[10:11], s[6:7], s27, v20, 0
	v_lshl_add_u64 v[10:11], v[10:11], 1, s[4:5]
	v_lshlrev_b32_e32 v12, 1, v18
	v_mov_b32_e32 v13, 0
	v_lshl_add_u64 v[10:11], v[10:11], 0, v[12:13]
	global_load_dwordx4 v[10:13], v[10:11], off offset:128
.LBB73_39:
	s_or_b64 exec, exec, s[2:3]
	v_mov_b32_e32 v16, 0
	v_mov_b32_e32 v15, 0
	;; [unrolled: 1-line block ×3, first 2 shown]
	s_and_saveexec_b64 s[2:3], s[0:1]
	s_cbranch_execz .LBB73_41
; %bb.40:
	v_mad_i64_i32 v[14:15], s[0:1], s27, v21, 0
	v_lshl_add_u64 v[14:15], v[14:15], 1, s[4:5]
	v_lshlrev_b32_e32 v16, 1, v18
	v_mov_b32_e32 v17, 0
	v_lshl_add_u64 v[14:15], v[14:15], 0, v[16:17]
	global_load_dwordx4 v[14:17], v[14:15], off offset:128
.LBB73_41:
	s_or_b64 exec, exec, s[2:3]
	s_branch .LBB73_45
.LBB73_42:
                                        ; implicit-def: $vgpr5
                                        ; implicit-def: $vgpr9
                                        ; implicit-def: $vgpr13
                                        ; implicit-def: $vgpr17
	v_lshrrev_b32_e32 v35, 2, v47
	s_branch .LBB73_46
.LBB73_43:
                                        ; implicit-def: $vgpr5
                                        ; implicit-def: $vgpr9
                                        ; implicit-def: $vgpr13
                                        ; implicit-def: $vgpr17
	s_cbranch_execz .LBB73_45
; %bb.44:
	s_waitcnt vmcnt(0)
	v_mad_u64_u32 v[2:3], s[0:1], v20, s27, v[18:19]
	v_lshlrev_b32_e32 v20, 1, v2
	s_lshl_b32 s2, s27, 7
	s_and_b32 s1, s5, 0xffff
	s_mov_b32 s3, 0x20000
	s_mov_b32 s0, s4
	v_add_lshl_u32 v21, v2, s27, 1
	s_movk_i32 s6, 0x80
	buffer_load_dwordx4 v[2:5], v20, s[0:3], 0 offen
	buffer_load_dwordx4 v[10:13], v20, s[0:3], s6 offen
	;; [unrolled: 1-line block ×4, first 2 shown]
.LBB73_45:
	v_lshrrev_b32_e32 v35, 2, v47
	s_cbranch_execnz .LBB73_58
.LBB73_46:
	s_and_b64 vcc, exec, s[18:19]
	s_cbranch_vccz .LBB73_56
; %bb.47:
	s_waitcnt vmcnt(0)
	v_lshlrev_b32_e32 v7, 1, v30
	v_cmp_gt_i32_e32 vcc, s48, v7
	v_mov_b32_e32 v6, 0
	v_lshlrev_b32_e32 v14, 9, v30
	v_mov_b32_e32 v2, 0
	v_mov_b32_e32 v3, 0
	v_mov_b32_e32 v4, 0
	v_mov_b32_e32 v5, 0
	s_and_saveexec_b64 s[0:1], vcc
	s_cbranch_execz .LBB73_49
; %bb.48:
	v_mov_b32_e32 v15, 0
	v_lshl_add_u64 v[2:3], s[4:5], 0, v[14:15]
	v_lshlrev_b32_e32 v4, 1, v18
	v_mov_b32_e32 v5, v15
	v_lshl_add_u64 v[2:3], v[2:3], 0, v[4:5]
	global_load_dwordx4 v[2:5], v[2:3], off
.LBB73_49:
	s_or_b64 exec, exec, s[0:1]
	v_or_b32_e32 v7, 1, v7
	v_cmp_gt_i32_e64 s[0:1], s48, v7
	v_lshlrev_b32_e32 v20, 8, v7
	v_mov_b32_e32 v7, 0
	v_mov_b32_e32 v8, 0
	;; [unrolled: 1-line block ×3, first 2 shown]
	s_and_saveexec_b64 s[2:3], s[0:1]
	s_cbranch_execz .LBB73_51
; %bb.50:
	v_mov_b32_e32 v21, 0
	v_lshl_add_u64 v[6:7], s[4:5], 0, v[20:21]
	v_lshlrev_b32_e32 v8, 1, v18
	v_mov_b32_e32 v9, v21
	v_lshl_add_u64 v[6:7], v[6:7], 0, v[8:9]
	global_load_dwordx4 v[6:9], v[6:7], off
.LBB73_51:
	s_or_b64 exec, exec, s[2:3]
	v_mov_b32_e32 v17, 0
	v_mov_b32_e32 v10, 0
	;; [unrolled: 1-line block ×5, first 2 shown]
	s_and_saveexec_b64 s[2:3], vcc
	s_cbranch_execz .LBB73_53
; %bb.52:
	v_mov_b32_e32 v15, 0
	v_lshl_add_u64 v[10:11], s[4:5], 0, v[14:15]
	v_lshlrev_b32_e32 v14, 1, v18
	v_lshl_add_u64 v[10:11], v[10:11], 0, v[14:15]
	global_load_dwordx4 v[10:13], v[10:11], off offset:128
.LBB73_53:
	s_or_b64 exec, exec, s[2:3]
	v_mov_b32_e32 v16, 0
	v_mov_b32_e32 v15, 0
	;; [unrolled: 1-line block ×3, first 2 shown]
	s_and_saveexec_b64 s[2:3], s[0:1]
	s_cbranch_execz .LBB73_55
; %bb.54:
	v_mov_b32_e32 v21, 0
	v_lshl_add_u64 v[14:15], s[4:5], 0, v[20:21]
	v_lshlrev_b32_e32 v20, 1, v18
	v_lshl_add_u64 v[14:15], v[14:15], 0, v[20:21]
	global_load_dwordx4 v[14:17], v[14:15], off offset:128
.LBB73_55:
	s_or_b64 exec, exec, s[2:3]
	s_branch .LBB73_58
.LBB73_56:
                                        ; implicit-def: $vgpr5
                                        ; implicit-def: $vgpr9
                                        ; implicit-def: $vgpr13
                                        ; implicit-def: $vgpr17
	s_cbranch_execz .LBB73_58
; %bb.57:
	s_waitcnt vmcnt(0)
	v_lshlrev_b32_e32 v2, 1, v18
	v_lshl_or_b32 v18, v30, 9, v2
	s_and_b32 s5, s5, 0xffff
	s_mov_b32 s7, 0x20000
	s_movk_i32 s6, 0x4000
	s_movk_i32 s0, 0x80
	buffer_load_dwordx4 v[2:5], v18, s[4:7], 0 offen
	buffer_load_dwordx4 v[6:9], v18, s[4:7], 0 offen offset:256
	buffer_load_dwordx4 v[10:13], v18, s[4:7], s0 offen
	buffer_load_dwordx4 v[14:17], v18, s[4:7], s0 offen offset:256
.LBB73_58:
	ds_read_b64 v[20:21], v31 offset:57344
	v_add_u32_e32 v18, 0x6000, v26
	ds_read2_b64 v[36:39], v18 offset1:16
	ds_read_b64 v[94:95], v32 offset:57344
	ds_read_b64 v[96:97], v33 offset:57344
	;; [unrolled: 1-line block ×3, first 2 shown]
	v_and_b32_e32 v31, 6, v0
	v_xor_b32_e32 v30, v30, v31
	v_lshlrev_b32_e32 v30, 2, v30
	s_mov_b32 s0, 0x1000504
	s_mov_b32 s1, 0x3020706
	s_waitcnt lgkmcnt(3)
	v_mfma_f32_16x16x16_bf16 a[0:3], v[20:21], v[36:37], a[0:3]
	v_mfma_f32_16x16x16_bf16 a[4:7], v[20:21], v[38:39], a[4:7]
	ds_read2_b64 v[36:39], v18 offset0:32 offset1:48
	v_and_b32_e32 v18, 12, v35
	ds_read2st64_b64 v[32:35], v26 offset0:52 offset1:56
	s_waitcnt lgkmcnt(1)
	v_mfma_f32_16x16x16_bf16 a[8:11], v[20:21], v[36:37], a[8:11]
	v_mfma_f32_16x16x16_bf16 a[12:15], v[20:21], v[38:39], a[12:15]
	ds_read2st64_b64 v[36:39], v27 offset0:52 offset1:56
	ds_read2st64_b64 v[40:43], v28 offset0:52 offset1:56
	;; [unrolled: 1-line block ×3, first 2 shown]
	s_waitcnt lgkmcnt(3)
	v_mfma_f32_16x16x16_bf16 a[0:3], v[94:95], v[32:33], a[0:3]
	ds_read_b64 v[20:21], v26 offset:30720
	ds_read_b64 v[32:33], v27 offset:30720
	;; [unrolled: 1-line block ×4, first 2 shown]
	s_waitcnt lgkmcnt(6)
	v_mfma_f32_16x16x16_bf16 a[4:7], v[94:95], v[36:37], a[4:7]
	v_and_b32_e32 v36, 1, v0
	v_xor_b32_e32 v37, 0x440, v30
	v_cmp_eq_u32_e32 vcc, 0, v36
	s_waitcnt lgkmcnt(5)
	v_mfma_f32_16x16x16_bf16 a[8:11], v[94:95], v[40:41], a[8:11]
	v_cndmask_b32_e32 v30, v37, v30, vcc
	v_lshl_or_b32 v30, v31, 10, v30
	s_waitcnt lgkmcnt(4)
	v_mfma_f32_16x16x16_bf16 a[12:15], v[94:95], v[90:91], a[12:15]
	s_waitcnt vmcnt(0)
	v_perm_b32 v31, v2, v6, s0
	v_perm_b32 v2, v2, v6, s1
	;; [unrolled: 1-line block ×3, first 2 shown]
	v_mfma_f32_16x16x16_bf16 a[0:3], v[96:97], v[34:35], a[0:3]
	v_perm_b32 v34, v10, v14, s0
	ds_write2st64_b32 v30, v31, v34 offset0:128 offset1:160
	v_xor_b32_e32 v31, 8, v30
	v_add_u32_e32 v10, 0x80, v31
	ds_write2st64_b32 v10, v2, v6 offset0:128 offset1:160
	v_xor_b32_e32 v2, 16, v30
	v_perm_b32 v6, v3, v7, s0
	v_perm_b32 v10, v11, v15, s0
	v_mfma_f32_16x16x16_bf16 a[4:7], v[96:97], v[38:39], a[4:7]
	ds_write2st64_b32 v2, v6, v10 offset0:129 offset1:161
	v_xor_b32_e32 v2, 24, v30
	v_perm_b32 v3, v3, v7, s1
	v_mfma_f32_16x16x16_bf16 a[16:19], v[96:97], v[42:43], a[8:11]
	v_perm_b32 v6, v11, v15, s1
	v_add_u32_e32 v2, 0x80, v2
	ds_write2st64_b32 v2, v3, v6 offset0:129 offset1:161
	v_mfma_f32_16x16x16_bf16 a[20:23], v[96:97], v[92:93], a[12:15]
	v_xor_b32_e32 v2, 32, v30
	v_perm_b32 v3, v4, v8, s0
	v_perm_b32 v6, v12, v16, s0
	ds_write2st64_b32 v2, v3, v6 offset0:130 offset1:162
	v_xor_b32_e32 v2, 40, v30
	s_waitcnt lgkmcnt(8)
	v_mfma_f32_16x16x16_bf16 a[12:15], v[98:99], v[20:21], a[0:3]
	v_perm_b32 v3, v4, v8, s1
	v_perm_b32 v4, v12, v16, s1
	v_add_u32_e32 v2, 0x80, v2
	s_waitcnt lgkmcnt(7)
	v_mfma_f32_16x16x16_bf16 a[8:11], v[98:99], v[32:33], a[4:7]
	ds_write2st64_b32 v2, v3, v4 offset0:130 offset1:162
	v_xor_b32_e32 v2, 48, v30
	v_perm_b32 v3, v5, v9, s0
	s_waitcnt lgkmcnt(7)
	v_mfma_f32_16x16x16_bf16 a[4:7], v[98:99], v[100:101], a[16:19]
	v_perm_b32 v4, v13, v17, s0
	ds_write2st64_b32 v2, v3, v4 offset0:131 offset1:163
	v_xor_b32_e32 v2, 56, v30
	s_waitcnt lgkmcnt(7)
	v_mfma_f32_16x16x16_bf16 a[0:3], v[98:99], v[102:103], a[20:23]
	v_or_b32_e32 v20, v18, v45
	v_perm_b32 v3, v5, v9, s1
	v_perm_b32 v4, v13, v17, s1
	v_add_u32_e32 v2, 0x80, v2
	v_cmp_gt_i32_e32 vcc, s48, v20
	v_mov_b32_e32 v30, 0
	v_mov_b32_e32 v31, 0
	ds_write2st64_b32 v2, v3, v4 offset0:131 offset1:163
	s_and_saveexec_b64 s[0:1], vcc
	s_cbranch_execz .LBB73_60
; %bb.59:
	v_add_u32_e32 v2, s45, v20
	v_ashrrev_i32_e32 v3, 31, v2
	v_mul_lo_u32 v4, v3, s36
	v_mul_lo_u32 v5, v2, s37
	v_mad_u64_u32 v[2:3], s[2:3], v2, s36, 0
	v_add3_u32 v3, v3, v5, v4
	v_lshl_add_u64 v[2:3], v[2:3], 2, s[12:13]
	global_load_dword v2, v[2:3], off
	s_waitcnt vmcnt(0)
	v_sub_f32_e32 v2, s16, v2
	v_mul_f32_e32 v2, 0x3fb8aa3b, v2
	v_exp_f32_e32 v31, v2
.LBB73_60:
	s_or_b64 exec, exec, s[0:1]
	v_or_b32_e32 v11, 1, v20
	v_cmp_gt_i32_e64 s[2:3], s48, v11
	s_and_saveexec_b64 s[0:1], s[2:3]
	s_cbranch_execz .LBB73_62
; %bb.61:
	v_add_u32_e32 v2, s45, v11
	v_ashrrev_i32_e32 v3, 31, v2
	v_mul_lo_u32 v4, v3, s36
	v_mul_lo_u32 v5, v2, s37
	v_mad_u64_u32 v[2:3], s[4:5], v2, s36, 0
	v_add3_u32 v3, v3, v5, v4
	v_lshl_add_u64 v[2:3], v[2:3], 2, s[12:13]
	global_load_dword v2, v[2:3], off
	s_waitcnt vmcnt(0)
	v_sub_f32_e32 v2, s16, v2
	v_mul_f32_e32 v2, 0x3fb8aa3b, v2
	v_exp_f32_e32 v30, v2
.LBB73_62:
	s_or_b64 exec, exec, s[0:1]
	v_or_b32_e32 v10, 2, v20
	v_cmp_gt_i32_e64 s[4:5], s48, v10
	v_mov_b32_e32 v21, 0
	v_mov_b32_e32 v32, 0
	s_and_saveexec_b64 s[0:1], s[4:5]
	s_cbranch_execz .LBB73_64
; %bb.63:
	v_add_u32_e32 v2, s45, v10
	v_ashrrev_i32_e32 v3, 31, v2
	v_mul_lo_u32 v4, v3, s36
	v_mul_lo_u32 v5, v2, s37
	v_mad_u64_u32 v[2:3], s[6:7], v2, s36, 0
	v_add3_u32 v3, v3, v5, v4
	v_lshl_add_u64 v[2:3], v[2:3], 2, s[12:13]
	global_load_dword v2, v[2:3], off
	s_waitcnt vmcnt(0)
	v_sub_f32_e32 v2, s16, v2
	v_mul_f32_e32 v2, 0x3fb8aa3b, v2
	v_exp_f32_e32 v32, v2
.LBB73_64:
	s_or_b64 exec, exec, s[0:1]
	v_or_b32_e32 v33, 3, v20
	v_cmp_gt_i32_e64 s[0:1], s48, v33
	s_and_saveexec_b64 s[6:7], s[0:1]
	s_cbranch_execz .LBB73_66
; %bb.65:
	v_add_u32_e32 v2, s45, v33
	v_ashrrev_i32_e32 v3, 31, v2
	v_mul_lo_u32 v4, v3, s36
	v_mul_lo_u32 v5, v2, s37
	v_mad_u64_u32 v[2:3], s[18:19], v2, s36, 0
	v_add3_u32 v3, v3, v5, v4
	v_lshl_add_u64 v[2:3], v[2:3], 2, s[12:13]
	global_load_dword v2, v[2:3], off
	s_waitcnt vmcnt(0)
	v_sub_f32_e32 v2, s16, v2
	v_mul_f32_e32 v2, 0x3fb8aa3b, v2
	v_exp_f32_e32 v21, v2
.LBB73_66:
	s_or_b64 exec, exec, s[6:7]
	s_add_u32 s6, s20, s28
	s_addc_u32 s7, s21, s29
	s_add_u32 s12, s14, s28
	v_ashrrev_i32_e32 v89, 31, v88
	v_accvgpr_read_b32 v2, a12
	s_addc_u32 s13, s15, s29
	v_lshlrev_b64 v[6:7], 1, v[88:89]
	v_accvgpr_read_b32 v3, a13
	v_accvgpr_read_b32 v4, a14
	;; [unrolled: 1-line block ×3, first 2 shown]
	v_lshl_add_u64 v[8:9], s[6:7], 0, v[6:7]
	v_lshl_add_u64 v[6:7], s[12:13], 0, v[6:7]
	v_mov_b32_e32 v15, 0
	v_lshlrev_b32_e32 v12, 8, v20
	v_mov_b32_e32 v13, 0
	s_and_saveexec_b64 s[6:7], vcc
	s_cbranch_execz .LBB73_68
; %bb.67:
	v_mov_b32_e32 v13, 0
	v_lshl_add_u64 v[16:17], v[8:9], 0, v[12:13]
	global_load_ushort v14, v[16:17], off
	v_lshl_add_u64 v[16:17], v[6:7], 0, v[12:13]
	s_waitcnt vmcnt(0)
	v_lshlrev_b32_e32 v13, 16, v14
	v_sub_f32_e32 v2, v13, v2
	global_store_short_d16_hi v[16:17], v2, off
	v_mul_f32_e32 v2, v31, v2
	v_lshrrev_b32_e32 v13, 16, v2
.LBB73_68:
	s_or_b64 exec, exec, s[6:7]
	v_lshlrev_b32_e32 v14, 8, v11
	s_and_saveexec_b64 s[6:7], s[2:3]
	s_cbranch_execz .LBB73_70
; %bb.69:
	v_mov_b32_e32 v15, 0
	v_lshl_add_u64 v[16:17], v[8:9], 0, v[14:15]
	global_load_ushort v2, v[16:17], off
	v_lshl_add_u64 v[16:17], v[6:7], 0, v[14:15]
	s_waitcnt vmcnt(0)
	v_lshlrev_b32_e32 v2, 16, v2
	v_sub_f32_e32 v2, v2, v3
	global_store_short_d16_hi v[16:17], v2, off
	v_mul_f32_e32 v2, v30, v2
	v_lshrrev_b32_e32 v15, 16, v2
.LBB73_70:
	s_or_b64 exec, exec, s[6:7]
	v_mov_b32_e32 v11, 0
	v_lshlrev_b32_e32 v16, 8, v10
	v_mov_b32_e32 v17, 0
	s_and_saveexec_b64 s[6:7], s[4:5]
	s_cbranch_execz .LBB73_72
; %bb.71:
	v_mov_b32_e32 v17, 0
	v_lshl_add_u64 v[2:3], v[8:9], 0, v[16:17]
	global_load_ushort v10, v[2:3], off
	v_lshl_add_u64 v[2:3], v[6:7], 0, v[16:17]
	s_waitcnt vmcnt(0)
	v_lshlrev_b32_e32 v10, 16, v10
	v_sub_f32_e32 v4, v10, v4
	global_store_short_d16_hi v[2:3], v4, off
	v_mul_f32_e32 v2, v32, v4
	v_lshrrev_b32_e32 v17, 16, v2
.LBB73_72:
	s_or_b64 exec, exec, s[6:7]
	v_lshlrev_b32_e32 v10, 8, v33
	s_and_saveexec_b64 s[6:7], s[0:1]
	s_cbranch_execz .LBB73_74
; %bb.73:
	v_mov_b32_e32 v11, 0
	v_lshl_add_u64 v[2:3], v[8:9], 0, v[10:11]
	global_load_ushort v4, v[2:3], off
	v_lshl_add_u64 v[2:3], v[6:7], 0, v[10:11]
	s_waitcnt vmcnt(0)
	v_lshlrev_b32_e32 v4, 16, v4
	v_sub_f32_e32 v4, v4, v5
	global_store_short_d16_hi v[2:3], v4, off
	v_mul_f32_e32 v2, v21, v4
	v_lshrrev_b32_e32 v11, 16, v2
.LBB73_74:
	s_or_b64 exec, exec, s[6:7]
	v_lshlrev_b32_e32 v33, 6, v20
	s_mov_b32 s6, 0x5040100
	v_accvgpr_read_b32 v2, a8
	v_perm_b32 v35, v11, v17, s6
	v_or_b32_e32 v11, v33, v25
	v_accvgpr_read_b32 v3, a9
	v_accvgpr_read_b32 v4, a10
	;; [unrolled: 1-line block ×3, first 2 shown]
	v_perm_b32 v34, v15, v13, s6
	v_lshlrev_b32_e32 v11, 1, v11
	v_mov_b32_e32 v15, 0
	v_mov_b32_e32 v13, 0
	ds_write_b64 v11, v[34:35] offset:24576
	s_and_saveexec_b64 s[6:7], vcc
	s_cbranch_execz .LBB73_76
; %bb.75:
	v_mov_b32_e32 v13, 0
	v_lshl_add_u64 v[34:35], v[8:9], 0, v[12:13]
	global_load_ushort v11, v[34:35], off offset:32
	v_lshl_add_u64 v[34:35], v[6:7], 0, v[12:13]
	s_waitcnt vmcnt(0)
	v_lshlrev_b32_e32 v11, 16, v11
	v_sub_f32_e32 v2, v11, v2
	global_store_short_d16_hi v[34:35], v2, off offset:32
	v_mul_f32_e32 v2, v31, v2
	v_lshrrev_b32_e32 v13, 16, v2
.LBB73_76:
	s_or_b64 exec, exec, s[6:7]
	s_and_saveexec_b64 s[6:7], s[2:3]
	s_cbranch_execz .LBB73_78
; %bb.77:
	v_mov_b32_e32 v15, 0
	v_lshl_add_u64 v[34:35], v[8:9], 0, v[14:15]
	global_load_ushort v2, v[34:35], off offset:32
	v_lshl_add_u64 v[34:35], v[6:7], 0, v[14:15]
	s_waitcnt vmcnt(0)
	v_lshlrev_b32_e32 v2, 16, v2
	v_sub_f32_e32 v2, v2, v3
	global_store_short_d16_hi v[34:35], v2, off offset:32
	v_mul_f32_e32 v2, v30, v2
	v_lshrrev_b32_e32 v15, 16, v2
.LBB73_78:
	s_or_b64 exec, exec, s[6:7]
	v_mov_b32_e32 v11, 0
	v_mov_b32_e32 v17, 0
	s_and_saveexec_b64 s[6:7], s[4:5]
	s_cbranch_execz .LBB73_80
; %bb.79:
	v_mov_b32_e32 v17, 0
	v_lshl_add_u64 v[2:3], v[8:9], 0, v[16:17]
	global_load_ushort v25, v[2:3], off offset:32
	v_lshl_add_u64 v[2:3], v[6:7], 0, v[16:17]
	s_waitcnt vmcnt(0)
	v_lshlrev_b32_e32 v17, 16, v25
	v_sub_f32_e32 v4, v17, v4
	global_store_short_d16_hi v[2:3], v4, off offset:32
	v_mul_f32_e32 v2, v32, v4
	v_lshrrev_b32_e32 v17, 16, v2
.LBB73_80:
	s_or_b64 exec, exec, s[6:7]
	s_and_saveexec_b64 s[6:7], s[0:1]
	s_cbranch_execz .LBB73_82
; %bb.81:
	v_mov_b32_e32 v11, 0
	v_lshl_add_u64 v[2:3], v[8:9], 0, v[10:11]
	global_load_ushort v4, v[2:3], off offset:32
	v_lshl_add_u64 v[2:3], v[6:7], 0, v[10:11]
	s_waitcnt vmcnt(0)
	v_lshlrev_b32_e32 v4, 16, v4
	v_sub_f32_e32 v4, v4, v5
	global_store_short_d16_hi v[2:3], v4, off offset:32
	v_mul_f32_e32 v2, v21, v4
	v_lshrrev_b32_e32 v11, 16, v2
.LBB73_82:
	s_or_b64 exec, exec, s[6:7]
	s_mov_b32 s6, 0x5040100
	v_accvgpr_read_b32 v2, a4
	v_perm_b32 v35, v11, v17, s6
	v_or_b32_e32 v11, v33, v23
	v_accvgpr_read_b32 v3, a5
	v_accvgpr_read_b32 v4, a6
	;; [unrolled: 1-line block ×3, first 2 shown]
	v_perm_b32 v34, v15, v13, s6
	v_lshlrev_b32_e32 v11, 1, v11
	v_mov_b32_e32 v15, 0
	v_mov_b32_e32 v13, 0
	ds_write_b64 v11, v[34:35] offset:24576
	s_and_saveexec_b64 s[6:7], vcc
	s_cbranch_execz .LBB73_84
; %bb.83:
	v_mov_b32_e32 v13, 0
	v_lshl_add_u64 v[34:35], v[8:9], 0, v[12:13]
	global_load_ushort v11, v[34:35], off offset:64
	v_lshl_add_u64 v[34:35], v[6:7], 0, v[12:13]
	s_waitcnt vmcnt(0)
	v_lshlrev_b32_e32 v11, 16, v11
	v_sub_f32_e32 v2, v11, v2
	global_store_short_d16_hi v[34:35], v2, off offset:64
	v_mul_f32_e32 v2, v31, v2
	v_lshrrev_b32_e32 v13, 16, v2
.LBB73_84:
	s_or_b64 exec, exec, s[6:7]
	s_and_saveexec_b64 s[6:7], s[2:3]
	s_cbranch_execz .LBB73_86
; %bb.85:
	v_mov_b32_e32 v15, 0
	v_lshl_add_u64 v[34:35], v[8:9], 0, v[14:15]
	global_load_ushort v2, v[34:35], off offset:64
	v_lshl_add_u64 v[34:35], v[6:7], 0, v[14:15]
	s_waitcnt vmcnt(0)
	v_lshlrev_b32_e32 v2, 16, v2
	v_sub_f32_e32 v2, v2, v3
	global_store_short_d16_hi v[34:35], v2, off offset:64
	v_mul_f32_e32 v2, v30, v2
	v_lshrrev_b32_e32 v15, 16, v2
.LBB73_86:
	s_or_b64 exec, exec, s[6:7]
	v_mov_b32_e32 v11, 0
	v_mov_b32_e32 v17, 0
	s_and_saveexec_b64 s[6:7], s[4:5]
	s_cbranch_execz .LBB73_88
; %bb.87:
	v_mov_b32_e32 v17, 0
	v_lshl_add_u64 v[2:3], v[8:9], 0, v[16:17]
	global_load_ushort v23, v[2:3], off offset:64
	v_lshl_add_u64 v[2:3], v[6:7], 0, v[16:17]
	s_waitcnt vmcnt(0)
	v_lshlrev_b32_e32 v17, 16, v23
	v_sub_f32_e32 v4, v17, v4
	global_store_short_d16_hi v[2:3], v4, off offset:64
	v_mul_f32_e32 v2, v32, v4
	v_lshrrev_b32_e32 v17, 16, v2
.LBB73_88:
	s_or_b64 exec, exec, s[6:7]
	s_and_saveexec_b64 s[6:7], s[0:1]
	s_cbranch_execz .LBB73_90
; %bb.89:
	v_mov_b32_e32 v11, 0
	v_lshl_add_u64 v[2:3], v[8:9], 0, v[10:11]
	global_load_ushort v4, v[2:3], off offset:64
	v_lshl_add_u64 v[2:3], v[6:7], 0, v[10:11]
	s_waitcnt vmcnt(0)
	v_lshlrev_b32_e32 v4, 16, v4
	v_sub_f32_e32 v4, v4, v5
	global_store_short_d16_hi v[2:3], v4, off offset:64
	v_mul_f32_e32 v2, v21, v4
	v_lshrrev_b32_e32 v11, 16, v2
.LBB73_90:
	s_or_b64 exec, exec, s[6:7]
	s_mov_b32 s6, 0x5040100
	v_accvgpr_read_b32 v5, a3
	v_perm_b32 v35, v11, v17, s6
	v_or_b32_e32 v11, v33, v22
	v_accvgpr_read_b32 v4, a2
	v_accvgpr_read_b32 v3, a1
	;; [unrolled: 1-line block ×3, first 2 shown]
	v_perm_b32 v34, v15, v13, s6
	v_lshlrev_b32_e32 v11, 1, v11
	v_mov_b32_e32 v15, 0
	v_mov_b32_e32 v13, 0
	ds_write_b64 v11, v[34:35] offset:24576
	s_and_saveexec_b64 s[6:7], vcc
	s_cbranch_execz .LBB73_92
; %bb.91:
	v_mov_b32_e32 v13, 0
	v_lshl_add_u64 v[22:23], v[8:9], 0, v[12:13]
	global_load_ushort v11, v[22:23], off offset:96
	v_lshl_add_u64 v[12:13], v[6:7], 0, v[12:13]
	s_waitcnt vmcnt(0)
	v_lshlrev_b32_e32 v11, 16, v11
	v_sub_f32_e32 v2, v11, v2
	global_store_short_d16_hi v[12:13], v2, off offset:96
	v_mul_f32_e32 v2, v31, v2
	v_lshrrev_b32_e32 v13, 16, v2
.LBB73_92:
	s_or_b64 exec, exec, s[6:7]
	s_and_saveexec_b64 s[6:7], s[2:3]
	s_cbranch_execz .LBB73_94
; %bb.93:
	v_mov_b32_e32 v15, 0
	v_lshl_add_u64 v[22:23], v[8:9], 0, v[14:15]
	global_load_ushort v2, v[22:23], off offset:96
	v_lshl_add_u64 v[14:15], v[6:7], 0, v[14:15]
	s_waitcnt vmcnt(0)
	v_lshlrev_b32_e32 v2, 16, v2
	v_sub_f32_e32 v2, v2, v3
	global_store_short_d16_hi v[14:15], v2, off offset:96
	v_mul_f32_e32 v2, v30, v2
	v_lshrrev_b32_e32 v15, 16, v2
.LBB73_94:
	s_or_b64 exec, exec, s[6:7]
	v_mov_b32_e32 v11, 0
	v_mov_b32_e32 v14, 0
	s_and_saveexec_b64 s[2:3], s[4:5]
	s_cbranch_execz .LBB73_96
; %bb.95:
	v_mov_b32_e32 v17, 0
	v_lshl_add_u64 v[2:3], v[8:9], 0, v[16:17]
	global_load_ushort v12, v[2:3], off offset:96
	v_lshl_add_u64 v[2:3], v[6:7], 0, v[16:17]
	s_waitcnt vmcnt(0)
	v_lshlrev_b32_e32 v12, 16, v12
	v_sub_f32_e32 v4, v12, v4
	global_store_short_d16_hi v[2:3], v4, off offset:96
	v_mul_f32_e32 v2, v32, v4
	v_lshrrev_b32_e32 v14, 16, v2
.LBB73_96:
	s_or_b64 exec, exec, s[2:3]
	v_or_b32_e32 v12, 0x6000, v26
	v_or_b32_e32 v2, 0x6000, v27
	;; [unrolled: 1-line block ×4, first 2 shown]
	s_and_saveexec_b64 s[2:3], s[0:1]
	s_cbranch_execz .LBB73_98
; %bb.97:
	v_mov_b32_e32 v11, 0
	v_lshl_add_u64 v[8:9], v[8:9], 0, v[10:11]
	global_load_ushort v8, v[8:9], off offset:96
	v_lshl_add_u64 v[6:7], v[6:7], 0, v[10:11]
	s_waitcnt vmcnt(0)
	v_lshlrev_b32_e32 v8, 16, v8
	v_sub_f32_e32 v5, v8, v5
	global_store_short_d16_hi v[6:7], v5, off offset:96
	v_mul_f32_e32 v5, v21, v5
	v_lshrrev_b32_e32 v11, 16, v5
.LBB73_98:
	s_or_b64 exec, exec, s[2:3]
	s_mov_b32 s0, 0x5040100
	v_or_b32_e32 v5, v33, v19
	v_perm_b32 v7, v11, v14, s0
	v_perm_b32 v6, v15, v13, s0
	v_lshlrev_b32_e32 v5, 1, v5
	ds_write_b64 v5, v[6:7] offset:24576
	v_and_b32_e32 v5, 7, v0
	v_and_b32_e32 v10, 8, v0
	v_lshlrev_b32_e32 v13, 3, v5
	v_lshlrev_b32_e32 v19, 7, v5
	v_lshrrev_b32_e32 v5, 1, v0
	v_and_b32_e32 v5, 24, v5
	v_mov_b32_e32 v11, 0x400
	v_cmp_eq_u32_e32 vcc, 0, v10
	s_movk_i32 s2, 0x100
	v_lshlrev_b32_e32 v25, 3, v1
	v_cndmask_b32_e64 v21, v11, 64, vcc
	v_mov_b32_e32 v10, 0xa000
	v_mov_b32_e32 v11, 0x8000
	v_cmp_gt_u32_e64 s[0:1], s2, v0
	v_xor_b32_e32 v42, v25, v5
	v_or_b32_e32 v14, 32, v5
	v_cndmask_b32_e64 v0, v10, v11, s[0:1]
	v_or_b32_e32 v10, 0x440, v42
	v_cndmask_b32_e32 v10, v10, v42, vcc
	v_or_b32_e32 v10, v10, v24
	v_xor_b32_e32 v47, v10, v13
	v_xor_b32_e32 v14, v25, v14
	v_add3_u32 v10, v0, v47, v19
	v_or_b32_e32 v15, 0x440, v14
	s_waitcnt lgkmcnt(0)
	s_barrier
	ds_read_b64 v[10:11], v10
	v_cndmask_b32_e32 v14, v15, v14, vcc
	v_or_b32_e32 v14, v14, v24
	v_xor_b32_e32 v88, v14, v13
	v_add3_u32 v14, v0, v88, v19
	ds_read_b64 v[22:23], v14
	ds_read2_b64 v[6:9], v12 offset1:16
	ds_read2_b64 v[14:17], v12 offset0:32 offset1:48
	v_or_b32_e32 v5, 0x60, v5
	s_add_i32 s0, s17, s51
	v_xor_b32_e32 v5, v25, v5
	s_waitcnt lgkmcnt(1)
	v_mfma_f32_16x16x16_bf16 a[0:3], v[10:11], v[6:7], 0
	s_mul_hi_i32 s1, s0, s25
	s_mul_i32 s0, s0, s25
	ds_read2st64_b64 v[26:29], v12 offset0:4 offset1:8
	ds_read2st64_b64 v[30:33], v2 offset0:4 offset1:8
	v_mfma_f32_16x16x16_bf16 a[4:7], v[10:11], v[8:9], 0
	ds_read2st64_b64 v[34:37], v3 offset0:4 offset1:8
	ds_read2st64_b64 v[38:41], v4 offset0:4 offset1:8
	s_add_u32 s0, s0, s33
	s_waitcnt lgkmcnt(4)
	v_mfma_f32_16x16x16_bf16 a[8:11], v[10:11], v[14:15], 0
	s_addc_u32 s1, s1, s50
	s_lshl_b64 s[0:1], s[0:1], 9
	s_add_u32 s0, s8, s0
	v_mfma_f32_16x16x16_bf16 a[12:15], v[10:11], v[16:17], 0
	v_or3_b32 v10, v24, v21, v42
	v_xor_b32_e32 v21, 0x440, v5
	v_cndmask_b32_e32 v5, v21, v5, vcc
	v_xor_b32_e32 v10, v10, v13
	v_or_b32_e32 v5, v5, v24
	v_or_b32_e32 v90, v10, v19
	v_xor_b32_e32 v89, v5, v13
	v_or_b32_e32 v10, v0, v90
	v_add3_u32 v0, v0, v89, v19
	ds_read_b64 v[10:11], v10
	ds_read_b64 v[24:25], v0
	s_addc_u32 s1, s9, s1
	v_lshlrev_b32_e32 v0, 2, v20
	s_waitcnt lgkmcnt(5)
	v_mfma_f32_16x16x16_bf16 a[0:3], v[22:23], v[26:27], a[0:3]
	ds_read_b64 v[12:13], v12 offset:6144
	s_waitcnt lgkmcnt(5)
	v_mfma_f32_16x16x16_bf16 a[4:7], v[22:23], v[30:31], a[4:7]
	s_waitcnt lgkmcnt(4)
	v_mfma_f32_16x16x16_bf16 a[8:11], v[22:23], v[34:35], a[8:11]
	;; [unrolled: 2-line block ×3, first 2 shown]
	global_load_dwordx4 v[20:23], v0, s[0:1]
	v_lshlrev_b32_e32 v0, 6, v1
	v_lshlrev_b32_e32 v1, 2, v18
	v_or3_b32 v0, v0, v1, s2
	s_waitcnt lgkmcnt(2)
	v_mfma_f32_16x16x16_bf16 a[0:3], v[10:11], v[28:29], a[0:3]
	s_waitcnt vmcnt(0)
	v_mul_f32_e32 v20, 0x3fb8aa3b, v20
	v_mfma_f32_16x16x16_bf16 a[4:7], v[10:11], v[32:33], a[4:7]
	v_mul_f32_e32 v21, 0x3fb8aa3b, v21
	v_exp_f32_e32 v20, v20
	v_exp_f32_e32 v21, v21
	v_mfma_f32_16x16x16_bf16 a[8:11], v[10:11], v[36:37], a[8:11]
	v_mfma_f32_16x16x16_bf16 a[12:15], v[10:11], v[40:41], a[12:15]
	ds_read_b64 v[10:11], v2 offset:6144
	ds_read_b64 v[42:43], v3 offset:6144
	;; [unrolled: 1-line block ×3, first 2 shown]
	global_load_dwordx4 v[0:3], v0, s[0:1]
	v_mov_b32_e32 v4, 0x3fb8aa3b
	v_mul_f32_e32 v4, s16, v4
	v_exp_f32_e32 v18, v4
	v_add_u32_e32 v4, v47, v19
	ds_read_b64 v[4:5], v4 offset:40960
	s_waitcnt lgkmcnt(4)
	v_mfma_f32_16x16x16_bf16 a[0:3], v[24:25], v[12:13], a[0:3]
	s_waitcnt vmcnt(0)
	v_mul_f32_e32 v0, 0x3fb8aa3b, v0
	s_waitcnt lgkmcnt(3)
	v_mfma_f32_16x16x16_bf16 a[4:7], v[24:25], v[10:11], a[4:7]
	v_exp_f32_e32 v0, v0
	s_waitcnt lgkmcnt(2)
	v_mfma_f32_16x16x16_bf16 a[8:11], v[24:25], v[42:43], a[8:11]
	s_waitcnt lgkmcnt(1)
	v_mfma_f32_16x16x16_bf16 a[12:15], v[24:25], v[44:45], a[12:15]
	v_add_u32_e32 v24, v88, v19
	v_add_u32_e32 v19, v89, v19
	ds_read_b64 v[24:25], v24 offset:40960
	ds_read_b64 v[88:89], v19 offset:40960
	s_waitcnt lgkmcnt(2)
	v_mfma_f32_16x16x16_bf16 a[16:19], v[4:5], v[6:7], 0
	v_mul_f32_e32 v6, 0x3fb8aa3b, v22
	v_mul_f32_e32 v7, 0x3fb8aa3b, v23
	v_accvgpr_read_b32 v23, a1
	v_mfma_f32_16x16x16_bf16 a[20:23], v[4:5], v[8:9], 0
	v_pk_mul_f32 v[8:9], v[18:19], v[20:21] op_sel_hi:[0,1]
	v_accvgpr_read_b32 v22, a0
	v_pk_fma_f32 v[82:83], v[82:83], v[8:9], v[22:23]
	ds_read_b64 v[22:23], v90 offset:40960
	v_exp_f32_e32 v6, v6
	v_exp_f32_e32 v7, v7
	v_mfma_f32_16x16x16_bf16 a[24:27], v[4:5], v[14:15], 0
	v_accvgpr_read_b32 v15, a3
	v_accvgpr_read_b32 v14, a2
	v_pk_mul_f32 v[6:7], v[18:19], v[6:7] op_sel_hi:[0,1]
	v_mfma_f32_16x16x16_bf16 a[28:31], v[4:5], v[16:17], 0
	v_accvgpr_read_b32 v5, a7
	v_accvgpr_read_b32 v4, a6
	v_pk_fma_f32 v[78:79], v[6:7], v[78:79], v[4:5]
	s_waitcnt lgkmcnt(2)
	v_mfma_f32_16x16x16_bf16 a[16:19], v[24:25], v[26:27], a[16:19]
	v_accvgpr_read_b32 v4, a8
	v_accvgpr_read_b32 v5, a9
	v_pk_fma_f32 v[66:67], v[8:9], v[66:67], v[4:5]
	v_mfma_f32_16x16x16_bf16 a[20:23], v[24:25], v[30:31], a[20:23]
	v_accvgpr_read_b32 v4, a12
	v_accvgpr_read_b32 v17, a11
	;; [unrolled: 1-line block ×3, first 2 shown]
	v_mfma_f32_16x16x16_bf16 a[0:3], v[24:25], v[34:35], a[24:27]
	v_pk_fma_f32 v[86:87], v[86:87], v[6:7], v[14:15]
	v_accvgpr_read_b32 v15, a5
	v_accvgpr_read_b32 v5, a13
	s_waitcnt lgkmcnt(0)
	v_mfma_f32_16x16x16_bf16 a[8:11], v[22:23], v[28:29], a[16:19]
	v_accvgpr_read_b32 v21, a15
	v_accvgpr_read_b32 v20, a14
	v_accvgpr_read_b32 v14, a4
	v_mfma_f32_16x16x16_bf16 a[4:7], v[24:25], v[38:39], a[28:31]
	v_pk_fma_f32 v[58:59], v[8:9], v[58:59], v[4:5]
	v_mov_b32_e32 v4, v3
	v_mov_b32_e32 v3, v2
	v_mfma_f32_16x16x16_bf16 a[12:15], v[22:23], v[32:33], a[20:23]
	v_mov_b32_e32 v2, v1
	v_mul_f32_e32 v1, 0x3fb8aa3b, v2
	v_mul_f32_e32 v2, 0x3fb8aa3b, v3
	v_mfma_f32_16x16x16_bf16 a[0:3], v[22:23], v[36:37], a[0:3]
	v_mul_f32_e32 v3, 0x3fb8aa3b, v4
	v_exp_f32_e32 v2, v2
	v_exp_f32_e32 v3, v3
	v_mfma_f32_16x16x16_bf16 a[8:11], v[88:89], v[12:13], a[8:11]
	v_exp_f32_e32 v1, v1
	v_pk_fma_f32 v[74:75], v[8:9], v[74:75], v[14:15]
	v_pk_mul_f32 v[2:3], v[18:19], v[2:3] op_sel_hi:[0,1]
	v_mfma_f32_16x16x16_bf16 a[4:7], v[22:23], v[40:41], a[4:7]
	v_pk_mul_f32 v[0:1], v[18:19], v[0:1] op_sel_hi:[0,1]
	v_pk_fma_f32 v[70:71], v[6:7], v[70:71], v[16:17]
	v_pk_fma_f32 v[62:63], v[6:7], v[62:63], v[20:21]
	v_mfma_f32_16x16x16_bf16 a[12:15], v[88:89], v[10:11], a[12:15]
	v_accvgpr_read_b32 v5, a11
	v_accvgpr_read_b32 v4, a10
	v_pk_fma_f32 v[84:85], v[84:85], v[2:3], v[4:5]
	v_mfma_f32_16x16x16_bf16 a[0:3], v[88:89], v[42:43], a[0:3]
	v_accvgpr_read_b32 v13, a9
	v_accvgpr_read_b32 v12, a8
	v_pk_fma_f32 v[80:81], v[80:81], v[0:1], v[12:13]
	v_accvgpr_read_b32 v4, a12
	v_accvgpr_read_b32 v5, a13
	v_pk_fma_f32 v[72:73], v[0:1], v[72:73], v[4:5]
	v_accvgpr_read_b32 v7, a15
	v_accvgpr_read_b32 v9, a3
	;; [unrolled: 1-line block ×3, first 2 shown]
	v_mfma_f32_16x16x16_bf16 a[2:5], v[88:89], v[44:45], a[4:7]
	v_accvgpr_read_b32 v5, a1
	v_accvgpr_read_b32 v4, a0
	v_pk_fma_f32 v[64:65], v[0:1], v[64:65], v[4:5]
	v_accvgpr_read_b32 v6, a14
	v_pk_fma_f32 v[76:77], v[2:3], v[76:77], v[6:7]
	v_pk_fma_f32 v[68:69], v[2:3], v[68:69], v[8:9]
	s_nop 0
	v_accvgpr_read_b32 v5, a3
	v_accvgpr_read_b32 v11, a5
	;; [unrolled: 1-line block ×4, first 2 shown]
	v_pk_fma_f32 v[56:57], v[0:1], v[56:57], v[4:5]
	v_pk_fma_f32 v[60:61], v[2:3], v[60:61], v[10:11]
.LBB73_99:
	s_add_u32 s0, s10, s34
	s_addc_u32 s1, s11, s35
	v_lshl_add_u64 v[0:1], v[48:49], 1, s[0:1]
	v_mov_b32_e32 v47, 0
	s_mov_b32 s2, 0x7060302
	v_lshl_add_u64 v[0:1], v[0:1], 0, v[46:47]
	v_perm_b32 v3, v87, v86, s2
	v_perm_b32 v2, v83, v82, s2
	global_store_dwordx2 v[0:1], v[2:3], off
	v_perm_b32 v3, v85, v84, s2
	v_perm_b32 v2, v81, v80, s2
	global_store_dwordx2 v[0:1], v[2:3], off offset:128
	v_lshl_add_u64 v[0:1], v[50:51], 1, s[0:1]
	v_lshl_add_u64 v[0:1], v[0:1], 0, v[46:47]
	v_perm_b32 v3, v79, v78, s2
	v_perm_b32 v2, v75, v74, s2
	global_store_dwordx2 v[0:1], v[2:3], off
	v_perm_b32 v3, v77, v76, s2
	v_perm_b32 v2, v73, v72, s2
	global_store_dwordx2 v[0:1], v[2:3], off offset:128
	v_lshl_add_u64 v[0:1], v[52:53], 1, s[0:1]
	;; [unrolled: 8-line block ×3, first 2 shown]
	v_lshl_add_u64 v[0:1], v[0:1], 0, v[46:47]
	v_perm_b32 v3, v63, v62, s2
	v_perm_b32 v2, v59, v58, s2
	global_store_dwordx2 v[0:1], v[2:3], off
	v_perm_b32 v3, v61, v60, s2
	v_perm_b32 v2, v57, v56, s2
	global_store_dwordx2 v[0:1], v[2:3], off offset:128
	s_endpgm
	.section	.rodata,"a",@progbits
	.p2align	6, 0x0
	.amdhsa_kernel _ZN12_GLOBAL__N_139chunk_gated_delta_rule_fwd_h_hip_kernelILi64ELb1ELb1ELb1ELb0ELb0ELb1ELb1ELb1EEEvPK12hip_bfloat16S3_S3_PKfS5_PKvPS1_S8_PvPKiSB_iiiiilll
		.amdhsa_group_segment_fixed_size 65536
		.amdhsa_private_segment_fixed_size 0
		.amdhsa_kernarg_size 136
		.amdhsa_user_sgpr_count 2
		.amdhsa_user_sgpr_dispatch_ptr 0
		.amdhsa_user_sgpr_queue_ptr 0
		.amdhsa_user_sgpr_kernarg_segment_ptr 1
		.amdhsa_user_sgpr_dispatch_id 0
		.amdhsa_user_sgpr_kernarg_preload_length 0
		.amdhsa_user_sgpr_kernarg_preload_offset 0
		.amdhsa_user_sgpr_private_segment_size 0
		.amdhsa_uses_dynamic_stack 0
		.amdhsa_enable_private_segment 0
		.amdhsa_system_sgpr_workgroup_id_x 1
		.amdhsa_system_sgpr_workgroup_id_y 1
		.amdhsa_system_sgpr_workgroup_id_z 0
		.amdhsa_system_sgpr_workgroup_info 0
		.amdhsa_system_vgpr_workitem_id 0
		.amdhsa_next_free_vgpr 240
		.amdhsa_next_free_sgpr 75
		.amdhsa_accum_offset 200
		.amdhsa_reserve_vcc 1
		.amdhsa_float_round_mode_32 0
		.amdhsa_float_round_mode_16_64 0
		.amdhsa_float_denorm_mode_32 3
		.amdhsa_float_denorm_mode_16_64 3
		.amdhsa_dx10_clamp 1
		.amdhsa_ieee_mode 1
		.amdhsa_fp16_overflow 0
		.amdhsa_tg_split 0
		.amdhsa_exception_fp_ieee_invalid_op 0
		.amdhsa_exception_fp_denorm_src 0
		.amdhsa_exception_fp_ieee_div_zero 0
		.amdhsa_exception_fp_ieee_overflow 0
		.amdhsa_exception_fp_ieee_underflow 0
		.amdhsa_exception_fp_ieee_inexact 0
		.amdhsa_exception_int_div_zero 0
	.end_amdhsa_kernel
	.section	.text._ZN12_GLOBAL__N_139chunk_gated_delta_rule_fwd_h_hip_kernelILi64ELb1ELb1ELb1ELb0ELb0ELb1ELb1ELb1EEEvPK12hip_bfloat16S3_S3_PKfS5_PKvPS1_S8_PvPKiSB_iiiiilll,"axG",@progbits,_ZN12_GLOBAL__N_139chunk_gated_delta_rule_fwd_h_hip_kernelILi64ELb1ELb1ELb1ELb0ELb0ELb1ELb1ELb1EEEvPK12hip_bfloat16S3_S3_PKfS5_PKvPS1_S8_PvPKiSB_iiiiilll,comdat
.Lfunc_end73:
	.size	_ZN12_GLOBAL__N_139chunk_gated_delta_rule_fwd_h_hip_kernelILi64ELb1ELb1ELb1ELb0ELb0ELb1ELb1ELb1EEEvPK12hip_bfloat16S3_S3_PKfS5_PKvPS1_S8_PvPKiSB_iiiiilll, .Lfunc_end73-_ZN12_GLOBAL__N_139chunk_gated_delta_rule_fwd_h_hip_kernelILi64ELb1ELb1ELb1ELb0ELb0ELb1ELb1ELb1EEEvPK12hip_bfloat16S3_S3_PKfS5_PKvPS1_S8_PvPKiSB_iiiiilll
                                        ; -- End function
	.section	.AMDGPU.csdata,"",@progbits
; Kernel info:
; codeLenInByte = 13332
; NumSgprs: 81
; NumVgprs: 200
; NumAgprs: 40
; TotalNumVgprs: 240
; ScratchSize: 0
; MemoryBound: 0
; FloatMode: 240
; IeeeMode: 1
; LDSByteSize: 65536 bytes/workgroup (compile time only)
; SGPRBlocks: 10
; VGPRBlocks: 29
; NumSGPRsForWavesPerEU: 81
; NumVGPRsForWavesPerEU: 240
; AccumOffset: 200
; Occupancy: 1
; WaveLimiterHint : 1
; COMPUTE_PGM_RSRC2:SCRATCH_EN: 0
; COMPUTE_PGM_RSRC2:USER_SGPR: 2
; COMPUTE_PGM_RSRC2:TRAP_HANDLER: 0
; COMPUTE_PGM_RSRC2:TGID_X_EN: 1
; COMPUTE_PGM_RSRC2:TGID_Y_EN: 1
; COMPUTE_PGM_RSRC2:TGID_Z_EN: 0
; COMPUTE_PGM_RSRC2:TIDIG_COMP_CNT: 0
; COMPUTE_PGM_RSRC3_GFX90A:ACCUM_OFFSET: 49
; COMPUTE_PGM_RSRC3_GFX90A:TG_SPLIT: 0
	.section	.text._ZN12_GLOBAL__N_139chunk_gated_delta_rule_fwd_h_hip_kernelILi64ELb1ELb1ELb0ELb0ELb0ELb1ELb1ELb1EEEvPK12hip_bfloat16S3_S3_PKfS5_PKvPS1_S8_PvPKiSB_iiiiilll,"axG",@progbits,_ZN12_GLOBAL__N_139chunk_gated_delta_rule_fwd_h_hip_kernelILi64ELb1ELb1ELb0ELb0ELb0ELb1ELb1ELb1EEEvPK12hip_bfloat16S3_S3_PKfS5_PKvPS1_S8_PvPKiSB_iiiiilll,comdat
	.globl	_ZN12_GLOBAL__N_139chunk_gated_delta_rule_fwd_h_hip_kernelILi64ELb1ELb1ELb0ELb0ELb0ELb1ELb1ELb1EEEvPK12hip_bfloat16S3_S3_PKfS5_PKvPS1_S8_PvPKiSB_iiiiilll ; -- Begin function _ZN12_GLOBAL__N_139chunk_gated_delta_rule_fwd_h_hip_kernelILi64ELb1ELb1ELb0ELb0ELb0ELb1ELb1ELb1EEEvPK12hip_bfloat16S3_S3_PKfS5_PKvPS1_S8_PvPKiSB_iiiiilll
	.p2align	8
	.type	_ZN12_GLOBAL__N_139chunk_gated_delta_rule_fwd_h_hip_kernelILi64ELb1ELb1ELb0ELb0ELb0ELb1ELb1ELb1EEEvPK12hip_bfloat16S3_S3_PKfS5_PKvPS1_S8_PvPKiSB_iiiiilll,@function
_ZN12_GLOBAL__N_139chunk_gated_delta_rule_fwd_h_hip_kernelILi64ELb1ELb1ELb0ELb0ELb0ELb1ELb1ELb1EEEvPK12hip_bfloat16S3_S3_PKfS5_PKvPS1_S8_PvPKiSB_iiiiilll: ; @_ZN12_GLOBAL__N_139chunk_gated_delta_rule_fwd_h_hip_kernelILi64ELb1ELb1ELb0ELb0ELb0ELb1ELb1ELb1EEEvPK12hip_bfloat16S3_S3_PKfS5_PKvPS1_S8_PvPKiSB_iiiiilll
; %bb.0:
	s_load_dwordx4 s[12:15], s[0:1], 0x5c
	s_abs_i32 s6, s3
	s_ashr_i32 s5, s3, 31
	s_load_dwordx4 s[16:19], s[0:1], 0x20
	s_load_dwordx2 s[38:39], s[0:1], 0x30
	v_and_b32_e32 v97, 15, v0
	s_waitcnt lgkmcnt(0)
	s_abs_i32 s4, s13
	v_cvt_f32_u32_e32 v1, s4
	s_sub_i32 s8, 0, s4
	s_ashr_i32 s7, s13, 31
	s_xor_b32 s5, s5, s7
	v_rcp_iflag_f32_e32 v1, v1
	v_bfe_u32 v96, v0, 4, 2
	v_mov_b32_e32 v47, 0
	v_lshlrev_b32_e32 v98, 3, v0
	v_mul_f32_e32 v1, 0x4f7ffffe, v1
	v_cvt_u32_f32_e32 v1, v1
	s_nop 0
	v_readfirstlane_b32 s9, v1
	s_mul_i32 s8, s8, s9
	s_mul_hi_u32 s8, s9, s8
	s_add_i32 s9, s9, s8
	s_mul_hi_u32 s8, s6, s9
	s_mul_i32 s9, s8, s4
	s_sub_i32 s6, s6, s9
	s_add_i32 s10, s8, 1
	s_sub_i32 s9, s6, s4
	s_cmp_ge_u32 s6, s4
	s_cselect_b32 s8, s10, s8
	s_cselect_b32 s6, s9, s6
	s_add_i32 s9, s8, 1
	s_cmp_ge_u32 s6, s4
	s_cselect_b32 s6, s9, s8
	s_xor_b32 s6, s6, s5
	s_sub_i32 s56, s6, s5
	s_mul_i32 s6, s56, s13
	s_sub_i32 s33, s3, s6
	s_abs_i32 s3, s14
	v_cvt_f32_u32_e32 v1, s3
	s_add_i32 s8, s12, 63
	s_ashr_i32 s9, s8, 31
	s_lshr_b32 s5, s9, 26
	v_rcp_iflag_f32_e32 v1, v1
	s_ashr_i32 s55, s12, 31
	s_add_i32 s8, s8, s5
	s_lshr_b32 s5, s55, 26
	v_mul_f32_e32 v1, 0x4f7ffffe, v1
	v_cvt_u32_f32_e32 v1, v1
	s_add_i32 s5, s12, s5
	s_ashr_i32 s58, s14, 31
	s_ashr_i32 s24, s8, 6
	;; [unrolled: 1-line block ×3, first 2 shown]
	s_xor_b32 s5, s7, s58
	s_sub_i32 s7, 0, s3
	v_readfirstlane_b32 s8, v1
	s_mul_i32 s7, s7, s8
	s_mul_hi_u32 s7, s8, s7
	s_add_i32 s8, s8, s7
	s_mul_hi_u32 s7, s4, s8
	s_mul_i32 s8, s7, s3
	s_sub_i32 s4, s4, s8
	s_lshl_b32 s2, s2, 6
	s_add_i32 s8, s7, 1
	s_sub_i32 s9, s4, s3
	s_cmp_ge_u32 s4, s3
	s_cselect_b32 s7, s8, s7
	s_cselect_b32 s4, s9, s4
	s_add_i32 s8, s7, 1
	s_cmp_ge_u32 s4, s3
	s_cselect_b32 s3, s8, s7
	s_xor_b32 s3, s3, s5
	s_sub_i32 s3, s3, s5
	s_abs_i32 s4, s3
	v_cvt_f32_u32_e32 v1, s4
	s_sub_i32 s7, 0, s4
	s_abs_i32 s5, s33
	s_xor_b32 s3, s33, s3
	v_rcp_iflag_f32_e32 v2, v1
	s_ashr_i32 s3, s3, 31
	v_or_b32_e32 v88, s2, v97
	v_lshrrev_b32_e32 v1, 6, v0
	v_mul_f32_e32 v2, 0x4f7ffffe, v2
	v_cvt_u32_f32_e32 v2, v2
	v_lshlrev_b32_e32 v48, 7, v88
	v_lshlrev_b32_e32 v45, 4, v1
	v_or_b32_e32 v50, 0x800, v48
	v_readfirstlane_b32 s8, v2
	s_mul_i32 s7, s7, s8
	s_mul_hi_u32 s7, s8, s7
	s_add_i32 s8, s8, s7
	s_mul_hi_u32 s7, s5, s8
	s_mul_i32 s8, s7, s4
	s_sub_i32 s5, s5, s8
	s_add_i32 s8, s7, 1
	s_sub_i32 s9, s5, s4
	s_cmp_ge_u32 s5, s4
	s_cselect_b32 s7, s8, s7
	s_cselect_b32 s5, s9, s5
	s_add_i32 s8, s7, 1
	s_cmp_ge_u32 s5, s4
	s_cselect_b32 s4, s8, s7
	s_xor_b32 s4, s4, s3
	s_sub_i32 s59, s4, s3
	s_ashr_i32 s3, s56, 31
	s_ashr_i32 s48, s33, 31
	s_mul_hi_i32 s4, s56, s13
	s_add_u32 s40, s6, s33
	s_addc_u32 s41, s4, s48
	s_lshl_b64 s[28:29], s[40:41], 15
	s_add_u32 s4, s18, s28
	v_lshl_or_b32 v100, v96, 2, v45
	s_addc_u32 s5, s19, s29
	v_ashrrev_i32_e32 v49, 31, v48
	v_ashrrev_i32_e32 v51, 31, v50
	v_lshl_add_u64 v[2:3], v[48:49], 1, s[4:5]
	v_lshlrev_b32_e32 v46, 1, v100
	v_lshl_add_u64 v[6:7], v[50:51], 1, s[4:5]
	v_or_b32_e32 v52, 0x1000, v48
	v_or_b32_e32 v54, 0x1800, v48
	v_lshl_add_u64 v[2:3], v[2:3], 0, v[46:47]
	v_lshl_add_u64 v[6:7], v[6:7], 0, v[46:47]
	v_ashrrev_i32_e32 v53, 31, v52
	v_ashrrev_i32_e32 v55, 31, v54
	global_load_dwordx2 v[4:5], v[2:3], off
	v_lshl_add_u64 v[14:15], v[54:55], 1, s[4:5]
	global_load_dwordx2 v[2:3], v[2:3], off offset:128
	s_nop 0
	global_load_dwordx2 v[8:9], v[6:7], off
	global_load_dwordx2 v[10:11], v[6:7], off offset:128
	v_lshl_add_u64 v[6:7], v[52:53], 1, s[4:5]
	v_lshl_add_u64 v[6:7], v[6:7], 0, v[46:47]
	;; [unrolled: 1-line block ×3, first 2 shown]
	global_load_dwordx2 v[12:13], v[6:7], off
	v_and_b32_e32 v47, 63, v0
	global_load_dwordx2 v[6:7], v[6:7], off offset:128
	s_nop 0
	global_load_dwordx2 v[16:17], v[14:15], off
	global_load_dwordx2 v[18:19], v[14:15], off offset:128
	s_load_dwordx2 s[18:19], s[0:1], 0x40
	s_load_dwordx8 s[4:11], s[0:1], 0x0
	s_load_dwordx2 s[30:31], s[0:1], 0x80
	s_load_dwordx4 s[20:23], s[0:1], 0x70
	v_or_b32_e32 v101, 64, v100
	s_mul_i32 s49, s56, s12
	s_mul_i32 s60, s56, s24
	s_cmp_lt_i32 s12, 64
	v_lshrrev_b32_e32 v99, 3, v47
	s_mul_i32 s61, s41, s12
	s_mul_hi_u32 s62, s40, s12
	s_mul_i32 s42, s40, s12
	s_waitcnt lgkmcnt(0)
	s_mul_i32 s41, s56, s21
	s_mul_hi_u32 s51, s56, s20
	s_mul_i32 s50, s3, s20
	s_mul_i32 s36, s56, s20
	s_mul_i32 s52, s33, s23
	s_mul_hi_u32 s53, s33, s22
	s_mul_i32 s54, s48, s22
	s_mul_i32 s34, s33, s22
	s_waitcnt vmcnt(7)
	v_and_b32_e32 v83, 0xffff0000, v4
	v_lshlrev_b32_e32 v82, 16, v4
	v_and_b32_e32 v87, 0xffff0000, v5
	v_lshlrev_b32_e32 v86, 16, v5
	s_waitcnt vmcnt(6)
	v_and_b32_e32 v81, 0xffff0000, v2
	v_lshlrev_b32_e32 v80, 16, v2
	v_and_b32_e32 v85, 0xffff0000, v3
	v_lshlrev_b32_e32 v84, 16, v3
	;; [unrolled: 5-line block ×8, first 2 shown]
	s_cbranch_scc1 .LBB74_18
; %bb.1:
	s_add_i32 s43, s62, s61
	s_lshl_b64 s[0:1], s[42:43], 8
	v_and_b32_e32 v103, 56, v98
	s_add_u32 s20, s6, s0
	v_lshl_or_b32 v102, v1, 3, v99
	v_lshlrev_b32_e32 v2, 1, v103
	s_addc_u32 s0, s7, s1
	v_lshl_or_b32 v104, v102, 8, v2
	s_and_b32 s21, s0, 0xffff
	s_mov_b32 s23, 0x20000
	s_movk_i32 s22, 0x4000
	s_movk_i32 s0, 0x80
	v_or_b32_e32 v105, 0x2000, v104
	buffer_load_dwordx4 v[4:7], v104, s[20:23], 0 offen
	buffer_load_dwordx4 v[8:11], v104, s[20:23], s0 offen
	;; [unrolled: 1-line block ×4, first 2 shown]
	v_lshlrev_b32_e32 v3, 3, v102
	v_and_or_b32 v21, v0, 7, v3
	v_and_b32_e32 v3, 0x78, v3
	v_lshlrev_b32_e32 v21, 4, v21
	v_xor_b32_e32 v106, v21, v3
	v_mul_lo_u32 v20, v102, s15
	v_or_b32_e32 v107, 0x1000, v106
	v_xor_b32_e32 v3, 8, v106
	s_cmpk_eq_i32 s15, 0x80
	s_mov_b32 s63, s14
	v_xor_b32_e32 v21, 8, v107
	s_cselect_b64 s[0:1], -1, 0
	s_cmpk_lg_i32 s15, 0x80
	s_waitcnt vmcnt(3)
	ds_write_b64 v106, v[4:5] offset:49152
	ds_write_b64 v3, v[6:7] offset:49152
	s_waitcnt vmcnt(2)
	ds_write_b64 v106, v[8:9] offset:57344
	ds_write_b64 v3, v[10:11] offset:57344
	;; [unrolled: 3-line block ×4, first 2 shown]
	v_lshl_add_u32 v3, v20, 1, v103
	s_cbranch_scc0 .LBB74_3
; %bb.2:
	v_lshlrev_b32_e32 v5, 1, v3
	v_add_lshl_u32 v4, v3, s15, 1
	s_lshl_b32 s22, s15, 7
	v_lshl_or_b32 v2, v102, 9, v2
	s_cbranch_execz .LBB74_4
	s_branch .LBB74_5
.LBB74_3:
                                        ; implicit-def: $vgpr4
                                        ; implicit-def: $vgpr5
                                        ; implicit-def: $sgpr22
	v_lshl_or_b32 v2, v102, 9, v2
.LBB74_4:
	v_or_b32_e32 v4, 0x100, v2
	s_movk_i32 s22, 0x4000
	v_mov_b32_e32 v5, v2
.LBB74_5:
	s_mul_hi_u32 s20, s14, s12
	s_mul_i32 s21, s58, s12
	s_add_i32 s20, s20, s21
	s_mul_i32 s21, s14, s12
	s_mul_i32 s23, s21, s3
	s_mul_hi_u32 s24, s21, s56
	s_add_i32 s23, s24, s23
	s_mul_i32 s20, s20, s56
	s_add_i32 s23, s23, s20
	s_mul_i32 s21, s21, s56
	s_ashr_i32 s64, s59, 31
	s_add_u32 s20, s21, s59
	s_addc_u32 s21, s23, s64
	s_lshl_b64 s[20:21], s[20:21], 8
	s_add_u32 s20, s4, s20
	s_addc_u32 s21, s5, s21
	s_and_b32 s21, s21, 0xffff
	s_mov_b32 s23, 0x20000
	s_movk_i32 s65, 0x80
	buffer_load_dwordx4 v[6:9], v5, s[20:23], 0 offen
	buffer_load_dwordx4 v[10:13], v5, s[20:23], s65 offen
	;; [unrolled: 1-line block ×4, first 2 shown]
	v_and_b32_e32 v5, 6, v0
	v_lshlrev_b32_e32 v4, 7, v100
	v_xor_b32_e32 v26, v102, v5
	v_and_b32_e32 v22, 1, v0
	v_lshl_or_b32 v29, v97, 3, v4
	v_lshlrev_b32_e32 v26, 2, v26
	v_or_b32_e32 v108, 0x4000, v29
	v_or_b32_e32 v109, 0x6000, v29
	v_xor_b32_e32 v29, 0x440, v26
	v_cmp_eq_u32_e32 vcc, 0, v22
	v_lshlrev_b32_e32 v23, 2, v97
	v_or_b32_e32 v25, 16, v97
	v_cndmask_b32_e32 v22, v29, v26, vcc
	s_mov_b32 s67, 0x1000504
	v_xor_b32_e32 v27, v100, v23
	v_xor_b32_e32 v28, v101, v23
	v_lshl_or_b32 v30, v25, 3, v4
	v_lshl_or_b32 v5, v5, 10, v22
	s_mov_b32 s68, 0x3020706
	v_lshlrev_b32_e32 v24, 8, v97
	v_lshlrev_b32_e32 v27, 1, v27
	;; [unrolled: 1-line block ×3, first 2 shown]
	v_or_b32_e32 v110, 0x4000, v30
	v_or_b32_e32 v111, 0x6000, v30
	v_xor_b32_e32 v22, 8, v5
	v_xor_b32_e32 v26, 24, v5
	;; [unrolled: 1-line block ×4, first 2 shown]
	s_mul_i32 s3, s3, s12
	s_mul_hi_u32 s20, s56, s12
	v_or_b32_e32 v112, v24, v27
	v_or_b32_e32 v113, v24, v28
	v_xor_b32_e32 v24, 16, v5
	v_xor_b32_e32 v29, 32, v5
	;; [unrolled: 1-line block ×3, first 2 shown]
	v_add_u32_e32 v22, 0x80, v22
	v_add_u32_e32 v26, 0x80, v26
	;; [unrolled: 1-line block ×4, first 2 shown]
	s_add_i32 s69, s20, s3
	s_add_i32 s3, s51, s41
	;; [unrolled: 1-line block ×5, first 2 shown]
	s_lshl_b64 s[20:21], s[36:37], 2
	s_add_u32 s3, s10, s20
	s_addc_u32 s24, s11, s21
	s_lshl_b64 s[20:21], s[34:35], 2
	s_add_u32 s44, s3, s20
	s_movk_i32 s3, 0xf8
	s_addc_u32 s45, s24, s21
	s_lshl_b32 s26, s15, 7
	s_movk_i32 s24, 0x100
	v_mov_b32_e32 v91, 0
	v_lshlrev_b32_e32 v90, 4, v97
	v_ashrrev_i32_e32 v89, 31, v88
	s_mov_b32 s66, 0
	s_movk_i32 s22, 0x4000
	v_lshl_add_u64 v[92:93], v[88:89], 1, s[8:9]
	s_mov_b32 s35, 0x7060302
	s_movk_i32 s37, 0x2000
	s_movk_i32 s70, 0x3000
	v_mov_b32_e32 v153, 0x3fb8aa3b
	s_mov_b32 s72, 0
	s_waitcnt vmcnt(1)
	v_perm_b32 v33, v6, v14, s67
	s_waitcnt vmcnt(0)
	v_perm_b32 v34, v10, v18, s67
	v_perm_b32 v6, v6, v14, s68
	;; [unrolled: 1-line block ×15, first 2 shown]
	ds_write2st64_b32 v5, v33, v34 offset0:128 offset1:160
	ds_write2st64_b32 v22, v6, v10 offset0:128 offset1:160
	;; [unrolled: 1-line block ×8, first 2 shown]
	v_lshlrev_b32_e32 v5, 8, v25
	v_or_b32_e32 v114, v5, v27
	v_or_b32_e32 v115, v5, v28
	;; [unrolled: 1-line block ×3, first 2 shown]
	v_lshl_or_b32 v6, v5, 3, v4
	v_lshlrev_b32_e32 v5, 8, v5
	v_or_b32_e32 v118, v5, v27
	v_or_b32_e32 v119, v5, v28
	;; [unrolled: 1-line block ×5, first 2 shown]
	v_lshl_or_b32 v6, v5, 3, v4
	v_lshlrev_b32_e32 v5, 8, v5
	v_or_b32_e32 v122, v5, v27
	v_or_b32_e32 v123, v5, v28
	;; [unrolled: 1-line block ×3, first 2 shown]
	v_lshlrev_b32_e32 v5, 3, v5
	v_lshrrev_b32_e32 v7, 5, v47
	v_and_or_b32 v7, v5, s3, v7
	v_lshlrev_b32_e32 v7, 4, v7
	v_or_b32_e32 v120, 0x4000, v6
	v_or_b32_e32 v121, 0x6000, v6
	v_lshrrev_b32_e32 v6, 2, v47
	v_lshlrev_b32_e32 v9, 11, v1
	v_and_b32_e32 v5, 0x78, v5
	v_or_b32_e32 v13, 32, v7
	v_and_b32_e32 v8, 12, v6
	v_and_b32_e32 v6, 0x1000, v9
	v_lshrrev_b32_e32 v11, 1, v47
	v_xor_b32_e32 v13, v13, v5
	v_xor_b32_e32 v10, v7, v5
	v_and_b32_e32 v11, 8, v11
	v_or_b32_e32 v13, v13, v6
	v_or_b32_e32 v10, v10, v6
	v_xor_b32_e32 v126, v13, v11
	v_or_b32_e32 v13, 64, v7
	v_or_b32_e32 v7, 0x60, v7
	v_xor_b32_e32 v124, v10, v11
	v_lshlrev_b32_e32 v10, 8, v96
	v_xor_b32_e32 v13, v13, v5
	v_xor_b32_e32 v5, v7, v5
	s_ashr_i32 s3, s2, 31
	v_or_b32_e32 v12, v10, v23
	v_or_b32_e32 v13, v13, v6
	;; [unrolled: 1-line block ×3, first 2 shown]
	s_lshl_b64 s[20:21], s[2:3], 8
	v_lshlrev_b32_e32 v15, 2, v0
	v_lshlrev_b32_e32 v12, 1, v12
	v_xor_b32_e32 v130, v13, v11
	v_xor_b32_e32 v131, v5, v11
	v_lshlrev_b32_e32 v5, 1, v3
	v_add_lshl_u32 v3, v3, s15, 1
	v_or_b32_e32 v11, 0x100, v2
	s_add_u32 s20, s38, s20
	v_lshlrev_b32_e32 v6, 1, v97
	v_lshrrev_b32_e32 v16, 1, v0
	v_and_or_b32 v10, v15, 60, v10
	v_or_b32_e32 v125, 0x4000, v12
	v_or_b32_e32 v127, 0x4080, v12
	;; [unrolled: 1-line block ×8, first 2 shown]
	v_lshrrev_b32_e32 v12, 4, v0
	s_addc_u32 s21, s39, s21
	v_or_b32_e32 v7, 1, v6
	v_and_b32_e32 v16, 24, v16
	v_lshlrev_b32_e32 v10, 1, v10
	v_cndmask_b32_e64 v142, v5, v2, s[0:1]
	v_cndmask_b32_e64 v143, v3, v11, s[0:1]
	v_mov_b32_e32 v3, 0xa000
	v_mov_b32_e32 v5, 0x8000
	v_cmp_gt_u32_e64 s[0:1], s24, v0
	v_xor_b32_e32 v13, v12, v6
	v_xor_b32_e32 v14, v7, v12
	v_lshl_add_u64 v[6:7], s[20:21], 0, v[90:91]
	v_lshlrev_b32_e32 v90, 8, v12
	v_or_b32_e32 v138, 0x6000, v10
	v_or_b32_e32 v15, 32, v16
	;; [unrolled: 1-line block ×6, first 2 shown]
	v_cndmask_b32_e64 v3, v3, v5, s[0:1]
	v_lshlrev_b32_e32 v5, 3, v1
	v_lshl_or_b32 v136, v13, 3, v90
	v_and_b32_e32 v13, 8, v0
	v_xor_b32_e32 v11, v5, v16
	v_xor_b32_e32 v15, v5, v15
	;; [unrolled: 1-line block ×3, first 2 shown]
	v_mov_b32_e32 v17, 0x400
	v_cmp_eq_u32_e32 vcc, 0, v13
	v_or_b32_e32 v16, 0x440, v11
	v_or_b32_e32 v18, 0x440, v15
	v_xor_b32_e32 v10, 0x440, v5
	v_and_b32_e32 v12, 7, v0
	v_cndmask_b32_e64 v13, v17, 64, vcc
	v_cndmask_b32_e32 v16, v16, v11, vcc
	v_cndmask_b32_e32 v15, v18, v15, vcc
	;; [unrolled: 1-line block ×3, first 2 shown]
	v_lshl_or_b32 v137, v14, 3, v90
	v_lshlrev_b32_e32 v14, 3, v12
	v_or_b32_e32 v16, v16, v9
	v_or_b32_e32 v15, v15, v9
	v_or3_b32 v11, v9, v13, v11
	v_or_b32_e32 v5, v5, v9
	v_lshlrev_b32_e32 v12, 7, v12
	v_xor_b32_e32 v16, v16, v14
	v_xor_b32_e32 v15, v15, v14
	;; [unrolled: 1-line block ×4, first 2 shown]
	v_or_b32_e32 v2, v45, v8
	v_add_u32_e32 v17, v3, v16
	v_add_u32_e32 v18, v3, v15
	v_or_b32_e32 v144, v11, v12
	v_add_u32_e32 v9, v3, v5
	v_or3_b32 v8, v45, v8, 64
	v_add_u32_e32 v10, 0xa000, v16
	v_add_u32_e32 v11, 0xa000, v15
	;; [unrolled: 1-line block ×3, first 2 shown]
	v_lshl_add_u64 v[94:95], v[6:7], 0, v[90:91]
	s_add_i32 s3, s49, 63
	v_lshlrev_b32_e32 v90, 1, v4
	v_lshlrev_b32_e32 v89, 2, v2
	v_add_u32_e32 v145, v17, v12
	v_add_u32_e32 v146, v18, v12
	;; [unrolled: 1-line block ×4, first 2 shown]
	v_lshlrev_b32_e32 v149, 2, v8
	v_add_u32_e32 v150, v10, v12
	v_add_u32_e32 v151, v11, v12
	;; [unrolled: 1-line block ×3, first 2 shown]
	s_waitcnt lgkmcnt(0)
	s_barrier
.LBB74_6:                               ; =>This Inner Loop Header: Depth=1
	s_add_i32 s71, s72, 1
	s_cmp_lt_i32 s71, s57
	s_mov_b64 s[24:25], 0
	s_cselect_b64 s[46:47], -1, 0
	s_cmp_ge_i32 s71, s57
	s_mov_b64 s[20:21], 0
	s_cbranch_scc1 .LBB74_8
; %bb.7:                                ;   in Loop: Header=BB74_6 Depth=1
	s_add_i32 s0, s66, 64
	s_add_u32 s0, s42, s0
	s_addc_u32 s1, s43, 0
	s_lshl_b64 s[0:1], s[0:1], 8
	s_add_u32 s20, s6, s0
	s_addc_u32 s21, s7, s1
.LBB74_8:                               ;   in Loop: Header=BB74_6 Depth=1
	v_cndmask_b32_e64 v2, 0, 1, s[46:47]
	v_cmp_ne_u32_e64 s[0:1], 1, v2
	s_andn2_b64 vcc, exec, s[46:47]
	s_cbranch_vccnz .LBB74_10
; %bb.9:                                ;   in Loop: Header=BB74_6 Depth=1
	s_add_i32 s24, s66, 64
	s_add_u32 s24, s49, s24
	s_addc_u32 s25, s69, 0
	s_mul_i32 s27, s24, s58
	s_mul_hi_u32 s46, s24, s63
	s_add_i32 s27, s46, s27
	s_mul_i32 s25, s25, s63
	s_add_i32 s27, s27, s25
	s_mul_i32 s24, s24, s63
	s_add_u32 s24, s24, s59
	s_addc_u32 s25, s27, s64
	s_lshl_b64 s[24:25], s[24:25], 8
	s_add_u32 s24, s4, s24
	s_addc_u32 s25, s5, s25
.LBB74_10:                              ;   in Loop: Header=BB74_6 Depth=1
	v_perm_b32 v3, v87, v86, s35
	v_perm_b32 v2, v83, v82, s35
	v_perm_b32 v5, v85, v84, s35
	v_perm_b32 v4, v81, v80, s35
	ds_write_b64 v108, v[2:3]
	ds_write_b64 v109, v[4:5]
	ds_write_b64 v112, v[2:3]
	ds_write_b64 v113, v[4:5]
	v_perm_b32 v3, v79, v78, s35
	v_perm_b32 v2, v75, v74, s35
	v_perm_b32 v5, v77, v76, s35
	v_perm_b32 v4, v73, v72, s35
	ds_write_b64 v110, v[2:3]
	ds_write_b64 v111, v[4:5]
	ds_write_b64 v114, v[2:3]
	ds_write_b64 v115, v[4:5]
	;; [unrolled: 8-line block ×4, first 2 shown]
	s_waitcnt lgkmcnt(0)
	s_barrier
	ds_read_b64 v[6:7], v124 offset:49152
	ds_read2_b64 v[2:5], v125 offset1:16
	ds_read_b64 v[18:19], v127 offset:6144
	ds_read_b64 v[20:21], v125 offset:6144
	s_waitcnt lgkmcnt(2)
	v_mfma_f32_16x16x16_bf16 a[0:3], v[6:7], v[2:3], 0
	ds_read_b64 v[22:23], v126 offset:49152
	ds_read2st64_b64 v[10:13], v128 offset0:4 offset1:8
	ds_read2st64_b64 v[14:17], v129 offset0:4 offset1:8
	v_mfma_f32_16x16x16_bf16 a[4:7], v[6:7], v[4:5], 0
	ds_read2_b64 v[2:5], v125 offset0:32 offset1:48
	s_add_i32 s27, s66, 63
	s_mul_i32 s46, s27, s31
	s_waitcnt lgkmcnt(0)
	v_mfma_f32_16x16x16_bf16 a[8:11], v[6:7], v[2:3], 0
	s_mul_hi_u32 s47, s27, s30
	s_add_i32 s47, s47, s46
	s_mul_i32 s46, s27, s30
	v_mfma_f32_16x16x16_bf16 a[12:15], v[6:7], v[4:5], 0
	ds_read2st64_b64 v[2:5], v125 offset0:4 offset1:8
	ds_read2st64_b64 v[6:9], v127 offset0:4 offset1:8
	s_lshl_b64 s[46:47], s[46:47], 2
	s_waitcnt lgkmcnt(1)
	v_mfma_f32_16x16x16_bf16 a[0:3], v[22:23], v[2:3], a[0:3]
	s_add_u32 s46, s44, s46
	s_addc_u32 s47, s45, s47
	s_and_b64 vcc, exec, s[0:1]
	s_waitcnt lgkmcnt(0)
	v_mfma_f32_16x16x16_bf16 a[4:7], v[22:23], v[6:7], a[4:7]
	v_mov_b32_e32 v156, 0
	v_mov_b32_e32 v155, 0
	;; [unrolled: 1-line block ×3, first 2 shown]
	v_mfma_f32_16x16x16_bf16 a[8:11], v[22:23], v[10:11], a[8:11]
	ds_read_b64 v[2:3], v130 offset:49152
	ds_read_b64 v[6:7], v131 offset:49152
	;; [unrolled: 1-line block ×3, first 2 shown]
	v_mfma_f32_16x16x16_bf16 a[12:15], v[22:23], v[14:15], a[12:15]
	v_mov_b32_e32 v14, 0
	v_mov_b32_e32 v15, 0
	s_waitcnt lgkmcnt(2)
	v_mfma_f32_16x16x16_bf16 a[0:3], v[2:3], v[4:5], a[0:3]
	v_mov_b32_e32 v4, 0
	v_mov_b32_e32 v5, 0
	v_mfma_f32_16x16x16_bf16 a[16:19], v[2:3], v[8:9], a[4:7]
	v_mov_b32_e32 v8, 0
	v_mov_b32_e32 v9, 0
	;; [unrolled: 3-line block ×3, first 2 shown]
	v_mfma_f32_16x16x16_bf16 a[24:27], v[2:3], v[16:17], a[12:15]
	ds_read_b64 v[2:3], v128 offset:6144
	v_mov_b32_e32 v16, 0
	v_mov_b32_e32 v17, 0
	s_waitcnt lgkmcnt(2)
	v_mfma_f32_16x16x16_bf16 a[4:7], v[6:7], v[20:21], a[0:3]
	v_mfma_f32_16x16x16_bf16 a[8:11], v[6:7], v[18:19], a[16:19]
	s_waitcnt lgkmcnt(0)
	v_mfma_f32_16x16x16_bf16 a[12:15], v[6:7], v[2:3], a[20:23]
	v_mov_b32_e32 v2, 0
	v_mov_b32_e32 v3, 0
	v_mfma_f32_16x16x16_bf16 a[0:3], v[6:7], v[10:11], a[24:27]
	v_mov_b32_e32 v6, 0
	v_mov_b32_e32 v7, 0
	;; [unrolled: 1-line block ×4, first 2 shown]
	s_cbranch_vccnz .LBB74_12
; %bb.11:                               ;   in Loop: Header=BB74_6 Depth=1
	s_and_b32 s21, s21, 0xffff
	buffer_load_dwordx4 v[14:17], v104, s[20:23], 0 offen
	buffer_load_dwordx4 v[10:13], v104, s[20:23], s65 offen
	;; [unrolled: 1-line block ×4, first 2 shown]
	v_mov_b32_e32 v155, v106
	v_mov_b32_e32 v154, v107
.LBB74_12:                              ;   in Loop: Header=BB74_6 Depth=1
	ds_read_b64 v[34:35], v124 offset:57344
	ds_read2_b64 v[18:21], v132 offset1:16
	ds_read_b64 v[36:37], v126 offset:57344
	ds_read_b64 v[38:39], v130 offset:57344
	;; [unrolled: 1-line block ×3, first 2 shown]
	v_add_u32_e32 v42, s66, v100
	s_waitcnt lgkmcnt(3)
	v_mfma_f32_16x16x16_bf16 a[4:7], v[34:35], v[18:19], a[4:7]
	v_mfma_f32_16x16x16_bf16 a[8:11], v[34:35], v[20:21], a[8:11]
	ds_read2_b64 v[18:21], v132 offset0:32 offset1:48
	ds_read2st64_b64 v[22:25], v132 offset0:4 offset1:8
	ds_read2st64_b64 v[26:29], v133 offset0:4 offset1:8
	;; [unrolled: 1-line block ×3, first 2 shown]
	s_waitcnt lgkmcnt(3)
	v_mfma_f32_16x16x16_bf16 a[12:15], v[34:35], v[18:19], a[12:15]
	v_ashrrev_i32_e32 v18, 31, v42
	v_mfma_f32_16x16x16_bf16 a[0:3], v[34:35], v[20:21], a[0:3]
	v_mul_lo_u32 v20, v18, s30
	v_mul_lo_u32 v21, v42, s31
	v_mad_u64_u32 v[18:19], s[20:21], v42, s30, 0
	v_add3_u32 v19, v19, v21, v20
	v_add_u32_e32 v20, 1, v42
	v_ashrrev_i32_e32 v21, 31, v20
	s_waitcnt lgkmcnt(2)
	v_mfma_f32_16x16x16_bf16 a[4:7], v[36:37], v[22:23], a[4:7]
	v_mul_lo_u32 v22, v21, s30
	v_mul_lo_u32 v23, v20, s31
	v_mad_u64_u32 v[20:21], s[20:21], v20, s30, 0
	v_add3_u32 v21, v21, v23, v22
	v_add_u32_e32 v22, 2, v42
	v_ashrrev_i32_e32 v23, 31, v22
	s_waitcnt lgkmcnt(1)
	v_mfma_f32_16x16x16_bf16 a[8:11], v[36:37], v[26:27], a[8:11]
	v_mul_lo_u32 v26, v23, s30
	v_mul_lo_u32 v27, v22, s31
	v_mad_u64_u32 v[22:23], s[20:21], v22, s30, 0
	v_lshl_add_u64 v[18:19], v[18:19], 2, s[44:45]
	v_add3_u32 v23, v23, v27, v26
	v_add_u32_e32 v26, 3, v42
	v_ashrrev_i32_e32 v27, 31, v26
	global_load_dword v35, v[18:19], off
	v_mad_u64_u32 v[18:19], s[20:21], v26, s30, 0
	v_mul_lo_u32 v27, v27, s30
	v_mul_lo_u32 v34, v26, s31
	s_add_u32 s20, s42, s66
	v_add3_u32 v19, v19, v34, v27
	s_addc_u32 s21, s43, 0
	v_lshl_add_u64 v[20:21], v[20:21], 2, s[44:45]
	v_lshl_add_u64 v[22:23], v[22:23], 2, s[44:45]
	;; [unrolled: 1-line block ×3, first 2 shown]
	s_lshl_b64 s[20:21], s[20:21], 8
	global_load_dword v34, v[20:21], off
	global_load_dword v42, v[22:23], off
	;; [unrolled: 1-line block ×3, first 2 shown]
	v_lshl_add_u64 v[18:19], v[92:93], 0, s[20:21]
	v_lshl_add_u64 v[22:23], v[18:19], 0, v[90:91]
	global_load_ushort v44, v[22:23], off offset:256
	global_load_ushort v157, v[22:23], off
	ds_read2st64_b64 v[18:21], v135 offset0:4 offset1:8
	global_load_ushort v158, v[22:23], off offset:768
	global_load_ushort v159, v[22:23], off offset:512
	s_waitcnt lgkmcnt(1)
	v_mfma_f32_16x16x16_bf16 a[12:15], v[36:37], v[30:31], a[12:15]
	s_and_b64 vcc, exec, s[0:1]
	s_waitcnt vmcnt(3)
	v_lshlrev_b32_e32 v31, 16, v44
	s_waitcnt lgkmcnt(0)
	v_mfma_f32_16x16x16_bf16 a[0:3], v[36:37], v[18:19], a[0:3]
	global_load_ushort v36, v[22:23], off offset:288
	global_load_ushort v37, v[22:23], off offset:32
	;; [unrolled: 1-line block ×8, first 2 shown]
	v_mfma_f32_16x16x16_bf16 a[4:7], v[38:39], v[24:25], a[4:7]
	ds_read_b64 v[18:19], v132 offset:6144
	s_waitcnt vmcnt(10)
	v_lshlrev_b32_e32 v30, 16, v157
	v_mov_b32_e32 v157, 0
	v_mfma_f32_16x16x16_bf16 a[8:11], v[38:39], v[28:29], a[8:11]
	v_mfma_f32_16x16x16_bf16 a[12:15], v[38:39], v[32:33], a[12:15]
	;; [unrolled: 1-line block ×3, first 2 shown]
	global_load_ushort v38, v[22:23], off offset:352
	global_load_ushort v39, v[22:23], off offset:96
	ds_read_b64 v[20:21], v133 offset:6144
	ds_read_b64 v[24:25], v134 offset:6144
	;; [unrolled: 1-line block ×3, first 2 shown]
	global_load_ushort v166, v[22:23], off offset:864
	global_load_ushort v167, v[22:23], off offset:608
	s_load_dword s20, s[46:47], 0x0
	s_waitcnt lgkmcnt(0)
	v_mfma_f32_16x16x16_bf16 a[4:7], v[40:41], v[18:19], a[4:7]
	v_sub_f32_e32 v28, s20, v42
	v_mfma_f32_16x16x16_bf16 a[0:3], v[40:41], v[26:27], a[0:3]
	v_sub_f32_e32 v26, s20, v35
	v_sub_f32_e32 v27, s20, v34
	;; [unrolled: 1-line block ×3, first 2 shown]
	v_mul_f32_e32 v26, 0x3fb8aa3b, v26
	v_mul_f32_e32 v27, 0x3fb8aa3b, v27
	;; [unrolled: 1-line block ×4, first 2 shown]
	v_mfma_f32_16x16x16_bf16 a[8:11], v[40:41], v[20:21], a[8:11]
	v_exp_f32_e32 v26, v26
	v_exp_f32_e32 v27, v27
	;; [unrolled: 1-line block ×4, first 2 shown]
	v_accvgpr_read_b32 v33, a5
	v_accvgpr_read_b32 v32, a4
	;; [unrolled: 1-line block ×4, first 2 shown]
	v_pk_add_f32 v[30:31], v[30:31], v[32:33] neg_lo:[0,1] neg_hi:[0,1]
	s_waitcnt vmcnt(13)
	v_lshlrev_b32_e32 v33, 16, v158
	s_waitcnt vmcnt(12)
	v_lshlrev_b32_e32 v32, 16, v159
	v_pk_add_f32 v[18:19], v[32:33], v[18:19] neg_lo:[0,1] neg_hi:[0,1]
	v_pk_mul_f32 v[30:31], v[26:27], v[30:31]
	v_pk_mul_f32 v[18:19], v[28:29], v[18:19]
	v_accvgpr_read_b32 v33, a9
	v_perm_b32 v19, v19, v18, s35
	v_perm_b32 v18, v31, v30, s35
	v_accvgpr_read_b32 v32, a8
	v_accvgpr_read_b32 v21, a11
	v_mfma_f32_16x16x16_bf16 a[12:15], v[40:41], v[24:25], a[12:15]
	v_accvgpr_read_b32 v20, a10
	v_accvgpr_read_b32 v25, a3
	;; [unrolled: 1-line block ×3, first 2 shown]
	s_waitcnt vmcnt(11)
	v_lshlrev_b32_e32 v31, 16, v36
	s_waitcnt vmcnt(10)
	v_lshlrev_b32_e32 v30, 16, v37
	v_pk_add_f32 v[30:31], v[30:31], v[32:33] neg_lo:[0,1] neg_hi:[0,1]
	s_waitcnt vmcnt(9)
	v_lshlrev_b32_e32 v33, 16, v160
	s_waitcnt vmcnt(8)
	v_lshlrev_b32_e32 v32, 16, v161
	v_pk_add_f32 v[20:21], v[32:33], v[20:21] neg_lo:[0,1] neg_hi:[0,1]
	v_pk_mul_f32 v[30:31], v[26:27], v[30:31]
	v_pk_mul_f32 v[20:21], v[28:29], v[20:21]
	v_accvgpr_read_b32 v23, a15
	v_perm_b32 v21, v21, v20, s35
	v_perm_b32 v20, v31, v30, s35
	ds_write2_b64 v109, v[18:19], v[20:21] offset1:16
	v_accvgpr_read_b32 v21, a13
	s_waitcnt vmcnt(7)
	v_lshlrev_b32_e32 v19, 16, v162
	s_waitcnt vmcnt(6)
	v_lshlrev_b32_e32 v18, 16, v163
	v_accvgpr_read_b32 v20, a12
	v_accvgpr_read_b32 v22, a14
	v_pk_add_f32 v[18:19], v[18:19], v[20:21] neg_lo:[0,1] neg_hi:[0,1]
	s_waitcnt vmcnt(5)
	v_lshlrev_b32_e32 v21, 16, v164
	s_waitcnt vmcnt(4)
	v_lshlrev_b32_e32 v20, 16, v165
	v_pk_add_f32 v[20:21], v[20:21], v[22:23] neg_lo:[0,1] neg_hi:[0,1]
	v_pk_mul_f32 v[18:19], v[26:27], v[18:19]
	v_pk_mul_f32 v[20:21], v[28:29], v[20:21]
	v_accvgpr_read_b32 v23, a1
	v_perm_b32 v21, v21, v20, s35
	v_perm_b32 v20, v19, v18, s35
	s_waitcnt vmcnt(3)
	v_lshlrev_b32_e32 v19, 16, v38
	s_waitcnt vmcnt(2)
	v_lshlrev_b32_e32 v18, 16, v39
	v_accvgpr_read_b32 v22, a0
	v_pk_add_f32 v[18:19], v[18:19], v[22:23] neg_lo:[0,1] neg_hi:[0,1]
	s_waitcnt vmcnt(1)
	v_lshlrev_b32_e32 v23, 16, v166
	s_waitcnt vmcnt(0)
	v_lshlrev_b32_e32 v22, 16, v167
	v_pk_add_f32 v[22:23], v[22:23], v[24:25] neg_lo:[0,1] neg_hi:[0,1]
	v_pk_mul_f32 v[18:19], v[26:27], v[18:19]
	v_pk_mul_f32 v[22:23], v[28:29], v[22:23]
	v_mov_b32_e32 v24, 0
	v_perm_b32 v23, v23, v22, s35
	v_perm_b32 v22, v19, v18, s35
	ds_write2_b64 v109, v[20:21], v[22:23] offset0:32 offset1:48
	v_mov_b32_e32 v18, 0
	v_mov_b32_e32 v19, 0
	;; [unrolled: 1-line block ×15, first 2 shown]
	s_cbranch_vccnz .LBB74_14
; %bb.13:                               ;   in Loop: Header=BB74_6 Depth=1
	s_and_b32 s25, s25, 0xffff
	s_mov_b32 s27, s23
	buffer_load_dwordx4 v[30:33], v142, s[24:27], 0 offen
	buffer_load_dwordx4 v[22:25], v142, s[24:27], s65 offen
	;; [unrolled: 1-line block ×4, first 2 shown]
	v_mov_b32_e32 v156, v103
	v_mov_b32_e32 v157, v102
.LBB74_14:                              ;   in Loop: Header=BB74_6 Depth=1
	s_waitcnt lgkmcnt(0)
	s_barrier
	ds_read_b64 v[42:43], v145
	ds_read2_b64 v[34:37], v138 offset1:16
	ds_read_b64 v[174:175], v146
	ds_read_b64 v[176:177], v147
	;; [unrolled: 1-line block ×3, first 2 shown]
	ds_read2_b64 v[38:41], v138 offset0:32 offset1:48
	ds_read2st64_b64 v[158:161], v138 offset0:4 offset1:8
	ds_read2st64_b64 v[162:165], v139 offset0:4 offset1:8
	;; [unrolled: 1-line block ×4, first 2 shown]
	s_waitcnt lgkmcnt(8)
	v_mfma_f32_16x16x16_bf16 a[0:3], v[42:43], v[34:35], 0
	s_add_i32 s21, s60, s72
	s_mul_hi_i32 s25, s21, s13
	s_mul_i32 s21, s21, s13
	v_mfma_f32_16x16x16_bf16 a[4:7], v[42:43], v[36:37], 0
	s_add_u32 s24, s21, s33
	s_addc_u32 s25, s25, s48
	s_add_i32 s21, s3, s66
	s_waitcnt lgkmcnt(4)
	v_mfma_f32_16x16x16_bf16 a[8:11], v[42:43], v[38:39], 0
	s_lshl_b64 s[24:25], s[24:25], 15
	s_mul_hi_i32 s27, s21, s13
	s_mul_i32 s21, s21, s13
	v_mfma_f32_16x16x16_bf16 a[12:15], v[42:43], v[40:41], 0
	ds_read_b64 v[42:43], v138 offset:6144
	ds_read_b64 v[186:187], v139 offset:6144
	;; [unrolled: 1-line block ×4, first 2 shown]
	s_add_u32 s46, s21, s33
	s_waitcnt lgkmcnt(7)
	v_mfma_f32_16x16x16_bf16 a[0:3], v[174:175], v[158:159], a[0:3]
	s_addc_u32 s47, s27, s48
	s_lshl_b64 s[46:47], s[46:47], 9
	s_add_u32 s46, s16, s46
	s_waitcnt lgkmcnt(6)
	v_mfma_f32_16x16x16_bf16 a[4:7], v[174:175], v[162:163], a[4:7]
	s_addc_u32 s47, s17, s47
	v_lshl_add_u64 v[196:197], v[94:95], 0, s[24:25]
	s_waitcnt lgkmcnt(5)
	v_mfma_f32_16x16x16_bf16 a[8:11], v[174:175], v[166:167], a[8:11]
	s_waitcnt lgkmcnt(4)
	v_mfma_f32_16x16x16_bf16 a[12:15], v[174:175], v[170:171], a[12:15]
	ds_read_b64 v[174:175], v150
	ds_read_b64 v[184:185], v151
	;; [unrolled: 1-line block ×3, first 2 shown]
	s_waitcnt lgkmcnt(2)
	v_mfma_f32_16x16x16_bf16 a[16:19], v[174:175], v[34:35], 0
	v_mfma_f32_16x16x16_bf16 a[20:23], v[174:175], v[36:37], 0
	global_load_dwordx4 v[34:37], v149, s[46:47]
	v_mfma_f32_16x16x16_bf16 a[24:27], v[174:175], v[38:39], 0
	v_mfma_f32_16x16x16_bf16 a[28:31], v[174:175], v[40:41], 0
	global_load_dwordx4 v[38:41], v89, s[46:47]
	v_mfma_f32_16x16x16_bf16 a[0:3], v[176:177], v[160:161], a[0:3]
	v_mfma_f32_16x16x16_bf16 a[4:7], v[176:177], v[164:165], a[4:7]
	;; [unrolled: 1-line block ×8, first 2 shown]
	ds_read2st64_b64 v[174:177], v136 offset1:8
	ds_read2st64_b64 v[178:181], v137 offset1:8
	ds_read_b64 v[194:195], v144 offset:40960
	s_waitcnt lgkmcnt(2)
	v_mov_b32_e32 v182, v174
	v_mfma_f32_16x16x16_bf16 a[16:19], v[184:185], v[158:159], a[16:19]
	v_mov_b32_e32 v183, v175
	v_mfma_f32_16x16x16_bf16 a[20:23], v[184:185], v[162:163], a[20:23]
	v_mfma_f32_16x16x16_bf16 a[24:27], v[184:185], v[166:167], a[24:27]
	;; [unrolled: 1-line block ×3, first 2 shown]
	v_add_co_u32_e32 v170, vcc, s37, v196
	s_waitcnt lgkmcnt(1)
	v_mov_b32_e32 v184, v178
	s_waitcnt lgkmcnt(0)
	v_mfma_f32_16x16x16_bf16 a[16:19], v[194:195], v[160:161], a[16:19]
	ds_read2st64_b64 v[158:161], v136 offset0:16 offset1:24
	v_addc_co_u32_e32 v171, vcc, 0, v197, vcc
	v_mfma_f32_16x16x16_bf16 a[20:23], v[194:195], v[164:165], a[20:23]
	ds_read2st64_b64 v[162:165], v137 offset0:16 offset1:24
	v_mov_b32_e32 v185, v179
	v_mov_b32_e32 v178, v176
	v_mfma_f32_16x16x16_bf16 a[32:35], v[194:195], v[168:169], a[24:27]
	v_mov_b32_e32 v179, v177
	s_waitcnt lgkmcnt(0)
	v_mov_b32_e32 v168, v162
	v_mov_b32_e32 v169, v163
	v_mfma_f32_16x16x16_bf16 a[36:39], v[194:195], v[172:173], a[28:31]
	v_mov_b32_e32 v162, v160
	v_mov_b32_e32 v163, v161
	;; [unrolled: 1-line block ×3, first 2 shown]
	v_mfma_f32_16x16x16_bf16 a[24:27], v[192:193], v[42:43], a[16:19]
	v_add_co_u32_e32 v42, vcc, s70, v196
	v_mov_b32_e32 v167, v159
	v_mfma_f32_16x16x16_bf16 a[28:31], v[192:193], v[186:187], a[20:23]
	v_addc_co_u32_e32 v43, vcc, 0, v197, vcc
	global_store_dwordx4 v[42:43], v[162:165], off
	v_mfma_f32_16x16x16_bf16 a[16:19], v[192:193], v[188:189], a[32:35]
	s_waitcnt vmcnt(2)
	v_mov_b32_e32 v44, v37
	v_mov_b32_e32 v43, v36
	;; [unrolled: 1-line block ×3, first 2 shown]
	v_mfma_f32_16x16x16_bf16 a[20:23], v[192:193], v[190:191], a[36:39]
	s_and_b64 vcc, exec, s[0:1]
	global_store_dwordx4 v[196:197], v[182:185], off
	global_store_dwordx4 v[170:171], v[178:181], off offset:-4096
	global_store_dwordx4 v[170:171], v[166:169], off
	s_cbranch_vccnz .LBB74_16
; %bb.15:                               ;   in Loop: Header=BB74_6 Depth=1
	v_lshrrev_b32_e32 v35, 3, v156
	v_and_b32_e32 v35, 6, v35
	v_xor_b32_e32 v36, v35, v157
	v_lshlrev_b32_e32 v36, 2, v36
	v_and_b32_e32 v37, 8, v156
	v_xor_b32_e32 v156, 0x440, v36
	v_cmp_eq_u32_e32 vcc, 0, v37
	v_perm_b32 v37, v22, v18, s67
	s_nop 0
	v_cndmask_b32_e32 v36, v156, v36, vcc
	v_lshl_or_b32 v35, v35, 10, v36
	v_perm_b32 v36, v30, v26, s67
	s_barrier
	ds_write2st64_b32 v35, v36, v37 offset0:128 offset1:160
	v_xor_b32_e32 v36, 8, v35
	v_perm_b32 v26, v30, v26, s68
	v_perm_b32 v18, v22, v18, s68
	v_add_u32_e32 v22, 0x80, v36
	ds_write2st64_b32 v22, v26, v18 offset0:128 offset1:160
	v_xor_b32_e32 v18, 16, v35
	v_perm_b32 v22, v31, v27, s67
	v_perm_b32 v26, v23, v19, s67
	ds_write2st64_b32 v18, v22, v26 offset0:129 offset1:161
	v_xor_b32_e32 v18, 24, v35
	v_perm_b32 v22, v31, v27, s68
	v_perm_b32 v19, v23, v19, s68
	v_add_u32_e32 v18, 0x80, v18
	ds_write2st64_b32 v18, v22, v19 offset0:129 offset1:161
	v_xor_b32_e32 v18, 32, v35
	v_perm_b32 v19, v32, v28, s67
	v_perm_b32 v22, v24, v20, s67
	ds_write2st64_b32 v18, v19, v22 offset0:130 offset1:162
	v_xor_b32_e32 v18, 40, v35
	v_perm_b32 v19, v32, v28, s68
	v_perm_b32 v20, v24, v20, s68
	v_add_u32_e32 v18, 0x80, v18
	ds_write2st64_b32 v18, v19, v20 offset0:130 offset1:162
	v_xor_b32_e32 v18, 48, v35
	v_perm_b32 v19, v33, v29, s67
	v_perm_b32 v20, v25, v21, s67
	ds_write2st64_b32 v18, v19, v20 offset0:131 offset1:163
	v_xor_b32_e32 v18, 56, v35
	v_perm_b32 v19, v33, v29, s68
	v_perm_b32 v20, v25, v21, s68
	v_add_u32_e32 v18, 0x80, v18
	ds_write2st64_b32 v18, v19, v20 offset0:131 offset1:163
	ds_write_b64 v155, v[14:15] offset:49152
	v_xor_b32_e32 v14, 8, v155
	ds_write_b64 v14, v[16:17] offset:49152
	ds_write_b64 v155, v[10:11] offset:57344
	;; [unrolled: 1-line block ×4, first 2 shown]
	v_xor_b32_e32 v6, 8, v154
	ds_write_b64 v6, v[8:9] offset:49152
	ds_write_b64 v154, v[2:3] offset:57344
	ds_write_b64 v6, v[4:5] offset:57344
.LBB74_16:                              ;   in Loop: Header=BB74_6 Depth=1
	v_mul_f32_e32 v26, s20, v153
	v_exp_f32_e32 v36, v26
	s_waitcnt vmcnt(4)
	v_mul_f32_e32 v26, 0x3fb8aa3b, v38
	v_exp_f32_e32 v38, v26
	v_mul_f32_e32 v26, 0x3fb8aa3b, v39
	v_exp_f32_e32 v39, v26
	;; [unrolled: 2-line block ×4, first 2 shown]
	v_accvgpr_read_b32 v5, a3
	v_accvgpr_read_b32 v4, a2
	;; [unrolled: 1-line block ×4, first 2 shown]
	v_pk_mul_f32 v[38:39], v[36:37], v[38:39] op_sel_hi:[0,1]
	v_pk_mul_f32 v[40:41], v[36:37], v[40:41] op_sel_hi:[0,1]
	v_pk_fma_f32 v[82:83], v[82:83], v[38:39], v[2:3]
	v_pk_fma_f32 v[86:87], v[86:87], v[40:41], v[4:5]
	v_mul_f32_e32 v2, 0x3fb8aa3b, v34
	v_mul_f32_e32 v3, 0x3fb8aa3b, v42
	;; [unrolled: 1-line block ×4, first 2 shown]
	v_exp_f32_e32 v2, v2
	v_exp_f32_e32 v3, v3
	;; [unrolled: 1-line block ×4, first 2 shown]
	v_accvgpr_read_b32 v9, a7
	v_accvgpr_read_b32 v13, a11
	;; [unrolled: 1-line block ×28, first 2 shown]
	v_pk_mul_f32 v[2:3], v[36:37], v[2:3] op_sel_hi:[0,1]
	v_pk_mul_f32 v[4:5], v[36:37], v[4:5] op_sel_hi:[0,1]
	s_add_i32 s66, s66, 64
	v_pk_fma_f32 v[74:75], v[38:39], v[74:75], v[6:7]
	v_pk_fma_f32 v[78:79], v[40:41], v[78:79], v[8:9]
	;; [unrolled: 1-line block ×13, first 2 shown]
	s_cmp_eq_u32 s57, s71
	v_pk_fma_f32 v[60:61], v[4:5], v[60:61], v[32:33]
	s_cbranch_scc1 .LBB74_18
; %bb.17:                               ;   in Loop: Header=BB74_6 Depth=1
	s_mov_b32 s72, s71
	s_branch .LBB74_6
.LBB74_18:
	s_lshl_b32 s43, s57, 6
	s_sub_i32 s46, s12, s43
	s_cmp_gt_i32 s46, 0
	s_cbranch_scc0 .LBB74_99
; %bb.19:
	s_ashr_i32 s3, s43, 31
	s_cmpk_lg_i32 s15, 0x80
	s_cselect_b64 s[26:27], -1, 0
	s_and_b64 vcc, exec, s[26:27]
	s_cbranch_vccz .LBB74_21
; %bb.20:
	s_mul_hi_i32 s0, s56, s12
	s_add_u32 s1, s49, s43
	s_addc_u32 s0, s0, s3
	s_mul_i32 s20, s1, s58
	s_mul_hi_u32 s21, s1, s14
	s_add_i32 s20, s21, s20
	s_mul_i32 s0, s0, s14
	s_add_i32 s20, s20, s0
	s_mul_i32 s1, s1, s14
	s_ashr_i32 s0, s59, 31
	s_add_u32 s44, s1, s59
	s_addc_u32 s45, s20, s0
	s_cbranch_execz .LBB74_22
	s_branch .LBB74_23
.LBB74_21:
                                        ; implicit-def: $sgpr44_sgpr45
.LBB74_22:
	s_mul_hi_i32 s0, s56, s14
	s_mul_i32 s56, s56, s14
	s_ashr_i32 s1, s59, 31
	s_add_u32 s14, s56, s59
	s_addc_u32 s0, s0, s1
	s_mul_i32 s1, s14, s55
	s_mul_hi_u32 s20, s14, s12
	s_add_i32 s1, s20, s1
	s_mul_i32 s0, s0, s12
	s_add_i32 s1, s1, s0
	s_mul_i32 s14, s14, s12
	s_add_u32 s44, s14, s43
	s_addc_u32 s45, s1, s3
.LBB74_23:
	s_mul_i32 s0, s40, s55
	s_add_i32 s0, s62, s0
	s_add_i32 s14, s60, s57
	;; [unrolled: 1-line block ×3, first 2 shown]
	s_add_u32 s0, s42, s43
	v_lshlrev_b32_e32 v6, 6, v100
	v_lshlrev_b32_e32 v24, 2, v97
	s_addc_u32 s1, s1, s3
	s_mov_b32 s3, 0x7060302
	v_or_b32_e32 v9, v6, v24
	v_xor_b32_e32 v7, v100, v24
	v_perm_b32 v3, v87, v86, s3
	v_perm_b32 v2, v83, v82, s3
	;; [unrolled: 1-line block ×4, first 2 shown]
	v_lshlrev_b32_e32 v9, 1, v9
	v_xor_b32_e32 v8, v101, v24
	ds_write2st64_b64 v9, v[2:3], v[4:5] offset0:32 offset1:48
	v_lshlrev_b32_e32 v7, 1, v7
	v_lshlrev_b32_e32 v9, 8, v97
	v_or_b32_e32 v10, v7, v9
	v_lshlrev_b32_e32 v8, 1, v8
	ds_write_b64 v10, v[2:3]
	v_or_b32_e32 v2, v8, v9
	v_or_b32_e32 v9, 16, v97
	v_lshlrev_b32_e32 v23, 2, v9
	v_or_b32_e32 v10, v6, v23
	ds_write_b64 v2, v[4:5]
	v_perm_b32 v3, v79, v78, s3
	v_perm_b32 v2, v75, v74, s3
	;; [unrolled: 1-line block ×4, first 2 shown]
	v_lshlrev_b32_e32 v10, 1, v10
	v_lshlrev_b32_e32 v9, 8, v9
	ds_write2st64_b64 v10, v[2:3], v[4:5] offset0:32 offset1:48
	v_or_b32_e32 v10, v7, v9
	ds_write_b64 v10, v[2:3]
	v_or_b32_e32 v2, v8, v9
	v_or_b32_e32 v9, 32, v97
	v_lshlrev_b32_e32 v22, 2, v9
	v_or_b32_e32 v10, v6, v22
	ds_write_b64 v2, v[4:5]
	v_perm_b32 v3, v71, v70, s3
	v_perm_b32 v2, v67, v66, s3
	;; [unrolled: 1-line block ×4, first 2 shown]
	v_lshlrev_b32_e32 v10, 1, v10
	v_lshlrev_b32_e32 v9, 8, v9
	s_lshl_b64 s[24:25], s[0:1], 8
	ds_write2st64_b64 v10, v[2:3], v[4:5] offset0:32 offset1:48
	v_or_b32_e32 v10, v7, v9
	s_add_u32 s0, s6, s24
	ds_write_b64 v10, v[2:3]
	v_or_b32_e32 v2, v8, v9
	s_addc_u32 s1, s7, s25
	ds_write_b64 v2, v[4:5]
	v_perm_b32 v3, v63, v62, s3
	v_perm_b32 v2, v59, v58, s3
	v_perm_b32 v5, v61, v60, s3
	v_perm_b32 v4, v57, v56, s3
	v_or_b32_e32 v9, 48, v97
	s_mul_hi_i32 s3, s14, s13
	s_mul_i32 s14, s14, s13
	v_lshlrev_b32_e32 v19, 2, v9
	s_add_u32 s6, s14, s33
	v_or_b32_e32 v6, v6, v19
	s_addc_u32 s7, s3, s48
	v_lshlrev_b32_e32 v6, 1, v6
	s_ashr_i32 s3, s2, 31
	s_lshl_b64 s[6:7], s[6:7], 15
	ds_write2st64_b64 v6, v[2:3], v[4:5] offset0:32 offset1:48
	v_lshlrev_b32_e32 v6, 8, v9
	s_add_u32 s6, s38, s6
	v_or_b32_e32 v7, v7, v6
	s_addc_u32 s7, s39, s7
	s_lshl_b64 s[2:3], s[2:3], 8
	ds_write_b64 v7, v[2:3]
	v_or_b32_e32 v2, v8, v6
	s_add_u32 s2, s6, s2
	v_lshlrev_b32_e32 v3, 1, v97
	ds_write_b64 v2, v[4:5]
	v_lshrrev_b32_e32 v2, 4, v0
	s_addc_u32 s3, s7, s3
	v_or_b32_e32 v4, 1, v3
	v_lshlrev_b32_e32 v10, 4, v97
	v_mov_b32_e32 v11, 0
	v_xor_b32_e32 v3, v2, v3
	v_xor_b32_e32 v6, v4, v2
	v_lshl_add_u64 v[12:13], s[2:3], 0, v[10:11]
	v_lshlrev_b32_e32 v10, 8, v2
	v_lshl_or_b32 v16, v3, 3, v10
	v_lshl_or_b32 v17, v6, 3, v10
	s_waitcnt lgkmcnt(0)
	s_barrier
	ds_read2st64_b64 v[2:5], v16 offset1:8
	ds_read2st64_b64 v[6:9], v17 offset1:8
	v_lshl_add_u64 v[14:15], v[12:13], 0, v[10:11]
	s_movk_i32 s2, 0x2000
	s_cmp_lg_u32 s46, 64
	s_waitcnt lgkmcnt(1)
	v_mov_b32_e32 v10, v2
	v_mov_b32_e32 v11, v3
	s_waitcnt lgkmcnt(0)
	v_mov_b32_e32 v12, v6
	v_mov_b32_e32 v13, v7
	global_store_dwordx4 v[14:15], v[10:13], off
	v_mov_b32_e32 v6, v4
	v_mov_b32_e32 v7, v5
	ds_read2st64_b64 v[2:5], v16 offset0:16 offset1:24
	ds_read2st64_b64 v[10:13], v17 offset0:16 offset1:24
	v_add_co_u32_e32 v16, vcc, s2, v14
	s_cselect_b64 s[6:7], -1, 0
	s_nop 0
	v_addc_co_u32_e32 v17, vcc, 0, v15, vcc
	global_store_dwordx4 v[16:17], v[6:9], off offset:-4096
	v_lshl_or_b32 v30, v1, 3, v99
	s_mov_b32 s20, 0
	s_waitcnt lgkmcnt(1)
	v_mov_b32_e32 v6, v2
	v_add_co_u32_e32 v2, vcc, 0x3000, v14
	v_mov_b32_e32 v7, v3
	s_nop 0
	v_addc_co_u32_e32 v3, vcc, 0, v15, vcc
	s_waitcnt lgkmcnt(0)
	v_mov_b32_e32 v8, v10
	v_mov_b32_e32 v9, v11
	;; [unrolled: 1-line block ×4, first 2 shown]
	v_or_b32_e32 v20, 32, v30
	v_and_b32_e32 v18, 56, v98
	s_and_b64 vcc, exec, s[6:7]
	global_store_dwordx4 v[16:17], v[6:9], off
	global_store_dwordx4 v[2:3], v[10:13], off
	s_cbranch_vccz .LBB74_29
; %bb.24:
	s_mov_b32 s21, s20
	s_mov_b32 s22, s20
	;; [unrolled: 1-line block ×3, first 2 shown]
	v_mov_b64_e32 v[6:7], s[20:21]
	v_mov_b64_e32 v[8:9], s[22:23]
	;; [unrolled: 1-line block ×3, first 2 shown]
	v_cmp_gt_i32_e32 vcc, s46, v30
	v_mov_b64_e32 v[4:5], v[8:9]
	s_and_saveexec_b64 s[2:3], vcc
	s_cbranch_execz .LBB74_26
; %bb.25:
	v_lshlrev_b32_e32 v2, 8, v30
	v_mov_b32_e32 v3, 0
	v_lshl_add_u64 v[4:5], s[0:1], 0, v[2:3]
	v_lshlrev_b32_e32 v2, 1, v18
	v_lshl_add_u64 v[10:11], v[4:5], 0, v[2:3]
	global_load_dwordx4 v[6:9], v[10:11], off
	global_load_dwordx4 v[2:5], v[10:11], off offset:128
.LBB74_26:
	s_or_b64 exec, exec, s[2:3]
	s_mov_b32 s21, s20
	s_mov_b32 s22, s20
	;; [unrolled: 1-line block ×3, first 2 shown]
	v_mov_b64_e32 v[14:15], s[20:21]
	v_mov_b64_e32 v[16:17], s[22:23]
	;; [unrolled: 1-line block ×3, first 2 shown]
	v_cmp_gt_i32_e32 vcc, s46, v20
	v_lshlrev_b32_e32 v21, 7, v20
	v_mov_b64_e32 v[12:13], v[16:17]
	s_and_saveexec_b64 s[2:3], vcc
	s_cbranch_execz .LBB74_28
; %bb.27:
	v_lshlrev_b32_e32 v10, 1, v21
	v_mov_b32_e32 v11, 0
	v_lshl_add_u64 v[12:13], s[0:1], 0, v[10:11]
	v_lshlrev_b32_e32 v10, 1, v18
	v_lshl_add_u64 v[26:27], v[12:13], 0, v[10:11]
	global_load_dwordx4 v[14:17], v[26:27], off
	global_load_dwordx4 v[10:13], v[26:27], off offset:128
.LBB74_28:
	s_or_b64 exec, exec, s[2:3]
	v_lshrrev_b32_e32 v25, 3, v18
	v_lshlrev_b32_e32 v26, 3, v30
	v_or_b32_e32 v25, v26, v25
	v_lshlrev_b32_e32 v25, 4, v25
	v_and_b32_e32 v26, 0x78, v26
	v_xor_b32_e32 v25, v25, v26
	s_branch .LBB74_31
.LBB74_29:
                                        ; implicit-def: $vgpr25
                                        ; implicit-def: $vgpr21
                                        ; implicit-def: $vgpr6_vgpr7_vgpr8_vgpr9
                                        ; implicit-def: $vgpr2_vgpr3_vgpr4_vgpr5
                                        ; implicit-def: $vgpr14_vgpr15_vgpr16_vgpr17
                                        ; implicit-def: $vgpr10_vgpr11_vgpr12_vgpr13
	s_cbranch_execz .LBB74_31
; %bb.30:
	s_waitcnt vmcnt(0)
	v_lshlrev_b32_e32 v2, 1, v18
	v_lshl_or_b32 v21, v30, 8, v2
	s_and_b32 s1, s1, 0xffff
	s_mov_b32 s3, 0x20000
	s_movk_i32 s2, 0x4000
	v_lshl_or_b32 v25, v20, 8, v2
	s_movk_i32 s14, 0x80
	buffer_load_dwordx4 v[6:9], v21, s[0:3], 0 offen
	buffer_load_dwordx4 v[2:5], v21, s[0:3], s14 offen
	;; [unrolled: 1-line block ×4, first 2 shown]
	v_lshrrev_b32_e32 v21, 3, v18
	v_lshlrev_b32_e32 v25, 3, v30
	v_or_b32_e32 v21, v25, v21
	v_lshlrev_b32_e32 v21, 4, v21
	v_and_b32_e32 v25, 0x78, v25
	v_xor_b32_e32 v25, v21, v25
	v_lshlrev_b32_e32 v21, 7, v20
.LBB74_31:
	s_movk_i32 s0, 0x1000
	v_and_or_b32 v20, v21, s0, v25
	s_waitcnt vmcnt(1)
	ds_write_b64 v25, v[6:7] offset:49152
	v_xor_b32_e32 v6, 8, v25
	ds_write_b64 v6, v[8:9] offset:49152
	s_waitcnt vmcnt(0)
	ds_write_b64 v25, v[2:3] offset:57344
	ds_write_b64 v6, v[4:5] offset:57344
	;; [unrolled: 1-line block ×3, first 2 shown]
	v_xor_b32_e32 v2, 8, v20
	ds_write_b64 v2, v[16:17] offset:49152
	ds_write_b64 v20, v[10:11] offset:57344
	;; [unrolled: 1-line block ×3, first 2 shown]
	v_or_b32_e32 v2, v45, v97
	v_lshlrev_b32_e32 v2, 3, v2
	v_lshrrev_b32_e32 v3, 5, v47
	s_movk_i32 s0, 0xf8
	v_and_or_b32 v3, v2, s0, v3
	v_lshlrev_b32_e32 v7, 4, v3
	v_lshlrev_b32_e32 v25, 11, v1
	v_and_b32_e32 v8, 0x78, v2
	v_or_b32_e32 v10, 32, v7
	v_and_b32_e32 v6, 0x1000, v25
	v_lshrrev_b32_e32 v3, 1, v47
	v_xor_b32_e32 v10, v10, v8
	v_xor_b32_e32 v2, v7, v8
	v_and_b32_e32 v9, 8, v3
	v_or_b32_e32 v10, v10, v6
	v_or_b32_e32 v2, v2, v6
	v_xor_b32_e32 v32, v10, v9
	v_or_b32_e32 v10, 64, v7
	v_xor_b32_e32 v31, v2, v9
	v_xor_b32_e32 v10, v10, v8
	s_waitcnt lgkmcnt(0)
	s_barrier
	v_or_b32_e32 v13, v10, v6
	ds_read_b64 v[10:11], v31 offset:49152
	v_lshl_or_b32 v14, v96, 8, v24
	v_lshlrev_b32_e32 v26, 1, v14
	v_add_u32_e32 v12, 0x4000, v26
	ds_read2_b64 v[2:5], v12 offset1:16
	v_or_b32_e32 v7, 0x60, v7
	v_xor_b32_e32 v7, v7, v8
	v_or_b32_e32 v6, v7, v6
	v_xor_b32_e32 v33, v13, v9
	v_xor_b32_e32 v34, v6, v9
	ds_read_b64 v[20:21], v32 offset:49152
	ds_read_b64 v[36:37], v33 offset:49152
	;; [unrolled: 1-line block ×3, first 2 shown]
	s_waitcnt lgkmcnt(3)
	v_mfma_f32_16x16x16_bf16 a[0:3], v[10:11], v[2:3], 0
	ds_read2st64_b64 v[6:9], v26 offset0:36 offset1:40
	s_lshl_b64 s[0:1], s[44:45], 8
	s_add_u32 s4, s4, s0
	v_mfma_f32_16x16x16_bf16 a[4:7], v[10:11], v[4:5], 0
	ds_read2_b64 v[2:5], v12 offset0:32 offset1:48
	s_addc_u32 s5, s5, s1
	s_add_i32 s0, s51, s41
	s_waitcnt lgkmcnt(0)
	v_mfma_f32_16x16x16_bf16 a[8:11], v[10:11], v[2:3], 0
	v_or_b32_e32 v2, 64, v14
	v_lshlrev_b32_e32 v27, 1, v2
	s_add_i32 s14, s12, -1
	v_mfma_f32_16x16x16_bf16 a[12:15], v[10:11], v[4:5], 0
	ds_read2st64_b64 v[2:5], v27 offset0:36 offset1:40
	s_add_i32 s37, s0, s50
	s_add_i32 s0, s53, s52
	v_mfma_f32_16x16x16_bf16 a[0:3], v[20:21], v[6:7], a[0:3]
	v_or_b32_e32 v6, 0x80, v14
	v_lshlrev_b32_e32 v28, 1, v6
	ds_read2st64_b64 v[10:13], v28 offset0:36 offset1:40
	s_waitcnt lgkmcnt(1)
	v_mfma_f32_16x16x16_bf16 a[4:7], v[20:21], v[2:3], a[4:7]
	v_or_b32_e32 v2, 0xc0, v14
	v_lshlrev_b32_e32 v29, 1, v2
	ds_read2st64_b64 v[14:17], v29 offset0:36 offset1:40
	s_add_i32 s35, s0, s54
	s_ashr_i32 s0, s14, 31
	s_mul_i32 s1, s14, s31
	s_mul_hi_u32 s2, s14, s30
	s_add_i32 s1, s2, s1
	s_mul_i32 s0, s0, s30
	s_waitcnt lgkmcnt(1)
	v_mfma_f32_16x16x16_bf16 a[8:11], v[20:21], v[10:11], a[8:11]
	s_add_i32 s1, s1, s0
	s_lshl_b64 s[2:3], s[36:37], 2
	s_add_u32 s10, s10, s2
	s_waitcnt lgkmcnt(0)
	v_mfma_f32_16x16x16_bf16 a[12:15], v[20:21], v[14:15], a[12:15]
	s_addc_u32 s11, s11, s3
	s_lshl_b64 s[2:3], s[34:35], 2
	s_mul_i32 s0, s14, s30
	v_mfma_f32_16x16x16_bf16 a[0:3], v[36:37], v[8:9], a[0:3]
	ds_read_b64 v[2:3], v26 offset:22528
	s_add_u32 s10, s10, s2
	s_addc_u32 s11, s11, s3
	v_mfma_f32_16x16x16_bf16 a[4:7], v[36:37], v[4:5], a[4:7]
	ds_read_b64 v[4:5], v27 offset:22528
	ds_read_b64 v[6:7], v28 offset:22528
	;; [unrolled: 1-line block ×3, first 2 shown]
	s_lshl_b64 s[0:1], s[0:1], 2
	s_add_u32 s0, s10, s0
	v_mfma_f32_16x16x16_bf16 a[8:11], v[36:37], v[12:13], a[8:11]
	s_addc_u32 s1, s11, s1
	s_load_dword s12, s[0:1], 0x0
	s_and_b64 vcc, exec, s[26:27]
	v_mfma_f32_16x16x16_bf16 a[12:15], v[36:37], v[16:17], a[12:15]
	s_waitcnt lgkmcnt(0)
	v_mfma_f32_16x16x16_bf16 a[0:3], v[38:39], v[2:3], a[0:3]
	v_mfma_f32_16x16x16_bf16 a[4:7], v[38:39], v[4:5], a[4:7]
	;; [unrolled: 1-line block ×4, first 2 shown]
	s_cbranch_vccz .LBB74_42
; %bb.32:
	v_lshlrev_b32_e32 v20, 1, v30
	s_and_b64 vcc, exec, s[6:7]
	s_cbranch_vccz .LBB74_43
; %bb.33:
	v_cmp_gt_i32_e32 vcc, s46, v20
	v_mov_b32_e32 v6, 0
	v_mov_b32_e32 v2, 0
	;; [unrolled: 1-line block ×5, first 2 shown]
	s_and_saveexec_b64 s[0:1], vcc
	s_cbranch_execz .LBB74_35
; %bb.34:
	v_mad_i64_i32 v[2:3], s[2:3], s15, v20, 0
	v_lshl_add_u64 v[2:3], v[2:3], 1, s[4:5]
	v_lshlrev_b32_e32 v4, 1, v18
	v_mov_b32_e32 v5, 0
	v_lshl_add_u64 v[2:3], v[2:3], 0, v[4:5]
	global_load_dwordx4 v[2:5], v[2:3], off
.LBB74_35:
	s_or_b64 exec, exec, s[0:1]
	v_or_b32_e32 v21, 1, v20
	v_cmp_gt_i32_e64 s[0:1], s46, v21
	v_mov_b32_e32 v7, 0
	v_mov_b32_e32 v8, 0
	;; [unrolled: 1-line block ×3, first 2 shown]
	s_and_saveexec_b64 s[2:3], s[0:1]
	s_cbranch_execz .LBB74_37
; %bb.36:
	v_mad_i64_i32 v[6:7], s[20:21], s15, v21, 0
	v_lshl_add_u64 v[6:7], v[6:7], 1, s[4:5]
	v_lshlrev_b32_e32 v8, 1, v18
	v_mov_b32_e32 v9, 0
	v_lshl_add_u64 v[6:7], v[6:7], 0, v[8:9]
	global_load_dwordx4 v[6:9], v[6:7], off
.LBB74_37:
	s_or_b64 exec, exec, s[2:3]
	v_mov_b32_e32 v17, 0
	v_mov_b32_e32 v10, 0
	;; [unrolled: 1-line block ×5, first 2 shown]
	s_and_saveexec_b64 s[2:3], vcc
	s_cbranch_execz .LBB74_39
; %bb.38:
	v_mad_i64_i32 v[10:11], s[20:21], s15, v20, 0
	v_lshl_add_u64 v[10:11], v[10:11], 1, s[4:5]
	v_lshlrev_b32_e32 v12, 1, v18
	v_mov_b32_e32 v13, 0
	v_lshl_add_u64 v[10:11], v[10:11], 0, v[12:13]
	global_load_dwordx4 v[10:13], v[10:11], off offset:128
.LBB74_39:
	s_or_b64 exec, exec, s[2:3]
	v_mov_b32_e32 v16, 0
	v_mov_b32_e32 v15, 0
	;; [unrolled: 1-line block ×3, first 2 shown]
	s_and_saveexec_b64 s[2:3], s[0:1]
	s_cbranch_execz .LBB74_41
; %bb.40:
	v_mad_i64_i32 v[14:15], s[0:1], s15, v21, 0
	v_lshl_add_u64 v[14:15], v[14:15], 1, s[4:5]
	v_lshlrev_b32_e32 v16, 1, v18
	v_mov_b32_e32 v17, 0
	v_lshl_add_u64 v[14:15], v[14:15], 0, v[16:17]
	global_load_dwordx4 v[14:17], v[14:15], off offset:128
.LBB74_41:
	s_or_b64 exec, exec, s[2:3]
	s_branch .LBB74_45
.LBB74_42:
                                        ; implicit-def: $vgpr5
                                        ; implicit-def: $vgpr9
                                        ; implicit-def: $vgpr13
                                        ; implicit-def: $vgpr17
	v_lshrrev_b32_e32 v35, 2, v47
	s_branch .LBB74_46
.LBB74_43:
                                        ; implicit-def: $vgpr5
                                        ; implicit-def: $vgpr9
                                        ; implicit-def: $vgpr13
                                        ; implicit-def: $vgpr17
	s_cbranch_execz .LBB74_45
; %bb.44:
	s_waitcnt vmcnt(0)
	v_mad_u64_u32 v[2:3], s[0:1], v20, s15, v[18:19]
	v_lshlrev_b32_e32 v20, 1, v2
	s_lshl_b32 s2, s15, 7
	s_and_b32 s1, s5, 0xffff
	s_mov_b32 s3, 0x20000
	s_mov_b32 s0, s4
	v_add_lshl_u32 v21, v2, s15, 1
	s_movk_i32 s15, 0x80
	buffer_load_dwordx4 v[2:5], v20, s[0:3], 0 offen
	buffer_load_dwordx4 v[10:13], v20, s[0:3], s15 offen
	;; [unrolled: 1-line block ×4, first 2 shown]
.LBB74_45:
	v_lshrrev_b32_e32 v35, 2, v47
	s_cbranch_execnz .LBB74_58
.LBB74_46:
	s_and_b64 vcc, exec, s[6:7]
	s_cbranch_vccz .LBB74_56
; %bb.47:
	s_waitcnt vmcnt(0)
	v_lshlrev_b32_e32 v7, 1, v30
	v_cmp_gt_i32_e32 vcc, s46, v7
	v_mov_b32_e32 v6, 0
	v_lshlrev_b32_e32 v14, 9, v30
	v_mov_b32_e32 v2, 0
	v_mov_b32_e32 v3, 0
	;; [unrolled: 1-line block ×4, first 2 shown]
	s_and_saveexec_b64 s[0:1], vcc
	s_cbranch_execz .LBB74_49
; %bb.48:
	v_mov_b32_e32 v15, 0
	v_lshl_add_u64 v[2:3], s[4:5], 0, v[14:15]
	v_lshlrev_b32_e32 v4, 1, v18
	v_mov_b32_e32 v5, v15
	v_lshl_add_u64 v[2:3], v[2:3], 0, v[4:5]
	global_load_dwordx4 v[2:5], v[2:3], off
.LBB74_49:
	s_or_b64 exec, exec, s[0:1]
	v_or_b32_e32 v7, 1, v7
	v_cmp_gt_i32_e64 s[0:1], s46, v7
	v_lshlrev_b32_e32 v20, 8, v7
	v_mov_b32_e32 v7, 0
	v_mov_b32_e32 v8, 0
	;; [unrolled: 1-line block ×3, first 2 shown]
	s_and_saveexec_b64 s[2:3], s[0:1]
	s_cbranch_execz .LBB74_51
; %bb.50:
	v_mov_b32_e32 v21, 0
	v_lshl_add_u64 v[6:7], s[4:5], 0, v[20:21]
	v_lshlrev_b32_e32 v8, 1, v18
	v_mov_b32_e32 v9, v21
	v_lshl_add_u64 v[6:7], v[6:7], 0, v[8:9]
	global_load_dwordx4 v[6:9], v[6:7], off
.LBB74_51:
	s_or_b64 exec, exec, s[2:3]
	v_mov_b32_e32 v17, 0
	v_mov_b32_e32 v10, 0
	;; [unrolled: 1-line block ×5, first 2 shown]
	s_and_saveexec_b64 s[2:3], vcc
	s_cbranch_execz .LBB74_53
; %bb.52:
	v_mov_b32_e32 v15, 0
	v_lshl_add_u64 v[10:11], s[4:5], 0, v[14:15]
	v_lshlrev_b32_e32 v14, 1, v18
	v_lshl_add_u64 v[10:11], v[10:11], 0, v[14:15]
	global_load_dwordx4 v[10:13], v[10:11], off offset:128
.LBB74_53:
	s_or_b64 exec, exec, s[2:3]
	v_mov_b32_e32 v16, 0
	v_mov_b32_e32 v15, 0
	;; [unrolled: 1-line block ×3, first 2 shown]
	s_and_saveexec_b64 s[2:3], s[0:1]
	s_cbranch_execz .LBB74_55
; %bb.54:
	v_mov_b32_e32 v21, 0
	v_lshl_add_u64 v[14:15], s[4:5], 0, v[20:21]
	v_lshlrev_b32_e32 v20, 1, v18
	v_lshl_add_u64 v[14:15], v[14:15], 0, v[20:21]
	global_load_dwordx4 v[14:17], v[14:15], off offset:128
.LBB74_55:
	s_or_b64 exec, exec, s[2:3]
	s_branch .LBB74_58
.LBB74_56:
                                        ; implicit-def: $vgpr5
                                        ; implicit-def: $vgpr9
                                        ; implicit-def: $vgpr13
                                        ; implicit-def: $vgpr17
	s_cbranch_execz .LBB74_58
; %bb.57:
	s_waitcnt vmcnt(0)
	v_lshlrev_b32_e32 v2, 1, v18
	v_lshl_or_b32 v18, v30, 9, v2
	s_and_b32 s5, s5, 0xffff
	s_mov_b32 s7, 0x20000
	s_movk_i32 s6, 0x4000
	s_movk_i32 s0, 0x80
	buffer_load_dwordx4 v[2:5], v18, s[4:7], 0 offen
	buffer_load_dwordx4 v[6:9], v18, s[4:7], 0 offen offset:256
	buffer_load_dwordx4 v[10:13], v18, s[4:7], s0 offen
	buffer_load_dwordx4 v[14:17], v18, s[4:7], s0 offen offset:256
.LBB74_58:
	ds_read_b64 v[20:21], v31 offset:57344
	v_add_u32_e32 v18, 0x6000, v26
	ds_read2_b64 v[36:39], v18 offset1:16
	ds_read_b64 v[94:95], v32 offset:57344
	ds_read_b64 v[96:97], v33 offset:57344
	;; [unrolled: 1-line block ×3, first 2 shown]
	v_and_b32_e32 v31, 6, v0
	v_xor_b32_e32 v30, v30, v31
	v_lshlrev_b32_e32 v30, 2, v30
	s_mov_b32 s0, 0x1000504
	s_mov_b32 s1, 0x3020706
	s_waitcnt lgkmcnt(3)
	v_mfma_f32_16x16x16_bf16 a[0:3], v[20:21], v[36:37], a[0:3]
	v_mfma_f32_16x16x16_bf16 a[4:7], v[20:21], v[38:39], a[4:7]
	ds_read2_b64 v[36:39], v18 offset0:32 offset1:48
	v_and_b32_e32 v18, 12, v35
	ds_read2st64_b64 v[32:35], v26 offset0:52 offset1:56
	s_waitcnt lgkmcnt(1)
	v_mfma_f32_16x16x16_bf16 a[8:11], v[20:21], v[36:37], a[8:11]
	v_mfma_f32_16x16x16_bf16 a[12:15], v[20:21], v[38:39], a[12:15]
	ds_read2st64_b64 v[36:39], v27 offset0:52 offset1:56
	ds_read2st64_b64 v[40:43], v28 offset0:52 offset1:56
	;; [unrolled: 1-line block ×3, first 2 shown]
	s_waitcnt lgkmcnt(3)
	v_mfma_f32_16x16x16_bf16 a[0:3], v[94:95], v[32:33], a[0:3]
	ds_read_b64 v[20:21], v26 offset:30720
	ds_read_b64 v[32:33], v27 offset:30720
	ds_read_b64 v[100:101], v28 offset:30720
	ds_read_b64 v[102:103], v29 offset:30720
	s_waitcnt lgkmcnt(6)
	v_mfma_f32_16x16x16_bf16 a[4:7], v[94:95], v[36:37], a[4:7]
	v_and_b32_e32 v36, 1, v0
	v_xor_b32_e32 v37, 0x440, v30
	v_cmp_eq_u32_e32 vcc, 0, v36
	s_waitcnt lgkmcnt(5)
	v_mfma_f32_16x16x16_bf16 a[8:11], v[94:95], v[40:41], a[8:11]
	v_cndmask_b32_e32 v30, v37, v30, vcc
	v_lshl_or_b32 v30, v31, 10, v30
	s_waitcnt lgkmcnt(4)
	v_mfma_f32_16x16x16_bf16 a[12:15], v[94:95], v[90:91], a[12:15]
	s_waitcnt vmcnt(0)
	v_perm_b32 v31, v2, v6, s0
	v_perm_b32 v2, v2, v6, s1
	;; [unrolled: 1-line block ×3, first 2 shown]
	v_mfma_f32_16x16x16_bf16 a[0:3], v[96:97], v[34:35], a[0:3]
	v_perm_b32 v34, v10, v14, s0
	ds_write2st64_b32 v30, v31, v34 offset0:128 offset1:160
	v_xor_b32_e32 v31, 8, v30
	v_add_u32_e32 v10, 0x80, v31
	ds_write2st64_b32 v10, v2, v6 offset0:128 offset1:160
	v_xor_b32_e32 v2, 16, v30
	v_perm_b32 v6, v3, v7, s0
	v_perm_b32 v10, v11, v15, s0
	v_mfma_f32_16x16x16_bf16 a[4:7], v[96:97], v[38:39], a[4:7]
	ds_write2st64_b32 v2, v6, v10 offset0:129 offset1:161
	v_xor_b32_e32 v2, 24, v30
	v_perm_b32 v3, v3, v7, s1
	v_mfma_f32_16x16x16_bf16 a[16:19], v[96:97], v[42:43], a[8:11]
	v_perm_b32 v6, v11, v15, s1
	v_add_u32_e32 v2, 0x80, v2
	ds_write2st64_b32 v2, v3, v6 offset0:129 offset1:161
	v_mfma_f32_16x16x16_bf16 a[20:23], v[96:97], v[92:93], a[12:15]
	v_xor_b32_e32 v2, 32, v30
	v_perm_b32 v3, v4, v8, s0
	v_perm_b32 v6, v12, v16, s0
	ds_write2st64_b32 v2, v3, v6 offset0:130 offset1:162
	v_xor_b32_e32 v2, 40, v30
	s_waitcnt lgkmcnt(8)
	v_mfma_f32_16x16x16_bf16 a[12:15], v[98:99], v[20:21], a[0:3]
	v_perm_b32 v3, v4, v8, s1
	v_perm_b32 v4, v12, v16, s1
	v_add_u32_e32 v2, 0x80, v2
	s_waitcnt lgkmcnt(7)
	v_mfma_f32_16x16x16_bf16 a[8:11], v[98:99], v[32:33], a[4:7]
	ds_write2st64_b32 v2, v3, v4 offset0:130 offset1:162
	v_xor_b32_e32 v2, 48, v30
	v_perm_b32 v3, v5, v9, s0
	s_waitcnt lgkmcnt(7)
	v_mfma_f32_16x16x16_bf16 a[4:7], v[98:99], v[100:101], a[16:19]
	v_perm_b32 v4, v13, v17, s0
	ds_write2st64_b32 v2, v3, v4 offset0:131 offset1:163
	v_xor_b32_e32 v2, 56, v30
	s_waitcnt lgkmcnt(7)
	v_mfma_f32_16x16x16_bf16 a[0:3], v[98:99], v[102:103], a[20:23]
	v_or_b32_e32 v16, v18, v45
	v_perm_b32 v3, v5, v9, s1
	v_perm_b32 v4, v13, v17, s1
	v_add_u32_e32 v2, 0x80, v2
	v_cmp_gt_i32_e32 vcc, s46, v16
	v_mov_b32_e32 v17, 0
	v_mov_b32_e32 v21, 0
	ds_write2st64_b32 v2, v3, v4 offset0:131 offset1:163
	s_and_saveexec_b64 s[0:1], vcc
	s_cbranch_execz .LBB74_60
; %bb.59:
	v_add_u32_e32 v2, s43, v16
	v_ashrrev_i32_e32 v3, 31, v2
	v_mul_lo_u32 v4, v3, s30
	v_mul_lo_u32 v5, v2, s31
	v_mad_u64_u32 v[2:3], s[2:3], v2, s30, 0
	v_add3_u32 v3, v3, v5, v4
	v_lshl_add_u64 v[2:3], v[2:3], 2, s[10:11]
	global_load_dword v2, v[2:3], off
	s_waitcnt vmcnt(0)
	v_sub_f32_e32 v2, s12, v2
	v_mul_f32_e32 v2, 0x3fb8aa3b, v2
	v_exp_f32_e32 v21, v2
.LBB74_60:
	s_or_b64 exec, exec, s[0:1]
	v_or_b32_e32 v8, 1, v16
	v_cmp_gt_i32_e64 s[0:1], s46, v8
	s_and_saveexec_b64 s[2:3], s[0:1]
	s_cbranch_execz .LBB74_62
; %bb.61:
	v_add_u32_e32 v2, s43, v8
	v_ashrrev_i32_e32 v3, 31, v2
	v_mul_lo_u32 v4, v3, s30
	v_mul_lo_u32 v5, v2, s31
	v_mad_u64_u32 v[2:3], s[4:5], v2, s30, 0
	v_add3_u32 v3, v3, v5, v4
	v_lshl_add_u64 v[2:3], v[2:3], 2, s[10:11]
	global_load_dword v2, v[2:3], off
	s_waitcnt vmcnt(0)
	v_sub_f32_e32 v2, s12, v2
	v_mul_f32_e32 v2, 0x3fb8aa3b, v2
	v_exp_f32_e32 v17, v2
.LBB74_62:
	s_or_b64 exec, exec, s[2:3]
	v_or_b32_e32 v9, 2, v16
	v_cmp_gt_i32_e64 s[2:3], s46, v9
	v_mov_b32_e32 v20, 0
	v_mov_b32_e32 v30, 0
	s_and_saveexec_b64 s[4:5], s[2:3]
	s_cbranch_execz .LBB74_64
; %bb.63:
	v_add_u32_e32 v2, s43, v9
	v_ashrrev_i32_e32 v3, 31, v2
	v_mul_lo_u32 v4, v3, s30
	v_mul_lo_u32 v5, v2, s31
	v_mad_u64_u32 v[2:3], s[6:7], v2, s30, 0
	v_add3_u32 v3, v3, v5, v4
	v_lshl_add_u64 v[2:3], v[2:3], 2, s[10:11]
	global_load_dword v2, v[2:3], off
	s_waitcnt vmcnt(0)
	v_sub_f32_e32 v2, s12, v2
	v_mul_f32_e32 v2, 0x3fb8aa3b, v2
	v_exp_f32_e32 v30, v2
.LBB74_64:
	s_or_b64 exec, exec, s[4:5]
	v_or_b32_e32 v31, 3, v16
	v_cmp_gt_i32_e64 s[4:5], s46, v31
	s_and_saveexec_b64 s[6:7], s[4:5]
	s_cbranch_execz .LBB74_66
; %bb.65:
	v_add_u32_e32 v2, s43, v31
	v_ashrrev_i32_e32 v3, 31, v2
	v_mul_lo_u32 v4, v3, s30
	v_mul_lo_u32 v5, v2, s31
	v_mad_u64_u32 v[2:3], s[20:21], v2, s30, 0
	v_add3_u32 v3, v3, v5, v4
	v_lshl_add_u64 v[2:3], v[2:3], 2, s[10:11]
	global_load_dword v2, v[2:3], off
	s_waitcnt vmcnt(0)
	v_sub_f32_e32 v2, s12, v2
	v_mul_f32_e32 v2, 0x3fb8aa3b, v2
	v_exp_f32_e32 v20, v2
.LBB74_66:
	s_or_b64 exec, exec, s[6:7]
	s_add_u32 s6, s8, s24
	v_accvgpr_read_b32 v2, a12
	s_addc_u32 s7, s9, s25
	v_ashrrev_i32_e32 v89, 31, v88
	v_accvgpr_read_b32 v3, a13
	v_accvgpr_read_b32 v4, a14
	;; [unrolled: 1-line block ×3, first 2 shown]
	v_lshl_add_u64 v[6:7], v[88:89], 1, s[6:7]
	v_mov_b32_e32 v13, 0
	v_lshlrev_b32_e32 v10, 8, v16
	v_mov_b32_e32 v11, 0
	s_and_saveexec_b64 s[6:7], vcc
	s_cbranch_execz .LBB74_68
; %bb.67:
	v_mov_b32_e32 v11, 0
	v_lshl_add_u64 v[14:15], v[6:7], 0, v[10:11]
	global_load_ushort v11, v[14:15], off
	s_waitcnt vmcnt(0)
	v_lshlrev_b32_e32 v11, 16, v11
	v_sub_f32_e32 v2, v11, v2
	v_mul_f32_e32 v2, v21, v2
	v_lshrrev_b32_e32 v11, 16, v2
.LBB74_68:
	s_or_b64 exec, exec, s[6:7]
	v_lshlrev_b32_e32 v12, 8, v8
	s_and_saveexec_b64 s[6:7], s[0:1]
	s_cbranch_execz .LBB74_70
; %bb.69:
	v_mov_b32_e32 v13, 0
	v_lshl_add_u64 v[14:15], v[6:7], 0, v[12:13]
	global_load_ushort v2, v[14:15], off
	s_waitcnt vmcnt(0)
	v_lshlrev_b32_e32 v2, 16, v2
	v_sub_f32_e32 v2, v2, v3
	v_mul_f32_e32 v2, v17, v2
	v_lshrrev_b32_e32 v13, 16, v2
.LBB74_70:
	s_or_b64 exec, exec, s[6:7]
	v_mov_b32_e32 v32, 0
	v_lshlrev_b32_e32 v14, 8, v9
	v_mov_b32_e32 v15, 0
	s_and_saveexec_b64 s[6:7], s[2:3]
	s_cbranch_execz .LBB74_72
; %bb.71:
	v_mov_b32_e32 v15, 0
	v_lshl_add_u64 v[2:3], v[6:7], 0, v[14:15]
	global_load_ushort v2, v[2:3], off
	s_waitcnt vmcnt(0)
	v_lshlrev_b32_e32 v2, 16, v2
	v_sub_f32_e32 v2, v2, v4
	v_mul_f32_e32 v2, v30, v2
	v_lshrrev_b32_e32 v15, 16, v2
.LBB74_72:
	s_or_b64 exec, exec, s[6:7]
	v_lshlrev_b32_e32 v8, 8, v31
	s_and_saveexec_b64 s[6:7], s[4:5]
	s_cbranch_execz .LBB74_74
; %bb.73:
	v_mov_b32_e32 v9, 0
	v_lshl_add_u64 v[2:3], v[6:7], 0, v[8:9]
	global_load_ushort v2, v[2:3], off
	s_waitcnt vmcnt(0)
	v_lshlrev_b32_e32 v2, 16, v2
	v_sub_f32_e32 v2, v2, v5
	v_mul_f32_e32 v2, v20, v2
	v_lshrrev_b32_e32 v32, 16, v2
.LBB74_74:
	s_or_b64 exec, exec, s[6:7]
	v_lshlrev_b32_e32 v31, 6, v16
	v_accvgpr_read_b32 v2, a8
	s_mov_b32 s6, 0x5040100
	v_or_b32_e32 v9, v31, v24
	v_accvgpr_read_b32 v3, a9
	v_accvgpr_read_b32 v4, a10
	;; [unrolled: 1-line block ×3, first 2 shown]
	v_perm_b32 v33, v32, v15, s6
	v_perm_b32 v32, v13, v11, s6
	v_lshlrev_b32_e32 v9, 1, v9
	v_mov_b32_e32 v13, 0
	v_mov_b32_e32 v11, 0
	ds_write_b64 v9, v[32:33] offset:24576
	s_and_saveexec_b64 s[6:7], vcc
	s_cbranch_execz .LBB74_76
; %bb.75:
	v_mov_b32_e32 v11, 0
	v_lshl_add_u64 v[32:33], v[6:7], 0, v[10:11]
	global_load_ushort v9, v[32:33], off offset:32
	s_waitcnt vmcnt(0)
	v_lshlrev_b32_e32 v9, 16, v9
	v_sub_f32_e32 v2, v9, v2
	v_mul_f32_e32 v2, v21, v2
	v_lshrrev_b32_e32 v11, 16, v2
.LBB74_76:
	s_or_b64 exec, exec, s[6:7]
	s_and_saveexec_b64 s[6:7], s[0:1]
	s_cbranch_execz .LBB74_78
; %bb.77:
	v_mov_b32_e32 v13, 0
	v_lshl_add_u64 v[32:33], v[6:7], 0, v[12:13]
	global_load_ushort v2, v[32:33], off offset:32
	s_waitcnt vmcnt(0)
	v_lshlrev_b32_e32 v2, 16, v2
	v_sub_f32_e32 v2, v2, v3
	v_mul_f32_e32 v2, v17, v2
	v_lshrrev_b32_e32 v13, 16, v2
.LBB74_78:
	s_or_b64 exec, exec, s[6:7]
	v_mov_b32_e32 v9, 0
	v_mov_b32_e32 v15, 0
	s_and_saveexec_b64 s[6:7], s[2:3]
	s_cbranch_execz .LBB74_80
; %bb.79:
	v_mov_b32_e32 v15, 0
	v_lshl_add_u64 v[2:3], v[6:7], 0, v[14:15]
	global_load_ushort v2, v[2:3], off offset:32
	s_waitcnt vmcnt(0)
	v_lshlrev_b32_e32 v2, 16, v2
	v_sub_f32_e32 v2, v2, v4
	v_mul_f32_e32 v2, v30, v2
	v_lshrrev_b32_e32 v15, 16, v2
.LBB74_80:
	s_or_b64 exec, exec, s[6:7]
	s_and_saveexec_b64 s[6:7], s[4:5]
	s_cbranch_execz .LBB74_82
; %bb.81:
	v_mov_b32_e32 v9, 0
	v_lshl_add_u64 v[2:3], v[6:7], 0, v[8:9]
	global_load_ushort v2, v[2:3], off offset:32
	s_waitcnt vmcnt(0)
	v_lshlrev_b32_e32 v2, 16, v2
	v_sub_f32_e32 v2, v2, v5
	v_mul_f32_e32 v2, v20, v2
	v_lshrrev_b32_e32 v9, 16, v2
.LBB74_82:
	s_or_b64 exec, exec, s[6:7]
	s_mov_b32 s6, 0x5040100
	v_accvgpr_read_b32 v2, a4
	v_perm_b32 v33, v9, v15, s6
	v_or_b32_e32 v9, v31, v23
	v_accvgpr_read_b32 v3, a5
	v_accvgpr_read_b32 v4, a6
	;; [unrolled: 1-line block ×3, first 2 shown]
	v_perm_b32 v32, v13, v11, s6
	v_lshlrev_b32_e32 v9, 1, v9
	v_mov_b32_e32 v13, 0
	v_mov_b32_e32 v11, 0
	ds_write_b64 v9, v[32:33] offset:24576
	s_and_saveexec_b64 s[6:7], vcc
	s_cbranch_execz .LBB74_84
; %bb.83:
	v_mov_b32_e32 v11, 0
	v_lshl_add_u64 v[32:33], v[6:7], 0, v[10:11]
	global_load_ushort v9, v[32:33], off offset:64
	s_waitcnt vmcnt(0)
	v_lshlrev_b32_e32 v9, 16, v9
	v_sub_f32_e32 v2, v9, v2
	v_mul_f32_e32 v2, v21, v2
	v_lshrrev_b32_e32 v11, 16, v2
.LBB74_84:
	s_or_b64 exec, exec, s[6:7]
	s_and_saveexec_b64 s[6:7], s[0:1]
	s_cbranch_execz .LBB74_86
; %bb.85:
	v_mov_b32_e32 v13, 0
	v_lshl_add_u64 v[32:33], v[6:7], 0, v[12:13]
	global_load_ushort v2, v[32:33], off offset:64
	s_waitcnt vmcnt(0)
	v_lshlrev_b32_e32 v2, 16, v2
	v_sub_f32_e32 v2, v2, v3
	v_mul_f32_e32 v2, v17, v2
	v_lshrrev_b32_e32 v13, 16, v2
.LBB74_86:
	s_or_b64 exec, exec, s[6:7]
	v_mov_b32_e32 v9, 0
	v_mov_b32_e32 v15, 0
	s_and_saveexec_b64 s[6:7], s[2:3]
	s_cbranch_execz .LBB74_88
; %bb.87:
	v_mov_b32_e32 v15, 0
	v_lshl_add_u64 v[2:3], v[6:7], 0, v[14:15]
	global_load_ushort v2, v[2:3], off offset:64
	s_waitcnt vmcnt(0)
	v_lshlrev_b32_e32 v2, 16, v2
	v_sub_f32_e32 v2, v2, v4
	v_mul_f32_e32 v2, v30, v2
	v_lshrrev_b32_e32 v15, 16, v2
.LBB74_88:
	s_or_b64 exec, exec, s[6:7]
	s_and_saveexec_b64 s[6:7], s[4:5]
	s_cbranch_execz .LBB74_90
; %bb.89:
	v_mov_b32_e32 v9, 0
	v_lshl_add_u64 v[2:3], v[6:7], 0, v[8:9]
	global_load_ushort v2, v[2:3], off offset:64
	s_waitcnt vmcnt(0)
	v_lshlrev_b32_e32 v2, 16, v2
	v_sub_f32_e32 v2, v2, v5
	v_mul_f32_e32 v2, v20, v2
	v_lshrrev_b32_e32 v9, 16, v2
.LBB74_90:
	s_or_b64 exec, exec, s[6:7]
	s_mov_b32 s6, 0x5040100
	v_accvgpr_read_b32 v5, a3
	v_perm_b32 v33, v9, v15, s6
	v_or_b32_e32 v9, v31, v22
	v_accvgpr_read_b32 v4, a2
	v_accvgpr_read_b32 v3, a1
	;; [unrolled: 1-line block ×3, first 2 shown]
	v_perm_b32 v32, v13, v11, s6
	v_lshlrev_b32_e32 v9, 1, v9
	v_mov_b32_e32 v13, 0
	v_mov_b32_e32 v11, 0
	ds_write_b64 v9, v[32:33] offset:24576
	s_and_saveexec_b64 s[6:7], vcc
	s_cbranch_execz .LBB74_92
; %bb.91:
	v_mov_b32_e32 v11, 0
	v_lshl_add_u64 v[10:11], v[6:7], 0, v[10:11]
	global_load_ushort v9, v[10:11], off offset:96
	s_waitcnt vmcnt(0)
	v_lshlrev_b32_e32 v9, 16, v9
	v_sub_f32_e32 v2, v9, v2
	v_mul_f32_e32 v2, v21, v2
	v_lshrrev_b32_e32 v11, 16, v2
.LBB74_92:
	s_or_b64 exec, exec, s[6:7]
	s_and_saveexec_b64 s[6:7], s[0:1]
	s_cbranch_execz .LBB74_94
; %bb.93:
	v_mov_b32_e32 v13, 0
	v_lshl_add_u64 v[12:13], v[6:7], 0, v[12:13]
	global_load_ushort v2, v[12:13], off offset:96
	s_waitcnt vmcnt(0)
	v_lshlrev_b32_e32 v2, 16, v2
	v_sub_f32_e32 v2, v2, v3
	v_mul_f32_e32 v2, v17, v2
	v_lshrrev_b32_e32 v13, 16, v2
.LBB74_94:
	s_or_b64 exec, exec, s[6:7]
	v_mov_b32_e32 v9, 0
	v_mov_b32_e32 v12, 0
	s_and_saveexec_b64 s[0:1], s[2:3]
	s_cbranch_execz .LBB74_96
; %bb.95:
	v_mov_b32_e32 v15, 0
	v_lshl_add_u64 v[2:3], v[6:7], 0, v[14:15]
	global_load_ushort v2, v[2:3], off offset:96
	s_waitcnt vmcnt(0)
	v_lshlrev_b32_e32 v2, 16, v2
	v_sub_f32_e32 v2, v2, v4
	v_mul_f32_e32 v2, v30, v2
	v_lshrrev_b32_e32 v12, 16, v2
.LBB74_96:
	s_or_b64 exec, exec, s[0:1]
	v_or_b32_e32 v10, 0x6000, v26
	v_or_b32_e32 v2, 0x6000, v27
	;; [unrolled: 1-line block ×4, first 2 shown]
	s_and_saveexec_b64 s[0:1], s[4:5]
	s_cbranch_execz .LBB74_98
; %bb.97:
	v_mov_b32_e32 v9, 0
	v_lshl_add_u64 v[6:7], v[6:7], 0, v[8:9]
	global_load_ushort v6, v[6:7], off offset:96
	s_waitcnt vmcnt(0)
	v_lshlrev_b32_e32 v6, 16, v6
	v_sub_f32_e32 v5, v6, v5
	v_mul_f32_e32 v5, v20, v5
	v_lshrrev_b32_e32 v9, 16, v5
.LBB74_98:
	s_or_b64 exec, exec, s[0:1]
	s_mov_b32 s0, 0x5040100
	v_or_b32_e32 v5, v31, v19
	v_perm_b32 v7, v9, v12, s0
	v_perm_b32 v6, v13, v11, s0
	v_lshlrev_b32_e32 v5, 1, v5
	ds_write_b64 v5, v[6:7] offset:24576
	v_and_b32_e32 v5, 7, v0
	v_and_b32_e32 v11, 8, v0
	v_lshlrev_b32_e32 v17, 3, v5
	v_lshlrev_b32_e32 v19, 7, v5
	v_lshrrev_b32_e32 v5, 1, v0
	v_and_b32_e32 v5, 24, v5
	v_mov_b32_e32 v12, 0x400
	v_cmp_eq_u32_e32 vcc, 0, v11
	s_movk_i32 s2, 0x100
	v_lshlrev_b32_e32 v24, 3, v1
	v_cndmask_b32_e64 v11, v12, 64, vcc
	v_mov_b32_e32 v12, 0xa000
	v_mov_b32_e32 v13, 0x8000
	v_cmp_gt_u32_e64 s[0:1], s2, v0
	v_xor_b32_e32 v40, v24, v5
	s_waitcnt lgkmcnt(0)
	v_cndmask_b32_e64 v0, v12, v13, s[0:1]
	v_or_b32_e32 v12, 0x440, v40
	v_cndmask_b32_e32 v12, v12, v40, vcc
	v_or_b32_e32 v12, v12, v25
	v_xor_b32_e32 v47, v12, v17
	v_add3_u32 v12, v0, v47, v19
	s_barrier
	ds_read_b64 v[20:21], v12
	v_or_b32_e32 v12, 32, v5
	v_xor_b32_e32 v12, v24, v12
	v_or_b32_e32 v13, 0x440, v12
	v_cndmask_b32_e32 v12, v13, v12, vcc
	v_or_b32_e32 v12, v12, v25
	v_xor_b32_e32 v88, v12, v17
	v_add3_u32 v12, v0, v88, v19
	ds_read2_b64 v[6:9], v10 offset1:16
	ds_read_b64 v[38:39], v12
	ds_read2_b64 v[12:15], v10 offset0:32 offset1:48
	v_or3_b32 v11, v25, v11, v40
	v_xor_b32_e32 v11, v11, v17
	v_or_b32_e32 v5, 0x60, v5
	v_or_b32_e32 v90, v11, v19
	s_add_i32 s0, s14, s49
	v_or_b32_e32 v11, v0, v90
	v_xor_b32_e32 v5, v24, v5
	s_waitcnt lgkmcnt(2)
	v_mfma_f32_16x16x16_bf16 a[0:3], v[20:21], v[6:7], 0
	s_mul_hi_i32 s1, s0, s13
	s_mul_i32 s0, s0, s13
	s_add_u32 s0, s0, s33
	v_mfma_f32_16x16x16_bf16 a[4:7], v[20:21], v[8:9], 0
	s_addc_u32 s1, s1, s48
	s_lshl_b64 s[0:1], s[0:1], 9
	s_add_u32 s0, s16, s0
	s_waitcnt lgkmcnt(0)
	v_mfma_f32_16x16x16_bf16 a[8:11], v[20:21], v[12:13], 0
	s_addc_u32 s1, s17, s1
	v_mfma_f32_16x16x16_bf16 a[12:15], v[20:21], v[14:15], 0
	ds_read2st64_b64 v[20:23], v10 offset0:4 offset1:8
	ds_read2st64_b64 v[26:29], v2 offset0:4 offset1:8
	ds_read_b64 v[42:43], v11
	v_xor_b32_e32 v11, 0x440, v5
	ds_read2st64_b64 v[30:33], v3 offset0:4 offset1:8
	ds_read2st64_b64 v[34:37], v4 offset0:4 offset1:8
	v_cndmask_b32_e32 v5, v11, v5, vcc
	v_or_b32_e32 v5, v5, v25
	v_xor_b32_e32 v89, v5, v17
	v_add3_u32 v0, v0, v89, v19
	ds_read_b64 v[24:25], v0
	v_lshlrev_b32_e32 v0, 2, v16
	s_waitcnt lgkmcnt(5)
	v_mfma_f32_16x16x16_bf16 a[0:3], v[38:39], v[20:21], a[0:3]
	ds_read_b64 v[10:11], v10 offset:6144
	s_waitcnt lgkmcnt(5)
	v_mfma_f32_16x16x16_bf16 a[4:7], v[38:39], v[26:27], a[4:7]
	s_waitcnt lgkmcnt(3)
	v_mfma_f32_16x16x16_bf16 a[8:11], v[38:39], v[30:31], a[8:11]
	;; [unrolled: 2-line block ×3, first 2 shown]
	global_load_dwordx4 v[38:41], v0, s[0:1]
	v_lshlrev_b32_e32 v0, 6, v1
	v_lshlrev_b32_e32 v1, 2, v18
	v_or3_b32 v0, v0, v1, s2
	v_mfma_f32_16x16x16_bf16 a[0:3], v[42:43], v[22:23], a[0:3]
	s_waitcnt vmcnt(0)
	v_mul_f32_e32 v38, 0x3fb8aa3b, v38
	v_mfma_f32_16x16x16_bf16 a[4:7], v[42:43], v[28:29], a[4:7]
	v_mul_f32_e32 v39, 0x3fb8aa3b, v39
	v_exp_f32_e32 v38, v38
	v_exp_f32_e32 v39, v39
	v_mfma_f32_16x16x16_bf16 a[8:11], v[42:43], v[32:33], a[8:11]
	v_mfma_f32_16x16x16_bf16 a[12:15], v[42:43], v[36:37], a[12:15]
	ds_read_b64 v[16:17], v2 offset:6144
	ds_read_b64 v[42:43], v3 offset:6144
	;; [unrolled: 1-line block ×3, first 2 shown]
	global_load_dwordx4 v[0:3], v0, s[0:1]
	v_mov_b32_e32 v4, 0x3fb8aa3b
	v_mul_f32_e32 v4, s12, v4
	v_exp_f32_e32 v18, v4
	v_add_u32_e32 v4, v47, v19
	ds_read_b64 v[4:5], v4 offset:40960
	s_waitcnt lgkmcnt(4)
	v_mfma_f32_16x16x16_bf16 a[0:3], v[24:25], v[10:11], a[0:3]
	s_waitcnt vmcnt(0)
	v_mul_f32_e32 v0, 0x3fb8aa3b, v0
	s_waitcnt lgkmcnt(3)
	v_mfma_f32_16x16x16_bf16 a[4:7], v[24:25], v[16:17], a[4:7]
	v_exp_f32_e32 v0, v0
	s_waitcnt lgkmcnt(2)
	v_mfma_f32_16x16x16_bf16 a[8:11], v[24:25], v[42:43], a[8:11]
	s_waitcnt lgkmcnt(1)
	v_mfma_f32_16x16x16_bf16 a[12:15], v[24:25], v[44:45], a[12:15]
	v_add_u32_e32 v24, v88, v19
	v_add_u32_e32 v19, v89, v19
	ds_read_b64 v[24:25], v24 offset:40960
	ds_read_b64 v[88:89], v19 offset:40960
	s_waitcnt lgkmcnt(2)
	v_mfma_f32_16x16x16_bf16 a[20:23], v[4:5], v[8:9], 0
	v_pk_mul_f32 v[8:9], v[18:19], v[38:39] op_sel_hi:[0,1]
	s_waitcnt lgkmcnt(1)
	v_mfma_f32_16x16x16_bf16 a[20:23], v[24:25], v[26:27], a[20:23]
	v_accvgpr_read_b32 v27, a1
	v_accvgpr_read_b32 v26, a0
	v_pk_fma_f32 v[82:83], v[82:83], v[8:9], v[26:27]
	v_mfma_f32_16x16x16_bf16 a[16:19], v[4:5], v[6:7], 0
	v_mul_f32_e32 v6, 0x3fb8aa3b, v40
	v_mul_f32_e32 v7, 0x3fb8aa3b, v41
	ds_read_b64 v[26:27], v90 offset:40960
	v_exp_f32_e32 v6, v6
	v_exp_f32_e32 v7, v7
	v_mfma_f32_16x16x16_bf16 a[24:27], v[4:5], v[12:13], 0
	v_accvgpr_read_b32 v13, a3
	v_accvgpr_read_b32 v12, a2
	v_pk_mul_f32 v[6:7], v[18:19], v[6:7] op_sel_hi:[0,1]
	v_mfma_f32_16x16x16_bf16 a[28:31], v[4:5], v[14:15], 0
	v_accvgpr_read_b32 v5, a7
	v_accvgpr_read_b32 v4, a6
	v_pk_fma_f32 v[78:79], v[6:7], v[78:79], v[4:5]
	v_mfma_f32_16x16x16_bf16 a[16:19], v[24:25], v[20:21], a[16:19]
	v_accvgpr_read_b32 v4, a8
	v_accvgpr_read_b32 v5, a9
	v_pk_fma_f32 v[66:67], v[8:9], v[66:67], v[4:5]
	v_mfma_f32_16x16x16_bf16 a[0:3], v[24:25], v[30:31], a[24:27]
	v_accvgpr_read_b32 v4, a12
	v_accvgpr_read_b32 v15, a11
	;; [unrolled: 1-line block ×3, first 2 shown]
	v_pk_fma_f32 v[86:87], v[86:87], v[6:7], v[12:13]
	v_accvgpr_read_b32 v13, a5
	s_waitcnt lgkmcnt(0)
	v_mfma_f32_16x16x16_bf16 a[8:11], v[26:27], v[22:23], a[16:19]
	v_accvgpr_read_b32 v5, a13
	v_accvgpr_read_b32 v21, a15
	;; [unrolled: 1-line block ×4, first 2 shown]
	v_mfma_f32_16x16x16_bf16 a[4:7], v[24:25], v[34:35], a[28:31]
	v_pk_fma_f32 v[58:59], v[8:9], v[58:59], v[4:5]
	v_mov_b32_e32 v4, v3
	v_mov_b32_e32 v3, v2
	v_mfma_f32_16x16x16_bf16 a[12:15], v[26:27], v[28:29], a[20:23]
	v_mov_b32_e32 v2, v1
	v_mul_f32_e32 v1, 0x3fb8aa3b, v2
	v_mul_f32_e32 v2, 0x3fb8aa3b, v3
	v_mfma_f32_16x16x16_bf16 a[0:3], v[26:27], v[32:33], a[0:3]
	v_mul_f32_e32 v3, 0x3fb8aa3b, v4
	v_exp_f32_e32 v2, v2
	v_exp_f32_e32 v3, v3
	v_mfma_f32_16x16x16_bf16 a[8:11], v[88:89], v[10:11], a[8:11]
	v_exp_f32_e32 v1, v1
	v_pk_fma_f32 v[74:75], v[8:9], v[74:75], v[12:13]
	v_pk_mul_f32 v[2:3], v[18:19], v[2:3] op_sel_hi:[0,1]
	v_mfma_f32_16x16x16_bf16 a[4:7], v[26:27], v[36:37], a[4:7]
	v_pk_mul_f32 v[0:1], v[18:19], v[0:1] op_sel_hi:[0,1]
	v_pk_fma_f32 v[70:71], v[6:7], v[70:71], v[14:15]
	v_pk_fma_f32 v[62:63], v[6:7], v[62:63], v[20:21]
	v_mfma_f32_16x16x16_bf16 a[12:15], v[88:89], v[16:17], a[12:15]
	v_accvgpr_read_b32 v5, a11
	v_accvgpr_read_b32 v4, a10
	v_pk_fma_f32 v[84:85], v[84:85], v[2:3], v[4:5]
	v_mfma_f32_16x16x16_bf16 a[0:3], v[88:89], v[42:43], a[0:3]
	v_accvgpr_read_b32 v13, a9
	v_accvgpr_read_b32 v12, a8
	v_pk_fma_f32 v[80:81], v[80:81], v[0:1], v[12:13]
	v_accvgpr_read_b32 v4, a12
	v_accvgpr_read_b32 v5, a13
	v_pk_fma_f32 v[72:73], v[0:1], v[72:73], v[4:5]
	v_accvgpr_read_b32 v7, a15
	v_accvgpr_read_b32 v9, a3
	;; [unrolled: 1-line block ×3, first 2 shown]
	v_mfma_f32_16x16x16_bf16 a[2:5], v[88:89], v[44:45], a[4:7]
	v_accvgpr_read_b32 v5, a1
	v_accvgpr_read_b32 v4, a0
	v_pk_fma_f32 v[64:65], v[0:1], v[64:65], v[4:5]
	v_accvgpr_read_b32 v6, a14
	v_pk_fma_f32 v[76:77], v[2:3], v[76:77], v[6:7]
	v_pk_fma_f32 v[68:69], v[2:3], v[68:69], v[8:9]
	s_nop 0
	v_accvgpr_read_b32 v5, a3
	v_accvgpr_read_b32 v11, a5
	;; [unrolled: 1-line block ×4, first 2 shown]
	v_pk_fma_f32 v[56:57], v[0:1], v[56:57], v[4:5]
	v_pk_fma_f32 v[60:61], v[2:3], v[60:61], v[10:11]
.LBB74_99:
	s_add_u32 s0, s18, s28
	s_addc_u32 s1, s19, s29
	v_lshl_add_u64 v[0:1], v[48:49], 1, s[0:1]
	v_mov_b32_e32 v47, 0
	s_mov_b32 s2, 0x7060302
	v_lshl_add_u64 v[0:1], v[0:1], 0, v[46:47]
	v_perm_b32 v3, v87, v86, s2
	v_perm_b32 v2, v83, v82, s2
	global_store_dwordx2 v[0:1], v[2:3], off
	v_perm_b32 v3, v85, v84, s2
	v_perm_b32 v2, v81, v80, s2
	global_store_dwordx2 v[0:1], v[2:3], off offset:128
	v_lshl_add_u64 v[0:1], v[50:51], 1, s[0:1]
	v_lshl_add_u64 v[0:1], v[0:1], 0, v[46:47]
	v_perm_b32 v3, v79, v78, s2
	v_perm_b32 v2, v75, v74, s2
	global_store_dwordx2 v[0:1], v[2:3], off
	v_perm_b32 v3, v77, v76, s2
	v_perm_b32 v2, v73, v72, s2
	global_store_dwordx2 v[0:1], v[2:3], off offset:128
	v_lshl_add_u64 v[0:1], v[52:53], 1, s[0:1]
	;; [unrolled: 8-line block ×3, first 2 shown]
	v_lshl_add_u64 v[0:1], v[0:1], 0, v[46:47]
	v_perm_b32 v3, v63, v62, s2
	v_perm_b32 v2, v59, v58, s2
	global_store_dwordx2 v[0:1], v[2:3], off
	v_perm_b32 v3, v61, v60, s2
	v_perm_b32 v2, v57, v56, s2
	global_store_dwordx2 v[0:1], v[2:3], off offset:128
	s_endpgm
	.section	.rodata,"a",@progbits
	.p2align	6, 0x0
	.amdhsa_kernel _ZN12_GLOBAL__N_139chunk_gated_delta_rule_fwd_h_hip_kernelILi64ELb1ELb1ELb0ELb0ELb0ELb1ELb1ELb1EEEvPK12hip_bfloat16S3_S3_PKfS5_PKvPS1_S8_PvPKiSB_iiiiilll
		.amdhsa_group_segment_fixed_size 65536
		.amdhsa_private_segment_fixed_size 0
		.amdhsa_kernarg_size 136
		.amdhsa_user_sgpr_count 2
		.amdhsa_user_sgpr_dispatch_ptr 0
		.amdhsa_user_sgpr_queue_ptr 0
		.amdhsa_user_sgpr_kernarg_segment_ptr 1
		.amdhsa_user_sgpr_dispatch_id 0
		.amdhsa_user_sgpr_kernarg_preload_length 0
		.amdhsa_user_sgpr_kernarg_preload_offset 0
		.amdhsa_user_sgpr_private_segment_size 0
		.amdhsa_uses_dynamic_stack 0
		.amdhsa_enable_private_segment 0
		.amdhsa_system_sgpr_workgroup_id_x 1
		.amdhsa_system_sgpr_workgroup_id_y 1
		.amdhsa_system_sgpr_workgroup_id_z 0
		.amdhsa_system_sgpr_workgroup_info 0
		.amdhsa_system_vgpr_workitem_id 0
		.amdhsa_next_free_vgpr 240
		.amdhsa_next_free_sgpr 73
		.amdhsa_accum_offset 200
		.amdhsa_reserve_vcc 1
		.amdhsa_float_round_mode_32 0
		.amdhsa_float_round_mode_16_64 0
		.amdhsa_float_denorm_mode_32 3
		.amdhsa_float_denorm_mode_16_64 3
		.amdhsa_dx10_clamp 1
		.amdhsa_ieee_mode 1
		.amdhsa_fp16_overflow 0
		.amdhsa_tg_split 0
		.amdhsa_exception_fp_ieee_invalid_op 0
		.amdhsa_exception_fp_denorm_src 0
		.amdhsa_exception_fp_ieee_div_zero 0
		.amdhsa_exception_fp_ieee_overflow 0
		.amdhsa_exception_fp_ieee_underflow 0
		.amdhsa_exception_fp_ieee_inexact 0
		.amdhsa_exception_int_div_zero 0
	.end_amdhsa_kernel
	.section	.text._ZN12_GLOBAL__N_139chunk_gated_delta_rule_fwd_h_hip_kernelILi64ELb1ELb1ELb0ELb0ELb0ELb1ELb1ELb1EEEvPK12hip_bfloat16S3_S3_PKfS5_PKvPS1_S8_PvPKiSB_iiiiilll,"axG",@progbits,_ZN12_GLOBAL__N_139chunk_gated_delta_rule_fwd_h_hip_kernelILi64ELb1ELb1ELb0ELb0ELb0ELb1ELb1ELb1EEEvPK12hip_bfloat16S3_S3_PKfS5_PKvPS1_S8_PvPKiSB_iiiiilll,comdat
.Lfunc_end74:
	.size	_ZN12_GLOBAL__N_139chunk_gated_delta_rule_fwd_h_hip_kernelILi64ELb1ELb1ELb0ELb0ELb0ELb1ELb1ELb1EEEvPK12hip_bfloat16S3_S3_PKfS5_PKvPS1_S8_PvPKiSB_iiiiilll, .Lfunc_end74-_ZN12_GLOBAL__N_139chunk_gated_delta_rule_fwd_h_hip_kernelILi64ELb1ELb1ELb0ELb0ELb0ELb1ELb1ELb1EEEvPK12hip_bfloat16S3_S3_PKfS5_PKvPS1_S8_PvPKiSB_iiiiilll
                                        ; -- End function
	.section	.AMDGPU.csdata,"",@progbits
; Kernel info:
; codeLenInByte = 12884
; NumSgprs: 79
; NumVgprs: 198
; NumAgprs: 40
; TotalNumVgprs: 240
; ScratchSize: 0
; MemoryBound: 0
; FloatMode: 240
; IeeeMode: 1
; LDSByteSize: 65536 bytes/workgroup (compile time only)
; SGPRBlocks: 9
; VGPRBlocks: 29
; NumSGPRsForWavesPerEU: 79
; NumVGPRsForWavesPerEU: 240
; AccumOffset: 200
; Occupancy: 1
; WaveLimiterHint : 1
; COMPUTE_PGM_RSRC2:SCRATCH_EN: 0
; COMPUTE_PGM_RSRC2:USER_SGPR: 2
; COMPUTE_PGM_RSRC2:TRAP_HANDLER: 0
; COMPUTE_PGM_RSRC2:TGID_X_EN: 1
; COMPUTE_PGM_RSRC2:TGID_Y_EN: 1
; COMPUTE_PGM_RSRC2:TGID_Z_EN: 0
; COMPUTE_PGM_RSRC2:TIDIG_COMP_CNT: 0
; COMPUTE_PGM_RSRC3_GFX90A:ACCUM_OFFSET: 49
; COMPUTE_PGM_RSRC3_GFX90A:TG_SPLIT: 0
	.section	.text._ZN12_GLOBAL__N_139chunk_gated_delta_rule_fwd_h_hip_kernelILi64ELb1ELb0ELb1ELb0ELb0ELb1ELb1ELb1EEEvPK12hip_bfloat16S3_S3_PKfS5_PKvPS1_S8_PvPKiSB_iiiiilll,"axG",@progbits,_ZN12_GLOBAL__N_139chunk_gated_delta_rule_fwd_h_hip_kernelILi64ELb1ELb0ELb1ELb0ELb0ELb1ELb1ELb1EEEvPK12hip_bfloat16S3_S3_PKfS5_PKvPS1_S8_PvPKiSB_iiiiilll,comdat
	.globl	_ZN12_GLOBAL__N_139chunk_gated_delta_rule_fwd_h_hip_kernelILi64ELb1ELb0ELb1ELb0ELb0ELb1ELb1ELb1EEEvPK12hip_bfloat16S3_S3_PKfS5_PKvPS1_S8_PvPKiSB_iiiiilll ; -- Begin function _ZN12_GLOBAL__N_139chunk_gated_delta_rule_fwd_h_hip_kernelILi64ELb1ELb0ELb1ELb0ELb0ELb1ELb1ELb1EEEvPK12hip_bfloat16S3_S3_PKfS5_PKvPS1_S8_PvPKiSB_iiiiilll
	.p2align	8
	.type	_ZN12_GLOBAL__N_139chunk_gated_delta_rule_fwd_h_hip_kernelILi64ELb1ELb0ELb1ELb0ELb0ELb1ELb1ELb1EEEvPK12hip_bfloat16S3_S3_PKfS5_PKvPS1_S8_PvPKiSB_iiiiilll,@function
_ZN12_GLOBAL__N_139chunk_gated_delta_rule_fwd_h_hip_kernelILi64ELb1ELb0ELb1ELb0ELb0ELb1ELb1ELb1EEEvPK12hip_bfloat16S3_S3_PKfS5_PKvPS1_S8_PvPKiSB_iiiiilll: ; @_ZN12_GLOBAL__N_139chunk_gated_delta_rule_fwd_h_hip_kernelILi64ELb1ELb0ELb1ELb0ELb0ELb1ELb1ELb1EEEvPK12hip_bfloat16S3_S3_PKfS5_PKvPS1_S8_PvPKiSB_iiiiilll
; %bb.0:
	s_load_dwordx4 s[12:15], s[0:1], 0x5c
	s_load_dwordx4 s[20:23], s[0:1], 0x70
	s_abs_i32 s6, s3
	s_ashr_i32 s5, s3, 31
	s_load_dwordx4 s[16:19], s[0:1], 0x28
	s_load_dwordx2 s[28:29], s[0:1], 0x38
	s_waitcnt lgkmcnt(0)
	s_abs_i32 s4, s13
	v_cvt_f32_u32_e32 v1, s4
	s_sub_i32 s8, 0, s4
	s_ashr_i32 s7, s13, 31
	s_xor_b32 s5, s5, s7
	v_rcp_iflag_f32_e32 v1, v1
	v_and_b32_e32 v90, 15, v0
	v_lshrrev_b32_e32 v88, 6, v0
	v_bfe_u32 v89, v0, 4, 2
	v_mul_f32_e32 v1, 0x4f7ffffe, v1
	v_cvt_u32_f32_e32 v1, v1
	v_mov_b32_e32 v7, 0
	v_and_b32_e32 v45, 63, v0
	v_lshrrev_b32_e32 v91, 3, v45
	v_readfirstlane_b32 s9, v1
	s_mul_i32 s8, s8, s9
	s_mul_hi_u32 s8, s9, s8
	s_add_i32 s9, s9, s8
	s_mul_hi_u32 s8, s6, s9
	s_mul_i32 s9, s8, s4
	s_sub_i32 s6, s6, s9
	s_add_i32 s10, s8, 1
	s_sub_i32 s9, s6, s4
	s_cmp_ge_u32 s6, s4
	s_cselect_b32 s8, s10, s8
	s_cselect_b32 s6, s9, s6
	s_add_i32 s9, s8, 1
	s_cmp_ge_u32 s6, s4
	s_cselect_b32 s6, s9, s8
	s_xor_b32 s6, s6, s5
	s_add_i32 s8, s12, 63
	s_sub_i32 s53, s6, s5
	s_ashr_i32 s9, s8, 31
	s_mul_i32 s5, s53, s13
	s_sub_i32 s50, s3, s5
	s_lshr_b32 s3, s9, 26
	s_add_i32 s8, s8, s3
	s_abs_i32 s3, s14
	v_cvt_f32_u32_e32 v1, s3
	s_ashr_i32 s52, s12, 31
	s_lshr_b32 s6, s52, 26
	s_add_i32 s6, s12, s6
	v_rcp_iflag_f32_e32 v1, v1
	s_ashr_i32 s55, s14, 31
	s_ashr_i32 s54, s6, 6
	s_lshl_b32 s38, s2, 6
	v_mul_f32_e32 v1, 0x4f7ffffe, v1
	v_cvt_u32_f32_e32 v1, v1
	s_xor_b32 s2, s7, s55
	s_sub_i32 s6, 0, s3
	s_ashr_i32 s25, s8, 6
	v_readfirstlane_b32 s7, v1
	s_mul_i32 s6, s6, s7
	s_mul_hi_u32 s6, s7, s6
	s_add_i32 s7, s7, s6
	s_mul_hi_u32 s6, s4, s7
	s_mul_i32 s7, s6, s3
	s_sub_i32 s4, s4, s7
	s_add_i32 s7, s6, 1
	s_sub_i32 s8, s4, s3
	s_cmp_ge_u32 s4, s3
	s_cselect_b32 s6, s7, s6
	s_cselect_b32 s4, s8, s4
	s_add_i32 s7, s6, 1
	s_cmp_ge_u32 s4, s3
	s_cselect_b32 s3, s7, s6
	s_xor_b32 s3, s3, s2
	s_sub_i32 s2, s3, s2
	s_abs_i32 s3, s2
	v_cvt_f32_u32_e32 v1, s3
	s_sub_i32 s6, 0, s3
	s_abs_i32 s4, s50
	s_xor_b32 s2, s50, s2
	v_rcp_iflag_f32_e32 v1, v1
	s_ashr_i32 s2, s2, 31
	v_or_b32_e32 v46, s38, v90
	v_lshlrev_b32_e32 v2, 7, v46
	v_mul_f32_e32 v1, 0x4f7ffffe, v1
	v_cvt_u32_f32_e32 v1, v1
	v_or_b32_e32 v10, 0x800, v2
	v_ashrrev_i32_e32 v3, 31, v2
	v_ashrrev_i32_e32 v11, 31, v10
	v_readfirstlane_b32 s7, v1
	s_mul_i32 s6, s6, s7
	s_mul_hi_u32 s6, s7, s6
	s_add_i32 s7, s7, s6
	s_mul_hi_u32 s6, s4, s7
	s_mul_i32 s7, s6, s3
	s_sub_i32 s4, s4, s7
	s_add_i32 s7, s6, 1
	s_sub_i32 s8, s4, s3
	s_cmp_ge_u32 s4, s3
	s_cselect_b32 s6, s7, s6
	s_cselect_b32 s4, s8, s4
	s_add_i32 s7, s6, 1
	s_cmp_ge_u32 s4, s3
	s_cselect_b32 s3, s7, s6
	s_xor_b32 s3, s3, s2
	s_sub_i32 s56, s3, s2
	s_ashr_i32 s24, s53, 31
	s_ashr_i32 s51, s50, 31
	s_mul_hi_i32 s2, s53, s13
	s_add_u32 s40, s5, s50
	s_addc_u32 s41, s2, s51
	s_lshl_b64 s[2:3], s[40:41], 15
	v_lshlrev_b32_e32 v1, 4, v88
	s_add_u32 s2, s16, s2
	v_lshl_or_b32 v93, v89, 2, v1
	s_addc_u32 s3, s17, s3
	v_lshl_add_u64 v[4:5], v[2:3], 1, s[2:3]
	v_lshlrev_b32_e32 v6, 1, v93
	v_lshl_add_u64 v[10:11], v[10:11], 1, s[2:3]
	v_lshl_add_u64 v[4:5], v[4:5], 0, v[6:7]
	v_lshl_add_u64 v[10:11], v[10:11], 0, v[6:7]
	global_load_dwordx2 v[8:9], v[4:5], off
	v_or_b32_e32 v94, 64, v93
	global_load_dwordx2 v[4:5], v[4:5], off offset:128
	s_nop 0
	global_load_dwordx2 v[12:13], v[10:11], off
	global_load_dwordx2 v[14:15], v[10:11], off offset:128
	v_or_b32_e32 v10, 0x1000, v2
	v_or_b32_e32 v2, 0x1800, v2
	v_ashrrev_i32_e32 v11, 31, v10
	v_ashrrev_i32_e32 v3, 31, v2
	v_lshl_add_u64 v[10:11], v[10:11], 1, s[2:3]
	v_lshl_add_u64 v[2:3], v[2:3], 1, s[2:3]
	;; [unrolled: 1-line block ×4, first 2 shown]
	global_load_dwordx2 v[16:17], v[10:11], off
	s_mul_i32 s57, s53, s25
	global_load_dwordx2 v[10:11], v[10:11], off offset:128
	s_nop 0
	global_load_dwordx2 v[6:7], v[2:3], off
	global_load_dwordx2 v[18:19], v[2:3], off offset:128
	s_load_dwordx8 s[4:11], s[0:1], 0x0
	s_load_dwordx2 s[30:31], s[0:1], 0x80
	s_cmp_lt_i32 s12, 64
	v_lshlrev_b32_e32 v92, 3, v0
	s_mul_i32 s58, s41, s12
	s_mul_hi_u32 s59, s40, s12
	s_mul_i32 s16, s40, s12
	s_mul_i32 s33, s53, s21
	s_mul_hi_u32 s46, s53, s20
	s_mul_i32 s41, s24, s20
	s_mul_i32 s36, s53, s20
	;; [unrolled: 1-line block ×3, first 2 shown]
	s_mul_hi_u32 s48, s50, s22
	s_mul_i32 s49, s51, s22
	s_mul_i32 s34, s50, s22
	s_waitcnt vmcnt(7)
	v_and_b32_e32 v75, 0xffff0000, v8
	v_lshlrev_b32_e32 v74, 16, v8
	v_and_b32_e32 v79, 0xffff0000, v9
	v_lshlrev_b32_e32 v78, 16, v9
	s_waitcnt vmcnt(6)
	v_and_b32_e32 v73, 0xffff0000, v4
	v_lshlrev_b32_e32 v72, 16, v4
	v_and_b32_e32 v77, 0xffff0000, v5
	v_lshlrev_b32_e32 v76, 16, v5
	;; [unrolled: 5-line block ×8, first 2 shown]
	s_cbranch_scc1 .LBB75_18
; %bb.1:
	s_add_i32 s17, s59, s58
	s_lshl_b64 s[2:3], s[16:17], 8
	v_and_b32_e32 v96, 56, v92
	s_waitcnt lgkmcnt(0)
	s_add_u32 s20, s6, s2
	v_lshl_or_b32 v95, v88, 3, v91
	v_lshlrev_b32_e32 v2, 1, v96
	s_addc_u32 s2, s7, s3
	v_lshl_or_b32 v97, v95, 8, v2
	s_and_b32 s21, s2, 0xffff
	s_mov_b32 s23, 0x20000
	s_movk_i32 s22, 0x4000
	s_movk_i32 s2, 0x80
	v_or_b32_e32 v98, 0x2000, v97
	buffer_load_dwordx4 v[4:7], v97, s[20:23], 0 offen
	buffer_load_dwordx4 v[8:11], v97, s[20:23], s2 offen
	;; [unrolled: 1-line block ×4, first 2 shown]
	v_lshlrev_b32_e32 v3, 3, v95
	v_and_or_b32 v21, v0, 7, v3
	v_and_b32_e32 v3, 0x78, v3
	v_lshlrev_b32_e32 v21, 4, v21
	v_xor_b32_e32 v99, v21, v3
	v_mul_lo_u32 v20, v95, s15
	v_or_b32_e32 v100, 0x1000, v99
	v_xor_b32_e32 v3, 8, v99
	s_cmpk_eq_i32 s15, 0x80
	s_mov_b32 s60, s14
	v_xor_b32_e32 v21, 8, v100
	s_cselect_b64 s[2:3], -1, 0
	s_cmpk_lg_i32 s15, 0x80
	s_waitcnt vmcnt(3)
	ds_write_b64 v99, v[4:5] offset:49152
	ds_write_b64 v3, v[6:7] offset:49152
	s_waitcnt vmcnt(2)
	ds_write_b64 v99, v[8:9] offset:57344
	ds_write_b64 v3, v[10:11] offset:57344
	;; [unrolled: 3-line block ×4, first 2 shown]
	v_lshl_add_u32 v3, v20, 1, v96
	s_cbranch_scc0 .LBB75_3
; %bb.2:
	v_lshlrev_b32_e32 v5, 1, v3
	v_add_lshl_u32 v4, v3, s15, 1
	s_lshl_b32 s22, s15, 7
	s_load_dwordx2 s[42:43], s[0:1], 0x20
	v_lshl_or_b32 v2, v95, 9, v2
	s_cbranch_execz .LBB75_4
	s_branch .LBB75_5
.LBB75_3:
                                        ; implicit-def: $vgpr4
                                        ; implicit-def: $vgpr5
                                        ; implicit-def: $sgpr22
	s_load_dwordx2 s[42:43], s[0:1], 0x20
	v_lshl_or_b32 v2, v95, 9, v2
.LBB75_4:
	v_or_b32_e32 v4, 0x100, v2
	s_movk_i32 s22, 0x4000
	v_mov_b32_e32 v5, v2
.LBB75_5:
	s_mul_hi_u32 s0, s14, s12
	s_mul_i32 s1, s55, s12
	s_add_i32 s0, s0, s1
	s_mul_i32 s1, s14, s12
	s_mul_i32 s20, s1, s24
	s_mul_hi_u32 s21, s1, s53
	s_add_i32 s20, s21, s20
	s_mul_i32 s0, s0, s53
	s_add_i32 s20, s20, s0
	s_mul_i32 s1, s1, s53
	s_ashr_i32 s61, s56, 31
	s_add_u32 s0, s1, s56
	s_addc_u32 s1, s20, s61
	s_lshl_b64 s[0:1], s[0:1], 8
	s_add_u32 s20, s4, s0
	s_addc_u32 s0, s5, s1
	s_and_b32 s21, s0, 0xffff
	s_movk_i32 s62, 0x80
	buffer_load_dwordx4 v[6:9], v5, s[20:23], 0 offen
	buffer_load_dwordx4 v[10:13], v5, s[20:23], s62 offen
	;; [unrolled: 1-line block ×4, first 2 shown]
	v_and_b32_e32 v5, 6, v0
	v_lshlrev_b32_e32 v4, 7, v93
	v_xor_b32_e32 v26, v95, v5
	v_and_b32_e32 v22, 1, v0
	v_lshl_or_b32 v29, v90, 3, v4
	v_lshlrev_b32_e32 v26, 2, v26
	v_or_b32_e32 v101, 0x4000, v29
	v_or_b32_e32 v102, 0x6000, v29
	v_xor_b32_e32 v29, 0x440, v26
	v_cmp_eq_u32_e32 vcc, 0, v22
	v_lshlrev_b32_e32 v23, 2, v90
	s_mov_b32 s65, 0x1000504
	v_cndmask_b32_e32 v22, v29, v26, vcc
	v_xor_b32_e32 v27, v93, v23
	v_xor_b32_e32 v28, v94, v23
	v_lshl_or_b32 v5, v5, 10, v22
	s_mov_b32 s66, 0x3020706
	v_lshlrev_b32_e32 v24, 8, v90
	v_or_b32_e32 v25, 16, v90
	v_lshlrev_b32_e32 v27, 1, v27
	v_lshlrev_b32_e32 v28, 1, v28
	v_xor_b32_e32 v22, 8, v5
	v_xor_b32_e32 v26, 24, v5
	v_xor_b32_e32 v31, 40, v5
	v_xor_b32_e32 v33, 56, v5
	s_mul_i32 s24, s24, s12
	s_mul_hi_u32 s0, s53, s12
	v_or_b32_e32 v104, v24, v27
	v_or_b32_e32 v105, v24, v28
	v_xor_b32_e32 v24, 16, v5
	v_xor_b32_e32 v29, 32, v5
	;; [unrolled: 1-line block ×3, first 2 shown]
	v_add_u32_e32 v22, 0x80, v22
	v_add_u32_e32 v26, 0x80, v26
	;; [unrolled: 1-line block ×4, first 2 shown]
	s_add_i32 s67, s0, s24
	s_add_i32 s0, s46, s33
	;; [unrolled: 1-line block ×5, first 2 shown]
	s_lshl_b64 s[0:1], s[36:37], 2
	s_add_u32 s20, s10, s0
	s_addc_u32 s21, s11, s1
	s_lshl_b64 s[0:1], s[34:35], 2
	s_add_u32 s44, s20, s0
	s_movk_i32 s0, 0xf8
	s_addc_u32 s45, s21, s1
	s_ashr_i32 s39, s38, 31
	s_lshl_b32 s26, s15, 7
	v_mov_b32_e32 v81, 0
	s_movk_i32 s20, 0x100
	v_lshlrev_b32_e32 v80, 4, v90
	v_ashrrev_i32_e32 v47, 31, v46
	s_mul_i32 s63, s53, s12
	v_lshl_or_b32 v30, v25, 3, v4
	s_mov_b32 s64, 0
	v_or_b32_e32 v103, 0x4000, v30
	s_movk_i32 s22, 0x4000
	v_or_b32_e32 v106, 0x6000, v30
	s_mov_b32 s37, 0x7060302
	s_movk_i32 s68, 0x3000
	v_mov_b32_e32 v146, 0x3fb8aa3b
	s_mov_b32 s70, 0
	s_waitcnt vmcnt(1)
	v_perm_b32 v34, v6, v14, s65
	s_waitcnt vmcnt(0)
	v_perm_b32 v35, v10, v18, s65
	v_perm_b32 v6, v6, v14, s66
	;; [unrolled: 1-line block ×15, first 2 shown]
	ds_write2st64_b32 v5, v34, v35 offset0:128 offset1:160
	ds_write2st64_b32 v22, v6, v10 offset0:128 offset1:160
	;; [unrolled: 1-line block ×8, first 2 shown]
	v_lshlrev_b32_e32 v5, 8, v25
	v_or_b32_e32 v107, v5, v27
	v_or_b32_e32 v108, v5, v28
	;; [unrolled: 1-line block ×3, first 2 shown]
	v_lshl_or_b32 v6, v5, 3, v4
	v_lshlrev_b32_e32 v5, 8, v5
	v_or_b32_e32 v111, v5, v27
	v_or_b32_e32 v112, v5, v28
	;; [unrolled: 1-line block ×5, first 2 shown]
	v_lshl_or_b32 v6, v5, 3, v4
	v_lshlrev_b32_e32 v5, 8, v5
	v_or_b32_e32 v115, v5, v27
	v_or_b32_e32 v116, v5, v28
	;; [unrolled: 1-line block ×3, first 2 shown]
	v_lshlrev_b32_e32 v5, 3, v5
	v_lshrrev_b32_e32 v7, 5, v45
	v_and_or_b32 v7, v5, s0, v7
	v_lshlrev_b32_e32 v7, 4, v7
	v_or_b32_e32 v113, 0x4000, v6
	v_or_b32_e32 v114, 0x6000, v6
	v_lshrrev_b32_e32 v6, 2, v45
	v_lshlrev_b32_e32 v9, 11, v88
	v_and_b32_e32 v5, 0x78, v5
	v_or_b32_e32 v13, 32, v7
	v_and_b32_e32 v8, 12, v6
	v_and_b32_e32 v6, 0x1000, v9
	v_xor_b32_e32 v10, v7, v5
	v_lshrrev_b32_e32 v11, 1, v45
	v_xor_b32_e32 v13, v13, v5
	v_or_b32_e32 v10, v10, v6
	v_and_b32_e32 v11, 8, v11
	v_or_b32_e32 v13, v13, v6
	v_xor_b32_e32 v117, v10, v11
	v_lshlrev_b32_e32 v10, 8, v89
	v_xor_b32_e32 v119, v13, v11
	v_or_b32_e32 v13, 64, v7
	v_or_b32_e32 v7, 0x60, v7
	;; [unrolled: 1-line block ×3, first 2 shown]
	v_xor_b32_e32 v13, v13, v5
	v_xor_b32_e32 v5, v7, v5
	s_lshl_b64 s[0:1], s[38:39], 8
	v_lshlrev_b32_e32 v12, 1, v12
	v_or_b32_e32 v13, v13, v6
	v_or_b32_e32 v5, v5, v6
	s_add_u32 s0, s18, s0
	v_lshlrev_b32_e32 v6, 1, v90
	v_lshlrev_b32_e32 v15, 2, v0
	v_or_b32_e32 v118, 0x4000, v12
	v_or_b32_e32 v120, 0x4080, v12
	;; [unrolled: 1-line block ×4, first 2 shown]
	v_xor_b32_e32 v123, v13, v11
	v_xor_b32_e32 v124, v5, v11
	v_or_b32_e32 v125, 0x6000, v12
	v_or_b32_e32 v126, 0x6080, v12
	;; [unrolled: 1-line block ×4, first 2 shown]
	v_lshlrev_b32_e32 v5, 1, v3
	v_add_lshl_u32 v3, v3, s15, 1
	v_or_b32_e32 v11, 0x100, v2
	v_lshrrev_b32_e32 v12, 4, v0
	s_addc_u32 s1, s19, s1
	v_or_b32_e32 v7, 1, v6
	v_lshrrev_b32_e32 v16, 1, v0
	v_and_or_b32 v10, v15, 60, v10
	v_xor_b32_e32 v13, v12, v6
	v_xor_b32_e32 v14, v7, v12
	v_lshl_add_u64 v[6:7], s[0:1], 0, v[80:81]
	v_and_b32_e32 v16, 24, v16
	v_lshlrev_b32_e32 v10, 1, v10
	v_cndmask_b32_e64 v135, v5, v2, s[2:3]
	v_cndmask_b32_e64 v136, v3, v11, s[2:3]
	v_mov_b32_e32 v3, 0xa000
	v_mov_b32_e32 v5, 0x8000
	v_cmp_gt_u32_e64 s[0:1], s20, v0
	v_lshlrev_b32_e32 v80, 8, v12
	v_or_b32_e32 v131, 0x6000, v10
	v_or_b32_e32 v15, 32, v16
	;; [unrolled: 1-line block ×6, first 2 shown]
	v_cndmask_b32_e64 v3, v3, v5, s[0:1]
	v_lshlrev_b32_e32 v5, 3, v88
	v_lshl_or_b32 v129, v13, 3, v80
	v_and_b32_e32 v13, 8, v0
	v_xor_b32_e32 v11, v5, v16
	v_xor_b32_e32 v15, v5, v15
	v_xor_b32_e32 v5, v5, v10
	v_mov_b32_e32 v17, 0x400
	v_cmp_eq_u32_e32 vcc, 0, v13
	v_or_b32_e32 v16, 0x440, v11
	v_or_b32_e32 v18, 0x440, v15
	v_xor_b32_e32 v10, 0x440, v5
	v_and_b32_e32 v12, 7, v0
	v_cndmask_b32_e64 v13, v17, 64, vcc
	v_cndmask_b32_e32 v16, v16, v11, vcc
	v_cndmask_b32_e32 v15, v18, v15, vcc
	;; [unrolled: 1-line block ×3, first 2 shown]
	v_lshl_or_b32 v130, v14, 3, v80
	v_lshlrev_b32_e32 v14, 3, v12
	v_or_b32_e32 v16, v16, v9
	v_or_b32_e32 v15, v15, v9
	v_or3_b32 v11, v9, v13, v11
	v_or_b32_e32 v5, v5, v9
	v_lshlrev_b32_e32 v12, 7, v12
	v_xor_b32_e32 v16, v16, v14
	v_xor_b32_e32 v15, v15, v14
	;; [unrolled: 1-line block ×4, first 2 shown]
	v_or_b32_e32 v2, v1, v8
	v_add_u32_e32 v17, v3, v16
	v_add_u32_e32 v18, v3, v15
	v_or_b32_e32 v137, v11, v12
	v_add_u32_e32 v9, v3, v5
	v_or3_b32 v8, v1, v8, 64
	v_add_u32_e32 v13, 0xa000, v16
	v_add_u32_e32 v14, 0xa000, v15
	;; [unrolled: 1-line block ×3, first 2 shown]
	v_lshlrev_b64 v[10:11], 1, v[46:47]
	v_lshl_add_u64 v[82:83], s[8:9], 0, v[10:11]
	v_lshl_add_u64 v[84:85], s[28:29], 0, v[10:11]
	;; [unrolled: 1-line block ×3, first 2 shown]
	s_add_i32 s35, s63, 63
	v_lshlrev_b32_e32 v80, 1, v4
	s_movk_i32 s39, 0x2000
	v_lshlrev_b32_e32 v47, 2, v2
	v_add_u32_e32 v138, v17, v12
	v_add_u32_e32 v139, v18, v12
	;; [unrolled: 1-line block ×4, first 2 shown]
	v_lshlrev_b32_e32 v142, 2, v8
	v_add_u32_e32 v143, v13, v12
	v_add_u32_e32 v144, v14, v12
	;; [unrolled: 1-line block ×3, first 2 shown]
	s_waitcnt lgkmcnt(0)
	s_barrier
.LBB75_6:                               ; =>This Inner Loop Header: Depth=1
	s_add_i32 s69, s70, 1
	s_cmp_lt_i32 s69, s54
	s_mov_b64 s[24:25], 0
	s_cselect_b64 s[2:3], -1, 0
	s_cmp_ge_i32 s69, s54
	s_mov_b64 s[20:21], 0
	s_cbranch_scc1 .LBB75_8
; %bb.7:                                ;   in Loop: Header=BB75_6 Depth=1
	s_add_i32 s0, s64, 64
	s_add_u32 s0, s16, s0
	s_addc_u32 s1, s17, 0
	s_lshl_b64 s[0:1], s[0:1], 8
	s_add_u32 s20, s6, s0
	s_addc_u32 s21, s7, s1
.LBB75_8:                               ;   in Loop: Header=BB75_6 Depth=1
	v_cndmask_b32_e64 v2, 0, 1, s[2:3]
	v_cmp_ne_u32_e64 s[0:1], 1, v2
	s_andn2_b64 vcc, exec, s[2:3]
	s_cbranch_vccnz .LBB75_10
; %bb.9:                                ;   in Loop: Header=BB75_6 Depth=1
	s_add_i32 s2, s64, 64
	s_add_u32 s2, s63, s2
	s_addc_u32 s3, s67, 0
	s_mul_i32 s24, s2, s55
	s_mul_hi_u32 s25, s2, s60
	s_add_i32 s24, s25, s24
	s_mul_i32 s3, s3, s60
	s_add_i32 s24, s24, s3
	s_mul_i32 s2, s2, s60
	s_add_u32 s2, s2, s56
	s_addc_u32 s3, s24, s61
	s_lshl_b64 s[2:3], s[2:3], 8
	s_add_u32 s24, s4, s2
	s_addc_u32 s25, s5, s3
.LBB75_10:                              ;   in Loop: Header=BB75_6 Depth=1
	v_perm_b32 v3, v79, v78, s37
	v_perm_b32 v2, v75, v74, s37
	v_perm_b32 v5, v77, v76, s37
	v_perm_b32 v4, v73, v72, s37
	ds_write_b64 v101, v[2:3]
	ds_write_b64 v102, v[4:5]
	ds_write_b64 v104, v[2:3]
	ds_write_b64 v105, v[4:5]
	v_perm_b32 v3, v71, v70, s37
	v_perm_b32 v2, v67, v66, s37
	v_perm_b32 v5, v69, v68, s37
	v_perm_b32 v4, v65, v64, s37
	ds_write_b64 v103, v[2:3]
	ds_write_b64 v106, v[4:5]
	ds_write_b64 v107, v[2:3]
	ds_write_b64 v108, v[4:5]
	;; [unrolled: 8-line block ×4, first 2 shown]
	s_waitcnt lgkmcnt(0)
	s_barrier
	ds_read_b64 v[6:7], v117 offset:49152
	ds_read2_b64 v[2:5], v118 offset1:16
	ds_read_b64 v[18:19], v120 offset:6144
	ds_read_b64 v[20:21], v118 offset:6144
	s_waitcnt lgkmcnt(2)
	v_mfma_f32_16x16x16_bf16 a[0:3], v[6:7], v[2:3], 0
	ds_read_b64 v[22:23], v119 offset:49152
	ds_read2st64_b64 v[10:13], v121 offset0:4 offset1:8
	ds_read2st64_b64 v[14:17], v122 offset0:4 offset1:8
	v_mfma_f32_16x16x16_bf16 a[4:7], v[6:7], v[4:5], 0
	ds_read2_b64 v[2:5], v118 offset0:32 offset1:48
	s_add_i32 s2, s64, 63
	s_mul_i32 s3, s2, s31
	s_waitcnt lgkmcnt(0)
	v_mfma_f32_16x16x16_bf16 a[8:11], v[6:7], v[2:3], 0
	s_mul_hi_u32 s27, s2, s30
	s_add_i32 s3, s27, s3
	s_mul_i32 s2, s2, s30
	v_mfma_f32_16x16x16_bf16 a[12:15], v[6:7], v[4:5], 0
	ds_read2st64_b64 v[2:5], v118 offset0:4 offset1:8
	ds_read2st64_b64 v[6:9], v120 offset0:4 offset1:8
	s_lshl_b64 s[2:3], s[2:3], 2
	s_waitcnt lgkmcnt(1)
	v_mfma_f32_16x16x16_bf16 a[0:3], v[22:23], v[2:3], a[0:3]
	s_add_u32 s2, s44, s2
	s_addc_u32 s3, s45, s3
	s_and_b64 vcc, exec, s[0:1]
	s_waitcnt lgkmcnt(0)
	v_mfma_f32_16x16x16_bf16 a[4:7], v[22:23], v[6:7], a[4:7]
	v_mov_b32_e32 v149, 0
	v_mov_b32_e32 v148, 0
	;; [unrolled: 1-line block ×3, first 2 shown]
	v_mfma_f32_16x16x16_bf16 a[8:11], v[22:23], v[10:11], a[8:11]
	ds_read_b64 v[2:3], v123 offset:49152
	ds_read_b64 v[6:7], v124 offset:49152
	;; [unrolled: 1-line block ×3, first 2 shown]
	v_mfma_f32_16x16x16_bf16 a[12:15], v[22:23], v[14:15], a[12:15]
	v_mov_b32_e32 v14, 0
	v_mov_b32_e32 v15, 0
	s_waitcnt lgkmcnt(2)
	v_mfma_f32_16x16x16_bf16 a[0:3], v[2:3], v[4:5], a[0:3]
	v_mov_b32_e32 v4, 0
	v_mov_b32_e32 v5, 0
	v_mfma_f32_16x16x16_bf16 a[4:7], v[2:3], v[8:9], a[4:7]
	v_mov_b32_e32 v8, 0
	v_mov_b32_e32 v9, 0
	;; [unrolled: 3-line block ×3, first 2 shown]
	v_mfma_f32_16x16x16_bf16 a[12:15], v[2:3], v[16:17], a[12:15]
	ds_read_b64 v[2:3], v121 offset:6144
	v_mov_b32_e32 v16, 0
	v_mov_b32_e32 v17, 0
	s_waitcnt lgkmcnt(2)
	v_mfma_f32_16x16x16_bf16 a[0:3], v[6:7], v[20:21], a[0:3]
	v_mfma_f32_16x16x16_bf16 a[4:7], v[6:7], v[18:19], a[4:7]
	s_waitcnt lgkmcnt(0)
	v_mfma_f32_16x16x16_bf16 a[8:11], v[6:7], v[2:3], a[8:11]
	v_mov_b32_e32 v2, 0
	v_mov_b32_e32 v3, 0
	v_mfma_f32_16x16x16_bf16 a[12:15], v[6:7], v[10:11], a[12:15]
	v_mov_b32_e32 v6, 0
	v_mov_b32_e32 v7, 0
	;; [unrolled: 1-line block ×4, first 2 shown]
	s_cbranch_vccnz .LBB75_12
; %bb.11:                               ;   in Loop: Header=BB75_6 Depth=1
	s_and_b32 s21, s21, 0xffff
	buffer_load_dwordx4 v[14:17], v97, s[20:23], 0 offen
	buffer_load_dwordx4 v[10:13], v97, s[20:23], s62 offen
	;; [unrolled: 1-line block ×4, first 2 shown]
	v_mov_b32_e32 v148, v99
	v_mov_b32_e32 v147, v100
.LBB75_12:                              ;   in Loop: Header=BB75_6 Depth=1
	ds_read_b64 v[38:39], v117 offset:57344
	ds_read2_b64 v[18:21], v125 offset1:16
	ds_read_b64 v[40:41], v119 offset:57344
	ds_read_b64 v[42:43], v123 offset:57344
	;; [unrolled: 1-line block ×3, first 2 shown]
	s_waitcnt lgkmcnt(3)
	v_mfma_f32_16x16x16_bf16 a[0:3], v[38:39], v[18:19], a[0:3]
	v_mfma_f32_16x16x16_bf16 a[4:7], v[38:39], v[20:21], a[4:7]
	ds_read2_b64 v[18:21], v125 offset0:32 offset1:48
	ds_read2st64_b64 v[22:25], v125 offset0:4 offset1:8
	ds_read2st64_b64 v[26:29], v126 offset0:4 offset1:8
	;; [unrolled: 1-line block ×4, first 2 shown]
	s_waitcnt lgkmcnt(4)
	v_mfma_f32_16x16x16_bf16 a[8:11], v[38:39], v[18:19], a[8:11]
	v_mfma_f32_16x16x16_bf16 a[12:15], v[38:39], v[20:21], a[12:15]
	v_add_u32_e32 v38, s64, v93
	v_ashrrev_i32_e32 v18, 31, v38
	v_mul_lo_u32 v20, v18, s30
	v_mul_lo_u32 v21, v38, s31
	v_mad_u64_u32 v[18:19], s[20:21], v38, s30, 0
	v_add3_u32 v19, v19, v21, v20
	v_add_u32_e32 v20, 1, v38
	v_ashrrev_i32_e32 v21, 31, v20
	s_waitcnt lgkmcnt(3)
	v_mfma_f32_16x16x16_bf16 a[0:3], v[40:41], v[22:23], a[0:3]
	v_mul_lo_u32 v22, v21, s30
	v_mul_lo_u32 v23, v20, s31
	v_mad_u64_u32 v[20:21], s[20:21], v20, s30, 0
	v_add3_u32 v21, v21, v23, v22
	v_add_u32_e32 v22, 2, v38
	v_ashrrev_i32_e32 v23, 31, v22
	s_waitcnt lgkmcnt(2)
	v_mfma_f32_16x16x16_bf16 a[4:7], v[40:41], v[26:27], a[4:7]
	v_mul_lo_u32 v26, v23, s30
	v_mul_lo_u32 v27, v22, s31
	v_mad_u64_u32 v[22:23], s[20:21], v22, s30, 0
	v_add3_u32 v23, v23, v27, v26
	v_add_u32_e32 v26, 3, v38
	v_lshl_add_u64 v[18:19], v[18:19], 2, s[44:45]
	v_lshl_add_u64 v[20:21], v[20:21], 2, s[44:45]
	v_ashrrev_i32_e32 v27, 31, v26
	s_waitcnt lgkmcnt(1)
	v_mfma_f32_16x16x16_bf16 a[8:11], v[40:41], v[30:31], a[8:11]
	v_mul_lo_u32 v27, v27, s30
	global_load_dword v30, v[18:19], off
	v_mul_lo_u32 v31, v26, s31
	s_waitcnt lgkmcnt(0)
	v_mfma_f32_16x16x16_bf16 a[12:15], v[40:41], v[34:35], a[12:15]
	global_load_dword v34, v[20:21], off
	v_mad_u64_u32 v[18:19], s[20:21], v26, s30, 0
	v_add3_u32 v19, v19, v31, v27
	s_add_u32 s20, s16, s64
	v_lshl_add_u64 v[22:23], v[22:23], 2, s[44:45]
	v_lshl_add_u64 v[18:19], v[18:19], 2, s[44:45]
	s_addc_u32 s21, s17, 0
	global_load_dword v31, v[22:23], off
	global_load_dword v35, v[18:19], off
	s_lshl_b64 s[20:21], s[20:21], 8
	v_lshl_add_u64 v[18:19], v[82:83], 0, s[20:21]
	v_lshl_add_u64 v[18:19], v[18:19], 0, v[80:81]
	global_load_ushort v38, v[18:19], off offset:256
	global_load_ushort v39, v[18:19], off
	global_load_ushort v40, v[18:19], off offset:768
	global_load_ushort v41, v[18:19], off offset:512
	global_load_ushort v44, v[18:19], off offset:288
	global_load_ushort v152, v[18:19], off offset:32
	global_load_ushort v153, v[18:19], off offset:800
	global_load_ushort v154, v[18:19], off offset:544
	s_load_dword s2, s[2:3], 0x0
	v_mfma_f32_16x16x16_bf16 a[12:15], v[42:43], v[36:37], a[12:15]
	global_load_ushort v36, v[18:19], off offset:320
	global_load_ushort v37, v[18:19], off offset:64
	s_and_b64 vcc, exec, s[0:1]
	v_mfma_f32_16x16x16_bf16 a[0:3], v[42:43], v[24:25], a[0:3]
	ds_read_b64 v[20:21], v125 offset:6144
	ds_read_b64 v[22:23], v126 offset:6144
	;; [unrolled: 1-line block ×4, first 2 shown]
	v_mfma_f32_16x16x16_bf16 a[4:7], v[42:43], v[28:29], a[4:7]
	s_waitcnt vmcnt(11) lgkmcnt(0)
	v_sub_f32_e32 v28, s2, v31
	v_mfma_f32_16x16x16_bf16 a[8:11], v[42:43], v[32:33], a[8:11]
	global_load_ushort v42, v[18:19], off offset:832
	global_load_ushort v43, v[18:19], off offset:576
	;; [unrolled: 1-line block ×6, first 2 shown]
	v_mfma_f32_16x16x16_bf16 a[0:3], v[150:151], v[20:21], a[0:3]
	s_waitcnt vmcnt(16)
	v_sub_f32_e32 v29, s2, v35
	v_mul_f32_e32 v28, 0x3fb8aa3b, v28
	v_mul_f32_e32 v29, 0x3fb8aa3b, v29
	v_exp_f32_e32 v28, v28
	v_exp_f32_e32 v29, v29
	s_waitcnt vmcnt(15)
	v_lshlrev_b32_e32 v33, 16, v38
	s_waitcnt vmcnt(14)
	v_lshlrev_b32_e32 v32, 16, v39
	v_accvgpr_read_b32 v21, a3
	v_accvgpr_read_b32 v20, a2
	v_mfma_f32_16x16x16_bf16 a[2:5], v[150:151], v[22:23], a[4:7]
	v_mfma_f32_16x16x16_bf16 a[6:9], v[150:151], v[24:25], a[8:11]
	s_nop 5
	v_accvgpr_read_b32 v23, a5
	v_accvgpr_read_b32 v22, a4
	;; [unrolled: 1-line block ×4, first 2 shown]
	v_mfma_f32_16x16x16_bf16 a[8:11], v[150:151], v[26:27], a[12:15]
	v_sub_f32_e32 v26, s2, v30
	v_sub_f32_e32 v27, s2, v34
	v_mul_f32_e32 v26, 0x3fb8aa3b, v26
	v_mul_f32_e32 v27, 0x3fb8aa3b, v27
	v_exp_f32_e32 v26, v26
	v_exp_f32_e32 v27, v27
	v_accvgpr_read_b32 v35, a1
	v_accvgpr_read_b32 v34, a0
	v_lshl_add_u64 v[30:31], v[84:85], 0, s[20:21]
	v_pk_add_f32 v[32:33], v[32:33], v[34:35] neg_lo:[0,1] neg_hi:[0,1]
	s_waitcnt vmcnt(13)
	v_lshlrev_b32_e32 v35, 16, v40
	s_waitcnt vmcnt(12)
	v_lshlrev_b32_e32 v34, 16, v41
	v_lshl_add_u64 v[30:31], v[30:31], 0, v[80:81]
	v_pk_add_f32 v[20:21], v[34:35], v[20:21] neg_lo:[0,1] neg_hi:[0,1]
	global_store_short_d16_hi v[30:31], v32, off
	global_store_short_d16_hi v[30:31], v33, off offset:256
	global_store_short_d16_hi v[30:31], v20, off offset:512
	;; [unrolled: 1-line block ×3, first 2 shown]
	v_pk_mul_f32 v[32:33], v[26:27], v[32:33]
	v_pk_mul_f32 v[20:21], v[28:29], v[20:21]
	v_accvgpr_read_b32 v35, a3
	v_perm_b32 v21, v21, v20, s37
	v_perm_b32 v20, v33, v32, s37
	s_waitcnt vmcnt(15)
	v_lshlrev_b32_e32 v33, 16, v44
	s_waitcnt vmcnt(14)
	v_lshlrev_b32_e32 v32, 16, v152
	v_accvgpr_read_b32 v34, a2
	v_pk_add_f32 v[32:33], v[32:33], v[34:35] neg_lo:[0,1] neg_hi:[0,1]
	s_waitcnt vmcnt(13)
	v_lshlrev_b32_e32 v35, 16, v153
	s_waitcnt vmcnt(12)
	v_lshlrev_b32_e32 v34, 16, v154
	v_pk_add_f32 v[22:23], v[34:35], v[22:23] neg_lo:[0,1] neg_hi:[0,1]
	global_store_short_d16_hi v[30:31], v32, off offset:32
	global_store_short_d16_hi v[30:31], v33, off offset:288
	;; [unrolled: 1-line block ×4, first 2 shown]
	v_pk_mul_f32 v[32:33], v[26:27], v[32:33]
	v_pk_mul_f32 v[22:23], v[28:29], v[22:23]
	v_accvgpr_read_b32 v25, a11
	v_perm_b32 v23, v23, v22, s37
	v_perm_b32 v22, v33, v32, s37
	ds_write2_b64 v102, v[20:21], v[22:23] offset1:16
	v_accvgpr_read_b32 v23, a7
	s_waitcnt vmcnt(15)
	v_lshlrev_b32_e32 v21, 16, v36
	s_waitcnt vmcnt(14)
	v_lshlrev_b32_e32 v20, 16, v37
	v_accvgpr_read_b32 v22, a6
	v_pk_add_f32 v[20:21], v[20:21], v[22:23] neg_lo:[0,1] neg_hi:[0,1]
	global_store_short_d16_hi v[30:31], v20, off offset:64
	global_store_short_d16_hi v[30:31], v21, off offset:320
	v_pk_mul_f32 v[20:21], v[26:27], v[20:21]
	v_accvgpr_read_b32 v24, a10
	v_perm_b32 v20, v21, v20, s37
	v_mov_b32_e32 v150, 0
	v_mov_b32_e32 v32, 0
	;; [unrolled: 1-line block ×3, first 2 shown]
	s_waitcnt vmcnt(15)
	v_lshlrev_b32_e32 v23, 16, v42
	s_waitcnt vmcnt(14)
	v_lshlrev_b32_e32 v22, 16, v43
	v_pk_add_f32 v[18:19], v[22:23], v[18:19] neg_lo:[0,1] neg_hi:[0,1]
	global_store_short_d16_hi v[30:31], v18, off offset:576
	global_store_short_d16_hi v[30:31], v19, off offset:832
	v_pk_mul_f32 v[18:19], v[28:29], v[18:19]
	v_accvgpr_read_b32 v23, a9
	v_perm_b32 v21, v19, v18, s37
	s_waitcnt vmcnt(15)
	v_lshlrev_b32_e32 v19, 16, v155
	s_waitcnt vmcnt(14)
	v_lshlrev_b32_e32 v18, 16, v156
	v_accvgpr_read_b32 v22, a8
	v_pk_add_f32 v[18:19], v[18:19], v[22:23] neg_lo:[0,1] neg_hi:[0,1]
	s_waitcnt vmcnt(13)
	v_lshlrev_b32_e32 v23, 16, v157
	s_waitcnt vmcnt(12)
	v_lshlrev_b32_e32 v22, 16, v158
	v_pk_add_f32 v[22:23], v[22:23], v[24:25] neg_lo:[0,1] neg_hi:[0,1]
	global_store_short_d16_hi v[30:31], v18, off offset:96
	global_store_short_d16_hi v[30:31], v19, off offset:352
	;; [unrolled: 1-line block ×4, first 2 shown]
	v_pk_mul_f32 v[18:19], v[26:27], v[18:19]
	v_pk_mul_f32 v[22:23], v[28:29], v[22:23]
	v_mov_b32_e32 v24, 0
	v_perm_b32 v23, v23, v22, s37
	v_perm_b32 v22, v19, v18, s37
	ds_write2_b64 v102, v[20:21], v[22:23] offset0:32 offset1:48
	v_mov_b32_e32 v18, 0
	v_mov_b32_e32 v19, 0
	;; [unrolled: 1-line block ×13, first 2 shown]
	s_cbranch_vccnz .LBB75_14
; %bb.13:                               ;   in Loop: Header=BB75_6 Depth=1
	s_and_b32 s25, s25, 0xffff
	s_mov_b32 s27, s23
	buffer_load_dwordx4 v[30:33], v135, s[24:27], 0 offen
	buffer_load_dwordx4 v[22:25], v135, s[24:27], s62 offen
	;; [unrolled: 1-line block ×4, first 2 shown]
	v_mov_b32_e32 v149, v96
	v_mov_b32_e32 v150, v95
.LBB75_14:                              ;   in Loop: Header=BB75_6 Depth=1
	s_waitcnt lgkmcnt(0)
	s_barrier
	ds_read_b64 v[42:43], v138
	ds_read2_b64 v[34:37], v131 offset1:16
	ds_read_b64 v[168:169], v139
	ds_read_b64 v[170:171], v140
	;; [unrolled: 1-line block ×3, first 2 shown]
	ds_read2_b64 v[38:41], v131 offset0:32 offset1:48
	ds_read2st64_b64 v[152:155], v131 offset0:4 offset1:8
	ds_read2st64_b64 v[156:159], v132 offset0:4 offset1:8
	;; [unrolled: 1-line block ×4, first 2 shown]
	s_waitcnt lgkmcnt(8)
	v_mfma_f32_16x16x16_bf16 a[0:3], v[42:43], v[34:35], 0
	s_add_i32 s3, s57, s70
	s_mul_hi_i32 s21, s3, s13
	s_mul_i32 s3, s3, s13
	v_mfma_f32_16x16x16_bf16 a[4:7], v[42:43], v[36:37], 0
	s_add_u32 s20, s3, s50
	s_addc_u32 s21, s21, s51
	s_add_i32 s3, s35, s64
	s_waitcnt lgkmcnt(4)
	v_mfma_f32_16x16x16_bf16 a[8:11], v[42:43], v[38:39], 0
	s_lshl_b64 s[20:21], s[20:21], 15
	s_mul_hi_i32 s25, s3, s13
	s_mul_i32 s3, s3, s13
	v_mfma_f32_16x16x16_bf16 a[12:15], v[42:43], v[40:41], 0
	ds_read_b64 v[42:43], v131 offset:6144
	ds_read_b64 v[180:181], v132 offset:6144
	;; [unrolled: 1-line block ×4, first 2 shown]
	s_add_u32 s24, s3, s50
	s_waitcnt lgkmcnt(7)
	v_mfma_f32_16x16x16_bf16 a[0:3], v[168:169], v[152:153], a[0:3]
	s_addc_u32 s25, s25, s51
	s_lshl_b64 s[24:25], s[24:25], 9
	s_add_u32 s24, s42, s24
	s_waitcnt lgkmcnt(6)
	v_mfma_f32_16x16x16_bf16 a[4:7], v[168:169], v[156:157], a[4:7]
	s_addc_u32 s25, s43, s25
	v_lshl_add_u64 v[190:191], v[86:87], 0, s[20:21]
	s_waitcnt lgkmcnt(5)
	v_mfma_f32_16x16x16_bf16 a[8:11], v[168:169], v[160:161], a[8:11]
	s_waitcnt lgkmcnt(4)
	v_mfma_f32_16x16x16_bf16 a[12:15], v[168:169], v[164:165], a[12:15]
	ds_read_b64 v[168:169], v143
	ds_read_b64 v[178:179], v144
	;; [unrolled: 1-line block ×3, first 2 shown]
	s_waitcnt lgkmcnt(2)
	v_mfma_f32_16x16x16_bf16 a[16:19], v[168:169], v[34:35], 0
	v_mfma_f32_16x16x16_bf16 a[20:23], v[168:169], v[36:37], 0
	global_load_dwordx4 v[34:37], v142, s[24:25]
	v_mfma_f32_16x16x16_bf16 a[24:27], v[168:169], v[38:39], 0
	v_mfma_f32_16x16x16_bf16 a[28:31], v[168:169], v[40:41], 0
	global_load_dwordx4 v[38:41], v47, s[24:25]
	v_mfma_f32_16x16x16_bf16 a[0:3], v[170:171], v[154:155], a[0:3]
	v_mfma_f32_16x16x16_bf16 a[4:7], v[170:171], v[158:159], a[4:7]
	;; [unrolled: 1-line block ×8, first 2 shown]
	ds_read2st64_b64 v[168:171], v129 offset1:8
	ds_read2st64_b64 v[172:175], v130 offset1:8
	ds_read_b64 v[188:189], v137 offset:40960
	s_waitcnt lgkmcnt(2)
	v_mov_b32_e32 v176, v168
	v_mfma_f32_16x16x16_bf16 a[16:19], v[178:179], v[152:153], a[16:19]
	v_mov_b32_e32 v177, v169
	v_mfma_f32_16x16x16_bf16 a[20:23], v[178:179], v[156:157], a[20:23]
	v_mfma_f32_16x16x16_bf16 a[24:27], v[178:179], v[160:161], a[24:27]
	;; [unrolled: 1-line block ×3, first 2 shown]
	v_add_co_u32_e32 v164, vcc, s39, v190
	s_waitcnt lgkmcnt(1)
	v_mov_b32_e32 v178, v172
	s_waitcnt lgkmcnt(0)
	v_mfma_f32_16x16x16_bf16 a[16:19], v[188:189], v[154:155], a[16:19]
	ds_read2st64_b64 v[152:155], v129 offset0:16 offset1:24
	v_addc_co_u32_e32 v165, vcc, 0, v191, vcc
	v_mfma_f32_16x16x16_bf16 a[20:23], v[188:189], v[158:159], a[20:23]
	ds_read2st64_b64 v[156:159], v130 offset0:16 offset1:24
	v_mov_b32_e32 v179, v173
	v_mov_b32_e32 v172, v170
	v_mfma_f32_16x16x16_bf16 a[32:35], v[188:189], v[162:163], a[24:27]
	v_mov_b32_e32 v173, v171
	s_waitcnt lgkmcnt(0)
	v_mov_b32_e32 v162, v156
	v_mov_b32_e32 v163, v157
	v_mfma_f32_16x16x16_bf16 a[36:39], v[188:189], v[166:167], a[28:31]
	v_mov_b32_e32 v156, v154
	v_mov_b32_e32 v157, v155
	;; [unrolled: 1-line block ×3, first 2 shown]
	v_mfma_f32_16x16x16_bf16 a[24:27], v[186:187], v[42:43], a[16:19]
	v_add_co_u32_e32 v42, vcc, s68, v190
	v_mov_b32_e32 v161, v153
	v_mfma_f32_16x16x16_bf16 a[28:31], v[186:187], v[180:181], a[20:23]
	v_addc_co_u32_e32 v43, vcc, 0, v191, vcc
	global_store_dwordx4 v[42:43], v[156:159], off
	v_mfma_f32_16x16x16_bf16 a[16:19], v[186:187], v[182:183], a[32:35]
	s_waitcnt vmcnt(2)
	v_mov_b32_e32 v44, v37
	v_mov_b32_e32 v43, v36
	;; [unrolled: 1-line block ×3, first 2 shown]
	v_mfma_f32_16x16x16_bf16 a[20:23], v[186:187], v[184:185], a[36:39]
	s_and_b64 vcc, exec, s[0:1]
	global_store_dwordx4 v[190:191], v[176:179], off
	global_store_dwordx4 v[164:165], v[172:175], off offset:-4096
	global_store_dwordx4 v[164:165], v[160:163], off
	s_cbranch_vccnz .LBB75_16
; %bb.15:                               ;   in Loop: Header=BB75_6 Depth=1
	v_lshrrev_b32_e32 v35, 3, v149
	v_and_b32_e32 v35, 6, v35
	v_xor_b32_e32 v36, v35, v150
	v_lshlrev_b32_e32 v36, 2, v36
	v_and_b32_e32 v37, 8, v149
	v_xor_b32_e32 v149, 0x440, v36
	v_cmp_eq_u32_e32 vcc, 0, v37
	v_perm_b32 v37, v22, v18, s65
	s_nop 0
	v_cndmask_b32_e32 v36, v149, v36, vcc
	v_lshl_or_b32 v35, v35, 10, v36
	v_perm_b32 v36, v30, v26, s65
	s_barrier
	ds_write2st64_b32 v35, v36, v37 offset0:128 offset1:160
	v_xor_b32_e32 v36, 8, v35
	v_perm_b32 v26, v30, v26, s66
	v_perm_b32 v18, v22, v18, s66
	v_add_u32_e32 v22, 0x80, v36
	ds_write2st64_b32 v22, v26, v18 offset0:128 offset1:160
	v_xor_b32_e32 v18, 16, v35
	v_perm_b32 v22, v31, v27, s65
	v_perm_b32 v26, v23, v19, s65
	ds_write2st64_b32 v18, v22, v26 offset0:129 offset1:161
	v_xor_b32_e32 v18, 24, v35
	v_perm_b32 v22, v31, v27, s66
	v_perm_b32 v19, v23, v19, s66
	v_add_u32_e32 v18, 0x80, v18
	ds_write2st64_b32 v18, v22, v19 offset0:129 offset1:161
	v_xor_b32_e32 v18, 32, v35
	v_perm_b32 v19, v32, v28, s65
	v_perm_b32 v22, v24, v20, s65
	;; [unrolled: 9-line block ×3, first 2 shown]
	ds_write2st64_b32 v18, v19, v20 offset0:131 offset1:163
	v_xor_b32_e32 v18, 56, v35
	v_perm_b32 v19, v33, v29, s66
	v_perm_b32 v20, v25, v21, s66
	v_add_u32_e32 v18, 0x80, v18
	ds_write2st64_b32 v18, v19, v20 offset0:131 offset1:163
	ds_write_b64 v148, v[14:15] offset:49152
	v_xor_b32_e32 v14, 8, v148
	ds_write_b64 v14, v[16:17] offset:49152
	ds_write_b64 v148, v[10:11] offset:57344
	;; [unrolled: 1-line block ×4, first 2 shown]
	v_xor_b32_e32 v6, 8, v147
	ds_write_b64 v6, v[8:9] offset:49152
	ds_write_b64 v147, v[2:3] offset:57344
	;; [unrolled: 1-line block ×3, first 2 shown]
.LBB75_16:                              ;   in Loop: Header=BB75_6 Depth=1
	v_mul_f32_e32 v26, s2, v146
	v_exp_f32_e32 v36, v26
	s_waitcnt vmcnt(4)
	v_mul_f32_e32 v26, 0x3fb8aa3b, v38
	v_exp_f32_e32 v38, v26
	v_mul_f32_e32 v26, 0x3fb8aa3b, v39
	v_exp_f32_e32 v39, v26
	;; [unrolled: 2-line block ×4, first 2 shown]
	v_accvgpr_read_b32 v5, a3
	v_accvgpr_read_b32 v4, a2
	;; [unrolled: 1-line block ×4, first 2 shown]
	v_pk_mul_f32 v[38:39], v[36:37], v[38:39] op_sel_hi:[0,1]
	v_pk_mul_f32 v[40:41], v[36:37], v[40:41] op_sel_hi:[0,1]
	v_pk_fma_f32 v[74:75], v[74:75], v[38:39], v[2:3]
	v_pk_fma_f32 v[78:79], v[78:79], v[40:41], v[4:5]
	v_mul_f32_e32 v2, 0x3fb8aa3b, v34
	v_mul_f32_e32 v3, 0x3fb8aa3b, v42
	;; [unrolled: 1-line block ×4, first 2 shown]
	v_exp_f32_e32 v2, v2
	v_exp_f32_e32 v3, v3
	;; [unrolled: 1-line block ×4, first 2 shown]
	v_accvgpr_read_b32 v9, a7
	v_accvgpr_read_b32 v13, a11
	;; [unrolled: 1-line block ×28, first 2 shown]
	v_pk_mul_f32 v[2:3], v[36:37], v[2:3] op_sel_hi:[0,1]
	v_pk_mul_f32 v[4:5], v[36:37], v[4:5] op_sel_hi:[0,1]
	s_add_i32 s64, s64, 64
	v_pk_fma_f32 v[66:67], v[38:39], v[66:67], v[6:7]
	v_pk_fma_f32 v[70:71], v[40:41], v[70:71], v[8:9]
	;; [unrolled: 1-line block ×13, first 2 shown]
	s_cmp_eq_u32 s54, s69
	v_pk_fma_f32 v[52:53], v[4:5], v[52:53], v[32:33]
	s_cbranch_scc1 .LBB75_18
; %bb.17:                               ;   in Loop: Header=BB75_6 Depth=1
	s_mov_b32 s70, s69
	s_branch .LBB75_6
.LBB75_18:
	s_lshl_b32 s26, s54, 6
	s_sub_i32 s27, s12, s26
	s_cmp_gt_i32 s27, 0
	s_cbranch_scc0 .LBB75_99
; %bb.19:
	s_ashr_i32 s2, s26, 31
	s_cmpk_lg_i32 s15, 0x80
	s_cselect_b64 s[22:23], -1, 0
	s_and_b64 vcc, exec, s[22:23]
	s_cbranch_vccz .LBB75_21
; %bb.20:
	s_mul_i32 s1, s53, s12
	s_mul_hi_i32 s0, s53, s12
	s_add_u32 s1, s1, s26
	s_addc_u32 s0, s0, s2
	s_mul_i32 s3, s1, s55
	s_mul_hi_u32 s17, s1, s14
	s_add_i32 s3, s17, s3
	s_mul_i32 s0, s0, s14
	s_add_i32 s3, s3, s0
	s_mul_i32 s1, s1, s14
	s_ashr_i32 s0, s56, 31
	s_add_u32 s24, s1, s56
	s_addc_u32 s25, s3, s0
	s_cbranch_execz .LBB75_22
	s_branch .LBB75_23
.LBB75_21:
                                        ; implicit-def: $sgpr24_sgpr25
.LBB75_22:
	s_mul_hi_i32 s0, s53, s14
	s_mul_i32 s53, s53, s14
	s_ashr_i32 s1, s56, 31
	s_add_u32 s3, s53, s56
	s_addc_u32 s0, s0, s1
	s_mul_i32 s1, s3, s52
	s_mul_hi_u32 s14, s3, s12
	s_add_i32 s1, s14, s1
	s_mul_i32 s0, s0, s12
	s_add_i32 s1, s1, s0
	s_mul_i32 s3, s3, s12
	s_add_u32 s24, s3, s26
	s_addc_u32 s25, s1, s2
.LBB75_23:
	s_mul_i32 s0, s40, s52
	s_add_i32 s0, s59, s0
	s_add_i32 s3, s57, s54
	s_add_i32 s1, s0, s58
	s_add_u32 s0, s16, s26
	v_lshlrev_b32_e32 v6, 6, v93
	v_lshlrev_b32_e32 v24, 2, v90
	s_addc_u32 s1, s1, s2
	s_mov_b32 s2, 0x7060302
	v_or_b32_e32 v9, v6, v24
	v_xor_b32_e32 v7, v93, v24
	v_perm_b32 v3, v79, v78, s2
	v_perm_b32 v2, v75, v74, s2
	;; [unrolled: 1-line block ×4, first 2 shown]
	v_lshlrev_b32_e32 v9, 1, v9
	v_xor_b32_e32 v8, v94, v24
	ds_write2st64_b64 v9, v[2:3], v[4:5] offset0:32 offset1:48
	v_lshlrev_b32_e32 v7, 1, v7
	v_lshlrev_b32_e32 v9, 8, v90
	v_or_b32_e32 v10, v7, v9
	v_lshlrev_b32_e32 v8, 1, v8
	ds_write_b64 v10, v[2:3]
	v_or_b32_e32 v2, v8, v9
	v_or_b32_e32 v9, 16, v90
	v_lshlrev_b32_e32 v23, 2, v9
	v_or_b32_e32 v10, v6, v23
	ds_write_b64 v2, v[4:5]
	v_perm_b32 v3, v71, v70, s2
	v_perm_b32 v2, v67, v66, s2
	;; [unrolled: 1-line block ×4, first 2 shown]
	v_lshlrev_b32_e32 v10, 1, v10
	v_lshlrev_b32_e32 v9, 8, v9
	ds_write2st64_b64 v10, v[2:3], v[4:5] offset0:32 offset1:48
	v_or_b32_e32 v10, v7, v9
	ds_write_b64 v10, v[2:3]
	v_or_b32_e32 v2, v8, v9
	v_or_b32_e32 v9, 32, v90
	v_lshlrev_b32_e32 v22, 2, v9
	v_or_b32_e32 v10, v6, v22
	s_lshl_b64 s[20:21], s[0:1], 8
	ds_write_b64 v2, v[4:5]
	v_perm_b32 v3, v63, v62, s2
	v_perm_b32 v2, v59, v58, s2
	v_perm_b32 v5, v61, v60, s2
	v_perm_b32 v4, v57, v56, s2
	v_lshlrev_b32_e32 v10, 1, v10
	v_lshlrev_b32_e32 v9, 8, v9
	s_waitcnt lgkmcnt(0)
	s_add_u32 s0, s6, s20
	ds_write2st64_b64 v10, v[2:3], v[4:5] offset0:32 offset1:48
	v_or_b32_e32 v10, v7, v9
	s_addc_u32 s1, s7, s21
	ds_write_b64 v10, v[2:3]
	v_or_b32_e32 v2, v8, v9
	v_or_b32_e32 v9, 48, v90
	s_mul_hi_i32 s6, s3, s13
	s_mul_i32 s3, s3, s13
	ds_write_b64 v2, v[4:5]
	v_perm_b32 v3, v55, v54, s2
	v_perm_b32 v2, v51, v50, s2
	;; [unrolled: 1-line block ×4, first 2 shown]
	v_lshlrev_b32_e32 v19, 2, v9
	s_add_u32 s2, s3, s50
	v_or_b32_e32 v6, v6, v19
	s_addc_u32 s3, s6, s51
	v_lshlrev_b32_e32 v6, 1, v6
	s_ashr_i32 s39, s38, 31
	s_lshl_b64 s[2:3], s[2:3], 15
	ds_write2st64_b64 v6, v[2:3], v[4:5] offset0:32 offset1:48
	v_lshlrev_b32_e32 v6, 8, v9
	s_add_u32 s6, s18, s2
	v_or_b32_e32 v7, v7, v6
	s_addc_u32 s7, s19, s3
	s_lshl_b64 s[2:3], s[38:39], 8
	ds_write_b64 v7, v[2:3]
	v_or_b32_e32 v2, v8, v6
	s_add_u32 s2, s6, s2
	v_lshlrev_b32_e32 v3, 1, v90
	ds_write_b64 v2, v[4:5]
	v_lshrrev_b32_e32 v2, 4, v0
	s_addc_u32 s3, s7, s3
	v_or_b32_e32 v4, 1, v3
	v_lshlrev_b32_e32 v10, 4, v90
	v_mov_b32_e32 v11, 0
	v_xor_b32_e32 v3, v2, v3
	v_xor_b32_e32 v6, v4, v2
	v_lshl_add_u64 v[12:13], s[2:3], 0, v[10:11]
	v_lshlrev_b32_e32 v10, 8, v2
	v_lshl_or_b32 v16, v3, 3, v10
	v_lshl_or_b32 v17, v6, 3, v10
	s_waitcnt lgkmcnt(0)
	s_barrier
	ds_read2st64_b64 v[2:5], v16 offset1:8
	ds_read2st64_b64 v[6:9], v17 offset1:8
	v_lshl_add_u64 v[14:15], v[12:13], 0, v[10:11]
	s_movk_i32 s2, 0x2000
	s_cmp_lg_u32 s27, 64
	s_waitcnt lgkmcnt(1)
	v_mov_b32_e32 v10, v2
	v_mov_b32_e32 v11, v3
	s_waitcnt lgkmcnt(0)
	v_mov_b32_e32 v12, v6
	v_mov_b32_e32 v13, v7
	global_store_dwordx4 v[14:15], v[10:13], off
	v_mov_b32_e32 v6, v4
	v_mov_b32_e32 v7, v5
	ds_read2st64_b64 v[2:5], v16 offset0:16 offset1:24
	ds_read2st64_b64 v[10:13], v17 offset0:16 offset1:24
	v_add_co_u32_e32 v16, vcc, s2, v14
	s_cselect_b64 s[6:7], -1, 0
	s_nop 0
	v_addc_co_u32_e32 v17, vcc, 0, v15, vcc
	global_store_dwordx4 v[16:17], v[6:9], off offset:-4096
	v_lshl_or_b32 v25, v88, 3, v91
	s_mov_b32 s16, 0
	s_waitcnt lgkmcnt(1)
	v_mov_b32_e32 v6, v2
	v_add_co_u32_e32 v2, vcc, 0x3000, v14
	v_mov_b32_e32 v7, v3
	s_nop 0
	v_addc_co_u32_e32 v3, vcc, 0, v15, vcc
	s_waitcnt lgkmcnt(0)
	v_mov_b32_e32 v8, v10
	v_mov_b32_e32 v9, v11
	;; [unrolled: 1-line block ×4, first 2 shown]
	v_or_b32_e32 v20, 32, v25
	v_and_b32_e32 v18, 56, v92
	s_and_b64 vcc, exec, s[6:7]
	global_store_dwordx4 v[16:17], v[6:9], off
	global_store_dwordx4 v[2:3], v[10:13], off
	s_cbranch_vccz .LBB75_29
; %bb.24:
	s_mov_b32 s17, s16
	s_mov_b32 s18, s16
	;; [unrolled: 1-line block ×3, first 2 shown]
	v_mov_b64_e32 v[6:7], s[16:17]
	v_mov_b64_e32 v[8:9], s[18:19]
	;; [unrolled: 1-line block ×3, first 2 shown]
	v_cmp_gt_i32_e32 vcc, s27, v25
	v_mov_b64_e32 v[4:5], v[8:9]
	s_and_saveexec_b64 s[2:3], vcc
	s_cbranch_execz .LBB75_26
; %bb.25:
	v_lshlrev_b32_e32 v2, 8, v25
	v_mov_b32_e32 v3, 0
	v_lshl_add_u64 v[4:5], s[0:1], 0, v[2:3]
	v_lshlrev_b32_e32 v2, 1, v18
	v_lshl_add_u64 v[10:11], v[4:5], 0, v[2:3]
	global_load_dwordx4 v[6:9], v[10:11], off
	global_load_dwordx4 v[2:5], v[10:11], off offset:128
.LBB75_26:
	s_or_b64 exec, exec, s[2:3]
	s_mov_b32 s17, s16
	s_mov_b32 s18, s16
	s_mov_b32 s19, s16
	v_mov_b64_e32 v[14:15], s[16:17]
	v_mov_b64_e32 v[16:17], s[18:19]
	;; [unrolled: 1-line block ×3, first 2 shown]
	v_cmp_gt_i32_e32 vcc, s27, v20
	v_lshlrev_b32_e32 v21, 7, v20
	v_mov_b64_e32 v[12:13], v[16:17]
	s_and_saveexec_b64 s[2:3], vcc
	s_cbranch_execz .LBB75_28
; %bb.27:
	v_lshlrev_b32_e32 v10, 1, v21
	v_mov_b32_e32 v11, 0
	v_lshl_add_u64 v[12:13], s[0:1], 0, v[10:11]
	v_lshlrev_b32_e32 v10, 1, v18
	v_lshl_add_u64 v[26:27], v[12:13], 0, v[10:11]
	global_load_dwordx4 v[14:17], v[26:27], off
	global_load_dwordx4 v[10:13], v[26:27], off offset:128
.LBB75_28:
	s_or_b64 exec, exec, s[2:3]
	v_lshrrev_b32_e32 v26, 3, v18
	v_lshlrev_b32_e32 v27, 3, v25
	v_or_b32_e32 v26, v27, v26
	v_lshlrev_b32_e32 v26, 4, v26
	v_and_b32_e32 v27, 0x78, v27
	v_xor_b32_e32 v26, v26, v27
	s_branch .LBB75_31
.LBB75_29:
                                        ; implicit-def: $vgpr26
                                        ; implicit-def: $vgpr21
                                        ; implicit-def: $vgpr6_vgpr7_vgpr8_vgpr9
                                        ; implicit-def: $vgpr2_vgpr3_vgpr4_vgpr5
                                        ; implicit-def: $vgpr14_vgpr15_vgpr16_vgpr17
                                        ; implicit-def: $vgpr10_vgpr11_vgpr12_vgpr13
	s_cbranch_execz .LBB75_31
; %bb.30:
	s_waitcnt vmcnt(0)
	v_lshlrev_b32_e32 v2, 1, v18
	v_lshl_or_b32 v21, v25, 8, v2
	s_and_b32 s1, s1, 0xffff
	s_mov_b32 s3, 0x20000
	s_movk_i32 s2, 0x4000
	v_lshl_or_b32 v26, v20, 8, v2
	s_movk_i32 s13, 0x80
	buffer_load_dwordx4 v[6:9], v21, s[0:3], 0 offen
	buffer_load_dwordx4 v[2:5], v21, s[0:3], s13 offen
	;; [unrolled: 1-line block ×4, first 2 shown]
	v_lshrrev_b32_e32 v21, 3, v18
	v_lshlrev_b32_e32 v26, 3, v25
	v_or_b32_e32 v21, v26, v21
	v_lshlrev_b32_e32 v21, 4, v21
	v_and_b32_e32 v26, 0x78, v26
	v_xor_b32_e32 v26, v21, v26
	v_lshlrev_b32_e32 v21, 7, v20
.LBB75_31:
	s_movk_i32 s0, 0x1000
	v_and_or_b32 v20, v21, s0, v26
	s_waitcnt vmcnt(1)
	ds_write_b64 v26, v[6:7] offset:49152
	v_xor_b32_e32 v6, 8, v26
	ds_write_b64 v6, v[8:9] offset:49152
	s_waitcnt vmcnt(0)
	ds_write_b64 v26, v[2:3] offset:57344
	ds_write_b64 v6, v[4:5] offset:57344
	;; [unrolled: 1-line block ×3, first 2 shown]
	v_xor_b32_e32 v2, 8, v20
	ds_write_b64 v2, v[16:17] offset:49152
	ds_write_b64 v20, v[10:11] offset:57344
	;; [unrolled: 1-line block ×3, first 2 shown]
	v_or_b32_e32 v2, v1, v90
	v_lshlrev_b32_e32 v3, 11, v88
	v_lshlrev_b32_e32 v2, 3, v2
	v_and_b32_e32 v6, 0x1000, v3
	v_lshrrev_b32_e32 v3, 5, v45
	s_movk_i32 s0, 0xf8
	v_and_or_b32 v3, v2, s0, v3
	v_lshlrev_b32_e32 v7, 4, v3
	v_and_b32_e32 v8, 0x78, v2
	v_or_b32_e32 v10, 32, v7
	v_lshrrev_b32_e32 v3, 1, v45
	v_xor_b32_e32 v10, v10, v8
	v_xor_b32_e32 v2, v7, v8
	v_and_b32_e32 v9, 8, v3
	v_or_b32_e32 v10, v10, v6
	v_or_b32_e32 v2, v2, v6
	v_xor_b32_e32 v28, v10, v9
	v_or_b32_e32 v10, 64, v7
	v_xor_b32_e32 v27, v2, v9
	v_xor_b32_e32 v10, v10, v8
	s_waitcnt lgkmcnt(0)
	s_barrier
	v_or_b32_e32 v13, v10, v6
	ds_read_b64 v[10:11], v27 offset:49152
	v_lshl_or_b32 v14, v89, 8, v24
	v_lshlrev_b32_e32 v26, 1, v14
	v_add_u32_e32 v12, 0x4000, v26
	ds_read2_b64 v[2:5], v12 offset1:16
	v_or_b32_e32 v7, 0x60, v7
	v_xor_b32_e32 v7, v7, v8
	v_or_b32_e32 v6, v7, v6
	v_xor_b32_e32 v29, v13, v9
	v_xor_b32_e32 v30, v6, v9
	ds_read_b64 v[20:21], v28 offset:49152
	ds_read_b64 v[34:35], v29 offset:49152
	;; [unrolled: 1-line block ×3, first 2 shown]
	s_waitcnt lgkmcnt(3)
	v_mfma_f32_16x16x16_bf16 a[0:3], v[10:11], v[2:3], 0
	ds_read2st64_b64 v[6:9], v26 offset0:36 offset1:40
	s_lshl_b64 s[0:1], s[24:25], 8
	s_add_u32 s4, s4, s0
	v_mfma_f32_16x16x16_bf16 a[4:7], v[10:11], v[4:5], 0
	ds_read2_b64 v[2:5], v12 offset0:32 offset1:48
	s_addc_u32 s5, s5, s1
	s_add_i32 s1, s46, s33
	s_waitcnt lgkmcnt(0)
	v_mfma_f32_16x16x16_bf16 a[8:11], v[10:11], v[2:3], 0
	v_or_b32_e32 v2, 64, v14
	v_lshlrev_b32_e32 v31, 1, v2
	s_add_i32 s0, s12, -1
	v_mfma_f32_16x16x16_bf16 a[12:15], v[10:11], v[4:5], 0
	ds_read2st64_b64 v[2:5], v31 offset0:36 offset1:40
	s_add_i32 s37, s1, s41
	s_add_i32 s1, s48, s47
	v_mfma_f32_16x16x16_bf16 a[0:3], v[20:21], v[6:7], a[0:3]
	v_or_b32_e32 v6, 0x80, v14
	v_lshlrev_b32_e32 v32, 1, v6
	ds_read2st64_b64 v[10:13], v32 offset0:36 offset1:40
	s_waitcnt lgkmcnt(1)
	v_mfma_f32_16x16x16_bf16 a[4:7], v[20:21], v[2:3], a[4:7]
	v_or_b32_e32 v2, 0xc0, v14
	v_lshlrev_b32_e32 v33, 1, v2
	ds_read2st64_b64 v[14:17], v33 offset0:36 offset1:40
	s_add_i32 s35, s1, s49
	s_ashr_i32 s1, s0, 31
	s_mul_i32 s2, s0, s31
	s_mul_hi_u32 s3, s0, s30
	s_add_i32 s2, s3, s2
	s_mul_i32 s1, s1, s30
	s_waitcnt lgkmcnt(1)
	v_mfma_f32_16x16x16_bf16 a[8:11], v[20:21], v[10:11], a[8:11]
	s_add_i32 s1, s2, s1
	s_lshl_b64 s[2:3], s[36:37], 2
	s_add_u32 s10, s10, s2
	s_waitcnt lgkmcnt(0)
	v_mfma_f32_16x16x16_bf16 a[12:15], v[20:21], v[14:15], a[12:15]
	s_addc_u32 s11, s11, s3
	s_lshl_b64 s[2:3], s[34:35], 2
	s_mul_i32 s0, s0, s30
	v_mfma_f32_16x16x16_bf16 a[0:3], v[34:35], v[8:9], a[0:3]
	ds_read_b64 v[2:3], v26 offset:22528
	s_add_u32 s10, s10, s2
	s_addc_u32 s11, s11, s3
	v_mfma_f32_16x16x16_bf16 a[4:7], v[34:35], v[4:5], a[4:7]
	ds_read_b64 v[4:5], v31 offset:22528
	ds_read_b64 v[6:7], v32 offset:22528
	;; [unrolled: 1-line block ×3, first 2 shown]
	s_lshl_b64 s[0:1], s[0:1], 2
	s_add_u32 s0, s10, s0
	v_mfma_f32_16x16x16_bf16 a[8:11], v[34:35], v[12:13], a[8:11]
	s_addc_u32 s1, s11, s1
	s_load_dword s12, s[0:1], 0x0
	s_and_b64 vcc, exec, s[22:23]
	v_mfma_f32_16x16x16_bf16 a[12:15], v[34:35], v[16:17], a[12:15]
	s_waitcnt lgkmcnt(0)
	v_mfma_f32_16x16x16_bf16 a[0:3], v[36:37], v[2:3], a[0:3]
	v_mfma_f32_16x16x16_bf16 a[4:7], v[36:37], v[4:5], a[4:7]
	;; [unrolled: 1-line block ×4, first 2 shown]
	s_cbranch_vccz .LBB75_42
; %bb.32:
	v_lshlrev_b32_e32 v20, 1, v25
	s_and_b64 vcc, exec, s[6:7]
	s_cbranch_vccz .LBB75_43
; %bb.33:
	v_cmp_gt_i32_e32 vcc, s27, v20
	v_mov_b32_e32 v6, 0
	v_mov_b32_e32 v2, 0
	;; [unrolled: 1-line block ×5, first 2 shown]
	s_and_saveexec_b64 s[0:1], vcc
	s_cbranch_execz .LBB75_35
; %bb.34:
	v_mad_i64_i32 v[2:3], s[2:3], s15, v20, 0
	v_lshl_add_u64 v[2:3], v[2:3], 1, s[4:5]
	v_lshlrev_b32_e32 v4, 1, v18
	v_mov_b32_e32 v5, 0
	v_lshl_add_u64 v[2:3], v[2:3], 0, v[4:5]
	global_load_dwordx4 v[2:5], v[2:3], off
.LBB75_35:
	s_or_b64 exec, exec, s[0:1]
	v_or_b32_e32 v21, 1, v20
	v_cmp_gt_i32_e64 s[0:1], s27, v21
	v_mov_b32_e32 v7, 0
	v_mov_b32_e32 v8, 0
	;; [unrolled: 1-line block ×3, first 2 shown]
	s_and_saveexec_b64 s[2:3], s[0:1]
	s_cbranch_execz .LBB75_37
; %bb.36:
	v_mad_i64_i32 v[6:7], s[16:17], s15, v21, 0
	v_lshl_add_u64 v[6:7], v[6:7], 1, s[4:5]
	v_lshlrev_b32_e32 v8, 1, v18
	v_mov_b32_e32 v9, 0
	v_lshl_add_u64 v[6:7], v[6:7], 0, v[8:9]
	global_load_dwordx4 v[6:9], v[6:7], off
.LBB75_37:
	s_or_b64 exec, exec, s[2:3]
	v_mov_b32_e32 v17, 0
	v_mov_b32_e32 v10, 0
	;; [unrolled: 1-line block ×5, first 2 shown]
	s_and_saveexec_b64 s[2:3], vcc
	s_cbranch_execz .LBB75_39
; %bb.38:
	v_mad_i64_i32 v[10:11], s[16:17], s15, v20, 0
	v_lshl_add_u64 v[10:11], v[10:11], 1, s[4:5]
	v_lshlrev_b32_e32 v12, 1, v18
	v_mov_b32_e32 v13, 0
	v_lshl_add_u64 v[10:11], v[10:11], 0, v[12:13]
	global_load_dwordx4 v[10:13], v[10:11], off offset:128
.LBB75_39:
	s_or_b64 exec, exec, s[2:3]
	v_mov_b32_e32 v16, 0
	v_mov_b32_e32 v15, 0
	;; [unrolled: 1-line block ×3, first 2 shown]
	s_and_saveexec_b64 s[2:3], s[0:1]
	s_cbranch_execz .LBB75_41
; %bb.40:
	v_mad_i64_i32 v[14:15], s[0:1], s15, v21, 0
	v_lshl_add_u64 v[14:15], v[14:15], 1, s[4:5]
	v_lshlrev_b32_e32 v16, 1, v18
	v_mov_b32_e32 v17, 0
	v_lshl_add_u64 v[14:15], v[14:15], 0, v[16:17]
	global_load_dwordx4 v[14:17], v[14:15], off offset:128
.LBB75_41:
	s_or_b64 exec, exec, s[2:3]
	s_branch .LBB75_45
.LBB75_42:
                                        ; implicit-def: $vgpr5
                                        ; implicit-def: $vgpr9
                                        ; implicit-def: $vgpr13
                                        ; implicit-def: $vgpr17
	v_lshrrev_b32_e32 v34, 2, v45
	s_branch .LBB75_46
.LBB75_43:
                                        ; implicit-def: $vgpr5
                                        ; implicit-def: $vgpr9
                                        ; implicit-def: $vgpr13
                                        ; implicit-def: $vgpr17
	s_cbranch_execz .LBB75_45
; %bb.44:
	s_waitcnt vmcnt(0)
	v_mad_u64_u32 v[2:3], s[0:1], v20, s15, v[18:19]
	v_lshlrev_b32_e32 v20, 1, v2
	s_lshl_b32 s2, s15, 7
	s_and_b32 s1, s5, 0xffff
	s_mov_b32 s3, 0x20000
	s_mov_b32 s0, s4
	v_add_lshl_u32 v21, v2, s15, 1
	s_movk_i32 s13, 0x80
	buffer_load_dwordx4 v[2:5], v20, s[0:3], 0 offen
	buffer_load_dwordx4 v[10:13], v20, s[0:3], s13 offen
	buffer_load_dwordx4 v[6:9], v21, s[0:3], 0 offen
	buffer_load_dwordx4 v[14:17], v21, s[0:3], s13 offen
.LBB75_45:
	v_lshrrev_b32_e32 v34, 2, v45
	s_cbranch_execnz .LBB75_58
.LBB75_46:
	s_and_b64 vcc, exec, s[6:7]
	s_cbranch_vccz .LBB75_56
; %bb.47:
	s_waitcnt vmcnt(0)
	v_lshlrev_b32_e32 v7, 1, v25
	v_cmp_gt_i32_e32 vcc, s27, v7
	v_mov_b32_e32 v6, 0
	v_lshlrev_b32_e32 v14, 9, v25
	v_mov_b32_e32 v2, 0
	v_mov_b32_e32 v3, 0
	;; [unrolled: 1-line block ×4, first 2 shown]
	s_and_saveexec_b64 s[0:1], vcc
	s_cbranch_execz .LBB75_49
; %bb.48:
	v_mov_b32_e32 v15, 0
	v_lshl_add_u64 v[2:3], s[4:5], 0, v[14:15]
	v_lshlrev_b32_e32 v4, 1, v18
	v_mov_b32_e32 v5, v15
	v_lshl_add_u64 v[2:3], v[2:3], 0, v[4:5]
	global_load_dwordx4 v[2:5], v[2:3], off
.LBB75_49:
	s_or_b64 exec, exec, s[0:1]
	v_or_b32_e32 v7, 1, v7
	v_cmp_gt_i32_e64 s[0:1], s27, v7
	v_lshlrev_b32_e32 v20, 8, v7
	v_mov_b32_e32 v7, 0
	v_mov_b32_e32 v8, 0
	;; [unrolled: 1-line block ×3, first 2 shown]
	s_and_saveexec_b64 s[2:3], s[0:1]
	s_cbranch_execz .LBB75_51
; %bb.50:
	v_mov_b32_e32 v21, 0
	v_lshl_add_u64 v[6:7], s[4:5], 0, v[20:21]
	v_lshlrev_b32_e32 v8, 1, v18
	v_mov_b32_e32 v9, v21
	v_lshl_add_u64 v[6:7], v[6:7], 0, v[8:9]
	global_load_dwordx4 v[6:9], v[6:7], off
.LBB75_51:
	s_or_b64 exec, exec, s[2:3]
	v_mov_b32_e32 v17, 0
	v_mov_b32_e32 v10, 0
	;; [unrolled: 1-line block ×5, first 2 shown]
	s_and_saveexec_b64 s[2:3], vcc
	s_cbranch_execz .LBB75_53
; %bb.52:
	v_mov_b32_e32 v15, 0
	v_lshl_add_u64 v[10:11], s[4:5], 0, v[14:15]
	v_lshlrev_b32_e32 v14, 1, v18
	v_lshl_add_u64 v[10:11], v[10:11], 0, v[14:15]
	global_load_dwordx4 v[10:13], v[10:11], off offset:128
.LBB75_53:
	s_or_b64 exec, exec, s[2:3]
	v_mov_b32_e32 v16, 0
	v_mov_b32_e32 v15, 0
	;; [unrolled: 1-line block ×3, first 2 shown]
	s_and_saveexec_b64 s[2:3], s[0:1]
	s_cbranch_execz .LBB75_55
; %bb.54:
	v_mov_b32_e32 v21, 0
	v_lshl_add_u64 v[14:15], s[4:5], 0, v[20:21]
	v_lshlrev_b32_e32 v20, 1, v18
	v_lshl_add_u64 v[14:15], v[14:15], 0, v[20:21]
	global_load_dwordx4 v[14:17], v[14:15], off offset:128
.LBB75_55:
	s_or_b64 exec, exec, s[2:3]
	s_branch .LBB75_58
.LBB75_56:
                                        ; implicit-def: $vgpr5
                                        ; implicit-def: $vgpr9
                                        ; implicit-def: $vgpr13
                                        ; implicit-def: $vgpr17
	s_cbranch_execz .LBB75_58
; %bb.57:
	s_waitcnt vmcnt(0)
	v_lshlrev_b32_e32 v2, 1, v18
	v_lshl_or_b32 v18, v25, 9, v2
	s_and_b32 s5, s5, 0xffff
	s_mov_b32 s7, 0x20000
	s_movk_i32 s6, 0x4000
	s_movk_i32 s0, 0x80
	buffer_load_dwordx4 v[2:5], v18, s[4:7], 0 offen
	buffer_load_dwordx4 v[6:9], v18, s[4:7], 0 offen offset:256
	buffer_load_dwordx4 v[10:13], v18, s[4:7], s0 offen
	buffer_load_dwordx4 v[14:17], v18, s[4:7], s0 offen offset:256
.LBB75_58:
	ds_read_b64 v[20:21], v27 offset:57344
	v_add_u32_e32 v18, 0x6000, v26
	ds_read2_b64 v[36:39], v18 offset1:16
	ds_read_b64 v[44:45], v28 offset:57344
	ds_read_b64 v[28:29], v29 offset:57344
	;; [unrolled: 1-line block ×3, first 2 shown]
	ds_read2st64_b64 v[40:43], v26 offset0:52 offset1:56
	s_mov_b32 s0, 0x1000504
	s_mov_b32 s1, 0x3020706
	s_waitcnt lgkmcnt(4)
	v_mfma_f32_16x16x16_bf16 a[0:3], v[20:21], v[36:37], a[0:3]
	v_mfma_f32_16x16x16_bf16 a[4:7], v[20:21], v[38:39], a[4:7]
	ds_read2_b64 v[36:39], v18 offset0:32 offset1:48
	v_and_b32_e32 v18, 6, v0
	v_xor_b32_e32 v25, v25, v18
	s_waitcnt lgkmcnt(0)
	v_mfma_f32_16x16x16_bf16 a[8:11], v[20:21], v[36:37], a[8:11]
	v_lshlrev_b32_e32 v25, 2, v25
	v_and_b32_e32 v0, 1, v0
	v_xor_b32_e32 v35, 0x440, v25
	v_mfma_f32_16x16x16_bf16 a[12:15], v[20:21], v[38:39], a[12:15]
	ds_read2st64_b64 v[36:39], v31 offset0:52 offset1:56
	ds_read2st64_b64 v[48:51], v32 offset0:52 offset1:56
	;; [unrolled: 1-line block ×3, first 2 shown]
	v_cmp_eq_u32_e32 vcc, 0, v0
	ds_read_b64 v[20:21], v26 offset:30720
	ds_read_b64 v[26:27], v31 offset:30720
	;; [unrolled: 1-line block ×4, first 2 shown]
	v_mfma_f32_16x16x16_bf16 a[0:3], v[44:45], v[40:41], a[0:3]
	v_cndmask_b32_e32 v0, v35, v25, vcc
	v_lshl_or_b32 v0, v18, 10, v0
	s_waitcnt vmcnt(0)
	v_perm_b32 v18, v2, v6, s0
	s_waitcnt lgkmcnt(6)
	v_mfma_f32_16x16x16_bf16 a[4:7], v[44:45], v[36:37], a[4:7]
	v_perm_b32 v25, v10, v14, s0
	ds_write2st64_b32 v0, v18, v25 offset0:128 offset1:160
	v_xor_b32_e32 v18, 8, v0
	s_waitcnt lgkmcnt(6)
	v_mfma_f32_16x16x16_bf16 a[8:11], v[44:45], v[48:49], a[8:11]
	v_perm_b32 v2, v2, v6, s1
	v_perm_b32 v6, v10, v14, s1
	v_add_u32_e32 v10, 0x80, v18
	s_waitcnt lgkmcnt(5)
	v_mfma_f32_16x16x16_bf16 a[12:15], v[44:45], v[52:53], a[12:15]
	ds_write2st64_b32 v10, v2, v6 offset0:128 offset1:160
	v_xor_b32_e32 v2, 16, v0
	v_perm_b32 v6, v3, v7, s0
	v_mfma_f32_16x16x16_bf16 a[0:3], v[28:29], v[42:43], a[0:3]
	v_perm_b32 v10, v11, v15, s0
	ds_write2st64_b32 v2, v6, v10 offset0:129 offset1:161
	v_xor_b32_e32 v2, 24, v0
	v_mfma_f32_16x16x16_bf16 a[4:7], v[28:29], v[38:39], a[4:7]
	v_perm_b32 v3, v3, v7, s1
	v_perm_b32 v6, v11, v15, s1
	v_add_u32_e32 v2, 0x80, v2
	v_mfma_f32_16x16x16_bf16 a[16:19], v[28:29], v[50:51], a[8:11]
	ds_write2st64_b32 v2, v3, v6 offset0:129 offset1:161
	v_xor_b32_e32 v2, 32, v0
	v_perm_b32 v3, v4, v8, s0
	v_mfma_f32_16x16x16_bf16 a[20:23], v[28:29], v[54:55], a[12:15]
	v_perm_b32 v6, v12, v16, s0
	ds_write2st64_b32 v2, v3, v6 offset0:130 offset1:162
	v_xor_b32_e32 v2, 40, v0
	s_waitcnt lgkmcnt(8)
	v_mfma_f32_16x16x16_bf16 a[12:15], v[56:57], v[20:21], a[0:3]
	v_perm_b32 v3, v4, v8, s1
	v_perm_b32 v4, v12, v16, s1
	v_add_u32_e32 v2, 0x80, v2
	s_waitcnt lgkmcnt(7)
	v_mfma_f32_16x16x16_bf16 a[8:11], v[56:57], v[26:27], a[4:7]
	ds_write2st64_b32 v2, v3, v4 offset0:130 offset1:162
	v_xor_b32_e32 v2, 48, v0
	v_perm_b32 v3, v5, v9, s0
	s_waitcnt lgkmcnt(7)
	v_mfma_f32_16x16x16_bf16 a[4:7], v[56:57], v[30:31], a[16:19]
	v_perm_b32 v4, v13, v17, s0
	v_xor_b32_e32 v0, 56, v0
	v_and_or_b32 v21, v34, 12, v1
	s_waitcnt lgkmcnt(6)
	v_mfma_f32_16x16x16_bf16 a[0:3], v[56:57], v[32:33], a[20:23]
	ds_write2st64_b32 v2, v3, v4 offset0:131 offset1:163
	v_perm_b32 v2, v5, v9, s1
	v_perm_b32 v3, v13, v17, s1
	v_add_u32_e32 v0, 0x80, v0
	v_cmp_gt_i32_e32 vcc, s27, v21
	v_mov_b32_e32 v16, 0
	v_mov_b32_e32 v18, 0
	ds_write2st64_b32 v0, v2, v3 offset0:131 offset1:163
	s_and_saveexec_b64 s[0:1], vcc
	s_cbranch_execz .LBB75_60
; %bb.59:
	v_add_u32_e32 v0, s26, v21
	v_ashrrev_i32_e32 v1, 31, v0
	v_mul_lo_u32 v2, v1, s30
	v_mul_lo_u32 v3, v0, s31
	v_mad_u64_u32 v[0:1], s[2:3], v0, s30, 0
	v_add3_u32 v1, v1, v3, v2
	v_lshl_add_u64 v[0:1], v[0:1], 2, s[10:11]
	global_load_dword v0, v[0:1], off
	s_waitcnt vmcnt(0)
	v_sub_f32_e32 v0, s12, v0
	v_mul_f32_e32 v0, 0x3fb8aa3b, v0
	v_exp_f32_e32 v18, v0
.LBB75_60:
	s_or_b64 exec, exec, s[0:1]
	v_or_b32_e32 v10, 1, v21
	v_cmp_gt_i32_e64 s[0:1], s27, v10
	s_and_saveexec_b64 s[2:3], s[0:1]
	s_cbranch_execz .LBB75_62
; %bb.61:
	v_add_u32_e32 v0, s26, v10
	v_ashrrev_i32_e32 v1, 31, v0
	v_mul_lo_u32 v2, v1, s30
	v_mul_lo_u32 v3, v0, s31
	v_mad_u64_u32 v[0:1], s[4:5], v0, s30, 0
	v_add3_u32 v1, v1, v3, v2
	v_lshl_add_u64 v[0:1], v[0:1], 2, s[10:11]
	global_load_dword v0, v[0:1], off
	s_waitcnt vmcnt(0)
	v_sub_f32_e32 v0, s12, v0
	v_mul_f32_e32 v0, 0x3fb8aa3b, v0
	v_exp_f32_e32 v16, v0
.LBB75_62:
	s_or_b64 exec, exec, s[2:3]
	v_or_b32_e32 v12, 2, v21
	v_cmp_gt_i32_e64 s[2:3], s27, v12
	v_mov_b32_e32 v17, 0
	v_mov_b32_e32 v20, 0
	s_and_saveexec_b64 s[4:5], s[2:3]
	s_cbranch_execz .LBB75_64
; %bb.63:
	v_add_u32_e32 v0, s26, v12
	v_ashrrev_i32_e32 v1, 31, v0
	v_mul_lo_u32 v2, v1, s30
	v_mul_lo_u32 v3, v0, s31
	v_mad_u64_u32 v[0:1], s[6:7], v0, s30, 0
	v_add3_u32 v1, v1, v3, v2
	v_lshl_add_u64 v[0:1], v[0:1], 2, s[10:11]
	global_load_dword v0, v[0:1], off
	s_waitcnt vmcnt(0)
	v_sub_f32_e32 v0, s12, v0
	v_mul_f32_e32 v0, 0x3fb8aa3b, v0
	v_exp_f32_e32 v20, v0
.LBB75_64:
	s_or_b64 exec, exec, s[4:5]
	v_or_b32_e32 v14, 3, v21
	v_cmp_gt_i32_e64 s[4:5], s27, v14
	s_and_saveexec_b64 s[6:7], s[4:5]
	s_cbranch_execz .LBB75_66
; %bb.65:
	v_add_u32_e32 v0, s26, v14
	v_ashrrev_i32_e32 v1, 31, v0
	v_mul_lo_u32 v2, v1, s30
	v_mul_lo_u32 v3, v0, s31
	v_mad_u64_u32 v[0:1], s[14:15], v0, s30, 0
	v_add3_u32 v1, v1, v3, v2
	v_lshl_add_u64 v[0:1], v[0:1], 2, s[10:11]
	global_load_dword v0, v[0:1], off
	s_waitcnt vmcnt(0)
	v_sub_f32_e32 v0, s12, v0
	v_mul_f32_e32 v0, 0x3fb8aa3b, v0
	v_exp_f32_e32 v17, v0
.LBB75_66:
	s_or_b64 exec, exec, s[6:7]
	s_add_u32 s6, s8, s20
	s_addc_u32 s7, s9, s21
	s_add_u32 s8, s28, s20
	v_ashrrev_i32_e32 v47, 31, v46
	v_accvgpr_read_b32 v0, a12
	s_addc_u32 s9, s29, s21
	v_lshlrev_b64 v[4:5], 1, v[46:47]
	v_accvgpr_read_b32 v1, a13
	v_accvgpr_read_b32 v2, a14
	;; [unrolled: 1-line block ×3, first 2 shown]
	v_lshl_add_u64 v[6:7], s[6:7], 0, v[4:5]
	v_lshl_add_u64 v[4:5], s[8:9], 0, v[4:5]
	v_mov_b32_e32 v11, 0
	v_lshlrev_b32_e32 v8, 8, v21
	v_mov_b32_e32 v9, 0
	s_and_saveexec_b64 s[6:7], vcc
	s_cbranch_execz .LBB75_68
; %bb.67:
	v_mov_b32_e32 v9, 0
	v_lshl_add_u64 v[26:27], v[6:7], 0, v[8:9]
	global_load_ushort v13, v[26:27], off
	v_lshl_add_u64 v[26:27], v[4:5], 0, v[8:9]
	s_waitcnt vmcnt(0)
	v_lshlrev_b32_e32 v9, 16, v13
	v_sub_f32_e32 v0, v9, v0
	global_store_short_d16_hi v[26:27], v0, off
	v_mul_f32_e32 v0, v18, v0
	v_lshrrev_b32_e32 v9, 16, v0
.LBB75_68:
	s_or_b64 exec, exec, s[6:7]
	v_lshlrev_b32_e32 v10, 8, v10
	s_and_saveexec_b64 s[6:7], s[0:1]
	s_cbranch_execz .LBB75_70
; %bb.69:
	v_mov_b32_e32 v11, 0
	v_lshl_add_u64 v[26:27], v[6:7], 0, v[10:11]
	global_load_ushort v0, v[26:27], off
	v_lshl_add_u64 v[26:27], v[4:5], 0, v[10:11]
	s_waitcnt vmcnt(0)
	v_lshlrev_b32_e32 v0, 16, v0
	v_sub_f32_e32 v0, v0, v1
	global_store_short_d16_hi v[26:27], v0, off
	v_mul_f32_e32 v0, v16, v0
	v_lshrrev_b32_e32 v11, 16, v0
.LBB75_70:
	s_or_b64 exec, exec, s[6:7]
	v_mov_b32_e32 v15, 0
	v_lshlrev_b32_e32 v12, 8, v12
	v_mov_b32_e32 v13, 0
	s_and_saveexec_b64 s[6:7], s[2:3]
	s_cbranch_execz .LBB75_72
; %bb.71:
	v_mov_b32_e32 v13, 0
	v_lshl_add_u64 v[0:1], v[6:7], 0, v[12:13]
	global_load_ushort v25, v[0:1], off
	v_lshl_add_u64 v[0:1], v[4:5], 0, v[12:13]
	s_waitcnt vmcnt(0)
	v_lshlrev_b32_e32 v13, 16, v25
	v_sub_f32_e32 v2, v13, v2
	global_store_short_d16_hi v[0:1], v2, off
	v_mul_f32_e32 v0, v20, v2
	v_lshrrev_b32_e32 v13, 16, v0
.LBB75_72:
	s_or_b64 exec, exec, s[6:7]
	v_lshlrev_b32_e32 v14, 8, v14
	s_and_saveexec_b64 s[6:7], s[4:5]
	s_cbranch_execz .LBB75_74
; %bb.73:
	v_mov_b32_e32 v15, 0
	v_lshl_add_u64 v[0:1], v[6:7], 0, v[14:15]
	global_load_ushort v2, v[0:1], off
	v_lshl_add_u64 v[0:1], v[4:5], 0, v[14:15]
	s_waitcnt vmcnt(0)
	v_lshlrev_b32_e32 v2, 16, v2
	v_sub_f32_e32 v2, v2, v3
	global_store_short_d16_hi v[0:1], v2, off
	v_mul_f32_e32 v0, v17, v2
	v_lshrrev_b32_e32 v15, 16, v0
.LBB75_74:
	s_or_b64 exec, exec, s[6:7]
	v_lshlrev_b32_e32 v21, 6, v21
	s_mov_b32 s6, 0x5040100
	v_perm_b32 v26, v11, v9, s6
	v_or_b32_e32 v9, v21, v24
	v_accvgpr_read_b32 v0, a8
	v_perm_b32 v27, v15, v13, s6
	v_lshlrev_b32_e32 v9, 1, v9
	v_accvgpr_read_b32 v1, a9
	v_accvgpr_read_b32 v2, a10
	;; [unrolled: 1-line block ×3, first 2 shown]
	ds_write_b64 v9, v[26:27] offset:24576
	v_mov_b32_e32 v11, 0
	v_mov_b32_e32 v9, 0
	s_and_saveexec_b64 s[6:7], vcc
	s_cbranch_execz .LBB75_76
; %bb.75:
	v_mov_b32_e32 v9, 0
	v_lshl_add_u64 v[24:25], v[6:7], 0, v[8:9]
	global_load_ushort v13, v[24:25], off offset:32
	v_lshl_add_u64 v[24:25], v[4:5], 0, v[8:9]
	s_waitcnt vmcnt(0)
	v_lshlrev_b32_e32 v9, 16, v13
	v_sub_f32_e32 v0, v9, v0
	global_store_short_d16_hi v[24:25], v0, off offset:32
	v_mul_f32_e32 v0, v18, v0
	v_lshrrev_b32_e32 v9, 16, v0
.LBB75_76:
	s_or_b64 exec, exec, s[6:7]
	s_and_saveexec_b64 s[6:7], s[0:1]
	s_cbranch_execz .LBB75_78
; %bb.77:
	v_mov_b32_e32 v11, 0
	v_lshl_add_u64 v[24:25], v[6:7], 0, v[10:11]
	global_load_ushort v0, v[24:25], off offset:32
	v_lshl_add_u64 v[24:25], v[4:5], 0, v[10:11]
	s_waitcnt vmcnt(0)
	v_lshlrev_b32_e32 v0, 16, v0
	v_sub_f32_e32 v0, v0, v1
	global_store_short_d16_hi v[24:25], v0, off offset:32
	v_mul_f32_e32 v0, v16, v0
	v_lshrrev_b32_e32 v11, 16, v0
.LBB75_78:
	s_or_b64 exec, exec, s[6:7]
	v_mov_b32_e32 v15, 0
	v_mov_b32_e32 v13, 0
	s_and_saveexec_b64 s[6:7], s[2:3]
	s_cbranch_execz .LBB75_80
; %bb.79:
	v_mov_b32_e32 v13, 0
	v_lshl_add_u64 v[0:1], v[6:7], 0, v[12:13]
	global_load_ushort v24, v[0:1], off offset:32
	v_lshl_add_u64 v[0:1], v[4:5], 0, v[12:13]
	s_waitcnt vmcnt(0)
	v_lshlrev_b32_e32 v13, 16, v24
	v_sub_f32_e32 v2, v13, v2
	global_store_short_d16_hi v[0:1], v2, off offset:32
	v_mul_f32_e32 v0, v20, v2
	v_lshrrev_b32_e32 v13, 16, v0
.LBB75_80:
	s_or_b64 exec, exec, s[6:7]
	s_and_saveexec_b64 s[6:7], s[4:5]
	s_cbranch_execz .LBB75_82
; %bb.81:
	v_mov_b32_e32 v15, 0
	v_lshl_add_u64 v[0:1], v[6:7], 0, v[14:15]
	global_load_ushort v2, v[0:1], off offset:32
	v_lshl_add_u64 v[0:1], v[4:5], 0, v[14:15]
	s_waitcnt vmcnt(0)
	v_lshlrev_b32_e32 v2, 16, v2
	v_sub_f32_e32 v2, v2, v3
	global_store_short_d16_hi v[0:1], v2, off offset:32
	v_mul_f32_e32 v0, v17, v2
	v_lshrrev_b32_e32 v15, 16, v0
.LBB75_82:
	s_or_b64 exec, exec, s[6:7]
	s_mov_b32 s6, 0x5040100
	v_perm_b32 v24, v11, v9, s6
	v_or_b32_e32 v9, v21, v23
	v_accvgpr_read_b32 v0, a4
	v_perm_b32 v25, v15, v13, s6
	v_lshlrev_b32_e32 v9, 1, v9
	v_accvgpr_read_b32 v1, a5
	v_accvgpr_read_b32 v2, a6
	;; [unrolled: 1-line block ×3, first 2 shown]
	ds_write_b64 v9, v[24:25] offset:24576
	v_mov_b32_e32 v11, 0
	v_mov_b32_e32 v9, 0
	s_and_saveexec_b64 s[6:7], vcc
	s_cbranch_execz .LBB75_84
; %bb.83:
	v_mov_b32_e32 v9, 0
	v_lshl_add_u64 v[24:25], v[6:7], 0, v[8:9]
	global_load_ushort v13, v[24:25], off offset:64
	v_lshl_add_u64 v[24:25], v[4:5], 0, v[8:9]
	s_waitcnt vmcnt(0)
	v_lshlrev_b32_e32 v9, 16, v13
	v_sub_f32_e32 v0, v9, v0
	global_store_short_d16_hi v[24:25], v0, off offset:64
	v_mul_f32_e32 v0, v18, v0
	v_lshrrev_b32_e32 v9, 16, v0
.LBB75_84:
	s_or_b64 exec, exec, s[6:7]
	s_and_saveexec_b64 s[6:7], s[0:1]
	s_cbranch_execz .LBB75_86
; %bb.85:
	v_mov_b32_e32 v11, 0
	v_lshl_add_u64 v[24:25], v[6:7], 0, v[10:11]
	global_load_ushort v0, v[24:25], off offset:64
	v_lshl_add_u64 v[24:25], v[4:5], 0, v[10:11]
	s_waitcnt vmcnt(0)
	v_lshlrev_b32_e32 v0, 16, v0
	v_sub_f32_e32 v0, v0, v1
	global_store_short_d16_hi v[24:25], v0, off offset:64
	v_mul_f32_e32 v0, v16, v0
	v_lshrrev_b32_e32 v11, 16, v0
.LBB75_86:
	s_or_b64 exec, exec, s[6:7]
	v_mov_b32_e32 v15, 0
	v_mov_b32_e32 v13, 0
	s_and_saveexec_b64 s[6:7], s[2:3]
	s_cbranch_execz .LBB75_88
; %bb.87:
	v_mov_b32_e32 v13, 0
	v_lshl_add_u64 v[0:1], v[6:7], 0, v[12:13]
	global_load_ushort v23, v[0:1], off offset:64
	v_lshl_add_u64 v[0:1], v[4:5], 0, v[12:13]
	s_waitcnt vmcnt(0)
	v_lshlrev_b32_e32 v13, 16, v23
	v_sub_f32_e32 v2, v13, v2
	global_store_short_d16_hi v[0:1], v2, off offset:64
	v_mul_f32_e32 v0, v20, v2
	v_lshrrev_b32_e32 v13, 16, v0
.LBB75_88:
	s_or_b64 exec, exec, s[6:7]
	s_and_saveexec_b64 s[6:7], s[4:5]
	s_cbranch_execz .LBB75_90
; %bb.89:
	v_mov_b32_e32 v15, 0
	v_lshl_add_u64 v[0:1], v[6:7], 0, v[14:15]
	global_load_ushort v2, v[0:1], off offset:64
	v_lshl_add_u64 v[0:1], v[4:5], 0, v[14:15]
	s_waitcnt vmcnt(0)
	v_lshlrev_b32_e32 v2, 16, v2
	v_sub_f32_e32 v2, v2, v3
	global_store_short_d16_hi v[0:1], v2, off offset:64
	v_mul_f32_e32 v0, v17, v2
	v_lshrrev_b32_e32 v15, 16, v0
.LBB75_90:
	s_or_b64 exec, exec, s[6:7]
	s_mov_b32 s6, 0x5040100
	v_perm_b32 v24, v11, v9, s6
	v_or_b32_e32 v9, v21, v22
	v_accvgpr_read_b32 v0, a0
	v_perm_b32 v25, v15, v13, s6
	v_lshlrev_b32_e32 v9, 1, v9
	v_accvgpr_read_b32 v1, a1
	v_accvgpr_read_b32 v2, a2
	;; [unrolled: 1-line block ×3, first 2 shown]
	ds_write_b64 v9, v[24:25] offset:24576
	v_mov_b32_e32 v11, 0
	v_mov_b32_e32 v9, 0
	s_and_saveexec_b64 s[6:7], vcc
	s_cbranch_execz .LBB75_92
; %bb.91:
	v_mov_b32_e32 v9, 0
	v_lshl_add_u64 v[22:23], v[6:7], 0, v[8:9]
	global_load_ushort v13, v[22:23], off offset:96
	v_lshl_add_u64 v[8:9], v[4:5], 0, v[8:9]
	s_waitcnt vmcnt(0)
	v_lshlrev_b32_e32 v13, 16, v13
	v_sub_f32_e32 v0, v13, v0
	global_store_short_d16_hi v[8:9], v0, off offset:96
	v_mul_f32_e32 v0, v18, v0
	v_lshrrev_b32_e32 v9, 16, v0
.LBB75_92:
	s_or_b64 exec, exec, s[6:7]
	s_and_saveexec_b64 s[6:7], s[0:1]
	s_cbranch_execz .LBB75_94
; %bb.93:
	v_mov_b32_e32 v11, 0
	v_lshl_add_u64 v[22:23], v[6:7], 0, v[10:11]
	global_load_ushort v0, v[22:23], off offset:96
	v_lshl_add_u64 v[10:11], v[4:5], 0, v[10:11]
	s_waitcnt vmcnt(0)
	v_lshlrev_b32_e32 v0, 16, v0
	v_sub_f32_e32 v0, v0, v1
	global_store_short_d16_hi v[10:11], v0, off offset:96
	v_mul_f32_e32 v0, v16, v0
	v_lshrrev_b32_e32 v11, 16, v0
.LBB75_94:
	s_or_b64 exec, exec, s[6:7]
	v_mov_b32_e32 v0, 0
	v_mov_b32_e32 v1, 0
	s_and_saveexec_b64 s[0:1], s[2:3]
	s_cbranch_execz .LBB75_96
; %bb.95:
	v_mov_b32_e32 v13, 0
	v_lshl_add_u64 v[22:23], v[6:7], 0, v[12:13]
	global_load_ushort v1, v[22:23], off offset:96
	v_lshl_add_u64 v[12:13], v[4:5], 0, v[12:13]
	s_waitcnt vmcnt(0)
	v_lshlrev_b32_e32 v1, 16, v1
	v_sub_f32_e32 v1, v1, v2
	global_store_short_d16_hi v[12:13], v1, off offset:96
	v_mul_f32_e32 v1, v20, v1
	v_lshrrev_b32_e32 v1, 16, v1
.LBB75_96:
	s_or_b64 exec, exec, s[0:1]
	s_and_saveexec_b64 s[0:1], s[4:5]
	s_cbranch_execz .LBB75_98
; %bb.97:
	v_mov_b32_e32 v15, 0
	v_lshl_add_u64 v[6:7], v[6:7], 0, v[14:15]
	global_load_ushort v0, v[6:7], off offset:96
	v_lshl_add_u64 v[4:5], v[4:5], 0, v[14:15]
	s_waitcnt vmcnt(0)
	v_lshlrev_b32_e32 v0, 16, v0
	v_sub_f32_e32 v0, v0, v3
	global_store_short_d16_hi v[4:5], v0, off offset:96
	v_mul_f32_e32 v0, v17, v0
	v_lshrrev_b32_e32 v0, 16, v0
.LBB75_98:
	s_or_b64 exec, exec, s[0:1]
	s_mov_b32 s0, 0x5040100
	v_or_b32_e32 v2, v21, v19
	v_perm_b32 v1, v0, v1, s0
	v_perm_b32 v0, v11, v9, s0
	v_lshlrev_b32_e32 v2, 1, v2
	ds_write_b64 v2, v[0:1] offset:24576
	s_waitcnt lgkmcnt(0)
	s_barrier
.LBB75_99:
	s_endpgm
	.section	.rodata,"a",@progbits
	.p2align	6, 0x0
	.amdhsa_kernel _ZN12_GLOBAL__N_139chunk_gated_delta_rule_fwd_h_hip_kernelILi64ELb1ELb0ELb1ELb0ELb0ELb1ELb1ELb1EEEvPK12hip_bfloat16S3_S3_PKfS5_PKvPS1_S8_PvPKiSB_iiiiilll
		.amdhsa_group_segment_fixed_size 65536
		.amdhsa_private_segment_fixed_size 0
		.amdhsa_kernarg_size 136
		.amdhsa_user_sgpr_count 2
		.amdhsa_user_sgpr_dispatch_ptr 0
		.amdhsa_user_sgpr_queue_ptr 0
		.amdhsa_user_sgpr_kernarg_segment_ptr 1
		.amdhsa_user_sgpr_dispatch_id 0
		.amdhsa_user_sgpr_kernarg_preload_length 0
		.amdhsa_user_sgpr_kernarg_preload_offset 0
		.amdhsa_user_sgpr_private_segment_size 0
		.amdhsa_uses_dynamic_stack 0
		.amdhsa_enable_private_segment 0
		.amdhsa_system_sgpr_workgroup_id_x 1
		.amdhsa_system_sgpr_workgroup_id_y 1
		.amdhsa_system_sgpr_workgroup_id_z 0
		.amdhsa_system_sgpr_workgroup_info 0
		.amdhsa_system_vgpr_workitem_id 0
		.amdhsa_next_free_vgpr 232
		.amdhsa_next_free_sgpr 71
		.amdhsa_accum_offset 192
		.amdhsa_reserve_vcc 1
		.amdhsa_float_round_mode_32 0
		.amdhsa_float_round_mode_16_64 0
		.amdhsa_float_denorm_mode_32 3
		.amdhsa_float_denorm_mode_16_64 3
		.amdhsa_dx10_clamp 1
		.amdhsa_ieee_mode 1
		.amdhsa_fp16_overflow 0
		.amdhsa_tg_split 0
		.amdhsa_exception_fp_ieee_invalid_op 0
		.amdhsa_exception_fp_denorm_src 0
		.amdhsa_exception_fp_ieee_div_zero 0
		.amdhsa_exception_fp_ieee_overflow 0
		.amdhsa_exception_fp_ieee_underflow 0
		.amdhsa_exception_fp_ieee_inexact 0
		.amdhsa_exception_int_div_zero 0
	.end_amdhsa_kernel
	.section	.text._ZN12_GLOBAL__N_139chunk_gated_delta_rule_fwd_h_hip_kernelILi64ELb1ELb0ELb1ELb0ELb0ELb1ELb1ELb1EEEvPK12hip_bfloat16S3_S3_PKfS5_PKvPS1_S8_PvPKiSB_iiiiilll,"axG",@progbits,_ZN12_GLOBAL__N_139chunk_gated_delta_rule_fwd_h_hip_kernelILi64ELb1ELb0ELb1ELb0ELb0ELb1ELb1ELb1EEEvPK12hip_bfloat16S3_S3_PKfS5_PKvPS1_S8_PvPKiSB_iiiiilll,comdat
.Lfunc_end75:
	.size	_ZN12_GLOBAL__N_139chunk_gated_delta_rule_fwd_h_hip_kernelILi64ELb1ELb0ELb1ELb0ELb0ELb1ELb1ELb1EEEvPK12hip_bfloat16S3_S3_PKfS5_PKvPS1_S8_PvPKiSB_iiiiilll, .Lfunc_end75-_ZN12_GLOBAL__N_139chunk_gated_delta_rule_fwd_h_hip_kernelILi64ELb1ELb0ELb1ELb0ELb0ELb1ELb1ELb1EEEvPK12hip_bfloat16S3_S3_PKfS5_PKvPS1_S8_PvPKiSB_iiiiilll
                                        ; -- End function
	.section	.AMDGPU.csdata,"",@progbits
; Kernel info:
; codeLenInByte = 11728
; NumSgprs: 77
; NumVgprs: 192
; NumAgprs: 40
; TotalNumVgprs: 232
; ScratchSize: 0
; MemoryBound: 0
; FloatMode: 240
; IeeeMode: 1
; LDSByteSize: 65536 bytes/workgroup (compile time only)
; SGPRBlocks: 9
; VGPRBlocks: 28
; NumSGPRsForWavesPerEU: 77
; NumVGPRsForWavesPerEU: 232
; AccumOffset: 192
; Occupancy: 1
; WaveLimiterHint : 1
; COMPUTE_PGM_RSRC2:SCRATCH_EN: 0
; COMPUTE_PGM_RSRC2:USER_SGPR: 2
; COMPUTE_PGM_RSRC2:TRAP_HANDLER: 0
; COMPUTE_PGM_RSRC2:TGID_X_EN: 1
; COMPUTE_PGM_RSRC2:TGID_Y_EN: 1
; COMPUTE_PGM_RSRC2:TGID_Z_EN: 0
; COMPUTE_PGM_RSRC2:TIDIG_COMP_CNT: 0
; COMPUTE_PGM_RSRC3_GFX90A:ACCUM_OFFSET: 47
; COMPUTE_PGM_RSRC3_GFX90A:TG_SPLIT: 0
	.section	.text._ZN12_GLOBAL__N_139chunk_gated_delta_rule_fwd_h_hip_kernelILi64ELb1ELb0ELb0ELb0ELb0ELb1ELb1ELb1EEEvPK12hip_bfloat16S3_S3_PKfS5_PKvPS1_S8_PvPKiSB_iiiiilll,"axG",@progbits,_ZN12_GLOBAL__N_139chunk_gated_delta_rule_fwd_h_hip_kernelILi64ELb1ELb0ELb0ELb0ELb0ELb1ELb1ELb1EEEvPK12hip_bfloat16S3_S3_PKfS5_PKvPS1_S8_PvPKiSB_iiiiilll,comdat
	.globl	_ZN12_GLOBAL__N_139chunk_gated_delta_rule_fwd_h_hip_kernelILi64ELb1ELb0ELb0ELb0ELb0ELb1ELb1ELb1EEEvPK12hip_bfloat16S3_S3_PKfS5_PKvPS1_S8_PvPKiSB_iiiiilll ; -- Begin function _ZN12_GLOBAL__N_139chunk_gated_delta_rule_fwd_h_hip_kernelILi64ELb1ELb0ELb0ELb0ELb0ELb1ELb1ELb1EEEvPK12hip_bfloat16S3_S3_PKfS5_PKvPS1_S8_PvPKiSB_iiiiilll
	.p2align	8
	.type	_ZN12_GLOBAL__N_139chunk_gated_delta_rule_fwd_h_hip_kernelILi64ELb1ELb0ELb0ELb0ELb0ELb1ELb1ELb1EEEvPK12hip_bfloat16S3_S3_PKfS5_PKvPS1_S8_PvPKiSB_iiiiilll,@function
_ZN12_GLOBAL__N_139chunk_gated_delta_rule_fwd_h_hip_kernelILi64ELb1ELb0ELb0ELb0ELb0ELb1ELb1ELb1EEEvPK12hip_bfloat16S3_S3_PKfS5_PKvPS1_S8_PvPKiSB_iiiiilll: ; @_ZN12_GLOBAL__N_139chunk_gated_delta_rule_fwd_h_hip_kernelILi64ELb1ELb0ELb0ELb0ELb0ELb1ELb1ELb1EEEvPK12hip_bfloat16S3_S3_PKfS5_PKvPS1_S8_PvPKiSB_iiiiilll
; %bb.0:
	s_load_dwordx4 s[12:15], s[0:1], 0x5c
	s_load_dwordx4 s[16:19], s[0:1], 0x28
	s_abs_i32 s6, s3
	s_ashr_i32 s5, s3, 31
	v_and_b32_e32 v88, 15, v0
	s_waitcnt lgkmcnt(0)
	s_abs_i32 s4, s13
	v_cvt_f32_u32_e32 v1, s4
	s_sub_i32 s8, 0, s4
	s_ashr_i32 s7, s13, 31
	s_xor_b32 s5, s5, s7
	v_rcp_iflag_f32_e32 v1, v1
	v_lshrrev_b32_e32 v86, 6, v0
	v_bfe_u32 v87, v0, 4, 2
	v_mov_b32_e32 v7, 0
	v_mul_f32_e32 v1, 0x4f7ffffe, v1
	v_cvt_u32_f32_e32 v1, v1
	v_and_b32_e32 v45, 63, v0
	v_lshlrev_b32_e32 v89, 3, v0
	v_lshrrev_b32_e32 v90, 3, v45
	v_readfirstlane_b32 s9, v1
	s_mul_i32 s8, s8, s9
	s_mul_hi_u32 s8, s9, s8
	s_add_i32 s9, s9, s8
	s_mul_hi_u32 s8, s6, s9
	s_mul_i32 s9, s8, s4
	s_sub_i32 s6, s6, s9
	s_add_i32 s10, s8, 1
	s_sub_i32 s9, s6, s4
	s_cmp_ge_u32 s6, s4
	s_cselect_b32 s8, s10, s8
	s_cselect_b32 s6, s9, s6
	s_add_i32 s9, s8, 1
	s_cmp_ge_u32 s6, s4
	s_cselect_b32 s6, s9, s8
	s_xor_b32 s6, s6, s5
	s_sub_i32 s51, s6, s5
	s_mul_i32 s6, s51, s13
	s_sub_i32 s48, s3, s6
	s_abs_i32 s3, s14
	v_cvt_f32_u32_e32 v1, s3
	s_add_i32 s8, s12, 63
	s_ashr_i32 s9, s8, 31
	s_lshr_b32 s5, s9, 26
	v_rcp_iflag_f32_e32 v1, v1
	s_ashr_i32 s50, s12, 31
	s_add_i32 s8, s8, s5
	s_lshr_b32 s5, s50, 26
	v_mul_f32_e32 v1, 0x4f7ffffe, v1
	v_cvt_u32_f32_e32 v1, v1
	s_add_i32 s5, s12, s5
	s_ashr_i32 s53, s14, 31
	s_ashr_i32 s52, s5, 6
	s_lshl_b32 s36, s2, 6
	s_xor_b32 s2, s7, s53
	s_sub_i32 s5, 0, s3
	v_readfirstlane_b32 s7, v1
	s_mul_i32 s5, s5, s7
	s_mul_hi_u32 s5, s7, s5
	s_add_i32 s7, s7, s5
	s_mul_hi_u32 s5, s4, s7
	s_mul_i32 s7, s5, s3
	s_sub_i32 s4, s4, s7
	s_ashr_i32 s25, s8, 6
	s_add_i32 s7, s5, 1
	s_sub_i32 s8, s4, s3
	s_cmp_ge_u32 s4, s3
	s_cselect_b32 s5, s7, s5
	s_cselect_b32 s4, s8, s4
	s_add_i32 s7, s5, 1
	s_cmp_ge_u32 s4, s3
	s_cselect_b32 s3, s7, s5
	s_xor_b32 s3, s3, s2
	s_sub_i32 s2, s3, s2
	s_abs_i32 s3, s2
	v_cvt_f32_u32_e32 v1, s3
	s_sub_i32 s5, 0, s3
	s_abs_i32 s4, s48
	s_xor_b32 s2, s48, s2
	v_rcp_iflag_f32_e32 v1, v1
	s_ashr_i32 s2, s2, 31
	v_or_b32_e32 v46, s36, v88
	v_lshlrev_b32_e32 v2, 7, v46
	v_mul_f32_e32 v1, 0x4f7ffffe, v1
	v_cvt_u32_f32_e32 v1, v1
	v_or_b32_e32 v10, 0x800, v2
	v_ashrrev_i32_e32 v3, 31, v2
	v_ashrrev_i32_e32 v11, 31, v10
	v_readfirstlane_b32 s7, v1
	s_mul_i32 s5, s5, s7
	s_mul_hi_u32 s5, s7, s5
	s_add_i32 s7, s7, s5
	s_mul_hi_u32 s5, s4, s7
	s_mul_i32 s7, s5, s3
	s_sub_i32 s4, s4, s7
	s_add_i32 s7, s5, 1
	s_sub_i32 s8, s4, s3
	s_cmp_ge_u32 s4, s3
	s_cselect_b32 s5, s7, s5
	s_cselect_b32 s4, s8, s4
	s_add_i32 s7, s5, 1
	s_cmp_ge_u32 s4, s3
	s_cselect_b32 s3, s7, s5
	s_xor_b32 s3, s3, s2
	s_sub_i32 s54, s3, s2
	s_ashr_i32 s24, s51, 31
	s_ashr_i32 s49, s48, 31
	s_mul_hi_i32 s2, s51, s13
	s_add_u32 s38, s6, s48
	s_addc_u32 s39, s2, s49
	s_lshl_b64 s[2:3], s[38:39], 15
	v_lshlrev_b32_e32 v1, 4, v86
	s_add_u32 s2, s16, s2
	v_lshl_or_b32 v91, v87, 2, v1
	s_addc_u32 s3, s17, s3
	v_lshl_add_u64 v[4:5], v[2:3], 1, s[2:3]
	v_lshlrev_b32_e32 v6, 1, v91
	v_lshl_add_u64 v[10:11], v[10:11], 1, s[2:3]
	v_lshl_add_u64 v[4:5], v[4:5], 0, v[6:7]
	;; [unrolled: 1-line block ×3, first 2 shown]
	global_load_dwordx2 v[8:9], v[4:5], off
	v_or_b32_e32 v92, 64, v91
	global_load_dwordx2 v[4:5], v[4:5], off offset:128
	s_nop 0
	global_load_dwordx2 v[12:13], v[10:11], off
	global_load_dwordx2 v[14:15], v[10:11], off offset:128
	v_or_b32_e32 v10, 0x1000, v2
	v_or_b32_e32 v2, 0x1800, v2
	v_ashrrev_i32_e32 v11, 31, v10
	v_ashrrev_i32_e32 v3, 31, v2
	v_lshl_add_u64 v[10:11], v[10:11], 1, s[2:3]
	v_lshl_add_u64 v[2:3], v[2:3], 1, s[2:3]
	;; [unrolled: 1-line block ×4, first 2 shown]
	global_load_dwordx2 v[16:17], v[10:11], off
	s_mul_i32 s55, s51, s25
	global_load_dwordx2 v[10:11], v[10:11], off offset:128
	s_nop 0
	global_load_dwordx2 v[6:7], v[2:3], off
	global_load_dwordx2 v[18:19], v[2:3], off offset:128
	s_load_dwordx8 s[4:11], s[0:1], 0x0
	s_load_dwordx2 s[28:29], s[0:1], 0x80
	s_load_dwordx4 s[20:23], s[0:1], 0x70
	s_cmp_lt_i32 s12, 64
	s_mul_i32 s56, s39, s12
	s_mul_hi_u32 s57, s38, s12
	s_mul_i32 s16, s38, s12
	s_waitcnt lgkmcnt(0)
	s_mul_i32 s33, s51, s21
	s_mul_hi_u32 s44, s51, s20
	s_mul_i32 s39, s24, s20
	s_mul_i32 s34, s51, s20
	s_mul_i32 s45, s48, s23
	s_mul_hi_u32 s46, s48, s22
	s_mul_i32 s47, s49, s22
	s_mul_i32 s30, s48, s22
	s_waitcnt vmcnt(7)
	v_and_b32_e32 v75, 0xffff0000, v8
	v_lshlrev_b32_e32 v74, 16, v8
	v_and_b32_e32 v79, 0xffff0000, v9
	v_lshlrev_b32_e32 v78, 16, v9
	s_waitcnt vmcnt(6)
	v_and_b32_e32 v73, 0xffff0000, v4
	v_lshlrev_b32_e32 v72, 16, v4
	v_and_b32_e32 v77, 0xffff0000, v5
	v_lshlrev_b32_e32 v76, 16, v5
	;; [unrolled: 5-line block ×8, first 2 shown]
	s_cbranch_scc1 .LBB76_18
; %bb.1:
	s_add_i32 s17, s57, s56
	s_lshl_b64 s[2:3], s[16:17], 8
	v_and_b32_e32 v94, 56, v89
	s_add_u32 s20, s6, s2
	v_lshl_or_b32 v93, v86, 3, v90
	v_lshlrev_b32_e32 v2, 1, v94
	s_addc_u32 s2, s7, s3
	v_lshl_or_b32 v95, v93, 8, v2
	s_and_b32 s21, s2, 0xffff
	s_mov_b32 s23, 0x20000
	s_movk_i32 s22, 0x4000
	s_movk_i32 s2, 0x80
	v_or_b32_e32 v96, 0x2000, v95
	buffer_load_dwordx4 v[4:7], v95, s[20:23], 0 offen
	buffer_load_dwordx4 v[8:11], v95, s[20:23], s2 offen
	;; [unrolled: 1-line block ×4, first 2 shown]
	v_lshlrev_b32_e32 v3, 3, v93
	v_and_or_b32 v21, v0, 7, v3
	v_and_b32_e32 v3, 0x78, v3
	v_lshlrev_b32_e32 v21, 4, v21
	v_xor_b32_e32 v97, v21, v3
	v_mul_lo_u32 v20, v93, s15
	v_or_b32_e32 v98, 0x1000, v97
	v_xor_b32_e32 v3, 8, v97
	s_cmpk_eq_i32 s15, 0x80
	s_mov_b32 s58, s14
	v_xor_b32_e32 v21, 8, v98
	s_cselect_b64 s[2:3], -1, 0
	s_cmpk_lg_i32 s15, 0x80
	s_waitcnt vmcnt(3)
	ds_write_b64 v97, v[4:5] offset:49152
	ds_write_b64 v3, v[6:7] offset:49152
	s_waitcnt vmcnt(2)
	ds_write_b64 v97, v[8:9] offset:57344
	ds_write_b64 v3, v[10:11] offset:57344
	;; [unrolled: 3-line block ×4, first 2 shown]
	v_lshl_add_u32 v3, v20, 1, v94
	s_cbranch_scc0 .LBB76_3
; %bb.2:
	v_lshlrev_b32_e32 v5, 1, v3
	v_add_lshl_u32 v4, v3, s15, 1
	s_lshl_b32 s22, s15, 7
	s_load_dwordx2 s[40:41], s[0:1], 0x20
	v_lshl_or_b32 v2, v93, 9, v2
	s_cbranch_execz .LBB76_4
	s_branch .LBB76_5
.LBB76_3:
                                        ; implicit-def: $vgpr4
                                        ; implicit-def: $vgpr5
                                        ; implicit-def: $sgpr22
	s_load_dwordx2 s[40:41], s[0:1], 0x20
	v_lshl_or_b32 v2, v93, 9, v2
.LBB76_4:
	v_or_b32_e32 v4, 0x100, v2
	s_movk_i32 s22, 0x4000
	v_mov_b32_e32 v5, v2
.LBB76_5:
	s_mul_hi_u32 s0, s14, s12
	s_mul_i32 s1, s53, s12
	s_add_i32 s0, s0, s1
	s_mul_i32 s1, s14, s12
	s_mul_i32 s20, s1, s24
	s_mul_hi_u32 s21, s1, s51
	s_add_i32 s20, s21, s20
	s_mul_i32 s0, s0, s51
	s_add_i32 s20, s20, s0
	s_mul_i32 s1, s1, s51
	s_ashr_i32 s59, s54, 31
	s_add_u32 s0, s1, s54
	s_addc_u32 s1, s20, s59
	s_lshl_b64 s[0:1], s[0:1], 8
	s_add_u32 s20, s4, s0
	s_addc_u32 s0, s5, s1
	s_and_b32 s21, s0, 0xffff
	s_movk_i32 s60, 0x80
	buffer_load_dwordx4 v[6:9], v5, s[20:23], 0 offen
	buffer_load_dwordx4 v[10:13], v5, s[20:23], s60 offen
	;; [unrolled: 1-line block ×4, first 2 shown]
	v_and_b32_e32 v5, 6, v0
	v_lshlrev_b32_e32 v4, 7, v91
	v_xor_b32_e32 v26, v93, v5
	v_and_b32_e32 v22, 1, v0
	v_lshl_or_b32 v29, v88, 3, v4
	v_lshlrev_b32_e32 v26, 2, v26
	v_or_b32_e32 v99, 0x4000, v29
	v_or_b32_e32 v100, 0x6000, v29
	v_xor_b32_e32 v29, 0x440, v26
	v_cmp_eq_u32_e32 vcc, 0, v22
	v_lshlrev_b32_e32 v23, 2, v88
	s_mov_b32 s63, 0x1000504
	v_cndmask_b32_e32 v22, v29, v26, vcc
	v_xor_b32_e32 v27, v91, v23
	v_xor_b32_e32 v28, v92, v23
	v_lshl_or_b32 v5, v5, 10, v22
	s_mov_b32 s64, 0x3020706
	v_lshlrev_b32_e32 v24, 8, v88
	v_or_b32_e32 v25, 16, v88
	v_lshlrev_b32_e32 v27, 1, v27
	v_lshlrev_b32_e32 v28, 1, v28
	v_xor_b32_e32 v22, 8, v5
	v_xor_b32_e32 v26, 24, v5
	;; [unrolled: 1-line block ×4, first 2 shown]
	s_mul_i32 s24, s24, s12
	s_mul_hi_u32 s0, s51, s12
	v_or_b32_e32 v102, v24, v27
	v_or_b32_e32 v103, v24, v28
	v_xor_b32_e32 v24, 16, v5
	v_xor_b32_e32 v29, 32, v5
	;; [unrolled: 1-line block ×3, first 2 shown]
	v_add_u32_e32 v22, 0x80, v22
	v_add_u32_e32 v26, 0x80, v26
	;; [unrolled: 1-line block ×4, first 2 shown]
	s_add_i32 s65, s0, s24
	s_add_i32 s0, s44, s33
	;; [unrolled: 1-line block ×5, first 2 shown]
	s_lshl_b64 s[0:1], s[34:35], 2
	s_add_u32 s20, s10, s0
	s_addc_u32 s21, s11, s1
	s_lshl_b64 s[0:1], s[30:31], 2
	s_add_u32 s42, s20, s0
	s_movk_i32 s0, 0xf8
	s_addc_u32 s43, s21, s1
	s_ashr_i32 s37, s36, 31
	s_lshl_b32 s26, s15, 7
	v_mov_b32_e32 v81, 0
	s_movk_i32 s20, 0x100
	v_lshlrev_b32_e32 v80, 4, v88
	s_mul_i32 s61, s51, s12
	v_lshl_or_b32 v30, v25, 3, v4
	v_ashrrev_i32_e32 v47, 31, v46
	s_mov_b32 s62, 0
	v_or_b32_e32 v101, 0x4000, v30
	s_movk_i32 s22, 0x4000
	v_or_b32_e32 v104, 0x6000, v30
	v_lshl_add_u64 v[82:83], v[46:47], 1, s[8:9]
	s_mov_b32 s35, 0x7060302
	s_movk_i32 s66, 0x3000
	v_mov_b32_e32 v144, 0x3fb8aa3b
	s_mov_b32 s68, 0
	s_waitcnt vmcnt(1)
	v_perm_b32 v34, v6, v14, s63
	s_waitcnt vmcnt(0)
	v_perm_b32 v35, v10, v18, s63
	v_perm_b32 v6, v6, v14, s64
	v_perm_b32 v10, v10, v18, s64
	v_perm_b32 v14, v7, v15, s63
	v_perm_b32 v18, v11, v19, s63
	v_perm_b32 v7, v7, v15, s64
	v_perm_b32 v11, v11, v19, s64
	v_perm_b32 v15, v8, v16, s63
	v_perm_b32 v19, v12, v20, s63
	v_perm_b32 v8, v8, v16, s64
	v_perm_b32 v12, v12, v20, s64
	v_perm_b32 v16, v9, v17, s63
	v_perm_b32 v20, v13, v21, s63
	v_perm_b32 v9, v9, v17, s64
	v_perm_b32 v13, v13, v21, s64
	ds_write2st64_b32 v5, v34, v35 offset0:128 offset1:160
	ds_write2st64_b32 v22, v6, v10 offset0:128 offset1:160
	;; [unrolled: 1-line block ×8, first 2 shown]
	v_lshlrev_b32_e32 v5, 8, v25
	v_or_b32_e32 v105, v5, v27
	v_or_b32_e32 v106, v5, v28
	;; [unrolled: 1-line block ×3, first 2 shown]
	v_lshl_or_b32 v6, v5, 3, v4
	v_lshlrev_b32_e32 v5, 8, v5
	v_or_b32_e32 v109, v5, v27
	v_or_b32_e32 v110, v5, v28
	;; [unrolled: 1-line block ×5, first 2 shown]
	v_lshl_or_b32 v6, v5, 3, v4
	v_lshlrev_b32_e32 v5, 8, v5
	v_or_b32_e32 v113, v5, v27
	v_or_b32_e32 v114, v5, v28
	;; [unrolled: 1-line block ×3, first 2 shown]
	v_lshlrev_b32_e32 v5, 3, v5
	v_lshrrev_b32_e32 v7, 5, v45
	v_and_or_b32 v7, v5, s0, v7
	v_lshlrev_b32_e32 v7, 4, v7
	v_or_b32_e32 v111, 0x4000, v6
	v_or_b32_e32 v112, 0x6000, v6
	v_lshrrev_b32_e32 v6, 2, v45
	v_lshlrev_b32_e32 v9, 11, v86
	v_and_b32_e32 v5, 0x78, v5
	v_or_b32_e32 v13, 32, v7
	v_and_b32_e32 v8, 12, v6
	v_and_b32_e32 v6, 0x1000, v9
	v_xor_b32_e32 v10, v7, v5
	v_lshrrev_b32_e32 v11, 1, v45
	v_xor_b32_e32 v13, v13, v5
	v_or_b32_e32 v10, v10, v6
	v_and_b32_e32 v11, 8, v11
	v_or_b32_e32 v13, v13, v6
	v_xor_b32_e32 v115, v10, v11
	v_lshlrev_b32_e32 v10, 8, v87
	v_xor_b32_e32 v117, v13, v11
	v_or_b32_e32 v13, 64, v7
	v_or_b32_e32 v7, 0x60, v7
	;; [unrolled: 1-line block ×3, first 2 shown]
	v_xor_b32_e32 v13, v13, v5
	v_xor_b32_e32 v5, v7, v5
	s_lshl_b64 s[0:1], s[36:37], 8
	v_lshlrev_b32_e32 v12, 1, v12
	v_or_b32_e32 v13, v13, v6
	v_or_b32_e32 v5, v5, v6
	s_add_u32 s0, s18, s0
	v_lshlrev_b32_e32 v6, 1, v88
	v_lshlrev_b32_e32 v15, 2, v0
	v_or_b32_e32 v116, 0x4000, v12
	v_or_b32_e32 v118, 0x4080, v12
	;; [unrolled: 1-line block ×4, first 2 shown]
	v_xor_b32_e32 v121, v13, v11
	v_xor_b32_e32 v122, v5, v11
	v_or_b32_e32 v123, 0x6000, v12
	v_or_b32_e32 v124, 0x6080, v12
	;; [unrolled: 1-line block ×4, first 2 shown]
	v_lshlrev_b32_e32 v5, 1, v3
	v_add_lshl_u32 v3, v3, s15, 1
	v_or_b32_e32 v11, 0x100, v2
	v_lshrrev_b32_e32 v12, 4, v0
	s_addc_u32 s1, s19, s1
	v_or_b32_e32 v7, 1, v6
	v_lshrrev_b32_e32 v16, 1, v0
	v_and_or_b32 v10, v15, 60, v10
	v_xor_b32_e32 v13, v12, v6
	v_xor_b32_e32 v14, v7, v12
	v_lshl_add_u64 v[6:7], s[0:1], 0, v[80:81]
	v_and_b32_e32 v16, 24, v16
	v_lshlrev_b32_e32 v10, 1, v10
	v_cndmask_b32_e64 v133, v5, v2, s[2:3]
	v_cndmask_b32_e64 v134, v3, v11, s[2:3]
	v_mov_b32_e32 v3, 0xa000
	v_mov_b32_e32 v5, 0x8000
	v_cmp_gt_u32_e64 s[0:1], s20, v0
	v_lshlrev_b32_e32 v80, 8, v12
	v_or_b32_e32 v129, 0x6000, v10
	v_or_b32_e32 v15, 32, v16
	;; [unrolled: 1-line block ×6, first 2 shown]
	v_cndmask_b32_e64 v3, v3, v5, s[0:1]
	v_lshlrev_b32_e32 v5, 3, v86
	v_lshl_or_b32 v127, v13, 3, v80
	v_and_b32_e32 v13, 8, v0
	v_xor_b32_e32 v11, v5, v16
	v_xor_b32_e32 v15, v5, v15
	;; [unrolled: 1-line block ×3, first 2 shown]
	v_mov_b32_e32 v17, 0x400
	v_cmp_eq_u32_e32 vcc, 0, v13
	v_or_b32_e32 v16, 0x440, v11
	v_or_b32_e32 v18, 0x440, v15
	v_xor_b32_e32 v10, 0x440, v5
	v_and_b32_e32 v12, 7, v0
	v_cndmask_b32_e64 v13, v17, 64, vcc
	v_cndmask_b32_e32 v16, v16, v11, vcc
	v_cndmask_b32_e32 v15, v18, v15, vcc
	;; [unrolled: 1-line block ×3, first 2 shown]
	v_lshl_or_b32 v128, v14, 3, v80
	v_lshlrev_b32_e32 v14, 3, v12
	v_or_b32_e32 v16, v16, v9
	v_or_b32_e32 v15, v15, v9
	v_or3_b32 v11, v9, v13, v11
	v_or_b32_e32 v5, v5, v9
	v_lshlrev_b32_e32 v12, 7, v12
	v_xor_b32_e32 v16, v16, v14
	v_xor_b32_e32 v15, v15, v14
	;; [unrolled: 1-line block ×4, first 2 shown]
	v_or_b32_e32 v2, v1, v8
	v_add_u32_e32 v17, v3, v16
	v_add_u32_e32 v18, v3, v15
	v_or_b32_e32 v135, v11, v12
	v_add_u32_e32 v9, v3, v5
	v_or3_b32 v8, v1, v8, 64
	v_add_u32_e32 v10, 0xa000, v16
	v_add_u32_e32 v11, 0xa000, v15
	;; [unrolled: 1-line block ×3, first 2 shown]
	v_lshl_add_u64 v[84:85], v[6:7], 0, v[80:81]
	s_add_i32 s31, s61, 63
	v_lshlrev_b32_e32 v80, 1, v4
	s_movk_i32 s37, 0x2000
	v_lshlrev_b32_e32 v47, 2, v2
	v_add_u32_e32 v136, v17, v12
	v_add_u32_e32 v137, v18, v12
	v_add_u32_e32 v138, v3, v135
	v_add_u32_e32 v139, v9, v12
	v_lshlrev_b32_e32 v140, 2, v8
	v_add_u32_e32 v141, v10, v12
	v_add_u32_e32 v142, v11, v12
	;; [unrolled: 1-line block ×3, first 2 shown]
	s_waitcnt lgkmcnt(0)
	s_barrier
.LBB76_6:                               ; =>This Inner Loop Header: Depth=1
	s_add_i32 s67, s68, 1
	s_cmp_lt_i32 s67, s52
	s_mov_b64 s[24:25], 0
	s_cselect_b64 s[2:3], -1, 0
	s_cmp_ge_i32 s67, s52
	s_mov_b64 s[20:21], 0
	s_cbranch_scc1 .LBB76_8
; %bb.7:                                ;   in Loop: Header=BB76_6 Depth=1
	s_add_i32 s0, s62, 64
	s_add_u32 s0, s16, s0
	s_addc_u32 s1, s17, 0
	s_lshl_b64 s[0:1], s[0:1], 8
	s_add_u32 s20, s6, s0
	s_addc_u32 s21, s7, s1
.LBB76_8:                               ;   in Loop: Header=BB76_6 Depth=1
	v_cndmask_b32_e64 v2, 0, 1, s[2:3]
	v_cmp_ne_u32_e64 s[0:1], 1, v2
	s_andn2_b64 vcc, exec, s[2:3]
	s_cbranch_vccnz .LBB76_10
; %bb.9:                                ;   in Loop: Header=BB76_6 Depth=1
	s_add_i32 s2, s62, 64
	s_add_u32 s2, s61, s2
	s_addc_u32 s3, s65, 0
	s_mul_i32 s24, s2, s53
	s_mul_hi_u32 s25, s2, s58
	s_add_i32 s24, s25, s24
	s_mul_i32 s3, s3, s58
	s_add_i32 s24, s24, s3
	s_mul_i32 s2, s2, s58
	s_add_u32 s2, s2, s54
	s_addc_u32 s3, s24, s59
	s_lshl_b64 s[2:3], s[2:3], 8
	s_add_u32 s24, s4, s2
	s_addc_u32 s25, s5, s3
.LBB76_10:                              ;   in Loop: Header=BB76_6 Depth=1
	v_perm_b32 v3, v79, v78, s35
	v_perm_b32 v2, v75, v74, s35
	v_perm_b32 v5, v77, v76, s35
	v_perm_b32 v4, v73, v72, s35
	ds_write_b64 v99, v[2:3]
	ds_write_b64 v100, v[4:5]
	ds_write_b64 v102, v[2:3]
	ds_write_b64 v103, v[4:5]
	v_perm_b32 v3, v71, v70, s35
	v_perm_b32 v2, v67, v66, s35
	v_perm_b32 v5, v69, v68, s35
	v_perm_b32 v4, v65, v64, s35
	ds_write_b64 v101, v[2:3]
	ds_write_b64 v104, v[4:5]
	ds_write_b64 v105, v[2:3]
	ds_write_b64 v106, v[4:5]
	;; [unrolled: 8-line block ×4, first 2 shown]
	s_waitcnt lgkmcnt(0)
	s_barrier
	ds_read_b64 v[6:7], v115 offset:49152
	ds_read2_b64 v[2:5], v116 offset1:16
	ds_read_b64 v[18:19], v118 offset:6144
	ds_read_b64 v[20:21], v116 offset:6144
	s_waitcnt lgkmcnt(2)
	v_mfma_f32_16x16x16_bf16 a[0:3], v[6:7], v[2:3], 0
	ds_read_b64 v[22:23], v117 offset:49152
	ds_read2st64_b64 v[10:13], v119 offset0:4 offset1:8
	ds_read2st64_b64 v[14:17], v120 offset0:4 offset1:8
	v_mfma_f32_16x16x16_bf16 a[4:7], v[6:7], v[4:5], 0
	ds_read2_b64 v[2:5], v116 offset0:32 offset1:48
	s_add_i32 s2, s62, 63
	s_mul_i32 s3, s2, s29
	s_waitcnt lgkmcnt(0)
	v_mfma_f32_16x16x16_bf16 a[8:11], v[6:7], v[2:3], 0
	s_mul_hi_u32 s27, s2, s28
	s_add_i32 s3, s27, s3
	s_mul_i32 s2, s2, s28
	v_mfma_f32_16x16x16_bf16 a[12:15], v[6:7], v[4:5], 0
	ds_read2st64_b64 v[2:5], v116 offset0:4 offset1:8
	ds_read2st64_b64 v[6:9], v118 offset0:4 offset1:8
	s_lshl_b64 s[2:3], s[2:3], 2
	s_waitcnt lgkmcnt(1)
	v_mfma_f32_16x16x16_bf16 a[0:3], v[22:23], v[2:3], a[0:3]
	s_add_u32 s2, s42, s2
	s_addc_u32 s3, s43, s3
	s_and_b64 vcc, exec, s[0:1]
	s_waitcnt lgkmcnt(0)
	v_mfma_f32_16x16x16_bf16 a[4:7], v[22:23], v[6:7], a[4:7]
	v_mov_b32_e32 v147, 0
	v_mov_b32_e32 v146, 0
	;; [unrolled: 1-line block ×3, first 2 shown]
	v_mfma_f32_16x16x16_bf16 a[8:11], v[22:23], v[10:11], a[8:11]
	ds_read_b64 v[2:3], v121 offset:49152
	ds_read_b64 v[6:7], v122 offset:49152
	;; [unrolled: 1-line block ×3, first 2 shown]
	v_mfma_f32_16x16x16_bf16 a[12:15], v[22:23], v[14:15], a[12:15]
	v_mov_b32_e32 v14, 0
	v_mov_b32_e32 v15, 0
	s_waitcnt lgkmcnt(2)
	v_mfma_f32_16x16x16_bf16 a[0:3], v[2:3], v[4:5], a[0:3]
	v_mov_b32_e32 v4, 0
	v_mov_b32_e32 v5, 0
	v_mfma_f32_16x16x16_bf16 a[16:19], v[2:3], v[8:9], a[4:7]
	v_mov_b32_e32 v8, 0
	v_mov_b32_e32 v9, 0
	;; [unrolled: 3-line block ×3, first 2 shown]
	v_mfma_f32_16x16x16_bf16 a[24:27], v[2:3], v[16:17], a[12:15]
	ds_read_b64 v[2:3], v119 offset:6144
	v_mov_b32_e32 v16, 0
	v_mov_b32_e32 v17, 0
	s_waitcnt lgkmcnt(2)
	v_mfma_f32_16x16x16_bf16 a[4:7], v[6:7], v[20:21], a[0:3]
	v_mfma_f32_16x16x16_bf16 a[8:11], v[6:7], v[18:19], a[16:19]
	s_waitcnt lgkmcnt(0)
	v_mfma_f32_16x16x16_bf16 a[12:15], v[6:7], v[2:3], a[20:23]
	v_mov_b32_e32 v2, 0
	v_mov_b32_e32 v3, 0
	v_mfma_f32_16x16x16_bf16 a[0:3], v[6:7], v[10:11], a[24:27]
	v_mov_b32_e32 v6, 0
	v_mov_b32_e32 v7, 0
	;; [unrolled: 1-line block ×4, first 2 shown]
	s_cbranch_vccnz .LBB76_12
; %bb.11:                               ;   in Loop: Header=BB76_6 Depth=1
	s_and_b32 s21, s21, 0xffff
	buffer_load_dwordx4 v[14:17], v95, s[20:23], 0 offen
	buffer_load_dwordx4 v[10:13], v95, s[20:23], s60 offen
	;; [unrolled: 1-line block ×4, first 2 shown]
	v_mov_b32_e32 v146, v97
	v_mov_b32_e32 v145, v98
.LBB76_12:                              ;   in Loop: Header=BB76_6 Depth=1
	ds_read_b64 v[34:35], v115 offset:57344
	ds_read2_b64 v[18:21], v123 offset1:16
	ds_read_b64 v[36:37], v117 offset:57344
	ds_read_b64 v[38:39], v121 offset:57344
	;; [unrolled: 1-line block ×3, first 2 shown]
	v_add_u32_e32 v42, s62, v91
	s_waitcnt lgkmcnt(3)
	v_mfma_f32_16x16x16_bf16 a[4:7], v[34:35], v[18:19], a[4:7]
	v_mfma_f32_16x16x16_bf16 a[8:11], v[34:35], v[20:21], a[8:11]
	ds_read2_b64 v[18:21], v123 offset0:32 offset1:48
	ds_read2st64_b64 v[22:25], v123 offset0:4 offset1:8
	ds_read2st64_b64 v[26:29], v124 offset0:4 offset1:8
	;; [unrolled: 1-line block ×3, first 2 shown]
	s_waitcnt lgkmcnt(3)
	v_mfma_f32_16x16x16_bf16 a[12:15], v[34:35], v[18:19], a[12:15]
	v_ashrrev_i32_e32 v18, 31, v42
	v_mfma_f32_16x16x16_bf16 a[0:3], v[34:35], v[20:21], a[0:3]
	v_mul_lo_u32 v20, v18, s28
	v_mul_lo_u32 v21, v42, s29
	v_mad_u64_u32 v[18:19], s[20:21], v42, s28, 0
	v_add3_u32 v19, v19, v21, v20
	v_add_u32_e32 v20, 1, v42
	v_ashrrev_i32_e32 v21, 31, v20
	s_waitcnt lgkmcnt(2)
	v_mfma_f32_16x16x16_bf16 a[4:7], v[36:37], v[22:23], a[4:7]
	v_mul_lo_u32 v22, v21, s28
	v_mul_lo_u32 v23, v20, s29
	v_mad_u64_u32 v[20:21], s[20:21], v20, s28, 0
	v_add3_u32 v21, v21, v23, v22
	v_add_u32_e32 v22, 2, v42
	v_ashrrev_i32_e32 v23, 31, v22
	s_waitcnt lgkmcnt(1)
	v_mfma_f32_16x16x16_bf16 a[8:11], v[36:37], v[26:27], a[8:11]
	v_mul_lo_u32 v26, v23, s28
	v_mul_lo_u32 v27, v22, s29
	v_mad_u64_u32 v[22:23], s[20:21], v22, s28, 0
	v_lshl_add_u64 v[18:19], v[18:19], 2, s[42:43]
	v_add3_u32 v23, v23, v27, v26
	v_add_u32_e32 v26, 3, v42
	v_ashrrev_i32_e32 v27, 31, v26
	global_load_dword v35, v[18:19], off
	v_mad_u64_u32 v[18:19], s[20:21], v26, s28, 0
	v_mul_lo_u32 v27, v27, s28
	v_mul_lo_u32 v34, v26, s29
	s_add_u32 s20, s16, s62
	v_add3_u32 v19, v19, v34, v27
	s_addc_u32 s21, s17, 0
	v_lshl_add_u64 v[20:21], v[20:21], 2, s[42:43]
	v_lshl_add_u64 v[22:23], v[22:23], 2, s[42:43]
	;; [unrolled: 1-line block ×3, first 2 shown]
	s_lshl_b64 s[20:21], s[20:21], 8
	global_load_dword v34, v[20:21], off
	global_load_dword v42, v[22:23], off
	;; [unrolled: 1-line block ×3, first 2 shown]
	v_lshl_add_u64 v[18:19], v[82:83], 0, s[20:21]
	v_lshl_add_u64 v[22:23], v[18:19], 0, v[80:81]
	global_load_ushort v44, v[22:23], off offset:256
	global_load_ushort v148, v[22:23], off
	ds_read2st64_b64 v[18:21], v126 offset0:4 offset1:8
	global_load_ushort v149, v[22:23], off offset:768
	global_load_ushort v150, v[22:23], off offset:512
	s_waitcnt lgkmcnt(1)
	v_mfma_f32_16x16x16_bf16 a[12:15], v[36:37], v[30:31], a[12:15]
	s_and_b64 vcc, exec, s[0:1]
	s_waitcnt vmcnt(3)
	v_lshlrev_b32_e32 v31, 16, v44
	s_waitcnt lgkmcnt(0)
	v_mfma_f32_16x16x16_bf16 a[0:3], v[36:37], v[18:19], a[0:3]
	global_load_ushort v36, v[22:23], off offset:288
	global_load_ushort v37, v[22:23], off offset:32
	;; [unrolled: 1-line block ×8, first 2 shown]
	v_mfma_f32_16x16x16_bf16 a[4:7], v[38:39], v[24:25], a[4:7]
	ds_read_b64 v[18:19], v123 offset:6144
	s_waitcnt vmcnt(10)
	v_lshlrev_b32_e32 v30, 16, v148
	v_mov_b32_e32 v148, 0
	v_mfma_f32_16x16x16_bf16 a[8:11], v[38:39], v[28:29], a[8:11]
	v_mfma_f32_16x16x16_bf16 a[12:15], v[38:39], v[32:33], a[12:15]
	;; [unrolled: 1-line block ×3, first 2 shown]
	global_load_ushort v38, v[22:23], off offset:352
	global_load_ushort v39, v[22:23], off offset:96
	ds_read_b64 v[20:21], v124 offset:6144
	ds_read_b64 v[24:25], v125 offset:6144
	;; [unrolled: 1-line block ×3, first 2 shown]
	global_load_ushort v157, v[22:23], off offset:864
	global_load_ushort v158, v[22:23], off offset:608
	s_load_dword s2, s[2:3], 0x0
	s_waitcnt lgkmcnt(0)
	v_mfma_f32_16x16x16_bf16 a[4:7], v[40:41], v[18:19], a[4:7]
	v_sub_f32_e32 v28, s2, v42
	v_mfma_f32_16x16x16_bf16 a[0:3], v[40:41], v[26:27], a[0:3]
	v_sub_f32_e32 v26, s2, v35
	v_sub_f32_e32 v27, s2, v34
	;; [unrolled: 1-line block ×3, first 2 shown]
	v_mul_f32_e32 v26, 0x3fb8aa3b, v26
	v_mul_f32_e32 v27, 0x3fb8aa3b, v27
	;; [unrolled: 1-line block ×4, first 2 shown]
	v_mfma_f32_16x16x16_bf16 a[8:11], v[40:41], v[20:21], a[8:11]
	v_exp_f32_e32 v26, v26
	v_exp_f32_e32 v27, v27
	;; [unrolled: 1-line block ×4, first 2 shown]
	v_accvgpr_read_b32 v33, a5
	v_accvgpr_read_b32 v32, a4
	;; [unrolled: 1-line block ×4, first 2 shown]
	v_pk_add_f32 v[30:31], v[30:31], v[32:33] neg_lo:[0,1] neg_hi:[0,1]
	s_waitcnt vmcnt(13)
	v_lshlrev_b32_e32 v33, 16, v149
	s_waitcnt vmcnt(12)
	v_lshlrev_b32_e32 v32, 16, v150
	v_pk_add_f32 v[18:19], v[32:33], v[18:19] neg_lo:[0,1] neg_hi:[0,1]
	v_pk_mul_f32 v[30:31], v[26:27], v[30:31]
	v_pk_mul_f32 v[18:19], v[28:29], v[18:19]
	v_accvgpr_read_b32 v33, a9
	v_perm_b32 v19, v19, v18, s35
	v_perm_b32 v18, v31, v30, s35
	v_accvgpr_read_b32 v32, a8
	v_accvgpr_read_b32 v21, a11
	v_mfma_f32_16x16x16_bf16 a[12:15], v[40:41], v[24:25], a[12:15]
	v_accvgpr_read_b32 v20, a10
	v_accvgpr_read_b32 v25, a3
	;; [unrolled: 1-line block ×3, first 2 shown]
	s_waitcnt vmcnt(11)
	v_lshlrev_b32_e32 v31, 16, v36
	s_waitcnt vmcnt(10)
	v_lshlrev_b32_e32 v30, 16, v37
	v_pk_add_f32 v[30:31], v[30:31], v[32:33] neg_lo:[0,1] neg_hi:[0,1]
	s_waitcnt vmcnt(9)
	v_lshlrev_b32_e32 v33, 16, v151
	s_waitcnt vmcnt(8)
	v_lshlrev_b32_e32 v32, 16, v152
	v_pk_add_f32 v[20:21], v[32:33], v[20:21] neg_lo:[0,1] neg_hi:[0,1]
	v_pk_mul_f32 v[30:31], v[26:27], v[30:31]
	v_pk_mul_f32 v[20:21], v[28:29], v[20:21]
	v_accvgpr_read_b32 v23, a15
	v_perm_b32 v21, v21, v20, s35
	v_perm_b32 v20, v31, v30, s35
	ds_write2_b64 v100, v[18:19], v[20:21] offset1:16
	v_accvgpr_read_b32 v21, a13
	s_waitcnt vmcnt(7)
	v_lshlrev_b32_e32 v19, 16, v153
	s_waitcnt vmcnt(6)
	v_lshlrev_b32_e32 v18, 16, v154
	v_accvgpr_read_b32 v20, a12
	v_accvgpr_read_b32 v22, a14
	v_pk_add_f32 v[18:19], v[18:19], v[20:21] neg_lo:[0,1] neg_hi:[0,1]
	s_waitcnt vmcnt(5)
	v_lshlrev_b32_e32 v21, 16, v155
	s_waitcnt vmcnt(4)
	v_lshlrev_b32_e32 v20, 16, v156
	v_pk_add_f32 v[20:21], v[20:21], v[22:23] neg_lo:[0,1] neg_hi:[0,1]
	v_pk_mul_f32 v[18:19], v[26:27], v[18:19]
	v_pk_mul_f32 v[20:21], v[28:29], v[20:21]
	v_accvgpr_read_b32 v23, a1
	v_perm_b32 v21, v21, v20, s35
	v_perm_b32 v20, v19, v18, s35
	s_waitcnt vmcnt(3)
	v_lshlrev_b32_e32 v19, 16, v38
	s_waitcnt vmcnt(2)
	v_lshlrev_b32_e32 v18, 16, v39
	v_accvgpr_read_b32 v22, a0
	v_pk_add_f32 v[18:19], v[18:19], v[22:23] neg_lo:[0,1] neg_hi:[0,1]
	s_waitcnt vmcnt(1)
	v_lshlrev_b32_e32 v23, 16, v157
	s_waitcnt vmcnt(0)
	v_lshlrev_b32_e32 v22, 16, v158
	v_pk_add_f32 v[22:23], v[22:23], v[24:25] neg_lo:[0,1] neg_hi:[0,1]
	v_pk_mul_f32 v[18:19], v[26:27], v[18:19]
	v_pk_mul_f32 v[22:23], v[28:29], v[22:23]
	v_mov_b32_e32 v24, 0
	v_perm_b32 v23, v23, v22, s35
	v_perm_b32 v22, v19, v18, s35
	ds_write2_b64 v100, v[20:21], v[22:23] offset0:32 offset1:48
	v_mov_b32_e32 v18, 0
	v_mov_b32_e32 v19, 0
	;; [unrolled: 1-line block ×15, first 2 shown]
	s_cbranch_vccnz .LBB76_14
; %bb.13:                               ;   in Loop: Header=BB76_6 Depth=1
	s_and_b32 s25, s25, 0xffff
	s_mov_b32 s27, s23
	buffer_load_dwordx4 v[30:33], v133, s[24:27], 0 offen
	buffer_load_dwordx4 v[22:25], v133, s[24:27], s60 offen
	;; [unrolled: 1-line block ×4, first 2 shown]
	v_mov_b32_e32 v147, v94
	v_mov_b32_e32 v148, v93
.LBB76_14:                              ;   in Loop: Header=BB76_6 Depth=1
	s_waitcnt lgkmcnt(0)
	s_barrier
	ds_read_b64 v[42:43], v136
	ds_read2_b64 v[34:37], v129 offset1:16
	ds_read_b64 v[166:167], v137
	ds_read_b64 v[168:169], v138
	;; [unrolled: 1-line block ×3, first 2 shown]
	ds_read2_b64 v[38:41], v129 offset0:32 offset1:48
	ds_read2st64_b64 v[150:153], v129 offset0:4 offset1:8
	ds_read2st64_b64 v[154:157], v130 offset0:4 offset1:8
	;; [unrolled: 1-line block ×4, first 2 shown]
	s_waitcnt lgkmcnt(8)
	v_mfma_f32_16x16x16_bf16 a[0:3], v[42:43], v[34:35], 0
	s_add_i32 s3, s55, s68
	s_mul_hi_i32 s21, s3, s13
	s_mul_i32 s3, s3, s13
	v_mfma_f32_16x16x16_bf16 a[4:7], v[42:43], v[36:37], 0
	s_add_u32 s20, s3, s48
	s_addc_u32 s21, s21, s49
	s_add_i32 s3, s31, s62
	s_waitcnt lgkmcnt(4)
	v_mfma_f32_16x16x16_bf16 a[8:11], v[42:43], v[38:39], 0
	s_lshl_b64 s[20:21], s[20:21], 15
	s_mul_hi_i32 s25, s3, s13
	s_mul_i32 s3, s3, s13
	v_mfma_f32_16x16x16_bf16 a[12:15], v[42:43], v[40:41], 0
	ds_read_b64 v[42:43], v129 offset:6144
	ds_read_b64 v[178:179], v130 offset:6144
	;; [unrolled: 1-line block ×4, first 2 shown]
	s_add_u32 s24, s3, s48
	s_waitcnt lgkmcnt(7)
	v_mfma_f32_16x16x16_bf16 a[0:3], v[166:167], v[150:151], a[0:3]
	s_addc_u32 s25, s25, s49
	s_lshl_b64 s[24:25], s[24:25], 9
	s_add_u32 s24, s40, s24
	s_waitcnt lgkmcnt(6)
	v_mfma_f32_16x16x16_bf16 a[4:7], v[166:167], v[154:155], a[4:7]
	s_addc_u32 s25, s41, s25
	v_lshl_add_u64 v[188:189], v[84:85], 0, s[20:21]
	s_waitcnt lgkmcnt(5)
	v_mfma_f32_16x16x16_bf16 a[8:11], v[166:167], v[158:159], a[8:11]
	s_waitcnt lgkmcnt(4)
	v_mfma_f32_16x16x16_bf16 a[12:15], v[166:167], v[162:163], a[12:15]
	ds_read_b64 v[166:167], v141
	ds_read_b64 v[176:177], v142
	;; [unrolled: 1-line block ×3, first 2 shown]
	s_waitcnt lgkmcnt(2)
	v_mfma_f32_16x16x16_bf16 a[16:19], v[166:167], v[34:35], 0
	v_mfma_f32_16x16x16_bf16 a[20:23], v[166:167], v[36:37], 0
	global_load_dwordx4 v[34:37], v140, s[24:25]
	v_mfma_f32_16x16x16_bf16 a[24:27], v[166:167], v[38:39], 0
	v_mfma_f32_16x16x16_bf16 a[28:31], v[166:167], v[40:41], 0
	global_load_dwordx4 v[38:41], v47, s[24:25]
	v_mfma_f32_16x16x16_bf16 a[0:3], v[168:169], v[152:153], a[0:3]
	v_mfma_f32_16x16x16_bf16 a[4:7], v[168:169], v[156:157], a[4:7]
	;; [unrolled: 1-line block ×8, first 2 shown]
	ds_read2st64_b64 v[166:169], v127 offset1:8
	ds_read2st64_b64 v[170:173], v128 offset1:8
	ds_read_b64 v[186:187], v135 offset:40960
	s_waitcnt lgkmcnt(2)
	v_mov_b32_e32 v174, v166
	v_mfma_f32_16x16x16_bf16 a[16:19], v[176:177], v[150:151], a[16:19]
	v_mov_b32_e32 v175, v167
	v_mfma_f32_16x16x16_bf16 a[20:23], v[176:177], v[154:155], a[20:23]
	v_mfma_f32_16x16x16_bf16 a[24:27], v[176:177], v[158:159], a[24:27]
	;; [unrolled: 1-line block ×3, first 2 shown]
	v_add_co_u32_e32 v162, vcc, s37, v188
	s_waitcnt lgkmcnt(1)
	v_mov_b32_e32 v176, v170
	s_waitcnt lgkmcnt(0)
	v_mfma_f32_16x16x16_bf16 a[16:19], v[186:187], v[152:153], a[16:19]
	ds_read2st64_b64 v[150:153], v127 offset0:16 offset1:24
	v_addc_co_u32_e32 v163, vcc, 0, v189, vcc
	v_mfma_f32_16x16x16_bf16 a[20:23], v[186:187], v[156:157], a[20:23]
	ds_read2st64_b64 v[154:157], v128 offset0:16 offset1:24
	v_mov_b32_e32 v177, v171
	v_mov_b32_e32 v170, v168
	v_mfma_f32_16x16x16_bf16 a[32:35], v[186:187], v[160:161], a[24:27]
	v_mov_b32_e32 v171, v169
	s_waitcnt lgkmcnt(0)
	v_mov_b32_e32 v160, v154
	v_mov_b32_e32 v161, v155
	v_mfma_f32_16x16x16_bf16 a[36:39], v[186:187], v[164:165], a[28:31]
	v_mov_b32_e32 v154, v152
	v_mov_b32_e32 v155, v153
	;; [unrolled: 1-line block ×3, first 2 shown]
	v_mfma_f32_16x16x16_bf16 a[24:27], v[184:185], v[42:43], a[16:19]
	v_add_co_u32_e32 v42, vcc, s66, v188
	v_mov_b32_e32 v159, v151
	v_mfma_f32_16x16x16_bf16 a[28:31], v[184:185], v[178:179], a[20:23]
	v_addc_co_u32_e32 v43, vcc, 0, v189, vcc
	global_store_dwordx4 v[42:43], v[154:157], off
	v_mfma_f32_16x16x16_bf16 a[16:19], v[184:185], v[180:181], a[32:35]
	s_waitcnt vmcnt(2)
	v_mov_b32_e32 v44, v37
	v_mov_b32_e32 v43, v36
	;; [unrolled: 1-line block ×3, first 2 shown]
	v_mfma_f32_16x16x16_bf16 a[20:23], v[184:185], v[182:183], a[36:39]
	s_and_b64 vcc, exec, s[0:1]
	global_store_dwordx4 v[188:189], v[174:177], off
	global_store_dwordx4 v[162:163], v[170:173], off offset:-4096
	global_store_dwordx4 v[162:163], v[158:161], off
	s_cbranch_vccnz .LBB76_16
; %bb.15:                               ;   in Loop: Header=BB76_6 Depth=1
	v_lshrrev_b32_e32 v35, 3, v147
	v_and_b32_e32 v35, 6, v35
	v_xor_b32_e32 v36, v35, v148
	v_lshlrev_b32_e32 v36, 2, v36
	v_and_b32_e32 v37, 8, v147
	v_xor_b32_e32 v147, 0x440, v36
	v_cmp_eq_u32_e32 vcc, 0, v37
	v_perm_b32 v37, v22, v18, s63
	s_nop 0
	v_cndmask_b32_e32 v36, v147, v36, vcc
	v_lshl_or_b32 v35, v35, 10, v36
	v_perm_b32 v36, v30, v26, s63
	s_barrier
	ds_write2st64_b32 v35, v36, v37 offset0:128 offset1:160
	v_xor_b32_e32 v36, 8, v35
	v_perm_b32 v26, v30, v26, s64
	v_perm_b32 v18, v22, v18, s64
	v_add_u32_e32 v22, 0x80, v36
	ds_write2st64_b32 v22, v26, v18 offset0:128 offset1:160
	v_xor_b32_e32 v18, 16, v35
	v_perm_b32 v22, v31, v27, s63
	v_perm_b32 v26, v23, v19, s63
	ds_write2st64_b32 v18, v22, v26 offset0:129 offset1:161
	v_xor_b32_e32 v18, 24, v35
	v_perm_b32 v22, v31, v27, s64
	v_perm_b32 v19, v23, v19, s64
	v_add_u32_e32 v18, 0x80, v18
	ds_write2st64_b32 v18, v22, v19 offset0:129 offset1:161
	v_xor_b32_e32 v18, 32, v35
	v_perm_b32 v19, v32, v28, s63
	v_perm_b32 v22, v24, v20, s63
	;; [unrolled: 9-line block ×3, first 2 shown]
	ds_write2st64_b32 v18, v19, v20 offset0:131 offset1:163
	v_xor_b32_e32 v18, 56, v35
	v_perm_b32 v19, v33, v29, s64
	v_perm_b32 v20, v25, v21, s64
	v_add_u32_e32 v18, 0x80, v18
	ds_write2st64_b32 v18, v19, v20 offset0:131 offset1:163
	ds_write_b64 v146, v[14:15] offset:49152
	v_xor_b32_e32 v14, 8, v146
	ds_write_b64 v14, v[16:17] offset:49152
	ds_write_b64 v146, v[10:11] offset:57344
	ds_write_b64 v14, v[12:13] offset:57344
	ds_write_b64 v145, v[6:7] offset:49152
	v_xor_b32_e32 v6, 8, v145
	ds_write_b64 v6, v[8:9] offset:49152
	ds_write_b64 v145, v[2:3] offset:57344
	;; [unrolled: 1-line block ×3, first 2 shown]
.LBB76_16:                              ;   in Loop: Header=BB76_6 Depth=1
	v_mul_f32_e32 v26, s2, v144
	v_exp_f32_e32 v36, v26
	s_waitcnt vmcnt(4)
	v_mul_f32_e32 v26, 0x3fb8aa3b, v38
	v_exp_f32_e32 v38, v26
	v_mul_f32_e32 v26, 0x3fb8aa3b, v39
	v_exp_f32_e32 v39, v26
	;; [unrolled: 2-line block ×4, first 2 shown]
	v_accvgpr_read_b32 v5, a3
	v_accvgpr_read_b32 v4, a2
	;; [unrolled: 1-line block ×4, first 2 shown]
	v_pk_mul_f32 v[38:39], v[36:37], v[38:39] op_sel_hi:[0,1]
	v_pk_mul_f32 v[40:41], v[36:37], v[40:41] op_sel_hi:[0,1]
	v_pk_fma_f32 v[74:75], v[74:75], v[38:39], v[2:3]
	v_pk_fma_f32 v[78:79], v[78:79], v[40:41], v[4:5]
	v_mul_f32_e32 v2, 0x3fb8aa3b, v34
	v_mul_f32_e32 v3, 0x3fb8aa3b, v42
	;; [unrolled: 1-line block ×4, first 2 shown]
	v_exp_f32_e32 v2, v2
	v_exp_f32_e32 v3, v3
	;; [unrolled: 1-line block ×4, first 2 shown]
	v_accvgpr_read_b32 v9, a7
	v_accvgpr_read_b32 v13, a11
	;; [unrolled: 1-line block ×28, first 2 shown]
	v_pk_mul_f32 v[2:3], v[36:37], v[2:3] op_sel_hi:[0,1]
	v_pk_mul_f32 v[4:5], v[36:37], v[4:5] op_sel_hi:[0,1]
	s_add_i32 s62, s62, 64
	v_pk_fma_f32 v[66:67], v[38:39], v[66:67], v[6:7]
	v_pk_fma_f32 v[70:71], v[40:41], v[70:71], v[8:9]
	;; [unrolled: 1-line block ×13, first 2 shown]
	s_cmp_eq_u32 s52, s67
	v_pk_fma_f32 v[52:53], v[4:5], v[52:53], v[32:33]
	s_cbranch_scc1 .LBB76_18
; %bb.17:                               ;   in Loop: Header=BB76_6 Depth=1
	s_mov_b32 s68, s67
	s_branch .LBB76_6
.LBB76_18:
	s_lshl_b32 s26, s52, 6
	s_sub_i32 s27, s12, s26
	s_cmp_gt_i32 s27, 0
	s_cbranch_scc0 .LBB76_99
; %bb.19:
	s_ashr_i32 s2, s26, 31
	s_cmpk_lg_i32 s15, 0x80
	s_cselect_b64 s[22:23], -1, 0
	s_and_b64 vcc, exec, s[22:23]
	s_cbranch_vccz .LBB76_21
; %bb.20:
	s_mul_i32 s1, s51, s12
	s_mul_hi_i32 s0, s51, s12
	s_add_u32 s1, s1, s26
	s_addc_u32 s0, s0, s2
	s_mul_i32 s3, s1, s53
	s_mul_hi_u32 s17, s1, s14
	s_add_i32 s3, s17, s3
	s_mul_i32 s0, s0, s14
	s_add_i32 s3, s3, s0
	s_mul_i32 s1, s1, s14
	s_ashr_i32 s0, s54, 31
	s_add_u32 s24, s1, s54
	s_addc_u32 s25, s3, s0
	s_cbranch_execz .LBB76_22
	s_branch .LBB76_23
.LBB76_21:
                                        ; implicit-def: $sgpr24_sgpr25
.LBB76_22:
	s_mul_hi_i32 s0, s51, s14
	s_mul_i32 s51, s51, s14
	s_ashr_i32 s1, s54, 31
	s_add_u32 s3, s51, s54
	s_addc_u32 s0, s0, s1
	s_mul_i32 s1, s3, s50
	s_mul_hi_u32 s14, s3, s12
	s_add_i32 s1, s14, s1
	s_mul_i32 s0, s0, s12
	s_add_i32 s1, s1, s0
	s_mul_i32 s3, s3, s12
	s_add_u32 s24, s3, s26
	s_addc_u32 s25, s1, s2
.LBB76_23:
	s_mul_i32 s0, s38, s50
	s_add_i32 s0, s57, s0
	s_add_i32 s3, s55, s52
	;; [unrolled: 1-line block ×3, first 2 shown]
	s_add_u32 s0, s16, s26
	v_lshlrev_b32_e32 v6, 6, v91
	v_lshlrev_b32_e32 v24, 2, v88
	s_addc_u32 s1, s1, s2
	s_mov_b32 s2, 0x7060302
	v_or_b32_e32 v9, v6, v24
	v_xor_b32_e32 v7, v91, v24
	v_perm_b32 v3, v79, v78, s2
	v_perm_b32 v2, v75, v74, s2
	;; [unrolled: 1-line block ×4, first 2 shown]
	v_lshlrev_b32_e32 v9, 1, v9
	v_xor_b32_e32 v8, v92, v24
	ds_write2st64_b64 v9, v[2:3], v[4:5] offset0:32 offset1:48
	v_lshlrev_b32_e32 v7, 1, v7
	v_lshlrev_b32_e32 v9, 8, v88
	v_or_b32_e32 v10, v7, v9
	v_lshlrev_b32_e32 v8, 1, v8
	ds_write_b64 v10, v[2:3]
	v_or_b32_e32 v2, v8, v9
	v_or_b32_e32 v9, 16, v88
	v_lshlrev_b32_e32 v23, 2, v9
	v_or_b32_e32 v10, v6, v23
	ds_write_b64 v2, v[4:5]
	v_perm_b32 v3, v71, v70, s2
	v_perm_b32 v2, v67, v66, s2
	;; [unrolled: 1-line block ×4, first 2 shown]
	v_lshlrev_b32_e32 v10, 1, v10
	v_lshlrev_b32_e32 v9, 8, v9
	ds_write2st64_b64 v10, v[2:3], v[4:5] offset0:32 offset1:48
	v_or_b32_e32 v10, v7, v9
	ds_write_b64 v10, v[2:3]
	v_or_b32_e32 v2, v8, v9
	v_or_b32_e32 v9, 32, v88
	v_lshlrev_b32_e32 v22, 2, v9
	v_or_b32_e32 v10, v6, v22
	s_lshl_b64 s[20:21], s[0:1], 8
	ds_write_b64 v2, v[4:5]
	v_perm_b32 v3, v63, v62, s2
	v_perm_b32 v2, v59, v58, s2
	;; [unrolled: 1-line block ×4, first 2 shown]
	v_lshlrev_b32_e32 v10, 1, v10
	v_lshlrev_b32_e32 v9, 8, v9
	s_add_u32 s0, s6, s20
	ds_write2st64_b64 v10, v[2:3], v[4:5] offset0:32 offset1:48
	v_or_b32_e32 v10, v7, v9
	s_addc_u32 s1, s7, s21
	ds_write_b64 v10, v[2:3]
	v_or_b32_e32 v2, v8, v9
	v_or_b32_e32 v9, 48, v88
	s_mul_hi_i32 s6, s3, s13
	s_mul_i32 s3, s3, s13
	ds_write_b64 v2, v[4:5]
	v_perm_b32 v3, v55, v54, s2
	v_perm_b32 v2, v51, v50, s2
	;; [unrolled: 1-line block ×4, first 2 shown]
	v_lshlrev_b32_e32 v19, 2, v9
	s_add_u32 s2, s3, s48
	v_or_b32_e32 v6, v6, v19
	s_addc_u32 s3, s6, s49
	v_lshlrev_b32_e32 v6, 1, v6
	s_ashr_i32 s37, s36, 31
	s_lshl_b64 s[2:3], s[2:3], 15
	ds_write2st64_b64 v6, v[2:3], v[4:5] offset0:32 offset1:48
	v_lshlrev_b32_e32 v6, 8, v9
	s_add_u32 s6, s18, s2
	v_or_b32_e32 v7, v7, v6
	s_addc_u32 s7, s19, s3
	s_lshl_b64 s[2:3], s[36:37], 8
	ds_write_b64 v7, v[2:3]
	v_or_b32_e32 v2, v8, v6
	s_add_u32 s2, s6, s2
	v_lshlrev_b32_e32 v3, 1, v88
	ds_write_b64 v2, v[4:5]
	v_lshrrev_b32_e32 v2, 4, v0
	s_addc_u32 s3, s7, s3
	v_or_b32_e32 v4, 1, v3
	v_lshlrev_b32_e32 v10, 4, v88
	v_mov_b32_e32 v11, 0
	v_xor_b32_e32 v3, v2, v3
	v_xor_b32_e32 v6, v4, v2
	v_lshl_add_u64 v[12:13], s[2:3], 0, v[10:11]
	v_lshlrev_b32_e32 v10, 8, v2
	v_lshl_or_b32 v16, v3, 3, v10
	v_lshl_or_b32 v17, v6, 3, v10
	s_waitcnt lgkmcnt(0)
	s_barrier
	ds_read2st64_b64 v[2:5], v16 offset1:8
	ds_read2st64_b64 v[6:9], v17 offset1:8
	v_lshl_add_u64 v[14:15], v[12:13], 0, v[10:11]
	s_movk_i32 s2, 0x2000
	s_cmp_lg_u32 s27, 64
	s_waitcnt lgkmcnt(1)
	v_mov_b32_e32 v10, v2
	v_mov_b32_e32 v11, v3
	s_waitcnt lgkmcnt(0)
	v_mov_b32_e32 v12, v6
	v_mov_b32_e32 v13, v7
	global_store_dwordx4 v[14:15], v[10:13], off
	v_mov_b32_e32 v6, v4
	v_mov_b32_e32 v7, v5
	ds_read2st64_b64 v[2:5], v16 offset0:16 offset1:24
	ds_read2st64_b64 v[10:13], v17 offset0:16 offset1:24
	v_add_co_u32_e32 v16, vcc, s2, v14
	s_cselect_b64 s[6:7], -1, 0
	s_nop 0
	v_addc_co_u32_e32 v17, vcc, 0, v15, vcc
	global_store_dwordx4 v[16:17], v[6:9], off offset:-4096
	v_lshl_or_b32 v25, v86, 3, v90
	s_mov_b32 s16, 0
	s_waitcnt lgkmcnt(1)
	v_mov_b32_e32 v6, v2
	v_add_co_u32_e32 v2, vcc, 0x3000, v14
	v_mov_b32_e32 v7, v3
	s_nop 0
	v_addc_co_u32_e32 v3, vcc, 0, v15, vcc
	s_waitcnt lgkmcnt(0)
	v_mov_b32_e32 v8, v10
	v_mov_b32_e32 v9, v11
	;; [unrolled: 1-line block ×4, first 2 shown]
	v_or_b32_e32 v20, 32, v25
	v_and_b32_e32 v18, 56, v89
	s_and_b64 vcc, exec, s[6:7]
	global_store_dwordx4 v[16:17], v[6:9], off
	global_store_dwordx4 v[2:3], v[10:13], off
	s_cbranch_vccz .LBB76_29
; %bb.24:
	s_mov_b32 s17, s16
	s_mov_b32 s18, s16
	;; [unrolled: 1-line block ×3, first 2 shown]
	v_mov_b64_e32 v[6:7], s[16:17]
	v_mov_b64_e32 v[8:9], s[18:19]
	;; [unrolled: 1-line block ×3, first 2 shown]
	v_cmp_gt_i32_e32 vcc, s27, v25
	v_mov_b64_e32 v[4:5], v[8:9]
	s_and_saveexec_b64 s[2:3], vcc
	s_cbranch_execz .LBB76_26
; %bb.25:
	v_lshlrev_b32_e32 v2, 8, v25
	v_mov_b32_e32 v3, 0
	v_lshl_add_u64 v[4:5], s[0:1], 0, v[2:3]
	v_lshlrev_b32_e32 v2, 1, v18
	v_lshl_add_u64 v[10:11], v[4:5], 0, v[2:3]
	global_load_dwordx4 v[6:9], v[10:11], off
	global_load_dwordx4 v[2:5], v[10:11], off offset:128
.LBB76_26:
	s_or_b64 exec, exec, s[2:3]
	s_mov_b32 s17, s16
	s_mov_b32 s18, s16
	;; [unrolled: 1-line block ×3, first 2 shown]
	v_mov_b64_e32 v[14:15], s[16:17]
	v_mov_b64_e32 v[16:17], s[18:19]
	;; [unrolled: 1-line block ×3, first 2 shown]
	v_cmp_gt_i32_e32 vcc, s27, v20
	v_lshlrev_b32_e32 v21, 7, v20
	v_mov_b64_e32 v[12:13], v[16:17]
	s_and_saveexec_b64 s[2:3], vcc
	s_cbranch_execz .LBB76_28
; %bb.27:
	v_lshlrev_b32_e32 v10, 1, v21
	v_mov_b32_e32 v11, 0
	v_lshl_add_u64 v[12:13], s[0:1], 0, v[10:11]
	v_lshlrev_b32_e32 v10, 1, v18
	v_lshl_add_u64 v[26:27], v[12:13], 0, v[10:11]
	global_load_dwordx4 v[14:17], v[26:27], off
	global_load_dwordx4 v[10:13], v[26:27], off offset:128
.LBB76_28:
	s_or_b64 exec, exec, s[2:3]
	v_lshrrev_b32_e32 v26, 3, v18
	v_lshlrev_b32_e32 v27, 3, v25
	v_or_b32_e32 v26, v27, v26
	v_lshlrev_b32_e32 v26, 4, v26
	v_and_b32_e32 v27, 0x78, v27
	v_xor_b32_e32 v26, v26, v27
	s_branch .LBB76_31
.LBB76_29:
                                        ; implicit-def: $vgpr26
                                        ; implicit-def: $vgpr21
                                        ; implicit-def: $vgpr6_vgpr7_vgpr8_vgpr9
                                        ; implicit-def: $vgpr2_vgpr3_vgpr4_vgpr5
                                        ; implicit-def: $vgpr14_vgpr15_vgpr16_vgpr17
                                        ; implicit-def: $vgpr10_vgpr11_vgpr12_vgpr13
	s_cbranch_execz .LBB76_31
; %bb.30:
	s_waitcnt vmcnt(0)
	v_lshlrev_b32_e32 v2, 1, v18
	v_lshl_or_b32 v21, v25, 8, v2
	s_and_b32 s1, s1, 0xffff
	s_mov_b32 s3, 0x20000
	s_movk_i32 s2, 0x4000
	v_lshl_or_b32 v26, v20, 8, v2
	s_movk_i32 s13, 0x80
	buffer_load_dwordx4 v[6:9], v21, s[0:3], 0 offen
	buffer_load_dwordx4 v[2:5], v21, s[0:3], s13 offen
	;; [unrolled: 1-line block ×4, first 2 shown]
	v_lshrrev_b32_e32 v21, 3, v18
	v_lshlrev_b32_e32 v26, 3, v25
	v_or_b32_e32 v21, v26, v21
	v_lshlrev_b32_e32 v21, 4, v21
	v_and_b32_e32 v26, 0x78, v26
	v_xor_b32_e32 v26, v21, v26
	v_lshlrev_b32_e32 v21, 7, v20
.LBB76_31:
	s_movk_i32 s0, 0x1000
	v_and_or_b32 v20, v21, s0, v26
	s_waitcnt vmcnt(1)
	ds_write_b64 v26, v[6:7] offset:49152
	v_xor_b32_e32 v6, 8, v26
	ds_write_b64 v6, v[8:9] offset:49152
	s_waitcnt vmcnt(0)
	ds_write_b64 v26, v[2:3] offset:57344
	ds_write_b64 v6, v[4:5] offset:57344
	;; [unrolled: 1-line block ×3, first 2 shown]
	v_xor_b32_e32 v2, 8, v20
	ds_write_b64 v2, v[16:17] offset:49152
	ds_write_b64 v20, v[10:11] offset:57344
	;; [unrolled: 1-line block ×3, first 2 shown]
	v_or_b32_e32 v2, v1, v88
	v_lshlrev_b32_e32 v3, 11, v86
	v_lshlrev_b32_e32 v2, 3, v2
	v_and_b32_e32 v6, 0x1000, v3
	v_lshrrev_b32_e32 v3, 5, v45
	s_movk_i32 s0, 0xf8
	v_and_or_b32 v3, v2, s0, v3
	v_lshlrev_b32_e32 v7, 4, v3
	v_and_b32_e32 v8, 0x78, v2
	v_or_b32_e32 v10, 32, v7
	v_lshrrev_b32_e32 v3, 1, v45
	v_xor_b32_e32 v10, v10, v8
	v_xor_b32_e32 v2, v7, v8
	v_and_b32_e32 v9, 8, v3
	v_or_b32_e32 v10, v10, v6
	v_or_b32_e32 v2, v2, v6
	v_xor_b32_e32 v28, v10, v9
	v_or_b32_e32 v10, 64, v7
	v_xor_b32_e32 v27, v2, v9
	v_xor_b32_e32 v10, v10, v8
	s_waitcnt lgkmcnt(0)
	s_barrier
	v_or_b32_e32 v13, v10, v6
	ds_read_b64 v[10:11], v27 offset:49152
	v_lshl_or_b32 v14, v87, 8, v24
	v_lshlrev_b32_e32 v26, 1, v14
	v_add_u32_e32 v12, 0x4000, v26
	ds_read2_b64 v[2:5], v12 offset1:16
	v_or_b32_e32 v7, 0x60, v7
	v_xor_b32_e32 v7, v7, v8
	v_or_b32_e32 v6, v7, v6
	v_xor_b32_e32 v29, v13, v9
	v_xor_b32_e32 v30, v6, v9
	ds_read_b64 v[20:21], v28 offset:49152
	ds_read_b64 v[34:35], v29 offset:49152
	;; [unrolled: 1-line block ×3, first 2 shown]
	s_waitcnt lgkmcnt(3)
	v_mfma_f32_16x16x16_bf16 a[0:3], v[10:11], v[2:3], 0
	ds_read2st64_b64 v[6:9], v26 offset0:36 offset1:40
	s_lshl_b64 s[0:1], s[24:25], 8
	s_add_u32 s4, s4, s0
	v_mfma_f32_16x16x16_bf16 a[4:7], v[10:11], v[4:5], 0
	ds_read2_b64 v[2:5], v12 offset0:32 offset1:48
	s_addc_u32 s5, s5, s1
	s_add_i32 s1, s44, s33
	s_waitcnt lgkmcnt(0)
	v_mfma_f32_16x16x16_bf16 a[8:11], v[10:11], v[2:3], 0
	v_or_b32_e32 v2, 64, v14
	v_lshlrev_b32_e32 v31, 1, v2
	s_add_i32 s0, s12, -1
	v_mfma_f32_16x16x16_bf16 a[12:15], v[10:11], v[4:5], 0
	ds_read2st64_b64 v[2:5], v31 offset0:36 offset1:40
	s_add_i32 s35, s1, s39
	s_add_i32 s1, s46, s45
	v_mfma_f32_16x16x16_bf16 a[0:3], v[20:21], v[6:7], a[0:3]
	v_or_b32_e32 v6, 0x80, v14
	v_lshlrev_b32_e32 v32, 1, v6
	ds_read2st64_b64 v[10:13], v32 offset0:36 offset1:40
	s_waitcnt lgkmcnt(1)
	v_mfma_f32_16x16x16_bf16 a[4:7], v[20:21], v[2:3], a[4:7]
	v_or_b32_e32 v2, 0xc0, v14
	v_lshlrev_b32_e32 v33, 1, v2
	ds_read2st64_b64 v[14:17], v33 offset0:36 offset1:40
	s_add_i32 s31, s1, s47
	s_ashr_i32 s1, s0, 31
	s_mul_i32 s2, s0, s29
	s_mul_hi_u32 s3, s0, s28
	s_add_i32 s2, s3, s2
	s_mul_i32 s1, s1, s28
	s_waitcnt lgkmcnt(1)
	v_mfma_f32_16x16x16_bf16 a[8:11], v[20:21], v[10:11], a[8:11]
	s_add_i32 s1, s2, s1
	s_lshl_b64 s[2:3], s[34:35], 2
	s_add_u32 s10, s10, s2
	s_waitcnt lgkmcnt(0)
	v_mfma_f32_16x16x16_bf16 a[12:15], v[20:21], v[14:15], a[12:15]
	s_addc_u32 s11, s11, s3
	s_lshl_b64 s[2:3], s[30:31], 2
	s_mul_i32 s0, s0, s28
	v_mfma_f32_16x16x16_bf16 a[0:3], v[34:35], v[8:9], a[0:3]
	ds_read_b64 v[2:3], v26 offset:22528
	s_add_u32 s10, s10, s2
	s_addc_u32 s11, s11, s3
	v_mfma_f32_16x16x16_bf16 a[4:7], v[34:35], v[4:5], a[4:7]
	ds_read_b64 v[4:5], v31 offset:22528
	ds_read_b64 v[6:7], v32 offset:22528
	ds_read_b64 v[8:9], v33 offset:22528
	s_lshl_b64 s[0:1], s[0:1], 2
	s_add_u32 s0, s10, s0
	v_mfma_f32_16x16x16_bf16 a[8:11], v[34:35], v[12:13], a[8:11]
	s_addc_u32 s1, s11, s1
	s_load_dword s12, s[0:1], 0x0
	s_and_b64 vcc, exec, s[22:23]
	v_mfma_f32_16x16x16_bf16 a[12:15], v[34:35], v[16:17], a[12:15]
	s_waitcnt lgkmcnt(0)
	v_mfma_f32_16x16x16_bf16 a[0:3], v[36:37], v[2:3], a[0:3]
	v_mfma_f32_16x16x16_bf16 a[4:7], v[36:37], v[4:5], a[4:7]
	;; [unrolled: 1-line block ×4, first 2 shown]
	s_cbranch_vccz .LBB76_42
; %bb.32:
	v_lshlrev_b32_e32 v20, 1, v25
	s_and_b64 vcc, exec, s[6:7]
	s_cbranch_vccz .LBB76_43
; %bb.33:
	v_cmp_gt_i32_e32 vcc, s27, v20
	v_mov_b32_e32 v6, 0
	v_mov_b32_e32 v2, 0
	;; [unrolled: 1-line block ×5, first 2 shown]
	s_and_saveexec_b64 s[0:1], vcc
	s_cbranch_execz .LBB76_35
; %bb.34:
	v_mad_i64_i32 v[2:3], s[2:3], s15, v20, 0
	v_lshl_add_u64 v[2:3], v[2:3], 1, s[4:5]
	v_lshlrev_b32_e32 v4, 1, v18
	v_mov_b32_e32 v5, 0
	v_lshl_add_u64 v[2:3], v[2:3], 0, v[4:5]
	global_load_dwordx4 v[2:5], v[2:3], off
.LBB76_35:
	s_or_b64 exec, exec, s[0:1]
	v_or_b32_e32 v21, 1, v20
	v_cmp_gt_i32_e64 s[0:1], s27, v21
	v_mov_b32_e32 v7, 0
	v_mov_b32_e32 v8, 0
	;; [unrolled: 1-line block ×3, first 2 shown]
	s_and_saveexec_b64 s[2:3], s[0:1]
	s_cbranch_execz .LBB76_37
; %bb.36:
	v_mad_i64_i32 v[6:7], s[16:17], s15, v21, 0
	v_lshl_add_u64 v[6:7], v[6:7], 1, s[4:5]
	v_lshlrev_b32_e32 v8, 1, v18
	v_mov_b32_e32 v9, 0
	v_lshl_add_u64 v[6:7], v[6:7], 0, v[8:9]
	global_load_dwordx4 v[6:9], v[6:7], off
.LBB76_37:
	s_or_b64 exec, exec, s[2:3]
	v_mov_b32_e32 v17, 0
	v_mov_b32_e32 v10, 0
	v_mov_b32_e32 v11, 0
	v_mov_b32_e32 v12, 0
	v_mov_b32_e32 v13, 0
	s_and_saveexec_b64 s[2:3], vcc
	s_cbranch_execz .LBB76_39
; %bb.38:
	v_mad_i64_i32 v[10:11], s[16:17], s15, v20, 0
	v_lshl_add_u64 v[10:11], v[10:11], 1, s[4:5]
	v_lshlrev_b32_e32 v12, 1, v18
	v_mov_b32_e32 v13, 0
	v_lshl_add_u64 v[10:11], v[10:11], 0, v[12:13]
	global_load_dwordx4 v[10:13], v[10:11], off offset:128
.LBB76_39:
	s_or_b64 exec, exec, s[2:3]
	v_mov_b32_e32 v16, 0
	v_mov_b32_e32 v15, 0
	v_mov_b32_e32 v14, 0
	s_and_saveexec_b64 s[2:3], s[0:1]
	s_cbranch_execz .LBB76_41
; %bb.40:
	v_mad_i64_i32 v[14:15], s[0:1], s15, v21, 0
	v_lshl_add_u64 v[14:15], v[14:15], 1, s[4:5]
	v_lshlrev_b32_e32 v16, 1, v18
	v_mov_b32_e32 v17, 0
	v_lshl_add_u64 v[14:15], v[14:15], 0, v[16:17]
	global_load_dwordx4 v[14:17], v[14:15], off offset:128
.LBB76_41:
	s_or_b64 exec, exec, s[2:3]
	s_branch .LBB76_45
.LBB76_42:
                                        ; implicit-def: $vgpr5
                                        ; implicit-def: $vgpr9
                                        ; implicit-def: $vgpr13
                                        ; implicit-def: $vgpr17
	v_lshrrev_b32_e32 v34, 2, v45
	s_branch .LBB76_46
.LBB76_43:
                                        ; implicit-def: $vgpr5
                                        ; implicit-def: $vgpr9
                                        ; implicit-def: $vgpr13
                                        ; implicit-def: $vgpr17
	s_cbranch_execz .LBB76_45
; %bb.44:
	s_waitcnt vmcnt(0)
	v_mad_u64_u32 v[2:3], s[0:1], v20, s15, v[18:19]
	v_lshlrev_b32_e32 v20, 1, v2
	s_lshl_b32 s2, s15, 7
	s_and_b32 s1, s5, 0xffff
	s_mov_b32 s3, 0x20000
	s_mov_b32 s0, s4
	v_add_lshl_u32 v21, v2, s15, 1
	s_movk_i32 s13, 0x80
	buffer_load_dwordx4 v[2:5], v20, s[0:3], 0 offen
	buffer_load_dwordx4 v[10:13], v20, s[0:3], s13 offen
	;; [unrolled: 1-line block ×4, first 2 shown]
.LBB76_45:
	v_lshrrev_b32_e32 v34, 2, v45
	s_cbranch_execnz .LBB76_58
.LBB76_46:
	s_and_b64 vcc, exec, s[6:7]
	s_cbranch_vccz .LBB76_56
; %bb.47:
	s_waitcnt vmcnt(0)
	v_lshlrev_b32_e32 v7, 1, v25
	v_cmp_gt_i32_e32 vcc, s27, v7
	v_mov_b32_e32 v6, 0
	v_lshlrev_b32_e32 v14, 9, v25
	v_mov_b32_e32 v2, 0
	v_mov_b32_e32 v3, 0
	v_mov_b32_e32 v4, 0
	v_mov_b32_e32 v5, 0
	s_and_saveexec_b64 s[0:1], vcc
	s_cbranch_execz .LBB76_49
; %bb.48:
	v_mov_b32_e32 v15, 0
	v_lshl_add_u64 v[2:3], s[4:5], 0, v[14:15]
	v_lshlrev_b32_e32 v4, 1, v18
	v_mov_b32_e32 v5, v15
	v_lshl_add_u64 v[2:3], v[2:3], 0, v[4:5]
	global_load_dwordx4 v[2:5], v[2:3], off
.LBB76_49:
	s_or_b64 exec, exec, s[0:1]
	v_or_b32_e32 v7, 1, v7
	v_cmp_gt_i32_e64 s[0:1], s27, v7
	v_lshlrev_b32_e32 v20, 8, v7
	v_mov_b32_e32 v7, 0
	v_mov_b32_e32 v8, 0
	;; [unrolled: 1-line block ×3, first 2 shown]
	s_and_saveexec_b64 s[2:3], s[0:1]
	s_cbranch_execz .LBB76_51
; %bb.50:
	v_mov_b32_e32 v21, 0
	v_lshl_add_u64 v[6:7], s[4:5], 0, v[20:21]
	v_lshlrev_b32_e32 v8, 1, v18
	v_mov_b32_e32 v9, v21
	v_lshl_add_u64 v[6:7], v[6:7], 0, v[8:9]
	global_load_dwordx4 v[6:9], v[6:7], off
.LBB76_51:
	s_or_b64 exec, exec, s[2:3]
	v_mov_b32_e32 v17, 0
	v_mov_b32_e32 v10, 0
	;; [unrolled: 1-line block ×5, first 2 shown]
	s_and_saveexec_b64 s[2:3], vcc
	s_cbranch_execz .LBB76_53
; %bb.52:
	v_mov_b32_e32 v15, 0
	v_lshl_add_u64 v[10:11], s[4:5], 0, v[14:15]
	v_lshlrev_b32_e32 v14, 1, v18
	v_lshl_add_u64 v[10:11], v[10:11], 0, v[14:15]
	global_load_dwordx4 v[10:13], v[10:11], off offset:128
.LBB76_53:
	s_or_b64 exec, exec, s[2:3]
	v_mov_b32_e32 v16, 0
	v_mov_b32_e32 v15, 0
	;; [unrolled: 1-line block ×3, first 2 shown]
	s_and_saveexec_b64 s[2:3], s[0:1]
	s_cbranch_execz .LBB76_55
; %bb.54:
	v_mov_b32_e32 v21, 0
	v_lshl_add_u64 v[14:15], s[4:5], 0, v[20:21]
	v_lshlrev_b32_e32 v20, 1, v18
	v_lshl_add_u64 v[14:15], v[14:15], 0, v[20:21]
	global_load_dwordx4 v[14:17], v[14:15], off offset:128
.LBB76_55:
	s_or_b64 exec, exec, s[2:3]
	s_branch .LBB76_58
.LBB76_56:
                                        ; implicit-def: $vgpr5
                                        ; implicit-def: $vgpr9
                                        ; implicit-def: $vgpr13
                                        ; implicit-def: $vgpr17
	s_cbranch_execz .LBB76_58
; %bb.57:
	s_waitcnt vmcnt(0)
	v_lshlrev_b32_e32 v2, 1, v18
	v_lshl_or_b32 v18, v25, 9, v2
	s_and_b32 s5, s5, 0xffff
	s_mov_b32 s7, 0x20000
	s_movk_i32 s6, 0x4000
	s_movk_i32 s0, 0x80
	buffer_load_dwordx4 v[2:5], v18, s[4:7], 0 offen
	buffer_load_dwordx4 v[6:9], v18, s[4:7], 0 offen offset:256
	buffer_load_dwordx4 v[10:13], v18, s[4:7], s0 offen
	buffer_load_dwordx4 v[14:17], v18, s[4:7], s0 offen offset:256
.LBB76_58:
	ds_read_b64 v[20:21], v27 offset:57344
	v_add_u32_e32 v18, 0x6000, v26
	ds_read2_b64 v[36:39], v18 offset1:16
	ds_read_b64 v[44:45], v28 offset:57344
	ds_read_b64 v[28:29], v29 offset:57344
	;; [unrolled: 1-line block ×3, first 2 shown]
	ds_read2st64_b64 v[40:43], v26 offset0:52 offset1:56
	s_mov_b32 s0, 0x1000504
	s_mov_b32 s1, 0x3020706
	s_waitcnt lgkmcnt(4)
	v_mfma_f32_16x16x16_bf16 a[0:3], v[20:21], v[36:37], a[0:3]
	v_mfma_f32_16x16x16_bf16 a[4:7], v[20:21], v[38:39], a[4:7]
	ds_read2_b64 v[36:39], v18 offset0:32 offset1:48
	v_and_b32_e32 v18, 6, v0
	v_xor_b32_e32 v25, v25, v18
	s_waitcnt lgkmcnt(0)
	v_mfma_f32_16x16x16_bf16 a[8:11], v[20:21], v[36:37], a[8:11]
	v_lshlrev_b32_e32 v25, 2, v25
	v_and_b32_e32 v0, 1, v0
	v_xor_b32_e32 v35, 0x440, v25
	v_mfma_f32_16x16x16_bf16 a[12:15], v[20:21], v[38:39], a[12:15]
	ds_read2st64_b64 v[36:39], v31 offset0:52 offset1:56
	ds_read2st64_b64 v[48:51], v32 offset0:52 offset1:56
	;; [unrolled: 1-line block ×3, first 2 shown]
	v_cmp_eq_u32_e32 vcc, 0, v0
	ds_read_b64 v[20:21], v26 offset:30720
	ds_read_b64 v[26:27], v31 offset:30720
	;; [unrolled: 1-line block ×4, first 2 shown]
	v_mfma_f32_16x16x16_bf16 a[0:3], v[44:45], v[40:41], a[0:3]
	v_cndmask_b32_e32 v0, v35, v25, vcc
	v_lshl_or_b32 v0, v18, 10, v0
	s_waitcnt vmcnt(0)
	v_perm_b32 v18, v2, v6, s0
	s_waitcnt lgkmcnt(6)
	v_mfma_f32_16x16x16_bf16 a[4:7], v[44:45], v[36:37], a[4:7]
	v_perm_b32 v25, v10, v14, s0
	ds_write2st64_b32 v0, v18, v25 offset0:128 offset1:160
	v_xor_b32_e32 v18, 8, v0
	s_waitcnt lgkmcnt(6)
	v_mfma_f32_16x16x16_bf16 a[8:11], v[44:45], v[48:49], a[8:11]
	v_perm_b32 v2, v2, v6, s1
	v_perm_b32 v6, v10, v14, s1
	v_add_u32_e32 v10, 0x80, v18
	s_waitcnt lgkmcnt(5)
	v_mfma_f32_16x16x16_bf16 a[12:15], v[44:45], v[52:53], a[12:15]
	ds_write2st64_b32 v10, v2, v6 offset0:128 offset1:160
	v_xor_b32_e32 v2, 16, v0
	v_perm_b32 v6, v3, v7, s0
	v_mfma_f32_16x16x16_bf16 a[0:3], v[28:29], v[42:43], a[0:3]
	v_perm_b32 v10, v11, v15, s0
	ds_write2st64_b32 v2, v6, v10 offset0:129 offset1:161
	v_xor_b32_e32 v2, 24, v0
	v_mfma_f32_16x16x16_bf16 a[4:7], v[28:29], v[38:39], a[4:7]
	v_perm_b32 v3, v3, v7, s1
	v_perm_b32 v6, v11, v15, s1
	v_add_u32_e32 v2, 0x80, v2
	v_mfma_f32_16x16x16_bf16 a[16:19], v[28:29], v[50:51], a[8:11]
	ds_write2st64_b32 v2, v3, v6 offset0:129 offset1:161
	v_xor_b32_e32 v2, 32, v0
	v_perm_b32 v3, v4, v8, s0
	v_mfma_f32_16x16x16_bf16 a[20:23], v[28:29], v[54:55], a[12:15]
	v_perm_b32 v6, v12, v16, s0
	ds_write2st64_b32 v2, v3, v6 offset0:130 offset1:162
	v_xor_b32_e32 v2, 40, v0
	s_waitcnt lgkmcnt(8)
	v_mfma_f32_16x16x16_bf16 a[12:15], v[56:57], v[20:21], a[0:3]
	v_perm_b32 v3, v4, v8, s1
	v_perm_b32 v4, v12, v16, s1
	v_add_u32_e32 v2, 0x80, v2
	s_waitcnt lgkmcnt(7)
	v_mfma_f32_16x16x16_bf16 a[8:11], v[56:57], v[26:27], a[4:7]
	ds_write2st64_b32 v2, v3, v4 offset0:130 offset1:162
	v_xor_b32_e32 v2, 48, v0
	v_perm_b32 v3, v5, v9, s0
	s_waitcnt lgkmcnt(7)
	v_mfma_f32_16x16x16_bf16 a[4:7], v[56:57], v[30:31], a[16:19]
	v_perm_b32 v4, v13, v17, s0
	v_xor_b32_e32 v0, 56, v0
	v_and_or_b32 v18, v34, 12, v1
	s_waitcnt lgkmcnt(6)
	v_mfma_f32_16x16x16_bf16 a[0:3], v[56:57], v[32:33], a[20:23]
	ds_write2st64_b32 v2, v3, v4 offset0:131 offset1:163
	v_perm_b32 v2, v5, v9, s1
	v_perm_b32 v3, v13, v17, s1
	v_add_u32_e32 v0, 0x80, v0
	v_cmp_gt_i32_e32 vcc, s27, v18
	v_mov_b32_e32 v14, 0
	v_mov_b32_e32 v16, 0
	ds_write2st64_b32 v0, v2, v3 offset0:131 offset1:163
	s_and_saveexec_b64 s[0:1], vcc
	s_cbranch_execz .LBB76_60
; %bb.59:
	v_add_u32_e32 v0, s26, v18
	v_ashrrev_i32_e32 v1, 31, v0
	v_mul_lo_u32 v2, v1, s28
	v_mul_lo_u32 v3, v0, s29
	v_mad_u64_u32 v[0:1], s[2:3], v0, s28, 0
	v_add3_u32 v1, v1, v3, v2
	v_lshl_add_u64 v[0:1], v[0:1], 2, s[10:11]
	global_load_dword v0, v[0:1], off
	s_waitcnt vmcnt(0)
	v_sub_f32_e32 v0, s12, v0
	v_mul_f32_e32 v0, 0x3fb8aa3b, v0
	v_exp_f32_e32 v16, v0
.LBB76_60:
	s_or_b64 exec, exec, s[0:1]
	v_or_b32_e32 v8, 1, v18
	v_cmp_gt_i32_e64 s[0:1], s27, v8
	s_and_saveexec_b64 s[2:3], s[0:1]
	s_cbranch_execz .LBB76_62
; %bb.61:
	v_add_u32_e32 v0, s26, v8
	v_ashrrev_i32_e32 v1, 31, v0
	v_mul_lo_u32 v2, v1, s28
	v_mul_lo_u32 v3, v0, s29
	v_mad_u64_u32 v[0:1], s[4:5], v0, s28, 0
	v_add3_u32 v1, v1, v3, v2
	v_lshl_add_u64 v[0:1], v[0:1], 2, s[10:11]
	global_load_dword v0, v[0:1], off
	s_waitcnt vmcnt(0)
	v_sub_f32_e32 v0, s12, v0
	v_mul_f32_e32 v0, 0x3fb8aa3b, v0
	v_exp_f32_e32 v14, v0
.LBB76_62:
	s_or_b64 exec, exec, s[2:3]
	v_or_b32_e32 v10, 2, v18
	v_cmp_gt_i32_e64 s[2:3], s27, v10
	v_mov_b32_e32 v15, 0
	v_mov_b32_e32 v17, 0
	s_and_saveexec_b64 s[4:5], s[2:3]
	s_cbranch_execz .LBB76_64
; %bb.63:
	v_add_u32_e32 v0, s26, v10
	v_ashrrev_i32_e32 v1, 31, v0
	v_mul_lo_u32 v2, v1, s28
	v_mul_lo_u32 v3, v0, s29
	v_mad_u64_u32 v[0:1], s[6:7], v0, s28, 0
	v_add3_u32 v1, v1, v3, v2
	v_lshl_add_u64 v[0:1], v[0:1], 2, s[10:11]
	global_load_dword v0, v[0:1], off
	s_waitcnt vmcnt(0)
	v_sub_f32_e32 v0, s12, v0
	v_mul_f32_e32 v0, 0x3fb8aa3b, v0
	v_exp_f32_e32 v17, v0
.LBB76_64:
	s_or_b64 exec, exec, s[4:5]
	v_or_b32_e32 v12, 3, v18
	v_cmp_gt_i32_e64 s[4:5], s27, v12
	s_and_saveexec_b64 s[6:7], s[4:5]
	s_cbranch_execz .LBB76_66
; %bb.65:
	v_add_u32_e32 v0, s26, v12
	v_ashrrev_i32_e32 v1, 31, v0
	v_mul_lo_u32 v2, v1, s28
	v_mul_lo_u32 v3, v0, s29
	v_mad_u64_u32 v[0:1], s[14:15], v0, s28, 0
	v_add3_u32 v1, v1, v3, v2
	v_lshl_add_u64 v[0:1], v[0:1], 2, s[10:11]
	global_load_dword v0, v[0:1], off
	s_waitcnt vmcnt(0)
	v_sub_f32_e32 v0, s12, v0
	v_mul_f32_e32 v0, 0x3fb8aa3b, v0
	v_exp_f32_e32 v15, v0
.LBB76_66:
	s_or_b64 exec, exec, s[6:7]
	s_add_u32 s6, s8, s20
	v_accvgpr_read_b32 v0, a12
	s_addc_u32 s7, s9, s21
	v_ashrrev_i32_e32 v47, 31, v46
	v_accvgpr_read_b32 v1, a13
	v_accvgpr_read_b32 v2, a14
	;; [unrolled: 1-line block ×3, first 2 shown]
	v_lshl_add_u64 v[4:5], v[46:47], 1, s[6:7]
	v_mov_b32_e32 v9, 0
	v_lshlrev_b32_e32 v6, 8, v18
	v_mov_b32_e32 v7, 0
	s_and_saveexec_b64 s[6:7], vcc
	s_cbranch_execz .LBB76_68
; %bb.67:
	v_mov_b32_e32 v7, 0
	v_lshl_add_u64 v[20:21], v[4:5], 0, v[6:7]
	global_load_ushort v7, v[20:21], off
	s_waitcnt vmcnt(0)
	v_lshlrev_b32_e32 v7, 16, v7
	v_sub_f32_e32 v0, v7, v0
	v_mul_f32_e32 v0, v16, v0
	v_lshrrev_b32_e32 v7, 16, v0
.LBB76_68:
	s_or_b64 exec, exec, s[6:7]
	v_lshlrev_b32_e32 v8, 8, v8
	s_and_saveexec_b64 s[6:7], s[0:1]
	s_cbranch_execz .LBB76_70
; %bb.69:
	v_mov_b32_e32 v9, 0
	v_lshl_add_u64 v[20:21], v[4:5], 0, v[8:9]
	global_load_ushort v0, v[20:21], off
	s_waitcnt vmcnt(0)
	v_lshlrev_b32_e32 v0, 16, v0
	v_sub_f32_e32 v0, v0, v1
	v_mul_f32_e32 v0, v14, v0
	v_lshrrev_b32_e32 v9, 16, v0
.LBB76_70:
	s_or_b64 exec, exec, s[6:7]
	v_mov_b32_e32 v13, 0
	v_lshlrev_b32_e32 v10, 8, v10
	v_mov_b32_e32 v11, 0
	s_and_saveexec_b64 s[6:7], s[2:3]
	s_cbranch_execz .LBB76_72
; %bb.71:
	v_mov_b32_e32 v11, 0
	v_lshl_add_u64 v[0:1], v[4:5], 0, v[10:11]
	global_load_ushort v0, v[0:1], off
	s_waitcnt vmcnt(0)
	v_lshlrev_b32_e32 v0, 16, v0
	v_sub_f32_e32 v0, v0, v2
	v_mul_f32_e32 v0, v17, v0
	v_lshrrev_b32_e32 v11, 16, v0
.LBB76_72:
	s_or_b64 exec, exec, s[6:7]
	v_lshlrev_b32_e32 v12, 8, v12
	s_and_saveexec_b64 s[6:7], s[4:5]
	s_cbranch_execz .LBB76_74
; %bb.73:
	v_mov_b32_e32 v13, 0
	v_lshl_add_u64 v[0:1], v[4:5], 0, v[12:13]
	global_load_ushort v0, v[0:1], off
	s_waitcnt vmcnt(0)
	v_lshlrev_b32_e32 v0, 16, v0
	v_sub_f32_e32 v0, v0, v3
	v_mul_f32_e32 v0, v15, v0
	v_lshrrev_b32_e32 v13, 16, v0
.LBB76_74:
	s_or_b64 exec, exec, s[6:7]
	v_lshlrev_b32_e32 v18, 6, v18
	s_mov_b32 s6, 0x5040100
	v_perm_b32 v20, v9, v7, s6
	v_or_b32_e32 v7, v18, v24
	v_accvgpr_read_b32 v0, a8
	v_perm_b32 v21, v13, v11, s6
	v_lshlrev_b32_e32 v7, 1, v7
	v_accvgpr_read_b32 v1, a9
	v_accvgpr_read_b32 v2, a10
	;; [unrolled: 1-line block ×3, first 2 shown]
	ds_write_b64 v7, v[20:21] offset:24576
	v_mov_b32_e32 v9, 0
	v_mov_b32_e32 v7, 0
	s_and_saveexec_b64 s[6:7], vcc
	s_cbranch_execz .LBB76_76
; %bb.75:
	v_mov_b32_e32 v7, 0
	v_lshl_add_u64 v[20:21], v[4:5], 0, v[6:7]
	global_load_ushort v7, v[20:21], off offset:32
	s_waitcnt vmcnt(0)
	v_lshlrev_b32_e32 v7, 16, v7
	v_sub_f32_e32 v0, v7, v0
	v_mul_f32_e32 v0, v16, v0
	v_lshrrev_b32_e32 v7, 16, v0
.LBB76_76:
	s_or_b64 exec, exec, s[6:7]
	s_and_saveexec_b64 s[6:7], s[0:1]
	s_cbranch_execz .LBB76_78
; %bb.77:
	v_mov_b32_e32 v9, 0
	v_lshl_add_u64 v[20:21], v[4:5], 0, v[8:9]
	global_load_ushort v0, v[20:21], off offset:32
	s_waitcnt vmcnt(0)
	v_lshlrev_b32_e32 v0, 16, v0
	v_sub_f32_e32 v0, v0, v1
	v_mul_f32_e32 v0, v14, v0
	v_lshrrev_b32_e32 v9, 16, v0
.LBB76_78:
	s_or_b64 exec, exec, s[6:7]
	v_mov_b32_e32 v13, 0
	v_mov_b32_e32 v11, 0
	s_and_saveexec_b64 s[6:7], s[2:3]
	s_cbranch_execz .LBB76_80
; %bb.79:
	v_mov_b32_e32 v11, 0
	v_lshl_add_u64 v[0:1], v[4:5], 0, v[10:11]
	global_load_ushort v0, v[0:1], off offset:32
	s_waitcnt vmcnt(0)
	v_lshlrev_b32_e32 v0, 16, v0
	v_sub_f32_e32 v0, v0, v2
	v_mul_f32_e32 v0, v17, v0
	v_lshrrev_b32_e32 v11, 16, v0
.LBB76_80:
	s_or_b64 exec, exec, s[6:7]
	s_and_saveexec_b64 s[6:7], s[4:5]
	s_cbranch_execz .LBB76_82
; %bb.81:
	v_mov_b32_e32 v13, 0
	v_lshl_add_u64 v[0:1], v[4:5], 0, v[12:13]
	global_load_ushort v0, v[0:1], off offset:32
	s_waitcnt vmcnt(0)
	v_lshlrev_b32_e32 v0, 16, v0
	v_sub_f32_e32 v0, v0, v3
	v_mul_f32_e32 v0, v15, v0
	v_lshrrev_b32_e32 v13, 16, v0
.LBB76_82:
	s_or_b64 exec, exec, s[6:7]
	s_mov_b32 s6, 0x5040100
	v_perm_b32 v20, v9, v7, s6
	v_or_b32_e32 v7, v18, v23
	v_accvgpr_read_b32 v0, a4
	v_perm_b32 v21, v13, v11, s6
	v_lshlrev_b32_e32 v7, 1, v7
	v_accvgpr_read_b32 v1, a5
	v_accvgpr_read_b32 v2, a6
	;; [unrolled: 1-line block ×3, first 2 shown]
	ds_write_b64 v7, v[20:21] offset:24576
	v_mov_b32_e32 v9, 0
	v_mov_b32_e32 v7, 0
	s_and_saveexec_b64 s[6:7], vcc
	s_cbranch_execz .LBB76_84
; %bb.83:
	v_mov_b32_e32 v7, 0
	v_lshl_add_u64 v[20:21], v[4:5], 0, v[6:7]
	global_load_ushort v7, v[20:21], off offset:64
	s_waitcnt vmcnt(0)
	v_lshlrev_b32_e32 v7, 16, v7
	v_sub_f32_e32 v0, v7, v0
	v_mul_f32_e32 v0, v16, v0
	v_lshrrev_b32_e32 v7, 16, v0
.LBB76_84:
	s_or_b64 exec, exec, s[6:7]
	s_and_saveexec_b64 s[6:7], s[0:1]
	s_cbranch_execz .LBB76_86
; %bb.85:
	v_mov_b32_e32 v9, 0
	v_lshl_add_u64 v[20:21], v[4:5], 0, v[8:9]
	global_load_ushort v0, v[20:21], off offset:64
	s_waitcnt vmcnt(0)
	v_lshlrev_b32_e32 v0, 16, v0
	v_sub_f32_e32 v0, v0, v1
	v_mul_f32_e32 v0, v14, v0
	v_lshrrev_b32_e32 v9, 16, v0
.LBB76_86:
	s_or_b64 exec, exec, s[6:7]
	v_mov_b32_e32 v13, 0
	v_mov_b32_e32 v11, 0
	s_and_saveexec_b64 s[6:7], s[2:3]
	s_cbranch_execz .LBB76_88
; %bb.87:
	v_mov_b32_e32 v11, 0
	v_lshl_add_u64 v[0:1], v[4:5], 0, v[10:11]
	global_load_ushort v0, v[0:1], off offset:64
	s_waitcnt vmcnt(0)
	v_lshlrev_b32_e32 v0, 16, v0
	v_sub_f32_e32 v0, v0, v2
	v_mul_f32_e32 v0, v17, v0
	v_lshrrev_b32_e32 v11, 16, v0
.LBB76_88:
	s_or_b64 exec, exec, s[6:7]
	s_and_saveexec_b64 s[6:7], s[4:5]
	s_cbranch_execz .LBB76_90
; %bb.89:
	v_mov_b32_e32 v13, 0
	v_lshl_add_u64 v[0:1], v[4:5], 0, v[12:13]
	global_load_ushort v0, v[0:1], off offset:64
	s_waitcnt vmcnt(0)
	v_lshlrev_b32_e32 v0, 16, v0
	v_sub_f32_e32 v0, v0, v3
	v_mul_f32_e32 v0, v15, v0
	v_lshrrev_b32_e32 v13, 16, v0
.LBB76_90:
	s_or_b64 exec, exec, s[6:7]
	s_mov_b32 s6, 0x5040100
	v_perm_b32 v20, v9, v7, s6
	v_or_b32_e32 v7, v18, v22
	v_accvgpr_read_b32 v0, a0
	v_perm_b32 v21, v13, v11, s6
	v_lshlrev_b32_e32 v7, 1, v7
	v_accvgpr_read_b32 v1, a1
	v_accvgpr_read_b32 v2, a2
	;; [unrolled: 1-line block ×3, first 2 shown]
	ds_write_b64 v7, v[20:21] offset:24576
	v_mov_b32_e32 v9, 0
	v_mov_b32_e32 v7, 0
	s_and_saveexec_b64 s[6:7], vcc
	s_cbranch_execz .LBB76_92
; %bb.91:
	v_mov_b32_e32 v7, 0
	v_lshl_add_u64 v[6:7], v[4:5], 0, v[6:7]
	global_load_ushort v6, v[6:7], off offset:96
	s_waitcnt vmcnt(0)
	v_lshlrev_b32_e32 v6, 16, v6
	v_sub_f32_e32 v0, v6, v0
	v_mul_f32_e32 v0, v16, v0
	v_lshrrev_b32_e32 v7, 16, v0
.LBB76_92:
	s_or_b64 exec, exec, s[6:7]
	s_and_saveexec_b64 s[6:7], s[0:1]
	s_cbranch_execz .LBB76_94
; %bb.93:
	v_mov_b32_e32 v9, 0
	v_lshl_add_u64 v[8:9], v[4:5], 0, v[8:9]
	global_load_ushort v0, v[8:9], off offset:96
	s_waitcnt vmcnt(0)
	v_lshlrev_b32_e32 v0, 16, v0
	v_sub_f32_e32 v0, v0, v1
	v_mul_f32_e32 v0, v14, v0
	v_lshrrev_b32_e32 v9, 16, v0
.LBB76_94:
	s_or_b64 exec, exec, s[6:7]
	v_mov_b32_e32 v0, 0
	v_mov_b32_e32 v1, 0
	s_and_saveexec_b64 s[0:1], s[2:3]
	s_cbranch_execz .LBB76_96
; %bb.95:
	v_mov_b32_e32 v11, 0
	v_lshl_add_u64 v[10:11], v[4:5], 0, v[10:11]
	global_load_ushort v1, v[10:11], off offset:96
	s_waitcnt vmcnt(0)
	v_lshlrev_b32_e32 v1, 16, v1
	v_sub_f32_e32 v1, v1, v2
	v_mul_f32_e32 v1, v17, v1
	v_lshrrev_b32_e32 v1, 16, v1
.LBB76_96:
	s_or_b64 exec, exec, s[0:1]
	s_and_saveexec_b64 s[0:1], s[4:5]
	s_cbranch_execz .LBB76_98
; %bb.97:
	v_mov_b32_e32 v13, 0
	v_lshl_add_u64 v[4:5], v[4:5], 0, v[12:13]
	global_load_ushort v0, v[4:5], off offset:96
	s_waitcnt vmcnt(0)
	v_lshlrev_b32_e32 v0, 16, v0
	v_sub_f32_e32 v0, v0, v3
	v_mul_f32_e32 v0, v15, v0
	v_lshrrev_b32_e32 v0, 16, v0
.LBB76_98:
	s_or_b64 exec, exec, s[0:1]
	s_mov_b32 s0, 0x5040100
	v_or_b32_e32 v2, v18, v19
	v_perm_b32 v1, v0, v1, s0
	v_perm_b32 v0, v9, v7, s0
	v_lshlrev_b32_e32 v2, 1, v2
	ds_write_b64 v2, v[0:1] offset:24576
	s_waitcnt lgkmcnt(0)
	s_barrier
.LBB76_99:
	s_endpgm
	.section	.rodata,"a",@progbits
	.p2align	6, 0x0
	.amdhsa_kernel _ZN12_GLOBAL__N_139chunk_gated_delta_rule_fwd_h_hip_kernelILi64ELb1ELb0ELb0ELb0ELb0ELb1ELb1ELb1EEEvPK12hip_bfloat16S3_S3_PKfS5_PKvPS1_S8_PvPKiSB_iiiiilll
		.amdhsa_group_segment_fixed_size 65536
		.amdhsa_private_segment_fixed_size 0
		.amdhsa_kernarg_size 136
		.amdhsa_user_sgpr_count 2
		.amdhsa_user_sgpr_dispatch_ptr 0
		.amdhsa_user_sgpr_queue_ptr 0
		.amdhsa_user_sgpr_kernarg_segment_ptr 1
		.amdhsa_user_sgpr_dispatch_id 0
		.amdhsa_user_sgpr_kernarg_preload_length 0
		.amdhsa_user_sgpr_kernarg_preload_offset 0
		.amdhsa_user_sgpr_private_segment_size 0
		.amdhsa_uses_dynamic_stack 0
		.amdhsa_enable_private_segment 0
		.amdhsa_system_sgpr_workgroup_id_x 1
		.amdhsa_system_sgpr_workgroup_id_y 1
		.amdhsa_system_sgpr_workgroup_id_z 0
		.amdhsa_system_sgpr_workgroup_info 0
		.amdhsa_system_vgpr_workitem_id 0
		.amdhsa_next_free_vgpr 232
		.amdhsa_next_free_sgpr 69
		.amdhsa_accum_offset 192
		.amdhsa_reserve_vcc 1
		.amdhsa_float_round_mode_32 0
		.amdhsa_float_round_mode_16_64 0
		.amdhsa_float_denorm_mode_32 3
		.amdhsa_float_denorm_mode_16_64 3
		.amdhsa_dx10_clamp 1
		.amdhsa_ieee_mode 1
		.amdhsa_fp16_overflow 0
		.amdhsa_tg_split 0
		.amdhsa_exception_fp_ieee_invalid_op 0
		.amdhsa_exception_fp_denorm_src 0
		.amdhsa_exception_fp_ieee_div_zero 0
		.amdhsa_exception_fp_ieee_overflow 0
		.amdhsa_exception_fp_ieee_underflow 0
		.amdhsa_exception_fp_ieee_inexact 0
		.amdhsa_exception_int_div_zero 0
	.end_amdhsa_kernel
	.section	.text._ZN12_GLOBAL__N_139chunk_gated_delta_rule_fwd_h_hip_kernelILi64ELb1ELb0ELb0ELb0ELb0ELb1ELb1ELb1EEEvPK12hip_bfloat16S3_S3_PKfS5_PKvPS1_S8_PvPKiSB_iiiiilll,"axG",@progbits,_ZN12_GLOBAL__N_139chunk_gated_delta_rule_fwd_h_hip_kernelILi64ELb1ELb0ELb0ELb0ELb0ELb1ELb1ELb1EEEvPK12hip_bfloat16S3_S3_PKfS5_PKvPS1_S8_PvPKiSB_iiiiilll,comdat
.Lfunc_end76:
	.size	_ZN12_GLOBAL__N_139chunk_gated_delta_rule_fwd_h_hip_kernelILi64ELb1ELb0ELb0ELb0ELb0ELb1ELb1ELb1EEEvPK12hip_bfloat16S3_S3_PKfS5_PKvPS1_S8_PvPKiSB_iiiiilll, .Lfunc_end76-_ZN12_GLOBAL__N_139chunk_gated_delta_rule_fwd_h_hip_kernelILi64ELb1ELb0ELb0ELb0ELb0ELb1ELb1ELb1EEEvPK12hip_bfloat16S3_S3_PKfS5_PKvPS1_S8_PvPKiSB_iiiiilll
                                        ; -- End function
	.section	.AMDGPU.csdata,"",@progbits
; Kernel info:
; codeLenInByte = 11268
; NumSgprs: 75
; NumVgprs: 190
; NumAgprs: 40
; TotalNumVgprs: 232
; ScratchSize: 0
; MemoryBound: 0
; FloatMode: 240
; IeeeMode: 1
; LDSByteSize: 65536 bytes/workgroup (compile time only)
; SGPRBlocks: 9
; VGPRBlocks: 28
; NumSGPRsForWavesPerEU: 75
; NumVGPRsForWavesPerEU: 232
; AccumOffset: 192
; Occupancy: 1
; WaveLimiterHint : 1
; COMPUTE_PGM_RSRC2:SCRATCH_EN: 0
; COMPUTE_PGM_RSRC2:USER_SGPR: 2
; COMPUTE_PGM_RSRC2:TRAP_HANDLER: 0
; COMPUTE_PGM_RSRC2:TGID_X_EN: 1
; COMPUTE_PGM_RSRC2:TGID_Y_EN: 1
; COMPUTE_PGM_RSRC2:TGID_Z_EN: 0
; COMPUTE_PGM_RSRC2:TIDIG_COMP_CNT: 0
; COMPUTE_PGM_RSRC3_GFX90A:ACCUM_OFFSET: 47
; COMPUTE_PGM_RSRC3_GFX90A:TG_SPLIT: 0
	.section	.text._ZN12_GLOBAL__N_139chunk_gated_delta_rule_fwd_h_hip_kernelILi64ELb0ELb1ELb1ELb0ELb0ELb1ELb1ELb1EEEvPK12hip_bfloat16S3_S3_PKfS5_PKvPS1_S8_PvPKiSB_iiiiilll,"axG",@progbits,_ZN12_GLOBAL__N_139chunk_gated_delta_rule_fwd_h_hip_kernelILi64ELb0ELb1ELb1ELb0ELb0ELb1ELb1ELb1EEEvPK12hip_bfloat16S3_S3_PKfS5_PKvPS1_S8_PvPKiSB_iiiiilll,comdat
	.globl	_ZN12_GLOBAL__N_139chunk_gated_delta_rule_fwd_h_hip_kernelILi64ELb0ELb1ELb1ELb0ELb0ELb1ELb1ELb1EEEvPK12hip_bfloat16S3_S3_PKfS5_PKvPS1_S8_PvPKiSB_iiiiilll ; -- Begin function _ZN12_GLOBAL__N_139chunk_gated_delta_rule_fwd_h_hip_kernelILi64ELb0ELb1ELb1ELb0ELb0ELb1ELb1ELb1EEEvPK12hip_bfloat16S3_S3_PKfS5_PKvPS1_S8_PvPKiSB_iiiiilll
	.p2align	8
	.type	_ZN12_GLOBAL__N_139chunk_gated_delta_rule_fwd_h_hip_kernelILi64ELb0ELb1ELb1ELb0ELb0ELb1ELb1ELb1EEEvPK12hip_bfloat16S3_S3_PKfS5_PKvPS1_S8_PvPKiSB_iiiiilll,@function
_ZN12_GLOBAL__N_139chunk_gated_delta_rule_fwd_h_hip_kernelILi64ELb0ELb1ELb1ELb0ELb0ELb1ELb1ELb1EEEvPK12hip_bfloat16S3_S3_PKfS5_PKvPS1_S8_PvPKiSB_iiiiilll: ; @_ZN12_GLOBAL__N_139chunk_gated_delta_rule_fwd_h_hip_kernelILi64ELb0ELb1ELb1ELb0ELb0ELb1ELb1ELb1EEEvPK12hip_bfloat16S3_S3_PKfS5_PKvPS1_S8_PvPKiSB_iiiiilll
; %bb.0:
	s_load_dwordx4 s[12:15], s[0:1], 0x5c
	s_load_dwordx2 s[34:35], s[0:1], 0x40
	s_abs_i32 s22, s3
	s_ashr_i32 s21, s3, 31
	s_load_dwordx8 s[4:11], s[0:1], 0x0
	s_load_dwordx2 s[36:37], s[0:1], 0x20
	s_load_dwordx4 s[16:19], s[0:1], 0x30
	s_waitcnt lgkmcnt(0)
	s_abs_i32 s20, s13
	v_cvt_f32_u32_e32 v1, s20
	s_sub_i32 s24, 0, s20
	s_ashr_i32 s23, s13, 31
	s_xor_b32 s21, s21, s23
	v_rcp_iflag_f32_e32 v1, v1
	v_lshrrev_b32_e32 v45, 6, v0
	v_bfe_u32 v88, v0, 4, 2
	v_lshlrev_b32_e32 v86, 4, v45
	v_mul_f32_e32 v1, 0x4f7ffffe, v1
	v_cvt_u32_f32_e32 v1, v1
	v_lshlrev_b32_e32 v2, 2, v88
	v_and_b32_e32 v87, 63, v0
	v_and_b32_e32 v89, 15, v0
	v_readfirstlane_b32 s25, v1
	s_mul_i32 s24, s24, s25
	s_mul_hi_u32 s24, s25, s24
	s_add_i32 s25, s25, s24
	s_mul_hi_u32 s24, s22, s25
	s_mul_i32 s25, s24, s20
	s_sub_i32 s22, s22, s25
	s_add_i32 s25, s24, 1
	s_sub_i32 s26, s22, s20
	s_cmp_ge_u32 s22, s20
	s_cselect_b32 s24, s25, s24
	s_cselect_b32 s22, s26, s22
	s_add_i32 s25, s24, 1
	s_cmp_ge_u32 s22, s20
	s_cselect_b32 s22, s25, s24
	s_xor_b32 s22, s22, s21
	s_sub_i32 s52, s22, s21
	s_abs_i32 s21, s14
	v_cvt_f32_u32_e32 v1, s21
	s_ashr_i32 s51, s12, 31
	s_lshr_b32 s22, s51, 26
	s_add_i32 s22, s12, s22
	v_rcp_iflag_f32_e32 v1, v1
	s_ashr_i32 s54, s14, 31
	s_ashr_i32 s53, s22, 6
	s_xor_b32 s22, s23, s54
	v_mul_f32_e32 v1, 0x4f7ffffe, v1
	v_cvt_u32_f32_e32 v1, v1
	s_sub_i32 s23, 0, s21
	s_mul_i32 s50, s52, s13
	s_sub_i32 s33, s3, s50
	v_readfirstlane_b32 s24, v1
	s_mul_i32 s23, s23, s24
	s_mul_hi_u32 s23, s24, s23
	s_add_i32 s24, s24, s23
	s_mul_hi_u32 s23, s20, s24
	s_mul_i32 s24, s23, s21
	s_sub_i32 s20, s20, s24
	s_add_i32 s3, s12, 63
	s_add_i32 s24, s23, 1
	s_sub_i32 s25, s20, s21
	s_cmp_ge_u32 s20, s21
	s_cselect_b32 s23, s24, s23
	s_cselect_b32 s20, s25, s20
	s_add_i32 s24, s23, 1
	s_cmp_ge_u32 s20, s21
	s_cselect_b32 s20, s24, s23
	s_xor_b32 s20, s20, s22
	s_sub_i32 s24, s20, s22
	s_abs_i32 s25, s24
	v_cvt_f32_u32_e32 v1, s25
	s_sub_i32 s26, 0, s25
	s_load_dwordx2 s[38:39], s[0:1], 0x80
	s_load_dwordx4 s[20:23], s[0:1], 0x70
	s_xor_b32 s1, s33, s24
	v_rcp_iflag_f32_e32 v1, v1
	s_abs_i32 s24, s33
	s_ashr_i32 s1, s1, 31
	s_mov_b32 s0, 0
	v_mul_f32_e32 v1, 0x4f7ffffe, v1
	v_cvt_u32_f32_e32 v1, v1
	s_mul_i32 s48, s52, s12
	s_mul_hi_i32 s56, s52, s13
	v_lshrrev_b32_e32 v91, 3, v87
	v_readfirstlane_b32 s27, v1
	s_mul_i32 s26, s26, s27
	s_mul_hi_u32 s26, s27, s26
	s_add_i32 s27, s27, s26
	s_mul_hi_u32 s26, s24, s27
	s_mul_i32 s27, s26, s25
	s_sub_i32 s24, s24, s27
	s_add_i32 s27, s26, 1
	s_sub_i32 s28, s24, s25
	s_cmp_ge_u32 s24, s25
	s_cselect_b32 s26, s27, s26
	s_cselect_b32 s24, s28, s24
	s_add_i32 s27, s26, 1
	s_cmp_ge_u32 s24, s25
	s_cselect_b32 s24, s27, s26
	s_xor_b32 s24, s24, s1
	s_sub_i32 s57, s24, s1
	s_ashr_i32 s1, s3, 31
	s_lshr_b32 s1, s1, 26
	s_add_i32 s3, s3, s1
	s_ashr_i32 s1, s3, 6
	v_or_b32_e32 v1, v2, v86
	s_mul_i32 s55, s52, s1
	s_lshl_b32 s2, s2, 6
	s_mov_b32 s1, s0
	v_or_b32_e32 v92, 64, v1
	s_cmp_lt_i32 s12, 64
	v_mov_b64_e32 v[54:55], s[0:1]
	v_lshlrev_b32_e32 v90, 3, v0
	s_waitcnt lgkmcnt(0)
	s_mul_i32 s21, s52, s21
	s_mul_hi_u32 s49, s52, s20
	s_mul_i32 s40, s52, s20
	v_mov_b64_e32 v[56:57], s[0:1]
	v_mov_b64_e32 v[60:61], s[0:1]
	;; [unrolled: 1-line block ×15, first 2 shown]
	s_cbranch_scc1 .LBB77_17
; %bb.1:
	s_ashr_i32 s3, s52, 31
	s_ashr_i32 s59, s33, 31
	s_add_u32 s0, s50, s33
	s_addc_u32 s1, s56, s59
	s_mul_i32 s1, s12, s1
	s_mul_hi_u32 s24, s12, s0
	s_add_i32 s43, s24, s1
	s_mul_i32 s42, s12, s0
	s_lshl_b64 s[0:1], s[42:43], 8
	v_and_b32_e32 v94, 56, v90
	s_add_u32 s24, s6, s0
	v_lshl_or_b32 v93, v45, 3, v91
	v_lshlrev_b32_e32 v3, 1, v94
	s_addc_u32 s0, s7, s1
	v_lshl_or_b32 v95, v93, 8, v3
	s_and_b32 s25, s0, 0xffff
	s_mov_b32 s27, 0x20000
	s_movk_i32 s26, 0x4000
	s_movk_i32 s0, 0x80
	v_or_b32_e32 v96, 0x2000, v95
	buffer_load_dwordx4 v[4:7], v95, s[24:27], 0 offen
	buffer_load_dwordx4 v[8:11], v95, s[24:27], s0 offen
	;; [unrolled: 1-line block ×4, first 2 shown]
	v_lshlrev_b32_e32 v20, 3, v93
	v_and_or_b32 v22, v0, 7, v20
	v_and_b32_e32 v20, 0x78, v20
	v_lshlrev_b32_e32 v22, 4, v22
	v_xor_b32_e32 v97, v22, v20
	v_mul_lo_u32 v21, v93, s15
	v_or_b32_e32 v98, 0x1000, v97
	s_cmpk_eq_i32 s15, 0x80
	s_mov_b32 s58, s14
	v_xor_b32_e32 v20, 8, v97
	v_xor_b32_e32 v22, 8, v98
	s_cselect_b64 s[0:1], -1, 0
	s_cmpk_lg_i32 s15, 0x80
	s_waitcnt vmcnt(3)
	ds_write_b64 v97, v[4:5] offset:49152
	ds_write_b64 v20, v[6:7] offset:49152
	s_waitcnt vmcnt(2)
	ds_write_b64 v97, v[8:9] offset:57344
	ds_write_b64 v20, v[10:11] offset:57344
	;; [unrolled: 3-line block ×4, first 2 shown]
	v_lshl_add_u32 v4, v21, 1, v94
	s_cbranch_scc0 .LBB77_3
; %bb.2:
	v_lshlrev_b32_e32 v6, 1, v4
	v_add_lshl_u32 v5, v4, s15, 1
	s_lshl_b32 s26, s15, 7
	v_lshl_or_b32 v3, v93, 9, v3
	s_cbranch_execz .LBB77_4
	s_branch .LBB77_5
.LBB77_3:
                                        ; implicit-def: $vgpr5
                                        ; implicit-def: $vgpr6
                                        ; implicit-def: $sgpr26
	v_lshl_or_b32 v3, v93, 9, v3
.LBB77_4:
	v_or_b32_e32 v5, 0x100, v3
	s_movk_i32 s26, 0x4000
	v_mov_b32_e32 v6, v3
.LBB77_5:
	s_mul_hi_u32 s24, s14, s12
	s_mul_i32 s25, s54, s12
	s_add_i32 s24, s24, s25
	s_mul_i32 s25, s14, s12
	s_mul_i32 s27, s25, s3
	s_mul_hi_u32 s28, s25, s52
	s_add_i32 s27, s28, s27
	s_mul_i32 s24, s24, s52
	s_add_i32 s27, s27, s24
	s_mul_i32 s25, s25, s52
	s_ashr_i32 s60, s57, 31
	s_add_u32 s24, s25, s57
	s_addc_u32 s25, s27, s60
	s_lshl_b64 s[24:25], s[24:25], 8
	s_add_u32 s24, s4, s24
	s_addc_u32 s25, s5, s25
	s_and_b32 s25, s25, 0xffff
	s_mov_b32 s27, 0x20000
	s_movk_i32 s61, 0x80
	buffer_load_dwordx4 v[8:11], v6, s[24:27], 0 offen
	buffer_load_dwordx4 v[12:15], v6, s[24:27], s61 offen
	;; [unrolled: 1-line block ×4, first 2 shown]
	v_and_b32_e32 v5, 6, v0
	v_lshlrev_b32_e32 v6, 7, v1
	v_xor_b32_e32 v27, v93, v5
	v_and_b32_e32 v7, 1, v0
	v_lshl_or_b32 v30, v89, 3, v6
	v_lshlrev_b32_e32 v27, 2, v27
	v_or_b32_e32 v99, 0x4000, v30
	v_or_b32_e32 v100, 0x6000, v30
	v_xor_b32_e32 v30, 0x440, v27
	v_cmp_eq_u32_e32 vcc, 0, v7
	v_lshlrev_b32_e32 v24, 2, v89
	v_or_b32_e32 v26, 16, v89
	v_cndmask_b32_e32 v7, v30, v27, vcc
	s_mov_b32 s63, 0x1000504
	v_xor_b32_e32 v28, v1, v24
	v_xor_b32_e32 v29, v92, v24
	v_lshl_or_b32 v31, v26, 3, v6
	v_lshl_or_b32 v5, v5, 10, v7
	s_mov_b32 s64, 0x3020706
	s_mul_i32 s24, s3, s12
	s_mul_hi_u32 s25, s52, s12
	v_lshlrev_b32_e32 v25, 8, v89
	v_lshlrev_b32_e32 v28, 1, v28
	;; [unrolled: 1-line block ×3, first 2 shown]
	v_or_b32_e32 v101, 0x4000, v31
	v_or_b32_e32 v102, 0x6000, v31
	v_xor_b32_e32 v7, 8, v5
	v_xor_b32_e32 v27, 24, v5
	;; [unrolled: 1-line block ×4, first 2 shown]
	v_or_b32_e32 v103, v25, v28
	v_or_b32_e32 v104, v25, v29
	v_xor_b32_e32 v25, 16, v5
	v_xor_b32_e32 v30, 32, v5
	;; [unrolled: 1-line block ×3, first 2 shown]
	v_add_u32_e32 v7, 0x80, v7
	v_add_u32_e32 v27, 0x80, v27
	v_add_u32_e32 v31, 0x80, v31
	v_add_u32_e32 v33, 0x80, v33
	s_add_i32 s65, s25, s24
	s_add_i32 s24, s49, s21
	s_mul_i32 s3, s3, s20
	s_add_i32 s41, s24, s3
	s_mul_i32 s3, s33, s23
	s_mul_hi_u32 s24, s33, s22
	s_add_i32 s3, s24, s3
	s_mul_i32 s24, s59, s22
	s_add_i32 s25, s3, s24
	s_lshl_b64 s[28:29], s[40:41], 2
	s_mul_i32 s24, s33, s22
	s_add_u32 s3, s10, s28
	s_addc_u32 s28, s11, s29
	s_lshl_b64 s[24:25], s[24:25], 2
	s_add_u32 s44, s3, s24
	s_movk_i32 s3, 0xf8
	s_addc_u32 s45, s28, s25
	s_lshl_b32 s30, s15, 7
	v_mov_b32_e32 v79, 0
	s_movk_i32 s28, 0x100
	v_lshlrev_b32_e32 v78, 4, v89
	s_mov_b32 s62, 0
	s_movk_i32 s26, 0x4000
	v_add_u32_e32 v136, v86, v2
	s_mov_b32 s41, 0x7060302
	s_movk_i32 s66, 0x2000
	s_movk_i32 s67, 0x3000
	v_mov_b32_e32 v146, 0x3fb8aa3b
	s_mov_b32 s69, 0
	v_mov_b32_e32 v48, v79
	v_mov_b32_e32 v49, v79
	;; [unrolled: 1-line block ×10, first 2 shown]
	s_waitcnt vmcnt(1)
	v_perm_b32 v34, v8, v16, s63
	s_waitcnt vmcnt(0)
	v_perm_b32 v35, v12, v20, s63
	v_perm_b32 v8, v8, v16, s64
	;; [unrolled: 1-line block ×15, first 2 shown]
	ds_write2st64_b32 v5, v34, v35 offset0:128 offset1:160
	ds_write2st64_b32 v7, v8, v12 offset0:128 offset1:160
	;; [unrolled: 1-line block ×8, first 2 shown]
	v_lshlrev_b32_e32 v5, 8, v26
	v_or_b32_e32 v105, v5, v28
	v_or_b32_e32 v106, v5, v29
	v_or_b32_e32 v5, 32, v89
	v_lshl_or_b32 v7, v5, 3, v6
	v_lshlrev_b32_e32 v5, 8, v5
	v_or_b32_e32 v109, v5, v28
	v_or_b32_e32 v110, v5, v29
	;; [unrolled: 1-line block ×5, first 2 shown]
	v_lshl_or_b32 v7, v5, 3, v6
	v_lshlrev_b32_e32 v5, 8, v5
	v_or_b32_e32 v113, v5, v28
	v_or_b32_e32 v114, v5, v29
	;; [unrolled: 1-line block ×3, first 2 shown]
	v_lshlrev_b32_e32 v5, 3, v5
	v_lshrrev_b32_e32 v9, 5, v87
	v_and_or_b32 v9, v5, s3, v9
	v_lshlrev_b32_e32 v9, 4, v9
	v_lshlrev_b32_e32 v11, 11, v45
	v_and_b32_e32 v5, 0x78, v5
	v_or_b32_e32 v14, 32, v9
	v_and_b32_e32 v8, 0x1000, v11
	v_xor_b32_e32 v10, v9, v5
	v_lshrrev_b32_e32 v12, 1, v87
	v_xor_b32_e32 v14, v14, v5
	v_or_b32_e32 v10, v10, v8
	v_and_b32_e32 v12, 8, v12
	v_or_b32_e32 v14, v14, v8
	v_xor_b32_e32 v115, v10, v12
	v_lshlrev_b32_e32 v10, 8, v88
	v_xor_b32_e32 v117, v14, v12
	v_or_b32_e32 v14, 64, v9
	v_or_b32_e32 v9, 0x60, v9
	;; [unrolled: 1-line block ×3, first 2 shown]
	v_xor_b32_e32 v14, v14, v5
	v_xor_b32_e32 v5, v9, v5
	s_ashr_i32 s3, s2, 31
	v_lshlrev_b32_e32 v13, 1, v13
	v_or_b32_e32 v14, v14, v8
	v_or_b32_e32 v5, v5, v8
	s_lshl_b64 s[24:25], s[2:3], 8
	v_or_b32_e32 v116, 0x4000, v13
	v_or_b32_e32 v118, 0x4080, v13
	;; [unrolled: 1-line block ×4, first 2 shown]
	v_xor_b32_e32 v121, v14, v12
	v_xor_b32_e32 v122, v5, v12
	v_or_b32_e32 v123, 0x6000, v13
	v_or_b32_e32 v124, 0x6080, v13
	;; [unrolled: 1-line block ×4, first 2 shown]
	v_lshlrev_b32_e32 v12, 1, v4
	v_add_lshl_u32 v13, v4, s15, 1
	s_add_u32 s24, s16, s24
	v_lshlrev_b32_e32 v4, 1, v89
	v_or_b32_e32 v14, 0x100, v3
	v_lshrrev_b32_e32 v15, 4, v0
	s_addc_u32 s25, s17, s25
	v_or_b32_e32 v5, 1, v4
	v_lshlrev_b32_e32 v18, 2, v0
	v_xor_b32_e32 v16, v15, v4
	v_xor_b32_e32 v17, v5, v15
	v_lshl_add_u64 v[4:5], s[24:25], 0, v[78:79]
	v_lshlrev_b32_e32 v78, 8, v15
	v_lshrrev_b32_e32 v19, 1, v0
	v_and_or_b32 v10, v18, 60, v10
	v_cndmask_b32_e64 v133, v12, v3, s[0:1]
	v_cndmask_b32_e64 v134, v13, v14, s[0:1]
	v_mov_b32_e32 v3, 0xa000
	v_mov_b32_e32 v12, 0x8000
	v_cmp_gt_u32_e64 s[0:1], s28, v0
	v_lshl_or_b32 v127, v16, 3, v78
	v_and_b32_e32 v16, 8, v0
	v_and_b32_e32 v19, 24, v19
	v_lshlrev_b32_e32 v10, 1, v10
	v_cndmask_b32_e64 v3, v3, v12, s[0:1]
	v_lshlrev_b32_e32 v12, 3, v45
	v_or_b32_e32 v129, 0x6000, v10
	v_or_b32_e32 v130, 0x6080, v10
	;; [unrolled: 1-line block ×4, first 2 shown]
	v_mov_b32_e32 v10, 0x400
	v_cmp_eq_u32_e32 vcc, 0, v16
	v_xor_b32_e32 v13, v12, v19
	v_and_b32_e32 v15, 7, v0
	v_cndmask_b32_e64 v16, v10, 64, vcc
	v_or_b32_e32 v14, 0x440, v13
	v_lshl_or_b32 v128, v17, 3, v78
	v_lshlrev_b32_e32 v17, 3, v15
	v_or_b32_e32 v18, 32, v19
	v_or_b32_e32 v20, 0x60, v19
	v_cndmask_b32_e32 v14, v14, v13, vcc
	v_or3_b32 v13, v11, v16, v13
	v_lshlrev_b32_e32 v15, 7, v15
	v_xor_b32_e32 v18, v12, v18
	v_xor_b32_e32 v13, v13, v17
	v_xor_b32_e32 v12, v12, v20
	v_or_b32_e32 v21, 0x440, v18
	v_or_b32_e32 v135, v13, v15
	v_xor_b32_e32 v13, 0x440, v12
	v_cndmask_b32_e32 v18, v21, v18, vcc
	v_cndmask_b32_e32 v12, v13, v12, vcc
	v_or_b32_e32 v111, 0x4000, v7
	v_or_b32_e32 v112, 0x6000, v7
	v_lshrrev_b32_e32 v7, 2, v87
	v_or_b32_e32 v8, s2, v89
	v_or_b32_e32 v14, v14, v11
	;; [unrolled: 1-line block ×4, first 2 shown]
	v_and_b32_e32 v7, 12, v7
	v_ashrrev_i32_e32 v9, 31, v8
	v_xor_b32_e32 v14, v14, v17
	v_xor_b32_e32 v18, v18, v17
	;; [unrolled: 1-line block ×3, first 2 shown]
	v_or_b32_e32 v10, v86, v7
	v_add_u32_e32 v19, v3, v14
	v_add_u32_e32 v21, v3, v18
	;; [unrolled: 1-line block ×3, first 2 shown]
	v_or3_b32 v12, v86, v7, 64
	v_add_u32_e32 v7, 0xa000, v14
	v_add_u32_e32 v14, 0xa000, v18
	;; [unrolled: 1-line block ×3, first 2 shown]
	v_lshlrev_b64 v[8:9], 1, v[8:9]
	v_lshl_add_u64 v[80:81], s[8:9], 0, v[8:9]
	v_lshl_add_u64 v[82:83], s[18:19], 0, v[8:9]
	;; [unrolled: 1-line block ×3, first 2 shown]
	s_add_i32 s3, s48, 63
	v_lshlrev_b32_e32 v78, 1, v6
	v_lshlrev_b32_e32 v137, 2, v10
	v_add_u32_e32 v138, v19, v15
	v_add_u32_e32 v139, v21, v15
	;; [unrolled: 1-line block ×4, first 2 shown]
	v_lshlrev_b32_e32 v142, 2, v12
	v_add_u32_e32 v143, v7, v15
	v_add_u32_e32 v144, v14, v15
	;; [unrolled: 1-line block ×3, first 2 shown]
	v_mov_b32_e32 v76, v79
	v_mov_b32_e32 v77, v79
	;; [unrolled: 1-line block ×22, first 2 shown]
	s_waitcnt lgkmcnt(0)
	s_barrier
	s_branch .LBB77_7
.LBB77_6:                               ;   in Loop: Header=BB77_7 Depth=1
	v_mul_f32_e32 v26, s46, v146
	v_exp_f32_e32 v36, v26
	s_waitcnt vmcnt(4)
	v_mul_f32_e32 v26, 0x3fb8aa3b, v38
	v_exp_f32_e32 v38, v26
	v_mul_f32_e32 v26, 0x3fb8aa3b, v39
	v_exp_f32_e32 v39, v26
	;; [unrolled: 2-line block ×4, first 2 shown]
	v_accvgpr_read_b32 v5, a3
	v_accvgpr_read_b32 v4, a2
	;; [unrolled: 1-line block ×4, first 2 shown]
	v_pk_mul_f32 v[38:39], v[36:37], v[38:39] op_sel_hi:[0,1]
	v_pk_mul_f32 v[40:41], v[36:37], v[40:41] op_sel_hi:[0,1]
	v_pk_fma_f32 v[74:75], v[74:75], v[38:39], v[2:3]
	v_pk_fma_f32 v[76:77], v[76:77], v[40:41], v[4:5]
	v_mul_f32_e32 v2, 0x3fb8aa3b, v34
	v_mul_f32_e32 v3, 0x3fb8aa3b, v42
	;; [unrolled: 1-line block ×4, first 2 shown]
	v_exp_f32_e32 v2, v2
	v_exp_f32_e32 v3, v3
	;; [unrolled: 1-line block ×4, first 2 shown]
	v_accvgpr_read_b32 v9, a7
	v_accvgpr_read_b32 v13, a11
	;; [unrolled: 1-line block ×28, first 2 shown]
	v_pk_mul_f32 v[2:3], v[36:37], v[2:3] op_sel_hi:[0,1]
	v_pk_mul_f32 v[4:5], v[36:37], v[4:5] op_sel_hi:[0,1]
	s_add_i32 s62, s62, 64
	v_pk_fma_f32 v[66:67], v[38:39], v[66:67], v[6:7]
	v_pk_fma_f32 v[68:69], v[40:41], v[68:69], v[8:9]
	;; [unrolled: 1-line block ×14, first 2 shown]
	s_cmp_eq_u32 s53, s68
	s_mov_b32 s69, s68
	s_cbranch_scc1 .LBB77_17
.LBB77_7:                               ; =>This Inner Loop Header: Depth=1
	s_add_i32 s68, s69, 1
	s_cmp_lt_i32 s68, s53
	s_mov_b64 s[28:29], 0
	s_cselect_b64 s[46:47], -1, 0
	s_cmp_ge_i32 s68, s53
	s_mov_b64 s[24:25], 0
	s_cbranch_scc1 .LBB77_9
; %bb.8:                                ;   in Loop: Header=BB77_7 Depth=1
	s_add_i32 s0, s62, 64
	s_add_u32 s0, s42, s0
	s_addc_u32 s1, s43, 0
	s_lshl_b64 s[0:1], s[0:1], 8
	s_add_u32 s24, s6, s0
	s_addc_u32 s25, s7, s1
.LBB77_9:                               ;   in Loop: Header=BB77_7 Depth=1
	v_cndmask_b32_e64 v2, 0, 1, s[46:47]
	v_cmp_ne_u32_e64 s[0:1], 1, v2
	s_andn2_b64 vcc, exec, s[46:47]
	s_cbranch_vccnz .LBB77_11
; %bb.10:                               ;   in Loop: Header=BB77_7 Depth=1
	s_add_i32 s28, s62, 64
	s_add_u32 s28, s48, s28
	s_addc_u32 s29, s65, 0
	s_mul_i32 s31, s28, s54
	s_mul_hi_u32 s46, s28, s58
	s_add_i32 s31, s46, s31
	s_mul_i32 s29, s29, s58
	s_add_i32 s31, s31, s29
	s_mul_i32 s28, s28, s58
	s_add_u32 s28, s28, s57
	s_addc_u32 s29, s31, s60
	s_lshl_b64 s[28:29], s[28:29], 8
	s_add_u32 s28, s4, s28
	s_addc_u32 s29, s5, s29
.LBB77_11:                              ;   in Loop: Header=BB77_7 Depth=1
	v_perm_b32 v3, v77, v76, s41
	v_perm_b32 v2, v75, v74, s41
	v_perm_b32 v5, v73, v72, s41
	v_perm_b32 v4, v71, v70, s41
	ds_write_b64 v99, v[2:3]
	ds_write_b64 v100, v[4:5]
	ds_write_b64 v103, v[2:3]
	ds_write_b64 v104, v[4:5]
	v_perm_b32 v3, v69, v68, s41
	v_perm_b32 v2, v67, v66, s41
	v_perm_b32 v5, v65, v64, s41
	v_perm_b32 v4, v63, v62, s41
	ds_write_b64 v101, v[2:3]
	ds_write_b64 v102, v[4:5]
	ds_write_b64 v105, v[2:3]
	ds_write_b64 v106, v[4:5]
	;; [unrolled: 8-line block ×4, first 2 shown]
	s_waitcnt lgkmcnt(0)
	s_barrier
	ds_read_b64 v[6:7], v115 offset:49152
	ds_read2_b64 v[2:5], v116 offset1:16
	ds_read_b64 v[18:19], v118 offset:6144
	ds_read_b64 v[20:21], v116 offset:6144
	s_waitcnt lgkmcnt(2)
	v_mfma_f32_16x16x16_bf16 a[0:3], v[6:7], v[2:3], 0
	ds_read_b64 v[22:23], v117 offset:49152
	ds_read2st64_b64 v[10:13], v119 offset0:4 offset1:8
	ds_read2st64_b64 v[14:17], v120 offset0:4 offset1:8
	v_mfma_f32_16x16x16_bf16 a[4:7], v[6:7], v[4:5], 0
	ds_read2_b64 v[2:5], v116 offset0:32 offset1:48
	s_add_i32 s31, s62, 63
	s_mul_i32 s46, s31, s39
	s_waitcnt lgkmcnt(0)
	v_mfma_f32_16x16x16_bf16 a[8:11], v[6:7], v[2:3], 0
	s_mul_hi_u32 s47, s31, s38
	s_add_i32 s47, s47, s46
	s_mul_i32 s46, s31, s38
	v_mfma_f32_16x16x16_bf16 a[12:15], v[6:7], v[4:5], 0
	ds_read2st64_b64 v[2:5], v116 offset0:4 offset1:8
	ds_read2st64_b64 v[6:9], v118 offset0:4 offset1:8
	s_lshl_b64 s[46:47], s[46:47], 2
	s_waitcnt lgkmcnt(1)
	v_mfma_f32_16x16x16_bf16 a[0:3], v[22:23], v[2:3], a[0:3]
	s_add_u32 s46, s44, s46
	s_addc_u32 s47, s45, s47
	s_and_b64 vcc, exec, s[0:1]
	s_waitcnt lgkmcnt(0)
	v_mfma_f32_16x16x16_bf16 a[4:7], v[22:23], v[6:7], a[4:7]
	v_mov_b32_e32 v149, 0
	v_mov_b32_e32 v148, 0
	;; [unrolled: 1-line block ×3, first 2 shown]
	v_mfma_f32_16x16x16_bf16 a[8:11], v[22:23], v[10:11], a[8:11]
	ds_read_b64 v[2:3], v121 offset:49152
	ds_read_b64 v[6:7], v122 offset:49152
	;; [unrolled: 1-line block ×3, first 2 shown]
	v_mfma_f32_16x16x16_bf16 a[12:15], v[22:23], v[14:15], a[12:15]
	v_mov_b32_e32 v14, 0
	v_mov_b32_e32 v15, 0
	s_waitcnt lgkmcnt(2)
	v_mfma_f32_16x16x16_bf16 a[0:3], v[2:3], v[4:5], a[0:3]
	v_mov_b32_e32 v4, 0
	v_mov_b32_e32 v5, 0
	v_mfma_f32_16x16x16_bf16 a[4:7], v[2:3], v[8:9], a[4:7]
	v_mov_b32_e32 v8, 0
	v_mov_b32_e32 v9, 0
	;; [unrolled: 3-line block ×3, first 2 shown]
	v_mfma_f32_16x16x16_bf16 a[12:15], v[2:3], v[16:17], a[12:15]
	ds_read_b64 v[2:3], v119 offset:6144
	v_mov_b32_e32 v16, 0
	v_mov_b32_e32 v17, 0
	s_waitcnt lgkmcnt(2)
	v_mfma_f32_16x16x16_bf16 a[0:3], v[6:7], v[20:21], a[0:3]
	v_mfma_f32_16x16x16_bf16 a[4:7], v[6:7], v[18:19], a[4:7]
	s_waitcnt lgkmcnt(0)
	v_mfma_f32_16x16x16_bf16 a[8:11], v[6:7], v[2:3], a[8:11]
	v_mov_b32_e32 v2, 0
	v_mov_b32_e32 v3, 0
	v_mfma_f32_16x16x16_bf16 a[12:15], v[6:7], v[10:11], a[12:15]
	v_mov_b32_e32 v6, 0
	v_mov_b32_e32 v7, 0
	;; [unrolled: 1-line block ×4, first 2 shown]
	s_cbranch_vccnz .LBB77_13
; %bb.12:                               ;   in Loop: Header=BB77_7 Depth=1
	s_and_b32 s25, s25, 0xffff
	buffer_load_dwordx4 v[14:17], v95, s[24:27], 0 offen
	buffer_load_dwordx4 v[10:13], v95, s[24:27], s61 offen
	;; [unrolled: 1-line block ×4, first 2 shown]
	v_mov_b32_e32 v148, v97
	v_mov_b32_e32 v147, v98
.LBB77_13:                              ;   in Loop: Header=BB77_7 Depth=1
	ds_read_b64 v[38:39], v115 offset:57344
	ds_read2_b64 v[18:21], v123 offset1:16
	ds_read_b64 v[40:41], v117 offset:57344
	ds_read_b64 v[42:43], v121 offset:57344
	;; [unrolled: 1-line block ×3, first 2 shown]
	s_waitcnt lgkmcnt(3)
	v_mfma_f32_16x16x16_bf16 a[0:3], v[38:39], v[18:19], a[0:3]
	v_mfma_f32_16x16x16_bf16 a[4:7], v[38:39], v[20:21], a[4:7]
	ds_read2_b64 v[18:21], v123 offset0:32 offset1:48
	ds_read2st64_b64 v[22:25], v123 offset0:4 offset1:8
	ds_read2st64_b64 v[26:29], v124 offset0:4 offset1:8
	;; [unrolled: 1-line block ×4, first 2 shown]
	s_waitcnt lgkmcnt(4)
	v_mfma_f32_16x16x16_bf16 a[8:11], v[38:39], v[18:19], a[8:11]
	v_mfma_f32_16x16x16_bf16 a[12:15], v[38:39], v[20:21], a[12:15]
	v_add_u32_e32 v38, s62, v136
	v_ashrrev_i32_e32 v18, 31, v38
	v_mul_lo_u32 v20, v18, s38
	v_mul_lo_u32 v21, v38, s39
	v_mad_u64_u32 v[18:19], s[24:25], v38, s38, 0
	v_add3_u32 v19, v19, v21, v20
	v_add_u32_e32 v20, 1, v38
	v_ashrrev_i32_e32 v21, 31, v20
	s_waitcnt lgkmcnt(3)
	v_mfma_f32_16x16x16_bf16 a[0:3], v[40:41], v[22:23], a[0:3]
	v_mul_lo_u32 v22, v21, s38
	v_mul_lo_u32 v23, v20, s39
	v_mad_u64_u32 v[20:21], s[24:25], v20, s38, 0
	v_add3_u32 v21, v21, v23, v22
	v_add_u32_e32 v22, 2, v38
	v_ashrrev_i32_e32 v23, 31, v22
	s_waitcnt lgkmcnt(2)
	v_mfma_f32_16x16x16_bf16 a[4:7], v[40:41], v[26:27], a[4:7]
	v_mul_lo_u32 v26, v23, s38
	v_mul_lo_u32 v27, v22, s39
	v_mad_u64_u32 v[22:23], s[24:25], v22, s38, 0
	v_add3_u32 v23, v23, v27, v26
	v_add_u32_e32 v26, 3, v38
	v_lshl_add_u64 v[18:19], v[18:19], 2, s[44:45]
	v_lshl_add_u64 v[20:21], v[20:21], 2, s[44:45]
	v_ashrrev_i32_e32 v27, 31, v26
	s_waitcnt lgkmcnt(1)
	v_mfma_f32_16x16x16_bf16 a[8:11], v[40:41], v[30:31], a[8:11]
	v_mul_lo_u32 v27, v27, s38
	global_load_dword v30, v[18:19], off
	v_mul_lo_u32 v31, v26, s39
	s_waitcnt lgkmcnt(0)
	v_mfma_f32_16x16x16_bf16 a[12:15], v[40:41], v[34:35], a[12:15]
	global_load_dword v34, v[20:21], off
	v_mad_u64_u32 v[18:19], s[24:25], v26, s38, 0
	v_add3_u32 v19, v19, v31, v27
	s_add_u32 s24, s42, s62
	v_lshl_add_u64 v[22:23], v[22:23], 2, s[44:45]
	v_lshl_add_u64 v[18:19], v[18:19], 2, s[44:45]
	s_addc_u32 s25, s43, 0
	global_load_dword v31, v[22:23], off
	global_load_dword v35, v[18:19], off
	s_lshl_b64 s[24:25], s[24:25], 8
	v_lshl_add_u64 v[18:19], v[80:81], 0, s[24:25]
	v_lshl_add_u64 v[18:19], v[18:19], 0, v[78:79]
	global_load_ushort v38, v[18:19], off offset:256
	global_load_ushort v39, v[18:19], off
	global_load_ushort v40, v[18:19], off offset:768
	global_load_ushort v41, v[18:19], off offset:512
	;; [unrolled: 1-line block ×6, first 2 shown]
	s_load_dword s46, s[46:47], 0x0
	v_mfma_f32_16x16x16_bf16 a[12:15], v[42:43], v[36:37], a[12:15]
	global_load_ushort v36, v[18:19], off offset:320
	global_load_ushort v37, v[18:19], off offset:64
	s_and_b64 vcc, exec, s[0:1]
	v_mfma_f32_16x16x16_bf16 a[0:3], v[42:43], v[24:25], a[0:3]
	ds_read_b64 v[20:21], v123 offset:6144
	ds_read_b64 v[22:23], v124 offset:6144
	;; [unrolled: 1-line block ×4, first 2 shown]
	v_mfma_f32_16x16x16_bf16 a[4:7], v[42:43], v[28:29], a[4:7]
	s_waitcnt vmcnt(11) lgkmcnt(0)
	v_sub_f32_e32 v28, s46, v31
	v_mfma_f32_16x16x16_bf16 a[8:11], v[42:43], v[32:33], a[8:11]
	global_load_ushort v42, v[18:19], off offset:832
	global_load_ushort v43, v[18:19], off offset:576
	global_load_ushort v155, v[18:19], off offset:352
	global_load_ushort v156, v[18:19], off offset:96
	global_load_ushort v157, v[18:19], off offset:864
	global_load_ushort v158, v[18:19], off offset:608
	v_mfma_f32_16x16x16_bf16 a[0:3], v[150:151], v[20:21], a[0:3]
	s_waitcnt vmcnt(16)
	v_sub_f32_e32 v29, s46, v35
	v_mul_f32_e32 v28, 0x3fb8aa3b, v28
	v_mul_f32_e32 v29, 0x3fb8aa3b, v29
	v_exp_f32_e32 v28, v28
	v_exp_f32_e32 v29, v29
	s_waitcnt vmcnt(15)
	v_lshlrev_b32_e32 v33, 16, v38
	s_waitcnt vmcnt(14)
	v_lshlrev_b32_e32 v32, 16, v39
	v_accvgpr_read_b32 v21, a3
	v_accvgpr_read_b32 v20, a2
	v_mfma_f32_16x16x16_bf16 a[2:5], v[150:151], v[22:23], a[4:7]
	v_mfma_f32_16x16x16_bf16 a[6:9], v[150:151], v[24:25], a[8:11]
	s_nop 5
	v_accvgpr_read_b32 v23, a5
	v_accvgpr_read_b32 v22, a4
	;; [unrolled: 1-line block ×4, first 2 shown]
	v_mfma_f32_16x16x16_bf16 a[8:11], v[150:151], v[26:27], a[12:15]
	v_sub_f32_e32 v26, s46, v30
	v_sub_f32_e32 v27, s46, v34
	v_mul_f32_e32 v26, 0x3fb8aa3b, v26
	v_mul_f32_e32 v27, 0x3fb8aa3b, v27
	v_exp_f32_e32 v26, v26
	v_exp_f32_e32 v27, v27
	v_accvgpr_read_b32 v35, a1
	v_accvgpr_read_b32 v34, a0
	v_lshl_add_u64 v[30:31], v[82:83], 0, s[24:25]
	v_pk_add_f32 v[32:33], v[32:33], v[34:35] neg_lo:[0,1] neg_hi:[0,1]
	s_waitcnt vmcnt(13)
	v_lshlrev_b32_e32 v35, 16, v40
	s_waitcnt vmcnt(12)
	v_lshlrev_b32_e32 v34, 16, v41
	v_lshl_add_u64 v[30:31], v[30:31], 0, v[78:79]
	v_pk_add_f32 v[20:21], v[34:35], v[20:21] neg_lo:[0,1] neg_hi:[0,1]
	global_store_short_d16_hi v[30:31], v32, off
	global_store_short_d16_hi v[30:31], v33, off offset:256
	global_store_short_d16_hi v[30:31], v20, off offset:512
	;; [unrolled: 1-line block ×3, first 2 shown]
	v_pk_mul_f32 v[32:33], v[26:27], v[32:33]
	v_pk_mul_f32 v[20:21], v[28:29], v[20:21]
	v_accvgpr_read_b32 v35, a3
	v_perm_b32 v21, v21, v20, s41
	v_perm_b32 v20, v33, v32, s41
	s_waitcnt vmcnt(15)
	v_lshlrev_b32_e32 v33, 16, v44
	s_waitcnt vmcnt(14)
	v_lshlrev_b32_e32 v32, 16, v152
	v_accvgpr_read_b32 v34, a2
	v_pk_add_f32 v[32:33], v[32:33], v[34:35] neg_lo:[0,1] neg_hi:[0,1]
	s_waitcnt vmcnt(13)
	v_lshlrev_b32_e32 v35, 16, v153
	s_waitcnt vmcnt(12)
	v_lshlrev_b32_e32 v34, 16, v154
	v_pk_add_f32 v[22:23], v[34:35], v[22:23] neg_lo:[0,1] neg_hi:[0,1]
	global_store_short_d16_hi v[30:31], v32, off offset:32
	global_store_short_d16_hi v[30:31], v33, off offset:288
	;; [unrolled: 1-line block ×4, first 2 shown]
	v_pk_mul_f32 v[32:33], v[26:27], v[32:33]
	v_pk_mul_f32 v[22:23], v[28:29], v[22:23]
	v_accvgpr_read_b32 v25, a11
	v_perm_b32 v23, v23, v22, s41
	v_perm_b32 v22, v33, v32, s41
	ds_write2_b64 v100, v[20:21], v[22:23] offset1:16
	v_accvgpr_read_b32 v23, a7
	s_waitcnt vmcnt(15)
	v_lshlrev_b32_e32 v21, 16, v36
	s_waitcnt vmcnt(14)
	v_lshlrev_b32_e32 v20, 16, v37
	v_accvgpr_read_b32 v22, a6
	v_pk_add_f32 v[20:21], v[20:21], v[22:23] neg_lo:[0,1] neg_hi:[0,1]
	global_store_short_d16_hi v[30:31], v20, off offset:64
	global_store_short_d16_hi v[30:31], v21, off offset:320
	v_pk_mul_f32 v[20:21], v[26:27], v[20:21]
	v_accvgpr_read_b32 v24, a10
	v_perm_b32 v20, v21, v20, s41
	v_mov_b32_e32 v150, 0
	v_mov_b32_e32 v32, 0
	;; [unrolled: 1-line block ×3, first 2 shown]
	s_waitcnt vmcnt(15)
	v_lshlrev_b32_e32 v23, 16, v42
	s_waitcnt vmcnt(14)
	v_lshlrev_b32_e32 v22, 16, v43
	v_pk_add_f32 v[18:19], v[22:23], v[18:19] neg_lo:[0,1] neg_hi:[0,1]
	global_store_short_d16_hi v[30:31], v18, off offset:576
	global_store_short_d16_hi v[30:31], v19, off offset:832
	v_pk_mul_f32 v[18:19], v[28:29], v[18:19]
	v_accvgpr_read_b32 v23, a9
	v_perm_b32 v21, v19, v18, s41
	s_waitcnt vmcnt(15)
	v_lshlrev_b32_e32 v19, 16, v155
	s_waitcnt vmcnt(14)
	v_lshlrev_b32_e32 v18, 16, v156
	v_accvgpr_read_b32 v22, a8
	v_pk_add_f32 v[18:19], v[18:19], v[22:23] neg_lo:[0,1] neg_hi:[0,1]
	s_waitcnt vmcnt(13)
	v_lshlrev_b32_e32 v23, 16, v157
	s_waitcnt vmcnt(12)
	v_lshlrev_b32_e32 v22, 16, v158
	v_pk_add_f32 v[22:23], v[22:23], v[24:25] neg_lo:[0,1] neg_hi:[0,1]
	global_store_short_d16_hi v[30:31], v18, off offset:96
	global_store_short_d16_hi v[30:31], v19, off offset:352
	;; [unrolled: 1-line block ×4, first 2 shown]
	v_pk_mul_f32 v[18:19], v[26:27], v[18:19]
	v_pk_mul_f32 v[22:23], v[28:29], v[22:23]
	v_mov_b32_e32 v24, 0
	v_perm_b32 v23, v23, v22, s41
	v_perm_b32 v22, v19, v18, s41
	ds_write2_b64 v100, v[20:21], v[22:23] offset0:32 offset1:48
	v_mov_b32_e32 v18, 0
	v_mov_b32_e32 v19, 0
	;; [unrolled: 1-line block ×13, first 2 shown]
	s_cbranch_vccnz .LBB77_15
; %bb.14:                               ;   in Loop: Header=BB77_7 Depth=1
	s_and_b32 s29, s29, 0xffff
	s_mov_b32 s31, s27
	buffer_load_dwordx4 v[30:33], v133, s[28:31], 0 offen
	buffer_load_dwordx4 v[22:25], v133, s[28:31], s61 offen
	;; [unrolled: 1-line block ×4, first 2 shown]
	v_mov_b32_e32 v149, v94
	v_mov_b32_e32 v150, v93
.LBB77_15:                              ;   in Loop: Header=BB77_7 Depth=1
	s_waitcnt lgkmcnt(0)
	s_barrier
	ds_read_b64 v[42:43], v138
	ds_read2_b64 v[34:37], v129 offset1:16
	ds_read_b64 v[168:169], v139
	ds_read_b64 v[170:171], v140
	;; [unrolled: 1-line block ×3, first 2 shown]
	ds_read2_b64 v[38:41], v129 offset0:32 offset1:48
	ds_read2st64_b64 v[152:155], v129 offset0:4 offset1:8
	ds_read2st64_b64 v[156:159], v130 offset0:4 offset1:8
	;; [unrolled: 1-line block ×4, first 2 shown]
	s_waitcnt lgkmcnt(8)
	v_mfma_f32_16x16x16_bf16 a[0:3], v[42:43], v[34:35], 0
	s_add_i32 s24, s55, s69
	s_mul_hi_i32 s25, s24, s13
	s_mul_i32 s24, s24, s13
	v_mfma_f32_16x16x16_bf16 a[4:7], v[42:43], v[36:37], 0
	s_add_u32 s24, s24, s33
	s_addc_u32 s25, s25, s59
	s_add_i32 s28, s3, s62
	s_waitcnt lgkmcnt(4)
	v_mfma_f32_16x16x16_bf16 a[8:11], v[42:43], v[38:39], 0
	s_lshl_b64 s[24:25], s[24:25], 15
	s_mul_hi_i32 s29, s28, s13
	s_mul_i32 s28, s28, s13
	v_mfma_f32_16x16x16_bf16 a[12:15], v[42:43], v[40:41], 0
	ds_read_b64 v[42:43], v129 offset:6144
	ds_read_b64 v[180:181], v130 offset:6144
	;; [unrolled: 1-line block ×4, first 2 shown]
	s_add_u32 s28, s28, s33
	s_waitcnt lgkmcnt(7)
	v_mfma_f32_16x16x16_bf16 a[0:3], v[168:169], v[152:153], a[0:3]
	s_addc_u32 s29, s29, s59
	s_lshl_b64 s[28:29], s[28:29], 9
	s_add_u32 s28, s36, s28
	s_waitcnt lgkmcnt(6)
	v_mfma_f32_16x16x16_bf16 a[4:7], v[168:169], v[156:157], a[4:7]
	s_addc_u32 s29, s37, s29
	v_lshl_add_u64 v[190:191], v[84:85], 0, s[24:25]
	s_waitcnt lgkmcnt(5)
	v_mfma_f32_16x16x16_bf16 a[8:11], v[168:169], v[160:161], a[8:11]
	s_waitcnt lgkmcnt(4)
	v_mfma_f32_16x16x16_bf16 a[12:15], v[168:169], v[164:165], a[12:15]
	ds_read_b64 v[168:169], v143
	ds_read_b64 v[178:179], v144
	;; [unrolled: 1-line block ×3, first 2 shown]
	s_waitcnt lgkmcnt(2)
	v_mfma_f32_16x16x16_bf16 a[16:19], v[168:169], v[34:35], 0
	v_mfma_f32_16x16x16_bf16 a[20:23], v[168:169], v[36:37], 0
	global_load_dwordx4 v[34:37], v142, s[28:29]
	v_mfma_f32_16x16x16_bf16 a[24:27], v[168:169], v[38:39], 0
	v_mfma_f32_16x16x16_bf16 a[28:31], v[168:169], v[40:41], 0
	global_load_dwordx4 v[38:41], v137, s[28:29]
	v_mfma_f32_16x16x16_bf16 a[0:3], v[170:171], v[154:155], a[0:3]
	v_mfma_f32_16x16x16_bf16 a[4:7], v[170:171], v[158:159], a[4:7]
	;; [unrolled: 1-line block ×8, first 2 shown]
	ds_read2st64_b64 v[168:171], v127 offset1:8
	ds_read2st64_b64 v[172:175], v128 offset1:8
	ds_read_b64 v[188:189], v135 offset:40960
	s_waitcnt lgkmcnt(2)
	v_mov_b32_e32 v176, v168
	v_mfma_f32_16x16x16_bf16 a[16:19], v[178:179], v[152:153], a[16:19]
	v_mov_b32_e32 v177, v169
	v_mfma_f32_16x16x16_bf16 a[20:23], v[178:179], v[156:157], a[20:23]
	v_mfma_f32_16x16x16_bf16 a[24:27], v[178:179], v[160:161], a[24:27]
	;; [unrolled: 1-line block ×3, first 2 shown]
	v_add_co_u32_e32 v164, vcc, s66, v190
	s_waitcnt lgkmcnt(1)
	v_mov_b32_e32 v178, v172
	s_waitcnt lgkmcnt(0)
	v_mfma_f32_16x16x16_bf16 a[16:19], v[188:189], v[154:155], a[16:19]
	ds_read2st64_b64 v[152:155], v127 offset0:16 offset1:24
	v_addc_co_u32_e32 v165, vcc, 0, v191, vcc
	v_mfma_f32_16x16x16_bf16 a[20:23], v[188:189], v[158:159], a[20:23]
	ds_read2st64_b64 v[156:159], v128 offset0:16 offset1:24
	v_mov_b32_e32 v179, v173
	v_mov_b32_e32 v172, v170
	v_mfma_f32_16x16x16_bf16 a[32:35], v[188:189], v[162:163], a[24:27]
	v_mov_b32_e32 v173, v171
	s_waitcnt lgkmcnt(0)
	v_mov_b32_e32 v162, v156
	v_mov_b32_e32 v163, v157
	v_mfma_f32_16x16x16_bf16 a[36:39], v[188:189], v[166:167], a[28:31]
	v_mov_b32_e32 v156, v154
	v_mov_b32_e32 v157, v155
	;; [unrolled: 1-line block ×3, first 2 shown]
	v_mfma_f32_16x16x16_bf16 a[24:27], v[186:187], v[42:43], a[16:19]
	v_add_co_u32_e32 v42, vcc, s67, v190
	v_mov_b32_e32 v161, v153
	v_mfma_f32_16x16x16_bf16 a[28:31], v[186:187], v[180:181], a[20:23]
	v_addc_co_u32_e32 v43, vcc, 0, v191, vcc
	global_store_dwordx4 v[42:43], v[156:159], off
	v_mfma_f32_16x16x16_bf16 a[16:19], v[186:187], v[182:183], a[32:35]
	s_waitcnt vmcnt(2)
	v_mov_b32_e32 v44, v37
	v_mov_b32_e32 v43, v36
	;; [unrolled: 1-line block ×3, first 2 shown]
	v_mfma_f32_16x16x16_bf16 a[20:23], v[186:187], v[184:185], a[36:39]
	s_and_b64 vcc, exec, s[0:1]
	global_store_dwordx4 v[190:191], v[176:179], off
	global_store_dwordx4 v[164:165], v[172:175], off offset:-4096
	global_store_dwordx4 v[164:165], v[160:163], off
	s_cbranch_vccnz .LBB77_6
; %bb.16:                               ;   in Loop: Header=BB77_7 Depth=1
	v_lshrrev_b32_e32 v35, 3, v149
	v_and_b32_e32 v35, 6, v35
	v_xor_b32_e32 v36, v35, v150
	v_lshlrev_b32_e32 v36, 2, v36
	v_and_b32_e32 v37, 8, v149
	v_xor_b32_e32 v149, 0x440, v36
	v_cmp_eq_u32_e32 vcc, 0, v37
	v_perm_b32 v37, v22, v18, s63
	s_nop 0
	v_cndmask_b32_e32 v36, v149, v36, vcc
	v_lshl_or_b32 v35, v35, 10, v36
	v_perm_b32 v36, v30, v26, s63
	s_barrier
	ds_write2st64_b32 v35, v36, v37 offset0:128 offset1:160
	v_xor_b32_e32 v36, 8, v35
	v_perm_b32 v26, v30, v26, s64
	v_perm_b32 v18, v22, v18, s64
	v_add_u32_e32 v22, 0x80, v36
	ds_write2st64_b32 v22, v26, v18 offset0:128 offset1:160
	v_xor_b32_e32 v18, 16, v35
	v_perm_b32 v22, v31, v27, s63
	v_perm_b32 v26, v23, v19, s63
	ds_write2st64_b32 v18, v22, v26 offset0:129 offset1:161
	v_xor_b32_e32 v18, 24, v35
	v_perm_b32 v22, v31, v27, s64
	v_perm_b32 v19, v23, v19, s64
	v_add_u32_e32 v18, 0x80, v18
	ds_write2st64_b32 v18, v22, v19 offset0:129 offset1:161
	v_xor_b32_e32 v18, 32, v35
	v_perm_b32 v19, v32, v28, s63
	v_perm_b32 v22, v24, v20, s63
	;; [unrolled: 9-line block ×3, first 2 shown]
	ds_write2st64_b32 v18, v19, v20 offset0:131 offset1:163
	v_xor_b32_e32 v18, 56, v35
	v_perm_b32 v19, v33, v29, s64
	v_perm_b32 v20, v25, v21, s64
	v_add_u32_e32 v18, 0x80, v18
	ds_write2st64_b32 v18, v19, v20 offset0:131 offset1:163
	ds_write_b64 v148, v[14:15] offset:49152
	v_xor_b32_e32 v14, 8, v148
	ds_write_b64 v14, v[16:17] offset:49152
	ds_write_b64 v148, v[10:11] offset:57344
	;; [unrolled: 1-line block ×4, first 2 shown]
	v_xor_b32_e32 v6, 8, v147
	ds_write_b64 v6, v[8:9] offset:49152
	ds_write_b64 v147, v[2:3] offset:57344
	;; [unrolled: 1-line block ×3, first 2 shown]
	s_branch .LBB77_6
.LBB77_17:
	s_lshl_b32 s46, s53, 6
	s_sub_i32 s47, s12, s46
	s_cmp_gt_i32 s47, 0
	v_or_b32_e32 v18, s2, v89
	s_cbranch_scc1 .LBB77_19
; %bb.18:
	s_ashr_i32 s0, s33, 31
	s_add_u32 s28, s50, s33
	s_addc_u32 s29, s56, s0
	v_or_b32_e32 v2, s2, v89
	s_cbranch_execz .LBB77_20
	s_branch .LBB77_100
.LBB77_19:
                                        ; implicit-def: $sgpr28_sgpr29
                                        ; implicit-def: $vgpr2
.LBB77_20:
	s_ashr_i32 s41, s52, 31
	s_ashr_i32 s3, s46, 31
	s_cmpk_lg_i32 s15, 0x80
	s_cselect_b64 s[42:43], -1, 0
	s_and_b64 vcc, exec, s[42:43]
	s_cbranch_vccz .LBB77_22
; %bb.21:
	s_mul_hi_i32 s0, s52, s12
	s_add_u32 s1, s48, s46
	s_addc_u32 s0, s0, s3
	s_mul_i32 s24, s1, s54
	s_mul_hi_u32 s25, s1, s14
	s_add_i32 s24, s25, s24
	s_mul_i32 s0, s0, s14
	s_add_i32 s24, s24, s0
	s_mul_i32 s1, s1, s14
	s_ashr_i32 s0, s57, 31
	s_add_u32 s44, s1, s57
	s_addc_u32 s45, s24, s0
	s_cbranch_execz .LBB77_23
	s_branch .LBB77_24
.LBB77_22:
                                        ; implicit-def: $sgpr44_sgpr45
.LBB77_23:
	s_mul_hi_i32 s0, s52, s14
	s_mul_i32 s52, s52, s14
	s_ashr_i32 s1, s57, 31
	s_add_u32 s14, s52, s57
	s_addc_u32 s0, s0, s1
	s_mul_i32 s1, s14, s51
	s_mul_hi_u32 s24, s14, s12
	s_add_i32 s1, s24, s1
	s_mul_i32 s0, s0, s12
	s_add_i32 s1, s1, s0
	s_mul_i32 s14, s14, s12
	s_add_u32 s44, s14, s46
	s_addc_u32 s45, s1, s3
.LBB77_24:
	s_add_i32 s24, s55, s53
	s_ashr_i32 s14, s33, 31
	s_add_u32 s28, s50, s33
	s_addc_u32 s29, s56, s14
	s_mul_i32 s0, s28, s51
	s_mul_hi_u32 s1, s28, s12
	s_add_i32 s0, s1, s0
	s_mul_i32 s1, s29, s12
	s_add_i32 s1, s0, s1
	s_mul_i32 s0, s28, s12
	s_add_u32 s0, s0, s46
	v_lshlrev_b32_e32 v6, 6, v1
	v_lshlrev_b32_e32 v27, 2, v89
	s_addc_u32 s1, s1, s3
	s_mov_b32 s3, 0x7060302
	v_or_b32_e32 v9, v6, v27
	v_xor_b32_e32 v7, v1, v27
	v_perm_b32 v3, v77, v76, s3
	v_perm_b32 v2, v75, v74, s3
	;; [unrolled: 1-line block ×4, first 2 shown]
	v_lshlrev_b32_e32 v9, 1, v9
	v_xor_b32_e32 v8, v92, v27
	ds_write2st64_b64 v9, v[2:3], v[4:5] offset0:32 offset1:48
	v_lshlrev_b32_e32 v7, 1, v7
	v_lshlrev_b32_e32 v9, 8, v89
	v_or_b32_e32 v10, v7, v9
	v_lshlrev_b32_e32 v8, 1, v8
	ds_write_b64 v10, v[2:3]
	v_or_b32_e32 v2, v8, v9
	v_or_b32_e32 v9, 16, v89
	v_lshlrev_b32_e32 v25, 2, v9
	v_or_b32_e32 v10, v6, v25
	ds_write_b64 v2, v[4:5]
	v_perm_b32 v3, v69, v68, s3
	v_perm_b32 v2, v67, v66, s3
	;; [unrolled: 1-line block ×4, first 2 shown]
	v_lshlrev_b32_e32 v10, 1, v10
	v_lshlrev_b32_e32 v9, 8, v9
	ds_write2st64_b64 v10, v[2:3], v[4:5] offset0:32 offset1:48
	v_or_b32_e32 v10, v7, v9
	ds_write_b64 v10, v[2:3]
	v_or_b32_e32 v2, v8, v9
	v_or_b32_e32 v9, 32, v89
	v_lshlrev_b32_e32 v24, 2, v9
	v_or_b32_e32 v10, v6, v24
	ds_write_b64 v2, v[4:5]
	v_perm_b32 v3, v61, v60, s3
	v_perm_b32 v2, v59, v58, s3
	v_perm_b32 v5, v55, v54, s3
	v_perm_b32 v4, v57, v56, s3
	v_lshlrev_b32_e32 v10, 1, v10
	v_lshlrev_b32_e32 v9, 8, v9
	s_lshl_b64 s[30:31], s[0:1], 8
	ds_write2st64_b64 v10, v[2:3], v[4:5] offset0:32 offset1:48
	v_or_b32_e32 v10, v7, v9
	s_add_u32 s0, s6, s30
	ds_write_b64 v10, v[2:3]
	v_or_b32_e32 v2, v8, v9
	s_addc_u32 s1, s7, s31
	ds_write_b64 v2, v[4:5]
	v_perm_b32 v3, v53, v52, s3
	v_perm_b32 v2, v51, v50, s3
	v_perm_b32 v5, v49, v48, s3
	v_perm_b32 v4, v47, v46, s3
	v_or_b32_e32 v9, 48, v89
	s_mul_hi_i32 s3, s24, s13
	s_mul_i32 s24, s24, s13
	v_lshlrev_b32_e32 v21, 2, v9
	s_add_u32 s6, s24, s33
	v_or_b32_e32 v6, v6, v21
	s_addc_u32 s7, s3, s14
	v_lshlrev_b32_e32 v6, 1, v6
	s_ashr_i32 s3, s2, 31
	s_lshl_b64 s[6:7], s[6:7], 15
	ds_write2st64_b64 v6, v[2:3], v[4:5] offset0:32 offset1:48
	v_lshlrev_b32_e32 v6, 8, v9
	s_add_u32 s6, s16, s6
	v_or_b32_e32 v7, v7, v6
	s_addc_u32 s7, s17, s7
	s_lshl_b64 s[2:3], s[2:3], 8
	ds_write_b64 v7, v[2:3]
	v_or_b32_e32 v2, v8, v6
	s_add_u32 s2, s6, s2
	v_lshlrev_b32_e32 v3, 1, v89
	ds_write_b64 v2, v[4:5]
	v_lshrrev_b32_e32 v2, 4, v0
	s_addc_u32 s3, s7, s3
	v_or_b32_e32 v4, 1, v3
	v_lshlrev_b32_e32 v10, 4, v89
	v_mov_b32_e32 v11, 0
	v_xor_b32_e32 v3, v2, v3
	v_xor_b32_e32 v6, v4, v2
	v_lshl_add_u64 v[12:13], s[2:3], 0, v[10:11]
	v_lshlrev_b32_e32 v10, 8, v2
	v_lshl_or_b32 v16, v3, 3, v10
	v_lshl_or_b32 v17, v6, 3, v10
	s_waitcnt lgkmcnt(0)
	s_barrier
	ds_read2st64_b64 v[2:5], v16 offset1:8
	ds_read2st64_b64 v[6:9], v17 offset1:8
	v_lshl_add_u64 v[14:15], v[12:13], 0, v[10:11]
	s_movk_i32 s2, 0x2000
	s_cmp_lg_u32 s47, 64
	s_waitcnt lgkmcnt(1)
	v_mov_b32_e32 v10, v2
	v_mov_b32_e32 v11, v3
	s_waitcnt lgkmcnt(0)
	v_mov_b32_e32 v12, v6
	v_mov_b32_e32 v13, v7
	global_store_dwordx4 v[14:15], v[10:13], off
	v_mov_b32_e32 v6, v4
	v_mov_b32_e32 v7, v5
	ds_read2st64_b64 v[2:5], v16 offset0:16 offset1:24
	ds_read2st64_b64 v[10:13], v17 offset0:16 offset1:24
	v_add_co_u32_e32 v16, vcc, s2, v14
	s_cselect_b64 s[6:7], -1, 0
	s_nop 0
	v_addc_co_u32_e32 v17, vcc, 0, v15, vcc
	global_store_dwordx4 v[16:17], v[6:9], off offset:-4096
	v_lshl_or_b32 v19, v45, 3, v91
	s_mov_b32 s24, 0
	s_waitcnt lgkmcnt(1)
	v_mov_b32_e32 v6, v2
	v_add_co_u32_e32 v2, vcc, 0x3000, v14
	v_mov_b32_e32 v7, v3
	s_nop 0
	v_addc_co_u32_e32 v3, vcc, 0, v15, vcc
	s_waitcnt lgkmcnt(0)
	v_mov_b32_e32 v8, v10
	v_mov_b32_e32 v9, v11
	v_mov_b32_e32 v10, v4
	v_mov_b32_e32 v11, v5
	v_or_b32_e32 v22, 32, v19
	v_and_b32_e32 v20, 56, v90
	s_and_b64 vcc, exec, s[6:7]
	global_store_dwordx4 v[16:17], v[6:9], off
	global_store_dwordx4 v[2:3], v[10:13], off
	s_cbranch_vccz .LBB77_30
; %bb.25:
	s_mov_b32 s25, s24
	s_mov_b32 s26, s24
	s_mov_b32 s27, s24
	v_mov_b64_e32 v[6:7], s[24:25]
	v_mov_b64_e32 v[8:9], s[26:27]
	;; [unrolled: 1-line block ×3, first 2 shown]
	v_cmp_gt_i32_e32 vcc, s47, v19
	v_mov_b64_e32 v[4:5], v[8:9]
	s_and_saveexec_b64 s[2:3], vcc
	s_cbranch_execz .LBB77_27
; %bb.26:
	v_lshlrev_b32_e32 v2, 8, v19
	v_mov_b32_e32 v3, 0
	v_lshl_add_u64 v[4:5], s[0:1], 0, v[2:3]
	v_lshlrev_b32_e32 v2, 1, v20
	v_lshl_add_u64 v[10:11], v[4:5], 0, v[2:3]
	global_load_dwordx4 v[6:9], v[10:11], off
	global_load_dwordx4 v[2:5], v[10:11], off offset:128
.LBB77_27:
	s_or_b64 exec, exec, s[2:3]
	s_mov_b32 s25, s24
	s_mov_b32 s26, s24
	;; [unrolled: 1-line block ×3, first 2 shown]
	v_mov_b64_e32 v[14:15], s[24:25]
	v_mov_b64_e32 v[16:17], s[26:27]
	;; [unrolled: 1-line block ×3, first 2 shown]
	v_cmp_gt_i32_e32 vcc, s47, v22
	v_lshlrev_b32_e32 v23, 7, v22
	v_mov_b64_e32 v[12:13], v[16:17]
	s_and_saveexec_b64 s[2:3], vcc
	s_cbranch_execz .LBB77_29
; %bb.28:
	v_lshlrev_b32_e32 v10, 1, v23
	v_mov_b32_e32 v11, 0
	v_lshl_add_u64 v[12:13], s[0:1], 0, v[10:11]
	v_lshlrev_b32_e32 v10, 1, v20
	v_lshl_add_u64 v[28:29], v[12:13], 0, v[10:11]
	global_load_dwordx4 v[14:17], v[28:29], off
	global_load_dwordx4 v[10:13], v[28:29], off offset:128
.LBB77_29:
	s_or_b64 exec, exec, s[2:3]
	v_lshrrev_b32_e32 v26, 3, v20
	v_lshlrev_b32_e32 v28, 3, v19
	v_or_b32_e32 v26, v28, v26
	v_lshlrev_b32_e32 v26, 4, v26
	v_and_b32_e32 v28, 0x78, v28
	v_xor_b32_e32 v26, v26, v28
	s_branch .LBB77_32
.LBB77_30:
                                        ; implicit-def: $vgpr26
                                        ; implicit-def: $vgpr23
                                        ; implicit-def: $vgpr6_vgpr7_vgpr8_vgpr9
                                        ; implicit-def: $vgpr2_vgpr3_vgpr4_vgpr5
                                        ; implicit-def: $vgpr14_vgpr15_vgpr16_vgpr17
                                        ; implicit-def: $vgpr10_vgpr11_vgpr12_vgpr13
	s_cbranch_execz .LBB77_32
; %bb.31:
	s_waitcnt vmcnt(0)
	v_lshlrev_b32_e32 v2, 1, v20
	v_lshl_or_b32 v23, v19, 8, v2
	s_and_b32 s1, s1, 0xffff
	s_mov_b32 s3, 0x20000
	s_movk_i32 s2, 0x4000
	v_lshl_or_b32 v26, v22, 8, v2
	s_movk_i32 s16, 0x80
	buffer_load_dwordx4 v[6:9], v23, s[0:3], 0 offen
	buffer_load_dwordx4 v[2:5], v23, s[0:3], s16 offen
	;; [unrolled: 1-line block ×4, first 2 shown]
	v_lshrrev_b32_e32 v23, 3, v20
	v_lshlrev_b32_e32 v26, 3, v19
	v_or_b32_e32 v23, v26, v23
	v_lshlrev_b32_e32 v23, 4, v23
	v_and_b32_e32 v26, 0x78, v26
	v_xor_b32_e32 v26, v23, v26
	v_lshlrev_b32_e32 v23, 7, v22
.LBB77_32:
	s_movk_i32 s0, 0x1000
	v_and_or_b32 v22, v23, s0, v26
	s_waitcnt vmcnt(1)
	ds_write_b64 v26, v[6:7] offset:49152
	v_xor_b32_e32 v6, 8, v26
	ds_write_b64 v6, v[8:9] offset:49152
	s_waitcnt vmcnt(0)
	ds_write_b64 v26, v[2:3] offset:57344
	ds_write_b64 v6, v[4:5] offset:57344
	;; [unrolled: 1-line block ×3, first 2 shown]
	v_xor_b32_e32 v2, 8, v22
	ds_write_b64 v2, v[16:17] offset:49152
	ds_write_b64 v22, v[10:11] offset:57344
	;; [unrolled: 1-line block ×3, first 2 shown]
	v_or_b32_e32 v2, v86, v89
	v_lshlrev_b32_e32 v2, 3, v2
	v_lshrrev_b32_e32 v3, 5, v87
	s_movk_i32 s0, 0xf8
	v_and_or_b32 v3, v2, s0, v3
	v_lshlrev_b32_e32 v7, 4, v3
	v_lshlrev_b32_e32 v26, 11, v45
	v_and_b32_e32 v8, 0x78, v2
	v_or_b32_e32 v10, 32, v7
	v_and_b32_e32 v6, 0x1000, v26
	v_lshrrev_b32_e32 v3, 1, v87
	v_xor_b32_e32 v10, v10, v8
	v_xor_b32_e32 v2, v7, v8
	v_and_b32_e32 v9, 8, v3
	v_or_b32_e32 v10, v10, v6
	v_or_b32_e32 v2, v2, v6
	v_xor_b32_e32 v33, v10, v9
	v_or_b32_e32 v10, 64, v7
	v_xor_b32_e32 v32, v2, v9
	v_xor_b32_e32 v10, v10, v8
	s_waitcnt lgkmcnt(0)
	s_barrier
	v_or_b32_e32 v13, v10, v6
	ds_read_b64 v[10:11], v32 offset:49152
	v_lshl_or_b32 v14, v88, 8, v27
	v_lshlrev_b32_e32 v28, 1, v14
	v_add_u32_e32 v12, 0x4000, v28
	ds_read2_b64 v[2:5], v12 offset1:16
	v_or_b32_e32 v7, 0x60, v7
	v_xor_b32_e32 v7, v7, v8
	v_or_b32_e32 v6, v7, v6
	v_xor_b32_e32 v34, v13, v9
	v_xor_b32_e32 v35, v6, v9
	ds_read_b64 v[22:23], v33 offset:49152
	ds_read_b64 v[36:37], v34 offset:49152
	;; [unrolled: 1-line block ×3, first 2 shown]
	s_waitcnt lgkmcnt(3)
	v_mfma_f32_16x16x16_bf16 a[0:3], v[10:11], v[2:3], 0
	ds_read2_b64 v[6:9], v12 offset0:32 offset1:48
	s_lshl_b64 s[0:1], s[44:45], 8
	s_add_u32 s4, s4, s0
	v_mfma_f32_16x16x16_bf16 a[4:7], v[10:11], v[4:5], 0
	ds_read2st64_b64 v[2:5], v28 offset0:36 offset1:40
	s_addc_u32 s5, s5, s1
	s_add_i32 s16, s12, -1
	s_waitcnt lgkmcnt(1)
	v_mfma_f32_16x16x16_bf16 a[8:11], v[10:11], v[6:7], 0
	v_or_b32_e32 v6, 64, v14
	v_lshlrev_b32_e32 v29, 1, v6
	s_add_i32 s0, s49, s21
	s_waitcnt lgkmcnt(0)
	v_mfma_f32_16x16x16_bf16 a[0:3], v[22:23], v[2:3], a[0:3]
	v_or_b32_e32 v2, 0x80, v14
	v_lshlrev_b32_e32 v30, 1, v2
	v_or_b32_e32 v2, 0xc0, v14
	v_mfma_f32_16x16x16_bf16 a[12:15], v[10:11], v[8:9], 0
	ds_read2st64_b64 v[6:9], v29 offset0:36 offset1:40
	v_lshlrev_b32_e32 v31, 1, v2
	ds_read2st64_b64 v[10:13], v30 offset0:36 offset1:40
	ds_read2st64_b64 v[14:17], v31 offset0:36 offset1:40
	s_mul_i32 s41, s41, s20
	s_add_i32 s41, s0, s41
	s_mul_i32 s0, s33, s23
	s_mul_hi_u32 s1, s33, s22
	s_ashr_i32 s2, s16, 31
	s_mul_i32 s3, s16, s39
	s_mul_hi_u32 s12, s16, s38
	s_waitcnt lgkmcnt(2)
	v_mfma_f32_16x16x16_bf16 a[4:7], v[22:23], v[6:7], a[4:7]
	s_add_i32 s0, s1, s0
	s_mul_i32 s1, s14, s22
	s_add_i32 s3, s12, s3
	s_mul_i32 s2, s2, s38
	s_waitcnt lgkmcnt(1)
	v_mfma_f32_16x16x16_bf16 a[8:11], v[22:23], v[10:11], a[8:11]
	s_add_i32 s1, s0, s1
	s_add_i32 s3, s3, s2
	s_lshl_b64 s[20:21], s[40:41], 2
	s_waitcnt lgkmcnt(0)
	v_mfma_f32_16x16x16_bf16 a[12:15], v[22:23], v[14:15], a[12:15]
	s_mul_i32 s0, s33, s22
	s_add_u32 s10, s10, s20
	s_addc_u32 s11, s11, s21
	s_lshl_b64 s[0:1], s[0:1], 2
	v_mfma_f32_16x16x16_bf16 a[0:3], v[36:37], v[4:5], a[0:3]
	s_mul_i32 s2, s16, s38
	ds_read_b64 v[2:3], v28 offset:22528
	s_add_u32 s10, s10, s0
	v_mfma_f32_16x16x16_bf16 a[4:7], v[36:37], v[8:9], a[4:7]
	ds_read_b64 v[4:5], v29 offset:22528
	ds_read_b64 v[6:7], v30 offset:22528
	;; [unrolled: 1-line block ×3, first 2 shown]
	s_addc_u32 s11, s11, s1
	s_lshl_b64 s[0:1], s[2:3], 2
	v_mfma_f32_16x16x16_bf16 a[8:11], v[36:37], v[12:13], a[8:11]
	s_add_u32 s0, s10, s0
	s_addc_u32 s1, s11, s1
	s_load_dword s12, s[0:1], 0x0
	v_mfma_f32_16x16x16_bf16 a[12:15], v[36:37], v[16:17], a[12:15]
	s_and_b64 vcc, exec, s[42:43]
	s_waitcnt lgkmcnt(0)
	v_mfma_f32_16x16x16_bf16 a[0:3], v[38:39], v[2:3], a[0:3]
	v_mfma_f32_16x16x16_bf16 a[4:7], v[38:39], v[4:5], a[4:7]
	;; [unrolled: 1-line block ×4, first 2 shown]
	s_cbranch_vccz .LBB77_43
; %bb.33:
	v_lshlrev_b32_e32 v22, 1, v19
	s_and_b64 vcc, exec, s[6:7]
	s_cbranch_vccz .LBB77_44
; %bb.34:
	v_cmp_gt_i32_e32 vcc, s47, v22
	v_mov_b32_e32 v6, 0
	v_mov_b32_e32 v2, 0
	;; [unrolled: 1-line block ×5, first 2 shown]
	s_and_saveexec_b64 s[0:1], vcc
	s_cbranch_execz .LBB77_36
; %bb.35:
	v_mad_i64_i32 v[2:3], s[2:3], s15, v22, 0
	v_lshl_add_u64 v[2:3], v[2:3], 1, s[4:5]
	v_lshlrev_b32_e32 v4, 1, v20
	v_mov_b32_e32 v5, 0
	v_lshl_add_u64 v[2:3], v[2:3], 0, v[4:5]
	global_load_dwordx4 v[2:5], v[2:3], off
.LBB77_36:
	s_or_b64 exec, exec, s[0:1]
	v_or_b32_e32 v23, 1, v22
	v_cmp_gt_i32_e64 s[0:1], s47, v23
	v_mov_b32_e32 v7, 0
	v_mov_b32_e32 v8, 0
	;; [unrolled: 1-line block ×3, first 2 shown]
	s_and_saveexec_b64 s[2:3], s[0:1]
	s_cbranch_execz .LBB77_38
; %bb.37:
	v_mad_i64_i32 v[6:7], s[20:21], s15, v23, 0
	v_lshl_add_u64 v[6:7], v[6:7], 1, s[4:5]
	v_lshlrev_b32_e32 v8, 1, v20
	v_mov_b32_e32 v9, 0
	v_lshl_add_u64 v[6:7], v[6:7], 0, v[8:9]
	global_load_dwordx4 v[6:9], v[6:7], off
.LBB77_38:
	s_or_b64 exec, exec, s[2:3]
	v_mov_b32_e32 v17, 0
	v_mov_b32_e32 v10, 0
	;; [unrolled: 1-line block ×5, first 2 shown]
	s_and_saveexec_b64 s[2:3], vcc
	s_cbranch_execz .LBB77_40
; %bb.39:
	v_mad_i64_i32 v[10:11], s[20:21], s15, v22, 0
	v_lshl_add_u64 v[10:11], v[10:11], 1, s[4:5]
	v_lshlrev_b32_e32 v12, 1, v20
	v_mov_b32_e32 v13, 0
	v_lshl_add_u64 v[10:11], v[10:11], 0, v[12:13]
	global_load_dwordx4 v[10:13], v[10:11], off offset:128
.LBB77_40:
	s_or_b64 exec, exec, s[2:3]
	v_mov_b32_e32 v16, 0
	v_mov_b32_e32 v15, 0
	;; [unrolled: 1-line block ×3, first 2 shown]
	s_and_saveexec_b64 s[2:3], s[0:1]
	s_cbranch_execz .LBB77_42
; %bb.41:
	v_mad_i64_i32 v[14:15], s[0:1], s15, v23, 0
	v_lshl_add_u64 v[14:15], v[14:15], 1, s[4:5]
	v_lshlrev_b32_e32 v16, 1, v20
	v_mov_b32_e32 v17, 0
	v_lshl_add_u64 v[14:15], v[14:15], 0, v[16:17]
	global_load_dwordx4 v[14:17], v[14:15], off offset:128
.LBB77_42:
	s_or_b64 exec, exec, s[2:3]
	s_branch .LBB77_46
.LBB77_43:
                                        ; implicit-def: $vgpr5
                                        ; implicit-def: $vgpr9
                                        ; implicit-def: $vgpr13
                                        ; implicit-def: $vgpr17
	v_lshrrev_b32_e32 v36, 2, v87
	s_branch .LBB77_47
.LBB77_44:
                                        ; implicit-def: $vgpr5
                                        ; implicit-def: $vgpr9
                                        ; implicit-def: $vgpr13
                                        ; implicit-def: $vgpr17
	s_cbranch_execz .LBB77_46
; %bb.45:
	s_waitcnt vmcnt(0)
	v_mad_u64_u32 v[2:3], s[0:1], v22, s15, v[20:21]
	v_lshlrev_b32_e32 v22, 1, v2
	s_lshl_b32 s2, s15, 7
	s_and_b32 s1, s5, 0xffff
	s_mov_b32 s3, 0x20000
	s_mov_b32 s0, s4
	v_add_lshl_u32 v23, v2, s15, 1
	s_movk_i32 s15, 0x80
	buffer_load_dwordx4 v[2:5], v22, s[0:3], 0 offen
	buffer_load_dwordx4 v[10:13], v22, s[0:3], s15 offen
	;; [unrolled: 1-line block ×4, first 2 shown]
.LBB77_46:
	v_lshrrev_b32_e32 v36, 2, v87
	s_cbranch_execnz .LBB77_59
.LBB77_47:
	s_and_b64 vcc, exec, s[6:7]
	s_cbranch_vccz .LBB77_57
; %bb.48:
	s_waitcnt vmcnt(0)
	v_lshlrev_b32_e32 v7, 1, v19
	v_cmp_gt_i32_e32 vcc, s47, v7
	v_mov_b32_e32 v6, 0
	v_lshlrev_b32_e32 v14, 9, v19
	v_mov_b32_e32 v2, 0
	v_mov_b32_e32 v3, 0
	;; [unrolled: 1-line block ×4, first 2 shown]
	s_and_saveexec_b64 s[0:1], vcc
	s_cbranch_execz .LBB77_50
; %bb.49:
	v_mov_b32_e32 v15, 0
	v_lshl_add_u64 v[2:3], s[4:5], 0, v[14:15]
	v_lshlrev_b32_e32 v4, 1, v20
	v_mov_b32_e32 v5, v15
	v_lshl_add_u64 v[2:3], v[2:3], 0, v[4:5]
	global_load_dwordx4 v[2:5], v[2:3], off
.LBB77_50:
	s_or_b64 exec, exec, s[0:1]
	v_or_b32_e32 v7, 1, v7
	v_cmp_gt_i32_e64 s[0:1], s47, v7
	v_lshlrev_b32_e32 v22, 8, v7
	v_mov_b32_e32 v7, 0
	v_mov_b32_e32 v8, 0
	;; [unrolled: 1-line block ×3, first 2 shown]
	s_and_saveexec_b64 s[2:3], s[0:1]
	s_cbranch_execz .LBB77_52
; %bb.51:
	v_mov_b32_e32 v23, 0
	v_lshl_add_u64 v[6:7], s[4:5], 0, v[22:23]
	v_lshlrev_b32_e32 v8, 1, v20
	v_mov_b32_e32 v9, v23
	v_lshl_add_u64 v[6:7], v[6:7], 0, v[8:9]
	global_load_dwordx4 v[6:9], v[6:7], off
.LBB77_52:
	s_or_b64 exec, exec, s[2:3]
	v_mov_b32_e32 v17, 0
	v_mov_b32_e32 v10, 0
	;; [unrolled: 1-line block ×5, first 2 shown]
	s_and_saveexec_b64 s[2:3], vcc
	s_cbranch_execz .LBB77_54
; %bb.53:
	v_mov_b32_e32 v15, 0
	v_lshl_add_u64 v[10:11], s[4:5], 0, v[14:15]
	v_lshlrev_b32_e32 v14, 1, v20
	v_lshl_add_u64 v[10:11], v[10:11], 0, v[14:15]
	global_load_dwordx4 v[10:13], v[10:11], off offset:128
.LBB77_54:
	s_or_b64 exec, exec, s[2:3]
	v_mov_b32_e32 v16, 0
	v_mov_b32_e32 v15, 0
	;; [unrolled: 1-line block ×3, first 2 shown]
	s_and_saveexec_b64 s[2:3], s[0:1]
	s_cbranch_execz .LBB77_56
; %bb.55:
	v_mov_b32_e32 v23, 0
	v_lshl_add_u64 v[14:15], s[4:5], 0, v[22:23]
	v_lshlrev_b32_e32 v22, 1, v20
	v_lshl_add_u64 v[14:15], v[14:15], 0, v[22:23]
	global_load_dwordx4 v[14:17], v[14:15], off offset:128
.LBB77_56:
	s_or_b64 exec, exec, s[2:3]
	s_branch .LBB77_59
.LBB77_57:
                                        ; implicit-def: $vgpr5
                                        ; implicit-def: $vgpr9
                                        ; implicit-def: $vgpr13
                                        ; implicit-def: $vgpr17
	s_cbranch_execz .LBB77_59
; %bb.58:
	s_waitcnt vmcnt(0)
	v_lshlrev_b32_e32 v2, 1, v20
	v_lshl_or_b32 v20, v19, 9, v2
	s_and_b32 s5, s5, 0xffff
	s_mov_b32 s7, 0x20000
	s_movk_i32 s6, 0x4000
	s_movk_i32 s0, 0x80
	buffer_load_dwordx4 v[2:5], v20, s[4:7], 0 offen
	buffer_load_dwordx4 v[6:9], v20, s[4:7], 0 offen offset:256
	buffer_load_dwordx4 v[10:13], v20, s[4:7], s0 offen
	buffer_load_dwordx4 v[14:17], v20, s[4:7], s0 offen offset:256
.LBB77_59:
	ds_read_b64 v[22:23], v32 offset:57344
	v_add_u32_e32 v20, 0x6000, v28
	ds_read2_b64 v[38:41], v20 offset1:16
	ds_read_b64 v[82:83], v33 offset:57344
	ds_read_b64 v[84:85], v34 offset:57344
	;; [unrolled: 1-line block ×3, first 2 shown]
	ds_read2_b64 v[32:35], v20 offset0:32 offset1:48
	v_and_b32_e32 v20, 12, v36
	v_and_b32_e32 v44, 6, v0
	v_xor_b32_e32 v19, v19, v44
	v_lshlrev_b32_e32 v19, 2, v19
	s_mov_b32 s0, 0x1000504
	s_waitcnt lgkmcnt(4)
	v_mfma_f32_16x16x16_bf16 a[4:7], v[22:23], v[40:41], a[4:7]
	s_mov_b32 s1, 0x3020706
	v_mfma_f32_16x16x16_bf16 a[0:3], v[22:23], v[38:39], a[0:3]
	ds_read2st64_b64 v[36:39], v28 offset0:52 offset1:56
	s_waitcnt lgkmcnt(1)
	v_mfma_f32_16x16x16_bf16 a[8:11], v[22:23], v[32:33], a[8:11]
	v_mfma_f32_16x16x16_bf16 a[12:15], v[22:23], v[34:35], a[12:15]
	ds_read2st64_b64 v[32:35], v29 offset0:52 offset1:56
	ds_read2st64_b64 v[40:43], v30 offset0:52 offset1:56
	;; [unrolled: 1-line block ×3, first 2 shown]
	s_waitcnt lgkmcnt(2)
	v_mfma_f32_16x16x16_bf16 a[4:7], v[82:83], v[32:33], a[4:7]
	v_and_b32_e32 v32, 1, v0
	v_xor_b32_e32 v33, 0x440, v19
	v_cmp_eq_u32_e32 vcc, 0, v32
	v_mfma_f32_16x16x16_bf16 a[0:3], v[82:83], v[36:37], a[0:3]
	s_waitcnt vmcnt(0)
	v_perm_b32 v32, v2, v6, s0
	v_cndmask_b32_e32 v19, v33, v19, vcc
	v_lshl_or_b32 v19, v44, 10, v19
	s_waitcnt lgkmcnt(1)
	v_mfma_f32_16x16x16_bf16 a[8:11], v[82:83], v[40:41], a[8:11]
	v_perm_b32 v33, v10, v14, s0
	ds_read_b64 v[22:23], v28 offset:30720
	ds_read_b64 v[36:37], v29 offset:30720
	;; [unrolled: 1-line block ×4, first 2 shown]
	ds_write2st64_b32 v19, v32, v33 offset0:128 offset1:160
	s_waitcnt lgkmcnt(5)
	v_mfma_f32_16x16x16_bf16 a[12:15], v[82:83], v[78:79], a[12:15]
	v_xor_b32_e32 v32, 8, v19
	v_perm_b32 v2, v2, v6, s1
	v_perm_b32 v6, v10, v14, s1
	v_add_u32_e32 v10, 0x80, v32
	ds_write2st64_b32 v10, v2, v6 offset0:128 offset1:160
	v_xor_b32_e32 v2, 16, v19
	v_perm_b32 v6, v3, v7, s0
	v_perm_b32 v10, v11, v15, s0
	v_mfma_f32_16x16x16_bf16 a[0:3], v[84:85], v[38:39], a[0:3]
	ds_write2st64_b32 v2, v6, v10 offset0:129 offset1:161
	v_xor_b32_e32 v2, 24, v19
	v_perm_b32 v3, v3, v7, s1
	v_mfma_f32_16x16x16_bf16 a[4:7], v[84:85], v[34:35], a[4:7]
	v_perm_b32 v6, v11, v15, s1
	v_add_u32_e32 v2, 0x80, v2
	ds_write2st64_b32 v2, v3, v6 offset0:129 offset1:161
	v_mfma_f32_16x16x16_bf16 a[16:19], v[84:85], v[42:43], a[8:11]
	v_xor_b32_e32 v2, 32, v19
	v_perm_b32 v3, v4, v8, s0
	v_perm_b32 v6, v12, v16, s0
	v_mfma_f32_16x16x16_bf16 a[20:23], v[84:85], v[80:81], a[12:15]
	ds_write2st64_b32 v2, v3, v6 offset0:130 offset1:162
	v_xor_b32_e32 v2, 40, v19
	v_perm_b32 v3, v4, v8, s1
	s_waitcnt lgkmcnt(8)
	v_mfma_f32_16x16x16_bf16 a[12:15], v[88:89], v[22:23], a[0:3]
	v_perm_b32 v4, v12, v16, s1
	v_add_u32_e32 v2, 0x80, v2
	ds_write2st64_b32 v2, v3, v4 offset0:130 offset1:162
	s_waitcnt lgkmcnt(8)
	v_mfma_f32_16x16x16_bf16 a[8:11], v[88:89], v[36:37], a[4:7]
	v_xor_b32_e32 v2, 48, v19
	v_perm_b32 v3, v5, v9, s0
	v_perm_b32 v4, v13, v17, s0
	s_waitcnt lgkmcnt(7)
	v_mfma_f32_16x16x16_bf16 a[4:7], v[88:89], v[90:91], a[16:19]
	ds_write2st64_b32 v2, v3, v4 offset0:131 offset1:163
	v_xor_b32_e32 v2, 56, v19
	v_or_b32_e32 v22, v20, v86
	s_waitcnt lgkmcnt(7)
	v_mfma_f32_16x16x16_bf16 a[0:3], v[88:89], v[92:93], a[20:23]
	v_perm_b32 v3, v5, v9, s1
	v_perm_b32 v4, v13, v17, s1
	v_add_u32_e32 v2, 0x80, v2
	v_cmp_gt_i32_e32 vcc, s47, v22
	v_mov_b32_e32 v32, 0
	v_mov_b32_e32 v33, 0
	ds_write2st64_b32 v2, v3, v4 offset0:131 offset1:163
	s_and_saveexec_b64 s[0:1], vcc
	s_cbranch_execz .LBB77_61
; %bb.60:
	v_add_u32_e32 v2, s46, v22
	v_ashrrev_i32_e32 v3, 31, v2
	v_mul_lo_u32 v4, v3, s38
	v_mul_lo_u32 v5, v2, s39
	v_mad_u64_u32 v[2:3], s[2:3], v2, s38, 0
	v_add3_u32 v3, v3, v5, v4
	v_lshl_add_u64 v[2:3], v[2:3], 2, s[10:11]
	global_load_dword v2, v[2:3], off
	s_waitcnt vmcnt(0)
	v_sub_f32_e32 v2, s12, v2
	v_mul_f32_e32 v2, 0x3fb8aa3b, v2
	v_exp_f32_e32 v33, v2
.LBB77_61:
	s_or_b64 exec, exec, s[0:1]
	v_or_b32_e32 v11, 1, v22
	v_cmp_gt_i32_e64 s[2:3], s47, v11
	s_and_saveexec_b64 s[0:1], s[2:3]
	s_cbranch_execz .LBB77_63
; %bb.62:
	v_add_u32_e32 v2, s46, v11
	v_ashrrev_i32_e32 v3, 31, v2
	v_mul_lo_u32 v4, v3, s38
	v_mul_lo_u32 v5, v2, s39
	v_mad_u64_u32 v[2:3], s[4:5], v2, s38, 0
	v_add3_u32 v3, v3, v5, v4
	v_lshl_add_u64 v[2:3], v[2:3], 2, s[10:11]
	global_load_dword v2, v[2:3], off
	s_waitcnt vmcnt(0)
	v_sub_f32_e32 v2, s12, v2
	v_mul_f32_e32 v2, 0x3fb8aa3b, v2
	v_exp_f32_e32 v32, v2
.LBB77_63:
	s_or_b64 exec, exec, s[0:1]
	v_or_b32_e32 v10, 2, v22
	v_cmp_gt_i32_e64 s[4:5], s47, v10
	v_mov_b32_e32 v23, 0
	v_mov_b32_e32 v34, 0
	s_and_saveexec_b64 s[0:1], s[4:5]
	s_cbranch_execz .LBB77_65
; %bb.64:
	v_add_u32_e32 v2, s46, v10
	v_ashrrev_i32_e32 v3, 31, v2
	v_mul_lo_u32 v4, v3, s38
	v_mul_lo_u32 v5, v2, s39
	v_mad_u64_u32 v[2:3], s[6:7], v2, s38, 0
	v_add3_u32 v3, v3, v5, v4
	v_lshl_add_u64 v[2:3], v[2:3], 2, s[10:11]
	global_load_dword v2, v[2:3], off
	s_waitcnt vmcnt(0)
	v_sub_f32_e32 v2, s12, v2
	v_mul_f32_e32 v2, 0x3fb8aa3b, v2
	v_exp_f32_e32 v34, v2
.LBB77_65:
	s_or_b64 exec, exec, s[0:1]
	v_or_b32_e32 v35, 3, v22
	v_cmp_gt_i32_e64 s[0:1], s47, v35
	s_and_saveexec_b64 s[6:7], s[0:1]
	s_cbranch_execz .LBB77_67
; %bb.66:
	v_add_u32_e32 v2, s46, v35
	v_ashrrev_i32_e32 v3, 31, v2
	v_mul_lo_u32 v4, v3, s38
	v_mul_lo_u32 v5, v2, s39
	v_mad_u64_u32 v[2:3], s[20:21], v2, s38, 0
	v_add3_u32 v3, v3, v5, v4
	v_lshl_add_u64 v[2:3], v[2:3], 2, s[10:11]
	global_load_dword v2, v[2:3], off
	s_waitcnt vmcnt(0)
	v_sub_f32_e32 v2, s12, v2
	v_mul_f32_e32 v2, 0x3fb8aa3b, v2
	v_exp_f32_e32 v23, v2
.LBB77_67:
	s_or_b64 exec, exec, s[6:7]
	s_add_u32 s6, s8, s30
	s_addc_u32 s7, s9, s31
	s_add_u32 s8, s18, s30
	v_ashrrev_i32_e32 v19, 31, v18
	v_accvgpr_read_b32 v2, a12
	s_addc_u32 s9, s19, s31
	v_lshlrev_b64 v[6:7], 1, v[18:19]
	v_accvgpr_read_b32 v3, a13
	v_accvgpr_read_b32 v4, a14
	;; [unrolled: 1-line block ×3, first 2 shown]
	v_lshl_add_u64 v[8:9], s[6:7], 0, v[6:7]
	v_lshl_add_u64 v[6:7], s[8:9], 0, v[6:7]
	v_mov_b32_e32 v15, 0
	v_lshlrev_b32_e32 v12, 8, v22
	v_mov_b32_e32 v13, 0
	s_and_saveexec_b64 s[6:7], vcc
	s_cbranch_execz .LBB77_69
; %bb.68:
	v_mov_b32_e32 v13, 0
	v_lshl_add_u64 v[16:17], v[8:9], 0, v[12:13]
	global_load_ushort v14, v[16:17], off
	v_lshl_add_u64 v[16:17], v[6:7], 0, v[12:13]
	s_waitcnt vmcnt(0)
	v_lshlrev_b32_e32 v13, 16, v14
	v_sub_f32_e32 v2, v13, v2
	global_store_short_d16_hi v[16:17], v2, off
	v_mul_f32_e32 v2, v33, v2
	v_lshrrev_b32_e32 v13, 16, v2
.LBB77_69:
	s_or_b64 exec, exec, s[6:7]
	v_lshlrev_b32_e32 v14, 8, v11
	s_and_saveexec_b64 s[6:7], s[2:3]
	s_cbranch_execz .LBB77_71
; %bb.70:
	v_mov_b32_e32 v15, 0
	v_lshl_add_u64 v[16:17], v[8:9], 0, v[14:15]
	global_load_ushort v2, v[16:17], off
	v_lshl_add_u64 v[16:17], v[6:7], 0, v[14:15]
	s_waitcnt vmcnt(0)
	v_lshlrev_b32_e32 v2, 16, v2
	v_sub_f32_e32 v2, v2, v3
	global_store_short_d16_hi v[16:17], v2, off
	v_mul_f32_e32 v2, v32, v2
	v_lshrrev_b32_e32 v15, 16, v2
.LBB77_71:
	s_or_b64 exec, exec, s[6:7]
	v_mov_b32_e32 v11, 0
	v_lshlrev_b32_e32 v16, 8, v10
	v_mov_b32_e32 v17, 0
	s_and_saveexec_b64 s[6:7], s[4:5]
	s_cbranch_execz .LBB77_73
; %bb.72:
	v_mov_b32_e32 v17, 0
	v_lshl_add_u64 v[2:3], v[8:9], 0, v[16:17]
	global_load_ushort v10, v[2:3], off
	v_lshl_add_u64 v[2:3], v[6:7], 0, v[16:17]
	s_waitcnt vmcnt(0)
	v_lshlrev_b32_e32 v10, 16, v10
	v_sub_f32_e32 v4, v10, v4
	global_store_short_d16_hi v[2:3], v4, off
	v_mul_f32_e32 v2, v34, v4
	v_lshrrev_b32_e32 v17, 16, v2
.LBB77_73:
	s_or_b64 exec, exec, s[6:7]
	v_lshlrev_b32_e32 v10, 8, v35
	s_and_saveexec_b64 s[6:7], s[0:1]
	s_cbranch_execz .LBB77_75
; %bb.74:
	v_mov_b32_e32 v11, 0
	v_lshl_add_u64 v[2:3], v[8:9], 0, v[10:11]
	global_load_ushort v4, v[2:3], off
	v_lshl_add_u64 v[2:3], v[6:7], 0, v[10:11]
	s_waitcnt vmcnt(0)
	v_lshlrev_b32_e32 v4, 16, v4
	v_sub_f32_e32 v4, v4, v5
	global_store_short_d16_hi v[2:3], v4, off
	v_mul_f32_e32 v2, v23, v4
	v_lshrrev_b32_e32 v11, 16, v2
.LBB77_75:
	s_or_b64 exec, exec, s[6:7]
	v_lshlrev_b32_e32 v19, 6, v22
	s_mov_b32 s6, 0x5040100
	v_accvgpr_read_b32 v2, a8
	v_perm_b32 v37, v11, v17, s6
	v_or_b32_e32 v11, v19, v27
	v_accvgpr_read_b32 v3, a9
	v_accvgpr_read_b32 v4, a10
	;; [unrolled: 1-line block ×3, first 2 shown]
	v_perm_b32 v36, v15, v13, s6
	v_lshlrev_b32_e32 v11, 1, v11
	v_mov_b32_e32 v15, 0
	v_mov_b32_e32 v13, 0
	ds_write_b64 v11, v[36:37] offset:24576
	s_and_saveexec_b64 s[6:7], vcc
	s_cbranch_execz .LBB77_77
; %bb.76:
	v_mov_b32_e32 v13, 0
	v_lshl_add_u64 v[36:37], v[8:9], 0, v[12:13]
	global_load_ushort v11, v[36:37], off offset:32
	v_lshl_add_u64 v[36:37], v[6:7], 0, v[12:13]
	s_waitcnt vmcnt(0)
	v_lshlrev_b32_e32 v11, 16, v11
	v_sub_f32_e32 v2, v11, v2
	global_store_short_d16_hi v[36:37], v2, off offset:32
	v_mul_f32_e32 v2, v33, v2
	v_lshrrev_b32_e32 v13, 16, v2
.LBB77_77:
	s_or_b64 exec, exec, s[6:7]
	s_and_saveexec_b64 s[6:7], s[2:3]
	s_cbranch_execz .LBB77_79
; %bb.78:
	v_mov_b32_e32 v15, 0
	v_lshl_add_u64 v[36:37], v[8:9], 0, v[14:15]
	global_load_ushort v2, v[36:37], off offset:32
	v_lshl_add_u64 v[36:37], v[6:7], 0, v[14:15]
	s_waitcnt vmcnt(0)
	v_lshlrev_b32_e32 v2, 16, v2
	v_sub_f32_e32 v2, v2, v3
	global_store_short_d16_hi v[36:37], v2, off offset:32
	v_mul_f32_e32 v2, v32, v2
	v_lshrrev_b32_e32 v15, 16, v2
.LBB77_79:
	s_or_b64 exec, exec, s[6:7]
	v_mov_b32_e32 v11, 0
	v_mov_b32_e32 v17, 0
	s_and_saveexec_b64 s[6:7], s[4:5]
	s_cbranch_execz .LBB77_81
; %bb.80:
	v_mov_b32_e32 v17, 0
	v_lshl_add_u64 v[2:3], v[8:9], 0, v[16:17]
	global_load_ushort v27, v[2:3], off offset:32
	v_lshl_add_u64 v[2:3], v[6:7], 0, v[16:17]
	s_waitcnt vmcnt(0)
	v_lshlrev_b32_e32 v17, 16, v27
	v_sub_f32_e32 v4, v17, v4
	global_store_short_d16_hi v[2:3], v4, off offset:32
	v_mul_f32_e32 v2, v34, v4
	v_lshrrev_b32_e32 v17, 16, v2
.LBB77_81:
	s_or_b64 exec, exec, s[6:7]
	s_and_saveexec_b64 s[6:7], s[0:1]
	s_cbranch_execz .LBB77_83
; %bb.82:
	v_mov_b32_e32 v11, 0
	v_lshl_add_u64 v[2:3], v[8:9], 0, v[10:11]
	global_load_ushort v4, v[2:3], off offset:32
	v_lshl_add_u64 v[2:3], v[6:7], 0, v[10:11]
	s_waitcnt vmcnt(0)
	v_lshlrev_b32_e32 v4, 16, v4
	v_sub_f32_e32 v4, v4, v5
	global_store_short_d16_hi v[2:3], v4, off offset:32
	v_mul_f32_e32 v2, v23, v4
	v_lshrrev_b32_e32 v11, 16, v2
.LBB77_83:
	s_or_b64 exec, exec, s[6:7]
	s_mov_b32 s6, 0x5040100
	v_accvgpr_read_b32 v2, a4
	v_perm_b32 v37, v11, v17, s6
	v_or_b32_e32 v11, v19, v25
	v_accvgpr_read_b32 v3, a5
	v_accvgpr_read_b32 v4, a6
	;; [unrolled: 1-line block ×3, first 2 shown]
	v_perm_b32 v36, v15, v13, s6
	v_lshlrev_b32_e32 v11, 1, v11
	v_mov_b32_e32 v15, 0
	v_mov_b32_e32 v13, 0
	ds_write_b64 v11, v[36:37] offset:24576
	s_and_saveexec_b64 s[6:7], vcc
	s_cbranch_execz .LBB77_85
; %bb.84:
	v_mov_b32_e32 v13, 0
	v_lshl_add_u64 v[36:37], v[8:9], 0, v[12:13]
	global_load_ushort v11, v[36:37], off offset:64
	v_lshl_add_u64 v[36:37], v[6:7], 0, v[12:13]
	s_waitcnt vmcnt(0)
	v_lshlrev_b32_e32 v11, 16, v11
	v_sub_f32_e32 v2, v11, v2
	global_store_short_d16_hi v[36:37], v2, off offset:64
	v_mul_f32_e32 v2, v33, v2
	v_lshrrev_b32_e32 v13, 16, v2
.LBB77_85:
	s_or_b64 exec, exec, s[6:7]
	s_and_saveexec_b64 s[6:7], s[2:3]
	s_cbranch_execz .LBB77_87
; %bb.86:
	v_mov_b32_e32 v15, 0
	v_lshl_add_u64 v[36:37], v[8:9], 0, v[14:15]
	global_load_ushort v2, v[36:37], off offset:64
	v_lshl_add_u64 v[36:37], v[6:7], 0, v[14:15]
	s_waitcnt vmcnt(0)
	v_lshlrev_b32_e32 v2, 16, v2
	v_sub_f32_e32 v2, v2, v3
	global_store_short_d16_hi v[36:37], v2, off offset:64
	v_mul_f32_e32 v2, v32, v2
	v_lshrrev_b32_e32 v15, 16, v2
.LBB77_87:
	s_or_b64 exec, exec, s[6:7]
	v_mov_b32_e32 v11, 0
	v_mov_b32_e32 v17, 0
	s_and_saveexec_b64 s[6:7], s[4:5]
	s_cbranch_execz .LBB77_89
; %bb.88:
	v_mov_b32_e32 v17, 0
	v_lshl_add_u64 v[2:3], v[8:9], 0, v[16:17]
	global_load_ushort v25, v[2:3], off offset:64
	v_lshl_add_u64 v[2:3], v[6:7], 0, v[16:17]
	s_waitcnt vmcnt(0)
	v_lshlrev_b32_e32 v17, 16, v25
	v_sub_f32_e32 v4, v17, v4
	global_store_short_d16_hi v[2:3], v4, off offset:64
	v_mul_f32_e32 v2, v34, v4
	v_lshrrev_b32_e32 v17, 16, v2
.LBB77_89:
	s_or_b64 exec, exec, s[6:7]
	s_and_saveexec_b64 s[6:7], s[0:1]
	s_cbranch_execz .LBB77_91
; %bb.90:
	v_mov_b32_e32 v11, 0
	v_lshl_add_u64 v[2:3], v[8:9], 0, v[10:11]
	global_load_ushort v4, v[2:3], off offset:64
	v_lshl_add_u64 v[2:3], v[6:7], 0, v[10:11]
	s_waitcnt vmcnt(0)
	v_lshlrev_b32_e32 v4, 16, v4
	v_sub_f32_e32 v4, v4, v5
	global_store_short_d16_hi v[2:3], v4, off offset:64
	v_mul_f32_e32 v2, v23, v4
	v_lshrrev_b32_e32 v11, 16, v2
.LBB77_91:
	s_or_b64 exec, exec, s[6:7]
	s_mov_b32 s6, 0x5040100
	v_accvgpr_read_b32 v5, a3
	v_perm_b32 v37, v11, v17, s6
	v_or_b32_e32 v11, v19, v24
	v_accvgpr_read_b32 v4, a2
	v_accvgpr_read_b32 v3, a1
	;; [unrolled: 1-line block ×3, first 2 shown]
	v_perm_b32 v36, v15, v13, s6
	v_lshlrev_b32_e32 v11, 1, v11
	v_mov_b32_e32 v15, 0
	v_mov_b32_e32 v13, 0
	ds_write_b64 v11, v[36:37] offset:24576
	s_and_saveexec_b64 s[6:7], vcc
	s_cbranch_execz .LBB77_93
; %bb.92:
	v_mov_b32_e32 v13, 0
	v_lshl_add_u64 v[24:25], v[8:9], 0, v[12:13]
	global_load_ushort v11, v[24:25], off offset:96
	v_lshl_add_u64 v[12:13], v[6:7], 0, v[12:13]
	s_waitcnt vmcnt(0)
	v_lshlrev_b32_e32 v11, 16, v11
	v_sub_f32_e32 v2, v11, v2
	global_store_short_d16_hi v[12:13], v2, off offset:96
	v_mul_f32_e32 v2, v33, v2
	v_lshrrev_b32_e32 v13, 16, v2
.LBB77_93:
	s_or_b64 exec, exec, s[6:7]
	s_and_saveexec_b64 s[6:7], s[2:3]
	s_cbranch_execz .LBB77_95
; %bb.94:
	v_mov_b32_e32 v15, 0
	v_lshl_add_u64 v[24:25], v[8:9], 0, v[14:15]
	global_load_ushort v2, v[24:25], off offset:96
	v_lshl_add_u64 v[14:15], v[6:7], 0, v[14:15]
	s_waitcnt vmcnt(0)
	v_lshlrev_b32_e32 v2, 16, v2
	v_sub_f32_e32 v2, v2, v3
	global_store_short_d16_hi v[14:15], v2, off offset:96
	v_mul_f32_e32 v2, v32, v2
	v_lshrrev_b32_e32 v15, 16, v2
.LBB77_95:
	s_or_b64 exec, exec, s[6:7]
	v_mov_b32_e32 v11, 0
	v_mov_b32_e32 v14, 0
	s_and_saveexec_b64 s[2:3], s[4:5]
	s_cbranch_execz .LBB77_97
; %bb.96:
	v_mov_b32_e32 v17, 0
	v_lshl_add_u64 v[2:3], v[8:9], 0, v[16:17]
	global_load_ushort v12, v[2:3], off offset:96
	v_lshl_add_u64 v[2:3], v[6:7], 0, v[16:17]
	s_waitcnt vmcnt(0)
	v_lshlrev_b32_e32 v12, 16, v12
	v_sub_f32_e32 v4, v12, v4
	global_store_short_d16_hi v[2:3], v4, off offset:96
	v_mul_f32_e32 v2, v34, v4
	v_lshrrev_b32_e32 v14, 16, v2
.LBB77_97:
	s_or_b64 exec, exec, s[2:3]
	v_or_b32_e32 v12, 0x6000, v28
	v_or_b32_e32 v2, 0x6000, v29
	;; [unrolled: 1-line block ×4, first 2 shown]
	s_and_saveexec_b64 s[2:3], s[0:1]
	s_cbranch_execz .LBB77_99
; %bb.98:
	v_mov_b32_e32 v11, 0
	v_lshl_add_u64 v[8:9], v[8:9], 0, v[10:11]
	global_load_ushort v8, v[8:9], off offset:96
	v_lshl_add_u64 v[6:7], v[6:7], 0, v[10:11]
	s_waitcnt vmcnt(0)
	v_lshlrev_b32_e32 v8, 16, v8
	v_sub_f32_e32 v5, v8, v5
	global_store_short_d16_hi v[6:7], v5, off offset:96
	v_mul_f32_e32 v5, v23, v5
	v_lshrrev_b32_e32 v11, 16, v5
.LBB77_99:
	s_or_b64 exec, exec, s[2:3]
	s_mov_b32 s0, 0x5040100
	v_or_b32_e32 v5, v19, v21
	v_perm_b32 v7, v11, v14, s0
	v_perm_b32 v6, v15, v13, s0
	v_lshlrev_b32_e32 v5, 1, v5
	ds_write_b64 v5, v[6:7] offset:24576
	v_and_b32_e32 v5, 7, v0
	v_and_b32_e32 v10, 8, v0
	v_lshlrev_b32_e32 v13, 3, v5
	v_lshlrev_b32_e32 v19, 7, v5
	v_lshrrev_b32_e32 v5, 1, v0
	v_and_b32_e32 v5, 24, v5
	v_mov_b32_e32 v11, 0x400
	v_cmp_eq_u32_e32 vcc, 0, v10
	s_movk_i32 s2, 0x100
	v_lshlrev_b32_e32 v23, 3, v45
	v_cndmask_b32_e64 v21, v11, 64, vcc
	v_mov_b32_e32 v10, 0xa000
	v_mov_b32_e32 v11, 0x8000
	v_cmp_gt_u32_e64 s[0:1], s2, v0
	v_xor_b32_e32 v27, v23, v5
	v_or_b32_e32 v14, 32, v5
	v_cndmask_b32_e64 v0, v10, v11, s[0:1]
	v_or_b32_e32 v10, 0x440, v27
	v_cndmask_b32_e32 v10, v10, v27, vcc
	v_or_b32_e32 v10, v10, v26
	v_xor_b32_e32 v44, v10, v13
	v_xor_b32_e32 v14, v23, v14
	v_add3_u32 v10, v0, v44, v19
	v_or_b32_e32 v15, 0x440, v14
	s_waitcnt lgkmcnt(0)
	s_barrier
	ds_read_b64 v[10:11], v10
	v_cndmask_b32_e32 v14, v15, v14, vcc
	v_or_b32_e32 v14, v14, v26
	v_xor_b32_e32 v82, v14, v13
	v_add3_u32 v14, v0, v82, v19
	ds_read_b64 v[24:25], v14
	ds_read2_b64 v[6:9], v12 offset1:16
	ds_read2_b64 v[14:17], v12 offset0:32 offset1:48
	v_or_b32_e32 v5, 0x60, v5
	s_add_i32 s0, s16, s48
	v_xor_b32_e32 v5, v23, v5
	s_waitcnt lgkmcnt(1)
	v_mfma_f32_16x16x16_bf16 a[0:3], v[10:11], v[6:7], 0
	s_mul_hi_i32 s1, s0, s13
	s_mul_i32 s0, s0, s13
	ds_read2st64_b64 v[28:31], v12 offset0:4 offset1:8
	ds_read2st64_b64 v[32:35], v2 offset0:4 offset1:8
	v_mfma_f32_16x16x16_bf16 a[4:7], v[10:11], v[8:9], 0
	ds_read2st64_b64 v[36:39], v3 offset0:4 offset1:8
	ds_read2st64_b64 v[40:43], v4 offset0:4 offset1:8
	s_add_u32 s0, s0, s33
	s_waitcnt lgkmcnt(4)
	v_mfma_f32_16x16x16_bf16 a[8:11], v[10:11], v[14:15], 0
	s_addc_u32 s1, s1, s14
	s_lshl_b64 s[0:1], s[0:1], 9
	s_add_u32 s0, s36, s0
	v_mfma_f32_16x16x16_bf16 a[12:15], v[10:11], v[16:17], 0
	v_or3_b32 v10, v26, v21, v27
	v_xor_b32_e32 v21, 0x440, v5
	v_cndmask_b32_e32 v5, v21, v5, vcc
	v_xor_b32_e32 v10, v10, v13
	v_or_b32_e32 v5, v5, v26
	v_or_b32_e32 v83, v10, v19
	v_xor_b32_e32 v84, v5, v13
	v_or_b32_e32 v10, v0, v83
	v_add3_u32 v0, v0, v84, v19
	ds_read_b64 v[10:11], v10
	ds_read_b64 v[26:27], v0
	s_addc_u32 s1, s37, s1
	v_lshlrev_b32_e32 v0, 2, v22
	s_waitcnt lgkmcnt(5)
	v_mfma_f32_16x16x16_bf16 a[0:3], v[24:25], v[28:29], a[0:3]
	ds_read_b64 v[12:13], v12 offset:6144
	s_waitcnt lgkmcnt(5)
	v_mfma_f32_16x16x16_bf16 a[4:7], v[24:25], v[32:33], a[4:7]
	s_waitcnt lgkmcnt(4)
	v_mfma_f32_16x16x16_bf16 a[8:11], v[24:25], v[36:37], a[8:11]
	;; [unrolled: 2-line block ×3, first 2 shown]
	global_load_dwordx4 v[22:25], v0, s[0:1]
	v_lshlrev_b32_e32 v0, 6, v45
	s_waitcnt vmcnt(0)
	v_mul_f32_e32 v22, 0x3fb8aa3b, v22
	s_waitcnt lgkmcnt(2)
	v_mfma_f32_16x16x16_bf16 a[0:3], v[10:11], v[30:31], a[0:3]
	v_mul_f32_e32 v23, 0x3fb8aa3b, v23
	v_exp_f32_e32 v22, v22
	v_exp_f32_e32 v23, v23
	v_mfma_f32_16x16x16_bf16 a[4:7], v[10:11], v[34:35], a[4:7]
	v_mfma_f32_16x16x16_bf16 a[8:11], v[10:11], v[38:39], a[8:11]
	;; [unrolled: 1-line block ×3, first 2 shown]
	ds_read_b64 v[10:11], v2 offset:6144
	ds_read_b64 v[78:79], v3 offset:6144
	;; [unrolled: 1-line block ×3, first 2 shown]
	v_lshlrev_b32_e32 v2, 2, v20
	v_or3_b32 v0, v0, v2, s2
	global_load_dwordx4 v[2:5], v0, s[0:1]
	v_add_u32_e32 v20, v44, v19
	ds_read_b64 v[20:21], v20 offset:40960
	v_mov_b32_e32 v0, 0x3fb8aa3b
	s_waitcnt lgkmcnt(4)
	v_mfma_f32_16x16x16_bf16 a[0:3], v[26:27], v[12:13], a[0:3]
	v_mul_f32_e32 v0, s12, v0
	v_exp_f32_e32 v0, v0
	s_waitcnt vmcnt(0)
	v_mul_f32_e32 v2, 0x3fb8aa3b, v2
	s_waitcnt lgkmcnt(0)
	v_mfma_f32_16x16x16_bf16 a[16:19], v[20:21], v[6:7], 0
	v_mul_f32_e32 v6, 0x3fb8aa3b, v24
	v_mul_f32_e32 v7, 0x3fb8aa3b, v25
	v_accvgpr_read_b32 v25, a1
	v_mfma_f32_16x16x16_bf16 a[4:7], v[26:27], v[10:11], a[4:7]
	v_exp_f32_e32 v6, v6
	v_exp_f32_e32 v7, v7
	v_accvgpr_read_b32 v24, a0
	v_mfma_f32_16x16x16_bf16 a[8:11], v[26:27], v[78:79], a[8:11]
	v_exp_f32_e32 v2, v2
	v_mfma_f32_16x16x16_bf16 a[12:15], v[26:27], v[80:81], a[12:15]
	v_add_u32_e32 v26, v82, v19
	v_add_u32_e32 v19, v84, v19
	ds_read_b64 v[26:27], v26 offset:40960
	ds_read_b64 v[44:45], v19 offset:40960
	v_mfma_f32_16x16x16_bf16 a[20:23], v[20:21], v[8:9], 0
	v_pk_mul_f32 v[8:9], v[0:1], v[22:23] op_sel_hi:[0,1]
	v_pk_fma_f32 v[74:75], v[74:75], v[8:9], v[24:25]
	ds_read_b64 v[24:25], v83 offset:40960
	v_mfma_f32_16x16x16_bf16 a[24:27], v[20:21], v[14:15], 0
	v_pk_mul_f32 v[14:15], v[0:1], v[6:7] op_sel_hi:[0,1]
	v_accvgpr_read_b32 v7, a3
	v_accvgpr_read_b32 v6, a2
	v_pk_fma_f32 v[76:77], v[76:77], v[14:15], v[6:7]
	v_accvgpr_read_b32 v7, a5
	s_waitcnt lgkmcnt(2)
	v_mfma_f32_16x16x16_bf16 a[16:19], v[26:27], v[28:29], a[16:19]
	v_accvgpr_read_b32 v6, a4
	v_pk_fma_f32 v[66:67], v[8:9], v[66:67], v[6:7]
	v_accvgpr_read_b32 v6, a8
	v_mfma_f32_16x16x16_bf16 a[28:31], v[20:21], v[16:17], 0
	v_accvgpr_read_b32 v7, a9
	v_pk_fma_f32 v[58:59], v[8:9], v[58:59], v[6:7]
	v_accvgpr_read_b32 v6, a12
	v_mfma_f32_16x16x16_bf16 a[20:23], v[26:27], v[32:33], a[20:23]
	v_accvgpr_read_b32 v21, a11
	v_accvgpr_read_b32 v20, a10
	;; [unrolled: 1-line block ×3, first 2 shown]
	v_mfma_f32_16x16x16_bf16 a[0:3], v[26:27], v[36:37], a[24:27]
	v_accvgpr_read_b32 v17, a7
	v_accvgpr_read_b32 v16, a6
	;; [unrolled: 1-line block ×3, first 2 shown]
	s_waitcnt lgkmcnt(0)
	v_mfma_f32_16x16x16_bf16 a[8:11], v[24:25], v[30:31], a[16:19]
	v_accvgpr_read_b32 v22, a14
	v_pk_fma_f32 v[50:51], v[8:9], v[50:51], v[6:7]
	v_mov_b32_e32 v6, v5
	v_mfma_f32_16x16x16_bf16 a[4:7], v[26:27], v[40:41], a[28:31]
	v_mov_b32_e32 v5, v4
	v_mov_b32_e32 v4, v3
	v_mul_f32_e32 v3, 0x3fb8aa3b, v4
	v_mfma_f32_16x16x16_bf16 a[12:15], v[24:25], v[34:35], a[20:23]
	v_mul_f32_e32 v4, 0x3fb8aa3b, v5
	v_mul_f32_e32 v5, 0x3fb8aa3b, v6
	v_exp_f32_e32 v4, v4
	v_mfma_f32_16x16x16_bf16 a[0:3], v[24:25], v[38:39], a[0:3]
	v_exp_f32_e32 v5, v5
	v_exp_f32_e32 v3, v3
	v_pk_fma_f32 v[68:69], v[14:15], v[68:69], v[16:17]
	v_mfma_f32_16x16x16_bf16 a[8:11], v[44:45], v[12:13], a[8:11]
	v_pk_mul_f32 v[4:5], v[0:1], v[4:5] op_sel_hi:[0,1]
	v_pk_mul_f32 v[2:3], v[0:1], v[2:3] op_sel_hi:[0,1]
	v_pk_fma_f32 v[60:61], v[14:15], v[60:61], v[20:21]
	v_mfma_f32_16x16x16_bf16 a[4:7], v[24:25], v[42:43], a[4:7]
	v_pk_fma_f32 v[52:53], v[14:15], v[52:53], v[22:23]
	v_mfma_f32_16x16x16_bf16 a[12:15], v[44:45], v[10:11], a[12:15]
	s_nop 0
	v_accvgpr_read_b32 v7, a11
	v_accvgpr_read_b32 v6, a10
	v_pk_fma_f32 v[72:73], v[72:73], v[4:5], v[6:7]
	v_mfma_f32_16x16x16_bf16 a[0:3], v[44:45], v[78:79], a[0:3]
	v_accvgpr_read_b32 v15, a9
	v_accvgpr_read_b32 v14, a8
	v_pk_fma_f32 v[70:71], v[70:71], v[2:3], v[14:15]
	v_accvgpr_read_b32 v6, a12
	v_accvgpr_read_b32 v7, a13
	v_pk_fma_f32 v[62:63], v[2:3], v[62:63], v[6:7]
	v_accvgpr_read_b32 v9, a15
	v_accvgpr_read_b32 v11, a3
	;; [unrolled: 1-line block ×3, first 2 shown]
	v_mfma_f32_16x16x16_bf16 a[2:5], v[44:45], v[80:81], a[4:7]
	v_accvgpr_read_b32 v7, a1
	v_accvgpr_read_b32 v6, a0
	v_pk_fma_f32 v[56:57], v[2:3], v[56:57], v[6:7]
	v_accvgpr_read_b32 v8, a14
	v_pk_fma_f32 v[64:65], v[4:5], v[64:65], v[8:9]
	v_pk_fma_f32 v[54:55], v[4:5], v[54:55], v[10:11]
	s_nop 0
	v_accvgpr_read_b32 v7, a3
	v_accvgpr_read_b32 v13, a5
	;; [unrolled: 1-line block ×4, first 2 shown]
	v_pk_fma_f32 v[46:47], v[2:3], v[46:47], v[6:7]
	v_pk_fma_f32 v[48:49], v[4:5], v[48:49], v[12:13]
	v_mov_b32_e32 v2, v18
.LBB77_100:
	s_lshl_b64 s[0:1], s[28:29], 15
	s_add_u32 s0, s34, s0
	v_lshlrev_b32_e32 v2, 7, v2
	s_addc_u32 s1, s35, s1
	v_ashrrev_i32_e32 v3, 31, v2
	v_lshl_add_u64 v[4:5], v[2:3], 1, s[0:1]
	v_lshlrev_b32_e32 v0, 1, v1
	v_mov_b32_e32 v1, 0
	s_mov_b32 s2, 0x7060302
	v_lshl_add_u64 v[4:5], v[4:5], 0, v[0:1]
	v_perm_b32 v7, v77, v76, s2
	v_perm_b32 v6, v75, v74, s2
	global_store_dwordx2 v[4:5], v[6:7], off
	v_perm_b32 v7, v73, v72, s2
	v_perm_b32 v6, v71, v70, s2
	global_store_dwordx2 v[4:5], v[6:7], off offset:128
	v_or_b32_e32 v4, 0x800, v2
	v_ashrrev_i32_e32 v5, 31, v4
	v_lshl_add_u64 v[4:5], v[4:5], 1, s[0:1]
	v_lshl_add_u64 v[4:5], v[4:5], 0, v[0:1]
	v_perm_b32 v7, v69, v68, s2
	v_perm_b32 v6, v67, v66, s2
	global_store_dwordx2 v[4:5], v[6:7], off
	v_perm_b32 v7, v65, v64, s2
	v_perm_b32 v6, v63, v62, s2
	global_store_dwordx2 v[4:5], v[6:7], off offset:128
	v_or_b32_e32 v4, 0x1000, v2
	v_or_b32_e32 v2, 0x1800, v2
	v_ashrrev_i32_e32 v5, 31, v4
	v_ashrrev_i32_e32 v3, 31, v2
	v_lshl_add_u64 v[4:5], v[4:5], 1, s[0:1]
	v_lshl_add_u64 v[2:3], v[2:3], 1, s[0:1]
	;; [unrolled: 1-line block ×3, first 2 shown]
	v_perm_b32 v7, v61, v60, s2
	v_perm_b32 v6, v59, v58, s2
	v_lshl_add_u64 v[0:1], v[2:3], 0, v[0:1]
	v_perm_b32 v3, v53, v52, s2
	v_perm_b32 v2, v51, v50, s2
	global_store_dwordx2 v[4:5], v[6:7], off
	v_perm_b32 v7, v55, v54, s2
	v_perm_b32 v6, v57, v56, s2
	global_store_dwordx2 v[0:1], v[2:3], off
	v_perm_b32 v3, v49, v48, s2
	v_perm_b32 v2, v47, v46, s2
	global_store_dwordx2 v[4:5], v[6:7], off offset:128
	global_store_dwordx2 v[0:1], v[2:3], off offset:128
	s_endpgm
	.section	.rodata,"a",@progbits
	.p2align	6, 0x0
	.amdhsa_kernel _ZN12_GLOBAL__N_139chunk_gated_delta_rule_fwd_h_hip_kernelILi64ELb0ELb1ELb1ELb0ELb0ELb1ELb1ELb1EEEvPK12hip_bfloat16S3_S3_PKfS5_PKvPS1_S8_PvPKiSB_iiiiilll
		.amdhsa_group_segment_fixed_size 65536
		.amdhsa_private_segment_fixed_size 0
		.amdhsa_kernarg_size 136
		.amdhsa_user_sgpr_count 2
		.amdhsa_user_sgpr_dispatch_ptr 0
		.amdhsa_user_sgpr_queue_ptr 0
		.amdhsa_user_sgpr_kernarg_segment_ptr 1
		.amdhsa_user_sgpr_dispatch_id 0
		.amdhsa_user_sgpr_kernarg_preload_length 0
		.amdhsa_user_sgpr_kernarg_preload_offset 0
		.amdhsa_user_sgpr_private_segment_size 0
		.amdhsa_uses_dynamic_stack 0
		.amdhsa_enable_private_segment 0
		.amdhsa_system_sgpr_workgroup_id_x 1
		.amdhsa_system_sgpr_workgroup_id_y 1
		.amdhsa_system_sgpr_workgroup_id_z 0
		.amdhsa_system_sgpr_workgroup_info 0
		.amdhsa_system_vgpr_workitem_id 0
		.amdhsa_next_free_vgpr 232
		.amdhsa_next_free_sgpr 70
		.amdhsa_accum_offset 192
		.amdhsa_reserve_vcc 1
		.amdhsa_float_round_mode_32 0
		.amdhsa_float_round_mode_16_64 0
		.amdhsa_float_denorm_mode_32 3
		.amdhsa_float_denorm_mode_16_64 3
		.amdhsa_dx10_clamp 1
		.amdhsa_ieee_mode 1
		.amdhsa_fp16_overflow 0
		.amdhsa_tg_split 0
		.amdhsa_exception_fp_ieee_invalid_op 0
		.amdhsa_exception_fp_denorm_src 0
		.amdhsa_exception_fp_ieee_div_zero 0
		.amdhsa_exception_fp_ieee_overflow 0
		.amdhsa_exception_fp_ieee_underflow 0
		.amdhsa_exception_fp_ieee_inexact 0
		.amdhsa_exception_int_div_zero 0
	.end_amdhsa_kernel
	.section	.text._ZN12_GLOBAL__N_139chunk_gated_delta_rule_fwd_h_hip_kernelILi64ELb0ELb1ELb1ELb0ELb0ELb1ELb1ELb1EEEvPK12hip_bfloat16S3_S3_PKfS5_PKvPS1_S8_PvPKiSB_iiiiilll,"axG",@progbits,_ZN12_GLOBAL__N_139chunk_gated_delta_rule_fwd_h_hip_kernelILi64ELb0ELb1ELb1ELb0ELb0ELb1ELb1ELb1EEEvPK12hip_bfloat16S3_S3_PKfS5_PKvPS1_S8_PvPKiSB_iiiiilll,comdat
.Lfunc_end77:
	.size	_ZN12_GLOBAL__N_139chunk_gated_delta_rule_fwd_h_hip_kernelILi64ELb0ELb1ELb1ELb0ELb0ELb1ELb1ELb1EEEvPK12hip_bfloat16S3_S3_PKfS5_PKvPS1_S8_PvPKiSB_iiiiilll, .Lfunc_end77-_ZN12_GLOBAL__N_139chunk_gated_delta_rule_fwd_h_hip_kernelILi64ELb0ELb1ELb1ELb0ELb0ELb1ELb1ELb1EEEvPK12hip_bfloat16S3_S3_PKfS5_PKvPS1_S8_PvPKiSB_iiiiilll
                                        ; -- End function
	.section	.AMDGPU.csdata,"",@progbits
; Kernel info:
; codeLenInByte = 13240
; NumSgprs: 76
; NumVgprs: 192
; NumAgprs: 40
; TotalNumVgprs: 232
; ScratchSize: 0
; MemoryBound: 0
; FloatMode: 240
; IeeeMode: 1
; LDSByteSize: 65536 bytes/workgroup (compile time only)
; SGPRBlocks: 9
; VGPRBlocks: 28
; NumSGPRsForWavesPerEU: 76
; NumVGPRsForWavesPerEU: 232
; AccumOffset: 192
; Occupancy: 1
; WaveLimiterHint : 1
; COMPUTE_PGM_RSRC2:SCRATCH_EN: 0
; COMPUTE_PGM_RSRC2:USER_SGPR: 2
; COMPUTE_PGM_RSRC2:TRAP_HANDLER: 0
; COMPUTE_PGM_RSRC2:TGID_X_EN: 1
; COMPUTE_PGM_RSRC2:TGID_Y_EN: 1
; COMPUTE_PGM_RSRC2:TGID_Z_EN: 0
; COMPUTE_PGM_RSRC2:TIDIG_COMP_CNT: 0
; COMPUTE_PGM_RSRC3_GFX90A:ACCUM_OFFSET: 47
; COMPUTE_PGM_RSRC3_GFX90A:TG_SPLIT: 0
	.section	.text._ZN12_GLOBAL__N_139chunk_gated_delta_rule_fwd_h_hip_kernelILi64ELb0ELb1ELb0ELb0ELb0ELb1ELb1ELb1EEEvPK12hip_bfloat16S3_S3_PKfS5_PKvPS1_S8_PvPKiSB_iiiiilll,"axG",@progbits,_ZN12_GLOBAL__N_139chunk_gated_delta_rule_fwd_h_hip_kernelILi64ELb0ELb1ELb0ELb0ELb0ELb1ELb1ELb1EEEvPK12hip_bfloat16S3_S3_PKfS5_PKvPS1_S8_PvPKiSB_iiiiilll,comdat
	.globl	_ZN12_GLOBAL__N_139chunk_gated_delta_rule_fwd_h_hip_kernelILi64ELb0ELb1ELb0ELb0ELb0ELb1ELb1ELb1EEEvPK12hip_bfloat16S3_S3_PKfS5_PKvPS1_S8_PvPKiSB_iiiiilll ; -- Begin function _ZN12_GLOBAL__N_139chunk_gated_delta_rule_fwd_h_hip_kernelILi64ELb0ELb1ELb0ELb0ELb0ELb1ELb1ELb1EEEvPK12hip_bfloat16S3_S3_PKfS5_PKvPS1_S8_PvPKiSB_iiiiilll
	.p2align	8
	.type	_ZN12_GLOBAL__N_139chunk_gated_delta_rule_fwd_h_hip_kernelILi64ELb0ELb1ELb0ELb0ELb0ELb1ELb1ELb1EEEvPK12hip_bfloat16S3_S3_PKfS5_PKvPS1_S8_PvPKiSB_iiiiilll,@function
_ZN12_GLOBAL__N_139chunk_gated_delta_rule_fwd_h_hip_kernelILi64ELb0ELb1ELb0ELb0ELb0ELb1ELb1ELb1EEEvPK12hip_bfloat16S3_S3_PKfS5_PKvPS1_S8_PvPKiSB_iiiiilll: ; @_ZN12_GLOBAL__N_139chunk_gated_delta_rule_fwd_h_hip_kernelILi64ELb0ELb1ELb0ELb0ELb0ELb1ELb1ELb1EEEvPK12hip_bfloat16S3_S3_PKfS5_PKvPS1_S8_PvPKiSB_iiiiilll
; %bb.0:
	s_load_dwordx4 s[12:15], s[0:1], 0x5c
	s_load_dwordx8 s[4:11], s[0:1], 0x0
	s_load_dwordx4 s[16:19], s[0:1], 0x70
	s_abs_i32 s23, s3
	s_ashr_i32 s21, s3, 31
	s_waitcnt lgkmcnt(0)
	s_abs_i32 s20, s13
	v_cvt_f32_u32_e32 v1, s20
	s_sub_i32 s24, 0, s20
	s_ashr_i32 s22, s13, 31
	s_xor_b32 s21, s21, s22
	v_rcp_iflag_f32_e32 v1, v1
	s_load_dwordx2 s[30:31], s[0:1], 0x20
	s_load_dwordx2 s[28:29], s[0:1], 0x40
	;; [unrolled: 1-line block ×4, first 2 shown]
	v_lshrrev_b32_e32 v45, 6, v0
	v_mul_f32_e32 v1, 0x4f7ffffe, v1
	v_cvt_u32_f32_e32 v1, v1
	v_bfe_u32 v86, v0, 4, 2
	s_mov_b32 s0, 0
	v_lshlrev_b32_e32 v84, 4, v45
	v_readfirstlane_b32 s25, v1
	s_mul_i32 s24, s24, s25
	s_mul_hi_u32 s24, s25, s24
	s_add_i32 s25, s25, s24
	s_mul_hi_u32 s24, s23, s25
	s_mul_i32 s25, s24, s20
	s_sub_i32 s23, s23, s25
	s_add_i32 s25, s24, 1
	s_sub_i32 s26, s23, s20
	s_cmp_ge_u32 s23, s20
	s_cselect_b32 s24, s25, s24
	s_cselect_b32 s23, s26, s23
	s_add_i32 s25, s24, 1
	s_cmp_ge_u32 s23, s20
	s_cselect_b32 s23, s25, s24
	s_xor_b32 s23, s23, s21
	s_sub_i32 s50, s23, s21
	s_abs_i32 s21, s14
	v_cvt_f32_u32_e32 v1, s21
	s_ashr_i32 s49, s12, 31
	s_lshr_b32 s23, s49, 26
	s_add_i32 s23, s12, s23
	v_rcp_iflag_f32_e32 v1, v1
	s_ashr_i32 s51, s23, 6
	s_sub_i32 s23, 0, s21
	s_mul_i32 s48, s50, s13
	v_mul_f32_e32 v1, 0x4f7ffffe, v1
	v_cvt_u32_f32_e32 v1, v1
	s_ashr_i32 s52, s14, 31
	s_sub_i32 s33, s3, s48
	s_add_i32 s3, s12, 63
	v_readfirstlane_b32 s24, v1
	s_mul_i32 s23, s23, s24
	s_mul_hi_u32 s23, s24, s23
	s_add_i32 s24, s24, s23
	s_mul_hi_u32 s23, s20, s24
	s_mul_i32 s24, s23, s21
	s_sub_i32 s20, s20, s24
	s_xor_b32 s22, s22, s52
	s_add_i32 s24, s23, 1
	s_sub_i32 s25, s20, s21
	s_cmp_ge_u32 s20, s21
	s_cselect_b32 s23, s24, s23
	s_cselect_b32 s20, s25, s20
	s_add_i32 s24, s23, 1
	s_cmp_ge_u32 s20, s21
	s_cselect_b32 s20, s24, s23
	s_xor_b32 s20, s20, s22
	s_sub_i32 s20, s20, s22
	s_abs_i32 s21, s20
	v_cvt_f32_u32_e32 v1, s21
	s_sub_i32 s22, 0, s21
	s_xor_b32 s1, s33, s20
	s_abs_i32 s20, s33
	v_rcp_iflag_f32_e32 v1, v1
	s_ashr_i32 s1, s1, 31
	v_lshlrev_b32_e32 v2, 2, v86
	v_and_b32_e32 v85, 63, v0
	v_mul_f32_e32 v1, 0x4f7ffffe, v1
	v_cvt_u32_f32_e32 v1, v1
	s_mul_i32 s46, s50, s12
	v_and_b32_e32 v87, 15, v0
	s_mul_hi_i32 s54, s50, s13
	v_readfirstlane_b32 s23, v1
	s_mul_i32 s22, s22, s23
	s_mul_hi_u32 s22, s23, s22
	s_add_i32 s23, s23, s22
	s_mul_hi_u32 s22, s20, s23
	s_mul_i32 s23, s22, s21
	s_sub_i32 s20, s20, s23
	s_add_i32 s23, s22, 1
	s_sub_i32 s24, s20, s21
	s_cmp_ge_u32 s20, s21
	s_cselect_b32 s22, s23, s22
	s_cselect_b32 s20, s24, s20
	s_add_i32 s23, s22, 1
	s_cmp_ge_u32 s20, s21
	s_cselect_b32 s20, s23, s22
	s_xor_b32 s20, s20, s1
	s_sub_i32 s55, s20, s1
	s_ashr_i32 s1, s3, 31
	s_lshr_b32 s1, s1, 26
	s_add_i32 s3, s3, s1
	s_ashr_i32 s1, s3, 6
	v_or_b32_e32 v1, v2, v84
	s_mul_i32 s53, s50, s1
	s_lshl_b32 s2, s2, 6
	s_mov_b32 s1, s0
	v_or_b32_e32 v90, 64, v1
	s_cmp_lt_i32 s12, 64
	v_mov_b64_e32 v[54:55], s[0:1]
	v_lshrrev_b32_e32 v89, 3, v85
	v_lshlrev_b32_e32 v88, 3, v0
	s_mul_i32 s17, s50, s17
	s_mul_hi_u32 s47, s50, s16
	s_mul_i32 s36, s50, s16
	v_mov_b64_e32 v[56:57], s[0:1]
	v_mov_b64_e32 v[60:61], s[0:1]
	;; [unrolled: 1-line block ×15, first 2 shown]
	s_cbranch_scc1 .LBB78_17
; %bb.1:
	s_ashr_i32 s3, s50, 31
	s_ashr_i32 s57, s33, 31
	s_add_u32 s0, s48, s33
	s_addc_u32 s1, s54, s57
	s_mul_i32 s1, s12, s1
	s_mul_hi_u32 s20, s12, s0
	s_add_i32 s41, s20, s1
	s_mul_i32 s40, s12, s0
	s_lshl_b64 s[0:1], s[40:41], 8
	v_and_b32_e32 v92, 56, v88
	s_add_u32 s20, s6, s0
	v_lshl_or_b32 v91, v45, 3, v89
	v_lshlrev_b32_e32 v3, 1, v92
	s_addc_u32 s0, s7, s1
	v_lshl_or_b32 v93, v91, 8, v3
	s_and_b32 s21, s0, 0xffff
	s_mov_b32 s23, 0x20000
	s_movk_i32 s22, 0x4000
	s_movk_i32 s0, 0x80
	v_or_b32_e32 v94, 0x2000, v93
	buffer_load_dwordx4 v[4:7], v93, s[20:23], 0 offen
	buffer_load_dwordx4 v[8:11], v93, s[20:23], s0 offen
	;; [unrolled: 1-line block ×4, first 2 shown]
	v_lshlrev_b32_e32 v20, 3, v91
	v_and_or_b32 v22, v0, 7, v20
	v_and_b32_e32 v20, 0x78, v20
	v_lshlrev_b32_e32 v22, 4, v22
	v_xor_b32_e32 v95, v22, v20
	v_mul_lo_u32 v21, v91, s15
	v_or_b32_e32 v96, 0x1000, v95
	s_cmpk_eq_i32 s15, 0x80
	s_mov_b32 s56, s14
	v_xor_b32_e32 v20, 8, v95
	v_xor_b32_e32 v22, 8, v96
	s_cselect_b64 s[0:1], -1, 0
	s_cmpk_lg_i32 s15, 0x80
	s_waitcnt vmcnt(3)
	ds_write_b64 v95, v[4:5] offset:49152
	ds_write_b64 v20, v[6:7] offset:49152
	s_waitcnt vmcnt(2)
	ds_write_b64 v95, v[8:9] offset:57344
	ds_write_b64 v20, v[10:11] offset:57344
	;; [unrolled: 3-line block ×4, first 2 shown]
	v_lshl_add_u32 v4, v21, 1, v92
	s_cbranch_scc0 .LBB78_3
; %bb.2:
	v_lshlrev_b32_e32 v6, 1, v4
	v_add_lshl_u32 v5, v4, s15, 1
	s_lshl_b32 s22, s15, 7
	v_lshl_or_b32 v3, v91, 9, v3
	s_cbranch_execz .LBB78_4
	s_branch .LBB78_5
.LBB78_3:
                                        ; implicit-def: $vgpr5
                                        ; implicit-def: $vgpr6
                                        ; implicit-def: $sgpr22
	v_lshl_or_b32 v3, v91, 9, v3
.LBB78_4:
	v_or_b32_e32 v5, 0x100, v3
	s_movk_i32 s22, 0x4000
	v_mov_b32_e32 v6, v3
.LBB78_5:
	s_mul_hi_u32 s20, s14, s12
	s_mul_i32 s21, s52, s12
	s_add_i32 s20, s20, s21
	s_mul_i32 s21, s14, s12
	s_mul_i32 s23, s21, s3
	s_mul_hi_u32 s24, s21, s50
	s_add_i32 s23, s24, s23
	s_mul_i32 s20, s20, s50
	s_add_i32 s23, s23, s20
	s_mul_i32 s21, s21, s50
	s_ashr_i32 s58, s55, 31
	s_add_u32 s20, s21, s55
	s_addc_u32 s21, s23, s58
	s_lshl_b64 s[20:21], s[20:21], 8
	s_add_u32 s20, s4, s20
	s_addc_u32 s21, s5, s21
	s_and_b32 s21, s21, 0xffff
	s_mov_b32 s23, 0x20000
	s_movk_i32 s59, 0x80
	buffer_load_dwordx4 v[8:11], v6, s[20:23], 0 offen
	buffer_load_dwordx4 v[12:15], v6, s[20:23], s59 offen
	;; [unrolled: 1-line block ×4, first 2 shown]
	v_and_b32_e32 v5, 6, v0
	v_lshlrev_b32_e32 v6, 7, v1
	v_xor_b32_e32 v27, v91, v5
	v_and_b32_e32 v7, 1, v0
	v_lshl_or_b32 v30, v87, 3, v6
	v_lshlrev_b32_e32 v27, 2, v27
	v_or_b32_e32 v97, 0x4000, v30
	v_or_b32_e32 v98, 0x6000, v30
	v_xor_b32_e32 v30, 0x440, v27
	v_cmp_eq_u32_e32 vcc, 0, v7
	v_lshlrev_b32_e32 v24, 2, v87
	v_or_b32_e32 v26, 16, v87
	v_cndmask_b32_e32 v7, v30, v27, vcc
	s_mov_b32 s61, 0x1000504
	v_xor_b32_e32 v28, v1, v24
	v_xor_b32_e32 v29, v90, v24
	v_lshl_or_b32 v31, v26, 3, v6
	v_lshl_or_b32 v5, v5, 10, v7
	s_mov_b32 s62, 0x3020706
	s_mul_i32 s20, s3, s12
	s_mul_hi_u32 s21, s50, s12
	v_lshlrev_b32_e32 v25, 8, v87
	v_lshlrev_b32_e32 v28, 1, v28
	;; [unrolled: 1-line block ×3, first 2 shown]
	v_or_b32_e32 v99, 0x4000, v31
	v_or_b32_e32 v100, 0x6000, v31
	v_xor_b32_e32 v7, 8, v5
	v_xor_b32_e32 v27, 24, v5
	;; [unrolled: 1-line block ×4, first 2 shown]
	v_or_b32_e32 v101, v25, v28
	v_or_b32_e32 v102, v25, v29
	v_xor_b32_e32 v25, 16, v5
	v_xor_b32_e32 v30, 32, v5
	;; [unrolled: 1-line block ×3, first 2 shown]
	v_add_u32_e32 v7, 0x80, v7
	v_add_u32_e32 v27, 0x80, v27
	;; [unrolled: 1-line block ×4, first 2 shown]
	s_add_i32 s63, s21, s20
	s_add_i32 s20, s47, s17
	s_mul_i32 s3, s3, s16
	s_add_i32 s37, s20, s3
	s_mul_i32 s3, s33, s19
	s_mul_hi_u32 s20, s33, s18
	s_add_i32 s3, s20, s3
	s_mul_i32 s20, s57, s18
	s_add_i32 s21, s3, s20
	s_lshl_b64 s[24:25], s[36:37], 2
	s_mul_i32 s20, s33, s18
	s_add_u32 s3, s10, s24
	s_addc_u32 s24, s11, s25
	s_lshl_b64 s[20:21], s[20:21], 2
	s_add_u32 s42, s3, s20
	s_movk_i32 s3, 0xf8
	s_addc_u32 s43, s24, s21
	s_lshl_b32 s26, s15, 7
	v_mov_b32_e32 v79, 0
	s_movk_i32 s24, 0x100
	v_lshlrev_b32_e32 v78, 4, v87
	s_mov_b32 s60, 0
	s_movk_i32 s22, 0x4000
	v_add_u32_e32 v134, v84, v2
	s_mov_b32 s37, 0x7060302
	s_movk_i32 s64, 0x2000
	s_movk_i32 s65, 0x3000
	v_mov_b32_e32 v144, 0x3fb8aa3b
	s_mov_b32 s67, 0
	v_mov_b32_e32 v48, v79
	v_mov_b32_e32 v49, v79
	v_mov_b32_e32 v46, v79
	v_mov_b32_e32 v47, v79
	v_mov_b32_e32 v52, v79
	v_mov_b32_e32 v53, v79
	v_mov_b32_e32 v50, v79
	v_mov_b32_e32 v51, v79
	v_mov_b32_e32 v74, v79
	v_mov_b32_e32 v75, v79
	s_waitcnt vmcnt(1)
	v_perm_b32 v34, v8, v16, s61
	s_waitcnt vmcnt(0)
	v_perm_b32 v35, v12, v20, s61
	v_perm_b32 v8, v8, v16, s62
	;; [unrolled: 1-line block ×15, first 2 shown]
	ds_write2st64_b32 v5, v34, v35 offset0:128 offset1:160
	ds_write2st64_b32 v7, v8, v12 offset0:128 offset1:160
	;; [unrolled: 1-line block ×8, first 2 shown]
	v_lshlrev_b32_e32 v5, 8, v26
	v_or_b32_e32 v103, v5, v28
	v_or_b32_e32 v104, v5, v29
	;; [unrolled: 1-line block ×3, first 2 shown]
	v_lshl_or_b32 v7, v5, 3, v6
	v_lshlrev_b32_e32 v5, 8, v5
	v_or_b32_e32 v107, v5, v28
	v_or_b32_e32 v108, v5, v29
	;; [unrolled: 1-line block ×5, first 2 shown]
	v_lshl_or_b32 v7, v5, 3, v6
	v_lshlrev_b32_e32 v5, 8, v5
	v_or_b32_e32 v111, v5, v28
	v_or_b32_e32 v112, v5, v29
	;; [unrolled: 1-line block ×3, first 2 shown]
	v_lshlrev_b32_e32 v5, 3, v5
	v_lshrrev_b32_e32 v9, 5, v85
	v_and_or_b32 v9, v5, s3, v9
	v_lshlrev_b32_e32 v9, 4, v9
	v_lshlrev_b32_e32 v11, 11, v45
	v_and_b32_e32 v5, 0x78, v5
	v_or_b32_e32 v14, 32, v9
	v_and_b32_e32 v8, 0x1000, v11
	v_xor_b32_e32 v10, v9, v5
	v_lshrrev_b32_e32 v12, 1, v85
	v_xor_b32_e32 v14, v14, v5
	v_or_b32_e32 v10, v10, v8
	v_and_b32_e32 v12, 8, v12
	v_or_b32_e32 v14, v14, v8
	v_xor_b32_e32 v113, v10, v12
	v_lshlrev_b32_e32 v10, 8, v86
	v_xor_b32_e32 v115, v14, v12
	v_or_b32_e32 v14, 64, v9
	v_or_b32_e32 v9, 0x60, v9
	v_or_b32_e32 v13, v10, v24
	v_xor_b32_e32 v14, v14, v5
	v_xor_b32_e32 v5, v9, v5
	s_ashr_i32 s3, s2, 31
	v_lshlrev_b32_e32 v13, 1, v13
	v_or_b32_e32 v14, v14, v8
	v_or_b32_e32 v5, v5, v8
	s_lshl_b64 s[20:21], s[2:3], 8
	v_or_b32_e32 v114, 0x4000, v13
	v_or_b32_e32 v116, 0x4080, v13
	;; [unrolled: 1-line block ×4, first 2 shown]
	v_xor_b32_e32 v119, v14, v12
	v_xor_b32_e32 v120, v5, v12
	v_or_b32_e32 v121, 0x6000, v13
	v_or_b32_e32 v122, 0x6080, v13
	;; [unrolled: 1-line block ×4, first 2 shown]
	v_lshlrev_b32_e32 v12, 1, v4
	v_add_lshl_u32 v13, v4, s15, 1
	s_waitcnt lgkmcnt(0)
	s_add_u32 s20, s38, s20
	v_lshlrev_b32_e32 v4, 1, v87
	v_or_b32_e32 v14, 0x100, v3
	v_lshrrev_b32_e32 v15, 4, v0
	s_addc_u32 s21, s39, s21
	v_or_b32_e32 v5, 1, v4
	v_lshlrev_b32_e32 v18, 2, v0
	v_xor_b32_e32 v16, v15, v4
	v_xor_b32_e32 v17, v5, v15
	v_lshl_add_u64 v[4:5], s[20:21], 0, v[78:79]
	v_lshlrev_b32_e32 v78, 8, v15
	v_lshrrev_b32_e32 v19, 1, v0
	v_and_or_b32 v10, v18, 60, v10
	v_cndmask_b32_e64 v131, v12, v3, s[0:1]
	v_cndmask_b32_e64 v132, v13, v14, s[0:1]
	v_mov_b32_e32 v3, 0xa000
	v_mov_b32_e32 v12, 0x8000
	v_cmp_gt_u32_e64 s[0:1], s24, v0
	v_lshl_or_b32 v125, v16, 3, v78
	v_and_b32_e32 v16, 8, v0
	v_and_b32_e32 v19, 24, v19
	v_lshlrev_b32_e32 v10, 1, v10
	v_cndmask_b32_e64 v3, v3, v12, s[0:1]
	v_lshlrev_b32_e32 v12, 3, v45
	v_or_b32_e32 v127, 0x6000, v10
	v_or_b32_e32 v128, 0x6080, v10
	v_or_b32_e32 v129, 0x6100, v10
	v_or_b32_e32 v130, 0x6180, v10
	v_mov_b32_e32 v10, 0x400
	v_cmp_eq_u32_e32 vcc, 0, v16
	v_xor_b32_e32 v13, v12, v19
	v_and_b32_e32 v15, 7, v0
	v_cndmask_b32_e64 v16, v10, 64, vcc
	v_or_b32_e32 v14, 0x440, v13
	v_lshl_or_b32 v126, v17, 3, v78
	v_lshlrev_b32_e32 v17, 3, v15
	v_or_b32_e32 v18, 32, v19
	v_or_b32_e32 v20, 0x60, v19
	v_cndmask_b32_e32 v14, v14, v13, vcc
	v_or3_b32 v13, v11, v16, v13
	v_lshlrev_b32_e32 v15, 7, v15
	v_xor_b32_e32 v18, v12, v18
	v_xor_b32_e32 v13, v13, v17
	v_xor_b32_e32 v12, v12, v20
	v_or_b32_e32 v21, 0x440, v18
	v_or_b32_e32 v133, v13, v15
	v_xor_b32_e32 v13, 0x440, v12
	v_cndmask_b32_e32 v18, v21, v18, vcc
	v_cndmask_b32_e32 v12, v13, v12, vcc
	v_or_b32_e32 v109, 0x4000, v7
	v_or_b32_e32 v110, 0x6000, v7
	v_lshrrev_b32_e32 v7, 2, v85
	v_or_b32_e32 v14, v14, v11
	v_or_b32_e32 v18, v18, v11
	;; [unrolled: 1-line block ×3, first 2 shown]
	v_and_b32_e32 v7, 12, v7
	v_or_b32_e32 v8, s2, v87
	v_xor_b32_e32 v14, v14, v17
	v_xor_b32_e32 v18, v18, v17
	v_xor_b32_e32 v11, v11, v17
	v_ashrrev_i32_e32 v9, 31, v8
	v_or_b32_e32 v10, v84, v7
	v_add_u32_e32 v19, v3, v14
	v_add_u32_e32 v21, v3, v18
	;; [unrolled: 1-line block ×3, first 2 shown]
	v_or3_b32 v12, v84, v7, 64
	v_add_u32_e32 v7, 0xa000, v14
	v_add_u32_e32 v14, 0xa000, v18
	;; [unrolled: 1-line block ×3, first 2 shown]
	v_lshl_add_u64 v[80:81], v[8:9], 1, s[8:9]
	v_lshl_add_u64 v[82:83], v[4:5], 0, v[78:79]
	s_add_i32 s3, s46, 63
	v_lshlrev_b32_e32 v78, 1, v6
	v_lshlrev_b32_e32 v135, 2, v10
	v_add_u32_e32 v136, v19, v15
	v_add_u32_e32 v137, v21, v15
	;; [unrolled: 1-line block ×4, first 2 shown]
	v_lshlrev_b32_e32 v140, 2, v12
	v_add_u32_e32 v141, v7, v15
	v_add_u32_e32 v142, v14, v15
	v_add_u32_e32 v143, v11, v15
	v_mov_b32_e32 v76, v79
	v_mov_b32_e32 v77, v79
	;; [unrolled: 1-line block ×22, first 2 shown]
	s_barrier
	s_branch .LBB78_7
.LBB78_6:                               ;   in Loop: Header=BB78_7 Depth=1
	v_mul_f32_e32 v26, s20, v144
	v_exp_f32_e32 v36, v26
	s_waitcnt vmcnt(4)
	v_mul_f32_e32 v26, 0x3fb8aa3b, v38
	v_exp_f32_e32 v38, v26
	v_mul_f32_e32 v26, 0x3fb8aa3b, v39
	v_exp_f32_e32 v39, v26
	;; [unrolled: 2-line block ×4, first 2 shown]
	v_accvgpr_read_b32 v5, a3
	v_accvgpr_read_b32 v4, a2
	;; [unrolled: 1-line block ×4, first 2 shown]
	v_pk_mul_f32 v[38:39], v[36:37], v[38:39] op_sel_hi:[0,1]
	v_pk_mul_f32 v[40:41], v[36:37], v[40:41] op_sel_hi:[0,1]
	v_pk_fma_f32 v[74:75], v[74:75], v[38:39], v[2:3]
	v_pk_fma_f32 v[76:77], v[76:77], v[40:41], v[4:5]
	v_mul_f32_e32 v2, 0x3fb8aa3b, v34
	v_mul_f32_e32 v3, 0x3fb8aa3b, v42
	;; [unrolled: 1-line block ×4, first 2 shown]
	v_exp_f32_e32 v2, v2
	v_exp_f32_e32 v3, v3
	;; [unrolled: 1-line block ×4, first 2 shown]
	v_accvgpr_read_b32 v9, a7
	v_accvgpr_read_b32 v13, a11
	;; [unrolled: 1-line block ×28, first 2 shown]
	v_pk_mul_f32 v[2:3], v[36:37], v[2:3] op_sel_hi:[0,1]
	v_pk_mul_f32 v[4:5], v[36:37], v[4:5] op_sel_hi:[0,1]
	s_add_i32 s60, s60, 64
	v_pk_fma_f32 v[66:67], v[38:39], v[66:67], v[6:7]
	v_pk_fma_f32 v[68:69], v[40:41], v[68:69], v[8:9]
	;; [unrolled: 1-line block ×14, first 2 shown]
	s_cmp_eq_u32 s51, s66
	s_mov_b32 s67, s66
	s_cbranch_scc1 .LBB78_17
.LBB78_7:                               ; =>This Inner Loop Header: Depth=1
	s_add_i32 s66, s67, 1
	s_cmp_lt_i32 s66, s51
	s_mov_b64 s[24:25], 0
	s_cselect_b64 s[44:45], -1, 0
	s_cmp_ge_i32 s66, s51
	s_mov_b64 s[20:21], 0
	s_cbranch_scc1 .LBB78_9
; %bb.8:                                ;   in Loop: Header=BB78_7 Depth=1
	s_add_i32 s0, s60, 64
	s_add_u32 s0, s40, s0
	s_addc_u32 s1, s41, 0
	s_lshl_b64 s[0:1], s[0:1], 8
	s_add_u32 s20, s6, s0
	s_addc_u32 s21, s7, s1
.LBB78_9:                               ;   in Loop: Header=BB78_7 Depth=1
	v_cndmask_b32_e64 v2, 0, 1, s[44:45]
	v_cmp_ne_u32_e64 s[0:1], 1, v2
	s_andn2_b64 vcc, exec, s[44:45]
	s_cbranch_vccnz .LBB78_11
; %bb.10:                               ;   in Loop: Header=BB78_7 Depth=1
	s_add_i32 s24, s60, 64
	s_add_u32 s24, s46, s24
	s_addc_u32 s25, s63, 0
	s_mul_i32 s27, s24, s52
	s_mul_hi_u32 s44, s24, s56
	s_add_i32 s27, s44, s27
	s_mul_i32 s25, s25, s56
	s_add_i32 s27, s27, s25
	s_mul_i32 s24, s24, s56
	s_add_u32 s24, s24, s55
	s_addc_u32 s25, s27, s58
	s_lshl_b64 s[24:25], s[24:25], 8
	s_add_u32 s24, s4, s24
	s_addc_u32 s25, s5, s25
.LBB78_11:                              ;   in Loop: Header=BB78_7 Depth=1
	v_perm_b32 v3, v77, v76, s37
	v_perm_b32 v2, v75, v74, s37
	v_perm_b32 v5, v73, v72, s37
	v_perm_b32 v4, v71, v70, s37
	ds_write_b64 v97, v[2:3]
	ds_write_b64 v98, v[4:5]
	ds_write_b64 v101, v[2:3]
	ds_write_b64 v102, v[4:5]
	v_perm_b32 v3, v69, v68, s37
	v_perm_b32 v2, v67, v66, s37
	v_perm_b32 v5, v65, v64, s37
	v_perm_b32 v4, v63, v62, s37
	ds_write_b64 v99, v[2:3]
	ds_write_b64 v100, v[4:5]
	ds_write_b64 v103, v[2:3]
	ds_write_b64 v104, v[4:5]
	;; [unrolled: 8-line block ×4, first 2 shown]
	s_waitcnt lgkmcnt(0)
	s_barrier
	ds_read_b64 v[6:7], v113 offset:49152
	ds_read2_b64 v[2:5], v114 offset1:16
	ds_read_b64 v[18:19], v116 offset:6144
	ds_read_b64 v[20:21], v114 offset:6144
	s_waitcnt lgkmcnt(2)
	v_mfma_f32_16x16x16_bf16 a[0:3], v[6:7], v[2:3], 0
	ds_read_b64 v[22:23], v115 offset:49152
	ds_read2st64_b64 v[10:13], v117 offset0:4 offset1:8
	ds_read2st64_b64 v[14:17], v118 offset0:4 offset1:8
	v_mfma_f32_16x16x16_bf16 a[4:7], v[6:7], v[4:5], 0
	ds_read2_b64 v[2:5], v114 offset0:32 offset1:48
	s_add_i32 s27, s60, 63
	s_mul_i32 s44, s27, s35
	s_waitcnt lgkmcnt(0)
	v_mfma_f32_16x16x16_bf16 a[8:11], v[6:7], v[2:3], 0
	s_mul_hi_u32 s45, s27, s34
	s_add_i32 s45, s45, s44
	s_mul_i32 s44, s27, s34
	v_mfma_f32_16x16x16_bf16 a[12:15], v[6:7], v[4:5], 0
	ds_read2st64_b64 v[2:5], v114 offset0:4 offset1:8
	ds_read2st64_b64 v[6:9], v116 offset0:4 offset1:8
	s_lshl_b64 s[44:45], s[44:45], 2
	s_waitcnt lgkmcnt(1)
	v_mfma_f32_16x16x16_bf16 a[0:3], v[22:23], v[2:3], a[0:3]
	s_add_u32 s44, s42, s44
	s_addc_u32 s45, s43, s45
	s_and_b64 vcc, exec, s[0:1]
	s_waitcnt lgkmcnt(0)
	v_mfma_f32_16x16x16_bf16 a[4:7], v[22:23], v[6:7], a[4:7]
	v_mov_b32_e32 v147, 0
	v_mov_b32_e32 v146, 0
	;; [unrolled: 1-line block ×3, first 2 shown]
	v_mfma_f32_16x16x16_bf16 a[8:11], v[22:23], v[10:11], a[8:11]
	ds_read_b64 v[2:3], v119 offset:49152
	ds_read_b64 v[6:7], v120 offset:49152
	;; [unrolled: 1-line block ×3, first 2 shown]
	v_mfma_f32_16x16x16_bf16 a[12:15], v[22:23], v[14:15], a[12:15]
	v_mov_b32_e32 v14, 0
	v_mov_b32_e32 v15, 0
	s_waitcnt lgkmcnt(2)
	v_mfma_f32_16x16x16_bf16 a[0:3], v[2:3], v[4:5], a[0:3]
	v_mov_b32_e32 v4, 0
	v_mov_b32_e32 v5, 0
	v_mfma_f32_16x16x16_bf16 a[16:19], v[2:3], v[8:9], a[4:7]
	v_mov_b32_e32 v8, 0
	v_mov_b32_e32 v9, 0
	;; [unrolled: 3-line block ×3, first 2 shown]
	v_mfma_f32_16x16x16_bf16 a[24:27], v[2:3], v[16:17], a[12:15]
	ds_read_b64 v[2:3], v117 offset:6144
	v_mov_b32_e32 v16, 0
	v_mov_b32_e32 v17, 0
	s_waitcnt lgkmcnt(2)
	v_mfma_f32_16x16x16_bf16 a[4:7], v[6:7], v[20:21], a[0:3]
	v_mfma_f32_16x16x16_bf16 a[8:11], v[6:7], v[18:19], a[16:19]
	s_waitcnt lgkmcnt(0)
	v_mfma_f32_16x16x16_bf16 a[12:15], v[6:7], v[2:3], a[20:23]
	v_mov_b32_e32 v2, 0
	v_mov_b32_e32 v3, 0
	v_mfma_f32_16x16x16_bf16 a[0:3], v[6:7], v[10:11], a[24:27]
	v_mov_b32_e32 v6, 0
	v_mov_b32_e32 v7, 0
	;; [unrolled: 1-line block ×4, first 2 shown]
	s_cbranch_vccnz .LBB78_13
; %bb.12:                               ;   in Loop: Header=BB78_7 Depth=1
	s_and_b32 s21, s21, 0xffff
	buffer_load_dwordx4 v[14:17], v93, s[20:23], 0 offen
	buffer_load_dwordx4 v[10:13], v93, s[20:23], s59 offen
	buffer_load_dwordx4 v[6:9], v94, s[20:23], 0 offen
	buffer_load_dwordx4 v[2:5], v94, s[20:23], s59 offen
	v_mov_b32_e32 v146, v95
	v_mov_b32_e32 v145, v96
.LBB78_13:                              ;   in Loop: Header=BB78_7 Depth=1
	ds_read_b64 v[34:35], v113 offset:57344
	ds_read2_b64 v[18:21], v121 offset1:16
	ds_read_b64 v[36:37], v115 offset:57344
	ds_read_b64 v[38:39], v119 offset:57344
	;; [unrolled: 1-line block ×3, first 2 shown]
	v_add_u32_e32 v42, s60, v134
	s_waitcnt lgkmcnt(3)
	v_mfma_f32_16x16x16_bf16 a[4:7], v[34:35], v[18:19], a[4:7]
	v_mfma_f32_16x16x16_bf16 a[8:11], v[34:35], v[20:21], a[8:11]
	ds_read2_b64 v[18:21], v121 offset0:32 offset1:48
	ds_read2st64_b64 v[22:25], v121 offset0:4 offset1:8
	ds_read2st64_b64 v[26:29], v122 offset0:4 offset1:8
	;; [unrolled: 1-line block ×3, first 2 shown]
	s_waitcnt lgkmcnt(3)
	v_mfma_f32_16x16x16_bf16 a[12:15], v[34:35], v[18:19], a[12:15]
	v_ashrrev_i32_e32 v18, 31, v42
	v_mfma_f32_16x16x16_bf16 a[0:3], v[34:35], v[20:21], a[0:3]
	v_mul_lo_u32 v20, v18, s34
	v_mul_lo_u32 v21, v42, s35
	v_mad_u64_u32 v[18:19], s[20:21], v42, s34, 0
	v_add3_u32 v19, v19, v21, v20
	v_add_u32_e32 v20, 1, v42
	v_ashrrev_i32_e32 v21, 31, v20
	s_waitcnt lgkmcnt(2)
	v_mfma_f32_16x16x16_bf16 a[4:7], v[36:37], v[22:23], a[4:7]
	v_mul_lo_u32 v22, v21, s34
	v_mul_lo_u32 v23, v20, s35
	v_mad_u64_u32 v[20:21], s[20:21], v20, s34, 0
	v_add3_u32 v21, v21, v23, v22
	v_add_u32_e32 v22, 2, v42
	v_ashrrev_i32_e32 v23, 31, v22
	s_waitcnt lgkmcnt(1)
	v_mfma_f32_16x16x16_bf16 a[8:11], v[36:37], v[26:27], a[8:11]
	v_mul_lo_u32 v26, v23, s34
	v_mul_lo_u32 v27, v22, s35
	v_mad_u64_u32 v[22:23], s[20:21], v22, s34, 0
	v_lshl_add_u64 v[18:19], v[18:19], 2, s[42:43]
	v_add3_u32 v23, v23, v27, v26
	v_add_u32_e32 v26, 3, v42
	v_ashrrev_i32_e32 v27, 31, v26
	global_load_dword v35, v[18:19], off
	v_mad_u64_u32 v[18:19], s[20:21], v26, s34, 0
	v_mul_lo_u32 v27, v27, s34
	v_mul_lo_u32 v34, v26, s35
	s_add_u32 s20, s40, s60
	v_add3_u32 v19, v19, v34, v27
	s_addc_u32 s21, s41, 0
	v_lshl_add_u64 v[20:21], v[20:21], 2, s[42:43]
	v_lshl_add_u64 v[22:23], v[22:23], 2, s[42:43]
	;; [unrolled: 1-line block ×3, first 2 shown]
	s_lshl_b64 s[20:21], s[20:21], 8
	global_load_dword v34, v[20:21], off
	global_load_dword v42, v[22:23], off
	;; [unrolled: 1-line block ×3, first 2 shown]
	v_lshl_add_u64 v[18:19], v[80:81], 0, s[20:21]
	v_lshl_add_u64 v[22:23], v[18:19], 0, v[78:79]
	global_load_ushort v44, v[22:23], off offset:256
	global_load_ushort v148, v[22:23], off
	ds_read2st64_b64 v[18:21], v124 offset0:4 offset1:8
	global_load_ushort v149, v[22:23], off offset:768
	global_load_ushort v150, v[22:23], off offset:512
	s_waitcnt lgkmcnt(1)
	v_mfma_f32_16x16x16_bf16 a[12:15], v[36:37], v[30:31], a[12:15]
	s_and_b64 vcc, exec, s[0:1]
	s_waitcnt vmcnt(3)
	v_lshlrev_b32_e32 v31, 16, v44
	s_waitcnt lgkmcnt(0)
	v_mfma_f32_16x16x16_bf16 a[0:3], v[36:37], v[18:19], a[0:3]
	global_load_ushort v36, v[22:23], off offset:288
	global_load_ushort v37, v[22:23], off offset:32
	global_load_ushort v151, v[22:23], off offset:800
	global_load_ushort v152, v[22:23], off offset:544
	global_load_ushort v153, v[22:23], off offset:320
	global_load_ushort v154, v[22:23], off offset:64
	global_load_ushort v155, v[22:23], off offset:832
	global_load_ushort v156, v[22:23], off offset:576
	v_mfma_f32_16x16x16_bf16 a[4:7], v[38:39], v[24:25], a[4:7]
	ds_read_b64 v[18:19], v121 offset:6144
	s_waitcnt vmcnt(10)
	v_lshlrev_b32_e32 v30, 16, v148
	v_mov_b32_e32 v148, 0
	v_mfma_f32_16x16x16_bf16 a[8:11], v[38:39], v[28:29], a[8:11]
	v_mfma_f32_16x16x16_bf16 a[12:15], v[38:39], v[32:33], a[12:15]
	;; [unrolled: 1-line block ×3, first 2 shown]
	global_load_ushort v38, v[22:23], off offset:352
	global_load_ushort v39, v[22:23], off offset:96
	ds_read_b64 v[20:21], v122 offset:6144
	ds_read_b64 v[24:25], v123 offset:6144
	ds_read_b64 v[26:27], v124 offset:6144
	global_load_ushort v157, v[22:23], off offset:864
	global_load_ushort v158, v[22:23], off offset:608
	s_load_dword s20, s[44:45], 0x0
	s_waitcnt lgkmcnt(0)
	v_mfma_f32_16x16x16_bf16 a[4:7], v[40:41], v[18:19], a[4:7]
	v_sub_f32_e32 v28, s20, v42
	v_mfma_f32_16x16x16_bf16 a[0:3], v[40:41], v[26:27], a[0:3]
	v_sub_f32_e32 v26, s20, v35
	v_sub_f32_e32 v27, s20, v34
	;; [unrolled: 1-line block ×3, first 2 shown]
	v_mul_f32_e32 v26, 0x3fb8aa3b, v26
	v_mul_f32_e32 v27, 0x3fb8aa3b, v27
	;; [unrolled: 1-line block ×4, first 2 shown]
	v_mfma_f32_16x16x16_bf16 a[8:11], v[40:41], v[20:21], a[8:11]
	v_exp_f32_e32 v26, v26
	v_exp_f32_e32 v27, v27
	;; [unrolled: 1-line block ×4, first 2 shown]
	v_accvgpr_read_b32 v33, a5
	v_accvgpr_read_b32 v32, a4
	;; [unrolled: 1-line block ×4, first 2 shown]
	v_pk_add_f32 v[30:31], v[30:31], v[32:33] neg_lo:[0,1] neg_hi:[0,1]
	s_waitcnt vmcnt(13)
	v_lshlrev_b32_e32 v33, 16, v149
	s_waitcnt vmcnt(12)
	v_lshlrev_b32_e32 v32, 16, v150
	v_pk_add_f32 v[18:19], v[32:33], v[18:19] neg_lo:[0,1] neg_hi:[0,1]
	v_pk_mul_f32 v[30:31], v[26:27], v[30:31]
	v_pk_mul_f32 v[18:19], v[28:29], v[18:19]
	v_accvgpr_read_b32 v33, a9
	v_perm_b32 v19, v19, v18, s37
	v_perm_b32 v18, v31, v30, s37
	v_accvgpr_read_b32 v32, a8
	v_accvgpr_read_b32 v21, a11
	v_mfma_f32_16x16x16_bf16 a[12:15], v[40:41], v[24:25], a[12:15]
	v_accvgpr_read_b32 v20, a10
	v_accvgpr_read_b32 v25, a3
	;; [unrolled: 1-line block ×3, first 2 shown]
	s_waitcnt vmcnt(11)
	v_lshlrev_b32_e32 v31, 16, v36
	s_waitcnt vmcnt(10)
	v_lshlrev_b32_e32 v30, 16, v37
	v_pk_add_f32 v[30:31], v[30:31], v[32:33] neg_lo:[0,1] neg_hi:[0,1]
	s_waitcnt vmcnt(9)
	v_lshlrev_b32_e32 v33, 16, v151
	s_waitcnt vmcnt(8)
	v_lshlrev_b32_e32 v32, 16, v152
	v_pk_add_f32 v[20:21], v[32:33], v[20:21] neg_lo:[0,1] neg_hi:[0,1]
	v_pk_mul_f32 v[30:31], v[26:27], v[30:31]
	v_pk_mul_f32 v[20:21], v[28:29], v[20:21]
	v_accvgpr_read_b32 v23, a15
	v_perm_b32 v21, v21, v20, s37
	v_perm_b32 v20, v31, v30, s37
	ds_write2_b64 v98, v[18:19], v[20:21] offset1:16
	v_accvgpr_read_b32 v21, a13
	s_waitcnt vmcnt(7)
	v_lshlrev_b32_e32 v19, 16, v153
	s_waitcnt vmcnt(6)
	v_lshlrev_b32_e32 v18, 16, v154
	v_accvgpr_read_b32 v20, a12
	v_accvgpr_read_b32 v22, a14
	v_pk_add_f32 v[18:19], v[18:19], v[20:21] neg_lo:[0,1] neg_hi:[0,1]
	s_waitcnt vmcnt(5)
	v_lshlrev_b32_e32 v21, 16, v155
	s_waitcnt vmcnt(4)
	v_lshlrev_b32_e32 v20, 16, v156
	v_pk_add_f32 v[20:21], v[20:21], v[22:23] neg_lo:[0,1] neg_hi:[0,1]
	v_pk_mul_f32 v[18:19], v[26:27], v[18:19]
	v_pk_mul_f32 v[20:21], v[28:29], v[20:21]
	v_accvgpr_read_b32 v23, a1
	v_perm_b32 v21, v21, v20, s37
	v_perm_b32 v20, v19, v18, s37
	s_waitcnt vmcnt(3)
	v_lshlrev_b32_e32 v19, 16, v38
	s_waitcnt vmcnt(2)
	v_lshlrev_b32_e32 v18, 16, v39
	v_accvgpr_read_b32 v22, a0
	v_pk_add_f32 v[18:19], v[18:19], v[22:23] neg_lo:[0,1] neg_hi:[0,1]
	s_waitcnt vmcnt(1)
	v_lshlrev_b32_e32 v23, 16, v157
	s_waitcnt vmcnt(0)
	v_lshlrev_b32_e32 v22, 16, v158
	v_pk_add_f32 v[22:23], v[22:23], v[24:25] neg_lo:[0,1] neg_hi:[0,1]
	v_pk_mul_f32 v[18:19], v[26:27], v[18:19]
	v_pk_mul_f32 v[22:23], v[28:29], v[22:23]
	v_mov_b32_e32 v24, 0
	v_perm_b32 v23, v23, v22, s37
	v_perm_b32 v22, v19, v18, s37
	ds_write2_b64 v98, v[20:21], v[22:23] offset0:32 offset1:48
	v_mov_b32_e32 v18, 0
	v_mov_b32_e32 v19, 0
	;; [unrolled: 1-line block ×15, first 2 shown]
	s_cbranch_vccnz .LBB78_15
; %bb.14:                               ;   in Loop: Header=BB78_7 Depth=1
	s_and_b32 s25, s25, 0xffff
	s_mov_b32 s27, s23
	buffer_load_dwordx4 v[30:33], v131, s[24:27], 0 offen
	buffer_load_dwordx4 v[22:25], v131, s[24:27], s59 offen
	;; [unrolled: 1-line block ×4, first 2 shown]
	v_mov_b32_e32 v147, v92
	v_mov_b32_e32 v148, v91
.LBB78_15:                              ;   in Loop: Header=BB78_7 Depth=1
	s_waitcnt lgkmcnt(0)
	s_barrier
	ds_read_b64 v[42:43], v136
	ds_read2_b64 v[34:37], v127 offset1:16
	ds_read_b64 v[166:167], v137
	ds_read_b64 v[168:169], v138
	;; [unrolled: 1-line block ×3, first 2 shown]
	ds_read2_b64 v[38:41], v127 offset0:32 offset1:48
	ds_read2st64_b64 v[150:153], v127 offset0:4 offset1:8
	ds_read2st64_b64 v[154:157], v128 offset0:4 offset1:8
	ds_read2st64_b64 v[158:161], v129 offset0:4 offset1:8
	ds_read2st64_b64 v[162:165], v130 offset0:4 offset1:8
	s_waitcnt lgkmcnt(8)
	v_mfma_f32_16x16x16_bf16 a[0:3], v[42:43], v[34:35], 0
	s_add_i32 s21, s53, s67
	s_mul_hi_i32 s25, s21, s13
	s_mul_i32 s21, s21, s13
	v_mfma_f32_16x16x16_bf16 a[4:7], v[42:43], v[36:37], 0
	s_add_u32 s24, s21, s33
	s_addc_u32 s25, s25, s57
	s_add_i32 s21, s3, s60
	s_waitcnt lgkmcnt(4)
	v_mfma_f32_16x16x16_bf16 a[8:11], v[42:43], v[38:39], 0
	s_lshl_b64 s[24:25], s[24:25], 15
	s_mul_hi_i32 s27, s21, s13
	s_mul_i32 s21, s21, s13
	v_mfma_f32_16x16x16_bf16 a[12:15], v[42:43], v[40:41], 0
	ds_read_b64 v[42:43], v127 offset:6144
	ds_read_b64 v[178:179], v128 offset:6144
	;; [unrolled: 1-line block ×4, first 2 shown]
	s_add_u32 s44, s21, s33
	s_waitcnt lgkmcnt(7)
	v_mfma_f32_16x16x16_bf16 a[0:3], v[166:167], v[150:151], a[0:3]
	s_addc_u32 s45, s27, s57
	s_lshl_b64 s[44:45], s[44:45], 9
	s_add_u32 s44, s30, s44
	s_waitcnt lgkmcnt(6)
	v_mfma_f32_16x16x16_bf16 a[4:7], v[166:167], v[154:155], a[4:7]
	s_addc_u32 s45, s31, s45
	v_lshl_add_u64 v[188:189], v[82:83], 0, s[24:25]
	s_waitcnt lgkmcnt(5)
	v_mfma_f32_16x16x16_bf16 a[8:11], v[166:167], v[158:159], a[8:11]
	s_waitcnt lgkmcnt(4)
	v_mfma_f32_16x16x16_bf16 a[12:15], v[166:167], v[162:163], a[12:15]
	ds_read_b64 v[166:167], v141
	ds_read_b64 v[176:177], v142
	;; [unrolled: 1-line block ×3, first 2 shown]
	s_waitcnt lgkmcnt(2)
	v_mfma_f32_16x16x16_bf16 a[16:19], v[166:167], v[34:35], 0
	v_mfma_f32_16x16x16_bf16 a[20:23], v[166:167], v[36:37], 0
	global_load_dwordx4 v[34:37], v140, s[44:45]
	v_mfma_f32_16x16x16_bf16 a[24:27], v[166:167], v[38:39], 0
	v_mfma_f32_16x16x16_bf16 a[28:31], v[166:167], v[40:41], 0
	global_load_dwordx4 v[38:41], v135, s[44:45]
	v_mfma_f32_16x16x16_bf16 a[0:3], v[168:169], v[152:153], a[0:3]
	v_mfma_f32_16x16x16_bf16 a[4:7], v[168:169], v[156:157], a[4:7]
	;; [unrolled: 1-line block ×8, first 2 shown]
	ds_read2st64_b64 v[166:169], v125 offset1:8
	ds_read2st64_b64 v[170:173], v126 offset1:8
	ds_read_b64 v[186:187], v133 offset:40960
	s_waitcnt lgkmcnt(2)
	v_mov_b32_e32 v174, v166
	v_mfma_f32_16x16x16_bf16 a[16:19], v[176:177], v[150:151], a[16:19]
	v_mov_b32_e32 v175, v167
	v_mfma_f32_16x16x16_bf16 a[20:23], v[176:177], v[154:155], a[20:23]
	v_mfma_f32_16x16x16_bf16 a[24:27], v[176:177], v[158:159], a[24:27]
	;; [unrolled: 1-line block ×3, first 2 shown]
	v_add_co_u32_e32 v162, vcc, s64, v188
	s_waitcnt lgkmcnt(1)
	v_mov_b32_e32 v176, v170
	s_waitcnt lgkmcnt(0)
	v_mfma_f32_16x16x16_bf16 a[16:19], v[186:187], v[152:153], a[16:19]
	ds_read2st64_b64 v[150:153], v125 offset0:16 offset1:24
	v_addc_co_u32_e32 v163, vcc, 0, v189, vcc
	v_mfma_f32_16x16x16_bf16 a[20:23], v[186:187], v[156:157], a[20:23]
	ds_read2st64_b64 v[154:157], v126 offset0:16 offset1:24
	v_mov_b32_e32 v177, v171
	v_mov_b32_e32 v170, v168
	v_mfma_f32_16x16x16_bf16 a[32:35], v[186:187], v[160:161], a[24:27]
	v_mov_b32_e32 v171, v169
	s_waitcnt lgkmcnt(0)
	v_mov_b32_e32 v160, v154
	v_mov_b32_e32 v161, v155
	v_mfma_f32_16x16x16_bf16 a[36:39], v[186:187], v[164:165], a[28:31]
	v_mov_b32_e32 v154, v152
	v_mov_b32_e32 v155, v153
	;; [unrolled: 1-line block ×3, first 2 shown]
	v_mfma_f32_16x16x16_bf16 a[24:27], v[184:185], v[42:43], a[16:19]
	v_add_co_u32_e32 v42, vcc, s65, v188
	v_mov_b32_e32 v159, v151
	v_mfma_f32_16x16x16_bf16 a[28:31], v[184:185], v[178:179], a[20:23]
	v_addc_co_u32_e32 v43, vcc, 0, v189, vcc
	global_store_dwordx4 v[42:43], v[154:157], off
	v_mfma_f32_16x16x16_bf16 a[16:19], v[184:185], v[180:181], a[32:35]
	s_waitcnt vmcnt(2)
	v_mov_b32_e32 v44, v37
	v_mov_b32_e32 v43, v36
	;; [unrolled: 1-line block ×3, first 2 shown]
	v_mfma_f32_16x16x16_bf16 a[20:23], v[184:185], v[182:183], a[36:39]
	s_and_b64 vcc, exec, s[0:1]
	global_store_dwordx4 v[188:189], v[174:177], off
	global_store_dwordx4 v[162:163], v[170:173], off offset:-4096
	global_store_dwordx4 v[162:163], v[158:161], off
	s_cbranch_vccnz .LBB78_6
; %bb.16:                               ;   in Loop: Header=BB78_7 Depth=1
	v_lshrrev_b32_e32 v35, 3, v147
	v_and_b32_e32 v35, 6, v35
	v_xor_b32_e32 v36, v35, v148
	v_lshlrev_b32_e32 v36, 2, v36
	v_and_b32_e32 v37, 8, v147
	v_xor_b32_e32 v147, 0x440, v36
	v_cmp_eq_u32_e32 vcc, 0, v37
	v_perm_b32 v37, v22, v18, s61
	s_nop 0
	v_cndmask_b32_e32 v36, v147, v36, vcc
	v_lshl_or_b32 v35, v35, 10, v36
	v_perm_b32 v36, v30, v26, s61
	s_barrier
	ds_write2st64_b32 v35, v36, v37 offset0:128 offset1:160
	v_xor_b32_e32 v36, 8, v35
	v_perm_b32 v26, v30, v26, s62
	v_perm_b32 v18, v22, v18, s62
	v_add_u32_e32 v22, 0x80, v36
	ds_write2st64_b32 v22, v26, v18 offset0:128 offset1:160
	v_xor_b32_e32 v18, 16, v35
	v_perm_b32 v22, v31, v27, s61
	v_perm_b32 v26, v23, v19, s61
	ds_write2st64_b32 v18, v22, v26 offset0:129 offset1:161
	v_xor_b32_e32 v18, 24, v35
	v_perm_b32 v22, v31, v27, s62
	v_perm_b32 v19, v23, v19, s62
	v_add_u32_e32 v18, 0x80, v18
	ds_write2st64_b32 v18, v22, v19 offset0:129 offset1:161
	v_xor_b32_e32 v18, 32, v35
	v_perm_b32 v19, v32, v28, s61
	v_perm_b32 v22, v24, v20, s61
	;; [unrolled: 9-line block ×3, first 2 shown]
	ds_write2st64_b32 v18, v19, v20 offset0:131 offset1:163
	v_xor_b32_e32 v18, 56, v35
	v_perm_b32 v19, v33, v29, s62
	v_perm_b32 v20, v25, v21, s62
	v_add_u32_e32 v18, 0x80, v18
	ds_write2st64_b32 v18, v19, v20 offset0:131 offset1:163
	ds_write_b64 v146, v[14:15] offset:49152
	v_xor_b32_e32 v14, 8, v146
	ds_write_b64 v14, v[16:17] offset:49152
	ds_write_b64 v146, v[10:11] offset:57344
	;; [unrolled: 1-line block ×4, first 2 shown]
	v_xor_b32_e32 v6, 8, v145
	ds_write_b64 v6, v[8:9] offset:49152
	ds_write_b64 v145, v[2:3] offset:57344
	;; [unrolled: 1-line block ×3, first 2 shown]
	s_branch .LBB78_6
.LBB78_17:
	s_lshl_b32 s44, s51, 6
	s_sub_i32 s45, s12, s44
	s_cmp_gt_i32 s45, 0
	v_or_b32_e32 v18, s2, v87
	s_cbranch_scc1 .LBB78_19
; %bb.18:
	s_ashr_i32 s0, s33, 31
	s_add_u32 s24, s48, s33
	s_addc_u32 s25, s54, s0
	v_or_b32_e32 v2, s2, v87
	s_cbranch_execz .LBB78_20
	s_branch .LBB78_100
.LBB78_19:
                                        ; implicit-def: $sgpr24_sgpr25
                                        ; implicit-def: $vgpr2
.LBB78_20:
	s_ashr_i32 s37, s50, 31
	s_ashr_i32 s3, s44, 31
	s_cmpk_lg_i32 s15, 0x80
	s_cselect_b64 s[40:41], -1, 0
	s_and_b64 vcc, exec, s[40:41]
	s_cbranch_vccz .LBB78_22
; %bb.21:
	s_mul_hi_i32 s0, s50, s12
	s_add_u32 s1, s46, s44
	s_addc_u32 s0, s0, s3
	s_mul_i32 s20, s1, s52
	s_mul_hi_u32 s21, s1, s14
	s_add_i32 s20, s21, s20
	s_mul_i32 s0, s0, s14
	s_add_i32 s20, s20, s0
	s_mul_i32 s1, s1, s14
	s_ashr_i32 s0, s55, 31
	s_add_u32 s42, s1, s55
	s_addc_u32 s43, s20, s0
	s_cbranch_execz .LBB78_23
	s_branch .LBB78_24
.LBB78_22:
                                        ; implicit-def: $sgpr42_sgpr43
.LBB78_23:
	s_mul_hi_i32 s0, s50, s14
	s_mul_i32 s50, s50, s14
	s_ashr_i32 s1, s55, 31
	s_add_u32 s14, s50, s55
	s_addc_u32 s0, s0, s1
	s_mul_i32 s1, s14, s49
	s_mul_hi_u32 s20, s14, s12
	s_add_i32 s1, s20, s1
	s_mul_i32 s0, s0, s12
	s_add_i32 s1, s1, s0
	s_mul_i32 s14, s14, s12
	s_add_u32 s42, s14, s44
	s_addc_u32 s43, s1, s3
.LBB78_24:
	s_add_i32 s20, s53, s51
	s_ashr_i32 s14, s33, 31
	s_add_u32 s24, s48, s33
	s_addc_u32 s25, s54, s14
	s_mul_i32 s0, s24, s49
	s_mul_hi_u32 s1, s24, s12
	s_add_i32 s0, s1, s0
	s_mul_i32 s1, s25, s12
	s_add_i32 s1, s0, s1
	s_mul_i32 s0, s24, s12
	s_add_u32 s0, s0, s44
	v_lshlrev_b32_e32 v6, 6, v1
	v_lshlrev_b32_e32 v26, 2, v87
	s_addc_u32 s1, s1, s3
	s_mov_b32 s3, 0x7060302
	v_or_b32_e32 v9, v6, v26
	v_xor_b32_e32 v7, v1, v26
	v_perm_b32 v3, v77, v76, s3
	v_perm_b32 v2, v75, v74, s3
	;; [unrolled: 1-line block ×4, first 2 shown]
	v_lshlrev_b32_e32 v9, 1, v9
	v_xor_b32_e32 v8, v90, v26
	ds_write2st64_b64 v9, v[2:3], v[4:5] offset0:32 offset1:48
	v_lshlrev_b32_e32 v7, 1, v7
	v_lshlrev_b32_e32 v9, 8, v87
	v_or_b32_e32 v10, v7, v9
	v_lshlrev_b32_e32 v8, 1, v8
	ds_write_b64 v10, v[2:3]
	v_or_b32_e32 v2, v8, v9
	v_or_b32_e32 v9, 16, v87
	v_lshlrev_b32_e32 v25, 2, v9
	v_or_b32_e32 v10, v6, v25
	ds_write_b64 v2, v[4:5]
	v_perm_b32 v3, v69, v68, s3
	v_perm_b32 v2, v67, v66, s3
	;; [unrolled: 1-line block ×4, first 2 shown]
	v_lshlrev_b32_e32 v10, 1, v10
	v_lshlrev_b32_e32 v9, 8, v9
	ds_write2st64_b64 v10, v[2:3], v[4:5] offset0:32 offset1:48
	v_or_b32_e32 v10, v7, v9
	ds_write_b64 v10, v[2:3]
	v_or_b32_e32 v2, v8, v9
	v_or_b32_e32 v9, 32, v87
	v_lshlrev_b32_e32 v24, 2, v9
	v_or_b32_e32 v10, v6, v24
	ds_write_b64 v2, v[4:5]
	v_perm_b32 v3, v61, v60, s3
	v_perm_b32 v2, v59, v58, s3
	;; [unrolled: 1-line block ×4, first 2 shown]
	v_lshlrev_b32_e32 v10, 1, v10
	v_lshlrev_b32_e32 v9, 8, v9
	s_lshl_b64 s[26:27], s[0:1], 8
	ds_write2st64_b64 v10, v[2:3], v[4:5] offset0:32 offset1:48
	v_or_b32_e32 v10, v7, v9
	s_add_u32 s0, s6, s26
	ds_write_b64 v10, v[2:3]
	v_or_b32_e32 v2, v8, v9
	s_addc_u32 s1, s7, s27
	ds_write_b64 v2, v[4:5]
	v_perm_b32 v3, v53, v52, s3
	v_perm_b32 v2, v51, v50, s3
	v_perm_b32 v5, v49, v48, s3
	v_perm_b32 v4, v47, v46, s3
	v_or_b32_e32 v9, 48, v87
	s_mul_hi_i32 s3, s20, s13
	s_mul_i32 s20, s20, s13
	v_lshlrev_b32_e32 v21, 2, v9
	s_add_u32 s6, s20, s33
	v_or_b32_e32 v6, v6, v21
	s_addc_u32 s7, s3, s14
	v_lshlrev_b32_e32 v6, 1, v6
	s_ashr_i32 s3, s2, 31
	s_lshl_b64 s[6:7], s[6:7], 15
	ds_write2st64_b64 v6, v[2:3], v[4:5] offset0:32 offset1:48
	v_lshlrev_b32_e32 v6, 8, v9
	s_waitcnt lgkmcnt(0)
	s_add_u32 s6, s38, s6
	v_or_b32_e32 v7, v7, v6
	s_addc_u32 s7, s39, s7
	s_lshl_b64 s[2:3], s[2:3], 8
	ds_write_b64 v7, v[2:3]
	v_or_b32_e32 v2, v8, v6
	s_add_u32 s2, s6, s2
	v_lshlrev_b32_e32 v3, 1, v87
	ds_write_b64 v2, v[4:5]
	v_lshrrev_b32_e32 v2, 4, v0
	s_addc_u32 s3, s7, s3
	v_or_b32_e32 v4, 1, v3
	v_lshlrev_b32_e32 v10, 4, v87
	v_mov_b32_e32 v11, 0
	v_xor_b32_e32 v3, v2, v3
	v_xor_b32_e32 v6, v4, v2
	v_lshl_add_u64 v[12:13], s[2:3], 0, v[10:11]
	v_lshlrev_b32_e32 v10, 8, v2
	v_lshl_or_b32 v16, v3, 3, v10
	v_lshl_or_b32 v17, v6, 3, v10
	s_waitcnt lgkmcnt(0)
	s_barrier
	ds_read2st64_b64 v[2:5], v16 offset1:8
	ds_read2st64_b64 v[6:9], v17 offset1:8
	v_lshl_add_u64 v[14:15], v[12:13], 0, v[10:11]
	s_movk_i32 s2, 0x2000
	s_cmp_lg_u32 s45, 64
	s_waitcnt lgkmcnt(1)
	v_mov_b32_e32 v10, v2
	v_mov_b32_e32 v11, v3
	s_waitcnt lgkmcnt(0)
	v_mov_b32_e32 v12, v6
	v_mov_b32_e32 v13, v7
	global_store_dwordx4 v[14:15], v[10:13], off
	v_mov_b32_e32 v6, v4
	v_mov_b32_e32 v7, v5
	ds_read2st64_b64 v[2:5], v16 offset0:16 offset1:24
	ds_read2st64_b64 v[10:13], v17 offset0:16 offset1:24
	v_add_co_u32_e32 v16, vcc, s2, v14
	s_cselect_b64 s[6:7], -1, 0
	s_nop 0
	v_addc_co_u32_e32 v17, vcc, 0, v15, vcc
	global_store_dwordx4 v[16:17], v[6:9], off offset:-4096
	v_lshl_or_b32 v19, v45, 3, v89
	s_mov_b32 s20, 0
	s_waitcnt lgkmcnt(1)
	v_mov_b32_e32 v6, v2
	v_add_co_u32_e32 v2, vcc, 0x3000, v14
	v_mov_b32_e32 v7, v3
	s_nop 0
	v_addc_co_u32_e32 v3, vcc, 0, v15, vcc
	s_waitcnt lgkmcnt(0)
	v_mov_b32_e32 v8, v10
	v_mov_b32_e32 v9, v11
	;; [unrolled: 1-line block ×4, first 2 shown]
	v_or_b32_e32 v22, 32, v19
	v_and_b32_e32 v20, 56, v88
	s_and_b64 vcc, exec, s[6:7]
	global_store_dwordx4 v[16:17], v[6:9], off
	global_store_dwordx4 v[2:3], v[10:13], off
	s_cbranch_vccz .LBB78_30
; %bb.25:
	s_mov_b32 s21, s20
	s_mov_b32 s22, s20
	;; [unrolled: 1-line block ×3, first 2 shown]
	v_mov_b64_e32 v[6:7], s[20:21]
	v_mov_b64_e32 v[8:9], s[22:23]
	;; [unrolled: 1-line block ×3, first 2 shown]
	v_cmp_gt_i32_e32 vcc, s45, v19
	v_mov_b64_e32 v[4:5], v[8:9]
	s_and_saveexec_b64 s[2:3], vcc
	s_cbranch_execz .LBB78_27
; %bb.26:
	v_lshlrev_b32_e32 v2, 8, v19
	v_mov_b32_e32 v3, 0
	v_lshl_add_u64 v[4:5], s[0:1], 0, v[2:3]
	v_lshlrev_b32_e32 v2, 1, v20
	v_lshl_add_u64 v[10:11], v[4:5], 0, v[2:3]
	global_load_dwordx4 v[6:9], v[10:11], off
	global_load_dwordx4 v[2:5], v[10:11], off offset:128
.LBB78_27:
	s_or_b64 exec, exec, s[2:3]
	s_mov_b32 s21, s20
	s_mov_b32 s22, s20
	;; [unrolled: 1-line block ×3, first 2 shown]
	v_mov_b64_e32 v[14:15], s[20:21]
	v_mov_b64_e32 v[16:17], s[22:23]
	;; [unrolled: 1-line block ×3, first 2 shown]
	v_cmp_gt_i32_e32 vcc, s45, v22
	v_lshlrev_b32_e32 v23, 7, v22
	v_mov_b64_e32 v[12:13], v[16:17]
	s_and_saveexec_b64 s[2:3], vcc
	s_cbranch_execz .LBB78_29
; %bb.28:
	v_lshlrev_b32_e32 v10, 1, v23
	v_mov_b32_e32 v11, 0
	v_lshl_add_u64 v[12:13], s[0:1], 0, v[10:11]
	v_lshlrev_b32_e32 v10, 1, v20
	v_lshl_add_u64 v[28:29], v[12:13], 0, v[10:11]
	global_load_dwordx4 v[14:17], v[28:29], off
	global_load_dwordx4 v[10:13], v[28:29], off offset:128
.LBB78_29:
	s_or_b64 exec, exec, s[2:3]
	v_lshrrev_b32_e32 v27, 3, v20
	v_lshlrev_b32_e32 v28, 3, v19
	v_or_b32_e32 v27, v28, v27
	v_lshlrev_b32_e32 v27, 4, v27
	v_and_b32_e32 v28, 0x78, v28
	v_xor_b32_e32 v27, v27, v28
	s_branch .LBB78_32
.LBB78_30:
                                        ; implicit-def: $vgpr27
                                        ; implicit-def: $vgpr23
                                        ; implicit-def: $vgpr6_vgpr7_vgpr8_vgpr9
                                        ; implicit-def: $vgpr2_vgpr3_vgpr4_vgpr5
                                        ; implicit-def: $vgpr14_vgpr15_vgpr16_vgpr17
                                        ; implicit-def: $vgpr10_vgpr11_vgpr12_vgpr13
	s_cbranch_execz .LBB78_32
; %bb.31:
	s_waitcnt vmcnt(0)
	v_lshlrev_b32_e32 v2, 1, v20
	v_lshl_or_b32 v23, v19, 8, v2
	s_and_b32 s1, s1, 0xffff
	s_mov_b32 s3, 0x20000
	s_movk_i32 s2, 0x4000
	v_lshl_or_b32 v27, v22, 8, v2
	s_movk_i32 s20, 0x80
	buffer_load_dwordx4 v[6:9], v23, s[0:3], 0 offen
	buffer_load_dwordx4 v[2:5], v23, s[0:3], s20 offen
	;; [unrolled: 1-line block ×4, first 2 shown]
	v_lshrrev_b32_e32 v23, 3, v20
	v_lshlrev_b32_e32 v27, 3, v19
	v_or_b32_e32 v23, v27, v23
	v_lshlrev_b32_e32 v23, 4, v23
	v_and_b32_e32 v27, 0x78, v27
	v_xor_b32_e32 v27, v23, v27
	v_lshlrev_b32_e32 v23, 7, v22
.LBB78_32:
	s_movk_i32 s0, 0x1000
	v_and_or_b32 v22, v23, s0, v27
	s_waitcnt vmcnt(1)
	ds_write_b64 v27, v[6:7] offset:49152
	v_xor_b32_e32 v6, 8, v27
	ds_write_b64 v6, v[8:9] offset:49152
	s_waitcnt vmcnt(0)
	ds_write_b64 v27, v[2:3] offset:57344
	ds_write_b64 v6, v[4:5] offset:57344
	;; [unrolled: 1-line block ×3, first 2 shown]
	v_xor_b32_e32 v2, 8, v22
	ds_write_b64 v2, v[16:17] offset:49152
	ds_write_b64 v22, v[10:11] offset:57344
	;; [unrolled: 1-line block ×3, first 2 shown]
	v_or_b32_e32 v2, v84, v87
	v_lshlrev_b32_e32 v2, 3, v2
	v_lshrrev_b32_e32 v3, 5, v85
	s_movk_i32 s0, 0xf8
	v_and_or_b32 v3, v2, s0, v3
	v_lshlrev_b32_e32 v7, 4, v3
	v_lshlrev_b32_e32 v27, 11, v45
	v_and_b32_e32 v8, 0x78, v2
	v_or_b32_e32 v10, 32, v7
	v_and_b32_e32 v6, 0x1000, v27
	v_lshrrev_b32_e32 v3, 1, v85
	v_xor_b32_e32 v10, v10, v8
	v_xor_b32_e32 v2, v7, v8
	v_and_b32_e32 v9, 8, v3
	v_or_b32_e32 v10, v10, v6
	v_or_b32_e32 v2, v2, v6
	v_xor_b32_e32 v33, v10, v9
	v_or_b32_e32 v10, 64, v7
	v_xor_b32_e32 v32, v2, v9
	v_xor_b32_e32 v10, v10, v8
	s_waitcnt lgkmcnt(0)
	s_barrier
	v_or_b32_e32 v13, v10, v6
	ds_read_b64 v[10:11], v32 offset:49152
	v_lshl_or_b32 v14, v86, 8, v26
	v_lshlrev_b32_e32 v28, 1, v14
	v_add_u32_e32 v12, 0x4000, v28
	ds_read2_b64 v[2:5], v12 offset1:16
	v_or_b32_e32 v7, 0x60, v7
	v_xor_b32_e32 v7, v7, v8
	v_or_b32_e32 v6, v7, v6
	v_xor_b32_e32 v34, v13, v9
	v_xor_b32_e32 v35, v6, v9
	ds_read_b64 v[22:23], v33 offset:49152
	ds_read_b64 v[36:37], v34 offset:49152
	;; [unrolled: 1-line block ×3, first 2 shown]
	s_waitcnt lgkmcnt(3)
	v_mfma_f32_16x16x16_bf16 a[0:3], v[10:11], v[2:3], 0
	ds_read2_b64 v[6:9], v12 offset0:32 offset1:48
	s_lshl_b64 s[0:1], s[42:43], 8
	s_add_u32 s4, s4, s0
	v_mfma_f32_16x16x16_bf16 a[4:7], v[10:11], v[4:5], 0
	ds_read2st64_b64 v[2:5], v28 offset0:36 offset1:40
	s_addc_u32 s5, s5, s1
	s_add_i32 s20, s12, -1
	s_waitcnt lgkmcnt(1)
	v_mfma_f32_16x16x16_bf16 a[8:11], v[10:11], v[6:7], 0
	v_or_b32_e32 v6, 64, v14
	v_lshlrev_b32_e32 v29, 1, v6
	s_add_i32 s0, s47, s17
	s_waitcnt lgkmcnt(0)
	v_mfma_f32_16x16x16_bf16 a[0:3], v[22:23], v[2:3], a[0:3]
	v_or_b32_e32 v2, 0x80, v14
	v_lshlrev_b32_e32 v30, 1, v2
	v_or_b32_e32 v2, 0xc0, v14
	v_mfma_f32_16x16x16_bf16 a[12:15], v[10:11], v[8:9], 0
	ds_read2st64_b64 v[6:9], v29 offset0:36 offset1:40
	v_lshlrev_b32_e32 v31, 1, v2
	ds_read2st64_b64 v[10:13], v30 offset0:36 offset1:40
	ds_read2st64_b64 v[14:17], v31 offset0:36 offset1:40
	s_mul_i32 s37, s37, s16
	s_add_i32 s37, s0, s37
	s_mul_i32 s0, s33, s19
	s_mul_hi_u32 s1, s33, s18
	s_ashr_i32 s2, s20, 31
	s_mul_i32 s3, s20, s35
	s_mul_hi_u32 s12, s20, s34
	s_waitcnt lgkmcnt(2)
	v_mfma_f32_16x16x16_bf16 a[4:7], v[22:23], v[6:7], a[4:7]
	s_add_i32 s0, s1, s0
	s_mul_i32 s1, s14, s18
	s_add_i32 s3, s12, s3
	s_mul_i32 s2, s2, s34
	s_waitcnt lgkmcnt(1)
	v_mfma_f32_16x16x16_bf16 a[8:11], v[22:23], v[10:11], a[8:11]
	s_add_i32 s1, s0, s1
	s_add_i32 s3, s3, s2
	s_lshl_b64 s[16:17], s[36:37], 2
	s_waitcnt lgkmcnt(0)
	v_mfma_f32_16x16x16_bf16 a[12:15], v[22:23], v[14:15], a[12:15]
	s_mul_i32 s0, s33, s18
	s_add_u32 s10, s10, s16
	s_addc_u32 s11, s11, s17
	s_lshl_b64 s[0:1], s[0:1], 2
	v_mfma_f32_16x16x16_bf16 a[0:3], v[36:37], v[4:5], a[0:3]
	s_mul_i32 s2, s20, s34
	ds_read_b64 v[2:3], v28 offset:22528
	s_add_u32 s10, s10, s0
	v_mfma_f32_16x16x16_bf16 a[4:7], v[36:37], v[8:9], a[4:7]
	ds_read_b64 v[4:5], v29 offset:22528
	ds_read_b64 v[6:7], v30 offset:22528
	;; [unrolled: 1-line block ×3, first 2 shown]
	s_addc_u32 s11, s11, s1
	s_lshl_b64 s[0:1], s[2:3], 2
	v_mfma_f32_16x16x16_bf16 a[8:11], v[36:37], v[12:13], a[8:11]
	s_add_u32 s0, s10, s0
	s_addc_u32 s1, s11, s1
	s_load_dword s12, s[0:1], 0x0
	v_mfma_f32_16x16x16_bf16 a[12:15], v[36:37], v[16:17], a[12:15]
	s_and_b64 vcc, exec, s[40:41]
	s_waitcnt lgkmcnt(0)
	v_mfma_f32_16x16x16_bf16 a[0:3], v[38:39], v[2:3], a[0:3]
	v_mfma_f32_16x16x16_bf16 a[4:7], v[38:39], v[4:5], a[4:7]
	;; [unrolled: 1-line block ×4, first 2 shown]
	s_cbranch_vccz .LBB78_43
; %bb.33:
	v_lshlrev_b32_e32 v22, 1, v19
	s_and_b64 vcc, exec, s[6:7]
	s_cbranch_vccz .LBB78_44
; %bb.34:
	v_cmp_gt_i32_e32 vcc, s45, v22
	v_mov_b32_e32 v6, 0
	v_mov_b32_e32 v2, 0
	;; [unrolled: 1-line block ×5, first 2 shown]
	s_and_saveexec_b64 s[0:1], vcc
	s_cbranch_execz .LBB78_36
; %bb.35:
	v_mad_i64_i32 v[2:3], s[2:3], s15, v22, 0
	v_lshl_add_u64 v[2:3], v[2:3], 1, s[4:5]
	v_lshlrev_b32_e32 v4, 1, v20
	v_mov_b32_e32 v5, 0
	v_lshl_add_u64 v[2:3], v[2:3], 0, v[4:5]
	global_load_dwordx4 v[2:5], v[2:3], off
.LBB78_36:
	s_or_b64 exec, exec, s[0:1]
	v_or_b32_e32 v23, 1, v22
	v_cmp_gt_i32_e64 s[0:1], s45, v23
	v_mov_b32_e32 v7, 0
	v_mov_b32_e32 v8, 0
	;; [unrolled: 1-line block ×3, first 2 shown]
	s_and_saveexec_b64 s[2:3], s[0:1]
	s_cbranch_execz .LBB78_38
; %bb.37:
	v_mad_i64_i32 v[6:7], s[16:17], s15, v23, 0
	v_lshl_add_u64 v[6:7], v[6:7], 1, s[4:5]
	v_lshlrev_b32_e32 v8, 1, v20
	v_mov_b32_e32 v9, 0
	v_lshl_add_u64 v[6:7], v[6:7], 0, v[8:9]
	global_load_dwordx4 v[6:9], v[6:7], off
.LBB78_38:
	s_or_b64 exec, exec, s[2:3]
	v_mov_b32_e32 v17, 0
	v_mov_b32_e32 v10, 0
	;; [unrolled: 1-line block ×5, first 2 shown]
	s_and_saveexec_b64 s[2:3], vcc
	s_cbranch_execz .LBB78_40
; %bb.39:
	v_mad_i64_i32 v[10:11], s[16:17], s15, v22, 0
	v_lshl_add_u64 v[10:11], v[10:11], 1, s[4:5]
	v_lshlrev_b32_e32 v12, 1, v20
	v_mov_b32_e32 v13, 0
	v_lshl_add_u64 v[10:11], v[10:11], 0, v[12:13]
	global_load_dwordx4 v[10:13], v[10:11], off offset:128
.LBB78_40:
	s_or_b64 exec, exec, s[2:3]
	v_mov_b32_e32 v16, 0
	v_mov_b32_e32 v15, 0
	;; [unrolled: 1-line block ×3, first 2 shown]
	s_and_saveexec_b64 s[2:3], s[0:1]
	s_cbranch_execz .LBB78_42
; %bb.41:
	v_mad_i64_i32 v[14:15], s[0:1], s15, v23, 0
	v_lshl_add_u64 v[14:15], v[14:15], 1, s[4:5]
	v_lshlrev_b32_e32 v16, 1, v20
	v_mov_b32_e32 v17, 0
	v_lshl_add_u64 v[14:15], v[14:15], 0, v[16:17]
	global_load_dwordx4 v[14:17], v[14:15], off offset:128
.LBB78_42:
	s_or_b64 exec, exec, s[2:3]
	s_branch .LBB78_46
.LBB78_43:
                                        ; implicit-def: $vgpr5
                                        ; implicit-def: $vgpr9
                                        ; implicit-def: $vgpr13
                                        ; implicit-def: $vgpr17
	v_lshrrev_b32_e32 v36, 2, v85
	s_branch .LBB78_47
.LBB78_44:
                                        ; implicit-def: $vgpr5
                                        ; implicit-def: $vgpr9
                                        ; implicit-def: $vgpr13
                                        ; implicit-def: $vgpr17
	s_cbranch_execz .LBB78_46
; %bb.45:
	s_waitcnt vmcnt(0)
	v_mad_u64_u32 v[2:3], s[0:1], v22, s15, v[20:21]
	v_lshlrev_b32_e32 v22, 1, v2
	s_lshl_b32 s2, s15, 7
	s_and_b32 s1, s5, 0xffff
	s_mov_b32 s3, 0x20000
	s_mov_b32 s0, s4
	v_add_lshl_u32 v23, v2, s15, 1
	s_movk_i32 s15, 0x80
	buffer_load_dwordx4 v[2:5], v22, s[0:3], 0 offen
	buffer_load_dwordx4 v[10:13], v22, s[0:3], s15 offen
	;; [unrolled: 1-line block ×4, first 2 shown]
.LBB78_46:
	v_lshrrev_b32_e32 v36, 2, v85
	s_cbranch_execnz .LBB78_59
.LBB78_47:
	s_and_b64 vcc, exec, s[6:7]
	s_cbranch_vccz .LBB78_57
; %bb.48:
	s_waitcnt vmcnt(0)
	v_lshlrev_b32_e32 v7, 1, v19
	v_cmp_gt_i32_e32 vcc, s45, v7
	v_mov_b32_e32 v6, 0
	v_lshlrev_b32_e32 v14, 9, v19
	v_mov_b32_e32 v2, 0
	v_mov_b32_e32 v3, 0
	;; [unrolled: 1-line block ×4, first 2 shown]
	s_and_saveexec_b64 s[0:1], vcc
	s_cbranch_execz .LBB78_50
; %bb.49:
	v_mov_b32_e32 v15, 0
	v_lshl_add_u64 v[2:3], s[4:5], 0, v[14:15]
	v_lshlrev_b32_e32 v4, 1, v20
	v_mov_b32_e32 v5, v15
	v_lshl_add_u64 v[2:3], v[2:3], 0, v[4:5]
	global_load_dwordx4 v[2:5], v[2:3], off
.LBB78_50:
	s_or_b64 exec, exec, s[0:1]
	v_or_b32_e32 v7, 1, v7
	v_cmp_gt_i32_e64 s[0:1], s45, v7
	v_lshlrev_b32_e32 v22, 8, v7
	v_mov_b32_e32 v7, 0
	v_mov_b32_e32 v8, 0
	;; [unrolled: 1-line block ×3, first 2 shown]
	s_and_saveexec_b64 s[2:3], s[0:1]
	s_cbranch_execz .LBB78_52
; %bb.51:
	v_mov_b32_e32 v23, 0
	v_lshl_add_u64 v[6:7], s[4:5], 0, v[22:23]
	v_lshlrev_b32_e32 v8, 1, v20
	v_mov_b32_e32 v9, v23
	v_lshl_add_u64 v[6:7], v[6:7], 0, v[8:9]
	global_load_dwordx4 v[6:9], v[6:7], off
.LBB78_52:
	s_or_b64 exec, exec, s[2:3]
	v_mov_b32_e32 v17, 0
	v_mov_b32_e32 v10, 0
	;; [unrolled: 1-line block ×5, first 2 shown]
	s_and_saveexec_b64 s[2:3], vcc
	s_cbranch_execz .LBB78_54
; %bb.53:
	v_mov_b32_e32 v15, 0
	v_lshl_add_u64 v[10:11], s[4:5], 0, v[14:15]
	v_lshlrev_b32_e32 v14, 1, v20
	v_lshl_add_u64 v[10:11], v[10:11], 0, v[14:15]
	global_load_dwordx4 v[10:13], v[10:11], off offset:128
.LBB78_54:
	s_or_b64 exec, exec, s[2:3]
	v_mov_b32_e32 v16, 0
	v_mov_b32_e32 v15, 0
	;; [unrolled: 1-line block ×3, first 2 shown]
	s_and_saveexec_b64 s[2:3], s[0:1]
	s_cbranch_execz .LBB78_56
; %bb.55:
	v_mov_b32_e32 v23, 0
	v_lshl_add_u64 v[14:15], s[4:5], 0, v[22:23]
	v_lshlrev_b32_e32 v22, 1, v20
	v_lshl_add_u64 v[14:15], v[14:15], 0, v[22:23]
	global_load_dwordx4 v[14:17], v[14:15], off offset:128
.LBB78_56:
	s_or_b64 exec, exec, s[2:3]
	s_branch .LBB78_59
.LBB78_57:
                                        ; implicit-def: $vgpr5
                                        ; implicit-def: $vgpr9
                                        ; implicit-def: $vgpr13
                                        ; implicit-def: $vgpr17
	s_cbranch_execz .LBB78_59
; %bb.58:
	s_waitcnt vmcnt(0)
	v_lshlrev_b32_e32 v2, 1, v20
	v_lshl_or_b32 v20, v19, 9, v2
	s_and_b32 s5, s5, 0xffff
	s_mov_b32 s7, 0x20000
	s_movk_i32 s6, 0x4000
	s_movk_i32 s0, 0x80
	buffer_load_dwordx4 v[2:5], v20, s[4:7], 0 offen
	buffer_load_dwordx4 v[6:9], v20, s[4:7], 0 offen offset:256
	buffer_load_dwordx4 v[10:13], v20, s[4:7], s0 offen
	buffer_load_dwordx4 v[14:17], v20, s[4:7], s0 offen offset:256
.LBB78_59:
	ds_read_b64 v[22:23], v32 offset:57344
	v_add_u32_e32 v20, 0x6000, v28
	ds_read2_b64 v[38:41], v20 offset1:16
	ds_read_b64 v[82:83], v33 offset:57344
	ds_read_b64 v[86:87], v34 offset:57344
	;; [unrolled: 1-line block ×3, first 2 shown]
	ds_read2_b64 v[32:35], v20 offset0:32 offset1:48
	v_and_b32_e32 v20, 12, v36
	v_and_b32_e32 v44, 6, v0
	v_xor_b32_e32 v19, v19, v44
	v_lshlrev_b32_e32 v19, 2, v19
	s_mov_b32 s0, 0x1000504
	s_waitcnt lgkmcnt(4)
	v_mfma_f32_16x16x16_bf16 a[4:7], v[22:23], v[40:41], a[4:7]
	s_mov_b32 s1, 0x3020706
	v_mfma_f32_16x16x16_bf16 a[0:3], v[22:23], v[38:39], a[0:3]
	ds_read2st64_b64 v[36:39], v28 offset0:52 offset1:56
	s_waitcnt lgkmcnt(1)
	v_mfma_f32_16x16x16_bf16 a[8:11], v[22:23], v[32:33], a[8:11]
	v_mfma_f32_16x16x16_bf16 a[12:15], v[22:23], v[34:35], a[12:15]
	ds_read2st64_b64 v[32:35], v29 offset0:52 offset1:56
	ds_read2st64_b64 v[40:43], v30 offset0:52 offset1:56
	;; [unrolled: 1-line block ×3, first 2 shown]
	s_waitcnt lgkmcnt(2)
	v_mfma_f32_16x16x16_bf16 a[4:7], v[82:83], v[32:33], a[4:7]
	v_and_b32_e32 v32, 1, v0
	v_xor_b32_e32 v33, 0x440, v19
	v_cmp_eq_u32_e32 vcc, 0, v32
	v_mfma_f32_16x16x16_bf16 a[0:3], v[82:83], v[36:37], a[0:3]
	s_waitcnt vmcnt(0)
	v_perm_b32 v32, v2, v6, s0
	v_cndmask_b32_e32 v19, v33, v19, vcc
	v_lshl_or_b32 v19, v44, 10, v19
	s_waitcnt lgkmcnt(1)
	v_mfma_f32_16x16x16_bf16 a[8:11], v[82:83], v[40:41], a[8:11]
	v_perm_b32 v33, v10, v14, s0
	ds_read_b64 v[22:23], v28 offset:30720
	ds_read_b64 v[36:37], v29 offset:30720
	;; [unrolled: 1-line block ×4, first 2 shown]
	ds_write2st64_b32 v19, v32, v33 offset0:128 offset1:160
	s_waitcnt lgkmcnt(5)
	v_mfma_f32_16x16x16_bf16 a[12:15], v[82:83], v[78:79], a[12:15]
	v_xor_b32_e32 v32, 8, v19
	v_perm_b32 v2, v2, v6, s1
	v_perm_b32 v6, v10, v14, s1
	v_add_u32_e32 v10, 0x80, v32
	ds_write2st64_b32 v10, v2, v6 offset0:128 offset1:160
	v_xor_b32_e32 v2, 16, v19
	v_perm_b32 v6, v3, v7, s0
	v_perm_b32 v10, v11, v15, s0
	v_mfma_f32_16x16x16_bf16 a[0:3], v[86:87], v[38:39], a[0:3]
	ds_write2st64_b32 v2, v6, v10 offset0:129 offset1:161
	v_xor_b32_e32 v2, 24, v19
	v_perm_b32 v3, v3, v7, s1
	v_mfma_f32_16x16x16_bf16 a[4:7], v[86:87], v[34:35], a[4:7]
	v_perm_b32 v6, v11, v15, s1
	v_add_u32_e32 v2, 0x80, v2
	ds_write2st64_b32 v2, v3, v6 offset0:129 offset1:161
	v_mfma_f32_16x16x16_bf16 a[16:19], v[86:87], v[42:43], a[8:11]
	v_xor_b32_e32 v2, 32, v19
	v_perm_b32 v3, v4, v8, s0
	v_perm_b32 v6, v12, v16, s0
	v_mfma_f32_16x16x16_bf16 a[20:23], v[86:87], v[80:81], a[12:15]
	ds_write2st64_b32 v2, v3, v6 offset0:130 offset1:162
	v_xor_b32_e32 v2, 40, v19
	v_perm_b32 v3, v4, v8, s1
	s_waitcnt lgkmcnt(8)
	v_mfma_f32_16x16x16_bf16 a[12:15], v[88:89], v[22:23], a[0:3]
	v_perm_b32 v4, v12, v16, s1
	v_add_u32_e32 v2, 0x80, v2
	ds_write2st64_b32 v2, v3, v4 offset0:130 offset1:162
	s_waitcnt lgkmcnt(8)
	v_mfma_f32_16x16x16_bf16 a[8:11], v[88:89], v[36:37], a[4:7]
	v_xor_b32_e32 v2, 48, v19
	v_perm_b32 v3, v5, v9, s0
	v_perm_b32 v4, v13, v17, s0
	s_waitcnt lgkmcnt(7)
	v_mfma_f32_16x16x16_bf16 a[4:7], v[88:89], v[90:91], a[16:19]
	ds_write2st64_b32 v2, v3, v4 offset0:131 offset1:163
	v_xor_b32_e32 v2, 56, v19
	v_or_b32_e32 v16, v20, v84
	s_waitcnt lgkmcnt(7)
	v_mfma_f32_16x16x16_bf16 a[0:3], v[88:89], v[92:93], a[20:23]
	v_perm_b32 v3, v5, v9, s1
	v_perm_b32 v4, v13, v17, s1
	v_add_u32_e32 v2, 0x80, v2
	v_cmp_gt_i32_e32 vcc, s45, v16
	v_mov_b32_e32 v17, 0
	v_mov_b32_e32 v23, 0
	ds_write2st64_b32 v2, v3, v4 offset0:131 offset1:163
	s_and_saveexec_b64 s[0:1], vcc
	s_cbranch_execz .LBB78_61
; %bb.60:
	v_add_u32_e32 v2, s44, v16
	v_ashrrev_i32_e32 v3, 31, v2
	v_mul_lo_u32 v4, v3, s34
	v_mul_lo_u32 v5, v2, s35
	v_mad_u64_u32 v[2:3], s[2:3], v2, s34, 0
	v_add3_u32 v3, v3, v5, v4
	v_lshl_add_u64 v[2:3], v[2:3], 2, s[10:11]
	global_load_dword v2, v[2:3], off
	s_waitcnt vmcnt(0)
	v_sub_f32_e32 v2, s12, v2
	v_mul_f32_e32 v2, 0x3fb8aa3b, v2
	v_exp_f32_e32 v23, v2
.LBB78_61:
	s_or_b64 exec, exec, s[0:1]
	v_or_b32_e32 v8, 1, v16
	v_cmp_gt_i32_e64 s[0:1], s45, v8
	s_and_saveexec_b64 s[2:3], s[0:1]
	s_cbranch_execz .LBB78_63
; %bb.62:
	v_add_u32_e32 v2, s44, v8
	v_ashrrev_i32_e32 v3, 31, v2
	v_mul_lo_u32 v4, v3, s34
	v_mul_lo_u32 v5, v2, s35
	v_mad_u64_u32 v[2:3], s[4:5], v2, s34, 0
	v_add3_u32 v3, v3, v5, v4
	v_lshl_add_u64 v[2:3], v[2:3], 2, s[10:11]
	global_load_dword v2, v[2:3], off
	s_waitcnt vmcnt(0)
	v_sub_f32_e32 v2, s12, v2
	v_mul_f32_e32 v2, 0x3fb8aa3b, v2
	v_exp_f32_e32 v17, v2
.LBB78_63:
	s_or_b64 exec, exec, s[2:3]
	v_or_b32_e32 v9, 2, v16
	v_cmp_gt_i32_e64 s[2:3], s45, v9
	v_mov_b32_e32 v22, 0
	v_mov_b32_e32 v32, 0
	s_and_saveexec_b64 s[4:5], s[2:3]
	s_cbranch_execz .LBB78_65
; %bb.64:
	v_add_u32_e32 v2, s44, v9
	v_ashrrev_i32_e32 v3, 31, v2
	v_mul_lo_u32 v4, v3, s34
	v_mul_lo_u32 v5, v2, s35
	v_mad_u64_u32 v[2:3], s[6:7], v2, s34, 0
	v_add3_u32 v3, v3, v5, v4
	v_lshl_add_u64 v[2:3], v[2:3], 2, s[10:11]
	global_load_dword v2, v[2:3], off
	s_waitcnt vmcnt(0)
	v_sub_f32_e32 v2, s12, v2
	v_mul_f32_e32 v2, 0x3fb8aa3b, v2
	v_exp_f32_e32 v32, v2
.LBB78_65:
	s_or_b64 exec, exec, s[4:5]
	v_or_b32_e32 v33, 3, v16
	v_cmp_gt_i32_e64 s[4:5], s45, v33
	s_and_saveexec_b64 s[6:7], s[4:5]
	s_cbranch_execz .LBB78_67
; %bb.66:
	v_add_u32_e32 v2, s44, v33
	v_ashrrev_i32_e32 v3, 31, v2
	v_mul_lo_u32 v4, v3, s34
	v_mul_lo_u32 v5, v2, s35
	v_mad_u64_u32 v[2:3], s[16:17], v2, s34, 0
	v_add3_u32 v3, v3, v5, v4
	v_lshl_add_u64 v[2:3], v[2:3], 2, s[10:11]
	global_load_dword v2, v[2:3], off
	s_waitcnt vmcnt(0)
	v_sub_f32_e32 v2, s12, v2
	v_mul_f32_e32 v2, 0x3fb8aa3b, v2
	v_exp_f32_e32 v22, v2
.LBB78_67:
	s_or_b64 exec, exec, s[6:7]
	s_add_u32 s6, s8, s26
	v_accvgpr_read_b32 v2, a12
	s_addc_u32 s7, s9, s27
	v_ashrrev_i32_e32 v19, 31, v18
	v_accvgpr_read_b32 v3, a13
	v_accvgpr_read_b32 v4, a14
	;; [unrolled: 1-line block ×3, first 2 shown]
	v_lshl_add_u64 v[6:7], v[18:19], 1, s[6:7]
	v_mov_b32_e32 v13, 0
	v_lshlrev_b32_e32 v10, 8, v16
	v_mov_b32_e32 v11, 0
	s_and_saveexec_b64 s[6:7], vcc
	s_cbranch_execz .LBB78_69
; %bb.68:
	v_mov_b32_e32 v11, 0
	v_lshl_add_u64 v[14:15], v[6:7], 0, v[10:11]
	global_load_ushort v11, v[14:15], off
	s_waitcnt vmcnt(0)
	v_lshlrev_b32_e32 v11, 16, v11
	v_sub_f32_e32 v2, v11, v2
	v_mul_f32_e32 v2, v23, v2
	v_lshrrev_b32_e32 v11, 16, v2
.LBB78_69:
	s_or_b64 exec, exec, s[6:7]
	v_lshlrev_b32_e32 v12, 8, v8
	s_and_saveexec_b64 s[6:7], s[0:1]
	s_cbranch_execz .LBB78_71
; %bb.70:
	v_mov_b32_e32 v13, 0
	v_lshl_add_u64 v[14:15], v[6:7], 0, v[12:13]
	global_load_ushort v2, v[14:15], off
	s_waitcnt vmcnt(0)
	v_lshlrev_b32_e32 v2, 16, v2
	v_sub_f32_e32 v2, v2, v3
	v_mul_f32_e32 v2, v17, v2
	v_lshrrev_b32_e32 v13, 16, v2
.LBB78_71:
	s_or_b64 exec, exec, s[6:7]
	v_mov_b32_e32 v34, 0
	v_lshlrev_b32_e32 v14, 8, v9
	v_mov_b32_e32 v15, 0
	s_and_saveexec_b64 s[6:7], s[2:3]
	s_cbranch_execz .LBB78_73
; %bb.72:
	v_mov_b32_e32 v15, 0
	v_lshl_add_u64 v[2:3], v[6:7], 0, v[14:15]
	global_load_ushort v2, v[2:3], off
	s_waitcnt vmcnt(0)
	v_lshlrev_b32_e32 v2, 16, v2
	v_sub_f32_e32 v2, v2, v4
	v_mul_f32_e32 v2, v32, v2
	v_lshrrev_b32_e32 v15, 16, v2
.LBB78_73:
	s_or_b64 exec, exec, s[6:7]
	v_lshlrev_b32_e32 v8, 8, v33
	s_and_saveexec_b64 s[6:7], s[4:5]
	s_cbranch_execz .LBB78_75
; %bb.74:
	v_mov_b32_e32 v9, 0
	v_lshl_add_u64 v[2:3], v[6:7], 0, v[8:9]
	global_load_ushort v2, v[2:3], off
	s_waitcnt vmcnt(0)
	v_lshlrev_b32_e32 v2, 16, v2
	v_sub_f32_e32 v2, v2, v5
	v_mul_f32_e32 v2, v22, v2
	v_lshrrev_b32_e32 v34, 16, v2
.LBB78_75:
	s_or_b64 exec, exec, s[6:7]
	v_lshlrev_b32_e32 v19, 6, v16
	v_accvgpr_read_b32 v2, a8
	s_mov_b32 s6, 0x5040100
	v_or_b32_e32 v9, v19, v26
	v_accvgpr_read_b32 v3, a9
	v_accvgpr_read_b32 v4, a10
	;; [unrolled: 1-line block ×3, first 2 shown]
	v_perm_b32 v35, v34, v15, s6
	v_perm_b32 v34, v13, v11, s6
	v_lshlrev_b32_e32 v9, 1, v9
	v_mov_b32_e32 v13, 0
	v_mov_b32_e32 v11, 0
	ds_write_b64 v9, v[34:35] offset:24576
	s_and_saveexec_b64 s[6:7], vcc
	s_cbranch_execz .LBB78_77
; %bb.76:
	v_mov_b32_e32 v11, 0
	v_lshl_add_u64 v[34:35], v[6:7], 0, v[10:11]
	global_load_ushort v9, v[34:35], off offset:32
	s_waitcnt vmcnt(0)
	v_lshlrev_b32_e32 v9, 16, v9
	v_sub_f32_e32 v2, v9, v2
	v_mul_f32_e32 v2, v23, v2
	v_lshrrev_b32_e32 v11, 16, v2
.LBB78_77:
	s_or_b64 exec, exec, s[6:7]
	s_and_saveexec_b64 s[6:7], s[0:1]
	s_cbranch_execz .LBB78_79
; %bb.78:
	v_mov_b32_e32 v13, 0
	v_lshl_add_u64 v[34:35], v[6:7], 0, v[12:13]
	global_load_ushort v2, v[34:35], off offset:32
	s_waitcnt vmcnt(0)
	v_lshlrev_b32_e32 v2, 16, v2
	v_sub_f32_e32 v2, v2, v3
	v_mul_f32_e32 v2, v17, v2
	v_lshrrev_b32_e32 v13, 16, v2
.LBB78_79:
	s_or_b64 exec, exec, s[6:7]
	v_mov_b32_e32 v9, 0
	v_mov_b32_e32 v15, 0
	s_and_saveexec_b64 s[6:7], s[2:3]
	s_cbranch_execz .LBB78_81
; %bb.80:
	v_mov_b32_e32 v15, 0
	v_lshl_add_u64 v[2:3], v[6:7], 0, v[14:15]
	global_load_ushort v2, v[2:3], off offset:32
	s_waitcnt vmcnt(0)
	v_lshlrev_b32_e32 v2, 16, v2
	v_sub_f32_e32 v2, v2, v4
	v_mul_f32_e32 v2, v32, v2
	v_lshrrev_b32_e32 v15, 16, v2
.LBB78_81:
	s_or_b64 exec, exec, s[6:7]
	s_and_saveexec_b64 s[6:7], s[4:5]
	s_cbranch_execz .LBB78_83
; %bb.82:
	v_mov_b32_e32 v9, 0
	v_lshl_add_u64 v[2:3], v[6:7], 0, v[8:9]
	global_load_ushort v2, v[2:3], off offset:32
	s_waitcnt vmcnt(0)
	v_lshlrev_b32_e32 v2, 16, v2
	v_sub_f32_e32 v2, v2, v5
	v_mul_f32_e32 v2, v22, v2
	v_lshrrev_b32_e32 v9, 16, v2
.LBB78_83:
	s_or_b64 exec, exec, s[6:7]
	s_mov_b32 s6, 0x5040100
	v_accvgpr_read_b32 v2, a4
	v_perm_b32 v35, v9, v15, s6
	v_or_b32_e32 v9, v19, v25
	v_accvgpr_read_b32 v3, a5
	v_accvgpr_read_b32 v4, a6
	;; [unrolled: 1-line block ×3, first 2 shown]
	v_perm_b32 v34, v13, v11, s6
	v_lshlrev_b32_e32 v9, 1, v9
	v_mov_b32_e32 v13, 0
	v_mov_b32_e32 v11, 0
	ds_write_b64 v9, v[34:35] offset:24576
	s_and_saveexec_b64 s[6:7], vcc
	s_cbranch_execz .LBB78_85
; %bb.84:
	v_mov_b32_e32 v11, 0
	v_lshl_add_u64 v[34:35], v[6:7], 0, v[10:11]
	global_load_ushort v9, v[34:35], off offset:64
	s_waitcnt vmcnt(0)
	v_lshlrev_b32_e32 v9, 16, v9
	v_sub_f32_e32 v2, v9, v2
	v_mul_f32_e32 v2, v23, v2
	v_lshrrev_b32_e32 v11, 16, v2
.LBB78_85:
	s_or_b64 exec, exec, s[6:7]
	s_and_saveexec_b64 s[6:7], s[0:1]
	s_cbranch_execz .LBB78_87
; %bb.86:
	v_mov_b32_e32 v13, 0
	v_lshl_add_u64 v[34:35], v[6:7], 0, v[12:13]
	global_load_ushort v2, v[34:35], off offset:64
	s_waitcnt vmcnt(0)
	v_lshlrev_b32_e32 v2, 16, v2
	v_sub_f32_e32 v2, v2, v3
	v_mul_f32_e32 v2, v17, v2
	v_lshrrev_b32_e32 v13, 16, v2
.LBB78_87:
	s_or_b64 exec, exec, s[6:7]
	v_mov_b32_e32 v9, 0
	v_mov_b32_e32 v15, 0
	s_and_saveexec_b64 s[6:7], s[2:3]
	s_cbranch_execz .LBB78_89
; %bb.88:
	v_mov_b32_e32 v15, 0
	v_lshl_add_u64 v[2:3], v[6:7], 0, v[14:15]
	global_load_ushort v2, v[2:3], off offset:64
	s_waitcnt vmcnt(0)
	v_lshlrev_b32_e32 v2, 16, v2
	v_sub_f32_e32 v2, v2, v4
	v_mul_f32_e32 v2, v32, v2
	v_lshrrev_b32_e32 v15, 16, v2
.LBB78_89:
	s_or_b64 exec, exec, s[6:7]
	s_and_saveexec_b64 s[6:7], s[4:5]
	s_cbranch_execz .LBB78_91
; %bb.90:
	v_mov_b32_e32 v9, 0
	v_lshl_add_u64 v[2:3], v[6:7], 0, v[8:9]
	global_load_ushort v2, v[2:3], off offset:64
	s_waitcnt vmcnt(0)
	v_lshlrev_b32_e32 v2, 16, v2
	v_sub_f32_e32 v2, v2, v5
	v_mul_f32_e32 v2, v22, v2
	v_lshrrev_b32_e32 v9, 16, v2
.LBB78_91:
	s_or_b64 exec, exec, s[6:7]
	s_mov_b32 s6, 0x5040100
	v_accvgpr_read_b32 v5, a3
	v_perm_b32 v35, v9, v15, s6
	v_or_b32_e32 v9, v19, v24
	v_accvgpr_read_b32 v4, a2
	v_accvgpr_read_b32 v3, a1
	;; [unrolled: 1-line block ×3, first 2 shown]
	v_perm_b32 v34, v13, v11, s6
	v_lshlrev_b32_e32 v9, 1, v9
	v_mov_b32_e32 v13, 0
	v_mov_b32_e32 v11, 0
	ds_write_b64 v9, v[34:35] offset:24576
	s_and_saveexec_b64 s[6:7], vcc
	s_cbranch_execz .LBB78_93
; %bb.92:
	v_mov_b32_e32 v11, 0
	v_lshl_add_u64 v[10:11], v[6:7], 0, v[10:11]
	global_load_ushort v9, v[10:11], off offset:96
	s_waitcnt vmcnt(0)
	v_lshlrev_b32_e32 v9, 16, v9
	v_sub_f32_e32 v2, v9, v2
	v_mul_f32_e32 v2, v23, v2
	v_lshrrev_b32_e32 v11, 16, v2
.LBB78_93:
	s_or_b64 exec, exec, s[6:7]
	s_and_saveexec_b64 s[6:7], s[0:1]
	s_cbranch_execz .LBB78_95
; %bb.94:
	v_mov_b32_e32 v13, 0
	v_lshl_add_u64 v[12:13], v[6:7], 0, v[12:13]
	global_load_ushort v2, v[12:13], off offset:96
	s_waitcnt vmcnt(0)
	v_lshlrev_b32_e32 v2, 16, v2
	v_sub_f32_e32 v2, v2, v3
	v_mul_f32_e32 v2, v17, v2
	v_lshrrev_b32_e32 v13, 16, v2
.LBB78_95:
	s_or_b64 exec, exec, s[6:7]
	v_mov_b32_e32 v9, 0
	v_mov_b32_e32 v12, 0
	s_and_saveexec_b64 s[0:1], s[2:3]
	s_cbranch_execz .LBB78_97
; %bb.96:
	v_mov_b32_e32 v15, 0
	v_lshl_add_u64 v[2:3], v[6:7], 0, v[14:15]
	global_load_ushort v2, v[2:3], off offset:96
	s_waitcnt vmcnt(0)
	v_lshlrev_b32_e32 v2, 16, v2
	v_sub_f32_e32 v2, v2, v4
	v_mul_f32_e32 v2, v32, v2
	v_lshrrev_b32_e32 v12, 16, v2
.LBB78_97:
	s_or_b64 exec, exec, s[0:1]
	v_or_b32_e32 v10, 0x6000, v28
	v_or_b32_e32 v2, 0x6000, v29
	;; [unrolled: 1-line block ×4, first 2 shown]
	s_and_saveexec_b64 s[0:1], s[4:5]
	s_cbranch_execz .LBB78_99
; %bb.98:
	v_mov_b32_e32 v9, 0
	v_lshl_add_u64 v[6:7], v[6:7], 0, v[8:9]
	global_load_ushort v6, v[6:7], off offset:96
	s_waitcnt vmcnt(0)
	v_lshlrev_b32_e32 v6, 16, v6
	v_sub_f32_e32 v5, v6, v5
	v_mul_f32_e32 v5, v22, v5
	v_lshrrev_b32_e32 v9, 16, v5
.LBB78_99:
	s_or_b64 exec, exec, s[0:1]
	s_mov_b32 s0, 0x5040100
	v_or_b32_e32 v5, v19, v21
	v_perm_b32 v7, v9, v12, s0
	v_perm_b32 v6, v13, v11, s0
	v_lshlrev_b32_e32 v5, 1, v5
	ds_write_b64 v5, v[6:7] offset:24576
	v_and_b32_e32 v5, 7, v0
	v_and_b32_e32 v11, 8, v0
	v_lshlrev_b32_e32 v17, 3, v5
	v_lshlrev_b32_e32 v19, 7, v5
	v_lshrrev_b32_e32 v5, 1, v0
	v_and_b32_e32 v5, 24, v5
	v_mov_b32_e32 v12, 0x400
	v_cmp_eq_u32_e32 vcc, 0, v11
	s_movk_i32 s2, 0x100
	v_lshlrev_b32_e32 v21, 3, v45
	v_cndmask_b32_e64 v11, v12, 64, vcc
	v_mov_b32_e32 v12, 0xa000
	v_mov_b32_e32 v13, 0x8000
	v_cmp_gt_u32_e64 s[0:1], s2, v0
	v_xor_b32_e32 v26, v21, v5
	s_waitcnt lgkmcnt(0)
	v_cndmask_b32_e64 v0, v12, v13, s[0:1]
	v_or_b32_e32 v12, 0x440, v26
	v_cndmask_b32_e32 v12, v12, v26, vcc
	v_or_b32_e32 v12, v12, v27
	v_xor_b32_e32 v44, v12, v17
	v_add3_u32 v12, v0, v44, v19
	s_barrier
	ds_read_b64 v[22:23], v12
	v_or_b32_e32 v12, 32, v5
	v_xor_b32_e32 v12, v21, v12
	v_or_b32_e32 v13, 0x440, v12
	v_cndmask_b32_e32 v12, v13, v12, vcc
	v_or_b32_e32 v12, v12, v27
	v_xor_b32_e32 v82, v12, v17
	v_add3_u32 v12, v0, v82, v19
	ds_read2_b64 v[6:9], v10 offset1:16
	ds_read_b64 v[40:41], v12
	ds_read2_b64 v[12:15], v10 offset0:32 offset1:48
	v_or3_b32 v11, v27, v11, v26
	v_xor_b32_e32 v11, v11, v17
	v_or_b32_e32 v5, 0x60, v5
	v_or_b32_e32 v83, v11, v19
	s_add_i32 s0, s20, s46
	v_or_b32_e32 v11, v0, v83
	v_xor_b32_e32 v5, v21, v5
	s_waitcnt lgkmcnt(2)
	v_mfma_f32_16x16x16_bf16 a[0:3], v[22:23], v[6:7], 0
	s_mul_hi_i32 s1, s0, s13
	s_mul_i32 s0, s0, s13
	s_add_u32 s0, s0, s33
	v_mfma_f32_16x16x16_bf16 a[4:7], v[22:23], v[8:9], 0
	s_addc_u32 s1, s1, s14
	s_lshl_b64 s[0:1], s[0:1], 9
	s_add_u32 s0, s30, s0
	s_waitcnt lgkmcnt(0)
	v_mfma_f32_16x16x16_bf16 a[8:11], v[22:23], v[12:13], 0
	s_addc_u32 s1, s31, s1
	v_mfma_f32_16x16x16_bf16 a[12:15], v[22:23], v[14:15], 0
	ds_read2st64_b64 v[22:25], v10 offset0:4 offset1:8
	ds_read2st64_b64 v[28:31], v2 offset0:4 offset1:8
	ds_read_b64 v[78:79], v11
	v_xor_b32_e32 v11, 0x440, v5
	ds_read2st64_b64 v[32:35], v3 offset0:4 offset1:8
	ds_read2st64_b64 v[36:39], v4 offset0:4 offset1:8
	v_cndmask_b32_e32 v5, v11, v5, vcc
	v_or_b32_e32 v5, v5, v27
	v_xor_b32_e32 v84, v5, v17
	v_add3_u32 v0, v0, v84, v19
	ds_read_b64 v[26:27], v0
	v_lshlrev_b32_e32 v0, 2, v16
	s_waitcnt lgkmcnt(5)
	v_mfma_f32_16x16x16_bf16 a[0:3], v[40:41], v[22:23], a[0:3]
	ds_read_b64 v[10:11], v10 offset:6144
	s_waitcnt lgkmcnt(5)
	v_mfma_f32_16x16x16_bf16 a[4:7], v[40:41], v[28:29], a[4:7]
	s_waitcnt lgkmcnt(3)
	v_mfma_f32_16x16x16_bf16 a[8:11], v[40:41], v[32:33], a[8:11]
	s_waitcnt lgkmcnt(2)
	v_mfma_f32_16x16x16_bf16 a[12:15], v[40:41], v[36:37], a[12:15]
	global_load_dwordx4 v[40:43], v0, s[0:1]
	v_lshlrev_b32_e32 v0, 6, v45
	s_waitcnt vmcnt(0)
	v_mul_f32_e32 v40, 0x3fb8aa3b, v40
	v_mfma_f32_16x16x16_bf16 a[0:3], v[78:79], v[24:25], a[0:3]
	v_mul_f32_e32 v41, 0x3fb8aa3b, v41
	v_exp_f32_e32 v40, v40
	v_exp_f32_e32 v41, v41
	v_mfma_f32_16x16x16_bf16 a[4:7], v[78:79], v[30:31], a[4:7]
	v_mfma_f32_16x16x16_bf16 a[8:11], v[78:79], v[34:35], a[8:11]
	;; [unrolled: 1-line block ×3, first 2 shown]
	ds_read_b64 v[16:17], v2 offset:6144
	ds_read_b64 v[78:79], v3 offset:6144
	;; [unrolled: 1-line block ×3, first 2 shown]
	v_lshlrev_b32_e32 v2, 2, v20
	v_or3_b32 v0, v0, v2, s2
	global_load_dwordx4 v[2:5], v0, s[0:1]
	v_add_u32_e32 v20, v44, v19
	ds_read_b64 v[20:21], v20 offset:40960
	s_waitcnt lgkmcnt(4)
	v_mfma_f32_16x16x16_bf16 a[0:3], v[26:27], v[10:11], a[0:3]
	v_mov_b32_e32 v0, 0x3fb8aa3b
	v_mul_f32_e32 v0, s12, v0
	v_exp_f32_e32 v0, v0
	s_waitcnt lgkmcnt(3)
	v_mfma_f32_16x16x16_bf16 a[4:7], v[26:27], v[16:17], a[4:7]
	s_waitcnt vmcnt(0)
	v_mul_f32_e32 v2, 0x3fb8aa3b, v2
	s_waitcnt lgkmcnt(2)
	v_mfma_f32_16x16x16_bf16 a[8:11], v[26:27], v[78:79], a[8:11]
	v_exp_f32_e32 v2, v2
	s_waitcnt lgkmcnt(1)
	v_mfma_f32_16x16x16_bf16 a[12:15], v[26:27], v[80:81], a[12:15]
	v_add_u32_e32 v26, v82, v19
	v_add_u32_e32 v19, v84, v19
	ds_read_b64 v[26:27], v26 offset:40960
	ds_read_b64 v[44:45], v19 offset:40960
	s_waitcnt lgkmcnt(2)
	v_mfma_f32_16x16x16_bf16 a[20:23], v[20:21], v[8:9], 0
	v_pk_mul_f32 v[8:9], v[0:1], v[40:41] op_sel_hi:[0,1]
	v_mfma_f32_16x16x16_bf16 a[16:19], v[20:21], v[6:7], 0
	v_mul_f32_e32 v6, 0x3fb8aa3b, v42
	v_mul_f32_e32 v7, 0x3fb8aa3b, v43
	v_exp_f32_e32 v6, v6
	s_waitcnt lgkmcnt(1)
	v_mfma_f32_16x16x16_bf16 a[20:23], v[26:27], v[28:29], a[20:23]
	v_accvgpr_read_b32 v29, a1
	v_exp_f32_e32 v7, v7
	v_accvgpr_read_b32 v28, a0
	v_pk_fma_f32 v[74:75], v[74:75], v[8:9], v[28:29]
	ds_read_b64 v[28:29], v83 offset:40960
	v_mfma_f32_16x16x16_bf16 a[24:27], v[20:21], v[12:13], 0
	v_pk_mul_f32 v[12:13], v[0:1], v[6:7] op_sel_hi:[0,1]
	v_accvgpr_read_b32 v7, a3
	v_accvgpr_read_b32 v6, a2
	v_pk_fma_f32 v[76:77], v[76:77], v[12:13], v[6:7]
	v_accvgpr_read_b32 v7, a5
	v_mfma_f32_16x16x16_bf16 a[16:19], v[26:27], v[22:23], a[16:19]
	v_accvgpr_read_b32 v6, a4
	v_pk_fma_f32 v[66:67], v[8:9], v[66:67], v[6:7]
	v_accvgpr_read_b32 v6, a8
	v_mfma_f32_16x16x16_bf16 a[28:31], v[20:21], v[14:15], 0
	v_accvgpr_read_b32 v7, a9
	v_pk_fma_f32 v[58:59], v[8:9], v[58:59], v[6:7]
	v_accvgpr_read_b32 v6, a12
	v_mfma_f32_16x16x16_bf16 a[0:3], v[26:27], v[32:33], a[24:27]
	v_accvgpr_read_b32 v21, a11
	v_accvgpr_read_b32 v20, a10
	;; [unrolled: 1-line block ×3, first 2 shown]
	s_waitcnt lgkmcnt(0)
	v_mfma_f32_16x16x16_bf16 a[8:11], v[28:29], v[24:25], a[16:19]
	v_accvgpr_read_b32 v15, a7
	v_accvgpr_read_b32 v14, a6
	;; [unrolled: 1-line block ×4, first 2 shown]
	v_mfma_f32_16x16x16_bf16 a[4:7], v[26:27], v[36:37], a[28:31]
	v_pk_fma_f32 v[50:51], v[8:9], v[50:51], v[6:7]
	v_mov_b32_e32 v6, v5
	v_mov_b32_e32 v5, v4
	v_mfma_f32_16x16x16_bf16 a[12:15], v[28:29], v[30:31], a[20:23]
	v_mov_b32_e32 v4, v3
	v_mul_f32_e32 v3, 0x3fb8aa3b, v4
	v_mul_f32_e32 v4, 0x3fb8aa3b, v5
	v_mfma_f32_16x16x16_bf16 a[0:3], v[28:29], v[34:35], a[0:3]
	v_mul_f32_e32 v5, 0x3fb8aa3b, v6
	v_exp_f32_e32 v4, v4
	v_exp_f32_e32 v5, v5
	v_mfma_f32_16x16x16_bf16 a[8:11], v[44:45], v[10:11], a[8:11]
	v_exp_f32_e32 v3, v3
	v_pk_fma_f32 v[68:69], v[12:13], v[68:69], v[14:15]
	v_pk_mul_f32 v[4:5], v[0:1], v[4:5] op_sel_hi:[0,1]
	v_mfma_f32_16x16x16_bf16 a[4:7], v[28:29], v[38:39], a[4:7]
	v_pk_mul_f32 v[2:3], v[0:1], v[2:3] op_sel_hi:[0,1]
	v_pk_fma_f32 v[60:61], v[12:13], v[60:61], v[20:21]
	v_pk_fma_f32 v[52:53], v[12:13], v[52:53], v[22:23]
	v_mfma_f32_16x16x16_bf16 a[12:15], v[44:45], v[16:17], a[12:15]
	v_accvgpr_read_b32 v7, a11
	v_accvgpr_read_b32 v6, a10
	v_pk_fma_f32 v[72:73], v[72:73], v[4:5], v[6:7]
	v_mfma_f32_16x16x16_bf16 a[0:3], v[44:45], v[78:79], a[0:3]
	v_accvgpr_read_b32 v15, a9
	v_accvgpr_read_b32 v14, a8
	v_pk_fma_f32 v[70:71], v[70:71], v[2:3], v[14:15]
	v_accvgpr_read_b32 v6, a12
	v_accvgpr_read_b32 v7, a13
	v_pk_fma_f32 v[62:63], v[2:3], v[62:63], v[6:7]
	v_accvgpr_read_b32 v9, a15
	v_accvgpr_read_b32 v11, a3
	;; [unrolled: 1-line block ×3, first 2 shown]
	v_mfma_f32_16x16x16_bf16 a[2:5], v[44:45], v[80:81], a[4:7]
	v_accvgpr_read_b32 v7, a1
	v_accvgpr_read_b32 v6, a0
	v_pk_fma_f32 v[56:57], v[2:3], v[56:57], v[6:7]
	v_accvgpr_read_b32 v8, a14
	v_pk_fma_f32 v[64:65], v[4:5], v[64:65], v[8:9]
	v_pk_fma_f32 v[54:55], v[4:5], v[54:55], v[10:11]
	s_nop 0
	v_accvgpr_read_b32 v7, a3
	v_accvgpr_read_b32 v13, a5
	;; [unrolled: 1-line block ×4, first 2 shown]
	v_pk_fma_f32 v[46:47], v[2:3], v[46:47], v[6:7]
	v_pk_fma_f32 v[48:49], v[4:5], v[48:49], v[12:13]
	v_mov_b32_e32 v2, v18
.LBB78_100:
	s_lshl_b64 s[0:1], s[24:25], 15
	s_waitcnt lgkmcnt(0)
	s_add_u32 s0, s28, s0
	v_lshlrev_b32_e32 v2, 7, v2
	s_addc_u32 s1, s29, s1
	v_ashrrev_i32_e32 v3, 31, v2
	v_lshl_add_u64 v[4:5], v[2:3], 1, s[0:1]
	v_lshlrev_b32_e32 v0, 1, v1
	v_mov_b32_e32 v1, 0
	s_mov_b32 s2, 0x7060302
	v_lshl_add_u64 v[4:5], v[4:5], 0, v[0:1]
	v_perm_b32 v7, v77, v76, s2
	v_perm_b32 v6, v75, v74, s2
	global_store_dwordx2 v[4:5], v[6:7], off
	v_perm_b32 v7, v73, v72, s2
	v_perm_b32 v6, v71, v70, s2
	global_store_dwordx2 v[4:5], v[6:7], off offset:128
	v_or_b32_e32 v4, 0x800, v2
	v_ashrrev_i32_e32 v5, 31, v4
	v_lshl_add_u64 v[4:5], v[4:5], 1, s[0:1]
	v_lshl_add_u64 v[4:5], v[4:5], 0, v[0:1]
	v_perm_b32 v7, v69, v68, s2
	v_perm_b32 v6, v67, v66, s2
	global_store_dwordx2 v[4:5], v[6:7], off
	v_perm_b32 v7, v65, v64, s2
	v_perm_b32 v6, v63, v62, s2
	global_store_dwordx2 v[4:5], v[6:7], off offset:128
	v_or_b32_e32 v4, 0x1000, v2
	v_or_b32_e32 v2, 0x1800, v2
	v_ashrrev_i32_e32 v5, 31, v4
	v_ashrrev_i32_e32 v3, 31, v2
	v_lshl_add_u64 v[4:5], v[4:5], 1, s[0:1]
	v_lshl_add_u64 v[2:3], v[2:3], 1, s[0:1]
	;; [unrolled: 1-line block ×3, first 2 shown]
	v_perm_b32 v7, v61, v60, s2
	v_perm_b32 v6, v59, v58, s2
	v_lshl_add_u64 v[0:1], v[2:3], 0, v[0:1]
	v_perm_b32 v3, v53, v52, s2
	v_perm_b32 v2, v51, v50, s2
	global_store_dwordx2 v[4:5], v[6:7], off
	v_perm_b32 v7, v55, v54, s2
	v_perm_b32 v6, v57, v56, s2
	global_store_dwordx2 v[0:1], v[2:3], off
	v_perm_b32 v3, v49, v48, s2
	v_perm_b32 v2, v47, v46, s2
	global_store_dwordx2 v[4:5], v[6:7], off offset:128
	global_store_dwordx2 v[0:1], v[2:3], off offset:128
	s_endpgm
	.section	.rodata,"a",@progbits
	.p2align	6, 0x0
	.amdhsa_kernel _ZN12_GLOBAL__N_139chunk_gated_delta_rule_fwd_h_hip_kernelILi64ELb0ELb1ELb0ELb0ELb0ELb1ELb1ELb1EEEvPK12hip_bfloat16S3_S3_PKfS5_PKvPS1_S8_PvPKiSB_iiiiilll
		.amdhsa_group_segment_fixed_size 65536
		.amdhsa_private_segment_fixed_size 0
		.amdhsa_kernarg_size 136
		.amdhsa_user_sgpr_count 2
		.amdhsa_user_sgpr_dispatch_ptr 0
		.amdhsa_user_sgpr_queue_ptr 0
		.amdhsa_user_sgpr_kernarg_segment_ptr 1
		.amdhsa_user_sgpr_dispatch_id 0
		.amdhsa_user_sgpr_kernarg_preload_length 0
		.amdhsa_user_sgpr_kernarg_preload_offset 0
		.amdhsa_user_sgpr_private_segment_size 0
		.amdhsa_uses_dynamic_stack 0
		.amdhsa_enable_private_segment 0
		.amdhsa_system_sgpr_workgroup_id_x 1
		.amdhsa_system_sgpr_workgroup_id_y 1
		.amdhsa_system_sgpr_workgroup_id_z 0
		.amdhsa_system_sgpr_workgroup_info 0
		.amdhsa_system_vgpr_workitem_id 0
		.amdhsa_next_free_vgpr 232
		.amdhsa_next_free_sgpr 68
		.amdhsa_accum_offset 192
		.amdhsa_reserve_vcc 1
		.amdhsa_float_round_mode_32 0
		.amdhsa_float_round_mode_16_64 0
		.amdhsa_float_denorm_mode_32 3
		.amdhsa_float_denorm_mode_16_64 3
		.amdhsa_dx10_clamp 1
		.amdhsa_ieee_mode 1
		.amdhsa_fp16_overflow 0
		.amdhsa_tg_split 0
		.amdhsa_exception_fp_ieee_invalid_op 0
		.amdhsa_exception_fp_denorm_src 0
		.amdhsa_exception_fp_ieee_div_zero 0
		.amdhsa_exception_fp_ieee_overflow 0
		.amdhsa_exception_fp_ieee_underflow 0
		.amdhsa_exception_fp_ieee_inexact 0
		.amdhsa_exception_int_div_zero 0
	.end_amdhsa_kernel
	.section	.text._ZN12_GLOBAL__N_139chunk_gated_delta_rule_fwd_h_hip_kernelILi64ELb0ELb1ELb0ELb0ELb0ELb1ELb1ELb1EEEvPK12hip_bfloat16S3_S3_PKfS5_PKvPS1_S8_PvPKiSB_iiiiilll,"axG",@progbits,_ZN12_GLOBAL__N_139chunk_gated_delta_rule_fwd_h_hip_kernelILi64ELb0ELb1ELb0ELb0ELb0ELb1ELb1ELb1EEEvPK12hip_bfloat16S3_S3_PKfS5_PKvPS1_S8_PvPKiSB_iiiiilll,comdat
.Lfunc_end78:
	.size	_ZN12_GLOBAL__N_139chunk_gated_delta_rule_fwd_h_hip_kernelILi64ELb0ELb1ELb0ELb0ELb0ELb1ELb1ELb1EEEvPK12hip_bfloat16S3_S3_PKfS5_PKvPS1_S8_PvPKiSB_iiiiilll, .Lfunc_end78-_ZN12_GLOBAL__N_139chunk_gated_delta_rule_fwd_h_hip_kernelILi64ELb0ELb1ELb0ELb0ELb0ELb1ELb1ELb1EEEvPK12hip_bfloat16S3_S3_PKfS5_PKvPS1_S8_PvPKiSB_iiiiilll
                                        ; -- End function
	.section	.AMDGPU.csdata,"",@progbits
; Kernel info:
; codeLenInByte = 12800
; NumSgprs: 74
; NumVgprs: 190
; NumAgprs: 40
; TotalNumVgprs: 232
; ScratchSize: 0
; MemoryBound: 0
; FloatMode: 240
; IeeeMode: 1
; LDSByteSize: 65536 bytes/workgroup (compile time only)
; SGPRBlocks: 9
; VGPRBlocks: 28
; NumSGPRsForWavesPerEU: 74
; NumVGPRsForWavesPerEU: 232
; AccumOffset: 192
; Occupancy: 1
; WaveLimiterHint : 1
; COMPUTE_PGM_RSRC2:SCRATCH_EN: 0
; COMPUTE_PGM_RSRC2:USER_SGPR: 2
; COMPUTE_PGM_RSRC2:TRAP_HANDLER: 0
; COMPUTE_PGM_RSRC2:TGID_X_EN: 1
; COMPUTE_PGM_RSRC2:TGID_Y_EN: 1
; COMPUTE_PGM_RSRC2:TGID_Z_EN: 0
; COMPUTE_PGM_RSRC2:TIDIG_COMP_CNT: 0
; COMPUTE_PGM_RSRC3_GFX90A:ACCUM_OFFSET: 47
; COMPUTE_PGM_RSRC3_GFX90A:TG_SPLIT: 0
	.section	.text._ZN12_GLOBAL__N_139chunk_gated_delta_rule_fwd_h_hip_kernelILi64ELb0ELb0ELb1ELb0ELb0ELb1ELb1ELb1EEEvPK12hip_bfloat16S3_S3_PKfS5_PKvPS1_S8_PvPKiSB_iiiiilll,"axG",@progbits,_ZN12_GLOBAL__N_139chunk_gated_delta_rule_fwd_h_hip_kernelILi64ELb0ELb0ELb1ELb0ELb0ELb1ELb1ELb1EEEvPK12hip_bfloat16S3_S3_PKfS5_PKvPS1_S8_PvPKiSB_iiiiilll,comdat
	.globl	_ZN12_GLOBAL__N_139chunk_gated_delta_rule_fwd_h_hip_kernelILi64ELb0ELb0ELb1ELb0ELb0ELb1ELb1ELb1EEEvPK12hip_bfloat16S3_S3_PKfS5_PKvPS1_S8_PvPKiSB_iiiiilll ; -- Begin function _ZN12_GLOBAL__N_139chunk_gated_delta_rule_fwd_h_hip_kernelILi64ELb0ELb0ELb1ELb0ELb0ELb1ELb1ELb1EEEvPK12hip_bfloat16S3_S3_PKfS5_PKvPS1_S8_PvPKiSB_iiiiilll
	.p2align	8
	.type	_ZN12_GLOBAL__N_139chunk_gated_delta_rule_fwd_h_hip_kernelILi64ELb0ELb0ELb1ELb0ELb0ELb1ELb1ELb1EEEvPK12hip_bfloat16S3_S3_PKfS5_PKvPS1_S8_PvPKiSB_iiiiilll,@function
_ZN12_GLOBAL__N_139chunk_gated_delta_rule_fwd_h_hip_kernelILi64ELb0ELb0ELb1ELb0ELb0ELb1ELb1ELb1EEEvPK12hip_bfloat16S3_S3_PKfS5_PKvPS1_S8_PvPKiSB_iiiiilll: ; @_ZN12_GLOBAL__N_139chunk_gated_delta_rule_fwd_h_hip_kernelILi64ELb0ELb0ELb1ELb0ELb0ELb1ELb1ELb1EEEvPK12hip_bfloat16S3_S3_PKfS5_PKvPS1_S8_PvPKiSB_iiiiilll
; %bb.0:
	s_load_dwordx4 s[16:19], s[0:1], 0x5c
	s_load_dwordx4 s[12:15], s[0:1], 0x30
	s_abs_i32 s22, s3
	s_ashr_i32 s21, s3, 31
	s_load_dwordx8 s[4:11], s[0:1], 0x0
	s_waitcnt lgkmcnt(0)
	s_abs_i32 s20, s17
	v_cvt_f32_u32_e32 v1, s20
	s_sub_i32 s24, 0, s20
	s_ashr_i32 s23, s17, 31
	s_xor_b32 s21, s21, s23
	v_rcp_iflag_f32_e32 v1, v1
	v_lshrrev_b32_e32 v87, 6, v0
	v_bfe_u32 v88, v0, 4, 2
	v_lshlrev_b32_e32 v2, 2, v88
	v_mul_f32_e32 v1, 0x4f7ffffe, v1
	v_cvt_u32_f32_e32 v1, v1
	v_and_b32_e32 v86, 63, v0
	v_mov_b32_e32 v47, 0
	v_and_b32_e32 v45, 15, v0
	v_readfirstlane_b32 s25, v1
	s_mul_i32 s24, s24, s25
	s_mul_hi_u32 s24, s25, s24
	s_add_i32 s25, s25, s24
	s_mul_hi_u32 s24, s22, s25
	s_mul_i32 s25, s24, s20
	s_sub_i32 s22, s22, s25
	s_add_i32 s26, s24, 1
	s_sub_i32 s25, s22, s20
	s_cmp_ge_u32 s22, s20
	s_cselect_b32 s24, s26, s24
	s_cselect_b32 s22, s25, s22
	s_add_i32 s25, s24, 1
	s_cmp_ge_u32 s22, s20
	s_cselect_b32 s22, s25, s24
	s_abs_i32 s24, s18
	v_cvt_f32_u32_e32 v1, s24
	s_xor_b32 s22, s22, s21
	s_ashr_i32 s48, s16, 31
	s_sub_i32 s50, s22, s21
	v_rcp_iflag_f32_e32 v1, v1
	s_lshr_b32 s21, s48, 26
	s_add_i32 s21, s16, s21
	s_ashr_i32 s51, s18, 31
	v_mul_f32_e32 v1, 0x4f7ffffe, v1
	v_cvt_u32_f32_e32 v1, v1
	s_ashr_i32 s49, s21, 6
	s_xor_b32 s21, s23, s51
	s_sub_i32 s22, 0, s24
	v_readfirstlane_b32 s23, v1
	s_mul_i32 s22, s22, s23
	s_mul_hi_u32 s22, s23, s22
	s_add_i32 s23, s23, s22
	s_mul_hi_u32 s22, s20, s23
	s_mul_i32 s23, s22, s24
	s_mul_i32 s47, s50, s17
	s_sub_i32 s20, s20, s23
	s_sub_i32 s33, s3, s47
	s_add_i32 s3, s16, 63
	s_add_i32 s23, s22, 1
	s_sub_i32 s25, s20, s24
	s_cmp_ge_u32 s20, s24
	s_cselect_b32 s22, s23, s22
	s_cselect_b32 s20, s25, s20
	s_add_i32 s23, s22, 1
	s_cmp_ge_u32 s20, s24
	s_cselect_b32 s20, s23, s22
	s_xor_b32 s20, s20, s21
	s_sub_i32 s24, s20, s21
	s_abs_i32 s25, s24
	v_cvt_f32_u32_e32 v1, s25
	s_sub_i32 s27, 0, s25
	s_abs_i32 s26, s33
	s_xor_b32 s24, s33, s24
	v_rcp_iflag_f32_e32 v1, v1
	s_ashr_i32 s24, s24, 31
	s_load_dwordx2 s[34:35], s[0:1], 0x80
	s_load_dwordx4 s[20:23], s[0:1], 0x70
	s_mul_hi_i32 s53, s50, s17
	v_mul_f32_e32 v1, 0x4f7ffffe, v1
	v_cvt_u32_f32_e32 v1, v1
	v_lshrrev_b32_e32 v90, 3, v86
	v_lshlrev_b32_e32 v89, 3, v0
	s_waitcnt lgkmcnt(0)
	s_mul_i32 s21, s50, s21
	v_readfirstlane_b32 s28, v1
	s_mul_i32 s27, s27, s28
	s_mul_hi_u32 s27, s28, s27
	s_add_i32 s28, s28, s27
	s_mul_hi_u32 s27, s26, s28
	s_mul_i32 s28, s27, s25
	s_sub_i32 s26, s26, s28
	s_add_i32 s28, s27, 1
	s_sub_i32 s29, s26, s25
	s_cmp_ge_u32 s26, s25
	s_cselect_b32 s27, s28, s27
	s_cselect_b32 s26, s29, s26
	s_add_i32 s28, s27, 1
	s_cmp_ge_u32 s26, s25
	s_cselect_b32 s25, s28, s27
	s_xor_b32 s25, s25, s24
	s_sub_i32 s54, s25, s24
	s_ashr_i32 s24, s3, 31
	s_lshr_b32 s24, s24, 26
	v_lshlrev_b32_e32 v1, 4, v87
	s_add_i32 s3, s3, s24
	v_or_b32_e32 v91, v2, v1
	s_ashr_i32 s3, s3, 6
	s_lshl_b32 s36, s2, 6
	s_mul_i32 s52, s50, s3
	v_or_b32_e32 v92, 64, v91
	s_cmp_lt_i32 s16, 64
	s_mul_hi_u32 s46, s50, s20
	s_mul_i32 s38, s50, s20
	v_mov_b32_e32 v46, v47
	v_mov_b32_e32 v53, v47
	;; [unrolled: 1-line block ×31, first 2 shown]
	s_cbranch_scc1 .LBB79_18
; %bb.1:
	s_ashr_i32 s28, s50, 31
	s_ashr_i32 s56, s33, 31
	s_add_u32 s2, s47, s33
	s_addc_u32 s3, s53, s56
	s_mul_i32 s3, s16, s3
	s_mul_hi_u32 s24, s16, s2
	s_add_i32 s41, s24, s3
	s_mul_i32 s40, s16, s2
	s_lshl_b64 s[2:3], s[40:41], 8
	v_and_b32_e32 v94, 56, v89
	s_add_u32 s24, s6, s2
	v_lshl_or_b32 v93, v87, 3, v90
	v_lshlrev_b32_e32 v3, 1, v94
	s_addc_u32 s2, s7, s3
	v_lshl_or_b32 v95, v93, 8, v3
	s_and_b32 s25, s2, 0xffff
	s_mov_b32 s27, 0x20000
	s_movk_i32 s26, 0x4000
	s_movk_i32 s2, 0x80
	v_or_b32_e32 v96, 0x2000, v95
	buffer_load_dwordx4 v[4:7], v95, s[24:27], 0 offen
	buffer_load_dwordx4 v[8:11], v95, s[24:27], s2 offen
	;; [unrolled: 1-line block ×4, first 2 shown]
	v_lshlrev_b32_e32 v20, 3, v93
	v_and_or_b32 v22, v0, 7, v20
	v_and_b32_e32 v20, 0x78, v20
	v_lshlrev_b32_e32 v22, 4, v22
	v_xor_b32_e32 v97, v22, v20
	v_mul_lo_u32 v21, v93, s19
	v_or_b32_e32 v98, 0x1000, v97
	s_cmpk_eq_i32 s19, 0x80
	s_mov_b32 s55, s18
	v_xor_b32_e32 v20, 8, v97
	v_xor_b32_e32 v22, 8, v98
	s_cselect_b64 s[2:3], -1, 0
	s_cmpk_lg_i32 s19, 0x80
	s_waitcnt vmcnt(3)
	ds_write_b64 v97, v[4:5] offset:49152
	ds_write_b64 v20, v[6:7] offset:49152
	s_waitcnt vmcnt(2)
	ds_write_b64 v97, v[8:9] offset:57344
	ds_write_b64 v20, v[10:11] offset:57344
	s_waitcnt vmcnt(1)
	ds_write_b64 v97, v[12:13] offset:53248
	ds_write_b64 v22, v[14:15] offset:49152
	s_waitcnt vmcnt(0)
	ds_write_b64 v97, v[16:17] offset:61440
	ds_write_b64 v22, v[18:19] offset:57344
	v_lshl_add_u32 v4, v21, 1, v94
	s_cbranch_scc0 .LBB79_3
; %bb.2:
	v_lshlrev_b32_e32 v6, 1, v4
	v_add_lshl_u32 v5, v4, s19, 1
	s_lshl_b32 s26, s19, 7
	s_load_dwordx2 s[42:43], s[0:1], 0x20
	v_lshl_or_b32 v3, v93, 9, v3
	s_cbranch_execz .LBB79_4
	s_branch .LBB79_5
.LBB79_3:
                                        ; implicit-def: $vgpr5
                                        ; implicit-def: $vgpr6
                                        ; implicit-def: $sgpr26
	s_load_dwordx2 s[42:43], s[0:1], 0x20
	v_lshl_or_b32 v3, v93, 9, v3
.LBB79_4:
	v_or_b32_e32 v5, 0x100, v3
	s_movk_i32 s26, 0x4000
	v_mov_b32_e32 v6, v3
.LBB79_5:
	s_mul_hi_u32 s0, s18, s16
	s_mul_i32 s1, s51, s16
	s_add_i32 s0, s0, s1
	s_mul_i32 s1, s18, s16
	s_mul_i32 s24, s1, s28
	s_mul_hi_u32 s25, s1, s50
	s_add_i32 s24, s25, s24
	s_mul_i32 s0, s0, s50
	s_add_i32 s24, s24, s0
	s_mul_i32 s1, s1, s50
	s_ashr_i32 s57, s54, 31
	s_add_u32 s0, s1, s54
	s_addc_u32 s1, s24, s57
	s_lshl_b64 s[0:1], s[0:1], 8
	s_add_u32 s24, s4, s0
	s_addc_u32 s0, s5, s1
	s_and_b32 s25, s0, 0xffff
	s_movk_i32 s58, 0x80
	buffer_load_dwordx4 v[8:11], v6, s[24:27], 0 offen
	buffer_load_dwordx4 v[12:15], v6, s[24:27], s58 offen
	;; [unrolled: 1-line block ×4, first 2 shown]
	v_and_b32_e32 v5, 6, v0
	v_lshlrev_b32_e32 v6, 7, v91
	v_xor_b32_e32 v27, v93, v5
	v_and_b32_e32 v7, 1, v0
	v_lshl_or_b32 v30, v45, 3, v6
	v_lshlrev_b32_e32 v27, 2, v27
	v_or_b32_e32 v99, 0x4000, v30
	v_or_b32_e32 v100, 0x6000, v30
	v_xor_b32_e32 v30, 0x440, v27
	v_cmp_eq_u32_e32 vcc, 0, v7
	v_lshlrev_b32_e32 v24, 2, v45
	s_mov_b32 s61, 0x1000504
	v_cndmask_b32_e32 v7, v30, v27, vcc
	v_xor_b32_e32 v28, v91, v24
	v_xor_b32_e32 v29, v92, v24
	v_lshl_or_b32 v5, v5, 10, v7
	s_mov_b32 s62, 0x3020706
	s_mul_i32 s0, s28, s16
	s_mul_hi_u32 s1, s50, s16
	v_lshlrev_b32_e32 v25, 8, v45
	v_or_b32_e32 v26, 16, v45
	v_lshlrev_b32_e32 v28, 1, v28
	v_lshlrev_b32_e32 v29, 1, v29
	v_xor_b32_e32 v7, 8, v5
	v_xor_b32_e32 v27, 24, v5
	;; [unrolled: 1-line block ×4, first 2 shown]
	v_or_b32_e32 v102, v25, v28
	v_or_b32_e32 v103, v25, v29
	v_xor_b32_e32 v25, 16, v5
	v_xor_b32_e32 v30, 32, v5
	;; [unrolled: 1-line block ×3, first 2 shown]
	v_add_u32_e32 v7, 0x80, v7
	v_add_u32_e32 v27, 0x80, v27
	v_add_u32_e32 v32, 0x80, v32
	v_add_u32_e32 v34, 0x80, v34
	s_add_i32 s63, s1, s0
	s_add_i32 s0, s46, s21
	s_mul_i32 s28, s28, s20
	s_add_i32 s39, s0, s28
	s_mul_i32 s0, s33, s23
	s_mul_hi_u32 s1, s33, s22
	s_add_i32 s0, s1, s0
	s_mul_i32 s1, s56, s22
	s_add_i32 s1, s0, s1
	s_lshl_b64 s[24:25], s[38:39], 2
	s_mul_i32 s0, s33, s22
	s_add_u32 s24, s10, s24
	s_addc_u32 s25, s11, s25
	s_lshl_b64 s[0:1], s[0:1], 2
	s_add_u32 s44, s24, s0
	s_movk_i32 s0, 0xf8
	s_addc_u32 s45, s25, s1
	s_ashr_i32 s37, s36, 31
	s_lshl_b32 s30, s19, 7
	v_mov_b32_e32 v79, 0
	s_movk_i32 s24, 0x100
	v_lshlrev_b32_e32 v78, 4, v45
	s_mul_i32 s59, s50, s16
	v_lshl_or_b32 v31, v26, 3, v6
	s_mov_b32 s60, 0
	v_or_b32_e32 v101, 0x4000, v31
	s_movk_i32 s26, 0x4000
	v_or_b32_e32 v104, 0x6000, v31
	v_add_u32_e32 v136, v1, v2
	s_mov_b32 s39, 0x7060302
	s_movk_i32 s64, 0x2000
	s_movk_i32 s65, 0x3000
	v_mov_b32_e32 v146, 0x3fb8aa3b
	s_mov_b32 s67, 0
	v_mov_b32_e32 v70, v79
	v_mov_b32_e32 v71, v79
	;; [unrolled: 1-line block ×8, first 2 shown]
	s_waitcnt vmcnt(1)
	v_perm_b32 v35, v8, v16, s61
	s_waitcnt vmcnt(0)
	v_perm_b32 v36, v12, v20, s61
	v_perm_b32 v8, v8, v16, s62
	;; [unrolled: 1-line block ×15, first 2 shown]
	ds_write2st64_b32 v5, v35, v36 offset0:128 offset1:160
	ds_write2st64_b32 v7, v8, v12 offset0:128 offset1:160
	;; [unrolled: 1-line block ×8, first 2 shown]
	v_lshlrev_b32_e32 v5, 8, v26
	v_or_b32_e32 v105, v5, v28
	v_or_b32_e32 v106, v5, v29
	;; [unrolled: 1-line block ×3, first 2 shown]
	v_lshl_or_b32 v7, v5, 3, v6
	v_lshlrev_b32_e32 v5, 8, v5
	v_or_b32_e32 v109, v5, v28
	v_or_b32_e32 v110, v5, v29
	;; [unrolled: 1-line block ×5, first 2 shown]
	v_lshl_or_b32 v7, v5, 3, v6
	v_lshlrev_b32_e32 v5, 8, v5
	v_or_b32_e32 v113, v5, v28
	v_or_b32_e32 v114, v5, v29
	;; [unrolled: 1-line block ×3, first 2 shown]
	v_lshlrev_b32_e32 v5, 3, v5
	v_lshrrev_b32_e32 v9, 5, v86
	v_and_or_b32 v9, v5, s0, v9
	v_lshlrev_b32_e32 v9, 4, v9
	v_lshlrev_b32_e32 v11, 11, v87
	v_and_b32_e32 v5, 0x78, v5
	v_or_b32_e32 v14, 32, v9
	v_and_b32_e32 v8, 0x1000, v11
	v_xor_b32_e32 v10, v9, v5
	v_lshrrev_b32_e32 v12, 1, v86
	v_xor_b32_e32 v14, v14, v5
	v_or_b32_e32 v10, v10, v8
	v_and_b32_e32 v12, 8, v12
	v_or_b32_e32 v14, v14, v8
	v_xor_b32_e32 v115, v10, v12
	v_lshlrev_b32_e32 v10, 8, v88
	v_xor_b32_e32 v117, v14, v12
	v_or_b32_e32 v14, 64, v9
	v_or_b32_e32 v9, 0x60, v9
	;; [unrolled: 1-line block ×3, first 2 shown]
	v_xor_b32_e32 v14, v14, v5
	v_xor_b32_e32 v5, v9, v5
	v_lshlrev_b32_e32 v13, 1, v13
	v_or_b32_e32 v14, v14, v8
	v_or_b32_e32 v5, v5, v8
	s_lshl_b64 s[0:1], s[36:37], 8
	v_or_b32_e32 v116, 0x4000, v13
	v_or_b32_e32 v118, 0x4080, v13
	;; [unrolled: 1-line block ×4, first 2 shown]
	v_xor_b32_e32 v121, v14, v12
	v_xor_b32_e32 v122, v5, v12
	v_or_b32_e32 v123, 0x6000, v13
	v_or_b32_e32 v124, 0x6080, v13
	;; [unrolled: 1-line block ×4, first 2 shown]
	v_lshlrev_b32_e32 v12, 1, v4
	v_add_lshl_u32 v13, v4, s19, 1
	s_add_u32 s0, s12, s0
	v_lshlrev_b32_e32 v4, 1, v45
	v_lshrrev_b32_e32 v15, 4, v0
	s_addc_u32 s1, s13, s1
	v_or_b32_e32 v5, 1, v4
	v_lshlrev_b32_e32 v18, 2, v0
	v_or_b32_e32 v14, 0x100, v3
	v_xor_b32_e32 v16, v15, v4
	v_xor_b32_e32 v17, v5, v15
	v_lshl_add_u64 v[4:5], s[0:1], 0, v[78:79]
	v_lshlrev_b32_e32 v78, 8, v15
	v_lshrrev_b32_e32 v19, 1, v0
	v_and_or_b32 v10, v18, 60, v10
	v_cndmask_b32_e64 v133, v12, v3, s[2:3]
	v_mov_b32_e32 v3, 0xa000
	v_mov_b32_e32 v12, 0x8000
	v_cmp_gt_u32_e64 s[0:1], s24, v0
	v_lshl_or_b32 v127, v16, 3, v78
	v_and_b32_e32 v16, 8, v0
	v_and_b32_e32 v19, 24, v19
	v_lshlrev_b32_e32 v10, 1, v10
	v_cndmask_b32_e64 v3, v3, v12, s[0:1]
	v_lshlrev_b32_e32 v12, 3, v87
	v_or_b32_e32 v129, 0x6000, v10
	v_or_b32_e32 v130, 0x6080, v10
	;; [unrolled: 1-line block ×4, first 2 shown]
	v_mov_b32_e32 v10, 0x400
	v_cmp_eq_u32_e32 vcc, 0, v16
	v_cndmask_b32_e64 v134, v13, v14, s[2:3]
	v_xor_b32_e32 v13, v12, v19
	v_and_b32_e32 v15, 7, v0
	v_cndmask_b32_e64 v16, v10, 64, vcc
	v_or_b32_e32 v14, 0x440, v13
	v_lshl_or_b32 v128, v17, 3, v78
	v_lshlrev_b32_e32 v17, 3, v15
	v_or_b32_e32 v18, 32, v19
	v_or_b32_e32 v20, 0x60, v19
	v_cndmask_b32_e32 v14, v14, v13, vcc
	v_or3_b32 v13, v11, v16, v13
	v_lshlrev_b32_e32 v15, 7, v15
	v_xor_b32_e32 v18, v12, v18
	v_xor_b32_e32 v13, v13, v17
	;; [unrolled: 1-line block ×3, first 2 shown]
	v_or_b32_e32 v21, 0x440, v18
	v_or_b32_e32 v135, v13, v15
	v_xor_b32_e32 v13, 0x440, v12
	v_cndmask_b32_e32 v18, v21, v18, vcc
	v_cndmask_b32_e32 v12, v13, v12, vcc
	v_or_b32_e32 v111, 0x4000, v7
	v_or_b32_e32 v112, 0x6000, v7
	v_lshrrev_b32_e32 v7, 2, v86
	v_or_b32_e32 v8, s36, v45
	v_or_b32_e32 v14, v14, v11
	;; [unrolled: 1-line block ×4, first 2 shown]
	v_and_b32_e32 v7, 12, v7
	v_ashrrev_i32_e32 v9, 31, v8
	v_xor_b32_e32 v14, v14, v17
	v_xor_b32_e32 v18, v18, v17
	;; [unrolled: 1-line block ×3, first 2 shown]
	v_or_b32_e32 v10, v1, v7
	v_add_u32_e32 v19, v3, v14
	v_add_u32_e32 v21, v3, v18
	;; [unrolled: 1-line block ×3, first 2 shown]
	v_or3_b32 v12, v1, v7, 64
	v_add_u32_e32 v7, 0xa000, v14
	v_add_u32_e32 v14, 0xa000, v18
	;; [unrolled: 1-line block ×3, first 2 shown]
	v_lshlrev_b64 v[8:9], 1, v[8:9]
	v_lshl_add_u64 v[80:81], s[8:9], 0, v[8:9]
	v_lshl_add_u64 v[82:83], s[14:15], 0, v[8:9]
	v_lshl_add_u64 v[84:85], v[4:5], 0, v[78:79]
	s_add_i32 s37, s59, 63
	v_lshlrev_b32_e32 v78, 1, v6
	v_lshlrev_b32_e32 v137, 2, v10
	v_add_u32_e32 v138, v19, v15
	v_add_u32_e32 v139, v21, v15
	;; [unrolled: 1-line block ×4, first 2 shown]
	v_lshlrev_b32_e32 v142, 2, v12
	v_add_u32_e32 v143, v7, v15
	v_add_u32_e32 v144, v14, v15
	;; [unrolled: 1-line block ×3, first 2 shown]
	v_mov_b32_e32 v62, v79
	v_mov_b32_e32 v63, v79
	;; [unrolled: 1-line block ×24, first 2 shown]
	s_waitcnt lgkmcnt(0)
	s_barrier
.LBB79_6:                               ; =>This Inner Loop Header: Depth=1
	s_add_i32 s66, s67, 1
	s_cmp_lt_i32 s66, s49
	s_mov_b64 s[28:29], 0
	s_cselect_b64 s[2:3], -1, 0
	s_cmp_ge_i32 s66, s49
	s_mov_b64 s[24:25], 0
	s_cbranch_scc1 .LBB79_8
; %bb.7:                                ;   in Loop: Header=BB79_6 Depth=1
	s_add_i32 s0, s60, 64
	s_add_u32 s0, s40, s0
	s_addc_u32 s1, s41, 0
	s_lshl_b64 s[0:1], s[0:1], 8
	s_add_u32 s24, s6, s0
	s_addc_u32 s25, s7, s1
.LBB79_8:                               ;   in Loop: Header=BB79_6 Depth=1
	v_cndmask_b32_e64 v2, 0, 1, s[2:3]
	v_cmp_ne_u32_e64 s[0:1], 1, v2
	s_andn2_b64 vcc, exec, s[2:3]
	s_cbranch_vccnz .LBB79_10
; %bb.9:                                ;   in Loop: Header=BB79_6 Depth=1
	s_add_i32 s2, s60, 64
	s_add_u32 s2, s59, s2
	s_addc_u32 s3, s63, 0
	s_mul_i32 s28, s2, s51
	s_mul_hi_u32 s29, s2, s55
	s_add_i32 s28, s29, s28
	s_mul_i32 s3, s3, s55
	s_add_i32 s28, s28, s3
	s_mul_i32 s2, s2, s55
	s_add_u32 s2, s2, s54
	s_addc_u32 s3, s28, s57
	s_lshl_b64 s[2:3], s[2:3], 8
	s_add_u32 s28, s4, s2
	s_addc_u32 s29, s5, s3
.LBB79_10:                              ;   in Loop: Header=BB79_6 Depth=1
	v_perm_b32 v3, v77, v76, s39
	v_perm_b32 v2, v75, v74, s39
	v_perm_b32 v5, v73, v72, s39
	v_perm_b32 v4, v71, v70, s39
	ds_write_b64 v99, v[2:3]
	ds_write_b64 v100, v[4:5]
	ds_write_b64 v102, v[2:3]
	ds_write_b64 v103, v[4:5]
	v_perm_b32 v3, v69, v68, s39
	v_perm_b32 v2, v67, v66, s39
	v_perm_b32 v5, v65, v64, s39
	v_perm_b32 v4, v63, v62, s39
	ds_write_b64 v101, v[2:3]
	ds_write_b64 v104, v[4:5]
	ds_write_b64 v105, v[2:3]
	ds_write_b64 v106, v[4:5]
	;; [unrolled: 8-line block ×4, first 2 shown]
	s_waitcnt lgkmcnt(0)
	s_barrier
	ds_read_b64 v[6:7], v115 offset:49152
	ds_read2_b64 v[2:5], v116 offset1:16
	ds_read_b64 v[18:19], v118 offset:6144
	ds_read_b64 v[20:21], v116 offset:6144
	s_waitcnt lgkmcnt(2)
	v_mfma_f32_16x16x16_bf16 a[0:3], v[6:7], v[2:3], 0
	ds_read_b64 v[22:23], v117 offset:49152
	ds_read2st64_b64 v[10:13], v119 offset0:4 offset1:8
	ds_read2st64_b64 v[14:17], v120 offset0:4 offset1:8
	v_mfma_f32_16x16x16_bf16 a[4:7], v[6:7], v[4:5], 0
	ds_read2_b64 v[2:5], v116 offset0:32 offset1:48
	s_add_i32 s2, s60, 63
	s_mul_i32 s3, s2, s35
	s_waitcnt lgkmcnt(0)
	v_mfma_f32_16x16x16_bf16 a[8:11], v[6:7], v[2:3], 0
	s_mul_hi_u32 s31, s2, s34
	s_add_i32 s3, s31, s3
	s_mul_i32 s2, s2, s34
	v_mfma_f32_16x16x16_bf16 a[12:15], v[6:7], v[4:5], 0
	ds_read2st64_b64 v[2:5], v116 offset0:4 offset1:8
	ds_read2st64_b64 v[6:9], v118 offset0:4 offset1:8
	s_lshl_b64 s[2:3], s[2:3], 2
	s_waitcnt lgkmcnt(1)
	v_mfma_f32_16x16x16_bf16 a[0:3], v[22:23], v[2:3], a[0:3]
	s_add_u32 s2, s44, s2
	s_addc_u32 s3, s45, s3
	s_and_b64 vcc, exec, s[0:1]
	s_waitcnt lgkmcnt(0)
	v_mfma_f32_16x16x16_bf16 a[4:7], v[22:23], v[6:7], a[4:7]
	v_mov_b32_e32 v149, 0
	v_mov_b32_e32 v148, 0
	;; [unrolled: 1-line block ×3, first 2 shown]
	v_mfma_f32_16x16x16_bf16 a[8:11], v[22:23], v[10:11], a[8:11]
	ds_read_b64 v[2:3], v121 offset:49152
	ds_read_b64 v[6:7], v122 offset:49152
	ds_read_b64 v[10:11], v120 offset:6144
	v_mfma_f32_16x16x16_bf16 a[12:15], v[22:23], v[14:15], a[12:15]
	v_mov_b32_e32 v14, 0
	v_mov_b32_e32 v15, 0
	s_waitcnt lgkmcnt(2)
	v_mfma_f32_16x16x16_bf16 a[0:3], v[2:3], v[4:5], a[0:3]
	v_mov_b32_e32 v4, 0
	v_mov_b32_e32 v5, 0
	v_mfma_f32_16x16x16_bf16 a[4:7], v[2:3], v[8:9], a[4:7]
	v_mov_b32_e32 v8, 0
	v_mov_b32_e32 v9, 0
	;; [unrolled: 3-line block ×3, first 2 shown]
	v_mfma_f32_16x16x16_bf16 a[12:15], v[2:3], v[16:17], a[12:15]
	ds_read_b64 v[2:3], v119 offset:6144
	v_mov_b32_e32 v16, 0
	v_mov_b32_e32 v17, 0
	s_waitcnt lgkmcnt(2)
	v_mfma_f32_16x16x16_bf16 a[0:3], v[6:7], v[20:21], a[0:3]
	v_mfma_f32_16x16x16_bf16 a[4:7], v[6:7], v[18:19], a[4:7]
	s_waitcnt lgkmcnt(0)
	v_mfma_f32_16x16x16_bf16 a[8:11], v[6:7], v[2:3], a[8:11]
	v_mov_b32_e32 v2, 0
	v_mov_b32_e32 v3, 0
	v_mfma_f32_16x16x16_bf16 a[12:15], v[6:7], v[10:11], a[12:15]
	v_mov_b32_e32 v6, 0
	v_mov_b32_e32 v7, 0
	;; [unrolled: 1-line block ×4, first 2 shown]
	s_cbranch_vccnz .LBB79_12
; %bb.11:                               ;   in Loop: Header=BB79_6 Depth=1
	s_and_b32 s25, s25, 0xffff
	buffer_load_dwordx4 v[14:17], v95, s[24:27], 0 offen
	buffer_load_dwordx4 v[10:13], v95, s[24:27], s58 offen
	;; [unrolled: 1-line block ×4, first 2 shown]
	v_mov_b32_e32 v148, v97
	v_mov_b32_e32 v147, v98
.LBB79_12:                              ;   in Loop: Header=BB79_6 Depth=1
	ds_read_b64 v[38:39], v115 offset:57344
	ds_read2_b64 v[18:21], v123 offset1:16
	ds_read_b64 v[40:41], v117 offset:57344
	ds_read_b64 v[42:43], v121 offset:57344
	;; [unrolled: 1-line block ×3, first 2 shown]
	s_waitcnt lgkmcnt(3)
	v_mfma_f32_16x16x16_bf16 a[0:3], v[38:39], v[18:19], a[0:3]
	v_mfma_f32_16x16x16_bf16 a[4:7], v[38:39], v[20:21], a[4:7]
	ds_read2_b64 v[18:21], v123 offset0:32 offset1:48
	ds_read2st64_b64 v[22:25], v123 offset0:4 offset1:8
	ds_read2st64_b64 v[26:29], v124 offset0:4 offset1:8
	;; [unrolled: 1-line block ×4, first 2 shown]
	s_waitcnt lgkmcnt(4)
	v_mfma_f32_16x16x16_bf16 a[8:11], v[38:39], v[18:19], a[8:11]
	v_mfma_f32_16x16x16_bf16 a[12:15], v[38:39], v[20:21], a[12:15]
	v_add_u32_e32 v38, s60, v136
	v_ashrrev_i32_e32 v18, 31, v38
	v_mul_lo_u32 v20, v18, s34
	v_mul_lo_u32 v21, v38, s35
	v_mad_u64_u32 v[18:19], s[24:25], v38, s34, 0
	v_add3_u32 v19, v19, v21, v20
	v_add_u32_e32 v20, 1, v38
	v_ashrrev_i32_e32 v21, 31, v20
	s_waitcnt lgkmcnt(3)
	v_mfma_f32_16x16x16_bf16 a[0:3], v[40:41], v[22:23], a[0:3]
	v_mul_lo_u32 v22, v21, s34
	v_mul_lo_u32 v23, v20, s35
	v_mad_u64_u32 v[20:21], s[24:25], v20, s34, 0
	v_add3_u32 v21, v21, v23, v22
	v_add_u32_e32 v22, 2, v38
	v_ashrrev_i32_e32 v23, 31, v22
	s_waitcnt lgkmcnt(2)
	v_mfma_f32_16x16x16_bf16 a[4:7], v[40:41], v[26:27], a[4:7]
	v_mul_lo_u32 v26, v23, s34
	v_mul_lo_u32 v27, v22, s35
	v_mad_u64_u32 v[22:23], s[24:25], v22, s34, 0
	v_add3_u32 v23, v23, v27, v26
	v_add_u32_e32 v26, 3, v38
	v_lshl_add_u64 v[18:19], v[18:19], 2, s[44:45]
	v_lshl_add_u64 v[20:21], v[20:21], 2, s[44:45]
	v_ashrrev_i32_e32 v27, 31, v26
	s_waitcnt lgkmcnt(1)
	v_mfma_f32_16x16x16_bf16 a[8:11], v[40:41], v[30:31], a[8:11]
	v_mul_lo_u32 v27, v27, s34
	global_load_dword v30, v[18:19], off
	v_mul_lo_u32 v31, v26, s35
	s_waitcnt lgkmcnt(0)
	v_mfma_f32_16x16x16_bf16 a[12:15], v[40:41], v[34:35], a[12:15]
	global_load_dword v34, v[20:21], off
	v_mad_u64_u32 v[18:19], s[24:25], v26, s34, 0
	v_add3_u32 v19, v19, v31, v27
	s_add_u32 s24, s40, s60
	v_lshl_add_u64 v[22:23], v[22:23], 2, s[44:45]
	v_lshl_add_u64 v[18:19], v[18:19], 2, s[44:45]
	s_addc_u32 s25, s41, 0
	global_load_dword v31, v[22:23], off
	global_load_dword v35, v[18:19], off
	s_lshl_b64 s[24:25], s[24:25], 8
	v_lshl_add_u64 v[18:19], v[80:81], 0, s[24:25]
	v_lshl_add_u64 v[18:19], v[18:19], 0, v[78:79]
	global_load_ushort v38, v[18:19], off offset:256
	global_load_ushort v39, v[18:19], off
	global_load_ushort v40, v[18:19], off offset:768
	global_load_ushort v41, v[18:19], off offset:512
	;; [unrolled: 1-line block ×6, first 2 shown]
	s_load_dword s2, s[2:3], 0x0
	v_mfma_f32_16x16x16_bf16 a[12:15], v[42:43], v[36:37], a[12:15]
	global_load_ushort v36, v[18:19], off offset:320
	global_load_ushort v37, v[18:19], off offset:64
	s_and_b64 vcc, exec, s[0:1]
	v_mfma_f32_16x16x16_bf16 a[0:3], v[42:43], v[24:25], a[0:3]
	ds_read_b64 v[20:21], v123 offset:6144
	ds_read_b64 v[22:23], v124 offset:6144
	;; [unrolled: 1-line block ×4, first 2 shown]
	v_mfma_f32_16x16x16_bf16 a[4:7], v[42:43], v[28:29], a[4:7]
	s_waitcnt vmcnt(11) lgkmcnt(0)
	v_sub_f32_e32 v28, s2, v31
	v_mfma_f32_16x16x16_bf16 a[8:11], v[42:43], v[32:33], a[8:11]
	global_load_ushort v42, v[18:19], off offset:832
	global_load_ushort v43, v[18:19], off offset:576
	;; [unrolled: 1-line block ×6, first 2 shown]
	v_mfma_f32_16x16x16_bf16 a[0:3], v[150:151], v[20:21], a[0:3]
	s_waitcnt vmcnt(16)
	v_sub_f32_e32 v29, s2, v35
	v_mul_f32_e32 v28, 0x3fb8aa3b, v28
	v_mul_f32_e32 v29, 0x3fb8aa3b, v29
	v_exp_f32_e32 v28, v28
	v_exp_f32_e32 v29, v29
	s_waitcnt vmcnt(15)
	v_lshlrev_b32_e32 v33, 16, v38
	s_waitcnt vmcnt(14)
	v_lshlrev_b32_e32 v32, 16, v39
	v_accvgpr_read_b32 v21, a3
	v_accvgpr_read_b32 v20, a2
	v_mfma_f32_16x16x16_bf16 a[2:5], v[150:151], v[22:23], a[4:7]
	v_mfma_f32_16x16x16_bf16 a[6:9], v[150:151], v[24:25], a[8:11]
	s_nop 5
	v_accvgpr_read_b32 v23, a5
	v_accvgpr_read_b32 v22, a4
	;; [unrolled: 1-line block ×4, first 2 shown]
	v_mfma_f32_16x16x16_bf16 a[8:11], v[150:151], v[26:27], a[12:15]
	v_sub_f32_e32 v26, s2, v30
	v_sub_f32_e32 v27, s2, v34
	v_mul_f32_e32 v26, 0x3fb8aa3b, v26
	v_mul_f32_e32 v27, 0x3fb8aa3b, v27
	v_exp_f32_e32 v26, v26
	v_exp_f32_e32 v27, v27
	v_accvgpr_read_b32 v35, a1
	v_accvgpr_read_b32 v34, a0
	v_lshl_add_u64 v[30:31], v[82:83], 0, s[24:25]
	v_pk_add_f32 v[32:33], v[32:33], v[34:35] neg_lo:[0,1] neg_hi:[0,1]
	s_waitcnt vmcnt(13)
	v_lshlrev_b32_e32 v35, 16, v40
	s_waitcnt vmcnt(12)
	v_lshlrev_b32_e32 v34, 16, v41
	v_lshl_add_u64 v[30:31], v[30:31], 0, v[78:79]
	v_pk_add_f32 v[20:21], v[34:35], v[20:21] neg_lo:[0,1] neg_hi:[0,1]
	global_store_short_d16_hi v[30:31], v32, off
	global_store_short_d16_hi v[30:31], v33, off offset:256
	global_store_short_d16_hi v[30:31], v20, off offset:512
	;; [unrolled: 1-line block ×3, first 2 shown]
	v_pk_mul_f32 v[32:33], v[26:27], v[32:33]
	v_pk_mul_f32 v[20:21], v[28:29], v[20:21]
	v_accvgpr_read_b32 v35, a3
	v_perm_b32 v21, v21, v20, s39
	v_perm_b32 v20, v33, v32, s39
	s_waitcnt vmcnt(15)
	v_lshlrev_b32_e32 v33, 16, v44
	s_waitcnt vmcnt(14)
	v_lshlrev_b32_e32 v32, 16, v152
	v_accvgpr_read_b32 v34, a2
	v_pk_add_f32 v[32:33], v[32:33], v[34:35] neg_lo:[0,1] neg_hi:[0,1]
	s_waitcnt vmcnt(13)
	v_lshlrev_b32_e32 v35, 16, v153
	s_waitcnt vmcnt(12)
	v_lshlrev_b32_e32 v34, 16, v154
	v_pk_add_f32 v[22:23], v[34:35], v[22:23] neg_lo:[0,1] neg_hi:[0,1]
	global_store_short_d16_hi v[30:31], v32, off offset:32
	global_store_short_d16_hi v[30:31], v33, off offset:288
	;; [unrolled: 1-line block ×4, first 2 shown]
	v_pk_mul_f32 v[32:33], v[26:27], v[32:33]
	v_pk_mul_f32 v[22:23], v[28:29], v[22:23]
	v_accvgpr_read_b32 v25, a11
	v_perm_b32 v23, v23, v22, s39
	v_perm_b32 v22, v33, v32, s39
	ds_write2_b64 v100, v[20:21], v[22:23] offset1:16
	v_accvgpr_read_b32 v23, a7
	s_waitcnt vmcnt(15)
	v_lshlrev_b32_e32 v21, 16, v36
	s_waitcnt vmcnt(14)
	v_lshlrev_b32_e32 v20, 16, v37
	v_accvgpr_read_b32 v22, a6
	v_pk_add_f32 v[20:21], v[20:21], v[22:23] neg_lo:[0,1] neg_hi:[0,1]
	global_store_short_d16_hi v[30:31], v20, off offset:64
	global_store_short_d16_hi v[30:31], v21, off offset:320
	v_pk_mul_f32 v[20:21], v[26:27], v[20:21]
	v_accvgpr_read_b32 v24, a10
	v_perm_b32 v20, v21, v20, s39
	v_mov_b32_e32 v150, 0
	v_mov_b32_e32 v32, 0
	;; [unrolled: 1-line block ×3, first 2 shown]
	s_waitcnt vmcnt(15)
	v_lshlrev_b32_e32 v23, 16, v42
	s_waitcnt vmcnt(14)
	v_lshlrev_b32_e32 v22, 16, v43
	v_pk_add_f32 v[18:19], v[22:23], v[18:19] neg_lo:[0,1] neg_hi:[0,1]
	global_store_short_d16_hi v[30:31], v18, off offset:576
	global_store_short_d16_hi v[30:31], v19, off offset:832
	v_pk_mul_f32 v[18:19], v[28:29], v[18:19]
	v_accvgpr_read_b32 v23, a9
	v_perm_b32 v21, v19, v18, s39
	s_waitcnt vmcnt(15)
	v_lshlrev_b32_e32 v19, 16, v155
	s_waitcnt vmcnt(14)
	v_lshlrev_b32_e32 v18, 16, v156
	v_accvgpr_read_b32 v22, a8
	v_pk_add_f32 v[18:19], v[18:19], v[22:23] neg_lo:[0,1] neg_hi:[0,1]
	s_waitcnt vmcnt(13)
	v_lshlrev_b32_e32 v23, 16, v157
	s_waitcnt vmcnt(12)
	v_lshlrev_b32_e32 v22, 16, v158
	v_pk_add_f32 v[22:23], v[22:23], v[24:25] neg_lo:[0,1] neg_hi:[0,1]
	global_store_short_d16_hi v[30:31], v18, off offset:96
	global_store_short_d16_hi v[30:31], v19, off offset:352
	;; [unrolled: 1-line block ×4, first 2 shown]
	v_pk_mul_f32 v[18:19], v[26:27], v[18:19]
	v_pk_mul_f32 v[22:23], v[28:29], v[22:23]
	v_mov_b32_e32 v24, 0
	v_perm_b32 v23, v23, v22, s39
	v_perm_b32 v22, v19, v18, s39
	ds_write2_b64 v100, v[20:21], v[22:23] offset0:32 offset1:48
	v_mov_b32_e32 v18, 0
	v_mov_b32_e32 v19, 0
	;; [unrolled: 1-line block ×13, first 2 shown]
	s_cbranch_vccnz .LBB79_14
; %bb.13:                               ;   in Loop: Header=BB79_6 Depth=1
	s_and_b32 s29, s29, 0xffff
	s_mov_b32 s31, s27
	buffer_load_dwordx4 v[30:33], v133, s[28:31], 0 offen
	buffer_load_dwordx4 v[22:25], v133, s[28:31], s58 offen
	;; [unrolled: 1-line block ×4, first 2 shown]
	v_mov_b32_e32 v149, v94
	v_mov_b32_e32 v150, v93
.LBB79_14:                              ;   in Loop: Header=BB79_6 Depth=1
	s_waitcnt lgkmcnt(0)
	s_barrier
	ds_read_b64 v[42:43], v138
	ds_read2_b64 v[34:37], v129 offset1:16
	ds_read_b64 v[168:169], v139
	ds_read_b64 v[170:171], v140
	;; [unrolled: 1-line block ×3, first 2 shown]
	ds_read2_b64 v[38:41], v129 offset0:32 offset1:48
	ds_read2st64_b64 v[152:155], v129 offset0:4 offset1:8
	ds_read2st64_b64 v[156:159], v130 offset0:4 offset1:8
	;; [unrolled: 1-line block ×4, first 2 shown]
	s_waitcnt lgkmcnt(8)
	v_mfma_f32_16x16x16_bf16 a[0:3], v[42:43], v[34:35], 0
	s_add_i32 s3, s52, s67
	s_mul_hi_i32 s25, s3, s17
	s_mul_i32 s3, s3, s17
	v_mfma_f32_16x16x16_bf16 a[4:7], v[42:43], v[36:37], 0
	s_add_u32 s24, s3, s33
	s_addc_u32 s25, s25, s56
	s_add_i32 s3, s37, s60
	s_waitcnt lgkmcnt(4)
	v_mfma_f32_16x16x16_bf16 a[8:11], v[42:43], v[38:39], 0
	s_lshl_b64 s[24:25], s[24:25], 15
	s_mul_hi_i32 s29, s3, s17
	s_mul_i32 s3, s3, s17
	v_mfma_f32_16x16x16_bf16 a[12:15], v[42:43], v[40:41], 0
	ds_read_b64 v[42:43], v129 offset:6144
	ds_read_b64 v[180:181], v130 offset:6144
	;; [unrolled: 1-line block ×4, first 2 shown]
	s_add_u32 s28, s3, s33
	s_waitcnt lgkmcnt(7)
	v_mfma_f32_16x16x16_bf16 a[0:3], v[168:169], v[152:153], a[0:3]
	s_addc_u32 s29, s29, s56
	s_lshl_b64 s[28:29], s[28:29], 9
	s_add_u32 s28, s42, s28
	s_waitcnt lgkmcnt(6)
	v_mfma_f32_16x16x16_bf16 a[4:7], v[168:169], v[156:157], a[4:7]
	s_addc_u32 s29, s43, s29
	v_lshl_add_u64 v[190:191], v[84:85], 0, s[24:25]
	s_waitcnt lgkmcnt(5)
	v_mfma_f32_16x16x16_bf16 a[8:11], v[168:169], v[160:161], a[8:11]
	s_waitcnt lgkmcnt(4)
	v_mfma_f32_16x16x16_bf16 a[12:15], v[168:169], v[164:165], a[12:15]
	ds_read_b64 v[168:169], v143
	ds_read_b64 v[178:179], v144
	;; [unrolled: 1-line block ×3, first 2 shown]
	s_waitcnt lgkmcnt(2)
	v_mfma_f32_16x16x16_bf16 a[16:19], v[168:169], v[34:35], 0
	v_mfma_f32_16x16x16_bf16 a[20:23], v[168:169], v[36:37], 0
	global_load_dwordx4 v[34:37], v142, s[28:29]
	v_mfma_f32_16x16x16_bf16 a[24:27], v[168:169], v[38:39], 0
	v_mfma_f32_16x16x16_bf16 a[28:31], v[168:169], v[40:41], 0
	global_load_dwordx4 v[38:41], v137, s[28:29]
	v_mfma_f32_16x16x16_bf16 a[0:3], v[170:171], v[154:155], a[0:3]
	v_mfma_f32_16x16x16_bf16 a[4:7], v[170:171], v[158:159], a[4:7]
	;; [unrolled: 1-line block ×8, first 2 shown]
	ds_read2st64_b64 v[168:171], v127 offset1:8
	ds_read2st64_b64 v[172:175], v128 offset1:8
	ds_read_b64 v[188:189], v135 offset:40960
	s_waitcnt lgkmcnt(2)
	v_mov_b32_e32 v176, v168
	v_mfma_f32_16x16x16_bf16 a[16:19], v[178:179], v[152:153], a[16:19]
	v_mov_b32_e32 v177, v169
	v_mfma_f32_16x16x16_bf16 a[20:23], v[178:179], v[156:157], a[20:23]
	v_mfma_f32_16x16x16_bf16 a[24:27], v[178:179], v[160:161], a[24:27]
	v_mfma_f32_16x16x16_bf16 a[28:31], v[178:179], v[164:165], a[28:31]
	v_add_co_u32_e32 v164, vcc, s64, v190
	s_waitcnt lgkmcnt(1)
	v_mov_b32_e32 v178, v172
	s_waitcnt lgkmcnt(0)
	v_mfma_f32_16x16x16_bf16 a[16:19], v[188:189], v[154:155], a[16:19]
	ds_read2st64_b64 v[152:155], v127 offset0:16 offset1:24
	v_addc_co_u32_e32 v165, vcc, 0, v191, vcc
	v_mfma_f32_16x16x16_bf16 a[20:23], v[188:189], v[158:159], a[20:23]
	ds_read2st64_b64 v[156:159], v128 offset0:16 offset1:24
	v_mov_b32_e32 v179, v173
	v_mov_b32_e32 v172, v170
	v_mfma_f32_16x16x16_bf16 a[32:35], v[188:189], v[162:163], a[24:27]
	v_mov_b32_e32 v173, v171
	s_waitcnt lgkmcnt(0)
	v_mov_b32_e32 v162, v156
	v_mov_b32_e32 v163, v157
	v_mfma_f32_16x16x16_bf16 a[36:39], v[188:189], v[166:167], a[28:31]
	v_mov_b32_e32 v156, v154
	v_mov_b32_e32 v157, v155
	;; [unrolled: 1-line block ×3, first 2 shown]
	v_mfma_f32_16x16x16_bf16 a[24:27], v[186:187], v[42:43], a[16:19]
	v_add_co_u32_e32 v42, vcc, s65, v190
	v_mov_b32_e32 v161, v153
	v_mfma_f32_16x16x16_bf16 a[28:31], v[186:187], v[180:181], a[20:23]
	v_addc_co_u32_e32 v43, vcc, 0, v191, vcc
	global_store_dwordx4 v[42:43], v[156:159], off
	v_mfma_f32_16x16x16_bf16 a[16:19], v[186:187], v[182:183], a[32:35]
	s_waitcnt vmcnt(2)
	v_mov_b32_e32 v44, v37
	v_mov_b32_e32 v43, v36
	;; [unrolled: 1-line block ×3, first 2 shown]
	v_mfma_f32_16x16x16_bf16 a[20:23], v[186:187], v[184:185], a[36:39]
	s_and_b64 vcc, exec, s[0:1]
	global_store_dwordx4 v[190:191], v[176:179], off
	global_store_dwordx4 v[164:165], v[172:175], off offset:-4096
	global_store_dwordx4 v[164:165], v[160:163], off
	s_cbranch_vccnz .LBB79_16
; %bb.15:                               ;   in Loop: Header=BB79_6 Depth=1
	v_lshrrev_b32_e32 v35, 3, v149
	v_and_b32_e32 v35, 6, v35
	v_xor_b32_e32 v36, v35, v150
	v_lshlrev_b32_e32 v36, 2, v36
	v_and_b32_e32 v37, 8, v149
	v_xor_b32_e32 v149, 0x440, v36
	v_cmp_eq_u32_e32 vcc, 0, v37
	v_perm_b32 v37, v22, v18, s61
	s_nop 0
	v_cndmask_b32_e32 v36, v149, v36, vcc
	v_lshl_or_b32 v35, v35, 10, v36
	v_perm_b32 v36, v30, v26, s61
	s_barrier
	ds_write2st64_b32 v35, v36, v37 offset0:128 offset1:160
	v_xor_b32_e32 v36, 8, v35
	v_perm_b32 v26, v30, v26, s62
	v_perm_b32 v18, v22, v18, s62
	v_add_u32_e32 v22, 0x80, v36
	ds_write2st64_b32 v22, v26, v18 offset0:128 offset1:160
	v_xor_b32_e32 v18, 16, v35
	v_perm_b32 v22, v31, v27, s61
	v_perm_b32 v26, v23, v19, s61
	ds_write2st64_b32 v18, v22, v26 offset0:129 offset1:161
	v_xor_b32_e32 v18, 24, v35
	v_perm_b32 v22, v31, v27, s62
	v_perm_b32 v19, v23, v19, s62
	v_add_u32_e32 v18, 0x80, v18
	ds_write2st64_b32 v18, v22, v19 offset0:129 offset1:161
	v_xor_b32_e32 v18, 32, v35
	v_perm_b32 v19, v32, v28, s61
	v_perm_b32 v22, v24, v20, s61
	;; [unrolled: 9-line block ×3, first 2 shown]
	ds_write2st64_b32 v18, v19, v20 offset0:131 offset1:163
	v_xor_b32_e32 v18, 56, v35
	v_perm_b32 v19, v33, v29, s62
	v_perm_b32 v20, v25, v21, s62
	v_add_u32_e32 v18, 0x80, v18
	ds_write2st64_b32 v18, v19, v20 offset0:131 offset1:163
	ds_write_b64 v148, v[14:15] offset:49152
	v_xor_b32_e32 v14, 8, v148
	ds_write_b64 v14, v[16:17] offset:49152
	ds_write_b64 v148, v[10:11] offset:57344
	;; [unrolled: 1-line block ×4, first 2 shown]
	v_xor_b32_e32 v6, 8, v147
	ds_write_b64 v6, v[8:9] offset:49152
	ds_write_b64 v147, v[2:3] offset:57344
	;; [unrolled: 1-line block ×3, first 2 shown]
.LBB79_16:                              ;   in Loop: Header=BB79_6 Depth=1
	v_mul_f32_e32 v26, s2, v146
	v_exp_f32_e32 v36, v26
	s_waitcnt vmcnt(4)
	v_mul_f32_e32 v26, 0x3fb8aa3b, v38
	v_exp_f32_e32 v38, v26
	v_mul_f32_e32 v26, 0x3fb8aa3b, v39
	v_exp_f32_e32 v39, v26
	;; [unrolled: 2-line block ×4, first 2 shown]
	v_accvgpr_read_b32 v5, a3
	v_accvgpr_read_b32 v4, a2
	;; [unrolled: 1-line block ×4, first 2 shown]
	v_pk_mul_f32 v[38:39], v[36:37], v[38:39] op_sel_hi:[0,1]
	v_pk_mul_f32 v[40:41], v[36:37], v[40:41] op_sel_hi:[0,1]
	v_pk_fma_f32 v[74:75], v[74:75], v[38:39], v[2:3]
	v_pk_fma_f32 v[76:77], v[76:77], v[40:41], v[4:5]
	v_mul_f32_e32 v2, 0x3fb8aa3b, v34
	v_mul_f32_e32 v3, 0x3fb8aa3b, v42
	;; [unrolled: 1-line block ×4, first 2 shown]
	v_exp_f32_e32 v2, v2
	v_exp_f32_e32 v3, v3
	v_exp_f32_e32 v4, v4
	v_exp_f32_e32 v5, v5
	v_accvgpr_read_b32 v9, a7
	v_accvgpr_read_b32 v13, a11
	;; [unrolled: 1-line block ×28, first 2 shown]
	v_pk_mul_f32 v[2:3], v[36:37], v[2:3] op_sel_hi:[0,1]
	v_pk_mul_f32 v[4:5], v[36:37], v[4:5] op_sel_hi:[0,1]
	s_add_i32 s60, s60, 64
	v_pk_fma_f32 v[66:67], v[38:39], v[66:67], v[6:7]
	v_pk_fma_f32 v[68:69], v[40:41], v[68:69], v[8:9]
	;; [unrolled: 1-line block ×13, first 2 shown]
	s_cmp_eq_u32 s49, s66
	v_pk_fma_f32 v[50:51], v[4:5], v[50:51], v[32:33]
	s_cbranch_scc1 .LBB79_18
; %bb.17:                               ;   in Loop: Header=BB79_6 Depth=1
	s_mov_b32 s67, s66
	s_branch .LBB79_6
.LBB79_18:
	s_lshl_b32 s42, s49, 6
	s_sub_i32 s43, s16, s42
	s_cmp_gt_i32 s43, 0
	s_cbranch_scc0 .LBB79_99
; %bb.19:
	s_ashr_i32 s39, s50, 31
	s_ashr_i32 s2, s42, 31
	s_cmpk_lg_i32 s19, 0x80
	s_cselect_b64 s[30:31], -1, 0
	s_and_b64 vcc, exec, s[30:31]
	s_cbranch_vccz .LBB79_21
; %bb.20:
	s_mul_i32 s1, s50, s16
	s_mul_hi_i32 s0, s50, s16
	s_add_u32 s1, s1, s42
	s_addc_u32 s0, s0, s2
	s_mul_i32 s3, s1, s51
	s_mul_hi_u32 s24, s1, s18
	s_add_i32 s3, s24, s3
	s_mul_i32 s0, s0, s18
	s_add_i32 s3, s3, s0
	s_mul_i32 s1, s1, s18
	s_ashr_i32 s0, s54, 31
	s_add_u32 s40, s1, s54
	s_addc_u32 s41, s3, s0
	s_cbranch_execz .LBB79_22
	s_branch .LBB79_23
.LBB79_21:
                                        ; implicit-def: $sgpr40_sgpr41
.LBB79_22:
	s_mul_hi_i32 s0, s50, s18
	s_mul_i32 s50, s50, s18
	s_ashr_i32 s1, s54, 31
	s_add_u32 s3, s50, s54
	s_addc_u32 s0, s0, s1
	s_mul_i32 s1, s3, s48
	s_mul_hi_u32 s18, s3, s16
	s_add_i32 s1, s18, s1
	s_mul_i32 s0, s0, s16
	s_add_i32 s1, s1, s0
	s_mul_i32 s3, s3, s16
	s_add_u32 s40, s3, s42
	s_addc_u32 s41, s1, s2
.LBB79_23:
	s_add_i32 s3, s52, s49
	s_ashr_i32 s18, s33, 31
	s_add_u32 s0, s47, s33
	s_addc_u32 s1, s53, s18
	s_mul_i32 s24, s0, s48
	s_mul_hi_u32 s25, s0, s16
	s_add_i32 s24, s25, s24
	s_mul_i32 s1, s1, s16
	s_add_i32 s24, s24, s1
	s_mul_i32 s0, s0, s16
	s_add_u32 s0, s0, s42
	v_lshlrev_b32_e32 v6, 6, v91
	v_lshlrev_b32_e32 v24, 2, v45
	s_addc_u32 s1, s24, s2
	s_mov_b32 s2, 0x7060302
	v_or_b32_e32 v9, v6, v24
	v_xor_b32_e32 v7, v91, v24
	v_perm_b32 v3, v77, v76, s2
	v_perm_b32 v2, v75, v74, s2
	;; [unrolled: 1-line block ×4, first 2 shown]
	v_lshlrev_b32_e32 v9, 1, v9
	v_xor_b32_e32 v8, v92, v24
	ds_write2st64_b64 v9, v[2:3], v[4:5] offset0:32 offset1:48
	v_lshlrev_b32_e32 v7, 1, v7
	v_lshlrev_b32_e32 v9, 8, v45
	v_or_b32_e32 v10, v7, v9
	v_lshlrev_b32_e32 v8, 1, v8
	ds_write_b64 v10, v[2:3]
	v_or_b32_e32 v2, v8, v9
	v_or_b32_e32 v9, 16, v45
	v_lshlrev_b32_e32 v23, 2, v9
	v_or_b32_e32 v10, v6, v23
	ds_write_b64 v2, v[4:5]
	v_perm_b32 v3, v69, v68, s2
	v_perm_b32 v2, v67, v66, s2
	;; [unrolled: 1-line block ×4, first 2 shown]
	v_lshlrev_b32_e32 v10, 1, v10
	v_lshlrev_b32_e32 v9, 8, v9
	ds_write2st64_b64 v10, v[2:3], v[4:5] offset0:32 offset1:48
	v_or_b32_e32 v10, v7, v9
	ds_write_b64 v10, v[2:3]
	v_or_b32_e32 v2, v8, v9
	v_or_b32_e32 v9, 32, v45
	v_lshlrev_b32_e32 v22, 2, v9
	v_or_b32_e32 v10, v6, v22
	s_lshl_b64 s[28:29], s[0:1], 8
	ds_write_b64 v2, v[4:5]
	v_perm_b32 v3, v61, v60, s2
	v_perm_b32 v2, v59, v58, s2
	;; [unrolled: 1-line block ×4, first 2 shown]
	v_lshlrev_b32_e32 v10, 1, v10
	v_lshlrev_b32_e32 v9, 8, v9
	s_add_u32 s0, s6, s28
	ds_write2st64_b64 v10, v[2:3], v[4:5] offset0:32 offset1:48
	v_or_b32_e32 v10, v7, v9
	s_addc_u32 s1, s7, s29
	ds_write_b64 v10, v[2:3]
	v_or_b32_e32 v2, v8, v9
	v_or_b32_e32 v9, 48, v45
	s_mul_hi_i32 s6, s3, s17
	s_mul_i32 s3, s3, s17
	ds_write_b64 v2, v[4:5]
	v_perm_b32 v3, v47, v46, s2
	v_perm_b32 v2, v53, v52, s2
	;; [unrolled: 1-line block ×4, first 2 shown]
	v_lshlrev_b32_e32 v19, 2, v9
	s_add_u32 s2, s3, s33
	v_or_b32_e32 v6, v6, v19
	s_addc_u32 s3, s6, s18
	v_lshlrev_b32_e32 v6, 1, v6
	s_ashr_i32 s37, s36, 31
	s_lshl_b64 s[2:3], s[2:3], 15
	ds_write2st64_b64 v6, v[2:3], v[4:5] offset0:32 offset1:48
	v_lshlrev_b32_e32 v6, 8, v9
	s_add_u32 s6, s12, s2
	v_or_b32_e32 v7, v7, v6
	s_addc_u32 s7, s13, s3
	s_lshl_b64 s[2:3], s[36:37], 8
	ds_write_b64 v7, v[2:3]
	v_or_b32_e32 v2, v8, v6
	s_add_u32 s2, s6, s2
	v_lshlrev_b32_e32 v3, 1, v45
	ds_write_b64 v2, v[4:5]
	v_lshrrev_b32_e32 v2, 4, v0
	s_addc_u32 s3, s7, s3
	v_or_b32_e32 v4, 1, v3
	v_lshlrev_b32_e32 v10, 4, v45
	v_mov_b32_e32 v11, 0
	v_xor_b32_e32 v3, v2, v3
	v_xor_b32_e32 v6, v4, v2
	v_lshl_add_u64 v[12:13], s[2:3], 0, v[10:11]
	v_lshlrev_b32_e32 v10, 8, v2
	v_lshl_or_b32 v16, v3, 3, v10
	v_lshl_or_b32 v17, v6, 3, v10
	s_waitcnt lgkmcnt(0)
	s_barrier
	ds_read2st64_b64 v[2:5], v16 offset1:8
	ds_read2st64_b64 v[6:9], v17 offset1:8
	v_lshl_add_u64 v[14:15], v[12:13], 0, v[10:11]
	s_movk_i32 s2, 0x2000
	s_cmp_lg_u32 s43, 64
	s_waitcnt lgkmcnt(1)
	v_mov_b32_e32 v10, v2
	v_mov_b32_e32 v11, v3
	s_waitcnt lgkmcnt(0)
	v_mov_b32_e32 v12, v6
	v_mov_b32_e32 v13, v7
	global_store_dwordx4 v[14:15], v[10:13], off
	v_mov_b32_e32 v6, v4
	v_mov_b32_e32 v7, v5
	ds_read2st64_b64 v[2:5], v16 offset0:16 offset1:24
	ds_read2st64_b64 v[10:13], v17 offset0:16 offset1:24
	v_add_co_u32_e32 v16, vcc, s2, v14
	s_cselect_b64 s[6:7], -1, 0
	s_nop 0
	v_addc_co_u32_e32 v17, vcc, 0, v15, vcc
	global_store_dwordx4 v[16:17], v[6:9], off offset:-4096
	v_lshl_or_b32 v25, v87, 3, v90
	s_mov_b32 s24, 0
	s_waitcnt lgkmcnt(1)
	v_mov_b32_e32 v6, v2
	v_add_co_u32_e32 v2, vcc, 0x3000, v14
	v_mov_b32_e32 v7, v3
	s_nop 0
	v_addc_co_u32_e32 v3, vcc, 0, v15, vcc
	s_waitcnt lgkmcnt(0)
	v_mov_b32_e32 v8, v10
	v_mov_b32_e32 v9, v11
	;; [unrolled: 1-line block ×4, first 2 shown]
	v_or_b32_e32 v20, 32, v25
	v_and_b32_e32 v18, 56, v89
	s_and_b64 vcc, exec, s[6:7]
	global_store_dwordx4 v[16:17], v[6:9], off
	global_store_dwordx4 v[2:3], v[10:13], off
	s_cbranch_vccz .LBB79_29
; %bb.24:
	s_mov_b32 s25, s24
	s_mov_b32 s26, s24
	;; [unrolled: 1-line block ×3, first 2 shown]
	v_mov_b64_e32 v[6:7], s[24:25]
	v_mov_b64_e32 v[8:9], s[26:27]
	;; [unrolled: 1-line block ×3, first 2 shown]
	v_cmp_gt_i32_e32 vcc, s43, v25
	v_mov_b64_e32 v[4:5], v[8:9]
	s_and_saveexec_b64 s[2:3], vcc
	s_cbranch_execz .LBB79_26
; %bb.25:
	v_lshlrev_b32_e32 v2, 8, v25
	v_mov_b32_e32 v3, 0
	v_lshl_add_u64 v[4:5], s[0:1], 0, v[2:3]
	v_lshlrev_b32_e32 v2, 1, v18
	v_lshl_add_u64 v[10:11], v[4:5], 0, v[2:3]
	global_load_dwordx4 v[6:9], v[10:11], off
	global_load_dwordx4 v[2:5], v[10:11], off offset:128
.LBB79_26:
	s_or_b64 exec, exec, s[2:3]
	s_mov_b32 s25, s24
	s_mov_b32 s26, s24
	;; [unrolled: 1-line block ×3, first 2 shown]
	v_mov_b64_e32 v[14:15], s[24:25]
	v_mov_b64_e32 v[16:17], s[26:27]
	;; [unrolled: 1-line block ×3, first 2 shown]
	v_cmp_gt_i32_e32 vcc, s43, v20
	v_lshlrev_b32_e32 v21, 7, v20
	v_mov_b64_e32 v[12:13], v[16:17]
	s_and_saveexec_b64 s[2:3], vcc
	s_cbranch_execz .LBB79_28
; %bb.27:
	v_lshlrev_b32_e32 v10, 1, v21
	v_mov_b32_e32 v11, 0
	v_lshl_add_u64 v[12:13], s[0:1], 0, v[10:11]
	v_lshlrev_b32_e32 v10, 1, v18
	v_lshl_add_u64 v[26:27], v[12:13], 0, v[10:11]
	global_load_dwordx4 v[14:17], v[26:27], off
	global_load_dwordx4 v[10:13], v[26:27], off offset:128
.LBB79_28:
	s_or_b64 exec, exec, s[2:3]
	v_lshrrev_b32_e32 v26, 3, v18
	v_lshlrev_b32_e32 v27, 3, v25
	v_or_b32_e32 v26, v27, v26
	v_lshlrev_b32_e32 v26, 4, v26
	v_and_b32_e32 v27, 0x78, v27
	v_xor_b32_e32 v26, v26, v27
	s_branch .LBB79_31
.LBB79_29:
                                        ; implicit-def: $vgpr26
                                        ; implicit-def: $vgpr21
                                        ; implicit-def: $vgpr6_vgpr7_vgpr8_vgpr9
                                        ; implicit-def: $vgpr2_vgpr3_vgpr4_vgpr5
                                        ; implicit-def: $vgpr14_vgpr15_vgpr16_vgpr17
                                        ; implicit-def: $vgpr10_vgpr11_vgpr12_vgpr13
	s_cbranch_execz .LBB79_31
; %bb.30:
	s_waitcnt vmcnt(0)
	v_lshlrev_b32_e32 v2, 1, v18
	v_lshl_or_b32 v21, v25, 8, v2
	s_and_b32 s1, s1, 0xffff
	s_mov_b32 s3, 0x20000
	s_movk_i32 s2, 0x4000
	v_lshl_or_b32 v26, v20, 8, v2
	s_movk_i32 s12, 0x80
	buffer_load_dwordx4 v[6:9], v21, s[0:3], 0 offen
	buffer_load_dwordx4 v[2:5], v21, s[0:3], s12 offen
	;; [unrolled: 1-line block ×4, first 2 shown]
	v_lshrrev_b32_e32 v21, 3, v18
	v_lshlrev_b32_e32 v26, 3, v25
	v_or_b32_e32 v21, v26, v21
	v_lshlrev_b32_e32 v21, 4, v21
	v_and_b32_e32 v26, 0x78, v26
	v_xor_b32_e32 v26, v21, v26
	v_lshlrev_b32_e32 v21, 7, v20
.LBB79_31:
	s_movk_i32 s0, 0x1000
	v_and_or_b32 v20, v21, s0, v26
	s_waitcnt vmcnt(1)
	ds_write_b64 v26, v[6:7] offset:49152
	v_xor_b32_e32 v6, 8, v26
	ds_write_b64 v6, v[8:9] offset:49152
	s_waitcnt vmcnt(0)
	ds_write_b64 v26, v[2:3] offset:57344
	ds_write_b64 v6, v[4:5] offset:57344
	;; [unrolled: 1-line block ×3, first 2 shown]
	v_xor_b32_e32 v2, 8, v20
	ds_write_b64 v2, v[16:17] offset:49152
	ds_write_b64 v20, v[10:11] offset:57344
	;; [unrolled: 1-line block ×3, first 2 shown]
	v_or_b32_e32 v2, v1, v45
	v_lshlrev_b32_e32 v3, 11, v87
	v_lshlrev_b32_e32 v2, 3, v2
	v_and_b32_e32 v6, 0x1000, v3
	v_lshrrev_b32_e32 v3, 5, v86
	s_movk_i32 s0, 0xf8
	v_and_or_b32 v3, v2, s0, v3
	v_lshlrev_b32_e32 v7, 4, v3
	v_and_b32_e32 v8, 0x78, v2
	v_or_b32_e32 v10, 32, v7
	v_lshrrev_b32_e32 v3, 1, v86
	v_xor_b32_e32 v10, v10, v8
	v_xor_b32_e32 v2, v7, v8
	v_and_b32_e32 v9, 8, v3
	v_or_b32_e32 v10, v10, v6
	v_or_b32_e32 v2, v2, v6
	v_xor_b32_e32 v28, v10, v9
	v_or_b32_e32 v10, 64, v7
	v_xor_b32_e32 v27, v2, v9
	v_xor_b32_e32 v10, v10, v8
	s_waitcnt lgkmcnt(0)
	s_barrier
	v_or_b32_e32 v13, v10, v6
	ds_read_b64 v[10:11], v27 offset:49152
	v_lshl_or_b32 v14, v88, 8, v24
	v_lshlrev_b32_e32 v26, 1, v14
	v_add_u32_e32 v12, 0x4000, v26
	ds_read2_b64 v[2:5], v12 offset1:16
	v_or_b32_e32 v7, 0x60, v7
	v_xor_b32_e32 v7, v7, v8
	v_or_b32_e32 v6, v7, v6
	v_xor_b32_e32 v29, v13, v9
	v_xor_b32_e32 v30, v6, v9
	ds_read_b64 v[20:21], v28 offset:49152
	ds_read_b64 v[34:35], v29 offset:49152
	;; [unrolled: 1-line block ×3, first 2 shown]
	s_waitcnt lgkmcnt(3)
	v_mfma_f32_16x16x16_bf16 a[0:3], v[10:11], v[2:3], 0
	ds_read2_b64 v[6:9], v12 offset0:32 offset1:48
	s_lshl_b64 s[0:1], s[40:41], 8
	s_add_u32 s4, s4, s0
	v_mfma_f32_16x16x16_bf16 a[4:7], v[10:11], v[4:5], 0
	ds_read2st64_b64 v[2:5], v26 offset0:36 offset1:40
	s_addc_u32 s5, s5, s1
	s_add_i32 s2, s16, -1
	s_waitcnt lgkmcnt(1)
	v_mfma_f32_16x16x16_bf16 a[8:11], v[10:11], v[6:7], 0
	v_or_b32_e32 v6, 64, v14
	v_lshlrev_b32_e32 v31, 1, v6
	s_add_i32 s0, s46, s21
	s_waitcnt lgkmcnt(0)
	v_mfma_f32_16x16x16_bf16 a[0:3], v[20:21], v[2:3], a[0:3]
	v_or_b32_e32 v2, 0x80, v14
	v_lshlrev_b32_e32 v32, 1, v2
	v_or_b32_e32 v2, 0xc0, v14
	v_mfma_f32_16x16x16_bf16 a[12:15], v[10:11], v[8:9], 0
	ds_read2st64_b64 v[6:9], v31 offset0:36 offset1:40
	v_lshlrev_b32_e32 v33, 1, v2
	ds_read2st64_b64 v[10:13], v32 offset0:36 offset1:40
	ds_read2st64_b64 v[14:17], v33 offset0:36 offset1:40
	s_mul_i32 s39, s39, s20
	s_add_i32 s39, s0, s39
	s_mul_i32 s0, s33, s23
	s_mul_hi_u32 s1, s33, s22
	s_ashr_i32 s3, s2, 31
	s_mul_i32 s12, s2, s35
	s_mul_hi_u32 s13, s2, s34
	s_waitcnt lgkmcnt(2)
	v_mfma_f32_16x16x16_bf16 a[4:7], v[20:21], v[6:7], a[4:7]
	s_add_i32 s0, s1, s0
	s_mul_i32 s1, s18, s22
	s_add_i32 s12, s13, s12
	s_mul_i32 s3, s3, s34
	s_waitcnt lgkmcnt(1)
	v_mfma_f32_16x16x16_bf16 a[8:11], v[20:21], v[10:11], a[8:11]
	s_add_i32 s1, s0, s1
	s_add_i32 s3, s12, s3
	s_lshl_b64 s[12:13], s[38:39], 2
	s_waitcnt lgkmcnt(0)
	v_mfma_f32_16x16x16_bf16 a[12:15], v[20:21], v[14:15], a[12:15]
	s_mul_i32 s0, s33, s22
	s_add_u32 s10, s10, s12
	s_addc_u32 s11, s11, s13
	s_lshl_b64 s[0:1], s[0:1], 2
	v_mfma_f32_16x16x16_bf16 a[0:3], v[34:35], v[4:5], a[0:3]
	s_mul_i32 s2, s2, s34
	ds_read_b64 v[2:3], v26 offset:22528
	s_add_u32 s10, s10, s0
	v_mfma_f32_16x16x16_bf16 a[4:7], v[34:35], v[8:9], a[4:7]
	ds_read_b64 v[4:5], v31 offset:22528
	ds_read_b64 v[6:7], v32 offset:22528
	;; [unrolled: 1-line block ×3, first 2 shown]
	s_addc_u32 s11, s11, s1
	s_lshl_b64 s[0:1], s[2:3], 2
	v_mfma_f32_16x16x16_bf16 a[8:11], v[34:35], v[12:13], a[8:11]
	s_add_u32 s0, s10, s0
	s_addc_u32 s1, s11, s1
	s_load_dword s12, s[0:1], 0x0
	v_mfma_f32_16x16x16_bf16 a[12:15], v[34:35], v[16:17], a[12:15]
	s_and_b64 vcc, exec, s[30:31]
	s_waitcnt lgkmcnt(0)
	v_mfma_f32_16x16x16_bf16 a[0:3], v[36:37], v[2:3], a[0:3]
	v_mfma_f32_16x16x16_bf16 a[4:7], v[36:37], v[4:5], a[4:7]
	;; [unrolled: 1-line block ×4, first 2 shown]
	s_cbranch_vccz .LBB79_42
; %bb.32:
	v_lshlrev_b32_e32 v20, 1, v25
	s_and_b64 vcc, exec, s[6:7]
	s_cbranch_vccz .LBB79_43
; %bb.33:
	v_cmp_gt_i32_e32 vcc, s43, v20
	v_mov_b32_e32 v6, 0
	v_mov_b32_e32 v2, 0
	;; [unrolled: 1-line block ×5, first 2 shown]
	s_and_saveexec_b64 s[0:1], vcc
	s_cbranch_execz .LBB79_35
; %bb.34:
	v_mad_i64_i32 v[2:3], s[2:3], s19, v20, 0
	v_lshl_add_u64 v[2:3], v[2:3], 1, s[4:5]
	v_lshlrev_b32_e32 v4, 1, v18
	v_mov_b32_e32 v5, 0
	v_lshl_add_u64 v[2:3], v[2:3], 0, v[4:5]
	global_load_dwordx4 v[2:5], v[2:3], off
.LBB79_35:
	s_or_b64 exec, exec, s[0:1]
	v_or_b32_e32 v21, 1, v20
	v_cmp_gt_i32_e64 s[0:1], s43, v21
	v_mov_b32_e32 v7, 0
	v_mov_b32_e32 v8, 0
	;; [unrolled: 1-line block ×3, first 2 shown]
	s_and_saveexec_b64 s[2:3], s[0:1]
	s_cbranch_execz .LBB79_37
; %bb.36:
	v_mad_i64_i32 v[6:7], s[16:17], s19, v21, 0
	v_lshl_add_u64 v[6:7], v[6:7], 1, s[4:5]
	v_lshlrev_b32_e32 v8, 1, v18
	v_mov_b32_e32 v9, 0
	v_lshl_add_u64 v[6:7], v[6:7], 0, v[8:9]
	global_load_dwordx4 v[6:9], v[6:7], off
.LBB79_37:
	s_or_b64 exec, exec, s[2:3]
	v_mov_b32_e32 v17, 0
	v_mov_b32_e32 v10, 0
	;; [unrolled: 1-line block ×5, first 2 shown]
	s_and_saveexec_b64 s[2:3], vcc
	s_cbranch_execz .LBB79_39
; %bb.38:
	v_mad_i64_i32 v[10:11], s[16:17], s19, v20, 0
	v_lshl_add_u64 v[10:11], v[10:11], 1, s[4:5]
	v_lshlrev_b32_e32 v12, 1, v18
	v_mov_b32_e32 v13, 0
	v_lshl_add_u64 v[10:11], v[10:11], 0, v[12:13]
	global_load_dwordx4 v[10:13], v[10:11], off offset:128
.LBB79_39:
	s_or_b64 exec, exec, s[2:3]
	v_mov_b32_e32 v16, 0
	v_mov_b32_e32 v15, 0
	;; [unrolled: 1-line block ×3, first 2 shown]
	s_and_saveexec_b64 s[2:3], s[0:1]
	s_cbranch_execz .LBB79_41
; %bb.40:
	v_mad_i64_i32 v[14:15], s[0:1], s19, v21, 0
	v_lshl_add_u64 v[14:15], v[14:15], 1, s[4:5]
	v_lshlrev_b32_e32 v16, 1, v18
	v_mov_b32_e32 v17, 0
	v_lshl_add_u64 v[14:15], v[14:15], 0, v[16:17]
	global_load_dwordx4 v[14:17], v[14:15], off offset:128
.LBB79_41:
	s_or_b64 exec, exec, s[2:3]
	s_branch .LBB79_45
.LBB79_42:
                                        ; implicit-def: $vgpr5
                                        ; implicit-def: $vgpr9
                                        ; implicit-def: $vgpr13
                                        ; implicit-def: $vgpr17
	v_lshrrev_b32_e32 v34, 2, v86
	s_branch .LBB79_46
.LBB79_43:
                                        ; implicit-def: $vgpr5
                                        ; implicit-def: $vgpr9
                                        ; implicit-def: $vgpr13
                                        ; implicit-def: $vgpr17
	s_cbranch_execz .LBB79_45
; %bb.44:
	s_waitcnt vmcnt(0)
	v_mad_u64_u32 v[2:3], s[0:1], v20, s19, v[18:19]
	v_lshlrev_b32_e32 v20, 1, v2
	s_lshl_b32 s2, s19, 7
	s_and_b32 s1, s5, 0xffff
	s_mov_b32 s3, 0x20000
	s_mov_b32 s0, s4
	v_add_lshl_u32 v21, v2, s19, 1
	s_movk_i32 s13, 0x80
	buffer_load_dwordx4 v[2:5], v20, s[0:3], 0 offen
	buffer_load_dwordx4 v[10:13], v20, s[0:3], s13 offen
	;; [unrolled: 1-line block ×4, first 2 shown]
.LBB79_45:
	v_lshrrev_b32_e32 v34, 2, v86
	s_cbranch_execnz .LBB79_58
.LBB79_46:
	s_and_b64 vcc, exec, s[6:7]
	s_cbranch_vccz .LBB79_56
; %bb.47:
	s_waitcnt vmcnt(0)
	v_lshlrev_b32_e32 v7, 1, v25
	v_cmp_gt_i32_e32 vcc, s43, v7
	v_mov_b32_e32 v6, 0
	v_lshlrev_b32_e32 v14, 9, v25
	v_mov_b32_e32 v2, 0
	v_mov_b32_e32 v3, 0
	;; [unrolled: 1-line block ×4, first 2 shown]
	s_and_saveexec_b64 s[0:1], vcc
	s_cbranch_execz .LBB79_49
; %bb.48:
	v_mov_b32_e32 v15, 0
	v_lshl_add_u64 v[2:3], s[4:5], 0, v[14:15]
	v_lshlrev_b32_e32 v4, 1, v18
	v_mov_b32_e32 v5, v15
	v_lshl_add_u64 v[2:3], v[2:3], 0, v[4:5]
	global_load_dwordx4 v[2:5], v[2:3], off
.LBB79_49:
	s_or_b64 exec, exec, s[0:1]
	v_or_b32_e32 v7, 1, v7
	v_cmp_gt_i32_e64 s[0:1], s43, v7
	v_lshlrev_b32_e32 v20, 8, v7
	v_mov_b32_e32 v7, 0
	v_mov_b32_e32 v8, 0
	;; [unrolled: 1-line block ×3, first 2 shown]
	s_and_saveexec_b64 s[2:3], s[0:1]
	s_cbranch_execz .LBB79_51
; %bb.50:
	v_mov_b32_e32 v21, 0
	v_lshl_add_u64 v[6:7], s[4:5], 0, v[20:21]
	v_lshlrev_b32_e32 v8, 1, v18
	v_mov_b32_e32 v9, v21
	v_lshl_add_u64 v[6:7], v[6:7], 0, v[8:9]
	global_load_dwordx4 v[6:9], v[6:7], off
.LBB79_51:
	s_or_b64 exec, exec, s[2:3]
	v_mov_b32_e32 v17, 0
	v_mov_b32_e32 v10, 0
	;; [unrolled: 1-line block ×5, first 2 shown]
	s_and_saveexec_b64 s[2:3], vcc
	s_cbranch_execz .LBB79_53
; %bb.52:
	v_mov_b32_e32 v15, 0
	v_lshl_add_u64 v[10:11], s[4:5], 0, v[14:15]
	v_lshlrev_b32_e32 v14, 1, v18
	v_lshl_add_u64 v[10:11], v[10:11], 0, v[14:15]
	global_load_dwordx4 v[10:13], v[10:11], off offset:128
.LBB79_53:
	s_or_b64 exec, exec, s[2:3]
	v_mov_b32_e32 v16, 0
	v_mov_b32_e32 v15, 0
	v_mov_b32_e32 v14, 0
	s_and_saveexec_b64 s[2:3], s[0:1]
	s_cbranch_execz .LBB79_55
; %bb.54:
	v_mov_b32_e32 v21, 0
	v_lshl_add_u64 v[14:15], s[4:5], 0, v[20:21]
	v_lshlrev_b32_e32 v20, 1, v18
	v_lshl_add_u64 v[14:15], v[14:15], 0, v[20:21]
	global_load_dwordx4 v[14:17], v[14:15], off offset:128
.LBB79_55:
	s_or_b64 exec, exec, s[2:3]
	s_branch .LBB79_58
.LBB79_56:
                                        ; implicit-def: $vgpr5
                                        ; implicit-def: $vgpr9
                                        ; implicit-def: $vgpr13
                                        ; implicit-def: $vgpr17
	s_cbranch_execz .LBB79_58
; %bb.57:
	s_waitcnt vmcnt(0)
	v_lshlrev_b32_e32 v2, 1, v18
	v_lshl_or_b32 v18, v25, 9, v2
	s_and_b32 s5, s5, 0xffff
	s_mov_b32 s7, 0x20000
	s_movk_i32 s6, 0x4000
	s_movk_i32 s0, 0x80
	buffer_load_dwordx4 v[2:5], v18, s[4:7], 0 offen
	buffer_load_dwordx4 v[6:9], v18, s[4:7], 0 offen offset:256
	buffer_load_dwordx4 v[10:13], v18, s[4:7], s0 offen
	buffer_load_dwordx4 v[14:17], v18, s[4:7], s0 offen offset:256
.LBB79_58:
	ds_read_b64 v[20:21], v27 offset:57344
	v_add_u32_e32 v18, 0x6000, v26
	ds_read2_b64 v[36:39], v18 offset1:16
	ds_read_b64 v[54:55], v28 offset:57344
	ds_read_b64 v[28:29], v29 offset:57344
	ds_read_b64 v[56:57], v30 offset:57344
	ds_read2st64_b64 v[40:43], v26 offset0:52 offset1:56
	s_mov_b32 s0, 0x1000504
	s_mov_b32 s1, 0x3020706
	s_waitcnt lgkmcnt(4)
	v_mfma_f32_16x16x16_bf16 a[0:3], v[20:21], v[36:37], a[0:3]
	v_mfma_f32_16x16x16_bf16 a[4:7], v[20:21], v[38:39], a[4:7]
	ds_read2_b64 v[36:39], v18 offset0:32 offset1:48
	v_and_b32_e32 v18, 6, v0
	v_xor_b32_e32 v25, v25, v18
	s_waitcnt lgkmcnt(0)
	v_mfma_f32_16x16x16_bf16 a[8:11], v[20:21], v[36:37], a[8:11]
	v_lshlrev_b32_e32 v25, 2, v25
	v_and_b32_e32 v0, 1, v0
	v_xor_b32_e32 v35, 0x440, v25
	v_mfma_f32_16x16x16_bf16 a[12:15], v[20:21], v[38:39], a[12:15]
	ds_read2st64_b64 v[36:39], v31 offset0:52 offset1:56
	ds_read2st64_b64 v[46:49], v32 offset0:52 offset1:56
	;; [unrolled: 1-line block ×3, first 2 shown]
	v_cmp_eq_u32_e32 vcc, 0, v0
	ds_read_b64 v[20:21], v26 offset:30720
	ds_read_b64 v[26:27], v31 offset:30720
	;; [unrolled: 1-line block ×4, first 2 shown]
	v_mfma_f32_16x16x16_bf16 a[0:3], v[54:55], v[40:41], a[0:3]
	v_cndmask_b32_e32 v0, v35, v25, vcc
	v_lshl_or_b32 v0, v18, 10, v0
	s_waitcnt vmcnt(0)
	v_perm_b32 v18, v2, v6, s0
	s_waitcnt lgkmcnt(6)
	v_mfma_f32_16x16x16_bf16 a[4:7], v[54:55], v[36:37], a[4:7]
	v_perm_b32 v25, v10, v14, s0
	ds_write2st64_b32 v0, v18, v25 offset0:128 offset1:160
	v_xor_b32_e32 v18, 8, v0
	s_waitcnt lgkmcnt(6)
	v_mfma_f32_16x16x16_bf16 a[8:11], v[54:55], v[46:47], a[8:11]
	v_perm_b32 v2, v2, v6, s1
	v_perm_b32 v6, v10, v14, s1
	v_add_u32_e32 v10, 0x80, v18
	s_waitcnt lgkmcnt(5)
	v_mfma_f32_16x16x16_bf16 a[12:15], v[54:55], v[50:51], a[12:15]
	ds_write2st64_b32 v10, v2, v6 offset0:128 offset1:160
	v_xor_b32_e32 v2, 16, v0
	v_perm_b32 v6, v3, v7, s0
	v_mfma_f32_16x16x16_bf16 a[0:3], v[28:29], v[42:43], a[0:3]
	v_perm_b32 v10, v11, v15, s0
	ds_write2st64_b32 v2, v6, v10 offset0:129 offset1:161
	v_xor_b32_e32 v2, 24, v0
	v_mfma_f32_16x16x16_bf16 a[4:7], v[28:29], v[38:39], a[4:7]
	v_perm_b32 v3, v3, v7, s1
	v_perm_b32 v6, v11, v15, s1
	v_add_u32_e32 v2, 0x80, v2
	v_mfma_f32_16x16x16_bf16 a[16:19], v[28:29], v[48:49], a[8:11]
	ds_write2st64_b32 v2, v3, v6 offset0:129 offset1:161
	v_xor_b32_e32 v2, 32, v0
	v_perm_b32 v3, v4, v8, s0
	v_mfma_f32_16x16x16_bf16 a[20:23], v[28:29], v[52:53], a[12:15]
	v_perm_b32 v6, v12, v16, s0
	ds_write2st64_b32 v2, v3, v6 offset0:130 offset1:162
	v_xor_b32_e32 v2, 40, v0
	s_waitcnt lgkmcnt(8)
	v_mfma_f32_16x16x16_bf16 a[12:15], v[56:57], v[20:21], a[0:3]
	v_perm_b32 v3, v4, v8, s1
	v_perm_b32 v4, v12, v16, s1
	v_add_u32_e32 v2, 0x80, v2
	s_waitcnt lgkmcnt(7)
	v_mfma_f32_16x16x16_bf16 a[8:11], v[56:57], v[26:27], a[4:7]
	ds_write2st64_b32 v2, v3, v4 offset0:130 offset1:162
	v_xor_b32_e32 v2, 48, v0
	v_perm_b32 v3, v5, v9, s0
	s_waitcnt lgkmcnt(7)
	v_mfma_f32_16x16x16_bf16 a[4:7], v[56:57], v[30:31], a[16:19]
	v_perm_b32 v4, v13, v17, s0
	v_xor_b32_e32 v0, 56, v0
	v_and_or_b32 v21, v34, 12, v1
	s_waitcnt lgkmcnt(6)
	v_mfma_f32_16x16x16_bf16 a[0:3], v[56:57], v[32:33], a[20:23]
	ds_write2st64_b32 v2, v3, v4 offset0:131 offset1:163
	v_perm_b32 v2, v5, v9, s1
	v_perm_b32 v3, v13, v17, s1
	v_add_u32_e32 v0, 0x80, v0
	v_cmp_gt_i32_e32 vcc, s43, v21
	v_mov_b32_e32 v16, 0
	v_mov_b32_e32 v18, 0
	ds_write2st64_b32 v0, v2, v3 offset0:131 offset1:163
	s_and_saveexec_b64 s[0:1], vcc
	s_cbranch_execz .LBB79_60
; %bb.59:
	v_add_u32_e32 v0, s42, v21
	v_ashrrev_i32_e32 v1, 31, v0
	v_mul_lo_u32 v2, v1, s34
	v_mul_lo_u32 v3, v0, s35
	v_mad_u64_u32 v[0:1], s[2:3], v0, s34, 0
	v_add3_u32 v1, v1, v3, v2
	v_lshl_add_u64 v[0:1], v[0:1], 2, s[10:11]
	global_load_dword v0, v[0:1], off
	s_waitcnt vmcnt(0)
	v_sub_f32_e32 v0, s12, v0
	v_mul_f32_e32 v0, 0x3fb8aa3b, v0
	v_exp_f32_e32 v18, v0
.LBB79_60:
	s_or_b64 exec, exec, s[0:1]
	v_or_b32_e32 v10, 1, v21
	v_cmp_gt_i32_e64 s[0:1], s43, v10
	s_and_saveexec_b64 s[2:3], s[0:1]
	s_cbranch_execz .LBB79_62
; %bb.61:
	v_add_u32_e32 v0, s42, v10
	v_ashrrev_i32_e32 v1, 31, v0
	v_mul_lo_u32 v2, v1, s34
	v_mul_lo_u32 v3, v0, s35
	v_mad_u64_u32 v[0:1], s[4:5], v0, s34, 0
	v_add3_u32 v1, v1, v3, v2
	v_lshl_add_u64 v[0:1], v[0:1], 2, s[10:11]
	global_load_dword v0, v[0:1], off
	s_waitcnt vmcnt(0)
	v_sub_f32_e32 v0, s12, v0
	v_mul_f32_e32 v0, 0x3fb8aa3b, v0
	v_exp_f32_e32 v16, v0
.LBB79_62:
	s_or_b64 exec, exec, s[2:3]
	v_or_b32_e32 v12, 2, v21
	v_cmp_gt_i32_e64 s[2:3], s43, v12
	v_mov_b32_e32 v17, 0
	v_mov_b32_e32 v20, 0
	s_and_saveexec_b64 s[4:5], s[2:3]
	s_cbranch_execz .LBB79_64
; %bb.63:
	v_add_u32_e32 v0, s42, v12
	v_ashrrev_i32_e32 v1, 31, v0
	v_mul_lo_u32 v2, v1, s34
	v_mul_lo_u32 v3, v0, s35
	v_mad_u64_u32 v[0:1], s[6:7], v0, s34, 0
	v_add3_u32 v1, v1, v3, v2
	v_lshl_add_u64 v[0:1], v[0:1], 2, s[10:11]
	global_load_dword v0, v[0:1], off
	s_waitcnt vmcnt(0)
	v_sub_f32_e32 v0, s12, v0
	v_mul_f32_e32 v0, 0x3fb8aa3b, v0
	v_exp_f32_e32 v20, v0
.LBB79_64:
	s_or_b64 exec, exec, s[4:5]
	v_or_b32_e32 v14, 3, v21
	v_cmp_gt_i32_e64 s[4:5], s43, v14
	s_and_saveexec_b64 s[6:7], s[4:5]
	s_cbranch_execz .LBB79_66
; %bb.65:
	v_add_u32_e32 v0, s42, v14
	v_ashrrev_i32_e32 v1, 31, v0
	v_mul_lo_u32 v2, v1, s34
	v_mul_lo_u32 v3, v0, s35
	v_mad_u64_u32 v[0:1], s[16:17], v0, s34, 0
	v_add3_u32 v1, v1, v3, v2
	v_lshl_add_u64 v[0:1], v[0:1], 2, s[10:11]
	global_load_dword v0, v[0:1], off
	s_waitcnt vmcnt(0)
	v_sub_f32_e32 v0, s12, v0
	v_mul_f32_e32 v0, 0x3fb8aa3b, v0
	v_exp_f32_e32 v17, v0
.LBB79_66:
	s_or_b64 exec, exec, s[6:7]
	s_add_u32 s6, s8, s28
	v_or_b32_e32 v4, s36, v45
	s_addc_u32 s7, s9, s29
	s_add_u32 s8, s14, s28
	v_ashrrev_i32_e32 v5, 31, v4
	v_accvgpr_read_b32 v0, a12
	s_addc_u32 s9, s15, s29
	v_lshlrev_b64 v[4:5], 1, v[4:5]
	v_accvgpr_read_b32 v1, a13
	v_accvgpr_read_b32 v2, a14
	;; [unrolled: 1-line block ×3, first 2 shown]
	v_lshl_add_u64 v[6:7], s[6:7], 0, v[4:5]
	v_lshl_add_u64 v[4:5], s[8:9], 0, v[4:5]
	v_mov_b32_e32 v11, 0
	v_lshlrev_b32_e32 v8, 8, v21
	v_mov_b32_e32 v9, 0
	s_and_saveexec_b64 s[6:7], vcc
	s_cbranch_execz .LBB79_68
; %bb.67:
	v_mov_b32_e32 v9, 0
	v_lshl_add_u64 v[26:27], v[6:7], 0, v[8:9]
	global_load_ushort v13, v[26:27], off
	v_lshl_add_u64 v[26:27], v[4:5], 0, v[8:9]
	s_waitcnt vmcnt(0)
	v_lshlrev_b32_e32 v9, 16, v13
	v_sub_f32_e32 v0, v9, v0
	global_store_short_d16_hi v[26:27], v0, off
	v_mul_f32_e32 v0, v18, v0
	v_lshrrev_b32_e32 v9, 16, v0
.LBB79_68:
	s_or_b64 exec, exec, s[6:7]
	v_lshlrev_b32_e32 v10, 8, v10
	s_and_saveexec_b64 s[6:7], s[0:1]
	s_cbranch_execz .LBB79_70
; %bb.69:
	v_mov_b32_e32 v11, 0
	v_lshl_add_u64 v[26:27], v[6:7], 0, v[10:11]
	global_load_ushort v0, v[26:27], off
	v_lshl_add_u64 v[26:27], v[4:5], 0, v[10:11]
	s_waitcnt vmcnt(0)
	v_lshlrev_b32_e32 v0, 16, v0
	v_sub_f32_e32 v0, v0, v1
	global_store_short_d16_hi v[26:27], v0, off
	v_mul_f32_e32 v0, v16, v0
	v_lshrrev_b32_e32 v11, 16, v0
.LBB79_70:
	s_or_b64 exec, exec, s[6:7]
	v_mov_b32_e32 v15, 0
	v_lshlrev_b32_e32 v12, 8, v12
	v_mov_b32_e32 v13, 0
	s_and_saveexec_b64 s[6:7], s[2:3]
	s_cbranch_execz .LBB79_72
; %bb.71:
	v_mov_b32_e32 v13, 0
	v_lshl_add_u64 v[0:1], v[6:7], 0, v[12:13]
	global_load_ushort v25, v[0:1], off
	v_lshl_add_u64 v[0:1], v[4:5], 0, v[12:13]
	s_waitcnt vmcnt(0)
	v_lshlrev_b32_e32 v13, 16, v25
	v_sub_f32_e32 v2, v13, v2
	global_store_short_d16_hi v[0:1], v2, off
	v_mul_f32_e32 v0, v20, v2
	v_lshrrev_b32_e32 v13, 16, v0
.LBB79_72:
	s_or_b64 exec, exec, s[6:7]
	v_lshlrev_b32_e32 v14, 8, v14
	s_and_saveexec_b64 s[6:7], s[4:5]
	s_cbranch_execz .LBB79_74
; %bb.73:
	v_mov_b32_e32 v15, 0
	v_lshl_add_u64 v[0:1], v[6:7], 0, v[14:15]
	global_load_ushort v2, v[0:1], off
	v_lshl_add_u64 v[0:1], v[4:5], 0, v[14:15]
	s_waitcnt vmcnt(0)
	v_lshlrev_b32_e32 v2, 16, v2
	v_sub_f32_e32 v2, v2, v3
	global_store_short_d16_hi v[0:1], v2, off
	v_mul_f32_e32 v0, v17, v2
	v_lshrrev_b32_e32 v15, 16, v0
.LBB79_74:
	s_or_b64 exec, exec, s[6:7]
	v_lshlrev_b32_e32 v21, 6, v21
	s_mov_b32 s6, 0x5040100
	v_perm_b32 v26, v11, v9, s6
	v_or_b32_e32 v9, v21, v24
	v_accvgpr_read_b32 v0, a8
	v_perm_b32 v27, v15, v13, s6
	v_lshlrev_b32_e32 v9, 1, v9
	v_accvgpr_read_b32 v1, a9
	v_accvgpr_read_b32 v2, a10
	;; [unrolled: 1-line block ×3, first 2 shown]
	ds_write_b64 v9, v[26:27] offset:24576
	v_mov_b32_e32 v11, 0
	v_mov_b32_e32 v9, 0
	s_and_saveexec_b64 s[6:7], vcc
	s_cbranch_execz .LBB79_76
; %bb.75:
	v_mov_b32_e32 v9, 0
	v_lshl_add_u64 v[24:25], v[6:7], 0, v[8:9]
	global_load_ushort v13, v[24:25], off offset:32
	v_lshl_add_u64 v[24:25], v[4:5], 0, v[8:9]
	s_waitcnt vmcnt(0)
	v_lshlrev_b32_e32 v9, 16, v13
	v_sub_f32_e32 v0, v9, v0
	global_store_short_d16_hi v[24:25], v0, off offset:32
	v_mul_f32_e32 v0, v18, v0
	v_lshrrev_b32_e32 v9, 16, v0
.LBB79_76:
	s_or_b64 exec, exec, s[6:7]
	s_and_saveexec_b64 s[6:7], s[0:1]
	s_cbranch_execz .LBB79_78
; %bb.77:
	v_mov_b32_e32 v11, 0
	v_lshl_add_u64 v[24:25], v[6:7], 0, v[10:11]
	global_load_ushort v0, v[24:25], off offset:32
	v_lshl_add_u64 v[24:25], v[4:5], 0, v[10:11]
	s_waitcnt vmcnt(0)
	v_lshlrev_b32_e32 v0, 16, v0
	v_sub_f32_e32 v0, v0, v1
	global_store_short_d16_hi v[24:25], v0, off offset:32
	v_mul_f32_e32 v0, v16, v0
	v_lshrrev_b32_e32 v11, 16, v0
.LBB79_78:
	s_or_b64 exec, exec, s[6:7]
	v_mov_b32_e32 v15, 0
	v_mov_b32_e32 v13, 0
	s_and_saveexec_b64 s[6:7], s[2:3]
	s_cbranch_execz .LBB79_80
; %bb.79:
	v_mov_b32_e32 v13, 0
	v_lshl_add_u64 v[0:1], v[6:7], 0, v[12:13]
	global_load_ushort v24, v[0:1], off offset:32
	v_lshl_add_u64 v[0:1], v[4:5], 0, v[12:13]
	s_waitcnt vmcnt(0)
	v_lshlrev_b32_e32 v13, 16, v24
	v_sub_f32_e32 v2, v13, v2
	global_store_short_d16_hi v[0:1], v2, off offset:32
	v_mul_f32_e32 v0, v20, v2
	v_lshrrev_b32_e32 v13, 16, v0
.LBB79_80:
	s_or_b64 exec, exec, s[6:7]
	s_and_saveexec_b64 s[6:7], s[4:5]
	s_cbranch_execz .LBB79_82
; %bb.81:
	v_mov_b32_e32 v15, 0
	v_lshl_add_u64 v[0:1], v[6:7], 0, v[14:15]
	global_load_ushort v2, v[0:1], off offset:32
	v_lshl_add_u64 v[0:1], v[4:5], 0, v[14:15]
	s_waitcnt vmcnt(0)
	v_lshlrev_b32_e32 v2, 16, v2
	v_sub_f32_e32 v2, v2, v3
	global_store_short_d16_hi v[0:1], v2, off offset:32
	v_mul_f32_e32 v0, v17, v2
	v_lshrrev_b32_e32 v15, 16, v0
.LBB79_82:
	s_or_b64 exec, exec, s[6:7]
	s_mov_b32 s6, 0x5040100
	v_perm_b32 v24, v11, v9, s6
	v_or_b32_e32 v9, v21, v23
	v_accvgpr_read_b32 v0, a4
	v_perm_b32 v25, v15, v13, s6
	v_lshlrev_b32_e32 v9, 1, v9
	v_accvgpr_read_b32 v1, a5
	v_accvgpr_read_b32 v2, a6
	;; [unrolled: 1-line block ×3, first 2 shown]
	ds_write_b64 v9, v[24:25] offset:24576
	v_mov_b32_e32 v11, 0
	v_mov_b32_e32 v9, 0
	s_and_saveexec_b64 s[6:7], vcc
	s_cbranch_execz .LBB79_84
; %bb.83:
	v_mov_b32_e32 v9, 0
	v_lshl_add_u64 v[24:25], v[6:7], 0, v[8:9]
	global_load_ushort v13, v[24:25], off offset:64
	v_lshl_add_u64 v[24:25], v[4:5], 0, v[8:9]
	s_waitcnt vmcnt(0)
	v_lshlrev_b32_e32 v9, 16, v13
	v_sub_f32_e32 v0, v9, v0
	global_store_short_d16_hi v[24:25], v0, off offset:64
	v_mul_f32_e32 v0, v18, v0
	v_lshrrev_b32_e32 v9, 16, v0
.LBB79_84:
	s_or_b64 exec, exec, s[6:7]
	s_and_saveexec_b64 s[6:7], s[0:1]
	s_cbranch_execz .LBB79_86
; %bb.85:
	v_mov_b32_e32 v11, 0
	v_lshl_add_u64 v[24:25], v[6:7], 0, v[10:11]
	global_load_ushort v0, v[24:25], off offset:64
	v_lshl_add_u64 v[24:25], v[4:5], 0, v[10:11]
	s_waitcnt vmcnt(0)
	v_lshlrev_b32_e32 v0, 16, v0
	v_sub_f32_e32 v0, v0, v1
	global_store_short_d16_hi v[24:25], v0, off offset:64
	v_mul_f32_e32 v0, v16, v0
	v_lshrrev_b32_e32 v11, 16, v0
.LBB79_86:
	s_or_b64 exec, exec, s[6:7]
	v_mov_b32_e32 v15, 0
	v_mov_b32_e32 v13, 0
	s_and_saveexec_b64 s[6:7], s[2:3]
	s_cbranch_execz .LBB79_88
; %bb.87:
	v_mov_b32_e32 v13, 0
	v_lshl_add_u64 v[0:1], v[6:7], 0, v[12:13]
	global_load_ushort v23, v[0:1], off offset:64
	v_lshl_add_u64 v[0:1], v[4:5], 0, v[12:13]
	s_waitcnt vmcnt(0)
	v_lshlrev_b32_e32 v13, 16, v23
	v_sub_f32_e32 v2, v13, v2
	global_store_short_d16_hi v[0:1], v2, off offset:64
	v_mul_f32_e32 v0, v20, v2
	v_lshrrev_b32_e32 v13, 16, v0
.LBB79_88:
	s_or_b64 exec, exec, s[6:7]
	s_and_saveexec_b64 s[6:7], s[4:5]
	s_cbranch_execz .LBB79_90
; %bb.89:
	v_mov_b32_e32 v15, 0
	v_lshl_add_u64 v[0:1], v[6:7], 0, v[14:15]
	global_load_ushort v2, v[0:1], off offset:64
	v_lshl_add_u64 v[0:1], v[4:5], 0, v[14:15]
	s_waitcnt vmcnt(0)
	v_lshlrev_b32_e32 v2, 16, v2
	v_sub_f32_e32 v2, v2, v3
	global_store_short_d16_hi v[0:1], v2, off offset:64
	v_mul_f32_e32 v0, v17, v2
	v_lshrrev_b32_e32 v15, 16, v0
.LBB79_90:
	s_or_b64 exec, exec, s[6:7]
	s_mov_b32 s6, 0x5040100
	v_perm_b32 v24, v11, v9, s6
	v_or_b32_e32 v9, v21, v22
	v_accvgpr_read_b32 v0, a0
	v_perm_b32 v25, v15, v13, s6
	v_lshlrev_b32_e32 v9, 1, v9
	v_accvgpr_read_b32 v1, a1
	v_accvgpr_read_b32 v2, a2
	v_accvgpr_read_b32 v3, a3
	ds_write_b64 v9, v[24:25] offset:24576
	v_mov_b32_e32 v11, 0
	v_mov_b32_e32 v9, 0
	s_and_saveexec_b64 s[6:7], vcc
	s_cbranch_execz .LBB79_92
; %bb.91:
	v_mov_b32_e32 v9, 0
	v_lshl_add_u64 v[22:23], v[6:7], 0, v[8:9]
	global_load_ushort v13, v[22:23], off offset:96
	v_lshl_add_u64 v[8:9], v[4:5], 0, v[8:9]
	s_waitcnt vmcnt(0)
	v_lshlrev_b32_e32 v13, 16, v13
	v_sub_f32_e32 v0, v13, v0
	global_store_short_d16_hi v[8:9], v0, off offset:96
	v_mul_f32_e32 v0, v18, v0
	v_lshrrev_b32_e32 v9, 16, v0
.LBB79_92:
	s_or_b64 exec, exec, s[6:7]
	s_and_saveexec_b64 s[6:7], s[0:1]
	s_cbranch_execz .LBB79_94
; %bb.93:
	v_mov_b32_e32 v11, 0
	v_lshl_add_u64 v[22:23], v[6:7], 0, v[10:11]
	global_load_ushort v0, v[22:23], off offset:96
	v_lshl_add_u64 v[10:11], v[4:5], 0, v[10:11]
	s_waitcnt vmcnt(0)
	v_lshlrev_b32_e32 v0, 16, v0
	v_sub_f32_e32 v0, v0, v1
	global_store_short_d16_hi v[10:11], v0, off offset:96
	v_mul_f32_e32 v0, v16, v0
	v_lshrrev_b32_e32 v11, 16, v0
.LBB79_94:
	s_or_b64 exec, exec, s[6:7]
	v_mov_b32_e32 v0, 0
	v_mov_b32_e32 v1, 0
	s_and_saveexec_b64 s[0:1], s[2:3]
	s_cbranch_execz .LBB79_96
; %bb.95:
	v_mov_b32_e32 v13, 0
	v_lshl_add_u64 v[22:23], v[6:7], 0, v[12:13]
	global_load_ushort v1, v[22:23], off offset:96
	v_lshl_add_u64 v[12:13], v[4:5], 0, v[12:13]
	s_waitcnt vmcnt(0)
	v_lshlrev_b32_e32 v1, 16, v1
	v_sub_f32_e32 v1, v1, v2
	global_store_short_d16_hi v[12:13], v1, off offset:96
	v_mul_f32_e32 v1, v20, v1
	v_lshrrev_b32_e32 v1, 16, v1
.LBB79_96:
	s_or_b64 exec, exec, s[0:1]
	s_and_saveexec_b64 s[0:1], s[4:5]
	s_cbranch_execz .LBB79_98
; %bb.97:
	v_mov_b32_e32 v15, 0
	v_lshl_add_u64 v[6:7], v[6:7], 0, v[14:15]
	global_load_ushort v0, v[6:7], off offset:96
	v_lshl_add_u64 v[4:5], v[4:5], 0, v[14:15]
	s_waitcnt vmcnt(0)
	v_lshlrev_b32_e32 v0, 16, v0
	v_sub_f32_e32 v0, v0, v3
	global_store_short_d16_hi v[4:5], v0, off offset:96
	v_mul_f32_e32 v0, v17, v0
	v_lshrrev_b32_e32 v0, 16, v0
.LBB79_98:
	s_or_b64 exec, exec, s[0:1]
	s_mov_b32 s0, 0x5040100
	v_or_b32_e32 v2, v21, v19
	v_perm_b32 v1, v0, v1, s0
	v_perm_b32 v0, v11, v9, s0
	v_lshlrev_b32_e32 v2, 1, v2
	ds_write_b64 v2, v[0:1] offset:24576
	s_waitcnt lgkmcnt(0)
	s_barrier
.LBB79_99:
	s_endpgm
	.section	.rodata,"a",@progbits
	.p2align	6, 0x0
	.amdhsa_kernel _ZN12_GLOBAL__N_139chunk_gated_delta_rule_fwd_h_hip_kernelILi64ELb0ELb0ELb1ELb0ELb0ELb1ELb1ELb1EEEvPK12hip_bfloat16S3_S3_PKfS5_PKvPS1_S8_PvPKiSB_iiiiilll
		.amdhsa_group_segment_fixed_size 65536
		.amdhsa_private_segment_fixed_size 0
		.amdhsa_kernarg_size 136
		.amdhsa_user_sgpr_count 2
		.amdhsa_user_sgpr_dispatch_ptr 0
		.amdhsa_user_sgpr_queue_ptr 0
		.amdhsa_user_sgpr_kernarg_segment_ptr 1
		.amdhsa_user_sgpr_dispatch_id 0
		.amdhsa_user_sgpr_kernarg_preload_length 0
		.amdhsa_user_sgpr_kernarg_preload_offset 0
		.amdhsa_user_sgpr_private_segment_size 0
		.amdhsa_uses_dynamic_stack 0
		.amdhsa_enable_private_segment 0
		.amdhsa_system_sgpr_workgroup_id_x 1
		.amdhsa_system_sgpr_workgroup_id_y 1
		.amdhsa_system_sgpr_workgroup_id_z 0
		.amdhsa_system_sgpr_workgroup_info 0
		.amdhsa_system_vgpr_workitem_id 0
		.amdhsa_next_free_vgpr 232
		.amdhsa_next_free_sgpr 68
		.amdhsa_accum_offset 192
		.amdhsa_reserve_vcc 1
		.amdhsa_float_round_mode_32 0
		.amdhsa_float_round_mode_16_64 0
		.amdhsa_float_denorm_mode_32 3
		.amdhsa_float_denorm_mode_16_64 3
		.amdhsa_dx10_clamp 1
		.amdhsa_ieee_mode 1
		.amdhsa_fp16_overflow 0
		.amdhsa_tg_split 0
		.amdhsa_exception_fp_ieee_invalid_op 0
		.amdhsa_exception_fp_denorm_src 0
		.amdhsa_exception_fp_ieee_div_zero 0
		.amdhsa_exception_fp_ieee_overflow 0
		.amdhsa_exception_fp_ieee_underflow 0
		.amdhsa_exception_fp_ieee_inexact 0
		.amdhsa_exception_int_div_zero 0
	.end_amdhsa_kernel
	.section	.text._ZN12_GLOBAL__N_139chunk_gated_delta_rule_fwd_h_hip_kernelILi64ELb0ELb0ELb1ELb0ELb0ELb1ELb1ELb1EEEvPK12hip_bfloat16S3_S3_PKfS5_PKvPS1_S8_PvPKiSB_iiiiilll,"axG",@progbits,_ZN12_GLOBAL__N_139chunk_gated_delta_rule_fwd_h_hip_kernelILi64ELb0ELb0ELb1ELb0ELb0ELb1ELb1ELb1EEEvPK12hip_bfloat16S3_S3_PKfS5_PKvPS1_S8_PvPKiSB_iiiiilll,comdat
.Lfunc_end79:
	.size	_ZN12_GLOBAL__N_139chunk_gated_delta_rule_fwd_h_hip_kernelILi64ELb0ELb0ELb1ELb0ELb0ELb1ELb1ELb1EEEvPK12hip_bfloat16S3_S3_PKfS5_PKvPS1_S8_PvPKiSB_iiiiilll, .Lfunc_end79-_ZN12_GLOBAL__N_139chunk_gated_delta_rule_fwd_h_hip_kernelILi64ELb0ELb0ELb1ELb0ELb0ELb1ELb1ELb1EEEvPK12hip_bfloat16S3_S3_PKfS5_PKvPS1_S8_PvPKiSB_iiiiilll
                                        ; -- End function
	.section	.AMDGPU.csdata,"",@progbits
; Kernel info:
; codeLenInByte = 11608
; NumSgprs: 74
; NumVgprs: 192
; NumAgprs: 40
; TotalNumVgprs: 232
; ScratchSize: 0
; MemoryBound: 0
; FloatMode: 240
; IeeeMode: 1
; LDSByteSize: 65536 bytes/workgroup (compile time only)
; SGPRBlocks: 9
; VGPRBlocks: 28
; NumSGPRsForWavesPerEU: 74
; NumVGPRsForWavesPerEU: 232
; AccumOffset: 192
; Occupancy: 1
; WaveLimiterHint : 1
; COMPUTE_PGM_RSRC2:SCRATCH_EN: 0
; COMPUTE_PGM_RSRC2:USER_SGPR: 2
; COMPUTE_PGM_RSRC2:TRAP_HANDLER: 0
; COMPUTE_PGM_RSRC2:TGID_X_EN: 1
; COMPUTE_PGM_RSRC2:TGID_Y_EN: 1
; COMPUTE_PGM_RSRC2:TGID_Z_EN: 0
; COMPUTE_PGM_RSRC2:TIDIG_COMP_CNT: 0
; COMPUTE_PGM_RSRC3_GFX90A:ACCUM_OFFSET: 47
; COMPUTE_PGM_RSRC3_GFX90A:TG_SPLIT: 0
	.section	.text._ZN12_GLOBAL__N_139chunk_gated_delta_rule_fwd_h_hip_kernelILi64ELb0ELb0ELb0ELb0ELb0ELb1ELb1ELb1EEEvPK12hip_bfloat16S3_S3_PKfS5_PKvPS1_S8_PvPKiSB_iiiiilll,"axG",@progbits,_ZN12_GLOBAL__N_139chunk_gated_delta_rule_fwd_h_hip_kernelILi64ELb0ELb0ELb0ELb0ELb0ELb1ELb1ELb1EEEvPK12hip_bfloat16S3_S3_PKfS5_PKvPS1_S8_PvPKiSB_iiiiilll,comdat
	.globl	_ZN12_GLOBAL__N_139chunk_gated_delta_rule_fwd_h_hip_kernelILi64ELb0ELb0ELb0ELb0ELb0ELb1ELb1ELb1EEEvPK12hip_bfloat16S3_S3_PKfS5_PKvPS1_S8_PvPKiSB_iiiiilll ; -- Begin function _ZN12_GLOBAL__N_139chunk_gated_delta_rule_fwd_h_hip_kernelILi64ELb0ELb0ELb0ELb0ELb0ELb1ELb1ELb1EEEvPK12hip_bfloat16S3_S3_PKfS5_PKvPS1_S8_PvPKiSB_iiiiilll
	.p2align	8
	.type	_ZN12_GLOBAL__N_139chunk_gated_delta_rule_fwd_h_hip_kernelILi64ELb0ELb0ELb0ELb0ELb0ELb1ELb1ELb1EEEvPK12hip_bfloat16S3_S3_PKfS5_PKvPS1_S8_PvPKiSB_iiiiilll,@function
_ZN12_GLOBAL__N_139chunk_gated_delta_rule_fwd_h_hip_kernelILi64ELb0ELb0ELb0ELb0ELb0ELb1ELb1ELb1EEEvPK12hip_bfloat16S3_S3_PKfS5_PKvPS1_S8_PvPKiSB_iiiiilll: ; @_ZN12_GLOBAL__N_139chunk_gated_delta_rule_fwd_h_hip_kernelILi64ELb0ELb0ELb0ELb0ELb0ELb1ELb1ELb1EEEvPK12hip_bfloat16S3_S3_PKfS5_PKvPS1_S8_PvPKiSB_iiiiilll
; %bb.0:
	s_load_dwordx4 s[12:15], s[0:1], 0x5c
	s_load_dwordx2 s[36:37], s[0:1], 0x30
	s_abs_i32 s18, s3
	s_ashr_i32 s17, s3, 31
	s_load_dwordx8 s[4:11], s[0:1], 0x0
	s_waitcnt lgkmcnt(0)
	s_abs_i32 s16, s13
	v_cvt_f32_u32_e32 v1, s16
	s_sub_i32 s20, 0, s16
	s_ashr_i32 s19, s13, 31
	s_xor_b32 s17, s17, s19
	v_rcp_iflag_f32_e32 v1, v1
	v_lshrrev_b32_e32 v85, 6, v0
	v_bfe_u32 v86, v0, 4, 2
	v_lshlrev_b32_e32 v2, 2, v86
	v_mul_f32_e32 v1, 0x4f7ffffe, v1
	v_cvt_u32_f32_e32 v1, v1
	v_and_b32_e32 v84, 63, v0
	v_mov_b32_e32 v47, 0
	v_and_b32_e32 v45, 15, v0
	v_readfirstlane_b32 s21, v1
	s_mul_i32 s20, s20, s21
	s_mul_hi_u32 s20, s21, s20
	s_add_i32 s21, s21, s20
	s_mul_hi_u32 s20, s18, s21
	s_mul_i32 s21, s20, s16
	s_sub_i32 s18, s18, s21
	s_add_i32 s22, s20, 1
	s_sub_i32 s21, s18, s16
	s_cmp_ge_u32 s18, s16
	s_cselect_b32 s20, s22, s20
	s_cselect_b32 s18, s21, s18
	s_add_i32 s21, s20, 1
	s_cmp_ge_u32 s18, s16
	s_cselect_b32 s18, s21, s20
	s_abs_i32 s20, s14
	v_cvt_f32_u32_e32 v1, s20
	s_xor_b32 s18, s18, s17
	s_ashr_i32 s46, s12, 31
	s_sub_i32 s48, s18, s17
	v_rcp_iflag_f32_e32 v1, v1
	s_lshr_b32 s17, s46, 26
	s_add_i32 s17, s12, s17
	s_ashr_i32 s49, s14, 31
	v_mul_f32_e32 v1, 0x4f7ffffe, v1
	v_cvt_u32_f32_e32 v1, v1
	s_ashr_i32 s47, s17, 6
	s_xor_b32 s17, s19, s49
	s_sub_i32 s18, 0, s20
	v_readfirstlane_b32 s19, v1
	s_mul_i32 s18, s18, s19
	s_mul_hi_u32 s18, s19, s18
	s_add_i32 s19, s19, s18
	s_mul_hi_u32 s18, s16, s19
	s_mul_i32 s19, s18, s20
	s_mul_i32 s45, s48, s13
	s_sub_i32 s16, s16, s19
	s_sub_i32 s33, s3, s45
	s_add_i32 s3, s12, 63
	s_add_i32 s19, s18, 1
	s_sub_i32 s21, s16, s20
	s_cmp_ge_u32 s16, s20
	s_cselect_b32 s18, s19, s18
	s_cselect_b32 s16, s21, s16
	s_add_i32 s19, s18, 1
	s_cmp_ge_u32 s16, s20
	s_cselect_b32 s16, s19, s18
	s_xor_b32 s16, s16, s17
	s_sub_i32 s20, s16, s17
	s_abs_i32 s21, s20
	v_cvt_f32_u32_e32 v1, s21
	s_sub_i32 s23, 0, s21
	s_abs_i32 s22, s33
	s_xor_b32 s20, s33, s20
	v_rcp_iflag_f32_e32 v1, v1
	s_ashr_i32 s20, s20, 31
	s_load_dwordx2 s[28:29], s[0:1], 0x80
	s_load_dwordx4 s[16:19], s[0:1], 0x70
	s_mul_hi_i32 s51, s48, s13
	v_mul_f32_e32 v1, 0x4f7ffffe, v1
	v_cvt_u32_f32_e32 v1, v1
	v_lshrrev_b32_e32 v88, 3, v84
	v_lshlrev_b32_e32 v87, 3, v0
	s_waitcnt lgkmcnt(0)
	s_mul_i32 s17, s48, s17
	v_readfirstlane_b32 s24, v1
	s_mul_i32 s23, s23, s24
	s_mul_hi_u32 s23, s24, s23
	s_add_i32 s24, s24, s23
	s_mul_hi_u32 s23, s22, s24
	s_mul_i32 s24, s23, s21
	s_sub_i32 s22, s22, s24
	s_add_i32 s24, s23, 1
	s_sub_i32 s25, s22, s21
	s_cmp_ge_u32 s22, s21
	s_cselect_b32 s23, s24, s23
	s_cselect_b32 s22, s25, s22
	s_add_i32 s24, s23, 1
	s_cmp_ge_u32 s22, s21
	s_cselect_b32 s21, s24, s23
	s_xor_b32 s21, s21, s20
	s_sub_i32 s52, s21, s20
	s_ashr_i32 s20, s3, 31
	s_lshr_b32 s20, s20, 26
	v_lshlrev_b32_e32 v1, 4, v85
	s_add_i32 s3, s3, s20
	v_or_b32_e32 v89, v2, v1
	s_ashr_i32 s3, s3, 6
	s_lshl_b32 s30, s2, 6
	s_mul_i32 s50, s48, s3
	v_or_b32_e32 v90, 64, v89
	s_cmp_lt_i32 s12, 64
	s_mul_hi_u32 s44, s48, s16
	s_mul_i32 s34, s48, s16
	v_mov_b32_e32 v46, v47
	v_mov_b32_e32 v53, v47
	;; [unrolled: 1-line block ×31, first 2 shown]
	s_cbranch_scc1 .LBB80_18
; %bb.1:
	s_ashr_i32 s24, s48, 31
	s_ashr_i32 s54, s33, 31
	s_add_u32 s2, s45, s33
	s_addc_u32 s3, s51, s54
	s_mul_i32 s3, s12, s3
	s_mul_hi_u32 s20, s12, s2
	s_add_i32 s39, s20, s3
	s_mul_i32 s38, s12, s2
	s_lshl_b64 s[2:3], s[38:39], 8
	v_and_b32_e32 v92, 56, v87
	s_add_u32 s20, s6, s2
	v_lshl_or_b32 v91, v85, 3, v88
	v_lshlrev_b32_e32 v3, 1, v92
	s_addc_u32 s2, s7, s3
	v_lshl_or_b32 v93, v91, 8, v3
	s_and_b32 s21, s2, 0xffff
	s_mov_b32 s23, 0x20000
	s_movk_i32 s22, 0x4000
	s_movk_i32 s2, 0x80
	v_or_b32_e32 v94, 0x2000, v93
	buffer_load_dwordx4 v[4:7], v93, s[20:23], 0 offen
	buffer_load_dwordx4 v[8:11], v93, s[20:23], s2 offen
	;; [unrolled: 1-line block ×4, first 2 shown]
	v_lshlrev_b32_e32 v20, 3, v91
	v_and_or_b32 v22, v0, 7, v20
	v_and_b32_e32 v20, 0x78, v20
	v_lshlrev_b32_e32 v22, 4, v22
	v_xor_b32_e32 v95, v22, v20
	v_mul_lo_u32 v21, v91, s15
	v_or_b32_e32 v96, 0x1000, v95
	s_cmpk_eq_i32 s15, 0x80
	s_mov_b32 s53, s14
	v_xor_b32_e32 v20, 8, v95
	v_xor_b32_e32 v22, 8, v96
	s_cselect_b64 s[2:3], -1, 0
	s_cmpk_lg_i32 s15, 0x80
	s_waitcnt vmcnt(3)
	ds_write_b64 v95, v[4:5] offset:49152
	ds_write_b64 v20, v[6:7] offset:49152
	s_waitcnt vmcnt(2)
	ds_write_b64 v95, v[8:9] offset:57344
	ds_write_b64 v20, v[10:11] offset:57344
	;; [unrolled: 3-line block ×4, first 2 shown]
	v_lshl_add_u32 v4, v21, 1, v92
	s_cbranch_scc0 .LBB80_3
; %bb.2:
	v_lshlrev_b32_e32 v6, 1, v4
	v_add_lshl_u32 v5, v4, s15, 1
	s_lshl_b32 s22, s15, 7
	s_load_dwordx2 s[40:41], s[0:1], 0x20
	v_lshl_or_b32 v3, v91, 9, v3
	s_cbranch_execz .LBB80_4
	s_branch .LBB80_5
.LBB80_3:
                                        ; implicit-def: $vgpr5
                                        ; implicit-def: $vgpr6
                                        ; implicit-def: $sgpr22
	s_load_dwordx2 s[40:41], s[0:1], 0x20
	v_lshl_or_b32 v3, v91, 9, v3
.LBB80_4:
	v_or_b32_e32 v5, 0x100, v3
	s_movk_i32 s22, 0x4000
	v_mov_b32_e32 v6, v3
.LBB80_5:
	s_mul_hi_u32 s0, s14, s12
	s_mul_i32 s1, s49, s12
	s_add_i32 s0, s0, s1
	s_mul_i32 s1, s14, s12
	s_mul_i32 s20, s1, s24
	s_mul_hi_u32 s21, s1, s48
	s_add_i32 s20, s21, s20
	s_mul_i32 s0, s0, s48
	s_add_i32 s20, s20, s0
	s_mul_i32 s1, s1, s48
	s_ashr_i32 s55, s52, 31
	s_add_u32 s0, s1, s52
	s_addc_u32 s1, s20, s55
	s_lshl_b64 s[0:1], s[0:1], 8
	s_add_u32 s20, s4, s0
	s_addc_u32 s0, s5, s1
	s_and_b32 s21, s0, 0xffff
	s_movk_i32 s56, 0x80
	buffer_load_dwordx4 v[8:11], v6, s[20:23], 0 offen
	buffer_load_dwordx4 v[12:15], v6, s[20:23], s56 offen
	;; [unrolled: 1-line block ×4, first 2 shown]
	v_and_b32_e32 v5, 6, v0
	v_lshlrev_b32_e32 v6, 7, v89
	v_xor_b32_e32 v27, v91, v5
	v_and_b32_e32 v7, 1, v0
	v_lshl_or_b32 v30, v45, 3, v6
	v_lshlrev_b32_e32 v27, 2, v27
	v_or_b32_e32 v97, 0x4000, v30
	v_or_b32_e32 v98, 0x6000, v30
	v_xor_b32_e32 v30, 0x440, v27
	v_cmp_eq_u32_e32 vcc, 0, v7
	v_lshlrev_b32_e32 v24, 2, v45
	s_mov_b32 s59, 0x1000504
	v_cndmask_b32_e32 v7, v30, v27, vcc
	v_xor_b32_e32 v28, v89, v24
	v_xor_b32_e32 v29, v90, v24
	v_lshl_or_b32 v5, v5, 10, v7
	s_mov_b32 s60, 0x3020706
	s_mul_i32 s0, s24, s12
	s_mul_hi_u32 s1, s48, s12
	v_lshlrev_b32_e32 v25, 8, v45
	v_or_b32_e32 v26, 16, v45
	v_lshlrev_b32_e32 v28, 1, v28
	v_lshlrev_b32_e32 v29, 1, v29
	v_xor_b32_e32 v7, 8, v5
	v_xor_b32_e32 v27, 24, v5
	v_xor_b32_e32 v32, 40, v5
	v_xor_b32_e32 v34, 56, v5
	v_or_b32_e32 v100, v25, v28
	v_or_b32_e32 v101, v25, v29
	v_xor_b32_e32 v25, 16, v5
	v_xor_b32_e32 v30, 32, v5
	;; [unrolled: 1-line block ×3, first 2 shown]
	v_add_u32_e32 v7, 0x80, v7
	v_add_u32_e32 v27, 0x80, v27
	;; [unrolled: 1-line block ×4, first 2 shown]
	s_add_i32 s61, s1, s0
	s_add_i32 s0, s44, s17
	s_mul_i32 s24, s24, s16
	s_add_i32 s35, s0, s24
	s_mul_i32 s0, s33, s19
	s_mul_hi_u32 s1, s33, s18
	s_add_i32 s0, s1, s0
	s_mul_i32 s1, s54, s18
	s_add_i32 s1, s0, s1
	s_lshl_b64 s[20:21], s[34:35], 2
	s_mul_i32 s0, s33, s18
	s_add_u32 s20, s10, s20
	s_addc_u32 s21, s11, s21
	s_lshl_b64 s[0:1], s[0:1], 2
	s_add_u32 s42, s20, s0
	s_movk_i32 s0, 0xf8
	s_addc_u32 s43, s21, s1
	s_ashr_i32 s31, s30, 31
	s_lshl_b32 s26, s15, 7
	v_mov_b32_e32 v79, 0
	s_movk_i32 s20, 0x100
	v_lshlrev_b32_e32 v78, 4, v45
	s_mul_i32 s57, s48, s12
	v_lshl_or_b32 v31, v26, 3, v6
	s_mov_b32 s58, 0
	v_or_b32_e32 v99, 0x4000, v31
	s_movk_i32 s22, 0x4000
	v_or_b32_e32 v102, 0x6000, v31
	v_add_u32_e32 v134, v1, v2
	s_mov_b32 s35, 0x7060302
	s_movk_i32 s62, 0x2000
	s_movk_i32 s63, 0x3000
	v_mov_b32_e32 v144, 0x3fb8aa3b
	s_mov_b32 s65, 0
	v_mov_b32_e32 v70, v79
	v_mov_b32_e32 v71, v79
	;; [unrolled: 1-line block ×8, first 2 shown]
	s_waitcnt vmcnt(1)
	v_perm_b32 v35, v8, v16, s59
	s_waitcnt vmcnt(0)
	v_perm_b32 v36, v12, v20, s59
	v_perm_b32 v8, v8, v16, s60
	;; [unrolled: 1-line block ×15, first 2 shown]
	ds_write2st64_b32 v5, v35, v36 offset0:128 offset1:160
	ds_write2st64_b32 v7, v8, v12 offset0:128 offset1:160
	;; [unrolled: 1-line block ×8, first 2 shown]
	v_lshlrev_b32_e32 v5, 8, v26
	v_or_b32_e32 v103, v5, v28
	v_or_b32_e32 v104, v5, v29
	;; [unrolled: 1-line block ×3, first 2 shown]
	v_lshl_or_b32 v7, v5, 3, v6
	v_lshlrev_b32_e32 v5, 8, v5
	v_or_b32_e32 v107, v5, v28
	v_or_b32_e32 v108, v5, v29
	;; [unrolled: 1-line block ×5, first 2 shown]
	v_lshl_or_b32 v7, v5, 3, v6
	v_lshlrev_b32_e32 v5, 8, v5
	v_or_b32_e32 v111, v5, v28
	v_or_b32_e32 v112, v5, v29
	;; [unrolled: 1-line block ×3, first 2 shown]
	v_lshlrev_b32_e32 v5, 3, v5
	v_lshrrev_b32_e32 v9, 5, v84
	v_and_or_b32 v9, v5, s0, v9
	v_lshlrev_b32_e32 v9, 4, v9
	v_lshlrev_b32_e32 v11, 11, v85
	v_and_b32_e32 v5, 0x78, v5
	v_or_b32_e32 v14, 32, v9
	v_and_b32_e32 v8, 0x1000, v11
	v_xor_b32_e32 v10, v9, v5
	v_lshrrev_b32_e32 v12, 1, v84
	v_xor_b32_e32 v14, v14, v5
	v_or_b32_e32 v10, v10, v8
	v_and_b32_e32 v12, 8, v12
	v_or_b32_e32 v14, v14, v8
	v_xor_b32_e32 v113, v10, v12
	v_lshlrev_b32_e32 v10, 8, v86
	v_xor_b32_e32 v115, v14, v12
	v_or_b32_e32 v14, 64, v9
	v_or_b32_e32 v9, 0x60, v9
	;; [unrolled: 1-line block ×3, first 2 shown]
	v_xor_b32_e32 v14, v14, v5
	v_xor_b32_e32 v5, v9, v5
	v_lshlrev_b32_e32 v13, 1, v13
	v_or_b32_e32 v14, v14, v8
	v_or_b32_e32 v5, v5, v8
	s_lshl_b64 s[0:1], s[30:31], 8
	v_or_b32_e32 v114, 0x4000, v13
	v_or_b32_e32 v116, 0x4080, v13
	;; [unrolled: 1-line block ×4, first 2 shown]
	v_xor_b32_e32 v119, v14, v12
	v_xor_b32_e32 v120, v5, v12
	v_or_b32_e32 v121, 0x6000, v13
	v_or_b32_e32 v122, 0x6080, v13
	;; [unrolled: 1-line block ×4, first 2 shown]
	v_lshlrev_b32_e32 v12, 1, v4
	v_add_lshl_u32 v13, v4, s15, 1
	s_add_u32 s0, s36, s0
	v_lshlrev_b32_e32 v4, 1, v45
	v_lshrrev_b32_e32 v15, 4, v0
	s_addc_u32 s1, s37, s1
	v_or_b32_e32 v5, 1, v4
	v_lshlrev_b32_e32 v18, 2, v0
	v_or_b32_e32 v14, 0x100, v3
	v_xor_b32_e32 v16, v15, v4
	v_xor_b32_e32 v17, v5, v15
	v_lshl_add_u64 v[4:5], s[0:1], 0, v[78:79]
	v_lshlrev_b32_e32 v78, 8, v15
	v_lshrrev_b32_e32 v19, 1, v0
	v_and_or_b32 v10, v18, 60, v10
	v_cndmask_b32_e64 v131, v12, v3, s[2:3]
	v_mov_b32_e32 v3, 0xa000
	v_mov_b32_e32 v12, 0x8000
	v_cmp_gt_u32_e64 s[0:1], s20, v0
	v_lshl_or_b32 v125, v16, 3, v78
	v_and_b32_e32 v16, 8, v0
	v_and_b32_e32 v19, 24, v19
	v_lshlrev_b32_e32 v10, 1, v10
	v_cndmask_b32_e64 v3, v3, v12, s[0:1]
	v_lshlrev_b32_e32 v12, 3, v85
	v_or_b32_e32 v127, 0x6000, v10
	v_or_b32_e32 v128, 0x6080, v10
	;; [unrolled: 1-line block ×4, first 2 shown]
	v_mov_b32_e32 v10, 0x400
	v_cmp_eq_u32_e32 vcc, 0, v16
	v_cndmask_b32_e64 v132, v13, v14, s[2:3]
	v_xor_b32_e32 v13, v12, v19
	v_and_b32_e32 v15, 7, v0
	v_cndmask_b32_e64 v16, v10, 64, vcc
	v_or_b32_e32 v14, 0x440, v13
	v_lshl_or_b32 v126, v17, 3, v78
	v_lshlrev_b32_e32 v17, 3, v15
	v_or_b32_e32 v18, 32, v19
	v_or_b32_e32 v20, 0x60, v19
	v_cndmask_b32_e32 v14, v14, v13, vcc
	v_or3_b32 v13, v11, v16, v13
	v_lshlrev_b32_e32 v15, 7, v15
	v_xor_b32_e32 v18, v12, v18
	v_xor_b32_e32 v13, v13, v17
	;; [unrolled: 1-line block ×3, first 2 shown]
	v_or_b32_e32 v21, 0x440, v18
	v_or_b32_e32 v133, v13, v15
	v_xor_b32_e32 v13, 0x440, v12
	v_cndmask_b32_e32 v18, v21, v18, vcc
	v_cndmask_b32_e32 v12, v13, v12, vcc
	v_or_b32_e32 v109, 0x4000, v7
	v_or_b32_e32 v110, 0x6000, v7
	v_lshrrev_b32_e32 v7, 2, v84
	v_or_b32_e32 v14, v14, v11
	v_or_b32_e32 v18, v18, v11
	;; [unrolled: 1-line block ×3, first 2 shown]
	v_and_b32_e32 v7, 12, v7
	v_or_b32_e32 v8, s30, v45
	v_xor_b32_e32 v14, v14, v17
	v_xor_b32_e32 v18, v18, v17
	;; [unrolled: 1-line block ×3, first 2 shown]
	v_ashrrev_i32_e32 v9, 31, v8
	v_or_b32_e32 v10, v1, v7
	v_add_u32_e32 v19, v3, v14
	v_add_u32_e32 v21, v3, v18
	;; [unrolled: 1-line block ×3, first 2 shown]
	v_or3_b32 v12, v1, v7, 64
	v_add_u32_e32 v7, 0xa000, v14
	v_add_u32_e32 v14, 0xa000, v18
	;; [unrolled: 1-line block ×3, first 2 shown]
	v_lshl_add_u64 v[80:81], v[8:9], 1, s[8:9]
	v_lshl_add_u64 v[82:83], v[4:5], 0, v[78:79]
	s_add_i32 s31, s57, 63
	v_lshlrev_b32_e32 v78, 1, v6
	v_lshlrev_b32_e32 v135, 2, v10
	v_add_u32_e32 v136, v19, v15
	v_add_u32_e32 v137, v21, v15
	;; [unrolled: 1-line block ×4, first 2 shown]
	v_lshlrev_b32_e32 v140, 2, v12
	v_add_u32_e32 v141, v7, v15
	v_add_u32_e32 v142, v14, v15
	;; [unrolled: 1-line block ×3, first 2 shown]
	v_mov_b32_e32 v62, v79
	v_mov_b32_e32 v63, v79
	;; [unrolled: 1-line block ×24, first 2 shown]
	s_waitcnt lgkmcnt(0)
	s_barrier
.LBB80_6:                               ; =>This Inner Loop Header: Depth=1
	s_add_i32 s64, s65, 1
	s_cmp_lt_i32 s64, s47
	s_mov_b64 s[24:25], 0
	s_cselect_b64 s[2:3], -1, 0
	s_cmp_ge_i32 s64, s47
	s_mov_b64 s[20:21], 0
	s_cbranch_scc1 .LBB80_8
; %bb.7:                                ;   in Loop: Header=BB80_6 Depth=1
	s_add_i32 s0, s58, 64
	s_add_u32 s0, s38, s0
	s_addc_u32 s1, s39, 0
	s_lshl_b64 s[0:1], s[0:1], 8
	s_add_u32 s20, s6, s0
	s_addc_u32 s21, s7, s1
.LBB80_8:                               ;   in Loop: Header=BB80_6 Depth=1
	v_cndmask_b32_e64 v2, 0, 1, s[2:3]
	v_cmp_ne_u32_e64 s[0:1], 1, v2
	s_andn2_b64 vcc, exec, s[2:3]
	s_cbranch_vccnz .LBB80_10
; %bb.9:                                ;   in Loop: Header=BB80_6 Depth=1
	s_add_i32 s2, s58, 64
	s_add_u32 s2, s57, s2
	s_addc_u32 s3, s61, 0
	s_mul_i32 s24, s2, s49
	s_mul_hi_u32 s25, s2, s53
	s_add_i32 s24, s25, s24
	s_mul_i32 s3, s3, s53
	s_add_i32 s24, s24, s3
	s_mul_i32 s2, s2, s53
	s_add_u32 s2, s2, s52
	s_addc_u32 s3, s24, s55
	s_lshl_b64 s[2:3], s[2:3], 8
	s_add_u32 s24, s4, s2
	s_addc_u32 s25, s5, s3
.LBB80_10:                              ;   in Loop: Header=BB80_6 Depth=1
	v_perm_b32 v3, v77, v76, s35
	v_perm_b32 v2, v75, v74, s35
	v_perm_b32 v5, v73, v72, s35
	v_perm_b32 v4, v71, v70, s35
	ds_write_b64 v97, v[2:3]
	ds_write_b64 v98, v[4:5]
	ds_write_b64 v100, v[2:3]
	ds_write_b64 v101, v[4:5]
	v_perm_b32 v3, v69, v68, s35
	v_perm_b32 v2, v67, v66, s35
	v_perm_b32 v5, v65, v64, s35
	v_perm_b32 v4, v63, v62, s35
	ds_write_b64 v99, v[2:3]
	ds_write_b64 v102, v[4:5]
	ds_write_b64 v103, v[2:3]
	ds_write_b64 v104, v[4:5]
	;; [unrolled: 8-line block ×4, first 2 shown]
	s_waitcnt lgkmcnt(0)
	s_barrier
	ds_read_b64 v[6:7], v113 offset:49152
	ds_read2_b64 v[2:5], v114 offset1:16
	ds_read_b64 v[18:19], v116 offset:6144
	ds_read_b64 v[20:21], v114 offset:6144
	s_waitcnt lgkmcnt(2)
	v_mfma_f32_16x16x16_bf16 a[0:3], v[6:7], v[2:3], 0
	ds_read_b64 v[22:23], v115 offset:49152
	ds_read2st64_b64 v[10:13], v117 offset0:4 offset1:8
	ds_read2st64_b64 v[14:17], v118 offset0:4 offset1:8
	v_mfma_f32_16x16x16_bf16 a[4:7], v[6:7], v[4:5], 0
	ds_read2_b64 v[2:5], v114 offset0:32 offset1:48
	s_add_i32 s2, s58, 63
	s_mul_i32 s3, s2, s29
	s_waitcnt lgkmcnt(0)
	v_mfma_f32_16x16x16_bf16 a[8:11], v[6:7], v[2:3], 0
	s_mul_hi_u32 s27, s2, s28
	s_add_i32 s3, s27, s3
	s_mul_i32 s2, s2, s28
	v_mfma_f32_16x16x16_bf16 a[12:15], v[6:7], v[4:5], 0
	ds_read2st64_b64 v[2:5], v114 offset0:4 offset1:8
	ds_read2st64_b64 v[6:9], v116 offset0:4 offset1:8
	s_lshl_b64 s[2:3], s[2:3], 2
	s_waitcnt lgkmcnt(1)
	v_mfma_f32_16x16x16_bf16 a[0:3], v[22:23], v[2:3], a[0:3]
	s_add_u32 s2, s42, s2
	s_addc_u32 s3, s43, s3
	s_and_b64 vcc, exec, s[0:1]
	s_waitcnt lgkmcnt(0)
	v_mfma_f32_16x16x16_bf16 a[4:7], v[22:23], v[6:7], a[4:7]
	v_mov_b32_e32 v147, 0
	v_mov_b32_e32 v146, 0
	;; [unrolled: 1-line block ×3, first 2 shown]
	v_mfma_f32_16x16x16_bf16 a[8:11], v[22:23], v[10:11], a[8:11]
	ds_read_b64 v[2:3], v119 offset:49152
	ds_read_b64 v[6:7], v120 offset:49152
	;; [unrolled: 1-line block ×3, first 2 shown]
	v_mfma_f32_16x16x16_bf16 a[12:15], v[22:23], v[14:15], a[12:15]
	v_mov_b32_e32 v14, 0
	v_mov_b32_e32 v15, 0
	s_waitcnt lgkmcnt(2)
	v_mfma_f32_16x16x16_bf16 a[0:3], v[2:3], v[4:5], a[0:3]
	v_mov_b32_e32 v4, 0
	v_mov_b32_e32 v5, 0
	v_mfma_f32_16x16x16_bf16 a[16:19], v[2:3], v[8:9], a[4:7]
	v_mov_b32_e32 v8, 0
	v_mov_b32_e32 v9, 0
	;; [unrolled: 3-line block ×3, first 2 shown]
	v_mfma_f32_16x16x16_bf16 a[24:27], v[2:3], v[16:17], a[12:15]
	ds_read_b64 v[2:3], v117 offset:6144
	v_mov_b32_e32 v16, 0
	v_mov_b32_e32 v17, 0
	s_waitcnt lgkmcnt(2)
	v_mfma_f32_16x16x16_bf16 a[4:7], v[6:7], v[20:21], a[0:3]
	v_mfma_f32_16x16x16_bf16 a[8:11], v[6:7], v[18:19], a[16:19]
	s_waitcnt lgkmcnt(0)
	v_mfma_f32_16x16x16_bf16 a[12:15], v[6:7], v[2:3], a[20:23]
	v_mov_b32_e32 v2, 0
	v_mov_b32_e32 v3, 0
	v_mfma_f32_16x16x16_bf16 a[0:3], v[6:7], v[10:11], a[24:27]
	v_mov_b32_e32 v6, 0
	v_mov_b32_e32 v7, 0
	;; [unrolled: 1-line block ×4, first 2 shown]
	s_cbranch_vccnz .LBB80_12
; %bb.11:                               ;   in Loop: Header=BB80_6 Depth=1
	s_and_b32 s21, s21, 0xffff
	buffer_load_dwordx4 v[14:17], v93, s[20:23], 0 offen
	buffer_load_dwordx4 v[10:13], v93, s[20:23], s56 offen
	;; [unrolled: 1-line block ×4, first 2 shown]
	v_mov_b32_e32 v146, v95
	v_mov_b32_e32 v145, v96
.LBB80_12:                              ;   in Loop: Header=BB80_6 Depth=1
	ds_read_b64 v[34:35], v113 offset:57344
	ds_read2_b64 v[18:21], v121 offset1:16
	ds_read_b64 v[36:37], v115 offset:57344
	ds_read_b64 v[38:39], v119 offset:57344
	;; [unrolled: 1-line block ×3, first 2 shown]
	v_add_u32_e32 v42, s58, v134
	s_waitcnt lgkmcnt(3)
	v_mfma_f32_16x16x16_bf16 a[4:7], v[34:35], v[18:19], a[4:7]
	v_mfma_f32_16x16x16_bf16 a[8:11], v[34:35], v[20:21], a[8:11]
	ds_read2_b64 v[18:21], v121 offset0:32 offset1:48
	ds_read2st64_b64 v[22:25], v121 offset0:4 offset1:8
	ds_read2st64_b64 v[26:29], v122 offset0:4 offset1:8
	;; [unrolled: 1-line block ×3, first 2 shown]
	s_waitcnt lgkmcnt(3)
	v_mfma_f32_16x16x16_bf16 a[12:15], v[34:35], v[18:19], a[12:15]
	v_ashrrev_i32_e32 v18, 31, v42
	v_mfma_f32_16x16x16_bf16 a[0:3], v[34:35], v[20:21], a[0:3]
	v_mul_lo_u32 v20, v18, s28
	v_mul_lo_u32 v21, v42, s29
	v_mad_u64_u32 v[18:19], s[20:21], v42, s28, 0
	v_add3_u32 v19, v19, v21, v20
	v_add_u32_e32 v20, 1, v42
	v_ashrrev_i32_e32 v21, 31, v20
	s_waitcnt lgkmcnt(2)
	v_mfma_f32_16x16x16_bf16 a[4:7], v[36:37], v[22:23], a[4:7]
	v_mul_lo_u32 v22, v21, s28
	v_mul_lo_u32 v23, v20, s29
	v_mad_u64_u32 v[20:21], s[20:21], v20, s28, 0
	v_add3_u32 v21, v21, v23, v22
	v_add_u32_e32 v22, 2, v42
	v_ashrrev_i32_e32 v23, 31, v22
	s_waitcnt lgkmcnt(1)
	v_mfma_f32_16x16x16_bf16 a[8:11], v[36:37], v[26:27], a[8:11]
	v_mul_lo_u32 v26, v23, s28
	v_mul_lo_u32 v27, v22, s29
	v_mad_u64_u32 v[22:23], s[20:21], v22, s28, 0
	v_lshl_add_u64 v[18:19], v[18:19], 2, s[42:43]
	v_add3_u32 v23, v23, v27, v26
	v_add_u32_e32 v26, 3, v42
	v_ashrrev_i32_e32 v27, 31, v26
	global_load_dword v35, v[18:19], off
	v_mad_u64_u32 v[18:19], s[20:21], v26, s28, 0
	v_mul_lo_u32 v27, v27, s28
	v_mul_lo_u32 v34, v26, s29
	s_add_u32 s20, s38, s58
	v_add3_u32 v19, v19, v34, v27
	s_addc_u32 s21, s39, 0
	v_lshl_add_u64 v[20:21], v[20:21], 2, s[42:43]
	v_lshl_add_u64 v[22:23], v[22:23], 2, s[42:43]
	;; [unrolled: 1-line block ×3, first 2 shown]
	s_lshl_b64 s[20:21], s[20:21], 8
	global_load_dword v34, v[20:21], off
	global_load_dword v42, v[22:23], off
	;; [unrolled: 1-line block ×3, first 2 shown]
	v_lshl_add_u64 v[18:19], v[80:81], 0, s[20:21]
	v_lshl_add_u64 v[22:23], v[18:19], 0, v[78:79]
	global_load_ushort v44, v[22:23], off offset:256
	global_load_ushort v148, v[22:23], off
	ds_read2st64_b64 v[18:21], v124 offset0:4 offset1:8
	global_load_ushort v149, v[22:23], off offset:768
	global_load_ushort v150, v[22:23], off offset:512
	s_waitcnt lgkmcnt(1)
	v_mfma_f32_16x16x16_bf16 a[12:15], v[36:37], v[30:31], a[12:15]
	s_and_b64 vcc, exec, s[0:1]
	s_waitcnt vmcnt(3)
	v_lshlrev_b32_e32 v31, 16, v44
	s_waitcnt lgkmcnt(0)
	v_mfma_f32_16x16x16_bf16 a[0:3], v[36:37], v[18:19], a[0:3]
	global_load_ushort v36, v[22:23], off offset:288
	global_load_ushort v37, v[22:23], off offset:32
	;; [unrolled: 1-line block ×8, first 2 shown]
	v_mfma_f32_16x16x16_bf16 a[4:7], v[38:39], v[24:25], a[4:7]
	ds_read_b64 v[18:19], v121 offset:6144
	s_waitcnt vmcnt(10)
	v_lshlrev_b32_e32 v30, 16, v148
	v_mov_b32_e32 v148, 0
	v_mfma_f32_16x16x16_bf16 a[8:11], v[38:39], v[28:29], a[8:11]
	v_mfma_f32_16x16x16_bf16 a[12:15], v[38:39], v[32:33], a[12:15]
	;; [unrolled: 1-line block ×3, first 2 shown]
	global_load_ushort v38, v[22:23], off offset:352
	global_load_ushort v39, v[22:23], off offset:96
	ds_read_b64 v[20:21], v122 offset:6144
	ds_read_b64 v[24:25], v123 offset:6144
	;; [unrolled: 1-line block ×3, first 2 shown]
	global_load_ushort v157, v[22:23], off offset:864
	global_load_ushort v158, v[22:23], off offset:608
	s_load_dword s2, s[2:3], 0x0
	s_waitcnt lgkmcnt(0)
	v_mfma_f32_16x16x16_bf16 a[4:7], v[40:41], v[18:19], a[4:7]
	v_sub_f32_e32 v28, s2, v42
	v_mfma_f32_16x16x16_bf16 a[0:3], v[40:41], v[26:27], a[0:3]
	v_sub_f32_e32 v26, s2, v35
	v_sub_f32_e32 v27, s2, v34
	;; [unrolled: 1-line block ×3, first 2 shown]
	v_mul_f32_e32 v26, 0x3fb8aa3b, v26
	v_mul_f32_e32 v27, 0x3fb8aa3b, v27
	;; [unrolled: 1-line block ×4, first 2 shown]
	v_mfma_f32_16x16x16_bf16 a[8:11], v[40:41], v[20:21], a[8:11]
	v_exp_f32_e32 v26, v26
	v_exp_f32_e32 v27, v27
	;; [unrolled: 1-line block ×4, first 2 shown]
	v_accvgpr_read_b32 v33, a5
	v_accvgpr_read_b32 v32, a4
	;; [unrolled: 1-line block ×4, first 2 shown]
	v_pk_add_f32 v[30:31], v[30:31], v[32:33] neg_lo:[0,1] neg_hi:[0,1]
	s_waitcnt vmcnt(13)
	v_lshlrev_b32_e32 v33, 16, v149
	s_waitcnt vmcnt(12)
	v_lshlrev_b32_e32 v32, 16, v150
	v_pk_add_f32 v[18:19], v[32:33], v[18:19] neg_lo:[0,1] neg_hi:[0,1]
	v_pk_mul_f32 v[30:31], v[26:27], v[30:31]
	v_pk_mul_f32 v[18:19], v[28:29], v[18:19]
	v_accvgpr_read_b32 v33, a9
	v_perm_b32 v19, v19, v18, s35
	v_perm_b32 v18, v31, v30, s35
	v_accvgpr_read_b32 v32, a8
	v_accvgpr_read_b32 v21, a11
	v_mfma_f32_16x16x16_bf16 a[12:15], v[40:41], v[24:25], a[12:15]
	v_accvgpr_read_b32 v20, a10
	v_accvgpr_read_b32 v25, a3
	;; [unrolled: 1-line block ×3, first 2 shown]
	s_waitcnt vmcnt(11)
	v_lshlrev_b32_e32 v31, 16, v36
	s_waitcnt vmcnt(10)
	v_lshlrev_b32_e32 v30, 16, v37
	v_pk_add_f32 v[30:31], v[30:31], v[32:33] neg_lo:[0,1] neg_hi:[0,1]
	s_waitcnt vmcnt(9)
	v_lshlrev_b32_e32 v33, 16, v151
	s_waitcnt vmcnt(8)
	v_lshlrev_b32_e32 v32, 16, v152
	v_pk_add_f32 v[20:21], v[32:33], v[20:21] neg_lo:[0,1] neg_hi:[0,1]
	v_pk_mul_f32 v[30:31], v[26:27], v[30:31]
	v_pk_mul_f32 v[20:21], v[28:29], v[20:21]
	v_accvgpr_read_b32 v23, a15
	v_perm_b32 v21, v21, v20, s35
	v_perm_b32 v20, v31, v30, s35
	ds_write2_b64 v98, v[18:19], v[20:21] offset1:16
	v_accvgpr_read_b32 v21, a13
	s_waitcnt vmcnt(7)
	v_lshlrev_b32_e32 v19, 16, v153
	s_waitcnt vmcnt(6)
	v_lshlrev_b32_e32 v18, 16, v154
	v_accvgpr_read_b32 v20, a12
	v_accvgpr_read_b32 v22, a14
	v_pk_add_f32 v[18:19], v[18:19], v[20:21] neg_lo:[0,1] neg_hi:[0,1]
	s_waitcnt vmcnt(5)
	v_lshlrev_b32_e32 v21, 16, v155
	s_waitcnt vmcnt(4)
	v_lshlrev_b32_e32 v20, 16, v156
	v_pk_add_f32 v[20:21], v[20:21], v[22:23] neg_lo:[0,1] neg_hi:[0,1]
	v_pk_mul_f32 v[18:19], v[26:27], v[18:19]
	v_pk_mul_f32 v[20:21], v[28:29], v[20:21]
	v_accvgpr_read_b32 v23, a1
	v_perm_b32 v21, v21, v20, s35
	v_perm_b32 v20, v19, v18, s35
	s_waitcnt vmcnt(3)
	v_lshlrev_b32_e32 v19, 16, v38
	s_waitcnt vmcnt(2)
	v_lshlrev_b32_e32 v18, 16, v39
	v_accvgpr_read_b32 v22, a0
	v_pk_add_f32 v[18:19], v[18:19], v[22:23] neg_lo:[0,1] neg_hi:[0,1]
	s_waitcnt vmcnt(1)
	v_lshlrev_b32_e32 v23, 16, v157
	s_waitcnt vmcnt(0)
	v_lshlrev_b32_e32 v22, 16, v158
	v_pk_add_f32 v[22:23], v[22:23], v[24:25] neg_lo:[0,1] neg_hi:[0,1]
	v_pk_mul_f32 v[18:19], v[26:27], v[18:19]
	v_pk_mul_f32 v[22:23], v[28:29], v[22:23]
	v_mov_b32_e32 v24, 0
	v_perm_b32 v23, v23, v22, s35
	v_perm_b32 v22, v19, v18, s35
	ds_write2_b64 v98, v[20:21], v[22:23] offset0:32 offset1:48
	v_mov_b32_e32 v18, 0
	v_mov_b32_e32 v19, 0
	;; [unrolled: 1-line block ×15, first 2 shown]
	s_cbranch_vccnz .LBB80_14
; %bb.13:                               ;   in Loop: Header=BB80_6 Depth=1
	s_and_b32 s25, s25, 0xffff
	s_mov_b32 s27, s23
	buffer_load_dwordx4 v[30:33], v131, s[24:27], 0 offen
	buffer_load_dwordx4 v[22:25], v131, s[24:27], s56 offen
	;; [unrolled: 1-line block ×4, first 2 shown]
	v_mov_b32_e32 v147, v92
	v_mov_b32_e32 v148, v91
.LBB80_14:                              ;   in Loop: Header=BB80_6 Depth=1
	s_waitcnt lgkmcnt(0)
	s_barrier
	ds_read_b64 v[42:43], v136
	ds_read2_b64 v[34:37], v127 offset1:16
	ds_read_b64 v[166:167], v137
	ds_read_b64 v[168:169], v138
	;; [unrolled: 1-line block ×3, first 2 shown]
	ds_read2_b64 v[38:41], v127 offset0:32 offset1:48
	ds_read2st64_b64 v[150:153], v127 offset0:4 offset1:8
	ds_read2st64_b64 v[154:157], v128 offset0:4 offset1:8
	;; [unrolled: 1-line block ×4, first 2 shown]
	s_waitcnt lgkmcnt(8)
	v_mfma_f32_16x16x16_bf16 a[0:3], v[42:43], v[34:35], 0
	s_add_i32 s3, s50, s65
	s_mul_hi_i32 s21, s3, s13
	s_mul_i32 s3, s3, s13
	v_mfma_f32_16x16x16_bf16 a[4:7], v[42:43], v[36:37], 0
	s_add_u32 s20, s3, s33
	s_addc_u32 s21, s21, s54
	s_add_i32 s3, s31, s58
	s_waitcnt lgkmcnt(4)
	v_mfma_f32_16x16x16_bf16 a[8:11], v[42:43], v[38:39], 0
	s_lshl_b64 s[20:21], s[20:21], 15
	s_mul_hi_i32 s25, s3, s13
	s_mul_i32 s3, s3, s13
	v_mfma_f32_16x16x16_bf16 a[12:15], v[42:43], v[40:41], 0
	ds_read_b64 v[42:43], v127 offset:6144
	ds_read_b64 v[178:179], v128 offset:6144
	;; [unrolled: 1-line block ×4, first 2 shown]
	s_add_u32 s24, s3, s33
	s_waitcnt lgkmcnt(7)
	v_mfma_f32_16x16x16_bf16 a[0:3], v[166:167], v[150:151], a[0:3]
	s_addc_u32 s25, s25, s54
	s_lshl_b64 s[24:25], s[24:25], 9
	s_add_u32 s24, s40, s24
	s_waitcnt lgkmcnt(6)
	v_mfma_f32_16x16x16_bf16 a[4:7], v[166:167], v[154:155], a[4:7]
	s_addc_u32 s25, s41, s25
	v_lshl_add_u64 v[188:189], v[82:83], 0, s[20:21]
	s_waitcnt lgkmcnt(5)
	v_mfma_f32_16x16x16_bf16 a[8:11], v[166:167], v[158:159], a[8:11]
	s_waitcnt lgkmcnt(4)
	v_mfma_f32_16x16x16_bf16 a[12:15], v[166:167], v[162:163], a[12:15]
	ds_read_b64 v[166:167], v141
	ds_read_b64 v[176:177], v142
	;; [unrolled: 1-line block ×3, first 2 shown]
	s_waitcnt lgkmcnt(2)
	v_mfma_f32_16x16x16_bf16 a[16:19], v[166:167], v[34:35], 0
	v_mfma_f32_16x16x16_bf16 a[20:23], v[166:167], v[36:37], 0
	global_load_dwordx4 v[34:37], v140, s[24:25]
	v_mfma_f32_16x16x16_bf16 a[24:27], v[166:167], v[38:39], 0
	v_mfma_f32_16x16x16_bf16 a[28:31], v[166:167], v[40:41], 0
	global_load_dwordx4 v[38:41], v135, s[24:25]
	v_mfma_f32_16x16x16_bf16 a[0:3], v[168:169], v[152:153], a[0:3]
	v_mfma_f32_16x16x16_bf16 a[4:7], v[168:169], v[156:157], a[4:7]
	;; [unrolled: 1-line block ×8, first 2 shown]
	ds_read2st64_b64 v[166:169], v125 offset1:8
	ds_read2st64_b64 v[170:173], v126 offset1:8
	ds_read_b64 v[186:187], v133 offset:40960
	s_waitcnt lgkmcnt(2)
	v_mov_b32_e32 v174, v166
	v_mfma_f32_16x16x16_bf16 a[16:19], v[176:177], v[150:151], a[16:19]
	v_mov_b32_e32 v175, v167
	v_mfma_f32_16x16x16_bf16 a[20:23], v[176:177], v[154:155], a[20:23]
	v_mfma_f32_16x16x16_bf16 a[24:27], v[176:177], v[158:159], a[24:27]
	;; [unrolled: 1-line block ×3, first 2 shown]
	v_add_co_u32_e32 v162, vcc, s62, v188
	s_waitcnt lgkmcnt(1)
	v_mov_b32_e32 v176, v170
	s_waitcnt lgkmcnt(0)
	v_mfma_f32_16x16x16_bf16 a[16:19], v[186:187], v[152:153], a[16:19]
	ds_read2st64_b64 v[150:153], v125 offset0:16 offset1:24
	v_addc_co_u32_e32 v163, vcc, 0, v189, vcc
	v_mfma_f32_16x16x16_bf16 a[20:23], v[186:187], v[156:157], a[20:23]
	ds_read2st64_b64 v[154:157], v126 offset0:16 offset1:24
	v_mov_b32_e32 v177, v171
	v_mov_b32_e32 v170, v168
	v_mfma_f32_16x16x16_bf16 a[32:35], v[186:187], v[160:161], a[24:27]
	v_mov_b32_e32 v171, v169
	s_waitcnt lgkmcnt(0)
	v_mov_b32_e32 v160, v154
	v_mov_b32_e32 v161, v155
	v_mfma_f32_16x16x16_bf16 a[36:39], v[186:187], v[164:165], a[28:31]
	v_mov_b32_e32 v154, v152
	v_mov_b32_e32 v155, v153
	;; [unrolled: 1-line block ×3, first 2 shown]
	v_mfma_f32_16x16x16_bf16 a[24:27], v[184:185], v[42:43], a[16:19]
	v_add_co_u32_e32 v42, vcc, s63, v188
	v_mov_b32_e32 v159, v151
	v_mfma_f32_16x16x16_bf16 a[28:31], v[184:185], v[178:179], a[20:23]
	v_addc_co_u32_e32 v43, vcc, 0, v189, vcc
	global_store_dwordx4 v[42:43], v[154:157], off
	v_mfma_f32_16x16x16_bf16 a[16:19], v[184:185], v[180:181], a[32:35]
	s_waitcnt vmcnt(2)
	v_mov_b32_e32 v44, v37
	v_mov_b32_e32 v43, v36
	;; [unrolled: 1-line block ×3, first 2 shown]
	v_mfma_f32_16x16x16_bf16 a[20:23], v[184:185], v[182:183], a[36:39]
	s_and_b64 vcc, exec, s[0:1]
	global_store_dwordx4 v[188:189], v[174:177], off
	global_store_dwordx4 v[162:163], v[170:173], off offset:-4096
	global_store_dwordx4 v[162:163], v[158:161], off
	s_cbranch_vccnz .LBB80_16
; %bb.15:                               ;   in Loop: Header=BB80_6 Depth=1
	v_lshrrev_b32_e32 v35, 3, v147
	v_and_b32_e32 v35, 6, v35
	v_xor_b32_e32 v36, v35, v148
	v_lshlrev_b32_e32 v36, 2, v36
	v_and_b32_e32 v37, 8, v147
	v_xor_b32_e32 v147, 0x440, v36
	v_cmp_eq_u32_e32 vcc, 0, v37
	v_perm_b32 v37, v22, v18, s59
	s_nop 0
	v_cndmask_b32_e32 v36, v147, v36, vcc
	v_lshl_or_b32 v35, v35, 10, v36
	v_perm_b32 v36, v30, v26, s59
	s_barrier
	ds_write2st64_b32 v35, v36, v37 offset0:128 offset1:160
	v_xor_b32_e32 v36, 8, v35
	v_perm_b32 v26, v30, v26, s60
	v_perm_b32 v18, v22, v18, s60
	v_add_u32_e32 v22, 0x80, v36
	ds_write2st64_b32 v22, v26, v18 offset0:128 offset1:160
	v_xor_b32_e32 v18, 16, v35
	v_perm_b32 v22, v31, v27, s59
	v_perm_b32 v26, v23, v19, s59
	ds_write2st64_b32 v18, v22, v26 offset0:129 offset1:161
	v_xor_b32_e32 v18, 24, v35
	v_perm_b32 v22, v31, v27, s60
	v_perm_b32 v19, v23, v19, s60
	v_add_u32_e32 v18, 0x80, v18
	ds_write2st64_b32 v18, v22, v19 offset0:129 offset1:161
	v_xor_b32_e32 v18, 32, v35
	v_perm_b32 v19, v32, v28, s59
	v_perm_b32 v22, v24, v20, s59
	;; [unrolled: 9-line block ×3, first 2 shown]
	ds_write2st64_b32 v18, v19, v20 offset0:131 offset1:163
	v_xor_b32_e32 v18, 56, v35
	v_perm_b32 v19, v33, v29, s60
	v_perm_b32 v20, v25, v21, s60
	v_add_u32_e32 v18, 0x80, v18
	ds_write2st64_b32 v18, v19, v20 offset0:131 offset1:163
	ds_write_b64 v146, v[14:15] offset:49152
	v_xor_b32_e32 v14, 8, v146
	ds_write_b64 v14, v[16:17] offset:49152
	ds_write_b64 v146, v[10:11] offset:57344
	;; [unrolled: 1-line block ×4, first 2 shown]
	v_xor_b32_e32 v6, 8, v145
	ds_write_b64 v6, v[8:9] offset:49152
	ds_write_b64 v145, v[2:3] offset:57344
	;; [unrolled: 1-line block ×3, first 2 shown]
.LBB80_16:                              ;   in Loop: Header=BB80_6 Depth=1
	v_mul_f32_e32 v26, s2, v144
	v_exp_f32_e32 v36, v26
	s_waitcnt vmcnt(4)
	v_mul_f32_e32 v26, 0x3fb8aa3b, v38
	v_exp_f32_e32 v38, v26
	v_mul_f32_e32 v26, 0x3fb8aa3b, v39
	v_exp_f32_e32 v39, v26
	;; [unrolled: 2-line block ×4, first 2 shown]
	v_accvgpr_read_b32 v5, a3
	v_accvgpr_read_b32 v4, a2
	;; [unrolled: 1-line block ×4, first 2 shown]
	v_pk_mul_f32 v[38:39], v[36:37], v[38:39] op_sel_hi:[0,1]
	v_pk_mul_f32 v[40:41], v[36:37], v[40:41] op_sel_hi:[0,1]
	v_pk_fma_f32 v[74:75], v[74:75], v[38:39], v[2:3]
	v_pk_fma_f32 v[76:77], v[76:77], v[40:41], v[4:5]
	v_mul_f32_e32 v2, 0x3fb8aa3b, v34
	v_mul_f32_e32 v3, 0x3fb8aa3b, v42
	;; [unrolled: 1-line block ×4, first 2 shown]
	v_exp_f32_e32 v2, v2
	v_exp_f32_e32 v3, v3
	;; [unrolled: 1-line block ×4, first 2 shown]
	v_accvgpr_read_b32 v9, a7
	v_accvgpr_read_b32 v13, a11
	;; [unrolled: 1-line block ×28, first 2 shown]
	v_pk_mul_f32 v[2:3], v[36:37], v[2:3] op_sel_hi:[0,1]
	v_pk_mul_f32 v[4:5], v[36:37], v[4:5] op_sel_hi:[0,1]
	s_add_i32 s58, s58, 64
	v_pk_fma_f32 v[66:67], v[38:39], v[66:67], v[6:7]
	v_pk_fma_f32 v[68:69], v[40:41], v[68:69], v[8:9]
	;; [unrolled: 1-line block ×13, first 2 shown]
	s_cmp_eq_u32 s47, s64
	v_pk_fma_f32 v[50:51], v[4:5], v[50:51], v[32:33]
	s_cbranch_scc1 .LBB80_18
; %bb.17:                               ;   in Loop: Header=BB80_6 Depth=1
	s_mov_b32 s65, s64
	s_branch .LBB80_6
.LBB80_18:
	s_lshl_b32 s40, s47, 6
	s_sub_i32 s41, s12, s40
	s_cmp_gt_i32 s41, 0
	s_cbranch_scc0 .LBB80_99
; %bb.19:
	s_ashr_i32 s35, s48, 31
	s_ashr_i32 s2, s40, 31
	s_cmpk_lg_i32 s15, 0x80
	s_cselect_b64 s[26:27], -1, 0
	s_and_b64 vcc, exec, s[26:27]
	s_cbranch_vccz .LBB80_21
; %bb.20:
	s_mul_i32 s1, s48, s12
	s_mul_hi_i32 s0, s48, s12
	s_add_u32 s1, s1, s40
	s_addc_u32 s0, s0, s2
	s_mul_i32 s3, s1, s49
	s_mul_hi_u32 s20, s1, s14
	s_add_i32 s3, s20, s3
	s_mul_i32 s0, s0, s14
	s_add_i32 s3, s3, s0
	s_mul_i32 s1, s1, s14
	s_ashr_i32 s0, s52, 31
	s_add_u32 s38, s1, s52
	s_addc_u32 s39, s3, s0
	s_cbranch_execz .LBB80_22
	s_branch .LBB80_23
.LBB80_21:
                                        ; implicit-def: $sgpr38_sgpr39
.LBB80_22:
	s_mul_hi_i32 s0, s48, s14
	s_mul_i32 s48, s48, s14
	s_ashr_i32 s1, s52, 31
	s_add_u32 s3, s48, s52
	s_addc_u32 s0, s0, s1
	s_mul_i32 s1, s3, s46
	s_mul_hi_u32 s14, s3, s12
	s_add_i32 s1, s14, s1
	s_mul_i32 s0, s0, s12
	s_add_i32 s1, s1, s0
	s_mul_i32 s3, s3, s12
	s_add_u32 s38, s3, s40
	s_addc_u32 s39, s1, s2
.LBB80_23:
	s_add_i32 s3, s50, s47
	s_ashr_i32 s14, s33, 31
	s_add_u32 s0, s45, s33
	s_addc_u32 s1, s51, s14
	s_mul_i32 s20, s0, s46
	s_mul_hi_u32 s21, s0, s12
	s_add_i32 s20, s21, s20
	s_mul_i32 s1, s1, s12
	s_add_i32 s20, s20, s1
	s_mul_i32 s0, s0, s12
	s_add_u32 s0, s0, s40
	v_lshlrev_b32_e32 v6, 6, v89
	v_lshlrev_b32_e32 v24, 2, v45
	s_addc_u32 s1, s20, s2
	s_mov_b32 s2, 0x7060302
	v_or_b32_e32 v9, v6, v24
	v_xor_b32_e32 v7, v89, v24
	v_perm_b32 v3, v77, v76, s2
	v_perm_b32 v2, v75, v74, s2
	;; [unrolled: 1-line block ×4, first 2 shown]
	v_lshlrev_b32_e32 v9, 1, v9
	v_xor_b32_e32 v8, v90, v24
	ds_write2st64_b64 v9, v[2:3], v[4:5] offset0:32 offset1:48
	v_lshlrev_b32_e32 v7, 1, v7
	v_lshlrev_b32_e32 v9, 8, v45
	v_or_b32_e32 v10, v7, v9
	v_lshlrev_b32_e32 v8, 1, v8
	ds_write_b64 v10, v[2:3]
	v_or_b32_e32 v2, v8, v9
	v_or_b32_e32 v9, 16, v45
	v_lshlrev_b32_e32 v23, 2, v9
	v_or_b32_e32 v10, v6, v23
	ds_write_b64 v2, v[4:5]
	v_perm_b32 v3, v69, v68, s2
	v_perm_b32 v2, v67, v66, s2
	;; [unrolled: 1-line block ×4, first 2 shown]
	v_lshlrev_b32_e32 v10, 1, v10
	v_lshlrev_b32_e32 v9, 8, v9
	ds_write2st64_b64 v10, v[2:3], v[4:5] offset0:32 offset1:48
	v_or_b32_e32 v10, v7, v9
	ds_write_b64 v10, v[2:3]
	v_or_b32_e32 v2, v8, v9
	v_or_b32_e32 v9, 32, v45
	v_lshlrev_b32_e32 v22, 2, v9
	v_or_b32_e32 v10, v6, v22
	s_lshl_b64 s[24:25], s[0:1], 8
	ds_write_b64 v2, v[4:5]
	v_perm_b32 v3, v61, v60, s2
	v_perm_b32 v2, v59, v58, s2
	;; [unrolled: 1-line block ×4, first 2 shown]
	v_lshlrev_b32_e32 v10, 1, v10
	v_lshlrev_b32_e32 v9, 8, v9
	s_add_u32 s0, s6, s24
	ds_write2st64_b64 v10, v[2:3], v[4:5] offset0:32 offset1:48
	v_or_b32_e32 v10, v7, v9
	s_addc_u32 s1, s7, s25
	ds_write_b64 v10, v[2:3]
	v_or_b32_e32 v2, v8, v9
	v_or_b32_e32 v9, 48, v45
	s_mul_hi_i32 s6, s3, s13
	s_mul_i32 s3, s3, s13
	ds_write_b64 v2, v[4:5]
	v_perm_b32 v3, v47, v46, s2
	v_perm_b32 v2, v53, v52, s2
	;; [unrolled: 1-line block ×4, first 2 shown]
	v_lshlrev_b32_e32 v19, 2, v9
	s_add_u32 s2, s3, s33
	v_or_b32_e32 v6, v6, v19
	s_addc_u32 s3, s6, s14
	v_lshlrev_b32_e32 v6, 1, v6
	s_ashr_i32 s31, s30, 31
	s_lshl_b64 s[2:3], s[2:3], 15
	ds_write2st64_b64 v6, v[2:3], v[4:5] offset0:32 offset1:48
	v_lshlrev_b32_e32 v6, 8, v9
	s_add_u32 s6, s36, s2
	v_or_b32_e32 v7, v7, v6
	s_addc_u32 s7, s37, s3
	s_lshl_b64 s[2:3], s[30:31], 8
	ds_write_b64 v7, v[2:3]
	v_or_b32_e32 v2, v8, v6
	s_add_u32 s2, s6, s2
	v_lshlrev_b32_e32 v3, 1, v45
	ds_write_b64 v2, v[4:5]
	v_lshrrev_b32_e32 v2, 4, v0
	s_addc_u32 s3, s7, s3
	v_or_b32_e32 v4, 1, v3
	v_lshlrev_b32_e32 v10, 4, v45
	v_mov_b32_e32 v11, 0
	v_xor_b32_e32 v3, v2, v3
	v_xor_b32_e32 v6, v4, v2
	v_lshl_add_u64 v[12:13], s[2:3], 0, v[10:11]
	v_lshlrev_b32_e32 v10, 8, v2
	v_lshl_or_b32 v16, v3, 3, v10
	v_lshl_or_b32 v17, v6, 3, v10
	s_waitcnt lgkmcnt(0)
	s_barrier
	ds_read2st64_b64 v[2:5], v16 offset1:8
	ds_read2st64_b64 v[6:9], v17 offset1:8
	v_lshl_add_u64 v[14:15], v[12:13], 0, v[10:11]
	s_movk_i32 s2, 0x2000
	s_cmp_lg_u32 s41, 64
	s_waitcnt lgkmcnt(1)
	v_mov_b32_e32 v10, v2
	v_mov_b32_e32 v11, v3
	s_waitcnt lgkmcnt(0)
	v_mov_b32_e32 v12, v6
	v_mov_b32_e32 v13, v7
	global_store_dwordx4 v[14:15], v[10:13], off
	v_mov_b32_e32 v6, v4
	v_mov_b32_e32 v7, v5
	ds_read2st64_b64 v[2:5], v16 offset0:16 offset1:24
	ds_read2st64_b64 v[10:13], v17 offset0:16 offset1:24
	v_add_co_u32_e32 v16, vcc, s2, v14
	s_cselect_b64 s[6:7], -1, 0
	s_nop 0
	v_addc_co_u32_e32 v17, vcc, 0, v15, vcc
	global_store_dwordx4 v[16:17], v[6:9], off offset:-4096
	v_lshl_or_b32 v25, v85, 3, v88
	s_mov_b32 s20, 0
	s_waitcnt lgkmcnt(1)
	v_mov_b32_e32 v6, v2
	v_add_co_u32_e32 v2, vcc, 0x3000, v14
	v_mov_b32_e32 v7, v3
	s_nop 0
	v_addc_co_u32_e32 v3, vcc, 0, v15, vcc
	s_waitcnt lgkmcnt(0)
	v_mov_b32_e32 v8, v10
	v_mov_b32_e32 v9, v11
	;; [unrolled: 1-line block ×4, first 2 shown]
	v_or_b32_e32 v20, 32, v25
	v_and_b32_e32 v18, 56, v87
	s_and_b64 vcc, exec, s[6:7]
	global_store_dwordx4 v[16:17], v[6:9], off
	global_store_dwordx4 v[2:3], v[10:13], off
	s_cbranch_vccz .LBB80_29
; %bb.24:
	s_mov_b32 s21, s20
	s_mov_b32 s22, s20
	;; [unrolled: 1-line block ×3, first 2 shown]
	v_mov_b64_e32 v[6:7], s[20:21]
	v_mov_b64_e32 v[8:9], s[22:23]
	;; [unrolled: 1-line block ×3, first 2 shown]
	v_cmp_gt_i32_e32 vcc, s41, v25
	v_mov_b64_e32 v[4:5], v[8:9]
	s_and_saveexec_b64 s[2:3], vcc
	s_cbranch_execz .LBB80_26
; %bb.25:
	v_lshlrev_b32_e32 v2, 8, v25
	v_mov_b32_e32 v3, 0
	v_lshl_add_u64 v[4:5], s[0:1], 0, v[2:3]
	v_lshlrev_b32_e32 v2, 1, v18
	v_lshl_add_u64 v[10:11], v[4:5], 0, v[2:3]
	global_load_dwordx4 v[6:9], v[10:11], off
	global_load_dwordx4 v[2:5], v[10:11], off offset:128
.LBB80_26:
	s_or_b64 exec, exec, s[2:3]
	s_mov_b32 s21, s20
	s_mov_b32 s22, s20
	;; [unrolled: 1-line block ×3, first 2 shown]
	v_mov_b64_e32 v[14:15], s[20:21]
	v_mov_b64_e32 v[16:17], s[22:23]
	;; [unrolled: 1-line block ×3, first 2 shown]
	v_cmp_gt_i32_e32 vcc, s41, v20
	v_lshlrev_b32_e32 v21, 7, v20
	v_mov_b64_e32 v[12:13], v[16:17]
	s_and_saveexec_b64 s[2:3], vcc
	s_cbranch_execz .LBB80_28
; %bb.27:
	v_lshlrev_b32_e32 v10, 1, v21
	v_mov_b32_e32 v11, 0
	v_lshl_add_u64 v[12:13], s[0:1], 0, v[10:11]
	v_lshlrev_b32_e32 v10, 1, v18
	v_lshl_add_u64 v[26:27], v[12:13], 0, v[10:11]
	global_load_dwordx4 v[14:17], v[26:27], off
	global_load_dwordx4 v[10:13], v[26:27], off offset:128
.LBB80_28:
	s_or_b64 exec, exec, s[2:3]
	v_lshrrev_b32_e32 v26, 3, v18
	v_lshlrev_b32_e32 v27, 3, v25
	v_or_b32_e32 v26, v27, v26
	v_lshlrev_b32_e32 v26, 4, v26
	v_and_b32_e32 v27, 0x78, v27
	v_xor_b32_e32 v26, v26, v27
	s_branch .LBB80_31
.LBB80_29:
                                        ; implicit-def: $vgpr26
                                        ; implicit-def: $vgpr21
                                        ; implicit-def: $vgpr6_vgpr7_vgpr8_vgpr9
                                        ; implicit-def: $vgpr2_vgpr3_vgpr4_vgpr5
                                        ; implicit-def: $vgpr14_vgpr15_vgpr16_vgpr17
                                        ; implicit-def: $vgpr10_vgpr11_vgpr12_vgpr13
	s_cbranch_execz .LBB80_31
; %bb.30:
	s_waitcnt vmcnt(0)
	v_lshlrev_b32_e32 v2, 1, v18
	v_lshl_or_b32 v21, v25, 8, v2
	s_and_b32 s1, s1, 0xffff
	s_mov_b32 s3, 0x20000
	s_movk_i32 s2, 0x4000
	v_lshl_or_b32 v26, v20, 8, v2
	s_movk_i32 s13, 0x80
	buffer_load_dwordx4 v[6:9], v21, s[0:3], 0 offen
	buffer_load_dwordx4 v[2:5], v21, s[0:3], s13 offen
	;; [unrolled: 1-line block ×4, first 2 shown]
	v_lshrrev_b32_e32 v21, 3, v18
	v_lshlrev_b32_e32 v26, 3, v25
	v_or_b32_e32 v21, v26, v21
	v_lshlrev_b32_e32 v21, 4, v21
	v_and_b32_e32 v26, 0x78, v26
	v_xor_b32_e32 v26, v21, v26
	v_lshlrev_b32_e32 v21, 7, v20
.LBB80_31:
	s_movk_i32 s0, 0x1000
	v_and_or_b32 v20, v21, s0, v26
	s_waitcnt vmcnt(1)
	ds_write_b64 v26, v[6:7] offset:49152
	v_xor_b32_e32 v6, 8, v26
	ds_write_b64 v6, v[8:9] offset:49152
	s_waitcnt vmcnt(0)
	ds_write_b64 v26, v[2:3] offset:57344
	ds_write_b64 v6, v[4:5] offset:57344
	ds_write_b64 v20, v[14:15] offset:49152
	v_xor_b32_e32 v2, 8, v20
	ds_write_b64 v2, v[16:17] offset:49152
	ds_write_b64 v20, v[10:11] offset:57344
	ds_write_b64 v2, v[12:13] offset:57344
	v_or_b32_e32 v2, v1, v45
	v_lshlrev_b32_e32 v3, 11, v85
	v_lshlrev_b32_e32 v2, 3, v2
	v_and_b32_e32 v6, 0x1000, v3
	v_lshrrev_b32_e32 v3, 5, v84
	s_movk_i32 s0, 0xf8
	v_and_or_b32 v3, v2, s0, v3
	v_lshlrev_b32_e32 v7, 4, v3
	v_and_b32_e32 v8, 0x78, v2
	v_or_b32_e32 v10, 32, v7
	v_lshrrev_b32_e32 v3, 1, v84
	v_xor_b32_e32 v10, v10, v8
	v_xor_b32_e32 v2, v7, v8
	v_and_b32_e32 v9, 8, v3
	v_or_b32_e32 v10, v10, v6
	v_or_b32_e32 v2, v2, v6
	v_xor_b32_e32 v28, v10, v9
	v_or_b32_e32 v10, 64, v7
	v_xor_b32_e32 v27, v2, v9
	v_xor_b32_e32 v10, v10, v8
	s_waitcnt lgkmcnt(0)
	s_barrier
	v_or_b32_e32 v13, v10, v6
	ds_read_b64 v[10:11], v27 offset:49152
	v_lshl_or_b32 v14, v86, 8, v24
	v_lshlrev_b32_e32 v26, 1, v14
	v_add_u32_e32 v12, 0x4000, v26
	ds_read2_b64 v[2:5], v12 offset1:16
	v_or_b32_e32 v7, 0x60, v7
	v_xor_b32_e32 v7, v7, v8
	v_or_b32_e32 v6, v7, v6
	v_xor_b32_e32 v29, v13, v9
	v_xor_b32_e32 v30, v6, v9
	ds_read_b64 v[20:21], v28 offset:49152
	ds_read_b64 v[34:35], v29 offset:49152
	;; [unrolled: 1-line block ×3, first 2 shown]
	s_waitcnt lgkmcnt(3)
	v_mfma_f32_16x16x16_bf16 a[0:3], v[10:11], v[2:3], 0
	ds_read2_b64 v[6:9], v12 offset0:32 offset1:48
	s_lshl_b64 s[0:1], s[38:39], 8
	s_add_u32 s4, s4, s0
	v_mfma_f32_16x16x16_bf16 a[4:7], v[10:11], v[4:5], 0
	ds_read2st64_b64 v[2:5], v26 offset0:36 offset1:40
	s_addc_u32 s5, s5, s1
	s_add_i32 s2, s12, -1
	s_waitcnt lgkmcnt(1)
	v_mfma_f32_16x16x16_bf16 a[8:11], v[10:11], v[6:7], 0
	v_or_b32_e32 v6, 64, v14
	v_lshlrev_b32_e32 v31, 1, v6
	s_add_i32 s0, s44, s17
	s_waitcnt lgkmcnt(0)
	v_mfma_f32_16x16x16_bf16 a[0:3], v[20:21], v[2:3], a[0:3]
	v_or_b32_e32 v2, 0x80, v14
	v_lshlrev_b32_e32 v32, 1, v2
	v_or_b32_e32 v2, 0xc0, v14
	v_mfma_f32_16x16x16_bf16 a[12:15], v[10:11], v[8:9], 0
	ds_read2st64_b64 v[6:9], v31 offset0:36 offset1:40
	v_lshlrev_b32_e32 v33, 1, v2
	ds_read2st64_b64 v[10:13], v32 offset0:36 offset1:40
	ds_read2st64_b64 v[14:17], v33 offset0:36 offset1:40
	s_mul_i32 s35, s35, s16
	s_add_i32 s35, s0, s35
	s_mul_i32 s0, s33, s19
	s_mul_hi_u32 s1, s33, s18
	s_ashr_i32 s3, s2, 31
	s_mul_i32 s12, s2, s29
	s_mul_hi_u32 s13, s2, s28
	s_waitcnt lgkmcnt(2)
	v_mfma_f32_16x16x16_bf16 a[4:7], v[20:21], v[6:7], a[4:7]
	s_add_i32 s0, s1, s0
	s_mul_i32 s1, s14, s18
	s_add_i32 s12, s13, s12
	s_mul_i32 s3, s3, s28
	s_waitcnt lgkmcnt(1)
	v_mfma_f32_16x16x16_bf16 a[8:11], v[20:21], v[10:11], a[8:11]
	s_add_i32 s1, s0, s1
	s_add_i32 s3, s12, s3
	s_lshl_b64 s[12:13], s[34:35], 2
	s_waitcnt lgkmcnt(0)
	v_mfma_f32_16x16x16_bf16 a[12:15], v[20:21], v[14:15], a[12:15]
	s_mul_i32 s0, s33, s18
	s_add_u32 s10, s10, s12
	s_addc_u32 s11, s11, s13
	s_lshl_b64 s[0:1], s[0:1], 2
	v_mfma_f32_16x16x16_bf16 a[0:3], v[34:35], v[4:5], a[0:3]
	s_mul_i32 s2, s2, s28
	ds_read_b64 v[2:3], v26 offset:22528
	s_add_u32 s10, s10, s0
	v_mfma_f32_16x16x16_bf16 a[4:7], v[34:35], v[8:9], a[4:7]
	ds_read_b64 v[4:5], v31 offset:22528
	ds_read_b64 v[6:7], v32 offset:22528
	;; [unrolled: 1-line block ×3, first 2 shown]
	s_addc_u32 s11, s11, s1
	s_lshl_b64 s[0:1], s[2:3], 2
	v_mfma_f32_16x16x16_bf16 a[8:11], v[34:35], v[12:13], a[8:11]
	s_add_u32 s0, s10, s0
	s_addc_u32 s1, s11, s1
	s_load_dword s12, s[0:1], 0x0
	v_mfma_f32_16x16x16_bf16 a[12:15], v[34:35], v[16:17], a[12:15]
	s_and_b64 vcc, exec, s[26:27]
	s_waitcnt lgkmcnt(0)
	v_mfma_f32_16x16x16_bf16 a[0:3], v[36:37], v[2:3], a[0:3]
	v_mfma_f32_16x16x16_bf16 a[4:7], v[36:37], v[4:5], a[4:7]
	;; [unrolled: 1-line block ×4, first 2 shown]
	s_cbranch_vccz .LBB80_42
; %bb.32:
	v_lshlrev_b32_e32 v20, 1, v25
	s_and_b64 vcc, exec, s[6:7]
	s_cbranch_vccz .LBB80_43
; %bb.33:
	v_cmp_gt_i32_e32 vcc, s41, v20
	v_mov_b32_e32 v6, 0
	v_mov_b32_e32 v2, 0
	;; [unrolled: 1-line block ×5, first 2 shown]
	s_and_saveexec_b64 s[0:1], vcc
	s_cbranch_execz .LBB80_35
; %bb.34:
	v_mad_i64_i32 v[2:3], s[2:3], s15, v20, 0
	v_lshl_add_u64 v[2:3], v[2:3], 1, s[4:5]
	v_lshlrev_b32_e32 v4, 1, v18
	v_mov_b32_e32 v5, 0
	v_lshl_add_u64 v[2:3], v[2:3], 0, v[4:5]
	global_load_dwordx4 v[2:5], v[2:3], off
.LBB80_35:
	s_or_b64 exec, exec, s[0:1]
	v_or_b32_e32 v21, 1, v20
	v_cmp_gt_i32_e64 s[0:1], s41, v21
	v_mov_b32_e32 v7, 0
	v_mov_b32_e32 v8, 0
	;; [unrolled: 1-line block ×3, first 2 shown]
	s_and_saveexec_b64 s[2:3], s[0:1]
	s_cbranch_execz .LBB80_37
; %bb.36:
	v_mad_i64_i32 v[6:7], s[16:17], s15, v21, 0
	v_lshl_add_u64 v[6:7], v[6:7], 1, s[4:5]
	v_lshlrev_b32_e32 v8, 1, v18
	v_mov_b32_e32 v9, 0
	v_lshl_add_u64 v[6:7], v[6:7], 0, v[8:9]
	global_load_dwordx4 v[6:9], v[6:7], off
.LBB80_37:
	s_or_b64 exec, exec, s[2:3]
	v_mov_b32_e32 v17, 0
	v_mov_b32_e32 v10, 0
	;; [unrolled: 1-line block ×5, first 2 shown]
	s_and_saveexec_b64 s[2:3], vcc
	s_cbranch_execz .LBB80_39
; %bb.38:
	v_mad_i64_i32 v[10:11], s[16:17], s15, v20, 0
	v_lshl_add_u64 v[10:11], v[10:11], 1, s[4:5]
	v_lshlrev_b32_e32 v12, 1, v18
	v_mov_b32_e32 v13, 0
	v_lshl_add_u64 v[10:11], v[10:11], 0, v[12:13]
	global_load_dwordx4 v[10:13], v[10:11], off offset:128
.LBB80_39:
	s_or_b64 exec, exec, s[2:3]
	v_mov_b32_e32 v16, 0
	v_mov_b32_e32 v15, 0
	v_mov_b32_e32 v14, 0
	s_and_saveexec_b64 s[2:3], s[0:1]
	s_cbranch_execz .LBB80_41
; %bb.40:
	v_mad_i64_i32 v[14:15], s[0:1], s15, v21, 0
	v_lshl_add_u64 v[14:15], v[14:15], 1, s[4:5]
	v_lshlrev_b32_e32 v16, 1, v18
	v_mov_b32_e32 v17, 0
	v_lshl_add_u64 v[14:15], v[14:15], 0, v[16:17]
	global_load_dwordx4 v[14:17], v[14:15], off offset:128
.LBB80_41:
	s_or_b64 exec, exec, s[2:3]
	s_branch .LBB80_45
.LBB80_42:
                                        ; implicit-def: $vgpr5
                                        ; implicit-def: $vgpr9
                                        ; implicit-def: $vgpr13
                                        ; implicit-def: $vgpr17
	v_lshrrev_b32_e32 v34, 2, v84
	s_branch .LBB80_46
.LBB80_43:
                                        ; implicit-def: $vgpr5
                                        ; implicit-def: $vgpr9
                                        ; implicit-def: $vgpr13
                                        ; implicit-def: $vgpr17
	s_cbranch_execz .LBB80_45
; %bb.44:
	s_waitcnt vmcnt(0)
	v_mad_u64_u32 v[2:3], s[0:1], v20, s15, v[18:19]
	v_lshlrev_b32_e32 v20, 1, v2
	s_lshl_b32 s2, s15, 7
	s_and_b32 s1, s5, 0xffff
	s_mov_b32 s3, 0x20000
	s_mov_b32 s0, s4
	v_add_lshl_u32 v21, v2, s15, 1
	s_movk_i32 s13, 0x80
	buffer_load_dwordx4 v[2:5], v20, s[0:3], 0 offen
	buffer_load_dwordx4 v[10:13], v20, s[0:3], s13 offen
	;; [unrolled: 1-line block ×4, first 2 shown]
.LBB80_45:
	v_lshrrev_b32_e32 v34, 2, v84
	s_cbranch_execnz .LBB80_58
.LBB80_46:
	s_and_b64 vcc, exec, s[6:7]
	s_cbranch_vccz .LBB80_56
; %bb.47:
	s_waitcnt vmcnt(0)
	v_lshlrev_b32_e32 v7, 1, v25
	v_cmp_gt_i32_e32 vcc, s41, v7
	v_mov_b32_e32 v6, 0
	v_lshlrev_b32_e32 v14, 9, v25
	v_mov_b32_e32 v2, 0
	v_mov_b32_e32 v3, 0
	;; [unrolled: 1-line block ×4, first 2 shown]
	s_and_saveexec_b64 s[0:1], vcc
	s_cbranch_execz .LBB80_49
; %bb.48:
	v_mov_b32_e32 v15, 0
	v_lshl_add_u64 v[2:3], s[4:5], 0, v[14:15]
	v_lshlrev_b32_e32 v4, 1, v18
	v_mov_b32_e32 v5, v15
	v_lshl_add_u64 v[2:3], v[2:3], 0, v[4:5]
	global_load_dwordx4 v[2:5], v[2:3], off
.LBB80_49:
	s_or_b64 exec, exec, s[0:1]
	v_or_b32_e32 v7, 1, v7
	v_cmp_gt_i32_e64 s[0:1], s41, v7
	v_lshlrev_b32_e32 v20, 8, v7
	v_mov_b32_e32 v7, 0
	v_mov_b32_e32 v8, 0
	;; [unrolled: 1-line block ×3, first 2 shown]
	s_and_saveexec_b64 s[2:3], s[0:1]
	s_cbranch_execz .LBB80_51
; %bb.50:
	v_mov_b32_e32 v21, 0
	v_lshl_add_u64 v[6:7], s[4:5], 0, v[20:21]
	v_lshlrev_b32_e32 v8, 1, v18
	v_mov_b32_e32 v9, v21
	v_lshl_add_u64 v[6:7], v[6:7], 0, v[8:9]
	global_load_dwordx4 v[6:9], v[6:7], off
.LBB80_51:
	s_or_b64 exec, exec, s[2:3]
	v_mov_b32_e32 v17, 0
	v_mov_b32_e32 v10, 0
	v_mov_b32_e32 v11, 0
	v_mov_b32_e32 v12, 0
	v_mov_b32_e32 v13, 0
	s_and_saveexec_b64 s[2:3], vcc
	s_cbranch_execz .LBB80_53
; %bb.52:
	v_mov_b32_e32 v15, 0
	v_lshl_add_u64 v[10:11], s[4:5], 0, v[14:15]
	v_lshlrev_b32_e32 v14, 1, v18
	v_lshl_add_u64 v[10:11], v[10:11], 0, v[14:15]
	global_load_dwordx4 v[10:13], v[10:11], off offset:128
.LBB80_53:
	s_or_b64 exec, exec, s[2:3]
	v_mov_b32_e32 v16, 0
	v_mov_b32_e32 v15, 0
	;; [unrolled: 1-line block ×3, first 2 shown]
	s_and_saveexec_b64 s[2:3], s[0:1]
	s_cbranch_execz .LBB80_55
; %bb.54:
	v_mov_b32_e32 v21, 0
	v_lshl_add_u64 v[14:15], s[4:5], 0, v[20:21]
	v_lshlrev_b32_e32 v20, 1, v18
	v_lshl_add_u64 v[14:15], v[14:15], 0, v[20:21]
	global_load_dwordx4 v[14:17], v[14:15], off offset:128
.LBB80_55:
	s_or_b64 exec, exec, s[2:3]
	s_branch .LBB80_58
.LBB80_56:
                                        ; implicit-def: $vgpr5
                                        ; implicit-def: $vgpr9
                                        ; implicit-def: $vgpr13
                                        ; implicit-def: $vgpr17
	s_cbranch_execz .LBB80_58
; %bb.57:
	s_waitcnt vmcnt(0)
	v_lshlrev_b32_e32 v2, 1, v18
	v_lshl_or_b32 v18, v25, 9, v2
	s_and_b32 s5, s5, 0xffff
	s_mov_b32 s7, 0x20000
	s_movk_i32 s6, 0x4000
	s_movk_i32 s0, 0x80
	buffer_load_dwordx4 v[2:5], v18, s[4:7], 0 offen
	buffer_load_dwordx4 v[6:9], v18, s[4:7], 0 offen offset:256
	buffer_load_dwordx4 v[10:13], v18, s[4:7], s0 offen
	buffer_load_dwordx4 v[14:17], v18, s[4:7], s0 offen offset:256
.LBB80_58:
	ds_read_b64 v[20:21], v27 offset:57344
	v_add_u32_e32 v18, 0x6000, v26
	ds_read2_b64 v[36:39], v18 offset1:16
	ds_read_b64 v[54:55], v28 offset:57344
	ds_read_b64 v[28:29], v29 offset:57344
	;; [unrolled: 1-line block ×3, first 2 shown]
	ds_read2st64_b64 v[40:43], v26 offset0:52 offset1:56
	s_mov_b32 s0, 0x1000504
	s_mov_b32 s1, 0x3020706
	s_waitcnt lgkmcnt(4)
	v_mfma_f32_16x16x16_bf16 a[0:3], v[20:21], v[36:37], a[0:3]
	v_mfma_f32_16x16x16_bf16 a[4:7], v[20:21], v[38:39], a[4:7]
	ds_read2_b64 v[36:39], v18 offset0:32 offset1:48
	v_and_b32_e32 v18, 6, v0
	v_xor_b32_e32 v25, v25, v18
	s_waitcnt lgkmcnt(0)
	v_mfma_f32_16x16x16_bf16 a[8:11], v[20:21], v[36:37], a[8:11]
	v_lshlrev_b32_e32 v25, 2, v25
	v_and_b32_e32 v0, 1, v0
	v_xor_b32_e32 v35, 0x440, v25
	v_mfma_f32_16x16x16_bf16 a[12:15], v[20:21], v[38:39], a[12:15]
	ds_read2st64_b64 v[36:39], v31 offset0:52 offset1:56
	ds_read2st64_b64 v[46:49], v32 offset0:52 offset1:56
	;; [unrolled: 1-line block ×3, first 2 shown]
	v_cmp_eq_u32_e32 vcc, 0, v0
	ds_read_b64 v[20:21], v26 offset:30720
	ds_read_b64 v[26:27], v31 offset:30720
	;; [unrolled: 1-line block ×4, first 2 shown]
	v_mfma_f32_16x16x16_bf16 a[0:3], v[54:55], v[40:41], a[0:3]
	v_cndmask_b32_e32 v0, v35, v25, vcc
	v_lshl_or_b32 v0, v18, 10, v0
	s_waitcnt vmcnt(0)
	v_perm_b32 v18, v2, v6, s0
	s_waitcnt lgkmcnt(6)
	v_mfma_f32_16x16x16_bf16 a[4:7], v[54:55], v[36:37], a[4:7]
	v_perm_b32 v25, v10, v14, s0
	ds_write2st64_b32 v0, v18, v25 offset0:128 offset1:160
	v_xor_b32_e32 v18, 8, v0
	s_waitcnt lgkmcnt(6)
	v_mfma_f32_16x16x16_bf16 a[8:11], v[54:55], v[46:47], a[8:11]
	v_perm_b32 v2, v2, v6, s1
	v_perm_b32 v6, v10, v14, s1
	v_add_u32_e32 v10, 0x80, v18
	s_waitcnt lgkmcnt(5)
	v_mfma_f32_16x16x16_bf16 a[12:15], v[54:55], v[50:51], a[12:15]
	ds_write2st64_b32 v10, v2, v6 offset0:128 offset1:160
	v_xor_b32_e32 v2, 16, v0
	v_perm_b32 v6, v3, v7, s0
	v_mfma_f32_16x16x16_bf16 a[0:3], v[28:29], v[42:43], a[0:3]
	v_perm_b32 v10, v11, v15, s0
	ds_write2st64_b32 v2, v6, v10 offset0:129 offset1:161
	v_xor_b32_e32 v2, 24, v0
	v_mfma_f32_16x16x16_bf16 a[4:7], v[28:29], v[38:39], a[4:7]
	v_perm_b32 v3, v3, v7, s1
	v_perm_b32 v6, v11, v15, s1
	v_add_u32_e32 v2, 0x80, v2
	v_mfma_f32_16x16x16_bf16 a[16:19], v[28:29], v[48:49], a[8:11]
	ds_write2st64_b32 v2, v3, v6 offset0:129 offset1:161
	v_xor_b32_e32 v2, 32, v0
	v_perm_b32 v3, v4, v8, s0
	v_mfma_f32_16x16x16_bf16 a[20:23], v[28:29], v[52:53], a[12:15]
	v_perm_b32 v6, v12, v16, s0
	ds_write2st64_b32 v2, v3, v6 offset0:130 offset1:162
	v_xor_b32_e32 v2, 40, v0
	s_waitcnt lgkmcnt(8)
	v_mfma_f32_16x16x16_bf16 a[12:15], v[56:57], v[20:21], a[0:3]
	v_perm_b32 v3, v4, v8, s1
	v_perm_b32 v4, v12, v16, s1
	v_add_u32_e32 v2, 0x80, v2
	s_waitcnt lgkmcnt(7)
	v_mfma_f32_16x16x16_bf16 a[8:11], v[56:57], v[26:27], a[4:7]
	ds_write2st64_b32 v2, v3, v4 offset0:130 offset1:162
	v_xor_b32_e32 v2, 48, v0
	v_perm_b32 v3, v5, v9, s0
	s_waitcnt lgkmcnt(7)
	v_mfma_f32_16x16x16_bf16 a[4:7], v[56:57], v[30:31], a[16:19]
	v_perm_b32 v4, v13, v17, s0
	v_xor_b32_e32 v0, 56, v0
	v_and_or_b32 v18, v34, 12, v1
	s_waitcnt lgkmcnt(6)
	v_mfma_f32_16x16x16_bf16 a[0:3], v[56:57], v[32:33], a[20:23]
	ds_write2st64_b32 v2, v3, v4 offset0:131 offset1:163
	v_perm_b32 v2, v5, v9, s1
	v_perm_b32 v3, v13, v17, s1
	v_add_u32_e32 v0, 0x80, v0
	v_cmp_gt_i32_e32 vcc, s41, v18
	v_mov_b32_e32 v14, 0
	v_mov_b32_e32 v16, 0
	ds_write2st64_b32 v0, v2, v3 offset0:131 offset1:163
	s_and_saveexec_b64 s[0:1], vcc
	s_cbranch_execz .LBB80_60
; %bb.59:
	v_add_u32_e32 v0, s40, v18
	v_ashrrev_i32_e32 v1, 31, v0
	v_mul_lo_u32 v2, v1, s28
	v_mul_lo_u32 v3, v0, s29
	v_mad_u64_u32 v[0:1], s[2:3], v0, s28, 0
	v_add3_u32 v1, v1, v3, v2
	v_lshl_add_u64 v[0:1], v[0:1], 2, s[10:11]
	global_load_dword v0, v[0:1], off
	s_waitcnt vmcnt(0)
	v_sub_f32_e32 v0, s12, v0
	v_mul_f32_e32 v0, 0x3fb8aa3b, v0
	v_exp_f32_e32 v16, v0
.LBB80_60:
	s_or_b64 exec, exec, s[0:1]
	v_or_b32_e32 v8, 1, v18
	v_cmp_gt_i32_e64 s[0:1], s41, v8
	s_and_saveexec_b64 s[2:3], s[0:1]
	s_cbranch_execz .LBB80_62
; %bb.61:
	v_add_u32_e32 v0, s40, v8
	v_ashrrev_i32_e32 v1, 31, v0
	v_mul_lo_u32 v2, v1, s28
	v_mul_lo_u32 v3, v0, s29
	v_mad_u64_u32 v[0:1], s[4:5], v0, s28, 0
	v_add3_u32 v1, v1, v3, v2
	v_lshl_add_u64 v[0:1], v[0:1], 2, s[10:11]
	global_load_dword v0, v[0:1], off
	s_waitcnt vmcnt(0)
	v_sub_f32_e32 v0, s12, v0
	v_mul_f32_e32 v0, 0x3fb8aa3b, v0
	v_exp_f32_e32 v14, v0
.LBB80_62:
	s_or_b64 exec, exec, s[2:3]
	v_or_b32_e32 v10, 2, v18
	v_cmp_gt_i32_e64 s[2:3], s41, v10
	v_mov_b32_e32 v15, 0
	v_mov_b32_e32 v17, 0
	s_and_saveexec_b64 s[4:5], s[2:3]
	s_cbranch_execz .LBB80_64
; %bb.63:
	v_add_u32_e32 v0, s40, v10
	v_ashrrev_i32_e32 v1, 31, v0
	v_mul_lo_u32 v2, v1, s28
	v_mul_lo_u32 v3, v0, s29
	v_mad_u64_u32 v[0:1], s[6:7], v0, s28, 0
	v_add3_u32 v1, v1, v3, v2
	v_lshl_add_u64 v[0:1], v[0:1], 2, s[10:11]
	global_load_dword v0, v[0:1], off
	s_waitcnt vmcnt(0)
	v_sub_f32_e32 v0, s12, v0
	v_mul_f32_e32 v0, 0x3fb8aa3b, v0
	v_exp_f32_e32 v17, v0
.LBB80_64:
	s_or_b64 exec, exec, s[4:5]
	v_or_b32_e32 v12, 3, v18
	v_cmp_gt_i32_e64 s[4:5], s41, v12
	s_and_saveexec_b64 s[6:7], s[4:5]
	s_cbranch_execz .LBB80_66
; %bb.65:
	v_add_u32_e32 v0, s40, v12
	v_ashrrev_i32_e32 v1, 31, v0
	v_mul_lo_u32 v2, v1, s28
	v_mul_lo_u32 v3, v0, s29
	v_mad_u64_u32 v[0:1], s[14:15], v0, s28, 0
	v_add3_u32 v1, v1, v3, v2
	v_lshl_add_u64 v[0:1], v[0:1], 2, s[10:11]
	global_load_dword v0, v[0:1], off
	s_waitcnt vmcnt(0)
	v_sub_f32_e32 v0, s12, v0
	v_mul_f32_e32 v0, 0x3fb8aa3b, v0
	v_exp_f32_e32 v15, v0
.LBB80_66:
	s_or_b64 exec, exec, s[6:7]
	v_or_b32_e32 v4, s30, v45
	s_add_u32 s6, s8, s24
	v_accvgpr_read_b32 v0, a12
	s_addc_u32 s7, s9, s25
	v_ashrrev_i32_e32 v5, 31, v4
	v_accvgpr_read_b32 v1, a13
	v_accvgpr_read_b32 v2, a14
	;; [unrolled: 1-line block ×3, first 2 shown]
	v_lshl_add_u64 v[4:5], v[4:5], 1, s[6:7]
	v_mov_b32_e32 v9, 0
	v_lshlrev_b32_e32 v6, 8, v18
	v_mov_b32_e32 v7, 0
	s_and_saveexec_b64 s[6:7], vcc
	s_cbranch_execz .LBB80_68
; %bb.67:
	v_mov_b32_e32 v7, 0
	v_lshl_add_u64 v[20:21], v[4:5], 0, v[6:7]
	global_load_ushort v7, v[20:21], off
	s_waitcnt vmcnt(0)
	v_lshlrev_b32_e32 v7, 16, v7
	v_sub_f32_e32 v0, v7, v0
	v_mul_f32_e32 v0, v16, v0
	v_lshrrev_b32_e32 v7, 16, v0
.LBB80_68:
	s_or_b64 exec, exec, s[6:7]
	v_lshlrev_b32_e32 v8, 8, v8
	s_and_saveexec_b64 s[6:7], s[0:1]
	s_cbranch_execz .LBB80_70
; %bb.69:
	v_mov_b32_e32 v9, 0
	v_lshl_add_u64 v[20:21], v[4:5], 0, v[8:9]
	global_load_ushort v0, v[20:21], off
	s_waitcnt vmcnt(0)
	v_lshlrev_b32_e32 v0, 16, v0
	v_sub_f32_e32 v0, v0, v1
	v_mul_f32_e32 v0, v14, v0
	v_lshrrev_b32_e32 v9, 16, v0
.LBB80_70:
	s_or_b64 exec, exec, s[6:7]
	v_mov_b32_e32 v13, 0
	v_lshlrev_b32_e32 v10, 8, v10
	v_mov_b32_e32 v11, 0
	s_and_saveexec_b64 s[6:7], s[2:3]
	s_cbranch_execz .LBB80_72
; %bb.71:
	v_mov_b32_e32 v11, 0
	v_lshl_add_u64 v[0:1], v[4:5], 0, v[10:11]
	global_load_ushort v0, v[0:1], off
	s_waitcnt vmcnt(0)
	v_lshlrev_b32_e32 v0, 16, v0
	v_sub_f32_e32 v0, v0, v2
	v_mul_f32_e32 v0, v17, v0
	v_lshrrev_b32_e32 v11, 16, v0
.LBB80_72:
	s_or_b64 exec, exec, s[6:7]
	v_lshlrev_b32_e32 v12, 8, v12
	s_and_saveexec_b64 s[6:7], s[4:5]
	s_cbranch_execz .LBB80_74
; %bb.73:
	v_mov_b32_e32 v13, 0
	v_lshl_add_u64 v[0:1], v[4:5], 0, v[12:13]
	global_load_ushort v0, v[0:1], off
	s_waitcnt vmcnt(0)
	v_lshlrev_b32_e32 v0, 16, v0
	v_sub_f32_e32 v0, v0, v3
	v_mul_f32_e32 v0, v15, v0
	v_lshrrev_b32_e32 v13, 16, v0
.LBB80_74:
	s_or_b64 exec, exec, s[6:7]
	v_lshlrev_b32_e32 v18, 6, v18
	s_mov_b32 s6, 0x5040100
	v_perm_b32 v20, v9, v7, s6
	v_or_b32_e32 v7, v18, v24
	v_accvgpr_read_b32 v0, a8
	v_perm_b32 v21, v13, v11, s6
	v_lshlrev_b32_e32 v7, 1, v7
	v_accvgpr_read_b32 v1, a9
	v_accvgpr_read_b32 v2, a10
	;; [unrolled: 1-line block ×3, first 2 shown]
	ds_write_b64 v7, v[20:21] offset:24576
	v_mov_b32_e32 v9, 0
	v_mov_b32_e32 v7, 0
	s_and_saveexec_b64 s[6:7], vcc
	s_cbranch_execz .LBB80_76
; %bb.75:
	v_mov_b32_e32 v7, 0
	v_lshl_add_u64 v[20:21], v[4:5], 0, v[6:7]
	global_load_ushort v7, v[20:21], off offset:32
	s_waitcnt vmcnt(0)
	v_lshlrev_b32_e32 v7, 16, v7
	v_sub_f32_e32 v0, v7, v0
	v_mul_f32_e32 v0, v16, v0
	v_lshrrev_b32_e32 v7, 16, v0
.LBB80_76:
	s_or_b64 exec, exec, s[6:7]
	s_and_saveexec_b64 s[6:7], s[0:1]
	s_cbranch_execz .LBB80_78
; %bb.77:
	v_mov_b32_e32 v9, 0
	v_lshl_add_u64 v[20:21], v[4:5], 0, v[8:9]
	global_load_ushort v0, v[20:21], off offset:32
	s_waitcnt vmcnt(0)
	v_lshlrev_b32_e32 v0, 16, v0
	v_sub_f32_e32 v0, v0, v1
	v_mul_f32_e32 v0, v14, v0
	v_lshrrev_b32_e32 v9, 16, v0
.LBB80_78:
	s_or_b64 exec, exec, s[6:7]
	v_mov_b32_e32 v13, 0
	v_mov_b32_e32 v11, 0
	s_and_saveexec_b64 s[6:7], s[2:3]
	s_cbranch_execz .LBB80_80
; %bb.79:
	v_mov_b32_e32 v11, 0
	v_lshl_add_u64 v[0:1], v[4:5], 0, v[10:11]
	global_load_ushort v0, v[0:1], off offset:32
	s_waitcnt vmcnt(0)
	v_lshlrev_b32_e32 v0, 16, v0
	v_sub_f32_e32 v0, v0, v2
	v_mul_f32_e32 v0, v17, v0
	v_lshrrev_b32_e32 v11, 16, v0
.LBB80_80:
	s_or_b64 exec, exec, s[6:7]
	s_and_saveexec_b64 s[6:7], s[4:5]
	s_cbranch_execz .LBB80_82
; %bb.81:
	v_mov_b32_e32 v13, 0
	v_lshl_add_u64 v[0:1], v[4:5], 0, v[12:13]
	global_load_ushort v0, v[0:1], off offset:32
	s_waitcnt vmcnt(0)
	v_lshlrev_b32_e32 v0, 16, v0
	v_sub_f32_e32 v0, v0, v3
	v_mul_f32_e32 v0, v15, v0
	v_lshrrev_b32_e32 v13, 16, v0
.LBB80_82:
	s_or_b64 exec, exec, s[6:7]
	s_mov_b32 s6, 0x5040100
	v_perm_b32 v20, v9, v7, s6
	v_or_b32_e32 v7, v18, v23
	v_accvgpr_read_b32 v0, a4
	v_perm_b32 v21, v13, v11, s6
	v_lshlrev_b32_e32 v7, 1, v7
	v_accvgpr_read_b32 v1, a5
	v_accvgpr_read_b32 v2, a6
	v_accvgpr_read_b32 v3, a7
	ds_write_b64 v7, v[20:21] offset:24576
	v_mov_b32_e32 v9, 0
	v_mov_b32_e32 v7, 0
	s_and_saveexec_b64 s[6:7], vcc
	s_cbranch_execz .LBB80_84
; %bb.83:
	v_mov_b32_e32 v7, 0
	v_lshl_add_u64 v[20:21], v[4:5], 0, v[6:7]
	global_load_ushort v7, v[20:21], off offset:64
	s_waitcnt vmcnt(0)
	v_lshlrev_b32_e32 v7, 16, v7
	v_sub_f32_e32 v0, v7, v0
	v_mul_f32_e32 v0, v16, v0
	v_lshrrev_b32_e32 v7, 16, v0
.LBB80_84:
	s_or_b64 exec, exec, s[6:7]
	s_and_saveexec_b64 s[6:7], s[0:1]
	s_cbranch_execz .LBB80_86
; %bb.85:
	v_mov_b32_e32 v9, 0
	v_lshl_add_u64 v[20:21], v[4:5], 0, v[8:9]
	global_load_ushort v0, v[20:21], off offset:64
	s_waitcnt vmcnt(0)
	v_lshlrev_b32_e32 v0, 16, v0
	v_sub_f32_e32 v0, v0, v1
	v_mul_f32_e32 v0, v14, v0
	v_lshrrev_b32_e32 v9, 16, v0
.LBB80_86:
	s_or_b64 exec, exec, s[6:7]
	v_mov_b32_e32 v13, 0
	v_mov_b32_e32 v11, 0
	s_and_saveexec_b64 s[6:7], s[2:3]
	s_cbranch_execz .LBB80_88
; %bb.87:
	v_mov_b32_e32 v11, 0
	v_lshl_add_u64 v[0:1], v[4:5], 0, v[10:11]
	global_load_ushort v0, v[0:1], off offset:64
	s_waitcnt vmcnt(0)
	v_lshlrev_b32_e32 v0, 16, v0
	v_sub_f32_e32 v0, v0, v2
	v_mul_f32_e32 v0, v17, v0
	v_lshrrev_b32_e32 v11, 16, v0
.LBB80_88:
	s_or_b64 exec, exec, s[6:7]
	s_and_saveexec_b64 s[6:7], s[4:5]
	s_cbranch_execz .LBB80_90
; %bb.89:
	v_mov_b32_e32 v13, 0
	v_lshl_add_u64 v[0:1], v[4:5], 0, v[12:13]
	global_load_ushort v0, v[0:1], off offset:64
	s_waitcnt vmcnt(0)
	v_lshlrev_b32_e32 v0, 16, v0
	v_sub_f32_e32 v0, v0, v3
	v_mul_f32_e32 v0, v15, v0
	v_lshrrev_b32_e32 v13, 16, v0
.LBB80_90:
	s_or_b64 exec, exec, s[6:7]
	s_mov_b32 s6, 0x5040100
	v_perm_b32 v20, v9, v7, s6
	v_or_b32_e32 v7, v18, v22
	v_accvgpr_read_b32 v0, a0
	v_perm_b32 v21, v13, v11, s6
	v_lshlrev_b32_e32 v7, 1, v7
	v_accvgpr_read_b32 v1, a1
	v_accvgpr_read_b32 v2, a2
	;; [unrolled: 1-line block ×3, first 2 shown]
	ds_write_b64 v7, v[20:21] offset:24576
	v_mov_b32_e32 v9, 0
	v_mov_b32_e32 v7, 0
	s_and_saveexec_b64 s[6:7], vcc
	s_cbranch_execz .LBB80_92
; %bb.91:
	v_mov_b32_e32 v7, 0
	v_lshl_add_u64 v[6:7], v[4:5], 0, v[6:7]
	global_load_ushort v6, v[6:7], off offset:96
	s_waitcnt vmcnt(0)
	v_lshlrev_b32_e32 v6, 16, v6
	v_sub_f32_e32 v0, v6, v0
	v_mul_f32_e32 v0, v16, v0
	v_lshrrev_b32_e32 v7, 16, v0
.LBB80_92:
	s_or_b64 exec, exec, s[6:7]
	s_and_saveexec_b64 s[6:7], s[0:1]
	s_cbranch_execz .LBB80_94
; %bb.93:
	v_mov_b32_e32 v9, 0
	v_lshl_add_u64 v[8:9], v[4:5], 0, v[8:9]
	global_load_ushort v0, v[8:9], off offset:96
	s_waitcnt vmcnt(0)
	v_lshlrev_b32_e32 v0, 16, v0
	v_sub_f32_e32 v0, v0, v1
	v_mul_f32_e32 v0, v14, v0
	v_lshrrev_b32_e32 v9, 16, v0
.LBB80_94:
	s_or_b64 exec, exec, s[6:7]
	v_mov_b32_e32 v0, 0
	v_mov_b32_e32 v1, 0
	s_and_saveexec_b64 s[0:1], s[2:3]
	s_cbranch_execz .LBB80_96
; %bb.95:
	v_mov_b32_e32 v11, 0
	v_lshl_add_u64 v[10:11], v[4:5], 0, v[10:11]
	global_load_ushort v1, v[10:11], off offset:96
	s_waitcnt vmcnt(0)
	v_lshlrev_b32_e32 v1, 16, v1
	v_sub_f32_e32 v1, v1, v2
	v_mul_f32_e32 v1, v17, v1
	v_lshrrev_b32_e32 v1, 16, v1
.LBB80_96:
	s_or_b64 exec, exec, s[0:1]
	s_and_saveexec_b64 s[0:1], s[4:5]
	s_cbranch_execz .LBB80_98
; %bb.97:
	v_mov_b32_e32 v13, 0
	v_lshl_add_u64 v[4:5], v[4:5], 0, v[12:13]
	global_load_ushort v0, v[4:5], off offset:96
	s_waitcnt vmcnt(0)
	v_lshlrev_b32_e32 v0, 16, v0
	v_sub_f32_e32 v0, v0, v3
	v_mul_f32_e32 v0, v15, v0
	v_lshrrev_b32_e32 v0, 16, v0
.LBB80_98:
	s_or_b64 exec, exec, s[0:1]
	s_mov_b32 s0, 0x5040100
	v_or_b32_e32 v2, v18, v19
	v_perm_b32 v1, v0, v1, s0
	v_perm_b32 v0, v9, v7, s0
	v_lshlrev_b32_e32 v2, 1, v2
	ds_write_b64 v2, v[0:1] offset:24576
	s_waitcnt lgkmcnt(0)
	s_barrier
.LBB80_99:
	s_endpgm
	.section	.rodata,"a",@progbits
	.p2align	6, 0x0
	.amdhsa_kernel _ZN12_GLOBAL__N_139chunk_gated_delta_rule_fwd_h_hip_kernelILi64ELb0ELb0ELb0ELb0ELb0ELb1ELb1ELb1EEEvPK12hip_bfloat16S3_S3_PKfS5_PKvPS1_S8_PvPKiSB_iiiiilll
		.amdhsa_group_segment_fixed_size 65536
		.amdhsa_private_segment_fixed_size 0
		.amdhsa_kernarg_size 136
		.amdhsa_user_sgpr_count 2
		.amdhsa_user_sgpr_dispatch_ptr 0
		.amdhsa_user_sgpr_queue_ptr 0
		.amdhsa_user_sgpr_kernarg_segment_ptr 1
		.amdhsa_user_sgpr_dispatch_id 0
		.amdhsa_user_sgpr_kernarg_preload_length 0
		.amdhsa_user_sgpr_kernarg_preload_offset 0
		.amdhsa_user_sgpr_private_segment_size 0
		.amdhsa_uses_dynamic_stack 0
		.amdhsa_enable_private_segment 0
		.amdhsa_system_sgpr_workgroup_id_x 1
		.amdhsa_system_sgpr_workgroup_id_y 1
		.amdhsa_system_sgpr_workgroup_id_z 0
		.amdhsa_system_sgpr_workgroup_info 0
		.amdhsa_system_vgpr_workitem_id 0
		.amdhsa_next_free_vgpr 232
		.amdhsa_next_free_sgpr 66
		.amdhsa_accum_offset 192
		.amdhsa_reserve_vcc 1
		.amdhsa_float_round_mode_32 0
		.amdhsa_float_round_mode_16_64 0
		.amdhsa_float_denorm_mode_32 3
		.amdhsa_float_denorm_mode_16_64 3
		.amdhsa_dx10_clamp 1
		.amdhsa_ieee_mode 1
		.amdhsa_fp16_overflow 0
		.amdhsa_tg_split 0
		.amdhsa_exception_fp_ieee_invalid_op 0
		.amdhsa_exception_fp_denorm_src 0
		.amdhsa_exception_fp_ieee_div_zero 0
		.amdhsa_exception_fp_ieee_overflow 0
		.amdhsa_exception_fp_ieee_underflow 0
		.amdhsa_exception_fp_ieee_inexact 0
		.amdhsa_exception_int_div_zero 0
	.end_amdhsa_kernel
	.section	.text._ZN12_GLOBAL__N_139chunk_gated_delta_rule_fwd_h_hip_kernelILi64ELb0ELb0ELb0ELb0ELb0ELb1ELb1ELb1EEEvPK12hip_bfloat16S3_S3_PKfS5_PKvPS1_S8_PvPKiSB_iiiiilll,"axG",@progbits,_ZN12_GLOBAL__N_139chunk_gated_delta_rule_fwd_h_hip_kernelILi64ELb0ELb0ELb0ELb0ELb0ELb1ELb1ELb1EEEvPK12hip_bfloat16S3_S3_PKfS5_PKvPS1_S8_PvPKiSB_iiiiilll,comdat
.Lfunc_end80:
	.size	_ZN12_GLOBAL__N_139chunk_gated_delta_rule_fwd_h_hip_kernelILi64ELb0ELb0ELb0ELb0ELb0ELb1ELb1ELb1EEEvPK12hip_bfloat16S3_S3_PKfS5_PKvPS1_S8_PvPKiSB_iiiiilll, .Lfunc_end80-_ZN12_GLOBAL__N_139chunk_gated_delta_rule_fwd_h_hip_kernelILi64ELb0ELb0ELb0ELb0ELb0ELb1ELb1ELb1EEEvPK12hip_bfloat16S3_S3_PKfS5_PKvPS1_S8_PvPKiSB_iiiiilll
                                        ; -- End function
	.section	.AMDGPU.csdata,"",@progbits
; Kernel info:
; codeLenInByte = 11160
; NumSgprs: 72
; NumVgprs: 190
; NumAgprs: 40
; TotalNumVgprs: 232
; ScratchSize: 0
; MemoryBound: 0
; FloatMode: 240
; IeeeMode: 1
; LDSByteSize: 65536 bytes/workgroup (compile time only)
; SGPRBlocks: 8
; VGPRBlocks: 28
; NumSGPRsForWavesPerEU: 72
; NumVGPRsForWavesPerEU: 232
; AccumOffset: 192
; Occupancy: 1
; WaveLimiterHint : 1
; COMPUTE_PGM_RSRC2:SCRATCH_EN: 0
; COMPUTE_PGM_RSRC2:USER_SGPR: 2
; COMPUTE_PGM_RSRC2:TRAP_HANDLER: 0
; COMPUTE_PGM_RSRC2:TGID_X_EN: 1
; COMPUTE_PGM_RSRC2:TGID_Y_EN: 1
; COMPUTE_PGM_RSRC2:TGID_Z_EN: 0
; COMPUTE_PGM_RSRC2:TIDIG_COMP_CNT: 0
; COMPUTE_PGM_RSRC3_GFX90A:ACCUM_OFFSET: 47
; COMPUTE_PGM_RSRC3_GFX90A:TG_SPLIT: 0
	.section	.text._ZN12_GLOBAL__N_139chunk_gated_delta_rule_fwd_h_hip_kernelILi64ELb1ELb1ELb1ELb1ELb0ELb1ELb0ELb1EEEvPK12hip_bfloat16S3_S3_PKfS5_PKvPS1_S8_PvPKiSB_iiiiilll,"axG",@progbits,_ZN12_GLOBAL__N_139chunk_gated_delta_rule_fwd_h_hip_kernelILi64ELb1ELb1ELb1ELb1ELb0ELb1ELb0ELb1EEEvPK12hip_bfloat16S3_S3_PKfS5_PKvPS1_S8_PvPKiSB_iiiiilll,comdat
	.globl	_ZN12_GLOBAL__N_139chunk_gated_delta_rule_fwd_h_hip_kernelILi64ELb1ELb1ELb1ELb1ELb0ELb1ELb0ELb1EEEvPK12hip_bfloat16S3_S3_PKfS5_PKvPS1_S8_PvPKiSB_iiiiilll ; -- Begin function _ZN12_GLOBAL__N_139chunk_gated_delta_rule_fwd_h_hip_kernelILi64ELb1ELb1ELb1ELb1ELb0ELb1ELb0ELb1EEEvPK12hip_bfloat16S3_S3_PKfS5_PKvPS1_S8_PvPKiSB_iiiiilll
	.p2align	8
	.type	_ZN12_GLOBAL__N_139chunk_gated_delta_rule_fwd_h_hip_kernelILi64ELb1ELb1ELb1ELb1ELb0ELb1ELb0ELb1EEEvPK12hip_bfloat16S3_S3_PKfS5_PKvPS1_S8_PvPKiSB_iiiiilll,@function
_ZN12_GLOBAL__N_139chunk_gated_delta_rule_fwd_h_hip_kernelILi64ELb1ELb1ELb1ELb1ELb0ELb1ELb0ELb1EEEvPK12hip_bfloat16S3_S3_PKfS5_PKvPS1_S8_PvPKiSB_iiiiilll: ; @_ZN12_GLOBAL__N_139chunk_gated_delta_rule_fwd_h_hip_kernelILi64ELb1ELb1ELb1ELb1ELb0ELb1ELb0ELb1EEEvPK12hip_bfloat16S3_S3_PKfS5_PKvPS1_S8_PvPKiSB_iiiiilll
; %bb.0:
	s_load_dwordx4 s[28:31], s[0:1], 0x5c
	s_load_dwordx4 s[4:7], s[0:1], 0x70
	s_abs_i32 s11, s3
	s_ashr_i32 s10, s3, 31
	s_load_dwordx4 s[24:27], s[0:1], 0x40
	s_load_dwordx2 s[8:9], s[0:1], 0x50
	s_waitcnt lgkmcnt(0)
	s_abs_i32 s14, s29
	v_cvt_f32_u32_e32 v1, s14
	s_sub_i32 s12, 0, s14
	s_ashr_i32 s15, s29, 31
	s_xor_b32 s10, s10, s15
	v_rcp_iflag_f32_e32 v1, v1
	v_and_b32_e32 v99, 15, v0
	v_bfe_u32 v98, v0, 4, 2
	v_mov_b32_e32 v47, 0
	v_mul_f32_e32 v1, 0x4f7ffffe, v1
	v_cvt_u32_f32_e32 v1, v1
	v_lshlrev_b32_e32 v100, 3, v0
	v_readfirstlane_b32 s13, v1
	s_mul_i32 s12, s12, s13
	s_mul_hi_u32 s12, s13, s12
	s_add_i32 s13, s13, s12
	s_mul_hi_u32 s12, s11, s13
	s_mul_i32 s13, s12, s14
	s_sub_i32 s11, s11, s13
	s_add_i32 s16, s12, 1
	s_sub_i32 s13, s11, s14
	s_cmp_ge_u32 s11, s14
	s_cselect_b32 s12, s16, s12
	s_cselect_b32 s11, s13, s11
	s_add_i32 s13, s12, 1
	s_cmp_ge_u32 s11, s14
	s_cselect_b32 s11, s13, s12
	s_xor_b32 s11, s11, s10
	s_sub_i32 s36, s11, s10
	s_mul_i32 s16, s36, s29
	s_ashr_i32 s37, s36, 31
	s_sub_i32 s33, s3, s16
	s_lshl_b64 s[10:11], s[36:37], 2
	s_add_u32 s12, s26, s10
	s_addc_u32 s13, s27, s11
	s_add_u32 s38, s8, s10
	s_addc_u32 s39, s9, s11
	s_abs_i32 s3, s30
	v_cvt_f32_u32_e32 v1, s3
	s_load_dwordx2 s[34:35], s[12:13], 0x0
	s_sub_i32 s9, 0, s3
	s_lshl_b32 s2, s2, 6
	v_rcp_iflag_f32_e32 v1, v1
	v_or_b32_e32 v88, s2, v99
	s_waitcnt lgkmcnt(0)
	s_sub_i32 s56, s35, s34
	s_ashr_i32 s8, s56, 31
	v_mul_f32_e32 v1, 0x4f7ffffe, v1
	v_cvt_u32_f32_e32 v1, v1
	s_lshr_b32 s8, s8, 26
	s_add_i32 s8, s56, s8
	s_ashr_i32 s55, s8, 6
	v_readfirstlane_b32 s10, v1
	s_mul_i32 s9, s9, s10
	s_mul_hi_u32 s9, s10, s9
	s_add_i32 s10, s10, s9
	s_mul_hi_u32 s9, s14, s10
	s_mul_i32 s10, s9, s3
	s_ashr_i32 s8, s30, 31
	s_sub_i32 s10, s14, s10
	s_xor_b32 s8, s15, s8
	s_add_i32 s11, s9, 1
	s_sub_i32 s12, s10, s3
	s_cmp_ge_u32 s10, s3
	s_cselect_b32 s9, s11, s9
	s_cselect_b32 s10, s12, s10
	s_add_i32 s11, s9, 1
	s_cmp_ge_u32 s10, s3
	s_cselect_b32 s3, s11, s9
	s_xor_b32 s3, s3, s8
	s_sub_i32 s3, s3, s8
	s_abs_i32 s17, s3
	v_cvt_f32_u32_e32 v1, s17
	s_sub_i32 s19, 0, s17
	s_abs_i32 s18, s33
	s_xor_b32 s3, s33, s3
	v_rcp_iflag_f32_e32 v2, v1
	s_ashr_i32 s3, s3, 31
	s_load_dwordx8 s[8:15], s[0:1], 0x20
	v_lshrrev_b32_e32 v1, 6, v0
	v_mul_f32_e32 v2, 0x4f7ffffe, v2
	v_cvt_u32_f32_e32 v2, v2
	v_lshlrev_b32_e32 v48, 7, v88
	v_lshlrev_b32_e32 v45, 4, v1
	v_or_b32_e32 v50, 0x800, v48
	v_readfirstlane_b32 s20, v2
	s_mul_i32 s19, s19, s20
	s_mul_hi_u32 s19, s20, s19
	s_add_i32 s20, s20, s19
	s_mul_hi_u32 s19, s18, s20
	s_mul_i32 s20, s19, s17
	s_sub_i32 s18, s18, s20
	s_add_i32 s20, s19, 1
	s_sub_i32 s21, s18, s17
	s_cmp_ge_u32 s18, s17
	s_cselect_b32 s19, s20, s19
	s_cselect_b32 s18, s21, s18
	s_add_i32 s20, s19, 1
	s_cmp_ge_u32 s18, s17
	s_cselect_b32 s17, s20, s19
	s_xor_b32 s17, s17, s3
	s_sub_i32 s57, s17, s3
	s_ashr_i32 s48, s33, 31
	s_mul_hi_i32 s3, s36, s29
	s_add_u32 s16, s16, s33
	s_addc_u32 s17, s3, s48
	s_lshl_b64 s[26:27], s[16:17], 15
	s_waitcnt lgkmcnt(0)
	s_add_u32 s10, s10, s26
	v_lshl_or_b32 v102, v98, 2, v45
	s_addc_u32 s11, s11, s27
	v_ashrrev_i32_e32 v49, 31, v48
	v_ashrrev_i32_e32 v51, 31, v50
	v_lshl_add_u64 v[2:3], v[48:49], 1, s[10:11]
	v_lshlrev_b32_e32 v46, 1, v102
	v_lshl_add_u64 v[6:7], v[50:51], 1, s[10:11]
	v_or_b32_e32 v52, 0x1000, v48
	v_or_b32_e32 v54, 0x1800, v48
	v_lshl_add_u64 v[2:3], v[2:3], 0, v[46:47]
	v_lshl_add_u64 v[6:7], v[6:7], 0, v[46:47]
	v_ashrrev_i32_e32 v53, 31, v52
	v_ashrrev_i32_e32 v55, 31, v54
	global_load_dwordx2 v[4:5], v[2:3], off
	v_lshl_add_u64 v[14:15], v[54:55], 1, s[10:11]
	global_load_dwordx2 v[2:3], v[2:3], off offset:128
	s_nop 0
	global_load_dwordx2 v[8:9], v[6:7], off
	global_load_dwordx2 v[10:11], v[6:7], off offset:128
	v_lshl_add_u64 v[6:7], v[52:53], 1, s[10:11]
	v_lshl_add_u64 v[6:7], v[6:7], 0, v[46:47]
	;; [unrolled: 1-line block ×3, first 2 shown]
	global_load_dwordx2 v[12:13], v[6:7], off
	v_and_b32_e32 v47, 63, v0
	global_load_dwordx2 v[6:7], v[6:7], off offset:128
	s_nop 0
	global_load_dwordx2 v[16:17], v[14:15], off
	global_load_dwordx2 v[18:19], v[14:15], off offset:128
	s_load_dwordx8 s[16:23], s[0:1], 0x0
	s_load_dwordx2 s[10:11], s[0:1], 0x80
	s_load_dword s60, s[38:39], 0x0
	v_lshrrev_b32_e32 v101, 3, v47
	v_or_b32_e32 v103, 64, v102
	s_mul_i32 s49, s36, s5
	s_mul_hi_u32 s50, s36, s4
	s_mul_hi_i32 s58, s33, s28
	s_mul_i32 s59, s33, s28
	s_cmp_lt_i32 s56, 64
	s_mul_i32 s51, s37, s4
	s_mul_i32 s42, s36, s4
	;; [unrolled: 1-line block ×3, first 2 shown]
	s_mul_hi_u32 s53, s33, s6
	s_mul_i32 s54, s48, s6
	s_mul_i32 s40, s33, s6
	s_waitcnt vmcnt(7)
	v_and_b32_e32 v83, 0xffff0000, v4
	v_lshlrev_b32_e32 v82, 16, v4
	v_and_b32_e32 v87, 0xffff0000, v5
	v_lshlrev_b32_e32 v86, 16, v5
	s_waitcnt vmcnt(6)
	v_and_b32_e32 v81, 0xffff0000, v2
	v_lshlrev_b32_e32 v80, 16, v2
	v_and_b32_e32 v85, 0xffff0000, v3
	v_lshlrev_b32_e32 v84, 16, v3
	s_waitcnt vmcnt(5)
	v_and_b32_e32 v75, 0xffff0000, v8
	v_lshlrev_b32_e32 v74, 16, v8
	v_and_b32_e32 v79, 0xffff0000, v9
	v_lshlrev_b32_e32 v78, 16, v9
	s_waitcnt vmcnt(4)
	v_and_b32_e32 v73, 0xffff0000, v10
	v_lshlrev_b32_e32 v72, 16, v10
	v_and_b32_e32 v77, 0xffff0000, v11
	v_lshlrev_b32_e32 v76, 16, v11
	s_waitcnt vmcnt(3)
	v_and_b32_e32 v67, 0xffff0000, v12
	v_lshlrev_b32_e32 v66, 16, v12
	v_and_b32_e32 v71, 0xffff0000, v13
	v_lshlrev_b32_e32 v70, 16, v13
	s_waitcnt vmcnt(2)
	v_and_b32_e32 v65, 0xffff0000, v6
	v_lshlrev_b32_e32 v64, 16, v6
	v_and_b32_e32 v69, 0xffff0000, v7
	v_lshlrev_b32_e32 v68, 16, v7
	s_waitcnt vmcnt(1)
	v_and_b32_e32 v59, 0xffff0000, v16
	v_lshlrev_b32_e32 v58, 16, v16
	v_and_b32_e32 v63, 0xffff0000, v17
	v_lshlrev_b32_e32 v62, 16, v17
	s_waitcnt vmcnt(0)
	v_and_b32_e32 v57, 0xffff0000, v18
	v_lshlrev_b32_e32 v56, 16, v18
	v_and_b32_e32 v61, 0xffff0000, v19
	v_lshlrev_b32_e32 v60, 16, v19
	s_cbranch_scc1 .LBB81_18
; %bb.1:
	s_ashr_i32 s1, s34, 31
	s_add_u32 s0, s59, s34
	s_addc_u32 s1, s58, s1
	s_lshl_b64 s[0:1], s[0:1], 8
	v_and_b32_e32 v105, 56, v100
	s_waitcnt lgkmcnt(0)
	s_add_u32 s4, s18, s0
	v_lshl_or_b32 v104, v1, 3, v101
	v_lshlrev_b32_e32 v2, 1, v105
	s_addc_u32 s0, s19, s1
	v_lshl_or_b32 v106, v104, 8, v2
	s_and_b32 s5, s0, 0xffff
	s_mov_b32 s7, 0x20000
	s_movk_i32 s6, 0x4000
	s_movk_i32 s0, 0x80
	v_or_b32_e32 v107, 0x2000, v106
	buffer_load_dwordx4 v[4:7], v106, s[4:7], 0 offen
	buffer_load_dwordx4 v[8:11], v106, s[4:7], s0 offen
	;; [unrolled: 1-line block ×4, first 2 shown]
	v_lshlrev_b32_e32 v3, 3, v104
	v_and_or_b32 v21, v0, 7, v3
	v_and_b32_e32 v3, 0x78, v3
	v_lshlrev_b32_e32 v21, 4, v21
	v_xor_b32_e32 v108, v21, v3
	v_mul_lo_u32 v20, v104, s31
	v_or_b32_e32 v109, 0x1000, v108
	v_xor_b32_e32 v3, 8, v108
	s_cmpk_eq_i32 s31, 0x80
	s_mov_b32 s61, s34
	v_xor_b32_e32 v21, 8, v109
	s_cselect_b64 s[0:1], -1, 0
	s_cmpk_lg_i32 s31, 0x80
	s_waitcnt vmcnt(3)
	ds_write_b64 v108, v[4:5] offset:49152
	ds_write_b64 v3, v[6:7] offset:49152
	s_waitcnt vmcnt(2)
	ds_write_b64 v108, v[8:9] offset:57344
	ds_write_b64 v3, v[10:11] offset:57344
	;; [unrolled: 3-line block ×4, first 2 shown]
	v_lshl_add_u32 v3, v20, 1, v105
	s_cbranch_scc0 .LBB81_3
; %bb.2:
	v_lshlrev_b32_e32 v5, 1, v3
	v_add_lshl_u32 v4, v3, s31, 1
	s_lshl_b32 s6, s31, 7
	v_lshl_or_b32 v2, v104, 9, v2
	s_cbranch_execz .LBB81_4
	s_branch .LBB81_5
.LBB81_3:
                                        ; implicit-def: $vgpr4
                                        ; implicit-def: $vgpr5
                                        ; implicit-def: $sgpr6
	v_lshl_or_b32 v2, v104, 9, v2
.LBB81_4:
	v_or_b32_e32 v4, 0x100, v2
	s_movk_i32 s6, 0x4000
	v_mov_b32_e32 v5, v2
.LBB81_5:
	s_mul_i32 s4, s34, s30
	s_ashr_i32 s62, s57, 31
	s_mul_hi_i32 s3, s34, s30
	s_add_u32 s4, s4, s57
	s_addc_u32 s5, s3, s62
	s_lshl_b64 s[4:5], s[4:5], 8
	s_add_u32 s4, s16, s4
	s_addc_u32 s3, s17, s5
	s_and_b32 s5, s3, 0xffff
	s_movk_i32 s63, 0x80
	buffer_load_dwordx4 v[6:9], v5, s[4:7], 0 offen
	buffer_load_dwordx4 v[10:13], v5, s[4:7], s63 offen
	;; [unrolled: 1-line block ×4, first 2 shown]
	v_and_b32_e32 v5, 6, v0
	v_lshlrev_b32_e32 v4, 7, v102
	v_xor_b32_e32 v27, v104, v5
	v_and_b32_e32 v22, 1, v0
	v_lshl_or_b32 v30, v99, 3, v4
	v_lshlrev_b32_e32 v27, 2, v27
	v_lshlrev_b32_e32 v23, 2, v99
	v_or_b32_e32 v110, 0x4000, v30
	v_or_b32_e32 v111, 0x6000, v30
	v_xor_b32_e32 v30, 0x440, v27
	v_cmp_eq_u32_e32 vcc, 0, v22
	v_or_b32_e32 v25, 16, v99
	v_or_b32_e32 v26, 32, v99
	v_xor_b32_e32 v28, v102, v23
	v_xor_b32_e32 v29, v103, v23
	v_cndmask_b32_e32 v22, v30, v27, vcc
	s_mov_b32 s64, 0x1000504
	v_lshl_or_b32 v31, v25, 3, v4
	v_lshlrev_b32_e32 v25, 8, v25
	v_lshl_or_b32 v32, v26, 3, v4
	v_lshlrev_b32_e32 v28, 1, v28
	v_lshlrev_b32_e32 v29, 1, v29
	v_lshl_or_b32 v5, v5, 10, v22
	s_add_i32 s3, s50, s49
	s_mov_b32 s65, 0x3020706
	v_lshlrev_b32_e32 v24, 8, v99
	v_or_b32_e32 v114, 0x4000, v32
	v_or_b32_e32 v115, 0x6000, v32
	;; [unrolled: 1-line block ×4, first 2 shown]
	v_xor_b32_e32 v22, 8, v5
	v_xor_b32_e32 v25, 24, v5
	;; [unrolled: 1-line block ×4, first 2 shown]
	s_add_i32 s43, s3, s51
	s_add_i32 s3, s53, s52
	v_or_b32_e32 v112, 0x4000, v31
	v_or_b32_e32 v113, 0x6000, v31
	;; [unrolled: 1-line block ×4, first 2 shown]
	v_xor_b32_e32 v24, 16, v5
	v_xor_b32_e32 v27, 32, v5
	;; [unrolled: 1-line block ×3, first 2 shown]
	v_add_u32_e32 v22, 0x80, v22
	v_add_u32_e32 v25, 0x80, v25
	;; [unrolled: 1-line block ×4, first 2 shown]
	s_add_i32 s41, s3, s54
	s_lshl_b64 s[4:5], s[42:43], 2
	s_add_u32 s3, s22, s4
	s_addc_u32 s36, s23, s5
	s_lshl_b64 s[4:5], s[40:41], 2
	s_add_u32 s44, s3, s4
	s_movk_i32 s3, 0xf8
	s_addc_u32 s45, s36, s5
	s_lshl_b32 s38, s31, 7
	s_movk_i32 s36, 0x100
	v_mov_b32_e32 v91, 0
	v_lshlrev_b32_e32 v90, 4, v99
	v_ashrrev_i32_e32 v89, 31, v88
	v_lshlrev_b32_e32 v26, 8, v26
	s_mov_b32 s66, 0
	s_movk_i32 s6, 0x4000
	v_or_b32_e32 v120, v26, v28
	v_or_b32_e32 v121, v26, v29
	s_movk_i32 s41, 0x2000
	s_movk_i32 s43, 0x3000
	v_mov_b32_e32 v155, 0x3fb8aa3b
	s_waitcnt vmcnt(1)
	v_perm_b32 v33, v6, v14, s64
	s_waitcnt vmcnt(0)
	v_perm_b32 v34, v10, v18, s64
	v_perm_b32 v6, v6, v14, s65
	;; [unrolled: 1-line block ×15, first 2 shown]
	ds_write2st64_b32 v5, v33, v34 offset0:128 offset1:160
	ds_write2st64_b32 v22, v6, v10 offset0:128 offset1:160
	;; [unrolled: 1-line block ×8, first 2 shown]
	v_or_b32_e32 v5, 48, v99
	v_lshl_or_b32 v6, v5, 3, v4
	v_lshlrev_b32_e32 v5, 8, v5
	v_or_b32_e32 v124, v5, v28
	v_or_b32_e32 v125, v5, v29
	;; [unrolled: 1-line block ×3, first 2 shown]
	v_lshlrev_b32_e32 v5, 3, v5
	v_lshrrev_b32_e32 v7, 5, v47
	v_and_or_b32 v7, v5, s3, v7
	v_lshlrev_b32_e32 v7, 4, v7
	v_or_b32_e32 v122, 0x4000, v6
	v_or_b32_e32 v123, 0x6000, v6
	v_lshrrev_b32_e32 v6, 2, v47
	v_lshlrev_b32_e32 v9, 11, v1
	v_and_b32_e32 v5, 0x78, v5
	v_or_b32_e32 v13, 32, v7
	v_and_b32_e32 v8, 12, v6
	v_and_b32_e32 v6, 0x1000, v9
	v_lshrrev_b32_e32 v11, 1, v47
	v_xor_b32_e32 v13, v13, v5
	v_xor_b32_e32 v10, v7, v5
	v_and_b32_e32 v11, 8, v11
	v_or_b32_e32 v13, v13, v6
	v_or_b32_e32 v10, v10, v6
	v_xor_b32_e32 v128, v13, v11
	v_or_b32_e32 v13, 64, v7
	v_or_b32_e32 v7, 0x60, v7
	v_xor_b32_e32 v126, v10, v11
	v_lshlrev_b32_e32 v10, 8, v98
	v_xor_b32_e32 v13, v13, v5
	v_xor_b32_e32 v5, v7, v5
	s_ashr_i32 s3, s2, 31
	v_or_b32_e32 v12, v10, v23
	v_or_b32_e32 v13, v13, v6
	;; [unrolled: 1-line block ×3, first 2 shown]
	s_lshl_b64 s[4:5], s[2:3], 8
	v_lshlrev_b32_e32 v15, 2, v0
	v_lshlrev_b32_e32 v12, 1, v12
	v_xor_b32_e32 v132, v13, v11
	v_xor_b32_e32 v133, v5, v11
	v_lshlrev_b32_e32 v5, 1, v3
	v_add_lshl_u32 v3, v3, s31, 1
	v_or_b32_e32 v11, 0x100, v2
	s_add_u32 s4, s12, s4
	v_lshlrev_b32_e32 v6, 1, v99
	v_lshrrev_b32_e32 v16, 1, v0
	v_and_or_b32 v10, v15, 60, v10
	v_or_b32_e32 v127, 0x4000, v12
	v_or_b32_e32 v129, 0x4080, v12
	;; [unrolled: 1-line block ×8, first 2 shown]
	v_lshrrev_b32_e32 v12, 4, v0
	s_addc_u32 s5, s13, s5
	v_or_b32_e32 v7, 1, v6
	v_and_b32_e32 v16, 24, v16
	v_lshlrev_b32_e32 v10, 1, v10
	v_cndmask_b32_e64 v144, v5, v2, s[0:1]
	v_cndmask_b32_e64 v145, v3, v11, s[0:1]
	v_mov_b32_e32 v3, 0xa000
	v_mov_b32_e32 v5, 0x8000
	v_cmp_gt_u32_e64 s[0:1], s36, v0
	v_xor_b32_e32 v13, v12, v6
	v_xor_b32_e32 v14, v7, v12
	v_lshl_add_u64 v[6:7], s[4:5], 0, v[90:91]
	v_lshlrev_b32_e32 v90, 8, v12
	v_or_b32_e32 v140, 0x6000, v10
	v_or_b32_e32 v15, 32, v16
	;; [unrolled: 1-line block ×6, first 2 shown]
	v_cndmask_b32_e64 v3, v3, v5, s[0:1]
	v_lshlrev_b32_e32 v5, 3, v1
	v_lshl_or_b32 v138, v13, 3, v90
	v_and_b32_e32 v13, 8, v0
	v_xor_b32_e32 v11, v5, v16
	v_xor_b32_e32 v15, v5, v15
	;; [unrolled: 1-line block ×3, first 2 shown]
	v_mov_b32_e32 v17, 0x400
	v_cmp_eq_u32_e32 vcc, 0, v13
	v_or_b32_e32 v16, 0x440, v11
	v_or_b32_e32 v18, 0x440, v15
	v_xor_b32_e32 v10, 0x440, v5
	v_and_b32_e32 v12, 7, v0
	v_cndmask_b32_e64 v13, v17, 64, vcc
	v_cndmask_b32_e32 v16, v16, v11, vcc
	v_cndmask_b32_e32 v15, v18, v15, vcc
	;; [unrolled: 1-line block ×3, first 2 shown]
	v_lshl_or_b32 v139, v14, 3, v90
	v_lshlrev_b32_e32 v14, 3, v12
	v_or_b32_e32 v16, v16, v9
	v_or_b32_e32 v15, v15, v9
	v_or3_b32 v11, v9, v13, v11
	v_or_b32_e32 v5, v5, v9
	v_lshlrev_b32_e32 v12, 7, v12
	v_xor_b32_e32 v16, v16, v14
	v_xor_b32_e32 v15, v15, v14
	;; [unrolled: 1-line block ×4, first 2 shown]
	v_or_b32_e32 v2, v45, v8
	v_add_u32_e32 v17, v3, v16
	v_add_u32_e32 v18, v3, v15
	v_or_b32_e32 v146, v11, v12
	v_add_u32_e32 v9, v3, v5
	v_or3_b32 v8, v45, v8, 64
	v_add_u32_e32 v13, 0xa000, v16
	v_add_u32_e32 v14, 0xa000, v15
	;; [unrolled: 1-line block ×3, first 2 shown]
	v_lshlrev_b64 v[10:11], 1, v[88:89]
	v_lshl_add_u64 v[92:93], s[20:21], 0, v[10:11]
	v_lshl_add_u64 v[94:95], s[14:15], 0, v[10:11]
	;; [unrolled: 1-line block ×3, first 2 shown]
	s_mov_b32 s3, 0x7060302
	v_lshlrev_b32_e32 v90, 1, v4
	v_lshlrev_b32_e32 v89, 2, v2
	v_add_u32_e32 v147, v17, v12
	v_add_u32_e32 v148, v18, v12
	;; [unrolled: 1-line block ×4, first 2 shown]
	v_lshlrev_b32_e32 v151, 2, v8
	v_add_u32_e32 v152, v13, v12
	v_add_u32_e32 v153, v14, v12
	;; [unrolled: 1-line block ×3, first 2 shown]
	s_waitcnt lgkmcnt(0)
	s_barrier
.LBB81_6:                               ; =>This Inner Loop Header: Depth=1
	s_add_i32 s67, s66, 1
	s_cmp_lt_i32 s67, s55
	s_mov_b64 s[36:37], 0
	s_cselect_b64 s[46:47], -1, 0
	s_cmp_ge_i32 s67, s55
	s_mov_b64 s[4:5], 0
	s_cbranch_scc1 .LBB81_8
; %bb.7:                                ;   in Loop: Header=BB81_6 Depth=1
	s_add_i32 s0, s61, 64
	s_ashr_i32 s1, s0, 31
	s_add_u32 s0, s59, s0
	s_addc_u32 s1, s58, s1
	s_lshl_b64 s[0:1], s[0:1], 8
	s_add_u32 s4, s18, s0
	s_addc_u32 s5, s19, s1
.LBB81_8:                               ;   in Loop: Header=BB81_6 Depth=1
	v_cndmask_b32_e64 v2, 0, 1, s[46:47]
	v_cmp_ne_u32_e64 s[0:1], 1, v2
	s_andn2_b64 vcc, exec, s[46:47]
	s_cbranch_vccnz .LBB81_10
; %bb.9:                                ;   in Loop: Header=BB81_6 Depth=1
	s_add_i32 s36, s61, 64
	s_mul_hi_i32 s37, s36, s30
	s_mul_i32 s36, s36, s30
	s_add_u32 s36, s36, s57
	s_addc_u32 s37, s37, s62
	s_lshl_b64 s[36:37], s[36:37], 8
	s_add_u32 s36, s16, s36
	s_addc_u32 s37, s17, s37
.LBB81_10:                              ;   in Loop: Header=BB81_6 Depth=1
	v_perm_b32 v3, v87, v86, s3
	v_perm_b32 v2, v83, v82, s3
	v_perm_b32 v5, v85, v84, s3
	v_perm_b32 v4, v81, v80, s3
	ds_write_b64 v110, v[2:3]
	ds_write_b64 v111, v[4:5]
	ds_write_b64 v116, v[2:3]
	ds_write_b64 v117, v[4:5]
	v_perm_b32 v3, v79, v78, s3
	v_perm_b32 v2, v75, v74, s3
	v_perm_b32 v5, v77, v76, s3
	v_perm_b32 v4, v73, v72, s3
	ds_write_b64 v112, v[2:3]
	ds_write_b64 v113, v[4:5]
	ds_write_b64 v118, v[2:3]
	ds_write_b64 v119, v[4:5]
	;; [unrolled: 8-line block ×4, first 2 shown]
	s_waitcnt lgkmcnt(0)
	s_barrier
	ds_read_b64 v[6:7], v126 offset:49152
	ds_read2_b64 v[2:5], v127 offset1:16
	ds_read_b64 v[18:19], v129 offset:6144
	ds_read_b64 v[20:21], v127 offset:6144
	s_waitcnt lgkmcnt(2)
	v_mfma_f32_16x16x16_bf16 a[0:3], v[6:7], v[2:3], 0
	ds_read_b64 v[22:23], v128 offset:49152
	ds_read2st64_b64 v[10:13], v130 offset0:4 offset1:8
	ds_read2st64_b64 v[14:17], v131 offset0:4 offset1:8
	v_mfma_f32_16x16x16_bf16 a[4:7], v[6:7], v[4:5], 0
	ds_read2_b64 v[2:5], v127 offset0:32 offset1:48
	s_add_i32 s68, s61, 63
	s_ashr_i32 s39, s68, 31
	s_waitcnt lgkmcnt(0)
	v_mfma_f32_16x16x16_bf16 a[8:11], v[6:7], v[2:3], 0
	s_mul_i32 s46, s68, s11
	s_mul_hi_u32 s47, s68, s10
	s_add_i32 s46, s47, s46
	v_mfma_f32_16x16x16_bf16 a[12:15], v[6:7], v[4:5], 0
	ds_read2st64_b64 v[2:5], v127 offset0:4 offset1:8
	ds_read2st64_b64 v[6:9], v129 offset0:4 offset1:8
	s_mul_i32 s39, s39, s10
	s_waitcnt lgkmcnt(1)
	v_mfma_f32_16x16x16_bf16 a[0:3], v[22:23], v[2:3], a[0:3]
	s_add_i32 s47, s46, s39
	s_mul_i32 s46, s68, s10
	s_lshl_b64 s[46:47], s[46:47], 2
	s_waitcnt lgkmcnt(0)
	v_mfma_f32_16x16x16_bf16 a[4:7], v[22:23], v[6:7], a[4:7]
	s_add_u32 s46, s44, s46
	s_addc_u32 s47, s45, s47
	s_and_b64 vcc, exec, s[0:1]
	v_mfma_f32_16x16x16_bf16 a[8:11], v[22:23], v[10:11], a[8:11]
	ds_read_b64 v[2:3], v132 offset:49152
	ds_read_b64 v[6:7], v133 offset:49152
	;; [unrolled: 1-line block ×3, first 2 shown]
	v_mov_b32_e32 v158, 0
	v_mov_b32_e32 v157, 0
	v_mfma_f32_16x16x16_bf16 a[12:15], v[22:23], v[14:15], a[12:15]
	v_mov_b32_e32 v156, 0
	v_mov_b32_e32 v14, 0
	;; [unrolled: 1-line block ×3, first 2 shown]
	s_waitcnt lgkmcnt(2)
	v_mfma_f32_16x16x16_bf16 a[0:3], v[2:3], v[4:5], a[0:3]
	v_mov_b32_e32 v4, 0
	v_mov_b32_e32 v5, 0
	v_mfma_f32_16x16x16_bf16 a[4:7], v[2:3], v[8:9], a[4:7]
	v_mov_b32_e32 v8, 0
	v_mov_b32_e32 v9, 0
	;; [unrolled: 3-line block ×3, first 2 shown]
	v_mfma_f32_16x16x16_bf16 a[12:15], v[2:3], v[16:17], a[12:15]
	ds_read_b64 v[2:3], v130 offset:6144
	v_mov_b32_e32 v16, 0
	v_mov_b32_e32 v17, 0
	s_waitcnt lgkmcnt(2)
	v_mfma_f32_16x16x16_bf16 a[0:3], v[6:7], v[20:21], a[0:3]
	v_mfma_f32_16x16x16_bf16 a[4:7], v[6:7], v[18:19], a[4:7]
	s_waitcnt lgkmcnt(0)
	v_mfma_f32_16x16x16_bf16 a[8:11], v[6:7], v[2:3], a[8:11]
	v_mov_b32_e32 v2, 0
	v_mov_b32_e32 v3, 0
	v_mfma_f32_16x16x16_bf16 a[12:15], v[6:7], v[10:11], a[12:15]
	v_mov_b32_e32 v6, 0
	v_mov_b32_e32 v7, 0
	;; [unrolled: 1-line block ×4, first 2 shown]
	s_cbranch_vccnz .LBB81_12
; %bb.11:                               ;   in Loop: Header=BB81_6 Depth=1
	s_and_b32 s5, s5, 0xffff
	buffer_load_dwordx4 v[14:17], v106, s[4:7], 0 offen
	buffer_load_dwordx4 v[10:13], v106, s[4:7], s63 offen
	;; [unrolled: 1-line block ×4, first 2 shown]
	v_mov_b32_e32 v157, v108
	v_mov_b32_e32 v156, v109
.LBB81_12:                              ;   in Loop: Header=BB81_6 Depth=1
	ds_read_b64 v[38:39], v126 offset:57344
	ds_read2_b64 v[18:21], v134 offset1:16
	ds_read_b64 v[40:41], v128 offset:57344
	ds_read_b64 v[42:43], v132 offset:57344
	ds_read_b64 v[160:161], v133 offset:57344
	s_waitcnt lgkmcnt(3)
	v_mfma_f32_16x16x16_bf16 a[0:3], v[38:39], v[18:19], a[0:3]
	v_mfma_f32_16x16x16_bf16 a[4:7], v[38:39], v[20:21], a[4:7]
	ds_read2_b64 v[18:21], v134 offset0:32 offset1:48
	ds_read2st64_b64 v[22:25], v134 offset0:4 offset1:8
	ds_read2st64_b64 v[26:29], v135 offset0:4 offset1:8
	;; [unrolled: 1-line block ×4, first 2 shown]
	s_waitcnt lgkmcnt(4)
	v_mfma_f32_16x16x16_bf16 a[8:11], v[38:39], v[18:19], a[8:11]
	v_mfma_f32_16x16x16_bf16 a[12:15], v[38:39], v[20:21], a[12:15]
	v_add_u32_e32 v38, s61, v102
	v_ashrrev_i32_e32 v18, 31, v38
	v_mul_lo_u32 v20, v18, s10
	v_mul_lo_u32 v21, v38, s11
	v_mad_u64_u32 v[18:19], s[4:5], v38, s10, 0
	v_add3_u32 v19, v19, v21, v20
	v_add_u32_e32 v20, 1, v38
	v_ashrrev_i32_e32 v21, 31, v20
	s_waitcnt lgkmcnt(3)
	v_mfma_f32_16x16x16_bf16 a[0:3], v[40:41], v[22:23], a[0:3]
	v_mul_lo_u32 v22, v21, s10
	v_mul_lo_u32 v23, v20, s11
	v_mad_u64_u32 v[20:21], s[4:5], v20, s10, 0
	v_add3_u32 v21, v21, v23, v22
	v_add_u32_e32 v22, 2, v38
	v_ashrrev_i32_e32 v23, 31, v22
	s_waitcnt lgkmcnt(2)
	v_mfma_f32_16x16x16_bf16 a[4:7], v[40:41], v[26:27], a[4:7]
	v_mul_lo_u32 v26, v23, s10
	v_mul_lo_u32 v27, v22, s11
	v_mad_u64_u32 v[22:23], s[4:5], v22, s10, 0
	v_lshl_add_u64 v[18:19], v[18:19], 2, s[44:45]
	v_lshl_add_u64 v[20:21], v[20:21], 2, s[44:45]
	v_add3_u32 v23, v23, v27, v26
	v_add_u32_e32 v26, 3, v38
	s_waitcnt lgkmcnt(1)
	v_mfma_f32_16x16x16_bf16 a[8:11], v[40:41], v[30:31], a[8:11]
	global_load_dword v31, v[18:19], off
	v_ashrrev_i32_e32 v27, 31, v26
	v_mul_lo_u32 v27, v27, s10
	s_waitcnt lgkmcnt(0)
	v_mfma_f32_16x16x16_bf16 a[12:15], v[40:41], v[34:35], a[12:15]
	global_load_dword v34, v[20:21], off
	v_mad_u64_u32 v[18:19], s[4:5], v26, s10, 0
	s_ashr_i32 s5, s61, 31
	v_mul_lo_u32 v30, v26, s11
	s_add_u32 s4, s59, s61
	v_lshl_add_u64 v[22:23], v[22:23], 2, s[44:45]
	v_add3_u32 v19, v19, v30, v27
	s_addc_u32 s5, s58, s5
	v_lshl_add_u64 v[18:19], v[18:19], 2, s[44:45]
	global_load_dword v30, v[22:23], off
	global_load_dword v35, v[18:19], off
	s_lshl_b64 s[4:5], s[4:5], 8
	v_lshl_add_u64 v[18:19], v[92:93], 0, s[4:5]
	v_lshl_add_u64 v[18:19], v[18:19], 0, v[90:91]
	global_load_ushort v38, v[18:19], off offset:256
	global_load_ushort v39, v[18:19], off
	global_load_ushort v40, v[18:19], off offset:768
	global_load_ushort v41, v[18:19], off offset:512
	;; [unrolled: 1-line block ×6, first 2 shown]
	s_load_dword s46, s[46:47], 0x0
	v_mfma_f32_16x16x16_bf16 a[12:15], v[42:43], v[36:37], a[12:15]
	global_load_ushort v36, v[18:19], off offset:320
	global_load_ushort v37, v[18:19], off offset:64
	s_and_b64 vcc, exec, s[0:1]
	v_mfma_f32_16x16x16_bf16 a[0:3], v[42:43], v[24:25], a[0:3]
	ds_read_b64 v[20:21], v134 offset:6144
	ds_read_b64 v[22:23], v135 offset:6144
	;; [unrolled: 1-line block ×4, first 2 shown]
	v_mfma_f32_16x16x16_bf16 a[4:7], v[42:43], v[28:29], a[4:7]
	s_waitcnt vmcnt(11) lgkmcnt(0)
	v_sub_f32_e32 v28, s46, v30
	v_mfma_f32_16x16x16_bf16 a[8:11], v[42:43], v[32:33], a[8:11]
	global_load_ushort v42, v[18:19], off offset:832
	global_load_ushort v43, v[18:19], off offset:576
	;; [unrolled: 1-line block ×6, first 2 shown]
	v_mfma_f32_16x16x16_bf16 a[0:3], v[160:161], v[20:21], a[0:3]
	s_waitcnt vmcnt(16)
	v_sub_f32_e32 v29, s46, v35
	v_mul_f32_e32 v28, 0x3fb8aa3b, v28
	v_mul_f32_e32 v29, 0x3fb8aa3b, v29
	v_exp_f32_e32 v28, v28
	v_exp_f32_e32 v29, v29
	s_waitcnt vmcnt(15)
	v_lshlrev_b32_e32 v33, 16, v38
	s_waitcnt vmcnt(14)
	v_lshlrev_b32_e32 v32, 16, v39
	v_accvgpr_read_b32 v21, a3
	v_accvgpr_read_b32 v20, a2
	v_mfma_f32_16x16x16_bf16 a[2:5], v[160:161], v[22:23], a[4:7]
	v_mfma_f32_16x16x16_bf16 a[6:9], v[160:161], v[24:25], a[8:11]
	s_nop 5
	v_accvgpr_read_b32 v23, a5
	v_accvgpr_read_b32 v22, a4
	;; [unrolled: 1-line block ×4, first 2 shown]
	v_mfma_f32_16x16x16_bf16 a[8:11], v[160:161], v[26:27], a[12:15]
	v_sub_f32_e32 v26, s46, v31
	v_sub_f32_e32 v27, s46, v34
	v_mul_f32_e32 v26, 0x3fb8aa3b, v26
	v_mul_f32_e32 v27, 0x3fb8aa3b, v27
	v_exp_f32_e32 v26, v26
	v_exp_f32_e32 v27, v27
	v_accvgpr_read_b32 v35, a1
	v_accvgpr_read_b32 v34, a0
	v_lshl_add_u64 v[30:31], v[94:95], 0, s[4:5]
	v_pk_add_f32 v[32:33], v[32:33], v[34:35] neg_lo:[0,1] neg_hi:[0,1]
	s_waitcnt vmcnt(13)
	v_lshlrev_b32_e32 v35, 16, v40
	s_waitcnt vmcnt(12)
	v_lshlrev_b32_e32 v34, 16, v41
	v_lshl_add_u64 v[30:31], v[30:31], 0, v[90:91]
	v_pk_add_f32 v[20:21], v[34:35], v[20:21] neg_lo:[0,1] neg_hi:[0,1]
	global_store_short_d16_hi v[30:31], v32, off
	global_store_short_d16_hi v[30:31], v33, off offset:256
	global_store_short_d16_hi v[30:31], v20, off offset:512
	;; [unrolled: 1-line block ×3, first 2 shown]
	v_pk_mul_f32 v[32:33], v[26:27], v[32:33]
	v_pk_mul_f32 v[20:21], v[28:29], v[20:21]
	v_accvgpr_read_b32 v35, a3
	v_perm_b32 v21, v21, v20, s3
	v_perm_b32 v20, v33, v32, s3
	s_waitcnt vmcnt(15)
	v_lshlrev_b32_e32 v33, 16, v44
	s_waitcnt vmcnt(14)
	v_lshlrev_b32_e32 v32, 16, v159
	v_accvgpr_read_b32 v34, a2
	v_pk_add_f32 v[32:33], v[32:33], v[34:35] neg_lo:[0,1] neg_hi:[0,1]
	s_waitcnt vmcnt(13)
	v_lshlrev_b32_e32 v35, 16, v162
	s_waitcnt vmcnt(12)
	v_lshlrev_b32_e32 v34, 16, v163
	v_pk_add_f32 v[22:23], v[34:35], v[22:23] neg_lo:[0,1] neg_hi:[0,1]
	global_store_short_d16_hi v[30:31], v32, off offset:32
	global_store_short_d16_hi v[30:31], v33, off offset:288
	;; [unrolled: 1-line block ×4, first 2 shown]
	v_pk_mul_f32 v[32:33], v[26:27], v[32:33]
	v_pk_mul_f32 v[22:23], v[28:29], v[22:23]
	v_accvgpr_read_b32 v25, a11
	v_perm_b32 v23, v23, v22, s3
	v_perm_b32 v22, v33, v32, s3
	ds_write2_b64 v111, v[20:21], v[22:23] offset1:16
	v_accvgpr_read_b32 v23, a7
	s_waitcnt vmcnt(15)
	v_lshlrev_b32_e32 v21, 16, v36
	s_waitcnt vmcnt(14)
	v_lshlrev_b32_e32 v20, 16, v37
	v_accvgpr_read_b32 v22, a6
	v_pk_add_f32 v[20:21], v[20:21], v[22:23] neg_lo:[0,1] neg_hi:[0,1]
	global_store_short_d16_hi v[30:31], v20, off offset:64
	global_store_short_d16_hi v[30:31], v21, off offset:320
	v_pk_mul_f32 v[20:21], v[26:27], v[20:21]
	v_accvgpr_read_b32 v24, a10
	v_perm_b32 v20, v21, v20, s3
	v_mov_b32_e32 v159, 0
	v_mov_b32_e32 v32, 0
	v_mov_b32_e32 v33, 0
	s_waitcnt vmcnt(15)
	v_lshlrev_b32_e32 v23, 16, v42
	s_waitcnt vmcnt(14)
	v_lshlrev_b32_e32 v22, 16, v43
	v_pk_add_f32 v[18:19], v[22:23], v[18:19] neg_lo:[0,1] neg_hi:[0,1]
	global_store_short_d16_hi v[30:31], v18, off offset:576
	global_store_short_d16_hi v[30:31], v19, off offset:832
	v_pk_mul_f32 v[18:19], v[28:29], v[18:19]
	v_accvgpr_read_b32 v23, a9
	v_perm_b32 v21, v19, v18, s3
	s_waitcnt vmcnt(15)
	v_lshlrev_b32_e32 v19, 16, v164
	s_waitcnt vmcnt(14)
	v_lshlrev_b32_e32 v18, 16, v165
	v_accvgpr_read_b32 v22, a8
	v_pk_add_f32 v[18:19], v[18:19], v[22:23] neg_lo:[0,1] neg_hi:[0,1]
	s_waitcnt vmcnt(13)
	v_lshlrev_b32_e32 v23, 16, v166
	s_waitcnt vmcnt(12)
	v_lshlrev_b32_e32 v22, 16, v167
	v_pk_add_f32 v[22:23], v[22:23], v[24:25] neg_lo:[0,1] neg_hi:[0,1]
	global_store_short_d16_hi v[30:31], v18, off offset:96
	global_store_short_d16_hi v[30:31], v19, off offset:352
	;; [unrolled: 1-line block ×4, first 2 shown]
	v_pk_mul_f32 v[18:19], v[26:27], v[18:19]
	v_pk_mul_f32 v[22:23], v[28:29], v[22:23]
	v_mov_b32_e32 v24, 0
	v_perm_b32 v23, v23, v22, s3
	v_perm_b32 v22, v19, v18, s3
	ds_write2_b64 v111, v[20:21], v[22:23] offset0:32 offset1:48
	v_mov_b32_e32 v18, 0
	v_mov_b32_e32 v19, 0
	;; [unrolled: 1-line block ×13, first 2 shown]
	s_cbranch_vccnz .LBB81_14
; %bb.13:                               ;   in Loop: Header=BB81_6 Depth=1
	s_and_b32 s37, s37, 0xffff
	s_mov_b32 s39, s7
	buffer_load_dwordx4 v[30:33], v144, s[36:39], 0 offen
	buffer_load_dwordx4 v[22:25], v144, s[36:39], s63 offen
	;; [unrolled: 1-line block ×4, first 2 shown]
	v_mov_b32_e32 v158, v105
	v_mov_b32_e32 v159, v104
.LBB81_14:                              ;   in Loop: Header=BB81_6 Depth=1
	s_waitcnt lgkmcnt(0)
	s_barrier
	ds_read_b64 v[42:43], v147
	ds_read2_b64 v[34:37], v140 offset1:16
	ds_read_b64 v[176:177], v148
	ds_read_b64 v[178:179], v149
	;; [unrolled: 1-line block ×3, first 2 shown]
	ds_read2_b64 v[38:41], v140 offset0:32 offset1:48
	ds_read2st64_b64 v[160:163], v140 offset0:4 offset1:8
	ds_read2st64_b64 v[164:167], v141 offset0:4 offset1:8
	;; [unrolled: 1-line block ×4, first 2 shown]
	s_waitcnt lgkmcnt(8)
	v_mfma_f32_16x16x16_bf16 a[0:3], v[42:43], v[34:35], 0
	s_add_i32 s4, s60, s66
	s_mul_hi_i32 s5, s4, s29
	s_mul_i32 s4, s4, s29
	v_mfma_f32_16x16x16_bf16 a[4:7], v[42:43], v[36:37], 0
	s_add_u32 s4, s4, s33
	s_addc_u32 s5, s5, s48
	s_lshl_b64 s[4:5], s[4:5], 15
	s_waitcnt lgkmcnt(4)
	v_mfma_f32_16x16x16_bf16 a[8:11], v[42:43], v[38:39], 0
	s_mul_i32 s36, s68, s29
	s_mul_hi_i32 s37, s68, s29
	s_add_u32 s36, s36, s33
	v_mfma_f32_16x16x16_bf16 a[12:15], v[42:43], v[40:41], 0
	ds_read_b64 v[42:43], v140 offset:6144
	ds_read_b64 v[188:189], v141 offset:6144
	;; [unrolled: 1-line block ×4, first 2 shown]
	s_addc_u32 s37, s37, s48
	s_waitcnt lgkmcnt(7)
	v_mfma_f32_16x16x16_bf16 a[0:3], v[176:177], v[160:161], a[0:3]
	s_lshl_b64 s[36:37], s[36:37], 9
	s_add_u32 s36, s8, s36
	s_addc_u32 s37, s9, s37
	s_waitcnt lgkmcnt(6)
	v_mfma_f32_16x16x16_bf16 a[4:7], v[176:177], v[164:165], a[4:7]
	v_lshl_add_u64 v[198:199], v[96:97], 0, s[4:5]
	s_waitcnt lgkmcnt(5)
	v_mfma_f32_16x16x16_bf16 a[8:11], v[176:177], v[168:169], a[8:11]
	s_waitcnt lgkmcnt(4)
	v_mfma_f32_16x16x16_bf16 a[12:15], v[176:177], v[172:173], a[12:15]
	ds_read_b64 v[176:177], v152
	ds_read_b64 v[186:187], v153
	;; [unrolled: 1-line block ×3, first 2 shown]
	s_waitcnt lgkmcnt(2)
	v_mfma_f32_16x16x16_bf16 a[16:19], v[176:177], v[34:35], 0
	v_mfma_f32_16x16x16_bf16 a[20:23], v[176:177], v[36:37], 0
	global_load_dwordx4 v[34:37], v151, s[36:37]
	v_mfma_f32_16x16x16_bf16 a[24:27], v[176:177], v[38:39], 0
	v_mfma_f32_16x16x16_bf16 a[28:31], v[176:177], v[40:41], 0
	global_load_dwordx4 v[38:41], v89, s[36:37]
	v_mfma_f32_16x16x16_bf16 a[0:3], v[178:179], v[162:163], a[0:3]
	v_mfma_f32_16x16x16_bf16 a[4:7], v[178:179], v[166:167], a[4:7]
	;; [unrolled: 1-line block ×8, first 2 shown]
	ds_read2st64_b64 v[176:179], v138 offset1:8
	ds_read2st64_b64 v[180:183], v139 offset1:8
	ds_read_b64 v[196:197], v146 offset:40960
	s_waitcnt lgkmcnt(2)
	v_mov_b32_e32 v184, v176
	v_mfma_f32_16x16x16_bf16 a[16:19], v[186:187], v[160:161], a[16:19]
	v_mov_b32_e32 v185, v177
	v_mfma_f32_16x16x16_bf16 a[20:23], v[186:187], v[164:165], a[20:23]
	v_mfma_f32_16x16x16_bf16 a[24:27], v[186:187], v[168:169], a[24:27]
	;; [unrolled: 1-line block ×3, first 2 shown]
	v_add_co_u32_e32 v172, vcc, s41, v198
	s_waitcnt lgkmcnt(1)
	v_mov_b32_e32 v186, v180
	s_waitcnt lgkmcnt(0)
	v_mfma_f32_16x16x16_bf16 a[16:19], v[196:197], v[162:163], a[16:19]
	ds_read2st64_b64 v[160:163], v138 offset0:16 offset1:24
	v_addc_co_u32_e32 v173, vcc, 0, v199, vcc
	v_mfma_f32_16x16x16_bf16 a[20:23], v[196:197], v[166:167], a[20:23]
	ds_read2st64_b64 v[164:167], v139 offset0:16 offset1:24
	v_mov_b32_e32 v187, v181
	v_mov_b32_e32 v180, v178
	v_mfma_f32_16x16x16_bf16 a[32:35], v[196:197], v[170:171], a[24:27]
	v_mov_b32_e32 v181, v179
	s_waitcnt lgkmcnt(0)
	v_mov_b32_e32 v170, v164
	v_mov_b32_e32 v171, v165
	v_mfma_f32_16x16x16_bf16 a[36:39], v[196:197], v[174:175], a[28:31]
	v_mov_b32_e32 v164, v162
	v_mov_b32_e32 v165, v163
	;; [unrolled: 1-line block ×3, first 2 shown]
	v_mfma_f32_16x16x16_bf16 a[24:27], v[194:195], v[42:43], a[16:19]
	v_add_co_u32_e32 v42, vcc, s43, v198
	v_mov_b32_e32 v169, v161
	v_mfma_f32_16x16x16_bf16 a[28:31], v[194:195], v[188:189], a[20:23]
	v_addc_co_u32_e32 v43, vcc, 0, v199, vcc
	global_store_dwordx4 v[42:43], v[164:167], off
	v_mfma_f32_16x16x16_bf16 a[16:19], v[194:195], v[190:191], a[32:35]
	s_waitcnt vmcnt(2)
	v_mov_b32_e32 v44, v37
	v_mov_b32_e32 v43, v36
	;; [unrolled: 1-line block ×3, first 2 shown]
	v_mfma_f32_16x16x16_bf16 a[20:23], v[194:195], v[192:193], a[36:39]
	s_and_b64 vcc, exec, s[0:1]
	global_store_dwordx4 v[198:199], v[184:187], off
	global_store_dwordx4 v[172:173], v[180:183], off offset:-4096
	global_store_dwordx4 v[172:173], v[168:171], off
	s_cbranch_vccnz .LBB81_16
; %bb.15:                               ;   in Loop: Header=BB81_6 Depth=1
	v_lshrrev_b32_e32 v35, 3, v158
	v_and_b32_e32 v35, 6, v35
	v_xor_b32_e32 v36, v35, v159
	v_lshlrev_b32_e32 v36, 2, v36
	v_and_b32_e32 v37, 8, v158
	v_xor_b32_e32 v158, 0x440, v36
	v_cmp_eq_u32_e32 vcc, 0, v37
	v_perm_b32 v37, v22, v18, s64
	s_nop 0
	v_cndmask_b32_e32 v36, v158, v36, vcc
	v_lshl_or_b32 v35, v35, 10, v36
	v_perm_b32 v36, v30, v26, s64
	s_barrier
	ds_write2st64_b32 v35, v36, v37 offset0:128 offset1:160
	v_xor_b32_e32 v36, 8, v35
	v_perm_b32 v26, v30, v26, s65
	v_perm_b32 v18, v22, v18, s65
	v_add_u32_e32 v22, 0x80, v36
	ds_write2st64_b32 v22, v26, v18 offset0:128 offset1:160
	v_xor_b32_e32 v18, 16, v35
	v_perm_b32 v22, v31, v27, s64
	v_perm_b32 v26, v23, v19, s64
	ds_write2st64_b32 v18, v22, v26 offset0:129 offset1:161
	v_xor_b32_e32 v18, 24, v35
	v_perm_b32 v22, v31, v27, s65
	v_perm_b32 v19, v23, v19, s65
	v_add_u32_e32 v18, 0x80, v18
	ds_write2st64_b32 v18, v22, v19 offset0:129 offset1:161
	v_xor_b32_e32 v18, 32, v35
	v_perm_b32 v19, v32, v28, s64
	v_perm_b32 v22, v24, v20, s64
	;; [unrolled: 9-line block ×3, first 2 shown]
	ds_write2st64_b32 v18, v19, v20 offset0:131 offset1:163
	v_xor_b32_e32 v18, 56, v35
	v_perm_b32 v19, v33, v29, s65
	v_perm_b32 v20, v25, v21, s65
	v_add_u32_e32 v18, 0x80, v18
	ds_write2st64_b32 v18, v19, v20 offset0:131 offset1:163
	ds_write_b64 v157, v[14:15] offset:49152
	v_xor_b32_e32 v14, 8, v157
	ds_write_b64 v14, v[16:17] offset:49152
	ds_write_b64 v157, v[10:11] offset:57344
	;; [unrolled: 1-line block ×4, first 2 shown]
	v_xor_b32_e32 v6, 8, v156
	ds_write_b64 v6, v[8:9] offset:49152
	ds_write_b64 v156, v[2:3] offset:57344
	ds_write_b64 v6, v[4:5] offset:57344
.LBB81_16:                              ;   in Loop: Header=BB81_6 Depth=1
	v_mul_f32_e32 v26, s46, v155
	v_exp_f32_e32 v36, v26
	s_waitcnt vmcnt(4)
	v_mul_f32_e32 v26, 0x3fb8aa3b, v38
	v_exp_f32_e32 v38, v26
	v_mul_f32_e32 v26, 0x3fb8aa3b, v39
	v_exp_f32_e32 v39, v26
	;; [unrolled: 2-line block ×4, first 2 shown]
	v_accvgpr_read_b32 v5, a3
	v_accvgpr_read_b32 v4, a2
	;; [unrolled: 1-line block ×4, first 2 shown]
	v_pk_mul_f32 v[38:39], v[36:37], v[38:39] op_sel_hi:[0,1]
	v_pk_mul_f32 v[40:41], v[36:37], v[40:41] op_sel_hi:[0,1]
	v_pk_fma_f32 v[82:83], v[82:83], v[38:39], v[2:3]
	v_pk_fma_f32 v[86:87], v[86:87], v[40:41], v[4:5]
	v_mul_f32_e32 v2, 0x3fb8aa3b, v34
	v_mul_f32_e32 v3, 0x3fb8aa3b, v42
	;; [unrolled: 1-line block ×4, first 2 shown]
	v_exp_f32_e32 v2, v2
	v_exp_f32_e32 v3, v3
	;; [unrolled: 1-line block ×4, first 2 shown]
	v_accvgpr_read_b32 v9, a7
	v_accvgpr_read_b32 v13, a11
	;; [unrolled: 1-line block ×28, first 2 shown]
	v_pk_mul_f32 v[2:3], v[36:37], v[2:3] op_sel_hi:[0,1]
	v_pk_mul_f32 v[4:5], v[36:37], v[4:5] op_sel_hi:[0,1]
	s_add_i32 s61, s61, 64
	v_pk_fma_f32 v[74:75], v[38:39], v[74:75], v[6:7]
	v_pk_fma_f32 v[78:79], v[40:41], v[78:79], v[8:9]
	;; [unrolled: 1-line block ×13, first 2 shown]
	s_cmp_eq_u32 s55, s67
	v_pk_fma_f32 v[60:61], v[4:5], v[60:61], v[32:33]
	s_cbranch_scc1 .LBB81_18
; %bb.17:                               ;   in Loop: Header=BB81_6 Depth=1
	s_mov_b32 s66, s67
	s_branch .LBB81_6
.LBB81_18:
	s_lshl_b32 s0, s55, 6
	s_sub_i32 s46, s56, s0
	s_cmp_gt_i32 s46, 0
	s_cbranch_scc0 .LBB81_99
; %bb.19:
	s_add_i32 s34, s0, s34
	s_ashr_i32 s3, s34, 31
	s_cmpk_lg_i32 s31, 0x80
	s_cselect_b64 s[38:39], -1, 0
	s_and_b64 vcc, exec, s[38:39]
	s_cbranch_vccz .LBB81_21
; %bb.20:
	s_mul_i32 s1, s34, s30
	s_ashr_i32 s4, s57, 31
	s_mul_hi_i32 s0, s34, s30
	s_add_u32 s44, s1, s57
	s_addc_u32 s45, s0, s4
	s_cbranch_execz .LBB81_22
	s_branch .LBB81_23
.LBB81_21:
                                        ; implicit-def: $sgpr44_sgpr45
.LBB81_22:
	s_mul_i32 s1, s57, s28
	s_mul_hi_i32 s0, s57, s28
	s_add_u32 s44, s1, s34
	s_addc_u32 s45, s0, s3
.LBB81_23:
	s_waitcnt lgkmcnt(0)
	s_add_i32 s4, s55, s60
	s_add_u32 s0, s59, s34
	v_lshlrev_b32_e32 v6, 6, v102
	v_lshlrev_b32_e32 v25, 2, v99
	s_addc_u32 s1, s58, s3
	s_mov_b32 s3, 0x7060302
	v_or_b32_e32 v9, v6, v25
	v_xor_b32_e32 v7, v102, v25
	v_perm_b32 v3, v87, v86, s3
	v_perm_b32 v2, v83, v82, s3
	;; [unrolled: 1-line block ×4, first 2 shown]
	v_lshlrev_b32_e32 v9, 1, v9
	v_xor_b32_e32 v8, v103, v25
	ds_write2st64_b64 v9, v[2:3], v[4:5] offset0:32 offset1:48
	v_lshlrev_b32_e32 v7, 1, v7
	v_lshlrev_b32_e32 v9, 8, v99
	v_or_b32_e32 v10, v7, v9
	v_lshlrev_b32_e32 v8, 1, v8
	ds_write_b64 v10, v[2:3]
	v_or_b32_e32 v2, v8, v9
	v_or_b32_e32 v9, 16, v99
	v_lshlrev_b32_e32 v23, 2, v9
	v_or_b32_e32 v10, v6, v23
	ds_write_b64 v2, v[4:5]
	v_perm_b32 v3, v79, v78, s3
	v_perm_b32 v2, v75, v74, s3
	;; [unrolled: 1-line block ×4, first 2 shown]
	v_lshlrev_b32_e32 v10, 1, v10
	v_lshlrev_b32_e32 v9, 8, v9
	ds_write2st64_b64 v10, v[2:3], v[4:5] offset0:32 offset1:48
	v_or_b32_e32 v10, v7, v9
	ds_write_b64 v10, v[2:3]
	v_or_b32_e32 v2, v8, v9
	v_or_b32_e32 v9, 32, v99
	v_lshlrev_b32_e32 v22, 2, v9
	v_or_b32_e32 v10, v6, v22
	ds_write_b64 v2, v[4:5]
	v_perm_b32 v3, v71, v70, s3
	v_perm_b32 v2, v67, v66, s3
	;; [unrolled: 1-line block ×4, first 2 shown]
	v_lshlrev_b32_e32 v10, 1, v10
	v_lshlrev_b32_e32 v9, 8, v9
	s_lshl_b64 s[36:37], s[0:1], 8
	ds_write2st64_b64 v10, v[2:3], v[4:5] offset0:32 offset1:48
	v_or_b32_e32 v10, v7, v9
	s_add_u32 s0, s18, s36
	ds_write_b64 v10, v[2:3]
	v_or_b32_e32 v2, v8, v9
	s_addc_u32 s1, s19, s37
	ds_write_b64 v2, v[4:5]
	v_perm_b32 v3, v63, v62, s3
	v_perm_b32 v2, v59, v58, s3
	;; [unrolled: 1-line block ×4, first 2 shown]
	v_or_b32_e32 v9, 48, v99
	s_mul_hi_i32 s3, s4, s29
	s_mul_i32 s4, s4, s29
	v_lshlrev_b32_e32 v19, 2, v9
	s_add_u32 s4, s4, s33
	v_or_b32_e32 v6, v6, v19
	s_addc_u32 s5, s3, s48
	v_lshlrev_b32_e32 v6, 1, v6
	s_ashr_i32 s3, s2, 31
	s_lshl_b64 s[4:5], s[4:5], 15
	ds_write2st64_b64 v6, v[2:3], v[4:5] offset0:32 offset1:48
	v_lshlrev_b32_e32 v6, 8, v9
	s_add_u32 s4, s12, s4
	v_or_b32_e32 v7, v7, v6
	s_addc_u32 s5, s13, s5
	s_lshl_b64 s[2:3], s[2:3], 8
	ds_write_b64 v7, v[2:3]
	v_or_b32_e32 v2, v8, v6
	s_add_u32 s2, s4, s2
	v_lshlrev_b32_e32 v3, 1, v99
	ds_write_b64 v2, v[4:5]
	v_lshrrev_b32_e32 v2, 4, v0
	s_addc_u32 s3, s5, s3
	v_or_b32_e32 v4, 1, v3
	v_lshlrev_b32_e32 v10, 4, v99
	v_mov_b32_e32 v11, 0
	v_xor_b32_e32 v3, v2, v3
	v_xor_b32_e32 v6, v4, v2
	v_lshl_add_u64 v[12:13], s[2:3], 0, v[10:11]
	v_lshlrev_b32_e32 v10, 8, v2
	v_lshl_or_b32 v16, v3, 3, v10
	v_lshl_or_b32 v17, v6, 3, v10
	s_waitcnt lgkmcnt(0)
	s_barrier
	ds_read2st64_b64 v[2:5], v16 offset1:8
	ds_read2st64_b64 v[6:9], v17 offset1:8
	v_lshl_add_u64 v[14:15], v[12:13], 0, v[10:11]
	s_movk_i32 s2, 0x2000
	s_cmp_lg_u32 s46, 64
	s_waitcnt lgkmcnt(1)
	v_mov_b32_e32 v10, v2
	v_mov_b32_e32 v11, v3
	s_waitcnt lgkmcnt(0)
	v_mov_b32_e32 v12, v6
	v_mov_b32_e32 v13, v7
	global_store_dwordx4 v[14:15], v[10:13], off
	v_mov_b32_e32 v6, v4
	v_mov_b32_e32 v7, v5
	ds_read2st64_b64 v[2:5], v16 offset0:16 offset1:24
	ds_read2st64_b64 v[10:13], v17 offset0:16 offset1:24
	v_add_co_u32_e32 v16, vcc, s2, v14
	s_cselect_b64 s[18:19], -1, 0
	s_nop 0
	v_addc_co_u32_e32 v17, vcc, 0, v15, vcc
	global_store_dwordx4 v[16:17], v[6:9], off offset:-4096
	v_lshl_or_b32 v30, v1, 3, v101
	s_mov_b32 s4, 0
	s_waitcnt lgkmcnt(1)
	v_mov_b32_e32 v6, v2
	v_add_co_u32_e32 v2, vcc, 0x3000, v14
	v_mov_b32_e32 v7, v3
	s_nop 0
	v_addc_co_u32_e32 v3, vcc, 0, v15, vcc
	s_waitcnt lgkmcnt(0)
	v_mov_b32_e32 v8, v10
	v_mov_b32_e32 v9, v11
	;; [unrolled: 1-line block ×4, first 2 shown]
	v_or_b32_e32 v20, 32, v30
	v_and_b32_e32 v18, 56, v100
	s_and_b64 vcc, exec, s[18:19]
	global_store_dwordx4 v[16:17], v[6:9], off
	global_store_dwordx4 v[2:3], v[10:13], off
	s_cbranch_vccz .LBB81_29
; %bb.24:
	s_mov_b32 s6, s4
	s_mov_b32 s7, s4
	;; [unrolled: 1-line block ×3, first 2 shown]
	v_mov_b64_e32 v[8:9], s[6:7]
	v_mov_b64_e32 v[6:7], s[4:5]
	;; [unrolled: 1-line block ×3, first 2 shown]
	v_cmp_gt_i32_e32 vcc, s46, v30
	v_mov_b64_e32 v[4:5], v[8:9]
	s_and_saveexec_b64 s[2:3], vcc
	s_cbranch_execz .LBB81_26
; %bb.25:
	v_lshlrev_b32_e32 v2, 8, v30
	v_mov_b32_e32 v3, 0
	v_lshl_add_u64 v[4:5], s[0:1], 0, v[2:3]
	v_lshlrev_b32_e32 v2, 1, v18
	v_lshl_add_u64 v[10:11], v[4:5], 0, v[2:3]
	global_load_dwordx4 v[6:9], v[10:11], off
	global_load_dwordx4 v[2:5], v[10:11], off offset:128
.LBB81_26:
	s_or_b64 exec, exec, s[2:3]
	s_mov_b32 s6, s4
	s_mov_b32 s7, s4
	s_mov_b32 s5, s4
	v_mov_b64_e32 v[16:17], s[6:7]
	v_mov_b64_e32 v[14:15], s[4:5]
	;; [unrolled: 1-line block ×3, first 2 shown]
	v_cmp_gt_i32_e32 vcc, s46, v20
	v_lshlrev_b32_e32 v21, 7, v20
	v_mov_b64_e32 v[12:13], v[16:17]
	s_and_saveexec_b64 s[2:3], vcc
	s_cbranch_execz .LBB81_28
; %bb.27:
	v_lshlrev_b32_e32 v10, 1, v21
	v_mov_b32_e32 v11, 0
	v_lshl_add_u64 v[12:13], s[0:1], 0, v[10:11]
	v_lshlrev_b32_e32 v10, 1, v18
	v_lshl_add_u64 v[26:27], v[12:13], 0, v[10:11]
	global_load_dwordx4 v[14:17], v[26:27], off
	global_load_dwordx4 v[10:13], v[26:27], off offset:128
.LBB81_28:
	s_or_b64 exec, exec, s[2:3]
	v_lshrrev_b32_e32 v24, 3, v18
	v_lshlrev_b32_e32 v26, 3, v30
	v_or_b32_e32 v24, v26, v24
	v_lshlrev_b32_e32 v24, 4, v24
	v_and_b32_e32 v26, 0x78, v26
	v_xor_b32_e32 v24, v24, v26
	s_branch .LBB81_31
.LBB81_29:
                                        ; implicit-def: $vgpr24
                                        ; implicit-def: $vgpr21
                                        ; implicit-def: $vgpr6_vgpr7_vgpr8_vgpr9
                                        ; implicit-def: $vgpr2_vgpr3_vgpr4_vgpr5
                                        ; implicit-def: $vgpr14_vgpr15_vgpr16_vgpr17
                                        ; implicit-def: $vgpr10_vgpr11_vgpr12_vgpr13
	s_cbranch_execz .LBB81_31
; %bb.30:
	s_waitcnt vmcnt(0)
	v_lshlrev_b32_e32 v2, 1, v18
	v_lshl_or_b32 v21, v30, 8, v2
	s_and_b32 s1, s1, 0xffff
	s_mov_b32 s3, 0x20000
	s_movk_i32 s2, 0x4000
	v_lshl_or_b32 v24, v20, 8, v2
	s_movk_i32 s4, 0x80
	buffer_load_dwordx4 v[6:9], v21, s[0:3], 0 offen
	buffer_load_dwordx4 v[2:5], v21, s[0:3], s4 offen
	;; [unrolled: 1-line block ×4, first 2 shown]
	v_lshrrev_b32_e32 v21, 3, v18
	v_lshlrev_b32_e32 v24, 3, v30
	v_or_b32_e32 v21, v24, v21
	v_lshlrev_b32_e32 v21, 4, v21
	v_and_b32_e32 v24, 0x78, v24
	v_xor_b32_e32 v24, v21, v24
	v_lshlrev_b32_e32 v21, 7, v20
.LBB81_31:
	s_movk_i32 s0, 0x1000
	v_and_or_b32 v20, v21, s0, v24
	s_waitcnt vmcnt(1)
	ds_write_b64 v24, v[6:7] offset:49152
	v_xor_b32_e32 v6, 8, v24
	ds_write_b64 v6, v[8:9] offset:49152
	s_waitcnt vmcnt(0)
	ds_write_b64 v24, v[2:3] offset:57344
	ds_write_b64 v6, v[4:5] offset:57344
	ds_write_b64 v20, v[14:15] offset:49152
	v_xor_b32_e32 v2, 8, v20
	ds_write_b64 v2, v[16:17] offset:49152
	ds_write_b64 v20, v[10:11] offset:57344
	;; [unrolled: 1-line block ×3, first 2 shown]
	v_or_b32_e32 v2, v45, v99
	v_lshlrev_b32_e32 v2, 3, v2
	v_lshrrev_b32_e32 v3, 5, v47
	s_movk_i32 s0, 0xf8
	v_and_or_b32 v3, v2, s0, v3
	v_lshlrev_b32_e32 v7, 4, v3
	v_lshlrev_b32_e32 v24, 11, v1
	v_and_b32_e32 v8, 0x78, v2
	v_or_b32_e32 v10, 32, v7
	v_and_b32_e32 v6, 0x1000, v24
	v_lshrrev_b32_e32 v3, 1, v47
	v_xor_b32_e32 v10, v10, v8
	v_xor_b32_e32 v2, v7, v8
	v_and_b32_e32 v9, 8, v3
	v_or_b32_e32 v10, v10, v6
	v_or_b32_e32 v2, v2, v6
	v_xor_b32_e32 v32, v10, v9
	v_or_b32_e32 v10, 64, v7
	v_xor_b32_e32 v31, v2, v9
	v_xor_b32_e32 v10, v10, v8
	s_waitcnt lgkmcnt(0)
	s_barrier
	v_or_b32_e32 v13, v10, v6
	ds_read_b64 v[10:11], v31 offset:49152
	v_lshl_or_b32 v14, v98, 8, v25
	v_lshlrev_b32_e32 v26, 1, v14
	v_add_u32_e32 v12, 0x4000, v26
	ds_read2_b64 v[2:5], v12 offset1:16
	v_or_b32_e32 v7, 0x60, v7
	v_xor_b32_e32 v7, v7, v8
	v_or_b32_e32 v6, v7, v6
	v_xor_b32_e32 v33, v13, v9
	v_xor_b32_e32 v34, v6, v9
	ds_read_b64 v[20:21], v32 offset:49152
	ds_read_b64 v[36:37], v33 offset:49152
	;; [unrolled: 1-line block ×3, first 2 shown]
	s_waitcnt lgkmcnt(3)
	v_mfma_f32_16x16x16_bf16 a[0:3], v[10:11], v[2:3], 0
	ds_read2st64_b64 v[6:9], v26 offset0:36 offset1:40
	s_lshl_b64 s[0:1], s[44:45], 8
	s_add_u32 s4, s16, s0
	v_mfma_f32_16x16x16_bf16 a[4:7], v[10:11], v[4:5], 0
	ds_read2_b64 v[2:5], v12 offset0:32 offset1:48
	s_addc_u32 s5, s17, s1
	s_add_i32 s0, s50, s49
	s_waitcnt lgkmcnt(0)
	v_mfma_f32_16x16x16_bf16 a[8:11], v[10:11], v[2:3], 0
	v_or_b32_e32 v2, 64, v14
	v_lshlrev_b32_e32 v27, 1, v2
	s_add_i32 s17, s35, -1
	v_mfma_f32_16x16x16_bf16 a[12:15], v[10:11], v[4:5], 0
	ds_read2st64_b64 v[2:5], v27 offset0:36 offset1:40
	s_add_i32 s43, s0, s51
	s_add_i32 s0, s53, s52
	v_mfma_f32_16x16x16_bf16 a[0:3], v[20:21], v[6:7], a[0:3]
	v_or_b32_e32 v6, 0x80, v14
	v_lshlrev_b32_e32 v28, 1, v6
	ds_read2st64_b64 v[10:13], v28 offset0:36 offset1:40
	s_waitcnt lgkmcnt(1)
	v_mfma_f32_16x16x16_bf16 a[4:7], v[20:21], v[2:3], a[4:7]
	v_or_b32_e32 v2, 0xc0, v14
	v_lshlrev_b32_e32 v29, 1, v2
	ds_read2st64_b64 v[14:17], v29 offset0:36 offset1:40
	s_add_i32 s41, s0, s54
	s_ashr_i32 s0, s17, 31
	s_mul_i32 s1, s17, s11
	s_mul_hi_u32 s2, s17, s10
	s_add_i32 s1, s2, s1
	s_mul_i32 s0, s0, s10
	s_waitcnt lgkmcnt(1)
	v_mfma_f32_16x16x16_bf16 a[8:11], v[20:21], v[10:11], a[8:11]
	s_add_i32 s1, s1, s0
	s_lshl_b64 s[2:3], s[42:43], 2
	s_add_u32 s6, s22, s2
	s_waitcnt lgkmcnt(0)
	v_mfma_f32_16x16x16_bf16 a[12:15], v[20:21], v[14:15], a[12:15]
	s_addc_u32 s7, s23, s3
	s_lshl_b64 s[2:3], s[40:41], 2
	s_mul_i32 s0, s17, s10
	v_mfma_f32_16x16x16_bf16 a[0:3], v[36:37], v[8:9], a[0:3]
	ds_read_b64 v[2:3], v26 offset:22528
	s_add_u32 s12, s6, s2
	s_addc_u32 s13, s7, s3
	v_mfma_f32_16x16x16_bf16 a[4:7], v[36:37], v[4:5], a[4:7]
	ds_read_b64 v[4:5], v27 offset:22528
	ds_read_b64 v[6:7], v28 offset:22528
	ds_read_b64 v[8:9], v29 offset:22528
	s_lshl_b64 s[0:1], s[0:1], 2
	s_add_u32 s0, s12, s0
	v_mfma_f32_16x16x16_bf16 a[8:11], v[36:37], v[12:13], a[8:11]
	s_addc_u32 s1, s13, s1
	s_load_dword s16, s[0:1], 0x0
	s_and_b64 vcc, exec, s[38:39]
	v_mfma_f32_16x16x16_bf16 a[12:15], v[36:37], v[16:17], a[12:15]
	s_waitcnt lgkmcnt(0)
	v_mfma_f32_16x16x16_bf16 a[0:3], v[38:39], v[2:3], a[0:3]
	v_mfma_f32_16x16x16_bf16 a[4:7], v[38:39], v[4:5], a[4:7]
	;; [unrolled: 1-line block ×4, first 2 shown]
	s_cbranch_vccz .LBB81_42
; %bb.32:
	v_lshlrev_b32_e32 v20, 1, v30
	s_and_b64 vcc, exec, s[18:19]
	s_cbranch_vccz .LBB81_43
; %bb.33:
	v_cmp_gt_i32_e32 vcc, s46, v20
	v_mov_b32_e32 v6, 0
	v_mov_b32_e32 v2, 0
	;; [unrolled: 1-line block ×5, first 2 shown]
	s_and_saveexec_b64 s[0:1], vcc
	s_cbranch_execz .LBB81_35
; %bb.34:
	v_mad_i64_i32 v[2:3], s[2:3], s31, v20, 0
	v_lshl_add_u64 v[2:3], v[2:3], 1, s[4:5]
	v_lshlrev_b32_e32 v4, 1, v18
	v_mov_b32_e32 v5, 0
	v_lshl_add_u64 v[2:3], v[2:3], 0, v[4:5]
	global_load_dwordx4 v[2:5], v[2:3], off
.LBB81_35:
	s_or_b64 exec, exec, s[0:1]
	v_or_b32_e32 v21, 1, v20
	v_cmp_gt_i32_e64 s[0:1], s46, v21
	v_mov_b32_e32 v7, 0
	v_mov_b32_e32 v8, 0
	;; [unrolled: 1-line block ×3, first 2 shown]
	s_and_saveexec_b64 s[2:3], s[0:1]
	s_cbranch_execz .LBB81_37
; %bb.36:
	v_mad_i64_i32 v[6:7], s[6:7], s31, v21, 0
	v_lshl_add_u64 v[6:7], v[6:7], 1, s[4:5]
	v_lshlrev_b32_e32 v8, 1, v18
	v_mov_b32_e32 v9, 0
	v_lshl_add_u64 v[6:7], v[6:7], 0, v[8:9]
	global_load_dwordx4 v[6:9], v[6:7], off
.LBB81_37:
	s_or_b64 exec, exec, s[2:3]
	v_mov_b32_e32 v17, 0
	v_mov_b32_e32 v10, 0
	;; [unrolled: 1-line block ×5, first 2 shown]
	s_and_saveexec_b64 s[2:3], vcc
	s_cbranch_execz .LBB81_39
; %bb.38:
	v_mad_i64_i32 v[10:11], s[6:7], s31, v20, 0
	v_lshl_add_u64 v[10:11], v[10:11], 1, s[4:5]
	v_lshlrev_b32_e32 v12, 1, v18
	v_mov_b32_e32 v13, 0
	v_lshl_add_u64 v[10:11], v[10:11], 0, v[12:13]
	global_load_dwordx4 v[10:13], v[10:11], off offset:128
.LBB81_39:
	s_or_b64 exec, exec, s[2:3]
	v_mov_b32_e32 v16, 0
	v_mov_b32_e32 v15, 0
	;; [unrolled: 1-line block ×3, first 2 shown]
	s_and_saveexec_b64 s[2:3], s[0:1]
	s_cbranch_execz .LBB81_41
; %bb.40:
	v_mad_i64_i32 v[14:15], s[0:1], s31, v21, 0
	v_lshl_add_u64 v[14:15], v[14:15], 1, s[4:5]
	v_lshlrev_b32_e32 v16, 1, v18
	v_mov_b32_e32 v17, 0
	v_lshl_add_u64 v[14:15], v[14:15], 0, v[16:17]
	global_load_dwordx4 v[14:17], v[14:15], off offset:128
.LBB81_41:
	s_or_b64 exec, exec, s[2:3]
	s_branch .LBB81_45
.LBB81_42:
                                        ; implicit-def: $vgpr5
                                        ; implicit-def: $vgpr9
                                        ; implicit-def: $vgpr13
                                        ; implicit-def: $vgpr17
	v_lshrrev_b32_e32 v35, 2, v47
	s_branch .LBB81_46
.LBB81_43:
                                        ; implicit-def: $vgpr5
                                        ; implicit-def: $vgpr9
                                        ; implicit-def: $vgpr13
                                        ; implicit-def: $vgpr17
	s_cbranch_execz .LBB81_45
; %bb.44:
	s_waitcnt vmcnt(0)
	v_mad_u64_u32 v[2:3], s[0:1], v20, s31, v[18:19]
	v_lshlrev_b32_e32 v20, 1, v2
	s_lshl_b32 s2, s31, 7
	s_and_b32 s1, s5, 0xffff
	s_mov_b32 s3, 0x20000
	s_mov_b32 s0, s4
	v_add_lshl_u32 v21, v2, s31, 1
	s_movk_i32 s6, 0x80
	buffer_load_dwordx4 v[2:5], v20, s[0:3], 0 offen
	buffer_load_dwordx4 v[10:13], v20, s[0:3], s6 offen
	;; [unrolled: 1-line block ×4, first 2 shown]
.LBB81_45:
	v_lshrrev_b32_e32 v35, 2, v47
	s_cbranch_execnz .LBB81_58
.LBB81_46:
	s_and_b64 vcc, exec, s[18:19]
	s_cbranch_vccz .LBB81_56
; %bb.47:
	s_waitcnt vmcnt(0)
	v_lshlrev_b32_e32 v7, 1, v30
	v_cmp_gt_i32_e32 vcc, s46, v7
	v_mov_b32_e32 v6, 0
	v_lshlrev_b32_e32 v14, 9, v30
	v_mov_b32_e32 v2, 0
	v_mov_b32_e32 v3, 0
	;; [unrolled: 1-line block ×4, first 2 shown]
	s_and_saveexec_b64 s[0:1], vcc
	s_cbranch_execz .LBB81_49
; %bb.48:
	v_mov_b32_e32 v15, 0
	v_lshl_add_u64 v[2:3], s[4:5], 0, v[14:15]
	v_lshlrev_b32_e32 v4, 1, v18
	v_mov_b32_e32 v5, v15
	v_lshl_add_u64 v[2:3], v[2:3], 0, v[4:5]
	global_load_dwordx4 v[2:5], v[2:3], off
.LBB81_49:
	s_or_b64 exec, exec, s[0:1]
	v_or_b32_e32 v7, 1, v7
	v_cmp_gt_i32_e64 s[0:1], s46, v7
	v_lshlrev_b32_e32 v20, 8, v7
	v_mov_b32_e32 v7, 0
	v_mov_b32_e32 v8, 0
	;; [unrolled: 1-line block ×3, first 2 shown]
	s_and_saveexec_b64 s[2:3], s[0:1]
	s_cbranch_execz .LBB81_51
; %bb.50:
	v_mov_b32_e32 v21, 0
	v_lshl_add_u64 v[6:7], s[4:5], 0, v[20:21]
	v_lshlrev_b32_e32 v8, 1, v18
	v_mov_b32_e32 v9, v21
	v_lshl_add_u64 v[6:7], v[6:7], 0, v[8:9]
	global_load_dwordx4 v[6:9], v[6:7], off
.LBB81_51:
	s_or_b64 exec, exec, s[2:3]
	v_mov_b32_e32 v17, 0
	v_mov_b32_e32 v10, 0
	;; [unrolled: 1-line block ×5, first 2 shown]
	s_and_saveexec_b64 s[2:3], vcc
	s_cbranch_execz .LBB81_53
; %bb.52:
	v_mov_b32_e32 v15, 0
	v_lshl_add_u64 v[10:11], s[4:5], 0, v[14:15]
	v_lshlrev_b32_e32 v14, 1, v18
	v_lshl_add_u64 v[10:11], v[10:11], 0, v[14:15]
	global_load_dwordx4 v[10:13], v[10:11], off offset:128
.LBB81_53:
	s_or_b64 exec, exec, s[2:3]
	v_mov_b32_e32 v16, 0
	v_mov_b32_e32 v15, 0
	;; [unrolled: 1-line block ×3, first 2 shown]
	s_and_saveexec_b64 s[2:3], s[0:1]
	s_cbranch_execz .LBB81_55
; %bb.54:
	v_mov_b32_e32 v21, 0
	v_lshl_add_u64 v[14:15], s[4:5], 0, v[20:21]
	v_lshlrev_b32_e32 v20, 1, v18
	v_lshl_add_u64 v[14:15], v[14:15], 0, v[20:21]
	global_load_dwordx4 v[14:17], v[14:15], off offset:128
.LBB81_55:
	s_or_b64 exec, exec, s[2:3]
	s_branch .LBB81_58
.LBB81_56:
                                        ; implicit-def: $vgpr5
                                        ; implicit-def: $vgpr9
                                        ; implicit-def: $vgpr13
                                        ; implicit-def: $vgpr17
	s_cbranch_execz .LBB81_58
; %bb.57:
	s_waitcnt vmcnt(0)
	v_lshlrev_b32_e32 v2, 1, v18
	v_lshl_or_b32 v18, v30, 9, v2
	s_and_b32 s5, s5, 0xffff
	s_mov_b32 s7, 0x20000
	s_movk_i32 s6, 0x4000
	s_movk_i32 s0, 0x80
	buffer_load_dwordx4 v[2:5], v18, s[4:7], 0 offen
	buffer_load_dwordx4 v[6:9], v18, s[4:7], 0 offen offset:256
	buffer_load_dwordx4 v[10:13], v18, s[4:7], s0 offen
	buffer_load_dwordx4 v[14:17], v18, s[4:7], s0 offen offset:256
.LBB81_58:
	ds_read_b64 v[20:21], v31 offset:57344
	v_add_u32_e32 v18, 0x6000, v26
	ds_read2_b64 v[36:39], v18 offset1:16
	ds_read_b64 v[94:95], v32 offset:57344
	ds_read_b64 v[96:97], v33 offset:57344
	;; [unrolled: 1-line block ×3, first 2 shown]
	v_and_b32_e32 v31, 6, v0
	v_xor_b32_e32 v30, v30, v31
	v_lshlrev_b32_e32 v30, 2, v30
	s_mov_b32 s0, 0x1000504
	s_mov_b32 s1, 0x3020706
	s_waitcnt lgkmcnt(3)
	v_mfma_f32_16x16x16_bf16 a[0:3], v[20:21], v[36:37], a[0:3]
	v_mfma_f32_16x16x16_bf16 a[4:7], v[20:21], v[38:39], a[4:7]
	ds_read2_b64 v[36:39], v18 offset0:32 offset1:48
	v_and_b32_e32 v18, 12, v35
	ds_read2st64_b64 v[32:35], v26 offset0:52 offset1:56
	s_waitcnt lgkmcnt(1)
	v_mfma_f32_16x16x16_bf16 a[8:11], v[20:21], v[36:37], a[8:11]
	v_mfma_f32_16x16x16_bf16 a[12:15], v[20:21], v[38:39], a[12:15]
	ds_read2st64_b64 v[36:39], v27 offset0:52 offset1:56
	ds_read2st64_b64 v[40:43], v28 offset0:52 offset1:56
	;; [unrolled: 1-line block ×3, first 2 shown]
	s_waitcnt lgkmcnt(3)
	v_mfma_f32_16x16x16_bf16 a[0:3], v[94:95], v[32:33], a[0:3]
	ds_read_b64 v[20:21], v26 offset:30720
	ds_read_b64 v[32:33], v27 offset:30720
	ds_read_b64 v[100:101], v28 offset:30720
	ds_read_b64 v[102:103], v29 offset:30720
	s_waitcnt lgkmcnt(6)
	v_mfma_f32_16x16x16_bf16 a[4:7], v[94:95], v[36:37], a[4:7]
	v_and_b32_e32 v36, 1, v0
	v_xor_b32_e32 v37, 0x440, v30
	v_cmp_eq_u32_e32 vcc, 0, v36
	s_waitcnt lgkmcnt(5)
	v_mfma_f32_16x16x16_bf16 a[8:11], v[94:95], v[40:41], a[8:11]
	v_cndmask_b32_e32 v30, v37, v30, vcc
	v_lshl_or_b32 v30, v31, 10, v30
	s_waitcnt lgkmcnt(4)
	v_mfma_f32_16x16x16_bf16 a[12:15], v[94:95], v[90:91], a[12:15]
	s_waitcnt vmcnt(0)
	v_perm_b32 v31, v2, v6, s0
	v_perm_b32 v2, v2, v6, s1
	;; [unrolled: 1-line block ×3, first 2 shown]
	v_mfma_f32_16x16x16_bf16 a[0:3], v[96:97], v[34:35], a[0:3]
	v_perm_b32 v34, v10, v14, s0
	ds_write2st64_b32 v30, v31, v34 offset0:128 offset1:160
	v_xor_b32_e32 v31, 8, v30
	v_add_u32_e32 v10, 0x80, v31
	ds_write2st64_b32 v10, v2, v6 offset0:128 offset1:160
	v_xor_b32_e32 v2, 16, v30
	v_perm_b32 v6, v3, v7, s0
	v_perm_b32 v10, v11, v15, s0
	v_mfma_f32_16x16x16_bf16 a[4:7], v[96:97], v[38:39], a[4:7]
	ds_write2st64_b32 v2, v6, v10 offset0:129 offset1:161
	v_xor_b32_e32 v2, 24, v30
	v_perm_b32 v3, v3, v7, s1
	v_mfma_f32_16x16x16_bf16 a[16:19], v[96:97], v[42:43], a[8:11]
	v_perm_b32 v6, v11, v15, s1
	v_add_u32_e32 v2, 0x80, v2
	ds_write2st64_b32 v2, v3, v6 offset0:129 offset1:161
	v_mfma_f32_16x16x16_bf16 a[20:23], v[96:97], v[92:93], a[12:15]
	v_xor_b32_e32 v2, 32, v30
	v_perm_b32 v3, v4, v8, s0
	v_perm_b32 v6, v12, v16, s0
	ds_write2st64_b32 v2, v3, v6 offset0:130 offset1:162
	v_xor_b32_e32 v2, 40, v30
	s_waitcnt lgkmcnt(8)
	v_mfma_f32_16x16x16_bf16 a[12:15], v[98:99], v[20:21], a[0:3]
	v_perm_b32 v3, v4, v8, s1
	v_perm_b32 v4, v12, v16, s1
	v_add_u32_e32 v2, 0x80, v2
	s_waitcnt lgkmcnt(7)
	v_mfma_f32_16x16x16_bf16 a[8:11], v[98:99], v[32:33], a[4:7]
	ds_write2st64_b32 v2, v3, v4 offset0:130 offset1:162
	v_xor_b32_e32 v2, 48, v30
	v_perm_b32 v3, v5, v9, s0
	s_waitcnt lgkmcnt(7)
	v_mfma_f32_16x16x16_bf16 a[4:7], v[98:99], v[100:101], a[16:19]
	v_perm_b32 v4, v13, v17, s0
	ds_write2st64_b32 v2, v3, v4 offset0:131 offset1:163
	v_xor_b32_e32 v2, 56, v30
	s_waitcnt lgkmcnt(7)
	v_mfma_f32_16x16x16_bf16 a[0:3], v[98:99], v[102:103], a[20:23]
	v_or_b32_e32 v20, v18, v45
	v_perm_b32 v3, v5, v9, s1
	v_perm_b32 v4, v13, v17, s1
	v_add_u32_e32 v2, 0x80, v2
	v_cmp_gt_i32_e32 vcc, s46, v20
	v_mov_b32_e32 v30, 0
	v_mov_b32_e32 v31, 0
	ds_write2st64_b32 v2, v3, v4 offset0:131 offset1:163
	s_and_saveexec_b64 s[0:1], vcc
	s_cbranch_execz .LBB81_60
; %bb.59:
	v_add_u32_e32 v2, s34, v20
	v_ashrrev_i32_e32 v3, 31, v2
	v_mul_lo_u32 v4, v3, s10
	v_mul_lo_u32 v5, v2, s11
	v_mad_u64_u32 v[2:3], s[2:3], v2, s10, 0
	v_add3_u32 v3, v3, v5, v4
	v_lshl_add_u64 v[2:3], v[2:3], 2, s[12:13]
	global_load_dword v2, v[2:3], off
	s_waitcnt vmcnt(0)
	v_sub_f32_e32 v2, s16, v2
	v_mul_f32_e32 v2, 0x3fb8aa3b, v2
	v_exp_f32_e32 v31, v2
.LBB81_60:
	s_or_b64 exec, exec, s[0:1]
	v_or_b32_e32 v11, 1, v20
	v_cmp_gt_i32_e64 s[2:3], s46, v11
	s_and_saveexec_b64 s[0:1], s[2:3]
	s_cbranch_execz .LBB81_62
; %bb.61:
	v_add_u32_e32 v2, s34, v11
	v_ashrrev_i32_e32 v3, 31, v2
	v_mul_lo_u32 v4, v3, s10
	v_mul_lo_u32 v5, v2, s11
	v_mad_u64_u32 v[2:3], s[4:5], v2, s10, 0
	v_add3_u32 v3, v3, v5, v4
	v_lshl_add_u64 v[2:3], v[2:3], 2, s[12:13]
	global_load_dword v2, v[2:3], off
	s_waitcnt vmcnt(0)
	v_sub_f32_e32 v2, s16, v2
	v_mul_f32_e32 v2, 0x3fb8aa3b, v2
	v_exp_f32_e32 v30, v2
.LBB81_62:
	s_or_b64 exec, exec, s[0:1]
	v_or_b32_e32 v10, 2, v20
	v_cmp_gt_i32_e64 s[4:5], s46, v10
	v_mov_b32_e32 v21, 0
	v_mov_b32_e32 v32, 0
	s_and_saveexec_b64 s[0:1], s[4:5]
	s_cbranch_execz .LBB81_64
; %bb.63:
	v_add_u32_e32 v2, s34, v10
	v_ashrrev_i32_e32 v3, 31, v2
	v_mul_lo_u32 v4, v3, s10
	v_mul_lo_u32 v5, v2, s11
	v_mad_u64_u32 v[2:3], s[6:7], v2, s10, 0
	v_add3_u32 v3, v3, v5, v4
	v_lshl_add_u64 v[2:3], v[2:3], 2, s[12:13]
	global_load_dword v2, v[2:3], off
	s_waitcnt vmcnt(0)
	v_sub_f32_e32 v2, s16, v2
	v_mul_f32_e32 v2, 0x3fb8aa3b, v2
	v_exp_f32_e32 v32, v2
.LBB81_64:
	s_or_b64 exec, exec, s[0:1]
	v_or_b32_e32 v33, 3, v20
	v_cmp_gt_i32_e64 s[0:1], s46, v33
	s_and_saveexec_b64 s[6:7], s[0:1]
	s_cbranch_execz .LBB81_66
; %bb.65:
	v_add_u32_e32 v2, s34, v33
	v_ashrrev_i32_e32 v3, 31, v2
	v_mul_lo_u32 v4, v3, s10
	v_mul_lo_u32 v5, v2, s11
	v_mad_u64_u32 v[2:3], s[10:11], v2, s10, 0
	v_add3_u32 v3, v3, v5, v4
	v_lshl_add_u64 v[2:3], v[2:3], 2, s[12:13]
	global_load_dword v2, v[2:3], off
	s_waitcnt vmcnt(0)
	v_sub_f32_e32 v2, s16, v2
	v_mul_f32_e32 v2, 0x3fb8aa3b, v2
	v_exp_f32_e32 v21, v2
.LBB81_66:
	s_or_b64 exec, exec, s[6:7]
	s_add_u32 s6, s20, s36
	s_addc_u32 s7, s21, s37
	s_add_u32 s10, s14, s36
	v_ashrrev_i32_e32 v89, 31, v88
	v_accvgpr_read_b32 v2, a12
	s_addc_u32 s11, s15, s37
	v_lshlrev_b64 v[6:7], 1, v[88:89]
	v_accvgpr_read_b32 v3, a13
	v_accvgpr_read_b32 v4, a14
	;; [unrolled: 1-line block ×3, first 2 shown]
	v_lshl_add_u64 v[8:9], s[6:7], 0, v[6:7]
	v_lshl_add_u64 v[6:7], s[10:11], 0, v[6:7]
	v_mov_b32_e32 v15, 0
	v_lshlrev_b32_e32 v12, 8, v20
	v_mov_b32_e32 v13, 0
	s_and_saveexec_b64 s[6:7], vcc
	s_cbranch_execz .LBB81_68
; %bb.67:
	v_mov_b32_e32 v13, 0
	v_lshl_add_u64 v[16:17], v[8:9], 0, v[12:13]
	global_load_ushort v14, v[16:17], off
	v_lshl_add_u64 v[16:17], v[6:7], 0, v[12:13]
	s_waitcnt vmcnt(0)
	v_lshlrev_b32_e32 v13, 16, v14
	v_sub_f32_e32 v2, v13, v2
	global_store_short_d16_hi v[16:17], v2, off
	v_mul_f32_e32 v2, v31, v2
	v_lshrrev_b32_e32 v13, 16, v2
.LBB81_68:
	s_or_b64 exec, exec, s[6:7]
	v_lshlrev_b32_e32 v14, 8, v11
	s_and_saveexec_b64 s[6:7], s[2:3]
	s_cbranch_execz .LBB81_70
; %bb.69:
	v_mov_b32_e32 v15, 0
	v_lshl_add_u64 v[16:17], v[8:9], 0, v[14:15]
	global_load_ushort v2, v[16:17], off
	v_lshl_add_u64 v[16:17], v[6:7], 0, v[14:15]
	s_waitcnt vmcnt(0)
	v_lshlrev_b32_e32 v2, 16, v2
	v_sub_f32_e32 v2, v2, v3
	global_store_short_d16_hi v[16:17], v2, off
	v_mul_f32_e32 v2, v30, v2
	v_lshrrev_b32_e32 v15, 16, v2
.LBB81_70:
	s_or_b64 exec, exec, s[6:7]
	v_mov_b32_e32 v11, 0
	v_lshlrev_b32_e32 v16, 8, v10
	v_mov_b32_e32 v17, 0
	s_and_saveexec_b64 s[6:7], s[4:5]
	s_cbranch_execz .LBB81_72
; %bb.71:
	v_mov_b32_e32 v17, 0
	v_lshl_add_u64 v[2:3], v[8:9], 0, v[16:17]
	global_load_ushort v10, v[2:3], off
	v_lshl_add_u64 v[2:3], v[6:7], 0, v[16:17]
	s_waitcnt vmcnt(0)
	v_lshlrev_b32_e32 v10, 16, v10
	v_sub_f32_e32 v4, v10, v4
	global_store_short_d16_hi v[2:3], v4, off
	v_mul_f32_e32 v2, v32, v4
	v_lshrrev_b32_e32 v17, 16, v2
.LBB81_72:
	s_or_b64 exec, exec, s[6:7]
	v_lshlrev_b32_e32 v10, 8, v33
	s_and_saveexec_b64 s[6:7], s[0:1]
	s_cbranch_execz .LBB81_74
; %bb.73:
	v_mov_b32_e32 v11, 0
	v_lshl_add_u64 v[2:3], v[8:9], 0, v[10:11]
	global_load_ushort v4, v[2:3], off
	v_lshl_add_u64 v[2:3], v[6:7], 0, v[10:11]
	s_waitcnt vmcnt(0)
	v_lshlrev_b32_e32 v4, 16, v4
	v_sub_f32_e32 v4, v4, v5
	global_store_short_d16_hi v[2:3], v4, off
	v_mul_f32_e32 v2, v21, v4
	v_lshrrev_b32_e32 v11, 16, v2
.LBB81_74:
	s_or_b64 exec, exec, s[6:7]
	v_lshlrev_b32_e32 v33, 6, v20
	s_mov_b32 s6, 0x5040100
	v_accvgpr_read_b32 v2, a8
	v_perm_b32 v35, v11, v17, s6
	v_or_b32_e32 v11, v33, v25
	v_accvgpr_read_b32 v3, a9
	v_accvgpr_read_b32 v4, a10
	;; [unrolled: 1-line block ×3, first 2 shown]
	v_perm_b32 v34, v15, v13, s6
	v_lshlrev_b32_e32 v11, 1, v11
	v_mov_b32_e32 v15, 0
	v_mov_b32_e32 v13, 0
	ds_write_b64 v11, v[34:35] offset:24576
	s_and_saveexec_b64 s[6:7], vcc
	s_cbranch_execz .LBB81_76
; %bb.75:
	v_mov_b32_e32 v13, 0
	v_lshl_add_u64 v[34:35], v[8:9], 0, v[12:13]
	global_load_ushort v11, v[34:35], off offset:32
	v_lshl_add_u64 v[34:35], v[6:7], 0, v[12:13]
	s_waitcnt vmcnt(0)
	v_lshlrev_b32_e32 v11, 16, v11
	v_sub_f32_e32 v2, v11, v2
	global_store_short_d16_hi v[34:35], v2, off offset:32
	v_mul_f32_e32 v2, v31, v2
	v_lshrrev_b32_e32 v13, 16, v2
.LBB81_76:
	s_or_b64 exec, exec, s[6:7]
	s_and_saveexec_b64 s[6:7], s[2:3]
	s_cbranch_execz .LBB81_78
; %bb.77:
	v_mov_b32_e32 v15, 0
	v_lshl_add_u64 v[34:35], v[8:9], 0, v[14:15]
	global_load_ushort v2, v[34:35], off offset:32
	v_lshl_add_u64 v[34:35], v[6:7], 0, v[14:15]
	s_waitcnt vmcnt(0)
	v_lshlrev_b32_e32 v2, 16, v2
	v_sub_f32_e32 v2, v2, v3
	global_store_short_d16_hi v[34:35], v2, off offset:32
	v_mul_f32_e32 v2, v30, v2
	v_lshrrev_b32_e32 v15, 16, v2
.LBB81_78:
	s_or_b64 exec, exec, s[6:7]
	v_mov_b32_e32 v11, 0
	v_mov_b32_e32 v17, 0
	s_and_saveexec_b64 s[6:7], s[4:5]
	s_cbranch_execz .LBB81_80
; %bb.79:
	v_mov_b32_e32 v17, 0
	v_lshl_add_u64 v[2:3], v[8:9], 0, v[16:17]
	global_load_ushort v25, v[2:3], off offset:32
	v_lshl_add_u64 v[2:3], v[6:7], 0, v[16:17]
	s_waitcnt vmcnt(0)
	v_lshlrev_b32_e32 v17, 16, v25
	v_sub_f32_e32 v4, v17, v4
	global_store_short_d16_hi v[2:3], v4, off offset:32
	v_mul_f32_e32 v2, v32, v4
	v_lshrrev_b32_e32 v17, 16, v2
.LBB81_80:
	s_or_b64 exec, exec, s[6:7]
	s_and_saveexec_b64 s[6:7], s[0:1]
	s_cbranch_execz .LBB81_82
; %bb.81:
	v_mov_b32_e32 v11, 0
	v_lshl_add_u64 v[2:3], v[8:9], 0, v[10:11]
	global_load_ushort v4, v[2:3], off offset:32
	v_lshl_add_u64 v[2:3], v[6:7], 0, v[10:11]
	s_waitcnt vmcnt(0)
	v_lshlrev_b32_e32 v4, 16, v4
	v_sub_f32_e32 v4, v4, v5
	global_store_short_d16_hi v[2:3], v4, off offset:32
	v_mul_f32_e32 v2, v21, v4
	v_lshrrev_b32_e32 v11, 16, v2
.LBB81_82:
	s_or_b64 exec, exec, s[6:7]
	s_mov_b32 s6, 0x5040100
	v_accvgpr_read_b32 v2, a4
	v_perm_b32 v35, v11, v17, s6
	v_or_b32_e32 v11, v33, v23
	v_accvgpr_read_b32 v3, a5
	v_accvgpr_read_b32 v4, a6
	;; [unrolled: 1-line block ×3, first 2 shown]
	v_perm_b32 v34, v15, v13, s6
	v_lshlrev_b32_e32 v11, 1, v11
	v_mov_b32_e32 v15, 0
	v_mov_b32_e32 v13, 0
	ds_write_b64 v11, v[34:35] offset:24576
	s_and_saveexec_b64 s[6:7], vcc
	s_cbranch_execz .LBB81_84
; %bb.83:
	v_mov_b32_e32 v13, 0
	v_lshl_add_u64 v[34:35], v[8:9], 0, v[12:13]
	global_load_ushort v11, v[34:35], off offset:64
	v_lshl_add_u64 v[34:35], v[6:7], 0, v[12:13]
	s_waitcnt vmcnt(0)
	v_lshlrev_b32_e32 v11, 16, v11
	v_sub_f32_e32 v2, v11, v2
	global_store_short_d16_hi v[34:35], v2, off offset:64
	v_mul_f32_e32 v2, v31, v2
	v_lshrrev_b32_e32 v13, 16, v2
.LBB81_84:
	s_or_b64 exec, exec, s[6:7]
	s_and_saveexec_b64 s[6:7], s[2:3]
	s_cbranch_execz .LBB81_86
; %bb.85:
	v_mov_b32_e32 v15, 0
	v_lshl_add_u64 v[34:35], v[8:9], 0, v[14:15]
	global_load_ushort v2, v[34:35], off offset:64
	v_lshl_add_u64 v[34:35], v[6:7], 0, v[14:15]
	s_waitcnt vmcnt(0)
	v_lshlrev_b32_e32 v2, 16, v2
	v_sub_f32_e32 v2, v2, v3
	global_store_short_d16_hi v[34:35], v2, off offset:64
	v_mul_f32_e32 v2, v30, v2
	v_lshrrev_b32_e32 v15, 16, v2
.LBB81_86:
	s_or_b64 exec, exec, s[6:7]
	v_mov_b32_e32 v11, 0
	v_mov_b32_e32 v17, 0
	s_and_saveexec_b64 s[6:7], s[4:5]
	s_cbranch_execz .LBB81_88
; %bb.87:
	v_mov_b32_e32 v17, 0
	v_lshl_add_u64 v[2:3], v[8:9], 0, v[16:17]
	global_load_ushort v23, v[2:3], off offset:64
	v_lshl_add_u64 v[2:3], v[6:7], 0, v[16:17]
	s_waitcnt vmcnt(0)
	v_lshlrev_b32_e32 v17, 16, v23
	v_sub_f32_e32 v4, v17, v4
	global_store_short_d16_hi v[2:3], v4, off offset:64
	v_mul_f32_e32 v2, v32, v4
	v_lshrrev_b32_e32 v17, 16, v2
.LBB81_88:
	s_or_b64 exec, exec, s[6:7]
	s_and_saveexec_b64 s[6:7], s[0:1]
	s_cbranch_execz .LBB81_90
; %bb.89:
	v_mov_b32_e32 v11, 0
	v_lshl_add_u64 v[2:3], v[8:9], 0, v[10:11]
	global_load_ushort v4, v[2:3], off offset:64
	v_lshl_add_u64 v[2:3], v[6:7], 0, v[10:11]
	s_waitcnt vmcnt(0)
	v_lshlrev_b32_e32 v4, 16, v4
	v_sub_f32_e32 v4, v4, v5
	global_store_short_d16_hi v[2:3], v4, off offset:64
	v_mul_f32_e32 v2, v21, v4
	v_lshrrev_b32_e32 v11, 16, v2
.LBB81_90:
	s_or_b64 exec, exec, s[6:7]
	s_mov_b32 s6, 0x5040100
	v_accvgpr_read_b32 v5, a3
	v_perm_b32 v35, v11, v17, s6
	v_or_b32_e32 v11, v33, v22
	v_accvgpr_read_b32 v4, a2
	v_accvgpr_read_b32 v3, a1
	;; [unrolled: 1-line block ×3, first 2 shown]
	v_perm_b32 v34, v15, v13, s6
	v_lshlrev_b32_e32 v11, 1, v11
	v_mov_b32_e32 v15, 0
	v_mov_b32_e32 v13, 0
	ds_write_b64 v11, v[34:35] offset:24576
	s_and_saveexec_b64 s[6:7], vcc
	s_cbranch_execz .LBB81_92
; %bb.91:
	v_mov_b32_e32 v13, 0
	v_lshl_add_u64 v[22:23], v[8:9], 0, v[12:13]
	global_load_ushort v11, v[22:23], off offset:96
	v_lshl_add_u64 v[12:13], v[6:7], 0, v[12:13]
	s_waitcnt vmcnt(0)
	v_lshlrev_b32_e32 v11, 16, v11
	v_sub_f32_e32 v2, v11, v2
	global_store_short_d16_hi v[12:13], v2, off offset:96
	v_mul_f32_e32 v2, v31, v2
	v_lshrrev_b32_e32 v13, 16, v2
.LBB81_92:
	s_or_b64 exec, exec, s[6:7]
	s_and_saveexec_b64 s[6:7], s[2:3]
	s_cbranch_execz .LBB81_94
; %bb.93:
	v_mov_b32_e32 v15, 0
	v_lshl_add_u64 v[22:23], v[8:9], 0, v[14:15]
	global_load_ushort v2, v[22:23], off offset:96
	v_lshl_add_u64 v[14:15], v[6:7], 0, v[14:15]
	s_waitcnt vmcnt(0)
	v_lshlrev_b32_e32 v2, 16, v2
	v_sub_f32_e32 v2, v2, v3
	global_store_short_d16_hi v[14:15], v2, off offset:96
	v_mul_f32_e32 v2, v30, v2
	v_lshrrev_b32_e32 v15, 16, v2
.LBB81_94:
	s_or_b64 exec, exec, s[6:7]
	v_mov_b32_e32 v11, 0
	v_mov_b32_e32 v14, 0
	s_and_saveexec_b64 s[2:3], s[4:5]
	s_cbranch_execz .LBB81_96
; %bb.95:
	v_mov_b32_e32 v17, 0
	v_lshl_add_u64 v[2:3], v[8:9], 0, v[16:17]
	global_load_ushort v12, v[2:3], off offset:96
	v_lshl_add_u64 v[2:3], v[6:7], 0, v[16:17]
	s_waitcnt vmcnt(0)
	v_lshlrev_b32_e32 v12, 16, v12
	v_sub_f32_e32 v4, v12, v4
	global_store_short_d16_hi v[2:3], v4, off offset:96
	v_mul_f32_e32 v2, v32, v4
	v_lshrrev_b32_e32 v14, 16, v2
.LBB81_96:
	s_or_b64 exec, exec, s[2:3]
	v_or_b32_e32 v12, 0x6000, v26
	v_or_b32_e32 v2, 0x6000, v27
	;; [unrolled: 1-line block ×4, first 2 shown]
	s_and_saveexec_b64 s[2:3], s[0:1]
	s_cbranch_execz .LBB81_98
; %bb.97:
	v_mov_b32_e32 v11, 0
	v_lshl_add_u64 v[8:9], v[8:9], 0, v[10:11]
	global_load_ushort v8, v[8:9], off offset:96
	v_lshl_add_u64 v[6:7], v[6:7], 0, v[10:11]
	s_waitcnt vmcnt(0)
	v_lshlrev_b32_e32 v8, 16, v8
	v_sub_f32_e32 v5, v8, v5
	global_store_short_d16_hi v[6:7], v5, off offset:96
	v_mul_f32_e32 v5, v21, v5
	v_lshrrev_b32_e32 v11, 16, v5
.LBB81_98:
	s_or_b64 exec, exec, s[2:3]
	s_mov_b32 s0, 0x5040100
	v_or_b32_e32 v5, v33, v19
	v_perm_b32 v7, v11, v14, s0
	v_perm_b32 v6, v15, v13, s0
	v_lshlrev_b32_e32 v5, 1, v5
	ds_write_b64 v5, v[6:7] offset:24576
	v_and_b32_e32 v5, 7, v0
	v_and_b32_e32 v10, 8, v0
	v_lshlrev_b32_e32 v13, 3, v5
	v_lshlrev_b32_e32 v19, 7, v5
	v_lshrrev_b32_e32 v5, 1, v0
	v_and_b32_e32 v5, 24, v5
	v_mov_b32_e32 v11, 0x400
	v_cmp_eq_u32_e32 vcc, 0, v10
	s_movk_i32 s2, 0x100
	v_lshlrev_b32_e32 v25, 3, v1
	v_cndmask_b32_e64 v21, v11, 64, vcc
	v_mov_b32_e32 v10, 0xa000
	v_mov_b32_e32 v11, 0x8000
	v_cmp_gt_u32_e64 s[0:1], s2, v0
	v_xor_b32_e32 v42, v25, v5
	v_or_b32_e32 v14, 32, v5
	v_cndmask_b32_e64 v0, v10, v11, s[0:1]
	v_or_b32_e32 v10, 0x440, v42
	v_cndmask_b32_e32 v10, v10, v42, vcc
	v_or_b32_e32 v10, v10, v24
	v_xor_b32_e32 v47, v10, v13
	v_xor_b32_e32 v14, v25, v14
	v_add3_u32 v10, v0, v47, v19
	v_or_b32_e32 v15, 0x440, v14
	s_waitcnt lgkmcnt(0)
	s_barrier
	ds_read_b64 v[10:11], v10
	v_cndmask_b32_e32 v14, v15, v14, vcc
	v_or_b32_e32 v14, v14, v24
	v_xor_b32_e32 v88, v14, v13
	v_add3_u32 v14, v0, v88, v19
	ds_read_b64 v[22:23], v14
	ds_read2_b64 v[6:9], v12 offset1:16
	ds_read2_b64 v[14:17], v12 offset0:32 offset1:48
	v_or_b32_e32 v5, 0x60, v5
	v_xor_b32_e32 v5, v25, v5
	s_waitcnt lgkmcnt(1)
	v_mfma_f32_16x16x16_bf16 a[0:3], v[10:11], v[6:7], 0
	s_mul_i32 s0, s17, s29
	ds_read2st64_b64 v[26:29], v12 offset0:4 offset1:8
	ds_read2st64_b64 v[30:33], v2 offset0:4 offset1:8
	v_mfma_f32_16x16x16_bf16 a[4:7], v[10:11], v[8:9], 0
	s_mul_hi_i32 s1, s17, s29
	ds_read2st64_b64 v[34:37], v3 offset0:4 offset1:8
	ds_read2st64_b64 v[38:41], v4 offset0:4 offset1:8
	s_waitcnt lgkmcnt(4)
	v_mfma_f32_16x16x16_bf16 a[8:11], v[10:11], v[14:15], 0
	s_add_u32 s0, s0, s33
	s_addc_u32 s1, s1, s48
	s_lshl_b64 s[0:1], s[0:1], 9
	v_mfma_f32_16x16x16_bf16 a[12:15], v[10:11], v[16:17], 0
	v_or3_b32 v10, v24, v21, v42
	v_xor_b32_e32 v21, 0x440, v5
	v_cndmask_b32_e32 v5, v21, v5, vcc
	v_xor_b32_e32 v10, v10, v13
	v_or_b32_e32 v5, v5, v24
	v_or_b32_e32 v90, v10, v19
	v_xor_b32_e32 v89, v5, v13
	v_or_b32_e32 v10, v0, v90
	v_add3_u32 v0, v0, v89, v19
	s_add_u32 s0, s8, s0
	ds_read_b64 v[10:11], v10
	ds_read_b64 v[24:25], v0
	s_addc_u32 s1, s9, s1
	v_lshlrev_b32_e32 v0, 2, v20
	s_waitcnt lgkmcnt(5)
	v_mfma_f32_16x16x16_bf16 a[0:3], v[22:23], v[26:27], a[0:3]
	ds_read_b64 v[12:13], v12 offset:6144
	s_waitcnt lgkmcnt(5)
	v_mfma_f32_16x16x16_bf16 a[4:7], v[22:23], v[30:31], a[4:7]
	s_waitcnt lgkmcnt(4)
	v_mfma_f32_16x16x16_bf16 a[8:11], v[22:23], v[34:35], a[8:11]
	;; [unrolled: 2-line block ×3, first 2 shown]
	global_load_dwordx4 v[20:23], v0, s[0:1]
	v_lshlrev_b32_e32 v0, 6, v1
	v_lshlrev_b32_e32 v1, 2, v18
	v_or3_b32 v0, v0, v1, s2
	s_waitcnt lgkmcnt(2)
	v_mfma_f32_16x16x16_bf16 a[0:3], v[10:11], v[28:29], a[0:3]
	s_waitcnt vmcnt(0)
	v_mul_f32_e32 v20, 0x3fb8aa3b, v20
	v_mfma_f32_16x16x16_bf16 a[4:7], v[10:11], v[32:33], a[4:7]
	v_mul_f32_e32 v21, 0x3fb8aa3b, v21
	v_exp_f32_e32 v20, v20
	v_exp_f32_e32 v21, v21
	v_mfma_f32_16x16x16_bf16 a[8:11], v[10:11], v[36:37], a[8:11]
	v_mfma_f32_16x16x16_bf16 a[12:15], v[10:11], v[40:41], a[12:15]
	ds_read_b64 v[10:11], v2 offset:6144
	ds_read_b64 v[42:43], v3 offset:6144
	;; [unrolled: 1-line block ×3, first 2 shown]
	global_load_dwordx4 v[0:3], v0, s[0:1]
	v_mov_b32_e32 v4, 0x3fb8aa3b
	v_mul_f32_e32 v4, s16, v4
	v_exp_f32_e32 v18, v4
	v_add_u32_e32 v4, v47, v19
	ds_read_b64 v[4:5], v4 offset:40960
	s_waitcnt lgkmcnt(4)
	v_mfma_f32_16x16x16_bf16 a[0:3], v[24:25], v[12:13], a[0:3]
	s_waitcnt vmcnt(0)
	v_mul_f32_e32 v0, 0x3fb8aa3b, v0
	s_waitcnt lgkmcnt(3)
	v_mfma_f32_16x16x16_bf16 a[4:7], v[24:25], v[10:11], a[4:7]
	v_exp_f32_e32 v0, v0
	s_waitcnt lgkmcnt(2)
	v_mfma_f32_16x16x16_bf16 a[8:11], v[24:25], v[42:43], a[8:11]
	s_waitcnt lgkmcnt(1)
	v_mfma_f32_16x16x16_bf16 a[12:15], v[24:25], v[44:45], a[12:15]
	v_add_u32_e32 v24, v88, v19
	v_add_u32_e32 v19, v89, v19
	ds_read_b64 v[24:25], v24 offset:40960
	ds_read_b64 v[88:89], v19 offset:40960
	s_waitcnt lgkmcnt(2)
	v_mfma_f32_16x16x16_bf16 a[16:19], v[4:5], v[6:7], 0
	v_mul_f32_e32 v6, 0x3fb8aa3b, v22
	v_mul_f32_e32 v7, 0x3fb8aa3b, v23
	v_accvgpr_read_b32 v23, a1
	v_mfma_f32_16x16x16_bf16 a[20:23], v[4:5], v[8:9], 0
	v_pk_mul_f32 v[8:9], v[18:19], v[20:21] op_sel_hi:[0,1]
	v_accvgpr_read_b32 v22, a0
	v_pk_fma_f32 v[82:83], v[82:83], v[8:9], v[22:23]
	ds_read_b64 v[22:23], v90 offset:40960
	v_exp_f32_e32 v6, v6
	v_exp_f32_e32 v7, v7
	v_mfma_f32_16x16x16_bf16 a[24:27], v[4:5], v[14:15], 0
	v_accvgpr_read_b32 v15, a3
	v_accvgpr_read_b32 v14, a2
	v_pk_mul_f32 v[6:7], v[18:19], v[6:7] op_sel_hi:[0,1]
	v_mfma_f32_16x16x16_bf16 a[28:31], v[4:5], v[16:17], 0
	v_accvgpr_read_b32 v5, a7
	v_accvgpr_read_b32 v4, a6
	v_pk_fma_f32 v[78:79], v[6:7], v[78:79], v[4:5]
	s_waitcnt lgkmcnt(2)
	v_mfma_f32_16x16x16_bf16 a[16:19], v[24:25], v[26:27], a[16:19]
	v_accvgpr_read_b32 v4, a8
	v_accvgpr_read_b32 v5, a9
	v_pk_fma_f32 v[66:67], v[8:9], v[66:67], v[4:5]
	v_mfma_f32_16x16x16_bf16 a[20:23], v[24:25], v[30:31], a[20:23]
	v_accvgpr_read_b32 v4, a12
	v_accvgpr_read_b32 v17, a11
	;; [unrolled: 1-line block ×3, first 2 shown]
	v_mfma_f32_16x16x16_bf16 a[0:3], v[24:25], v[34:35], a[24:27]
	v_pk_fma_f32 v[86:87], v[86:87], v[6:7], v[14:15]
	v_accvgpr_read_b32 v15, a5
	v_accvgpr_read_b32 v5, a13
	s_waitcnt lgkmcnt(0)
	v_mfma_f32_16x16x16_bf16 a[8:11], v[22:23], v[28:29], a[16:19]
	v_accvgpr_read_b32 v21, a15
	v_accvgpr_read_b32 v20, a14
	;; [unrolled: 1-line block ×3, first 2 shown]
	v_mfma_f32_16x16x16_bf16 a[4:7], v[24:25], v[38:39], a[28:31]
	v_pk_fma_f32 v[58:59], v[8:9], v[58:59], v[4:5]
	v_mov_b32_e32 v4, v3
	v_mov_b32_e32 v3, v2
	v_mfma_f32_16x16x16_bf16 a[12:15], v[22:23], v[32:33], a[20:23]
	v_mov_b32_e32 v2, v1
	v_mul_f32_e32 v1, 0x3fb8aa3b, v2
	v_mul_f32_e32 v2, 0x3fb8aa3b, v3
	v_mfma_f32_16x16x16_bf16 a[0:3], v[22:23], v[36:37], a[0:3]
	v_mul_f32_e32 v3, 0x3fb8aa3b, v4
	v_exp_f32_e32 v2, v2
	v_exp_f32_e32 v3, v3
	v_mfma_f32_16x16x16_bf16 a[8:11], v[88:89], v[12:13], a[8:11]
	v_exp_f32_e32 v1, v1
	v_pk_fma_f32 v[74:75], v[8:9], v[74:75], v[14:15]
	v_pk_mul_f32 v[2:3], v[18:19], v[2:3] op_sel_hi:[0,1]
	v_mfma_f32_16x16x16_bf16 a[4:7], v[22:23], v[40:41], a[4:7]
	v_pk_mul_f32 v[0:1], v[18:19], v[0:1] op_sel_hi:[0,1]
	v_pk_fma_f32 v[70:71], v[6:7], v[70:71], v[16:17]
	v_pk_fma_f32 v[62:63], v[6:7], v[62:63], v[20:21]
	v_mfma_f32_16x16x16_bf16 a[12:15], v[88:89], v[10:11], a[12:15]
	v_accvgpr_read_b32 v5, a11
	v_accvgpr_read_b32 v4, a10
	v_pk_fma_f32 v[84:85], v[84:85], v[2:3], v[4:5]
	v_mfma_f32_16x16x16_bf16 a[0:3], v[88:89], v[42:43], a[0:3]
	v_accvgpr_read_b32 v13, a9
	v_accvgpr_read_b32 v12, a8
	v_pk_fma_f32 v[80:81], v[80:81], v[0:1], v[12:13]
	v_accvgpr_read_b32 v4, a12
	v_accvgpr_read_b32 v5, a13
	v_pk_fma_f32 v[72:73], v[0:1], v[72:73], v[4:5]
	v_accvgpr_read_b32 v7, a15
	v_accvgpr_read_b32 v9, a3
	v_accvgpr_read_b32 v8, a2
	v_mfma_f32_16x16x16_bf16 a[2:5], v[88:89], v[44:45], a[4:7]
	v_accvgpr_read_b32 v5, a1
	v_accvgpr_read_b32 v4, a0
	v_pk_fma_f32 v[64:65], v[0:1], v[64:65], v[4:5]
	v_accvgpr_read_b32 v6, a14
	v_pk_fma_f32 v[76:77], v[2:3], v[76:77], v[6:7]
	v_pk_fma_f32 v[68:69], v[2:3], v[68:69], v[8:9]
	s_nop 0
	v_accvgpr_read_b32 v5, a3
	v_accvgpr_read_b32 v11, a5
	;; [unrolled: 1-line block ×4, first 2 shown]
	v_pk_fma_f32 v[56:57], v[0:1], v[56:57], v[4:5]
	v_pk_fma_f32 v[60:61], v[2:3], v[60:61], v[10:11]
.LBB81_99:
	s_add_u32 s0, s24, s26
	s_addc_u32 s1, s25, s27
	v_lshl_add_u64 v[0:1], v[48:49], 1, s[0:1]
	v_mov_b32_e32 v47, 0
	s_mov_b32 s2, 0x7060302
	v_lshl_add_u64 v[0:1], v[0:1], 0, v[46:47]
	v_perm_b32 v3, v87, v86, s2
	v_perm_b32 v2, v83, v82, s2
	global_store_dwordx2 v[0:1], v[2:3], off
	v_perm_b32 v3, v85, v84, s2
	v_perm_b32 v2, v81, v80, s2
	global_store_dwordx2 v[0:1], v[2:3], off offset:128
	v_lshl_add_u64 v[0:1], v[50:51], 1, s[0:1]
	v_lshl_add_u64 v[0:1], v[0:1], 0, v[46:47]
	v_perm_b32 v3, v79, v78, s2
	v_perm_b32 v2, v75, v74, s2
	global_store_dwordx2 v[0:1], v[2:3], off
	v_perm_b32 v3, v77, v76, s2
	v_perm_b32 v2, v73, v72, s2
	global_store_dwordx2 v[0:1], v[2:3], off offset:128
	v_lshl_add_u64 v[0:1], v[52:53], 1, s[0:1]
	;; [unrolled: 8-line block ×3, first 2 shown]
	v_lshl_add_u64 v[0:1], v[0:1], 0, v[46:47]
	v_perm_b32 v3, v63, v62, s2
	v_perm_b32 v2, v59, v58, s2
	global_store_dwordx2 v[0:1], v[2:3], off
	v_perm_b32 v3, v61, v60, s2
	v_perm_b32 v2, v57, v56, s2
	global_store_dwordx2 v[0:1], v[2:3], off offset:128
	s_endpgm
	.section	.rodata,"a",@progbits
	.p2align	6, 0x0
	.amdhsa_kernel _ZN12_GLOBAL__N_139chunk_gated_delta_rule_fwd_h_hip_kernelILi64ELb1ELb1ELb1ELb1ELb0ELb1ELb0ELb1EEEvPK12hip_bfloat16S3_S3_PKfS5_PKvPS1_S8_PvPKiSB_iiiiilll
		.amdhsa_group_segment_fixed_size 65536
		.amdhsa_private_segment_fixed_size 0
		.amdhsa_kernarg_size 136
		.amdhsa_user_sgpr_count 2
		.amdhsa_user_sgpr_dispatch_ptr 0
		.amdhsa_user_sgpr_queue_ptr 0
		.amdhsa_user_sgpr_kernarg_segment_ptr 1
		.amdhsa_user_sgpr_dispatch_id 0
		.amdhsa_user_sgpr_kernarg_preload_length 0
		.amdhsa_user_sgpr_kernarg_preload_offset 0
		.amdhsa_user_sgpr_private_segment_size 0
		.amdhsa_uses_dynamic_stack 0
		.amdhsa_enable_private_segment 0
		.amdhsa_system_sgpr_workgroup_id_x 1
		.amdhsa_system_sgpr_workgroup_id_y 1
		.amdhsa_system_sgpr_workgroup_id_z 0
		.amdhsa_system_sgpr_workgroup_info 0
		.amdhsa_system_vgpr_workitem_id 0
		.amdhsa_next_free_vgpr 240
		.amdhsa_next_free_sgpr 69
		.amdhsa_accum_offset 200
		.amdhsa_reserve_vcc 1
		.amdhsa_float_round_mode_32 0
		.amdhsa_float_round_mode_16_64 0
		.amdhsa_float_denorm_mode_32 3
		.amdhsa_float_denorm_mode_16_64 3
		.amdhsa_dx10_clamp 1
		.amdhsa_ieee_mode 1
		.amdhsa_fp16_overflow 0
		.amdhsa_tg_split 0
		.amdhsa_exception_fp_ieee_invalid_op 0
		.amdhsa_exception_fp_denorm_src 0
		.amdhsa_exception_fp_ieee_div_zero 0
		.amdhsa_exception_fp_ieee_overflow 0
		.amdhsa_exception_fp_ieee_underflow 0
		.amdhsa_exception_fp_ieee_inexact 0
		.amdhsa_exception_int_div_zero 0
	.end_amdhsa_kernel
	.section	.text._ZN12_GLOBAL__N_139chunk_gated_delta_rule_fwd_h_hip_kernelILi64ELb1ELb1ELb1ELb1ELb0ELb1ELb0ELb1EEEvPK12hip_bfloat16S3_S3_PKfS5_PKvPS1_S8_PvPKiSB_iiiiilll,"axG",@progbits,_ZN12_GLOBAL__N_139chunk_gated_delta_rule_fwd_h_hip_kernelILi64ELb1ELb1ELb1ELb1ELb0ELb1ELb0ELb1EEEvPK12hip_bfloat16S3_S3_PKfS5_PKvPS1_S8_PvPKiSB_iiiiilll,comdat
.Lfunc_end81:
	.size	_ZN12_GLOBAL__N_139chunk_gated_delta_rule_fwd_h_hip_kernelILi64ELb1ELb1ELb1ELb1ELb0ELb1ELb0ELb1EEEvPK12hip_bfloat16S3_S3_PKfS5_PKvPS1_S8_PvPKiSB_iiiiilll, .Lfunc_end81-_ZN12_GLOBAL__N_139chunk_gated_delta_rule_fwd_h_hip_kernelILi64ELb1ELb1ELb1ELb1ELb0ELb1ELb0ELb1EEEvPK12hip_bfloat16S3_S3_PKfS5_PKvPS1_S8_PvPKiSB_iiiiilll
                                        ; -- End function
	.section	.AMDGPU.csdata,"",@progbits
; Kernel info:
; codeLenInByte = 13216
; NumSgprs: 75
; NumVgprs: 200
; NumAgprs: 40
; TotalNumVgprs: 240
; ScratchSize: 0
; MemoryBound: 0
; FloatMode: 240
; IeeeMode: 1
; LDSByteSize: 65536 bytes/workgroup (compile time only)
; SGPRBlocks: 9
; VGPRBlocks: 29
; NumSGPRsForWavesPerEU: 75
; NumVGPRsForWavesPerEU: 240
; AccumOffset: 200
; Occupancy: 1
; WaveLimiterHint : 1
; COMPUTE_PGM_RSRC2:SCRATCH_EN: 0
; COMPUTE_PGM_RSRC2:USER_SGPR: 2
; COMPUTE_PGM_RSRC2:TRAP_HANDLER: 0
; COMPUTE_PGM_RSRC2:TGID_X_EN: 1
; COMPUTE_PGM_RSRC2:TGID_Y_EN: 1
; COMPUTE_PGM_RSRC2:TGID_Z_EN: 0
; COMPUTE_PGM_RSRC2:TIDIG_COMP_CNT: 0
; COMPUTE_PGM_RSRC3_GFX90A:ACCUM_OFFSET: 49
; COMPUTE_PGM_RSRC3_GFX90A:TG_SPLIT: 0
	.section	.text._ZN12_GLOBAL__N_139chunk_gated_delta_rule_fwd_h_hip_kernelILi64ELb1ELb1ELb0ELb1ELb0ELb1ELb0ELb1EEEvPK12hip_bfloat16S3_S3_PKfS5_PKvPS1_S8_PvPKiSB_iiiiilll,"axG",@progbits,_ZN12_GLOBAL__N_139chunk_gated_delta_rule_fwd_h_hip_kernelILi64ELb1ELb1ELb0ELb1ELb0ELb1ELb0ELb1EEEvPK12hip_bfloat16S3_S3_PKfS5_PKvPS1_S8_PvPKiSB_iiiiilll,comdat
	.globl	_ZN12_GLOBAL__N_139chunk_gated_delta_rule_fwd_h_hip_kernelILi64ELb1ELb1ELb0ELb1ELb0ELb1ELb0ELb1EEEvPK12hip_bfloat16S3_S3_PKfS5_PKvPS1_S8_PvPKiSB_iiiiilll ; -- Begin function _ZN12_GLOBAL__N_139chunk_gated_delta_rule_fwd_h_hip_kernelILi64ELb1ELb1ELb0ELb1ELb0ELb1ELb0ELb1EEEvPK12hip_bfloat16S3_S3_PKfS5_PKvPS1_S8_PvPKiSB_iiiiilll
	.p2align	8
	.type	_ZN12_GLOBAL__N_139chunk_gated_delta_rule_fwd_h_hip_kernelILi64ELb1ELb1ELb0ELb1ELb0ELb1ELb0ELb1EEEvPK12hip_bfloat16S3_S3_PKfS5_PKvPS1_S8_PvPKiSB_iiiiilll,@function
_ZN12_GLOBAL__N_139chunk_gated_delta_rule_fwd_h_hip_kernelILi64ELb1ELb1ELb0ELb1ELb0ELb1ELb0ELb1EEEvPK12hip_bfloat16S3_S3_PKfS5_PKvPS1_S8_PvPKiSB_iiiiilll: ; @_ZN12_GLOBAL__N_139chunk_gated_delta_rule_fwd_h_hip_kernelILi64ELb1ELb1ELb0ELb1ELb0ELb1ELb0ELb1EEEvPK12hip_bfloat16S3_S3_PKfS5_PKvPS1_S8_PvPKiSB_iiiiilll
; %bb.0:
	s_load_dwordx4 s[16:19], s[0:1], 0x5c
	s_load_dwordx4 s[24:27], s[0:1], 0x70
	s_abs_i32 s7, s3
	s_ashr_i32 s6, s3, 31
	s_load_dwordx4 s[12:15], s[0:1], 0x40
	s_load_dwordx2 s[4:5], s[0:1], 0x50
	s_waitcnt lgkmcnt(0)
	s_abs_i32 s10, s17
	v_cvt_f32_u32_e32 v1, s10
	s_sub_i32 s8, 0, s10
	s_ashr_i32 s11, s17, 31
	s_xor_b32 s6, s6, s11
	v_rcp_iflag_f32_e32 v1, v1
	v_and_b32_e32 v97, 15, v0
	v_bfe_u32 v96, v0, 4, 2
	v_mov_b32_e32 v47, 0
	v_mul_f32_e32 v1, 0x4f7ffffe, v1
	v_cvt_u32_f32_e32 v1, v1
	v_lshlrev_b32_e32 v98, 3, v0
	v_readfirstlane_b32 s9, v1
	s_mul_i32 s8, s8, s9
	s_mul_hi_u32 s8, s9, s8
	s_add_i32 s9, s9, s8
	s_mul_hi_u32 s8, s7, s9
	s_mul_i32 s9, s8, s10
	s_sub_i32 s7, s7, s9
	s_add_i32 s20, s8, 1
	s_sub_i32 s9, s7, s10
	s_cmp_ge_u32 s7, s10
	s_cselect_b32 s8, s20, s8
	s_cselect_b32 s7, s9, s7
	s_add_i32 s9, s8, 1
	s_cmp_ge_u32 s7, s10
	s_cselect_b32 s7, s9, s8
	s_xor_b32 s7, s7, s6
	s_sub_i32 s28, s7, s6
	s_mul_i32 s36, s28, s17
	s_ashr_i32 s29, s28, 31
	s_sub_i32 s33, s3, s36
	s_lshl_b64 s[6:7], s[28:29], 2
	s_add_u32 s8, s14, s6
	s_addc_u32 s9, s15, s7
	s_add_u32 s30, s4, s6
	s_addc_u32 s31, s5, s7
	s_abs_i32 s3, s18
	v_cvt_f32_u32_e32 v1, s3
	s_load_dwordx2 s[34:35], s[8:9], 0x0
	s_sub_i32 s5, 0, s3
	s_lshl_b32 s2, s2, 6
	v_rcp_iflag_f32_e32 v1, v1
	s_load_dwordx4 s[20:23], s[0:1], 0x20
	s_load_dwordx2 s[40:41], s[0:1], 0x30
	s_waitcnt lgkmcnt(0)
	s_sub_i32 s54, s35, s34
	s_ashr_i32 s4, s54, 31
	v_mul_f32_e32 v1, 0x4f7ffffe, v1
	v_cvt_u32_f32_e32 v1, v1
	s_lshr_b32 s4, s4, 26
	s_add_i32 s4, s54, s4
	s_ashr_i32 s53, s4, 6
	v_readfirstlane_b32 s6, v1
	s_mul_i32 s5, s5, s6
	s_mul_hi_u32 s5, s6, s5
	s_add_i32 s6, s6, s5
	s_mul_hi_u32 s5, s10, s6
	s_mul_i32 s6, s5, s3
	s_ashr_i32 s4, s18, 31
	s_sub_i32 s6, s10, s6
	s_xor_b32 s4, s11, s4
	s_add_i32 s7, s5, 1
	s_sub_i32 s8, s6, s3
	s_cmp_ge_u32 s6, s3
	s_cselect_b32 s5, s7, s5
	s_cselect_b32 s6, s8, s6
	s_add_i32 s7, s5, 1
	s_cmp_ge_u32 s6, s3
	s_cselect_b32 s3, s7, s5
	s_xor_b32 s3, s3, s4
	s_sub_i32 s3, s3, s4
	s_abs_i32 s4, s3
	v_cvt_f32_u32_e32 v1, s4
	s_sub_i32 s6, 0, s4
	s_abs_i32 s5, s33
	s_xor_b32 s3, s33, s3
	v_rcp_iflag_f32_e32 v2, v1
	s_ashr_i32 s3, s3, 31
	v_or_b32_e32 v88, s2, v97
	v_lshrrev_b32_e32 v1, 6, v0
	v_mul_f32_e32 v2, 0x4f7ffffe, v2
	v_cvt_u32_f32_e32 v2, v2
	v_lshlrev_b32_e32 v48, 7, v88
	v_lshlrev_b32_e32 v45, 4, v1
	v_or_b32_e32 v50, 0x800, v48
	v_readfirstlane_b32 s7, v2
	s_mul_i32 s6, s6, s7
	s_mul_hi_u32 s6, s7, s6
	s_add_i32 s7, s7, s6
	s_mul_hi_u32 s6, s5, s7
	s_mul_i32 s7, s6, s4
	s_sub_i32 s5, s5, s7
	s_add_i32 s7, s6, 1
	s_sub_i32 s8, s5, s4
	s_cmp_ge_u32 s5, s4
	s_cselect_b32 s6, s7, s6
	s_cselect_b32 s5, s8, s5
	s_add_i32 s7, s6, 1
	s_cmp_ge_u32 s5, s4
	s_cselect_b32 s4, s7, s6
	s_xor_b32 s4, s4, s3
	s_sub_i32 s55, s4, s3
	s_ashr_i32 s46, s33, 31
	s_mul_hi_i32 s3, s28, s17
	s_add_u32 s4, s36, s33
	s_addc_u32 s5, s3, s46
	s_lshl_b64 s[14:15], s[4:5], 15
	s_add_u32 s4, s22, s14
	v_lshl_or_b32 v100, v96, 2, v45
	s_addc_u32 s5, s23, s15
	v_ashrrev_i32_e32 v49, 31, v48
	v_ashrrev_i32_e32 v51, 31, v50
	v_lshl_add_u64 v[2:3], v[48:49], 1, s[4:5]
	v_lshlrev_b32_e32 v46, 1, v100
	v_lshl_add_u64 v[6:7], v[50:51], 1, s[4:5]
	v_or_b32_e32 v52, 0x1000, v48
	v_or_b32_e32 v54, 0x1800, v48
	v_lshl_add_u64 v[2:3], v[2:3], 0, v[46:47]
	v_lshl_add_u64 v[6:7], v[6:7], 0, v[46:47]
	v_ashrrev_i32_e32 v53, 31, v52
	v_ashrrev_i32_e32 v55, 31, v54
	global_load_dwordx2 v[4:5], v[2:3], off
	v_lshl_add_u64 v[14:15], v[54:55], 1, s[4:5]
	global_load_dwordx2 v[2:3], v[2:3], off offset:128
	s_nop 0
	global_load_dwordx2 v[8:9], v[6:7], off
	global_load_dwordx2 v[10:11], v[6:7], off offset:128
	v_lshl_add_u64 v[6:7], v[52:53], 1, s[4:5]
	v_lshl_add_u64 v[6:7], v[6:7], 0, v[46:47]
	;; [unrolled: 1-line block ×3, first 2 shown]
	global_load_dwordx2 v[12:13], v[6:7], off
	v_and_b32_e32 v47, 63, v0
	global_load_dwordx2 v[6:7], v[6:7], off offset:128
	s_nop 0
	global_load_dwordx2 v[16:17], v[14:15], off
	global_load_dwordx2 v[18:19], v[14:15], off offset:128
	s_load_dwordx8 s[4:11], s[0:1], 0x0
	s_load_dwordx2 s[22:23], s[0:1], 0x80
	s_load_dword s58, s[30:31], 0x0
	v_lshrrev_b32_e32 v99, 3, v47
	v_or_b32_e32 v101, 64, v100
	s_mul_i32 s47, s28, s25
	s_mul_hi_i32 s56, s33, s16
	s_mul_i32 s57, s33, s16
	s_cmp_lt_i32 s54, 64
	s_mul_hi_u32 s49, s28, s24
	s_mul_i32 s48, s29, s24
	s_mul_i32 s38, s28, s24
	;; [unrolled: 1-line block ×3, first 2 shown]
	s_mul_hi_u32 s51, s33, s26
	s_mul_i32 s52, s46, s26
	s_mul_i32 s36, s33, s26
	s_waitcnt vmcnt(7)
	v_and_b32_e32 v83, 0xffff0000, v4
	v_lshlrev_b32_e32 v82, 16, v4
	v_and_b32_e32 v87, 0xffff0000, v5
	v_lshlrev_b32_e32 v86, 16, v5
	s_waitcnt vmcnt(6)
	v_and_b32_e32 v81, 0xffff0000, v2
	v_lshlrev_b32_e32 v80, 16, v2
	v_and_b32_e32 v85, 0xffff0000, v3
	v_lshlrev_b32_e32 v84, 16, v3
	s_waitcnt vmcnt(5)
	v_and_b32_e32 v75, 0xffff0000, v8
	v_lshlrev_b32_e32 v74, 16, v8
	v_and_b32_e32 v79, 0xffff0000, v9
	v_lshlrev_b32_e32 v78, 16, v9
	s_waitcnt vmcnt(4)
	v_and_b32_e32 v73, 0xffff0000, v10
	v_lshlrev_b32_e32 v72, 16, v10
	v_and_b32_e32 v77, 0xffff0000, v11
	v_lshlrev_b32_e32 v76, 16, v11
	s_waitcnt vmcnt(3)
	v_and_b32_e32 v67, 0xffff0000, v12
	v_lshlrev_b32_e32 v66, 16, v12
	v_and_b32_e32 v71, 0xffff0000, v13
	v_lshlrev_b32_e32 v70, 16, v13
	s_waitcnt vmcnt(2)
	v_and_b32_e32 v65, 0xffff0000, v6
	v_lshlrev_b32_e32 v64, 16, v6
	v_and_b32_e32 v69, 0xffff0000, v7
	v_lshlrev_b32_e32 v68, 16, v7
	s_waitcnt vmcnt(1)
	v_and_b32_e32 v59, 0xffff0000, v16
	v_lshlrev_b32_e32 v58, 16, v16
	v_and_b32_e32 v63, 0xffff0000, v17
	v_lshlrev_b32_e32 v62, 16, v17
	s_waitcnt vmcnt(0)
	v_and_b32_e32 v57, 0xffff0000, v18
	v_lshlrev_b32_e32 v56, 16, v18
	v_and_b32_e32 v61, 0xffff0000, v19
	v_lshlrev_b32_e32 v60, 16, v19
	s_cbranch_scc1 .LBB82_18
; %bb.1:
	s_ashr_i32 s1, s34, 31
	s_add_u32 s0, s57, s34
	s_addc_u32 s1, s56, s1
	s_lshl_b64 s[0:1], s[0:1], 8
	v_and_b32_e32 v103, 56, v98
	s_waitcnt lgkmcnt(0)
	s_add_u32 s24, s6, s0
	v_lshl_or_b32 v102, v1, 3, v99
	v_lshlrev_b32_e32 v2, 1, v103
	s_addc_u32 s0, s7, s1
	v_lshl_or_b32 v104, v102, 8, v2
	s_and_b32 s25, s0, 0xffff
	s_mov_b32 s27, 0x20000
	s_movk_i32 s26, 0x4000
	s_movk_i32 s0, 0x80
	v_or_b32_e32 v105, 0x2000, v104
	buffer_load_dwordx4 v[4:7], v104, s[24:27], 0 offen
	buffer_load_dwordx4 v[8:11], v104, s[24:27], s0 offen
	;; [unrolled: 1-line block ×4, first 2 shown]
	v_lshlrev_b32_e32 v3, 3, v102
	v_and_or_b32 v21, v0, 7, v3
	v_and_b32_e32 v3, 0x78, v3
	v_lshlrev_b32_e32 v21, 4, v21
	v_xor_b32_e32 v106, v21, v3
	v_mul_lo_u32 v20, v102, s19
	v_or_b32_e32 v107, 0x1000, v106
	v_xor_b32_e32 v3, 8, v106
	s_cmpk_eq_i32 s19, 0x80
	s_mov_b32 s59, s34
	v_xor_b32_e32 v21, 8, v107
	s_cselect_b64 s[0:1], -1, 0
	s_cmpk_lg_i32 s19, 0x80
	s_waitcnt vmcnt(3)
	ds_write_b64 v106, v[4:5] offset:49152
	ds_write_b64 v3, v[6:7] offset:49152
	s_waitcnt vmcnt(2)
	ds_write_b64 v106, v[8:9] offset:57344
	ds_write_b64 v3, v[10:11] offset:57344
	;; [unrolled: 3-line block ×4, first 2 shown]
	v_lshl_add_u32 v3, v20, 1, v103
	s_cbranch_scc0 .LBB82_3
; %bb.2:
	v_lshlrev_b32_e32 v5, 1, v3
	v_add_lshl_u32 v4, v3, s19, 1
	s_lshl_b32 s26, s19, 7
	v_lshl_or_b32 v2, v102, 9, v2
	s_cbranch_execz .LBB82_4
	s_branch .LBB82_5
.LBB82_3:
                                        ; implicit-def: $vgpr4
                                        ; implicit-def: $vgpr5
                                        ; implicit-def: $sgpr26
	v_lshl_or_b32 v2, v102, 9, v2
.LBB82_4:
	v_or_b32_e32 v4, 0x100, v2
	s_movk_i32 s26, 0x4000
	v_mov_b32_e32 v5, v2
.LBB82_5:
	s_mul_i32 s24, s34, s18
	s_ashr_i32 s60, s55, 31
	s_mul_hi_i32 s3, s34, s18
	s_add_u32 s24, s24, s55
	s_addc_u32 s25, s3, s60
	s_lshl_b64 s[24:25], s[24:25], 8
	s_add_u32 s24, s4, s24
	s_addc_u32 s3, s5, s25
	s_and_b32 s25, s3, 0xffff
	s_movk_i32 s61, 0x80
	buffer_load_dwordx4 v[6:9], v5, s[24:27], 0 offen
	buffer_load_dwordx4 v[10:13], v5, s[24:27], s61 offen
	;; [unrolled: 1-line block ×4, first 2 shown]
	v_and_b32_e32 v5, 6, v0
	v_lshlrev_b32_e32 v4, 7, v100
	v_xor_b32_e32 v27, v102, v5
	v_and_b32_e32 v22, 1, v0
	v_lshl_or_b32 v30, v97, 3, v4
	v_lshlrev_b32_e32 v27, 2, v27
	v_lshlrev_b32_e32 v23, 2, v97
	v_or_b32_e32 v108, 0x4000, v30
	v_or_b32_e32 v109, 0x6000, v30
	v_xor_b32_e32 v30, 0x440, v27
	v_cmp_eq_u32_e32 vcc, 0, v22
	v_or_b32_e32 v25, 16, v97
	v_or_b32_e32 v26, 32, v97
	v_xor_b32_e32 v28, v100, v23
	v_xor_b32_e32 v29, v101, v23
	v_cndmask_b32_e32 v22, v30, v27, vcc
	s_mov_b32 s62, 0x1000504
	v_lshl_or_b32 v31, v25, 3, v4
	v_lshlrev_b32_e32 v25, 8, v25
	v_lshl_or_b32 v32, v26, 3, v4
	v_lshlrev_b32_e32 v28, 1, v28
	v_lshlrev_b32_e32 v29, 1, v29
	v_lshl_or_b32 v5, v5, 10, v22
	s_add_i32 s3, s49, s47
	s_mov_b32 s63, 0x3020706
	v_lshlrev_b32_e32 v24, 8, v97
	v_or_b32_e32 v112, 0x4000, v32
	v_or_b32_e32 v113, 0x6000, v32
	v_or_b32_e32 v116, v25, v28
	v_or_b32_e32 v117, v25, v29
	v_xor_b32_e32 v22, 8, v5
	v_xor_b32_e32 v25, 24, v5
	v_xor_b32_e32 v30, 40, v5
	v_xor_b32_e32 v32, 56, v5
	s_add_i32 s39, s3, s48
	s_add_i32 s3, s51, s50
	v_or_b32_e32 v110, 0x4000, v31
	v_or_b32_e32 v111, 0x6000, v31
	;; [unrolled: 1-line block ×4, first 2 shown]
	v_xor_b32_e32 v24, 16, v5
	v_xor_b32_e32 v27, 32, v5
	;; [unrolled: 1-line block ×3, first 2 shown]
	v_add_u32_e32 v22, 0x80, v22
	v_add_u32_e32 v25, 0x80, v25
	;; [unrolled: 1-line block ×4, first 2 shown]
	s_add_i32 s37, s3, s52
	s_lshl_b64 s[24:25], s[38:39], 2
	s_add_u32 s3, s10, s24
	s_addc_u32 s28, s11, s25
	s_lshl_b64 s[24:25], s[36:37], 2
	s_add_u32 s42, s3, s24
	s_movk_i32 s3, 0xf8
	s_addc_u32 s43, s28, s25
	s_lshl_b32 s30, s19, 7
	s_movk_i32 s28, 0x100
	v_mov_b32_e32 v91, 0
	v_lshlrev_b32_e32 v90, 4, v97
	v_lshlrev_b32_e32 v26, 8, v26
	v_ashrrev_i32_e32 v89, 31, v88
	s_mov_b32 s64, 0
	s_movk_i32 s26, 0x4000
	v_or_b32_e32 v118, v26, v28
	v_or_b32_e32 v119, v26, v29
	v_lshl_add_u64 v[92:93], v[88:89], 1, s[8:9]
	s_movk_i32 s37, 0x2000
	s_movk_i32 s39, 0x3000
	v_mov_b32_e32 v153, 0x3fb8aa3b
	s_waitcnt vmcnt(1)
	v_perm_b32 v33, v6, v14, s62
	s_waitcnt vmcnt(0)
	v_perm_b32 v34, v10, v18, s62
	v_perm_b32 v6, v6, v14, s63
	;; [unrolled: 1-line block ×15, first 2 shown]
	ds_write2st64_b32 v5, v33, v34 offset0:128 offset1:160
	ds_write2st64_b32 v22, v6, v10 offset0:128 offset1:160
	;; [unrolled: 1-line block ×8, first 2 shown]
	v_or_b32_e32 v5, 48, v97
	v_lshl_or_b32 v6, v5, 3, v4
	v_lshlrev_b32_e32 v5, 8, v5
	v_or_b32_e32 v122, v5, v28
	v_or_b32_e32 v123, v5, v29
	;; [unrolled: 1-line block ×3, first 2 shown]
	v_lshlrev_b32_e32 v5, 3, v5
	v_lshrrev_b32_e32 v7, 5, v47
	v_and_or_b32 v7, v5, s3, v7
	v_lshlrev_b32_e32 v7, 4, v7
	v_or_b32_e32 v120, 0x4000, v6
	v_or_b32_e32 v121, 0x6000, v6
	v_lshrrev_b32_e32 v6, 2, v47
	v_lshlrev_b32_e32 v9, 11, v1
	v_and_b32_e32 v5, 0x78, v5
	v_or_b32_e32 v13, 32, v7
	v_and_b32_e32 v8, 12, v6
	v_and_b32_e32 v6, 0x1000, v9
	v_lshrrev_b32_e32 v11, 1, v47
	v_xor_b32_e32 v13, v13, v5
	v_xor_b32_e32 v10, v7, v5
	v_and_b32_e32 v11, 8, v11
	v_or_b32_e32 v13, v13, v6
	v_or_b32_e32 v10, v10, v6
	v_xor_b32_e32 v126, v13, v11
	v_or_b32_e32 v13, 64, v7
	v_or_b32_e32 v7, 0x60, v7
	v_xor_b32_e32 v124, v10, v11
	v_lshlrev_b32_e32 v10, 8, v96
	v_xor_b32_e32 v13, v13, v5
	v_xor_b32_e32 v5, v7, v5
	s_ashr_i32 s3, s2, 31
	v_or_b32_e32 v12, v10, v23
	v_or_b32_e32 v13, v13, v6
	v_or_b32_e32 v5, v5, v6
	s_lshl_b64 s[24:25], s[2:3], 8
	v_lshlrev_b32_e32 v15, 2, v0
	v_lshlrev_b32_e32 v12, 1, v12
	v_xor_b32_e32 v130, v13, v11
	v_xor_b32_e32 v131, v5, v11
	v_lshlrev_b32_e32 v5, 1, v3
	v_add_lshl_u32 v3, v3, s19, 1
	v_or_b32_e32 v11, 0x100, v2
	s_add_u32 s24, s40, s24
	v_lshlrev_b32_e32 v6, 1, v97
	v_lshrrev_b32_e32 v16, 1, v0
	v_and_or_b32 v10, v15, 60, v10
	v_or_b32_e32 v125, 0x4000, v12
	v_or_b32_e32 v127, 0x4080, v12
	;; [unrolled: 1-line block ×8, first 2 shown]
	v_lshrrev_b32_e32 v12, 4, v0
	s_addc_u32 s25, s41, s25
	v_or_b32_e32 v7, 1, v6
	v_and_b32_e32 v16, 24, v16
	v_lshlrev_b32_e32 v10, 1, v10
	v_cndmask_b32_e64 v142, v5, v2, s[0:1]
	v_cndmask_b32_e64 v143, v3, v11, s[0:1]
	v_mov_b32_e32 v3, 0xa000
	v_mov_b32_e32 v5, 0x8000
	v_cmp_gt_u32_e64 s[0:1], s28, v0
	v_xor_b32_e32 v13, v12, v6
	v_xor_b32_e32 v14, v7, v12
	v_lshl_add_u64 v[6:7], s[24:25], 0, v[90:91]
	v_lshlrev_b32_e32 v90, 8, v12
	v_or_b32_e32 v138, 0x6000, v10
	v_or_b32_e32 v15, 32, v16
	;; [unrolled: 1-line block ×6, first 2 shown]
	v_cndmask_b32_e64 v3, v3, v5, s[0:1]
	v_lshlrev_b32_e32 v5, 3, v1
	v_lshl_or_b32 v136, v13, 3, v90
	v_and_b32_e32 v13, 8, v0
	v_xor_b32_e32 v11, v5, v16
	v_xor_b32_e32 v15, v5, v15
	v_xor_b32_e32 v5, v5, v10
	v_mov_b32_e32 v17, 0x400
	v_cmp_eq_u32_e32 vcc, 0, v13
	v_or_b32_e32 v16, 0x440, v11
	v_or_b32_e32 v18, 0x440, v15
	v_xor_b32_e32 v10, 0x440, v5
	v_and_b32_e32 v12, 7, v0
	v_cndmask_b32_e64 v13, v17, 64, vcc
	v_cndmask_b32_e32 v16, v16, v11, vcc
	v_cndmask_b32_e32 v15, v18, v15, vcc
	;; [unrolled: 1-line block ×3, first 2 shown]
	v_lshl_or_b32 v137, v14, 3, v90
	v_lshlrev_b32_e32 v14, 3, v12
	v_or_b32_e32 v16, v16, v9
	v_or_b32_e32 v15, v15, v9
	v_or3_b32 v11, v9, v13, v11
	v_or_b32_e32 v5, v5, v9
	v_lshlrev_b32_e32 v12, 7, v12
	v_xor_b32_e32 v16, v16, v14
	v_xor_b32_e32 v15, v15, v14
	;; [unrolled: 1-line block ×4, first 2 shown]
	v_or_b32_e32 v2, v45, v8
	v_add_u32_e32 v17, v3, v16
	v_add_u32_e32 v18, v3, v15
	v_or_b32_e32 v144, v11, v12
	v_add_u32_e32 v9, v3, v5
	v_or3_b32 v8, v45, v8, 64
	v_add_u32_e32 v10, 0xa000, v16
	v_add_u32_e32 v11, 0xa000, v15
	;; [unrolled: 1-line block ×3, first 2 shown]
	v_lshl_add_u64 v[94:95], v[6:7], 0, v[90:91]
	s_mov_b32 s3, 0x7060302
	v_lshlrev_b32_e32 v90, 1, v4
	v_lshlrev_b32_e32 v89, 2, v2
	v_add_u32_e32 v145, v17, v12
	v_add_u32_e32 v146, v18, v12
	v_add_u32_e32 v147, v3, v144
	v_add_u32_e32 v148, v9, v12
	v_lshlrev_b32_e32 v149, 2, v8
	v_add_u32_e32 v150, v10, v12
	v_add_u32_e32 v151, v11, v12
	;; [unrolled: 1-line block ×3, first 2 shown]
	s_waitcnt lgkmcnt(0)
	s_barrier
.LBB82_6:                               ; =>This Inner Loop Header: Depth=1
	s_add_i32 s65, s64, 1
	s_cmp_lt_i32 s65, s53
	s_mov_b64 s[28:29], 0
	s_cselect_b64 s[44:45], -1, 0
	s_cmp_ge_i32 s65, s53
	s_mov_b64 s[24:25], 0
	s_cbranch_scc1 .LBB82_8
; %bb.7:                                ;   in Loop: Header=BB82_6 Depth=1
	s_add_i32 s0, s59, 64
	s_ashr_i32 s1, s0, 31
	s_add_u32 s0, s57, s0
	s_addc_u32 s1, s56, s1
	s_lshl_b64 s[0:1], s[0:1], 8
	s_add_u32 s24, s6, s0
	s_addc_u32 s25, s7, s1
.LBB82_8:                               ;   in Loop: Header=BB82_6 Depth=1
	v_cndmask_b32_e64 v2, 0, 1, s[44:45]
	v_cmp_ne_u32_e64 s[0:1], 1, v2
	s_andn2_b64 vcc, exec, s[44:45]
	s_cbranch_vccnz .LBB82_10
; %bb.9:                                ;   in Loop: Header=BB82_6 Depth=1
	s_add_i32 s28, s59, 64
	s_mul_hi_i32 s29, s28, s18
	s_mul_i32 s28, s28, s18
	s_add_u32 s28, s28, s55
	s_addc_u32 s29, s29, s60
	s_lshl_b64 s[28:29], s[28:29], 8
	s_add_u32 s28, s4, s28
	s_addc_u32 s29, s5, s29
.LBB82_10:                              ;   in Loop: Header=BB82_6 Depth=1
	v_perm_b32 v3, v87, v86, s3
	v_perm_b32 v2, v83, v82, s3
	v_perm_b32 v5, v85, v84, s3
	v_perm_b32 v4, v81, v80, s3
	ds_write_b64 v108, v[2:3]
	ds_write_b64 v109, v[4:5]
	ds_write_b64 v114, v[2:3]
	ds_write_b64 v115, v[4:5]
	v_perm_b32 v3, v79, v78, s3
	v_perm_b32 v2, v75, v74, s3
	v_perm_b32 v5, v77, v76, s3
	v_perm_b32 v4, v73, v72, s3
	ds_write_b64 v110, v[2:3]
	ds_write_b64 v111, v[4:5]
	ds_write_b64 v116, v[2:3]
	ds_write_b64 v117, v[4:5]
	;; [unrolled: 8-line block ×4, first 2 shown]
	s_waitcnt lgkmcnt(0)
	s_barrier
	ds_read_b64 v[6:7], v124 offset:49152
	ds_read2_b64 v[2:5], v125 offset1:16
	ds_read_b64 v[18:19], v127 offset:6144
	ds_read_b64 v[20:21], v125 offset:6144
	s_waitcnt lgkmcnt(2)
	v_mfma_f32_16x16x16_bf16 a[0:3], v[6:7], v[2:3], 0
	ds_read_b64 v[22:23], v126 offset:49152
	ds_read2st64_b64 v[10:13], v128 offset0:4 offset1:8
	ds_read2st64_b64 v[14:17], v129 offset0:4 offset1:8
	v_mfma_f32_16x16x16_bf16 a[4:7], v[6:7], v[4:5], 0
	ds_read2_b64 v[2:5], v125 offset0:32 offset1:48
	s_add_i32 s66, s59, 63
	s_ashr_i32 s31, s66, 31
	s_waitcnt lgkmcnt(0)
	v_mfma_f32_16x16x16_bf16 a[8:11], v[6:7], v[2:3], 0
	s_mul_i32 s44, s66, s23
	s_mul_hi_u32 s45, s66, s22
	s_add_i32 s44, s45, s44
	v_mfma_f32_16x16x16_bf16 a[12:15], v[6:7], v[4:5], 0
	ds_read2st64_b64 v[2:5], v125 offset0:4 offset1:8
	ds_read2st64_b64 v[6:9], v127 offset0:4 offset1:8
	s_mul_i32 s31, s31, s22
	s_waitcnt lgkmcnt(1)
	v_mfma_f32_16x16x16_bf16 a[0:3], v[22:23], v[2:3], a[0:3]
	s_add_i32 s45, s44, s31
	s_mul_i32 s44, s66, s22
	s_lshl_b64 s[44:45], s[44:45], 2
	s_waitcnt lgkmcnt(0)
	v_mfma_f32_16x16x16_bf16 a[4:7], v[22:23], v[6:7], a[4:7]
	s_add_u32 s44, s42, s44
	s_addc_u32 s45, s43, s45
	s_and_b64 vcc, exec, s[0:1]
	v_mfma_f32_16x16x16_bf16 a[8:11], v[22:23], v[10:11], a[8:11]
	ds_read_b64 v[2:3], v130 offset:49152
	ds_read_b64 v[6:7], v131 offset:49152
	;; [unrolled: 1-line block ×3, first 2 shown]
	v_mov_b32_e32 v156, 0
	v_mov_b32_e32 v155, 0
	v_mfma_f32_16x16x16_bf16 a[12:15], v[22:23], v[14:15], a[12:15]
	v_mov_b32_e32 v154, 0
	v_mov_b32_e32 v14, 0
	;; [unrolled: 1-line block ×3, first 2 shown]
	s_waitcnt lgkmcnt(2)
	v_mfma_f32_16x16x16_bf16 a[0:3], v[2:3], v[4:5], a[0:3]
	v_mov_b32_e32 v4, 0
	v_mov_b32_e32 v5, 0
	v_mfma_f32_16x16x16_bf16 a[16:19], v[2:3], v[8:9], a[4:7]
	v_mov_b32_e32 v8, 0
	v_mov_b32_e32 v9, 0
	;; [unrolled: 3-line block ×3, first 2 shown]
	v_mfma_f32_16x16x16_bf16 a[24:27], v[2:3], v[16:17], a[12:15]
	ds_read_b64 v[2:3], v128 offset:6144
	v_mov_b32_e32 v16, 0
	v_mov_b32_e32 v17, 0
	s_waitcnt lgkmcnt(2)
	v_mfma_f32_16x16x16_bf16 a[4:7], v[6:7], v[20:21], a[0:3]
	v_mfma_f32_16x16x16_bf16 a[8:11], v[6:7], v[18:19], a[16:19]
	s_waitcnt lgkmcnt(0)
	v_mfma_f32_16x16x16_bf16 a[12:15], v[6:7], v[2:3], a[20:23]
	v_mov_b32_e32 v2, 0
	v_mov_b32_e32 v3, 0
	v_mfma_f32_16x16x16_bf16 a[0:3], v[6:7], v[10:11], a[24:27]
	v_mov_b32_e32 v6, 0
	v_mov_b32_e32 v7, 0
	;; [unrolled: 1-line block ×4, first 2 shown]
	s_cbranch_vccnz .LBB82_12
; %bb.11:                               ;   in Loop: Header=BB82_6 Depth=1
	s_and_b32 s25, s25, 0xffff
	buffer_load_dwordx4 v[14:17], v104, s[24:27], 0 offen
	buffer_load_dwordx4 v[10:13], v104, s[24:27], s61 offen
	;; [unrolled: 1-line block ×4, first 2 shown]
	v_mov_b32_e32 v155, v106
	v_mov_b32_e32 v154, v107
.LBB82_12:                              ;   in Loop: Header=BB82_6 Depth=1
	ds_read_b64 v[34:35], v124 offset:57344
	ds_read2_b64 v[18:21], v132 offset1:16
	ds_read_b64 v[36:37], v126 offset:57344
	ds_read_b64 v[38:39], v130 offset:57344
	;; [unrolled: 1-line block ×3, first 2 shown]
	v_add_u32_e32 v42, s59, v100
	s_waitcnt lgkmcnt(3)
	v_mfma_f32_16x16x16_bf16 a[4:7], v[34:35], v[18:19], a[4:7]
	v_mfma_f32_16x16x16_bf16 a[8:11], v[34:35], v[20:21], a[8:11]
	ds_read2_b64 v[18:21], v132 offset0:32 offset1:48
	ds_read2st64_b64 v[22:25], v132 offset0:4 offset1:8
	ds_read2st64_b64 v[26:29], v133 offset0:4 offset1:8
	;; [unrolled: 1-line block ×3, first 2 shown]
	s_waitcnt lgkmcnt(3)
	v_mfma_f32_16x16x16_bf16 a[12:15], v[34:35], v[18:19], a[12:15]
	v_ashrrev_i32_e32 v18, 31, v42
	v_mfma_f32_16x16x16_bf16 a[0:3], v[34:35], v[20:21], a[0:3]
	v_mul_lo_u32 v20, v18, s22
	v_mul_lo_u32 v21, v42, s23
	v_mad_u64_u32 v[18:19], s[24:25], v42, s22, 0
	v_add3_u32 v19, v19, v21, v20
	v_add_u32_e32 v20, 1, v42
	v_ashrrev_i32_e32 v21, 31, v20
	s_waitcnt lgkmcnt(2)
	v_mfma_f32_16x16x16_bf16 a[4:7], v[36:37], v[22:23], a[4:7]
	v_mul_lo_u32 v22, v21, s22
	v_mul_lo_u32 v23, v20, s23
	v_mad_u64_u32 v[20:21], s[24:25], v20, s22, 0
	v_add3_u32 v21, v21, v23, v22
	v_add_u32_e32 v22, 2, v42
	v_ashrrev_i32_e32 v23, 31, v22
	s_waitcnt lgkmcnt(1)
	v_mfma_f32_16x16x16_bf16 a[8:11], v[36:37], v[26:27], a[8:11]
	v_mul_lo_u32 v26, v23, s22
	v_mul_lo_u32 v27, v22, s23
	v_mad_u64_u32 v[22:23], s[24:25], v22, s22, 0
	v_add3_u32 v23, v23, v27, v26
	v_add_u32_e32 v26, 3, v42
	v_ashrrev_i32_e32 v27, 31, v26
	v_mul_lo_u32 v34, v27, s22
	v_mul_lo_u32 v35, v26, s23
	v_mad_u64_u32 v[26:27], s[24:25], v26, s22, 0
	s_ashr_i32 s25, s59, 31
	s_add_u32 s24, s57, s59
	v_lshl_add_u64 v[18:19], v[18:19], 2, s[42:43]
	v_add3_u32 v27, v27, v35, v34
	s_addc_u32 s25, s56, s25
	v_lshl_add_u64 v[20:21], v[20:21], 2, s[42:43]
	global_load_dword v42, v[18:19], off
	v_lshl_add_u64 v[18:19], v[26:27], 2, s[42:43]
	s_lshl_b64 s[24:25], s[24:25], 8
	v_lshl_add_u64 v[22:23], v[22:23], 2, s[42:43]
	global_load_dword v34, v[20:21], off
	global_load_dword v35, v[22:23], off
	global_load_dword v43, v[18:19], off
	v_lshl_add_u64 v[18:19], v[92:93], 0, s[24:25]
	v_lshl_add_u64 v[22:23], v[18:19], 0, v[90:91]
	global_load_ushort v44, v[22:23], off offset:256
	global_load_ushort v157, v[22:23], off
	ds_read2st64_b64 v[18:21], v135 offset0:4 offset1:8
	global_load_ushort v158, v[22:23], off offset:768
	global_load_ushort v159, v[22:23], off offset:512
	s_waitcnt lgkmcnt(1)
	v_mfma_f32_16x16x16_bf16 a[12:15], v[36:37], v[30:31], a[12:15]
	s_and_b64 vcc, exec, s[0:1]
	s_waitcnt vmcnt(3)
	v_lshlrev_b32_e32 v31, 16, v44
	s_waitcnt lgkmcnt(0)
	v_mfma_f32_16x16x16_bf16 a[0:3], v[36:37], v[18:19], a[0:3]
	global_load_ushort v36, v[22:23], off offset:288
	global_load_ushort v37, v[22:23], off offset:32
	;; [unrolled: 1-line block ×8, first 2 shown]
	v_mfma_f32_16x16x16_bf16 a[4:7], v[38:39], v[24:25], a[4:7]
	ds_read_b64 v[18:19], v132 offset:6144
	s_waitcnt vmcnt(10)
	v_lshlrev_b32_e32 v30, 16, v157
	v_mov_b32_e32 v157, 0
	v_mfma_f32_16x16x16_bf16 a[8:11], v[38:39], v[28:29], a[8:11]
	v_mfma_f32_16x16x16_bf16 a[12:15], v[38:39], v[32:33], a[12:15]
	;; [unrolled: 1-line block ×3, first 2 shown]
	global_load_ushort v38, v[22:23], off offset:352
	global_load_ushort v39, v[22:23], off offset:96
	ds_read_b64 v[20:21], v133 offset:6144
	ds_read_b64 v[24:25], v134 offset:6144
	;; [unrolled: 1-line block ×3, first 2 shown]
	global_load_ushort v166, v[22:23], off offset:864
	global_load_ushort v167, v[22:23], off offset:608
	s_load_dword s24, s[44:45], 0x0
	s_waitcnt lgkmcnt(0)
	v_mfma_f32_16x16x16_bf16 a[4:7], v[40:41], v[18:19], a[4:7]
	v_sub_f32_e32 v28, s24, v35
	v_mfma_f32_16x16x16_bf16 a[0:3], v[40:41], v[26:27], a[0:3]
	v_sub_f32_e32 v26, s24, v42
	v_sub_f32_e32 v27, s24, v34
	;; [unrolled: 1-line block ×3, first 2 shown]
	v_mul_f32_e32 v26, 0x3fb8aa3b, v26
	v_mul_f32_e32 v27, 0x3fb8aa3b, v27
	;; [unrolled: 1-line block ×4, first 2 shown]
	v_mfma_f32_16x16x16_bf16 a[8:11], v[40:41], v[20:21], a[8:11]
	v_exp_f32_e32 v26, v26
	v_exp_f32_e32 v27, v27
	;; [unrolled: 1-line block ×4, first 2 shown]
	v_accvgpr_read_b32 v33, a5
	v_accvgpr_read_b32 v32, a4
	;; [unrolled: 1-line block ×4, first 2 shown]
	v_pk_add_f32 v[30:31], v[30:31], v[32:33] neg_lo:[0,1] neg_hi:[0,1]
	s_waitcnt vmcnt(13)
	v_lshlrev_b32_e32 v33, 16, v158
	s_waitcnt vmcnt(12)
	v_lshlrev_b32_e32 v32, 16, v159
	v_pk_add_f32 v[18:19], v[32:33], v[18:19] neg_lo:[0,1] neg_hi:[0,1]
	v_pk_mul_f32 v[30:31], v[26:27], v[30:31]
	v_pk_mul_f32 v[18:19], v[28:29], v[18:19]
	v_accvgpr_read_b32 v33, a9
	v_perm_b32 v19, v19, v18, s3
	v_perm_b32 v18, v31, v30, s3
	v_accvgpr_read_b32 v32, a8
	v_accvgpr_read_b32 v21, a11
	v_mfma_f32_16x16x16_bf16 a[12:15], v[40:41], v[24:25], a[12:15]
	v_accvgpr_read_b32 v20, a10
	v_accvgpr_read_b32 v25, a3
	;; [unrolled: 1-line block ×3, first 2 shown]
	s_waitcnt vmcnt(11)
	v_lshlrev_b32_e32 v31, 16, v36
	s_waitcnt vmcnt(10)
	v_lshlrev_b32_e32 v30, 16, v37
	v_pk_add_f32 v[30:31], v[30:31], v[32:33] neg_lo:[0,1] neg_hi:[0,1]
	s_waitcnt vmcnt(9)
	v_lshlrev_b32_e32 v33, 16, v160
	s_waitcnt vmcnt(8)
	v_lshlrev_b32_e32 v32, 16, v161
	v_pk_add_f32 v[20:21], v[32:33], v[20:21] neg_lo:[0,1] neg_hi:[0,1]
	v_pk_mul_f32 v[30:31], v[26:27], v[30:31]
	v_pk_mul_f32 v[20:21], v[28:29], v[20:21]
	v_accvgpr_read_b32 v23, a15
	v_perm_b32 v21, v21, v20, s3
	v_perm_b32 v20, v31, v30, s3
	ds_write2_b64 v109, v[18:19], v[20:21] offset1:16
	v_accvgpr_read_b32 v21, a13
	s_waitcnt vmcnt(7)
	v_lshlrev_b32_e32 v19, 16, v162
	s_waitcnt vmcnt(6)
	v_lshlrev_b32_e32 v18, 16, v163
	v_accvgpr_read_b32 v20, a12
	v_accvgpr_read_b32 v22, a14
	v_pk_add_f32 v[18:19], v[18:19], v[20:21] neg_lo:[0,1] neg_hi:[0,1]
	s_waitcnt vmcnt(5)
	v_lshlrev_b32_e32 v21, 16, v164
	s_waitcnt vmcnt(4)
	v_lshlrev_b32_e32 v20, 16, v165
	v_pk_add_f32 v[20:21], v[20:21], v[22:23] neg_lo:[0,1] neg_hi:[0,1]
	v_pk_mul_f32 v[18:19], v[26:27], v[18:19]
	v_pk_mul_f32 v[20:21], v[28:29], v[20:21]
	v_accvgpr_read_b32 v23, a1
	v_perm_b32 v21, v21, v20, s3
	v_perm_b32 v20, v19, v18, s3
	s_waitcnt vmcnt(3)
	v_lshlrev_b32_e32 v19, 16, v38
	s_waitcnt vmcnt(2)
	v_lshlrev_b32_e32 v18, 16, v39
	v_accvgpr_read_b32 v22, a0
	v_pk_add_f32 v[18:19], v[18:19], v[22:23] neg_lo:[0,1] neg_hi:[0,1]
	s_waitcnt vmcnt(1)
	v_lshlrev_b32_e32 v23, 16, v166
	s_waitcnt vmcnt(0)
	v_lshlrev_b32_e32 v22, 16, v167
	v_pk_add_f32 v[22:23], v[22:23], v[24:25] neg_lo:[0,1] neg_hi:[0,1]
	v_pk_mul_f32 v[18:19], v[26:27], v[18:19]
	v_pk_mul_f32 v[22:23], v[28:29], v[22:23]
	v_mov_b32_e32 v24, 0
	v_perm_b32 v23, v23, v22, s3
	v_perm_b32 v22, v19, v18, s3
	ds_write2_b64 v109, v[20:21], v[22:23] offset0:32 offset1:48
	v_mov_b32_e32 v18, 0
	v_mov_b32_e32 v19, 0
	;; [unrolled: 1-line block ×15, first 2 shown]
	s_cbranch_vccnz .LBB82_14
; %bb.13:                               ;   in Loop: Header=BB82_6 Depth=1
	s_and_b32 s29, s29, 0xffff
	s_mov_b32 s31, s27
	buffer_load_dwordx4 v[30:33], v142, s[28:31], 0 offen
	buffer_load_dwordx4 v[22:25], v142, s[28:31], s61 offen
	;; [unrolled: 1-line block ×4, first 2 shown]
	v_mov_b32_e32 v156, v103
	v_mov_b32_e32 v157, v102
.LBB82_14:                              ;   in Loop: Header=BB82_6 Depth=1
	s_waitcnt lgkmcnt(0)
	s_barrier
	ds_read_b64 v[42:43], v145
	ds_read2_b64 v[34:37], v138 offset1:16
	ds_read_b64 v[174:175], v146
	ds_read_b64 v[176:177], v147
	;; [unrolled: 1-line block ×3, first 2 shown]
	ds_read2_b64 v[38:41], v138 offset0:32 offset1:48
	ds_read2st64_b64 v[158:161], v138 offset0:4 offset1:8
	ds_read2st64_b64 v[162:165], v139 offset0:4 offset1:8
	;; [unrolled: 1-line block ×4, first 2 shown]
	s_waitcnt lgkmcnt(8)
	v_mfma_f32_16x16x16_bf16 a[0:3], v[42:43], v[34:35], 0
	s_add_i32 s25, s58, s64
	s_mul_hi_i32 s29, s25, s17
	s_mul_i32 s25, s25, s17
	v_mfma_f32_16x16x16_bf16 a[4:7], v[42:43], v[36:37], 0
	s_add_u32 s28, s25, s33
	s_addc_u32 s29, s29, s46
	s_lshl_b64 s[28:29], s[28:29], 15
	s_waitcnt lgkmcnt(4)
	v_mfma_f32_16x16x16_bf16 a[8:11], v[42:43], v[38:39], 0
	s_mul_i32 s31, s66, s17
	s_mul_hi_i32 s25, s66, s17
	s_add_u32 s44, s31, s33
	v_mfma_f32_16x16x16_bf16 a[12:15], v[42:43], v[40:41], 0
	ds_read_b64 v[42:43], v138 offset:6144
	ds_read_b64 v[186:187], v139 offset:6144
	;; [unrolled: 1-line block ×4, first 2 shown]
	s_addc_u32 s45, s25, s46
	s_waitcnt lgkmcnt(7)
	v_mfma_f32_16x16x16_bf16 a[0:3], v[174:175], v[158:159], a[0:3]
	s_lshl_b64 s[44:45], s[44:45], 9
	s_add_u32 s44, s20, s44
	s_addc_u32 s45, s21, s45
	s_waitcnt lgkmcnt(6)
	v_mfma_f32_16x16x16_bf16 a[4:7], v[174:175], v[162:163], a[4:7]
	v_lshl_add_u64 v[196:197], v[94:95], 0, s[28:29]
	s_waitcnt lgkmcnt(5)
	v_mfma_f32_16x16x16_bf16 a[8:11], v[174:175], v[166:167], a[8:11]
	s_waitcnt lgkmcnt(4)
	v_mfma_f32_16x16x16_bf16 a[12:15], v[174:175], v[170:171], a[12:15]
	ds_read_b64 v[174:175], v150
	ds_read_b64 v[184:185], v151
	;; [unrolled: 1-line block ×3, first 2 shown]
	s_waitcnt lgkmcnt(2)
	v_mfma_f32_16x16x16_bf16 a[16:19], v[174:175], v[34:35], 0
	v_mfma_f32_16x16x16_bf16 a[20:23], v[174:175], v[36:37], 0
	global_load_dwordx4 v[34:37], v149, s[44:45]
	v_mfma_f32_16x16x16_bf16 a[24:27], v[174:175], v[38:39], 0
	v_mfma_f32_16x16x16_bf16 a[28:31], v[174:175], v[40:41], 0
	global_load_dwordx4 v[38:41], v89, s[44:45]
	v_mfma_f32_16x16x16_bf16 a[0:3], v[176:177], v[160:161], a[0:3]
	v_mfma_f32_16x16x16_bf16 a[4:7], v[176:177], v[164:165], a[4:7]
	;; [unrolled: 1-line block ×8, first 2 shown]
	ds_read2st64_b64 v[174:177], v136 offset1:8
	ds_read2st64_b64 v[178:181], v137 offset1:8
	ds_read_b64 v[194:195], v144 offset:40960
	s_waitcnt lgkmcnt(2)
	v_mov_b32_e32 v182, v174
	v_mfma_f32_16x16x16_bf16 a[16:19], v[184:185], v[158:159], a[16:19]
	v_mov_b32_e32 v183, v175
	v_mfma_f32_16x16x16_bf16 a[20:23], v[184:185], v[162:163], a[20:23]
	v_mfma_f32_16x16x16_bf16 a[24:27], v[184:185], v[166:167], a[24:27]
	;; [unrolled: 1-line block ×3, first 2 shown]
	v_add_co_u32_e32 v170, vcc, s37, v196
	s_waitcnt lgkmcnt(1)
	v_mov_b32_e32 v184, v178
	s_waitcnt lgkmcnt(0)
	v_mfma_f32_16x16x16_bf16 a[16:19], v[194:195], v[160:161], a[16:19]
	ds_read2st64_b64 v[158:161], v136 offset0:16 offset1:24
	v_addc_co_u32_e32 v171, vcc, 0, v197, vcc
	v_mfma_f32_16x16x16_bf16 a[20:23], v[194:195], v[164:165], a[20:23]
	ds_read2st64_b64 v[162:165], v137 offset0:16 offset1:24
	v_mov_b32_e32 v185, v179
	v_mov_b32_e32 v178, v176
	v_mfma_f32_16x16x16_bf16 a[32:35], v[194:195], v[168:169], a[24:27]
	v_mov_b32_e32 v179, v177
	s_waitcnt lgkmcnt(0)
	v_mov_b32_e32 v168, v162
	v_mov_b32_e32 v169, v163
	v_mfma_f32_16x16x16_bf16 a[36:39], v[194:195], v[172:173], a[28:31]
	v_mov_b32_e32 v162, v160
	v_mov_b32_e32 v163, v161
	;; [unrolled: 1-line block ×3, first 2 shown]
	v_mfma_f32_16x16x16_bf16 a[24:27], v[192:193], v[42:43], a[16:19]
	v_add_co_u32_e32 v42, vcc, s39, v196
	v_mov_b32_e32 v167, v159
	v_mfma_f32_16x16x16_bf16 a[28:31], v[192:193], v[186:187], a[20:23]
	v_addc_co_u32_e32 v43, vcc, 0, v197, vcc
	global_store_dwordx4 v[42:43], v[162:165], off
	v_mfma_f32_16x16x16_bf16 a[16:19], v[192:193], v[188:189], a[32:35]
	s_waitcnt vmcnt(2)
	v_mov_b32_e32 v44, v37
	v_mov_b32_e32 v43, v36
	;; [unrolled: 1-line block ×3, first 2 shown]
	v_mfma_f32_16x16x16_bf16 a[20:23], v[192:193], v[190:191], a[36:39]
	s_and_b64 vcc, exec, s[0:1]
	global_store_dwordx4 v[196:197], v[182:185], off
	global_store_dwordx4 v[170:171], v[178:181], off offset:-4096
	global_store_dwordx4 v[170:171], v[166:169], off
	s_cbranch_vccnz .LBB82_16
; %bb.15:                               ;   in Loop: Header=BB82_6 Depth=1
	v_lshrrev_b32_e32 v35, 3, v156
	v_and_b32_e32 v35, 6, v35
	v_xor_b32_e32 v36, v35, v157
	v_lshlrev_b32_e32 v36, 2, v36
	v_and_b32_e32 v37, 8, v156
	v_xor_b32_e32 v156, 0x440, v36
	v_cmp_eq_u32_e32 vcc, 0, v37
	v_perm_b32 v37, v22, v18, s62
	s_nop 0
	v_cndmask_b32_e32 v36, v156, v36, vcc
	v_lshl_or_b32 v35, v35, 10, v36
	v_perm_b32 v36, v30, v26, s62
	s_barrier
	ds_write2st64_b32 v35, v36, v37 offset0:128 offset1:160
	v_xor_b32_e32 v36, 8, v35
	v_perm_b32 v26, v30, v26, s63
	v_perm_b32 v18, v22, v18, s63
	v_add_u32_e32 v22, 0x80, v36
	ds_write2st64_b32 v22, v26, v18 offset0:128 offset1:160
	v_xor_b32_e32 v18, 16, v35
	v_perm_b32 v22, v31, v27, s62
	v_perm_b32 v26, v23, v19, s62
	ds_write2st64_b32 v18, v22, v26 offset0:129 offset1:161
	v_xor_b32_e32 v18, 24, v35
	v_perm_b32 v22, v31, v27, s63
	v_perm_b32 v19, v23, v19, s63
	v_add_u32_e32 v18, 0x80, v18
	ds_write2st64_b32 v18, v22, v19 offset0:129 offset1:161
	v_xor_b32_e32 v18, 32, v35
	v_perm_b32 v19, v32, v28, s62
	v_perm_b32 v22, v24, v20, s62
	;; [unrolled: 9-line block ×3, first 2 shown]
	ds_write2st64_b32 v18, v19, v20 offset0:131 offset1:163
	v_xor_b32_e32 v18, 56, v35
	v_perm_b32 v19, v33, v29, s63
	v_perm_b32 v20, v25, v21, s63
	v_add_u32_e32 v18, 0x80, v18
	ds_write2st64_b32 v18, v19, v20 offset0:131 offset1:163
	ds_write_b64 v155, v[14:15] offset:49152
	v_xor_b32_e32 v14, 8, v155
	ds_write_b64 v14, v[16:17] offset:49152
	ds_write_b64 v155, v[10:11] offset:57344
	;; [unrolled: 1-line block ×4, first 2 shown]
	v_xor_b32_e32 v6, 8, v154
	ds_write_b64 v6, v[8:9] offset:49152
	ds_write_b64 v154, v[2:3] offset:57344
	;; [unrolled: 1-line block ×3, first 2 shown]
.LBB82_16:                              ;   in Loop: Header=BB82_6 Depth=1
	v_mul_f32_e32 v26, s24, v153
	v_exp_f32_e32 v36, v26
	s_waitcnt vmcnt(4)
	v_mul_f32_e32 v26, 0x3fb8aa3b, v38
	v_exp_f32_e32 v38, v26
	v_mul_f32_e32 v26, 0x3fb8aa3b, v39
	v_exp_f32_e32 v39, v26
	;; [unrolled: 2-line block ×4, first 2 shown]
	v_accvgpr_read_b32 v5, a3
	v_accvgpr_read_b32 v4, a2
	;; [unrolled: 1-line block ×4, first 2 shown]
	v_pk_mul_f32 v[38:39], v[36:37], v[38:39] op_sel_hi:[0,1]
	v_pk_mul_f32 v[40:41], v[36:37], v[40:41] op_sel_hi:[0,1]
	v_pk_fma_f32 v[82:83], v[82:83], v[38:39], v[2:3]
	v_pk_fma_f32 v[86:87], v[86:87], v[40:41], v[4:5]
	v_mul_f32_e32 v2, 0x3fb8aa3b, v34
	v_mul_f32_e32 v3, 0x3fb8aa3b, v42
	v_mul_f32_e32 v4, 0x3fb8aa3b, v43
	v_mul_f32_e32 v5, 0x3fb8aa3b, v44
	v_exp_f32_e32 v2, v2
	v_exp_f32_e32 v3, v3
	;; [unrolled: 1-line block ×4, first 2 shown]
	v_accvgpr_read_b32 v9, a7
	v_accvgpr_read_b32 v13, a11
	;; [unrolled: 1-line block ×28, first 2 shown]
	v_pk_mul_f32 v[2:3], v[36:37], v[2:3] op_sel_hi:[0,1]
	v_pk_mul_f32 v[4:5], v[36:37], v[4:5] op_sel_hi:[0,1]
	s_add_i32 s59, s59, 64
	v_pk_fma_f32 v[74:75], v[38:39], v[74:75], v[6:7]
	v_pk_fma_f32 v[78:79], v[40:41], v[78:79], v[8:9]
	;; [unrolled: 1-line block ×13, first 2 shown]
	s_cmp_eq_u32 s53, s65
	v_pk_fma_f32 v[60:61], v[4:5], v[60:61], v[32:33]
	s_cbranch_scc1 .LBB82_18
; %bb.17:                               ;   in Loop: Header=BB82_6 Depth=1
	s_mov_b32 s64, s65
	s_branch .LBB82_6
.LBB82_18:
	s_lshl_b32 s0, s53, 6
	s_sub_i32 s44, s54, s0
	s_cmp_gt_i32 s44, 0
	s_cbranch_scc0 .LBB82_99
; %bb.19:
	s_add_i32 s34, s0, s34
	s_ashr_i32 s3, s34, 31
	s_cmpk_lg_i32 s19, 0x80
	s_cselect_b64 s[30:31], -1, 0
	s_and_b64 vcc, exec, s[30:31]
	s_cbranch_vccz .LBB82_21
; %bb.20:
	s_mul_hi_i32 s0, s34, s18
	s_mul_i32 s1, s34, s18
	s_ashr_i32 s18, s55, 31
	s_add_u32 s42, s1, s55
	s_addc_u32 s43, s0, s18
	s_cbranch_execz .LBB82_22
	s_branch .LBB82_23
.LBB82_21:
                                        ; implicit-def: $sgpr42_sgpr43
.LBB82_22:
	s_mul_i32 s1, s55, s16
	s_mul_hi_i32 s0, s55, s16
	s_add_u32 s42, s1, s34
	s_addc_u32 s43, s0, s3
.LBB82_23:
	s_waitcnt lgkmcnt(0)
	s_add_i32 s16, s53, s58
	s_add_u32 s0, s57, s34
	v_lshlrev_b32_e32 v6, 6, v100
	v_lshlrev_b32_e32 v24, 2, v97
	s_addc_u32 s1, s56, s3
	s_mov_b32 s3, 0x7060302
	v_or_b32_e32 v9, v6, v24
	v_xor_b32_e32 v7, v100, v24
	v_perm_b32 v3, v87, v86, s3
	v_perm_b32 v2, v83, v82, s3
	;; [unrolled: 1-line block ×4, first 2 shown]
	v_lshlrev_b32_e32 v9, 1, v9
	v_xor_b32_e32 v8, v101, v24
	ds_write2st64_b64 v9, v[2:3], v[4:5] offset0:32 offset1:48
	v_lshlrev_b32_e32 v7, 1, v7
	v_lshlrev_b32_e32 v9, 8, v97
	v_or_b32_e32 v10, v7, v9
	v_lshlrev_b32_e32 v8, 1, v8
	ds_write_b64 v10, v[2:3]
	v_or_b32_e32 v2, v8, v9
	v_or_b32_e32 v9, 16, v97
	v_lshlrev_b32_e32 v23, 2, v9
	v_or_b32_e32 v10, v6, v23
	ds_write_b64 v2, v[4:5]
	v_perm_b32 v3, v79, v78, s3
	v_perm_b32 v2, v75, v74, s3
	;; [unrolled: 1-line block ×4, first 2 shown]
	v_lshlrev_b32_e32 v10, 1, v10
	v_lshlrev_b32_e32 v9, 8, v9
	ds_write2st64_b64 v10, v[2:3], v[4:5] offset0:32 offset1:48
	v_or_b32_e32 v10, v7, v9
	ds_write_b64 v10, v[2:3]
	v_or_b32_e32 v2, v8, v9
	v_or_b32_e32 v9, 32, v97
	v_lshlrev_b32_e32 v22, 2, v9
	v_or_b32_e32 v10, v6, v22
	ds_write_b64 v2, v[4:5]
	v_perm_b32 v3, v71, v70, s3
	v_perm_b32 v2, v67, v66, s3
	;; [unrolled: 1-line block ×4, first 2 shown]
	v_lshlrev_b32_e32 v10, 1, v10
	v_lshlrev_b32_e32 v9, 8, v9
	s_lshl_b64 s[28:29], s[0:1], 8
	ds_write2st64_b64 v10, v[2:3], v[4:5] offset0:32 offset1:48
	v_or_b32_e32 v10, v7, v9
	s_add_u32 s0, s6, s28
	ds_write_b64 v10, v[2:3]
	v_or_b32_e32 v2, v8, v9
	s_addc_u32 s1, s7, s29
	ds_write_b64 v2, v[4:5]
	v_perm_b32 v3, v63, v62, s3
	v_perm_b32 v2, v59, v58, s3
	;; [unrolled: 1-line block ×4, first 2 shown]
	v_or_b32_e32 v9, 48, v97
	s_mul_hi_i32 s3, s16, s17
	s_mul_i32 s16, s16, s17
	v_lshlrev_b32_e32 v19, 2, v9
	s_add_u32 s6, s16, s33
	v_or_b32_e32 v6, v6, v19
	s_addc_u32 s7, s3, s46
	v_lshlrev_b32_e32 v6, 1, v6
	s_ashr_i32 s3, s2, 31
	s_lshl_b64 s[6:7], s[6:7], 15
	ds_write2st64_b64 v6, v[2:3], v[4:5] offset0:32 offset1:48
	v_lshlrev_b32_e32 v6, 8, v9
	s_add_u32 s6, s40, s6
	v_or_b32_e32 v7, v7, v6
	s_addc_u32 s7, s41, s7
	s_lshl_b64 s[2:3], s[2:3], 8
	ds_write_b64 v7, v[2:3]
	v_or_b32_e32 v2, v8, v6
	s_add_u32 s2, s6, s2
	v_lshlrev_b32_e32 v3, 1, v97
	ds_write_b64 v2, v[4:5]
	v_lshrrev_b32_e32 v2, 4, v0
	s_addc_u32 s3, s7, s3
	v_or_b32_e32 v4, 1, v3
	v_lshlrev_b32_e32 v10, 4, v97
	v_mov_b32_e32 v11, 0
	v_xor_b32_e32 v3, v2, v3
	v_xor_b32_e32 v6, v4, v2
	v_lshl_add_u64 v[12:13], s[2:3], 0, v[10:11]
	v_lshlrev_b32_e32 v10, 8, v2
	v_lshl_or_b32 v16, v3, 3, v10
	v_lshl_or_b32 v17, v6, 3, v10
	s_waitcnt lgkmcnt(0)
	s_barrier
	ds_read2st64_b64 v[2:5], v16 offset1:8
	ds_read2st64_b64 v[6:9], v17 offset1:8
	v_lshl_add_u64 v[14:15], v[12:13], 0, v[10:11]
	s_movk_i32 s2, 0x2000
	s_cmp_lg_u32 s44, 64
	s_waitcnt lgkmcnt(1)
	v_mov_b32_e32 v10, v2
	v_mov_b32_e32 v11, v3
	s_waitcnt lgkmcnt(0)
	v_mov_b32_e32 v12, v6
	v_mov_b32_e32 v13, v7
	global_store_dwordx4 v[14:15], v[10:13], off
	v_mov_b32_e32 v6, v4
	v_mov_b32_e32 v7, v5
	ds_read2st64_b64 v[2:5], v16 offset0:16 offset1:24
	ds_read2st64_b64 v[10:13], v17 offset0:16 offset1:24
	v_add_co_u32_e32 v16, vcc, s2, v14
	s_cselect_b64 s[6:7], -1, 0
	s_nop 0
	v_addc_co_u32_e32 v17, vcc, 0, v15, vcc
	global_store_dwordx4 v[16:17], v[6:9], off offset:-4096
	v_lshl_or_b32 v30, v1, 3, v99
	s_mov_b32 s24, 0
	s_waitcnt lgkmcnt(1)
	v_mov_b32_e32 v6, v2
	v_add_co_u32_e32 v2, vcc, 0x3000, v14
	v_mov_b32_e32 v7, v3
	s_nop 0
	v_addc_co_u32_e32 v3, vcc, 0, v15, vcc
	s_waitcnt lgkmcnt(0)
	v_mov_b32_e32 v8, v10
	v_mov_b32_e32 v9, v11
	;; [unrolled: 1-line block ×4, first 2 shown]
	v_or_b32_e32 v20, 32, v30
	v_and_b32_e32 v18, 56, v98
	s_and_b64 vcc, exec, s[6:7]
	global_store_dwordx4 v[16:17], v[6:9], off
	global_store_dwordx4 v[2:3], v[10:13], off
	s_cbranch_vccz .LBB82_29
; %bb.24:
	s_mov_b32 s25, s24
	s_mov_b32 s26, s24
	;; [unrolled: 1-line block ×3, first 2 shown]
	v_mov_b64_e32 v[6:7], s[24:25]
	v_mov_b64_e32 v[8:9], s[26:27]
	;; [unrolled: 1-line block ×3, first 2 shown]
	v_cmp_gt_i32_e32 vcc, s44, v30
	v_mov_b64_e32 v[4:5], v[8:9]
	s_and_saveexec_b64 s[2:3], vcc
	s_cbranch_execz .LBB82_26
; %bb.25:
	v_lshlrev_b32_e32 v2, 8, v30
	v_mov_b32_e32 v3, 0
	v_lshl_add_u64 v[4:5], s[0:1], 0, v[2:3]
	v_lshlrev_b32_e32 v2, 1, v18
	v_lshl_add_u64 v[10:11], v[4:5], 0, v[2:3]
	global_load_dwordx4 v[6:9], v[10:11], off
	global_load_dwordx4 v[2:5], v[10:11], off offset:128
.LBB82_26:
	s_or_b64 exec, exec, s[2:3]
	s_mov_b32 s25, s24
	s_mov_b32 s26, s24
	;; [unrolled: 1-line block ×3, first 2 shown]
	v_mov_b64_e32 v[14:15], s[24:25]
	v_mov_b64_e32 v[16:17], s[26:27]
	;; [unrolled: 1-line block ×3, first 2 shown]
	v_cmp_gt_i32_e32 vcc, s44, v20
	v_lshlrev_b32_e32 v21, 7, v20
	v_mov_b64_e32 v[12:13], v[16:17]
	s_and_saveexec_b64 s[2:3], vcc
	s_cbranch_execz .LBB82_28
; %bb.27:
	v_lshlrev_b32_e32 v10, 1, v21
	v_mov_b32_e32 v11, 0
	v_lshl_add_u64 v[12:13], s[0:1], 0, v[10:11]
	v_lshlrev_b32_e32 v10, 1, v18
	v_lshl_add_u64 v[26:27], v[12:13], 0, v[10:11]
	global_load_dwordx4 v[14:17], v[26:27], off
	global_load_dwordx4 v[10:13], v[26:27], off offset:128
.LBB82_28:
	s_or_b64 exec, exec, s[2:3]
	v_lshrrev_b32_e32 v25, 3, v18
	v_lshlrev_b32_e32 v26, 3, v30
	v_or_b32_e32 v25, v26, v25
	v_lshlrev_b32_e32 v25, 4, v25
	v_and_b32_e32 v26, 0x78, v26
	v_xor_b32_e32 v25, v25, v26
	s_branch .LBB82_31
.LBB82_29:
                                        ; implicit-def: $vgpr25
                                        ; implicit-def: $vgpr21
                                        ; implicit-def: $vgpr6_vgpr7_vgpr8_vgpr9
                                        ; implicit-def: $vgpr2_vgpr3_vgpr4_vgpr5
                                        ; implicit-def: $vgpr14_vgpr15_vgpr16_vgpr17
                                        ; implicit-def: $vgpr10_vgpr11_vgpr12_vgpr13
	s_cbranch_execz .LBB82_31
; %bb.30:
	s_waitcnt vmcnt(0)
	v_lshlrev_b32_e32 v2, 1, v18
	v_lshl_or_b32 v21, v30, 8, v2
	s_and_b32 s1, s1, 0xffff
	s_mov_b32 s3, 0x20000
	s_movk_i32 s2, 0x4000
	v_lshl_or_b32 v25, v20, 8, v2
	s_movk_i32 s16, 0x80
	buffer_load_dwordx4 v[6:9], v21, s[0:3], 0 offen
	buffer_load_dwordx4 v[2:5], v21, s[0:3], s16 offen
	;; [unrolled: 1-line block ×4, first 2 shown]
	v_lshrrev_b32_e32 v21, 3, v18
	v_lshlrev_b32_e32 v25, 3, v30
	v_or_b32_e32 v21, v25, v21
	v_lshlrev_b32_e32 v21, 4, v21
	v_and_b32_e32 v25, 0x78, v25
	v_xor_b32_e32 v25, v21, v25
	v_lshlrev_b32_e32 v21, 7, v20
.LBB82_31:
	s_movk_i32 s0, 0x1000
	v_and_or_b32 v20, v21, s0, v25
	s_waitcnt vmcnt(1)
	ds_write_b64 v25, v[6:7] offset:49152
	v_xor_b32_e32 v6, 8, v25
	ds_write_b64 v6, v[8:9] offset:49152
	s_waitcnt vmcnt(0)
	ds_write_b64 v25, v[2:3] offset:57344
	ds_write_b64 v6, v[4:5] offset:57344
	;; [unrolled: 1-line block ×3, first 2 shown]
	v_xor_b32_e32 v2, 8, v20
	ds_write_b64 v2, v[16:17] offset:49152
	ds_write_b64 v20, v[10:11] offset:57344
	;; [unrolled: 1-line block ×3, first 2 shown]
	v_or_b32_e32 v2, v45, v97
	v_lshlrev_b32_e32 v2, 3, v2
	v_lshrrev_b32_e32 v3, 5, v47
	s_movk_i32 s0, 0xf8
	v_and_or_b32 v3, v2, s0, v3
	v_lshlrev_b32_e32 v7, 4, v3
	v_lshlrev_b32_e32 v25, 11, v1
	v_and_b32_e32 v8, 0x78, v2
	v_or_b32_e32 v10, 32, v7
	v_and_b32_e32 v6, 0x1000, v25
	v_lshrrev_b32_e32 v3, 1, v47
	v_xor_b32_e32 v10, v10, v8
	v_xor_b32_e32 v2, v7, v8
	v_and_b32_e32 v9, 8, v3
	v_or_b32_e32 v10, v10, v6
	v_or_b32_e32 v2, v2, v6
	v_xor_b32_e32 v32, v10, v9
	v_or_b32_e32 v10, 64, v7
	v_xor_b32_e32 v31, v2, v9
	v_xor_b32_e32 v10, v10, v8
	s_waitcnt lgkmcnt(0)
	s_barrier
	v_or_b32_e32 v13, v10, v6
	ds_read_b64 v[10:11], v31 offset:49152
	v_lshl_or_b32 v14, v96, 8, v24
	v_lshlrev_b32_e32 v26, 1, v14
	v_add_u32_e32 v12, 0x4000, v26
	ds_read2_b64 v[2:5], v12 offset1:16
	v_or_b32_e32 v7, 0x60, v7
	v_xor_b32_e32 v7, v7, v8
	v_or_b32_e32 v6, v7, v6
	v_xor_b32_e32 v33, v13, v9
	v_xor_b32_e32 v34, v6, v9
	ds_read_b64 v[20:21], v32 offset:49152
	ds_read_b64 v[36:37], v33 offset:49152
	;; [unrolled: 1-line block ×3, first 2 shown]
	s_waitcnt lgkmcnt(3)
	v_mfma_f32_16x16x16_bf16 a[0:3], v[10:11], v[2:3], 0
	ds_read2st64_b64 v[6:9], v26 offset0:36 offset1:40
	s_lshl_b64 s[0:1], s[42:43], 8
	s_add_u32 s4, s4, s0
	v_mfma_f32_16x16x16_bf16 a[4:7], v[10:11], v[4:5], 0
	ds_read2_b64 v[2:5], v12 offset0:32 offset1:48
	s_addc_u32 s5, s5, s1
	s_add_i32 s0, s49, s47
	s_waitcnt lgkmcnt(0)
	v_mfma_f32_16x16x16_bf16 a[8:11], v[10:11], v[2:3], 0
	v_or_b32_e32 v2, 64, v14
	v_lshlrev_b32_e32 v27, 1, v2
	s_add_i32 s18, s35, -1
	v_mfma_f32_16x16x16_bf16 a[12:15], v[10:11], v[4:5], 0
	ds_read2st64_b64 v[2:5], v27 offset0:36 offset1:40
	s_add_i32 s39, s0, s48
	s_add_i32 s0, s51, s50
	v_mfma_f32_16x16x16_bf16 a[0:3], v[20:21], v[6:7], a[0:3]
	v_or_b32_e32 v6, 0x80, v14
	v_lshlrev_b32_e32 v28, 1, v6
	ds_read2st64_b64 v[10:13], v28 offset0:36 offset1:40
	s_waitcnt lgkmcnt(1)
	v_mfma_f32_16x16x16_bf16 a[4:7], v[20:21], v[2:3], a[4:7]
	v_or_b32_e32 v2, 0xc0, v14
	v_lshlrev_b32_e32 v29, 1, v2
	ds_read2st64_b64 v[14:17], v29 offset0:36 offset1:40
	s_add_i32 s37, s0, s52
	s_ashr_i32 s0, s18, 31
	s_mul_i32 s1, s18, s23
	s_mul_hi_u32 s2, s18, s22
	s_add_i32 s1, s2, s1
	s_mul_i32 s0, s0, s22
	s_waitcnt lgkmcnt(1)
	v_mfma_f32_16x16x16_bf16 a[8:11], v[20:21], v[10:11], a[8:11]
	s_add_i32 s1, s1, s0
	s_lshl_b64 s[2:3], s[38:39], 2
	s_add_u32 s10, s10, s2
	s_waitcnt lgkmcnt(0)
	v_mfma_f32_16x16x16_bf16 a[12:15], v[20:21], v[14:15], a[12:15]
	s_addc_u32 s11, s11, s3
	s_lshl_b64 s[2:3], s[36:37], 2
	s_mul_i32 s0, s18, s22
	v_mfma_f32_16x16x16_bf16 a[0:3], v[36:37], v[8:9], a[0:3]
	ds_read_b64 v[2:3], v26 offset:22528
	s_add_u32 s10, s10, s2
	s_addc_u32 s11, s11, s3
	v_mfma_f32_16x16x16_bf16 a[4:7], v[36:37], v[4:5], a[4:7]
	ds_read_b64 v[4:5], v27 offset:22528
	ds_read_b64 v[6:7], v28 offset:22528
	;; [unrolled: 1-line block ×3, first 2 shown]
	s_lshl_b64 s[0:1], s[0:1], 2
	s_add_u32 s0, s10, s0
	v_mfma_f32_16x16x16_bf16 a[8:11], v[36:37], v[12:13], a[8:11]
	s_addc_u32 s1, s11, s1
	s_load_dword s16, s[0:1], 0x0
	s_and_b64 vcc, exec, s[30:31]
	v_mfma_f32_16x16x16_bf16 a[12:15], v[36:37], v[16:17], a[12:15]
	s_waitcnt lgkmcnt(0)
	v_mfma_f32_16x16x16_bf16 a[0:3], v[38:39], v[2:3], a[0:3]
	v_mfma_f32_16x16x16_bf16 a[4:7], v[38:39], v[4:5], a[4:7]
	;; [unrolled: 1-line block ×4, first 2 shown]
	s_cbranch_vccz .LBB82_42
; %bb.32:
	v_lshlrev_b32_e32 v20, 1, v30
	s_and_b64 vcc, exec, s[6:7]
	s_cbranch_vccz .LBB82_43
; %bb.33:
	v_cmp_gt_i32_e32 vcc, s44, v20
	v_mov_b32_e32 v6, 0
	v_mov_b32_e32 v2, 0
	;; [unrolled: 1-line block ×5, first 2 shown]
	s_and_saveexec_b64 s[0:1], vcc
	s_cbranch_execz .LBB82_35
; %bb.34:
	v_mad_i64_i32 v[2:3], s[2:3], s19, v20, 0
	v_lshl_add_u64 v[2:3], v[2:3], 1, s[4:5]
	v_lshlrev_b32_e32 v4, 1, v18
	v_mov_b32_e32 v5, 0
	v_lshl_add_u64 v[2:3], v[2:3], 0, v[4:5]
	global_load_dwordx4 v[2:5], v[2:3], off
.LBB82_35:
	s_or_b64 exec, exec, s[0:1]
	v_or_b32_e32 v21, 1, v20
	v_cmp_gt_i32_e64 s[0:1], s44, v21
	v_mov_b32_e32 v7, 0
	v_mov_b32_e32 v8, 0
	;; [unrolled: 1-line block ×3, first 2 shown]
	s_and_saveexec_b64 s[2:3], s[0:1]
	s_cbranch_execz .LBB82_37
; %bb.36:
	v_mad_i64_i32 v[6:7], s[24:25], s19, v21, 0
	v_lshl_add_u64 v[6:7], v[6:7], 1, s[4:5]
	v_lshlrev_b32_e32 v8, 1, v18
	v_mov_b32_e32 v9, 0
	v_lshl_add_u64 v[6:7], v[6:7], 0, v[8:9]
	global_load_dwordx4 v[6:9], v[6:7], off
.LBB82_37:
	s_or_b64 exec, exec, s[2:3]
	v_mov_b32_e32 v17, 0
	v_mov_b32_e32 v10, 0
	;; [unrolled: 1-line block ×5, first 2 shown]
	s_and_saveexec_b64 s[2:3], vcc
	s_cbranch_execz .LBB82_39
; %bb.38:
	v_mad_i64_i32 v[10:11], s[24:25], s19, v20, 0
	v_lshl_add_u64 v[10:11], v[10:11], 1, s[4:5]
	v_lshlrev_b32_e32 v12, 1, v18
	v_mov_b32_e32 v13, 0
	v_lshl_add_u64 v[10:11], v[10:11], 0, v[12:13]
	global_load_dwordx4 v[10:13], v[10:11], off offset:128
.LBB82_39:
	s_or_b64 exec, exec, s[2:3]
	v_mov_b32_e32 v16, 0
	v_mov_b32_e32 v15, 0
	v_mov_b32_e32 v14, 0
	s_and_saveexec_b64 s[2:3], s[0:1]
	s_cbranch_execz .LBB82_41
; %bb.40:
	v_mad_i64_i32 v[14:15], s[0:1], s19, v21, 0
	v_lshl_add_u64 v[14:15], v[14:15], 1, s[4:5]
	v_lshlrev_b32_e32 v16, 1, v18
	v_mov_b32_e32 v17, 0
	v_lshl_add_u64 v[14:15], v[14:15], 0, v[16:17]
	global_load_dwordx4 v[14:17], v[14:15], off offset:128
.LBB82_41:
	s_or_b64 exec, exec, s[2:3]
	s_branch .LBB82_45
.LBB82_42:
                                        ; implicit-def: $vgpr5
                                        ; implicit-def: $vgpr9
                                        ; implicit-def: $vgpr13
                                        ; implicit-def: $vgpr17
	v_lshrrev_b32_e32 v35, 2, v47
	s_branch .LBB82_46
.LBB82_43:
                                        ; implicit-def: $vgpr5
                                        ; implicit-def: $vgpr9
                                        ; implicit-def: $vgpr13
                                        ; implicit-def: $vgpr17
	s_cbranch_execz .LBB82_45
; %bb.44:
	s_waitcnt vmcnt(0)
	v_mad_u64_u32 v[2:3], s[0:1], v20, s19, v[18:19]
	v_lshlrev_b32_e32 v20, 1, v2
	s_lshl_b32 s2, s19, 7
	s_and_b32 s1, s5, 0xffff
	s_mov_b32 s3, 0x20000
	s_mov_b32 s0, s4
	v_add_lshl_u32 v21, v2, s19, 1
	s_movk_i32 s19, 0x80
	buffer_load_dwordx4 v[2:5], v20, s[0:3], 0 offen
	buffer_load_dwordx4 v[10:13], v20, s[0:3], s19 offen
	buffer_load_dwordx4 v[6:9], v21, s[0:3], 0 offen
	buffer_load_dwordx4 v[14:17], v21, s[0:3], s19 offen
.LBB82_45:
	v_lshrrev_b32_e32 v35, 2, v47
	s_cbranch_execnz .LBB82_58
.LBB82_46:
	s_and_b64 vcc, exec, s[6:7]
	s_cbranch_vccz .LBB82_56
; %bb.47:
	s_waitcnt vmcnt(0)
	v_lshlrev_b32_e32 v7, 1, v30
	v_cmp_gt_i32_e32 vcc, s44, v7
	v_mov_b32_e32 v6, 0
	v_lshlrev_b32_e32 v14, 9, v30
	v_mov_b32_e32 v2, 0
	v_mov_b32_e32 v3, 0
	v_mov_b32_e32 v4, 0
	v_mov_b32_e32 v5, 0
	s_and_saveexec_b64 s[0:1], vcc
	s_cbranch_execz .LBB82_49
; %bb.48:
	v_mov_b32_e32 v15, 0
	v_lshl_add_u64 v[2:3], s[4:5], 0, v[14:15]
	v_lshlrev_b32_e32 v4, 1, v18
	v_mov_b32_e32 v5, v15
	v_lshl_add_u64 v[2:3], v[2:3], 0, v[4:5]
	global_load_dwordx4 v[2:5], v[2:3], off
.LBB82_49:
	s_or_b64 exec, exec, s[0:1]
	v_or_b32_e32 v7, 1, v7
	v_cmp_gt_i32_e64 s[0:1], s44, v7
	v_lshlrev_b32_e32 v20, 8, v7
	v_mov_b32_e32 v7, 0
	v_mov_b32_e32 v8, 0
	;; [unrolled: 1-line block ×3, first 2 shown]
	s_and_saveexec_b64 s[2:3], s[0:1]
	s_cbranch_execz .LBB82_51
; %bb.50:
	v_mov_b32_e32 v21, 0
	v_lshl_add_u64 v[6:7], s[4:5], 0, v[20:21]
	v_lshlrev_b32_e32 v8, 1, v18
	v_mov_b32_e32 v9, v21
	v_lshl_add_u64 v[6:7], v[6:7], 0, v[8:9]
	global_load_dwordx4 v[6:9], v[6:7], off
.LBB82_51:
	s_or_b64 exec, exec, s[2:3]
	v_mov_b32_e32 v17, 0
	v_mov_b32_e32 v10, 0
	v_mov_b32_e32 v11, 0
	v_mov_b32_e32 v12, 0
	v_mov_b32_e32 v13, 0
	s_and_saveexec_b64 s[2:3], vcc
	s_cbranch_execz .LBB82_53
; %bb.52:
	v_mov_b32_e32 v15, 0
	v_lshl_add_u64 v[10:11], s[4:5], 0, v[14:15]
	v_lshlrev_b32_e32 v14, 1, v18
	v_lshl_add_u64 v[10:11], v[10:11], 0, v[14:15]
	global_load_dwordx4 v[10:13], v[10:11], off offset:128
.LBB82_53:
	s_or_b64 exec, exec, s[2:3]
	v_mov_b32_e32 v16, 0
	v_mov_b32_e32 v15, 0
	;; [unrolled: 1-line block ×3, first 2 shown]
	s_and_saveexec_b64 s[2:3], s[0:1]
	s_cbranch_execz .LBB82_55
; %bb.54:
	v_mov_b32_e32 v21, 0
	v_lshl_add_u64 v[14:15], s[4:5], 0, v[20:21]
	v_lshlrev_b32_e32 v20, 1, v18
	v_lshl_add_u64 v[14:15], v[14:15], 0, v[20:21]
	global_load_dwordx4 v[14:17], v[14:15], off offset:128
.LBB82_55:
	s_or_b64 exec, exec, s[2:3]
	s_branch .LBB82_58
.LBB82_56:
                                        ; implicit-def: $vgpr5
                                        ; implicit-def: $vgpr9
                                        ; implicit-def: $vgpr13
                                        ; implicit-def: $vgpr17
	s_cbranch_execz .LBB82_58
; %bb.57:
	s_waitcnt vmcnt(0)
	v_lshlrev_b32_e32 v2, 1, v18
	v_lshl_or_b32 v18, v30, 9, v2
	s_and_b32 s5, s5, 0xffff
	s_mov_b32 s7, 0x20000
	s_movk_i32 s6, 0x4000
	s_movk_i32 s0, 0x80
	buffer_load_dwordx4 v[2:5], v18, s[4:7], 0 offen
	buffer_load_dwordx4 v[6:9], v18, s[4:7], 0 offen offset:256
	buffer_load_dwordx4 v[10:13], v18, s[4:7], s0 offen
	buffer_load_dwordx4 v[14:17], v18, s[4:7], s0 offen offset:256
.LBB82_58:
	ds_read_b64 v[20:21], v31 offset:57344
	v_add_u32_e32 v18, 0x6000, v26
	ds_read2_b64 v[36:39], v18 offset1:16
	ds_read_b64 v[94:95], v32 offset:57344
	ds_read_b64 v[96:97], v33 offset:57344
	;; [unrolled: 1-line block ×3, first 2 shown]
	v_and_b32_e32 v31, 6, v0
	v_xor_b32_e32 v30, v30, v31
	v_lshlrev_b32_e32 v30, 2, v30
	s_mov_b32 s0, 0x1000504
	s_mov_b32 s1, 0x3020706
	s_waitcnt lgkmcnt(3)
	v_mfma_f32_16x16x16_bf16 a[0:3], v[20:21], v[36:37], a[0:3]
	v_mfma_f32_16x16x16_bf16 a[4:7], v[20:21], v[38:39], a[4:7]
	ds_read2_b64 v[36:39], v18 offset0:32 offset1:48
	v_and_b32_e32 v18, 12, v35
	ds_read2st64_b64 v[32:35], v26 offset0:52 offset1:56
	s_waitcnt lgkmcnt(1)
	v_mfma_f32_16x16x16_bf16 a[8:11], v[20:21], v[36:37], a[8:11]
	v_mfma_f32_16x16x16_bf16 a[12:15], v[20:21], v[38:39], a[12:15]
	ds_read2st64_b64 v[36:39], v27 offset0:52 offset1:56
	ds_read2st64_b64 v[40:43], v28 offset0:52 offset1:56
	;; [unrolled: 1-line block ×3, first 2 shown]
	s_waitcnt lgkmcnt(3)
	v_mfma_f32_16x16x16_bf16 a[0:3], v[94:95], v[32:33], a[0:3]
	ds_read_b64 v[20:21], v26 offset:30720
	ds_read_b64 v[32:33], v27 offset:30720
	ds_read_b64 v[100:101], v28 offset:30720
	ds_read_b64 v[102:103], v29 offset:30720
	s_waitcnt lgkmcnt(6)
	v_mfma_f32_16x16x16_bf16 a[4:7], v[94:95], v[36:37], a[4:7]
	v_and_b32_e32 v36, 1, v0
	v_xor_b32_e32 v37, 0x440, v30
	v_cmp_eq_u32_e32 vcc, 0, v36
	s_waitcnt lgkmcnt(5)
	v_mfma_f32_16x16x16_bf16 a[8:11], v[94:95], v[40:41], a[8:11]
	v_cndmask_b32_e32 v30, v37, v30, vcc
	v_lshl_or_b32 v30, v31, 10, v30
	s_waitcnt lgkmcnt(4)
	v_mfma_f32_16x16x16_bf16 a[12:15], v[94:95], v[90:91], a[12:15]
	s_waitcnt vmcnt(0)
	v_perm_b32 v31, v2, v6, s0
	v_perm_b32 v2, v2, v6, s1
	v_perm_b32 v6, v10, v14, s1
	v_mfma_f32_16x16x16_bf16 a[0:3], v[96:97], v[34:35], a[0:3]
	v_perm_b32 v34, v10, v14, s0
	ds_write2st64_b32 v30, v31, v34 offset0:128 offset1:160
	v_xor_b32_e32 v31, 8, v30
	v_add_u32_e32 v10, 0x80, v31
	ds_write2st64_b32 v10, v2, v6 offset0:128 offset1:160
	v_xor_b32_e32 v2, 16, v30
	v_perm_b32 v6, v3, v7, s0
	v_perm_b32 v10, v11, v15, s0
	v_mfma_f32_16x16x16_bf16 a[4:7], v[96:97], v[38:39], a[4:7]
	ds_write2st64_b32 v2, v6, v10 offset0:129 offset1:161
	v_xor_b32_e32 v2, 24, v30
	v_perm_b32 v3, v3, v7, s1
	v_mfma_f32_16x16x16_bf16 a[16:19], v[96:97], v[42:43], a[8:11]
	v_perm_b32 v6, v11, v15, s1
	v_add_u32_e32 v2, 0x80, v2
	ds_write2st64_b32 v2, v3, v6 offset0:129 offset1:161
	v_mfma_f32_16x16x16_bf16 a[20:23], v[96:97], v[92:93], a[12:15]
	v_xor_b32_e32 v2, 32, v30
	v_perm_b32 v3, v4, v8, s0
	v_perm_b32 v6, v12, v16, s0
	ds_write2st64_b32 v2, v3, v6 offset0:130 offset1:162
	v_xor_b32_e32 v2, 40, v30
	s_waitcnt lgkmcnt(8)
	v_mfma_f32_16x16x16_bf16 a[12:15], v[98:99], v[20:21], a[0:3]
	v_perm_b32 v3, v4, v8, s1
	v_perm_b32 v4, v12, v16, s1
	v_add_u32_e32 v2, 0x80, v2
	s_waitcnt lgkmcnt(7)
	v_mfma_f32_16x16x16_bf16 a[8:11], v[98:99], v[32:33], a[4:7]
	ds_write2st64_b32 v2, v3, v4 offset0:130 offset1:162
	v_xor_b32_e32 v2, 48, v30
	v_perm_b32 v3, v5, v9, s0
	s_waitcnt lgkmcnt(7)
	v_mfma_f32_16x16x16_bf16 a[4:7], v[98:99], v[100:101], a[16:19]
	v_perm_b32 v4, v13, v17, s0
	ds_write2st64_b32 v2, v3, v4 offset0:131 offset1:163
	v_xor_b32_e32 v2, 56, v30
	s_waitcnt lgkmcnt(7)
	v_mfma_f32_16x16x16_bf16 a[0:3], v[98:99], v[102:103], a[20:23]
	v_or_b32_e32 v16, v18, v45
	v_perm_b32 v3, v5, v9, s1
	v_perm_b32 v4, v13, v17, s1
	v_add_u32_e32 v2, 0x80, v2
	v_cmp_gt_i32_e32 vcc, s44, v16
	v_mov_b32_e32 v17, 0
	v_mov_b32_e32 v21, 0
	ds_write2st64_b32 v2, v3, v4 offset0:131 offset1:163
	s_and_saveexec_b64 s[0:1], vcc
	s_cbranch_execz .LBB82_60
; %bb.59:
	v_add_u32_e32 v2, s34, v16
	v_ashrrev_i32_e32 v3, 31, v2
	v_mul_lo_u32 v4, v3, s22
	v_mul_lo_u32 v5, v2, s23
	v_mad_u64_u32 v[2:3], s[2:3], v2, s22, 0
	v_add3_u32 v3, v3, v5, v4
	v_lshl_add_u64 v[2:3], v[2:3], 2, s[10:11]
	global_load_dword v2, v[2:3], off
	s_waitcnt vmcnt(0)
	v_sub_f32_e32 v2, s16, v2
	v_mul_f32_e32 v2, 0x3fb8aa3b, v2
	v_exp_f32_e32 v21, v2
.LBB82_60:
	s_or_b64 exec, exec, s[0:1]
	v_or_b32_e32 v8, 1, v16
	v_cmp_gt_i32_e64 s[0:1], s44, v8
	s_and_saveexec_b64 s[2:3], s[0:1]
	s_cbranch_execz .LBB82_62
; %bb.61:
	v_add_u32_e32 v2, s34, v8
	v_ashrrev_i32_e32 v3, 31, v2
	v_mul_lo_u32 v4, v3, s22
	v_mul_lo_u32 v5, v2, s23
	v_mad_u64_u32 v[2:3], s[4:5], v2, s22, 0
	v_add3_u32 v3, v3, v5, v4
	v_lshl_add_u64 v[2:3], v[2:3], 2, s[10:11]
	global_load_dword v2, v[2:3], off
	s_waitcnt vmcnt(0)
	v_sub_f32_e32 v2, s16, v2
	v_mul_f32_e32 v2, 0x3fb8aa3b, v2
	v_exp_f32_e32 v17, v2
.LBB82_62:
	s_or_b64 exec, exec, s[2:3]
	v_or_b32_e32 v9, 2, v16
	v_cmp_gt_i32_e64 s[2:3], s44, v9
	v_mov_b32_e32 v20, 0
	v_mov_b32_e32 v30, 0
	s_and_saveexec_b64 s[4:5], s[2:3]
	s_cbranch_execz .LBB82_64
; %bb.63:
	v_add_u32_e32 v2, s34, v9
	v_ashrrev_i32_e32 v3, 31, v2
	v_mul_lo_u32 v4, v3, s22
	v_mul_lo_u32 v5, v2, s23
	v_mad_u64_u32 v[2:3], s[6:7], v2, s22, 0
	v_add3_u32 v3, v3, v5, v4
	v_lshl_add_u64 v[2:3], v[2:3], 2, s[10:11]
	global_load_dword v2, v[2:3], off
	s_waitcnt vmcnt(0)
	v_sub_f32_e32 v2, s16, v2
	v_mul_f32_e32 v2, 0x3fb8aa3b, v2
	v_exp_f32_e32 v30, v2
.LBB82_64:
	s_or_b64 exec, exec, s[4:5]
	v_or_b32_e32 v31, 3, v16
	v_cmp_gt_i32_e64 s[4:5], s44, v31
	s_and_saveexec_b64 s[6:7], s[4:5]
	s_cbranch_execz .LBB82_66
; %bb.65:
	v_add_u32_e32 v2, s34, v31
	v_ashrrev_i32_e32 v3, 31, v2
	v_mul_lo_u32 v4, v3, s22
	v_mul_lo_u32 v5, v2, s23
	v_mad_u64_u32 v[2:3], s[22:23], v2, s22, 0
	v_add3_u32 v3, v3, v5, v4
	v_lshl_add_u64 v[2:3], v[2:3], 2, s[10:11]
	global_load_dword v2, v[2:3], off
	s_waitcnt vmcnt(0)
	v_sub_f32_e32 v2, s16, v2
	v_mul_f32_e32 v2, 0x3fb8aa3b, v2
	v_exp_f32_e32 v20, v2
.LBB82_66:
	s_or_b64 exec, exec, s[6:7]
	s_add_u32 s6, s8, s28
	v_accvgpr_read_b32 v2, a12
	s_addc_u32 s7, s9, s29
	v_ashrrev_i32_e32 v89, 31, v88
	v_accvgpr_read_b32 v3, a13
	v_accvgpr_read_b32 v4, a14
	;; [unrolled: 1-line block ×3, first 2 shown]
	v_lshl_add_u64 v[6:7], v[88:89], 1, s[6:7]
	v_mov_b32_e32 v13, 0
	v_lshlrev_b32_e32 v10, 8, v16
	v_mov_b32_e32 v11, 0
	s_and_saveexec_b64 s[6:7], vcc
	s_cbranch_execz .LBB82_68
; %bb.67:
	v_mov_b32_e32 v11, 0
	v_lshl_add_u64 v[14:15], v[6:7], 0, v[10:11]
	global_load_ushort v11, v[14:15], off
	s_waitcnt vmcnt(0)
	v_lshlrev_b32_e32 v11, 16, v11
	v_sub_f32_e32 v2, v11, v2
	v_mul_f32_e32 v2, v21, v2
	v_lshrrev_b32_e32 v11, 16, v2
.LBB82_68:
	s_or_b64 exec, exec, s[6:7]
	v_lshlrev_b32_e32 v12, 8, v8
	s_and_saveexec_b64 s[6:7], s[0:1]
	s_cbranch_execz .LBB82_70
; %bb.69:
	v_mov_b32_e32 v13, 0
	v_lshl_add_u64 v[14:15], v[6:7], 0, v[12:13]
	global_load_ushort v2, v[14:15], off
	s_waitcnt vmcnt(0)
	v_lshlrev_b32_e32 v2, 16, v2
	v_sub_f32_e32 v2, v2, v3
	v_mul_f32_e32 v2, v17, v2
	v_lshrrev_b32_e32 v13, 16, v2
.LBB82_70:
	s_or_b64 exec, exec, s[6:7]
	v_mov_b32_e32 v32, 0
	v_lshlrev_b32_e32 v14, 8, v9
	v_mov_b32_e32 v15, 0
	s_and_saveexec_b64 s[6:7], s[2:3]
	s_cbranch_execz .LBB82_72
; %bb.71:
	v_mov_b32_e32 v15, 0
	v_lshl_add_u64 v[2:3], v[6:7], 0, v[14:15]
	global_load_ushort v2, v[2:3], off
	s_waitcnt vmcnt(0)
	v_lshlrev_b32_e32 v2, 16, v2
	v_sub_f32_e32 v2, v2, v4
	v_mul_f32_e32 v2, v30, v2
	v_lshrrev_b32_e32 v15, 16, v2
.LBB82_72:
	s_or_b64 exec, exec, s[6:7]
	v_lshlrev_b32_e32 v8, 8, v31
	s_and_saveexec_b64 s[6:7], s[4:5]
	s_cbranch_execz .LBB82_74
; %bb.73:
	v_mov_b32_e32 v9, 0
	v_lshl_add_u64 v[2:3], v[6:7], 0, v[8:9]
	global_load_ushort v2, v[2:3], off
	s_waitcnt vmcnt(0)
	v_lshlrev_b32_e32 v2, 16, v2
	v_sub_f32_e32 v2, v2, v5
	v_mul_f32_e32 v2, v20, v2
	v_lshrrev_b32_e32 v32, 16, v2
.LBB82_74:
	s_or_b64 exec, exec, s[6:7]
	v_lshlrev_b32_e32 v31, 6, v16
	v_accvgpr_read_b32 v2, a8
	s_mov_b32 s6, 0x5040100
	v_or_b32_e32 v9, v31, v24
	v_accvgpr_read_b32 v3, a9
	v_accvgpr_read_b32 v4, a10
	;; [unrolled: 1-line block ×3, first 2 shown]
	v_perm_b32 v33, v32, v15, s6
	v_perm_b32 v32, v13, v11, s6
	v_lshlrev_b32_e32 v9, 1, v9
	v_mov_b32_e32 v13, 0
	v_mov_b32_e32 v11, 0
	ds_write_b64 v9, v[32:33] offset:24576
	s_and_saveexec_b64 s[6:7], vcc
	s_cbranch_execz .LBB82_76
; %bb.75:
	v_mov_b32_e32 v11, 0
	v_lshl_add_u64 v[32:33], v[6:7], 0, v[10:11]
	global_load_ushort v9, v[32:33], off offset:32
	s_waitcnt vmcnt(0)
	v_lshlrev_b32_e32 v9, 16, v9
	v_sub_f32_e32 v2, v9, v2
	v_mul_f32_e32 v2, v21, v2
	v_lshrrev_b32_e32 v11, 16, v2
.LBB82_76:
	s_or_b64 exec, exec, s[6:7]
	s_and_saveexec_b64 s[6:7], s[0:1]
	s_cbranch_execz .LBB82_78
; %bb.77:
	v_mov_b32_e32 v13, 0
	v_lshl_add_u64 v[32:33], v[6:7], 0, v[12:13]
	global_load_ushort v2, v[32:33], off offset:32
	s_waitcnt vmcnt(0)
	v_lshlrev_b32_e32 v2, 16, v2
	v_sub_f32_e32 v2, v2, v3
	v_mul_f32_e32 v2, v17, v2
	v_lshrrev_b32_e32 v13, 16, v2
.LBB82_78:
	s_or_b64 exec, exec, s[6:7]
	v_mov_b32_e32 v9, 0
	v_mov_b32_e32 v15, 0
	s_and_saveexec_b64 s[6:7], s[2:3]
	s_cbranch_execz .LBB82_80
; %bb.79:
	v_mov_b32_e32 v15, 0
	v_lshl_add_u64 v[2:3], v[6:7], 0, v[14:15]
	global_load_ushort v2, v[2:3], off offset:32
	s_waitcnt vmcnt(0)
	v_lshlrev_b32_e32 v2, 16, v2
	v_sub_f32_e32 v2, v2, v4
	v_mul_f32_e32 v2, v30, v2
	v_lshrrev_b32_e32 v15, 16, v2
.LBB82_80:
	s_or_b64 exec, exec, s[6:7]
	s_and_saveexec_b64 s[6:7], s[4:5]
	s_cbranch_execz .LBB82_82
; %bb.81:
	v_mov_b32_e32 v9, 0
	v_lshl_add_u64 v[2:3], v[6:7], 0, v[8:9]
	global_load_ushort v2, v[2:3], off offset:32
	s_waitcnt vmcnt(0)
	v_lshlrev_b32_e32 v2, 16, v2
	v_sub_f32_e32 v2, v2, v5
	v_mul_f32_e32 v2, v20, v2
	v_lshrrev_b32_e32 v9, 16, v2
.LBB82_82:
	s_or_b64 exec, exec, s[6:7]
	s_mov_b32 s6, 0x5040100
	v_accvgpr_read_b32 v2, a4
	v_perm_b32 v33, v9, v15, s6
	v_or_b32_e32 v9, v31, v23
	v_accvgpr_read_b32 v3, a5
	v_accvgpr_read_b32 v4, a6
	;; [unrolled: 1-line block ×3, first 2 shown]
	v_perm_b32 v32, v13, v11, s6
	v_lshlrev_b32_e32 v9, 1, v9
	v_mov_b32_e32 v13, 0
	v_mov_b32_e32 v11, 0
	ds_write_b64 v9, v[32:33] offset:24576
	s_and_saveexec_b64 s[6:7], vcc
	s_cbranch_execz .LBB82_84
; %bb.83:
	v_mov_b32_e32 v11, 0
	v_lshl_add_u64 v[32:33], v[6:7], 0, v[10:11]
	global_load_ushort v9, v[32:33], off offset:64
	s_waitcnt vmcnt(0)
	v_lshlrev_b32_e32 v9, 16, v9
	v_sub_f32_e32 v2, v9, v2
	v_mul_f32_e32 v2, v21, v2
	v_lshrrev_b32_e32 v11, 16, v2
.LBB82_84:
	s_or_b64 exec, exec, s[6:7]
	s_and_saveexec_b64 s[6:7], s[0:1]
	s_cbranch_execz .LBB82_86
; %bb.85:
	v_mov_b32_e32 v13, 0
	v_lshl_add_u64 v[32:33], v[6:7], 0, v[12:13]
	global_load_ushort v2, v[32:33], off offset:64
	s_waitcnt vmcnt(0)
	v_lshlrev_b32_e32 v2, 16, v2
	v_sub_f32_e32 v2, v2, v3
	v_mul_f32_e32 v2, v17, v2
	v_lshrrev_b32_e32 v13, 16, v2
.LBB82_86:
	s_or_b64 exec, exec, s[6:7]
	v_mov_b32_e32 v9, 0
	v_mov_b32_e32 v15, 0
	s_and_saveexec_b64 s[6:7], s[2:3]
	s_cbranch_execz .LBB82_88
; %bb.87:
	v_mov_b32_e32 v15, 0
	v_lshl_add_u64 v[2:3], v[6:7], 0, v[14:15]
	global_load_ushort v2, v[2:3], off offset:64
	s_waitcnt vmcnt(0)
	v_lshlrev_b32_e32 v2, 16, v2
	v_sub_f32_e32 v2, v2, v4
	v_mul_f32_e32 v2, v30, v2
	v_lshrrev_b32_e32 v15, 16, v2
.LBB82_88:
	s_or_b64 exec, exec, s[6:7]
	s_and_saveexec_b64 s[6:7], s[4:5]
	s_cbranch_execz .LBB82_90
; %bb.89:
	v_mov_b32_e32 v9, 0
	v_lshl_add_u64 v[2:3], v[6:7], 0, v[8:9]
	global_load_ushort v2, v[2:3], off offset:64
	s_waitcnt vmcnt(0)
	v_lshlrev_b32_e32 v2, 16, v2
	v_sub_f32_e32 v2, v2, v5
	v_mul_f32_e32 v2, v20, v2
	v_lshrrev_b32_e32 v9, 16, v2
.LBB82_90:
	s_or_b64 exec, exec, s[6:7]
	s_mov_b32 s6, 0x5040100
	v_accvgpr_read_b32 v5, a3
	v_perm_b32 v33, v9, v15, s6
	v_or_b32_e32 v9, v31, v22
	v_accvgpr_read_b32 v4, a2
	v_accvgpr_read_b32 v3, a1
	v_accvgpr_read_b32 v2, a0
	v_perm_b32 v32, v13, v11, s6
	v_lshlrev_b32_e32 v9, 1, v9
	v_mov_b32_e32 v13, 0
	v_mov_b32_e32 v11, 0
	ds_write_b64 v9, v[32:33] offset:24576
	s_and_saveexec_b64 s[6:7], vcc
	s_cbranch_execz .LBB82_92
; %bb.91:
	v_mov_b32_e32 v11, 0
	v_lshl_add_u64 v[10:11], v[6:7], 0, v[10:11]
	global_load_ushort v9, v[10:11], off offset:96
	s_waitcnt vmcnt(0)
	v_lshlrev_b32_e32 v9, 16, v9
	v_sub_f32_e32 v2, v9, v2
	v_mul_f32_e32 v2, v21, v2
	v_lshrrev_b32_e32 v11, 16, v2
.LBB82_92:
	s_or_b64 exec, exec, s[6:7]
	s_and_saveexec_b64 s[6:7], s[0:1]
	s_cbranch_execz .LBB82_94
; %bb.93:
	v_mov_b32_e32 v13, 0
	v_lshl_add_u64 v[12:13], v[6:7], 0, v[12:13]
	global_load_ushort v2, v[12:13], off offset:96
	s_waitcnt vmcnt(0)
	v_lshlrev_b32_e32 v2, 16, v2
	v_sub_f32_e32 v2, v2, v3
	v_mul_f32_e32 v2, v17, v2
	v_lshrrev_b32_e32 v13, 16, v2
.LBB82_94:
	s_or_b64 exec, exec, s[6:7]
	v_mov_b32_e32 v9, 0
	v_mov_b32_e32 v12, 0
	s_and_saveexec_b64 s[0:1], s[2:3]
	s_cbranch_execz .LBB82_96
; %bb.95:
	v_mov_b32_e32 v15, 0
	v_lshl_add_u64 v[2:3], v[6:7], 0, v[14:15]
	global_load_ushort v2, v[2:3], off offset:96
	s_waitcnt vmcnt(0)
	v_lshlrev_b32_e32 v2, 16, v2
	v_sub_f32_e32 v2, v2, v4
	v_mul_f32_e32 v2, v30, v2
	v_lshrrev_b32_e32 v12, 16, v2
.LBB82_96:
	s_or_b64 exec, exec, s[0:1]
	v_or_b32_e32 v10, 0x6000, v26
	v_or_b32_e32 v2, 0x6000, v27
	;; [unrolled: 1-line block ×4, first 2 shown]
	s_and_saveexec_b64 s[0:1], s[4:5]
	s_cbranch_execz .LBB82_98
; %bb.97:
	v_mov_b32_e32 v9, 0
	v_lshl_add_u64 v[6:7], v[6:7], 0, v[8:9]
	global_load_ushort v6, v[6:7], off offset:96
	s_waitcnt vmcnt(0)
	v_lshlrev_b32_e32 v6, 16, v6
	v_sub_f32_e32 v5, v6, v5
	v_mul_f32_e32 v5, v20, v5
	v_lshrrev_b32_e32 v9, 16, v5
.LBB82_98:
	s_or_b64 exec, exec, s[0:1]
	s_mov_b32 s0, 0x5040100
	v_or_b32_e32 v5, v31, v19
	v_perm_b32 v7, v9, v12, s0
	v_perm_b32 v6, v13, v11, s0
	v_lshlrev_b32_e32 v5, 1, v5
	ds_write_b64 v5, v[6:7] offset:24576
	v_and_b32_e32 v5, 7, v0
	v_and_b32_e32 v11, 8, v0
	v_lshlrev_b32_e32 v17, 3, v5
	v_lshlrev_b32_e32 v19, 7, v5
	v_lshrrev_b32_e32 v5, 1, v0
	v_and_b32_e32 v5, 24, v5
	v_mov_b32_e32 v12, 0x400
	v_cmp_eq_u32_e32 vcc, 0, v11
	s_movk_i32 s2, 0x100
	v_lshlrev_b32_e32 v24, 3, v1
	v_cndmask_b32_e64 v11, v12, 64, vcc
	v_mov_b32_e32 v12, 0xa000
	v_mov_b32_e32 v13, 0x8000
	v_cmp_gt_u32_e64 s[0:1], s2, v0
	v_xor_b32_e32 v40, v24, v5
	v_or3_b32 v11, v25, v11, v40
	v_cndmask_b32_e64 v0, v12, v13, s[0:1]
	v_or_b32_e32 v12, 0x440, v40
	v_cndmask_b32_e32 v12, v12, v40, vcc
	v_or_b32_e32 v12, v12, v25
	v_xor_b32_e32 v11, v11, v17
	v_xor_b32_e32 v47, v12, v17
	v_or_b32_e32 v90, v11, v19
	v_add3_u32 v12, v0, v47, v19
	v_or_b32_e32 v11, v0, v90
	s_waitcnt lgkmcnt(0)
	s_barrier
	ds_read_b64 v[20:21], v12
	ds_read_b64 v[42:43], v11
	v_or_b32_e32 v12, 32, v5
	v_xor_b32_e32 v12, v24, v12
	v_or_b32_e32 v13, 0x440, v12
	v_cndmask_b32_e32 v12, v13, v12, vcc
	v_or_b32_e32 v12, v12, v25
	v_xor_b32_e32 v88, v12, v17
	v_add3_u32 v12, v0, v88, v19
	ds_read2_b64 v[6:9], v10 offset1:16
	ds_read_b64 v[38:39], v12
	ds_read2_b64 v[12:15], v10 offset0:32 offset1:48
	v_or_b32_e32 v5, 0x60, v5
	v_xor_b32_e32 v5, v24, v5
	s_mul_i32 s0, s18, s17
	v_xor_b32_e32 v11, 0x440, v5
	s_waitcnt lgkmcnt(2)
	v_mfma_f32_16x16x16_bf16 a[0:3], v[20:21], v[6:7], 0
	ds_read2st64_b64 v[26:29], v2 offset0:4 offset1:8
	s_mul_hi_i32 s1, s18, s17
	ds_read2st64_b64 v[30:33], v3 offset0:4 offset1:8
	v_mfma_f32_16x16x16_bf16 a[4:7], v[20:21], v[8:9], 0
	ds_read2st64_b64 v[34:37], v4 offset0:4 offset1:8
	v_cndmask_b32_e32 v5, v11, v5, vcc
	s_add_u32 s0, s0, s33
	s_waitcnt lgkmcnt(3)
	v_mfma_f32_16x16x16_bf16 a[8:11], v[20:21], v[12:13], 0
	v_or_b32_e32 v5, v5, v25
	s_addc_u32 s1, s1, s46
	v_xor_b32_e32 v89, v5, v17
	v_mfma_f32_16x16x16_bf16 a[12:15], v[20:21], v[14:15], 0
	ds_read2st64_b64 v[20:23], v10 offset0:4 offset1:8
	s_lshl_b64 s[0:1], s[0:1], 9
	v_add3_u32 v0, v0, v89, v19
	s_add_u32 s0, s20, s0
	ds_read_b64 v[24:25], v0
	s_addc_u32 s1, s21, s1
	v_lshlrev_b32_e32 v0, 2, v16
	s_waitcnt lgkmcnt(1)
	v_mfma_f32_16x16x16_bf16 a[0:3], v[38:39], v[20:21], a[0:3]
	ds_read_b64 v[10:11], v10 offset:6144
	v_mfma_f32_16x16x16_bf16 a[4:7], v[38:39], v[26:27], a[4:7]
	v_mfma_f32_16x16x16_bf16 a[8:11], v[38:39], v[30:31], a[8:11]
	;; [unrolled: 1-line block ×3, first 2 shown]
	global_load_dwordx4 v[38:41], v0, s[0:1]
	v_lshlrev_b32_e32 v0, 6, v1
	v_lshlrev_b32_e32 v1, 2, v18
	v_or3_b32 v0, v0, v1, s2
	v_mfma_f32_16x16x16_bf16 a[0:3], v[42:43], v[22:23], a[0:3]
	s_waitcnt vmcnt(0)
	v_mul_f32_e32 v38, 0x3fb8aa3b, v38
	v_mfma_f32_16x16x16_bf16 a[4:7], v[42:43], v[28:29], a[4:7]
	v_mul_f32_e32 v39, 0x3fb8aa3b, v39
	v_exp_f32_e32 v38, v38
	v_exp_f32_e32 v39, v39
	v_mfma_f32_16x16x16_bf16 a[8:11], v[42:43], v[32:33], a[8:11]
	v_mfma_f32_16x16x16_bf16 a[12:15], v[42:43], v[36:37], a[12:15]
	ds_read_b64 v[16:17], v2 offset:6144
	ds_read_b64 v[42:43], v3 offset:6144
	;; [unrolled: 1-line block ×3, first 2 shown]
	global_load_dwordx4 v[0:3], v0, s[0:1]
	v_mov_b32_e32 v4, 0x3fb8aa3b
	v_mul_f32_e32 v4, s16, v4
	v_exp_f32_e32 v18, v4
	v_add_u32_e32 v4, v47, v19
	ds_read_b64 v[4:5], v4 offset:40960
	s_waitcnt lgkmcnt(4)
	v_mfma_f32_16x16x16_bf16 a[0:3], v[24:25], v[10:11], a[0:3]
	s_waitcnt vmcnt(0)
	v_mul_f32_e32 v0, 0x3fb8aa3b, v0
	s_waitcnt lgkmcnt(3)
	v_mfma_f32_16x16x16_bf16 a[4:7], v[24:25], v[16:17], a[4:7]
	v_exp_f32_e32 v0, v0
	s_waitcnt lgkmcnt(2)
	v_mfma_f32_16x16x16_bf16 a[8:11], v[24:25], v[42:43], a[8:11]
	s_waitcnt lgkmcnt(1)
	v_mfma_f32_16x16x16_bf16 a[12:15], v[24:25], v[44:45], a[12:15]
	v_add_u32_e32 v24, v88, v19
	v_add_u32_e32 v19, v89, v19
	ds_read_b64 v[24:25], v24 offset:40960
	ds_read_b64 v[88:89], v19 offset:40960
	s_waitcnt lgkmcnt(2)
	v_mfma_f32_16x16x16_bf16 a[20:23], v[4:5], v[8:9], 0
	v_pk_mul_f32 v[8:9], v[18:19], v[38:39] op_sel_hi:[0,1]
	s_waitcnt lgkmcnt(1)
	v_mfma_f32_16x16x16_bf16 a[20:23], v[24:25], v[26:27], a[20:23]
	v_accvgpr_read_b32 v27, a1
	v_accvgpr_read_b32 v26, a0
	v_pk_fma_f32 v[82:83], v[82:83], v[8:9], v[26:27]
	v_mfma_f32_16x16x16_bf16 a[16:19], v[4:5], v[6:7], 0
	v_mul_f32_e32 v6, 0x3fb8aa3b, v40
	v_mul_f32_e32 v7, 0x3fb8aa3b, v41
	ds_read_b64 v[26:27], v90 offset:40960
	v_exp_f32_e32 v6, v6
	v_exp_f32_e32 v7, v7
	v_mfma_f32_16x16x16_bf16 a[24:27], v[4:5], v[12:13], 0
	v_accvgpr_read_b32 v13, a3
	v_accvgpr_read_b32 v12, a2
	v_pk_mul_f32 v[6:7], v[18:19], v[6:7] op_sel_hi:[0,1]
	v_mfma_f32_16x16x16_bf16 a[28:31], v[4:5], v[14:15], 0
	v_accvgpr_read_b32 v5, a7
	v_accvgpr_read_b32 v4, a6
	v_pk_fma_f32 v[78:79], v[6:7], v[78:79], v[4:5]
	v_mfma_f32_16x16x16_bf16 a[16:19], v[24:25], v[20:21], a[16:19]
	v_accvgpr_read_b32 v4, a8
	v_accvgpr_read_b32 v5, a9
	v_pk_fma_f32 v[66:67], v[8:9], v[66:67], v[4:5]
	v_mfma_f32_16x16x16_bf16 a[0:3], v[24:25], v[30:31], a[24:27]
	v_accvgpr_read_b32 v4, a12
	v_accvgpr_read_b32 v15, a11
	;; [unrolled: 1-line block ×3, first 2 shown]
	v_pk_fma_f32 v[86:87], v[86:87], v[6:7], v[12:13]
	v_accvgpr_read_b32 v13, a5
	s_waitcnt lgkmcnt(0)
	v_mfma_f32_16x16x16_bf16 a[8:11], v[26:27], v[22:23], a[16:19]
	v_accvgpr_read_b32 v5, a13
	v_accvgpr_read_b32 v21, a15
	;; [unrolled: 1-line block ×4, first 2 shown]
	v_mfma_f32_16x16x16_bf16 a[4:7], v[24:25], v[34:35], a[28:31]
	v_pk_fma_f32 v[58:59], v[8:9], v[58:59], v[4:5]
	v_mov_b32_e32 v4, v3
	v_mov_b32_e32 v3, v2
	v_mfma_f32_16x16x16_bf16 a[12:15], v[26:27], v[28:29], a[20:23]
	v_mov_b32_e32 v2, v1
	v_mul_f32_e32 v1, 0x3fb8aa3b, v2
	v_mul_f32_e32 v2, 0x3fb8aa3b, v3
	v_mfma_f32_16x16x16_bf16 a[0:3], v[26:27], v[32:33], a[0:3]
	v_mul_f32_e32 v3, 0x3fb8aa3b, v4
	v_exp_f32_e32 v2, v2
	v_exp_f32_e32 v3, v3
	v_mfma_f32_16x16x16_bf16 a[8:11], v[88:89], v[10:11], a[8:11]
	v_exp_f32_e32 v1, v1
	v_pk_fma_f32 v[74:75], v[8:9], v[74:75], v[12:13]
	v_pk_mul_f32 v[2:3], v[18:19], v[2:3] op_sel_hi:[0,1]
	v_mfma_f32_16x16x16_bf16 a[4:7], v[26:27], v[36:37], a[4:7]
	v_pk_mul_f32 v[0:1], v[18:19], v[0:1] op_sel_hi:[0,1]
	v_pk_fma_f32 v[70:71], v[6:7], v[70:71], v[14:15]
	v_pk_fma_f32 v[62:63], v[6:7], v[62:63], v[20:21]
	v_mfma_f32_16x16x16_bf16 a[12:15], v[88:89], v[16:17], a[12:15]
	v_accvgpr_read_b32 v5, a11
	v_accvgpr_read_b32 v4, a10
	v_pk_fma_f32 v[84:85], v[84:85], v[2:3], v[4:5]
	v_mfma_f32_16x16x16_bf16 a[0:3], v[88:89], v[42:43], a[0:3]
	v_accvgpr_read_b32 v13, a9
	v_accvgpr_read_b32 v12, a8
	v_pk_fma_f32 v[80:81], v[80:81], v[0:1], v[12:13]
	v_accvgpr_read_b32 v4, a12
	v_accvgpr_read_b32 v5, a13
	v_pk_fma_f32 v[72:73], v[0:1], v[72:73], v[4:5]
	v_accvgpr_read_b32 v7, a15
	v_accvgpr_read_b32 v9, a3
	;; [unrolled: 1-line block ×3, first 2 shown]
	v_mfma_f32_16x16x16_bf16 a[2:5], v[88:89], v[44:45], a[4:7]
	v_accvgpr_read_b32 v5, a1
	v_accvgpr_read_b32 v4, a0
	v_pk_fma_f32 v[64:65], v[0:1], v[64:65], v[4:5]
	v_accvgpr_read_b32 v6, a14
	v_pk_fma_f32 v[76:77], v[2:3], v[76:77], v[6:7]
	v_pk_fma_f32 v[68:69], v[2:3], v[68:69], v[8:9]
	s_nop 0
	v_accvgpr_read_b32 v5, a3
	v_accvgpr_read_b32 v11, a5
	;; [unrolled: 1-line block ×4, first 2 shown]
	v_pk_fma_f32 v[56:57], v[0:1], v[56:57], v[4:5]
	v_pk_fma_f32 v[60:61], v[2:3], v[60:61], v[10:11]
.LBB82_99:
	s_add_u32 s0, s12, s14
	s_addc_u32 s1, s13, s15
	v_lshl_add_u64 v[0:1], v[48:49], 1, s[0:1]
	v_mov_b32_e32 v47, 0
	s_mov_b32 s2, 0x7060302
	v_lshl_add_u64 v[0:1], v[0:1], 0, v[46:47]
	v_perm_b32 v3, v87, v86, s2
	v_perm_b32 v2, v83, v82, s2
	global_store_dwordx2 v[0:1], v[2:3], off
	v_perm_b32 v3, v85, v84, s2
	v_perm_b32 v2, v81, v80, s2
	global_store_dwordx2 v[0:1], v[2:3], off offset:128
	v_lshl_add_u64 v[0:1], v[50:51], 1, s[0:1]
	v_lshl_add_u64 v[0:1], v[0:1], 0, v[46:47]
	v_perm_b32 v3, v79, v78, s2
	v_perm_b32 v2, v75, v74, s2
	global_store_dwordx2 v[0:1], v[2:3], off
	v_perm_b32 v3, v77, v76, s2
	v_perm_b32 v2, v73, v72, s2
	global_store_dwordx2 v[0:1], v[2:3], off offset:128
	v_lshl_add_u64 v[0:1], v[52:53], 1, s[0:1]
	;; [unrolled: 8-line block ×3, first 2 shown]
	v_lshl_add_u64 v[0:1], v[0:1], 0, v[46:47]
	v_perm_b32 v3, v63, v62, s2
	v_perm_b32 v2, v59, v58, s2
	global_store_dwordx2 v[0:1], v[2:3], off
	v_perm_b32 v3, v61, v60, s2
	v_perm_b32 v2, v57, v56, s2
	global_store_dwordx2 v[0:1], v[2:3], off offset:128
	s_endpgm
	.section	.rodata,"a",@progbits
	.p2align	6, 0x0
	.amdhsa_kernel _ZN12_GLOBAL__N_139chunk_gated_delta_rule_fwd_h_hip_kernelILi64ELb1ELb1ELb0ELb1ELb0ELb1ELb0ELb1EEEvPK12hip_bfloat16S3_S3_PKfS5_PKvPS1_S8_PvPKiSB_iiiiilll
		.amdhsa_group_segment_fixed_size 65536
		.amdhsa_private_segment_fixed_size 0
		.amdhsa_kernarg_size 136
		.amdhsa_user_sgpr_count 2
		.amdhsa_user_sgpr_dispatch_ptr 0
		.amdhsa_user_sgpr_queue_ptr 0
		.amdhsa_user_sgpr_kernarg_segment_ptr 1
		.amdhsa_user_sgpr_dispatch_id 0
		.amdhsa_user_sgpr_kernarg_preload_length 0
		.amdhsa_user_sgpr_kernarg_preload_offset 0
		.amdhsa_user_sgpr_private_segment_size 0
		.amdhsa_uses_dynamic_stack 0
		.amdhsa_enable_private_segment 0
		.amdhsa_system_sgpr_workgroup_id_x 1
		.amdhsa_system_sgpr_workgroup_id_y 1
		.amdhsa_system_sgpr_workgroup_id_z 0
		.amdhsa_system_sgpr_workgroup_info 0
		.amdhsa_system_vgpr_workitem_id 0
		.amdhsa_next_free_vgpr 240
		.amdhsa_next_free_sgpr 67
		.amdhsa_accum_offset 200
		.amdhsa_reserve_vcc 1
		.amdhsa_float_round_mode_32 0
		.amdhsa_float_round_mode_16_64 0
		.amdhsa_float_denorm_mode_32 3
		.amdhsa_float_denorm_mode_16_64 3
		.amdhsa_dx10_clamp 1
		.amdhsa_ieee_mode 1
		.amdhsa_fp16_overflow 0
		.amdhsa_tg_split 0
		.amdhsa_exception_fp_ieee_invalid_op 0
		.amdhsa_exception_fp_denorm_src 0
		.amdhsa_exception_fp_ieee_div_zero 0
		.amdhsa_exception_fp_ieee_overflow 0
		.amdhsa_exception_fp_ieee_underflow 0
		.amdhsa_exception_fp_ieee_inexact 0
		.amdhsa_exception_int_div_zero 0
	.end_amdhsa_kernel
	.section	.text._ZN12_GLOBAL__N_139chunk_gated_delta_rule_fwd_h_hip_kernelILi64ELb1ELb1ELb0ELb1ELb0ELb1ELb0ELb1EEEvPK12hip_bfloat16S3_S3_PKfS5_PKvPS1_S8_PvPKiSB_iiiiilll,"axG",@progbits,_ZN12_GLOBAL__N_139chunk_gated_delta_rule_fwd_h_hip_kernelILi64ELb1ELb1ELb0ELb1ELb0ELb1ELb0ELb1EEEvPK12hip_bfloat16S3_S3_PKfS5_PKvPS1_S8_PvPKiSB_iiiiilll,comdat
.Lfunc_end82:
	.size	_ZN12_GLOBAL__N_139chunk_gated_delta_rule_fwd_h_hip_kernelILi64ELb1ELb1ELb0ELb1ELb0ELb1ELb0ELb1EEEvPK12hip_bfloat16S3_S3_PKfS5_PKvPS1_S8_PvPKiSB_iiiiilll, .Lfunc_end82-_ZN12_GLOBAL__N_139chunk_gated_delta_rule_fwd_h_hip_kernelILi64ELb1ELb1ELb0ELb1ELb0ELb1ELb0ELb1EEEvPK12hip_bfloat16S3_S3_PKfS5_PKvPS1_S8_PvPKiSB_iiiiilll
                                        ; -- End function
	.section	.AMDGPU.csdata,"",@progbits
; Kernel info:
; codeLenInByte = 12756
; NumSgprs: 73
; NumVgprs: 198
; NumAgprs: 40
; TotalNumVgprs: 240
; ScratchSize: 0
; MemoryBound: 0
; FloatMode: 240
; IeeeMode: 1
; LDSByteSize: 65536 bytes/workgroup (compile time only)
; SGPRBlocks: 9
; VGPRBlocks: 29
; NumSGPRsForWavesPerEU: 73
; NumVGPRsForWavesPerEU: 240
; AccumOffset: 200
; Occupancy: 1
; WaveLimiterHint : 1
; COMPUTE_PGM_RSRC2:SCRATCH_EN: 0
; COMPUTE_PGM_RSRC2:USER_SGPR: 2
; COMPUTE_PGM_RSRC2:TRAP_HANDLER: 0
; COMPUTE_PGM_RSRC2:TGID_X_EN: 1
; COMPUTE_PGM_RSRC2:TGID_Y_EN: 1
; COMPUTE_PGM_RSRC2:TGID_Z_EN: 0
; COMPUTE_PGM_RSRC2:TIDIG_COMP_CNT: 0
; COMPUTE_PGM_RSRC3_GFX90A:ACCUM_OFFSET: 49
; COMPUTE_PGM_RSRC3_GFX90A:TG_SPLIT: 0
	.section	.text._ZN12_GLOBAL__N_139chunk_gated_delta_rule_fwd_h_hip_kernelILi64ELb1ELb0ELb1ELb1ELb0ELb1ELb0ELb1EEEvPK12hip_bfloat16S3_S3_PKfS5_PKvPS1_S8_PvPKiSB_iiiiilll,"axG",@progbits,_ZN12_GLOBAL__N_139chunk_gated_delta_rule_fwd_h_hip_kernelILi64ELb1ELb0ELb1ELb1ELb0ELb1ELb0ELb1EEEvPK12hip_bfloat16S3_S3_PKfS5_PKvPS1_S8_PvPKiSB_iiiiilll,comdat
	.globl	_ZN12_GLOBAL__N_139chunk_gated_delta_rule_fwd_h_hip_kernelILi64ELb1ELb0ELb1ELb1ELb0ELb1ELb0ELb1EEEvPK12hip_bfloat16S3_S3_PKfS5_PKvPS1_S8_PvPKiSB_iiiiilll ; -- Begin function _ZN12_GLOBAL__N_139chunk_gated_delta_rule_fwd_h_hip_kernelILi64ELb1ELb0ELb1ELb1ELb0ELb1ELb0ELb1EEEvPK12hip_bfloat16S3_S3_PKfS5_PKvPS1_S8_PvPKiSB_iiiiilll
	.p2align	8
	.type	_ZN12_GLOBAL__N_139chunk_gated_delta_rule_fwd_h_hip_kernelILi64ELb1ELb0ELb1ELb1ELb0ELb1ELb0ELb1EEEvPK12hip_bfloat16S3_S3_PKfS5_PKvPS1_S8_PvPKiSB_iiiiilll,@function
_ZN12_GLOBAL__N_139chunk_gated_delta_rule_fwd_h_hip_kernelILi64ELb1ELb0ELb1ELb1ELb0ELb1ELb0ELb1EEEvPK12hip_bfloat16S3_S3_PKfS5_PKvPS1_S8_PvPKiSB_iiiiilll: ; @_ZN12_GLOBAL__N_139chunk_gated_delta_rule_fwd_h_hip_kernelILi64ELb1ELb0ELb1ELb1ELb0ELb1ELb0ELb1EEEvPK12hip_bfloat16S3_S3_PKfS5_PKvPS1_S8_PvPKiSB_iiiiilll
; %bb.0:
	s_load_dwordx4 s[12:15], s[0:1], 0x5c
	s_load_dwordx4 s[4:7], s[0:1], 0x48
	s_abs_i32 s9, s3
	s_ashr_i32 s8, s3, 31
	v_and_b32_e32 v90, 15, v0
	s_waitcnt lgkmcnt(0)
	s_abs_i32 s10, s13
	v_cvt_f32_u32_e32 v1, s10
	s_sub_i32 s16, 0, s10
	s_ashr_i32 s11, s13, 31
	s_xor_b32 s8, s8, s11
	v_rcp_iflag_f32_e32 v1, v1
	v_lshrrev_b32_e32 v88, 6, v0
	v_bfe_u32 v89, v0, 4, 2
	v_mov_b32_e32 v7, 0
	v_mul_f32_e32 v1, 0x4f7ffffe, v1
	v_cvt_u32_f32_e32 v1, v1
	v_and_b32_e32 v45, 63, v0
	v_lshlrev_b32_e32 v91, 3, v0
	v_lshrrev_b32_e32 v92, 3, v45
	v_readfirstlane_b32 s17, v1
	s_mul_i32 s16, s16, s17
	s_mul_hi_u32 s16, s17, s16
	s_add_i32 s17, s17, s16
	s_mul_hi_u32 s16, s9, s17
	s_mul_i32 s17, s16, s10
	s_sub_i32 s9, s9, s17
	s_add_i32 s18, s16, 1
	s_sub_i32 s17, s9, s10
	s_cmp_ge_u32 s9, s10
	s_cselect_b32 s16, s18, s16
	s_cselect_b32 s9, s17, s9
	s_add_i32 s17, s16, 1
	s_cmp_ge_u32 s9, s10
	s_cselect_b32 s9, s17, s16
	s_xor_b32 s9, s9, s8
	s_sub_i32 s24, s9, s8
	s_mul_i32 s20, s24, s13
	s_ashr_i32 s25, s24, 31
	s_sub_i32 s49, s3, s20
	s_lshl_b64 s[8:9], s[24:25], 2
	s_add_u32 s4, s4, s8
	s_addc_u32 s5, s5, s9
	s_add_u32 s26, s6, s8
	s_addc_u32 s27, s7, s9
	s_abs_i32 s3, s14
	v_cvt_f32_u32_e32 v1, s3
	s_load_dwordx2 s[34:35], s[4:5], 0x0
	s_lshl_b32 s40, s2, 6
	s_ashr_i32 s2, s14, 31
	v_rcp_iflag_f32_e32 v1, v1
	s_xor_b32 s2, s11, s2
	s_waitcnt lgkmcnt(0)
	s_sub_i32 s52, s35, s34
	s_ashr_i32 s4, s52, 31
	v_mul_f32_e32 v1, 0x4f7ffffe, v1
	v_cvt_u32_f32_e32 v1, v1
	s_lshr_b32 s4, s4, 26
	s_add_i32 s4, s52, s4
	s_ashr_i32 s51, s4, 6
	s_sub_i32 s4, 0, s3
	v_readfirstlane_b32 s5, v1
	s_mul_i32 s4, s4, s5
	s_mul_hi_u32 s4, s5, s4
	s_add_i32 s5, s5, s4
	s_mul_hi_u32 s4, s10, s5
	s_mul_i32 s5, s4, s3
	s_sub_i32 s5, s10, s5
	s_add_i32 s6, s4, 1
	s_sub_i32 s7, s5, s3
	s_cmp_ge_u32 s5, s3
	s_cselect_b32 s4, s6, s4
	s_cselect_b32 s5, s7, s5
	s_add_i32 s6, s4, 1
	s_cmp_ge_u32 s5, s3
	s_cselect_b32 s3, s6, s4
	s_xor_b32 s3, s3, s2
	s_sub_i32 s2, s3, s2
	s_abs_i32 s3, s2
	v_cvt_f32_u32_e32 v1, s3
	s_sub_i32 s5, 0, s3
	s_abs_i32 s4, s49
	s_xor_b32 s2, s49, s2
	v_rcp_iflag_f32_e32 v1, v1
	s_ashr_i32 s2, s2, 31
	s_load_dwordx4 s[16:19], s[0:1], 0x28
	s_load_dwordx2 s[28:29], s[0:1], 0x38
	v_or_b32_e32 v46, s40, v90
	v_mul_f32_e32 v1, 0x4f7ffffe, v1
	v_cvt_u32_f32_e32 v1, v1
	v_lshlrev_b32_e32 v2, 7, v46
	v_or_b32_e32 v10, 0x800, v2
	v_ashrrev_i32_e32 v3, 31, v2
	v_readfirstlane_b32 s6, v1
	s_mul_i32 s5, s5, s6
	s_mul_hi_u32 s5, s6, s5
	s_add_i32 s6, s6, s5
	s_mul_hi_u32 s5, s4, s6
	s_mul_i32 s6, s5, s3
	s_sub_i32 s4, s4, s6
	s_add_i32 s6, s5, 1
	s_sub_i32 s7, s4, s3
	s_cmp_ge_u32 s4, s3
	s_cselect_b32 s5, s6, s5
	s_cselect_b32 s4, s7, s4
	s_add_i32 s6, s5, 1
	s_cmp_ge_u32 s4, s3
	s_cselect_b32 s3, s6, s5
	s_xor_b32 s3, s3, s2
	s_sub_i32 s53, s3, s2
	s_ashr_i32 s50, s49, 31
	s_mul_hi_i32 s3, s24, s13
	s_add_u32 s2, s20, s49
	s_addc_u32 s3, s3, s50
	s_lshl_b64 s[2:3], s[2:3], 15
	v_lshlrev_b32_e32 v1, 4, v88
	s_waitcnt lgkmcnt(0)
	s_add_u32 s2, s16, s2
	v_lshl_or_b32 v93, v89, 2, v1
	s_addc_u32 s3, s17, s3
	v_ashrrev_i32_e32 v11, 31, v10
	v_lshl_add_u64 v[4:5], v[2:3], 1, s[2:3]
	v_lshlrev_b32_e32 v6, 1, v93
	v_lshl_add_u64 v[10:11], v[10:11], 1, s[2:3]
	v_lshl_add_u64 v[4:5], v[4:5], 0, v[6:7]
	;; [unrolled: 1-line block ×3, first 2 shown]
	global_load_dwordx2 v[8:9], v[4:5], off
	v_or_b32_e32 v94, 64, v93
	global_load_dwordx2 v[4:5], v[4:5], off offset:128
	s_nop 0
	global_load_dwordx2 v[12:13], v[10:11], off
	global_load_dwordx2 v[14:15], v[10:11], off offset:128
	v_or_b32_e32 v10, 0x1000, v2
	v_or_b32_e32 v2, 0x1800, v2
	v_ashrrev_i32_e32 v11, 31, v10
	v_ashrrev_i32_e32 v3, 31, v2
	v_lshl_add_u64 v[10:11], v[10:11], 1, s[2:3]
	v_lshl_add_u64 v[2:3], v[2:3], 1, s[2:3]
	;; [unrolled: 1-line block ×4, first 2 shown]
	global_load_dwordx2 v[16:17], v[10:11], off
	s_mul_hi_i32 s54, s49, s12
	global_load_dwordx2 v[10:11], v[10:11], off offset:128
	s_nop 0
	global_load_dwordx2 v[6:7], v[2:3], off
	global_load_dwordx2 v[18:19], v[2:3], off offset:128
	s_load_dwordx8 s[4:11], s[0:1], 0x0
	s_load_dwordx2 s[30:31], s[0:1], 0x80
	s_load_dwordx4 s[20:23], s[0:1], 0x70
	s_load_dword s56, s[26:27], 0x0
	s_mul_i32 s55, s49, s12
	s_cmp_lt_i32 s52, 64
	s_waitcnt lgkmcnt(0)
	s_mul_i32 s33, s24, s21
	s_mul_hi_u32 s44, s24, s20
	s_mul_i32 s45, s25, s20
	s_mul_i32 s38, s24, s20
	;; [unrolled: 1-line block ×3, first 2 shown]
	s_mul_hi_u32 s47, s49, s22
	s_mul_i32 s48, s50, s22
	s_mul_i32 s36, s49, s22
	s_waitcnt vmcnt(7)
	v_and_b32_e32 v75, 0xffff0000, v8
	v_lshlrev_b32_e32 v74, 16, v8
	v_and_b32_e32 v79, 0xffff0000, v9
	v_lshlrev_b32_e32 v78, 16, v9
	s_waitcnt vmcnt(6)
	v_and_b32_e32 v73, 0xffff0000, v4
	v_lshlrev_b32_e32 v72, 16, v4
	v_and_b32_e32 v77, 0xffff0000, v5
	v_lshlrev_b32_e32 v76, 16, v5
	;; [unrolled: 5-line block ×8, first 2 shown]
	s_cbranch_scc1 .LBB83_18
; %bb.1:
	s_ashr_i32 s3, s34, 31
	s_add_u32 s2, s55, s34
	s_addc_u32 s3, s54, s3
	s_lshl_b64 s[2:3], s[2:3], 8
	v_and_b32_e32 v96, 56, v91
	s_add_u32 s20, s6, s2
	v_lshl_or_b32 v95, v88, 3, v92
	v_lshlrev_b32_e32 v2, 1, v96
	s_addc_u32 s2, s7, s3
	v_lshl_or_b32 v97, v95, 8, v2
	s_and_b32 s21, s2, 0xffff
	s_mov_b32 s23, 0x20000
	s_movk_i32 s22, 0x4000
	s_movk_i32 s2, 0x80
	v_or_b32_e32 v98, 0x2000, v97
	buffer_load_dwordx4 v[4:7], v97, s[20:23], 0 offen
	buffer_load_dwordx4 v[8:11], v97, s[20:23], s2 offen
	;; [unrolled: 1-line block ×4, first 2 shown]
	v_lshlrev_b32_e32 v3, 3, v95
	v_and_or_b32 v21, v0, 7, v3
	v_and_b32_e32 v3, 0x78, v3
	v_lshlrev_b32_e32 v21, 4, v21
	v_xor_b32_e32 v99, v21, v3
	v_mul_lo_u32 v20, v95, s15
	v_or_b32_e32 v100, 0x1000, v99
	v_xor_b32_e32 v3, 8, v99
	s_cmpk_eq_i32 s15, 0x80
	s_mov_b32 s57, s34
	v_xor_b32_e32 v21, 8, v100
	s_cselect_b64 s[2:3], -1, 0
	s_cmpk_lg_i32 s15, 0x80
	s_waitcnt vmcnt(3)
	ds_write_b64 v99, v[4:5] offset:49152
	ds_write_b64 v3, v[6:7] offset:49152
	s_waitcnt vmcnt(2)
	ds_write_b64 v99, v[8:9] offset:57344
	ds_write_b64 v3, v[10:11] offset:57344
	;; [unrolled: 3-line block ×4, first 2 shown]
	v_lshl_add_u32 v3, v20, 1, v96
	s_cbranch_scc0 .LBB83_3
; %bb.2:
	v_lshlrev_b32_e32 v5, 1, v3
	v_add_lshl_u32 v4, v3, s15, 1
	s_lshl_b32 s22, s15, 7
	s_load_dwordx2 s[16:17], s[0:1], 0x20
	v_lshl_or_b32 v2, v95, 9, v2
	s_cbranch_execz .LBB83_4
	s_branch .LBB83_5
.LBB83_3:
                                        ; implicit-def: $vgpr4
                                        ; implicit-def: $vgpr5
                                        ; implicit-def: $sgpr22
	s_load_dwordx2 s[16:17], s[0:1], 0x20
	v_lshl_or_b32 v2, v95, 9, v2
.LBB83_4:
	v_or_b32_e32 v4, 0x100, v2
	s_movk_i32 s22, 0x4000
	v_mov_b32_e32 v5, v2
.LBB83_5:
	s_mul_i32 s0, s34, s14
	s_ashr_i32 s58, s53, 31
	s_mul_hi_i32 s1, s34, s14
	s_add_u32 s0, s0, s53
	s_addc_u32 s1, s1, s58
	s_lshl_b64 s[0:1], s[0:1], 8
	s_add_u32 s20, s4, s0
	s_addc_u32 s0, s5, s1
	s_and_b32 s21, s0, 0xffff
	s_movk_i32 s59, 0x80
	buffer_load_dwordx4 v[6:9], v5, s[20:23], 0 offen
	buffer_load_dwordx4 v[10:13], v5, s[20:23], s59 offen
	;; [unrolled: 1-line block ×4, first 2 shown]
	v_and_b32_e32 v5, 6, v0
	v_lshlrev_b32_e32 v4, 7, v93
	v_xor_b32_e32 v27, v95, v5
	v_and_b32_e32 v22, 1, v0
	v_lshl_or_b32 v30, v90, 3, v4
	v_lshlrev_b32_e32 v27, 2, v27
	v_lshlrev_b32_e32 v23, 2, v90
	v_or_b32_e32 v101, 0x4000, v30
	v_or_b32_e32 v102, 0x6000, v30
	v_xor_b32_e32 v30, 0x440, v27
	v_cmp_eq_u32_e32 vcc, 0, v22
	v_or_b32_e32 v25, 16, v90
	v_or_b32_e32 v26, 32, v90
	v_xor_b32_e32 v28, v93, v23
	v_xor_b32_e32 v29, v94, v23
	v_cndmask_b32_e32 v22, v30, v27, vcc
	s_mov_b32 s60, 0x1000504
	v_lshl_or_b32 v31, v25, 3, v4
	v_lshlrev_b32_e32 v25, 8, v25
	v_lshl_or_b32 v32, v26, 3, v4
	v_lshlrev_b32_e32 v28, 1, v28
	v_lshlrev_b32_e32 v29, 1, v29
	v_lshl_or_b32 v5, v5, 10, v22
	s_add_i32 s0, s44, s33
	s_mov_b32 s61, 0x3020706
	v_lshlrev_b32_e32 v24, 8, v90
	v_or_b32_e32 v105, 0x4000, v32
	v_or_b32_e32 v106, 0x6000, v32
	;; [unrolled: 1-line block ×4, first 2 shown]
	v_xor_b32_e32 v22, 8, v5
	v_xor_b32_e32 v25, 24, v5
	;; [unrolled: 1-line block ×4, first 2 shown]
	s_add_i32 s39, s0, s45
	s_add_i32 s0, s47, s46
	v_or_b32_e32 v103, 0x4000, v31
	v_or_b32_e32 v104, 0x6000, v31
	;; [unrolled: 1-line block ×4, first 2 shown]
	v_xor_b32_e32 v24, 16, v5
	v_xor_b32_e32 v27, 32, v5
	v_xor_b32_e32 v31, 48, v5
	v_add_u32_e32 v22, 0x80, v22
	v_add_u32_e32 v25, 0x80, v25
	;; [unrolled: 1-line block ×4, first 2 shown]
	s_add_i32 s37, s0, s48
	s_lshl_b64 s[0:1], s[38:39], 2
	s_add_u32 s20, s10, s0
	s_addc_u32 s21, s11, s1
	s_lshl_b64 s[0:1], s[36:37], 2
	s_add_u32 s42, s20, s0
	s_movk_i32 s0, 0xf8
	s_addc_u32 s43, s21, s1
	s_ashr_i32 s41, s40, 31
	s_lshl_b32 s26, s15, 7
	v_mov_b32_e32 v81, 0
	s_movk_i32 s20, 0x100
	v_lshlrev_b32_e32 v80, 4, v90
	v_ashrrev_i32_e32 v47, 31, v46
	v_lshlrev_b32_e32 v26, 8, v26
	s_mov_b32 s62, 0
	s_movk_i32 s22, 0x4000
	v_or_b32_e32 v111, v26, v28
	v_or_b32_e32 v112, v26, v29
	s_mov_b32 s37, 0x7060302
	s_movk_i32 s39, 0x2000
	v_mov_b32_e32 v146, 0x3fb8aa3b
	s_waitcnt vmcnt(1)
	v_perm_b32 v33, v6, v14, s60
	s_waitcnt vmcnt(0)
	v_perm_b32 v34, v10, v18, s60
	v_perm_b32 v6, v6, v14, s61
	;; [unrolled: 1-line block ×15, first 2 shown]
	ds_write2st64_b32 v5, v33, v34 offset0:128 offset1:160
	ds_write2st64_b32 v22, v6, v10 offset0:128 offset1:160
	;; [unrolled: 1-line block ×8, first 2 shown]
	v_or_b32_e32 v5, 48, v90
	v_lshl_or_b32 v6, v5, 3, v4
	v_lshlrev_b32_e32 v5, 8, v5
	v_or_b32_e32 v115, v5, v28
	v_or_b32_e32 v116, v5, v29
	v_or_b32_e32 v5, v1, v90
	v_lshlrev_b32_e32 v5, 3, v5
	v_lshrrev_b32_e32 v7, 5, v45
	v_and_or_b32 v7, v5, s0, v7
	v_lshlrev_b32_e32 v7, 4, v7
	v_or_b32_e32 v113, 0x4000, v6
	v_or_b32_e32 v114, 0x6000, v6
	v_lshrrev_b32_e32 v6, 2, v45
	v_lshlrev_b32_e32 v9, 11, v88
	v_and_b32_e32 v5, 0x78, v5
	v_or_b32_e32 v13, 32, v7
	v_and_b32_e32 v8, 12, v6
	v_and_b32_e32 v6, 0x1000, v9
	v_xor_b32_e32 v10, v7, v5
	v_lshrrev_b32_e32 v11, 1, v45
	v_xor_b32_e32 v13, v13, v5
	v_or_b32_e32 v10, v10, v6
	v_and_b32_e32 v11, 8, v11
	v_or_b32_e32 v13, v13, v6
	v_xor_b32_e32 v117, v10, v11
	v_lshlrev_b32_e32 v10, 8, v89
	v_xor_b32_e32 v119, v13, v11
	v_or_b32_e32 v13, 64, v7
	v_or_b32_e32 v7, 0x60, v7
	;; [unrolled: 1-line block ×3, first 2 shown]
	v_xor_b32_e32 v13, v13, v5
	v_xor_b32_e32 v5, v7, v5
	s_lshl_b64 s[0:1], s[40:41], 8
	v_lshlrev_b32_e32 v12, 1, v12
	v_or_b32_e32 v13, v13, v6
	v_or_b32_e32 v5, v5, v6
	s_add_u32 s0, s18, s0
	v_lshlrev_b32_e32 v6, 1, v90
	v_lshlrev_b32_e32 v15, 2, v0
	v_or_b32_e32 v118, 0x4000, v12
	v_or_b32_e32 v120, 0x4080, v12
	;; [unrolled: 1-line block ×4, first 2 shown]
	v_xor_b32_e32 v123, v13, v11
	v_xor_b32_e32 v124, v5, v11
	v_or_b32_e32 v125, 0x6000, v12
	v_or_b32_e32 v126, 0x6080, v12
	v_or_b32_e32 v127, 0x6100, v12
	v_or_b32_e32 v128, 0x6180, v12
	v_lshlrev_b32_e32 v5, 1, v3
	v_add_lshl_u32 v3, v3, s15, 1
	v_or_b32_e32 v11, 0x100, v2
	v_lshrrev_b32_e32 v12, 4, v0
	s_addc_u32 s1, s19, s1
	v_or_b32_e32 v7, 1, v6
	v_lshrrev_b32_e32 v16, 1, v0
	v_and_or_b32 v10, v15, 60, v10
	v_xor_b32_e32 v13, v12, v6
	v_xor_b32_e32 v14, v7, v12
	v_lshl_add_u64 v[6:7], s[0:1], 0, v[80:81]
	v_and_b32_e32 v16, 24, v16
	v_lshlrev_b32_e32 v10, 1, v10
	v_cndmask_b32_e64 v135, v5, v2, s[2:3]
	v_cndmask_b32_e64 v136, v3, v11, s[2:3]
	v_mov_b32_e32 v3, 0xa000
	v_mov_b32_e32 v5, 0x8000
	v_cmp_gt_u32_e64 s[0:1], s20, v0
	v_lshlrev_b32_e32 v80, 8, v12
	v_or_b32_e32 v131, 0x6000, v10
	v_or_b32_e32 v15, 32, v16
	;; [unrolled: 1-line block ×6, first 2 shown]
	v_cndmask_b32_e64 v3, v3, v5, s[0:1]
	v_lshlrev_b32_e32 v5, 3, v88
	v_lshl_or_b32 v129, v13, 3, v80
	v_and_b32_e32 v13, 8, v0
	v_xor_b32_e32 v11, v5, v16
	v_xor_b32_e32 v15, v5, v15
	;; [unrolled: 1-line block ×3, first 2 shown]
	v_mov_b32_e32 v17, 0x400
	v_cmp_eq_u32_e32 vcc, 0, v13
	v_or_b32_e32 v16, 0x440, v11
	v_or_b32_e32 v18, 0x440, v15
	v_xor_b32_e32 v10, 0x440, v5
	v_and_b32_e32 v12, 7, v0
	v_cndmask_b32_e64 v13, v17, 64, vcc
	v_cndmask_b32_e32 v16, v16, v11, vcc
	v_cndmask_b32_e32 v15, v18, v15, vcc
	;; [unrolled: 1-line block ×3, first 2 shown]
	v_lshl_or_b32 v130, v14, 3, v80
	v_lshlrev_b32_e32 v14, 3, v12
	v_or_b32_e32 v16, v16, v9
	v_or_b32_e32 v15, v15, v9
	v_or3_b32 v11, v9, v13, v11
	v_or_b32_e32 v5, v5, v9
	v_lshlrev_b32_e32 v12, 7, v12
	v_xor_b32_e32 v16, v16, v14
	v_xor_b32_e32 v15, v15, v14
	;; [unrolled: 1-line block ×4, first 2 shown]
	v_or_b32_e32 v2, v1, v8
	v_add_u32_e32 v17, v3, v16
	v_add_u32_e32 v18, v3, v15
	v_or_b32_e32 v137, v11, v12
	v_add_u32_e32 v9, v3, v5
	v_or3_b32 v8, v1, v8, 64
	v_add_u32_e32 v13, 0xa000, v16
	v_add_u32_e32 v14, 0xa000, v15
	;; [unrolled: 1-line block ×3, first 2 shown]
	v_lshlrev_b64 v[10:11], 1, v[46:47]
	v_lshl_add_u64 v[82:83], s[8:9], 0, v[10:11]
	v_lshl_add_u64 v[84:85], s[28:29], 0, v[10:11]
	;; [unrolled: 1-line block ×3, first 2 shown]
	v_lshlrev_b32_e32 v80, 1, v4
	s_movk_i32 s41, 0x3000
	v_lshlrev_b32_e32 v47, 2, v2
	v_add_u32_e32 v138, v17, v12
	v_add_u32_e32 v139, v18, v12
	;; [unrolled: 1-line block ×4, first 2 shown]
	v_lshlrev_b32_e32 v142, 2, v8
	v_add_u32_e32 v143, v13, v12
	v_add_u32_e32 v144, v14, v12
	;; [unrolled: 1-line block ×3, first 2 shown]
	s_waitcnt lgkmcnt(0)
	s_barrier
.LBB83_6:                               ; =>This Inner Loop Header: Depth=1
	s_add_i32 s63, s62, 1
	s_cmp_lt_i32 s63, s51
	s_mov_b64 s[24:25], 0
	s_cselect_b64 s[2:3], -1, 0
	s_cmp_ge_i32 s63, s51
	s_mov_b64 s[20:21], 0
	s_cbranch_scc1 .LBB83_8
; %bb.7:                                ;   in Loop: Header=BB83_6 Depth=1
	s_add_i32 s0, s57, 64
	s_ashr_i32 s1, s0, 31
	s_add_u32 s0, s55, s0
	s_addc_u32 s1, s54, s1
	s_lshl_b64 s[0:1], s[0:1], 8
	s_add_u32 s20, s6, s0
	s_addc_u32 s21, s7, s1
.LBB83_8:                               ;   in Loop: Header=BB83_6 Depth=1
	v_cndmask_b32_e64 v2, 0, 1, s[2:3]
	v_cmp_ne_u32_e64 s[0:1], 1, v2
	s_andn2_b64 vcc, exec, s[2:3]
	s_cbranch_vccnz .LBB83_10
; %bb.9:                                ;   in Loop: Header=BB83_6 Depth=1
	s_add_i32 s2, s57, 64
	s_mul_hi_i32 s3, s2, s14
	s_mul_i32 s2, s2, s14
	s_add_u32 s2, s2, s53
	s_addc_u32 s3, s3, s58
	s_lshl_b64 s[2:3], s[2:3], 8
	s_add_u32 s24, s4, s2
	s_addc_u32 s25, s5, s3
.LBB83_10:                              ;   in Loop: Header=BB83_6 Depth=1
	v_perm_b32 v3, v79, v78, s37
	v_perm_b32 v2, v75, v74, s37
	v_perm_b32 v5, v77, v76, s37
	v_perm_b32 v4, v73, v72, s37
	ds_write_b64 v101, v[2:3]
	ds_write_b64 v102, v[4:5]
	ds_write_b64 v107, v[2:3]
	ds_write_b64 v108, v[4:5]
	v_perm_b32 v3, v71, v70, s37
	v_perm_b32 v2, v67, v66, s37
	v_perm_b32 v5, v69, v68, s37
	v_perm_b32 v4, v65, v64, s37
	ds_write_b64 v103, v[2:3]
	ds_write_b64 v104, v[4:5]
	ds_write_b64 v109, v[2:3]
	ds_write_b64 v110, v[4:5]
	;; [unrolled: 8-line block ×4, first 2 shown]
	s_waitcnt lgkmcnt(0)
	s_barrier
	ds_read_b64 v[6:7], v117 offset:49152
	ds_read2_b64 v[2:5], v118 offset1:16
	ds_read_b64 v[18:19], v120 offset:6144
	ds_read_b64 v[20:21], v118 offset:6144
	s_waitcnt lgkmcnt(2)
	v_mfma_f32_16x16x16_bf16 a[0:3], v[6:7], v[2:3], 0
	ds_read_b64 v[22:23], v119 offset:49152
	ds_read2st64_b64 v[10:13], v121 offset0:4 offset1:8
	ds_read2st64_b64 v[14:17], v122 offset0:4 offset1:8
	v_mfma_f32_16x16x16_bf16 a[4:7], v[6:7], v[4:5], 0
	ds_read2_b64 v[2:5], v118 offset0:32 offset1:48
	s_add_i32 s64, s57, 63
	s_ashr_i32 s2, s64, 31
	s_waitcnt lgkmcnt(0)
	v_mfma_f32_16x16x16_bf16 a[8:11], v[6:7], v[2:3], 0
	s_mul_i32 s3, s64, s31
	s_mul_hi_u32 s27, s64, s30
	s_add_i32 s3, s27, s3
	v_mfma_f32_16x16x16_bf16 a[12:15], v[6:7], v[4:5], 0
	ds_read2st64_b64 v[2:5], v118 offset0:4 offset1:8
	ds_read2st64_b64 v[6:9], v120 offset0:4 offset1:8
	s_mul_i32 s2, s2, s30
	s_waitcnt lgkmcnt(1)
	v_mfma_f32_16x16x16_bf16 a[0:3], v[22:23], v[2:3], a[0:3]
	s_add_i32 s3, s3, s2
	s_mul_i32 s2, s64, s30
	s_lshl_b64 s[2:3], s[2:3], 2
	s_waitcnt lgkmcnt(0)
	v_mfma_f32_16x16x16_bf16 a[4:7], v[22:23], v[6:7], a[4:7]
	s_add_u32 s2, s42, s2
	s_addc_u32 s3, s43, s3
	s_and_b64 vcc, exec, s[0:1]
	v_mfma_f32_16x16x16_bf16 a[8:11], v[22:23], v[10:11], a[8:11]
	ds_read_b64 v[2:3], v123 offset:49152
	ds_read_b64 v[6:7], v124 offset:49152
	;; [unrolled: 1-line block ×3, first 2 shown]
	v_mov_b32_e32 v149, 0
	v_mov_b32_e32 v148, 0
	v_mfma_f32_16x16x16_bf16 a[12:15], v[22:23], v[14:15], a[12:15]
	v_mov_b32_e32 v147, 0
	v_mov_b32_e32 v14, 0
	;; [unrolled: 1-line block ×3, first 2 shown]
	s_waitcnt lgkmcnt(2)
	v_mfma_f32_16x16x16_bf16 a[0:3], v[2:3], v[4:5], a[0:3]
	v_mov_b32_e32 v4, 0
	v_mov_b32_e32 v5, 0
	v_mfma_f32_16x16x16_bf16 a[4:7], v[2:3], v[8:9], a[4:7]
	v_mov_b32_e32 v8, 0
	v_mov_b32_e32 v9, 0
	;; [unrolled: 3-line block ×3, first 2 shown]
	v_mfma_f32_16x16x16_bf16 a[12:15], v[2:3], v[16:17], a[12:15]
	ds_read_b64 v[2:3], v121 offset:6144
	v_mov_b32_e32 v16, 0
	v_mov_b32_e32 v17, 0
	s_waitcnt lgkmcnt(2)
	v_mfma_f32_16x16x16_bf16 a[0:3], v[6:7], v[20:21], a[0:3]
	v_mfma_f32_16x16x16_bf16 a[4:7], v[6:7], v[18:19], a[4:7]
	s_waitcnt lgkmcnt(0)
	v_mfma_f32_16x16x16_bf16 a[8:11], v[6:7], v[2:3], a[8:11]
	v_mov_b32_e32 v2, 0
	v_mov_b32_e32 v3, 0
	v_mfma_f32_16x16x16_bf16 a[12:15], v[6:7], v[10:11], a[12:15]
	v_mov_b32_e32 v6, 0
	v_mov_b32_e32 v7, 0
	;; [unrolled: 1-line block ×4, first 2 shown]
	s_cbranch_vccnz .LBB83_12
; %bb.11:                               ;   in Loop: Header=BB83_6 Depth=1
	s_and_b32 s21, s21, 0xffff
	buffer_load_dwordx4 v[14:17], v97, s[20:23], 0 offen
	buffer_load_dwordx4 v[10:13], v97, s[20:23], s59 offen
	;; [unrolled: 1-line block ×4, first 2 shown]
	v_mov_b32_e32 v148, v99
	v_mov_b32_e32 v147, v100
.LBB83_12:                              ;   in Loop: Header=BB83_6 Depth=1
	ds_read_b64 v[38:39], v117 offset:57344
	ds_read2_b64 v[18:21], v125 offset1:16
	ds_read_b64 v[40:41], v119 offset:57344
	ds_read_b64 v[42:43], v123 offset:57344
	;; [unrolled: 1-line block ×3, first 2 shown]
	s_waitcnt lgkmcnt(3)
	v_mfma_f32_16x16x16_bf16 a[0:3], v[38:39], v[18:19], a[0:3]
	v_mfma_f32_16x16x16_bf16 a[4:7], v[38:39], v[20:21], a[4:7]
	ds_read2_b64 v[18:21], v125 offset0:32 offset1:48
	ds_read2st64_b64 v[22:25], v125 offset0:4 offset1:8
	ds_read2st64_b64 v[26:29], v126 offset0:4 offset1:8
	;; [unrolled: 1-line block ×4, first 2 shown]
	s_waitcnt lgkmcnt(4)
	v_mfma_f32_16x16x16_bf16 a[8:11], v[38:39], v[18:19], a[8:11]
	v_mfma_f32_16x16x16_bf16 a[12:15], v[38:39], v[20:21], a[12:15]
	v_add_u32_e32 v38, s57, v93
	v_ashrrev_i32_e32 v18, 31, v38
	v_mul_lo_u32 v20, v18, s30
	v_mul_lo_u32 v21, v38, s31
	v_mad_u64_u32 v[18:19], s[20:21], v38, s30, 0
	v_add3_u32 v19, v19, v21, v20
	v_add_u32_e32 v20, 1, v38
	v_ashrrev_i32_e32 v21, 31, v20
	s_waitcnt lgkmcnt(3)
	v_mfma_f32_16x16x16_bf16 a[0:3], v[40:41], v[22:23], a[0:3]
	v_mul_lo_u32 v22, v21, s30
	v_mul_lo_u32 v23, v20, s31
	v_mad_u64_u32 v[20:21], s[20:21], v20, s30, 0
	v_add3_u32 v21, v21, v23, v22
	v_add_u32_e32 v22, 2, v38
	v_ashrrev_i32_e32 v23, 31, v22
	s_waitcnt lgkmcnt(2)
	v_mfma_f32_16x16x16_bf16 a[4:7], v[40:41], v[26:27], a[4:7]
	v_mul_lo_u32 v26, v23, s30
	v_mul_lo_u32 v27, v22, s31
	v_mad_u64_u32 v[22:23], s[20:21], v22, s30, 0
	v_lshl_add_u64 v[18:19], v[18:19], 2, s[42:43]
	v_lshl_add_u64 v[20:21], v[20:21], 2, s[42:43]
	v_add3_u32 v23, v23, v27, v26
	v_add_u32_e32 v26, 3, v38
	s_waitcnt lgkmcnt(1)
	v_mfma_f32_16x16x16_bf16 a[8:11], v[40:41], v[30:31], a[8:11]
	global_load_dword v31, v[18:19], off
	v_ashrrev_i32_e32 v27, 31, v26
	v_mul_lo_u32 v27, v27, s30
	s_waitcnt lgkmcnt(0)
	v_mfma_f32_16x16x16_bf16 a[12:15], v[40:41], v[34:35], a[12:15]
	global_load_dword v34, v[20:21], off
	v_mad_u64_u32 v[18:19], s[20:21], v26, s30, 0
	s_ashr_i32 s21, s57, 31
	v_mul_lo_u32 v30, v26, s31
	s_add_u32 s20, s55, s57
	v_lshl_add_u64 v[22:23], v[22:23], 2, s[42:43]
	v_add3_u32 v19, v19, v30, v27
	s_addc_u32 s21, s54, s21
	v_lshl_add_u64 v[18:19], v[18:19], 2, s[42:43]
	global_load_dword v30, v[22:23], off
	global_load_dword v35, v[18:19], off
	s_lshl_b64 s[20:21], s[20:21], 8
	v_lshl_add_u64 v[18:19], v[82:83], 0, s[20:21]
	v_lshl_add_u64 v[18:19], v[18:19], 0, v[80:81]
	global_load_ushort v38, v[18:19], off offset:256
	global_load_ushort v39, v[18:19], off
	global_load_ushort v40, v[18:19], off offset:768
	global_load_ushort v41, v[18:19], off offset:512
	;; [unrolled: 1-line block ×6, first 2 shown]
	s_load_dword s2, s[2:3], 0x0
	v_mfma_f32_16x16x16_bf16 a[12:15], v[42:43], v[36:37], a[12:15]
	global_load_ushort v36, v[18:19], off offset:320
	global_load_ushort v37, v[18:19], off offset:64
	s_and_b64 vcc, exec, s[0:1]
	v_mfma_f32_16x16x16_bf16 a[0:3], v[42:43], v[24:25], a[0:3]
	ds_read_b64 v[20:21], v125 offset:6144
	ds_read_b64 v[22:23], v126 offset:6144
	;; [unrolled: 1-line block ×4, first 2 shown]
	v_mfma_f32_16x16x16_bf16 a[4:7], v[42:43], v[28:29], a[4:7]
	s_waitcnt vmcnt(11) lgkmcnt(0)
	v_sub_f32_e32 v28, s2, v30
	v_mfma_f32_16x16x16_bf16 a[8:11], v[42:43], v[32:33], a[8:11]
	global_load_ushort v42, v[18:19], off offset:832
	global_load_ushort v43, v[18:19], off offset:576
	global_load_ushort v155, v[18:19], off offset:352
	global_load_ushort v156, v[18:19], off offset:96
	global_load_ushort v157, v[18:19], off offset:864
	global_load_ushort v158, v[18:19], off offset:608
	v_mfma_f32_16x16x16_bf16 a[0:3], v[150:151], v[20:21], a[0:3]
	s_waitcnt vmcnt(16)
	v_sub_f32_e32 v29, s2, v35
	v_mul_f32_e32 v28, 0x3fb8aa3b, v28
	v_mul_f32_e32 v29, 0x3fb8aa3b, v29
	v_exp_f32_e32 v28, v28
	v_exp_f32_e32 v29, v29
	s_waitcnt vmcnt(15)
	v_lshlrev_b32_e32 v33, 16, v38
	s_waitcnt vmcnt(14)
	v_lshlrev_b32_e32 v32, 16, v39
	v_accvgpr_read_b32 v21, a3
	v_accvgpr_read_b32 v20, a2
	v_mfma_f32_16x16x16_bf16 a[2:5], v[150:151], v[22:23], a[4:7]
	v_mfma_f32_16x16x16_bf16 a[6:9], v[150:151], v[24:25], a[8:11]
	s_nop 5
	v_accvgpr_read_b32 v23, a5
	v_accvgpr_read_b32 v22, a4
	;; [unrolled: 1-line block ×4, first 2 shown]
	v_mfma_f32_16x16x16_bf16 a[8:11], v[150:151], v[26:27], a[12:15]
	v_sub_f32_e32 v26, s2, v31
	v_sub_f32_e32 v27, s2, v34
	v_mul_f32_e32 v26, 0x3fb8aa3b, v26
	v_mul_f32_e32 v27, 0x3fb8aa3b, v27
	v_exp_f32_e32 v26, v26
	v_exp_f32_e32 v27, v27
	v_accvgpr_read_b32 v35, a1
	v_accvgpr_read_b32 v34, a0
	v_lshl_add_u64 v[30:31], v[84:85], 0, s[20:21]
	v_pk_add_f32 v[32:33], v[32:33], v[34:35] neg_lo:[0,1] neg_hi:[0,1]
	s_waitcnt vmcnt(13)
	v_lshlrev_b32_e32 v35, 16, v40
	s_waitcnt vmcnt(12)
	v_lshlrev_b32_e32 v34, 16, v41
	v_lshl_add_u64 v[30:31], v[30:31], 0, v[80:81]
	v_pk_add_f32 v[20:21], v[34:35], v[20:21] neg_lo:[0,1] neg_hi:[0,1]
	global_store_short_d16_hi v[30:31], v32, off
	global_store_short_d16_hi v[30:31], v33, off offset:256
	global_store_short_d16_hi v[30:31], v20, off offset:512
	;; [unrolled: 1-line block ×3, first 2 shown]
	v_pk_mul_f32 v[32:33], v[26:27], v[32:33]
	v_pk_mul_f32 v[20:21], v[28:29], v[20:21]
	v_accvgpr_read_b32 v35, a3
	v_perm_b32 v21, v21, v20, s37
	v_perm_b32 v20, v33, v32, s37
	s_waitcnt vmcnt(15)
	v_lshlrev_b32_e32 v33, 16, v44
	s_waitcnt vmcnt(14)
	v_lshlrev_b32_e32 v32, 16, v152
	v_accvgpr_read_b32 v34, a2
	v_pk_add_f32 v[32:33], v[32:33], v[34:35] neg_lo:[0,1] neg_hi:[0,1]
	s_waitcnt vmcnt(13)
	v_lshlrev_b32_e32 v35, 16, v153
	s_waitcnt vmcnt(12)
	v_lshlrev_b32_e32 v34, 16, v154
	v_pk_add_f32 v[22:23], v[34:35], v[22:23] neg_lo:[0,1] neg_hi:[0,1]
	global_store_short_d16_hi v[30:31], v32, off offset:32
	global_store_short_d16_hi v[30:31], v33, off offset:288
	;; [unrolled: 1-line block ×4, first 2 shown]
	v_pk_mul_f32 v[32:33], v[26:27], v[32:33]
	v_pk_mul_f32 v[22:23], v[28:29], v[22:23]
	v_accvgpr_read_b32 v25, a11
	v_perm_b32 v23, v23, v22, s37
	v_perm_b32 v22, v33, v32, s37
	ds_write2_b64 v102, v[20:21], v[22:23] offset1:16
	v_accvgpr_read_b32 v23, a7
	s_waitcnt vmcnt(15)
	v_lshlrev_b32_e32 v21, 16, v36
	s_waitcnt vmcnt(14)
	v_lshlrev_b32_e32 v20, 16, v37
	v_accvgpr_read_b32 v22, a6
	v_pk_add_f32 v[20:21], v[20:21], v[22:23] neg_lo:[0,1] neg_hi:[0,1]
	global_store_short_d16_hi v[30:31], v20, off offset:64
	global_store_short_d16_hi v[30:31], v21, off offset:320
	v_pk_mul_f32 v[20:21], v[26:27], v[20:21]
	v_accvgpr_read_b32 v24, a10
	v_perm_b32 v20, v21, v20, s37
	v_mov_b32_e32 v150, 0
	v_mov_b32_e32 v32, 0
	;; [unrolled: 1-line block ×3, first 2 shown]
	s_waitcnt vmcnt(15)
	v_lshlrev_b32_e32 v23, 16, v42
	s_waitcnt vmcnt(14)
	v_lshlrev_b32_e32 v22, 16, v43
	v_pk_add_f32 v[18:19], v[22:23], v[18:19] neg_lo:[0,1] neg_hi:[0,1]
	global_store_short_d16_hi v[30:31], v18, off offset:576
	global_store_short_d16_hi v[30:31], v19, off offset:832
	v_pk_mul_f32 v[18:19], v[28:29], v[18:19]
	v_accvgpr_read_b32 v23, a9
	v_perm_b32 v21, v19, v18, s37
	s_waitcnt vmcnt(15)
	v_lshlrev_b32_e32 v19, 16, v155
	s_waitcnt vmcnt(14)
	v_lshlrev_b32_e32 v18, 16, v156
	v_accvgpr_read_b32 v22, a8
	v_pk_add_f32 v[18:19], v[18:19], v[22:23] neg_lo:[0,1] neg_hi:[0,1]
	s_waitcnt vmcnt(13)
	v_lshlrev_b32_e32 v23, 16, v157
	s_waitcnt vmcnt(12)
	v_lshlrev_b32_e32 v22, 16, v158
	v_pk_add_f32 v[22:23], v[22:23], v[24:25] neg_lo:[0,1] neg_hi:[0,1]
	global_store_short_d16_hi v[30:31], v18, off offset:96
	global_store_short_d16_hi v[30:31], v19, off offset:352
	;; [unrolled: 1-line block ×4, first 2 shown]
	v_pk_mul_f32 v[18:19], v[26:27], v[18:19]
	v_pk_mul_f32 v[22:23], v[28:29], v[22:23]
	v_mov_b32_e32 v24, 0
	v_perm_b32 v23, v23, v22, s37
	v_perm_b32 v22, v19, v18, s37
	ds_write2_b64 v102, v[20:21], v[22:23] offset0:32 offset1:48
	v_mov_b32_e32 v18, 0
	v_mov_b32_e32 v19, 0
	;; [unrolled: 1-line block ×13, first 2 shown]
	s_cbranch_vccnz .LBB83_14
; %bb.13:                               ;   in Loop: Header=BB83_6 Depth=1
	s_and_b32 s25, s25, 0xffff
	s_mov_b32 s27, s23
	buffer_load_dwordx4 v[30:33], v135, s[24:27], 0 offen
	buffer_load_dwordx4 v[22:25], v135, s[24:27], s59 offen
	;; [unrolled: 1-line block ×4, first 2 shown]
	v_mov_b32_e32 v149, v96
	v_mov_b32_e32 v150, v95
.LBB83_14:                              ;   in Loop: Header=BB83_6 Depth=1
	s_waitcnt lgkmcnt(0)
	s_barrier
	ds_read_b64 v[42:43], v138
	ds_read2_b64 v[34:37], v131 offset1:16
	ds_read_b64 v[168:169], v139
	ds_read_b64 v[170:171], v140
	;; [unrolled: 1-line block ×3, first 2 shown]
	ds_read2_b64 v[38:41], v131 offset0:32 offset1:48
	ds_read2st64_b64 v[152:155], v131 offset0:4 offset1:8
	ds_read2st64_b64 v[156:159], v132 offset0:4 offset1:8
	;; [unrolled: 1-line block ×4, first 2 shown]
	s_waitcnt lgkmcnt(8)
	v_mfma_f32_16x16x16_bf16 a[0:3], v[42:43], v[34:35], 0
	s_add_i32 s3, s56, s62
	s_mul_hi_i32 s21, s3, s13
	s_mul_i32 s3, s3, s13
	v_mfma_f32_16x16x16_bf16 a[4:7], v[42:43], v[36:37], 0
	s_add_u32 s20, s3, s49
	s_addc_u32 s21, s21, s50
	s_lshl_b64 s[20:21], s[20:21], 15
	s_waitcnt lgkmcnt(4)
	v_mfma_f32_16x16x16_bf16 a[8:11], v[42:43], v[38:39], 0
	s_mul_i32 s24, s64, s13
	s_mul_hi_i32 s3, s64, s13
	s_add_u32 s24, s24, s49
	v_mfma_f32_16x16x16_bf16 a[12:15], v[42:43], v[40:41], 0
	ds_read_b64 v[42:43], v131 offset:6144
	ds_read_b64 v[180:181], v132 offset:6144
	;; [unrolled: 1-line block ×4, first 2 shown]
	s_addc_u32 s25, s3, s50
	s_waitcnt lgkmcnt(7)
	v_mfma_f32_16x16x16_bf16 a[0:3], v[168:169], v[152:153], a[0:3]
	s_lshl_b64 s[24:25], s[24:25], 9
	s_add_u32 s24, s16, s24
	s_addc_u32 s25, s17, s25
	s_waitcnt lgkmcnt(6)
	v_mfma_f32_16x16x16_bf16 a[4:7], v[168:169], v[156:157], a[4:7]
	v_lshl_add_u64 v[190:191], v[86:87], 0, s[20:21]
	s_waitcnt lgkmcnt(5)
	v_mfma_f32_16x16x16_bf16 a[8:11], v[168:169], v[160:161], a[8:11]
	s_waitcnt lgkmcnt(4)
	v_mfma_f32_16x16x16_bf16 a[12:15], v[168:169], v[164:165], a[12:15]
	ds_read_b64 v[168:169], v143
	ds_read_b64 v[178:179], v144
	;; [unrolled: 1-line block ×3, first 2 shown]
	s_waitcnt lgkmcnt(2)
	v_mfma_f32_16x16x16_bf16 a[16:19], v[168:169], v[34:35], 0
	v_mfma_f32_16x16x16_bf16 a[20:23], v[168:169], v[36:37], 0
	global_load_dwordx4 v[34:37], v142, s[24:25]
	v_mfma_f32_16x16x16_bf16 a[24:27], v[168:169], v[38:39], 0
	v_mfma_f32_16x16x16_bf16 a[28:31], v[168:169], v[40:41], 0
	global_load_dwordx4 v[38:41], v47, s[24:25]
	v_mfma_f32_16x16x16_bf16 a[0:3], v[170:171], v[154:155], a[0:3]
	v_mfma_f32_16x16x16_bf16 a[4:7], v[170:171], v[158:159], a[4:7]
	;; [unrolled: 1-line block ×8, first 2 shown]
	ds_read2st64_b64 v[168:171], v129 offset1:8
	ds_read2st64_b64 v[172:175], v130 offset1:8
	ds_read_b64 v[188:189], v137 offset:40960
	s_waitcnt lgkmcnt(2)
	v_mov_b32_e32 v176, v168
	v_mfma_f32_16x16x16_bf16 a[16:19], v[178:179], v[152:153], a[16:19]
	v_mov_b32_e32 v177, v169
	v_mfma_f32_16x16x16_bf16 a[20:23], v[178:179], v[156:157], a[20:23]
	v_mfma_f32_16x16x16_bf16 a[24:27], v[178:179], v[160:161], a[24:27]
	;; [unrolled: 1-line block ×3, first 2 shown]
	v_add_co_u32_e32 v164, vcc, s39, v190
	s_waitcnt lgkmcnt(1)
	v_mov_b32_e32 v178, v172
	s_waitcnt lgkmcnt(0)
	v_mfma_f32_16x16x16_bf16 a[16:19], v[188:189], v[154:155], a[16:19]
	ds_read2st64_b64 v[152:155], v129 offset0:16 offset1:24
	v_addc_co_u32_e32 v165, vcc, 0, v191, vcc
	v_mfma_f32_16x16x16_bf16 a[20:23], v[188:189], v[158:159], a[20:23]
	ds_read2st64_b64 v[156:159], v130 offset0:16 offset1:24
	v_mov_b32_e32 v179, v173
	v_mov_b32_e32 v172, v170
	v_mfma_f32_16x16x16_bf16 a[32:35], v[188:189], v[162:163], a[24:27]
	v_mov_b32_e32 v173, v171
	s_waitcnt lgkmcnt(0)
	v_mov_b32_e32 v162, v156
	v_mov_b32_e32 v163, v157
	v_mfma_f32_16x16x16_bf16 a[36:39], v[188:189], v[166:167], a[28:31]
	v_mov_b32_e32 v156, v154
	v_mov_b32_e32 v157, v155
	;; [unrolled: 1-line block ×3, first 2 shown]
	v_mfma_f32_16x16x16_bf16 a[24:27], v[186:187], v[42:43], a[16:19]
	v_add_co_u32_e32 v42, vcc, s41, v190
	v_mov_b32_e32 v161, v153
	v_mfma_f32_16x16x16_bf16 a[28:31], v[186:187], v[180:181], a[20:23]
	v_addc_co_u32_e32 v43, vcc, 0, v191, vcc
	global_store_dwordx4 v[42:43], v[156:159], off
	v_mfma_f32_16x16x16_bf16 a[16:19], v[186:187], v[182:183], a[32:35]
	s_waitcnt vmcnt(2)
	v_mov_b32_e32 v44, v37
	v_mov_b32_e32 v43, v36
	;; [unrolled: 1-line block ×3, first 2 shown]
	v_mfma_f32_16x16x16_bf16 a[20:23], v[186:187], v[184:185], a[36:39]
	s_and_b64 vcc, exec, s[0:1]
	global_store_dwordx4 v[190:191], v[176:179], off
	global_store_dwordx4 v[164:165], v[172:175], off offset:-4096
	global_store_dwordx4 v[164:165], v[160:163], off
	s_cbranch_vccnz .LBB83_16
; %bb.15:                               ;   in Loop: Header=BB83_6 Depth=1
	v_lshrrev_b32_e32 v35, 3, v149
	v_and_b32_e32 v35, 6, v35
	v_xor_b32_e32 v36, v35, v150
	v_lshlrev_b32_e32 v36, 2, v36
	v_and_b32_e32 v37, 8, v149
	v_xor_b32_e32 v149, 0x440, v36
	v_cmp_eq_u32_e32 vcc, 0, v37
	v_perm_b32 v37, v22, v18, s60
	s_nop 0
	v_cndmask_b32_e32 v36, v149, v36, vcc
	v_lshl_or_b32 v35, v35, 10, v36
	v_perm_b32 v36, v30, v26, s60
	s_barrier
	ds_write2st64_b32 v35, v36, v37 offset0:128 offset1:160
	v_xor_b32_e32 v36, 8, v35
	v_perm_b32 v26, v30, v26, s61
	v_perm_b32 v18, v22, v18, s61
	v_add_u32_e32 v22, 0x80, v36
	ds_write2st64_b32 v22, v26, v18 offset0:128 offset1:160
	v_xor_b32_e32 v18, 16, v35
	v_perm_b32 v22, v31, v27, s60
	v_perm_b32 v26, v23, v19, s60
	ds_write2st64_b32 v18, v22, v26 offset0:129 offset1:161
	v_xor_b32_e32 v18, 24, v35
	v_perm_b32 v22, v31, v27, s61
	v_perm_b32 v19, v23, v19, s61
	v_add_u32_e32 v18, 0x80, v18
	ds_write2st64_b32 v18, v22, v19 offset0:129 offset1:161
	v_xor_b32_e32 v18, 32, v35
	v_perm_b32 v19, v32, v28, s60
	v_perm_b32 v22, v24, v20, s60
	;; [unrolled: 9-line block ×3, first 2 shown]
	ds_write2st64_b32 v18, v19, v20 offset0:131 offset1:163
	v_xor_b32_e32 v18, 56, v35
	v_perm_b32 v19, v33, v29, s61
	v_perm_b32 v20, v25, v21, s61
	v_add_u32_e32 v18, 0x80, v18
	ds_write2st64_b32 v18, v19, v20 offset0:131 offset1:163
	ds_write_b64 v148, v[14:15] offset:49152
	v_xor_b32_e32 v14, 8, v148
	ds_write_b64 v14, v[16:17] offset:49152
	ds_write_b64 v148, v[10:11] offset:57344
	;; [unrolled: 1-line block ×4, first 2 shown]
	v_xor_b32_e32 v6, 8, v147
	ds_write_b64 v6, v[8:9] offset:49152
	ds_write_b64 v147, v[2:3] offset:57344
	;; [unrolled: 1-line block ×3, first 2 shown]
.LBB83_16:                              ;   in Loop: Header=BB83_6 Depth=1
	v_mul_f32_e32 v26, s2, v146
	v_exp_f32_e32 v36, v26
	s_waitcnt vmcnt(4)
	v_mul_f32_e32 v26, 0x3fb8aa3b, v38
	v_exp_f32_e32 v38, v26
	v_mul_f32_e32 v26, 0x3fb8aa3b, v39
	v_exp_f32_e32 v39, v26
	;; [unrolled: 2-line block ×4, first 2 shown]
	v_accvgpr_read_b32 v5, a3
	v_accvgpr_read_b32 v4, a2
	;; [unrolled: 1-line block ×4, first 2 shown]
	v_pk_mul_f32 v[38:39], v[36:37], v[38:39] op_sel_hi:[0,1]
	v_pk_mul_f32 v[40:41], v[36:37], v[40:41] op_sel_hi:[0,1]
	v_pk_fma_f32 v[74:75], v[74:75], v[38:39], v[2:3]
	v_pk_fma_f32 v[78:79], v[78:79], v[40:41], v[4:5]
	v_mul_f32_e32 v2, 0x3fb8aa3b, v34
	v_mul_f32_e32 v3, 0x3fb8aa3b, v42
	;; [unrolled: 1-line block ×4, first 2 shown]
	v_exp_f32_e32 v2, v2
	v_exp_f32_e32 v3, v3
	;; [unrolled: 1-line block ×4, first 2 shown]
	v_accvgpr_read_b32 v9, a7
	v_accvgpr_read_b32 v13, a11
	;; [unrolled: 1-line block ×28, first 2 shown]
	v_pk_mul_f32 v[2:3], v[36:37], v[2:3] op_sel_hi:[0,1]
	v_pk_mul_f32 v[4:5], v[36:37], v[4:5] op_sel_hi:[0,1]
	s_add_i32 s57, s57, 64
	v_pk_fma_f32 v[66:67], v[38:39], v[66:67], v[6:7]
	v_pk_fma_f32 v[70:71], v[40:41], v[70:71], v[8:9]
	;; [unrolled: 1-line block ×13, first 2 shown]
	s_cmp_eq_u32 s51, s63
	v_pk_fma_f32 v[52:53], v[4:5], v[52:53], v[32:33]
	s_cbranch_scc1 .LBB83_18
; %bb.17:                               ;   in Loop: Header=BB83_6 Depth=1
	s_mov_b32 s62, s63
	s_branch .LBB83_6
.LBB83_18:
	s_lshl_b32 s26, s51, 6
	s_sub_i32 s27, s52, s26
	s_cmp_gt_i32 s27, 0
	s_cbranch_scc0 .LBB83_99
; %bb.19:
	s_add_i32 s26, s26, s34
	s_ashr_i32 s2, s26, 31
	s_cmpk_lg_i32 s15, 0x80
	s_cselect_b64 s[22:23], -1, 0
	s_and_b64 vcc, exec, s[22:23]
	s_cbranch_vccz .LBB83_21
; %bb.20:
	s_mul_i32 s1, s26, s14
	s_ashr_i32 s3, s53, 31
	s_mul_hi_i32 s0, s26, s14
	s_add_u32 s24, s1, s53
	s_addc_u32 s25, s0, s3
	s_cbranch_execz .LBB83_22
	s_branch .LBB83_23
.LBB83_21:
                                        ; implicit-def: $sgpr24_sgpr25
.LBB83_22:
	s_mul_i32 s1, s53, s12
	s_mul_hi_i32 s0, s53, s12
	s_add_u32 s24, s1, s26
	s_addc_u32 s25, s0, s2
.LBB83_23:
	s_add_i32 s3, s51, s56
	s_add_u32 s0, s55, s26
	v_lshlrev_b32_e32 v6, 6, v93
	v_lshlrev_b32_e32 v24, 2, v90
	s_addc_u32 s1, s54, s2
	s_mov_b32 s2, 0x7060302
	v_or_b32_e32 v9, v6, v24
	v_xor_b32_e32 v7, v93, v24
	v_perm_b32 v3, v79, v78, s2
	v_perm_b32 v2, v75, v74, s2
	;; [unrolled: 1-line block ×4, first 2 shown]
	v_lshlrev_b32_e32 v9, 1, v9
	v_xor_b32_e32 v8, v94, v24
	ds_write2st64_b64 v9, v[2:3], v[4:5] offset0:32 offset1:48
	v_lshlrev_b32_e32 v7, 1, v7
	v_lshlrev_b32_e32 v9, 8, v90
	v_or_b32_e32 v10, v7, v9
	v_lshlrev_b32_e32 v8, 1, v8
	ds_write_b64 v10, v[2:3]
	v_or_b32_e32 v2, v8, v9
	v_or_b32_e32 v9, 16, v90
	v_lshlrev_b32_e32 v23, 2, v9
	v_or_b32_e32 v10, v6, v23
	ds_write_b64 v2, v[4:5]
	v_perm_b32 v3, v71, v70, s2
	v_perm_b32 v2, v67, v66, s2
	;; [unrolled: 1-line block ×4, first 2 shown]
	v_lshlrev_b32_e32 v10, 1, v10
	v_lshlrev_b32_e32 v9, 8, v9
	ds_write2st64_b64 v10, v[2:3], v[4:5] offset0:32 offset1:48
	v_or_b32_e32 v10, v7, v9
	ds_write_b64 v10, v[2:3]
	v_or_b32_e32 v2, v8, v9
	v_or_b32_e32 v9, 32, v90
	v_lshlrev_b32_e32 v22, 2, v9
	v_or_b32_e32 v10, v6, v22
	s_lshl_b64 s[20:21], s[0:1], 8
	ds_write_b64 v2, v[4:5]
	v_perm_b32 v3, v63, v62, s2
	v_perm_b32 v2, v59, v58, s2
	;; [unrolled: 1-line block ×4, first 2 shown]
	v_lshlrev_b32_e32 v10, 1, v10
	v_lshlrev_b32_e32 v9, 8, v9
	s_add_u32 s0, s6, s20
	ds_write2st64_b64 v10, v[2:3], v[4:5] offset0:32 offset1:48
	v_or_b32_e32 v10, v7, v9
	s_addc_u32 s1, s7, s21
	ds_write_b64 v10, v[2:3]
	v_or_b32_e32 v2, v8, v9
	v_or_b32_e32 v9, 48, v90
	s_mul_hi_i32 s6, s3, s13
	s_mul_i32 s3, s3, s13
	ds_write_b64 v2, v[4:5]
	v_perm_b32 v3, v55, v54, s2
	v_perm_b32 v2, v51, v50, s2
	;; [unrolled: 1-line block ×4, first 2 shown]
	v_lshlrev_b32_e32 v19, 2, v9
	s_add_u32 s2, s3, s49
	v_or_b32_e32 v6, v6, v19
	s_addc_u32 s3, s6, s50
	v_lshlrev_b32_e32 v6, 1, v6
	s_ashr_i32 s41, s40, 31
	s_lshl_b64 s[2:3], s[2:3], 15
	ds_write2st64_b64 v6, v[2:3], v[4:5] offset0:32 offset1:48
	v_lshlrev_b32_e32 v6, 8, v9
	s_add_u32 s6, s18, s2
	v_or_b32_e32 v7, v7, v6
	s_addc_u32 s7, s19, s3
	s_lshl_b64 s[2:3], s[40:41], 8
	ds_write_b64 v7, v[2:3]
	v_or_b32_e32 v2, v8, v6
	s_add_u32 s2, s6, s2
	v_lshlrev_b32_e32 v3, 1, v90
	ds_write_b64 v2, v[4:5]
	v_lshrrev_b32_e32 v2, 4, v0
	s_addc_u32 s3, s7, s3
	v_or_b32_e32 v4, 1, v3
	v_lshlrev_b32_e32 v10, 4, v90
	v_mov_b32_e32 v11, 0
	v_xor_b32_e32 v3, v2, v3
	v_xor_b32_e32 v6, v4, v2
	v_lshl_add_u64 v[12:13], s[2:3], 0, v[10:11]
	v_lshlrev_b32_e32 v10, 8, v2
	v_lshl_or_b32 v16, v3, 3, v10
	v_lshl_or_b32 v17, v6, 3, v10
	s_waitcnt lgkmcnt(0)
	s_barrier
	ds_read2st64_b64 v[2:5], v16 offset1:8
	ds_read2st64_b64 v[6:9], v17 offset1:8
	v_lshl_add_u64 v[14:15], v[12:13], 0, v[10:11]
	s_movk_i32 s2, 0x2000
	s_cmp_lg_u32 s27, 64
	s_waitcnt lgkmcnt(1)
	v_mov_b32_e32 v10, v2
	v_mov_b32_e32 v11, v3
	s_waitcnt lgkmcnt(0)
	v_mov_b32_e32 v12, v6
	v_mov_b32_e32 v13, v7
	global_store_dwordx4 v[14:15], v[10:13], off
	v_mov_b32_e32 v6, v4
	v_mov_b32_e32 v7, v5
	ds_read2st64_b64 v[2:5], v16 offset0:16 offset1:24
	ds_read2st64_b64 v[10:13], v17 offset0:16 offset1:24
	v_add_co_u32_e32 v16, vcc, s2, v14
	s_cselect_b64 s[6:7], -1, 0
	s_nop 0
	v_addc_co_u32_e32 v17, vcc, 0, v15, vcc
	global_store_dwordx4 v[16:17], v[6:9], off offset:-4096
	v_lshl_or_b32 v25, v88, 3, v92
	s_mov_b32 s16, 0
	s_waitcnt lgkmcnt(1)
	v_mov_b32_e32 v6, v2
	v_add_co_u32_e32 v2, vcc, 0x3000, v14
	v_mov_b32_e32 v7, v3
	s_nop 0
	v_addc_co_u32_e32 v3, vcc, 0, v15, vcc
	s_waitcnt lgkmcnt(0)
	v_mov_b32_e32 v8, v10
	v_mov_b32_e32 v9, v11
	;; [unrolled: 1-line block ×4, first 2 shown]
	v_or_b32_e32 v20, 32, v25
	v_and_b32_e32 v18, 56, v91
	s_and_b64 vcc, exec, s[6:7]
	global_store_dwordx4 v[16:17], v[6:9], off
	global_store_dwordx4 v[2:3], v[10:13], off
	s_cbranch_vccz .LBB83_29
; %bb.24:
	s_mov_b32 s17, s16
	s_mov_b32 s18, s16
	;; [unrolled: 1-line block ×3, first 2 shown]
	v_mov_b64_e32 v[6:7], s[16:17]
	v_mov_b64_e32 v[8:9], s[18:19]
	;; [unrolled: 1-line block ×3, first 2 shown]
	v_cmp_gt_i32_e32 vcc, s27, v25
	v_mov_b64_e32 v[4:5], v[8:9]
	s_and_saveexec_b64 s[2:3], vcc
	s_cbranch_execz .LBB83_26
; %bb.25:
	v_lshlrev_b32_e32 v2, 8, v25
	v_mov_b32_e32 v3, 0
	v_lshl_add_u64 v[4:5], s[0:1], 0, v[2:3]
	v_lshlrev_b32_e32 v2, 1, v18
	v_lshl_add_u64 v[10:11], v[4:5], 0, v[2:3]
	global_load_dwordx4 v[6:9], v[10:11], off
	global_load_dwordx4 v[2:5], v[10:11], off offset:128
.LBB83_26:
	s_or_b64 exec, exec, s[2:3]
	s_mov_b32 s17, s16
	s_mov_b32 s18, s16
	;; [unrolled: 1-line block ×3, first 2 shown]
	v_mov_b64_e32 v[14:15], s[16:17]
	v_mov_b64_e32 v[16:17], s[18:19]
	;; [unrolled: 1-line block ×3, first 2 shown]
	v_cmp_gt_i32_e32 vcc, s27, v20
	v_lshlrev_b32_e32 v21, 7, v20
	v_mov_b64_e32 v[12:13], v[16:17]
	s_and_saveexec_b64 s[2:3], vcc
	s_cbranch_execz .LBB83_28
; %bb.27:
	v_lshlrev_b32_e32 v10, 1, v21
	v_mov_b32_e32 v11, 0
	v_lshl_add_u64 v[12:13], s[0:1], 0, v[10:11]
	v_lshlrev_b32_e32 v10, 1, v18
	v_lshl_add_u64 v[26:27], v[12:13], 0, v[10:11]
	global_load_dwordx4 v[14:17], v[26:27], off
	global_load_dwordx4 v[10:13], v[26:27], off offset:128
.LBB83_28:
	s_or_b64 exec, exec, s[2:3]
	v_lshrrev_b32_e32 v26, 3, v18
	v_lshlrev_b32_e32 v27, 3, v25
	v_or_b32_e32 v26, v27, v26
	v_lshlrev_b32_e32 v26, 4, v26
	v_and_b32_e32 v27, 0x78, v27
	v_xor_b32_e32 v26, v26, v27
	s_branch .LBB83_31
.LBB83_29:
                                        ; implicit-def: $vgpr26
                                        ; implicit-def: $vgpr21
                                        ; implicit-def: $vgpr6_vgpr7_vgpr8_vgpr9
                                        ; implicit-def: $vgpr2_vgpr3_vgpr4_vgpr5
                                        ; implicit-def: $vgpr14_vgpr15_vgpr16_vgpr17
                                        ; implicit-def: $vgpr10_vgpr11_vgpr12_vgpr13
	s_cbranch_execz .LBB83_31
; %bb.30:
	s_waitcnt vmcnt(0)
	v_lshlrev_b32_e32 v2, 1, v18
	v_lshl_or_b32 v21, v25, 8, v2
	s_and_b32 s1, s1, 0xffff
	s_mov_b32 s3, 0x20000
	s_movk_i32 s2, 0x4000
	v_lshl_or_b32 v26, v20, 8, v2
	s_movk_i32 s12, 0x80
	buffer_load_dwordx4 v[6:9], v21, s[0:3], 0 offen
	buffer_load_dwordx4 v[2:5], v21, s[0:3], s12 offen
	;; [unrolled: 1-line block ×4, first 2 shown]
	v_lshrrev_b32_e32 v21, 3, v18
	v_lshlrev_b32_e32 v26, 3, v25
	v_or_b32_e32 v21, v26, v21
	v_lshlrev_b32_e32 v21, 4, v21
	v_and_b32_e32 v26, 0x78, v26
	v_xor_b32_e32 v26, v21, v26
	v_lshlrev_b32_e32 v21, 7, v20
.LBB83_31:
	s_movk_i32 s0, 0x1000
	v_and_or_b32 v20, v21, s0, v26
	s_waitcnt vmcnt(1)
	ds_write_b64 v26, v[6:7] offset:49152
	v_xor_b32_e32 v6, 8, v26
	ds_write_b64 v6, v[8:9] offset:49152
	s_waitcnt vmcnt(0)
	ds_write_b64 v26, v[2:3] offset:57344
	ds_write_b64 v6, v[4:5] offset:57344
	;; [unrolled: 1-line block ×3, first 2 shown]
	v_xor_b32_e32 v2, 8, v20
	ds_write_b64 v2, v[16:17] offset:49152
	ds_write_b64 v20, v[10:11] offset:57344
	;; [unrolled: 1-line block ×3, first 2 shown]
	v_or_b32_e32 v2, v1, v90
	v_lshlrev_b32_e32 v3, 11, v88
	v_lshlrev_b32_e32 v2, 3, v2
	v_and_b32_e32 v6, 0x1000, v3
	v_lshrrev_b32_e32 v3, 5, v45
	s_movk_i32 s0, 0xf8
	v_and_or_b32 v3, v2, s0, v3
	v_lshlrev_b32_e32 v7, 4, v3
	v_and_b32_e32 v8, 0x78, v2
	v_or_b32_e32 v10, 32, v7
	v_lshrrev_b32_e32 v3, 1, v45
	v_xor_b32_e32 v10, v10, v8
	v_xor_b32_e32 v2, v7, v8
	v_and_b32_e32 v9, 8, v3
	v_or_b32_e32 v10, v10, v6
	v_or_b32_e32 v2, v2, v6
	v_xor_b32_e32 v28, v10, v9
	v_or_b32_e32 v10, 64, v7
	v_xor_b32_e32 v27, v2, v9
	v_xor_b32_e32 v10, v10, v8
	s_waitcnt lgkmcnt(0)
	s_barrier
	v_or_b32_e32 v13, v10, v6
	ds_read_b64 v[10:11], v27 offset:49152
	v_lshl_or_b32 v14, v89, 8, v24
	v_lshlrev_b32_e32 v26, 1, v14
	v_add_u32_e32 v12, 0x4000, v26
	ds_read2_b64 v[2:5], v12 offset1:16
	v_or_b32_e32 v7, 0x60, v7
	v_xor_b32_e32 v7, v7, v8
	v_or_b32_e32 v6, v7, v6
	v_xor_b32_e32 v29, v13, v9
	v_xor_b32_e32 v30, v6, v9
	ds_read_b64 v[20:21], v28 offset:49152
	ds_read_b64 v[34:35], v29 offset:49152
	;; [unrolled: 1-line block ×3, first 2 shown]
	s_waitcnt lgkmcnt(3)
	v_mfma_f32_16x16x16_bf16 a[0:3], v[10:11], v[2:3], 0
	ds_read2st64_b64 v[6:9], v26 offset0:36 offset1:40
	s_lshl_b64 s[0:1], s[24:25], 8
	s_add_u32 s4, s4, s0
	v_mfma_f32_16x16x16_bf16 a[4:7], v[10:11], v[4:5], 0
	ds_read2_b64 v[2:5], v12 offset0:32 offset1:48
	s_addc_u32 s5, s5, s1
	s_add_i32 s1, s44, s33
	s_waitcnt lgkmcnt(0)
	v_mfma_f32_16x16x16_bf16 a[8:11], v[10:11], v[2:3], 0
	v_or_b32_e32 v2, 64, v14
	v_lshlrev_b32_e32 v31, 1, v2
	s_add_i32 s0, s35, -1
	v_mfma_f32_16x16x16_bf16 a[12:15], v[10:11], v[4:5], 0
	ds_read2st64_b64 v[2:5], v31 offset0:36 offset1:40
	s_add_i32 s39, s1, s45
	s_add_i32 s1, s47, s46
	v_mfma_f32_16x16x16_bf16 a[0:3], v[20:21], v[6:7], a[0:3]
	v_or_b32_e32 v6, 0x80, v14
	v_lshlrev_b32_e32 v32, 1, v6
	ds_read2st64_b64 v[10:13], v32 offset0:36 offset1:40
	s_waitcnt lgkmcnt(1)
	v_mfma_f32_16x16x16_bf16 a[4:7], v[20:21], v[2:3], a[4:7]
	v_or_b32_e32 v2, 0xc0, v14
	v_lshlrev_b32_e32 v33, 1, v2
	ds_read2st64_b64 v[14:17], v33 offset0:36 offset1:40
	s_add_i32 s37, s1, s48
	s_ashr_i32 s1, s0, 31
	s_mul_i32 s2, s0, s31
	s_mul_hi_u32 s3, s0, s30
	s_add_i32 s2, s3, s2
	s_mul_i32 s1, s1, s30
	s_waitcnt lgkmcnt(1)
	v_mfma_f32_16x16x16_bf16 a[8:11], v[20:21], v[10:11], a[8:11]
	s_add_i32 s1, s2, s1
	s_lshl_b64 s[2:3], s[38:39], 2
	s_add_u32 s10, s10, s2
	s_waitcnt lgkmcnt(0)
	v_mfma_f32_16x16x16_bf16 a[12:15], v[20:21], v[14:15], a[12:15]
	s_addc_u32 s11, s11, s3
	s_lshl_b64 s[2:3], s[36:37], 2
	s_mul_i32 s0, s0, s30
	v_mfma_f32_16x16x16_bf16 a[0:3], v[34:35], v[8:9], a[0:3]
	ds_read_b64 v[2:3], v26 offset:22528
	s_add_u32 s10, s10, s2
	s_addc_u32 s11, s11, s3
	v_mfma_f32_16x16x16_bf16 a[4:7], v[34:35], v[4:5], a[4:7]
	ds_read_b64 v[4:5], v31 offset:22528
	ds_read_b64 v[6:7], v32 offset:22528
	;; [unrolled: 1-line block ×3, first 2 shown]
	s_lshl_b64 s[0:1], s[0:1], 2
	s_add_u32 s0, s10, s0
	v_mfma_f32_16x16x16_bf16 a[8:11], v[34:35], v[12:13], a[8:11]
	s_addc_u32 s1, s11, s1
	s_load_dword s12, s[0:1], 0x0
	s_and_b64 vcc, exec, s[22:23]
	v_mfma_f32_16x16x16_bf16 a[12:15], v[34:35], v[16:17], a[12:15]
	s_waitcnt lgkmcnt(0)
	v_mfma_f32_16x16x16_bf16 a[0:3], v[36:37], v[2:3], a[0:3]
	v_mfma_f32_16x16x16_bf16 a[4:7], v[36:37], v[4:5], a[4:7]
	;; [unrolled: 1-line block ×4, first 2 shown]
	s_cbranch_vccz .LBB83_42
; %bb.32:
	v_lshlrev_b32_e32 v20, 1, v25
	s_and_b64 vcc, exec, s[6:7]
	s_cbranch_vccz .LBB83_43
; %bb.33:
	v_cmp_gt_i32_e32 vcc, s27, v20
	v_mov_b32_e32 v6, 0
	v_mov_b32_e32 v2, 0
	;; [unrolled: 1-line block ×5, first 2 shown]
	s_and_saveexec_b64 s[0:1], vcc
	s_cbranch_execz .LBB83_35
; %bb.34:
	v_mad_i64_i32 v[2:3], s[2:3], s15, v20, 0
	v_lshl_add_u64 v[2:3], v[2:3], 1, s[4:5]
	v_lshlrev_b32_e32 v4, 1, v18
	v_mov_b32_e32 v5, 0
	v_lshl_add_u64 v[2:3], v[2:3], 0, v[4:5]
	global_load_dwordx4 v[2:5], v[2:3], off
.LBB83_35:
	s_or_b64 exec, exec, s[0:1]
	v_or_b32_e32 v21, 1, v20
	v_cmp_gt_i32_e64 s[0:1], s27, v21
	v_mov_b32_e32 v7, 0
	v_mov_b32_e32 v8, 0
	;; [unrolled: 1-line block ×3, first 2 shown]
	s_and_saveexec_b64 s[2:3], s[0:1]
	s_cbranch_execz .LBB83_37
; %bb.36:
	v_mad_i64_i32 v[6:7], s[16:17], s15, v21, 0
	v_lshl_add_u64 v[6:7], v[6:7], 1, s[4:5]
	v_lshlrev_b32_e32 v8, 1, v18
	v_mov_b32_e32 v9, 0
	v_lshl_add_u64 v[6:7], v[6:7], 0, v[8:9]
	global_load_dwordx4 v[6:9], v[6:7], off
.LBB83_37:
	s_or_b64 exec, exec, s[2:3]
	v_mov_b32_e32 v17, 0
	v_mov_b32_e32 v10, 0
	;; [unrolled: 1-line block ×5, first 2 shown]
	s_and_saveexec_b64 s[2:3], vcc
	s_cbranch_execz .LBB83_39
; %bb.38:
	v_mad_i64_i32 v[10:11], s[16:17], s15, v20, 0
	v_lshl_add_u64 v[10:11], v[10:11], 1, s[4:5]
	v_lshlrev_b32_e32 v12, 1, v18
	v_mov_b32_e32 v13, 0
	v_lshl_add_u64 v[10:11], v[10:11], 0, v[12:13]
	global_load_dwordx4 v[10:13], v[10:11], off offset:128
.LBB83_39:
	s_or_b64 exec, exec, s[2:3]
	v_mov_b32_e32 v16, 0
	v_mov_b32_e32 v15, 0
	v_mov_b32_e32 v14, 0
	s_and_saveexec_b64 s[2:3], s[0:1]
	s_cbranch_execz .LBB83_41
; %bb.40:
	v_mad_i64_i32 v[14:15], s[0:1], s15, v21, 0
	v_lshl_add_u64 v[14:15], v[14:15], 1, s[4:5]
	v_lshlrev_b32_e32 v16, 1, v18
	v_mov_b32_e32 v17, 0
	v_lshl_add_u64 v[14:15], v[14:15], 0, v[16:17]
	global_load_dwordx4 v[14:17], v[14:15], off offset:128
.LBB83_41:
	s_or_b64 exec, exec, s[2:3]
	s_branch .LBB83_45
.LBB83_42:
                                        ; implicit-def: $vgpr5
                                        ; implicit-def: $vgpr9
                                        ; implicit-def: $vgpr13
                                        ; implicit-def: $vgpr17
	v_lshrrev_b32_e32 v34, 2, v45
	s_branch .LBB83_46
.LBB83_43:
                                        ; implicit-def: $vgpr5
                                        ; implicit-def: $vgpr9
                                        ; implicit-def: $vgpr13
                                        ; implicit-def: $vgpr17
	s_cbranch_execz .LBB83_45
; %bb.44:
	s_waitcnt vmcnt(0)
	v_mad_u64_u32 v[2:3], s[0:1], v20, s15, v[18:19]
	v_lshlrev_b32_e32 v20, 1, v2
	s_lshl_b32 s2, s15, 7
	s_and_b32 s1, s5, 0xffff
	s_mov_b32 s3, 0x20000
	s_mov_b32 s0, s4
	v_add_lshl_u32 v21, v2, s15, 1
	s_movk_i32 s13, 0x80
	buffer_load_dwordx4 v[2:5], v20, s[0:3], 0 offen
	buffer_load_dwordx4 v[10:13], v20, s[0:3], s13 offen
	;; [unrolled: 1-line block ×4, first 2 shown]
.LBB83_45:
	v_lshrrev_b32_e32 v34, 2, v45
	s_cbranch_execnz .LBB83_58
.LBB83_46:
	s_and_b64 vcc, exec, s[6:7]
	s_cbranch_vccz .LBB83_56
; %bb.47:
	s_waitcnt vmcnt(0)
	v_lshlrev_b32_e32 v7, 1, v25
	v_cmp_gt_i32_e32 vcc, s27, v7
	v_mov_b32_e32 v6, 0
	v_lshlrev_b32_e32 v14, 9, v25
	v_mov_b32_e32 v2, 0
	v_mov_b32_e32 v3, 0
	v_mov_b32_e32 v4, 0
	v_mov_b32_e32 v5, 0
	s_and_saveexec_b64 s[0:1], vcc
	s_cbranch_execz .LBB83_49
; %bb.48:
	v_mov_b32_e32 v15, 0
	v_lshl_add_u64 v[2:3], s[4:5], 0, v[14:15]
	v_lshlrev_b32_e32 v4, 1, v18
	v_mov_b32_e32 v5, v15
	v_lshl_add_u64 v[2:3], v[2:3], 0, v[4:5]
	global_load_dwordx4 v[2:5], v[2:3], off
.LBB83_49:
	s_or_b64 exec, exec, s[0:1]
	v_or_b32_e32 v7, 1, v7
	v_cmp_gt_i32_e64 s[0:1], s27, v7
	v_lshlrev_b32_e32 v20, 8, v7
	v_mov_b32_e32 v7, 0
	v_mov_b32_e32 v8, 0
	;; [unrolled: 1-line block ×3, first 2 shown]
	s_and_saveexec_b64 s[2:3], s[0:1]
	s_cbranch_execz .LBB83_51
; %bb.50:
	v_mov_b32_e32 v21, 0
	v_lshl_add_u64 v[6:7], s[4:5], 0, v[20:21]
	v_lshlrev_b32_e32 v8, 1, v18
	v_mov_b32_e32 v9, v21
	v_lshl_add_u64 v[6:7], v[6:7], 0, v[8:9]
	global_load_dwordx4 v[6:9], v[6:7], off
.LBB83_51:
	s_or_b64 exec, exec, s[2:3]
	v_mov_b32_e32 v17, 0
	v_mov_b32_e32 v10, 0
	;; [unrolled: 1-line block ×5, first 2 shown]
	s_and_saveexec_b64 s[2:3], vcc
	s_cbranch_execz .LBB83_53
; %bb.52:
	v_mov_b32_e32 v15, 0
	v_lshl_add_u64 v[10:11], s[4:5], 0, v[14:15]
	v_lshlrev_b32_e32 v14, 1, v18
	v_lshl_add_u64 v[10:11], v[10:11], 0, v[14:15]
	global_load_dwordx4 v[10:13], v[10:11], off offset:128
.LBB83_53:
	s_or_b64 exec, exec, s[2:3]
	v_mov_b32_e32 v16, 0
	v_mov_b32_e32 v15, 0
	;; [unrolled: 1-line block ×3, first 2 shown]
	s_and_saveexec_b64 s[2:3], s[0:1]
	s_cbranch_execz .LBB83_55
; %bb.54:
	v_mov_b32_e32 v21, 0
	v_lshl_add_u64 v[14:15], s[4:5], 0, v[20:21]
	v_lshlrev_b32_e32 v20, 1, v18
	v_lshl_add_u64 v[14:15], v[14:15], 0, v[20:21]
	global_load_dwordx4 v[14:17], v[14:15], off offset:128
.LBB83_55:
	s_or_b64 exec, exec, s[2:3]
	s_branch .LBB83_58
.LBB83_56:
                                        ; implicit-def: $vgpr5
                                        ; implicit-def: $vgpr9
                                        ; implicit-def: $vgpr13
                                        ; implicit-def: $vgpr17
	s_cbranch_execz .LBB83_58
; %bb.57:
	s_waitcnt vmcnt(0)
	v_lshlrev_b32_e32 v2, 1, v18
	v_lshl_or_b32 v18, v25, 9, v2
	s_and_b32 s5, s5, 0xffff
	s_mov_b32 s7, 0x20000
	s_movk_i32 s6, 0x4000
	s_movk_i32 s0, 0x80
	buffer_load_dwordx4 v[2:5], v18, s[4:7], 0 offen
	buffer_load_dwordx4 v[6:9], v18, s[4:7], 0 offen offset:256
	buffer_load_dwordx4 v[10:13], v18, s[4:7], s0 offen
	buffer_load_dwordx4 v[14:17], v18, s[4:7], s0 offen offset:256
.LBB83_58:
	ds_read_b64 v[20:21], v27 offset:57344
	v_add_u32_e32 v18, 0x6000, v26
	ds_read2_b64 v[36:39], v18 offset1:16
	ds_read_b64 v[44:45], v28 offset:57344
	ds_read_b64 v[28:29], v29 offset:57344
	;; [unrolled: 1-line block ×3, first 2 shown]
	ds_read2st64_b64 v[40:43], v26 offset0:52 offset1:56
	s_mov_b32 s0, 0x1000504
	s_mov_b32 s1, 0x3020706
	s_waitcnt lgkmcnt(4)
	v_mfma_f32_16x16x16_bf16 a[0:3], v[20:21], v[36:37], a[0:3]
	v_mfma_f32_16x16x16_bf16 a[4:7], v[20:21], v[38:39], a[4:7]
	ds_read2_b64 v[36:39], v18 offset0:32 offset1:48
	v_and_b32_e32 v18, 6, v0
	v_xor_b32_e32 v25, v25, v18
	s_waitcnt lgkmcnt(0)
	v_mfma_f32_16x16x16_bf16 a[8:11], v[20:21], v[36:37], a[8:11]
	v_lshlrev_b32_e32 v25, 2, v25
	v_and_b32_e32 v0, 1, v0
	v_xor_b32_e32 v35, 0x440, v25
	v_mfma_f32_16x16x16_bf16 a[12:15], v[20:21], v[38:39], a[12:15]
	ds_read2st64_b64 v[36:39], v31 offset0:52 offset1:56
	ds_read2st64_b64 v[48:51], v32 offset0:52 offset1:56
	ds_read2st64_b64 v[52:55], v33 offset0:52 offset1:56
	v_cmp_eq_u32_e32 vcc, 0, v0
	ds_read_b64 v[20:21], v26 offset:30720
	ds_read_b64 v[26:27], v31 offset:30720
	ds_read_b64 v[30:31], v32 offset:30720
	ds_read_b64 v[32:33], v33 offset:30720
	v_mfma_f32_16x16x16_bf16 a[0:3], v[44:45], v[40:41], a[0:3]
	v_cndmask_b32_e32 v0, v35, v25, vcc
	v_lshl_or_b32 v0, v18, 10, v0
	s_waitcnt vmcnt(0)
	v_perm_b32 v18, v2, v6, s0
	s_waitcnt lgkmcnt(6)
	v_mfma_f32_16x16x16_bf16 a[4:7], v[44:45], v[36:37], a[4:7]
	v_perm_b32 v25, v10, v14, s0
	ds_write2st64_b32 v0, v18, v25 offset0:128 offset1:160
	v_xor_b32_e32 v18, 8, v0
	s_waitcnt lgkmcnt(6)
	v_mfma_f32_16x16x16_bf16 a[8:11], v[44:45], v[48:49], a[8:11]
	v_perm_b32 v2, v2, v6, s1
	v_perm_b32 v6, v10, v14, s1
	v_add_u32_e32 v10, 0x80, v18
	s_waitcnt lgkmcnt(5)
	v_mfma_f32_16x16x16_bf16 a[12:15], v[44:45], v[52:53], a[12:15]
	ds_write2st64_b32 v10, v2, v6 offset0:128 offset1:160
	v_xor_b32_e32 v2, 16, v0
	v_perm_b32 v6, v3, v7, s0
	v_mfma_f32_16x16x16_bf16 a[0:3], v[28:29], v[42:43], a[0:3]
	v_perm_b32 v10, v11, v15, s0
	ds_write2st64_b32 v2, v6, v10 offset0:129 offset1:161
	v_xor_b32_e32 v2, 24, v0
	v_mfma_f32_16x16x16_bf16 a[4:7], v[28:29], v[38:39], a[4:7]
	v_perm_b32 v3, v3, v7, s1
	v_perm_b32 v6, v11, v15, s1
	v_add_u32_e32 v2, 0x80, v2
	v_mfma_f32_16x16x16_bf16 a[16:19], v[28:29], v[50:51], a[8:11]
	ds_write2st64_b32 v2, v3, v6 offset0:129 offset1:161
	v_xor_b32_e32 v2, 32, v0
	v_perm_b32 v3, v4, v8, s0
	v_mfma_f32_16x16x16_bf16 a[20:23], v[28:29], v[54:55], a[12:15]
	v_perm_b32 v6, v12, v16, s0
	ds_write2st64_b32 v2, v3, v6 offset0:130 offset1:162
	v_xor_b32_e32 v2, 40, v0
	s_waitcnt lgkmcnt(8)
	v_mfma_f32_16x16x16_bf16 a[12:15], v[56:57], v[20:21], a[0:3]
	v_perm_b32 v3, v4, v8, s1
	v_perm_b32 v4, v12, v16, s1
	v_add_u32_e32 v2, 0x80, v2
	s_waitcnt lgkmcnt(7)
	v_mfma_f32_16x16x16_bf16 a[8:11], v[56:57], v[26:27], a[4:7]
	ds_write2st64_b32 v2, v3, v4 offset0:130 offset1:162
	v_xor_b32_e32 v2, 48, v0
	v_perm_b32 v3, v5, v9, s0
	s_waitcnt lgkmcnt(7)
	v_mfma_f32_16x16x16_bf16 a[4:7], v[56:57], v[30:31], a[16:19]
	v_perm_b32 v4, v13, v17, s0
	v_xor_b32_e32 v0, 56, v0
	v_and_or_b32 v21, v34, 12, v1
	s_waitcnt lgkmcnt(6)
	v_mfma_f32_16x16x16_bf16 a[0:3], v[56:57], v[32:33], a[20:23]
	ds_write2st64_b32 v2, v3, v4 offset0:131 offset1:163
	v_perm_b32 v2, v5, v9, s1
	v_perm_b32 v3, v13, v17, s1
	v_add_u32_e32 v0, 0x80, v0
	v_cmp_gt_i32_e32 vcc, s27, v21
	v_mov_b32_e32 v16, 0
	v_mov_b32_e32 v18, 0
	ds_write2st64_b32 v0, v2, v3 offset0:131 offset1:163
	s_and_saveexec_b64 s[0:1], vcc
	s_cbranch_execz .LBB83_60
; %bb.59:
	v_add_u32_e32 v0, s26, v21
	v_ashrrev_i32_e32 v1, 31, v0
	v_mul_lo_u32 v2, v1, s30
	v_mul_lo_u32 v3, v0, s31
	v_mad_u64_u32 v[0:1], s[2:3], v0, s30, 0
	v_add3_u32 v1, v1, v3, v2
	v_lshl_add_u64 v[0:1], v[0:1], 2, s[10:11]
	global_load_dword v0, v[0:1], off
	s_waitcnt vmcnt(0)
	v_sub_f32_e32 v0, s12, v0
	v_mul_f32_e32 v0, 0x3fb8aa3b, v0
	v_exp_f32_e32 v18, v0
.LBB83_60:
	s_or_b64 exec, exec, s[0:1]
	v_or_b32_e32 v10, 1, v21
	v_cmp_gt_i32_e64 s[0:1], s27, v10
	s_and_saveexec_b64 s[2:3], s[0:1]
	s_cbranch_execz .LBB83_62
; %bb.61:
	v_add_u32_e32 v0, s26, v10
	v_ashrrev_i32_e32 v1, 31, v0
	v_mul_lo_u32 v2, v1, s30
	v_mul_lo_u32 v3, v0, s31
	v_mad_u64_u32 v[0:1], s[4:5], v0, s30, 0
	v_add3_u32 v1, v1, v3, v2
	v_lshl_add_u64 v[0:1], v[0:1], 2, s[10:11]
	global_load_dword v0, v[0:1], off
	s_waitcnt vmcnt(0)
	v_sub_f32_e32 v0, s12, v0
	v_mul_f32_e32 v0, 0x3fb8aa3b, v0
	v_exp_f32_e32 v16, v0
.LBB83_62:
	s_or_b64 exec, exec, s[2:3]
	v_or_b32_e32 v12, 2, v21
	v_cmp_gt_i32_e64 s[2:3], s27, v12
	v_mov_b32_e32 v17, 0
	v_mov_b32_e32 v20, 0
	s_and_saveexec_b64 s[4:5], s[2:3]
	s_cbranch_execz .LBB83_64
; %bb.63:
	v_add_u32_e32 v0, s26, v12
	v_ashrrev_i32_e32 v1, 31, v0
	v_mul_lo_u32 v2, v1, s30
	v_mul_lo_u32 v3, v0, s31
	v_mad_u64_u32 v[0:1], s[6:7], v0, s30, 0
	v_add3_u32 v1, v1, v3, v2
	v_lshl_add_u64 v[0:1], v[0:1], 2, s[10:11]
	global_load_dword v0, v[0:1], off
	s_waitcnt vmcnt(0)
	v_sub_f32_e32 v0, s12, v0
	v_mul_f32_e32 v0, 0x3fb8aa3b, v0
	v_exp_f32_e32 v20, v0
.LBB83_64:
	s_or_b64 exec, exec, s[4:5]
	v_or_b32_e32 v14, 3, v21
	v_cmp_gt_i32_e64 s[4:5], s27, v14
	s_and_saveexec_b64 s[6:7], s[4:5]
	s_cbranch_execz .LBB83_66
; %bb.65:
	v_add_u32_e32 v0, s26, v14
	v_ashrrev_i32_e32 v1, 31, v0
	v_mul_lo_u32 v2, v1, s30
	v_mul_lo_u32 v3, v0, s31
	v_mad_u64_u32 v[0:1], s[14:15], v0, s30, 0
	v_add3_u32 v1, v1, v3, v2
	v_lshl_add_u64 v[0:1], v[0:1], 2, s[10:11]
	global_load_dword v0, v[0:1], off
	s_waitcnt vmcnt(0)
	v_sub_f32_e32 v0, s12, v0
	v_mul_f32_e32 v0, 0x3fb8aa3b, v0
	v_exp_f32_e32 v17, v0
.LBB83_66:
	s_or_b64 exec, exec, s[6:7]
	s_add_u32 s6, s8, s20
	s_addc_u32 s7, s9, s21
	s_add_u32 s8, s28, s20
	v_ashrrev_i32_e32 v47, 31, v46
	v_accvgpr_read_b32 v0, a12
	s_addc_u32 s9, s29, s21
	v_lshlrev_b64 v[4:5], 1, v[46:47]
	v_accvgpr_read_b32 v1, a13
	v_accvgpr_read_b32 v2, a14
	;; [unrolled: 1-line block ×3, first 2 shown]
	v_lshl_add_u64 v[6:7], s[6:7], 0, v[4:5]
	v_lshl_add_u64 v[4:5], s[8:9], 0, v[4:5]
	v_mov_b32_e32 v11, 0
	v_lshlrev_b32_e32 v8, 8, v21
	v_mov_b32_e32 v9, 0
	s_and_saveexec_b64 s[6:7], vcc
	s_cbranch_execz .LBB83_68
; %bb.67:
	v_mov_b32_e32 v9, 0
	v_lshl_add_u64 v[26:27], v[6:7], 0, v[8:9]
	global_load_ushort v13, v[26:27], off
	v_lshl_add_u64 v[26:27], v[4:5], 0, v[8:9]
	s_waitcnt vmcnt(0)
	v_lshlrev_b32_e32 v9, 16, v13
	v_sub_f32_e32 v0, v9, v0
	global_store_short_d16_hi v[26:27], v0, off
	v_mul_f32_e32 v0, v18, v0
	v_lshrrev_b32_e32 v9, 16, v0
.LBB83_68:
	s_or_b64 exec, exec, s[6:7]
	v_lshlrev_b32_e32 v10, 8, v10
	s_and_saveexec_b64 s[6:7], s[0:1]
	s_cbranch_execz .LBB83_70
; %bb.69:
	v_mov_b32_e32 v11, 0
	v_lshl_add_u64 v[26:27], v[6:7], 0, v[10:11]
	global_load_ushort v0, v[26:27], off
	v_lshl_add_u64 v[26:27], v[4:5], 0, v[10:11]
	s_waitcnt vmcnt(0)
	v_lshlrev_b32_e32 v0, 16, v0
	v_sub_f32_e32 v0, v0, v1
	global_store_short_d16_hi v[26:27], v0, off
	v_mul_f32_e32 v0, v16, v0
	v_lshrrev_b32_e32 v11, 16, v0
.LBB83_70:
	s_or_b64 exec, exec, s[6:7]
	v_mov_b32_e32 v15, 0
	v_lshlrev_b32_e32 v12, 8, v12
	v_mov_b32_e32 v13, 0
	s_and_saveexec_b64 s[6:7], s[2:3]
	s_cbranch_execz .LBB83_72
; %bb.71:
	v_mov_b32_e32 v13, 0
	v_lshl_add_u64 v[0:1], v[6:7], 0, v[12:13]
	global_load_ushort v25, v[0:1], off
	v_lshl_add_u64 v[0:1], v[4:5], 0, v[12:13]
	s_waitcnt vmcnt(0)
	v_lshlrev_b32_e32 v13, 16, v25
	v_sub_f32_e32 v2, v13, v2
	global_store_short_d16_hi v[0:1], v2, off
	v_mul_f32_e32 v0, v20, v2
	v_lshrrev_b32_e32 v13, 16, v0
.LBB83_72:
	s_or_b64 exec, exec, s[6:7]
	v_lshlrev_b32_e32 v14, 8, v14
	s_and_saveexec_b64 s[6:7], s[4:5]
	s_cbranch_execz .LBB83_74
; %bb.73:
	v_mov_b32_e32 v15, 0
	v_lshl_add_u64 v[0:1], v[6:7], 0, v[14:15]
	global_load_ushort v2, v[0:1], off
	v_lshl_add_u64 v[0:1], v[4:5], 0, v[14:15]
	s_waitcnt vmcnt(0)
	v_lshlrev_b32_e32 v2, 16, v2
	v_sub_f32_e32 v2, v2, v3
	global_store_short_d16_hi v[0:1], v2, off
	v_mul_f32_e32 v0, v17, v2
	v_lshrrev_b32_e32 v15, 16, v0
.LBB83_74:
	s_or_b64 exec, exec, s[6:7]
	v_lshlrev_b32_e32 v21, 6, v21
	s_mov_b32 s6, 0x5040100
	v_perm_b32 v26, v11, v9, s6
	v_or_b32_e32 v9, v21, v24
	v_accvgpr_read_b32 v0, a8
	v_perm_b32 v27, v15, v13, s6
	v_lshlrev_b32_e32 v9, 1, v9
	v_accvgpr_read_b32 v1, a9
	v_accvgpr_read_b32 v2, a10
	;; [unrolled: 1-line block ×3, first 2 shown]
	ds_write_b64 v9, v[26:27] offset:24576
	v_mov_b32_e32 v11, 0
	v_mov_b32_e32 v9, 0
	s_and_saveexec_b64 s[6:7], vcc
	s_cbranch_execz .LBB83_76
; %bb.75:
	v_mov_b32_e32 v9, 0
	v_lshl_add_u64 v[24:25], v[6:7], 0, v[8:9]
	global_load_ushort v13, v[24:25], off offset:32
	v_lshl_add_u64 v[24:25], v[4:5], 0, v[8:9]
	s_waitcnt vmcnt(0)
	v_lshlrev_b32_e32 v9, 16, v13
	v_sub_f32_e32 v0, v9, v0
	global_store_short_d16_hi v[24:25], v0, off offset:32
	v_mul_f32_e32 v0, v18, v0
	v_lshrrev_b32_e32 v9, 16, v0
.LBB83_76:
	s_or_b64 exec, exec, s[6:7]
	s_and_saveexec_b64 s[6:7], s[0:1]
	s_cbranch_execz .LBB83_78
; %bb.77:
	v_mov_b32_e32 v11, 0
	v_lshl_add_u64 v[24:25], v[6:7], 0, v[10:11]
	global_load_ushort v0, v[24:25], off offset:32
	v_lshl_add_u64 v[24:25], v[4:5], 0, v[10:11]
	s_waitcnt vmcnt(0)
	v_lshlrev_b32_e32 v0, 16, v0
	v_sub_f32_e32 v0, v0, v1
	global_store_short_d16_hi v[24:25], v0, off offset:32
	v_mul_f32_e32 v0, v16, v0
	v_lshrrev_b32_e32 v11, 16, v0
.LBB83_78:
	s_or_b64 exec, exec, s[6:7]
	v_mov_b32_e32 v15, 0
	v_mov_b32_e32 v13, 0
	s_and_saveexec_b64 s[6:7], s[2:3]
	s_cbranch_execz .LBB83_80
; %bb.79:
	v_mov_b32_e32 v13, 0
	v_lshl_add_u64 v[0:1], v[6:7], 0, v[12:13]
	global_load_ushort v24, v[0:1], off offset:32
	v_lshl_add_u64 v[0:1], v[4:5], 0, v[12:13]
	s_waitcnt vmcnt(0)
	v_lshlrev_b32_e32 v13, 16, v24
	v_sub_f32_e32 v2, v13, v2
	global_store_short_d16_hi v[0:1], v2, off offset:32
	v_mul_f32_e32 v0, v20, v2
	v_lshrrev_b32_e32 v13, 16, v0
.LBB83_80:
	s_or_b64 exec, exec, s[6:7]
	s_and_saveexec_b64 s[6:7], s[4:5]
	s_cbranch_execz .LBB83_82
; %bb.81:
	v_mov_b32_e32 v15, 0
	v_lshl_add_u64 v[0:1], v[6:7], 0, v[14:15]
	global_load_ushort v2, v[0:1], off offset:32
	v_lshl_add_u64 v[0:1], v[4:5], 0, v[14:15]
	s_waitcnt vmcnt(0)
	v_lshlrev_b32_e32 v2, 16, v2
	v_sub_f32_e32 v2, v2, v3
	global_store_short_d16_hi v[0:1], v2, off offset:32
	v_mul_f32_e32 v0, v17, v2
	v_lshrrev_b32_e32 v15, 16, v0
.LBB83_82:
	s_or_b64 exec, exec, s[6:7]
	s_mov_b32 s6, 0x5040100
	v_perm_b32 v24, v11, v9, s6
	v_or_b32_e32 v9, v21, v23
	v_accvgpr_read_b32 v0, a4
	v_perm_b32 v25, v15, v13, s6
	v_lshlrev_b32_e32 v9, 1, v9
	v_accvgpr_read_b32 v1, a5
	v_accvgpr_read_b32 v2, a6
	;; [unrolled: 1-line block ×3, first 2 shown]
	ds_write_b64 v9, v[24:25] offset:24576
	v_mov_b32_e32 v11, 0
	v_mov_b32_e32 v9, 0
	s_and_saveexec_b64 s[6:7], vcc
	s_cbranch_execz .LBB83_84
; %bb.83:
	v_mov_b32_e32 v9, 0
	v_lshl_add_u64 v[24:25], v[6:7], 0, v[8:9]
	global_load_ushort v13, v[24:25], off offset:64
	v_lshl_add_u64 v[24:25], v[4:5], 0, v[8:9]
	s_waitcnt vmcnt(0)
	v_lshlrev_b32_e32 v9, 16, v13
	v_sub_f32_e32 v0, v9, v0
	global_store_short_d16_hi v[24:25], v0, off offset:64
	v_mul_f32_e32 v0, v18, v0
	v_lshrrev_b32_e32 v9, 16, v0
.LBB83_84:
	s_or_b64 exec, exec, s[6:7]
	s_and_saveexec_b64 s[6:7], s[0:1]
	s_cbranch_execz .LBB83_86
; %bb.85:
	v_mov_b32_e32 v11, 0
	v_lshl_add_u64 v[24:25], v[6:7], 0, v[10:11]
	global_load_ushort v0, v[24:25], off offset:64
	v_lshl_add_u64 v[24:25], v[4:5], 0, v[10:11]
	s_waitcnt vmcnt(0)
	v_lshlrev_b32_e32 v0, 16, v0
	v_sub_f32_e32 v0, v0, v1
	global_store_short_d16_hi v[24:25], v0, off offset:64
	v_mul_f32_e32 v0, v16, v0
	v_lshrrev_b32_e32 v11, 16, v0
.LBB83_86:
	s_or_b64 exec, exec, s[6:7]
	v_mov_b32_e32 v15, 0
	v_mov_b32_e32 v13, 0
	s_and_saveexec_b64 s[6:7], s[2:3]
	s_cbranch_execz .LBB83_88
; %bb.87:
	v_mov_b32_e32 v13, 0
	v_lshl_add_u64 v[0:1], v[6:7], 0, v[12:13]
	global_load_ushort v23, v[0:1], off offset:64
	v_lshl_add_u64 v[0:1], v[4:5], 0, v[12:13]
	s_waitcnt vmcnt(0)
	v_lshlrev_b32_e32 v13, 16, v23
	v_sub_f32_e32 v2, v13, v2
	global_store_short_d16_hi v[0:1], v2, off offset:64
	v_mul_f32_e32 v0, v20, v2
	v_lshrrev_b32_e32 v13, 16, v0
.LBB83_88:
	s_or_b64 exec, exec, s[6:7]
	s_and_saveexec_b64 s[6:7], s[4:5]
	s_cbranch_execz .LBB83_90
; %bb.89:
	v_mov_b32_e32 v15, 0
	v_lshl_add_u64 v[0:1], v[6:7], 0, v[14:15]
	global_load_ushort v2, v[0:1], off offset:64
	v_lshl_add_u64 v[0:1], v[4:5], 0, v[14:15]
	s_waitcnt vmcnt(0)
	v_lshlrev_b32_e32 v2, 16, v2
	v_sub_f32_e32 v2, v2, v3
	global_store_short_d16_hi v[0:1], v2, off offset:64
	v_mul_f32_e32 v0, v17, v2
	v_lshrrev_b32_e32 v15, 16, v0
.LBB83_90:
	s_or_b64 exec, exec, s[6:7]
	s_mov_b32 s6, 0x5040100
	v_perm_b32 v24, v11, v9, s6
	v_or_b32_e32 v9, v21, v22
	v_accvgpr_read_b32 v0, a0
	v_perm_b32 v25, v15, v13, s6
	v_lshlrev_b32_e32 v9, 1, v9
	v_accvgpr_read_b32 v1, a1
	v_accvgpr_read_b32 v2, a2
	;; [unrolled: 1-line block ×3, first 2 shown]
	ds_write_b64 v9, v[24:25] offset:24576
	v_mov_b32_e32 v11, 0
	v_mov_b32_e32 v9, 0
	s_and_saveexec_b64 s[6:7], vcc
	s_cbranch_execz .LBB83_92
; %bb.91:
	v_mov_b32_e32 v9, 0
	v_lshl_add_u64 v[22:23], v[6:7], 0, v[8:9]
	global_load_ushort v13, v[22:23], off offset:96
	v_lshl_add_u64 v[8:9], v[4:5], 0, v[8:9]
	s_waitcnt vmcnt(0)
	v_lshlrev_b32_e32 v13, 16, v13
	v_sub_f32_e32 v0, v13, v0
	global_store_short_d16_hi v[8:9], v0, off offset:96
	v_mul_f32_e32 v0, v18, v0
	v_lshrrev_b32_e32 v9, 16, v0
.LBB83_92:
	s_or_b64 exec, exec, s[6:7]
	s_and_saveexec_b64 s[6:7], s[0:1]
	s_cbranch_execz .LBB83_94
; %bb.93:
	v_mov_b32_e32 v11, 0
	v_lshl_add_u64 v[22:23], v[6:7], 0, v[10:11]
	global_load_ushort v0, v[22:23], off offset:96
	v_lshl_add_u64 v[10:11], v[4:5], 0, v[10:11]
	s_waitcnt vmcnt(0)
	v_lshlrev_b32_e32 v0, 16, v0
	v_sub_f32_e32 v0, v0, v1
	global_store_short_d16_hi v[10:11], v0, off offset:96
	v_mul_f32_e32 v0, v16, v0
	v_lshrrev_b32_e32 v11, 16, v0
.LBB83_94:
	s_or_b64 exec, exec, s[6:7]
	v_mov_b32_e32 v0, 0
	v_mov_b32_e32 v1, 0
	s_and_saveexec_b64 s[0:1], s[2:3]
	s_cbranch_execz .LBB83_96
; %bb.95:
	v_mov_b32_e32 v13, 0
	v_lshl_add_u64 v[22:23], v[6:7], 0, v[12:13]
	global_load_ushort v1, v[22:23], off offset:96
	v_lshl_add_u64 v[12:13], v[4:5], 0, v[12:13]
	s_waitcnt vmcnt(0)
	v_lshlrev_b32_e32 v1, 16, v1
	v_sub_f32_e32 v1, v1, v2
	global_store_short_d16_hi v[12:13], v1, off offset:96
	v_mul_f32_e32 v1, v20, v1
	v_lshrrev_b32_e32 v1, 16, v1
.LBB83_96:
	s_or_b64 exec, exec, s[0:1]
	s_and_saveexec_b64 s[0:1], s[4:5]
	s_cbranch_execz .LBB83_98
; %bb.97:
	v_mov_b32_e32 v15, 0
	v_lshl_add_u64 v[6:7], v[6:7], 0, v[14:15]
	global_load_ushort v0, v[6:7], off offset:96
	v_lshl_add_u64 v[4:5], v[4:5], 0, v[14:15]
	s_waitcnt vmcnt(0)
	v_lshlrev_b32_e32 v0, 16, v0
	v_sub_f32_e32 v0, v0, v3
	global_store_short_d16_hi v[4:5], v0, off offset:96
	v_mul_f32_e32 v0, v17, v0
	v_lshrrev_b32_e32 v0, 16, v0
.LBB83_98:
	s_or_b64 exec, exec, s[0:1]
	s_mov_b32 s0, 0x5040100
	v_or_b32_e32 v2, v21, v19
	v_perm_b32 v1, v0, v1, s0
	v_perm_b32 v0, v11, v9, s0
	v_lshlrev_b32_e32 v2, 1, v2
	ds_write_b64 v2, v[0:1] offset:24576
	s_waitcnt lgkmcnt(0)
	s_barrier
.LBB83_99:
	s_endpgm
	.section	.rodata,"a",@progbits
	.p2align	6, 0x0
	.amdhsa_kernel _ZN12_GLOBAL__N_139chunk_gated_delta_rule_fwd_h_hip_kernelILi64ELb1ELb0ELb1ELb1ELb0ELb1ELb0ELb1EEEvPK12hip_bfloat16S3_S3_PKfS5_PKvPS1_S8_PvPKiSB_iiiiilll
		.amdhsa_group_segment_fixed_size 65536
		.amdhsa_private_segment_fixed_size 0
		.amdhsa_kernarg_size 136
		.amdhsa_user_sgpr_count 2
		.amdhsa_user_sgpr_dispatch_ptr 0
		.amdhsa_user_sgpr_queue_ptr 0
		.amdhsa_user_sgpr_kernarg_segment_ptr 1
		.amdhsa_user_sgpr_dispatch_id 0
		.amdhsa_user_sgpr_kernarg_preload_length 0
		.amdhsa_user_sgpr_kernarg_preload_offset 0
		.amdhsa_user_sgpr_private_segment_size 0
		.amdhsa_uses_dynamic_stack 0
		.amdhsa_enable_private_segment 0
		.amdhsa_system_sgpr_workgroup_id_x 1
		.amdhsa_system_sgpr_workgroup_id_y 1
		.amdhsa_system_sgpr_workgroup_id_z 0
		.amdhsa_system_sgpr_workgroup_info 0
		.amdhsa_system_vgpr_workitem_id 0
		.amdhsa_next_free_vgpr 232
		.amdhsa_next_free_sgpr 65
		.amdhsa_accum_offset 192
		.amdhsa_reserve_vcc 1
		.amdhsa_float_round_mode_32 0
		.amdhsa_float_round_mode_16_64 0
		.amdhsa_float_denorm_mode_32 3
		.amdhsa_float_denorm_mode_16_64 3
		.amdhsa_dx10_clamp 1
		.amdhsa_ieee_mode 1
		.amdhsa_fp16_overflow 0
		.amdhsa_tg_split 0
		.amdhsa_exception_fp_ieee_invalid_op 0
		.amdhsa_exception_fp_denorm_src 0
		.amdhsa_exception_fp_ieee_div_zero 0
		.amdhsa_exception_fp_ieee_overflow 0
		.amdhsa_exception_fp_ieee_underflow 0
		.amdhsa_exception_fp_ieee_inexact 0
		.amdhsa_exception_int_div_zero 0
	.end_amdhsa_kernel
	.section	.text._ZN12_GLOBAL__N_139chunk_gated_delta_rule_fwd_h_hip_kernelILi64ELb1ELb0ELb1ELb1ELb0ELb1ELb0ELb1EEEvPK12hip_bfloat16S3_S3_PKfS5_PKvPS1_S8_PvPKiSB_iiiiilll,"axG",@progbits,_ZN12_GLOBAL__N_139chunk_gated_delta_rule_fwd_h_hip_kernelILi64ELb1ELb0ELb1ELb1ELb0ELb1ELb0ELb1EEEvPK12hip_bfloat16S3_S3_PKfS5_PKvPS1_S8_PvPKiSB_iiiiilll,comdat
.Lfunc_end83:
	.size	_ZN12_GLOBAL__N_139chunk_gated_delta_rule_fwd_h_hip_kernelILi64ELb1ELb0ELb1ELb1ELb0ELb1ELb0ELb1EEEvPK12hip_bfloat16S3_S3_PKfS5_PKvPS1_S8_PvPKiSB_iiiiilll, .Lfunc_end83-_ZN12_GLOBAL__N_139chunk_gated_delta_rule_fwd_h_hip_kernelILi64ELb1ELb0ELb1ELb1ELb0ELb1ELb0ELb1EEEvPK12hip_bfloat16S3_S3_PKfS5_PKvPS1_S8_PvPKiSB_iiiiilll
                                        ; -- End function
	.section	.AMDGPU.csdata,"",@progbits
; Kernel info:
; codeLenInByte = 11620
; NumSgprs: 71
; NumVgprs: 192
; NumAgprs: 40
; TotalNumVgprs: 232
; ScratchSize: 0
; MemoryBound: 0
; FloatMode: 240
; IeeeMode: 1
; LDSByteSize: 65536 bytes/workgroup (compile time only)
; SGPRBlocks: 8
; VGPRBlocks: 28
; NumSGPRsForWavesPerEU: 71
; NumVGPRsForWavesPerEU: 232
; AccumOffset: 192
; Occupancy: 1
; WaveLimiterHint : 1
; COMPUTE_PGM_RSRC2:SCRATCH_EN: 0
; COMPUTE_PGM_RSRC2:USER_SGPR: 2
; COMPUTE_PGM_RSRC2:TRAP_HANDLER: 0
; COMPUTE_PGM_RSRC2:TGID_X_EN: 1
; COMPUTE_PGM_RSRC2:TGID_Y_EN: 1
; COMPUTE_PGM_RSRC2:TGID_Z_EN: 0
; COMPUTE_PGM_RSRC2:TIDIG_COMP_CNT: 0
; COMPUTE_PGM_RSRC3_GFX90A:ACCUM_OFFSET: 47
; COMPUTE_PGM_RSRC3_GFX90A:TG_SPLIT: 0
	.section	.text._ZN12_GLOBAL__N_139chunk_gated_delta_rule_fwd_h_hip_kernelILi64ELb1ELb0ELb0ELb1ELb0ELb1ELb0ELb1EEEvPK12hip_bfloat16S3_S3_PKfS5_PKvPS1_S8_PvPKiSB_iiiiilll,"axG",@progbits,_ZN12_GLOBAL__N_139chunk_gated_delta_rule_fwd_h_hip_kernelILi64ELb1ELb0ELb0ELb1ELb0ELb1ELb0ELb1EEEvPK12hip_bfloat16S3_S3_PKfS5_PKvPS1_S8_PvPKiSB_iiiiilll,comdat
	.globl	_ZN12_GLOBAL__N_139chunk_gated_delta_rule_fwd_h_hip_kernelILi64ELb1ELb0ELb0ELb1ELb0ELb1ELb0ELb1EEEvPK12hip_bfloat16S3_S3_PKfS5_PKvPS1_S8_PvPKiSB_iiiiilll ; -- Begin function _ZN12_GLOBAL__N_139chunk_gated_delta_rule_fwd_h_hip_kernelILi64ELb1ELb0ELb0ELb1ELb0ELb1ELb0ELb1EEEvPK12hip_bfloat16S3_S3_PKfS5_PKvPS1_S8_PvPKiSB_iiiiilll
	.p2align	8
	.type	_ZN12_GLOBAL__N_139chunk_gated_delta_rule_fwd_h_hip_kernelILi64ELb1ELb0ELb0ELb1ELb0ELb1ELb0ELb1EEEvPK12hip_bfloat16S3_S3_PKfS5_PKvPS1_S8_PvPKiSB_iiiiilll,@function
_ZN12_GLOBAL__N_139chunk_gated_delta_rule_fwd_h_hip_kernelILi64ELb1ELb0ELb0ELb1ELb0ELb1ELb0ELb1EEEvPK12hip_bfloat16S3_S3_PKfS5_PKvPS1_S8_PvPKiSB_iiiiilll: ; @_ZN12_GLOBAL__N_139chunk_gated_delta_rule_fwd_h_hip_kernelILi64ELb1ELb0ELb0ELb1ELb0ELb1ELb0ELb1EEEvPK12hip_bfloat16S3_S3_PKfS5_PKvPS1_S8_PvPKiSB_iiiiilll
; %bb.0:
	s_load_dwordx4 s[12:15], s[0:1], 0x5c
	s_load_dwordx4 s[20:23], s[0:1], 0x70
	s_abs_i32 s9, s3
	s_ashr_i32 s8, s3, 31
	s_load_dwordx4 s[4:7], s[0:1], 0x48
	s_waitcnt lgkmcnt(0)
	s_abs_i32 s10, s13
	v_cvt_f32_u32_e32 v1, s10
	s_sub_i32 s16, 0, s10
	s_ashr_i32 s11, s13, 31
	s_xor_b32 s8, s8, s11
	v_rcp_iflag_f32_e32 v1, v1
	v_and_b32_e32 v88, 15, v0
	v_lshrrev_b32_e32 v86, 6, v0
	v_bfe_u32 v87, v0, 4, 2
	v_mul_f32_e32 v1, 0x4f7ffffe, v1
	v_cvt_u32_f32_e32 v1, v1
	v_mov_b32_e32 v7, 0
	v_and_b32_e32 v45, 63, v0
	v_lshlrev_b32_e32 v89, 3, v0
	v_readfirstlane_b32 s17, v1
	s_mul_i32 s16, s16, s17
	s_mul_hi_u32 s16, s17, s16
	s_add_i32 s17, s17, s16
	s_mul_hi_u32 s16, s9, s17
	s_mul_i32 s17, s16, s10
	s_sub_i32 s9, s9, s17
	s_add_i32 s18, s16, 1
	s_sub_i32 s17, s9, s10
	s_cmp_ge_u32 s9, s10
	s_cselect_b32 s16, s18, s16
	s_cselect_b32 s9, s17, s9
	s_add_i32 s17, s16, 1
	s_cmp_ge_u32 s9, s10
	s_cselect_b32 s9, s17, s16
	s_load_dwordx4 s[16:19], s[0:1], 0x28
	s_xor_b32 s9, s9, s8
	s_sub_i32 s24, s9, s8
	s_mul_i32 s28, s24, s13
	s_ashr_i32 s25, s24, 31
	s_sub_i32 s47, s3, s28
	s_lshl_b64 s[8:9], s[24:25], 2
	s_add_u32 s4, s4, s8
	s_addc_u32 s5, s5, s9
	s_add_u32 s26, s6, s8
	s_addc_u32 s27, s7, s9
	s_abs_i32 s3, s14
	v_cvt_f32_u32_e32 v1, s3
	s_load_dwordx2 s[30:31], s[4:5], 0x0
	s_lshl_b32 s38, s2, 6
	s_ashr_i32 s2, s14, 31
	v_rcp_iflag_f32_e32 v1, v1
	s_xor_b32 s2, s11, s2
	s_waitcnt lgkmcnt(0)
	s_sub_i32 s50, s31, s30
	s_ashr_i32 s4, s50, 31
	v_mul_f32_e32 v1, 0x4f7ffffe, v1
	v_cvt_u32_f32_e32 v1, v1
	s_lshr_b32 s4, s4, 26
	s_add_i32 s4, s50, s4
	s_ashr_i32 s49, s4, 6
	s_sub_i32 s4, 0, s3
	v_readfirstlane_b32 s5, v1
	s_mul_i32 s4, s4, s5
	s_mul_hi_u32 s4, s5, s4
	s_add_i32 s5, s5, s4
	s_mul_hi_u32 s4, s10, s5
	s_mul_i32 s5, s4, s3
	s_sub_i32 s5, s10, s5
	s_add_i32 s6, s4, 1
	s_sub_i32 s7, s5, s3
	s_cmp_ge_u32 s5, s3
	s_cselect_b32 s4, s6, s4
	s_cselect_b32 s5, s7, s5
	s_add_i32 s6, s4, 1
	s_cmp_ge_u32 s5, s3
	s_cselect_b32 s3, s6, s4
	s_xor_b32 s3, s3, s2
	s_sub_i32 s2, s3, s2
	s_abs_i32 s3, s2
	v_cvt_f32_u32_e32 v1, s3
	s_sub_i32 s5, 0, s3
	s_abs_i32 s4, s47
	s_xor_b32 s2, s47, s2
	v_rcp_iflag_f32_e32 v1, v1
	s_ashr_i32 s2, s2, 31
	v_or_b32_e32 v46, s38, v88
	v_lshlrev_b32_e32 v2, 7, v46
	v_mul_f32_e32 v1, 0x4f7ffffe, v1
	v_cvt_u32_f32_e32 v1, v1
	v_or_b32_e32 v10, 0x800, v2
	v_ashrrev_i32_e32 v3, 31, v2
	v_ashrrev_i32_e32 v11, 31, v10
	v_readfirstlane_b32 s6, v1
	s_mul_i32 s5, s5, s6
	s_mul_hi_u32 s5, s6, s5
	s_add_i32 s6, s6, s5
	s_mul_hi_u32 s5, s4, s6
	s_mul_i32 s6, s5, s3
	s_sub_i32 s4, s4, s6
	s_add_i32 s6, s5, 1
	s_sub_i32 s7, s4, s3
	s_cmp_ge_u32 s4, s3
	s_cselect_b32 s5, s6, s5
	s_cselect_b32 s4, s7, s4
	s_add_i32 s6, s5, 1
	s_cmp_ge_u32 s4, s3
	s_cselect_b32 s3, s6, s5
	s_xor_b32 s3, s3, s2
	s_sub_i32 s51, s3, s2
	s_ashr_i32 s48, s47, 31
	s_mul_hi_i32 s3, s24, s13
	s_add_u32 s2, s28, s47
	s_addc_u32 s3, s3, s48
	s_lshl_b64 s[2:3], s[2:3], 15
	v_lshlrev_b32_e32 v1, 4, v86
	s_add_u32 s2, s16, s2
	v_lshl_or_b32 v91, v87, 2, v1
	s_addc_u32 s3, s17, s3
	v_lshl_add_u64 v[4:5], v[2:3], 1, s[2:3]
	v_lshlrev_b32_e32 v6, 1, v91
	v_lshl_add_u64 v[10:11], v[10:11], 1, s[2:3]
	v_lshl_add_u64 v[4:5], v[4:5], 0, v[6:7]
	;; [unrolled: 1-line block ×3, first 2 shown]
	global_load_dwordx2 v[8:9], v[4:5], off
	v_lshrrev_b32_e32 v90, 3, v45
	global_load_dwordx2 v[4:5], v[4:5], off offset:128
	s_nop 0
	global_load_dwordx2 v[12:13], v[10:11], off
	global_load_dwordx2 v[14:15], v[10:11], off offset:128
	v_or_b32_e32 v10, 0x1000, v2
	v_or_b32_e32 v2, 0x1800, v2
	v_ashrrev_i32_e32 v11, 31, v10
	v_ashrrev_i32_e32 v3, 31, v2
	v_lshl_add_u64 v[10:11], v[10:11], 1, s[2:3]
	v_lshl_add_u64 v[2:3], v[2:3], 1, s[2:3]
	v_lshl_add_u64 v[10:11], v[10:11], 0, v[6:7]
	v_lshl_add_u64 v[2:3], v[2:3], 0, v[6:7]
	global_load_dwordx2 v[16:17], v[10:11], off
	v_or_b32_e32 v92, 64, v91
	global_load_dwordx2 v[10:11], v[10:11], off offset:128
	s_nop 0
	global_load_dwordx2 v[6:7], v[2:3], off
	global_load_dwordx2 v[18:19], v[2:3], off offset:128
	s_load_dwordx8 s[4:11], s[0:1], 0x0
	s_load_dwordx2 s[28:29], s[0:1], 0x80
	s_load_dword s54, s[26:27], 0x0
	s_mul_i32 s33, s24, s21
	s_mul_hi_u32 s43, s24, s20
	s_mul_i32 s42, s25, s20
	s_mul_hi_i32 s52, s47, s12
	s_mul_i32 s53, s47, s12
	s_cmp_lt_i32 s50, 64
	s_mul_i32 s36, s24, s20
	s_mul_i32 s44, s47, s23
	s_mul_hi_u32 s45, s47, s22
	s_mul_i32 s46, s48, s22
	s_mul_i32 s34, s47, s22
	s_waitcnt vmcnt(7)
	v_and_b32_e32 v75, 0xffff0000, v8
	v_lshlrev_b32_e32 v74, 16, v8
	v_and_b32_e32 v79, 0xffff0000, v9
	v_lshlrev_b32_e32 v78, 16, v9
	s_waitcnt vmcnt(6)
	v_and_b32_e32 v73, 0xffff0000, v4
	v_lshlrev_b32_e32 v72, 16, v4
	v_and_b32_e32 v77, 0xffff0000, v5
	v_lshlrev_b32_e32 v76, 16, v5
	;; [unrolled: 5-line block ×8, first 2 shown]
	s_cbranch_scc1 .LBB84_18
; %bb.1:
	s_ashr_i32 s3, s30, 31
	s_add_u32 s2, s53, s30
	s_addc_u32 s3, s52, s3
	s_lshl_b64 s[2:3], s[2:3], 8
	v_and_b32_e32 v94, 56, v89
	s_waitcnt lgkmcnt(0)
	s_add_u32 s20, s6, s2
	v_lshl_or_b32 v93, v86, 3, v90
	v_lshlrev_b32_e32 v2, 1, v94
	s_addc_u32 s2, s7, s3
	v_lshl_or_b32 v95, v93, 8, v2
	s_and_b32 s21, s2, 0xffff
	s_mov_b32 s23, 0x20000
	s_movk_i32 s22, 0x4000
	s_movk_i32 s2, 0x80
	v_or_b32_e32 v96, 0x2000, v95
	buffer_load_dwordx4 v[4:7], v95, s[20:23], 0 offen
	buffer_load_dwordx4 v[8:11], v95, s[20:23], s2 offen
	;; [unrolled: 1-line block ×4, first 2 shown]
	v_lshlrev_b32_e32 v3, 3, v93
	v_and_or_b32 v21, v0, 7, v3
	v_and_b32_e32 v3, 0x78, v3
	v_lshlrev_b32_e32 v21, 4, v21
	v_xor_b32_e32 v97, v21, v3
	v_mul_lo_u32 v20, v93, s15
	v_or_b32_e32 v98, 0x1000, v97
	v_xor_b32_e32 v3, 8, v97
	s_cmpk_eq_i32 s15, 0x80
	s_mov_b32 s55, s30
	v_xor_b32_e32 v21, 8, v98
	s_cselect_b64 s[2:3], -1, 0
	s_cmpk_lg_i32 s15, 0x80
	s_waitcnt vmcnt(3)
	ds_write_b64 v97, v[4:5] offset:49152
	ds_write_b64 v3, v[6:7] offset:49152
	s_waitcnt vmcnt(2)
	ds_write_b64 v97, v[8:9] offset:57344
	ds_write_b64 v3, v[10:11] offset:57344
	;; [unrolled: 3-line block ×4, first 2 shown]
	v_lshl_add_u32 v3, v20, 1, v94
	s_cbranch_scc0 .LBB84_3
; %bb.2:
	v_lshlrev_b32_e32 v5, 1, v3
	v_add_lshl_u32 v4, v3, s15, 1
	s_lshl_b32 s22, s15, 7
	s_load_dwordx2 s[16:17], s[0:1], 0x20
	v_lshl_or_b32 v2, v93, 9, v2
	s_cbranch_execz .LBB84_4
	s_branch .LBB84_5
.LBB84_3:
                                        ; implicit-def: $vgpr4
                                        ; implicit-def: $vgpr5
                                        ; implicit-def: $sgpr22
	s_load_dwordx2 s[16:17], s[0:1], 0x20
	v_lshl_or_b32 v2, v93, 9, v2
.LBB84_4:
	v_or_b32_e32 v4, 0x100, v2
	s_movk_i32 s22, 0x4000
	v_mov_b32_e32 v5, v2
.LBB84_5:
	s_mul_i32 s0, s30, s14
	s_ashr_i32 s56, s51, 31
	s_mul_hi_i32 s1, s30, s14
	s_add_u32 s0, s0, s51
	s_addc_u32 s1, s1, s56
	s_lshl_b64 s[0:1], s[0:1], 8
	s_add_u32 s20, s4, s0
	s_addc_u32 s0, s5, s1
	s_and_b32 s21, s0, 0xffff
	s_movk_i32 s57, 0x80
	buffer_load_dwordx4 v[6:9], v5, s[20:23], 0 offen
	buffer_load_dwordx4 v[10:13], v5, s[20:23], s57 offen
	;; [unrolled: 1-line block ×4, first 2 shown]
	v_and_b32_e32 v5, 6, v0
	v_lshlrev_b32_e32 v4, 7, v91
	v_xor_b32_e32 v27, v93, v5
	v_and_b32_e32 v22, 1, v0
	v_lshl_or_b32 v30, v88, 3, v4
	v_lshlrev_b32_e32 v27, 2, v27
	v_lshlrev_b32_e32 v23, 2, v88
	v_or_b32_e32 v99, 0x4000, v30
	v_or_b32_e32 v100, 0x6000, v30
	v_xor_b32_e32 v30, 0x440, v27
	v_cmp_eq_u32_e32 vcc, 0, v22
	v_or_b32_e32 v25, 16, v88
	v_or_b32_e32 v26, 32, v88
	v_xor_b32_e32 v28, v91, v23
	v_xor_b32_e32 v29, v92, v23
	v_cndmask_b32_e32 v22, v30, v27, vcc
	s_mov_b32 s58, 0x1000504
	v_lshl_or_b32 v31, v25, 3, v4
	v_lshlrev_b32_e32 v25, 8, v25
	v_lshl_or_b32 v32, v26, 3, v4
	v_lshlrev_b32_e32 v28, 1, v28
	v_lshlrev_b32_e32 v29, 1, v29
	v_lshl_or_b32 v5, v5, 10, v22
	s_add_i32 s0, s43, s33
	s_mov_b32 s59, 0x3020706
	v_lshlrev_b32_e32 v24, 8, v88
	v_or_b32_e32 v103, 0x4000, v32
	v_or_b32_e32 v104, 0x6000, v32
	;; [unrolled: 1-line block ×4, first 2 shown]
	v_xor_b32_e32 v22, 8, v5
	v_xor_b32_e32 v25, 24, v5
	;; [unrolled: 1-line block ×4, first 2 shown]
	s_add_i32 s37, s0, s42
	s_add_i32 s0, s45, s44
	v_or_b32_e32 v101, 0x4000, v31
	v_or_b32_e32 v102, 0x6000, v31
	;; [unrolled: 1-line block ×4, first 2 shown]
	v_xor_b32_e32 v24, 16, v5
	v_xor_b32_e32 v27, 32, v5
	;; [unrolled: 1-line block ×3, first 2 shown]
	v_add_u32_e32 v22, 0x80, v22
	v_add_u32_e32 v25, 0x80, v25
	;; [unrolled: 1-line block ×4, first 2 shown]
	s_add_i32 s35, s0, s46
	s_lshl_b64 s[0:1], s[36:37], 2
	s_add_u32 s20, s10, s0
	s_addc_u32 s21, s11, s1
	s_lshl_b64 s[0:1], s[34:35], 2
	s_add_u32 s40, s20, s0
	s_movk_i32 s0, 0xf8
	s_addc_u32 s41, s21, s1
	s_ashr_i32 s39, s38, 31
	s_lshl_b32 s26, s15, 7
	v_mov_b32_e32 v81, 0
	s_movk_i32 s20, 0x100
	v_lshlrev_b32_e32 v80, 4, v88
	v_lshlrev_b32_e32 v26, 8, v26
	v_ashrrev_i32_e32 v47, 31, v46
	s_mov_b32 s60, 0
	s_movk_i32 s22, 0x4000
	v_or_b32_e32 v109, v26, v28
	v_or_b32_e32 v110, v26, v29
	v_lshl_add_u64 v[82:83], v[46:47], 1, s[8:9]
	s_mov_b32 s35, 0x7060302
	s_movk_i32 s37, 0x2000
	v_mov_b32_e32 v144, 0x3fb8aa3b
	s_waitcnt vmcnt(1)
	v_perm_b32 v33, v6, v14, s58
	s_waitcnt vmcnt(0)
	v_perm_b32 v34, v10, v18, s58
	v_perm_b32 v6, v6, v14, s59
	;; [unrolled: 1-line block ×15, first 2 shown]
	ds_write2st64_b32 v5, v33, v34 offset0:128 offset1:160
	ds_write2st64_b32 v22, v6, v10 offset0:128 offset1:160
	;; [unrolled: 1-line block ×8, first 2 shown]
	v_or_b32_e32 v5, 48, v88
	v_lshl_or_b32 v6, v5, 3, v4
	v_lshlrev_b32_e32 v5, 8, v5
	v_or_b32_e32 v113, v5, v28
	v_or_b32_e32 v114, v5, v29
	;; [unrolled: 1-line block ×3, first 2 shown]
	v_lshlrev_b32_e32 v5, 3, v5
	v_lshrrev_b32_e32 v7, 5, v45
	v_and_or_b32 v7, v5, s0, v7
	v_lshlrev_b32_e32 v7, 4, v7
	v_or_b32_e32 v111, 0x4000, v6
	v_or_b32_e32 v112, 0x6000, v6
	v_lshrrev_b32_e32 v6, 2, v45
	v_lshlrev_b32_e32 v9, 11, v86
	v_and_b32_e32 v5, 0x78, v5
	v_or_b32_e32 v13, 32, v7
	v_and_b32_e32 v8, 12, v6
	v_and_b32_e32 v6, 0x1000, v9
	v_xor_b32_e32 v10, v7, v5
	v_lshrrev_b32_e32 v11, 1, v45
	v_xor_b32_e32 v13, v13, v5
	v_or_b32_e32 v10, v10, v6
	v_and_b32_e32 v11, 8, v11
	v_or_b32_e32 v13, v13, v6
	v_xor_b32_e32 v115, v10, v11
	v_lshlrev_b32_e32 v10, 8, v87
	v_xor_b32_e32 v117, v13, v11
	v_or_b32_e32 v13, 64, v7
	v_or_b32_e32 v7, 0x60, v7
	;; [unrolled: 1-line block ×3, first 2 shown]
	v_xor_b32_e32 v13, v13, v5
	v_xor_b32_e32 v5, v7, v5
	s_lshl_b64 s[0:1], s[38:39], 8
	v_lshlrev_b32_e32 v12, 1, v12
	v_or_b32_e32 v13, v13, v6
	v_or_b32_e32 v5, v5, v6
	s_add_u32 s0, s18, s0
	v_lshlrev_b32_e32 v6, 1, v88
	v_lshlrev_b32_e32 v15, 2, v0
	v_or_b32_e32 v116, 0x4000, v12
	v_or_b32_e32 v118, 0x4080, v12
	;; [unrolled: 1-line block ×4, first 2 shown]
	v_xor_b32_e32 v121, v13, v11
	v_xor_b32_e32 v122, v5, v11
	v_or_b32_e32 v123, 0x6000, v12
	v_or_b32_e32 v124, 0x6080, v12
	;; [unrolled: 1-line block ×4, first 2 shown]
	v_lshlrev_b32_e32 v5, 1, v3
	v_add_lshl_u32 v3, v3, s15, 1
	v_or_b32_e32 v11, 0x100, v2
	v_lshrrev_b32_e32 v12, 4, v0
	s_addc_u32 s1, s19, s1
	v_or_b32_e32 v7, 1, v6
	v_lshrrev_b32_e32 v16, 1, v0
	v_and_or_b32 v10, v15, 60, v10
	v_xor_b32_e32 v13, v12, v6
	v_xor_b32_e32 v14, v7, v12
	v_lshl_add_u64 v[6:7], s[0:1], 0, v[80:81]
	v_and_b32_e32 v16, 24, v16
	v_lshlrev_b32_e32 v10, 1, v10
	v_cndmask_b32_e64 v133, v5, v2, s[2:3]
	v_cndmask_b32_e64 v134, v3, v11, s[2:3]
	v_mov_b32_e32 v3, 0xa000
	v_mov_b32_e32 v5, 0x8000
	v_cmp_gt_u32_e64 s[0:1], s20, v0
	v_lshlrev_b32_e32 v80, 8, v12
	v_or_b32_e32 v129, 0x6000, v10
	v_or_b32_e32 v15, 32, v16
	;; [unrolled: 1-line block ×6, first 2 shown]
	v_cndmask_b32_e64 v3, v3, v5, s[0:1]
	v_lshlrev_b32_e32 v5, 3, v86
	v_lshl_or_b32 v127, v13, 3, v80
	v_and_b32_e32 v13, 8, v0
	v_xor_b32_e32 v11, v5, v16
	v_xor_b32_e32 v15, v5, v15
	;; [unrolled: 1-line block ×3, first 2 shown]
	v_mov_b32_e32 v17, 0x400
	v_cmp_eq_u32_e32 vcc, 0, v13
	v_or_b32_e32 v16, 0x440, v11
	v_or_b32_e32 v18, 0x440, v15
	v_xor_b32_e32 v10, 0x440, v5
	v_and_b32_e32 v12, 7, v0
	v_cndmask_b32_e64 v13, v17, 64, vcc
	v_cndmask_b32_e32 v16, v16, v11, vcc
	v_cndmask_b32_e32 v15, v18, v15, vcc
	;; [unrolled: 1-line block ×3, first 2 shown]
	v_lshl_or_b32 v128, v14, 3, v80
	v_lshlrev_b32_e32 v14, 3, v12
	v_or_b32_e32 v16, v16, v9
	v_or_b32_e32 v15, v15, v9
	v_or3_b32 v11, v9, v13, v11
	v_or_b32_e32 v5, v5, v9
	v_lshlrev_b32_e32 v12, 7, v12
	v_xor_b32_e32 v16, v16, v14
	v_xor_b32_e32 v15, v15, v14
	;; [unrolled: 1-line block ×4, first 2 shown]
	v_or_b32_e32 v2, v1, v8
	v_add_u32_e32 v17, v3, v16
	v_add_u32_e32 v18, v3, v15
	v_or_b32_e32 v135, v11, v12
	v_add_u32_e32 v9, v3, v5
	v_or3_b32 v8, v1, v8, 64
	v_add_u32_e32 v10, 0xa000, v16
	v_add_u32_e32 v11, 0xa000, v15
	;; [unrolled: 1-line block ×3, first 2 shown]
	v_lshl_add_u64 v[84:85], v[6:7], 0, v[80:81]
	v_lshlrev_b32_e32 v80, 1, v4
	s_movk_i32 s39, 0x3000
	v_lshlrev_b32_e32 v47, 2, v2
	v_add_u32_e32 v136, v17, v12
	v_add_u32_e32 v137, v18, v12
	;; [unrolled: 1-line block ×4, first 2 shown]
	v_lshlrev_b32_e32 v140, 2, v8
	v_add_u32_e32 v141, v10, v12
	v_add_u32_e32 v142, v11, v12
	;; [unrolled: 1-line block ×3, first 2 shown]
	s_waitcnt lgkmcnt(0)
	s_barrier
.LBB84_6:                               ; =>This Inner Loop Header: Depth=1
	s_add_i32 s61, s60, 1
	s_cmp_lt_i32 s61, s49
	s_mov_b64 s[24:25], 0
	s_cselect_b64 s[2:3], -1, 0
	s_cmp_ge_i32 s61, s49
	s_mov_b64 s[20:21], 0
	s_cbranch_scc1 .LBB84_8
; %bb.7:                                ;   in Loop: Header=BB84_6 Depth=1
	s_add_i32 s0, s55, 64
	s_ashr_i32 s1, s0, 31
	s_add_u32 s0, s53, s0
	s_addc_u32 s1, s52, s1
	s_lshl_b64 s[0:1], s[0:1], 8
	s_add_u32 s20, s6, s0
	s_addc_u32 s21, s7, s1
.LBB84_8:                               ;   in Loop: Header=BB84_6 Depth=1
	v_cndmask_b32_e64 v2, 0, 1, s[2:3]
	v_cmp_ne_u32_e64 s[0:1], 1, v2
	s_andn2_b64 vcc, exec, s[2:3]
	s_cbranch_vccnz .LBB84_10
; %bb.9:                                ;   in Loop: Header=BB84_6 Depth=1
	s_add_i32 s2, s55, 64
	s_mul_hi_i32 s3, s2, s14
	s_mul_i32 s2, s2, s14
	s_add_u32 s2, s2, s51
	s_addc_u32 s3, s3, s56
	s_lshl_b64 s[2:3], s[2:3], 8
	s_add_u32 s24, s4, s2
	s_addc_u32 s25, s5, s3
.LBB84_10:                              ;   in Loop: Header=BB84_6 Depth=1
	v_perm_b32 v3, v79, v78, s35
	v_perm_b32 v2, v75, v74, s35
	v_perm_b32 v5, v77, v76, s35
	v_perm_b32 v4, v73, v72, s35
	ds_write_b64 v99, v[2:3]
	ds_write_b64 v100, v[4:5]
	ds_write_b64 v105, v[2:3]
	ds_write_b64 v106, v[4:5]
	v_perm_b32 v3, v71, v70, s35
	v_perm_b32 v2, v67, v66, s35
	v_perm_b32 v5, v69, v68, s35
	v_perm_b32 v4, v65, v64, s35
	ds_write_b64 v101, v[2:3]
	ds_write_b64 v102, v[4:5]
	ds_write_b64 v107, v[2:3]
	ds_write_b64 v108, v[4:5]
	;; [unrolled: 8-line block ×4, first 2 shown]
	s_waitcnt lgkmcnt(0)
	s_barrier
	ds_read_b64 v[6:7], v115 offset:49152
	ds_read2_b64 v[2:5], v116 offset1:16
	ds_read_b64 v[18:19], v118 offset:6144
	ds_read_b64 v[20:21], v116 offset:6144
	s_waitcnt lgkmcnt(2)
	v_mfma_f32_16x16x16_bf16 a[0:3], v[6:7], v[2:3], 0
	ds_read_b64 v[22:23], v117 offset:49152
	ds_read2st64_b64 v[10:13], v119 offset0:4 offset1:8
	ds_read2st64_b64 v[14:17], v120 offset0:4 offset1:8
	v_mfma_f32_16x16x16_bf16 a[4:7], v[6:7], v[4:5], 0
	ds_read2_b64 v[2:5], v116 offset0:32 offset1:48
	s_add_i32 s62, s55, 63
	s_ashr_i32 s2, s62, 31
	s_waitcnt lgkmcnt(0)
	v_mfma_f32_16x16x16_bf16 a[8:11], v[6:7], v[2:3], 0
	s_mul_i32 s3, s62, s29
	s_mul_hi_u32 s27, s62, s28
	s_add_i32 s3, s27, s3
	v_mfma_f32_16x16x16_bf16 a[12:15], v[6:7], v[4:5], 0
	ds_read2st64_b64 v[2:5], v116 offset0:4 offset1:8
	ds_read2st64_b64 v[6:9], v118 offset0:4 offset1:8
	s_mul_i32 s2, s2, s28
	s_waitcnt lgkmcnt(1)
	v_mfma_f32_16x16x16_bf16 a[0:3], v[22:23], v[2:3], a[0:3]
	s_add_i32 s3, s3, s2
	s_mul_i32 s2, s62, s28
	s_lshl_b64 s[2:3], s[2:3], 2
	s_waitcnt lgkmcnt(0)
	v_mfma_f32_16x16x16_bf16 a[4:7], v[22:23], v[6:7], a[4:7]
	s_add_u32 s2, s40, s2
	s_addc_u32 s3, s41, s3
	s_and_b64 vcc, exec, s[0:1]
	v_mfma_f32_16x16x16_bf16 a[8:11], v[22:23], v[10:11], a[8:11]
	ds_read_b64 v[2:3], v121 offset:49152
	ds_read_b64 v[6:7], v122 offset:49152
	;; [unrolled: 1-line block ×3, first 2 shown]
	v_mov_b32_e32 v147, 0
	v_mov_b32_e32 v146, 0
	v_mfma_f32_16x16x16_bf16 a[12:15], v[22:23], v[14:15], a[12:15]
	v_mov_b32_e32 v145, 0
	v_mov_b32_e32 v14, 0
	;; [unrolled: 1-line block ×3, first 2 shown]
	s_waitcnt lgkmcnt(2)
	v_mfma_f32_16x16x16_bf16 a[0:3], v[2:3], v[4:5], a[0:3]
	v_mov_b32_e32 v4, 0
	v_mov_b32_e32 v5, 0
	v_mfma_f32_16x16x16_bf16 a[16:19], v[2:3], v[8:9], a[4:7]
	v_mov_b32_e32 v8, 0
	v_mov_b32_e32 v9, 0
	;; [unrolled: 3-line block ×3, first 2 shown]
	v_mfma_f32_16x16x16_bf16 a[24:27], v[2:3], v[16:17], a[12:15]
	ds_read_b64 v[2:3], v119 offset:6144
	v_mov_b32_e32 v16, 0
	v_mov_b32_e32 v17, 0
	s_waitcnt lgkmcnt(2)
	v_mfma_f32_16x16x16_bf16 a[4:7], v[6:7], v[20:21], a[0:3]
	v_mfma_f32_16x16x16_bf16 a[8:11], v[6:7], v[18:19], a[16:19]
	s_waitcnt lgkmcnt(0)
	v_mfma_f32_16x16x16_bf16 a[12:15], v[6:7], v[2:3], a[20:23]
	v_mov_b32_e32 v2, 0
	v_mov_b32_e32 v3, 0
	v_mfma_f32_16x16x16_bf16 a[0:3], v[6:7], v[10:11], a[24:27]
	v_mov_b32_e32 v6, 0
	v_mov_b32_e32 v7, 0
	;; [unrolled: 1-line block ×4, first 2 shown]
	s_cbranch_vccnz .LBB84_12
; %bb.11:                               ;   in Loop: Header=BB84_6 Depth=1
	s_and_b32 s21, s21, 0xffff
	buffer_load_dwordx4 v[14:17], v95, s[20:23], 0 offen
	buffer_load_dwordx4 v[10:13], v95, s[20:23], s57 offen
	;; [unrolled: 1-line block ×4, first 2 shown]
	v_mov_b32_e32 v146, v97
	v_mov_b32_e32 v145, v98
.LBB84_12:                              ;   in Loop: Header=BB84_6 Depth=1
	ds_read_b64 v[34:35], v115 offset:57344
	ds_read2_b64 v[18:21], v123 offset1:16
	ds_read_b64 v[36:37], v117 offset:57344
	ds_read_b64 v[38:39], v121 offset:57344
	;; [unrolled: 1-line block ×3, first 2 shown]
	v_add_u32_e32 v42, s55, v91
	s_waitcnt lgkmcnt(3)
	v_mfma_f32_16x16x16_bf16 a[4:7], v[34:35], v[18:19], a[4:7]
	v_mfma_f32_16x16x16_bf16 a[8:11], v[34:35], v[20:21], a[8:11]
	ds_read2_b64 v[18:21], v123 offset0:32 offset1:48
	ds_read2st64_b64 v[22:25], v123 offset0:4 offset1:8
	ds_read2st64_b64 v[26:29], v124 offset0:4 offset1:8
	;; [unrolled: 1-line block ×3, first 2 shown]
	s_waitcnt lgkmcnt(3)
	v_mfma_f32_16x16x16_bf16 a[12:15], v[34:35], v[18:19], a[12:15]
	v_ashrrev_i32_e32 v18, 31, v42
	v_mfma_f32_16x16x16_bf16 a[0:3], v[34:35], v[20:21], a[0:3]
	v_mul_lo_u32 v20, v18, s28
	v_mul_lo_u32 v21, v42, s29
	v_mad_u64_u32 v[18:19], s[20:21], v42, s28, 0
	v_add3_u32 v19, v19, v21, v20
	v_add_u32_e32 v20, 1, v42
	v_ashrrev_i32_e32 v21, 31, v20
	s_waitcnt lgkmcnt(2)
	v_mfma_f32_16x16x16_bf16 a[4:7], v[36:37], v[22:23], a[4:7]
	v_mul_lo_u32 v22, v21, s28
	v_mul_lo_u32 v23, v20, s29
	v_mad_u64_u32 v[20:21], s[20:21], v20, s28, 0
	v_add3_u32 v21, v21, v23, v22
	v_add_u32_e32 v22, 2, v42
	v_ashrrev_i32_e32 v23, 31, v22
	s_waitcnt lgkmcnt(1)
	v_mfma_f32_16x16x16_bf16 a[8:11], v[36:37], v[26:27], a[8:11]
	v_mul_lo_u32 v26, v23, s28
	v_mul_lo_u32 v27, v22, s29
	v_mad_u64_u32 v[22:23], s[20:21], v22, s28, 0
	v_add3_u32 v23, v23, v27, v26
	v_add_u32_e32 v26, 3, v42
	v_ashrrev_i32_e32 v27, 31, v26
	v_mul_lo_u32 v34, v27, s28
	v_mul_lo_u32 v35, v26, s29
	v_mad_u64_u32 v[26:27], s[20:21], v26, s28, 0
	s_ashr_i32 s21, s55, 31
	s_add_u32 s20, s53, s55
	v_lshl_add_u64 v[18:19], v[18:19], 2, s[40:41]
	v_add3_u32 v27, v27, v35, v34
	s_addc_u32 s21, s52, s21
	v_lshl_add_u64 v[20:21], v[20:21], 2, s[40:41]
	global_load_dword v42, v[18:19], off
	v_lshl_add_u64 v[18:19], v[26:27], 2, s[40:41]
	s_lshl_b64 s[20:21], s[20:21], 8
	v_lshl_add_u64 v[22:23], v[22:23], 2, s[40:41]
	global_load_dword v34, v[20:21], off
	global_load_dword v35, v[22:23], off
	;; [unrolled: 1-line block ×3, first 2 shown]
	v_lshl_add_u64 v[18:19], v[82:83], 0, s[20:21]
	v_lshl_add_u64 v[22:23], v[18:19], 0, v[80:81]
	global_load_ushort v44, v[22:23], off offset:256
	global_load_ushort v148, v[22:23], off
	ds_read2st64_b64 v[18:21], v126 offset0:4 offset1:8
	global_load_ushort v149, v[22:23], off offset:768
	global_load_ushort v150, v[22:23], off offset:512
	s_waitcnt lgkmcnt(1)
	v_mfma_f32_16x16x16_bf16 a[12:15], v[36:37], v[30:31], a[12:15]
	s_and_b64 vcc, exec, s[0:1]
	s_waitcnt vmcnt(3)
	v_lshlrev_b32_e32 v31, 16, v44
	s_waitcnt lgkmcnt(0)
	v_mfma_f32_16x16x16_bf16 a[0:3], v[36:37], v[18:19], a[0:3]
	global_load_ushort v36, v[22:23], off offset:288
	global_load_ushort v37, v[22:23], off offset:32
	;; [unrolled: 1-line block ×8, first 2 shown]
	v_mfma_f32_16x16x16_bf16 a[4:7], v[38:39], v[24:25], a[4:7]
	ds_read_b64 v[18:19], v123 offset:6144
	s_waitcnt vmcnt(10)
	v_lshlrev_b32_e32 v30, 16, v148
	v_mov_b32_e32 v148, 0
	v_mfma_f32_16x16x16_bf16 a[8:11], v[38:39], v[28:29], a[8:11]
	v_mfma_f32_16x16x16_bf16 a[12:15], v[38:39], v[32:33], a[12:15]
	;; [unrolled: 1-line block ×3, first 2 shown]
	global_load_ushort v38, v[22:23], off offset:352
	global_load_ushort v39, v[22:23], off offset:96
	ds_read_b64 v[20:21], v124 offset:6144
	ds_read_b64 v[24:25], v125 offset:6144
	;; [unrolled: 1-line block ×3, first 2 shown]
	global_load_ushort v157, v[22:23], off offset:864
	global_load_ushort v158, v[22:23], off offset:608
	s_load_dword s2, s[2:3], 0x0
	s_waitcnt lgkmcnt(0)
	v_mfma_f32_16x16x16_bf16 a[4:7], v[40:41], v[18:19], a[4:7]
	v_sub_f32_e32 v28, s2, v35
	v_mfma_f32_16x16x16_bf16 a[0:3], v[40:41], v[26:27], a[0:3]
	v_sub_f32_e32 v26, s2, v42
	v_sub_f32_e32 v27, s2, v34
	;; [unrolled: 1-line block ×3, first 2 shown]
	v_mul_f32_e32 v26, 0x3fb8aa3b, v26
	v_mul_f32_e32 v27, 0x3fb8aa3b, v27
	;; [unrolled: 1-line block ×4, first 2 shown]
	v_mfma_f32_16x16x16_bf16 a[8:11], v[40:41], v[20:21], a[8:11]
	v_exp_f32_e32 v26, v26
	v_exp_f32_e32 v27, v27
	;; [unrolled: 1-line block ×4, first 2 shown]
	v_accvgpr_read_b32 v33, a5
	v_accvgpr_read_b32 v32, a4
	;; [unrolled: 1-line block ×4, first 2 shown]
	v_pk_add_f32 v[30:31], v[30:31], v[32:33] neg_lo:[0,1] neg_hi:[0,1]
	s_waitcnt vmcnt(13)
	v_lshlrev_b32_e32 v33, 16, v149
	s_waitcnt vmcnt(12)
	v_lshlrev_b32_e32 v32, 16, v150
	v_pk_add_f32 v[18:19], v[32:33], v[18:19] neg_lo:[0,1] neg_hi:[0,1]
	v_pk_mul_f32 v[30:31], v[26:27], v[30:31]
	v_pk_mul_f32 v[18:19], v[28:29], v[18:19]
	v_accvgpr_read_b32 v33, a9
	v_perm_b32 v19, v19, v18, s35
	v_perm_b32 v18, v31, v30, s35
	v_accvgpr_read_b32 v32, a8
	v_accvgpr_read_b32 v21, a11
	v_mfma_f32_16x16x16_bf16 a[12:15], v[40:41], v[24:25], a[12:15]
	v_accvgpr_read_b32 v20, a10
	v_accvgpr_read_b32 v25, a3
	;; [unrolled: 1-line block ×3, first 2 shown]
	s_waitcnt vmcnt(11)
	v_lshlrev_b32_e32 v31, 16, v36
	s_waitcnt vmcnt(10)
	v_lshlrev_b32_e32 v30, 16, v37
	v_pk_add_f32 v[30:31], v[30:31], v[32:33] neg_lo:[0,1] neg_hi:[0,1]
	s_waitcnt vmcnt(9)
	v_lshlrev_b32_e32 v33, 16, v151
	s_waitcnt vmcnt(8)
	v_lshlrev_b32_e32 v32, 16, v152
	v_pk_add_f32 v[20:21], v[32:33], v[20:21] neg_lo:[0,1] neg_hi:[0,1]
	v_pk_mul_f32 v[30:31], v[26:27], v[30:31]
	v_pk_mul_f32 v[20:21], v[28:29], v[20:21]
	v_accvgpr_read_b32 v23, a15
	v_perm_b32 v21, v21, v20, s35
	v_perm_b32 v20, v31, v30, s35
	ds_write2_b64 v100, v[18:19], v[20:21] offset1:16
	v_accvgpr_read_b32 v21, a13
	s_waitcnt vmcnt(7)
	v_lshlrev_b32_e32 v19, 16, v153
	s_waitcnt vmcnt(6)
	v_lshlrev_b32_e32 v18, 16, v154
	v_accvgpr_read_b32 v20, a12
	v_accvgpr_read_b32 v22, a14
	v_pk_add_f32 v[18:19], v[18:19], v[20:21] neg_lo:[0,1] neg_hi:[0,1]
	s_waitcnt vmcnt(5)
	v_lshlrev_b32_e32 v21, 16, v155
	s_waitcnt vmcnt(4)
	v_lshlrev_b32_e32 v20, 16, v156
	v_pk_add_f32 v[20:21], v[20:21], v[22:23] neg_lo:[0,1] neg_hi:[0,1]
	v_pk_mul_f32 v[18:19], v[26:27], v[18:19]
	v_pk_mul_f32 v[20:21], v[28:29], v[20:21]
	v_accvgpr_read_b32 v23, a1
	v_perm_b32 v21, v21, v20, s35
	v_perm_b32 v20, v19, v18, s35
	s_waitcnt vmcnt(3)
	v_lshlrev_b32_e32 v19, 16, v38
	s_waitcnt vmcnt(2)
	v_lshlrev_b32_e32 v18, 16, v39
	v_accvgpr_read_b32 v22, a0
	v_pk_add_f32 v[18:19], v[18:19], v[22:23] neg_lo:[0,1] neg_hi:[0,1]
	s_waitcnt vmcnt(1)
	v_lshlrev_b32_e32 v23, 16, v157
	s_waitcnt vmcnt(0)
	v_lshlrev_b32_e32 v22, 16, v158
	v_pk_add_f32 v[22:23], v[22:23], v[24:25] neg_lo:[0,1] neg_hi:[0,1]
	v_pk_mul_f32 v[18:19], v[26:27], v[18:19]
	v_pk_mul_f32 v[22:23], v[28:29], v[22:23]
	v_mov_b32_e32 v24, 0
	v_perm_b32 v23, v23, v22, s35
	v_perm_b32 v22, v19, v18, s35
	ds_write2_b64 v100, v[20:21], v[22:23] offset0:32 offset1:48
	v_mov_b32_e32 v18, 0
	v_mov_b32_e32 v19, 0
	;; [unrolled: 1-line block ×15, first 2 shown]
	s_cbranch_vccnz .LBB84_14
; %bb.13:                               ;   in Loop: Header=BB84_6 Depth=1
	s_and_b32 s25, s25, 0xffff
	s_mov_b32 s27, s23
	buffer_load_dwordx4 v[30:33], v133, s[24:27], 0 offen
	buffer_load_dwordx4 v[22:25], v133, s[24:27], s57 offen
	;; [unrolled: 1-line block ×4, first 2 shown]
	v_mov_b32_e32 v147, v94
	v_mov_b32_e32 v148, v93
.LBB84_14:                              ;   in Loop: Header=BB84_6 Depth=1
	s_waitcnt lgkmcnt(0)
	s_barrier
	ds_read_b64 v[42:43], v136
	ds_read2_b64 v[34:37], v129 offset1:16
	ds_read_b64 v[166:167], v137
	ds_read_b64 v[168:169], v138
	;; [unrolled: 1-line block ×3, first 2 shown]
	ds_read2_b64 v[38:41], v129 offset0:32 offset1:48
	ds_read2st64_b64 v[150:153], v129 offset0:4 offset1:8
	ds_read2st64_b64 v[154:157], v130 offset0:4 offset1:8
	;; [unrolled: 1-line block ×4, first 2 shown]
	s_waitcnt lgkmcnt(8)
	v_mfma_f32_16x16x16_bf16 a[0:3], v[42:43], v[34:35], 0
	s_add_i32 s3, s54, s60
	s_mul_hi_i32 s21, s3, s13
	s_mul_i32 s3, s3, s13
	v_mfma_f32_16x16x16_bf16 a[4:7], v[42:43], v[36:37], 0
	s_add_u32 s20, s3, s47
	s_addc_u32 s21, s21, s48
	s_lshl_b64 s[20:21], s[20:21], 15
	s_waitcnt lgkmcnt(4)
	v_mfma_f32_16x16x16_bf16 a[8:11], v[42:43], v[38:39], 0
	s_mul_i32 s24, s62, s13
	s_mul_hi_i32 s3, s62, s13
	s_add_u32 s24, s24, s47
	v_mfma_f32_16x16x16_bf16 a[12:15], v[42:43], v[40:41], 0
	ds_read_b64 v[42:43], v129 offset:6144
	ds_read_b64 v[178:179], v130 offset:6144
	;; [unrolled: 1-line block ×4, first 2 shown]
	s_addc_u32 s25, s3, s48
	s_waitcnt lgkmcnt(7)
	v_mfma_f32_16x16x16_bf16 a[0:3], v[166:167], v[150:151], a[0:3]
	s_lshl_b64 s[24:25], s[24:25], 9
	s_add_u32 s24, s16, s24
	s_addc_u32 s25, s17, s25
	s_waitcnt lgkmcnt(6)
	v_mfma_f32_16x16x16_bf16 a[4:7], v[166:167], v[154:155], a[4:7]
	v_lshl_add_u64 v[188:189], v[84:85], 0, s[20:21]
	s_waitcnt lgkmcnt(5)
	v_mfma_f32_16x16x16_bf16 a[8:11], v[166:167], v[158:159], a[8:11]
	s_waitcnt lgkmcnt(4)
	v_mfma_f32_16x16x16_bf16 a[12:15], v[166:167], v[162:163], a[12:15]
	ds_read_b64 v[166:167], v141
	ds_read_b64 v[176:177], v142
	;; [unrolled: 1-line block ×3, first 2 shown]
	s_waitcnt lgkmcnt(2)
	v_mfma_f32_16x16x16_bf16 a[16:19], v[166:167], v[34:35], 0
	v_mfma_f32_16x16x16_bf16 a[20:23], v[166:167], v[36:37], 0
	global_load_dwordx4 v[34:37], v140, s[24:25]
	v_mfma_f32_16x16x16_bf16 a[24:27], v[166:167], v[38:39], 0
	v_mfma_f32_16x16x16_bf16 a[28:31], v[166:167], v[40:41], 0
	global_load_dwordx4 v[38:41], v47, s[24:25]
	v_mfma_f32_16x16x16_bf16 a[0:3], v[168:169], v[152:153], a[0:3]
	v_mfma_f32_16x16x16_bf16 a[4:7], v[168:169], v[156:157], a[4:7]
	;; [unrolled: 1-line block ×8, first 2 shown]
	ds_read2st64_b64 v[166:169], v127 offset1:8
	ds_read2st64_b64 v[170:173], v128 offset1:8
	ds_read_b64 v[186:187], v135 offset:40960
	s_waitcnt lgkmcnt(2)
	v_mov_b32_e32 v174, v166
	v_mfma_f32_16x16x16_bf16 a[16:19], v[176:177], v[150:151], a[16:19]
	v_mov_b32_e32 v175, v167
	v_mfma_f32_16x16x16_bf16 a[20:23], v[176:177], v[154:155], a[20:23]
	v_mfma_f32_16x16x16_bf16 a[24:27], v[176:177], v[158:159], a[24:27]
	;; [unrolled: 1-line block ×3, first 2 shown]
	v_add_co_u32_e32 v162, vcc, s37, v188
	s_waitcnt lgkmcnt(1)
	v_mov_b32_e32 v176, v170
	s_waitcnt lgkmcnt(0)
	v_mfma_f32_16x16x16_bf16 a[16:19], v[186:187], v[152:153], a[16:19]
	ds_read2st64_b64 v[150:153], v127 offset0:16 offset1:24
	v_addc_co_u32_e32 v163, vcc, 0, v189, vcc
	v_mfma_f32_16x16x16_bf16 a[20:23], v[186:187], v[156:157], a[20:23]
	ds_read2st64_b64 v[154:157], v128 offset0:16 offset1:24
	v_mov_b32_e32 v177, v171
	v_mov_b32_e32 v170, v168
	v_mfma_f32_16x16x16_bf16 a[32:35], v[186:187], v[160:161], a[24:27]
	v_mov_b32_e32 v171, v169
	s_waitcnt lgkmcnt(0)
	v_mov_b32_e32 v160, v154
	v_mov_b32_e32 v161, v155
	v_mfma_f32_16x16x16_bf16 a[36:39], v[186:187], v[164:165], a[28:31]
	v_mov_b32_e32 v154, v152
	v_mov_b32_e32 v155, v153
	;; [unrolled: 1-line block ×3, first 2 shown]
	v_mfma_f32_16x16x16_bf16 a[24:27], v[184:185], v[42:43], a[16:19]
	v_add_co_u32_e32 v42, vcc, s39, v188
	v_mov_b32_e32 v159, v151
	v_mfma_f32_16x16x16_bf16 a[28:31], v[184:185], v[178:179], a[20:23]
	v_addc_co_u32_e32 v43, vcc, 0, v189, vcc
	global_store_dwordx4 v[42:43], v[154:157], off
	v_mfma_f32_16x16x16_bf16 a[16:19], v[184:185], v[180:181], a[32:35]
	s_waitcnt vmcnt(2)
	v_mov_b32_e32 v44, v37
	v_mov_b32_e32 v43, v36
	;; [unrolled: 1-line block ×3, first 2 shown]
	v_mfma_f32_16x16x16_bf16 a[20:23], v[184:185], v[182:183], a[36:39]
	s_and_b64 vcc, exec, s[0:1]
	global_store_dwordx4 v[188:189], v[174:177], off
	global_store_dwordx4 v[162:163], v[170:173], off offset:-4096
	global_store_dwordx4 v[162:163], v[158:161], off
	s_cbranch_vccnz .LBB84_16
; %bb.15:                               ;   in Loop: Header=BB84_6 Depth=1
	v_lshrrev_b32_e32 v35, 3, v147
	v_and_b32_e32 v35, 6, v35
	v_xor_b32_e32 v36, v35, v148
	v_lshlrev_b32_e32 v36, 2, v36
	v_and_b32_e32 v37, 8, v147
	v_xor_b32_e32 v147, 0x440, v36
	v_cmp_eq_u32_e32 vcc, 0, v37
	v_perm_b32 v37, v22, v18, s58
	s_nop 0
	v_cndmask_b32_e32 v36, v147, v36, vcc
	v_lshl_or_b32 v35, v35, 10, v36
	v_perm_b32 v36, v30, v26, s58
	s_barrier
	ds_write2st64_b32 v35, v36, v37 offset0:128 offset1:160
	v_xor_b32_e32 v36, 8, v35
	v_perm_b32 v26, v30, v26, s59
	v_perm_b32 v18, v22, v18, s59
	v_add_u32_e32 v22, 0x80, v36
	ds_write2st64_b32 v22, v26, v18 offset0:128 offset1:160
	v_xor_b32_e32 v18, 16, v35
	v_perm_b32 v22, v31, v27, s58
	v_perm_b32 v26, v23, v19, s58
	ds_write2st64_b32 v18, v22, v26 offset0:129 offset1:161
	v_xor_b32_e32 v18, 24, v35
	v_perm_b32 v22, v31, v27, s59
	v_perm_b32 v19, v23, v19, s59
	v_add_u32_e32 v18, 0x80, v18
	ds_write2st64_b32 v18, v22, v19 offset0:129 offset1:161
	v_xor_b32_e32 v18, 32, v35
	v_perm_b32 v19, v32, v28, s58
	v_perm_b32 v22, v24, v20, s58
	;; [unrolled: 9-line block ×3, first 2 shown]
	ds_write2st64_b32 v18, v19, v20 offset0:131 offset1:163
	v_xor_b32_e32 v18, 56, v35
	v_perm_b32 v19, v33, v29, s59
	v_perm_b32 v20, v25, v21, s59
	v_add_u32_e32 v18, 0x80, v18
	ds_write2st64_b32 v18, v19, v20 offset0:131 offset1:163
	ds_write_b64 v146, v[14:15] offset:49152
	v_xor_b32_e32 v14, 8, v146
	ds_write_b64 v14, v[16:17] offset:49152
	ds_write_b64 v146, v[10:11] offset:57344
	;; [unrolled: 1-line block ×4, first 2 shown]
	v_xor_b32_e32 v6, 8, v145
	ds_write_b64 v6, v[8:9] offset:49152
	ds_write_b64 v145, v[2:3] offset:57344
	;; [unrolled: 1-line block ×3, first 2 shown]
.LBB84_16:                              ;   in Loop: Header=BB84_6 Depth=1
	v_mul_f32_e32 v26, s2, v144
	v_exp_f32_e32 v36, v26
	s_waitcnt vmcnt(4)
	v_mul_f32_e32 v26, 0x3fb8aa3b, v38
	v_exp_f32_e32 v38, v26
	v_mul_f32_e32 v26, 0x3fb8aa3b, v39
	v_exp_f32_e32 v39, v26
	;; [unrolled: 2-line block ×4, first 2 shown]
	v_accvgpr_read_b32 v5, a3
	v_accvgpr_read_b32 v4, a2
	;; [unrolled: 1-line block ×4, first 2 shown]
	v_pk_mul_f32 v[38:39], v[36:37], v[38:39] op_sel_hi:[0,1]
	v_pk_mul_f32 v[40:41], v[36:37], v[40:41] op_sel_hi:[0,1]
	v_pk_fma_f32 v[74:75], v[74:75], v[38:39], v[2:3]
	v_pk_fma_f32 v[78:79], v[78:79], v[40:41], v[4:5]
	v_mul_f32_e32 v2, 0x3fb8aa3b, v34
	v_mul_f32_e32 v3, 0x3fb8aa3b, v42
	;; [unrolled: 1-line block ×4, first 2 shown]
	v_exp_f32_e32 v2, v2
	v_exp_f32_e32 v3, v3
	;; [unrolled: 1-line block ×4, first 2 shown]
	v_accvgpr_read_b32 v9, a7
	v_accvgpr_read_b32 v13, a11
	;; [unrolled: 1-line block ×28, first 2 shown]
	v_pk_mul_f32 v[2:3], v[36:37], v[2:3] op_sel_hi:[0,1]
	v_pk_mul_f32 v[4:5], v[36:37], v[4:5] op_sel_hi:[0,1]
	s_add_i32 s55, s55, 64
	v_pk_fma_f32 v[66:67], v[38:39], v[66:67], v[6:7]
	v_pk_fma_f32 v[70:71], v[40:41], v[70:71], v[8:9]
	;; [unrolled: 1-line block ×13, first 2 shown]
	s_cmp_eq_u32 s49, s61
	v_pk_fma_f32 v[52:53], v[4:5], v[52:53], v[32:33]
	s_cbranch_scc1 .LBB84_18
; %bb.17:                               ;   in Loop: Header=BB84_6 Depth=1
	s_mov_b32 s60, s61
	s_branch .LBB84_6
.LBB84_18:
	s_lshl_b32 s26, s49, 6
	s_sub_i32 s27, s50, s26
	s_cmp_gt_i32 s27, 0
	s_cbranch_scc0 .LBB84_99
; %bb.19:
	s_add_i32 s26, s26, s30
	s_ashr_i32 s2, s26, 31
	s_cmpk_lg_i32 s15, 0x80
	s_cselect_b64 s[22:23], -1, 0
	s_and_b64 vcc, exec, s[22:23]
	s_cbranch_vccz .LBB84_21
; %bb.20:
	s_mul_i32 s1, s26, s14
	s_ashr_i32 s3, s51, 31
	s_mul_hi_i32 s0, s26, s14
	s_add_u32 s24, s1, s51
	s_addc_u32 s25, s0, s3
	s_cbranch_execz .LBB84_22
	s_branch .LBB84_23
.LBB84_21:
                                        ; implicit-def: $sgpr24_sgpr25
.LBB84_22:
	s_mul_i32 s1, s51, s12
	s_mul_hi_i32 s0, s51, s12
	s_add_u32 s24, s1, s26
	s_addc_u32 s25, s0, s2
.LBB84_23:
	s_waitcnt lgkmcnt(0)
	s_add_i32 s3, s49, s54
	s_add_u32 s0, s53, s26
	v_lshlrev_b32_e32 v6, 6, v91
	v_lshlrev_b32_e32 v24, 2, v88
	s_addc_u32 s1, s52, s2
	s_mov_b32 s2, 0x7060302
	v_or_b32_e32 v9, v6, v24
	v_xor_b32_e32 v7, v91, v24
	v_perm_b32 v3, v79, v78, s2
	v_perm_b32 v2, v75, v74, s2
	;; [unrolled: 1-line block ×4, first 2 shown]
	v_lshlrev_b32_e32 v9, 1, v9
	v_xor_b32_e32 v8, v92, v24
	ds_write2st64_b64 v9, v[2:3], v[4:5] offset0:32 offset1:48
	v_lshlrev_b32_e32 v7, 1, v7
	v_lshlrev_b32_e32 v9, 8, v88
	v_or_b32_e32 v10, v7, v9
	v_lshlrev_b32_e32 v8, 1, v8
	ds_write_b64 v10, v[2:3]
	v_or_b32_e32 v2, v8, v9
	v_or_b32_e32 v9, 16, v88
	v_lshlrev_b32_e32 v23, 2, v9
	v_or_b32_e32 v10, v6, v23
	ds_write_b64 v2, v[4:5]
	v_perm_b32 v3, v71, v70, s2
	v_perm_b32 v2, v67, v66, s2
	;; [unrolled: 1-line block ×4, first 2 shown]
	v_lshlrev_b32_e32 v10, 1, v10
	v_lshlrev_b32_e32 v9, 8, v9
	ds_write2st64_b64 v10, v[2:3], v[4:5] offset0:32 offset1:48
	v_or_b32_e32 v10, v7, v9
	ds_write_b64 v10, v[2:3]
	v_or_b32_e32 v2, v8, v9
	v_or_b32_e32 v9, 32, v88
	v_lshlrev_b32_e32 v22, 2, v9
	v_or_b32_e32 v10, v6, v22
	s_lshl_b64 s[20:21], s[0:1], 8
	ds_write_b64 v2, v[4:5]
	v_perm_b32 v3, v63, v62, s2
	v_perm_b32 v2, v59, v58, s2
	;; [unrolled: 1-line block ×4, first 2 shown]
	v_lshlrev_b32_e32 v10, 1, v10
	v_lshlrev_b32_e32 v9, 8, v9
	s_add_u32 s0, s6, s20
	ds_write2st64_b64 v10, v[2:3], v[4:5] offset0:32 offset1:48
	v_or_b32_e32 v10, v7, v9
	s_addc_u32 s1, s7, s21
	ds_write_b64 v10, v[2:3]
	v_or_b32_e32 v2, v8, v9
	v_or_b32_e32 v9, 48, v88
	s_mul_hi_i32 s6, s3, s13
	s_mul_i32 s3, s3, s13
	ds_write_b64 v2, v[4:5]
	v_perm_b32 v3, v55, v54, s2
	v_perm_b32 v2, v51, v50, s2
	;; [unrolled: 1-line block ×4, first 2 shown]
	v_lshlrev_b32_e32 v19, 2, v9
	s_add_u32 s2, s3, s47
	v_or_b32_e32 v6, v6, v19
	s_addc_u32 s3, s6, s48
	v_lshlrev_b32_e32 v6, 1, v6
	s_ashr_i32 s39, s38, 31
	s_lshl_b64 s[2:3], s[2:3], 15
	ds_write2st64_b64 v6, v[2:3], v[4:5] offset0:32 offset1:48
	v_lshlrev_b32_e32 v6, 8, v9
	s_add_u32 s6, s18, s2
	v_or_b32_e32 v7, v7, v6
	s_addc_u32 s7, s19, s3
	s_lshl_b64 s[2:3], s[38:39], 8
	ds_write_b64 v7, v[2:3]
	v_or_b32_e32 v2, v8, v6
	s_add_u32 s2, s6, s2
	v_lshlrev_b32_e32 v3, 1, v88
	ds_write_b64 v2, v[4:5]
	v_lshrrev_b32_e32 v2, 4, v0
	s_addc_u32 s3, s7, s3
	v_or_b32_e32 v4, 1, v3
	v_lshlrev_b32_e32 v10, 4, v88
	v_mov_b32_e32 v11, 0
	v_xor_b32_e32 v3, v2, v3
	v_xor_b32_e32 v6, v4, v2
	v_lshl_add_u64 v[12:13], s[2:3], 0, v[10:11]
	v_lshlrev_b32_e32 v10, 8, v2
	v_lshl_or_b32 v16, v3, 3, v10
	v_lshl_or_b32 v17, v6, 3, v10
	s_waitcnt lgkmcnt(0)
	s_barrier
	ds_read2st64_b64 v[2:5], v16 offset1:8
	ds_read2st64_b64 v[6:9], v17 offset1:8
	v_lshl_add_u64 v[14:15], v[12:13], 0, v[10:11]
	s_movk_i32 s2, 0x2000
	s_cmp_lg_u32 s27, 64
	s_waitcnt lgkmcnt(1)
	v_mov_b32_e32 v10, v2
	v_mov_b32_e32 v11, v3
	s_waitcnt lgkmcnt(0)
	v_mov_b32_e32 v12, v6
	v_mov_b32_e32 v13, v7
	global_store_dwordx4 v[14:15], v[10:13], off
	v_mov_b32_e32 v6, v4
	v_mov_b32_e32 v7, v5
	ds_read2st64_b64 v[2:5], v16 offset0:16 offset1:24
	ds_read2st64_b64 v[10:13], v17 offset0:16 offset1:24
	v_add_co_u32_e32 v16, vcc, s2, v14
	s_cselect_b64 s[6:7], -1, 0
	s_nop 0
	v_addc_co_u32_e32 v17, vcc, 0, v15, vcc
	global_store_dwordx4 v[16:17], v[6:9], off offset:-4096
	v_lshl_or_b32 v25, v86, 3, v90
	s_mov_b32 s16, 0
	s_waitcnt lgkmcnt(1)
	v_mov_b32_e32 v6, v2
	v_add_co_u32_e32 v2, vcc, 0x3000, v14
	v_mov_b32_e32 v7, v3
	s_nop 0
	v_addc_co_u32_e32 v3, vcc, 0, v15, vcc
	s_waitcnt lgkmcnt(0)
	v_mov_b32_e32 v8, v10
	v_mov_b32_e32 v9, v11
	;; [unrolled: 1-line block ×4, first 2 shown]
	v_or_b32_e32 v20, 32, v25
	v_and_b32_e32 v18, 56, v89
	s_and_b64 vcc, exec, s[6:7]
	global_store_dwordx4 v[16:17], v[6:9], off
	global_store_dwordx4 v[2:3], v[10:13], off
	s_cbranch_vccz .LBB84_29
; %bb.24:
	s_mov_b32 s17, s16
	s_mov_b32 s18, s16
	;; [unrolled: 1-line block ×3, first 2 shown]
	v_mov_b64_e32 v[6:7], s[16:17]
	v_mov_b64_e32 v[8:9], s[18:19]
	;; [unrolled: 1-line block ×3, first 2 shown]
	v_cmp_gt_i32_e32 vcc, s27, v25
	v_mov_b64_e32 v[4:5], v[8:9]
	s_and_saveexec_b64 s[2:3], vcc
	s_cbranch_execz .LBB84_26
; %bb.25:
	v_lshlrev_b32_e32 v2, 8, v25
	v_mov_b32_e32 v3, 0
	v_lshl_add_u64 v[4:5], s[0:1], 0, v[2:3]
	v_lshlrev_b32_e32 v2, 1, v18
	v_lshl_add_u64 v[10:11], v[4:5], 0, v[2:3]
	global_load_dwordx4 v[6:9], v[10:11], off
	global_load_dwordx4 v[2:5], v[10:11], off offset:128
.LBB84_26:
	s_or_b64 exec, exec, s[2:3]
	s_mov_b32 s17, s16
	s_mov_b32 s18, s16
	;; [unrolled: 1-line block ×3, first 2 shown]
	v_mov_b64_e32 v[14:15], s[16:17]
	v_mov_b64_e32 v[16:17], s[18:19]
	;; [unrolled: 1-line block ×3, first 2 shown]
	v_cmp_gt_i32_e32 vcc, s27, v20
	v_lshlrev_b32_e32 v21, 7, v20
	v_mov_b64_e32 v[12:13], v[16:17]
	s_and_saveexec_b64 s[2:3], vcc
	s_cbranch_execz .LBB84_28
; %bb.27:
	v_lshlrev_b32_e32 v10, 1, v21
	v_mov_b32_e32 v11, 0
	v_lshl_add_u64 v[12:13], s[0:1], 0, v[10:11]
	v_lshlrev_b32_e32 v10, 1, v18
	v_lshl_add_u64 v[26:27], v[12:13], 0, v[10:11]
	global_load_dwordx4 v[14:17], v[26:27], off
	global_load_dwordx4 v[10:13], v[26:27], off offset:128
.LBB84_28:
	s_or_b64 exec, exec, s[2:3]
	v_lshrrev_b32_e32 v26, 3, v18
	v_lshlrev_b32_e32 v27, 3, v25
	v_or_b32_e32 v26, v27, v26
	v_lshlrev_b32_e32 v26, 4, v26
	v_and_b32_e32 v27, 0x78, v27
	v_xor_b32_e32 v26, v26, v27
	s_branch .LBB84_31
.LBB84_29:
                                        ; implicit-def: $vgpr26
                                        ; implicit-def: $vgpr21
                                        ; implicit-def: $vgpr6_vgpr7_vgpr8_vgpr9
                                        ; implicit-def: $vgpr2_vgpr3_vgpr4_vgpr5
                                        ; implicit-def: $vgpr14_vgpr15_vgpr16_vgpr17
                                        ; implicit-def: $vgpr10_vgpr11_vgpr12_vgpr13
	s_cbranch_execz .LBB84_31
; %bb.30:
	s_waitcnt vmcnt(0)
	v_lshlrev_b32_e32 v2, 1, v18
	v_lshl_or_b32 v21, v25, 8, v2
	s_and_b32 s1, s1, 0xffff
	s_mov_b32 s3, 0x20000
	s_movk_i32 s2, 0x4000
	v_lshl_or_b32 v26, v20, 8, v2
	s_movk_i32 s12, 0x80
	buffer_load_dwordx4 v[6:9], v21, s[0:3], 0 offen
	buffer_load_dwordx4 v[2:5], v21, s[0:3], s12 offen
	;; [unrolled: 1-line block ×4, first 2 shown]
	v_lshrrev_b32_e32 v21, 3, v18
	v_lshlrev_b32_e32 v26, 3, v25
	v_or_b32_e32 v21, v26, v21
	v_lshlrev_b32_e32 v21, 4, v21
	v_and_b32_e32 v26, 0x78, v26
	v_xor_b32_e32 v26, v21, v26
	v_lshlrev_b32_e32 v21, 7, v20
.LBB84_31:
	s_movk_i32 s0, 0x1000
	v_and_or_b32 v20, v21, s0, v26
	s_waitcnt vmcnt(1)
	ds_write_b64 v26, v[6:7] offset:49152
	v_xor_b32_e32 v6, 8, v26
	ds_write_b64 v6, v[8:9] offset:49152
	s_waitcnt vmcnt(0)
	ds_write_b64 v26, v[2:3] offset:57344
	ds_write_b64 v6, v[4:5] offset:57344
	;; [unrolled: 1-line block ×3, first 2 shown]
	v_xor_b32_e32 v2, 8, v20
	ds_write_b64 v2, v[16:17] offset:49152
	ds_write_b64 v20, v[10:11] offset:57344
	;; [unrolled: 1-line block ×3, first 2 shown]
	v_or_b32_e32 v2, v1, v88
	v_lshlrev_b32_e32 v3, 11, v86
	v_lshlrev_b32_e32 v2, 3, v2
	v_and_b32_e32 v6, 0x1000, v3
	v_lshrrev_b32_e32 v3, 5, v45
	s_movk_i32 s0, 0xf8
	v_and_or_b32 v3, v2, s0, v3
	v_lshlrev_b32_e32 v7, 4, v3
	v_and_b32_e32 v8, 0x78, v2
	v_or_b32_e32 v10, 32, v7
	v_lshrrev_b32_e32 v3, 1, v45
	v_xor_b32_e32 v10, v10, v8
	v_xor_b32_e32 v2, v7, v8
	v_and_b32_e32 v9, 8, v3
	v_or_b32_e32 v10, v10, v6
	v_or_b32_e32 v2, v2, v6
	v_xor_b32_e32 v28, v10, v9
	v_or_b32_e32 v10, 64, v7
	v_xor_b32_e32 v27, v2, v9
	v_xor_b32_e32 v10, v10, v8
	s_waitcnt lgkmcnt(0)
	s_barrier
	v_or_b32_e32 v13, v10, v6
	ds_read_b64 v[10:11], v27 offset:49152
	v_lshl_or_b32 v14, v87, 8, v24
	v_lshlrev_b32_e32 v26, 1, v14
	v_add_u32_e32 v12, 0x4000, v26
	ds_read2_b64 v[2:5], v12 offset1:16
	v_or_b32_e32 v7, 0x60, v7
	v_xor_b32_e32 v7, v7, v8
	v_or_b32_e32 v6, v7, v6
	v_xor_b32_e32 v29, v13, v9
	v_xor_b32_e32 v30, v6, v9
	ds_read_b64 v[20:21], v28 offset:49152
	ds_read_b64 v[34:35], v29 offset:49152
	;; [unrolled: 1-line block ×3, first 2 shown]
	s_waitcnt lgkmcnt(3)
	v_mfma_f32_16x16x16_bf16 a[0:3], v[10:11], v[2:3], 0
	ds_read2st64_b64 v[6:9], v26 offset0:36 offset1:40
	s_lshl_b64 s[0:1], s[24:25], 8
	s_add_u32 s4, s4, s0
	v_mfma_f32_16x16x16_bf16 a[4:7], v[10:11], v[4:5], 0
	ds_read2_b64 v[2:5], v12 offset0:32 offset1:48
	s_addc_u32 s5, s5, s1
	s_add_i32 s1, s43, s33
	s_waitcnt lgkmcnt(0)
	v_mfma_f32_16x16x16_bf16 a[8:11], v[10:11], v[2:3], 0
	v_or_b32_e32 v2, 64, v14
	v_lshlrev_b32_e32 v31, 1, v2
	s_add_i32 s0, s31, -1
	v_mfma_f32_16x16x16_bf16 a[12:15], v[10:11], v[4:5], 0
	ds_read2st64_b64 v[2:5], v31 offset0:36 offset1:40
	s_add_i32 s37, s1, s42
	s_add_i32 s1, s45, s44
	v_mfma_f32_16x16x16_bf16 a[0:3], v[20:21], v[6:7], a[0:3]
	v_or_b32_e32 v6, 0x80, v14
	v_lshlrev_b32_e32 v32, 1, v6
	ds_read2st64_b64 v[10:13], v32 offset0:36 offset1:40
	s_waitcnt lgkmcnt(1)
	v_mfma_f32_16x16x16_bf16 a[4:7], v[20:21], v[2:3], a[4:7]
	v_or_b32_e32 v2, 0xc0, v14
	v_lshlrev_b32_e32 v33, 1, v2
	ds_read2st64_b64 v[14:17], v33 offset0:36 offset1:40
	s_add_i32 s35, s1, s46
	s_ashr_i32 s1, s0, 31
	s_mul_i32 s2, s0, s29
	s_mul_hi_u32 s3, s0, s28
	s_add_i32 s2, s3, s2
	s_mul_i32 s1, s1, s28
	s_waitcnt lgkmcnt(1)
	v_mfma_f32_16x16x16_bf16 a[8:11], v[20:21], v[10:11], a[8:11]
	s_add_i32 s1, s2, s1
	s_lshl_b64 s[2:3], s[36:37], 2
	s_add_u32 s10, s10, s2
	s_waitcnt lgkmcnt(0)
	v_mfma_f32_16x16x16_bf16 a[12:15], v[20:21], v[14:15], a[12:15]
	s_addc_u32 s11, s11, s3
	s_lshl_b64 s[2:3], s[34:35], 2
	s_mul_i32 s0, s0, s28
	v_mfma_f32_16x16x16_bf16 a[0:3], v[34:35], v[8:9], a[0:3]
	ds_read_b64 v[2:3], v26 offset:22528
	s_add_u32 s10, s10, s2
	s_addc_u32 s11, s11, s3
	v_mfma_f32_16x16x16_bf16 a[4:7], v[34:35], v[4:5], a[4:7]
	ds_read_b64 v[4:5], v31 offset:22528
	ds_read_b64 v[6:7], v32 offset:22528
	;; [unrolled: 1-line block ×3, first 2 shown]
	s_lshl_b64 s[0:1], s[0:1], 2
	s_add_u32 s0, s10, s0
	v_mfma_f32_16x16x16_bf16 a[8:11], v[34:35], v[12:13], a[8:11]
	s_addc_u32 s1, s11, s1
	s_load_dword s12, s[0:1], 0x0
	s_and_b64 vcc, exec, s[22:23]
	v_mfma_f32_16x16x16_bf16 a[12:15], v[34:35], v[16:17], a[12:15]
	s_waitcnt lgkmcnt(0)
	v_mfma_f32_16x16x16_bf16 a[0:3], v[36:37], v[2:3], a[0:3]
	v_mfma_f32_16x16x16_bf16 a[4:7], v[36:37], v[4:5], a[4:7]
	;; [unrolled: 1-line block ×4, first 2 shown]
	s_cbranch_vccz .LBB84_42
; %bb.32:
	v_lshlrev_b32_e32 v20, 1, v25
	s_and_b64 vcc, exec, s[6:7]
	s_cbranch_vccz .LBB84_43
; %bb.33:
	v_cmp_gt_i32_e32 vcc, s27, v20
	v_mov_b32_e32 v6, 0
	v_mov_b32_e32 v2, 0
	;; [unrolled: 1-line block ×5, first 2 shown]
	s_and_saveexec_b64 s[0:1], vcc
	s_cbranch_execz .LBB84_35
; %bb.34:
	v_mad_i64_i32 v[2:3], s[2:3], s15, v20, 0
	v_lshl_add_u64 v[2:3], v[2:3], 1, s[4:5]
	v_lshlrev_b32_e32 v4, 1, v18
	v_mov_b32_e32 v5, 0
	v_lshl_add_u64 v[2:3], v[2:3], 0, v[4:5]
	global_load_dwordx4 v[2:5], v[2:3], off
.LBB84_35:
	s_or_b64 exec, exec, s[0:1]
	v_or_b32_e32 v21, 1, v20
	v_cmp_gt_i32_e64 s[0:1], s27, v21
	v_mov_b32_e32 v7, 0
	v_mov_b32_e32 v8, 0
	;; [unrolled: 1-line block ×3, first 2 shown]
	s_and_saveexec_b64 s[2:3], s[0:1]
	s_cbranch_execz .LBB84_37
; %bb.36:
	v_mad_i64_i32 v[6:7], s[16:17], s15, v21, 0
	v_lshl_add_u64 v[6:7], v[6:7], 1, s[4:5]
	v_lshlrev_b32_e32 v8, 1, v18
	v_mov_b32_e32 v9, 0
	v_lshl_add_u64 v[6:7], v[6:7], 0, v[8:9]
	global_load_dwordx4 v[6:9], v[6:7], off
.LBB84_37:
	s_or_b64 exec, exec, s[2:3]
	v_mov_b32_e32 v17, 0
	v_mov_b32_e32 v10, 0
	;; [unrolled: 1-line block ×5, first 2 shown]
	s_and_saveexec_b64 s[2:3], vcc
	s_cbranch_execz .LBB84_39
; %bb.38:
	v_mad_i64_i32 v[10:11], s[16:17], s15, v20, 0
	v_lshl_add_u64 v[10:11], v[10:11], 1, s[4:5]
	v_lshlrev_b32_e32 v12, 1, v18
	v_mov_b32_e32 v13, 0
	v_lshl_add_u64 v[10:11], v[10:11], 0, v[12:13]
	global_load_dwordx4 v[10:13], v[10:11], off offset:128
.LBB84_39:
	s_or_b64 exec, exec, s[2:3]
	v_mov_b32_e32 v16, 0
	v_mov_b32_e32 v15, 0
	;; [unrolled: 1-line block ×3, first 2 shown]
	s_and_saveexec_b64 s[2:3], s[0:1]
	s_cbranch_execz .LBB84_41
; %bb.40:
	v_mad_i64_i32 v[14:15], s[0:1], s15, v21, 0
	v_lshl_add_u64 v[14:15], v[14:15], 1, s[4:5]
	v_lshlrev_b32_e32 v16, 1, v18
	v_mov_b32_e32 v17, 0
	v_lshl_add_u64 v[14:15], v[14:15], 0, v[16:17]
	global_load_dwordx4 v[14:17], v[14:15], off offset:128
.LBB84_41:
	s_or_b64 exec, exec, s[2:3]
	s_branch .LBB84_45
.LBB84_42:
                                        ; implicit-def: $vgpr5
                                        ; implicit-def: $vgpr9
                                        ; implicit-def: $vgpr13
                                        ; implicit-def: $vgpr17
	v_lshrrev_b32_e32 v34, 2, v45
	s_branch .LBB84_46
.LBB84_43:
                                        ; implicit-def: $vgpr5
                                        ; implicit-def: $vgpr9
                                        ; implicit-def: $vgpr13
                                        ; implicit-def: $vgpr17
	s_cbranch_execz .LBB84_45
; %bb.44:
	s_waitcnt vmcnt(0)
	v_mad_u64_u32 v[2:3], s[0:1], v20, s15, v[18:19]
	v_lshlrev_b32_e32 v20, 1, v2
	s_lshl_b32 s2, s15, 7
	s_and_b32 s1, s5, 0xffff
	s_mov_b32 s3, 0x20000
	s_mov_b32 s0, s4
	v_add_lshl_u32 v21, v2, s15, 1
	s_movk_i32 s13, 0x80
	buffer_load_dwordx4 v[2:5], v20, s[0:3], 0 offen
	buffer_load_dwordx4 v[10:13], v20, s[0:3], s13 offen
	;; [unrolled: 1-line block ×4, first 2 shown]
.LBB84_45:
	v_lshrrev_b32_e32 v34, 2, v45
	s_cbranch_execnz .LBB84_58
.LBB84_46:
	s_and_b64 vcc, exec, s[6:7]
	s_cbranch_vccz .LBB84_56
; %bb.47:
	s_waitcnt vmcnt(0)
	v_lshlrev_b32_e32 v7, 1, v25
	v_cmp_gt_i32_e32 vcc, s27, v7
	v_mov_b32_e32 v6, 0
	v_lshlrev_b32_e32 v14, 9, v25
	v_mov_b32_e32 v2, 0
	v_mov_b32_e32 v3, 0
	v_mov_b32_e32 v4, 0
	v_mov_b32_e32 v5, 0
	s_and_saveexec_b64 s[0:1], vcc
	s_cbranch_execz .LBB84_49
; %bb.48:
	v_mov_b32_e32 v15, 0
	v_lshl_add_u64 v[2:3], s[4:5], 0, v[14:15]
	v_lshlrev_b32_e32 v4, 1, v18
	v_mov_b32_e32 v5, v15
	v_lshl_add_u64 v[2:3], v[2:3], 0, v[4:5]
	global_load_dwordx4 v[2:5], v[2:3], off
.LBB84_49:
	s_or_b64 exec, exec, s[0:1]
	v_or_b32_e32 v7, 1, v7
	v_cmp_gt_i32_e64 s[0:1], s27, v7
	v_lshlrev_b32_e32 v20, 8, v7
	v_mov_b32_e32 v7, 0
	v_mov_b32_e32 v8, 0
	;; [unrolled: 1-line block ×3, first 2 shown]
	s_and_saveexec_b64 s[2:3], s[0:1]
	s_cbranch_execz .LBB84_51
; %bb.50:
	v_mov_b32_e32 v21, 0
	v_lshl_add_u64 v[6:7], s[4:5], 0, v[20:21]
	v_lshlrev_b32_e32 v8, 1, v18
	v_mov_b32_e32 v9, v21
	v_lshl_add_u64 v[6:7], v[6:7], 0, v[8:9]
	global_load_dwordx4 v[6:9], v[6:7], off
.LBB84_51:
	s_or_b64 exec, exec, s[2:3]
	v_mov_b32_e32 v17, 0
	v_mov_b32_e32 v10, 0
	;; [unrolled: 1-line block ×5, first 2 shown]
	s_and_saveexec_b64 s[2:3], vcc
	s_cbranch_execz .LBB84_53
; %bb.52:
	v_mov_b32_e32 v15, 0
	v_lshl_add_u64 v[10:11], s[4:5], 0, v[14:15]
	v_lshlrev_b32_e32 v14, 1, v18
	v_lshl_add_u64 v[10:11], v[10:11], 0, v[14:15]
	global_load_dwordx4 v[10:13], v[10:11], off offset:128
.LBB84_53:
	s_or_b64 exec, exec, s[2:3]
	v_mov_b32_e32 v16, 0
	v_mov_b32_e32 v15, 0
	;; [unrolled: 1-line block ×3, first 2 shown]
	s_and_saveexec_b64 s[2:3], s[0:1]
	s_cbranch_execz .LBB84_55
; %bb.54:
	v_mov_b32_e32 v21, 0
	v_lshl_add_u64 v[14:15], s[4:5], 0, v[20:21]
	v_lshlrev_b32_e32 v20, 1, v18
	v_lshl_add_u64 v[14:15], v[14:15], 0, v[20:21]
	global_load_dwordx4 v[14:17], v[14:15], off offset:128
.LBB84_55:
	s_or_b64 exec, exec, s[2:3]
	s_branch .LBB84_58
.LBB84_56:
                                        ; implicit-def: $vgpr5
                                        ; implicit-def: $vgpr9
                                        ; implicit-def: $vgpr13
                                        ; implicit-def: $vgpr17
	s_cbranch_execz .LBB84_58
; %bb.57:
	s_waitcnt vmcnt(0)
	v_lshlrev_b32_e32 v2, 1, v18
	v_lshl_or_b32 v18, v25, 9, v2
	s_and_b32 s5, s5, 0xffff
	s_mov_b32 s7, 0x20000
	s_movk_i32 s6, 0x4000
	s_movk_i32 s0, 0x80
	buffer_load_dwordx4 v[2:5], v18, s[4:7], 0 offen
	buffer_load_dwordx4 v[6:9], v18, s[4:7], 0 offen offset:256
	buffer_load_dwordx4 v[10:13], v18, s[4:7], s0 offen
	buffer_load_dwordx4 v[14:17], v18, s[4:7], s0 offen offset:256
.LBB84_58:
	ds_read_b64 v[20:21], v27 offset:57344
	v_add_u32_e32 v18, 0x6000, v26
	ds_read2_b64 v[36:39], v18 offset1:16
	ds_read_b64 v[44:45], v28 offset:57344
	ds_read_b64 v[28:29], v29 offset:57344
	;; [unrolled: 1-line block ×3, first 2 shown]
	ds_read2st64_b64 v[40:43], v26 offset0:52 offset1:56
	s_mov_b32 s0, 0x1000504
	s_mov_b32 s1, 0x3020706
	s_waitcnt lgkmcnt(4)
	v_mfma_f32_16x16x16_bf16 a[0:3], v[20:21], v[36:37], a[0:3]
	v_mfma_f32_16x16x16_bf16 a[4:7], v[20:21], v[38:39], a[4:7]
	ds_read2_b64 v[36:39], v18 offset0:32 offset1:48
	v_and_b32_e32 v18, 6, v0
	v_xor_b32_e32 v25, v25, v18
	s_waitcnt lgkmcnt(0)
	v_mfma_f32_16x16x16_bf16 a[8:11], v[20:21], v[36:37], a[8:11]
	v_lshlrev_b32_e32 v25, 2, v25
	v_and_b32_e32 v0, 1, v0
	v_xor_b32_e32 v35, 0x440, v25
	v_mfma_f32_16x16x16_bf16 a[12:15], v[20:21], v[38:39], a[12:15]
	ds_read2st64_b64 v[36:39], v31 offset0:52 offset1:56
	ds_read2st64_b64 v[48:51], v32 offset0:52 offset1:56
	ds_read2st64_b64 v[52:55], v33 offset0:52 offset1:56
	v_cmp_eq_u32_e32 vcc, 0, v0
	ds_read_b64 v[20:21], v26 offset:30720
	ds_read_b64 v[26:27], v31 offset:30720
	;; [unrolled: 1-line block ×4, first 2 shown]
	v_mfma_f32_16x16x16_bf16 a[0:3], v[44:45], v[40:41], a[0:3]
	v_cndmask_b32_e32 v0, v35, v25, vcc
	v_lshl_or_b32 v0, v18, 10, v0
	s_waitcnt vmcnt(0)
	v_perm_b32 v18, v2, v6, s0
	s_waitcnt lgkmcnt(6)
	v_mfma_f32_16x16x16_bf16 a[4:7], v[44:45], v[36:37], a[4:7]
	v_perm_b32 v25, v10, v14, s0
	ds_write2st64_b32 v0, v18, v25 offset0:128 offset1:160
	v_xor_b32_e32 v18, 8, v0
	s_waitcnt lgkmcnt(6)
	v_mfma_f32_16x16x16_bf16 a[8:11], v[44:45], v[48:49], a[8:11]
	v_perm_b32 v2, v2, v6, s1
	v_perm_b32 v6, v10, v14, s1
	v_add_u32_e32 v10, 0x80, v18
	s_waitcnt lgkmcnt(5)
	v_mfma_f32_16x16x16_bf16 a[12:15], v[44:45], v[52:53], a[12:15]
	ds_write2st64_b32 v10, v2, v6 offset0:128 offset1:160
	v_xor_b32_e32 v2, 16, v0
	v_perm_b32 v6, v3, v7, s0
	v_mfma_f32_16x16x16_bf16 a[0:3], v[28:29], v[42:43], a[0:3]
	v_perm_b32 v10, v11, v15, s0
	ds_write2st64_b32 v2, v6, v10 offset0:129 offset1:161
	v_xor_b32_e32 v2, 24, v0
	v_mfma_f32_16x16x16_bf16 a[4:7], v[28:29], v[38:39], a[4:7]
	v_perm_b32 v3, v3, v7, s1
	v_perm_b32 v6, v11, v15, s1
	v_add_u32_e32 v2, 0x80, v2
	v_mfma_f32_16x16x16_bf16 a[16:19], v[28:29], v[50:51], a[8:11]
	ds_write2st64_b32 v2, v3, v6 offset0:129 offset1:161
	v_xor_b32_e32 v2, 32, v0
	v_perm_b32 v3, v4, v8, s0
	v_mfma_f32_16x16x16_bf16 a[20:23], v[28:29], v[54:55], a[12:15]
	v_perm_b32 v6, v12, v16, s0
	ds_write2st64_b32 v2, v3, v6 offset0:130 offset1:162
	v_xor_b32_e32 v2, 40, v0
	s_waitcnt lgkmcnt(8)
	v_mfma_f32_16x16x16_bf16 a[12:15], v[56:57], v[20:21], a[0:3]
	v_perm_b32 v3, v4, v8, s1
	v_perm_b32 v4, v12, v16, s1
	v_add_u32_e32 v2, 0x80, v2
	s_waitcnt lgkmcnt(7)
	v_mfma_f32_16x16x16_bf16 a[8:11], v[56:57], v[26:27], a[4:7]
	ds_write2st64_b32 v2, v3, v4 offset0:130 offset1:162
	v_xor_b32_e32 v2, 48, v0
	v_perm_b32 v3, v5, v9, s0
	s_waitcnt lgkmcnt(7)
	v_mfma_f32_16x16x16_bf16 a[4:7], v[56:57], v[30:31], a[16:19]
	v_perm_b32 v4, v13, v17, s0
	v_xor_b32_e32 v0, 56, v0
	v_and_or_b32 v18, v34, 12, v1
	s_waitcnt lgkmcnt(6)
	v_mfma_f32_16x16x16_bf16 a[0:3], v[56:57], v[32:33], a[20:23]
	ds_write2st64_b32 v2, v3, v4 offset0:131 offset1:163
	v_perm_b32 v2, v5, v9, s1
	v_perm_b32 v3, v13, v17, s1
	v_add_u32_e32 v0, 0x80, v0
	v_cmp_gt_i32_e32 vcc, s27, v18
	v_mov_b32_e32 v14, 0
	v_mov_b32_e32 v16, 0
	ds_write2st64_b32 v0, v2, v3 offset0:131 offset1:163
	s_and_saveexec_b64 s[0:1], vcc
	s_cbranch_execz .LBB84_60
; %bb.59:
	v_add_u32_e32 v0, s26, v18
	v_ashrrev_i32_e32 v1, 31, v0
	v_mul_lo_u32 v2, v1, s28
	v_mul_lo_u32 v3, v0, s29
	v_mad_u64_u32 v[0:1], s[2:3], v0, s28, 0
	v_add3_u32 v1, v1, v3, v2
	v_lshl_add_u64 v[0:1], v[0:1], 2, s[10:11]
	global_load_dword v0, v[0:1], off
	s_waitcnt vmcnt(0)
	v_sub_f32_e32 v0, s12, v0
	v_mul_f32_e32 v0, 0x3fb8aa3b, v0
	v_exp_f32_e32 v16, v0
.LBB84_60:
	s_or_b64 exec, exec, s[0:1]
	v_or_b32_e32 v8, 1, v18
	v_cmp_gt_i32_e64 s[0:1], s27, v8
	s_and_saveexec_b64 s[2:3], s[0:1]
	s_cbranch_execz .LBB84_62
; %bb.61:
	v_add_u32_e32 v0, s26, v8
	v_ashrrev_i32_e32 v1, 31, v0
	v_mul_lo_u32 v2, v1, s28
	v_mul_lo_u32 v3, v0, s29
	v_mad_u64_u32 v[0:1], s[4:5], v0, s28, 0
	v_add3_u32 v1, v1, v3, v2
	v_lshl_add_u64 v[0:1], v[0:1], 2, s[10:11]
	global_load_dword v0, v[0:1], off
	s_waitcnt vmcnt(0)
	v_sub_f32_e32 v0, s12, v0
	v_mul_f32_e32 v0, 0x3fb8aa3b, v0
	v_exp_f32_e32 v14, v0
.LBB84_62:
	s_or_b64 exec, exec, s[2:3]
	v_or_b32_e32 v10, 2, v18
	v_cmp_gt_i32_e64 s[2:3], s27, v10
	v_mov_b32_e32 v15, 0
	v_mov_b32_e32 v17, 0
	s_and_saveexec_b64 s[4:5], s[2:3]
	s_cbranch_execz .LBB84_64
; %bb.63:
	v_add_u32_e32 v0, s26, v10
	v_ashrrev_i32_e32 v1, 31, v0
	v_mul_lo_u32 v2, v1, s28
	v_mul_lo_u32 v3, v0, s29
	v_mad_u64_u32 v[0:1], s[6:7], v0, s28, 0
	v_add3_u32 v1, v1, v3, v2
	v_lshl_add_u64 v[0:1], v[0:1], 2, s[10:11]
	global_load_dword v0, v[0:1], off
	s_waitcnt vmcnt(0)
	v_sub_f32_e32 v0, s12, v0
	v_mul_f32_e32 v0, 0x3fb8aa3b, v0
	v_exp_f32_e32 v17, v0
.LBB84_64:
	s_or_b64 exec, exec, s[4:5]
	v_or_b32_e32 v12, 3, v18
	v_cmp_gt_i32_e64 s[4:5], s27, v12
	s_and_saveexec_b64 s[6:7], s[4:5]
	s_cbranch_execz .LBB84_66
; %bb.65:
	v_add_u32_e32 v0, s26, v12
	v_ashrrev_i32_e32 v1, 31, v0
	v_mul_lo_u32 v2, v1, s28
	v_mul_lo_u32 v3, v0, s29
	v_mad_u64_u32 v[0:1], s[14:15], v0, s28, 0
	v_add3_u32 v1, v1, v3, v2
	v_lshl_add_u64 v[0:1], v[0:1], 2, s[10:11]
	global_load_dword v0, v[0:1], off
	s_waitcnt vmcnt(0)
	v_sub_f32_e32 v0, s12, v0
	v_mul_f32_e32 v0, 0x3fb8aa3b, v0
	v_exp_f32_e32 v15, v0
.LBB84_66:
	s_or_b64 exec, exec, s[6:7]
	s_add_u32 s6, s8, s20
	v_accvgpr_read_b32 v0, a12
	s_addc_u32 s7, s9, s21
	v_ashrrev_i32_e32 v47, 31, v46
	v_accvgpr_read_b32 v1, a13
	v_accvgpr_read_b32 v2, a14
	;; [unrolled: 1-line block ×3, first 2 shown]
	v_lshl_add_u64 v[4:5], v[46:47], 1, s[6:7]
	v_mov_b32_e32 v9, 0
	v_lshlrev_b32_e32 v6, 8, v18
	v_mov_b32_e32 v7, 0
	s_and_saveexec_b64 s[6:7], vcc
	s_cbranch_execz .LBB84_68
; %bb.67:
	v_mov_b32_e32 v7, 0
	v_lshl_add_u64 v[20:21], v[4:5], 0, v[6:7]
	global_load_ushort v7, v[20:21], off
	s_waitcnt vmcnt(0)
	v_lshlrev_b32_e32 v7, 16, v7
	v_sub_f32_e32 v0, v7, v0
	v_mul_f32_e32 v0, v16, v0
	v_lshrrev_b32_e32 v7, 16, v0
.LBB84_68:
	s_or_b64 exec, exec, s[6:7]
	v_lshlrev_b32_e32 v8, 8, v8
	s_and_saveexec_b64 s[6:7], s[0:1]
	s_cbranch_execz .LBB84_70
; %bb.69:
	v_mov_b32_e32 v9, 0
	v_lshl_add_u64 v[20:21], v[4:5], 0, v[8:9]
	global_load_ushort v0, v[20:21], off
	s_waitcnt vmcnt(0)
	v_lshlrev_b32_e32 v0, 16, v0
	v_sub_f32_e32 v0, v0, v1
	v_mul_f32_e32 v0, v14, v0
	v_lshrrev_b32_e32 v9, 16, v0
.LBB84_70:
	s_or_b64 exec, exec, s[6:7]
	v_mov_b32_e32 v13, 0
	v_lshlrev_b32_e32 v10, 8, v10
	v_mov_b32_e32 v11, 0
	s_and_saveexec_b64 s[6:7], s[2:3]
	s_cbranch_execz .LBB84_72
; %bb.71:
	v_mov_b32_e32 v11, 0
	v_lshl_add_u64 v[0:1], v[4:5], 0, v[10:11]
	global_load_ushort v0, v[0:1], off
	s_waitcnt vmcnt(0)
	v_lshlrev_b32_e32 v0, 16, v0
	v_sub_f32_e32 v0, v0, v2
	v_mul_f32_e32 v0, v17, v0
	v_lshrrev_b32_e32 v11, 16, v0
.LBB84_72:
	s_or_b64 exec, exec, s[6:7]
	v_lshlrev_b32_e32 v12, 8, v12
	s_and_saveexec_b64 s[6:7], s[4:5]
	s_cbranch_execz .LBB84_74
; %bb.73:
	v_mov_b32_e32 v13, 0
	v_lshl_add_u64 v[0:1], v[4:5], 0, v[12:13]
	global_load_ushort v0, v[0:1], off
	s_waitcnt vmcnt(0)
	v_lshlrev_b32_e32 v0, 16, v0
	v_sub_f32_e32 v0, v0, v3
	v_mul_f32_e32 v0, v15, v0
	v_lshrrev_b32_e32 v13, 16, v0
.LBB84_74:
	s_or_b64 exec, exec, s[6:7]
	v_lshlrev_b32_e32 v18, 6, v18
	s_mov_b32 s6, 0x5040100
	v_perm_b32 v20, v9, v7, s6
	v_or_b32_e32 v7, v18, v24
	v_accvgpr_read_b32 v0, a8
	v_perm_b32 v21, v13, v11, s6
	v_lshlrev_b32_e32 v7, 1, v7
	v_accvgpr_read_b32 v1, a9
	v_accvgpr_read_b32 v2, a10
	;; [unrolled: 1-line block ×3, first 2 shown]
	ds_write_b64 v7, v[20:21] offset:24576
	v_mov_b32_e32 v9, 0
	v_mov_b32_e32 v7, 0
	s_and_saveexec_b64 s[6:7], vcc
	s_cbranch_execz .LBB84_76
; %bb.75:
	v_mov_b32_e32 v7, 0
	v_lshl_add_u64 v[20:21], v[4:5], 0, v[6:7]
	global_load_ushort v7, v[20:21], off offset:32
	s_waitcnt vmcnt(0)
	v_lshlrev_b32_e32 v7, 16, v7
	v_sub_f32_e32 v0, v7, v0
	v_mul_f32_e32 v0, v16, v0
	v_lshrrev_b32_e32 v7, 16, v0
.LBB84_76:
	s_or_b64 exec, exec, s[6:7]
	s_and_saveexec_b64 s[6:7], s[0:1]
	s_cbranch_execz .LBB84_78
; %bb.77:
	v_mov_b32_e32 v9, 0
	v_lshl_add_u64 v[20:21], v[4:5], 0, v[8:9]
	global_load_ushort v0, v[20:21], off offset:32
	s_waitcnt vmcnt(0)
	v_lshlrev_b32_e32 v0, 16, v0
	v_sub_f32_e32 v0, v0, v1
	v_mul_f32_e32 v0, v14, v0
	v_lshrrev_b32_e32 v9, 16, v0
.LBB84_78:
	s_or_b64 exec, exec, s[6:7]
	v_mov_b32_e32 v13, 0
	v_mov_b32_e32 v11, 0
	s_and_saveexec_b64 s[6:7], s[2:3]
	s_cbranch_execz .LBB84_80
; %bb.79:
	v_mov_b32_e32 v11, 0
	v_lshl_add_u64 v[0:1], v[4:5], 0, v[10:11]
	global_load_ushort v0, v[0:1], off offset:32
	s_waitcnt vmcnt(0)
	v_lshlrev_b32_e32 v0, 16, v0
	v_sub_f32_e32 v0, v0, v2
	v_mul_f32_e32 v0, v17, v0
	v_lshrrev_b32_e32 v11, 16, v0
.LBB84_80:
	s_or_b64 exec, exec, s[6:7]
	s_and_saveexec_b64 s[6:7], s[4:5]
	s_cbranch_execz .LBB84_82
; %bb.81:
	v_mov_b32_e32 v13, 0
	v_lshl_add_u64 v[0:1], v[4:5], 0, v[12:13]
	global_load_ushort v0, v[0:1], off offset:32
	s_waitcnt vmcnt(0)
	v_lshlrev_b32_e32 v0, 16, v0
	v_sub_f32_e32 v0, v0, v3
	v_mul_f32_e32 v0, v15, v0
	v_lshrrev_b32_e32 v13, 16, v0
.LBB84_82:
	s_or_b64 exec, exec, s[6:7]
	s_mov_b32 s6, 0x5040100
	v_perm_b32 v20, v9, v7, s6
	v_or_b32_e32 v7, v18, v23
	v_accvgpr_read_b32 v0, a4
	v_perm_b32 v21, v13, v11, s6
	v_lshlrev_b32_e32 v7, 1, v7
	v_accvgpr_read_b32 v1, a5
	v_accvgpr_read_b32 v2, a6
	;; [unrolled: 1-line block ×3, first 2 shown]
	ds_write_b64 v7, v[20:21] offset:24576
	v_mov_b32_e32 v9, 0
	v_mov_b32_e32 v7, 0
	s_and_saveexec_b64 s[6:7], vcc
	s_cbranch_execz .LBB84_84
; %bb.83:
	v_mov_b32_e32 v7, 0
	v_lshl_add_u64 v[20:21], v[4:5], 0, v[6:7]
	global_load_ushort v7, v[20:21], off offset:64
	s_waitcnt vmcnt(0)
	v_lshlrev_b32_e32 v7, 16, v7
	v_sub_f32_e32 v0, v7, v0
	v_mul_f32_e32 v0, v16, v0
	v_lshrrev_b32_e32 v7, 16, v0
.LBB84_84:
	s_or_b64 exec, exec, s[6:7]
	s_and_saveexec_b64 s[6:7], s[0:1]
	s_cbranch_execz .LBB84_86
; %bb.85:
	v_mov_b32_e32 v9, 0
	v_lshl_add_u64 v[20:21], v[4:5], 0, v[8:9]
	global_load_ushort v0, v[20:21], off offset:64
	s_waitcnt vmcnt(0)
	v_lshlrev_b32_e32 v0, 16, v0
	v_sub_f32_e32 v0, v0, v1
	v_mul_f32_e32 v0, v14, v0
	v_lshrrev_b32_e32 v9, 16, v0
.LBB84_86:
	s_or_b64 exec, exec, s[6:7]
	v_mov_b32_e32 v13, 0
	v_mov_b32_e32 v11, 0
	s_and_saveexec_b64 s[6:7], s[2:3]
	s_cbranch_execz .LBB84_88
; %bb.87:
	v_mov_b32_e32 v11, 0
	v_lshl_add_u64 v[0:1], v[4:5], 0, v[10:11]
	global_load_ushort v0, v[0:1], off offset:64
	s_waitcnt vmcnt(0)
	v_lshlrev_b32_e32 v0, 16, v0
	v_sub_f32_e32 v0, v0, v2
	v_mul_f32_e32 v0, v17, v0
	v_lshrrev_b32_e32 v11, 16, v0
.LBB84_88:
	s_or_b64 exec, exec, s[6:7]
	s_and_saveexec_b64 s[6:7], s[4:5]
	s_cbranch_execz .LBB84_90
; %bb.89:
	v_mov_b32_e32 v13, 0
	v_lshl_add_u64 v[0:1], v[4:5], 0, v[12:13]
	global_load_ushort v0, v[0:1], off offset:64
	s_waitcnt vmcnt(0)
	v_lshlrev_b32_e32 v0, 16, v0
	v_sub_f32_e32 v0, v0, v3
	v_mul_f32_e32 v0, v15, v0
	v_lshrrev_b32_e32 v13, 16, v0
.LBB84_90:
	s_or_b64 exec, exec, s[6:7]
	s_mov_b32 s6, 0x5040100
	v_perm_b32 v20, v9, v7, s6
	v_or_b32_e32 v7, v18, v22
	v_accvgpr_read_b32 v0, a0
	v_perm_b32 v21, v13, v11, s6
	v_lshlrev_b32_e32 v7, 1, v7
	v_accvgpr_read_b32 v1, a1
	v_accvgpr_read_b32 v2, a2
	;; [unrolled: 1-line block ×3, first 2 shown]
	ds_write_b64 v7, v[20:21] offset:24576
	v_mov_b32_e32 v9, 0
	v_mov_b32_e32 v7, 0
	s_and_saveexec_b64 s[6:7], vcc
	s_cbranch_execz .LBB84_92
; %bb.91:
	v_mov_b32_e32 v7, 0
	v_lshl_add_u64 v[6:7], v[4:5], 0, v[6:7]
	global_load_ushort v6, v[6:7], off offset:96
	s_waitcnt vmcnt(0)
	v_lshlrev_b32_e32 v6, 16, v6
	v_sub_f32_e32 v0, v6, v0
	v_mul_f32_e32 v0, v16, v0
	v_lshrrev_b32_e32 v7, 16, v0
.LBB84_92:
	s_or_b64 exec, exec, s[6:7]
	s_and_saveexec_b64 s[6:7], s[0:1]
	s_cbranch_execz .LBB84_94
; %bb.93:
	v_mov_b32_e32 v9, 0
	v_lshl_add_u64 v[8:9], v[4:5], 0, v[8:9]
	global_load_ushort v0, v[8:9], off offset:96
	s_waitcnt vmcnt(0)
	v_lshlrev_b32_e32 v0, 16, v0
	v_sub_f32_e32 v0, v0, v1
	v_mul_f32_e32 v0, v14, v0
	v_lshrrev_b32_e32 v9, 16, v0
.LBB84_94:
	s_or_b64 exec, exec, s[6:7]
	v_mov_b32_e32 v0, 0
	v_mov_b32_e32 v1, 0
	s_and_saveexec_b64 s[0:1], s[2:3]
	s_cbranch_execz .LBB84_96
; %bb.95:
	v_mov_b32_e32 v11, 0
	v_lshl_add_u64 v[10:11], v[4:5], 0, v[10:11]
	global_load_ushort v1, v[10:11], off offset:96
	s_waitcnt vmcnt(0)
	v_lshlrev_b32_e32 v1, 16, v1
	v_sub_f32_e32 v1, v1, v2
	v_mul_f32_e32 v1, v17, v1
	v_lshrrev_b32_e32 v1, 16, v1
.LBB84_96:
	s_or_b64 exec, exec, s[0:1]
	s_and_saveexec_b64 s[0:1], s[4:5]
	s_cbranch_execz .LBB84_98
; %bb.97:
	v_mov_b32_e32 v13, 0
	v_lshl_add_u64 v[4:5], v[4:5], 0, v[12:13]
	global_load_ushort v0, v[4:5], off offset:96
	s_waitcnt vmcnt(0)
	v_lshlrev_b32_e32 v0, 16, v0
	v_sub_f32_e32 v0, v0, v3
	v_mul_f32_e32 v0, v15, v0
	v_lshrrev_b32_e32 v0, 16, v0
.LBB84_98:
	s_or_b64 exec, exec, s[0:1]
	s_mov_b32 s0, 0x5040100
	v_or_b32_e32 v2, v18, v19
	v_perm_b32 v1, v0, v1, s0
	v_perm_b32 v0, v9, v7, s0
	v_lshlrev_b32_e32 v2, 1, v2
	ds_write_b64 v2, v[0:1] offset:24576
	s_waitcnt lgkmcnt(0)
	s_barrier
.LBB84_99:
	s_endpgm
	.section	.rodata,"a",@progbits
	.p2align	6, 0x0
	.amdhsa_kernel _ZN12_GLOBAL__N_139chunk_gated_delta_rule_fwd_h_hip_kernelILi64ELb1ELb0ELb0ELb1ELb0ELb1ELb0ELb1EEEvPK12hip_bfloat16S3_S3_PKfS5_PKvPS1_S8_PvPKiSB_iiiiilll
		.amdhsa_group_segment_fixed_size 65536
		.amdhsa_private_segment_fixed_size 0
		.amdhsa_kernarg_size 136
		.amdhsa_user_sgpr_count 2
		.amdhsa_user_sgpr_dispatch_ptr 0
		.amdhsa_user_sgpr_queue_ptr 0
		.amdhsa_user_sgpr_kernarg_segment_ptr 1
		.amdhsa_user_sgpr_dispatch_id 0
		.amdhsa_user_sgpr_kernarg_preload_length 0
		.amdhsa_user_sgpr_kernarg_preload_offset 0
		.amdhsa_user_sgpr_private_segment_size 0
		.amdhsa_uses_dynamic_stack 0
		.amdhsa_enable_private_segment 0
		.amdhsa_system_sgpr_workgroup_id_x 1
		.amdhsa_system_sgpr_workgroup_id_y 1
		.amdhsa_system_sgpr_workgroup_id_z 0
		.amdhsa_system_sgpr_workgroup_info 0
		.amdhsa_system_vgpr_workitem_id 0
		.amdhsa_next_free_vgpr 232
		.amdhsa_next_free_sgpr 63
		.amdhsa_accum_offset 192
		.amdhsa_reserve_vcc 1
		.amdhsa_float_round_mode_32 0
		.amdhsa_float_round_mode_16_64 0
		.amdhsa_float_denorm_mode_32 3
		.amdhsa_float_denorm_mode_16_64 3
		.amdhsa_dx10_clamp 1
		.amdhsa_ieee_mode 1
		.amdhsa_fp16_overflow 0
		.amdhsa_tg_split 0
		.amdhsa_exception_fp_ieee_invalid_op 0
		.amdhsa_exception_fp_denorm_src 0
		.amdhsa_exception_fp_ieee_div_zero 0
		.amdhsa_exception_fp_ieee_overflow 0
		.amdhsa_exception_fp_ieee_underflow 0
		.amdhsa_exception_fp_ieee_inexact 0
		.amdhsa_exception_int_div_zero 0
	.end_amdhsa_kernel
	.section	.text._ZN12_GLOBAL__N_139chunk_gated_delta_rule_fwd_h_hip_kernelILi64ELb1ELb0ELb0ELb1ELb0ELb1ELb0ELb1EEEvPK12hip_bfloat16S3_S3_PKfS5_PKvPS1_S8_PvPKiSB_iiiiilll,"axG",@progbits,_ZN12_GLOBAL__N_139chunk_gated_delta_rule_fwd_h_hip_kernelILi64ELb1ELb0ELb0ELb1ELb0ELb1ELb0ELb1EEEvPK12hip_bfloat16S3_S3_PKfS5_PKvPS1_S8_PvPKiSB_iiiiilll,comdat
.Lfunc_end84:
	.size	_ZN12_GLOBAL__N_139chunk_gated_delta_rule_fwd_h_hip_kernelILi64ELb1ELb0ELb0ELb1ELb0ELb1ELb0ELb1EEEvPK12hip_bfloat16S3_S3_PKfS5_PKvPS1_S8_PvPKiSB_iiiiilll, .Lfunc_end84-_ZN12_GLOBAL__N_139chunk_gated_delta_rule_fwd_h_hip_kernelILi64ELb1ELb0ELb0ELb1ELb0ELb1ELb0ELb1EEEvPK12hip_bfloat16S3_S3_PKfS5_PKvPS1_S8_PvPKiSB_iiiiilll
                                        ; -- End function
	.section	.AMDGPU.csdata,"",@progbits
; Kernel info:
; codeLenInByte = 11164
; NumSgprs: 69
; NumVgprs: 190
; NumAgprs: 40
; TotalNumVgprs: 232
; ScratchSize: 0
; MemoryBound: 0
; FloatMode: 240
; IeeeMode: 1
; LDSByteSize: 65536 bytes/workgroup (compile time only)
; SGPRBlocks: 8
; VGPRBlocks: 28
; NumSGPRsForWavesPerEU: 69
; NumVGPRsForWavesPerEU: 232
; AccumOffset: 192
; Occupancy: 1
; WaveLimiterHint : 1
; COMPUTE_PGM_RSRC2:SCRATCH_EN: 0
; COMPUTE_PGM_RSRC2:USER_SGPR: 2
; COMPUTE_PGM_RSRC2:TRAP_HANDLER: 0
; COMPUTE_PGM_RSRC2:TGID_X_EN: 1
; COMPUTE_PGM_RSRC2:TGID_Y_EN: 1
; COMPUTE_PGM_RSRC2:TGID_Z_EN: 0
; COMPUTE_PGM_RSRC2:TIDIG_COMP_CNT: 0
; COMPUTE_PGM_RSRC3_GFX90A:ACCUM_OFFSET: 47
; COMPUTE_PGM_RSRC3_GFX90A:TG_SPLIT: 0
	.section	.text._ZN12_GLOBAL__N_139chunk_gated_delta_rule_fwd_h_hip_kernelILi64ELb0ELb1ELb1ELb1ELb0ELb1ELb0ELb1EEEvPK12hip_bfloat16S3_S3_PKfS5_PKvPS1_S8_PvPKiSB_iiiiilll,"axG",@progbits,_ZN12_GLOBAL__N_139chunk_gated_delta_rule_fwd_h_hip_kernelILi64ELb0ELb1ELb1ELb1ELb0ELb1ELb0ELb1EEEvPK12hip_bfloat16S3_S3_PKfS5_PKvPS1_S8_PvPKiSB_iiiiilll,comdat
	.globl	_ZN12_GLOBAL__N_139chunk_gated_delta_rule_fwd_h_hip_kernelILi64ELb0ELb1ELb1ELb1ELb0ELb1ELb0ELb1EEEvPK12hip_bfloat16S3_S3_PKfS5_PKvPS1_S8_PvPKiSB_iiiiilll ; -- Begin function _ZN12_GLOBAL__N_139chunk_gated_delta_rule_fwd_h_hip_kernelILi64ELb0ELb1ELb1ELb1ELb0ELb1ELb0ELb1EEEvPK12hip_bfloat16S3_S3_PKfS5_PKvPS1_S8_PvPKiSB_iiiiilll
	.p2align	8
	.type	_ZN12_GLOBAL__N_139chunk_gated_delta_rule_fwd_h_hip_kernelILi64ELb0ELb1ELb1ELb1ELb0ELb1ELb0ELb1EEEvPK12hip_bfloat16S3_S3_PKfS5_PKvPS1_S8_PvPKiSB_iiiiilll,@function
_ZN12_GLOBAL__N_139chunk_gated_delta_rule_fwd_h_hip_kernelILi64ELb0ELb1ELb1ELb1ELb0ELb1ELb0ELb1EEEvPK12hip_bfloat16S3_S3_PKfS5_PKvPS1_S8_PvPKiSB_iiiiilll: ; @_ZN12_GLOBAL__N_139chunk_gated_delta_rule_fwd_h_hip_kernelILi64ELb0ELb1ELb1ELb1ELb0ELb1ELb0ELb1EEEvPK12hip_bfloat16S3_S3_PKfS5_PKvPS1_S8_PvPKiSB_iiiiilll
; %bb.0:
	s_load_dwordx4 s[20:23], s[0:1], 0x5c
	s_load_dwordx2 s[24:25], s[0:1], 0x50
	s_abs_i32 s27, s3
	s_ashr_i32 s26, s3, 31
	s_load_dwordx8 s[4:11], s[0:1], 0x30
	s_load_dwordx8 s[12:19], s[0:1], 0x0
	s_load_dwordx2 s[40:41], s[0:1], 0x20
	s_waitcnt lgkmcnt(0)
	s_abs_i32 s30, s21
	v_cvt_f32_u32_e32 v1, s30
	s_sub_i32 s28, 0, s30
	s_ashr_i32 s48, s21, 31
	s_xor_b32 s26, s26, s48
	v_rcp_iflag_f32_e32 v1, v1
	v_lshrrev_b32_e32 v45, 6, v0
	v_bfe_u32 v88, v0, 4, 2
	v_lshlrev_b32_e32 v86, 4, v45
	v_mul_f32_e32 v1, 0x4f7ffffe, v1
	v_cvt_u32_f32_e32 v1, v1
	v_lshlrev_b32_e32 v2, 2, v88
	v_and_b32_e32 v87, 63, v0
	s_mov_b32 s33, s21
	v_readfirstlane_b32 s29, v1
	s_mul_i32 s28, s28, s29
	s_mul_hi_u32 s28, s29, s28
	s_add_i32 s29, s29, s28
	s_mul_hi_u32 s28, s27, s29
	s_mul_i32 s29, s28, s30
	s_sub_i32 s27, s27, s29
	s_add_i32 s29, s28, 1
	s_sub_i32 s31, s27, s30
	s_cmp_ge_u32 s27, s30
	s_cselect_b32 s28, s29, s28
	s_cselect_b32 s27, s31, s27
	s_add_i32 s29, s28, 1
	s_cmp_ge_u32 s27, s30
	s_cselect_b32 s27, s29, s28
	s_xor_b32 s27, s27, s26
	s_sub_i32 s34, s27, s26
	s_mul_i32 s26, s34, s21
	s_ashr_i32 s35, s34, 31
	s_sub_i32 s49, s3, s26
	s_lshl_b64 s[26:27], s[34:35], 2
	s_add_u32 s10, s10, s26
	s_addc_u32 s11, s11, s27
	s_add_u32 s28, s24, s26
	s_addc_u32 s29, s25, s27
	s_abs_i32 s3, s22
	v_cvt_f32_u32_e32 v1, s3
	s_load_dwordx2 s[42:43], s[10:11], 0x0
	s_nop 0
	s_load_dwordx2 s[10:11], s[0:1], 0x80
	s_load_dwordx4 s[24:27], s[0:1], 0x70
	s_sub_i32 s1, 0, s3
	v_rcp_iflag_f32_e32 v1, v1
	s_load_dword s54, s[28:29], 0x0
	s_waitcnt lgkmcnt(0)
	s_sub_i32 s58, s43, s42
	s_ashr_i32 s0, s58, 31
	v_mul_f32_e32 v1, 0x4f7ffffe, v1
	v_cvt_u32_f32_e32 v1, v1
	s_lshr_b32 s0, s0, 26
	s_add_i32 s0, s58, s0
	s_ashr_i32 s53, s0, 6
	v_readfirstlane_b32 s31, v1
	s_mul_i32 s1, s1, s31
	s_mul_hi_u32 s1, s31, s1
	s_add_i32 s31, s31, s1
	s_mul_hi_u32 s1, s30, s31
	s_mul_i32 s31, s1, s3
	s_ashr_i32 s0, s22, 31
	s_sub_i32 s30, s30, s31
	s_xor_b32 s0, s48, s0
	s_add_i32 s31, s1, 1
	s_sub_i32 s36, s30, s3
	s_cmp_ge_u32 s30, s3
	s_cselect_b32 s1, s31, s1
	s_cselect_b32 s30, s36, s30
	s_add_i32 s31, s1, 1
	s_cmp_ge_u32 s30, s3
	s_cselect_b32 s1, s31, s1
	s_xor_b32 s1, s1, s0
	s_sub_i32 s1, s1, s0
	s_abs_i32 s3, s1
	v_cvt_f32_u32_e32 v1, s3
	s_sub_i32 s29, 0, s3
	s_abs_i32 s28, s49
	s_xor_b32 s1, s49, s1
	v_rcp_iflag_f32_e32 v1, v1
	s_ashr_i32 s1, s1, 31
	s_mov_b32 s0, 0
	v_and_b32_e32 v89, 15, v0
	v_mul_f32_e32 v1, 0x4f7ffffe, v1
	v_cvt_u32_f32_e32 v1, v1
	s_mul_hi_i32 s55, s49, s20
	s_mul_i32 s56, s49, s20
	v_lshrrev_b32_e32 v91, 3, v87
	v_readfirstlane_b32 s30, v1
	s_mul_i32 s29, s29, s30
	s_mul_hi_u32 s29, s30, s29
	s_add_i32 s30, s30, s29
	s_mul_hi_u32 s29, s28, s30
	s_mul_i32 s30, s29, s3
	s_sub_i32 s28, s28, s30
	s_add_i32 s30, s29, 1
	s_sub_i32 s31, s28, s3
	s_cmp_ge_u32 s28, s3
	s_cselect_b32 s29, s30, s29
	s_cselect_b32 s28, s31, s28
	s_add_i32 s30, s29, 1
	s_cmp_ge_u32 s28, s3
	s_cselect_b32 s3, s30, s29
	s_xor_b32 s3, s3, s1
	s_sub_i32 s57, s3, s1
	v_or_b32_e32 v1, v2, v86
	s_lshl_b32 s2, s2, 6
	s_mov_b32 s1, s0
	v_or_b32_e32 v92, 64, v1
	s_cmp_lt_i32 s58, 64
	v_mov_b64_e32 v[54:55], s[0:1]
	v_lshlrev_b32_e32 v90, 3, v0
	s_mul_i32 s50, s34, s25
	s_mul_hi_u32 s51, s34, s24
	s_mul_i32 s52, s35, s24
	s_mul_i32 s24, s34, s24
	v_mov_b64_e32 v[56:57], s[0:1]
	v_mov_b64_e32 v[60:61], s[0:1]
	;; [unrolled: 1-line block ×15, first 2 shown]
	s_cbranch_scc1 .LBB85_17
; %bb.1:
	s_ashr_i32 s60, s49, 31
	s_ashr_i32 s1, s42, 31
	s_add_u32 s0, s56, s42
	s_addc_u32 s1, s55, s1
	s_lshl_b64 s[0:1], s[0:1], 8
	v_and_b32_e32 v94, 56, v90
	s_add_u32 s28, s14, s0
	v_lshl_or_b32 v93, v45, 3, v91
	v_lshlrev_b32_e32 v3, 1, v94
	s_addc_u32 s0, s15, s1
	v_lshl_or_b32 v95, v93, 8, v3
	s_and_b32 s29, s0, 0xffff
	s_mov_b32 s31, 0x20000
	s_movk_i32 s30, 0x4000
	s_movk_i32 s0, 0x80
	v_or_b32_e32 v96, 0x2000, v95
	buffer_load_dwordx4 v[4:7], v95, s[28:31], 0 offen
	buffer_load_dwordx4 v[8:11], v95, s[28:31], s0 offen
	;; [unrolled: 1-line block ×4, first 2 shown]
	v_lshlrev_b32_e32 v20, 3, v93
	v_and_or_b32 v22, v0, 7, v20
	v_and_b32_e32 v20, 0x78, v20
	v_lshlrev_b32_e32 v22, 4, v22
	v_xor_b32_e32 v97, v22, v20
	v_mul_lo_u32 v21, v93, s23
	v_or_b32_e32 v98, 0x1000, v97
	s_cmpk_eq_i32 s23, 0x80
	s_mov_b32 s59, s42
	v_xor_b32_e32 v20, 8, v97
	v_xor_b32_e32 v22, 8, v98
	s_cselect_b64 s[0:1], -1, 0
	s_cmpk_lg_i32 s23, 0x80
	s_waitcnt vmcnt(3)
	ds_write_b64 v97, v[4:5] offset:49152
	ds_write_b64 v20, v[6:7] offset:49152
	s_waitcnt vmcnt(2)
	ds_write_b64 v97, v[8:9] offset:57344
	ds_write_b64 v20, v[10:11] offset:57344
	;; [unrolled: 3-line block ×4, first 2 shown]
	v_lshl_add_u32 v4, v21, 1, v94
	s_cbranch_scc0 .LBB85_3
; %bb.2:
	v_lshlrev_b32_e32 v6, 1, v4
	v_add_lshl_u32 v5, v4, s23, 1
	s_lshl_b32 s30, s23, 7
	v_lshl_or_b32 v3, v93, 9, v3
	s_cbranch_execz .LBB85_4
	s_branch .LBB85_5
.LBB85_3:
                                        ; implicit-def: $vgpr5
                                        ; implicit-def: $vgpr6
                                        ; implicit-def: $sgpr30
	v_lshl_or_b32 v3, v93, 9, v3
.LBB85_4:
	v_or_b32_e32 v5, 0x100, v3
	s_movk_i32 s30, 0x4000
	v_mov_b32_e32 v6, v3
.LBB85_5:
	s_mul_i32 s25, s42, s22
	s_ashr_i32 s61, s57, 31
	s_mul_hi_i32 s3, s42, s22
	s_add_u32 s28, s25, s57
	s_addc_u32 s29, s3, s61
	s_lshl_b64 s[28:29], s[28:29], 8
	s_add_u32 s28, s12, s28
	s_addc_u32 s3, s13, s29
	s_and_b32 s29, s3, 0xffff
	s_movk_i32 s62, 0x80
	buffer_load_dwordx4 v[8:11], v6, s[28:31], 0 offen
	buffer_load_dwordx4 v[12:15], v6, s[28:31], s62 offen
	;; [unrolled: 1-line block ×4, first 2 shown]
	v_and_b32_e32 v5, 6, v0
	v_lshlrev_b32_e32 v6, 7, v1
	v_xor_b32_e32 v28, v93, v5
	v_and_b32_e32 v7, 1, v0
	v_lshl_or_b32 v31, v89, 3, v6
	v_lshlrev_b32_e32 v28, 2, v28
	v_lshlrev_b32_e32 v24, 2, v89
	v_or_b32_e32 v99, 0x4000, v31
	v_or_b32_e32 v100, 0x6000, v31
	v_xor_b32_e32 v31, 0x440, v28
	v_cmp_eq_u32_e32 vcc, 0, v7
	v_or_b32_e32 v26, 16, v89
	v_or_b32_e32 v27, 32, v89
	v_xor_b32_e32 v29, v1, v24
	v_xor_b32_e32 v30, v92, v24
	v_cndmask_b32_e32 v7, v31, v28, vcc
	s_add_i32 s3, s51, s50
	s_mov_b32 s63, 0x1000504
	v_lshl_or_b32 v32, v26, 3, v6
	v_lshlrev_b32_e32 v26, 8, v26
	v_lshl_or_b32 v33, v27, 3, v6
	v_lshlrev_b32_e32 v29, 1, v29
	v_lshlrev_b32_e32 v30, 1, v30
	v_lshl_or_b32 v5, v5, 10, v7
	s_add_i32 s25, s3, s52
	s_mul_i32 s3, s49, s27
	s_mul_hi_u32 s28, s49, s26
	s_mov_b32 s64, 0x3020706
	v_lshlrev_b32_e32 v25, 8, v89
	v_or_b32_e32 v103, 0x4000, v33
	v_or_b32_e32 v104, 0x6000, v33
	;; [unrolled: 1-line block ×4, first 2 shown]
	v_xor_b32_e32 v7, 8, v5
	v_xor_b32_e32 v26, 24, v5
	;; [unrolled: 1-line block ×4, first 2 shown]
	s_add_i32 s3, s28, s3
	s_mul_i32 s28, s60, s26
	v_or_b32_e32 v101, 0x4000, v32
	v_or_b32_e32 v102, 0x6000, v32
	;; [unrolled: 1-line block ×4, first 2 shown]
	v_xor_b32_e32 v25, 16, v5
	v_xor_b32_e32 v28, 32, v5
	v_xor_b32_e32 v32, 48, v5
	v_add_u32_e32 v7, 0x80, v7
	v_add_u32_e32 v26, 0x80, v26
	;; [unrolled: 1-line block ×4, first 2 shown]
	s_add_i32 s29, s3, s28
	s_lshl_b64 s[36:37], s[24:25], 2
	s_mul_i32 s28, s49, s26
	s_add_u32 s3, s18, s36
	s_addc_u32 s25, s19, s37
	s_lshl_b64 s[28:29], s[28:29], 2
	s_add_u32 s44, s3, s28
	s_movk_i32 s3, 0xf8
	s_addc_u32 s45, s25, s29
	s_lshl_b32 s38, s23, 7
	v_mov_b32_e32 v79, 0
	s_movk_i32 s25, 0x100
	v_lshlrev_b32_e32 v78, 4, v89
	v_lshlrev_b32_e32 v27, 8, v27
	s_mov_b32 s66, 0
	s_movk_i32 s30, 0x4000
	v_or_b32_e32 v109, v27, v29
	v_or_b32_e32 v110, v27, v30
	v_add_u32_e32 v136, v86, v2
	s_movk_i32 s65, 0x3000
	v_mov_b32_e32 v146, 0x3fb8aa3b
	v_mov_b32_e32 v48, v79
	;; [unrolled: 1-line block ×8, first 2 shown]
	s_waitcnt vmcnt(1)
	v_perm_b32 v34, v8, v16, s63
	s_waitcnt vmcnt(0)
	v_perm_b32 v35, v12, v20, s63
	v_perm_b32 v8, v8, v16, s64
	;; [unrolled: 1-line block ×15, first 2 shown]
	ds_write2st64_b32 v5, v34, v35 offset0:128 offset1:160
	ds_write2st64_b32 v7, v8, v12 offset0:128 offset1:160
	;; [unrolled: 1-line block ×8, first 2 shown]
	v_or_b32_e32 v5, 48, v89
	v_lshl_or_b32 v7, v5, 3, v6
	v_lshlrev_b32_e32 v5, 8, v5
	v_or_b32_e32 v113, v5, v29
	v_or_b32_e32 v114, v5, v30
	v_or_b32_e32 v5, v86, v89
	v_lshlrev_b32_e32 v5, 3, v5
	v_lshrrev_b32_e32 v9, 5, v87
	v_and_or_b32 v9, v5, s3, v9
	v_lshlrev_b32_e32 v9, 4, v9
	v_lshlrev_b32_e32 v11, 11, v45
	v_and_b32_e32 v5, 0x78, v5
	v_or_b32_e32 v14, 32, v9
	v_and_b32_e32 v8, 0x1000, v11
	v_xor_b32_e32 v10, v9, v5
	v_lshrrev_b32_e32 v12, 1, v87
	v_xor_b32_e32 v14, v14, v5
	v_or_b32_e32 v10, v10, v8
	v_and_b32_e32 v12, 8, v12
	v_or_b32_e32 v14, v14, v8
	v_xor_b32_e32 v115, v10, v12
	v_lshlrev_b32_e32 v10, 8, v88
	v_xor_b32_e32 v117, v14, v12
	v_or_b32_e32 v14, 64, v9
	v_or_b32_e32 v9, 0x60, v9
	;; [unrolled: 1-line block ×3, first 2 shown]
	v_xor_b32_e32 v14, v14, v5
	v_xor_b32_e32 v5, v9, v5
	s_ashr_i32 s3, s2, 31
	v_lshlrev_b32_e32 v13, 1, v13
	v_or_b32_e32 v14, v14, v8
	v_or_b32_e32 v5, v5, v8
	s_lshl_b64 s[28:29], s[2:3], 8
	v_or_b32_e32 v116, 0x4000, v13
	v_or_b32_e32 v118, 0x4080, v13
	;; [unrolled: 1-line block ×4, first 2 shown]
	v_xor_b32_e32 v121, v14, v12
	v_xor_b32_e32 v122, v5, v12
	v_or_b32_e32 v123, 0x6000, v13
	v_or_b32_e32 v124, 0x6080, v13
	;; [unrolled: 1-line block ×4, first 2 shown]
	v_lshlrev_b32_e32 v12, 1, v4
	v_add_lshl_u32 v13, v4, s23, 1
	s_add_u32 s28, s4, s28
	v_lshlrev_b32_e32 v4, 1, v89
	v_or_b32_e32 v14, 0x100, v3
	v_lshrrev_b32_e32 v15, 4, v0
	s_addc_u32 s29, s5, s29
	v_or_b32_e32 v5, 1, v4
	v_lshlrev_b32_e32 v18, 2, v0
	v_xor_b32_e32 v16, v15, v4
	v_xor_b32_e32 v17, v5, v15
	v_lshl_add_u64 v[4:5], s[28:29], 0, v[78:79]
	v_lshlrev_b32_e32 v78, 8, v15
	v_lshrrev_b32_e32 v19, 1, v0
	v_and_or_b32 v10, v18, 60, v10
	v_cndmask_b32_e64 v133, v12, v3, s[0:1]
	v_cndmask_b32_e64 v134, v13, v14, s[0:1]
	v_mov_b32_e32 v3, 0xa000
	v_mov_b32_e32 v12, 0x8000
	v_cmp_gt_u32_e64 s[0:1], s25, v0
	v_lshl_or_b32 v127, v16, 3, v78
	v_and_b32_e32 v16, 8, v0
	v_and_b32_e32 v19, 24, v19
	v_lshlrev_b32_e32 v10, 1, v10
	v_cndmask_b32_e64 v3, v3, v12, s[0:1]
	v_lshlrev_b32_e32 v12, 3, v45
	v_or_b32_e32 v129, 0x6000, v10
	v_or_b32_e32 v130, 0x6080, v10
	;; [unrolled: 1-line block ×4, first 2 shown]
	v_mov_b32_e32 v10, 0x400
	v_cmp_eq_u32_e32 vcc, 0, v16
	v_xor_b32_e32 v13, v12, v19
	v_and_b32_e32 v15, 7, v0
	v_cndmask_b32_e64 v16, v10, 64, vcc
	v_or_b32_e32 v14, 0x440, v13
	v_lshl_or_b32 v128, v17, 3, v78
	v_lshlrev_b32_e32 v17, 3, v15
	v_or_b32_e32 v18, 32, v19
	v_or_b32_e32 v20, 0x60, v19
	v_cndmask_b32_e32 v14, v14, v13, vcc
	v_or3_b32 v13, v11, v16, v13
	v_lshlrev_b32_e32 v15, 7, v15
	v_xor_b32_e32 v18, v12, v18
	v_xor_b32_e32 v13, v13, v17
	;; [unrolled: 1-line block ×3, first 2 shown]
	v_or_b32_e32 v21, 0x440, v18
	v_or_b32_e32 v135, v13, v15
	v_xor_b32_e32 v13, 0x440, v12
	v_cndmask_b32_e32 v18, v21, v18, vcc
	v_cndmask_b32_e32 v12, v13, v12, vcc
	v_or_b32_e32 v111, 0x4000, v7
	v_or_b32_e32 v112, 0x6000, v7
	v_lshrrev_b32_e32 v7, 2, v87
	v_or_b32_e32 v8, s2, v89
	v_or_b32_e32 v14, v14, v11
	;; [unrolled: 1-line block ×4, first 2 shown]
	v_and_b32_e32 v7, 12, v7
	v_ashrrev_i32_e32 v9, 31, v8
	v_xor_b32_e32 v14, v14, v17
	v_xor_b32_e32 v18, v18, v17
	;; [unrolled: 1-line block ×3, first 2 shown]
	v_or_b32_e32 v10, v86, v7
	v_add_u32_e32 v19, v3, v14
	v_add_u32_e32 v21, v3, v18
	;; [unrolled: 1-line block ×3, first 2 shown]
	v_or3_b32 v12, v86, v7, 64
	v_add_u32_e32 v7, 0xa000, v14
	v_add_u32_e32 v14, 0xa000, v18
	;; [unrolled: 1-line block ×3, first 2 shown]
	v_lshlrev_b64 v[8:9], 1, v[8:9]
	v_lshl_add_u64 v[80:81], s[16:17], 0, v[8:9]
	v_lshl_add_u64 v[82:83], s[6:7], 0, v[8:9]
	;; [unrolled: 1-line block ×3, first 2 shown]
	s_mov_b32 s3, 0x7060302
	v_lshlrev_b32_e32 v78, 1, v6
	s_movk_i32 s25, 0x2000
	v_lshlrev_b32_e32 v137, 2, v10
	v_add_u32_e32 v138, v19, v15
	v_add_u32_e32 v139, v21, v15
	;; [unrolled: 1-line block ×4, first 2 shown]
	v_lshlrev_b32_e32 v142, 2, v12
	v_add_u32_e32 v143, v7, v15
	v_add_u32_e32 v144, v14, v15
	;; [unrolled: 1-line block ×3, first 2 shown]
	v_mov_b32_e32 v51, v79
	v_mov_b32_e32 v74, v79
	v_mov_b32_e32 v75, v79
	v_mov_b32_e32 v76, v79
	v_mov_b32_e32 v77, v79
	v_mov_b32_e32 v70, v79
	v_mov_b32_e32 v71, v79
	v_mov_b32_e32 v72, v79
	v_mov_b32_e32 v73, v79
	v_mov_b32_e32 v66, v79
	v_mov_b32_e32 v67, v79
	v_mov_b32_e32 v68, v79
	v_mov_b32_e32 v69, v79
	v_mov_b32_e32 v62, v79
	v_mov_b32_e32 v63, v79
	v_mov_b32_e32 v64, v79
	v_mov_b32_e32 v65, v79
	v_mov_b32_e32 v58, v79
	v_mov_b32_e32 v59, v79
	v_mov_b32_e32 v60, v79
	v_mov_b32_e32 v61, v79
	v_mov_b32_e32 v56, v79
	v_mov_b32_e32 v57, v79
	v_mov_b32_e32 v54, v79
	v_mov_b32_e32 v55, v79
	s_waitcnt lgkmcnt(0)
	s_barrier
	s_branch .LBB85_7
.LBB85_6:                               ;   in Loop: Header=BB85_7 Depth=1
	v_mul_f32_e32 v26, s46, v146
	v_exp_f32_e32 v36, v26
	s_waitcnt vmcnt(4)
	v_mul_f32_e32 v26, 0x3fb8aa3b, v38
	v_exp_f32_e32 v38, v26
	v_mul_f32_e32 v26, 0x3fb8aa3b, v39
	v_exp_f32_e32 v39, v26
	;; [unrolled: 2-line block ×4, first 2 shown]
	v_accvgpr_read_b32 v5, a3
	v_accvgpr_read_b32 v4, a2
	;; [unrolled: 1-line block ×4, first 2 shown]
	v_pk_mul_f32 v[38:39], v[36:37], v[38:39] op_sel_hi:[0,1]
	v_pk_mul_f32 v[40:41], v[36:37], v[40:41] op_sel_hi:[0,1]
	v_pk_fma_f32 v[74:75], v[74:75], v[38:39], v[2:3]
	v_pk_fma_f32 v[76:77], v[76:77], v[40:41], v[4:5]
	v_mul_f32_e32 v2, 0x3fb8aa3b, v34
	v_mul_f32_e32 v3, 0x3fb8aa3b, v42
	;; [unrolled: 1-line block ×4, first 2 shown]
	v_exp_f32_e32 v2, v2
	v_exp_f32_e32 v3, v3
	;; [unrolled: 1-line block ×4, first 2 shown]
	v_accvgpr_read_b32 v9, a7
	v_accvgpr_read_b32 v13, a11
	;; [unrolled: 1-line block ×28, first 2 shown]
	v_pk_mul_f32 v[2:3], v[36:37], v[2:3] op_sel_hi:[0,1]
	v_pk_mul_f32 v[4:5], v[36:37], v[4:5] op_sel_hi:[0,1]
	s_add_i32 s59, s59, 64
	v_pk_fma_f32 v[66:67], v[38:39], v[66:67], v[6:7]
	v_pk_fma_f32 v[68:69], v[40:41], v[68:69], v[8:9]
	;; [unrolled: 1-line block ×14, first 2 shown]
	s_cmp_eq_u32 s53, s67
	s_mov_b32 s66, s67
	s_cbranch_scc1 .LBB85_17
.LBB85_7:                               ; =>This Inner Loop Header: Depth=1
	s_add_i32 s67, s66, 1
	s_cmp_lt_i32 s67, s53
	s_mov_b64 s[36:37], 0
	s_cselect_b64 s[46:47], -1, 0
	s_cmp_ge_i32 s67, s53
	s_mov_b64 s[28:29], 0
	s_cbranch_scc1 .LBB85_9
; %bb.8:                                ;   in Loop: Header=BB85_7 Depth=1
	s_add_i32 s0, s59, 64
	s_ashr_i32 s1, s0, 31
	s_add_u32 s0, s56, s0
	s_addc_u32 s1, s55, s1
	s_lshl_b64 s[0:1], s[0:1], 8
	s_add_u32 s28, s14, s0
	s_addc_u32 s29, s15, s1
.LBB85_9:                               ;   in Loop: Header=BB85_7 Depth=1
	v_cndmask_b32_e64 v2, 0, 1, s[46:47]
	v_cmp_ne_u32_e64 s[0:1], 1, v2
	s_andn2_b64 vcc, exec, s[46:47]
	s_cbranch_vccnz .LBB85_11
; %bb.10:                               ;   in Loop: Header=BB85_7 Depth=1
	s_add_i32 s36, s59, 64
	s_mul_hi_i32 s37, s36, s22
	s_mul_i32 s36, s36, s22
	s_add_u32 s36, s36, s57
	s_addc_u32 s37, s37, s61
	s_lshl_b64 s[36:37], s[36:37], 8
	s_add_u32 s36, s12, s36
	s_addc_u32 s37, s13, s37
.LBB85_11:                              ;   in Loop: Header=BB85_7 Depth=1
	v_perm_b32 v3, v77, v76, s3
	v_perm_b32 v2, v75, v74, s3
	v_perm_b32 v5, v73, v72, s3
	v_perm_b32 v4, v71, v70, s3
	ds_write_b64 v99, v[2:3]
	ds_write_b64 v100, v[4:5]
	ds_write_b64 v105, v[2:3]
	ds_write_b64 v106, v[4:5]
	v_perm_b32 v3, v69, v68, s3
	v_perm_b32 v2, v67, v66, s3
	v_perm_b32 v5, v65, v64, s3
	v_perm_b32 v4, v63, v62, s3
	ds_write_b64 v101, v[2:3]
	ds_write_b64 v102, v[4:5]
	ds_write_b64 v107, v[2:3]
	ds_write_b64 v108, v[4:5]
	;; [unrolled: 8-line block ×4, first 2 shown]
	s_waitcnt lgkmcnt(0)
	s_barrier
	ds_read_b64 v[6:7], v115 offset:49152
	ds_read2_b64 v[2:5], v116 offset1:16
	ds_read_b64 v[18:19], v118 offset:6144
	ds_read_b64 v[20:21], v116 offset:6144
	s_waitcnt lgkmcnt(2)
	v_mfma_f32_16x16x16_bf16 a[0:3], v[6:7], v[2:3], 0
	ds_read_b64 v[22:23], v117 offset:49152
	ds_read2st64_b64 v[10:13], v119 offset0:4 offset1:8
	ds_read2st64_b64 v[14:17], v120 offset0:4 offset1:8
	v_mfma_f32_16x16x16_bf16 a[4:7], v[6:7], v[4:5], 0
	ds_read2_b64 v[2:5], v116 offset0:32 offset1:48
	s_add_i32 s68, s59, 63
	s_ashr_i32 s39, s68, 31
	s_waitcnt lgkmcnt(0)
	v_mfma_f32_16x16x16_bf16 a[8:11], v[6:7], v[2:3], 0
	s_mul_i32 s46, s68, s11
	s_mul_hi_u32 s47, s68, s10
	s_add_i32 s46, s47, s46
	v_mfma_f32_16x16x16_bf16 a[12:15], v[6:7], v[4:5], 0
	ds_read2st64_b64 v[2:5], v116 offset0:4 offset1:8
	ds_read2st64_b64 v[6:9], v118 offset0:4 offset1:8
	s_mul_i32 s39, s39, s10
	s_waitcnt lgkmcnt(1)
	v_mfma_f32_16x16x16_bf16 a[0:3], v[22:23], v[2:3], a[0:3]
	s_add_i32 s47, s46, s39
	s_mul_i32 s46, s68, s10
	s_lshl_b64 s[46:47], s[46:47], 2
	s_waitcnt lgkmcnt(0)
	v_mfma_f32_16x16x16_bf16 a[4:7], v[22:23], v[6:7], a[4:7]
	s_add_u32 s46, s44, s46
	s_addc_u32 s47, s45, s47
	s_and_b64 vcc, exec, s[0:1]
	v_mfma_f32_16x16x16_bf16 a[8:11], v[22:23], v[10:11], a[8:11]
	ds_read_b64 v[2:3], v121 offset:49152
	ds_read_b64 v[6:7], v122 offset:49152
	;; [unrolled: 1-line block ×3, first 2 shown]
	v_mov_b32_e32 v149, 0
	v_mov_b32_e32 v148, 0
	v_mfma_f32_16x16x16_bf16 a[12:15], v[22:23], v[14:15], a[12:15]
	v_mov_b32_e32 v147, 0
	v_mov_b32_e32 v14, 0
	;; [unrolled: 1-line block ×3, first 2 shown]
	s_waitcnt lgkmcnt(2)
	v_mfma_f32_16x16x16_bf16 a[0:3], v[2:3], v[4:5], a[0:3]
	v_mov_b32_e32 v4, 0
	v_mov_b32_e32 v5, 0
	v_mfma_f32_16x16x16_bf16 a[4:7], v[2:3], v[8:9], a[4:7]
	v_mov_b32_e32 v8, 0
	v_mov_b32_e32 v9, 0
	;; [unrolled: 3-line block ×3, first 2 shown]
	v_mfma_f32_16x16x16_bf16 a[12:15], v[2:3], v[16:17], a[12:15]
	ds_read_b64 v[2:3], v119 offset:6144
	v_mov_b32_e32 v16, 0
	v_mov_b32_e32 v17, 0
	s_waitcnt lgkmcnt(2)
	v_mfma_f32_16x16x16_bf16 a[0:3], v[6:7], v[20:21], a[0:3]
	v_mfma_f32_16x16x16_bf16 a[4:7], v[6:7], v[18:19], a[4:7]
	s_waitcnt lgkmcnt(0)
	v_mfma_f32_16x16x16_bf16 a[8:11], v[6:7], v[2:3], a[8:11]
	v_mov_b32_e32 v2, 0
	v_mov_b32_e32 v3, 0
	v_mfma_f32_16x16x16_bf16 a[12:15], v[6:7], v[10:11], a[12:15]
	v_mov_b32_e32 v6, 0
	v_mov_b32_e32 v7, 0
	v_mov_b32_e32 v10, 0
	v_mov_b32_e32 v11, 0
	s_cbranch_vccnz .LBB85_13
; %bb.12:                               ;   in Loop: Header=BB85_7 Depth=1
	s_and_b32 s29, s29, 0xffff
	buffer_load_dwordx4 v[14:17], v95, s[28:31], 0 offen
	buffer_load_dwordx4 v[10:13], v95, s[28:31], s62 offen
	;; [unrolled: 1-line block ×4, first 2 shown]
	v_mov_b32_e32 v148, v97
	v_mov_b32_e32 v147, v98
.LBB85_13:                              ;   in Loop: Header=BB85_7 Depth=1
	ds_read_b64 v[38:39], v115 offset:57344
	ds_read2_b64 v[18:21], v123 offset1:16
	ds_read_b64 v[40:41], v117 offset:57344
	ds_read_b64 v[42:43], v121 offset:57344
	;; [unrolled: 1-line block ×3, first 2 shown]
	s_waitcnt lgkmcnt(3)
	v_mfma_f32_16x16x16_bf16 a[0:3], v[38:39], v[18:19], a[0:3]
	v_mfma_f32_16x16x16_bf16 a[4:7], v[38:39], v[20:21], a[4:7]
	ds_read2_b64 v[18:21], v123 offset0:32 offset1:48
	ds_read2st64_b64 v[22:25], v123 offset0:4 offset1:8
	ds_read2st64_b64 v[26:29], v124 offset0:4 offset1:8
	;; [unrolled: 1-line block ×4, first 2 shown]
	s_waitcnt lgkmcnt(4)
	v_mfma_f32_16x16x16_bf16 a[8:11], v[38:39], v[18:19], a[8:11]
	v_mfma_f32_16x16x16_bf16 a[12:15], v[38:39], v[20:21], a[12:15]
	v_add_u32_e32 v38, s59, v136
	v_ashrrev_i32_e32 v18, 31, v38
	v_mul_lo_u32 v20, v18, s10
	v_mul_lo_u32 v21, v38, s11
	v_mad_u64_u32 v[18:19], s[28:29], v38, s10, 0
	v_add3_u32 v19, v19, v21, v20
	v_add_u32_e32 v20, 1, v38
	v_ashrrev_i32_e32 v21, 31, v20
	s_waitcnt lgkmcnt(3)
	v_mfma_f32_16x16x16_bf16 a[0:3], v[40:41], v[22:23], a[0:3]
	v_mul_lo_u32 v22, v21, s10
	v_mul_lo_u32 v23, v20, s11
	v_mad_u64_u32 v[20:21], s[28:29], v20, s10, 0
	v_add3_u32 v21, v21, v23, v22
	v_add_u32_e32 v22, 2, v38
	v_ashrrev_i32_e32 v23, 31, v22
	s_waitcnt lgkmcnt(2)
	v_mfma_f32_16x16x16_bf16 a[4:7], v[40:41], v[26:27], a[4:7]
	v_mul_lo_u32 v26, v23, s10
	v_mul_lo_u32 v27, v22, s11
	v_mad_u64_u32 v[22:23], s[28:29], v22, s10, 0
	v_lshl_add_u64 v[18:19], v[18:19], 2, s[44:45]
	v_lshl_add_u64 v[20:21], v[20:21], 2, s[44:45]
	v_add3_u32 v23, v23, v27, v26
	v_add_u32_e32 v26, 3, v38
	s_waitcnt lgkmcnt(1)
	v_mfma_f32_16x16x16_bf16 a[8:11], v[40:41], v[30:31], a[8:11]
	global_load_dword v31, v[18:19], off
	v_ashrrev_i32_e32 v27, 31, v26
	v_mul_lo_u32 v27, v27, s10
	s_waitcnt lgkmcnt(0)
	v_mfma_f32_16x16x16_bf16 a[12:15], v[40:41], v[34:35], a[12:15]
	global_load_dword v34, v[20:21], off
	v_mad_u64_u32 v[18:19], s[28:29], v26, s10, 0
	s_ashr_i32 s29, s59, 31
	v_mul_lo_u32 v30, v26, s11
	s_add_u32 s28, s56, s59
	v_lshl_add_u64 v[22:23], v[22:23], 2, s[44:45]
	v_add3_u32 v19, v19, v30, v27
	s_addc_u32 s29, s55, s29
	v_lshl_add_u64 v[18:19], v[18:19], 2, s[44:45]
	global_load_dword v30, v[22:23], off
	global_load_dword v35, v[18:19], off
	s_lshl_b64 s[28:29], s[28:29], 8
	v_lshl_add_u64 v[18:19], v[80:81], 0, s[28:29]
	v_lshl_add_u64 v[18:19], v[18:19], 0, v[78:79]
	global_load_ushort v38, v[18:19], off offset:256
	global_load_ushort v39, v[18:19], off
	global_load_ushort v40, v[18:19], off offset:768
	global_load_ushort v41, v[18:19], off offset:512
	;; [unrolled: 1-line block ×6, first 2 shown]
	s_load_dword s46, s[46:47], 0x0
	v_mfma_f32_16x16x16_bf16 a[12:15], v[42:43], v[36:37], a[12:15]
	global_load_ushort v36, v[18:19], off offset:320
	global_load_ushort v37, v[18:19], off offset:64
	s_and_b64 vcc, exec, s[0:1]
	v_mfma_f32_16x16x16_bf16 a[0:3], v[42:43], v[24:25], a[0:3]
	ds_read_b64 v[20:21], v123 offset:6144
	ds_read_b64 v[22:23], v124 offset:6144
	;; [unrolled: 1-line block ×4, first 2 shown]
	v_mfma_f32_16x16x16_bf16 a[4:7], v[42:43], v[28:29], a[4:7]
	s_waitcnt vmcnt(11) lgkmcnt(0)
	v_sub_f32_e32 v28, s46, v30
	v_mfma_f32_16x16x16_bf16 a[8:11], v[42:43], v[32:33], a[8:11]
	global_load_ushort v42, v[18:19], off offset:832
	global_load_ushort v43, v[18:19], off offset:576
	;; [unrolled: 1-line block ×6, first 2 shown]
	v_mfma_f32_16x16x16_bf16 a[0:3], v[150:151], v[20:21], a[0:3]
	s_waitcnt vmcnt(16)
	v_sub_f32_e32 v29, s46, v35
	v_mul_f32_e32 v28, 0x3fb8aa3b, v28
	v_mul_f32_e32 v29, 0x3fb8aa3b, v29
	v_exp_f32_e32 v28, v28
	v_exp_f32_e32 v29, v29
	s_waitcnt vmcnt(15)
	v_lshlrev_b32_e32 v33, 16, v38
	s_waitcnt vmcnt(14)
	v_lshlrev_b32_e32 v32, 16, v39
	v_accvgpr_read_b32 v21, a3
	v_accvgpr_read_b32 v20, a2
	v_mfma_f32_16x16x16_bf16 a[2:5], v[150:151], v[22:23], a[4:7]
	v_mfma_f32_16x16x16_bf16 a[6:9], v[150:151], v[24:25], a[8:11]
	s_nop 5
	v_accvgpr_read_b32 v23, a5
	v_accvgpr_read_b32 v22, a4
	;; [unrolled: 1-line block ×4, first 2 shown]
	v_mfma_f32_16x16x16_bf16 a[8:11], v[150:151], v[26:27], a[12:15]
	v_sub_f32_e32 v26, s46, v31
	v_sub_f32_e32 v27, s46, v34
	v_mul_f32_e32 v26, 0x3fb8aa3b, v26
	v_mul_f32_e32 v27, 0x3fb8aa3b, v27
	v_exp_f32_e32 v26, v26
	v_exp_f32_e32 v27, v27
	v_accvgpr_read_b32 v35, a1
	v_accvgpr_read_b32 v34, a0
	v_lshl_add_u64 v[30:31], v[82:83], 0, s[28:29]
	v_pk_add_f32 v[32:33], v[32:33], v[34:35] neg_lo:[0,1] neg_hi:[0,1]
	s_waitcnt vmcnt(13)
	v_lshlrev_b32_e32 v35, 16, v40
	s_waitcnt vmcnt(12)
	v_lshlrev_b32_e32 v34, 16, v41
	v_lshl_add_u64 v[30:31], v[30:31], 0, v[78:79]
	v_pk_add_f32 v[20:21], v[34:35], v[20:21] neg_lo:[0,1] neg_hi:[0,1]
	global_store_short_d16_hi v[30:31], v32, off
	global_store_short_d16_hi v[30:31], v33, off offset:256
	global_store_short_d16_hi v[30:31], v20, off offset:512
	;; [unrolled: 1-line block ×3, first 2 shown]
	v_pk_mul_f32 v[32:33], v[26:27], v[32:33]
	v_pk_mul_f32 v[20:21], v[28:29], v[20:21]
	v_accvgpr_read_b32 v35, a3
	v_perm_b32 v21, v21, v20, s3
	v_perm_b32 v20, v33, v32, s3
	s_waitcnt vmcnt(15)
	v_lshlrev_b32_e32 v33, 16, v44
	s_waitcnt vmcnt(14)
	v_lshlrev_b32_e32 v32, 16, v152
	v_accvgpr_read_b32 v34, a2
	v_pk_add_f32 v[32:33], v[32:33], v[34:35] neg_lo:[0,1] neg_hi:[0,1]
	s_waitcnt vmcnt(13)
	v_lshlrev_b32_e32 v35, 16, v153
	s_waitcnt vmcnt(12)
	v_lshlrev_b32_e32 v34, 16, v154
	v_pk_add_f32 v[22:23], v[34:35], v[22:23] neg_lo:[0,1] neg_hi:[0,1]
	global_store_short_d16_hi v[30:31], v32, off offset:32
	global_store_short_d16_hi v[30:31], v33, off offset:288
	;; [unrolled: 1-line block ×4, first 2 shown]
	v_pk_mul_f32 v[32:33], v[26:27], v[32:33]
	v_pk_mul_f32 v[22:23], v[28:29], v[22:23]
	v_accvgpr_read_b32 v25, a11
	v_perm_b32 v23, v23, v22, s3
	v_perm_b32 v22, v33, v32, s3
	ds_write2_b64 v100, v[20:21], v[22:23] offset1:16
	v_accvgpr_read_b32 v23, a7
	s_waitcnt vmcnt(15)
	v_lshlrev_b32_e32 v21, 16, v36
	s_waitcnt vmcnt(14)
	v_lshlrev_b32_e32 v20, 16, v37
	v_accvgpr_read_b32 v22, a6
	v_pk_add_f32 v[20:21], v[20:21], v[22:23] neg_lo:[0,1] neg_hi:[0,1]
	global_store_short_d16_hi v[30:31], v20, off offset:64
	global_store_short_d16_hi v[30:31], v21, off offset:320
	v_pk_mul_f32 v[20:21], v[26:27], v[20:21]
	v_accvgpr_read_b32 v24, a10
	v_perm_b32 v20, v21, v20, s3
	v_mov_b32_e32 v150, 0
	v_mov_b32_e32 v32, 0
	;; [unrolled: 1-line block ×3, first 2 shown]
	s_waitcnt vmcnt(15)
	v_lshlrev_b32_e32 v23, 16, v42
	s_waitcnt vmcnt(14)
	v_lshlrev_b32_e32 v22, 16, v43
	v_pk_add_f32 v[18:19], v[22:23], v[18:19] neg_lo:[0,1] neg_hi:[0,1]
	global_store_short_d16_hi v[30:31], v18, off offset:576
	global_store_short_d16_hi v[30:31], v19, off offset:832
	v_pk_mul_f32 v[18:19], v[28:29], v[18:19]
	v_accvgpr_read_b32 v23, a9
	v_perm_b32 v21, v19, v18, s3
	s_waitcnt vmcnt(15)
	v_lshlrev_b32_e32 v19, 16, v155
	s_waitcnt vmcnt(14)
	v_lshlrev_b32_e32 v18, 16, v156
	v_accvgpr_read_b32 v22, a8
	v_pk_add_f32 v[18:19], v[18:19], v[22:23] neg_lo:[0,1] neg_hi:[0,1]
	s_waitcnt vmcnt(13)
	v_lshlrev_b32_e32 v23, 16, v157
	s_waitcnt vmcnt(12)
	v_lshlrev_b32_e32 v22, 16, v158
	v_pk_add_f32 v[22:23], v[22:23], v[24:25] neg_lo:[0,1] neg_hi:[0,1]
	global_store_short_d16_hi v[30:31], v18, off offset:96
	global_store_short_d16_hi v[30:31], v19, off offset:352
	;; [unrolled: 1-line block ×4, first 2 shown]
	v_pk_mul_f32 v[18:19], v[26:27], v[18:19]
	v_pk_mul_f32 v[22:23], v[28:29], v[22:23]
	v_mov_b32_e32 v24, 0
	v_perm_b32 v23, v23, v22, s3
	v_perm_b32 v22, v19, v18, s3
	ds_write2_b64 v100, v[20:21], v[22:23] offset0:32 offset1:48
	v_mov_b32_e32 v18, 0
	v_mov_b32_e32 v19, 0
	;; [unrolled: 1-line block ×13, first 2 shown]
	s_cbranch_vccnz .LBB85_15
; %bb.14:                               ;   in Loop: Header=BB85_7 Depth=1
	s_and_b32 s37, s37, 0xffff
	s_mov_b32 s39, s31
	buffer_load_dwordx4 v[30:33], v133, s[36:39], 0 offen
	buffer_load_dwordx4 v[22:25], v133, s[36:39], s62 offen
	;; [unrolled: 1-line block ×4, first 2 shown]
	v_mov_b32_e32 v149, v94
	v_mov_b32_e32 v150, v93
.LBB85_15:                              ;   in Loop: Header=BB85_7 Depth=1
	s_waitcnt lgkmcnt(0)
	s_barrier
	ds_read_b64 v[42:43], v138
	ds_read2_b64 v[34:37], v129 offset1:16
	ds_read_b64 v[168:169], v139
	ds_read_b64 v[170:171], v140
	ds_read_b64 v[172:173], v141
	ds_read2_b64 v[38:41], v129 offset0:32 offset1:48
	ds_read2st64_b64 v[152:155], v129 offset0:4 offset1:8
	ds_read2st64_b64 v[156:159], v130 offset0:4 offset1:8
	;; [unrolled: 1-line block ×4, first 2 shown]
	s_waitcnt lgkmcnt(8)
	v_mfma_f32_16x16x16_bf16 a[0:3], v[42:43], v[34:35], 0
	s_add_i32 s28, s54, s66
	s_mul_hi_i32 s29, s28, s33
	s_mul_i32 s28, s28, s33
	v_mfma_f32_16x16x16_bf16 a[4:7], v[42:43], v[36:37], 0
	s_add_u32 s28, s28, s49
	s_addc_u32 s29, s29, s60
	s_lshl_b64 s[28:29], s[28:29], 15
	s_waitcnt lgkmcnt(4)
	v_mfma_f32_16x16x16_bf16 a[8:11], v[42:43], v[38:39], 0
	s_mul_i32 s36, s68, s33
	s_mul_hi_i32 s37, s68, s33
	s_add_u32 s36, s36, s49
	v_mfma_f32_16x16x16_bf16 a[12:15], v[42:43], v[40:41], 0
	ds_read_b64 v[42:43], v129 offset:6144
	ds_read_b64 v[180:181], v130 offset:6144
	;; [unrolled: 1-line block ×4, first 2 shown]
	s_addc_u32 s37, s37, s60
	s_waitcnt lgkmcnt(7)
	v_mfma_f32_16x16x16_bf16 a[0:3], v[168:169], v[152:153], a[0:3]
	s_lshl_b64 s[36:37], s[36:37], 9
	s_add_u32 s36, s40, s36
	s_addc_u32 s37, s41, s37
	s_waitcnt lgkmcnt(6)
	v_mfma_f32_16x16x16_bf16 a[4:7], v[168:169], v[156:157], a[4:7]
	v_lshl_add_u64 v[190:191], v[84:85], 0, s[28:29]
	s_waitcnt lgkmcnt(5)
	v_mfma_f32_16x16x16_bf16 a[8:11], v[168:169], v[160:161], a[8:11]
	s_waitcnt lgkmcnt(4)
	v_mfma_f32_16x16x16_bf16 a[12:15], v[168:169], v[164:165], a[12:15]
	ds_read_b64 v[168:169], v143
	ds_read_b64 v[178:179], v144
	;; [unrolled: 1-line block ×3, first 2 shown]
	s_waitcnt lgkmcnt(2)
	v_mfma_f32_16x16x16_bf16 a[16:19], v[168:169], v[34:35], 0
	v_mfma_f32_16x16x16_bf16 a[20:23], v[168:169], v[36:37], 0
	global_load_dwordx4 v[34:37], v142, s[36:37]
	v_mfma_f32_16x16x16_bf16 a[24:27], v[168:169], v[38:39], 0
	v_mfma_f32_16x16x16_bf16 a[28:31], v[168:169], v[40:41], 0
	global_load_dwordx4 v[38:41], v137, s[36:37]
	v_mfma_f32_16x16x16_bf16 a[0:3], v[170:171], v[154:155], a[0:3]
	v_mfma_f32_16x16x16_bf16 a[4:7], v[170:171], v[158:159], a[4:7]
	;; [unrolled: 1-line block ×8, first 2 shown]
	ds_read2st64_b64 v[168:171], v127 offset1:8
	ds_read2st64_b64 v[172:175], v128 offset1:8
	ds_read_b64 v[188:189], v135 offset:40960
	s_waitcnt lgkmcnt(2)
	v_mov_b32_e32 v176, v168
	v_mfma_f32_16x16x16_bf16 a[16:19], v[178:179], v[152:153], a[16:19]
	v_mov_b32_e32 v177, v169
	v_mfma_f32_16x16x16_bf16 a[20:23], v[178:179], v[156:157], a[20:23]
	v_mfma_f32_16x16x16_bf16 a[24:27], v[178:179], v[160:161], a[24:27]
	;; [unrolled: 1-line block ×3, first 2 shown]
	v_add_co_u32_e32 v164, vcc, s25, v190
	s_waitcnt lgkmcnt(1)
	v_mov_b32_e32 v178, v172
	s_waitcnt lgkmcnt(0)
	v_mfma_f32_16x16x16_bf16 a[16:19], v[188:189], v[154:155], a[16:19]
	ds_read2st64_b64 v[152:155], v127 offset0:16 offset1:24
	v_addc_co_u32_e32 v165, vcc, 0, v191, vcc
	v_mfma_f32_16x16x16_bf16 a[20:23], v[188:189], v[158:159], a[20:23]
	ds_read2st64_b64 v[156:159], v128 offset0:16 offset1:24
	v_mov_b32_e32 v179, v173
	v_mov_b32_e32 v172, v170
	v_mfma_f32_16x16x16_bf16 a[32:35], v[188:189], v[162:163], a[24:27]
	v_mov_b32_e32 v173, v171
	s_waitcnt lgkmcnt(0)
	v_mov_b32_e32 v162, v156
	v_mov_b32_e32 v163, v157
	v_mfma_f32_16x16x16_bf16 a[36:39], v[188:189], v[166:167], a[28:31]
	v_mov_b32_e32 v156, v154
	v_mov_b32_e32 v157, v155
	;; [unrolled: 1-line block ×3, first 2 shown]
	v_mfma_f32_16x16x16_bf16 a[24:27], v[186:187], v[42:43], a[16:19]
	v_add_co_u32_e32 v42, vcc, s65, v190
	v_mov_b32_e32 v161, v153
	v_mfma_f32_16x16x16_bf16 a[28:31], v[186:187], v[180:181], a[20:23]
	v_addc_co_u32_e32 v43, vcc, 0, v191, vcc
	global_store_dwordx4 v[42:43], v[156:159], off
	v_mfma_f32_16x16x16_bf16 a[16:19], v[186:187], v[182:183], a[32:35]
	s_waitcnt vmcnt(2)
	v_mov_b32_e32 v44, v37
	v_mov_b32_e32 v43, v36
	v_mov_b32_e32 v42, v35
	v_mfma_f32_16x16x16_bf16 a[20:23], v[186:187], v[184:185], a[36:39]
	s_and_b64 vcc, exec, s[0:1]
	global_store_dwordx4 v[190:191], v[176:179], off
	global_store_dwordx4 v[164:165], v[172:175], off offset:-4096
	global_store_dwordx4 v[164:165], v[160:163], off
	s_cbranch_vccnz .LBB85_6
; %bb.16:                               ;   in Loop: Header=BB85_7 Depth=1
	v_lshrrev_b32_e32 v35, 3, v149
	v_and_b32_e32 v35, 6, v35
	v_xor_b32_e32 v36, v35, v150
	v_lshlrev_b32_e32 v36, 2, v36
	v_and_b32_e32 v37, 8, v149
	v_xor_b32_e32 v149, 0x440, v36
	v_cmp_eq_u32_e32 vcc, 0, v37
	v_perm_b32 v37, v22, v18, s63
	s_nop 0
	v_cndmask_b32_e32 v36, v149, v36, vcc
	v_lshl_or_b32 v35, v35, 10, v36
	v_perm_b32 v36, v30, v26, s63
	s_barrier
	ds_write2st64_b32 v35, v36, v37 offset0:128 offset1:160
	v_xor_b32_e32 v36, 8, v35
	v_perm_b32 v26, v30, v26, s64
	v_perm_b32 v18, v22, v18, s64
	v_add_u32_e32 v22, 0x80, v36
	ds_write2st64_b32 v22, v26, v18 offset0:128 offset1:160
	v_xor_b32_e32 v18, 16, v35
	v_perm_b32 v22, v31, v27, s63
	v_perm_b32 v26, v23, v19, s63
	ds_write2st64_b32 v18, v22, v26 offset0:129 offset1:161
	v_xor_b32_e32 v18, 24, v35
	v_perm_b32 v22, v31, v27, s64
	v_perm_b32 v19, v23, v19, s64
	v_add_u32_e32 v18, 0x80, v18
	ds_write2st64_b32 v18, v22, v19 offset0:129 offset1:161
	v_xor_b32_e32 v18, 32, v35
	v_perm_b32 v19, v32, v28, s63
	v_perm_b32 v22, v24, v20, s63
	;; [unrolled: 9-line block ×3, first 2 shown]
	ds_write2st64_b32 v18, v19, v20 offset0:131 offset1:163
	v_xor_b32_e32 v18, 56, v35
	v_perm_b32 v19, v33, v29, s64
	v_perm_b32 v20, v25, v21, s64
	v_add_u32_e32 v18, 0x80, v18
	ds_write2st64_b32 v18, v19, v20 offset0:131 offset1:163
	ds_write_b64 v148, v[14:15] offset:49152
	v_xor_b32_e32 v14, 8, v148
	ds_write_b64 v14, v[16:17] offset:49152
	ds_write_b64 v148, v[10:11] offset:57344
	;; [unrolled: 1-line block ×4, first 2 shown]
	v_xor_b32_e32 v6, 8, v147
	ds_write_b64 v6, v[8:9] offset:49152
	ds_write_b64 v147, v[2:3] offset:57344
	;; [unrolled: 1-line block ×3, first 2 shown]
	s_branch .LBB85_6
.LBB85_17:
	s_lshl_b32 s3, s53, 6
	s_sub_i32 s58, s58, s3
	s_cmp_gt_i32 s58, 0
	v_or_b32_e32 v18, s2, v89
	s_cbranch_scc1 .LBB85_19
; %bb.18:
	s_ashr_i32 s37, s49, 31
	v_or_b32_e32 v2, s2, v89
	s_cbranch_execz .LBB85_20
	s_branch .LBB85_100
.LBB85_19:
                                        ; implicit-def: $vgpr2
                                        ; implicit-def: $sgpr36_sgpr37
.LBB85_20:
	s_add_i32 s36, s3, s42
	s_ashr_i32 s3, s36, 31
	s_cmpk_lg_i32 s23, 0x80
	s_cselect_b64 s[44:45], -1, 0
	s_and_b64 vcc, exec, s[44:45]
	s_cbranch_vccz .LBB85_22
; %bb.21:
	s_mul_hi_i32 s0, s36, s22
	s_mul_i32 s1, s36, s22
	s_ashr_i32 s22, s57, 31
	s_add_u32 s46, s1, s57
	s_addc_u32 s47, s0, s22
	s_cbranch_execz .LBB85_23
	s_branch .LBB85_24
.LBB85_22:
                                        ; implicit-def: $sgpr46_sgpr47
.LBB85_23:
	s_mul_i32 s1, s57, s20
	s_mul_hi_i32 s0, s57, s20
	s_add_u32 s46, s1, s36
	s_addc_u32 s47, s0, s3
.LBB85_24:
	s_add_i32 s20, s53, s54
	s_ashr_i32 s37, s49, 31
	s_add_u32 s0, s56, s36
	v_lshlrev_b32_e32 v6, 6, v1
	v_lshlrev_b32_e32 v27, 2, v89
	s_addc_u32 s1, s55, s3
	s_mov_b32 s3, 0x7060302
	v_or_b32_e32 v9, v6, v27
	v_xor_b32_e32 v7, v1, v27
	v_perm_b32 v3, v77, v76, s3
	v_perm_b32 v2, v75, v74, s3
	;; [unrolled: 1-line block ×4, first 2 shown]
	v_lshlrev_b32_e32 v9, 1, v9
	v_xor_b32_e32 v8, v92, v27
	ds_write2st64_b64 v9, v[2:3], v[4:5] offset0:32 offset1:48
	v_lshlrev_b32_e32 v7, 1, v7
	v_lshlrev_b32_e32 v9, 8, v89
	v_or_b32_e32 v10, v7, v9
	v_lshlrev_b32_e32 v8, 1, v8
	ds_write_b64 v10, v[2:3]
	v_or_b32_e32 v2, v8, v9
	v_or_b32_e32 v9, 16, v89
	v_lshlrev_b32_e32 v25, 2, v9
	v_or_b32_e32 v10, v6, v25
	ds_write_b64 v2, v[4:5]
	v_perm_b32 v3, v69, v68, s3
	v_perm_b32 v2, v67, v66, s3
	;; [unrolled: 1-line block ×4, first 2 shown]
	v_lshlrev_b32_e32 v10, 1, v10
	v_lshlrev_b32_e32 v9, 8, v9
	ds_write2st64_b64 v10, v[2:3], v[4:5] offset0:32 offset1:48
	v_or_b32_e32 v10, v7, v9
	ds_write_b64 v10, v[2:3]
	v_or_b32_e32 v2, v8, v9
	v_or_b32_e32 v9, 32, v89
	v_lshlrev_b32_e32 v24, 2, v9
	v_or_b32_e32 v10, v6, v24
	ds_write_b64 v2, v[4:5]
	v_perm_b32 v3, v61, v60, s3
	v_perm_b32 v2, v59, v58, s3
	;; [unrolled: 1-line block ×4, first 2 shown]
	v_lshlrev_b32_e32 v10, 1, v10
	v_lshlrev_b32_e32 v9, 8, v9
	s_lshl_b64 s[38:39], s[0:1], 8
	ds_write2st64_b64 v10, v[2:3], v[4:5] offset0:32 offset1:48
	v_or_b32_e32 v10, v7, v9
	s_add_u32 s0, s14, s38
	ds_write_b64 v10, v[2:3]
	v_or_b32_e32 v2, v8, v9
	s_addc_u32 s1, s15, s39
	ds_write_b64 v2, v[4:5]
	v_perm_b32 v3, v53, v52, s3
	v_perm_b32 v2, v51, v50, s3
	;; [unrolled: 1-line block ×4, first 2 shown]
	v_or_b32_e32 v9, 48, v89
	s_mul_hi_i32 s3, s20, s21
	s_mul_i32 s20, s20, s21
	v_lshlrev_b32_e32 v21, 2, v9
	s_add_u32 s14, s20, s49
	v_or_b32_e32 v6, v6, v21
	s_addc_u32 s15, s3, s37
	v_lshlrev_b32_e32 v6, 1, v6
	s_ashr_i32 s3, s2, 31
	s_lshl_b64 s[14:15], s[14:15], 15
	ds_write2st64_b64 v6, v[2:3], v[4:5] offset0:32 offset1:48
	v_lshlrev_b32_e32 v6, 8, v9
	s_add_u32 s4, s4, s14
	v_or_b32_e32 v7, v7, v6
	s_addc_u32 s5, s5, s15
	s_lshl_b64 s[2:3], s[2:3], 8
	ds_write_b64 v7, v[2:3]
	v_or_b32_e32 v2, v8, v6
	s_add_u32 s2, s4, s2
	v_lshlrev_b32_e32 v3, 1, v89
	ds_write_b64 v2, v[4:5]
	v_lshrrev_b32_e32 v2, 4, v0
	s_addc_u32 s3, s5, s3
	v_or_b32_e32 v4, 1, v3
	v_lshlrev_b32_e32 v10, 4, v89
	v_mov_b32_e32 v11, 0
	v_xor_b32_e32 v3, v2, v3
	v_xor_b32_e32 v6, v4, v2
	v_lshl_add_u64 v[12:13], s[2:3], 0, v[10:11]
	v_lshlrev_b32_e32 v10, 8, v2
	v_lshl_or_b32 v16, v3, 3, v10
	v_lshl_or_b32 v17, v6, 3, v10
	s_waitcnt lgkmcnt(0)
	s_barrier
	ds_read2st64_b64 v[2:5], v16 offset1:8
	ds_read2st64_b64 v[6:9], v17 offset1:8
	v_lshl_add_u64 v[14:15], v[12:13], 0, v[10:11]
	s_movk_i32 s2, 0x2000
	s_cmp_lg_u32 s58, 64
	s_waitcnt lgkmcnt(1)
	v_mov_b32_e32 v10, v2
	v_mov_b32_e32 v11, v3
	s_waitcnt lgkmcnt(0)
	v_mov_b32_e32 v12, v6
	v_mov_b32_e32 v13, v7
	global_store_dwordx4 v[14:15], v[10:13], off
	v_mov_b32_e32 v6, v4
	v_mov_b32_e32 v7, v5
	ds_read2st64_b64 v[2:5], v16 offset0:16 offset1:24
	ds_read2st64_b64 v[10:13], v17 offset0:16 offset1:24
	v_add_co_u32_e32 v16, vcc, s2, v14
	s_cselect_b64 s[4:5], -1, 0
	s_nop 0
	v_addc_co_u32_e32 v17, vcc, 0, v15, vcc
	global_store_dwordx4 v[16:17], v[6:9], off offset:-4096
	v_lshl_or_b32 v19, v45, 3, v91
	s_mov_b32 s28, 0
	s_waitcnt lgkmcnt(1)
	v_mov_b32_e32 v6, v2
	v_add_co_u32_e32 v2, vcc, 0x3000, v14
	v_mov_b32_e32 v7, v3
	s_nop 0
	v_addc_co_u32_e32 v3, vcc, 0, v15, vcc
	s_waitcnt lgkmcnt(0)
	v_mov_b32_e32 v8, v10
	v_mov_b32_e32 v9, v11
	;; [unrolled: 1-line block ×4, first 2 shown]
	v_or_b32_e32 v22, 32, v19
	v_and_b32_e32 v20, 56, v90
	s_and_b64 vcc, exec, s[4:5]
	global_store_dwordx4 v[16:17], v[6:9], off
	global_store_dwordx4 v[2:3], v[10:13], off
	s_cbranch_vccz .LBB85_30
; %bb.25:
	s_mov_b32 s29, s28
	s_mov_b32 s30, s28
	;; [unrolled: 1-line block ×3, first 2 shown]
	v_mov_b64_e32 v[6:7], s[28:29]
	v_mov_b64_e32 v[8:9], s[30:31]
	;; [unrolled: 1-line block ×3, first 2 shown]
	v_cmp_gt_i32_e32 vcc, s58, v19
	v_mov_b64_e32 v[4:5], v[8:9]
	s_and_saveexec_b64 s[2:3], vcc
	s_cbranch_execz .LBB85_27
; %bb.26:
	v_lshlrev_b32_e32 v2, 8, v19
	v_mov_b32_e32 v3, 0
	v_lshl_add_u64 v[4:5], s[0:1], 0, v[2:3]
	v_lshlrev_b32_e32 v2, 1, v20
	v_lshl_add_u64 v[10:11], v[4:5], 0, v[2:3]
	global_load_dwordx4 v[6:9], v[10:11], off
	global_load_dwordx4 v[2:5], v[10:11], off offset:128
.LBB85_27:
	s_or_b64 exec, exec, s[2:3]
	s_mov_b32 s29, s28
	s_mov_b32 s30, s28
	;; [unrolled: 1-line block ×3, first 2 shown]
	v_mov_b64_e32 v[14:15], s[28:29]
	v_mov_b64_e32 v[16:17], s[30:31]
	;; [unrolled: 1-line block ×3, first 2 shown]
	v_cmp_gt_i32_e32 vcc, s58, v22
	v_lshlrev_b32_e32 v23, 7, v22
	v_mov_b64_e32 v[12:13], v[16:17]
	s_and_saveexec_b64 s[2:3], vcc
	s_cbranch_execz .LBB85_29
; %bb.28:
	v_lshlrev_b32_e32 v10, 1, v23
	v_mov_b32_e32 v11, 0
	v_lshl_add_u64 v[12:13], s[0:1], 0, v[10:11]
	v_lshlrev_b32_e32 v10, 1, v20
	v_lshl_add_u64 v[28:29], v[12:13], 0, v[10:11]
	global_load_dwordx4 v[14:17], v[28:29], off
	global_load_dwordx4 v[10:13], v[28:29], off offset:128
.LBB85_29:
	s_or_b64 exec, exec, s[2:3]
	v_lshrrev_b32_e32 v26, 3, v20
	v_lshlrev_b32_e32 v28, 3, v19
	v_or_b32_e32 v26, v28, v26
	v_lshlrev_b32_e32 v26, 4, v26
	v_and_b32_e32 v28, 0x78, v28
	v_xor_b32_e32 v26, v26, v28
	s_branch .LBB85_32
.LBB85_30:
                                        ; implicit-def: $vgpr26
                                        ; implicit-def: $vgpr23
                                        ; implicit-def: $vgpr6_vgpr7_vgpr8_vgpr9
                                        ; implicit-def: $vgpr2_vgpr3_vgpr4_vgpr5
                                        ; implicit-def: $vgpr14_vgpr15_vgpr16_vgpr17
                                        ; implicit-def: $vgpr10_vgpr11_vgpr12_vgpr13
	s_cbranch_execz .LBB85_32
; %bb.31:
	s_waitcnt vmcnt(0)
	v_lshlrev_b32_e32 v2, 1, v20
	v_lshl_or_b32 v23, v19, 8, v2
	s_and_b32 s1, s1, 0xffff
	s_mov_b32 s3, 0x20000
	s_movk_i32 s2, 0x4000
	v_lshl_or_b32 v26, v22, 8, v2
	s_movk_i32 s14, 0x80
	buffer_load_dwordx4 v[6:9], v23, s[0:3], 0 offen
	buffer_load_dwordx4 v[2:5], v23, s[0:3], s14 offen
	;; [unrolled: 1-line block ×4, first 2 shown]
	v_lshrrev_b32_e32 v23, 3, v20
	v_lshlrev_b32_e32 v26, 3, v19
	v_or_b32_e32 v23, v26, v23
	v_lshlrev_b32_e32 v23, 4, v23
	v_and_b32_e32 v26, 0x78, v26
	v_xor_b32_e32 v26, v23, v26
	v_lshlrev_b32_e32 v23, 7, v22
.LBB85_32:
	s_movk_i32 s0, 0x1000
	v_and_or_b32 v22, v23, s0, v26
	s_waitcnt vmcnt(1)
	ds_write_b64 v26, v[6:7] offset:49152
	v_xor_b32_e32 v6, 8, v26
	ds_write_b64 v6, v[8:9] offset:49152
	s_waitcnt vmcnt(0)
	ds_write_b64 v26, v[2:3] offset:57344
	ds_write_b64 v6, v[4:5] offset:57344
	;; [unrolled: 1-line block ×3, first 2 shown]
	v_xor_b32_e32 v2, 8, v22
	ds_write_b64 v2, v[16:17] offset:49152
	ds_write_b64 v22, v[10:11] offset:57344
	;; [unrolled: 1-line block ×3, first 2 shown]
	v_or_b32_e32 v2, v86, v89
	v_lshlrev_b32_e32 v2, 3, v2
	v_lshrrev_b32_e32 v3, 5, v87
	s_movk_i32 s0, 0xf8
	v_and_or_b32 v3, v2, s0, v3
	v_lshlrev_b32_e32 v7, 4, v3
	v_lshlrev_b32_e32 v26, 11, v45
	v_and_b32_e32 v8, 0x78, v2
	v_or_b32_e32 v10, 32, v7
	v_and_b32_e32 v6, 0x1000, v26
	v_lshrrev_b32_e32 v3, 1, v87
	v_xor_b32_e32 v10, v10, v8
	v_xor_b32_e32 v2, v7, v8
	v_and_b32_e32 v9, 8, v3
	v_or_b32_e32 v10, v10, v6
	v_or_b32_e32 v2, v2, v6
	v_xor_b32_e32 v33, v10, v9
	v_or_b32_e32 v10, 64, v7
	v_xor_b32_e32 v32, v2, v9
	v_xor_b32_e32 v10, v10, v8
	s_waitcnt lgkmcnt(0)
	s_barrier
	v_or_b32_e32 v13, v10, v6
	ds_read_b64 v[10:11], v32 offset:49152
	v_lshl_or_b32 v14, v88, 8, v27
	v_lshlrev_b32_e32 v28, 1, v14
	v_add_u32_e32 v12, 0x4000, v28
	ds_read2_b64 v[2:5], v12 offset1:16
	v_or_b32_e32 v7, 0x60, v7
	v_xor_b32_e32 v7, v7, v8
	v_or_b32_e32 v6, v7, v6
	v_xor_b32_e32 v34, v13, v9
	v_xor_b32_e32 v35, v6, v9
	ds_read_b64 v[22:23], v33 offset:49152
	ds_read_b64 v[36:37], v34 offset:49152
	;; [unrolled: 1-line block ×3, first 2 shown]
	s_waitcnt lgkmcnt(3)
	v_mfma_f32_16x16x16_bf16 a[0:3], v[10:11], v[2:3], 0
	ds_read2_b64 v[6:9], v12 offset0:32 offset1:48
	s_lshl_b64 s[0:1], s[46:47], 8
	s_add_u32 s12, s12, s0
	v_mfma_f32_16x16x16_bf16 a[4:7], v[10:11], v[4:5], 0
	ds_read2st64_b64 v[2:5], v28 offset0:36 offset1:40
	s_addc_u32 s13, s13, s1
	s_add_i32 s22, s43, -1
	s_waitcnt lgkmcnt(1)
	v_mfma_f32_16x16x16_bf16 a[8:11], v[10:11], v[6:7], 0
	v_or_b32_e32 v6, 64, v14
	v_lshlrev_b32_e32 v29, 1, v6
	s_add_i32 s0, s51, s50
	s_waitcnt lgkmcnt(0)
	v_mfma_f32_16x16x16_bf16 a[0:3], v[22:23], v[2:3], a[0:3]
	v_or_b32_e32 v2, 0x80, v14
	v_lshlrev_b32_e32 v30, 1, v2
	v_or_b32_e32 v2, 0xc0, v14
	v_mfma_f32_16x16x16_bf16 a[12:15], v[10:11], v[8:9], 0
	ds_read2st64_b64 v[6:9], v29 offset0:36 offset1:40
	v_lshlrev_b32_e32 v31, 1, v2
	ds_read2st64_b64 v[10:13], v30 offset0:36 offset1:40
	ds_read2st64_b64 v[14:17], v31 offset0:36 offset1:40
	s_add_i32 s25, s0, s52
	s_mul_i32 s0, s49, s27
	s_mul_hi_u32 s1, s49, s26
	s_ashr_i32 s2, s22, 31
	s_mul_i32 s3, s22, s11
	s_mul_hi_u32 s14, s22, s10
	s_waitcnt lgkmcnt(2)
	v_mfma_f32_16x16x16_bf16 a[4:7], v[22:23], v[6:7], a[4:7]
	s_add_i32 s0, s1, s0
	s_mul_i32 s1, s37, s26
	s_add_i32 s3, s14, s3
	s_mul_i32 s2, s2, s10
	s_waitcnt lgkmcnt(1)
	v_mfma_f32_16x16x16_bf16 a[8:11], v[22:23], v[10:11], a[8:11]
	s_add_i32 s1, s0, s1
	s_add_i32 s3, s3, s2
	s_lshl_b64 s[14:15], s[24:25], 2
	s_waitcnt lgkmcnt(0)
	v_mfma_f32_16x16x16_bf16 a[12:15], v[22:23], v[14:15], a[12:15]
	s_mul_i32 s0, s49, s26
	s_add_u32 s14, s18, s14
	s_addc_u32 s15, s19, s15
	s_lshl_b64 s[0:1], s[0:1], 2
	v_mfma_f32_16x16x16_bf16 a[0:3], v[36:37], v[4:5], a[0:3]
	s_mul_i32 s2, s22, s10
	ds_read_b64 v[2:3], v28 offset:22528
	s_add_u32 s18, s14, s0
	v_mfma_f32_16x16x16_bf16 a[4:7], v[36:37], v[8:9], a[4:7]
	ds_read_b64 v[4:5], v29 offset:22528
	ds_read_b64 v[6:7], v30 offset:22528
	;; [unrolled: 1-line block ×3, first 2 shown]
	s_addc_u32 s19, s15, s1
	s_lshl_b64 s[0:1], s[2:3], 2
	v_mfma_f32_16x16x16_bf16 a[8:11], v[36:37], v[12:13], a[8:11]
	s_add_u32 s0, s18, s0
	s_addc_u32 s1, s19, s1
	s_load_dword s20, s[0:1], 0x0
	v_mfma_f32_16x16x16_bf16 a[12:15], v[36:37], v[16:17], a[12:15]
	s_and_b64 vcc, exec, s[44:45]
	s_waitcnt lgkmcnt(0)
	v_mfma_f32_16x16x16_bf16 a[0:3], v[38:39], v[2:3], a[0:3]
	v_mfma_f32_16x16x16_bf16 a[4:7], v[38:39], v[4:5], a[4:7]
	;; [unrolled: 1-line block ×4, first 2 shown]
	s_cbranch_vccz .LBB85_43
; %bb.33:
	v_lshlrev_b32_e32 v22, 1, v19
	s_and_b64 vcc, exec, s[4:5]
	s_cbranch_vccz .LBB85_44
; %bb.34:
	v_cmp_gt_i32_e32 vcc, s58, v22
	v_mov_b32_e32 v6, 0
	v_mov_b32_e32 v2, 0
	;; [unrolled: 1-line block ×5, first 2 shown]
	s_and_saveexec_b64 s[0:1], vcc
	s_cbranch_execz .LBB85_36
; %bb.35:
	v_mad_i64_i32 v[2:3], s[2:3], s23, v22, 0
	v_lshl_add_u64 v[2:3], v[2:3], 1, s[12:13]
	v_lshlrev_b32_e32 v4, 1, v20
	v_mov_b32_e32 v5, 0
	v_lshl_add_u64 v[2:3], v[2:3], 0, v[4:5]
	global_load_dwordx4 v[2:5], v[2:3], off
.LBB85_36:
	s_or_b64 exec, exec, s[0:1]
	v_or_b32_e32 v23, 1, v22
	v_cmp_gt_i32_e64 s[0:1], s58, v23
	v_mov_b32_e32 v7, 0
	v_mov_b32_e32 v8, 0
	;; [unrolled: 1-line block ×3, first 2 shown]
	s_and_saveexec_b64 s[2:3], s[0:1]
	s_cbranch_execz .LBB85_38
; %bb.37:
	v_mad_i64_i32 v[6:7], s[14:15], s23, v23, 0
	v_lshl_add_u64 v[6:7], v[6:7], 1, s[12:13]
	v_lshlrev_b32_e32 v8, 1, v20
	v_mov_b32_e32 v9, 0
	v_lshl_add_u64 v[6:7], v[6:7], 0, v[8:9]
	global_load_dwordx4 v[6:9], v[6:7], off
.LBB85_38:
	s_or_b64 exec, exec, s[2:3]
	v_mov_b32_e32 v17, 0
	v_mov_b32_e32 v10, 0
	;; [unrolled: 1-line block ×5, first 2 shown]
	s_and_saveexec_b64 s[2:3], vcc
	s_cbranch_execz .LBB85_40
; %bb.39:
	v_mad_i64_i32 v[10:11], s[14:15], s23, v22, 0
	v_lshl_add_u64 v[10:11], v[10:11], 1, s[12:13]
	v_lshlrev_b32_e32 v12, 1, v20
	v_mov_b32_e32 v13, 0
	v_lshl_add_u64 v[10:11], v[10:11], 0, v[12:13]
	global_load_dwordx4 v[10:13], v[10:11], off offset:128
.LBB85_40:
	s_or_b64 exec, exec, s[2:3]
	v_mov_b32_e32 v16, 0
	v_mov_b32_e32 v15, 0
	;; [unrolled: 1-line block ×3, first 2 shown]
	s_and_saveexec_b64 s[2:3], s[0:1]
	s_cbranch_execz .LBB85_42
; %bb.41:
	v_mad_i64_i32 v[14:15], s[0:1], s23, v23, 0
	v_lshl_add_u64 v[14:15], v[14:15], 1, s[12:13]
	v_lshlrev_b32_e32 v16, 1, v20
	v_mov_b32_e32 v17, 0
	v_lshl_add_u64 v[14:15], v[14:15], 0, v[16:17]
	global_load_dwordx4 v[14:17], v[14:15], off offset:128
.LBB85_42:
	s_or_b64 exec, exec, s[2:3]
	s_branch .LBB85_46
.LBB85_43:
                                        ; implicit-def: $vgpr5
                                        ; implicit-def: $vgpr9
                                        ; implicit-def: $vgpr13
                                        ; implicit-def: $vgpr17
	v_lshrrev_b32_e32 v36, 2, v87
	s_branch .LBB85_47
.LBB85_44:
                                        ; implicit-def: $vgpr5
                                        ; implicit-def: $vgpr9
                                        ; implicit-def: $vgpr13
                                        ; implicit-def: $vgpr17
	s_cbranch_execz .LBB85_46
; %bb.45:
	s_waitcnt vmcnt(0)
	v_mad_u64_u32 v[2:3], s[0:1], v22, s23, v[20:21]
	v_lshlrev_b32_e32 v22, 1, v2
	s_lshl_b32 s2, s23, 7
	s_and_b32 s1, s13, 0xffff
	s_mov_b32 s3, 0x20000
	s_mov_b32 s0, s12
	v_add_lshl_u32 v23, v2, s23, 1
	s_movk_i32 s14, 0x80
	buffer_load_dwordx4 v[2:5], v22, s[0:3], 0 offen
	buffer_load_dwordx4 v[10:13], v22, s[0:3], s14 offen
	;; [unrolled: 1-line block ×4, first 2 shown]
.LBB85_46:
	v_lshrrev_b32_e32 v36, 2, v87
	s_cbranch_execnz .LBB85_59
.LBB85_47:
	s_and_b64 vcc, exec, s[4:5]
	s_cbranch_vccz .LBB85_57
; %bb.48:
	s_waitcnt vmcnt(0)
	v_lshlrev_b32_e32 v7, 1, v19
	v_cmp_gt_i32_e32 vcc, s58, v7
	v_mov_b32_e32 v6, 0
	v_lshlrev_b32_e32 v14, 9, v19
	v_mov_b32_e32 v2, 0
	v_mov_b32_e32 v3, 0
	;; [unrolled: 1-line block ×4, first 2 shown]
	s_and_saveexec_b64 s[0:1], vcc
	s_cbranch_execz .LBB85_50
; %bb.49:
	v_mov_b32_e32 v15, 0
	v_lshl_add_u64 v[2:3], s[12:13], 0, v[14:15]
	v_lshlrev_b32_e32 v4, 1, v20
	v_mov_b32_e32 v5, v15
	v_lshl_add_u64 v[2:3], v[2:3], 0, v[4:5]
	global_load_dwordx4 v[2:5], v[2:3], off
.LBB85_50:
	s_or_b64 exec, exec, s[0:1]
	v_or_b32_e32 v7, 1, v7
	v_cmp_gt_i32_e64 s[0:1], s58, v7
	v_lshlrev_b32_e32 v22, 8, v7
	v_mov_b32_e32 v7, 0
	v_mov_b32_e32 v8, 0
	;; [unrolled: 1-line block ×3, first 2 shown]
	s_and_saveexec_b64 s[2:3], s[0:1]
	s_cbranch_execz .LBB85_52
; %bb.51:
	v_mov_b32_e32 v23, 0
	v_lshl_add_u64 v[6:7], s[12:13], 0, v[22:23]
	v_lshlrev_b32_e32 v8, 1, v20
	v_mov_b32_e32 v9, v23
	v_lshl_add_u64 v[6:7], v[6:7], 0, v[8:9]
	global_load_dwordx4 v[6:9], v[6:7], off
.LBB85_52:
	s_or_b64 exec, exec, s[2:3]
	v_mov_b32_e32 v17, 0
	v_mov_b32_e32 v10, 0
	;; [unrolled: 1-line block ×5, first 2 shown]
	s_and_saveexec_b64 s[2:3], vcc
	s_cbranch_execz .LBB85_54
; %bb.53:
	v_mov_b32_e32 v15, 0
	v_lshl_add_u64 v[10:11], s[12:13], 0, v[14:15]
	v_lshlrev_b32_e32 v14, 1, v20
	v_lshl_add_u64 v[10:11], v[10:11], 0, v[14:15]
	global_load_dwordx4 v[10:13], v[10:11], off offset:128
.LBB85_54:
	s_or_b64 exec, exec, s[2:3]
	v_mov_b32_e32 v16, 0
	v_mov_b32_e32 v15, 0
	;; [unrolled: 1-line block ×3, first 2 shown]
	s_and_saveexec_b64 s[2:3], s[0:1]
	s_cbranch_execz .LBB85_56
; %bb.55:
	v_mov_b32_e32 v23, 0
	v_lshl_add_u64 v[14:15], s[12:13], 0, v[22:23]
	v_lshlrev_b32_e32 v22, 1, v20
	v_lshl_add_u64 v[14:15], v[14:15], 0, v[22:23]
	global_load_dwordx4 v[14:17], v[14:15], off offset:128
.LBB85_56:
	s_or_b64 exec, exec, s[2:3]
	s_branch .LBB85_59
.LBB85_57:
                                        ; implicit-def: $vgpr5
                                        ; implicit-def: $vgpr9
                                        ; implicit-def: $vgpr13
                                        ; implicit-def: $vgpr17
	s_cbranch_execz .LBB85_59
; %bb.58:
	s_waitcnt vmcnt(0)
	v_lshlrev_b32_e32 v2, 1, v20
	v_lshl_or_b32 v20, v19, 9, v2
	s_and_b32 s13, s13, 0xffff
	s_mov_b32 s15, 0x20000
	s_movk_i32 s14, 0x4000
	s_movk_i32 s0, 0x80
	buffer_load_dwordx4 v[2:5], v20, s[12:15], 0 offen
	buffer_load_dwordx4 v[6:9], v20, s[12:15], 0 offen offset:256
	buffer_load_dwordx4 v[10:13], v20, s[12:15], s0 offen
	buffer_load_dwordx4 v[14:17], v20, s[12:15], s0 offen offset:256
.LBB85_59:
	ds_read_b64 v[22:23], v32 offset:57344
	v_add_u32_e32 v20, 0x6000, v28
	ds_read2_b64 v[38:41], v20 offset1:16
	ds_read_b64 v[82:83], v33 offset:57344
	ds_read_b64 v[84:85], v34 offset:57344
	;; [unrolled: 1-line block ×3, first 2 shown]
	ds_read2_b64 v[32:35], v20 offset0:32 offset1:48
	v_and_b32_e32 v20, 12, v36
	v_and_b32_e32 v44, 6, v0
	v_xor_b32_e32 v19, v19, v44
	v_lshlrev_b32_e32 v19, 2, v19
	s_mov_b32 s0, 0x1000504
	s_waitcnt lgkmcnt(4)
	v_mfma_f32_16x16x16_bf16 a[4:7], v[22:23], v[40:41], a[4:7]
	s_mov_b32 s1, 0x3020706
	v_mfma_f32_16x16x16_bf16 a[0:3], v[22:23], v[38:39], a[0:3]
	ds_read2st64_b64 v[36:39], v28 offset0:52 offset1:56
	s_waitcnt lgkmcnt(1)
	v_mfma_f32_16x16x16_bf16 a[8:11], v[22:23], v[32:33], a[8:11]
	v_mfma_f32_16x16x16_bf16 a[12:15], v[22:23], v[34:35], a[12:15]
	ds_read2st64_b64 v[32:35], v29 offset0:52 offset1:56
	ds_read2st64_b64 v[40:43], v30 offset0:52 offset1:56
	;; [unrolled: 1-line block ×3, first 2 shown]
	s_waitcnt lgkmcnt(2)
	v_mfma_f32_16x16x16_bf16 a[4:7], v[82:83], v[32:33], a[4:7]
	v_and_b32_e32 v32, 1, v0
	v_xor_b32_e32 v33, 0x440, v19
	v_cmp_eq_u32_e32 vcc, 0, v32
	v_mfma_f32_16x16x16_bf16 a[0:3], v[82:83], v[36:37], a[0:3]
	s_waitcnt vmcnt(0)
	v_perm_b32 v32, v2, v6, s0
	v_cndmask_b32_e32 v19, v33, v19, vcc
	v_lshl_or_b32 v19, v44, 10, v19
	s_waitcnt lgkmcnt(1)
	v_mfma_f32_16x16x16_bf16 a[8:11], v[82:83], v[40:41], a[8:11]
	v_perm_b32 v33, v10, v14, s0
	ds_read_b64 v[22:23], v28 offset:30720
	ds_read_b64 v[36:37], v29 offset:30720
	;; [unrolled: 1-line block ×4, first 2 shown]
	ds_write2st64_b32 v19, v32, v33 offset0:128 offset1:160
	s_waitcnt lgkmcnt(5)
	v_mfma_f32_16x16x16_bf16 a[12:15], v[82:83], v[78:79], a[12:15]
	v_xor_b32_e32 v32, 8, v19
	v_perm_b32 v2, v2, v6, s1
	v_perm_b32 v6, v10, v14, s1
	v_add_u32_e32 v10, 0x80, v32
	ds_write2st64_b32 v10, v2, v6 offset0:128 offset1:160
	v_xor_b32_e32 v2, 16, v19
	v_perm_b32 v6, v3, v7, s0
	v_perm_b32 v10, v11, v15, s0
	v_mfma_f32_16x16x16_bf16 a[0:3], v[84:85], v[38:39], a[0:3]
	ds_write2st64_b32 v2, v6, v10 offset0:129 offset1:161
	v_xor_b32_e32 v2, 24, v19
	v_perm_b32 v3, v3, v7, s1
	v_mfma_f32_16x16x16_bf16 a[4:7], v[84:85], v[34:35], a[4:7]
	v_perm_b32 v6, v11, v15, s1
	v_add_u32_e32 v2, 0x80, v2
	ds_write2st64_b32 v2, v3, v6 offset0:129 offset1:161
	v_mfma_f32_16x16x16_bf16 a[16:19], v[84:85], v[42:43], a[8:11]
	v_xor_b32_e32 v2, 32, v19
	v_perm_b32 v3, v4, v8, s0
	v_perm_b32 v6, v12, v16, s0
	v_mfma_f32_16x16x16_bf16 a[20:23], v[84:85], v[80:81], a[12:15]
	ds_write2st64_b32 v2, v3, v6 offset0:130 offset1:162
	v_xor_b32_e32 v2, 40, v19
	v_perm_b32 v3, v4, v8, s1
	s_waitcnt lgkmcnt(8)
	v_mfma_f32_16x16x16_bf16 a[12:15], v[88:89], v[22:23], a[0:3]
	v_perm_b32 v4, v12, v16, s1
	v_add_u32_e32 v2, 0x80, v2
	ds_write2st64_b32 v2, v3, v4 offset0:130 offset1:162
	s_waitcnt lgkmcnt(8)
	v_mfma_f32_16x16x16_bf16 a[8:11], v[88:89], v[36:37], a[4:7]
	v_xor_b32_e32 v2, 48, v19
	v_perm_b32 v3, v5, v9, s0
	v_perm_b32 v4, v13, v17, s0
	s_waitcnt lgkmcnt(7)
	v_mfma_f32_16x16x16_bf16 a[4:7], v[88:89], v[90:91], a[16:19]
	ds_write2st64_b32 v2, v3, v4 offset0:131 offset1:163
	v_xor_b32_e32 v2, 56, v19
	v_or_b32_e32 v22, v20, v86
	s_waitcnt lgkmcnt(7)
	v_mfma_f32_16x16x16_bf16 a[0:3], v[88:89], v[92:93], a[20:23]
	v_perm_b32 v3, v5, v9, s1
	v_perm_b32 v4, v13, v17, s1
	v_add_u32_e32 v2, 0x80, v2
	v_cmp_gt_i32_e64 s[0:1], s58, v22
	v_mov_b32_e32 v32, 0
	v_mov_b32_e32 v33, 0
	ds_write2st64_b32 v2, v3, v4 offset0:131 offset1:163
	s_and_saveexec_b64 s[2:3], s[0:1]
	s_cbranch_execz .LBB85_61
; %bb.60:
	v_add_u32_e32 v2, s36, v22
	v_ashrrev_i32_e32 v3, 31, v2
	v_mul_lo_u32 v4, v3, s10
	v_mul_lo_u32 v5, v2, s11
	v_mad_u64_u32 v[2:3], s[4:5], v2, s10, 0
	v_add3_u32 v3, v3, v5, v4
	v_lshl_add_u64 v[2:3], v[2:3], 2, s[18:19]
	global_load_dword v2, v[2:3], off
	s_waitcnt vmcnt(0)
	v_sub_f32_e32 v2, s20, v2
	v_mul_f32_e32 v2, 0x3fb8aa3b, v2
	v_exp_f32_e32 v33, v2
.LBB85_61:
	s_or_b64 exec, exec, s[2:3]
	v_or_b32_e32 v11, 1, v22
	v_cmp_gt_i32_e64 s[2:3], s58, v11
	s_and_saveexec_b64 s[4:5], s[2:3]
	s_cbranch_execz .LBB85_63
; %bb.62:
	v_add_u32_e32 v2, s36, v11
	v_ashrrev_i32_e32 v3, 31, v2
	v_mul_lo_u32 v4, v3, s10
	v_mul_lo_u32 v5, v2, s11
	v_mad_u64_u32 v[2:3], s[12:13], v2, s10, 0
	v_add3_u32 v3, v3, v5, v4
	v_lshl_add_u64 v[2:3], v[2:3], 2, s[18:19]
	global_load_dword v2, v[2:3], off
	s_waitcnt vmcnt(0)
	v_sub_f32_e32 v2, s20, v2
	v_mul_f32_e32 v2, 0x3fb8aa3b, v2
	v_exp_f32_e32 v32, v2
.LBB85_63:
	s_or_b64 exec, exec, s[4:5]
	v_or_b32_e32 v10, 2, v22
	v_cmp_gt_i32_e64 s[4:5], s58, v10
	v_mov_b32_e32 v23, 0
	v_mov_b32_e32 v34, 0
	s_and_saveexec_b64 s[12:13], s[4:5]
	s_cbranch_execz .LBB85_65
; %bb.64:
	v_add_u32_e32 v2, s36, v10
	v_ashrrev_i32_e32 v3, 31, v2
	v_mul_lo_u32 v4, v3, s10
	v_mul_lo_u32 v5, v2, s11
	v_mad_u64_u32 v[2:3], s[14:15], v2, s10, 0
	v_add3_u32 v3, v3, v5, v4
	v_lshl_add_u64 v[2:3], v[2:3], 2, s[18:19]
	global_load_dword v2, v[2:3], off
	s_waitcnt vmcnt(0)
	v_sub_f32_e32 v2, s20, v2
	v_mul_f32_e32 v2, 0x3fb8aa3b, v2
	v_exp_f32_e32 v34, v2
.LBB85_65:
	s_or_b64 exec, exec, s[12:13]
	v_or_b32_e32 v35, 3, v22
	v_cmp_gt_i32_e32 vcc, s58, v35
	s_and_saveexec_b64 s[12:13], vcc
	s_cbranch_execz .LBB85_67
; %bb.66:
	v_add_u32_e32 v2, s36, v35
	v_ashrrev_i32_e32 v3, 31, v2
	v_mul_lo_u32 v4, v3, s10
	v_mul_lo_u32 v5, v2, s11
	v_mad_u64_u32 v[2:3], s[10:11], v2, s10, 0
	v_add3_u32 v3, v3, v5, v4
	v_lshl_add_u64 v[2:3], v[2:3], 2, s[18:19]
	global_load_dword v2, v[2:3], off
	s_waitcnt vmcnt(0)
	v_sub_f32_e32 v2, s20, v2
	v_mul_f32_e32 v2, 0x3fb8aa3b, v2
	v_exp_f32_e32 v23, v2
.LBB85_67:
	s_or_b64 exec, exec, s[12:13]
	s_add_u32 s10, s16, s38
	s_addc_u32 s11, s17, s39
	s_add_u32 s6, s6, s38
	v_ashrrev_i32_e32 v19, 31, v18
	v_accvgpr_read_b32 v2, a12
	s_addc_u32 s7, s7, s39
	v_lshlrev_b64 v[6:7], 1, v[18:19]
	v_accvgpr_read_b32 v3, a13
	v_accvgpr_read_b32 v4, a14
	;; [unrolled: 1-line block ×3, first 2 shown]
	v_lshl_add_u64 v[8:9], s[10:11], 0, v[6:7]
	v_lshl_add_u64 v[6:7], s[6:7], 0, v[6:7]
	v_mov_b32_e32 v15, 0
	v_lshlrev_b32_e32 v12, 8, v22
	v_mov_b32_e32 v13, 0
	s_and_saveexec_b64 s[6:7], s[0:1]
	s_cbranch_execz .LBB85_69
; %bb.68:
	v_mov_b32_e32 v13, 0
	v_lshl_add_u64 v[16:17], v[8:9], 0, v[12:13]
	global_load_ushort v14, v[16:17], off
	v_lshl_add_u64 v[16:17], v[6:7], 0, v[12:13]
	s_waitcnt vmcnt(0)
	v_lshlrev_b32_e32 v13, 16, v14
	v_sub_f32_e32 v2, v13, v2
	global_store_short_d16_hi v[16:17], v2, off
	v_mul_f32_e32 v2, v33, v2
	v_lshrrev_b32_e32 v13, 16, v2
.LBB85_69:
	s_or_b64 exec, exec, s[6:7]
	v_lshlrev_b32_e32 v14, 8, v11
	s_and_saveexec_b64 s[6:7], s[2:3]
	s_cbranch_execz .LBB85_71
; %bb.70:
	v_mov_b32_e32 v15, 0
	v_lshl_add_u64 v[16:17], v[8:9], 0, v[14:15]
	global_load_ushort v2, v[16:17], off
	v_lshl_add_u64 v[16:17], v[6:7], 0, v[14:15]
	s_waitcnt vmcnt(0)
	v_lshlrev_b32_e32 v2, 16, v2
	v_sub_f32_e32 v2, v2, v3
	global_store_short_d16_hi v[16:17], v2, off
	v_mul_f32_e32 v2, v32, v2
	v_lshrrev_b32_e32 v15, 16, v2
.LBB85_71:
	s_or_b64 exec, exec, s[6:7]
	v_mov_b32_e32 v11, 0
	v_lshlrev_b32_e32 v16, 8, v10
	v_mov_b32_e32 v17, 0
	s_and_saveexec_b64 s[6:7], s[4:5]
	s_cbranch_execz .LBB85_73
; %bb.72:
	v_mov_b32_e32 v17, 0
	v_lshl_add_u64 v[2:3], v[8:9], 0, v[16:17]
	global_load_ushort v10, v[2:3], off
	v_lshl_add_u64 v[2:3], v[6:7], 0, v[16:17]
	s_waitcnt vmcnt(0)
	v_lshlrev_b32_e32 v10, 16, v10
	v_sub_f32_e32 v4, v10, v4
	global_store_short_d16_hi v[2:3], v4, off
	v_mul_f32_e32 v2, v34, v4
	v_lshrrev_b32_e32 v17, 16, v2
.LBB85_73:
	s_or_b64 exec, exec, s[6:7]
	v_lshlrev_b32_e32 v10, 8, v35
	s_and_saveexec_b64 s[6:7], vcc
	s_cbranch_execz .LBB85_75
; %bb.74:
	v_mov_b32_e32 v11, 0
	v_lshl_add_u64 v[2:3], v[8:9], 0, v[10:11]
	global_load_ushort v4, v[2:3], off
	v_lshl_add_u64 v[2:3], v[6:7], 0, v[10:11]
	s_waitcnt vmcnt(0)
	v_lshlrev_b32_e32 v4, 16, v4
	v_sub_f32_e32 v4, v4, v5
	global_store_short_d16_hi v[2:3], v4, off
	v_mul_f32_e32 v2, v23, v4
	v_lshrrev_b32_e32 v11, 16, v2
.LBB85_75:
	s_or_b64 exec, exec, s[6:7]
	v_lshlrev_b32_e32 v19, 6, v22
	s_mov_b32 s6, 0x5040100
	v_accvgpr_read_b32 v2, a8
	v_perm_b32 v37, v11, v17, s6
	v_or_b32_e32 v11, v19, v27
	v_accvgpr_read_b32 v3, a9
	v_accvgpr_read_b32 v4, a10
	;; [unrolled: 1-line block ×3, first 2 shown]
	v_perm_b32 v36, v15, v13, s6
	v_lshlrev_b32_e32 v11, 1, v11
	v_mov_b32_e32 v15, 0
	v_mov_b32_e32 v13, 0
	ds_write_b64 v11, v[36:37] offset:24576
	s_and_saveexec_b64 s[6:7], s[0:1]
	s_cbranch_execz .LBB85_77
; %bb.76:
	v_mov_b32_e32 v13, 0
	v_lshl_add_u64 v[36:37], v[8:9], 0, v[12:13]
	global_load_ushort v11, v[36:37], off offset:32
	v_lshl_add_u64 v[36:37], v[6:7], 0, v[12:13]
	s_waitcnt vmcnt(0)
	v_lshlrev_b32_e32 v11, 16, v11
	v_sub_f32_e32 v2, v11, v2
	global_store_short_d16_hi v[36:37], v2, off offset:32
	v_mul_f32_e32 v2, v33, v2
	v_lshrrev_b32_e32 v13, 16, v2
.LBB85_77:
	s_or_b64 exec, exec, s[6:7]
	s_and_saveexec_b64 s[6:7], s[2:3]
	s_cbranch_execz .LBB85_79
; %bb.78:
	v_mov_b32_e32 v15, 0
	v_lshl_add_u64 v[36:37], v[8:9], 0, v[14:15]
	global_load_ushort v2, v[36:37], off offset:32
	v_lshl_add_u64 v[36:37], v[6:7], 0, v[14:15]
	s_waitcnt vmcnt(0)
	v_lshlrev_b32_e32 v2, 16, v2
	v_sub_f32_e32 v2, v2, v3
	global_store_short_d16_hi v[36:37], v2, off offset:32
	v_mul_f32_e32 v2, v32, v2
	v_lshrrev_b32_e32 v15, 16, v2
.LBB85_79:
	s_or_b64 exec, exec, s[6:7]
	v_mov_b32_e32 v11, 0
	v_mov_b32_e32 v17, 0
	s_and_saveexec_b64 s[6:7], s[4:5]
	s_cbranch_execz .LBB85_81
; %bb.80:
	v_mov_b32_e32 v17, 0
	v_lshl_add_u64 v[2:3], v[8:9], 0, v[16:17]
	global_load_ushort v27, v[2:3], off offset:32
	v_lshl_add_u64 v[2:3], v[6:7], 0, v[16:17]
	s_waitcnt vmcnt(0)
	v_lshlrev_b32_e32 v17, 16, v27
	v_sub_f32_e32 v4, v17, v4
	global_store_short_d16_hi v[2:3], v4, off offset:32
	v_mul_f32_e32 v2, v34, v4
	v_lshrrev_b32_e32 v17, 16, v2
.LBB85_81:
	s_or_b64 exec, exec, s[6:7]
	s_and_saveexec_b64 s[6:7], vcc
	s_cbranch_execz .LBB85_83
; %bb.82:
	v_mov_b32_e32 v11, 0
	v_lshl_add_u64 v[2:3], v[8:9], 0, v[10:11]
	global_load_ushort v4, v[2:3], off offset:32
	v_lshl_add_u64 v[2:3], v[6:7], 0, v[10:11]
	s_waitcnt vmcnt(0)
	v_lshlrev_b32_e32 v4, 16, v4
	v_sub_f32_e32 v4, v4, v5
	global_store_short_d16_hi v[2:3], v4, off offset:32
	v_mul_f32_e32 v2, v23, v4
	v_lshrrev_b32_e32 v11, 16, v2
.LBB85_83:
	s_or_b64 exec, exec, s[6:7]
	s_mov_b32 s6, 0x5040100
	v_accvgpr_read_b32 v2, a4
	v_perm_b32 v37, v11, v17, s6
	v_or_b32_e32 v11, v19, v25
	v_accvgpr_read_b32 v3, a5
	v_accvgpr_read_b32 v4, a6
	;; [unrolled: 1-line block ×3, first 2 shown]
	v_perm_b32 v36, v15, v13, s6
	v_lshlrev_b32_e32 v11, 1, v11
	v_mov_b32_e32 v15, 0
	v_mov_b32_e32 v13, 0
	ds_write_b64 v11, v[36:37] offset:24576
	s_and_saveexec_b64 s[6:7], s[0:1]
	s_cbranch_execz .LBB85_85
; %bb.84:
	v_mov_b32_e32 v13, 0
	v_lshl_add_u64 v[36:37], v[8:9], 0, v[12:13]
	global_load_ushort v11, v[36:37], off offset:64
	v_lshl_add_u64 v[36:37], v[6:7], 0, v[12:13]
	s_waitcnt vmcnt(0)
	v_lshlrev_b32_e32 v11, 16, v11
	v_sub_f32_e32 v2, v11, v2
	global_store_short_d16_hi v[36:37], v2, off offset:64
	v_mul_f32_e32 v2, v33, v2
	v_lshrrev_b32_e32 v13, 16, v2
.LBB85_85:
	s_or_b64 exec, exec, s[6:7]
	s_and_saveexec_b64 s[6:7], s[2:3]
	s_cbranch_execz .LBB85_87
; %bb.86:
	v_mov_b32_e32 v15, 0
	v_lshl_add_u64 v[36:37], v[8:9], 0, v[14:15]
	global_load_ushort v2, v[36:37], off offset:64
	v_lshl_add_u64 v[36:37], v[6:7], 0, v[14:15]
	s_waitcnt vmcnt(0)
	v_lshlrev_b32_e32 v2, 16, v2
	v_sub_f32_e32 v2, v2, v3
	global_store_short_d16_hi v[36:37], v2, off offset:64
	v_mul_f32_e32 v2, v32, v2
	v_lshrrev_b32_e32 v15, 16, v2
.LBB85_87:
	s_or_b64 exec, exec, s[6:7]
	v_mov_b32_e32 v11, 0
	v_mov_b32_e32 v17, 0
	s_and_saveexec_b64 s[6:7], s[4:5]
	s_cbranch_execz .LBB85_89
; %bb.88:
	v_mov_b32_e32 v17, 0
	v_lshl_add_u64 v[2:3], v[8:9], 0, v[16:17]
	global_load_ushort v25, v[2:3], off offset:64
	v_lshl_add_u64 v[2:3], v[6:7], 0, v[16:17]
	s_waitcnt vmcnt(0)
	v_lshlrev_b32_e32 v17, 16, v25
	v_sub_f32_e32 v4, v17, v4
	global_store_short_d16_hi v[2:3], v4, off offset:64
	v_mul_f32_e32 v2, v34, v4
	v_lshrrev_b32_e32 v17, 16, v2
.LBB85_89:
	s_or_b64 exec, exec, s[6:7]
	s_and_saveexec_b64 s[6:7], vcc
	s_cbranch_execz .LBB85_91
; %bb.90:
	v_mov_b32_e32 v11, 0
	v_lshl_add_u64 v[2:3], v[8:9], 0, v[10:11]
	global_load_ushort v4, v[2:3], off offset:64
	v_lshl_add_u64 v[2:3], v[6:7], 0, v[10:11]
	s_waitcnt vmcnt(0)
	v_lshlrev_b32_e32 v4, 16, v4
	v_sub_f32_e32 v4, v4, v5
	global_store_short_d16_hi v[2:3], v4, off offset:64
	v_mul_f32_e32 v2, v23, v4
	v_lshrrev_b32_e32 v11, 16, v2
.LBB85_91:
	s_or_b64 exec, exec, s[6:7]
	s_mov_b32 s6, 0x5040100
	v_accvgpr_read_b32 v5, a3
	v_perm_b32 v37, v11, v17, s6
	v_or_b32_e32 v11, v19, v24
	v_accvgpr_read_b32 v4, a2
	v_accvgpr_read_b32 v3, a1
	v_accvgpr_read_b32 v2, a0
	v_perm_b32 v36, v15, v13, s6
	v_lshlrev_b32_e32 v11, 1, v11
	v_mov_b32_e32 v15, 0
	v_mov_b32_e32 v13, 0
	ds_write_b64 v11, v[36:37] offset:24576
	s_and_saveexec_b64 s[6:7], s[0:1]
	s_cbranch_execz .LBB85_93
; %bb.92:
	v_mov_b32_e32 v13, 0
	v_lshl_add_u64 v[24:25], v[8:9], 0, v[12:13]
	global_load_ushort v11, v[24:25], off offset:96
	v_lshl_add_u64 v[12:13], v[6:7], 0, v[12:13]
	s_waitcnt vmcnt(0)
	v_lshlrev_b32_e32 v11, 16, v11
	v_sub_f32_e32 v2, v11, v2
	global_store_short_d16_hi v[12:13], v2, off offset:96
	v_mul_f32_e32 v2, v33, v2
	v_lshrrev_b32_e32 v13, 16, v2
.LBB85_93:
	s_or_b64 exec, exec, s[6:7]
	s_and_saveexec_b64 s[0:1], s[2:3]
	s_cbranch_execz .LBB85_95
; %bb.94:
	v_mov_b32_e32 v15, 0
	v_lshl_add_u64 v[24:25], v[8:9], 0, v[14:15]
	global_load_ushort v2, v[24:25], off offset:96
	v_lshl_add_u64 v[14:15], v[6:7], 0, v[14:15]
	s_waitcnt vmcnt(0)
	v_lshlrev_b32_e32 v2, 16, v2
	v_sub_f32_e32 v2, v2, v3
	global_store_short_d16_hi v[14:15], v2, off offset:96
	v_mul_f32_e32 v2, v32, v2
	v_lshrrev_b32_e32 v15, 16, v2
.LBB85_95:
	s_or_b64 exec, exec, s[0:1]
	v_mov_b32_e32 v11, 0
	v_mov_b32_e32 v14, 0
	s_and_saveexec_b64 s[0:1], s[4:5]
	s_cbranch_execz .LBB85_97
; %bb.96:
	v_mov_b32_e32 v17, 0
	v_lshl_add_u64 v[2:3], v[8:9], 0, v[16:17]
	global_load_ushort v12, v[2:3], off offset:96
	v_lshl_add_u64 v[2:3], v[6:7], 0, v[16:17]
	s_waitcnt vmcnt(0)
	v_lshlrev_b32_e32 v12, 16, v12
	v_sub_f32_e32 v4, v12, v4
	global_store_short_d16_hi v[2:3], v4, off offset:96
	v_mul_f32_e32 v2, v34, v4
	v_lshrrev_b32_e32 v14, 16, v2
.LBB85_97:
	s_or_b64 exec, exec, s[0:1]
	v_or_b32_e32 v12, 0x6000, v28
	v_or_b32_e32 v2, 0x6000, v29
	;; [unrolled: 1-line block ×4, first 2 shown]
	s_and_saveexec_b64 s[0:1], vcc
	s_cbranch_execz .LBB85_99
; %bb.98:
	v_mov_b32_e32 v11, 0
	v_lshl_add_u64 v[8:9], v[8:9], 0, v[10:11]
	global_load_ushort v8, v[8:9], off offset:96
	v_lshl_add_u64 v[6:7], v[6:7], 0, v[10:11]
	s_waitcnt vmcnt(0)
	v_lshlrev_b32_e32 v8, 16, v8
	v_sub_f32_e32 v5, v8, v5
	global_store_short_d16_hi v[6:7], v5, off offset:96
	v_mul_f32_e32 v5, v23, v5
	v_lshrrev_b32_e32 v11, 16, v5
.LBB85_99:
	s_or_b64 exec, exec, s[0:1]
	s_mov_b32 s0, 0x5040100
	v_or_b32_e32 v5, v19, v21
	v_perm_b32 v7, v11, v14, s0
	v_perm_b32 v6, v15, v13, s0
	v_lshlrev_b32_e32 v5, 1, v5
	ds_write_b64 v5, v[6:7] offset:24576
	v_and_b32_e32 v5, 7, v0
	v_and_b32_e32 v10, 8, v0
	v_lshlrev_b32_e32 v13, 3, v5
	v_lshlrev_b32_e32 v19, 7, v5
	v_lshrrev_b32_e32 v5, 1, v0
	v_and_b32_e32 v5, 24, v5
	v_mov_b32_e32 v11, 0x400
	v_cmp_eq_u32_e32 vcc, 0, v10
	s_movk_i32 s2, 0x100
	v_lshlrev_b32_e32 v23, 3, v45
	v_cndmask_b32_e64 v21, v11, 64, vcc
	v_mov_b32_e32 v10, 0xa000
	v_mov_b32_e32 v11, 0x8000
	v_cmp_gt_u32_e64 s[0:1], s2, v0
	v_xor_b32_e32 v27, v23, v5
	v_or_b32_e32 v14, 32, v5
	v_cndmask_b32_e64 v0, v10, v11, s[0:1]
	v_or_b32_e32 v10, 0x440, v27
	v_cndmask_b32_e32 v10, v10, v27, vcc
	v_or_b32_e32 v10, v10, v26
	v_xor_b32_e32 v44, v10, v13
	v_xor_b32_e32 v14, v23, v14
	v_add3_u32 v10, v0, v44, v19
	v_or_b32_e32 v15, 0x440, v14
	s_waitcnt lgkmcnt(0)
	s_barrier
	ds_read_b64 v[10:11], v10
	v_cndmask_b32_e32 v14, v15, v14, vcc
	v_or_b32_e32 v14, v14, v26
	v_xor_b32_e32 v82, v14, v13
	v_add3_u32 v14, v0, v82, v19
	ds_read_b64 v[24:25], v14
	ds_read2_b64 v[6:9], v12 offset1:16
	ds_read2_b64 v[14:17], v12 offset0:32 offset1:48
	v_or_b32_e32 v5, 0x60, v5
	v_xor_b32_e32 v5, v23, v5
	s_waitcnt lgkmcnt(1)
	v_mfma_f32_16x16x16_bf16 a[0:3], v[10:11], v[6:7], 0
	s_mul_i32 s0, s22, s21
	ds_read2st64_b64 v[28:31], v12 offset0:4 offset1:8
	ds_read2st64_b64 v[32:35], v2 offset0:4 offset1:8
	v_mfma_f32_16x16x16_bf16 a[4:7], v[10:11], v[8:9], 0
	s_mul_hi_i32 s1, s22, s21
	ds_read2st64_b64 v[36:39], v3 offset0:4 offset1:8
	ds_read2st64_b64 v[40:43], v4 offset0:4 offset1:8
	s_waitcnt lgkmcnt(4)
	v_mfma_f32_16x16x16_bf16 a[8:11], v[10:11], v[14:15], 0
	s_add_u32 s0, s0, s49
	s_addc_u32 s1, s1, s37
	s_lshl_b64 s[0:1], s[0:1], 9
	v_mfma_f32_16x16x16_bf16 a[12:15], v[10:11], v[16:17], 0
	v_or3_b32 v10, v26, v21, v27
	v_xor_b32_e32 v21, 0x440, v5
	v_cndmask_b32_e32 v5, v21, v5, vcc
	v_xor_b32_e32 v10, v10, v13
	v_or_b32_e32 v5, v5, v26
	v_or_b32_e32 v83, v10, v19
	v_xor_b32_e32 v84, v5, v13
	v_or_b32_e32 v10, v0, v83
	v_add3_u32 v0, v0, v84, v19
	s_add_u32 s0, s40, s0
	ds_read_b64 v[10:11], v10
	ds_read_b64 v[26:27], v0
	s_addc_u32 s1, s41, s1
	v_lshlrev_b32_e32 v0, 2, v22
	s_waitcnt lgkmcnt(5)
	v_mfma_f32_16x16x16_bf16 a[0:3], v[24:25], v[28:29], a[0:3]
	ds_read_b64 v[12:13], v12 offset:6144
	s_waitcnt lgkmcnt(5)
	v_mfma_f32_16x16x16_bf16 a[4:7], v[24:25], v[32:33], a[4:7]
	s_waitcnt lgkmcnt(4)
	v_mfma_f32_16x16x16_bf16 a[8:11], v[24:25], v[36:37], a[8:11]
	;; [unrolled: 2-line block ×3, first 2 shown]
	global_load_dwordx4 v[22:25], v0, s[0:1]
	v_lshlrev_b32_e32 v0, 6, v45
	s_waitcnt vmcnt(0)
	v_mul_f32_e32 v22, 0x3fb8aa3b, v22
	s_waitcnt lgkmcnt(2)
	v_mfma_f32_16x16x16_bf16 a[0:3], v[10:11], v[30:31], a[0:3]
	v_mul_f32_e32 v23, 0x3fb8aa3b, v23
	v_exp_f32_e32 v22, v22
	v_exp_f32_e32 v23, v23
	v_mfma_f32_16x16x16_bf16 a[4:7], v[10:11], v[34:35], a[4:7]
	v_mfma_f32_16x16x16_bf16 a[8:11], v[10:11], v[38:39], a[8:11]
	;; [unrolled: 1-line block ×3, first 2 shown]
	ds_read_b64 v[10:11], v2 offset:6144
	ds_read_b64 v[78:79], v3 offset:6144
	;; [unrolled: 1-line block ×3, first 2 shown]
	v_lshlrev_b32_e32 v2, 2, v20
	v_or3_b32 v0, v0, v2, s2
	global_load_dwordx4 v[2:5], v0, s[0:1]
	v_add_u32_e32 v20, v44, v19
	ds_read_b64 v[20:21], v20 offset:40960
	v_mov_b32_e32 v0, 0x3fb8aa3b
	s_waitcnt lgkmcnt(4)
	v_mfma_f32_16x16x16_bf16 a[0:3], v[26:27], v[12:13], a[0:3]
	v_mul_f32_e32 v0, s20, v0
	v_exp_f32_e32 v0, v0
	s_waitcnt vmcnt(0)
	v_mul_f32_e32 v2, 0x3fb8aa3b, v2
	s_waitcnt lgkmcnt(0)
	v_mfma_f32_16x16x16_bf16 a[16:19], v[20:21], v[6:7], 0
	v_mul_f32_e32 v6, 0x3fb8aa3b, v24
	v_mul_f32_e32 v7, 0x3fb8aa3b, v25
	v_accvgpr_read_b32 v25, a1
	v_mfma_f32_16x16x16_bf16 a[4:7], v[26:27], v[10:11], a[4:7]
	v_exp_f32_e32 v6, v6
	v_exp_f32_e32 v7, v7
	v_accvgpr_read_b32 v24, a0
	v_mfma_f32_16x16x16_bf16 a[8:11], v[26:27], v[78:79], a[8:11]
	v_exp_f32_e32 v2, v2
	v_mfma_f32_16x16x16_bf16 a[12:15], v[26:27], v[80:81], a[12:15]
	v_add_u32_e32 v26, v82, v19
	v_add_u32_e32 v19, v84, v19
	ds_read_b64 v[26:27], v26 offset:40960
	ds_read_b64 v[44:45], v19 offset:40960
	v_mfma_f32_16x16x16_bf16 a[20:23], v[20:21], v[8:9], 0
	v_pk_mul_f32 v[8:9], v[0:1], v[22:23] op_sel_hi:[0,1]
	v_pk_fma_f32 v[74:75], v[74:75], v[8:9], v[24:25]
	ds_read_b64 v[24:25], v83 offset:40960
	v_mfma_f32_16x16x16_bf16 a[24:27], v[20:21], v[14:15], 0
	v_pk_mul_f32 v[14:15], v[0:1], v[6:7] op_sel_hi:[0,1]
	v_accvgpr_read_b32 v7, a3
	v_accvgpr_read_b32 v6, a2
	v_pk_fma_f32 v[76:77], v[76:77], v[14:15], v[6:7]
	v_accvgpr_read_b32 v7, a5
	s_waitcnt lgkmcnt(2)
	v_mfma_f32_16x16x16_bf16 a[16:19], v[26:27], v[28:29], a[16:19]
	v_accvgpr_read_b32 v6, a4
	v_pk_fma_f32 v[66:67], v[8:9], v[66:67], v[6:7]
	v_accvgpr_read_b32 v6, a8
	v_mfma_f32_16x16x16_bf16 a[28:31], v[20:21], v[16:17], 0
	v_accvgpr_read_b32 v7, a9
	v_pk_fma_f32 v[58:59], v[8:9], v[58:59], v[6:7]
	v_accvgpr_read_b32 v6, a12
	v_mfma_f32_16x16x16_bf16 a[20:23], v[26:27], v[32:33], a[20:23]
	v_accvgpr_read_b32 v21, a11
	v_accvgpr_read_b32 v20, a10
	;; [unrolled: 1-line block ×3, first 2 shown]
	v_mfma_f32_16x16x16_bf16 a[0:3], v[26:27], v[36:37], a[24:27]
	v_accvgpr_read_b32 v17, a7
	v_accvgpr_read_b32 v16, a6
	;; [unrolled: 1-line block ×3, first 2 shown]
	s_waitcnt lgkmcnt(0)
	v_mfma_f32_16x16x16_bf16 a[8:11], v[24:25], v[30:31], a[16:19]
	v_accvgpr_read_b32 v22, a14
	v_pk_fma_f32 v[50:51], v[8:9], v[50:51], v[6:7]
	v_mov_b32_e32 v6, v5
	v_mfma_f32_16x16x16_bf16 a[4:7], v[26:27], v[40:41], a[28:31]
	v_mov_b32_e32 v5, v4
	v_mov_b32_e32 v4, v3
	v_mul_f32_e32 v3, 0x3fb8aa3b, v4
	v_mfma_f32_16x16x16_bf16 a[12:15], v[24:25], v[34:35], a[20:23]
	v_mul_f32_e32 v4, 0x3fb8aa3b, v5
	v_mul_f32_e32 v5, 0x3fb8aa3b, v6
	v_exp_f32_e32 v4, v4
	v_mfma_f32_16x16x16_bf16 a[0:3], v[24:25], v[38:39], a[0:3]
	v_exp_f32_e32 v5, v5
	v_exp_f32_e32 v3, v3
	v_pk_fma_f32 v[68:69], v[14:15], v[68:69], v[16:17]
	v_mfma_f32_16x16x16_bf16 a[8:11], v[44:45], v[12:13], a[8:11]
	v_pk_mul_f32 v[4:5], v[0:1], v[4:5] op_sel_hi:[0,1]
	v_pk_mul_f32 v[2:3], v[0:1], v[2:3] op_sel_hi:[0,1]
	v_pk_fma_f32 v[60:61], v[14:15], v[60:61], v[20:21]
	v_mfma_f32_16x16x16_bf16 a[4:7], v[24:25], v[42:43], a[4:7]
	v_pk_fma_f32 v[52:53], v[14:15], v[52:53], v[22:23]
	v_mfma_f32_16x16x16_bf16 a[12:15], v[44:45], v[10:11], a[12:15]
	s_nop 0
	v_accvgpr_read_b32 v7, a11
	v_accvgpr_read_b32 v6, a10
	v_pk_fma_f32 v[72:73], v[72:73], v[4:5], v[6:7]
	v_mfma_f32_16x16x16_bf16 a[0:3], v[44:45], v[78:79], a[0:3]
	v_accvgpr_read_b32 v15, a9
	v_accvgpr_read_b32 v14, a8
	v_pk_fma_f32 v[70:71], v[70:71], v[2:3], v[14:15]
	v_accvgpr_read_b32 v6, a12
	v_accvgpr_read_b32 v7, a13
	v_pk_fma_f32 v[62:63], v[2:3], v[62:63], v[6:7]
	v_accvgpr_read_b32 v9, a15
	v_accvgpr_read_b32 v11, a3
	;; [unrolled: 1-line block ×3, first 2 shown]
	v_mfma_f32_16x16x16_bf16 a[2:5], v[44:45], v[80:81], a[4:7]
	v_accvgpr_read_b32 v7, a1
	v_accvgpr_read_b32 v6, a0
	v_pk_fma_f32 v[56:57], v[2:3], v[56:57], v[6:7]
	v_accvgpr_read_b32 v8, a14
	v_pk_fma_f32 v[64:65], v[4:5], v[64:65], v[8:9]
	v_pk_fma_f32 v[54:55], v[4:5], v[54:55], v[10:11]
	s_nop 0
	v_accvgpr_read_b32 v7, a3
	v_accvgpr_read_b32 v13, a5
	;; [unrolled: 1-line block ×4, first 2 shown]
	v_pk_fma_f32 v[46:47], v[2:3], v[46:47], v[6:7]
	v_pk_fma_f32 v[48:49], v[4:5], v[48:49], v[12:13]
	v_mov_b32_e32 v2, v18
.LBB85_100:
	s_mul_i32 s0, s33, s35
	s_mul_hi_u32 s1, s33, s34
	s_add_i32 s0, s1, s0
	s_mul_i32 s1, s48, s34
	s_add_i32 s1, s0, s1
	s_mul_i32 s0, s33, s34
	s_add_u32 s0, s0, s49
	s_addc_u32 s1, s1, s37
	s_lshl_b64 s[0:1], s[0:1], 15
	s_add_u32 s0, s8, s0
	v_lshlrev_b32_e32 v2, 7, v2
	s_addc_u32 s1, s9, s1
	v_ashrrev_i32_e32 v3, 31, v2
	v_lshl_add_u64 v[4:5], v[2:3], 1, s[0:1]
	v_lshlrev_b32_e32 v0, 1, v1
	v_mov_b32_e32 v1, 0
	s_mov_b32 s2, 0x7060302
	v_lshl_add_u64 v[4:5], v[4:5], 0, v[0:1]
	v_perm_b32 v7, v77, v76, s2
	v_perm_b32 v6, v75, v74, s2
	global_store_dwordx2 v[4:5], v[6:7], off
	v_perm_b32 v7, v73, v72, s2
	v_perm_b32 v6, v71, v70, s2
	global_store_dwordx2 v[4:5], v[6:7], off offset:128
	v_or_b32_e32 v4, 0x800, v2
	v_ashrrev_i32_e32 v5, 31, v4
	v_lshl_add_u64 v[4:5], v[4:5], 1, s[0:1]
	v_lshl_add_u64 v[4:5], v[4:5], 0, v[0:1]
	v_perm_b32 v7, v69, v68, s2
	v_perm_b32 v6, v67, v66, s2
	global_store_dwordx2 v[4:5], v[6:7], off
	v_perm_b32 v7, v65, v64, s2
	v_perm_b32 v6, v63, v62, s2
	global_store_dwordx2 v[4:5], v[6:7], off offset:128
	v_or_b32_e32 v4, 0x1000, v2
	v_or_b32_e32 v2, 0x1800, v2
	v_ashrrev_i32_e32 v5, 31, v4
	v_ashrrev_i32_e32 v3, 31, v2
	v_lshl_add_u64 v[4:5], v[4:5], 1, s[0:1]
	v_lshl_add_u64 v[2:3], v[2:3], 1, s[0:1]
	;; [unrolled: 1-line block ×3, first 2 shown]
	v_perm_b32 v7, v61, v60, s2
	v_perm_b32 v6, v59, v58, s2
	v_lshl_add_u64 v[0:1], v[2:3], 0, v[0:1]
	v_perm_b32 v3, v53, v52, s2
	v_perm_b32 v2, v51, v50, s2
	global_store_dwordx2 v[4:5], v[6:7], off
	v_perm_b32 v7, v55, v54, s2
	v_perm_b32 v6, v57, v56, s2
	global_store_dwordx2 v[0:1], v[2:3], off
	v_perm_b32 v3, v49, v48, s2
	v_perm_b32 v2, v47, v46, s2
	global_store_dwordx2 v[4:5], v[6:7], off offset:128
	global_store_dwordx2 v[0:1], v[2:3], off offset:128
	s_endpgm
	.section	.rodata,"a",@progbits
	.p2align	6, 0x0
	.amdhsa_kernel _ZN12_GLOBAL__N_139chunk_gated_delta_rule_fwd_h_hip_kernelILi64ELb0ELb1ELb1ELb1ELb0ELb1ELb0ELb1EEEvPK12hip_bfloat16S3_S3_PKfS5_PKvPS1_S8_PvPKiSB_iiiiilll
		.amdhsa_group_segment_fixed_size 65536
		.amdhsa_private_segment_fixed_size 0
		.amdhsa_kernarg_size 136
		.amdhsa_user_sgpr_count 2
		.amdhsa_user_sgpr_dispatch_ptr 0
		.amdhsa_user_sgpr_queue_ptr 0
		.amdhsa_user_sgpr_kernarg_segment_ptr 1
		.amdhsa_user_sgpr_dispatch_id 0
		.amdhsa_user_sgpr_kernarg_preload_length 0
		.amdhsa_user_sgpr_kernarg_preload_offset 0
		.amdhsa_user_sgpr_private_segment_size 0
		.amdhsa_uses_dynamic_stack 0
		.amdhsa_enable_private_segment 0
		.amdhsa_system_sgpr_workgroup_id_x 1
		.amdhsa_system_sgpr_workgroup_id_y 1
		.amdhsa_system_sgpr_workgroup_id_z 0
		.amdhsa_system_sgpr_workgroup_info 0
		.amdhsa_system_vgpr_workitem_id 0
		.amdhsa_next_free_vgpr 232
		.amdhsa_next_free_sgpr 69
		.amdhsa_accum_offset 192
		.amdhsa_reserve_vcc 1
		.amdhsa_float_round_mode_32 0
		.amdhsa_float_round_mode_16_64 0
		.amdhsa_float_denorm_mode_32 3
		.amdhsa_float_denorm_mode_16_64 3
		.amdhsa_dx10_clamp 1
		.amdhsa_ieee_mode 1
		.amdhsa_fp16_overflow 0
		.amdhsa_tg_split 0
		.amdhsa_exception_fp_ieee_invalid_op 0
		.amdhsa_exception_fp_denorm_src 0
		.amdhsa_exception_fp_ieee_div_zero 0
		.amdhsa_exception_fp_ieee_overflow 0
		.amdhsa_exception_fp_ieee_underflow 0
		.amdhsa_exception_fp_ieee_inexact 0
		.amdhsa_exception_int_div_zero 0
	.end_amdhsa_kernel
	.section	.text._ZN12_GLOBAL__N_139chunk_gated_delta_rule_fwd_h_hip_kernelILi64ELb0ELb1ELb1ELb1ELb0ELb1ELb0ELb1EEEvPK12hip_bfloat16S3_S3_PKfS5_PKvPS1_S8_PvPKiSB_iiiiilll,"axG",@progbits,_ZN12_GLOBAL__N_139chunk_gated_delta_rule_fwd_h_hip_kernelILi64ELb0ELb1ELb1ELb1ELb0ELb1ELb0ELb1EEEvPK12hip_bfloat16S3_S3_PKfS5_PKvPS1_S8_PvPKiSB_iiiiilll,comdat
.Lfunc_end85:
	.size	_ZN12_GLOBAL__N_139chunk_gated_delta_rule_fwd_h_hip_kernelILi64ELb0ELb1ELb1ELb1ELb0ELb1ELb0ELb1EEEvPK12hip_bfloat16S3_S3_PKfS5_PKvPS1_S8_PvPKiSB_iiiiilll, .Lfunc_end85-_ZN12_GLOBAL__N_139chunk_gated_delta_rule_fwd_h_hip_kernelILi64ELb0ELb1ELb1ELb1ELb0ELb1ELb0ELb1EEEvPK12hip_bfloat16S3_S3_PKfS5_PKvPS1_S8_PvPKiSB_iiiiilll
                                        ; -- End function
	.section	.AMDGPU.csdata,"",@progbits
; Kernel info:
; codeLenInByte = 13104
; NumSgprs: 75
; NumVgprs: 192
; NumAgprs: 40
; TotalNumVgprs: 232
; ScratchSize: 0
; MemoryBound: 0
; FloatMode: 240
; IeeeMode: 1
; LDSByteSize: 65536 bytes/workgroup (compile time only)
; SGPRBlocks: 9
; VGPRBlocks: 28
; NumSGPRsForWavesPerEU: 75
; NumVGPRsForWavesPerEU: 232
; AccumOffset: 192
; Occupancy: 1
; WaveLimiterHint : 1
; COMPUTE_PGM_RSRC2:SCRATCH_EN: 0
; COMPUTE_PGM_RSRC2:USER_SGPR: 2
; COMPUTE_PGM_RSRC2:TRAP_HANDLER: 0
; COMPUTE_PGM_RSRC2:TGID_X_EN: 1
; COMPUTE_PGM_RSRC2:TGID_Y_EN: 1
; COMPUTE_PGM_RSRC2:TGID_Z_EN: 0
; COMPUTE_PGM_RSRC2:TIDIG_COMP_CNT: 0
; COMPUTE_PGM_RSRC3_GFX90A:ACCUM_OFFSET: 47
; COMPUTE_PGM_RSRC3_GFX90A:TG_SPLIT: 0
	.section	.text._ZN12_GLOBAL__N_139chunk_gated_delta_rule_fwd_h_hip_kernelILi64ELb0ELb1ELb0ELb1ELb0ELb1ELb0ELb1EEEvPK12hip_bfloat16S3_S3_PKfS5_PKvPS1_S8_PvPKiSB_iiiiilll,"axG",@progbits,_ZN12_GLOBAL__N_139chunk_gated_delta_rule_fwd_h_hip_kernelILi64ELb0ELb1ELb0ELb1ELb0ELb1ELb0ELb1EEEvPK12hip_bfloat16S3_S3_PKfS5_PKvPS1_S8_PvPKiSB_iiiiilll,comdat
	.globl	_ZN12_GLOBAL__N_139chunk_gated_delta_rule_fwd_h_hip_kernelILi64ELb0ELb1ELb0ELb1ELb0ELb1ELb0ELb1EEEvPK12hip_bfloat16S3_S3_PKfS5_PKvPS1_S8_PvPKiSB_iiiiilll ; -- Begin function _ZN12_GLOBAL__N_139chunk_gated_delta_rule_fwd_h_hip_kernelILi64ELb0ELb1ELb0ELb1ELb0ELb1ELb0ELb1EEEvPK12hip_bfloat16S3_S3_PKfS5_PKvPS1_S8_PvPKiSB_iiiiilll
	.p2align	8
	.type	_ZN12_GLOBAL__N_139chunk_gated_delta_rule_fwd_h_hip_kernelILi64ELb0ELb1ELb0ELb1ELb0ELb1ELb0ELb1EEEvPK12hip_bfloat16S3_S3_PKfS5_PKvPS1_S8_PvPKiSB_iiiiilll,@function
_ZN12_GLOBAL__N_139chunk_gated_delta_rule_fwd_h_hip_kernelILi64ELb0ELb1ELb0ELb1ELb0ELb1ELb0ELb1EEEvPK12hip_bfloat16S3_S3_PKfS5_PKvPS1_S8_PvPKiSB_iiiiilll: ; @_ZN12_GLOBAL__N_139chunk_gated_delta_rule_fwd_h_hip_kernelILi64ELb0ELb1ELb0ELb1ELb0ELb1ELb0ELb1EEEvPK12hip_bfloat16S3_S3_PKfS5_PKvPS1_S8_PvPKiSB_iiiiilll
; %bb.0:
	s_load_dwordx4 s[16:19], s[0:1], 0x5c
	s_load_dwordx8 s[4:11], s[0:1], 0x0
	s_load_dwordx4 s[20:23], s[0:1], 0x70
	s_abs_i32 s27, s3
	s_ashr_i32 s26, s3, 31
	s_waitcnt lgkmcnt(0)
	s_abs_i32 s28, s17
	v_cvt_f32_u32_e32 v1, s28
	s_sub_i32 s29, 0, s28
	s_ashr_i32 s46, s17, 31
	s_xor_b32 s26, s26, s46
	v_rcp_iflag_f32_e32 v1, v1
	s_load_dwordx2 s[36:37], s[0:1], 0x20
	s_load_dwordx2 s[40:41], s[0:1], 0x30
	s_load_dwordx4 s[12:15], s[0:1], 0x40
	s_load_dwordx2 s[24:25], s[0:1], 0x50
	v_lshrrev_b32_e32 v45, 6, v0
	v_bfe_u32 v86, v0, 4, 2
	v_mul_f32_e32 v1, 0x4f7ffffe, v1
	v_cvt_u32_f32_e32 v1, v1
	v_lshlrev_b32_e32 v84, 4, v45
	v_lshlrev_b32_e32 v2, 2, v86
	v_and_b32_e32 v85, 63, v0
	v_readfirstlane_b32 s30, v1
	s_mul_i32 s29, s29, s30
	s_mul_hi_u32 s29, s30, s29
	s_add_i32 s30, s30, s29
	s_mul_hi_u32 s29, s27, s30
	s_mul_i32 s30, s29, s28
	s_sub_i32 s27, s27, s30
	s_add_i32 s30, s29, 1
	s_sub_i32 s31, s27, s28
	s_cmp_ge_u32 s27, s28
	s_cselect_b32 s29, s30, s29
	s_cselect_b32 s27, s31, s27
	s_add_i32 s30, s29, 1
	s_cmp_ge_u32 s27, s28
	s_cselect_b32 s27, s30, s29
	s_xor_b32 s27, s27, s26
	s_sub_i32 s34, s27, s26
	s_mul_i32 s26, s34, s17
	s_ashr_i32 s35, s34, 31
	s_sub_i32 s47, s3, s26
	s_lshl_b64 s[26:27], s[34:35], 2
	s_waitcnt lgkmcnt(0)
	s_add_u32 s14, s14, s26
	s_addc_u32 s15, s15, s27
	s_add_u32 s24, s24, s26
	s_addc_u32 s25, s25, s27
	s_abs_i32 s3, s18
	v_cvt_f32_u32_e32 v1, s3
	s_load_dwordx2 s[38:39], s[14:15], 0x0
	s_load_dword s52, s[24:25], 0x0
	s_mov_b32 s33, s17
	v_rcp_iflag_f32_e32 v1, v1
	s_load_dwordx2 s[14:15], s[0:1], 0x80
	s_sub_i32 s1, 0, s3
	s_waitcnt lgkmcnt(0)
	s_sub_i32 s56, s39, s38
	v_mul_f32_e32 v1, 0x4f7ffffe, v1
	v_cvt_u32_f32_e32 v1, v1
	s_ashr_i32 s0, s56, 31
	s_lshr_b32 s0, s0, 26
	s_add_i32 s0, s56, s0
	v_readfirstlane_b32 s26, v1
	s_mul_i32 s1, s1, s26
	s_mul_hi_u32 s1, s26, s1
	s_add_i32 s26, s26, s1
	s_mul_hi_u32 s1, s28, s26
	s_mul_i32 s26, s1, s3
	s_ashr_i32 s51, s0, 6
	s_ashr_i32 s0, s18, 31
	s_sub_i32 s26, s28, s26
	s_xor_b32 s0, s46, s0
	s_add_i32 s27, s1, 1
	s_sub_i32 s28, s26, s3
	s_cmp_ge_u32 s26, s3
	s_cselect_b32 s1, s27, s1
	s_cselect_b32 s26, s28, s26
	s_add_i32 s27, s1, 1
	s_cmp_ge_u32 s26, s3
	s_cselect_b32 s1, s27, s1
	s_xor_b32 s1, s1, s0
	s_sub_i32 s1, s1, s0
	s_abs_i32 s3, s1
	v_cvt_f32_u32_e32 v1, s3
	s_sub_i32 s25, 0, s3
	s_abs_i32 s24, s47
	s_xor_b32 s1, s47, s1
	v_rcp_iflag_f32_e32 v1, v1
	s_ashr_i32 s1, s1, 31
	s_mov_b32 s0, 0
	v_and_b32_e32 v87, 15, v0
	v_mul_f32_e32 v1, 0x4f7ffffe, v1
	v_cvt_u32_f32_e32 v1, v1
	s_mul_hi_i32 s53, s47, s16
	s_mul_i32 s54, s47, s16
	v_lshrrev_b32_e32 v89, 3, v85
	v_readfirstlane_b32 s26, v1
	s_mul_i32 s25, s25, s26
	s_mul_hi_u32 s25, s26, s25
	s_add_i32 s26, s26, s25
	s_mul_hi_u32 s25, s24, s26
	s_mul_i32 s26, s25, s3
	s_sub_i32 s24, s24, s26
	s_add_i32 s26, s25, 1
	s_sub_i32 s27, s24, s3
	s_cmp_ge_u32 s24, s3
	s_cselect_b32 s25, s26, s25
	s_cselect_b32 s24, s27, s24
	s_add_i32 s26, s25, 1
	s_cmp_ge_u32 s24, s3
	s_cselect_b32 s3, s26, s25
	s_xor_b32 s3, s3, s1
	s_sub_i32 s55, s3, s1
	v_or_b32_e32 v1, v2, v84
	s_lshl_b32 s2, s2, 6
	s_mov_b32 s1, s0
	v_or_b32_e32 v90, 64, v1
	s_cmp_lt_i32 s56, 64
	v_mov_b64_e32 v[54:55], s[0:1]
	v_lshlrev_b32_e32 v88, 3, v0
	s_mul_i32 s48, s34, s21
	s_mul_hi_u32 s49, s34, s20
	s_mul_i32 s50, s35, s20
	s_mul_i32 s20, s34, s20
	v_mov_b64_e32 v[56:57], s[0:1]
	v_mov_b64_e32 v[60:61], s[0:1]
	;; [unrolled: 1-line block ×15, first 2 shown]
	s_cbranch_scc1 .LBB86_17
; %bb.1:
	s_ashr_i32 s58, s47, 31
	s_ashr_i32 s1, s38, 31
	s_add_u32 s0, s54, s38
	s_addc_u32 s1, s53, s1
	s_lshl_b64 s[0:1], s[0:1], 8
	v_and_b32_e32 v92, 56, v88
	s_add_u32 s24, s6, s0
	v_lshl_or_b32 v91, v45, 3, v89
	v_lshlrev_b32_e32 v3, 1, v92
	s_addc_u32 s0, s7, s1
	v_lshl_or_b32 v93, v91, 8, v3
	s_and_b32 s25, s0, 0xffff
	s_mov_b32 s27, 0x20000
	s_movk_i32 s26, 0x4000
	s_movk_i32 s0, 0x80
	v_or_b32_e32 v94, 0x2000, v93
	buffer_load_dwordx4 v[4:7], v93, s[24:27], 0 offen
	buffer_load_dwordx4 v[8:11], v93, s[24:27], s0 offen
	;; [unrolled: 1-line block ×4, first 2 shown]
	v_lshlrev_b32_e32 v20, 3, v91
	v_and_or_b32 v22, v0, 7, v20
	v_and_b32_e32 v20, 0x78, v20
	v_lshlrev_b32_e32 v22, 4, v22
	v_xor_b32_e32 v95, v22, v20
	v_mul_lo_u32 v21, v91, s19
	v_or_b32_e32 v96, 0x1000, v95
	s_cmpk_eq_i32 s19, 0x80
	s_mov_b32 s57, s38
	v_xor_b32_e32 v20, 8, v95
	v_xor_b32_e32 v22, 8, v96
	s_cselect_b64 s[0:1], -1, 0
	s_cmpk_lg_i32 s19, 0x80
	s_waitcnt vmcnt(3)
	ds_write_b64 v95, v[4:5] offset:49152
	ds_write_b64 v20, v[6:7] offset:49152
	s_waitcnt vmcnt(2)
	ds_write_b64 v95, v[8:9] offset:57344
	ds_write_b64 v20, v[10:11] offset:57344
	;; [unrolled: 3-line block ×4, first 2 shown]
	v_lshl_add_u32 v4, v21, 1, v92
	s_cbranch_scc0 .LBB86_3
; %bb.2:
	v_lshlrev_b32_e32 v6, 1, v4
	v_add_lshl_u32 v5, v4, s19, 1
	s_lshl_b32 s26, s19, 7
	v_lshl_or_b32 v3, v91, 9, v3
	s_cbranch_execz .LBB86_4
	s_branch .LBB86_5
.LBB86_3:
                                        ; implicit-def: $vgpr5
                                        ; implicit-def: $vgpr6
                                        ; implicit-def: $sgpr26
	v_lshl_or_b32 v3, v91, 9, v3
.LBB86_4:
	v_or_b32_e32 v5, 0x100, v3
	s_movk_i32 s26, 0x4000
	v_mov_b32_e32 v6, v3
.LBB86_5:
	s_mul_i32 s21, s38, s18
	s_ashr_i32 s59, s55, 31
	s_mul_hi_i32 s3, s38, s18
	s_add_u32 s24, s21, s55
	s_addc_u32 s25, s3, s59
	s_lshl_b64 s[24:25], s[24:25], 8
	s_add_u32 s24, s4, s24
	s_addc_u32 s3, s5, s25
	s_and_b32 s25, s3, 0xffff
	s_movk_i32 s60, 0x80
	buffer_load_dwordx4 v[8:11], v6, s[24:27], 0 offen
	buffer_load_dwordx4 v[12:15], v6, s[24:27], s60 offen
	;; [unrolled: 1-line block ×4, first 2 shown]
	v_and_b32_e32 v5, 6, v0
	v_lshlrev_b32_e32 v6, 7, v1
	v_xor_b32_e32 v28, v91, v5
	v_and_b32_e32 v7, 1, v0
	v_lshl_or_b32 v31, v87, 3, v6
	v_lshlrev_b32_e32 v28, 2, v28
	v_lshlrev_b32_e32 v24, 2, v87
	v_or_b32_e32 v97, 0x4000, v31
	v_or_b32_e32 v98, 0x6000, v31
	v_xor_b32_e32 v31, 0x440, v28
	v_cmp_eq_u32_e32 vcc, 0, v7
	v_or_b32_e32 v26, 16, v87
	v_or_b32_e32 v27, 32, v87
	v_xor_b32_e32 v29, v1, v24
	v_xor_b32_e32 v30, v90, v24
	v_cndmask_b32_e32 v7, v31, v28, vcc
	s_add_i32 s3, s49, s48
	s_mov_b32 s61, 0x1000504
	v_lshl_or_b32 v32, v26, 3, v6
	v_lshlrev_b32_e32 v26, 8, v26
	v_lshl_or_b32 v33, v27, 3, v6
	v_lshlrev_b32_e32 v29, 1, v29
	v_lshlrev_b32_e32 v30, 1, v30
	v_lshl_or_b32 v5, v5, 10, v7
	s_add_i32 s21, s3, s50
	s_mul_i32 s3, s47, s23
	s_mul_hi_u32 s24, s47, s22
	s_mov_b32 s62, 0x3020706
	v_lshlrev_b32_e32 v25, 8, v87
	v_or_b32_e32 v101, 0x4000, v33
	v_or_b32_e32 v102, 0x6000, v33
	v_or_b32_e32 v105, v26, v29
	v_or_b32_e32 v106, v26, v30
	v_xor_b32_e32 v7, 8, v5
	v_xor_b32_e32 v26, 24, v5
	;; [unrolled: 1-line block ×4, first 2 shown]
	s_add_i32 s3, s24, s3
	s_mul_i32 s24, s58, s22
	v_or_b32_e32 v99, 0x4000, v32
	v_or_b32_e32 v100, 0x6000, v32
	;; [unrolled: 1-line block ×4, first 2 shown]
	v_xor_b32_e32 v25, 16, v5
	v_xor_b32_e32 v28, 32, v5
	;; [unrolled: 1-line block ×3, first 2 shown]
	v_add_u32_e32 v7, 0x80, v7
	v_add_u32_e32 v26, 0x80, v26
	;; [unrolled: 1-line block ×4, first 2 shown]
	s_add_i32 s25, s3, s24
	s_lshl_b64 s[28:29], s[20:21], 2
	s_mul_i32 s24, s47, s22
	s_add_u32 s3, s10, s28
	s_addc_u32 s21, s11, s29
	s_lshl_b64 s[24:25], s[24:25], 2
	s_add_u32 s42, s3, s24
	s_movk_i32 s3, 0xf8
	s_addc_u32 s43, s21, s25
	s_lshl_b32 s30, s19, 7
	v_mov_b32_e32 v79, 0
	s_movk_i32 s21, 0x100
	v_lshlrev_b32_e32 v78, 4, v87
	v_lshlrev_b32_e32 v27, 8, v27
	s_mov_b32 s64, 0
	s_movk_i32 s26, 0x4000
	v_or_b32_e32 v107, v27, v29
	v_or_b32_e32 v108, v27, v30
	v_add_u32_e32 v134, v84, v2
	s_movk_i32 s63, 0x3000
	v_mov_b32_e32 v144, 0x3fb8aa3b
	v_mov_b32_e32 v48, v79
	v_mov_b32_e32 v49, v79
	v_mov_b32_e32 v46, v79
	v_mov_b32_e32 v47, v79
	v_mov_b32_e32 v52, v79
	v_mov_b32_e32 v53, v79
	v_mov_b32_e32 v50, v79
	s_waitcnt vmcnt(1)
	v_perm_b32 v34, v8, v16, s61
	s_waitcnt vmcnt(0)
	v_perm_b32 v35, v12, v20, s61
	v_perm_b32 v8, v8, v16, s62
	;; [unrolled: 1-line block ×15, first 2 shown]
	ds_write2st64_b32 v5, v34, v35 offset0:128 offset1:160
	ds_write2st64_b32 v7, v8, v12 offset0:128 offset1:160
	ds_write2st64_b32 v25, v16, v20 offset0:129 offset1:161
	ds_write2st64_b32 v26, v9, v13 offset0:129 offset1:161
	ds_write2st64_b32 v28, v17, v21 offset0:130 offset1:162
	ds_write2st64_b32 v31, v10, v14 offset0:130 offset1:162
	ds_write2st64_b32 v32, v18, v22 offset0:131 offset1:163
	ds_write2st64_b32 v33, v11, v15 offset0:131 offset1:163
	v_or_b32_e32 v5, 48, v87
	v_lshl_or_b32 v7, v5, 3, v6
	v_lshlrev_b32_e32 v5, 8, v5
	v_or_b32_e32 v111, v5, v29
	v_or_b32_e32 v112, v5, v30
	;; [unrolled: 1-line block ×3, first 2 shown]
	v_lshlrev_b32_e32 v5, 3, v5
	v_lshrrev_b32_e32 v9, 5, v85
	v_and_or_b32 v9, v5, s3, v9
	v_lshlrev_b32_e32 v9, 4, v9
	v_lshlrev_b32_e32 v11, 11, v45
	v_and_b32_e32 v5, 0x78, v5
	v_or_b32_e32 v14, 32, v9
	v_and_b32_e32 v8, 0x1000, v11
	v_xor_b32_e32 v10, v9, v5
	v_lshrrev_b32_e32 v12, 1, v85
	v_xor_b32_e32 v14, v14, v5
	v_or_b32_e32 v10, v10, v8
	v_and_b32_e32 v12, 8, v12
	v_or_b32_e32 v14, v14, v8
	v_xor_b32_e32 v113, v10, v12
	v_lshlrev_b32_e32 v10, 8, v86
	v_xor_b32_e32 v115, v14, v12
	v_or_b32_e32 v14, 64, v9
	v_or_b32_e32 v9, 0x60, v9
	;; [unrolled: 1-line block ×3, first 2 shown]
	v_xor_b32_e32 v14, v14, v5
	v_xor_b32_e32 v5, v9, v5
	s_ashr_i32 s3, s2, 31
	v_lshlrev_b32_e32 v13, 1, v13
	v_or_b32_e32 v14, v14, v8
	v_or_b32_e32 v5, v5, v8
	s_lshl_b64 s[24:25], s[2:3], 8
	v_or_b32_e32 v114, 0x4000, v13
	v_or_b32_e32 v116, 0x4080, v13
	;; [unrolled: 1-line block ×4, first 2 shown]
	v_xor_b32_e32 v119, v14, v12
	v_xor_b32_e32 v120, v5, v12
	v_or_b32_e32 v121, 0x6000, v13
	v_or_b32_e32 v122, 0x6080, v13
	;; [unrolled: 1-line block ×4, first 2 shown]
	v_lshlrev_b32_e32 v12, 1, v4
	v_add_lshl_u32 v13, v4, s19, 1
	s_add_u32 s24, s40, s24
	v_lshlrev_b32_e32 v4, 1, v87
	v_or_b32_e32 v14, 0x100, v3
	v_lshrrev_b32_e32 v15, 4, v0
	s_addc_u32 s25, s41, s25
	v_or_b32_e32 v5, 1, v4
	v_lshlrev_b32_e32 v18, 2, v0
	v_xor_b32_e32 v16, v15, v4
	v_xor_b32_e32 v17, v5, v15
	v_lshl_add_u64 v[4:5], s[24:25], 0, v[78:79]
	v_lshlrev_b32_e32 v78, 8, v15
	v_lshrrev_b32_e32 v19, 1, v0
	v_and_or_b32 v10, v18, 60, v10
	v_cndmask_b32_e64 v131, v12, v3, s[0:1]
	v_cndmask_b32_e64 v132, v13, v14, s[0:1]
	v_mov_b32_e32 v3, 0xa000
	v_mov_b32_e32 v12, 0x8000
	v_cmp_gt_u32_e64 s[0:1], s21, v0
	v_lshl_or_b32 v125, v16, 3, v78
	v_and_b32_e32 v16, 8, v0
	v_and_b32_e32 v19, 24, v19
	v_lshlrev_b32_e32 v10, 1, v10
	v_cndmask_b32_e64 v3, v3, v12, s[0:1]
	v_lshlrev_b32_e32 v12, 3, v45
	v_or_b32_e32 v127, 0x6000, v10
	v_or_b32_e32 v128, 0x6080, v10
	;; [unrolled: 1-line block ×4, first 2 shown]
	v_mov_b32_e32 v10, 0x400
	v_cmp_eq_u32_e32 vcc, 0, v16
	v_xor_b32_e32 v13, v12, v19
	v_and_b32_e32 v15, 7, v0
	v_cndmask_b32_e64 v16, v10, 64, vcc
	v_or_b32_e32 v14, 0x440, v13
	v_lshl_or_b32 v126, v17, 3, v78
	v_lshlrev_b32_e32 v17, 3, v15
	v_or_b32_e32 v18, 32, v19
	v_or_b32_e32 v20, 0x60, v19
	v_cndmask_b32_e32 v14, v14, v13, vcc
	v_or3_b32 v13, v11, v16, v13
	v_lshlrev_b32_e32 v15, 7, v15
	v_xor_b32_e32 v18, v12, v18
	v_xor_b32_e32 v13, v13, v17
	;; [unrolled: 1-line block ×3, first 2 shown]
	v_or_b32_e32 v21, 0x440, v18
	v_or_b32_e32 v133, v13, v15
	v_xor_b32_e32 v13, 0x440, v12
	v_cndmask_b32_e32 v18, v21, v18, vcc
	v_cndmask_b32_e32 v12, v13, v12, vcc
	v_or_b32_e32 v109, 0x4000, v7
	v_or_b32_e32 v110, 0x6000, v7
	v_lshrrev_b32_e32 v7, 2, v85
	v_or_b32_e32 v14, v14, v11
	v_or_b32_e32 v18, v18, v11
	;; [unrolled: 1-line block ×3, first 2 shown]
	v_and_b32_e32 v7, 12, v7
	v_or_b32_e32 v8, s2, v87
	v_xor_b32_e32 v14, v14, v17
	v_xor_b32_e32 v18, v18, v17
	;; [unrolled: 1-line block ×3, first 2 shown]
	v_ashrrev_i32_e32 v9, 31, v8
	v_or_b32_e32 v10, v84, v7
	v_add_u32_e32 v19, v3, v14
	v_add_u32_e32 v21, v3, v18
	;; [unrolled: 1-line block ×3, first 2 shown]
	v_or3_b32 v12, v84, v7, 64
	v_add_u32_e32 v7, 0xa000, v14
	v_add_u32_e32 v14, 0xa000, v18
	;; [unrolled: 1-line block ×3, first 2 shown]
	v_lshl_add_u64 v[80:81], v[8:9], 1, s[8:9]
	v_lshl_add_u64 v[82:83], v[4:5], 0, v[78:79]
	s_mov_b32 s3, 0x7060302
	v_lshlrev_b32_e32 v78, 1, v6
	s_movk_i32 s21, 0x2000
	v_lshlrev_b32_e32 v135, 2, v10
	v_add_u32_e32 v136, v19, v15
	v_add_u32_e32 v137, v21, v15
	;; [unrolled: 1-line block ×4, first 2 shown]
	v_lshlrev_b32_e32 v140, 2, v12
	v_add_u32_e32 v141, v7, v15
	v_add_u32_e32 v142, v14, v15
	;; [unrolled: 1-line block ×3, first 2 shown]
	v_mov_b32_e32 v51, v79
	v_mov_b32_e32 v74, v79
	;; [unrolled: 1-line block ×25, first 2 shown]
	s_waitcnt lgkmcnt(0)
	s_barrier
	s_branch .LBB86_7
.LBB86_6:                               ;   in Loop: Header=BB86_7 Depth=1
	v_mul_f32_e32 v26, s24, v144
	v_exp_f32_e32 v36, v26
	s_waitcnt vmcnt(4)
	v_mul_f32_e32 v26, 0x3fb8aa3b, v38
	v_exp_f32_e32 v38, v26
	v_mul_f32_e32 v26, 0x3fb8aa3b, v39
	v_exp_f32_e32 v39, v26
	;; [unrolled: 2-line block ×4, first 2 shown]
	v_accvgpr_read_b32 v5, a3
	v_accvgpr_read_b32 v4, a2
	;; [unrolled: 1-line block ×4, first 2 shown]
	v_pk_mul_f32 v[38:39], v[36:37], v[38:39] op_sel_hi:[0,1]
	v_pk_mul_f32 v[40:41], v[36:37], v[40:41] op_sel_hi:[0,1]
	v_pk_fma_f32 v[74:75], v[74:75], v[38:39], v[2:3]
	v_pk_fma_f32 v[76:77], v[76:77], v[40:41], v[4:5]
	v_mul_f32_e32 v2, 0x3fb8aa3b, v34
	v_mul_f32_e32 v3, 0x3fb8aa3b, v42
	;; [unrolled: 1-line block ×4, first 2 shown]
	v_exp_f32_e32 v2, v2
	v_exp_f32_e32 v3, v3
	;; [unrolled: 1-line block ×4, first 2 shown]
	v_accvgpr_read_b32 v9, a7
	v_accvgpr_read_b32 v13, a11
	;; [unrolled: 1-line block ×28, first 2 shown]
	v_pk_mul_f32 v[2:3], v[36:37], v[2:3] op_sel_hi:[0,1]
	v_pk_mul_f32 v[4:5], v[36:37], v[4:5] op_sel_hi:[0,1]
	s_add_i32 s57, s57, 64
	v_pk_fma_f32 v[66:67], v[38:39], v[66:67], v[6:7]
	v_pk_fma_f32 v[68:69], v[40:41], v[68:69], v[8:9]
	v_pk_fma_f32 v[58:59], v[38:39], v[58:59], v[10:11]
	v_pk_fma_f32 v[60:61], v[40:41], v[60:61], v[12:13]
	v_pk_fma_f32 v[50:51], v[38:39], v[50:51], v[14:15]
	v_pk_fma_f32 v[52:53], v[40:41], v[52:53], v[16:17]
	v_pk_fma_f32 v[70:71], v[70:71], v[2:3], v[18:19]
	v_pk_fma_f32 v[72:73], v[72:73], v[4:5], v[20:21]
	v_pk_fma_f32 v[62:63], v[2:3], v[62:63], v[22:23]
	v_pk_fma_f32 v[64:65], v[4:5], v[64:65], v[24:25]
	v_pk_fma_f32 v[56:57], v[2:3], v[56:57], v[26:27]
	v_pk_fma_f32 v[54:55], v[4:5], v[54:55], v[28:29]
	v_pk_fma_f32 v[46:47], v[2:3], v[46:47], v[30:31]
	v_pk_fma_f32 v[48:49], v[4:5], v[48:49], v[32:33]
	s_cmp_eq_u32 s51, s65
	s_mov_b32 s64, s65
	s_cbranch_scc1 .LBB86_17
.LBB86_7:                               ; =>This Inner Loop Header: Depth=1
	s_add_i32 s65, s64, 1
	s_cmp_lt_i32 s65, s51
	s_mov_b64 s[28:29], 0
	s_cselect_b64 s[44:45], -1, 0
	s_cmp_ge_i32 s65, s51
	s_mov_b64 s[24:25], 0
	s_cbranch_scc1 .LBB86_9
; %bb.8:                                ;   in Loop: Header=BB86_7 Depth=1
	s_add_i32 s0, s57, 64
	s_ashr_i32 s1, s0, 31
	s_add_u32 s0, s54, s0
	s_addc_u32 s1, s53, s1
	s_lshl_b64 s[0:1], s[0:1], 8
	s_add_u32 s24, s6, s0
	s_addc_u32 s25, s7, s1
.LBB86_9:                               ;   in Loop: Header=BB86_7 Depth=1
	v_cndmask_b32_e64 v2, 0, 1, s[44:45]
	v_cmp_ne_u32_e64 s[0:1], 1, v2
	s_andn2_b64 vcc, exec, s[44:45]
	s_cbranch_vccnz .LBB86_11
; %bb.10:                               ;   in Loop: Header=BB86_7 Depth=1
	s_add_i32 s28, s57, 64
	s_mul_hi_i32 s29, s28, s18
	s_mul_i32 s28, s28, s18
	s_add_u32 s28, s28, s55
	s_addc_u32 s29, s29, s59
	s_lshl_b64 s[28:29], s[28:29], 8
	s_add_u32 s28, s4, s28
	s_addc_u32 s29, s5, s29
.LBB86_11:                              ;   in Loop: Header=BB86_7 Depth=1
	v_perm_b32 v3, v77, v76, s3
	v_perm_b32 v2, v75, v74, s3
	v_perm_b32 v5, v73, v72, s3
	v_perm_b32 v4, v71, v70, s3
	ds_write_b64 v97, v[2:3]
	ds_write_b64 v98, v[4:5]
	ds_write_b64 v103, v[2:3]
	ds_write_b64 v104, v[4:5]
	v_perm_b32 v3, v69, v68, s3
	v_perm_b32 v2, v67, v66, s3
	v_perm_b32 v5, v65, v64, s3
	v_perm_b32 v4, v63, v62, s3
	ds_write_b64 v99, v[2:3]
	ds_write_b64 v100, v[4:5]
	ds_write_b64 v105, v[2:3]
	ds_write_b64 v106, v[4:5]
	;; [unrolled: 8-line block ×4, first 2 shown]
	s_waitcnt lgkmcnt(0)
	s_barrier
	ds_read_b64 v[6:7], v113 offset:49152
	ds_read2_b64 v[2:5], v114 offset1:16
	ds_read_b64 v[18:19], v116 offset:6144
	ds_read_b64 v[20:21], v114 offset:6144
	s_waitcnt lgkmcnt(2)
	v_mfma_f32_16x16x16_bf16 a[0:3], v[6:7], v[2:3], 0
	ds_read_b64 v[22:23], v115 offset:49152
	ds_read2st64_b64 v[10:13], v117 offset0:4 offset1:8
	ds_read2st64_b64 v[14:17], v118 offset0:4 offset1:8
	v_mfma_f32_16x16x16_bf16 a[4:7], v[6:7], v[4:5], 0
	ds_read2_b64 v[2:5], v114 offset0:32 offset1:48
	s_add_i32 s66, s57, 63
	s_ashr_i32 s31, s66, 31
	s_waitcnt lgkmcnt(0)
	v_mfma_f32_16x16x16_bf16 a[8:11], v[6:7], v[2:3], 0
	s_mul_i32 s44, s66, s15
	s_mul_hi_u32 s45, s66, s14
	s_add_i32 s44, s45, s44
	v_mfma_f32_16x16x16_bf16 a[12:15], v[6:7], v[4:5], 0
	ds_read2st64_b64 v[2:5], v114 offset0:4 offset1:8
	ds_read2st64_b64 v[6:9], v116 offset0:4 offset1:8
	s_mul_i32 s31, s31, s14
	s_waitcnt lgkmcnt(1)
	v_mfma_f32_16x16x16_bf16 a[0:3], v[22:23], v[2:3], a[0:3]
	s_add_i32 s45, s44, s31
	s_mul_i32 s44, s66, s14
	s_lshl_b64 s[44:45], s[44:45], 2
	s_waitcnt lgkmcnt(0)
	v_mfma_f32_16x16x16_bf16 a[4:7], v[22:23], v[6:7], a[4:7]
	s_add_u32 s44, s42, s44
	s_addc_u32 s45, s43, s45
	s_and_b64 vcc, exec, s[0:1]
	v_mfma_f32_16x16x16_bf16 a[8:11], v[22:23], v[10:11], a[8:11]
	ds_read_b64 v[2:3], v119 offset:49152
	ds_read_b64 v[6:7], v120 offset:49152
	ds_read_b64 v[10:11], v118 offset:6144
	v_mov_b32_e32 v147, 0
	v_mov_b32_e32 v146, 0
	v_mfma_f32_16x16x16_bf16 a[12:15], v[22:23], v[14:15], a[12:15]
	v_mov_b32_e32 v145, 0
	v_mov_b32_e32 v14, 0
	;; [unrolled: 1-line block ×3, first 2 shown]
	s_waitcnt lgkmcnt(2)
	v_mfma_f32_16x16x16_bf16 a[0:3], v[2:3], v[4:5], a[0:3]
	v_mov_b32_e32 v4, 0
	v_mov_b32_e32 v5, 0
	v_mfma_f32_16x16x16_bf16 a[16:19], v[2:3], v[8:9], a[4:7]
	v_mov_b32_e32 v8, 0
	v_mov_b32_e32 v9, 0
	;; [unrolled: 3-line block ×3, first 2 shown]
	v_mfma_f32_16x16x16_bf16 a[24:27], v[2:3], v[16:17], a[12:15]
	ds_read_b64 v[2:3], v117 offset:6144
	v_mov_b32_e32 v16, 0
	v_mov_b32_e32 v17, 0
	s_waitcnt lgkmcnt(2)
	v_mfma_f32_16x16x16_bf16 a[4:7], v[6:7], v[20:21], a[0:3]
	v_mfma_f32_16x16x16_bf16 a[8:11], v[6:7], v[18:19], a[16:19]
	s_waitcnt lgkmcnt(0)
	v_mfma_f32_16x16x16_bf16 a[12:15], v[6:7], v[2:3], a[20:23]
	v_mov_b32_e32 v2, 0
	v_mov_b32_e32 v3, 0
	v_mfma_f32_16x16x16_bf16 a[0:3], v[6:7], v[10:11], a[24:27]
	v_mov_b32_e32 v6, 0
	v_mov_b32_e32 v7, 0
	;; [unrolled: 1-line block ×4, first 2 shown]
	s_cbranch_vccnz .LBB86_13
; %bb.12:                               ;   in Loop: Header=BB86_7 Depth=1
	s_and_b32 s25, s25, 0xffff
	buffer_load_dwordx4 v[14:17], v93, s[24:27], 0 offen
	buffer_load_dwordx4 v[10:13], v93, s[24:27], s60 offen
	;; [unrolled: 1-line block ×4, first 2 shown]
	v_mov_b32_e32 v146, v95
	v_mov_b32_e32 v145, v96
.LBB86_13:                              ;   in Loop: Header=BB86_7 Depth=1
	ds_read_b64 v[34:35], v113 offset:57344
	ds_read2_b64 v[18:21], v121 offset1:16
	ds_read_b64 v[36:37], v115 offset:57344
	ds_read_b64 v[38:39], v119 offset:57344
	;; [unrolled: 1-line block ×3, first 2 shown]
	v_add_u32_e32 v42, s57, v134
	s_waitcnt lgkmcnt(3)
	v_mfma_f32_16x16x16_bf16 a[4:7], v[34:35], v[18:19], a[4:7]
	v_mfma_f32_16x16x16_bf16 a[8:11], v[34:35], v[20:21], a[8:11]
	ds_read2_b64 v[18:21], v121 offset0:32 offset1:48
	ds_read2st64_b64 v[22:25], v121 offset0:4 offset1:8
	ds_read2st64_b64 v[26:29], v122 offset0:4 offset1:8
	;; [unrolled: 1-line block ×3, first 2 shown]
	s_waitcnt lgkmcnt(3)
	v_mfma_f32_16x16x16_bf16 a[12:15], v[34:35], v[18:19], a[12:15]
	v_ashrrev_i32_e32 v18, 31, v42
	v_mfma_f32_16x16x16_bf16 a[0:3], v[34:35], v[20:21], a[0:3]
	v_mul_lo_u32 v20, v18, s14
	v_mul_lo_u32 v21, v42, s15
	v_mad_u64_u32 v[18:19], s[24:25], v42, s14, 0
	v_add3_u32 v19, v19, v21, v20
	v_add_u32_e32 v20, 1, v42
	v_ashrrev_i32_e32 v21, 31, v20
	s_waitcnt lgkmcnt(2)
	v_mfma_f32_16x16x16_bf16 a[4:7], v[36:37], v[22:23], a[4:7]
	v_mul_lo_u32 v22, v21, s14
	v_mul_lo_u32 v23, v20, s15
	v_mad_u64_u32 v[20:21], s[24:25], v20, s14, 0
	v_add3_u32 v21, v21, v23, v22
	v_add_u32_e32 v22, 2, v42
	v_ashrrev_i32_e32 v23, 31, v22
	s_waitcnt lgkmcnt(1)
	v_mfma_f32_16x16x16_bf16 a[8:11], v[36:37], v[26:27], a[8:11]
	v_mul_lo_u32 v26, v23, s14
	v_mul_lo_u32 v27, v22, s15
	v_mad_u64_u32 v[22:23], s[24:25], v22, s14, 0
	v_add3_u32 v23, v23, v27, v26
	v_add_u32_e32 v26, 3, v42
	v_ashrrev_i32_e32 v27, 31, v26
	v_mul_lo_u32 v34, v27, s14
	v_mul_lo_u32 v35, v26, s15
	v_mad_u64_u32 v[26:27], s[24:25], v26, s14, 0
	s_ashr_i32 s25, s57, 31
	s_add_u32 s24, s54, s57
	v_lshl_add_u64 v[18:19], v[18:19], 2, s[42:43]
	v_add3_u32 v27, v27, v35, v34
	s_addc_u32 s25, s53, s25
	v_lshl_add_u64 v[20:21], v[20:21], 2, s[42:43]
	global_load_dword v42, v[18:19], off
	v_lshl_add_u64 v[18:19], v[26:27], 2, s[42:43]
	s_lshl_b64 s[24:25], s[24:25], 8
	v_lshl_add_u64 v[22:23], v[22:23], 2, s[42:43]
	global_load_dword v34, v[20:21], off
	global_load_dword v35, v[22:23], off
	;; [unrolled: 1-line block ×3, first 2 shown]
	v_lshl_add_u64 v[18:19], v[80:81], 0, s[24:25]
	v_lshl_add_u64 v[22:23], v[18:19], 0, v[78:79]
	global_load_ushort v44, v[22:23], off offset:256
	global_load_ushort v148, v[22:23], off
	ds_read2st64_b64 v[18:21], v124 offset0:4 offset1:8
	global_load_ushort v149, v[22:23], off offset:768
	global_load_ushort v150, v[22:23], off offset:512
	s_waitcnt lgkmcnt(1)
	v_mfma_f32_16x16x16_bf16 a[12:15], v[36:37], v[30:31], a[12:15]
	s_and_b64 vcc, exec, s[0:1]
	s_waitcnt vmcnt(3)
	v_lshlrev_b32_e32 v31, 16, v44
	s_waitcnt lgkmcnt(0)
	v_mfma_f32_16x16x16_bf16 a[0:3], v[36:37], v[18:19], a[0:3]
	global_load_ushort v36, v[22:23], off offset:288
	global_load_ushort v37, v[22:23], off offset:32
	global_load_ushort v151, v[22:23], off offset:800
	global_load_ushort v152, v[22:23], off offset:544
	global_load_ushort v153, v[22:23], off offset:320
	global_load_ushort v154, v[22:23], off offset:64
	global_load_ushort v155, v[22:23], off offset:832
	global_load_ushort v156, v[22:23], off offset:576
	v_mfma_f32_16x16x16_bf16 a[4:7], v[38:39], v[24:25], a[4:7]
	ds_read_b64 v[18:19], v121 offset:6144
	s_waitcnt vmcnt(10)
	v_lshlrev_b32_e32 v30, 16, v148
	v_mov_b32_e32 v148, 0
	v_mfma_f32_16x16x16_bf16 a[8:11], v[38:39], v[28:29], a[8:11]
	v_mfma_f32_16x16x16_bf16 a[12:15], v[38:39], v[32:33], a[12:15]
	;; [unrolled: 1-line block ×3, first 2 shown]
	global_load_ushort v38, v[22:23], off offset:352
	global_load_ushort v39, v[22:23], off offset:96
	ds_read_b64 v[20:21], v122 offset:6144
	ds_read_b64 v[24:25], v123 offset:6144
	;; [unrolled: 1-line block ×3, first 2 shown]
	global_load_ushort v157, v[22:23], off offset:864
	global_load_ushort v158, v[22:23], off offset:608
	s_load_dword s24, s[44:45], 0x0
	s_waitcnt lgkmcnt(0)
	v_mfma_f32_16x16x16_bf16 a[4:7], v[40:41], v[18:19], a[4:7]
	v_sub_f32_e32 v28, s24, v35
	v_mfma_f32_16x16x16_bf16 a[0:3], v[40:41], v[26:27], a[0:3]
	v_sub_f32_e32 v26, s24, v42
	v_sub_f32_e32 v27, s24, v34
	;; [unrolled: 1-line block ×3, first 2 shown]
	v_mul_f32_e32 v26, 0x3fb8aa3b, v26
	v_mul_f32_e32 v27, 0x3fb8aa3b, v27
	;; [unrolled: 1-line block ×4, first 2 shown]
	v_mfma_f32_16x16x16_bf16 a[8:11], v[40:41], v[20:21], a[8:11]
	v_exp_f32_e32 v26, v26
	v_exp_f32_e32 v27, v27
	v_exp_f32_e32 v28, v28
	v_exp_f32_e32 v29, v29
	v_accvgpr_read_b32 v33, a5
	v_accvgpr_read_b32 v32, a4
	;; [unrolled: 1-line block ×4, first 2 shown]
	v_pk_add_f32 v[30:31], v[30:31], v[32:33] neg_lo:[0,1] neg_hi:[0,1]
	s_waitcnt vmcnt(13)
	v_lshlrev_b32_e32 v33, 16, v149
	s_waitcnt vmcnt(12)
	v_lshlrev_b32_e32 v32, 16, v150
	v_pk_add_f32 v[18:19], v[32:33], v[18:19] neg_lo:[0,1] neg_hi:[0,1]
	v_pk_mul_f32 v[30:31], v[26:27], v[30:31]
	v_pk_mul_f32 v[18:19], v[28:29], v[18:19]
	v_accvgpr_read_b32 v33, a9
	v_perm_b32 v19, v19, v18, s3
	v_perm_b32 v18, v31, v30, s3
	v_accvgpr_read_b32 v32, a8
	v_accvgpr_read_b32 v21, a11
	v_mfma_f32_16x16x16_bf16 a[12:15], v[40:41], v[24:25], a[12:15]
	v_accvgpr_read_b32 v20, a10
	v_accvgpr_read_b32 v25, a3
	;; [unrolled: 1-line block ×3, first 2 shown]
	s_waitcnt vmcnt(11)
	v_lshlrev_b32_e32 v31, 16, v36
	s_waitcnt vmcnt(10)
	v_lshlrev_b32_e32 v30, 16, v37
	v_pk_add_f32 v[30:31], v[30:31], v[32:33] neg_lo:[0,1] neg_hi:[0,1]
	s_waitcnt vmcnt(9)
	v_lshlrev_b32_e32 v33, 16, v151
	s_waitcnt vmcnt(8)
	v_lshlrev_b32_e32 v32, 16, v152
	v_pk_add_f32 v[20:21], v[32:33], v[20:21] neg_lo:[0,1] neg_hi:[0,1]
	v_pk_mul_f32 v[30:31], v[26:27], v[30:31]
	v_pk_mul_f32 v[20:21], v[28:29], v[20:21]
	v_accvgpr_read_b32 v23, a15
	v_perm_b32 v21, v21, v20, s3
	v_perm_b32 v20, v31, v30, s3
	ds_write2_b64 v98, v[18:19], v[20:21] offset1:16
	v_accvgpr_read_b32 v21, a13
	s_waitcnt vmcnt(7)
	v_lshlrev_b32_e32 v19, 16, v153
	s_waitcnt vmcnt(6)
	v_lshlrev_b32_e32 v18, 16, v154
	v_accvgpr_read_b32 v20, a12
	v_accvgpr_read_b32 v22, a14
	v_pk_add_f32 v[18:19], v[18:19], v[20:21] neg_lo:[0,1] neg_hi:[0,1]
	s_waitcnt vmcnt(5)
	v_lshlrev_b32_e32 v21, 16, v155
	s_waitcnt vmcnt(4)
	v_lshlrev_b32_e32 v20, 16, v156
	v_pk_add_f32 v[20:21], v[20:21], v[22:23] neg_lo:[0,1] neg_hi:[0,1]
	v_pk_mul_f32 v[18:19], v[26:27], v[18:19]
	v_pk_mul_f32 v[20:21], v[28:29], v[20:21]
	v_accvgpr_read_b32 v23, a1
	v_perm_b32 v21, v21, v20, s3
	v_perm_b32 v20, v19, v18, s3
	s_waitcnt vmcnt(3)
	v_lshlrev_b32_e32 v19, 16, v38
	s_waitcnt vmcnt(2)
	v_lshlrev_b32_e32 v18, 16, v39
	v_accvgpr_read_b32 v22, a0
	v_pk_add_f32 v[18:19], v[18:19], v[22:23] neg_lo:[0,1] neg_hi:[0,1]
	s_waitcnt vmcnt(1)
	v_lshlrev_b32_e32 v23, 16, v157
	s_waitcnt vmcnt(0)
	v_lshlrev_b32_e32 v22, 16, v158
	v_pk_add_f32 v[22:23], v[22:23], v[24:25] neg_lo:[0,1] neg_hi:[0,1]
	v_pk_mul_f32 v[18:19], v[26:27], v[18:19]
	v_pk_mul_f32 v[22:23], v[28:29], v[22:23]
	v_mov_b32_e32 v24, 0
	v_perm_b32 v23, v23, v22, s3
	v_perm_b32 v22, v19, v18, s3
	ds_write2_b64 v98, v[20:21], v[22:23] offset0:32 offset1:48
	v_mov_b32_e32 v18, 0
	v_mov_b32_e32 v19, 0
	;; [unrolled: 1-line block ×15, first 2 shown]
	s_cbranch_vccnz .LBB86_15
; %bb.14:                               ;   in Loop: Header=BB86_7 Depth=1
	s_and_b32 s29, s29, 0xffff
	s_mov_b32 s31, s27
	buffer_load_dwordx4 v[30:33], v131, s[28:31], 0 offen
	buffer_load_dwordx4 v[22:25], v131, s[28:31], s60 offen
	;; [unrolled: 1-line block ×4, first 2 shown]
	v_mov_b32_e32 v147, v92
	v_mov_b32_e32 v148, v91
.LBB86_15:                              ;   in Loop: Header=BB86_7 Depth=1
	s_waitcnt lgkmcnt(0)
	s_barrier
	ds_read_b64 v[42:43], v136
	ds_read2_b64 v[34:37], v127 offset1:16
	ds_read_b64 v[166:167], v137
	ds_read_b64 v[168:169], v138
	;; [unrolled: 1-line block ×3, first 2 shown]
	ds_read2_b64 v[38:41], v127 offset0:32 offset1:48
	ds_read2st64_b64 v[150:153], v127 offset0:4 offset1:8
	ds_read2st64_b64 v[154:157], v128 offset0:4 offset1:8
	;; [unrolled: 1-line block ×4, first 2 shown]
	s_waitcnt lgkmcnt(8)
	v_mfma_f32_16x16x16_bf16 a[0:3], v[42:43], v[34:35], 0
	s_add_i32 s25, s52, s64
	s_mul_hi_i32 s29, s25, s33
	s_mul_i32 s25, s25, s33
	v_mfma_f32_16x16x16_bf16 a[4:7], v[42:43], v[36:37], 0
	s_add_u32 s28, s25, s47
	s_addc_u32 s29, s29, s58
	s_lshl_b64 s[28:29], s[28:29], 15
	s_waitcnt lgkmcnt(4)
	v_mfma_f32_16x16x16_bf16 a[8:11], v[42:43], v[38:39], 0
	s_mul_i32 s31, s66, s33
	s_mul_hi_i32 s25, s66, s33
	s_add_u32 s44, s31, s47
	v_mfma_f32_16x16x16_bf16 a[12:15], v[42:43], v[40:41], 0
	ds_read_b64 v[42:43], v127 offset:6144
	ds_read_b64 v[178:179], v128 offset:6144
	;; [unrolled: 1-line block ×4, first 2 shown]
	s_addc_u32 s45, s25, s58
	s_waitcnt lgkmcnt(7)
	v_mfma_f32_16x16x16_bf16 a[0:3], v[166:167], v[150:151], a[0:3]
	s_lshl_b64 s[44:45], s[44:45], 9
	s_add_u32 s44, s36, s44
	s_addc_u32 s45, s37, s45
	s_waitcnt lgkmcnt(6)
	v_mfma_f32_16x16x16_bf16 a[4:7], v[166:167], v[154:155], a[4:7]
	v_lshl_add_u64 v[188:189], v[82:83], 0, s[28:29]
	s_waitcnt lgkmcnt(5)
	v_mfma_f32_16x16x16_bf16 a[8:11], v[166:167], v[158:159], a[8:11]
	s_waitcnt lgkmcnt(4)
	v_mfma_f32_16x16x16_bf16 a[12:15], v[166:167], v[162:163], a[12:15]
	ds_read_b64 v[166:167], v141
	ds_read_b64 v[176:177], v142
	;; [unrolled: 1-line block ×3, first 2 shown]
	s_waitcnt lgkmcnt(2)
	v_mfma_f32_16x16x16_bf16 a[16:19], v[166:167], v[34:35], 0
	v_mfma_f32_16x16x16_bf16 a[20:23], v[166:167], v[36:37], 0
	global_load_dwordx4 v[34:37], v140, s[44:45]
	v_mfma_f32_16x16x16_bf16 a[24:27], v[166:167], v[38:39], 0
	v_mfma_f32_16x16x16_bf16 a[28:31], v[166:167], v[40:41], 0
	global_load_dwordx4 v[38:41], v135, s[44:45]
	v_mfma_f32_16x16x16_bf16 a[0:3], v[168:169], v[152:153], a[0:3]
	v_mfma_f32_16x16x16_bf16 a[4:7], v[168:169], v[156:157], a[4:7]
	;; [unrolled: 1-line block ×8, first 2 shown]
	ds_read2st64_b64 v[166:169], v125 offset1:8
	ds_read2st64_b64 v[170:173], v126 offset1:8
	ds_read_b64 v[186:187], v133 offset:40960
	s_waitcnt lgkmcnt(2)
	v_mov_b32_e32 v174, v166
	v_mfma_f32_16x16x16_bf16 a[16:19], v[176:177], v[150:151], a[16:19]
	v_mov_b32_e32 v175, v167
	v_mfma_f32_16x16x16_bf16 a[20:23], v[176:177], v[154:155], a[20:23]
	v_mfma_f32_16x16x16_bf16 a[24:27], v[176:177], v[158:159], a[24:27]
	;; [unrolled: 1-line block ×3, first 2 shown]
	v_add_co_u32_e32 v162, vcc, s21, v188
	s_waitcnt lgkmcnt(1)
	v_mov_b32_e32 v176, v170
	s_waitcnt lgkmcnt(0)
	v_mfma_f32_16x16x16_bf16 a[16:19], v[186:187], v[152:153], a[16:19]
	ds_read2st64_b64 v[150:153], v125 offset0:16 offset1:24
	v_addc_co_u32_e32 v163, vcc, 0, v189, vcc
	v_mfma_f32_16x16x16_bf16 a[20:23], v[186:187], v[156:157], a[20:23]
	ds_read2st64_b64 v[154:157], v126 offset0:16 offset1:24
	v_mov_b32_e32 v177, v171
	v_mov_b32_e32 v170, v168
	v_mfma_f32_16x16x16_bf16 a[32:35], v[186:187], v[160:161], a[24:27]
	v_mov_b32_e32 v171, v169
	s_waitcnt lgkmcnt(0)
	v_mov_b32_e32 v160, v154
	v_mov_b32_e32 v161, v155
	v_mfma_f32_16x16x16_bf16 a[36:39], v[186:187], v[164:165], a[28:31]
	v_mov_b32_e32 v154, v152
	v_mov_b32_e32 v155, v153
	;; [unrolled: 1-line block ×3, first 2 shown]
	v_mfma_f32_16x16x16_bf16 a[24:27], v[184:185], v[42:43], a[16:19]
	v_add_co_u32_e32 v42, vcc, s63, v188
	v_mov_b32_e32 v159, v151
	v_mfma_f32_16x16x16_bf16 a[28:31], v[184:185], v[178:179], a[20:23]
	v_addc_co_u32_e32 v43, vcc, 0, v189, vcc
	global_store_dwordx4 v[42:43], v[154:157], off
	v_mfma_f32_16x16x16_bf16 a[16:19], v[184:185], v[180:181], a[32:35]
	s_waitcnt vmcnt(2)
	v_mov_b32_e32 v44, v37
	v_mov_b32_e32 v43, v36
	;; [unrolled: 1-line block ×3, first 2 shown]
	v_mfma_f32_16x16x16_bf16 a[20:23], v[184:185], v[182:183], a[36:39]
	s_and_b64 vcc, exec, s[0:1]
	global_store_dwordx4 v[188:189], v[174:177], off
	global_store_dwordx4 v[162:163], v[170:173], off offset:-4096
	global_store_dwordx4 v[162:163], v[158:161], off
	s_cbranch_vccnz .LBB86_6
; %bb.16:                               ;   in Loop: Header=BB86_7 Depth=1
	v_lshrrev_b32_e32 v35, 3, v147
	v_and_b32_e32 v35, 6, v35
	v_xor_b32_e32 v36, v35, v148
	v_lshlrev_b32_e32 v36, 2, v36
	v_and_b32_e32 v37, 8, v147
	v_xor_b32_e32 v147, 0x440, v36
	v_cmp_eq_u32_e32 vcc, 0, v37
	v_perm_b32 v37, v22, v18, s61
	s_nop 0
	v_cndmask_b32_e32 v36, v147, v36, vcc
	v_lshl_or_b32 v35, v35, 10, v36
	v_perm_b32 v36, v30, v26, s61
	s_barrier
	ds_write2st64_b32 v35, v36, v37 offset0:128 offset1:160
	v_xor_b32_e32 v36, 8, v35
	v_perm_b32 v26, v30, v26, s62
	v_perm_b32 v18, v22, v18, s62
	v_add_u32_e32 v22, 0x80, v36
	ds_write2st64_b32 v22, v26, v18 offset0:128 offset1:160
	v_xor_b32_e32 v18, 16, v35
	v_perm_b32 v22, v31, v27, s61
	v_perm_b32 v26, v23, v19, s61
	ds_write2st64_b32 v18, v22, v26 offset0:129 offset1:161
	v_xor_b32_e32 v18, 24, v35
	v_perm_b32 v22, v31, v27, s62
	v_perm_b32 v19, v23, v19, s62
	v_add_u32_e32 v18, 0x80, v18
	ds_write2st64_b32 v18, v22, v19 offset0:129 offset1:161
	v_xor_b32_e32 v18, 32, v35
	v_perm_b32 v19, v32, v28, s61
	v_perm_b32 v22, v24, v20, s61
	ds_write2st64_b32 v18, v19, v22 offset0:130 offset1:162
	v_xor_b32_e32 v18, 40, v35
	v_perm_b32 v19, v32, v28, s62
	v_perm_b32 v20, v24, v20, s62
	v_add_u32_e32 v18, 0x80, v18
	ds_write2st64_b32 v18, v19, v20 offset0:130 offset1:162
	v_xor_b32_e32 v18, 48, v35
	v_perm_b32 v19, v33, v29, s61
	v_perm_b32 v20, v25, v21, s61
	ds_write2st64_b32 v18, v19, v20 offset0:131 offset1:163
	v_xor_b32_e32 v18, 56, v35
	v_perm_b32 v19, v33, v29, s62
	v_perm_b32 v20, v25, v21, s62
	v_add_u32_e32 v18, 0x80, v18
	ds_write2st64_b32 v18, v19, v20 offset0:131 offset1:163
	ds_write_b64 v146, v[14:15] offset:49152
	v_xor_b32_e32 v14, 8, v146
	ds_write_b64 v14, v[16:17] offset:49152
	ds_write_b64 v146, v[10:11] offset:57344
	ds_write_b64 v14, v[12:13] offset:57344
	ds_write_b64 v145, v[6:7] offset:49152
	v_xor_b32_e32 v6, 8, v145
	ds_write_b64 v6, v[8:9] offset:49152
	ds_write_b64 v145, v[2:3] offset:57344
	;; [unrolled: 1-line block ×3, first 2 shown]
	s_branch .LBB86_6
.LBB86_17:
	s_lshl_b32 s3, s51, 6
	s_sub_i32 s56, s56, s3
	s_cmp_gt_i32 s56, 0
	v_or_b32_e32 v18, s2, v87
	s_cbranch_scc1 .LBB86_19
; %bb.18:
	s_ashr_i32 s29, s47, 31
	v_or_b32_e32 v2, s2, v87
	s_cbranch_execz .LBB86_20
	s_branch .LBB86_100
.LBB86_19:
                                        ; implicit-def: $vgpr2
                                        ; implicit-def: $sgpr28_sgpr29
.LBB86_20:
	s_add_i32 s28, s3, s38
	s_ashr_i32 s3, s28, 31
	s_cmpk_lg_i32 s19, 0x80
	s_cselect_b64 s[42:43], -1, 0
	s_and_b64 vcc, exec, s[42:43]
	s_cbranch_vccz .LBB86_22
; %bb.21:
	s_mul_hi_i32 s0, s28, s18
	s_mul_i32 s1, s28, s18
	s_ashr_i32 s18, s55, 31
	s_add_u32 s44, s1, s55
	s_addc_u32 s45, s0, s18
	s_cbranch_execz .LBB86_23
	s_branch .LBB86_24
.LBB86_22:
                                        ; implicit-def: $sgpr44_sgpr45
.LBB86_23:
	s_mul_i32 s1, s55, s16
	s_mul_hi_i32 s0, s55, s16
	s_add_u32 s44, s1, s28
	s_addc_u32 s45, s0, s3
.LBB86_24:
	s_add_i32 s16, s51, s52
	s_ashr_i32 s29, s47, 31
	s_add_u32 s0, s54, s28
	v_lshlrev_b32_e32 v6, 6, v1
	v_lshlrev_b32_e32 v26, 2, v87
	s_addc_u32 s1, s53, s3
	s_mov_b32 s3, 0x7060302
	v_or_b32_e32 v9, v6, v26
	v_xor_b32_e32 v7, v1, v26
	v_perm_b32 v3, v77, v76, s3
	v_perm_b32 v2, v75, v74, s3
	;; [unrolled: 1-line block ×4, first 2 shown]
	v_lshlrev_b32_e32 v9, 1, v9
	v_xor_b32_e32 v8, v90, v26
	ds_write2st64_b64 v9, v[2:3], v[4:5] offset0:32 offset1:48
	v_lshlrev_b32_e32 v7, 1, v7
	v_lshlrev_b32_e32 v9, 8, v87
	v_or_b32_e32 v10, v7, v9
	v_lshlrev_b32_e32 v8, 1, v8
	ds_write_b64 v10, v[2:3]
	v_or_b32_e32 v2, v8, v9
	v_or_b32_e32 v9, 16, v87
	v_lshlrev_b32_e32 v25, 2, v9
	v_or_b32_e32 v10, v6, v25
	ds_write_b64 v2, v[4:5]
	v_perm_b32 v3, v69, v68, s3
	v_perm_b32 v2, v67, v66, s3
	;; [unrolled: 1-line block ×4, first 2 shown]
	v_lshlrev_b32_e32 v10, 1, v10
	v_lshlrev_b32_e32 v9, 8, v9
	ds_write2st64_b64 v10, v[2:3], v[4:5] offset0:32 offset1:48
	v_or_b32_e32 v10, v7, v9
	ds_write_b64 v10, v[2:3]
	v_or_b32_e32 v2, v8, v9
	v_or_b32_e32 v9, 32, v87
	v_lshlrev_b32_e32 v24, 2, v9
	v_or_b32_e32 v10, v6, v24
	ds_write_b64 v2, v[4:5]
	v_perm_b32 v3, v61, v60, s3
	v_perm_b32 v2, v59, v58, s3
	;; [unrolled: 1-line block ×4, first 2 shown]
	v_lshlrev_b32_e32 v10, 1, v10
	v_lshlrev_b32_e32 v9, 8, v9
	s_lshl_b64 s[30:31], s[0:1], 8
	ds_write2st64_b64 v10, v[2:3], v[4:5] offset0:32 offset1:48
	v_or_b32_e32 v10, v7, v9
	s_add_u32 s0, s6, s30
	ds_write_b64 v10, v[2:3]
	v_or_b32_e32 v2, v8, v9
	s_addc_u32 s1, s7, s31
	ds_write_b64 v2, v[4:5]
	v_perm_b32 v3, v53, v52, s3
	v_perm_b32 v2, v51, v50, s3
	;; [unrolled: 1-line block ×4, first 2 shown]
	v_or_b32_e32 v9, 48, v87
	s_mul_hi_i32 s3, s16, s17
	s_mul_i32 s16, s16, s17
	v_lshlrev_b32_e32 v21, 2, v9
	s_add_u32 s6, s16, s47
	v_or_b32_e32 v6, v6, v21
	s_addc_u32 s7, s3, s29
	v_lshlrev_b32_e32 v6, 1, v6
	s_ashr_i32 s3, s2, 31
	s_lshl_b64 s[6:7], s[6:7], 15
	ds_write2st64_b64 v6, v[2:3], v[4:5] offset0:32 offset1:48
	v_lshlrev_b32_e32 v6, 8, v9
	s_add_u32 s6, s40, s6
	v_or_b32_e32 v7, v7, v6
	s_addc_u32 s7, s41, s7
	s_lshl_b64 s[2:3], s[2:3], 8
	ds_write_b64 v7, v[2:3]
	v_or_b32_e32 v2, v8, v6
	s_add_u32 s2, s6, s2
	v_lshlrev_b32_e32 v3, 1, v87
	ds_write_b64 v2, v[4:5]
	v_lshrrev_b32_e32 v2, 4, v0
	s_addc_u32 s3, s7, s3
	v_or_b32_e32 v4, 1, v3
	v_lshlrev_b32_e32 v10, 4, v87
	v_mov_b32_e32 v11, 0
	v_xor_b32_e32 v3, v2, v3
	v_xor_b32_e32 v6, v4, v2
	v_lshl_add_u64 v[12:13], s[2:3], 0, v[10:11]
	v_lshlrev_b32_e32 v10, 8, v2
	v_lshl_or_b32 v16, v3, 3, v10
	v_lshl_or_b32 v17, v6, 3, v10
	s_waitcnt lgkmcnt(0)
	s_barrier
	ds_read2st64_b64 v[2:5], v16 offset1:8
	ds_read2st64_b64 v[6:9], v17 offset1:8
	v_lshl_add_u64 v[14:15], v[12:13], 0, v[10:11]
	s_movk_i32 s2, 0x2000
	s_cmp_lg_u32 s56, 64
	s_waitcnt lgkmcnt(1)
	v_mov_b32_e32 v10, v2
	v_mov_b32_e32 v11, v3
	s_waitcnt lgkmcnt(0)
	v_mov_b32_e32 v12, v6
	v_mov_b32_e32 v13, v7
	global_store_dwordx4 v[14:15], v[10:13], off
	v_mov_b32_e32 v6, v4
	v_mov_b32_e32 v7, v5
	ds_read2st64_b64 v[2:5], v16 offset0:16 offset1:24
	ds_read2st64_b64 v[10:13], v17 offset0:16 offset1:24
	v_add_co_u32_e32 v16, vcc, s2, v14
	s_cselect_b64 s[6:7], -1, 0
	s_nop 0
	v_addc_co_u32_e32 v17, vcc, 0, v15, vcc
	global_store_dwordx4 v[16:17], v[6:9], off offset:-4096
	v_lshl_or_b32 v19, v45, 3, v89
	s_mov_b32 s24, 0
	s_waitcnt lgkmcnt(1)
	v_mov_b32_e32 v6, v2
	v_add_co_u32_e32 v2, vcc, 0x3000, v14
	v_mov_b32_e32 v7, v3
	s_nop 0
	v_addc_co_u32_e32 v3, vcc, 0, v15, vcc
	s_waitcnt lgkmcnt(0)
	v_mov_b32_e32 v8, v10
	v_mov_b32_e32 v9, v11
	;; [unrolled: 1-line block ×4, first 2 shown]
	v_or_b32_e32 v22, 32, v19
	v_and_b32_e32 v20, 56, v88
	s_and_b64 vcc, exec, s[6:7]
	global_store_dwordx4 v[16:17], v[6:9], off
	global_store_dwordx4 v[2:3], v[10:13], off
	s_cbranch_vccz .LBB86_30
; %bb.25:
	s_mov_b32 s25, s24
	s_mov_b32 s26, s24
	;; [unrolled: 1-line block ×3, first 2 shown]
	v_mov_b64_e32 v[6:7], s[24:25]
	v_mov_b64_e32 v[8:9], s[26:27]
	;; [unrolled: 1-line block ×3, first 2 shown]
	v_cmp_gt_i32_e32 vcc, s56, v19
	v_mov_b64_e32 v[4:5], v[8:9]
	s_and_saveexec_b64 s[2:3], vcc
	s_cbranch_execz .LBB86_27
; %bb.26:
	v_lshlrev_b32_e32 v2, 8, v19
	v_mov_b32_e32 v3, 0
	v_lshl_add_u64 v[4:5], s[0:1], 0, v[2:3]
	v_lshlrev_b32_e32 v2, 1, v20
	v_lshl_add_u64 v[10:11], v[4:5], 0, v[2:3]
	global_load_dwordx4 v[6:9], v[10:11], off
	global_load_dwordx4 v[2:5], v[10:11], off offset:128
.LBB86_27:
	s_or_b64 exec, exec, s[2:3]
	s_mov_b32 s25, s24
	s_mov_b32 s26, s24
	s_mov_b32 s27, s24
	v_mov_b64_e32 v[14:15], s[24:25]
	v_mov_b64_e32 v[16:17], s[26:27]
	;; [unrolled: 1-line block ×3, first 2 shown]
	v_cmp_gt_i32_e32 vcc, s56, v22
	v_lshlrev_b32_e32 v23, 7, v22
	v_mov_b64_e32 v[12:13], v[16:17]
	s_and_saveexec_b64 s[2:3], vcc
	s_cbranch_execz .LBB86_29
; %bb.28:
	v_lshlrev_b32_e32 v10, 1, v23
	v_mov_b32_e32 v11, 0
	v_lshl_add_u64 v[12:13], s[0:1], 0, v[10:11]
	v_lshlrev_b32_e32 v10, 1, v20
	v_lshl_add_u64 v[28:29], v[12:13], 0, v[10:11]
	global_load_dwordx4 v[14:17], v[28:29], off
	global_load_dwordx4 v[10:13], v[28:29], off offset:128
.LBB86_29:
	s_or_b64 exec, exec, s[2:3]
	v_lshrrev_b32_e32 v27, 3, v20
	v_lshlrev_b32_e32 v28, 3, v19
	v_or_b32_e32 v27, v28, v27
	v_lshlrev_b32_e32 v27, 4, v27
	v_and_b32_e32 v28, 0x78, v28
	v_xor_b32_e32 v27, v27, v28
	s_branch .LBB86_32
.LBB86_30:
                                        ; implicit-def: $vgpr27
                                        ; implicit-def: $vgpr23
                                        ; implicit-def: $vgpr6_vgpr7_vgpr8_vgpr9
                                        ; implicit-def: $vgpr2_vgpr3_vgpr4_vgpr5
                                        ; implicit-def: $vgpr14_vgpr15_vgpr16_vgpr17
                                        ; implicit-def: $vgpr10_vgpr11_vgpr12_vgpr13
	s_cbranch_execz .LBB86_32
; %bb.31:
	s_waitcnt vmcnt(0)
	v_lshlrev_b32_e32 v2, 1, v20
	v_lshl_or_b32 v23, v19, 8, v2
	s_and_b32 s1, s1, 0xffff
	s_mov_b32 s3, 0x20000
	s_movk_i32 s2, 0x4000
	v_lshl_or_b32 v27, v22, 8, v2
	s_movk_i32 s16, 0x80
	buffer_load_dwordx4 v[6:9], v23, s[0:3], 0 offen
	buffer_load_dwordx4 v[2:5], v23, s[0:3], s16 offen
	;; [unrolled: 1-line block ×4, first 2 shown]
	v_lshrrev_b32_e32 v23, 3, v20
	v_lshlrev_b32_e32 v27, 3, v19
	v_or_b32_e32 v23, v27, v23
	v_lshlrev_b32_e32 v23, 4, v23
	v_and_b32_e32 v27, 0x78, v27
	v_xor_b32_e32 v27, v23, v27
	v_lshlrev_b32_e32 v23, 7, v22
.LBB86_32:
	s_movk_i32 s0, 0x1000
	v_and_or_b32 v22, v23, s0, v27
	s_waitcnt vmcnt(1)
	ds_write_b64 v27, v[6:7] offset:49152
	v_xor_b32_e32 v6, 8, v27
	ds_write_b64 v6, v[8:9] offset:49152
	s_waitcnt vmcnt(0)
	ds_write_b64 v27, v[2:3] offset:57344
	ds_write_b64 v6, v[4:5] offset:57344
	ds_write_b64 v22, v[14:15] offset:49152
	v_xor_b32_e32 v2, 8, v22
	ds_write_b64 v2, v[16:17] offset:49152
	ds_write_b64 v22, v[10:11] offset:57344
	;; [unrolled: 1-line block ×3, first 2 shown]
	v_or_b32_e32 v2, v84, v87
	v_lshlrev_b32_e32 v2, 3, v2
	v_lshrrev_b32_e32 v3, 5, v85
	s_movk_i32 s0, 0xf8
	v_and_or_b32 v3, v2, s0, v3
	v_lshlrev_b32_e32 v7, 4, v3
	v_lshlrev_b32_e32 v27, 11, v45
	v_and_b32_e32 v8, 0x78, v2
	v_or_b32_e32 v10, 32, v7
	v_and_b32_e32 v6, 0x1000, v27
	v_lshrrev_b32_e32 v3, 1, v85
	v_xor_b32_e32 v10, v10, v8
	v_xor_b32_e32 v2, v7, v8
	v_and_b32_e32 v9, 8, v3
	v_or_b32_e32 v10, v10, v6
	v_or_b32_e32 v2, v2, v6
	v_xor_b32_e32 v33, v10, v9
	v_or_b32_e32 v10, 64, v7
	v_xor_b32_e32 v32, v2, v9
	v_xor_b32_e32 v10, v10, v8
	s_waitcnt lgkmcnt(0)
	s_barrier
	v_or_b32_e32 v13, v10, v6
	ds_read_b64 v[10:11], v32 offset:49152
	v_lshl_or_b32 v14, v86, 8, v26
	v_lshlrev_b32_e32 v28, 1, v14
	v_add_u32_e32 v12, 0x4000, v28
	ds_read2_b64 v[2:5], v12 offset1:16
	v_or_b32_e32 v7, 0x60, v7
	v_xor_b32_e32 v7, v7, v8
	v_or_b32_e32 v6, v7, v6
	v_xor_b32_e32 v34, v13, v9
	v_xor_b32_e32 v35, v6, v9
	ds_read_b64 v[22:23], v33 offset:49152
	ds_read_b64 v[36:37], v34 offset:49152
	;; [unrolled: 1-line block ×3, first 2 shown]
	s_waitcnt lgkmcnt(3)
	v_mfma_f32_16x16x16_bf16 a[0:3], v[10:11], v[2:3], 0
	ds_read2_b64 v[6:9], v12 offset0:32 offset1:48
	s_lshl_b64 s[0:1], s[44:45], 8
	s_add_u32 s4, s4, s0
	v_mfma_f32_16x16x16_bf16 a[4:7], v[10:11], v[4:5], 0
	ds_read2st64_b64 v[2:5], v28 offset0:36 offset1:40
	s_addc_u32 s5, s5, s1
	s_add_i32 s18, s39, -1
	s_waitcnt lgkmcnt(1)
	v_mfma_f32_16x16x16_bf16 a[8:11], v[10:11], v[6:7], 0
	v_or_b32_e32 v6, 64, v14
	v_lshlrev_b32_e32 v29, 1, v6
	s_add_i32 s0, s49, s48
	s_waitcnt lgkmcnt(0)
	v_mfma_f32_16x16x16_bf16 a[0:3], v[22:23], v[2:3], a[0:3]
	v_or_b32_e32 v2, 0x80, v14
	v_lshlrev_b32_e32 v30, 1, v2
	v_or_b32_e32 v2, 0xc0, v14
	v_mfma_f32_16x16x16_bf16 a[12:15], v[10:11], v[8:9], 0
	ds_read2st64_b64 v[6:9], v29 offset0:36 offset1:40
	v_lshlrev_b32_e32 v31, 1, v2
	ds_read2st64_b64 v[10:13], v30 offset0:36 offset1:40
	ds_read2st64_b64 v[14:17], v31 offset0:36 offset1:40
	s_add_i32 s21, s0, s50
	s_mul_i32 s0, s47, s23
	s_mul_hi_u32 s1, s47, s22
	s_ashr_i32 s2, s18, 31
	s_mul_i32 s3, s18, s15
	s_mul_hi_u32 s16, s18, s14
	s_waitcnt lgkmcnt(2)
	v_mfma_f32_16x16x16_bf16 a[4:7], v[22:23], v[6:7], a[4:7]
	s_add_i32 s0, s1, s0
	s_mul_i32 s1, s29, s22
	s_add_i32 s3, s16, s3
	s_mul_i32 s2, s2, s14
	s_waitcnt lgkmcnt(1)
	v_mfma_f32_16x16x16_bf16 a[8:11], v[22:23], v[10:11], a[8:11]
	s_add_i32 s1, s0, s1
	s_add_i32 s3, s3, s2
	s_lshl_b64 s[20:21], s[20:21], 2
	s_waitcnt lgkmcnt(0)
	v_mfma_f32_16x16x16_bf16 a[12:15], v[22:23], v[14:15], a[12:15]
	s_mul_i32 s0, s47, s22
	s_add_u32 s10, s10, s20
	s_addc_u32 s11, s11, s21
	s_lshl_b64 s[0:1], s[0:1], 2
	v_mfma_f32_16x16x16_bf16 a[0:3], v[36:37], v[4:5], a[0:3]
	s_mul_i32 s2, s18, s14
	ds_read_b64 v[2:3], v28 offset:22528
	s_add_u32 s10, s10, s0
	v_mfma_f32_16x16x16_bf16 a[4:7], v[36:37], v[8:9], a[4:7]
	ds_read_b64 v[4:5], v29 offset:22528
	ds_read_b64 v[6:7], v30 offset:22528
	;; [unrolled: 1-line block ×3, first 2 shown]
	s_addc_u32 s11, s11, s1
	s_lshl_b64 s[0:1], s[2:3], 2
	v_mfma_f32_16x16x16_bf16 a[8:11], v[36:37], v[12:13], a[8:11]
	s_add_u32 s0, s10, s0
	s_addc_u32 s1, s11, s1
	s_load_dword s16, s[0:1], 0x0
	v_mfma_f32_16x16x16_bf16 a[12:15], v[36:37], v[16:17], a[12:15]
	s_and_b64 vcc, exec, s[42:43]
	s_waitcnt lgkmcnt(0)
	v_mfma_f32_16x16x16_bf16 a[0:3], v[38:39], v[2:3], a[0:3]
	v_mfma_f32_16x16x16_bf16 a[4:7], v[38:39], v[4:5], a[4:7]
	;; [unrolled: 1-line block ×4, first 2 shown]
	s_cbranch_vccz .LBB86_43
; %bb.33:
	v_lshlrev_b32_e32 v22, 1, v19
	s_and_b64 vcc, exec, s[6:7]
	s_cbranch_vccz .LBB86_44
; %bb.34:
	v_cmp_gt_i32_e32 vcc, s56, v22
	v_mov_b32_e32 v6, 0
	v_mov_b32_e32 v2, 0
	;; [unrolled: 1-line block ×5, first 2 shown]
	s_and_saveexec_b64 s[0:1], vcc
	s_cbranch_execz .LBB86_36
; %bb.35:
	v_mad_i64_i32 v[2:3], s[2:3], s19, v22, 0
	v_lshl_add_u64 v[2:3], v[2:3], 1, s[4:5]
	v_lshlrev_b32_e32 v4, 1, v20
	v_mov_b32_e32 v5, 0
	v_lshl_add_u64 v[2:3], v[2:3], 0, v[4:5]
	global_load_dwordx4 v[2:5], v[2:3], off
.LBB86_36:
	s_or_b64 exec, exec, s[0:1]
	v_or_b32_e32 v23, 1, v22
	v_cmp_gt_i32_e64 s[0:1], s56, v23
	v_mov_b32_e32 v7, 0
	v_mov_b32_e32 v8, 0
	;; [unrolled: 1-line block ×3, first 2 shown]
	s_and_saveexec_b64 s[2:3], s[0:1]
	s_cbranch_execz .LBB86_38
; %bb.37:
	v_mad_i64_i32 v[6:7], s[20:21], s19, v23, 0
	v_lshl_add_u64 v[6:7], v[6:7], 1, s[4:5]
	v_lshlrev_b32_e32 v8, 1, v20
	v_mov_b32_e32 v9, 0
	v_lshl_add_u64 v[6:7], v[6:7], 0, v[8:9]
	global_load_dwordx4 v[6:9], v[6:7], off
.LBB86_38:
	s_or_b64 exec, exec, s[2:3]
	v_mov_b32_e32 v17, 0
	v_mov_b32_e32 v10, 0
	;; [unrolled: 1-line block ×5, first 2 shown]
	s_and_saveexec_b64 s[2:3], vcc
	s_cbranch_execz .LBB86_40
; %bb.39:
	v_mad_i64_i32 v[10:11], s[20:21], s19, v22, 0
	v_lshl_add_u64 v[10:11], v[10:11], 1, s[4:5]
	v_lshlrev_b32_e32 v12, 1, v20
	v_mov_b32_e32 v13, 0
	v_lshl_add_u64 v[10:11], v[10:11], 0, v[12:13]
	global_load_dwordx4 v[10:13], v[10:11], off offset:128
.LBB86_40:
	s_or_b64 exec, exec, s[2:3]
	v_mov_b32_e32 v16, 0
	v_mov_b32_e32 v15, 0
	;; [unrolled: 1-line block ×3, first 2 shown]
	s_and_saveexec_b64 s[2:3], s[0:1]
	s_cbranch_execz .LBB86_42
; %bb.41:
	v_mad_i64_i32 v[14:15], s[0:1], s19, v23, 0
	v_lshl_add_u64 v[14:15], v[14:15], 1, s[4:5]
	v_lshlrev_b32_e32 v16, 1, v20
	v_mov_b32_e32 v17, 0
	v_lshl_add_u64 v[14:15], v[14:15], 0, v[16:17]
	global_load_dwordx4 v[14:17], v[14:15], off offset:128
.LBB86_42:
	s_or_b64 exec, exec, s[2:3]
	s_branch .LBB86_46
.LBB86_43:
                                        ; implicit-def: $vgpr5
                                        ; implicit-def: $vgpr9
                                        ; implicit-def: $vgpr13
                                        ; implicit-def: $vgpr17
	v_lshrrev_b32_e32 v36, 2, v85
	s_branch .LBB86_47
.LBB86_44:
                                        ; implicit-def: $vgpr5
                                        ; implicit-def: $vgpr9
                                        ; implicit-def: $vgpr13
                                        ; implicit-def: $vgpr17
	s_cbranch_execz .LBB86_46
; %bb.45:
	s_waitcnt vmcnt(0)
	v_mad_u64_u32 v[2:3], s[0:1], v22, s19, v[20:21]
	v_lshlrev_b32_e32 v22, 1, v2
	s_lshl_b32 s2, s19, 7
	s_and_b32 s1, s5, 0xffff
	s_mov_b32 s3, 0x20000
	s_mov_b32 s0, s4
	v_add_lshl_u32 v23, v2, s19, 1
	s_movk_i32 s19, 0x80
	buffer_load_dwordx4 v[2:5], v22, s[0:3], 0 offen
	buffer_load_dwordx4 v[10:13], v22, s[0:3], s19 offen
	;; [unrolled: 1-line block ×4, first 2 shown]
.LBB86_46:
	v_lshrrev_b32_e32 v36, 2, v85
	s_cbranch_execnz .LBB86_59
.LBB86_47:
	s_and_b64 vcc, exec, s[6:7]
	s_cbranch_vccz .LBB86_57
; %bb.48:
	s_waitcnt vmcnt(0)
	v_lshlrev_b32_e32 v7, 1, v19
	v_cmp_gt_i32_e32 vcc, s56, v7
	v_mov_b32_e32 v6, 0
	v_lshlrev_b32_e32 v14, 9, v19
	v_mov_b32_e32 v2, 0
	v_mov_b32_e32 v3, 0
	;; [unrolled: 1-line block ×4, first 2 shown]
	s_and_saveexec_b64 s[0:1], vcc
	s_cbranch_execz .LBB86_50
; %bb.49:
	v_mov_b32_e32 v15, 0
	v_lshl_add_u64 v[2:3], s[4:5], 0, v[14:15]
	v_lshlrev_b32_e32 v4, 1, v20
	v_mov_b32_e32 v5, v15
	v_lshl_add_u64 v[2:3], v[2:3], 0, v[4:5]
	global_load_dwordx4 v[2:5], v[2:3], off
.LBB86_50:
	s_or_b64 exec, exec, s[0:1]
	v_or_b32_e32 v7, 1, v7
	v_cmp_gt_i32_e64 s[0:1], s56, v7
	v_lshlrev_b32_e32 v22, 8, v7
	v_mov_b32_e32 v7, 0
	v_mov_b32_e32 v8, 0
	;; [unrolled: 1-line block ×3, first 2 shown]
	s_and_saveexec_b64 s[2:3], s[0:1]
	s_cbranch_execz .LBB86_52
; %bb.51:
	v_mov_b32_e32 v23, 0
	v_lshl_add_u64 v[6:7], s[4:5], 0, v[22:23]
	v_lshlrev_b32_e32 v8, 1, v20
	v_mov_b32_e32 v9, v23
	v_lshl_add_u64 v[6:7], v[6:7], 0, v[8:9]
	global_load_dwordx4 v[6:9], v[6:7], off
.LBB86_52:
	s_or_b64 exec, exec, s[2:3]
	v_mov_b32_e32 v17, 0
	v_mov_b32_e32 v10, 0
	;; [unrolled: 1-line block ×5, first 2 shown]
	s_and_saveexec_b64 s[2:3], vcc
	s_cbranch_execz .LBB86_54
; %bb.53:
	v_mov_b32_e32 v15, 0
	v_lshl_add_u64 v[10:11], s[4:5], 0, v[14:15]
	v_lshlrev_b32_e32 v14, 1, v20
	v_lshl_add_u64 v[10:11], v[10:11], 0, v[14:15]
	global_load_dwordx4 v[10:13], v[10:11], off offset:128
.LBB86_54:
	s_or_b64 exec, exec, s[2:3]
	v_mov_b32_e32 v16, 0
	v_mov_b32_e32 v15, 0
	;; [unrolled: 1-line block ×3, first 2 shown]
	s_and_saveexec_b64 s[2:3], s[0:1]
	s_cbranch_execz .LBB86_56
; %bb.55:
	v_mov_b32_e32 v23, 0
	v_lshl_add_u64 v[14:15], s[4:5], 0, v[22:23]
	v_lshlrev_b32_e32 v22, 1, v20
	v_lshl_add_u64 v[14:15], v[14:15], 0, v[22:23]
	global_load_dwordx4 v[14:17], v[14:15], off offset:128
.LBB86_56:
	s_or_b64 exec, exec, s[2:3]
	s_branch .LBB86_59
.LBB86_57:
                                        ; implicit-def: $vgpr5
                                        ; implicit-def: $vgpr9
                                        ; implicit-def: $vgpr13
                                        ; implicit-def: $vgpr17
	s_cbranch_execz .LBB86_59
; %bb.58:
	s_waitcnt vmcnt(0)
	v_lshlrev_b32_e32 v2, 1, v20
	v_lshl_or_b32 v20, v19, 9, v2
	s_and_b32 s5, s5, 0xffff
	s_mov_b32 s7, 0x20000
	s_movk_i32 s6, 0x4000
	s_movk_i32 s0, 0x80
	buffer_load_dwordx4 v[2:5], v20, s[4:7], 0 offen
	buffer_load_dwordx4 v[6:9], v20, s[4:7], 0 offen offset:256
	buffer_load_dwordx4 v[10:13], v20, s[4:7], s0 offen
	buffer_load_dwordx4 v[14:17], v20, s[4:7], s0 offen offset:256
.LBB86_59:
	ds_read_b64 v[22:23], v32 offset:57344
	v_add_u32_e32 v20, 0x6000, v28
	ds_read2_b64 v[38:41], v20 offset1:16
	ds_read_b64 v[82:83], v33 offset:57344
	ds_read_b64 v[86:87], v34 offset:57344
	;; [unrolled: 1-line block ×3, first 2 shown]
	ds_read2_b64 v[32:35], v20 offset0:32 offset1:48
	v_and_b32_e32 v20, 12, v36
	v_and_b32_e32 v44, 6, v0
	v_xor_b32_e32 v19, v19, v44
	v_lshlrev_b32_e32 v19, 2, v19
	s_mov_b32 s0, 0x1000504
	s_waitcnt lgkmcnt(4)
	v_mfma_f32_16x16x16_bf16 a[4:7], v[22:23], v[40:41], a[4:7]
	s_mov_b32 s1, 0x3020706
	v_mfma_f32_16x16x16_bf16 a[0:3], v[22:23], v[38:39], a[0:3]
	ds_read2st64_b64 v[36:39], v28 offset0:52 offset1:56
	s_waitcnt lgkmcnt(1)
	v_mfma_f32_16x16x16_bf16 a[8:11], v[22:23], v[32:33], a[8:11]
	v_mfma_f32_16x16x16_bf16 a[12:15], v[22:23], v[34:35], a[12:15]
	ds_read2st64_b64 v[32:35], v29 offset0:52 offset1:56
	ds_read2st64_b64 v[40:43], v30 offset0:52 offset1:56
	;; [unrolled: 1-line block ×3, first 2 shown]
	s_waitcnt lgkmcnt(2)
	v_mfma_f32_16x16x16_bf16 a[4:7], v[82:83], v[32:33], a[4:7]
	v_and_b32_e32 v32, 1, v0
	v_xor_b32_e32 v33, 0x440, v19
	v_cmp_eq_u32_e32 vcc, 0, v32
	v_mfma_f32_16x16x16_bf16 a[0:3], v[82:83], v[36:37], a[0:3]
	s_waitcnt vmcnt(0)
	v_perm_b32 v32, v2, v6, s0
	v_cndmask_b32_e32 v19, v33, v19, vcc
	v_lshl_or_b32 v19, v44, 10, v19
	s_waitcnt lgkmcnt(1)
	v_mfma_f32_16x16x16_bf16 a[8:11], v[82:83], v[40:41], a[8:11]
	v_perm_b32 v33, v10, v14, s0
	ds_read_b64 v[22:23], v28 offset:30720
	ds_read_b64 v[36:37], v29 offset:30720
	;; [unrolled: 1-line block ×4, first 2 shown]
	ds_write2st64_b32 v19, v32, v33 offset0:128 offset1:160
	s_waitcnt lgkmcnt(5)
	v_mfma_f32_16x16x16_bf16 a[12:15], v[82:83], v[78:79], a[12:15]
	v_xor_b32_e32 v32, 8, v19
	v_perm_b32 v2, v2, v6, s1
	v_perm_b32 v6, v10, v14, s1
	v_add_u32_e32 v10, 0x80, v32
	ds_write2st64_b32 v10, v2, v6 offset0:128 offset1:160
	v_xor_b32_e32 v2, 16, v19
	v_perm_b32 v6, v3, v7, s0
	v_perm_b32 v10, v11, v15, s0
	v_mfma_f32_16x16x16_bf16 a[0:3], v[86:87], v[38:39], a[0:3]
	ds_write2st64_b32 v2, v6, v10 offset0:129 offset1:161
	v_xor_b32_e32 v2, 24, v19
	v_perm_b32 v3, v3, v7, s1
	v_mfma_f32_16x16x16_bf16 a[4:7], v[86:87], v[34:35], a[4:7]
	v_perm_b32 v6, v11, v15, s1
	v_add_u32_e32 v2, 0x80, v2
	ds_write2st64_b32 v2, v3, v6 offset0:129 offset1:161
	v_mfma_f32_16x16x16_bf16 a[16:19], v[86:87], v[42:43], a[8:11]
	v_xor_b32_e32 v2, 32, v19
	v_perm_b32 v3, v4, v8, s0
	v_perm_b32 v6, v12, v16, s0
	v_mfma_f32_16x16x16_bf16 a[20:23], v[86:87], v[80:81], a[12:15]
	ds_write2st64_b32 v2, v3, v6 offset0:130 offset1:162
	v_xor_b32_e32 v2, 40, v19
	v_perm_b32 v3, v4, v8, s1
	s_waitcnt lgkmcnt(8)
	v_mfma_f32_16x16x16_bf16 a[12:15], v[88:89], v[22:23], a[0:3]
	v_perm_b32 v4, v12, v16, s1
	v_add_u32_e32 v2, 0x80, v2
	ds_write2st64_b32 v2, v3, v4 offset0:130 offset1:162
	s_waitcnt lgkmcnt(8)
	v_mfma_f32_16x16x16_bf16 a[8:11], v[88:89], v[36:37], a[4:7]
	v_xor_b32_e32 v2, 48, v19
	v_perm_b32 v3, v5, v9, s0
	v_perm_b32 v4, v13, v17, s0
	s_waitcnt lgkmcnt(7)
	v_mfma_f32_16x16x16_bf16 a[4:7], v[88:89], v[90:91], a[16:19]
	ds_write2st64_b32 v2, v3, v4 offset0:131 offset1:163
	v_xor_b32_e32 v2, 56, v19
	v_or_b32_e32 v16, v20, v84
	s_waitcnt lgkmcnt(7)
	v_mfma_f32_16x16x16_bf16 a[0:3], v[88:89], v[92:93], a[20:23]
	v_perm_b32 v3, v5, v9, s1
	v_perm_b32 v4, v13, v17, s1
	v_add_u32_e32 v2, 0x80, v2
	v_cmp_gt_i32_e32 vcc, s56, v16
	v_mov_b32_e32 v17, 0
	v_mov_b32_e32 v23, 0
	ds_write2st64_b32 v2, v3, v4 offset0:131 offset1:163
	s_and_saveexec_b64 s[0:1], vcc
	s_cbranch_execz .LBB86_61
; %bb.60:
	v_add_u32_e32 v2, s28, v16
	v_ashrrev_i32_e32 v3, 31, v2
	v_mul_lo_u32 v4, v3, s14
	v_mul_lo_u32 v5, v2, s15
	v_mad_u64_u32 v[2:3], s[2:3], v2, s14, 0
	v_add3_u32 v3, v3, v5, v4
	v_lshl_add_u64 v[2:3], v[2:3], 2, s[10:11]
	global_load_dword v2, v[2:3], off
	s_waitcnt vmcnt(0)
	v_sub_f32_e32 v2, s16, v2
	v_mul_f32_e32 v2, 0x3fb8aa3b, v2
	v_exp_f32_e32 v23, v2
.LBB86_61:
	s_or_b64 exec, exec, s[0:1]
	v_or_b32_e32 v8, 1, v16
	v_cmp_gt_i32_e64 s[0:1], s56, v8
	s_and_saveexec_b64 s[2:3], s[0:1]
	s_cbranch_execz .LBB86_63
; %bb.62:
	v_add_u32_e32 v2, s28, v8
	v_ashrrev_i32_e32 v3, 31, v2
	v_mul_lo_u32 v4, v3, s14
	v_mul_lo_u32 v5, v2, s15
	v_mad_u64_u32 v[2:3], s[4:5], v2, s14, 0
	v_add3_u32 v3, v3, v5, v4
	v_lshl_add_u64 v[2:3], v[2:3], 2, s[10:11]
	global_load_dword v2, v[2:3], off
	s_waitcnt vmcnt(0)
	v_sub_f32_e32 v2, s16, v2
	v_mul_f32_e32 v2, 0x3fb8aa3b, v2
	v_exp_f32_e32 v17, v2
.LBB86_63:
	s_or_b64 exec, exec, s[2:3]
	v_or_b32_e32 v9, 2, v16
	v_cmp_gt_i32_e64 s[2:3], s56, v9
	v_mov_b32_e32 v22, 0
	v_mov_b32_e32 v32, 0
	s_and_saveexec_b64 s[4:5], s[2:3]
	s_cbranch_execz .LBB86_65
; %bb.64:
	v_add_u32_e32 v2, s28, v9
	v_ashrrev_i32_e32 v3, 31, v2
	v_mul_lo_u32 v4, v3, s14
	v_mul_lo_u32 v5, v2, s15
	v_mad_u64_u32 v[2:3], s[6:7], v2, s14, 0
	v_add3_u32 v3, v3, v5, v4
	v_lshl_add_u64 v[2:3], v[2:3], 2, s[10:11]
	global_load_dword v2, v[2:3], off
	s_waitcnt vmcnt(0)
	v_sub_f32_e32 v2, s16, v2
	v_mul_f32_e32 v2, 0x3fb8aa3b, v2
	v_exp_f32_e32 v32, v2
.LBB86_65:
	s_or_b64 exec, exec, s[4:5]
	v_or_b32_e32 v33, 3, v16
	v_cmp_gt_i32_e64 s[4:5], s56, v33
	s_and_saveexec_b64 s[6:7], s[4:5]
	s_cbranch_execz .LBB86_67
; %bb.66:
	v_add_u32_e32 v2, s28, v33
	v_ashrrev_i32_e32 v3, 31, v2
	v_mul_lo_u32 v4, v3, s14
	v_mul_lo_u32 v5, v2, s15
	v_mad_u64_u32 v[2:3], s[14:15], v2, s14, 0
	v_add3_u32 v3, v3, v5, v4
	v_lshl_add_u64 v[2:3], v[2:3], 2, s[10:11]
	global_load_dword v2, v[2:3], off
	s_waitcnt vmcnt(0)
	v_sub_f32_e32 v2, s16, v2
	v_mul_f32_e32 v2, 0x3fb8aa3b, v2
	v_exp_f32_e32 v22, v2
.LBB86_67:
	s_or_b64 exec, exec, s[6:7]
	s_add_u32 s6, s8, s30
	v_accvgpr_read_b32 v2, a12
	s_addc_u32 s7, s9, s31
	v_ashrrev_i32_e32 v19, 31, v18
	v_accvgpr_read_b32 v3, a13
	v_accvgpr_read_b32 v4, a14
	v_accvgpr_read_b32 v5, a15
	v_lshl_add_u64 v[6:7], v[18:19], 1, s[6:7]
	v_mov_b32_e32 v13, 0
	v_lshlrev_b32_e32 v10, 8, v16
	v_mov_b32_e32 v11, 0
	s_and_saveexec_b64 s[6:7], vcc
	s_cbranch_execz .LBB86_69
; %bb.68:
	v_mov_b32_e32 v11, 0
	v_lshl_add_u64 v[14:15], v[6:7], 0, v[10:11]
	global_load_ushort v11, v[14:15], off
	s_waitcnt vmcnt(0)
	v_lshlrev_b32_e32 v11, 16, v11
	v_sub_f32_e32 v2, v11, v2
	v_mul_f32_e32 v2, v23, v2
	v_lshrrev_b32_e32 v11, 16, v2
.LBB86_69:
	s_or_b64 exec, exec, s[6:7]
	v_lshlrev_b32_e32 v12, 8, v8
	s_and_saveexec_b64 s[6:7], s[0:1]
	s_cbranch_execz .LBB86_71
; %bb.70:
	v_mov_b32_e32 v13, 0
	v_lshl_add_u64 v[14:15], v[6:7], 0, v[12:13]
	global_load_ushort v2, v[14:15], off
	s_waitcnt vmcnt(0)
	v_lshlrev_b32_e32 v2, 16, v2
	v_sub_f32_e32 v2, v2, v3
	v_mul_f32_e32 v2, v17, v2
	v_lshrrev_b32_e32 v13, 16, v2
.LBB86_71:
	s_or_b64 exec, exec, s[6:7]
	v_mov_b32_e32 v34, 0
	v_lshlrev_b32_e32 v14, 8, v9
	v_mov_b32_e32 v15, 0
	s_and_saveexec_b64 s[6:7], s[2:3]
	s_cbranch_execz .LBB86_73
; %bb.72:
	v_mov_b32_e32 v15, 0
	v_lshl_add_u64 v[2:3], v[6:7], 0, v[14:15]
	global_load_ushort v2, v[2:3], off
	s_waitcnt vmcnt(0)
	v_lshlrev_b32_e32 v2, 16, v2
	v_sub_f32_e32 v2, v2, v4
	v_mul_f32_e32 v2, v32, v2
	v_lshrrev_b32_e32 v15, 16, v2
.LBB86_73:
	s_or_b64 exec, exec, s[6:7]
	v_lshlrev_b32_e32 v8, 8, v33
	s_and_saveexec_b64 s[6:7], s[4:5]
	s_cbranch_execz .LBB86_75
; %bb.74:
	v_mov_b32_e32 v9, 0
	v_lshl_add_u64 v[2:3], v[6:7], 0, v[8:9]
	global_load_ushort v2, v[2:3], off
	s_waitcnt vmcnt(0)
	v_lshlrev_b32_e32 v2, 16, v2
	v_sub_f32_e32 v2, v2, v5
	v_mul_f32_e32 v2, v22, v2
	v_lshrrev_b32_e32 v34, 16, v2
.LBB86_75:
	s_or_b64 exec, exec, s[6:7]
	v_lshlrev_b32_e32 v19, 6, v16
	v_accvgpr_read_b32 v2, a8
	s_mov_b32 s6, 0x5040100
	v_or_b32_e32 v9, v19, v26
	v_accvgpr_read_b32 v3, a9
	v_accvgpr_read_b32 v4, a10
	;; [unrolled: 1-line block ×3, first 2 shown]
	v_perm_b32 v35, v34, v15, s6
	v_perm_b32 v34, v13, v11, s6
	v_lshlrev_b32_e32 v9, 1, v9
	v_mov_b32_e32 v13, 0
	v_mov_b32_e32 v11, 0
	ds_write_b64 v9, v[34:35] offset:24576
	s_and_saveexec_b64 s[6:7], vcc
	s_cbranch_execz .LBB86_77
; %bb.76:
	v_mov_b32_e32 v11, 0
	v_lshl_add_u64 v[34:35], v[6:7], 0, v[10:11]
	global_load_ushort v9, v[34:35], off offset:32
	s_waitcnt vmcnt(0)
	v_lshlrev_b32_e32 v9, 16, v9
	v_sub_f32_e32 v2, v9, v2
	v_mul_f32_e32 v2, v23, v2
	v_lshrrev_b32_e32 v11, 16, v2
.LBB86_77:
	s_or_b64 exec, exec, s[6:7]
	s_and_saveexec_b64 s[6:7], s[0:1]
	s_cbranch_execz .LBB86_79
; %bb.78:
	v_mov_b32_e32 v13, 0
	v_lshl_add_u64 v[34:35], v[6:7], 0, v[12:13]
	global_load_ushort v2, v[34:35], off offset:32
	s_waitcnt vmcnt(0)
	v_lshlrev_b32_e32 v2, 16, v2
	v_sub_f32_e32 v2, v2, v3
	v_mul_f32_e32 v2, v17, v2
	v_lshrrev_b32_e32 v13, 16, v2
.LBB86_79:
	s_or_b64 exec, exec, s[6:7]
	v_mov_b32_e32 v9, 0
	v_mov_b32_e32 v15, 0
	s_and_saveexec_b64 s[6:7], s[2:3]
	s_cbranch_execz .LBB86_81
; %bb.80:
	v_mov_b32_e32 v15, 0
	v_lshl_add_u64 v[2:3], v[6:7], 0, v[14:15]
	global_load_ushort v2, v[2:3], off offset:32
	s_waitcnt vmcnt(0)
	v_lshlrev_b32_e32 v2, 16, v2
	v_sub_f32_e32 v2, v2, v4
	v_mul_f32_e32 v2, v32, v2
	v_lshrrev_b32_e32 v15, 16, v2
.LBB86_81:
	s_or_b64 exec, exec, s[6:7]
	s_and_saveexec_b64 s[6:7], s[4:5]
	s_cbranch_execz .LBB86_83
; %bb.82:
	v_mov_b32_e32 v9, 0
	v_lshl_add_u64 v[2:3], v[6:7], 0, v[8:9]
	global_load_ushort v2, v[2:3], off offset:32
	s_waitcnt vmcnt(0)
	v_lshlrev_b32_e32 v2, 16, v2
	v_sub_f32_e32 v2, v2, v5
	v_mul_f32_e32 v2, v22, v2
	v_lshrrev_b32_e32 v9, 16, v2
.LBB86_83:
	s_or_b64 exec, exec, s[6:7]
	s_mov_b32 s6, 0x5040100
	v_accvgpr_read_b32 v2, a4
	v_perm_b32 v35, v9, v15, s6
	v_or_b32_e32 v9, v19, v25
	v_accvgpr_read_b32 v3, a5
	v_accvgpr_read_b32 v4, a6
	;; [unrolled: 1-line block ×3, first 2 shown]
	v_perm_b32 v34, v13, v11, s6
	v_lshlrev_b32_e32 v9, 1, v9
	v_mov_b32_e32 v13, 0
	v_mov_b32_e32 v11, 0
	ds_write_b64 v9, v[34:35] offset:24576
	s_and_saveexec_b64 s[6:7], vcc
	s_cbranch_execz .LBB86_85
; %bb.84:
	v_mov_b32_e32 v11, 0
	v_lshl_add_u64 v[34:35], v[6:7], 0, v[10:11]
	global_load_ushort v9, v[34:35], off offset:64
	s_waitcnt vmcnt(0)
	v_lshlrev_b32_e32 v9, 16, v9
	v_sub_f32_e32 v2, v9, v2
	v_mul_f32_e32 v2, v23, v2
	v_lshrrev_b32_e32 v11, 16, v2
.LBB86_85:
	s_or_b64 exec, exec, s[6:7]
	s_and_saveexec_b64 s[6:7], s[0:1]
	s_cbranch_execz .LBB86_87
; %bb.86:
	v_mov_b32_e32 v13, 0
	v_lshl_add_u64 v[34:35], v[6:7], 0, v[12:13]
	global_load_ushort v2, v[34:35], off offset:64
	s_waitcnt vmcnt(0)
	v_lshlrev_b32_e32 v2, 16, v2
	v_sub_f32_e32 v2, v2, v3
	v_mul_f32_e32 v2, v17, v2
	v_lshrrev_b32_e32 v13, 16, v2
.LBB86_87:
	s_or_b64 exec, exec, s[6:7]
	v_mov_b32_e32 v9, 0
	v_mov_b32_e32 v15, 0
	s_and_saveexec_b64 s[6:7], s[2:3]
	s_cbranch_execz .LBB86_89
; %bb.88:
	v_mov_b32_e32 v15, 0
	v_lshl_add_u64 v[2:3], v[6:7], 0, v[14:15]
	global_load_ushort v2, v[2:3], off offset:64
	s_waitcnt vmcnt(0)
	v_lshlrev_b32_e32 v2, 16, v2
	v_sub_f32_e32 v2, v2, v4
	v_mul_f32_e32 v2, v32, v2
	v_lshrrev_b32_e32 v15, 16, v2
.LBB86_89:
	s_or_b64 exec, exec, s[6:7]
	s_and_saveexec_b64 s[6:7], s[4:5]
	s_cbranch_execz .LBB86_91
; %bb.90:
	v_mov_b32_e32 v9, 0
	v_lshl_add_u64 v[2:3], v[6:7], 0, v[8:9]
	global_load_ushort v2, v[2:3], off offset:64
	s_waitcnt vmcnt(0)
	v_lshlrev_b32_e32 v2, 16, v2
	v_sub_f32_e32 v2, v2, v5
	v_mul_f32_e32 v2, v22, v2
	v_lshrrev_b32_e32 v9, 16, v2
.LBB86_91:
	s_or_b64 exec, exec, s[6:7]
	s_mov_b32 s6, 0x5040100
	v_accvgpr_read_b32 v5, a3
	v_perm_b32 v35, v9, v15, s6
	v_or_b32_e32 v9, v19, v24
	v_accvgpr_read_b32 v4, a2
	v_accvgpr_read_b32 v3, a1
	;; [unrolled: 1-line block ×3, first 2 shown]
	v_perm_b32 v34, v13, v11, s6
	v_lshlrev_b32_e32 v9, 1, v9
	v_mov_b32_e32 v13, 0
	v_mov_b32_e32 v11, 0
	ds_write_b64 v9, v[34:35] offset:24576
	s_and_saveexec_b64 s[6:7], vcc
	s_cbranch_execz .LBB86_93
; %bb.92:
	v_mov_b32_e32 v11, 0
	v_lshl_add_u64 v[10:11], v[6:7], 0, v[10:11]
	global_load_ushort v9, v[10:11], off offset:96
	s_waitcnt vmcnt(0)
	v_lshlrev_b32_e32 v9, 16, v9
	v_sub_f32_e32 v2, v9, v2
	v_mul_f32_e32 v2, v23, v2
	v_lshrrev_b32_e32 v11, 16, v2
.LBB86_93:
	s_or_b64 exec, exec, s[6:7]
	s_and_saveexec_b64 s[6:7], s[0:1]
	s_cbranch_execz .LBB86_95
; %bb.94:
	v_mov_b32_e32 v13, 0
	v_lshl_add_u64 v[12:13], v[6:7], 0, v[12:13]
	global_load_ushort v2, v[12:13], off offset:96
	s_waitcnt vmcnt(0)
	v_lshlrev_b32_e32 v2, 16, v2
	v_sub_f32_e32 v2, v2, v3
	v_mul_f32_e32 v2, v17, v2
	v_lshrrev_b32_e32 v13, 16, v2
.LBB86_95:
	s_or_b64 exec, exec, s[6:7]
	v_mov_b32_e32 v9, 0
	v_mov_b32_e32 v12, 0
	s_and_saveexec_b64 s[0:1], s[2:3]
	s_cbranch_execz .LBB86_97
; %bb.96:
	v_mov_b32_e32 v15, 0
	v_lshl_add_u64 v[2:3], v[6:7], 0, v[14:15]
	global_load_ushort v2, v[2:3], off offset:96
	s_waitcnt vmcnt(0)
	v_lshlrev_b32_e32 v2, 16, v2
	v_sub_f32_e32 v2, v2, v4
	v_mul_f32_e32 v2, v32, v2
	v_lshrrev_b32_e32 v12, 16, v2
.LBB86_97:
	s_or_b64 exec, exec, s[0:1]
	v_or_b32_e32 v10, 0x6000, v28
	v_or_b32_e32 v2, 0x6000, v29
	;; [unrolled: 1-line block ×4, first 2 shown]
	s_and_saveexec_b64 s[0:1], s[4:5]
	s_cbranch_execz .LBB86_99
; %bb.98:
	v_mov_b32_e32 v9, 0
	v_lshl_add_u64 v[6:7], v[6:7], 0, v[8:9]
	global_load_ushort v6, v[6:7], off offset:96
	s_waitcnt vmcnt(0)
	v_lshlrev_b32_e32 v6, 16, v6
	v_sub_f32_e32 v5, v6, v5
	v_mul_f32_e32 v5, v22, v5
	v_lshrrev_b32_e32 v9, 16, v5
.LBB86_99:
	s_or_b64 exec, exec, s[0:1]
	s_mov_b32 s0, 0x5040100
	v_or_b32_e32 v5, v19, v21
	v_perm_b32 v7, v9, v12, s0
	v_perm_b32 v6, v13, v11, s0
	v_lshlrev_b32_e32 v5, 1, v5
	ds_write_b64 v5, v[6:7] offset:24576
	v_and_b32_e32 v5, 7, v0
	v_and_b32_e32 v11, 8, v0
	v_lshlrev_b32_e32 v17, 3, v5
	v_lshlrev_b32_e32 v19, 7, v5
	v_lshrrev_b32_e32 v5, 1, v0
	v_and_b32_e32 v5, 24, v5
	v_mov_b32_e32 v12, 0x400
	v_cmp_eq_u32_e32 vcc, 0, v11
	s_movk_i32 s2, 0x100
	v_lshlrev_b32_e32 v21, 3, v45
	v_cndmask_b32_e64 v11, v12, 64, vcc
	v_mov_b32_e32 v12, 0xa000
	v_mov_b32_e32 v13, 0x8000
	v_cmp_gt_u32_e64 s[0:1], s2, v0
	v_xor_b32_e32 v26, v21, v5
	v_or3_b32 v11, v27, v11, v26
	v_cndmask_b32_e64 v0, v12, v13, s[0:1]
	v_or_b32_e32 v12, 0x440, v26
	v_cndmask_b32_e32 v12, v12, v26, vcc
	v_or_b32_e32 v12, v12, v27
	v_xor_b32_e32 v11, v11, v17
	v_xor_b32_e32 v44, v12, v17
	v_or_b32_e32 v83, v11, v19
	v_add3_u32 v12, v0, v44, v19
	v_or_b32_e32 v11, v0, v83
	s_waitcnt lgkmcnt(0)
	s_barrier
	ds_read_b64 v[22:23], v12
	ds_read_b64 v[78:79], v11
	v_or_b32_e32 v12, 32, v5
	v_xor_b32_e32 v12, v21, v12
	v_or_b32_e32 v13, 0x440, v12
	v_cndmask_b32_e32 v12, v13, v12, vcc
	v_or_b32_e32 v12, v12, v27
	v_xor_b32_e32 v82, v12, v17
	v_add3_u32 v12, v0, v82, v19
	ds_read2_b64 v[6:9], v10 offset1:16
	ds_read_b64 v[40:41], v12
	ds_read2_b64 v[12:15], v10 offset0:32 offset1:48
	v_or_b32_e32 v5, 0x60, v5
	v_xor_b32_e32 v5, v21, v5
	s_mul_i32 s0, s18, s17
	v_xor_b32_e32 v11, 0x440, v5
	s_waitcnt lgkmcnt(2)
	v_mfma_f32_16x16x16_bf16 a[0:3], v[22:23], v[6:7], 0
	ds_read2st64_b64 v[28:31], v2 offset0:4 offset1:8
	s_mul_hi_i32 s1, s18, s17
	ds_read2st64_b64 v[32:35], v3 offset0:4 offset1:8
	v_mfma_f32_16x16x16_bf16 a[4:7], v[22:23], v[8:9], 0
	ds_read2st64_b64 v[36:39], v4 offset0:4 offset1:8
	v_cndmask_b32_e32 v5, v11, v5, vcc
	s_add_u32 s0, s0, s47
	s_waitcnt lgkmcnt(3)
	v_mfma_f32_16x16x16_bf16 a[8:11], v[22:23], v[12:13], 0
	v_or_b32_e32 v5, v5, v27
	s_addc_u32 s1, s1, s29
	v_xor_b32_e32 v84, v5, v17
	v_mfma_f32_16x16x16_bf16 a[12:15], v[22:23], v[14:15], 0
	ds_read2st64_b64 v[22:25], v10 offset0:4 offset1:8
	s_lshl_b64 s[0:1], s[0:1], 9
	v_add3_u32 v0, v0, v84, v19
	s_add_u32 s0, s36, s0
	ds_read_b64 v[26:27], v0
	s_addc_u32 s1, s37, s1
	v_lshlrev_b32_e32 v0, 2, v16
	s_waitcnt lgkmcnt(1)
	v_mfma_f32_16x16x16_bf16 a[0:3], v[40:41], v[22:23], a[0:3]
	ds_read_b64 v[10:11], v10 offset:6144
	v_mfma_f32_16x16x16_bf16 a[4:7], v[40:41], v[28:29], a[4:7]
	v_mfma_f32_16x16x16_bf16 a[8:11], v[40:41], v[32:33], a[8:11]
	;; [unrolled: 1-line block ×3, first 2 shown]
	global_load_dwordx4 v[40:43], v0, s[0:1]
	v_lshlrev_b32_e32 v0, 6, v45
	s_waitcnt vmcnt(0)
	v_mul_f32_e32 v40, 0x3fb8aa3b, v40
	v_mfma_f32_16x16x16_bf16 a[0:3], v[78:79], v[24:25], a[0:3]
	v_mul_f32_e32 v41, 0x3fb8aa3b, v41
	v_exp_f32_e32 v40, v40
	v_exp_f32_e32 v41, v41
	v_mfma_f32_16x16x16_bf16 a[4:7], v[78:79], v[30:31], a[4:7]
	v_mfma_f32_16x16x16_bf16 a[8:11], v[78:79], v[34:35], a[8:11]
	;; [unrolled: 1-line block ×3, first 2 shown]
	ds_read_b64 v[16:17], v2 offset:6144
	ds_read_b64 v[78:79], v3 offset:6144
	;; [unrolled: 1-line block ×3, first 2 shown]
	v_lshlrev_b32_e32 v2, 2, v20
	v_or3_b32 v0, v0, v2, s2
	global_load_dwordx4 v[2:5], v0, s[0:1]
	v_add_u32_e32 v20, v44, v19
	ds_read_b64 v[20:21], v20 offset:40960
	s_waitcnt lgkmcnt(4)
	v_mfma_f32_16x16x16_bf16 a[0:3], v[26:27], v[10:11], a[0:3]
	v_mov_b32_e32 v0, 0x3fb8aa3b
	v_mul_f32_e32 v0, s16, v0
	v_exp_f32_e32 v0, v0
	s_waitcnt lgkmcnt(3)
	v_mfma_f32_16x16x16_bf16 a[4:7], v[26:27], v[16:17], a[4:7]
	s_waitcnt vmcnt(0)
	v_mul_f32_e32 v2, 0x3fb8aa3b, v2
	s_waitcnt lgkmcnt(2)
	v_mfma_f32_16x16x16_bf16 a[8:11], v[26:27], v[78:79], a[8:11]
	v_exp_f32_e32 v2, v2
	s_waitcnt lgkmcnt(1)
	v_mfma_f32_16x16x16_bf16 a[12:15], v[26:27], v[80:81], a[12:15]
	v_add_u32_e32 v26, v82, v19
	v_add_u32_e32 v19, v84, v19
	ds_read_b64 v[26:27], v26 offset:40960
	ds_read_b64 v[44:45], v19 offset:40960
	s_waitcnt lgkmcnt(2)
	v_mfma_f32_16x16x16_bf16 a[20:23], v[20:21], v[8:9], 0
	v_pk_mul_f32 v[8:9], v[0:1], v[40:41] op_sel_hi:[0,1]
	v_mfma_f32_16x16x16_bf16 a[16:19], v[20:21], v[6:7], 0
	v_mul_f32_e32 v6, 0x3fb8aa3b, v42
	v_mul_f32_e32 v7, 0x3fb8aa3b, v43
	v_exp_f32_e32 v6, v6
	s_waitcnt lgkmcnt(1)
	v_mfma_f32_16x16x16_bf16 a[20:23], v[26:27], v[28:29], a[20:23]
	v_accvgpr_read_b32 v29, a1
	v_exp_f32_e32 v7, v7
	v_accvgpr_read_b32 v28, a0
	v_pk_fma_f32 v[74:75], v[74:75], v[8:9], v[28:29]
	ds_read_b64 v[28:29], v83 offset:40960
	v_mfma_f32_16x16x16_bf16 a[24:27], v[20:21], v[12:13], 0
	v_pk_mul_f32 v[12:13], v[0:1], v[6:7] op_sel_hi:[0,1]
	v_accvgpr_read_b32 v7, a3
	v_accvgpr_read_b32 v6, a2
	v_pk_fma_f32 v[76:77], v[76:77], v[12:13], v[6:7]
	v_accvgpr_read_b32 v7, a5
	v_mfma_f32_16x16x16_bf16 a[16:19], v[26:27], v[22:23], a[16:19]
	v_accvgpr_read_b32 v6, a4
	v_pk_fma_f32 v[66:67], v[8:9], v[66:67], v[6:7]
	v_accvgpr_read_b32 v6, a8
	v_mfma_f32_16x16x16_bf16 a[28:31], v[20:21], v[14:15], 0
	;; [unrolled: 4-line block ×3, first 2 shown]
	v_accvgpr_read_b32 v21, a11
	v_accvgpr_read_b32 v20, a10
	;; [unrolled: 1-line block ×3, first 2 shown]
	s_waitcnt lgkmcnt(0)
	v_mfma_f32_16x16x16_bf16 a[8:11], v[28:29], v[24:25], a[16:19]
	v_accvgpr_read_b32 v15, a7
	v_accvgpr_read_b32 v14, a6
	;; [unrolled: 1-line block ×4, first 2 shown]
	v_mfma_f32_16x16x16_bf16 a[4:7], v[26:27], v[36:37], a[28:31]
	v_pk_fma_f32 v[50:51], v[8:9], v[50:51], v[6:7]
	v_mov_b32_e32 v6, v5
	v_mov_b32_e32 v5, v4
	v_mfma_f32_16x16x16_bf16 a[12:15], v[28:29], v[30:31], a[20:23]
	v_mov_b32_e32 v4, v3
	v_mul_f32_e32 v3, 0x3fb8aa3b, v4
	v_mul_f32_e32 v4, 0x3fb8aa3b, v5
	v_mfma_f32_16x16x16_bf16 a[0:3], v[28:29], v[34:35], a[0:3]
	v_mul_f32_e32 v5, 0x3fb8aa3b, v6
	v_exp_f32_e32 v4, v4
	v_exp_f32_e32 v5, v5
	v_mfma_f32_16x16x16_bf16 a[8:11], v[44:45], v[10:11], a[8:11]
	v_exp_f32_e32 v3, v3
	v_pk_fma_f32 v[68:69], v[12:13], v[68:69], v[14:15]
	v_pk_mul_f32 v[4:5], v[0:1], v[4:5] op_sel_hi:[0,1]
	v_mfma_f32_16x16x16_bf16 a[4:7], v[28:29], v[38:39], a[4:7]
	v_pk_mul_f32 v[2:3], v[0:1], v[2:3] op_sel_hi:[0,1]
	v_pk_fma_f32 v[60:61], v[12:13], v[60:61], v[20:21]
	v_pk_fma_f32 v[52:53], v[12:13], v[52:53], v[22:23]
	v_mfma_f32_16x16x16_bf16 a[12:15], v[44:45], v[16:17], a[12:15]
	v_accvgpr_read_b32 v7, a11
	v_accvgpr_read_b32 v6, a10
	v_pk_fma_f32 v[72:73], v[72:73], v[4:5], v[6:7]
	v_mfma_f32_16x16x16_bf16 a[0:3], v[44:45], v[78:79], a[0:3]
	v_accvgpr_read_b32 v15, a9
	v_accvgpr_read_b32 v14, a8
	v_pk_fma_f32 v[70:71], v[70:71], v[2:3], v[14:15]
	v_accvgpr_read_b32 v6, a12
	v_accvgpr_read_b32 v7, a13
	v_pk_fma_f32 v[62:63], v[2:3], v[62:63], v[6:7]
	v_accvgpr_read_b32 v9, a15
	v_accvgpr_read_b32 v11, a3
	;; [unrolled: 1-line block ×3, first 2 shown]
	v_mfma_f32_16x16x16_bf16 a[2:5], v[44:45], v[80:81], a[4:7]
	v_accvgpr_read_b32 v7, a1
	v_accvgpr_read_b32 v6, a0
	v_pk_fma_f32 v[56:57], v[2:3], v[56:57], v[6:7]
	v_accvgpr_read_b32 v8, a14
	v_pk_fma_f32 v[64:65], v[4:5], v[64:65], v[8:9]
	v_pk_fma_f32 v[54:55], v[4:5], v[54:55], v[10:11]
	s_nop 0
	v_accvgpr_read_b32 v7, a3
	v_accvgpr_read_b32 v13, a5
	;; [unrolled: 1-line block ×4, first 2 shown]
	v_pk_fma_f32 v[46:47], v[2:3], v[46:47], v[6:7]
	v_pk_fma_f32 v[48:49], v[4:5], v[48:49], v[12:13]
	v_mov_b32_e32 v2, v18
.LBB86_100:
	s_mul_i32 s0, s33, s35
	s_mul_hi_u32 s1, s33, s34
	s_add_i32 s0, s1, s0
	s_mul_i32 s1, s46, s34
	s_add_i32 s1, s0, s1
	s_mul_i32 s0, s33, s34
	s_add_u32 s0, s0, s47
	s_addc_u32 s1, s1, s29
	s_lshl_b64 s[0:1], s[0:1], 15
	s_add_u32 s0, s12, s0
	v_lshlrev_b32_e32 v2, 7, v2
	s_addc_u32 s1, s13, s1
	v_ashrrev_i32_e32 v3, 31, v2
	v_lshl_add_u64 v[4:5], v[2:3], 1, s[0:1]
	v_lshlrev_b32_e32 v0, 1, v1
	v_mov_b32_e32 v1, 0
	s_mov_b32 s2, 0x7060302
	v_lshl_add_u64 v[4:5], v[4:5], 0, v[0:1]
	v_perm_b32 v7, v77, v76, s2
	v_perm_b32 v6, v75, v74, s2
	global_store_dwordx2 v[4:5], v[6:7], off
	v_perm_b32 v7, v73, v72, s2
	v_perm_b32 v6, v71, v70, s2
	global_store_dwordx2 v[4:5], v[6:7], off offset:128
	v_or_b32_e32 v4, 0x800, v2
	v_ashrrev_i32_e32 v5, 31, v4
	v_lshl_add_u64 v[4:5], v[4:5], 1, s[0:1]
	v_lshl_add_u64 v[4:5], v[4:5], 0, v[0:1]
	v_perm_b32 v7, v69, v68, s2
	v_perm_b32 v6, v67, v66, s2
	global_store_dwordx2 v[4:5], v[6:7], off
	v_perm_b32 v7, v65, v64, s2
	v_perm_b32 v6, v63, v62, s2
	global_store_dwordx2 v[4:5], v[6:7], off offset:128
	v_or_b32_e32 v4, 0x1000, v2
	v_or_b32_e32 v2, 0x1800, v2
	v_ashrrev_i32_e32 v5, 31, v4
	v_ashrrev_i32_e32 v3, 31, v2
	v_lshl_add_u64 v[4:5], v[4:5], 1, s[0:1]
	v_lshl_add_u64 v[2:3], v[2:3], 1, s[0:1]
	;; [unrolled: 1-line block ×3, first 2 shown]
	v_perm_b32 v7, v61, v60, s2
	v_perm_b32 v6, v59, v58, s2
	v_lshl_add_u64 v[0:1], v[2:3], 0, v[0:1]
	v_perm_b32 v3, v53, v52, s2
	v_perm_b32 v2, v51, v50, s2
	global_store_dwordx2 v[4:5], v[6:7], off
	v_perm_b32 v7, v55, v54, s2
	v_perm_b32 v6, v57, v56, s2
	global_store_dwordx2 v[0:1], v[2:3], off
	v_perm_b32 v3, v49, v48, s2
	v_perm_b32 v2, v47, v46, s2
	global_store_dwordx2 v[4:5], v[6:7], off offset:128
	global_store_dwordx2 v[0:1], v[2:3], off offset:128
	s_endpgm
	.section	.rodata,"a",@progbits
	.p2align	6, 0x0
	.amdhsa_kernel _ZN12_GLOBAL__N_139chunk_gated_delta_rule_fwd_h_hip_kernelILi64ELb0ELb1ELb0ELb1ELb0ELb1ELb0ELb1EEEvPK12hip_bfloat16S3_S3_PKfS5_PKvPS1_S8_PvPKiSB_iiiiilll
		.amdhsa_group_segment_fixed_size 65536
		.amdhsa_private_segment_fixed_size 0
		.amdhsa_kernarg_size 136
		.amdhsa_user_sgpr_count 2
		.amdhsa_user_sgpr_dispatch_ptr 0
		.amdhsa_user_sgpr_queue_ptr 0
		.amdhsa_user_sgpr_kernarg_segment_ptr 1
		.amdhsa_user_sgpr_dispatch_id 0
		.amdhsa_user_sgpr_kernarg_preload_length 0
		.amdhsa_user_sgpr_kernarg_preload_offset 0
		.amdhsa_user_sgpr_private_segment_size 0
		.amdhsa_uses_dynamic_stack 0
		.amdhsa_enable_private_segment 0
		.amdhsa_system_sgpr_workgroup_id_x 1
		.amdhsa_system_sgpr_workgroup_id_y 1
		.amdhsa_system_sgpr_workgroup_id_z 0
		.amdhsa_system_sgpr_workgroup_info 0
		.amdhsa_system_vgpr_workitem_id 0
		.amdhsa_next_free_vgpr 232
		.amdhsa_next_free_sgpr 67
		.amdhsa_accum_offset 192
		.amdhsa_reserve_vcc 1
		.amdhsa_float_round_mode_32 0
		.amdhsa_float_round_mode_16_64 0
		.amdhsa_float_denorm_mode_32 3
		.amdhsa_float_denorm_mode_16_64 3
		.amdhsa_dx10_clamp 1
		.amdhsa_ieee_mode 1
		.amdhsa_fp16_overflow 0
		.amdhsa_tg_split 0
		.amdhsa_exception_fp_ieee_invalid_op 0
		.amdhsa_exception_fp_denorm_src 0
		.amdhsa_exception_fp_ieee_div_zero 0
		.amdhsa_exception_fp_ieee_overflow 0
		.amdhsa_exception_fp_ieee_underflow 0
		.amdhsa_exception_fp_ieee_inexact 0
		.amdhsa_exception_int_div_zero 0
	.end_amdhsa_kernel
	.section	.text._ZN12_GLOBAL__N_139chunk_gated_delta_rule_fwd_h_hip_kernelILi64ELb0ELb1ELb0ELb1ELb0ELb1ELb0ELb1EEEvPK12hip_bfloat16S3_S3_PKfS5_PKvPS1_S8_PvPKiSB_iiiiilll,"axG",@progbits,_ZN12_GLOBAL__N_139chunk_gated_delta_rule_fwd_h_hip_kernelILi64ELb0ELb1ELb0ELb1ELb0ELb1ELb0ELb1EEEvPK12hip_bfloat16S3_S3_PKfS5_PKvPS1_S8_PvPKiSB_iiiiilll,comdat
.Lfunc_end86:
	.size	_ZN12_GLOBAL__N_139chunk_gated_delta_rule_fwd_h_hip_kernelILi64ELb0ELb1ELb0ELb1ELb0ELb1ELb0ELb1EEEvPK12hip_bfloat16S3_S3_PKfS5_PKvPS1_S8_PvPKiSB_iiiiilll, .Lfunc_end86-_ZN12_GLOBAL__N_139chunk_gated_delta_rule_fwd_h_hip_kernelILi64ELb0ELb1ELb0ELb1ELb0ELb1ELb0ELb1EEEvPK12hip_bfloat16S3_S3_PKfS5_PKvPS1_S8_PvPKiSB_iiiiilll
                                        ; -- End function
	.section	.AMDGPU.csdata,"",@progbits
; Kernel info:
; codeLenInByte = 12656
; NumSgprs: 73
; NumVgprs: 190
; NumAgprs: 40
; TotalNumVgprs: 232
; ScratchSize: 0
; MemoryBound: 0
; FloatMode: 240
; IeeeMode: 1
; LDSByteSize: 65536 bytes/workgroup (compile time only)
; SGPRBlocks: 9
; VGPRBlocks: 28
; NumSGPRsForWavesPerEU: 73
; NumVGPRsForWavesPerEU: 232
; AccumOffset: 192
; Occupancy: 1
; WaveLimiterHint : 1
; COMPUTE_PGM_RSRC2:SCRATCH_EN: 0
; COMPUTE_PGM_RSRC2:USER_SGPR: 2
; COMPUTE_PGM_RSRC2:TRAP_HANDLER: 0
; COMPUTE_PGM_RSRC2:TGID_X_EN: 1
; COMPUTE_PGM_RSRC2:TGID_Y_EN: 1
; COMPUTE_PGM_RSRC2:TGID_Z_EN: 0
; COMPUTE_PGM_RSRC2:TIDIG_COMP_CNT: 0
; COMPUTE_PGM_RSRC3_GFX90A:ACCUM_OFFSET: 47
; COMPUTE_PGM_RSRC3_GFX90A:TG_SPLIT: 0
	.section	.text._ZN12_GLOBAL__N_139chunk_gated_delta_rule_fwd_h_hip_kernelILi64ELb0ELb0ELb1ELb1ELb0ELb1ELb0ELb1EEEvPK12hip_bfloat16S3_S3_PKfS5_PKvPS1_S8_PvPKiSB_iiiiilll,"axG",@progbits,_ZN12_GLOBAL__N_139chunk_gated_delta_rule_fwd_h_hip_kernelILi64ELb0ELb0ELb1ELb1ELb0ELb1ELb0ELb1EEEvPK12hip_bfloat16S3_S3_PKfS5_PKvPS1_S8_PvPKiSB_iiiiilll,comdat
	.globl	_ZN12_GLOBAL__N_139chunk_gated_delta_rule_fwd_h_hip_kernelILi64ELb0ELb0ELb1ELb1ELb0ELb1ELb0ELb1EEEvPK12hip_bfloat16S3_S3_PKfS5_PKvPS1_S8_PvPKiSB_iiiiilll ; -- Begin function _ZN12_GLOBAL__N_139chunk_gated_delta_rule_fwd_h_hip_kernelILi64ELb0ELb0ELb1ELb1ELb0ELb1ELb0ELb1EEEvPK12hip_bfloat16S3_S3_PKfS5_PKvPS1_S8_PvPKiSB_iiiiilll
	.p2align	8
	.type	_ZN12_GLOBAL__N_139chunk_gated_delta_rule_fwd_h_hip_kernelILi64ELb0ELb0ELb1ELb1ELb0ELb1ELb0ELb1EEEvPK12hip_bfloat16S3_S3_PKfS5_PKvPS1_S8_PvPKiSB_iiiiilll,@function
_ZN12_GLOBAL__N_139chunk_gated_delta_rule_fwd_h_hip_kernelILi64ELb0ELb0ELb1ELb1ELb0ELb1ELb0ELb1EEEvPK12hip_bfloat16S3_S3_PKfS5_PKvPS1_S8_PvPKiSB_iiiiilll: ; @_ZN12_GLOBAL__N_139chunk_gated_delta_rule_fwd_h_hip_kernelILi64ELb0ELb0ELb1ELb1ELb0ELb1ELb0ELb1EEEvPK12hip_bfloat16S3_S3_PKfS5_PKvPS1_S8_PvPKiSB_iiiiilll
; %bb.0:
	s_load_dwordx4 s[16:19], s[0:1], 0x5c
	s_load_dwordx4 s[20:23], s[0:1], 0x70
	s_abs_i32 s25, s3
	s_ashr_i32 s24, s3, 31
	s_load_dwordx4 s[12:15], s[0:1], 0x30
	s_load_dwordx4 s[28:31], s[0:1], 0x48
	s_waitcnt lgkmcnt(0)
	s_abs_i32 s34, s17
	v_cvt_f32_u32_e32 v1, s34
	s_sub_i32 s26, 0, s34
	s_ashr_i32 s35, s17, 31
	s_xor_b32 s24, s24, s35
	v_rcp_iflag_f32_e32 v1, v1
	s_load_dwordx8 s[4:11], s[0:1], 0x0
	v_lshrrev_b32_e32 v87, 6, v0
	v_bfe_u32 v88, v0, 4, 2
	v_mul_f32_e32 v1, 0x4f7ffffe, v1
	v_cvt_u32_f32_e32 v1, v1
	v_lshlrev_b32_e32 v2, 2, v88
	v_and_b32_e32 v86, 63, v0
	v_mov_b32_e32 v47, 0
	v_readfirstlane_b32 s27, v1
	s_mul_i32 s26, s26, s27
	s_mul_hi_u32 s26, s27, s26
	s_add_i32 s27, s27, s26
	s_mul_hi_u32 s26, s25, s27
	s_mul_i32 s27, s26, s34
	s_sub_i32 s25, s25, s27
	s_add_i32 s33, s26, 1
	s_sub_i32 s27, s25, s34
	s_cmp_ge_u32 s25, s34
	s_cselect_b32 s26, s33, s26
	s_cselect_b32 s25, s27, s25
	s_add_i32 s27, s26, 1
	s_cmp_ge_u32 s25, s34
	s_cselect_b32 s25, s27, s26
	s_xor_b32 s25, s25, s24
	s_sub_i32 s24, s25, s24
	s_mul_i32 s25, s24, s17
	s_sub_i32 s33, s3, s25
	s_ashr_i32 s25, s24, 31
	s_lshl_b64 s[26:27], s[24:25], 2
	s_add_u32 s28, s28, s26
	s_addc_u32 s29, s29, s27
	s_add_u32 s26, s30, s26
	s_addc_u32 s27, s31, s27
	s_abs_i32 s3, s18
	v_cvt_f32_u32_e32 v1, s3
	s_load_dwordx2 s[38:39], s[28:29], 0x0
	s_sub_i32 s29, 0, s3
	s_load_dword s48, s[26:27], 0x0
	v_rcp_iflag_f32_e32 v1, v1
	v_and_b32_e32 v45, 15, v0
	s_waitcnt lgkmcnt(0)
	s_sub_i32 s49, s39, s38
	s_ashr_i32 s28, s49, 31
	v_mul_f32_e32 v1, 0x4f7ffffe, v1
	v_cvt_u32_f32_e32 v1, v1
	s_lshr_b32 s28, s28, 26
	s_add_i32 s28, s49, s28
	s_ashr_i32 s47, s28, 6
	v_readfirstlane_b32 s30, v1
	s_mul_i32 s29, s29, s30
	s_mul_hi_u32 s29, s30, s29
	s_add_i32 s30, s30, s29
	s_mul_hi_u32 s29, s34, s30
	s_mul_i32 s30, s29, s3
	s_ashr_i32 s28, s18, 31
	s_sub_i32 s30, s34, s30
	s_xor_b32 s28, s35, s28
	s_add_i32 s31, s29, 1
	s_sub_i32 s34, s30, s3
	s_cmp_ge_u32 s30, s3
	s_cselect_b32 s29, s31, s29
	s_cselect_b32 s30, s34, s30
	s_add_i32 s31, s29, 1
	s_cmp_ge_u32 s30, s3
	s_cselect_b32 s3, s31, s29
	s_xor_b32 s3, s3, s28
	s_sub_i32 s3, s3, s28
	s_abs_i32 s28, s3
	v_cvt_f32_u32_e32 v1, s28
	s_sub_i32 s27, 0, s28
	s_abs_i32 s26, s33
	s_xor_b32 s3, s33, s3
	v_rcp_iflag_f32_e32 v1, v1
	s_ashr_i32 s3, s3, 31
	s_load_dwordx2 s[34:35], s[0:1], 0x80
	s_mul_hi_i32 s50, s33, s16
	v_mul_f32_e32 v1, 0x4f7ffffe, v1
	v_cvt_u32_f32_e32 v1, v1
	s_mul_i32 s51, s33, s16
	v_lshrrev_b32_e32 v90, 3, v86
	v_lshlrev_b32_e32 v89, 3, v0
	v_readfirstlane_b32 s29, v1
	s_mul_i32 s27, s27, s29
	s_mul_hi_u32 s27, s29, s27
	s_add_i32 s29, s29, s27
	s_mul_hi_u32 s27, s26, s29
	s_mul_i32 s29, s27, s28
	s_sub_i32 s26, s26, s29
	s_add_i32 s29, s27, 1
	s_sub_i32 s30, s26, s28
	s_cmp_ge_u32 s26, s28
	s_cselect_b32 s27, s29, s27
	s_cselect_b32 s26, s30, s26
	s_add_i32 s29, s27, 1
	s_cmp_ge_u32 s26, s28
	s_cselect_b32 s26, s29, s27
	s_xor_b32 s26, s26, s3
	v_lshlrev_b32_e32 v1, 4, v87
	s_sub_i32 s52, s26, s3
	v_or_b32_e32 v91, v2, v1
	s_lshl_b32 s36, s2, 6
	v_or_b32_e32 v92, 64, v91
	s_cmp_lt_i32 s49, 64
	s_mul_i32 s44, s24, s21
	s_mul_hi_u32 s45, s24, s20
	s_mul_i32 s46, s25, s20
	s_mul_i32 s20, s24, s20
	v_mov_b32_e32 v46, v47
	v_mov_b32_e32 v53, v47
	;; [unrolled: 1-line block ×31, first 2 shown]
	s_cbranch_scc1 .LBB87_18
; %bb.1:
	s_ashr_i32 s55, s33, 31
	s_ashr_i32 s3, s38, 31
	s_add_u32 s2, s51, s38
	s_addc_u32 s3, s50, s3
	s_lshl_b64 s[2:3], s[2:3], 8
	v_and_b32_e32 v94, 56, v89
	s_add_u32 s24, s6, s2
	v_lshl_or_b32 v93, v87, 3, v90
	v_lshlrev_b32_e32 v3, 1, v94
	s_addc_u32 s2, s7, s3
	v_lshl_or_b32 v95, v93, 8, v3
	s_and_b32 s25, s2, 0xffff
	s_mov_b32 s27, 0x20000
	s_movk_i32 s26, 0x4000
	s_movk_i32 s2, 0x80
	v_or_b32_e32 v96, 0x2000, v95
	buffer_load_dwordx4 v[4:7], v95, s[24:27], 0 offen
	buffer_load_dwordx4 v[8:11], v95, s[24:27], s2 offen
	;; [unrolled: 1-line block ×4, first 2 shown]
	v_lshlrev_b32_e32 v20, 3, v93
	v_and_or_b32 v22, v0, 7, v20
	v_and_b32_e32 v20, 0x78, v20
	v_lshlrev_b32_e32 v22, 4, v22
	v_xor_b32_e32 v97, v22, v20
	v_mul_lo_u32 v21, v93, s19
	v_or_b32_e32 v98, 0x1000, v97
	s_cmpk_eq_i32 s19, 0x80
	s_mov_b32 s53, s17
	s_mov_b32 s54, s38
	v_xor_b32_e32 v20, 8, v97
	v_xor_b32_e32 v22, 8, v98
	s_cselect_b64 s[2:3], -1, 0
	s_cmpk_lg_i32 s19, 0x80
	s_waitcnt vmcnt(3)
	ds_write_b64 v97, v[4:5] offset:49152
	ds_write_b64 v20, v[6:7] offset:49152
	s_waitcnt vmcnt(2)
	ds_write_b64 v97, v[8:9] offset:57344
	ds_write_b64 v20, v[10:11] offset:57344
	s_waitcnt vmcnt(1)
	ds_write_b64 v97, v[12:13] offset:53248
	ds_write_b64 v22, v[14:15] offset:49152
	s_waitcnt vmcnt(0)
	ds_write_b64 v97, v[16:17] offset:61440
	ds_write_b64 v22, v[18:19] offset:57344
	v_lshl_add_u32 v4, v21, 1, v94
	s_cbranch_scc0 .LBB87_3
; %bb.2:
	v_lshlrev_b32_e32 v6, 1, v4
	v_add_lshl_u32 v5, v4, s19, 1
	s_lshl_b32 s26, s19, 7
	s_load_dwordx2 s[40:41], s[0:1], 0x20
	v_lshl_or_b32 v3, v93, 9, v3
	s_cbranch_execz .LBB87_4
	s_branch .LBB87_5
.LBB87_3:
                                        ; implicit-def: $vgpr5
                                        ; implicit-def: $vgpr6
                                        ; implicit-def: $sgpr26
	s_load_dwordx2 s[40:41], s[0:1], 0x20
	v_lshl_or_b32 v3, v93, 9, v3
.LBB87_4:
	v_or_b32_e32 v5, 0x100, v3
	s_movk_i32 s26, 0x4000
	v_mov_b32_e32 v6, v3
.LBB87_5:
	s_mul_i32 s0, s38, s18
	s_ashr_i32 s56, s52, 31
	s_mul_hi_i32 s1, s38, s18
	s_add_u32 s0, s0, s52
	s_addc_u32 s1, s1, s56
	s_lshl_b64 s[0:1], s[0:1], 8
	s_add_u32 s24, s4, s0
	s_addc_u32 s0, s5, s1
	s_and_b32 s25, s0, 0xffff
	s_movk_i32 s57, 0x80
	buffer_load_dwordx4 v[8:11], v6, s[24:27], 0 offen
	buffer_load_dwordx4 v[12:15], v6, s[24:27], s57 offen
	;; [unrolled: 1-line block ×4, first 2 shown]
	v_and_b32_e32 v5, 6, v0
	v_lshlrev_b32_e32 v6, 7, v91
	v_xor_b32_e32 v28, v93, v5
	v_and_b32_e32 v7, 1, v0
	v_lshl_or_b32 v31, v45, 3, v6
	v_lshlrev_b32_e32 v28, 2, v28
	v_lshlrev_b32_e32 v24, 2, v45
	v_or_b32_e32 v99, 0x4000, v31
	v_or_b32_e32 v100, 0x6000, v31
	v_xor_b32_e32 v31, 0x440, v28
	v_cmp_eq_u32_e32 vcc, 0, v7
	v_or_b32_e32 v26, 16, v45
	v_or_b32_e32 v27, 32, v45
	v_xor_b32_e32 v29, v91, v24
	v_xor_b32_e32 v30, v92, v24
	v_cndmask_b32_e32 v7, v31, v28, vcc
	s_add_i32 s0, s45, s44
	s_mov_b32 s58, 0x1000504
	v_lshl_or_b32 v32, v26, 3, v6
	v_lshlrev_b32_e32 v26, 8, v26
	v_lshl_or_b32 v33, v27, 3, v6
	v_lshlrev_b32_e32 v29, 1, v29
	v_lshlrev_b32_e32 v30, 1, v30
	v_lshl_or_b32 v5, v5, 10, v7
	s_add_i32 s21, s0, s46
	s_mul_i32 s0, s33, s23
	s_mul_hi_u32 s1, s33, s22
	s_mov_b32 s59, 0x3020706
	v_lshlrev_b32_e32 v25, 8, v45
	v_or_b32_e32 v103, 0x4000, v33
	v_or_b32_e32 v104, 0x6000, v33
	;; [unrolled: 1-line block ×4, first 2 shown]
	v_xor_b32_e32 v7, 8, v5
	v_xor_b32_e32 v26, 24, v5
	;; [unrolled: 1-line block ×4, first 2 shown]
	s_add_i32 s0, s1, s0
	s_mul_i32 s1, s55, s22
	v_or_b32_e32 v101, 0x4000, v32
	v_or_b32_e32 v102, 0x6000, v32
	;; [unrolled: 1-line block ×4, first 2 shown]
	v_xor_b32_e32 v25, 16, v5
	v_xor_b32_e32 v28, 32, v5
	;; [unrolled: 1-line block ×3, first 2 shown]
	v_add_u32_e32 v7, 0x80, v7
	v_add_u32_e32 v26, 0x80, v26
	;; [unrolled: 1-line block ×4, first 2 shown]
	s_add_i32 s1, s0, s1
	s_lshl_b64 s[24:25], s[20:21], 2
	s_mul_i32 s0, s33, s22
	s_add_u32 s21, s10, s24
	s_addc_u32 s24, s11, s25
	s_lshl_b64 s[0:1], s[0:1], 2
	s_add_u32 s42, s21, s0
	s_movk_i32 s0, 0xf8
	s_addc_u32 s43, s24, s1
	s_ashr_i32 s37, s36, 31
	s_lshl_b32 s30, s19, 7
	v_mov_b32_e32 v79, 0
	s_movk_i32 s21, 0x100
	v_lshlrev_b32_e32 v78, 4, v45
	v_lshlrev_b32_e32 v27, 8, v27
	s_mov_b32 s61, 0
	s_movk_i32 s26, 0x4000
	v_or_b32_e32 v109, v27, v29
	v_or_b32_e32 v110, v27, v30
	v_add_u32_e32 v136, v1, v2
	s_movk_i32 s60, 0x3000
	v_mov_b32_e32 v146, 0x3fb8aa3b
	v_mov_b32_e32 v70, v79
	;; [unrolled: 1-line block ×7, first 2 shown]
	s_waitcnt vmcnt(1)
	v_perm_b32 v34, v8, v16, s58
	s_waitcnt vmcnt(0)
	v_perm_b32 v35, v12, v20, s58
	v_perm_b32 v8, v8, v16, s59
	;; [unrolled: 1-line block ×15, first 2 shown]
	ds_write2st64_b32 v5, v34, v35 offset0:128 offset1:160
	ds_write2st64_b32 v7, v8, v12 offset0:128 offset1:160
	;; [unrolled: 1-line block ×8, first 2 shown]
	v_or_b32_e32 v5, 48, v45
	v_lshl_or_b32 v7, v5, 3, v6
	v_lshlrev_b32_e32 v5, 8, v5
	v_or_b32_e32 v113, v5, v29
	v_or_b32_e32 v114, v5, v30
	;; [unrolled: 1-line block ×3, first 2 shown]
	v_lshlrev_b32_e32 v5, 3, v5
	v_lshrrev_b32_e32 v9, 5, v86
	v_and_or_b32 v9, v5, s0, v9
	v_lshlrev_b32_e32 v9, 4, v9
	v_lshlrev_b32_e32 v11, 11, v87
	v_and_b32_e32 v5, 0x78, v5
	v_or_b32_e32 v14, 32, v9
	v_and_b32_e32 v8, 0x1000, v11
	v_xor_b32_e32 v10, v9, v5
	v_lshrrev_b32_e32 v12, 1, v86
	v_xor_b32_e32 v14, v14, v5
	v_or_b32_e32 v10, v10, v8
	v_and_b32_e32 v12, 8, v12
	v_or_b32_e32 v14, v14, v8
	v_xor_b32_e32 v115, v10, v12
	v_lshlrev_b32_e32 v10, 8, v88
	v_xor_b32_e32 v117, v14, v12
	v_or_b32_e32 v14, 64, v9
	v_or_b32_e32 v9, 0x60, v9
	;; [unrolled: 1-line block ×3, first 2 shown]
	v_xor_b32_e32 v14, v14, v5
	v_xor_b32_e32 v5, v9, v5
	v_lshlrev_b32_e32 v13, 1, v13
	v_or_b32_e32 v14, v14, v8
	v_or_b32_e32 v5, v5, v8
	s_lshl_b64 s[0:1], s[36:37], 8
	v_or_b32_e32 v116, 0x4000, v13
	v_or_b32_e32 v118, 0x4080, v13
	;; [unrolled: 1-line block ×4, first 2 shown]
	v_xor_b32_e32 v121, v14, v12
	v_xor_b32_e32 v122, v5, v12
	v_or_b32_e32 v123, 0x6000, v13
	v_or_b32_e32 v124, 0x6080, v13
	v_or_b32_e32 v125, 0x6100, v13
	v_or_b32_e32 v126, 0x6180, v13
	v_lshlrev_b32_e32 v12, 1, v4
	v_add_lshl_u32 v13, v4, s19, 1
	s_add_u32 s0, s12, s0
	v_lshlrev_b32_e32 v4, 1, v45
	v_lshrrev_b32_e32 v15, 4, v0
	s_addc_u32 s1, s13, s1
	v_or_b32_e32 v5, 1, v4
	v_lshlrev_b32_e32 v18, 2, v0
	v_or_b32_e32 v14, 0x100, v3
	v_xor_b32_e32 v16, v15, v4
	v_xor_b32_e32 v17, v5, v15
	v_lshl_add_u64 v[4:5], s[0:1], 0, v[78:79]
	v_lshlrev_b32_e32 v78, 8, v15
	v_lshrrev_b32_e32 v19, 1, v0
	v_and_or_b32 v10, v18, 60, v10
	v_cndmask_b32_e64 v133, v12, v3, s[2:3]
	v_mov_b32_e32 v3, 0xa000
	v_mov_b32_e32 v12, 0x8000
	v_cmp_gt_u32_e64 s[0:1], s21, v0
	v_lshl_or_b32 v127, v16, 3, v78
	v_and_b32_e32 v16, 8, v0
	v_and_b32_e32 v19, 24, v19
	v_lshlrev_b32_e32 v10, 1, v10
	v_cndmask_b32_e64 v3, v3, v12, s[0:1]
	v_lshlrev_b32_e32 v12, 3, v87
	v_or_b32_e32 v129, 0x6000, v10
	v_or_b32_e32 v130, 0x6080, v10
	;; [unrolled: 1-line block ×4, first 2 shown]
	v_mov_b32_e32 v10, 0x400
	v_cmp_eq_u32_e32 vcc, 0, v16
	v_cndmask_b32_e64 v134, v13, v14, s[2:3]
	v_xor_b32_e32 v13, v12, v19
	v_and_b32_e32 v15, 7, v0
	v_cndmask_b32_e64 v16, v10, 64, vcc
	v_or_b32_e32 v14, 0x440, v13
	v_lshl_or_b32 v128, v17, 3, v78
	v_lshlrev_b32_e32 v17, 3, v15
	v_or_b32_e32 v18, 32, v19
	v_or_b32_e32 v20, 0x60, v19
	v_cndmask_b32_e32 v14, v14, v13, vcc
	v_or3_b32 v13, v11, v16, v13
	v_lshlrev_b32_e32 v15, 7, v15
	v_xor_b32_e32 v18, v12, v18
	v_xor_b32_e32 v13, v13, v17
	;; [unrolled: 1-line block ×3, first 2 shown]
	v_or_b32_e32 v21, 0x440, v18
	v_or_b32_e32 v135, v13, v15
	v_xor_b32_e32 v13, 0x440, v12
	v_cndmask_b32_e32 v18, v21, v18, vcc
	v_cndmask_b32_e32 v12, v13, v12, vcc
	v_or_b32_e32 v111, 0x4000, v7
	v_or_b32_e32 v112, 0x6000, v7
	v_lshrrev_b32_e32 v7, 2, v86
	v_or_b32_e32 v8, s36, v45
	v_or_b32_e32 v14, v14, v11
	;; [unrolled: 1-line block ×4, first 2 shown]
	v_and_b32_e32 v7, 12, v7
	v_ashrrev_i32_e32 v9, 31, v8
	v_xor_b32_e32 v14, v14, v17
	v_xor_b32_e32 v18, v18, v17
	;; [unrolled: 1-line block ×3, first 2 shown]
	v_or_b32_e32 v10, v1, v7
	v_add_u32_e32 v19, v3, v14
	v_add_u32_e32 v21, v3, v18
	;; [unrolled: 1-line block ×3, first 2 shown]
	v_or3_b32 v12, v1, v7, 64
	v_add_u32_e32 v7, 0xa000, v14
	v_add_u32_e32 v14, 0xa000, v18
	;; [unrolled: 1-line block ×3, first 2 shown]
	v_lshlrev_b64 v[8:9], 1, v[8:9]
	v_lshl_add_u64 v[80:81], s[8:9], 0, v[8:9]
	v_lshl_add_u64 v[82:83], s[14:15], 0, v[8:9]
	;; [unrolled: 1-line block ×3, first 2 shown]
	s_mov_b32 s21, 0x7060302
	v_lshlrev_b32_e32 v78, 1, v6
	s_movk_i32 s37, 0x2000
	v_lshlrev_b32_e32 v137, 2, v10
	v_add_u32_e32 v138, v19, v15
	v_add_u32_e32 v139, v21, v15
	;; [unrolled: 1-line block ×4, first 2 shown]
	v_lshlrev_b32_e32 v142, 2, v12
	v_add_u32_e32 v143, v7, v15
	v_add_u32_e32 v144, v14, v15
	;; [unrolled: 1-line block ×3, first 2 shown]
	v_mov_b32_e32 v76, v79
	v_mov_b32_e32 v77, v79
	;; [unrolled: 1-line block ×26, first 2 shown]
	s_waitcnt lgkmcnt(0)
	s_barrier
.LBB87_6:                               ; =>This Inner Loop Header: Depth=1
	s_add_i32 s62, s61, 1
	s_cmp_lt_i32 s62, s47
	s_mov_b64 s[28:29], 0
	s_cselect_b64 s[2:3], -1, 0
	s_cmp_ge_i32 s62, s47
	s_mov_b64 s[24:25], 0
	s_cbranch_scc1 .LBB87_8
; %bb.7:                                ;   in Loop: Header=BB87_6 Depth=1
	s_add_i32 s0, s54, 64
	s_ashr_i32 s1, s0, 31
	s_add_u32 s0, s51, s0
	s_addc_u32 s1, s50, s1
	s_lshl_b64 s[0:1], s[0:1], 8
	s_add_u32 s24, s6, s0
	s_addc_u32 s25, s7, s1
.LBB87_8:                               ;   in Loop: Header=BB87_6 Depth=1
	v_cndmask_b32_e64 v2, 0, 1, s[2:3]
	v_cmp_ne_u32_e64 s[0:1], 1, v2
	s_andn2_b64 vcc, exec, s[2:3]
	s_cbranch_vccnz .LBB87_10
; %bb.9:                                ;   in Loop: Header=BB87_6 Depth=1
	s_add_i32 s2, s54, 64
	s_mul_hi_i32 s3, s2, s18
	s_mul_i32 s2, s2, s18
	s_add_u32 s2, s2, s52
	s_addc_u32 s3, s3, s56
	s_lshl_b64 s[2:3], s[2:3], 8
	s_add_u32 s28, s4, s2
	s_addc_u32 s29, s5, s3
.LBB87_10:                              ;   in Loop: Header=BB87_6 Depth=1
	v_perm_b32 v3, v77, v76, s21
	v_perm_b32 v2, v75, v74, s21
	v_perm_b32 v5, v73, v72, s21
	v_perm_b32 v4, v71, v70, s21
	ds_write_b64 v99, v[2:3]
	ds_write_b64 v100, v[4:5]
	ds_write_b64 v105, v[2:3]
	ds_write_b64 v106, v[4:5]
	v_perm_b32 v3, v69, v68, s21
	v_perm_b32 v2, v67, v66, s21
	v_perm_b32 v5, v65, v64, s21
	v_perm_b32 v4, v63, v62, s21
	ds_write_b64 v101, v[2:3]
	ds_write_b64 v102, v[4:5]
	ds_write_b64 v107, v[2:3]
	ds_write_b64 v108, v[4:5]
	;; [unrolled: 8-line block ×4, first 2 shown]
	s_waitcnt lgkmcnt(0)
	s_barrier
	ds_read_b64 v[6:7], v115 offset:49152
	ds_read2_b64 v[2:5], v116 offset1:16
	ds_read_b64 v[18:19], v118 offset:6144
	ds_read_b64 v[20:21], v116 offset:6144
	s_waitcnt lgkmcnt(2)
	v_mfma_f32_16x16x16_bf16 a[0:3], v[6:7], v[2:3], 0
	ds_read_b64 v[22:23], v117 offset:49152
	ds_read2st64_b64 v[10:13], v119 offset0:4 offset1:8
	ds_read2st64_b64 v[14:17], v120 offset0:4 offset1:8
	v_mfma_f32_16x16x16_bf16 a[4:7], v[6:7], v[4:5], 0
	ds_read2_b64 v[2:5], v116 offset0:32 offset1:48
	s_add_i32 s63, s54, 63
	s_ashr_i32 s2, s63, 31
	s_waitcnt lgkmcnt(0)
	v_mfma_f32_16x16x16_bf16 a[8:11], v[6:7], v[2:3], 0
	s_mul_i32 s3, s63, s35
	s_mul_hi_u32 s31, s63, s34
	s_add_i32 s3, s31, s3
	v_mfma_f32_16x16x16_bf16 a[12:15], v[6:7], v[4:5], 0
	ds_read2st64_b64 v[2:5], v116 offset0:4 offset1:8
	ds_read2st64_b64 v[6:9], v118 offset0:4 offset1:8
	s_mul_i32 s2, s2, s34
	s_waitcnt lgkmcnt(1)
	v_mfma_f32_16x16x16_bf16 a[0:3], v[22:23], v[2:3], a[0:3]
	s_add_i32 s3, s3, s2
	s_mul_i32 s2, s63, s34
	s_lshl_b64 s[2:3], s[2:3], 2
	s_waitcnt lgkmcnt(0)
	v_mfma_f32_16x16x16_bf16 a[4:7], v[22:23], v[6:7], a[4:7]
	s_add_u32 s2, s42, s2
	s_addc_u32 s3, s43, s3
	s_and_b64 vcc, exec, s[0:1]
	v_mfma_f32_16x16x16_bf16 a[8:11], v[22:23], v[10:11], a[8:11]
	ds_read_b64 v[2:3], v121 offset:49152
	ds_read_b64 v[6:7], v122 offset:49152
	;; [unrolled: 1-line block ×3, first 2 shown]
	v_mov_b32_e32 v149, 0
	v_mov_b32_e32 v148, 0
	v_mfma_f32_16x16x16_bf16 a[12:15], v[22:23], v[14:15], a[12:15]
	v_mov_b32_e32 v147, 0
	v_mov_b32_e32 v14, 0
	v_mov_b32_e32 v15, 0
	s_waitcnt lgkmcnt(2)
	v_mfma_f32_16x16x16_bf16 a[0:3], v[2:3], v[4:5], a[0:3]
	v_mov_b32_e32 v4, 0
	v_mov_b32_e32 v5, 0
	v_mfma_f32_16x16x16_bf16 a[4:7], v[2:3], v[8:9], a[4:7]
	v_mov_b32_e32 v8, 0
	v_mov_b32_e32 v9, 0
	;; [unrolled: 3-line block ×3, first 2 shown]
	v_mfma_f32_16x16x16_bf16 a[12:15], v[2:3], v[16:17], a[12:15]
	ds_read_b64 v[2:3], v119 offset:6144
	v_mov_b32_e32 v16, 0
	v_mov_b32_e32 v17, 0
	s_waitcnt lgkmcnt(2)
	v_mfma_f32_16x16x16_bf16 a[0:3], v[6:7], v[20:21], a[0:3]
	v_mfma_f32_16x16x16_bf16 a[4:7], v[6:7], v[18:19], a[4:7]
	s_waitcnt lgkmcnt(0)
	v_mfma_f32_16x16x16_bf16 a[8:11], v[6:7], v[2:3], a[8:11]
	v_mov_b32_e32 v2, 0
	v_mov_b32_e32 v3, 0
	v_mfma_f32_16x16x16_bf16 a[12:15], v[6:7], v[10:11], a[12:15]
	v_mov_b32_e32 v6, 0
	v_mov_b32_e32 v7, 0
	;; [unrolled: 1-line block ×4, first 2 shown]
	s_cbranch_vccnz .LBB87_12
; %bb.11:                               ;   in Loop: Header=BB87_6 Depth=1
	s_and_b32 s25, s25, 0xffff
	buffer_load_dwordx4 v[14:17], v95, s[24:27], 0 offen
	buffer_load_dwordx4 v[10:13], v95, s[24:27], s57 offen
	;; [unrolled: 1-line block ×4, first 2 shown]
	v_mov_b32_e32 v148, v97
	v_mov_b32_e32 v147, v98
.LBB87_12:                              ;   in Loop: Header=BB87_6 Depth=1
	ds_read_b64 v[38:39], v115 offset:57344
	ds_read2_b64 v[18:21], v123 offset1:16
	ds_read_b64 v[40:41], v117 offset:57344
	ds_read_b64 v[42:43], v121 offset:57344
	;; [unrolled: 1-line block ×3, first 2 shown]
	s_waitcnt lgkmcnt(3)
	v_mfma_f32_16x16x16_bf16 a[0:3], v[38:39], v[18:19], a[0:3]
	v_mfma_f32_16x16x16_bf16 a[4:7], v[38:39], v[20:21], a[4:7]
	ds_read2_b64 v[18:21], v123 offset0:32 offset1:48
	ds_read2st64_b64 v[22:25], v123 offset0:4 offset1:8
	ds_read2st64_b64 v[26:29], v124 offset0:4 offset1:8
	;; [unrolled: 1-line block ×4, first 2 shown]
	s_waitcnt lgkmcnt(4)
	v_mfma_f32_16x16x16_bf16 a[8:11], v[38:39], v[18:19], a[8:11]
	v_mfma_f32_16x16x16_bf16 a[12:15], v[38:39], v[20:21], a[12:15]
	v_add_u32_e32 v38, s54, v136
	v_ashrrev_i32_e32 v18, 31, v38
	v_mul_lo_u32 v20, v18, s34
	v_mul_lo_u32 v21, v38, s35
	v_mad_u64_u32 v[18:19], s[24:25], v38, s34, 0
	v_add3_u32 v19, v19, v21, v20
	v_add_u32_e32 v20, 1, v38
	v_ashrrev_i32_e32 v21, 31, v20
	s_waitcnt lgkmcnt(3)
	v_mfma_f32_16x16x16_bf16 a[0:3], v[40:41], v[22:23], a[0:3]
	v_mul_lo_u32 v22, v21, s34
	v_mul_lo_u32 v23, v20, s35
	v_mad_u64_u32 v[20:21], s[24:25], v20, s34, 0
	v_add3_u32 v21, v21, v23, v22
	v_add_u32_e32 v22, 2, v38
	v_ashrrev_i32_e32 v23, 31, v22
	s_waitcnt lgkmcnt(2)
	v_mfma_f32_16x16x16_bf16 a[4:7], v[40:41], v[26:27], a[4:7]
	v_mul_lo_u32 v26, v23, s34
	v_mul_lo_u32 v27, v22, s35
	v_mad_u64_u32 v[22:23], s[24:25], v22, s34, 0
	v_lshl_add_u64 v[18:19], v[18:19], 2, s[42:43]
	v_lshl_add_u64 v[20:21], v[20:21], 2, s[42:43]
	v_add3_u32 v23, v23, v27, v26
	v_add_u32_e32 v26, 3, v38
	s_waitcnt lgkmcnt(1)
	v_mfma_f32_16x16x16_bf16 a[8:11], v[40:41], v[30:31], a[8:11]
	global_load_dword v31, v[18:19], off
	v_ashrrev_i32_e32 v27, 31, v26
	v_mul_lo_u32 v27, v27, s34
	s_waitcnt lgkmcnt(0)
	v_mfma_f32_16x16x16_bf16 a[12:15], v[40:41], v[34:35], a[12:15]
	global_load_dword v34, v[20:21], off
	v_mad_u64_u32 v[18:19], s[24:25], v26, s34, 0
	s_ashr_i32 s25, s54, 31
	v_mul_lo_u32 v30, v26, s35
	s_add_u32 s24, s51, s54
	v_lshl_add_u64 v[22:23], v[22:23], 2, s[42:43]
	v_add3_u32 v19, v19, v30, v27
	s_addc_u32 s25, s50, s25
	v_lshl_add_u64 v[18:19], v[18:19], 2, s[42:43]
	global_load_dword v30, v[22:23], off
	global_load_dword v35, v[18:19], off
	s_lshl_b64 s[24:25], s[24:25], 8
	v_lshl_add_u64 v[18:19], v[80:81], 0, s[24:25]
	v_lshl_add_u64 v[18:19], v[18:19], 0, v[78:79]
	global_load_ushort v38, v[18:19], off offset:256
	global_load_ushort v39, v[18:19], off
	global_load_ushort v40, v[18:19], off offset:768
	global_load_ushort v41, v[18:19], off offset:512
	;; [unrolled: 1-line block ×6, first 2 shown]
	s_load_dword s2, s[2:3], 0x0
	v_mfma_f32_16x16x16_bf16 a[12:15], v[42:43], v[36:37], a[12:15]
	global_load_ushort v36, v[18:19], off offset:320
	global_load_ushort v37, v[18:19], off offset:64
	s_and_b64 vcc, exec, s[0:1]
	v_mfma_f32_16x16x16_bf16 a[0:3], v[42:43], v[24:25], a[0:3]
	ds_read_b64 v[20:21], v123 offset:6144
	ds_read_b64 v[22:23], v124 offset:6144
	;; [unrolled: 1-line block ×4, first 2 shown]
	v_mfma_f32_16x16x16_bf16 a[4:7], v[42:43], v[28:29], a[4:7]
	s_waitcnt vmcnt(11) lgkmcnt(0)
	v_sub_f32_e32 v28, s2, v30
	v_mfma_f32_16x16x16_bf16 a[8:11], v[42:43], v[32:33], a[8:11]
	global_load_ushort v42, v[18:19], off offset:832
	global_load_ushort v43, v[18:19], off offset:576
	;; [unrolled: 1-line block ×6, first 2 shown]
	v_mfma_f32_16x16x16_bf16 a[0:3], v[150:151], v[20:21], a[0:3]
	s_waitcnt vmcnt(16)
	v_sub_f32_e32 v29, s2, v35
	v_mul_f32_e32 v28, 0x3fb8aa3b, v28
	v_mul_f32_e32 v29, 0x3fb8aa3b, v29
	v_exp_f32_e32 v28, v28
	v_exp_f32_e32 v29, v29
	s_waitcnt vmcnt(15)
	v_lshlrev_b32_e32 v33, 16, v38
	s_waitcnt vmcnt(14)
	v_lshlrev_b32_e32 v32, 16, v39
	v_accvgpr_read_b32 v21, a3
	v_accvgpr_read_b32 v20, a2
	v_mfma_f32_16x16x16_bf16 a[2:5], v[150:151], v[22:23], a[4:7]
	v_mfma_f32_16x16x16_bf16 a[6:9], v[150:151], v[24:25], a[8:11]
	s_nop 5
	v_accvgpr_read_b32 v23, a5
	v_accvgpr_read_b32 v22, a4
	;; [unrolled: 1-line block ×4, first 2 shown]
	v_mfma_f32_16x16x16_bf16 a[8:11], v[150:151], v[26:27], a[12:15]
	v_sub_f32_e32 v26, s2, v31
	v_sub_f32_e32 v27, s2, v34
	v_mul_f32_e32 v26, 0x3fb8aa3b, v26
	v_mul_f32_e32 v27, 0x3fb8aa3b, v27
	v_exp_f32_e32 v26, v26
	v_exp_f32_e32 v27, v27
	v_accvgpr_read_b32 v35, a1
	v_accvgpr_read_b32 v34, a0
	v_lshl_add_u64 v[30:31], v[82:83], 0, s[24:25]
	v_pk_add_f32 v[32:33], v[32:33], v[34:35] neg_lo:[0,1] neg_hi:[0,1]
	s_waitcnt vmcnt(13)
	v_lshlrev_b32_e32 v35, 16, v40
	s_waitcnt vmcnt(12)
	v_lshlrev_b32_e32 v34, 16, v41
	v_lshl_add_u64 v[30:31], v[30:31], 0, v[78:79]
	v_pk_add_f32 v[20:21], v[34:35], v[20:21] neg_lo:[0,1] neg_hi:[0,1]
	global_store_short_d16_hi v[30:31], v32, off
	global_store_short_d16_hi v[30:31], v33, off offset:256
	global_store_short_d16_hi v[30:31], v20, off offset:512
	global_store_short_d16_hi v[30:31], v21, off offset:768
	v_pk_mul_f32 v[32:33], v[26:27], v[32:33]
	v_pk_mul_f32 v[20:21], v[28:29], v[20:21]
	v_accvgpr_read_b32 v35, a3
	v_perm_b32 v21, v21, v20, s21
	v_perm_b32 v20, v33, v32, s21
	s_waitcnt vmcnt(15)
	v_lshlrev_b32_e32 v33, 16, v44
	s_waitcnt vmcnt(14)
	v_lshlrev_b32_e32 v32, 16, v152
	v_accvgpr_read_b32 v34, a2
	v_pk_add_f32 v[32:33], v[32:33], v[34:35] neg_lo:[0,1] neg_hi:[0,1]
	s_waitcnt vmcnt(13)
	v_lshlrev_b32_e32 v35, 16, v153
	s_waitcnt vmcnt(12)
	v_lshlrev_b32_e32 v34, 16, v154
	v_pk_add_f32 v[22:23], v[34:35], v[22:23] neg_lo:[0,1] neg_hi:[0,1]
	global_store_short_d16_hi v[30:31], v32, off offset:32
	global_store_short_d16_hi v[30:31], v33, off offset:288
	;; [unrolled: 1-line block ×4, first 2 shown]
	v_pk_mul_f32 v[32:33], v[26:27], v[32:33]
	v_pk_mul_f32 v[22:23], v[28:29], v[22:23]
	v_accvgpr_read_b32 v25, a11
	v_perm_b32 v23, v23, v22, s21
	v_perm_b32 v22, v33, v32, s21
	ds_write2_b64 v100, v[20:21], v[22:23] offset1:16
	v_accvgpr_read_b32 v23, a7
	s_waitcnt vmcnt(15)
	v_lshlrev_b32_e32 v21, 16, v36
	s_waitcnt vmcnt(14)
	v_lshlrev_b32_e32 v20, 16, v37
	v_accvgpr_read_b32 v22, a6
	v_pk_add_f32 v[20:21], v[20:21], v[22:23] neg_lo:[0,1] neg_hi:[0,1]
	global_store_short_d16_hi v[30:31], v20, off offset:64
	global_store_short_d16_hi v[30:31], v21, off offset:320
	v_pk_mul_f32 v[20:21], v[26:27], v[20:21]
	v_accvgpr_read_b32 v24, a10
	v_perm_b32 v20, v21, v20, s21
	v_mov_b32_e32 v150, 0
	v_mov_b32_e32 v32, 0
	;; [unrolled: 1-line block ×3, first 2 shown]
	s_waitcnt vmcnt(15)
	v_lshlrev_b32_e32 v23, 16, v42
	s_waitcnt vmcnt(14)
	v_lshlrev_b32_e32 v22, 16, v43
	v_pk_add_f32 v[18:19], v[22:23], v[18:19] neg_lo:[0,1] neg_hi:[0,1]
	global_store_short_d16_hi v[30:31], v18, off offset:576
	global_store_short_d16_hi v[30:31], v19, off offset:832
	v_pk_mul_f32 v[18:19], v[28:29], v[18:19]
	v_accvgpr_read_b32 v23, a9
	v_perm_b32 v21, v19, v18, s21
	s_waitcnt vmcnt(15)
	v_lshlrev_b32_e32 v19, 16, v155
	s_waitcnt vmcnt(14)
	v_lshlrev_b32_e32 v18, 16, v156
	v_accvgpr_read_b32 v22, a8
	v_pk_add_f32 v[18:19], v[18:19], v[22:23] neg_lo:[0,1] neg_hi:[0,1]
	s_waitcnt vmcnt(13)
	v_lshlrev_b32_e32 v23, 16, v157
	s_waitcnt vmcnt(12)
	v_lshlrev_b32_e32 v22, 16, v158
	v_pk_add_f32 v[22:23], v[22:23], v[24:25] neg_lo:[0,1] neg_hi:[0,1]
	global_store_short_d16_hi v[30:31], v18, off offset:96
	global_store_short_d16_hi v[30:31], v19, off offset:352
	;; [unrolled: 1-line block ×4, first 2 shown]
	v_pk_mul_f32 v[18:19], v[26:27], v[18:19]
	v_pk_mul_f32 v[22:23], v[28:29], v[22:23]
	v_mov_b32_e32 v24, 0
	v_perm_b32 v23, v23, v22, s21
	v_perm_b32 v22, v19, v18, s21
	ds_write2_b64 v100, v[20:21], v[22:23] offset0:32 offset1:48
	v_mov_b32_e32 v18, 0
	v_mov_b32_e32 v19, 0
	;; [unrolled: 1-line block ×13, first 2 shown]
	s_cbranch_vccnz .LBB87_14
; %bb.13:                               ;   in Loop: Header=BB87_6 Depth=1
	s_and_b32 s29, s29, 0xffff
	s_mov_b32 s31, s27
	buffer_load_dwordx4 v[30:33], v133, s[28:31], 0 offen
	buffer_load_dwordx4 v[22:25], v133, s[28:31], s57 offen
	;; [unrolled: 1-line block ×4, first 2 shown]
	v_mov_b32_e32 v149, v94
	v_mov_b32_e32 v150, v93
.LBB87_14:                              ;   in Loop: Header=BB87_6 Depth=1
	s_waitcnt lgkmcnt(0)
	s_barrier
	ds_read_b64 v[42:43], v138
	ds_read2_b64 v[34:37], v129 offset1:16
	ds_read_b64 v[168:169], v139
	ds_read_b64 v[170:171], v140
	;; [unrolled: 1-line block ×3, first 2 shown]
	ds_read2_b64 v[38:41], v129 offset0:32 offset1:48
	ds_read2st64_b64 v[152:155], v129 offset0:4 offset1:8
	ds_read2st64_b64 v[156:159], v130 offset0:4 offset1:8
	;; [unrolled: 1-line block ×4, first 2 shown]
	s_waitcnt lgkmcnt(8)
	v_mfma_f32_16x16x16_bf16 a[0:3], v[42:43], v[34:35], 0
	s_add_i32 s3, s48, s61
	s_mul_hi_i32 s25, s3, s53
	s_mul_i32 s3, s3, s53
	v_mfma_f32_16x16x16_bf16 a[4:7], v[42:43], v[36:37], 0
	s_add_u32 s24, s3, s33
	s_addc_u32 s25, s25, s55
	s_lshl_b64 s[24:25], s[24:25], 15
	s_waitcnt lgkmcnt(4)
	v_mfma_f32_16x16x16_bf16 a[8:11], v[42:43], v[38:39], 0
	s_mul_i32 s28, s63, s53
	s_mul_hi_i32 s3, s63, s53
	s_add_u32 s28, s28, s33
	v_mfma_f32_16x16x16_bf16 a[12:15], v[42:43], v[40:41], 0
	ds_read_b64 v[42:43], v129 offset:6144
	ds_read_b64 v[180:181], v130 offset:6144
	ds_read_b64 v[182:183], v131 offset:6144
	ds_read_b64 v[184:185], v132 offset:6144
	s_addc_u32 s29, s3, s55
	s_waitcnt lgkmcnt(7)
	v_mfma_f32_16x16x16_bf16 a[0:3], v[168:169], v[152:153], a[0:3]
	s_lshl_b64 s[28:29], s[28:29], 9
	s_add_u32 s28, s40, s28
	s_addc_u32 s29, s41, s29
	s_waitcnt lgkmcnt(6)
	v_mfma_f32_16x16x16_bf16 a[4:7], v[168:169], v[156:157], a[4:7]
	v_lshl_add_u64 v[190:191], v[84:85], 0, s[24:25]
	s_waitcnt lgkmcnt(5)
	v_mfma_f32_16x16x16_bf16 a[8:11], v[168:169], v[160:161], a[8:11]
	s_waitcnt lgkmcnt(4)
	v_mfma_f32_16x16x16_bf16 a[12:15], v[168:169], v[164:165], a[12:15]
	ds_read_b64 v[168:169], v143
	ds_read_b64 v[178:179], v144
	;; [unrolled: 1-line block ×3, first 2 shown]
	s_waitcnt lgkmcnt(2)
	v_mfma_f32_16x16x16_bf16 a[16:19], v[168:169], v[34:35], 0
	v_mfma_f32_16x16x16_bf16 a[20:23], v[168:169], v[36:37], 0
	global_load_dwordx4 v[34:37], v142, s[28:29]
	v_mfma_f32_16x16x16_bf16 a[24:27], v[168:169], v[38:39], 0
	v_mfma_f32_16x16x16_bf16 a[28:31], v[168:169], v[40:41], 0
	global_load_dwordx4 v[38:41], v137, s[28:29]
	v_mfma_f32_16x16x16_bf16 a[0:3], v[170:171], v[154:155], a[0:3]
	v_mfma_f32_16x16x16_bf16 a[4:7], v[170:171], v[158:159], a[4:7]
	;; [unrolled: 1-line block ×8, first 2 shown]
	ds_read2st64_b64 v[168:171], v127 offset1:8
	ds_read2st64_b64 v[172:175], v128 offset1:8
	ds_read_b64 v[188:189], v135 offset:40960
	s_waitcnt lgkmcnt(2)
	v_mov_b32_e32 v176, v168
	v_mfma_f32_16x16x16_bf16 a[16:19], v[178:179], v[152:153], a[16:19]
	v_mov_b32_e32 v177, v169
	v_mfma_f32_16x16x16_bf16 a[20:23], v[178:179], v[156:157], a[20:23]
	v_mfma_f32_16x16x16_bf16 a[24:27], v[178:179], v[160:161], a[24:27]
	;; [unrolled: 1-line block ×3, first 2 shown]
	v_add_co_u32_e32 v164, vcc, s37, v190
	s_waitcnt lgkmcnt(1)
	v_mov_b32_e32 v178, v172
	s_waitcnt lgkmcnt(0)
	v_mfma_f32_16x16x16_bf16 a[16:19], v[188:189], v[154:155], a[16:19]
	ds_read2st64_b64 v[152:155], v127 offset0:16 offset1:24
	v_addc_co_u32_e32 v165, vcc, 0, v191, vcc
	v_mfma_f32_16x16x16_bf16 a[20:23], v[188:189], v[158:159], a[20:23]
	ds_read2st64_b64 v[156:159], v128 offset0:16 offset1:24
	v_mov_b32_e32 v179, v173
	v_mov_b32_e32 v172, v170
	v_mfma_f32_16x16x16_bf16 a[32:35], v[188:189], v[162:163], a[24:27]
	v_mov_b32_e32 v173, v171
	s_waitcnt lgkmcnt(0)
	v_mov_b32_e32 v162, v156
	v_mov_b32_e32 v163, v157
	v_mfma_f32_16x16x16_bf16 a[36:39], v[188:189], v[166:167], a[28:31]
	v_mov_b32_e32 v156, v154
	v_mov_b32_e32 v157, v155
	;; [unrolled: 1-line block ×3, first 2 shown]
	v_mfma_f32_16x16x16_bf16 a[24:27], v[186:187], v[42:43], a[16:19]
	v_add_co_u32_e32 v42, vcc, s60, v190
	v_mov_b32_e32 v161, v153
	v_mfma_f32_16x16x16_bf16 a[28:31], v[186:187], v[180:181], a[20:23]
	v_addc_co_u32_e32 v43, vcc, 0, v191, vcc
	global_store_dwordx4 v[42:43], v[156:159], off
	v_mfma_f32_16x16x16_bf16 a[16:19], v[186:187], v[182:183], a[32:35]
	s_waitcnt vmcnt(2)
	v_mov_b32_e32 v44, v37
	v_mov_b32_e32 v43, v36
	;; [unrolled: 1-line block ×3, first 2 shown]
	v_mfma_f32_16x16x16_bf16 a[20:23], v[186:187], v[184:185], a[36:39]
	s_and_b64 vcc, exec, s[0:1]
	global_store_dwordx4 v[190:191], v[176:179], off
	global_store_dwordx4 v[164:165], v[172:175], off offset:-4096
	global_store_dwordx4 v[164:165], v[160:163], off
	s_cbranch_vccnz .LBB87_16
; %bb.15:                               ;   in Loop: Header=BB87_6 Depth=1
	v_lshrrev_b32_e32 v35, 3, v149
	v_and_b32_e32 v35, 6, v35
	v_xor_b32_e32 v36, v35, v150
	v_lshlrev_b32_e32 v36, 2, v36
	v_and_b32_e32 v37, 8, v149
	v_xor_b32_e32 v149, 0x440, v36
	v_cmp_eq_u32_e32 vcc, 0, v37
	v_perm_b32 v37, v22, v18, s58
	s_nop 0
	v_cndmask_b32_e32 v36, v149, v36, vcc
	v_lshl_or_b32 v35, v35, 10, v36
	v_perm_b32 v36, v30, v26, s58
	s_barrier
	ds_write2st64_b32 v35, v36, v37 offset0:128 offset1:160
	v_xor_b32_e32 v36, 8, v35
	v_perm_b32 v26, v30, v26, s59
	v_perm_b32 v18, v22, v18, s59
	v_add_u32_e32 v22, 0x80, v36
	ds_write2st64_b32 v22, v26, v18 offset0:128 offset1:160
	v_xor_b32_e32 v18, 16, v35
	v_perm_b32 v22, v31, v27, s58
	v_perm_b32 v26, v23, v19, s58
	ds_write2st64_b32 v18, v22, v26 offset0:129 offset1:161
	v_xor_b32_e32 v18, 24, v35
	v_perm_b32 v22, v31, v27, s59
	v_perm_b32 v19, v23, v19, s59
	v_add_u32_e32 v18, 0x80, v18
	ds_write2st64_b32 v18, v22, v19 offset0:129 offset1:161
	v_xor_b32_e32 v18, 32, v35
	v_perm_b32 v19, v32, v28, s58
	v_perm_b32 v22, v24, v20, s58
	;; [unrolled: 9-line block ×3, first 2 shown]
	ds_write2st64_b32 v18, v19, v20 offset0:131 offset1:163
	v_xor_b32_e32 v18, 56, v35
	v_perm_b32 v19, v33, v29, s59
	v_perm_b32 v20, v25, v21, s59
	v_add_u32_e32 v18, 0x80, v18
	ds_write2st64_b32 v18, v19, v20 offset0:131 offset1:163
	ds_write_b64 v148, v[14:15] offset:49152
	v_xor_b32_e32 v14, 8, v148
	ds_write_b64 v14, v[16:17] offset:49152
	ds_write_b64 v148, v[10:11] offset:57344
	;; [unrolled: 1-line block ×4, first 2 shown]
	v_xor_b32_e32 v6, 8, v147
	ds_write_b64 v6, v[8:9] offset:49152
	ds_write_b64 v147, v[2:3] offset:57344
	;; [unrolled: 1-line block ×3, first 2 shown]
.LBB87_16:                              ;   in Loop: Header=BB87_6 Depth=1
	v_mul_f32_e32 v26, s2, v146
	v_exp_f32_e32 v36, v26
	s_waitcnt vmcnt(4)
	v_mul_f32_e32 v26, 0x3fb8aa3b, v38
	v_exp_f32_e32 v38, v26
	v_mul_f32_e32 v26, 0x3fb8aa3b, v39
	v_exp_f32_e32 v39, v26
	;; [unrolled: 2-line block ×4, first 2 shown]
	v_accvgpr_read_b32 v5, a3
	v_accvgpr_read_b32 v4, a2
	v_accvgpr_read_b32 v3, a1
	v_accvgpr_read_b32 v2, a0
	v_pk_mul_f32 v[38:39], v[36:37], v[38:39] op_sel_hi:[0,1]
	v_pk_mul_f32 v[40:41], v[36:37], v[40:41] op_sel_hi:[0,1]
	v_pk_fma_f32 v[74:75], v[74:75], v[38:39], v[2:3]
	v_pk_fma_f32 v[76:77], v[76:77], v[40:41], v[4:5]
	v_mul_f32_e32 v2, 0x3fb8aa3b, v34
	v_mul_f32_e32 v3, 0x3fb8aa3b, v42
	;; [unrolled: 1-line block ×4, first 2 shown]
	v_exp_f32_e32 v2, v2
	v_exp_f32_e32 v3, v3
	;; [unrolled: 1-line block ×4, first 2 shown]
	v_accvgpr_read_b32 v9, a7
	v_accvgpr_read_b32 v13, a11
	;; [unrolled: 1-line block ×28, first 2 shown]
	v_pk_mul_f32 v[2:3], v[36:37], v[2:3] op_sel_hi:[0,1]
	v_pk_mul_f32 v[4:5], v[36:37], v[4:5] op_sel_hi:[0,1]
	s_add_i32 s54, s54, 64
	v_pk_fma_f32 v[66:67], v[38:39], v[66:67], v[6:7]
	v_pk_fma_f32 v[68:69], v[40:41], v[68:69], v[8:9]
	;; [unrolled: 1-line block ×13, first 2 shown]
	s_cmp_eq_u32 s47, s62
	v_pk_fma_f32 v[50:51], v[4:5], v[50:51], v[32:33]
	s_cbranch_scc1 .LBB87_18
; %bb.17:                               ;   in Loop: Header=BB87_6 Depth=1
	s_mov_b32 s61, s62
	s_branch .LBB87_6
.LBB87_18:
	s_lshl_b32 s0, s47, 6
	s_sub_i32 s42, s49, s0
	s_cmp_gt_i32 s42, 0
	s_cbranch_scc0 .LBB87_99
; %bb.19:
	s_add_i32 s38, s0, s38
	s_ashr_i32 s2, s38, 31
	s_cmpk_lg_i32 s19, 0x80
	s_cselect_b64 s[30:31], -1, 0
	s_and_b64 vcc, exec, s[30:31]
	s_cbranch_vccz .LBB87_21
; %bb.20:
	s_mul_i32 s1, s38, s18
	s_ashr_i32 s3, s52, 31
	s_mul_hi_i32 s0, s38, s18
	s_add_u32 s40, s1, s52
	s_addc_u32 s41, s0, s3
	s_cbranch_execz .LBB87_22
	s_branch .LBB87_23
.LBB87_21:
                                        ; implicit-def: $sgpr40_sgpr41
.LBB87_22:
	s_mul_i32 s1, s52, s16
	s_mul_hi_i32 s0, s52, s16
	s_add_u32 s40, s1, s38
	s_addc_u32 s41, s0, s2
.LBB87_23:
	s_add_i32 s3, s47, s48
	s_ashr_i32 s16, s33, 31
	s_add_u32 s0, s51, s38
	v_lshlrev_b32_e32 v6, 6, v91
	v_lshlrev_b32_e32 v24, 2, v45
	s_addc_u32 s1, s50, s2
	s_mov_b32 s2, 0x7060302
	v_or_b32_e32 v9, v6, v24
	v_xor_b32_e32 v7, v91, v24
	v_perm_b32 v3, v77, v76, s2
	v_perm_b32 v2, v75, v74, s2
	;; [unrolled: 1-line block ×4, first 2 shown]
	v_lshlrev_b32_e32 v9, 1, v9
	v_xor_b32_e32 v8, v92, v24
	ds_write2st64_b64 v9, v[2:3], v[4:5] offset0:32 offset1:48
	v_lshlrev_b32_e32 v7, 1, v7
	v_lshlrev_b32_e32 v9, 8, v45
	v_or_b32_e32 v10, v7, v9
	v_lshlrev_b32_e32 v8, 1, v8
	ds_write_b64 v10, v[2:3]
	v_or_b32_e32 v2, v8, v9
	v_or_b32_e32 v9, 16, v45
	v_lshlrev_b32_e32 v23, 2, v9
	v_or_b32_e32 v10, v6, v23
	ds_write_b64 v2, v[4:5]
	v_perm_b32 v3, v69, v68, s2
	v_perm_b32 v2, v67, v66, s2
	;; [unrolled: 1-line block ×4, first 2 shown]
	v_lshlrev_b32_e32 v10, 1, v10
	v_lshlrev_b32_e32 v9, 8, v9
	ds_write2st64_b64 v10, v[2:3], v[4:5] offset0:32 offset1:48
	v_or_b32_e32 v10, v7, v9
	ds_write_b64 v10, v[2:3]
	v_or_b32_e32 v2, v8, v9
	v_or_b32_e32 v9, 32, v45
	v_lshlrev_b32_e32 v22, 2, v9
	v_or_b32_e32 v10, v6, v22
	s_lshl_b64 s[28:29], s[0:1], 8
	ds_write_b64 v2, v[4:5]
	v_perm_b32 v3, v61, v60, s2
	v_perm_b32 v2, v59, v58, s2
	;; [unrolled: 1-line block ×4, first 2 shown]
	v_lshlrev_b32_e32 v10, 1, v10
	v_lshlrev_b32_e32 v9, 8, v9
	s_add_u32 s0, s6, s28
	ds_write2st64_b64 v10, v[2:3], v[4:5] offset0:32 offset1:48
	v_or_b32_e32 v10, v7, v9
	s_addc_u32 s1, s7, s29
	ds_write_b64 v10, v[2:3]
	v_or_b32_e32 v2, v8, v9
	v_or_b32_e32 v9, 48, v45
	s_mul_hi_i32 s6, s3, s17
	s_mul_i32 s3, s3, s17
	ds_write_b64 v2, v[4:5]
	v_perm_b32 v3, v47, v46, s2
	v_perm_b32 v2, v53, v52, s2
	;; [unrolled: 1-line block ×4, first 2 shown]
	v_lshlrev_b32_e32 v19, 2, v9
	s_add_u32 s2, s3, s33
	v_or_b32_e32 v6, v6, v19
	s_addc_u32 s3, s6, s16
	v_lshlrev_b32_e32 v6, 1, v6
	s_ashr_i32 s37, s36, 31
	s_lshl_b64 s[2:3], s[2:3], 15
	ds_write2st64_b64 v6, v[2:3], v[4:5] offset0:32 offset1:48
	v_lshlrev_b32_e32 v6, 8, v9
	s_add_u32 s6, s12, s2
	v_or_b32_e32 v7, v7, v6
	s_addc_u32 s7, s13, s3
	s_lshl_b64 s[2:3], s[36:37], 8
	ds_write_b64 v7, v[2:3]
	v_or_b32_e32 v2, v8, v6
	s_add_u32 s2, s6, s2
	v_lshlrev_b32_e32 v3, 1, v45
	ds_write_b64 v2, v[4:5]
	v_lshrrev_b32_e32 v2, 4, v0
	s_addc_u32 s3, s7, s3
	v_or_b32_e32 v4, 1, v3
	v_lshlrev_b32_e32 v10, 4, v45
	v_mov_b32_e32 v11, 0
	v_xor_b32_e32 v3, v2, v3
	v_xor_b32_e32 v6, v4, v2
	v_lshl_add_u64 v[12:13], s[2:3], 0, v[10:11]
	v_lshlrev_b32_e32 v10, 8, v2
	v_lshl_or_b32 v16, v3, 3, v10
	v_lshl_or_b32 v17, v6, 3, v10
	s_waitcnt lgkmcnt(0)
	s_barrier
	ds_read2st64_b64 v[2:5], v16 offset1:8
	ds_read2st64_b64 v[6:9], v17 offset1:8
	v_lshl_add_u64 v[14:15], v[12:13], 0, v[10:11]
	s_movk_i32 s2, 0x2000
	s_cmp_lg_u32 s42, 64
	s_waitcnt lgkmcnt(1)
	v_mov_b32_e32 v10, v2
	v_mov_b32_e32 v11, v3
	s_waitcnt lgkmcnt(0)
	v_mov_b32_e32 v12, v6
	v_mov_b32_e32 v13, v7
	global_store_dwordx4 v[14:15], v[10:13], off
	v_mov_b32_e32 v6, v4
	v_mov_b32_e32 v7, v5
	ds_read2st64_b64 v[2:5], v16 offset0:16 offset1:24
	ds_read2st64_b64 v[10:13], v17 offset0:16 offset1:24
	v_add_co_u32_e32 v16, vcc, s2, v14
	s_cselect_b64 s[6:7], -1, 0
	s_nop 0
	v_addc_co_u32_e32 v17, vcc, 0, v15, vcc
	global_store_dwordx4 v[16:17], v[6:9], off offset:-4096
	v_lshl_or_b32 v25, v87, 3, v90
	s_mov_b32 s24, 0
	s_waitcnt lgkmcnt(1)
	v_mov_b32_e32 v6, v2
	v_add_co_u32_e32 v2, vcc, 0x3000, v14
	v_mov_b32_e32 v7, v3
	s_nop 0
	v_addc_co_u32_e32 v3, vcc, 0, v15, vcc
	s_waitcnt lgkmcnt(0)
	v_mov_b32_e32 v8, v10
	v_mov_b32_e32 v9, v11
	;; [unrolled: 1-line block ×4, first 2 shown]
	v_or_b32_e32 v20, 32, v25
	v_and_b32_e32 v18, 56, v89
	s_and_b64 vcc, exec, s[6:7]
	global_store_dwordx4 v[16:17], v[6:9], off
	global_store_dwordx4 v[2:3], v[10:13], off
	s_cbranch_vccz .LBB87_29
; %bb.24:
	s_mov_b32 s25, s24
	s_mov_b32 s26, s24
	s_mov_b32 s27, s24
	v_mov_b64_e32 v[6:7], s[24:25]
	v_mov_b64_e32 v[8:9], s[26:27]
	;; [unrolled: 1-line block ×3, first 2 shown]
	v_cmp_gt_i32_e32 vcc, s42, v25
	v_mov_b64_e32 v[4:5], v[8:9]
	s_and_saveexec_b64 s[2:3], vcc
	s_cbranch_execz .LBB87_26
; %bb.25:
	v_lshlrev_b32_e32 v2, 8, v25
	v_mov_b32_e32 v3, 0
	v_lshl_add_u64 v[4:5], s[0:1], 0, v[2:3]
	v_lshlrev_b32_e32 v2, 1, v18
	v_lshl_add_u64 v[10:11], v[4:5], 0, v[2:3]
	global_load_dwordx4 v[6:9], v[10:11], off
	global_load_dwordx4 v[2:5], v[10:11], off offset:128
.LBB87_26:
	s_or_b64 exec, exec, s[2:3]
	s_mov_b32 s25, s24
	s_mov_b32 s26, s24
	;; [unrolled: 1-line block ×3, first 2 shown]
	v_mov_b64_e32 v[14:15], s[24:25]
	v_mov_b64_e32 v[16:17], s[26:27]
	;; [unrolled: 1-line block ×3, first 2 shown]
	v_cmp_gt_i32_e32 vcc, s42, v20
	v_lshlrev_b32_e32 v21, 7, v20
	v_mov_b64_e32 v[12:13], v[16:17]
	s_and_saveexec_b64 s[2:3], vcc
	s_cbranch_execz .LBB87_28
; %bb.27:
	v_lshlrev_b32_e32 v10, 1, v21
	v_mov_b32_e32 v11, 0
	v_lshl_add_u64 v[12:13], s[0:1], 0, v[10:11]
	v_lshlrev_b32_e32 v10, 1, v18
	v_lshl_add_u64 v[26:27], v[12:13], 0, v[10:11]
	global_load_dwordx4 v[14:17], v[26:27], off
	global_load_dwordx4 v[10:13], v[26:27], off offset:128
.LBB87_28:
	s_or_b64 exec, exec, s[2:3]
	v_lshrrev_b32_e32 v26, 3, v18
	v_lshlrev_b32_e32 v27, 3, v25
	v_or_b32_e32 v26, v27, v26
	v_lshlrev_b32_e32 v26, 4, v26
	v_and_b32_e32 v27, 0x78, v27
	v_xor_b32_e32 v26, v26, v27
	s_branch .LBB87_31
.LBB87_29:
                                        ; implicit-def: $vgpr26
                                        ; implicit-def: $vgpr21
                                        ; implicit-def: $vgpr6_vgpr7_vgpr8_vgpr9
                                        ; implicit-def: $vgpr2_vgpr3_vgpr4_vgpr5
                                        ; implicit-def: $vgpr14_vgpr15_vgpr16_vgpr17
                                        ; implicit-def: $vgpr10_vgpr11_vgpr12_vgpr13
	s_cbranch_execz .LBB87_31
; %bb.30:
	s_waitcnt vmcnt(0)
	v_lshlrev_b32_e32 v2, 1, v18
	v_lshl_or_b32 v21, v25, 8, v2
	s_and_b32 s1, s1, 0xffff
	s_mov_b32 s3, 0x20000
	s_movk_i32 s2, 0x4000
	v_lshl_or_b32 v26, v20, 8, v2
	s_movk_i32 s12, 0x80
	buffer_load_dwordx4 v[6:9], v21, s[0:3], 0 offen
	buffer_load_dwordx4 v[2:5], v21, s[0:3], s12 offen
	;; [unrolled: 1-line block ×4, first 2 shown]
	v_lshrrev_b32_e32 v21, 3, v18
	v_lshlrev_b32_e32 v26, 3, v25
	v_or_b32_e32 v21, v26, v21
	v_lshlrev_b32_e32 v21, 4, v21
	v_and_b32_e32 v26, 0x78, v26
	v_xor_b32_e32 v26, v21, v26
	v_lshlrev_b32_e32 v21, 7, v20
.LBB87_31:
	s_movk_i32 s0, 0x1000
	v_and_or_b32 v20, v21, s0, v26
	s_waitcnt vmcnt(1)
	ds_write_b64 v26, v[6:7] offset:49152
	v_xor_b32_e32 v6, 8, v26
	ds_write_b64 v6, v[8:9] offset:49152
	s_waitcnt vmcnt(0)
	ds_write_b64 v26, v[2:3] offset:57344
	ds_write_b64 v6, v[4:5] offset:57344
	;; [unrolled: 1-line block ×3, first 2 shown]
	v_xor_b32_e32 v2, 8, v20
	ds_write_b64 v2, v[16:17] offset:49152
	ds_write_b64 v20, v[10:11] offset:57344
	ds_write_b64 v2, v[12:13] offset:57344
	v_or_b32_e32 v2, v1, v45
	v_lshlrev_b32_e32 v3, 11, v87
	v_lshlrev_b32_e32 v2, 3, v2
	v_and_b32_e32 v6, 0x1000, v3
	v_lshrrev_b32_e32 v3, 5, v86
	s_movk_i32 s0, 0xf8
	v_and_or_b32 v3, v2, s0, v3
	v_lshlrev_b32_e32 v7, 4, v3
	v_and_b32_e32 v8, 0x78, v2
	v_or_b32_e32 v10, 32, v7
	v_lshrrev_b32_e32 v3, 1, v86
	v_xor_b32_e32 v10, v10, v8
	v_xor_b32_e32 v2, v7, v8
	v_and_b32_e32 v9, 8, v3
	v_or_b32_e32 v10, v10, v6
	v_or_b32_e32 v2, v2, v6
	v_xor_b32_e32 v28, v10, v9
	v_or_b32_e32 v10, 64, v7
	v_xor_b32_e32 v27, v2, v9
	v_xor_b32_e32 v10, v10, v8
	s_waitcnt lgkmcnt(0)
	s_barrier
	v_or_b32_e32 v13, v10, v6
	ds_read_b64 v[10:11], v27 offset:49152
	v_lshl_or_b32 v14, v88, 8, v24
	v_lshlrev_b32_e32 v26, 1, v14
	v_add_u32_e32 v12, 0x4000, v26
	ds_read2_b64 v[2:5], v12 offset1:16
	v_or_b32_e32 v7, 0x60, v7
	v_xor_b32_e32 v7, v7, v8
	v_or_b32_e32 v6, v7, v6
	v_xor_b32_e32 v29, v13, v9
	v_xor_b32_e32 v30, v6, v9
	ds_read_b64 v[20:21], v28 offset:49152
	ds_read_b64 v[34:35], v29 offset:49152
	;; [unrolled: 1-line block ×3, first 2 shown]
	s_waitcnt lgkmcnt(3)
	v_mfma_f32_16x16x16_bf16 a[0:3], v[10:11], v[2:3], 0
	ds_read2_b64 v[6:9], v12 offset0:32 offset1:48
	s_lshl_b64 s[0:1], s[40:41], 8
	s_add_u32 s4, s4, s0
	v_mfma_f32_16x16x16_bf16 a[4:7], v[10:11], v[4:5], 0
	ds_read2st64_b64 v[2:5], v26 offset0:36 offset1:40
	s_addc_u32 s5, s5, s1
	s_add_i32 s2, s39, -1
	s_waitcnt lgkmcnt(1)
	v_mfma_f32_16x16x16_bf16 a[8:11], v[10:11], v[6:7], 0
	v_or_b32_e32 v6, 64, v14
	v_lshlrev_b32_e32 v31, 1, v6
	s_add_i32 s0, s45, s44
	s_waitcnt lgkmcnt(0)
	v_mfma_f32_16x16x16_bf16 a[0:3], v[20:21], v[2:3], a[0:3]
	v_or_b32_e32 v2, 0x80, v14
	v_lshlrev_b32_e32 v32, 1, v2
	v_or_b32_e32 v2, 0xc0, v14
	v_mfma_f32_16x16x16_bf16 a[12:15], v[10:11], v[8:9], 0
	ds_read2st64_b64 v[6:9], v31 offset0:36 offset1:40
	v_lshlrev_b32_e32 v33, 1, v2
	ds_read2st64_b64 v[10:13], v32 offset0:36 offset1:40
	ds_read2st64_b64 v[14:17], v33 offset0:36 offset1:40
	s_add_i32 s21, s0, s46
	s_mul_i32 s0, s33, s23
	s_mul_hi_u32 s1, s33, s22
	s_ashr_i32 s3, s2, 31
	s_mul_i32 s12, s2, s35
	s_mul_hi_u32 s13, s2, s34
	s_waitcnt lgkmcnt(2)
	v_mfma_f32_16x16x16_bf16 a[4:7], v[20:21], v[6:7], a[4:7]
	s_add_i32 s0, s1, s0
	s_mul_i32 s1, s16, s22
	s_add_i32 s12, s13, s12
	s_mul_i32 s3, s3, s34
	s_waitcnt lgkmcnt(1)
	v_mfma_f32_16x16x16_bf16 a[8:11], v[20:21], v[10:11], a[8:11]
	s_add_i32 s1, s0, s1
	s_add_i32 s3, s12, s3
	s_lshl_b64 s[12:13], s[20:21], 2
	s_waitcnt lgkmcnt(0)
	v_mfma_f32_16x16x16_bf16 a[12:15], v[20:21], v[14:15], a[12:15]
	s_mul_i32 s0, s33, s22
	s_add_u32 s10, s10, s12
	s_addc_u32 s11, s11, s13
	s_lshl_b64 s[0:1], s[0:1], 2
	v_mfma_f32_16x16x16_bf16 a[0:3], v[34:35], v[4:5], a[0:3]
	s_mul_i32 s2, s2, s34
	ds_read_b64 v[2:3], v26 offset:22528
	s_add_u32 s10, s10, s0
	v_mfma_f32_16x16x16_bf16 a[4:7], v[34:35], v[8:9], a[4:7]
	ds_read_b64 v[4:5], v31 offset:22528
	ds_read_b64 v[6:7], v32 offset:22528
	;; [unrolled: 1-line block ×3, first 2 shown]
	s_addc_u32 s11, s11, s1
	s_lshl_b64 s[0:1], s[2:3], 2
	v_mfma_f32_16x16x16_bf16 a[8:11], v[34:35], v[12:13], a[8:11]
	s_add_u32 s0, s10, s0
	s_addc_u32 s1, s11, s1
	s_load_dword s12, s[0:1], 0x0
	v_mfma_f32_16x16x16_bf16 a[12:15], v[34:35], v[16:17], a[12:15]
	s_and_b64 vcc, exec, s[30:31]
	s_waitcnt lgkmcnt(0)
	v_mfma_f32_16x16x16_bf16 a[0:3], v[36:37], v[2:3], a[0:3]
	v_mfma_f32_16x16x16_bf16 a[4:7], v[36:37], v[4:5], a[4:7]
	;; [unrolled: 1-line block ×4, first 2 shown]
	s_cbranch_vccz .LBB87_42
; %bb.32:
	v_lshlrev_b32_e32 v20, 1, v25
	s_and_b64 vcc, exec, s[6:7]
	s_cbranch_vccz .LBB87_43
; %bb.33:
	v_cmp_gt_i32_e32 vcc, s42, v20
	v_mov_b32_e32 v6, 0
	v_mov_b32_e32 v2, 0
	;; [unrolled: 1-line block ×5, first 2 shown]
	s_and_saveexec_b64 s[0:1], vcc
	s_cbranch_execz .LBB87_35
; %bb.34:
	v_mad_i64_i32 v[2:3], s[2:3], s19, v20, 0
	v_lshl_add_u64 v[2:3], v[2:3], 1, s[4:5]
	v_lshlrev_b32_e32 v4, 1, v18
	v_mov_b32_e32 v5, 0
	v_lshl_add_u64 v[2:3], v[2:3], 0, v[4:5]
	global_load_dwordx4 v[2:5], v[2:3], off
.LBB87_35:
	s_or_b64 exec, exec, s[0:1]
	v_or_b32_e32 v21, 1, v20
	v_cmp_gt_i32_e64 s[0:1], s42, v21
	v_mov_b32_e32 v7, 0
	v_mov_b32_e32 v8, 0
	;; [unrolled: 1-line block ×3, first 2 shown]
	s_and_saveexec_b64 s[2:3], s[0:1]
	s_cbranch_execz .LBB87_37
; %bb.36:
	v_mad_i64_i32 v[6:7], s[16:17], s19, v21, 0
	v_lshl_add_u64 v[6:7], v[6:7], 1, s[4:5]
	v_lshlrev_b32_e32 v8, 1, v18
	v_mov_b32_e32 v9, 0
	v_lshl_add_u64 v[6:7], v[6:7], 0, v[8:9]
	global_load_dwordx4 v[6:9], v[6:7], off
.LBB87_37:
	s_or_b64 exec, exec, s[2:3]
	v_mov_b32_e32 v17, 0
	v_mov_b32_e32 v10, 0
	;; [unrolled: 1-line block ×5, first 2 shown]
	s_and_saveexec_b64 s[2:3], vcc
	s_cbranch_execz .LBB87_39
; %bb.38:
	v_mad_i64_i32 v[10:11], s[16:17], s19, v20, 0
	v_lshl_add_u64 v[10:11], v[10:11], 1, s[4:5]
	v_lshlrev_b32_e32 v12, 1, v18
	v_mov_b32_e32 v13, 0
	v_lshl_add_u64 v[10:11], v[10:11], 0, v[12:13]
	global_load_dwordx4 v[10:13], v[10:11], off offset:128
.LBB87_39:
	s_or_b64 exec, exec, s[2:3]
	v_mov_b32_e32 v16, 0
	v_mov_b32_e32 v15, 0
	;; [unrolled: 1-line block ×3, first 2 shown]
	s_and_saveexec_b64 s[2:3], s[0:1]
	s_cbranch_execz .LBB87_41
; %bb.40:
	v_mad_i64_i32 v[14:15], s[0:1], s19, v21, 0
	v_lshl_add_u64 v[14:15], v[14:15], 1, s[4:5]
	v_lshlrev_b32_e32 v16, 1, v18
	v_mov_b32_e32 v17, 0
	v_lshl_add_u64 v[14:15], v[14:15], 0, v[16:17]
	global_load_dwordx4 v[14:17], v[14:15], off offset:128
.LBB87_41:
	s_or_b64 exec, exec, s[2:3]
	s_branch .LBB87_45
.LBB87_42:
                                        ; implicit-def: $vgpr5
                                        ; implicit-def: $vgpr9
                                        ; implicit-def: $vgpr13
                                        ; implicit-def: $vgpr17
	v_lshrrev_b32_e32 v34, 2, v86
	s_branch .LBB87_46
.LBB87_43:
                                        ; implicit-def: $vgpr5
                                        ; implicit-def: $vgpr9
                                        ; implicit-def: $vgpr13
                                        ; implicit-def: $vgpr17
	s_cbranch_execz .LBB87_45
; %bb.44:
	s_waitcnt vmcnt(0)
	v_mad_u64_u32 v[2:3], s[0:1], v20, s19, v[18:19]
	v_lshlrev_b32_e32 v20, 1, v2
	s_lshl_b32 s2, s19, 7
	s_and_b32 s1, s5, 0xffff
	s_mov_b32 s3, 0x20000
	s_mov_b32 s0, s4
	v_add_lshl_u32 v21, v2, s19, 1
	s_movk_i32 s13, 0x80
	buffer_load_dwordx4 v[2:5], v20, s[0:3], 0 offen
	buffer_load_dwordx4 v[10:13], v20, s[0:3], s13 offen
	buffer_load_dwordx4 v[6:9], v21, s[0:3], 0 offen
	buffer_load_dwordx4 v[14:17], v21, s[0:3], s13 offen
.LBB87_45:
	v_lshrrev_b32_e32 v34, 2, v86
	s_cbranch_execnz .LBB87_58
.LBB87_46:
	s_and_b64 vcc, exec, s[6:7]
	s_cbranch_vccz .LBB87_56
; %bb.47:
	s_waitcnt vmcnt(0)
	v_lshlrev_b32_e32 v7, 1, v25
	v_cmp_gt_i32_e32 vcc, s42, v7
	v_mov_b32_e32 v6, 0
	v_lshlrev_b32_e32 v14, 9, v25
	v_mov_b32_e32 v2, 0
	v_mov_b32_e32 v3, 0
	;; [unrolled: 1-line block ×4, first 2 shown]
	s_and_saveexec_b64 s[0:1], vcc
	s_cbranch_execz .LBB87_49
; %bb.48:
	v_mov_b32_e32 v15, 0
	v_lshl_add_u64 v[2:3], s[4:5], 0, v[14:15]
	v_lshlrev_b32_e32 v4, 1, v18
	v_mov_b32_e32 v5, v15
	v_lshl_add_u64 v[2:3], v[2:3], 0, v[4:5]
	global_load_dwordx4 v[2:5], v[2:3], off
.LBB87_49:
	s_or_b64 exec, exec, s[0:1]
	v_or_b32_e32 v7, 1, v7
	v_cmp_gt_i32_e64 s[0:1], s42, v7
	v_lshlrev_b32_e32 v20, 8, v7
	v_mov_b32_e32 v7, 0
	v_mov_b32_e32 v8, 0
	;; [unrolled: 1-line block ×3, first 2 shown]
	s_and_saveexec_b64 s[2:3], s[0:1]
	s_cbranch_execz .LBB87_51
; %bb.50:
	v_mov_b32_e32 v21, 0
	v_lshl_add_u64 v[6:7], s[4:5], 0, v[20:21]
	v_lshlrev_b32_e32 v8, 1, v18
	v_mov_b32_e32 v9, v21
	v_lshl_add_u64 v[6:7], v[6:7], 0, v[8:9]
	global_load_dwordx4 v[6:9], v[6:7], off
.LBB87_51:
	s_or_b64 exec, exec, s[2:3]
	v_mov_b32_e32 v17, 0
	v_mov_b32_e32 v10, 0
	;; [unrolled: 1-line block ×5, first 2 shown]
	s_and_saveexec_b64 s[2:3], vcc
	s_cbranch_execz .LBB87_53
; %bb.52:
	v_mov_b32_e32 v15, 0
	v_lshl_add_u64 v[10:11], s[4:5], 0, v[14:15]
	v_lshlrev_b32_e32 v14, 1, v18
	v_lshl_add_u64 v[10:11], v[10:11], 0, v[14:15]
	global_load_dwordx4 v[10:13], v[10:11], off offset:128
.LBB87_53:
	s_or_b64 exec, exec, s[2:3]
	v_mov_b32_e32 v16, 0
	v_mov_b32_e32 v15, 0
	v_mov_b32_e32 v14, 0
	s_and_saveexec_b64 s[2:3], s[0:1]
	s_cbranch_execz .LBB87_55
; %bb.54:
	v_mov_b32_e32 v21, 0
	v_lshl_add_u64 v[14:15], s[4:5], 0, v[20:21]
	v_lshlrev_b32_e32 v20, 1, v18
	v_lshl_add_u64 v[14:15], v[14:15], 0, v[20:21]
	global_load_dwordx4 v[14:17], v[14:15], off offset:128
.LBB87_55:
	s_or_b64 exec, exec, s[2:3]
	s_branch .LBB87_58
.LBB87_56:
                                        ; implicit-def: $vgpr5
                                        ; implicit-def: $vgpr9
                                        ; implicit-def: $vgpr13
                                        ; implicit-def: $vgpr17
	s_cbranch_execz .LBB87_58
; %bb.57:
	s_waitcnt vmcnt(0)
	v_lshlrev_b32_e32 v2, 1, v18
	v_lshl_or_b32 v18, v25, 9, v2
	s_and_b32 s5, s5, 0xffff
	s_mov_b32 s7, 0x20000
	s_movk_i32 s6, 0x4000
	s_movk_i32 s0, 0x80
	buffer_load_dwordx4 v[2:5], v18, s[4:7], 0 offen
	buffer_load_dwordx4 v[6:9], v18, s[4:7], 0 offen offset:256
	buffer_load_dwordx4 v[10:13], v18, s[4:7], s0 offen
	buffer_load_dwordx4 v[14:17], v18, s[4:7], s0 offen offset:256
.LBB87_58:
	ds_read_b64 v[20:21], v27 offset:57344
	v_add_u32_e32 v18, 0x6000, v26
	ds_read2_b64 v[36:39], v18 offset1:16
	ds_read_b64 v[54:55], v28 offset:57344
	ds_read_b64 v[28:29], v29 offset:57344
	;; [unrolled: 1-line block ×3, first 2 shown]
	ds_read2st64_b64 v[40:43], v26 offset0:52 offset1:56
	s_mov_b32 s0, 0x1000504
	s_mov_b32 s1, 0x3020706
	s_waitcnt lgkmcnt(4)
	v_mfma_f32_16x16x16_bf16 a[0:3], v[20:21], v[36:37], a[0:3]
	v_mfma_f32_16x16x16_bf16 a[4:7], v[20:21], v[38:39], a[4:7]
	ds_read2_b64 v[36:39], v18 offset0:32 offset1:48
	v_and_b32_e32 v18, 6, v0
	v_xor_b32_e32 v25, v25, v18
	s_waitcnt lgkmcnt(0)
	v_mfma_f32_16x16x16_bf16 a[8:11], v[20:21], v[36:37], a[8:11]
	v_lshlrev_b32_e32 v25, 2, v25
	v_and_b32_e32 v0, 1, v0
	v_xor_b32_e32 v35, 0x440, v25
	v_mfma_f32_16x16x16_bf16 a[12:15], v[20:21], v[38:39], a[12:15]
	ds_read2st64_b64 v[36:39], v31 offset0:52 offset1:56
	ds_read2st64_b64 v[46:49], v32 offset0:52 offset1:56
	;; [unrolled: 1-line block ×3, first 2 shown]
	v_cmp_eq_u32_e32 vcc, 0, v0
	ds_read_b64 v[20:21], v26 offset:30720
	ds_read_b64 v[26:27], v31 offset:30720
	;; [unrolled: 1-line block ×4, first 2 shown]
	v_mfma_f32_16x16x16_bf16 a[0:3], v[54:55], v[40:41], a[0:3]
	v_cndmask_b32_e32 v0, v35, v25, vcc
	v_lshl_or_b32 v0, v18, 10, v0
	s_waitcnt vmcnt(0)
	v_perm_b32 v18, v2, v6, s0
	s_waitcnt lgkmcnt(6)
	v_mfma_f32_16x16x16_bf16 a[4:7], v[54:55], v[36:37], a[4:7]
	v_perm_b32 v25, v10, v14, s0
	ds_write2st64_b32 v0, v18, v25 offset0:128 offset1:160
	v_xor_b32_e32 v18, 8, v0
	s_waitcnt lgkmcnt(6)
	v_mfma_f32_16x16x16_bf16 a[8:11], v[54:55], v[46:47], a[8:11]
	v_perm_b32 v2, v2, v6, s1
	v_perm_b32 v6, v10, v14, s1
	v_add_u32_e32 v10, 0x80, v18
	s_waitcnt lgkmcnt(5)
	v_mfma_f32_16x16x16_bf16 a[12:15], v[54:55], v[50:51], a[12:15]
	ds_write2st64_b32 v10, v2, v6 offset0:128 offset1:160
	v_xor_b32_e32 v2, 16, v0
	v_perm_b32 v6, v3, v7, s0
	v_mfma_f32_16x16x16_bf16 a[0:3], v[28:29], v[42:43], a[0:3]
	v_perm_b32 v10, v11, v15, s0
	ds_write2st64_b32 v2, v6, v10 offset0:129 offset1:161
	v_xor_b32_e32 v2, 24, v0
	v_mfma_f32_16x16x16_bf16 a[4:7], v[28:29], v[38:39], a[4:7]
	v_perm_b32 v3, v3, v7, s1
	v_perm_b32 v6, v11, v15, s1
	v_add_u32_e32 v2, 0x80, v2
	v_mfma_f32_16x16x16_bf16 a[16:19], v[28:29], v[48:49], a[8:11]
	ds_write2st64_b32 v2, v3, v6 offset0:129 offset1:161
	v_xor_b32_e32 v2, 32, v0
	v_perm_b32 v3, v4, v8, s0
	v_mfma_f32_16x16x16_bf16 a[20:23], v[28:29], v[52:53], a[12:15]
	v_perm_b32 v6, v12, v16, s0
	ds_write2st64_b32 v2, v3, v6 offset0:130 offset1:162
	v_xor_b32_e32 v2, 40, v0
	s_waitcnt lgkmcnt(8)
	v_mfma_f32_16x16x16_bf16 a[12:15], v[56:57], v[20:21], a[0:3]
	v_perm_b32 v3, v4, v8, s1
	v_perm_b32 v4, v12, v16, s1
	v_add_u32_e32 v2, 0x80, v2
	s_waitcnt lgkmcnt(7)
	v_mfma_f32_16x16x16_bf16 a[8:11], v[56:57], v[26:27], a[4:7]
	ds_write2st64_b32 v2, v3, v4 offset0:130 offset1:162
	v_xor_b32_e32 v2, 48, v0
	v_perm_b32 v3, v5, v9, s0
	s_waitcnt lgkmcnt(7)
	v_mfma_f32_16x16x16_bf16 a[4:7], v[56:57], v[30:31], a[16:19]
	v_perm_b32 v4, v13, v17, s0
	v_xor_b32_e32 v0, 56, v0
	v_and_or_b32 v21, v34, 12, v1
	s_waitcnt lgkmcnt(6)
	v_mfma_f32_16x16x16_bf16 a[0:3], v[56:57], v[32:33], a[20:23]
	ds_write2st64_b32 v2, v3, v4 offset0:131 offset1:163
	v_perm_b32 v2, v5, v9, s1
	v_perm_b32 v3, v13, v17, s1
	v_add_u32_e32 v0, 0x80, v0
	v_cmp_gt_i32_e32 vcc, s42, v21
	v_mov_b32_e32 v16, 0
	v_mov_b32_e32 v18, 0
	ds_write2st64_b32 v0, v2, v3 offset0:131 offset1:163
	s_and_saveexec_b64 s[0:1], vcc
	s_cbranch_execz .LBB87_60
; %bb.59:
	v_add_u32_e32 v0, s38, v21
	v_ashrrev_i32_e32 v1, 31, v0
	v_mul_lo_u32 v2, v1, s34
	v_mul_lo_u32 v3, v0, s35
	v_mad_u64_u32 v[0:1], s[2:3], v0, s34, 0
	v_add3_u32 v1, v1, v3, v2
	v_lshl_add_u64 v[0:1], v[0:1], 2, s[10:11]
	global_load_dword v0, v[0:1], off
	s_waitcnt vmcnt(0)
	v_sub_f32_e32 v0, s12, v0
	v_mul_f32_e32 v0, 0x3fb8aa3b, v0
	v_exp_f32_e32 v18, v0
.LBB87_60:
	s_or_b64 exec, exec, s[0:1]
	v_or_b32_e32 v10, 1, v21
	v_cmp_gt_i32_e64 s[0:1], s42, v10
	s_and_saveexec_b64 s[2:3], s[0:1]
	s_cbranch_execz .LBB87_62
; %bb.61:
	v_add_u32_e32 v0, s38, v10
	v_ashrrev_i32_e32 v1, 31, v0
	v_mul_lo_u32 v2, v1, s34
	v_mul_lo_u32 v3, v0, s35
	v_mad_u64_u32 v[0:1], s[4:5], v0, s34, 0
	v_add3_u32 v1, v1, v3, v2
	v_lshl_add_u64 v[0:1], v[0:1], 2, s[10:11]
	global_load_dword v0, v[0:1], off
	s_waitcnt vmcnt(0)
	v_sub_f32_e32 v0, s12, v0
	v_mul_f32_e32 v0, 0x3fb8aa3b, v0
	v_exp_f32_e32 v16, v0
.LBB87_62:
	s_or_b64 exec, exec, s[2:3]
	v_or_b32_e32 v12, 2, v21
	v_cmp_gt_i32_e64 s[2:3], s42, v12
	v_mov_b32_e32 v17, 0
	v_mov_b32_e32 v20, 0
	s_and_saveexec_b64 s[4:5], s[2:3]
	s_cbranch_execz .LBB87_64
; %bb.63:
	v_add_u32_e32 v0, s38, v12
	v_ashrrev_i32_e32 v1, 31, v0
	v_mul_lo_u32 v2, v1, s34
	v_mul_lo_u32 v3, v0, s35
	v_mad_u64_u32 v[0:1], s[6:7], v0, s34, 0
	v_add3_u32 v1, v1, v3, v2
	v_lshl_add_u64 v[0:1], v[0:1], 2, s[10:11]
	global_load_dword v0, v[0:1], off
	s_waitcnt vmcnt(0)
	v_sub_f32_e32 v0, s12, v0
	v_mul_f32_e32 v0, 0x3fb8aa3b, v0
	v_exp_f32_e32 v20, v0
.LBB87_64:
	s_or_b64 exec, exec, s[4:5]
	v_or_b32_e32 v14, 3, v21
	v_cmp_gt_i32_e64 s[4:5], s42, v14
	s_and_saveexec_b64 s[6:7], s[4:5]
	s_cbranch_execz .LBB87_66
; %bb.65:
	v_add_u32_e32 v0, s38, v14
	v_ashrrev_i32_e32 v1, 31, v0
	v_mul_lo_u32 v2, v1, s34
	v_mul_lo_u32 v3, v0, s35
	v_mad_u64_u32 v[0:1], s[16:17], v0, s34, 0
	v_add3_u32 v1, v1, v3, v2
	v_lshl_add_u64 v[0:1], v[0:1], 2, s[10:11]
	global_load_dword v0, v[0:1], off
	s_waitcnt vmcnt(0)
	v_sub_f32_e32 v0, s12, v0
	v_mul_f32_e32 v0, 0x3fb8aa3b, v0
	v_exp_f32_e32 v17, v0
.LBB87_66:
	s_or_b64 exec, exec, s[6:7]
	s_add_u32 s6, s8, s28
	v_or_b32_e32 v4, s36, v45
	s_addc_u32 s7, s9, s29
	s_add_u32 s8, s14, s28
	v_ashrrev_i32_e32 v5, 31, v4
	v_accvgpr_read_b32 v0, a12
	s_addc_u32 s9, s15, s29
	v_lshlrev_b64 v[4:5], 1, v[4:5]
	v_accvgpr_read_b32 v1, a13
	v_accvgpr_read_b32 v2, a14
	;; [unrolled: 1-line block ×3, first 2 shown]
	v_lshl_add_u64 v[6:7], s[6:7], 0, v[4:5]
	v_lshl_add_u64 v[4:5], s[8:9], 0, v[4:5]
	v_mov_b32_e32 v11, 0
	v_lshlrev_b32_e32 v8, 8, v21
	v_mov_b32_e32 v9, 0
	s_and_saveexec_b64 s[6:7], vcc
	s_cbranch_execz .LBB87_68
; %bb.67:
	v_mov_b32_e32 v9, 0
	v_lshl_add_u64 v[26:27], v[6:7], 0, v[8:9]
	global_load_ushort v13, v[26:27], off
	v_lshl_add_u64 v[26:27], v[4:5], 0, v[8:9]
	s_waitcnt vmcnt(0)
	v_lshlrev_b32_e32 v9, 16, v13
	v_sub_f32_e32 v0, v9, v0
	global_store_short_d16_hi v[26:27], v0, off
	v_mul_f32_e32 v0, v18, v0
	v_lshrrev_b32_e32 v9, 16, v0
.LBB87_68:
	s_or_b64 exec, exec, s[6:7]
	v_lshlrev_b32_e32 v10, 8, v10
	s_and_saveexec_b64 s[6:7], s[0:1]
	s_cbranch_execz .LBB87_70
; %bb.69:
	v_mov_b32_e32 v11, 0
	v_lshl_add_u64 v[26:27], v[6:7], 0, v[10:11]
	global_load_ushort v0, v[26:27], off
	v_lshl_add_u64 v[26:27], v[4:5], 0, v[10:11]
	s_waitcnt vmcnt(0)
	v_lshlrev_b32_e32 v0, 16, v0
	v_sub_f32_e32 v0, v0, v1
	global_store_short_d16_hi v[26:27], v0, off
	v_mul_f32_e32 v0, v16, v0
	v_lshrrev_b32_e32 v11, 16, v0
.LBB87_70:
	s_or_b64 exec, exec, s[6:7]
	v_mov_b32_e32 v15, 0
	v_lshlrev_b32_e32 v12, 8, v12
	v_mov_b32_e32 v13, 0
	s_and_saveexec_b64 s[6:7], s[2:3]
	s_cbranch_execz .LBB87_72
; %bb.71:
	v_mov_b32_e32 v13, 0
	v_lshl_add_u64 v[0:1], v[6:7], 0, v[12:13]
	global_load_ushort v25, v[0:1], off
	v_lshl_add_u64 v[0:1], v[4:5], 0, v[12:13]
	s_waitcnt vmcnt(0)
	v_lshlrev_b32_e32 v13, 16, v25
	v_sub_f32_e32 v2, v13, v2
	global_store_short_d16_hi v[0:1], v2, off
	v_mul_f32_e32 v0, v20, v2
	v_lshrrev_b32_e32 v13, 16, v0
.LBB87_72:
	s_or_b64 exec, exec, s[6:7]
	v_lshlrev_b32_e32 v14, 8, v14
	s_and_saveexec_b64 s[6:7], s[4:5]
	s_cbranch_execz .LBB87_74
; %bb.73:
	v_mov_b32_e32 v15, 0
	v_lshl_add_u64 v[0:1], v[6:7], 0, v[14:15]
	global_load_ushort v2, v[0:1], off
	v_lshl_add_u64 v[0:1], v[4:5], 0, v[14:15]
	s_waitcnt vmcnt(0)
	v_lshlrev_b32_e32 v2, 16, v2
	v_sub_f32_e32 v2, v2, v3
	global_store_short_d16_hi v[0:1], v2, off
	v_mul_f32_e32 v0, v17, v2
	v_lshrrev_b32_e32 v15, 16, v0
.LBB87_74:
	s_or_b64 exec, exec, s[6:7]
	v_lshlrev_b32_e32 v21, 6, v21
	s_mov_b32 s6, 0x5040100
	v_perm_b32 v26, v11, v9, s6
	v_or_b32_e32 v9, v21, v24
	v_accvgpr_read_b32 v0, a8
	v_perm_b32 v27, v15, v13, s6
	v_lshlrev_b32_e32 v9, 1, v9
	v_accvgpr_read_b32 v1, a9
	v_accvgpr_read_b32 v2, a10
	;; [unrolled: 1-line block ×3, first 2 shown]
	ds_write_b64 v9, v[26:27] offset:24576
	v_mov_b32_e32 v11, 0
	v_mov_b32_e32 v9, 0
	s_and_saveexec_b64 s[6:7], vcc
	s_cbranch_execz .LBB87_76
; %bb.75:
	v_mov_b32_e32 v9, 0
	v_lshl_add_u64 v[24:25], v[6:7], 0, v[8:9]
	global_load_ushort v13, v[24:25], off offset:32
	v_lshl_add_u64 v[24:25], v[4:5], 0, v[8:9]
	s_waitcnt vmcnt(0)
	v_lshlrev_b32_e32 v9, 16, v13
	v_sub_f32_e32 v0, v9, v0
	global_store_short_d16_hi v[24:25], v0, off offset:32
	v_mul_f32_e32 v0, v18, v0
	v_lshrrev_b32_e32 v9, 16, v0
.LBB87_76:
	s_or_b64 exec, exec, s[6:7]
	s_and_saveexec_b64 s[6:7], s[0:1]
	s_cbranch_execz .LBB87_78
; %bb.77:
	v_mov_b32_e32 v11, 0
	v_lshl_add_u64 v[24:25], v[6:7], 0, v[10:11]
	global_load_ushort v0, v[24:25], off offset:32
	v_lshl_add_u64 v[24:25], v[4:5], 0, v[10:11]
	s_waitcnt vmcnt(0)
	v_lshlrev_b32_e32 v0, 16, v0
	v_sub_f32_e32 v0, v0, v1
	global_store_short_d16_hi v[24:25], v0, off offset:32
	v_mul_f32_e32 v0, v16, v0
	v_lshrrev_b32_e32 v11, 16, v0
.LBB87_78:
	s_or_b64 exec, exec, s[6:7]
	v_mov_b32_e32 v15, 0
	v_mov_b32_e32 v13, 0
	s_and_saveexec_b64 s[6:7], s[2:3]
	s_cbranch_execz .LBB87_80
; %bb.79:
	v_mov_b32_e32 v13, 0
	v_lshl_add_u64 v[0:1], v[6:7], 0, v[12:13]
	global_load_ushort v24, v[0:1], off offset:32
	v_lshl_add_u64 v[0:1], v[4:5], 0, v[12:13]
	s_waitcnt vmcnt(0)
	v_lshlrev_b32_e32 v13, 16, v24
	v_sub_f32_e32 v2, v13, v2
	global_store_short_d16_hi v[0:1], v2, off offset:32
	v_mul_f32_e32 v0, v20, v2
	v_lshrrev_b32_e32 v13, 16, v0
.LBB87_80:
	s_or_b64 exec, exec, s[6:7]
	s_and_saveexec_b64 s[6:7], s[4:5]
	s_cbranch_execz .LBB87_82
; %bb.81:
	v_mov_b32_e32 v15, 0
	v_lshl_add_u64 v[0:1], v[6:7], 0, v[14:15]
	global_load_ushort v2, v[0:1], off offset:32
	v_lshl_add_u64 v[0:1], v[4:5], 0, v[14:15]
	s_waitcnt vmcnt(0)
	v_lshlrev_b32_e32 v2, 16, v2
	v_sub_f32_e32 v2, v2, v3
	global_store_short_d16_hi v[0:1], v2, off offset:32
	v_mul_f32_e32 v0, v17, v2
	v_lshrrev_b32_e32 v15, 16, v0
.LBB87_82:
	s_or_b64 exec, exec, s[6:7]
	s_mov_b32 s6, 0x5040100
	v_perm_b32 v24, v11, v9, s6
	v_or_b32_e32 v9, v21, v23
	v_accvgpr_read_b32 v0, a4
	v_perm_b32 v25, v15, v13, s6
	v_lshlrev_b32_e32 v9, 1, v9
	v_accvgpr_read_b32 v1, a5
	v_accvgpr_read_b32 v2, a6
	v_accvgpr_read_b32 v3, a7
	ds_write_b64 v9, v[24:25] offset:24576
	v_mov_b32_e32 v11, 0
	v_mov_b32_e32 v9, 0
	s_and_saveexec_b64 s[6:7], vcc
	s_cbranch_execz .LBB87_84
; %bb.83:
	v_mov_b32_e32 v9, 0
	v_lshl_add_u64 v[24:25], v[6:7], 0, v[8:9]
	global_load_ushort v13, v[24:25], off offset:64
	v_lshl_add_u64 v[24:25], v[4:5], 0, v[8:9]
	s_waitcnt vmcnt(0)
	v_lshlrev_b32_e32 v9, 16, v13
	v_sub_f32_e32 v0, v9, v0
	global_store_short_d16_hi v[24:25], v0, off offset:64
	v_mul_f32_e32 v0, v18, v0
	v_lshrrev_b32_e32 v9, 16, v0
.LBB87_84:
	s_or_b64 exec, exec, s[6:7]
	s_and_saveexec_b64 s[6:7], s[0:1]
	s_cbranch_execz .LBB87_86
; %bb.85:
	v_mov_b32_e32 v11, 0
	v_lshl_add_u64 v[24:25], v[6:7], 0, v[10:11]
	global_load_ushort v0, v[24:25], off offset:64
	v_lshl_add_u64 v[24:25], v[4:5], 0, v[10:11]
	s_waitcnt vmcnt(0)
	v_lshlrev_b32_e32 v0, 16, v0
	v_sub_f32_e32 v0, v0, v1
	global_store_short_d16_hi v[24:25], v0, off offset:64
	v_mul_f32_e32 v0, v16, v0
	v_lshrrev_b32_e32 v11, 16, v0
.LBB87_86:
	s_or_b64 exec, exec, s[6:7]
	v_mov_b32_e32 v15, 0
	v_mov_b32_e32 v13, 0
	s_and_saveexec_b64 s[6:7], s[2:3]
	s_cbranch_execz .LBB87_88
; %bb.87:
	v_mov_b32_e32 v13, 0
	v_lshl_add_u64 v[0:1], v[6:7], 0, v[12:13]
	global_load_ushort v23, v[0:1], off offset:64
	v_lshl_add_u64 v[0:1], v[4:5], 0, v[12:13]
	s_waitcnt vmcnt(0)
	v_lshlrev_b32_e32 v13, 16, v23
	v_sub_f32_e32 v2, v13, v2
	global_store_short_d16_hi v[0:1], v2, off offset:64
	v_mul_f32_e32 v0, v20, v2
	v_lshrrev_b32_e32 v13, 16, v0
.LBB87_88:
	s_or_b64 exec, exec, s[6:7]
	s_and_saveexec_b64 s[6:7], s[4:5]
	s_cbranch_execz .LBB87_90
; %bb.89:
	v_mov_b32_e32 v15, 0
	v_lshl_add_u64 v[0:1], v[6:7], 0, v[14:15]
	global_load_ushort v2, v[0:1], off offset:64
	v_lshl_add_u64 v[0:1], v[4:5], 0, v[14:15]
	s_waitcnt vmcnt(0)
	v_lshlrev_b32_e32 v2, 16, v2
	v_sub_f32_e32 v2, v2, v3
	global_store_short_d16_hi v[0:1], v2, off offset:64
	v_mul_f32_e32 v0, v17, v2
	v_lshrrev_b32_e32 v15, 16, v0
.LBB87_90:
	s_or_b64 exec, exec, s[6:7]
	s_mov_b32 s6, 0x5040100
	v_perm_b32 v24, v11, v9, s6
	v_or_b32_e32 v9, v21, v22
	v_accvgpr_read_b32 v0, a0
	v_perm_b32 v25, v15, v13, s6
	v_lshlrev_b32_e32 v9, 1, v9
	v_accvgpr_read_b32 v1, a1
	v_accvgpr_read_b32 v2, a2
	;; [unrolled: 1-line block ×3, first 2 shown]
	ds_write_b64 v9, v[24:25] offset:24576
	v_mov_b32_e32 v11, 0
	v_mov_b32_e32 v9, 0
	s_and_saveexec_b64 s[6:7], vcc
	s_cbranch_execz .LBB87_92
; %bb.91:
	v_mov_b32_e32 v9, 0
	v_lshl_add_u64 v[22:23], v[6:7], 0, v[8:9]
	global_load_ushort v13, v[22:23], off offset:96
	v_lshl_add_u64 v[8:9], v[4:5], 0, v[8:9]
	s_waitcnt vmcnt(0)
	v_lshlrev_b32_e32 v13, 16, v13
	v_sub_f32_e32 v0, v13, v0
	global_store_short_d16_hi v[8:9], v0, off offset:96
	v_mul_f32_e32 v0, v18, v0
	v_lshrrev_b32_e32 v9, 16, v0
.LBB87_92:
	s_or_b64 exec, exec, s[6:7]
	s_and_saveexec_b64 s[6:7], s[0:1]
	s_cbranch_execz .LBB87_94
; %bb.93:
	v_mov_b32_e32 v11, 0
	v_lshl_add_u64 v[22:23], v[6:7], 0, v[10:11]
	global_load_ushort v0, v[22:23], off offset:96
	v_lshl_add_u64 v[10:11], v[4:5], 0, v[10:11]
	s_waitcnt vmcnt(0)
	v_lshlrev_b32_e32 v0, 16, v0
	v_sub_f32_e32 v0, v0, v1
	global_store_short_d16_hi v[10:11], v0, off offset:96
	v_mul_f32_e32 v0, v16, v0
	v_lshrrev_b32_e32 v11, 16, v0
.LBB87_94:
	s_or_b64 exec, exec, s[6:7]
	v_mov_b32_e32 v0, 0
	v_mov_b32_e32 v1, 0
	s_and_saveexec_b64 s[0:1], s[2:3]
	s_cbranch_execz .LBB87_96
; %bb.95:
	v_mov_b32_e32 v13, 0
	v_lshl_add_u64 v[22:23], v[6:7], 0, v[12:13]
	global_load_ushort v1, v[22:23], off offset:96
	v_lshl_add_u64 v[12:13], v[4:5], 0, v[12:13]
	s_waitcnt vmcnt(0)
	v_lshlrev_b32_e32 v1, 16, v1
	v_sub_f32_e32 v1, v1, v2
	global_store_short_d16_hi v[12:13], v1, off offset:96
	v_mul_f32_e32 v1, v20, v1
	v_lshrrev_b32_e32 v1, 16, v1
.LBB87_96:
	s_or_b64 exec, exec, s[0:1]
	s_and_saveexec_b64 s[0:1], s[4:5]
	s_cbranch_execz .LBB87_98
; %bb.97:
	v_mov_b32_e32 v15, 0
	v_lshl_add_u64 v[6:7], v[6:7], 0, v[14:15]
	global_load_ushort v0, v[6:7], off offset:96
	v_lshl_add_u64 v[4:5], v[4:5], 0, v[14:15]
	s_waitcnt vmcnt(0)
	v_lshlrev_b32_e32 v0, 16, v0
	v_sub_f32_e32 v0, v0, v3
	global_store_short_d16_hi v[4:5], v0, off offset:96
	v_mul_f32_e32 v0, v17, v0
	v_lshrrev_b32_e32 v0, 16, v0
.LBB87_98:
	s_or_b64 exec, exec, s[0:1]
	s_mov_b32 s0, 0x5040100
	v_or_b32_e32 v2, v21, v19
	v_perm_b32 v1, v0, v1, s0
	v_perm_b32 v0, v11, v9, s0
	v_lshlrev_b32_e32 v2, 1, v2
	ds_write_b64 v2, v[0:1] offset:24576
	s_waitcnt lgkmcnt(0)
	s_barrier
.LBB87_99:
	s_endpgm
	.section	.rodata,"a",@progbits
	.p2align	6, 0x0
	.amdhsa_kernel _ZN12_GLOBAL__N_139chunk_gated_delta_rule_fwd_h_hip_kernelILi64ELb0ELb0ELb1ELb1ELb0ELb1ELb0ELb1EEEvPK12hip_bfloat16S3_S3_PKfS5_PKvPS1_S8_PvPKiSB_iiiiilll
		.amdhsa_group_segment_fixed_size 65536
		.amdhsa_private_segment_fixed_size 0
		.amdhsa_kernarg_size 136
		.amdhsa_user_sgpr_count 2
		.amdhsa_user_sgpr_dispatch_ptr 0
		.amdhsa_user_sgpr_queue_ptr 0
		.amdhsa_user_sgpr_kernarg_segment_ptr 1
		.amdhsa_user_sgpr_dispatch_id 0
		.amdhsa_user_sgpr_kernarg_preload_length 0
		.amdhsa_user_sgpr_kernarg_preload_offset 0
		.amdhsa_user_sgpr_private_segment_size 0
		.amdhsa_uses_dynamic_stack 0
		.amdhsa_enable_private_segment 0
		.amdhsa_system_sgpr_workgroup_id_x 1
		.amdhsa_system_sgpr_workgroup_id_y 1
		.amdhsa_system_sgpr_workgroup_id_z 0
		.amdhsa_system_sgpr_workgroup_info 0
		.amdhsa_system_vgpr_workitem_id 0
		.amdhsa_next_free_vgpr 232
		.amdhsa_next_free_sgpr 64
		.amdhsa_accum_offset 192
		.amdhsa_reserve_vcc 1
		.amdhsa_float_round_mode_32 0
		.amdhsa_float_round_mode_16_64 0
		.amdhsa_float_denorm_mode_32 3
		.amdhsa_float_denorm_mode_16_64 3
		.amdhsa_dx10_clamp 1
		.amdhsa_ieee_mode 1
		.amdhsa_fp16_overflow 0
		.amdhsa_tg_split 0
		.amdhsa_exception_fp_ieee_invalid_op 0
		.amdhsa_exception_fp_denorm_src 0
		.amdhsa_exception_fp_ieee_div_zero 0
		.amdhsa_exception_fp_ieee_overflow 0
		.amdhsa_exception_fp_ieee_underflow 0
		.amdhsa_exception_fp_ieee_inexact 0
		.amdhsa_exception_int_div_zero 0
	.end_amdhsa_kernel
	.section	.text._ZN12_GLOBAL__N_139chunk_gated_delta_rule_fwd_h_hip_kernelILi64ELb0ELb0ELb1ELb1ELb0ELb1ELb0ELb1EEEvPK12hip_bfloat16S3_S3_PKfS5_PKvPS1_S8_PvPKiSB_iiiiilll,"axG",@progbits,_ZN12_GLOBAL__N_139chunk_gated_delta_rule_fwd_h_hip_kernelILi64ELb0ELb0ELb1ELb1ELb0ELb1ELb0ELb1EEEvPK12hip_bfloat16S3_S3_PKfS5_PKvPS1_S8_PvPKiSB_iiiiilll,comdat
.Lfunc_end87:
	.size	_ZN12_GLOBAL__N_139chunk_gated_delta_rule_fwd_h_hip_kernelILi64ELb0ELb0ELb1ELb1ELb0ELb1ELb0ELb1EEEvPK12hip_bfloat16S3_S3_PKfS5_PKvPS1_S8_PvPKiSB_iiiiilll, .Lfunc_end87-_ZN12_GLOBAL__N_139chunk_gated_delta_rule_fwd_h_hip_kernelILi64ELb0ELb0ELb1ELb1ELb0ELb1ELb0ELb1EEEvPK12hip_bfloat16S3_S3_PKfS5_PKvPS1_S8_PvPKiSB_iiiiilll
                                        ; -- End function
	.section	.AMDGPU.csdata,"",@progbits
; Kernel info:
; codeLenInByte = 11460
; NumSgprs: 70
; NumVgprs: 192
; NumAgprs: 40
; TotalNumVgprs: 232
; ScratchSize: 0
; MemoryBound: 0
; FloatMode: 240
; IeeeMode: 1
; LDSByteSize: 65536 bytes/workgroup (compile time only)
; SGPRBlocks: 8
; VGPRBlocks: 28
; NumSGPRsForWavesPerEU: 70
; NumVGPRsForWavesPerEU: 232
; AccumOffset: 192
; Occupancy: 1
; WaveLimiterHint : 1
; COMPUTE_PGM_RSRC2:SCRATCH_EN: 0
; COMPUTE_PGM_RSRC2:USER_SGPR: 2
; COMPUTE_PGM_RSRC2:TRAP_HANDLER: 0
; COMPUTE_PGM_RSRC2:TGID_X_EN: 1
; COMPUTE_PGM_RSRC2:TGID_Y_EN: 1
; COMPUTE_PGM_RSRC2:TGID_Z_EN: 0
; COMPUTE_PGM_RSRC2:TIDIG_COMP_CNT: 0
; COMPUTE_PGM_RSRC3_GFX90A:ACCUM_OFFSET: 47
; COMPUTE_PGM_RSRC3_GFX90A:TG_SPLIT: 0
	.section	.text._ZN12_GLOBAL__N_139chunk_gated_delta_rule_fwd_h_hip_kernelILi64ELb0ELb0ELb0ELb1ELb0ELb1ELb0ELb1EEEvPK12hip_bfloat16S3_S3_PKfS5_PKvPS1_S8_PvPKiSB_iiiiilll,"axG",@progbits,_ZN12_GLOBAL__N_139chunk_gated_delta_rule_fwd_h_hip_kernelILi64ELb0ELb0ELb0ELb1ELb0ELb1ELb0ELb1EEEvPK12hip_bfloat16S3_S3_PKfS5_PKvPS1_S8_PvPKiSB_iiiiilll,comdat
	.globl	_ZN12_GLOBAL__N_139chunk_gated_delta_rule_fwd_h_hip_kernelILi64ELb0ELb0ELb0ELb1ELb0ELb1ELb0ELb1EEEvPK12hip_bfloat16S3_S3_PKfS5_PKvPS1_S8_PvPKiSB_iiiiilll ; -- Begin function _ZN12_GLOBAL__N_139chunk_gated_delta_rule_fwd_h_hip_kernelILi64ELb0ELb0ELb0ELb1ELb0ELb1ELb0ELb1EEEvPK12hip_bfloat16S3_S3_PKfS5_PKvPS1_S8_PvPKiSB_iiiiilll
	.p2align	8
	.type	_ZN12_GLOBAL__N_139chunk_gated_delta_rule_fwd_h_hip_kernelILi64ELb0ELb0ELb0ELb1ELb0ELb1ELb0ELb1EEEvPK12hip_bfloat16S3_S3_PKfS5_PKvPS1_S8_PvPKiSB_iiiiilll,@function
_ZN12_GLOBAL__N_139chunk_gated_delta_rule_fwd_h_hip_kernelILi64ELb0ELb0ELb0ELb1ELb0ELb1ELb0ELb1EEEvPK12hip_bfloat16S3_S3_PKfS5_PKvPS1_S8_PvPKiSB_iiiiilll: ; @_ZN12_GLOBAL__N_139chunk_gated_delta_rule_fwd_h_hip_kernelILi64ELb0ELb0ELb0ELb1ELb0ELb1ELb0ELb1EEEvPK12hip_bfloat16S3_S3_PKfS5_PKvPS1_S8_PvPKiSB_iiiiilll
; %bb.0:
	s_load_dwordx4 s[12:15], s[0:1], 0x5c
	s_load_dwordx4 s[16:19], s[0:1], 0x70
	s_abs_i32 s21, s3
	s_ashr_i32 s20, s3, 31
	s_load_dwordx2 s[36:37], s[0:1], 0x30
	s_load_dwordx4 s[24:27], s[0:1], 0x48
	s_waitcnt lgkmcnt(0)
	s_abs_i32 s28, s13
	v_cvt_f32_u32_e32 v1, s28
	s_sub_i32 s22, 0, s28
	s_ashr_i32 s29, s13, 31
	s_xor_b32 s20, s20, s29
	v_rcp_iflag_f32_e32 v1, v1
	s_load_dwordx8 s[4:11], s[0:1], 0x0
	v_lshrrev_b32_e32 v85, 6, v0
	v_bfe_u32 v86, v0, 4, 2
	v_mul_f32_e32 v1, 0x4f7ffffe, v1
	v_cvt_u32_f32_e32 v1, v1
	v_lshlrev_b32_e32 v2, 2, v86
	v_and_b32_e32 v84, 63, v0
	v_mov_b32_e32 v47, 0
	v_readfirstlane_b32 s23, v1
	s_mul_i32 s22, s22, s23
	s_mul_hi_u32 s22, s23, s22
	s_add_i32 s23, s23, s22
	s_mul_hi_u32 s22, s21, s23
	s_mul_i32 s23, s22, s28
	s_sub_i32 s21, s21, s23
	s_add_i32 s30, s22, 1
	s_sub_i32 s23, s21, s28
	s_cmp_ge_u32 s21, s28
	s_cselect_b32 s22, s30, s22
	s_cselect_b32 s21, s23, s21
	s_add_i32 s23, s22, 1
	s_cmp_ge_u32 s21, s28
	s_cselect_b32 s21, s23, s22
	s_xor_b32 s21, s21, s20
	s_sub_i32 s20, s21, s20
	s_mul_i32 s21, s20, s13
	s_sub_i32 s33, s3, s21
	s_ashr_i32 s21, s20, 31
	s_lshl_b64 s[22:23], s[20:21], 2
	s_add_u32 s24, s24, s22
	s_addc_u32 s25, s25, s23
	s_add_u32 s22, s26, s22
	s_addc_u32 s23, s27, s23
	s_abs_i32 s3, s14
	v_cvt_f32_u32_e32 v1, s3
	s_load_dwordx2 s[34:35], s[24:25], 0x0
	s_sub_i32 s25, 0, s3
	s_load_dword s46, s[22:23], 0x0
	v_rcp_iflag_f32_e32 v1, v1
	v_and_b32_e32 v45, 15, v0
	s_waitcnt lgkmcnt(0)
	s_sub_i32 s47, s35, s34
	s_ashr_i32 s24, s47, 31
	v_mul_f32_e32 v1, 0x4f7ffffe, v1
	v_cvt_u32_f32_e32 v1, v1
	s_lshr_b32 s24, s24, 26
	s_add_i32 s24, s47, s24
	s_ashr_i32 s45, s24, 6
	v_readfirstlane_b32 s26, v1
	s_mul_i32 s25, s25, s26
	s_mul_hi_u32 s25, s26, s25
	s_add_i32 s26, s26, s25
	s_mul_hi_u32 s25, s28, s26
	s_mul_i32 s26, s25, s3
	s_ashr_i32 s24, s14, 31
	s_sub_i32 s26, s28, s26
	s_xor_b32 s24, s29, s24
	s_add_i32 s27, s25, 1
	s_sub_i32 s28, s26, s3
	s_cmp_ge_u32 s26, s3
	s_cselect_b32 s25, s27, s25
	s_cselect_b32 s26, s28, s26
	s_add_i32 s27, s25, 1
	s_cmp_ge_u32 s26, s3
	s_cselect_b32 s3, s27, s25
	s_xor_b32 s3, s3, s24
	s_sub_i32 s3, s3, s24
	s_abs_i32 s24, s3
	v_cvt_f32_u32_e32 v1, s24
	s_sub_i32 s23, 0, s24
	s_abs_i32 s22, s33
	s_xor_b32 s3, s33, s3
	v_rcp_iflag_f32_e32 v1, v1
	s_ashr_i32 s3, s3, 31
	s_load_dwordx2 s[28:29], s[0:1], 0x80
	s_mul_hi_i32 s48, s33, s12
	v_mul_f32_e32 v1, 0x4f7ffffe, v1
	v_cvt_u32_f32_e32 v1, v1
	s_mul_i32 s49, s33, s12
	v_lshrrev_b32_e32 v88, 3, v84
	v_lshlrev_b32_e32 v87, 3, v0
	v_readfirstlane_b32 s25, v1
	s_mul_i32 s23, s23, s25
	s_mul_hi_u32 s23, s25, s23
	s_add_i32 s25, s25, s23
	s_mul_hi_u32 s23, s22, s25
	s_mul_i32 s25, s23, s24
	s_sub_i32 s22, s22, s25
	s_add_i32 s25, s23, 1
	s_sub_i32 s26, s22, s24
	s_cmp_ge_u32 s22, s24
	s_cselect_b32 s23, s25, s23
	s_cselect_b32 s22, s26, s22
	s_add_i32 s25, s23, 1
	s_cmp_ge_u32 s22, s24
	s_cselect_b32 s22, s25, s23
	s_xor_b32 s22, s22, s3
	v_lshlrev_b32_e32 v1, 4, v85
	s_sub_i32 s50, s22, s3
	v_or_b32_e32 v89, v2, v1
	s_lshl_b32 s30, s2, 6
	v_or_b32_e32 v90, 64, v89
	s_cmp_lt_i32 s47, 64
	s_mul_i32 s42, s20, s17
	s_mul_hi_u32 s43, s20, s16
	s_mul_i32 s44, s21, s16
	s_mul_i32 s16, s20, s16
	v_mov_b32_e32 v46, v47
	v_mov_b32_e32 v53, v47
	;; [unrolled: 1-line block ×31, first 2 shown]
	s_cbranch_scc1 .LBB88_18
; %bb.1:
	s_ashr_i32 s53, s33, 31
	s_ashr_i32 s3, s34, 31
	s_add_u32 s2, s49, s34
	s_addc_u32 s3, s48, s3
	s_lshl_b64 s[2:3], s[2:3], 8
	v_and_b32_e32 v92, 56, v87
	s_add_u32 s20, s6, s2
	v_lshl_or_b32 v91, v85, 3, v88
	v_lshlrev_b32_e32 v3, 1, v92
	s_addc_u32 s2, s7, s3
	v_lshl_or_b32 v93, v91, 8, v3
	s_and_b32 s21, s2, 0xffff
	s_mov_b32 s23, 0x20000
	s_movk_i32 s22, 0x4000
	s_movk_i32 s2, 0x80
	v_or_b32_e32 v94, 0x2000, v93
	buffer_load_dwordx4 v[4:7], v93, s[20:23], 0 offen
	buffer_load_dwordx4 v[8:11], v93, s[20:23], s2 offen
	;; [unrolled: 1-line block ×4, first 2 shown]
	v_lshlrev_b32_e32 v20, 3, v91
	v_and_or_b32 v22, v0, 7, v20
	v_and_b32_e32 v20, 0x78, v20
	v_lshlrev_b32_e32 v22, 4, v22
	v_xor_b32_e32 v95, v22, v20
	v_mul_lo_u32 v21, v91, s15
	v_or_b32_e32 v96, 0x1000, v95
	s_cmpk_eq_i32 s15, 0x80
	s_mov_b32 s51, s13
	s_mov_b32 s52, s34
	v_xor_b32_e32 v20, 8, v95
	v_xor_b32_e32 v22, 8, v96
	s_cselect_b64 s[2:3], -1, 0
	s_cmpk_lg_i32 s15, 0x80
	s_waitcnt vmcnt(3)
	ds_write_b64 v95, v[4:5] offset:49152
	ds_write_b64 v20, v[6:7] offset:49152
	s_waitcnt vmcnt(2)
	ds_write_b64 v95, v[8:9] offset:57344
	ds_write_b64 v20, v[10:11] offset:57344
	;; [unrolled: 3-line block ×4, first 2 shown]
	v_lshl_add_u32 v4, v21, 1, v92
	s_cbranch_scc0 .LBB88_3
; %bb.2:
	v_lshlrev_b32_e32 v6, 1, v4
	v_add_lshl_u32 v5, v4, s15, 1
	s_lshl_b32 s22, s15, 7
	s_load_dwordx2 s[38:39], s[0:1], 0x20
	v_lshl_or_b32 v3, v91, 9, v3
	s_cbranch_execz .LBB88_4
	s_branch .LBB88_5
.LBB88_3:
                                        ; implicit-def: $vgpr5
                                        ; implicit-def: $vgpr6
                                        ; implicit-def: $sgpr22
	s_load_dwordx2 s[38:39], s[0:1], 0x20
	v_lshl_or_b32 v3, v91, 9, v3
.LBB88_4:
	v_or_b32_e32 v5, 0x100, v3
	s_movk_i32 s22, 0x4000
	v_mov_b32_e32 v6, v3
.LBB88_5:
	s_mul_i32 s0, s34, s14
	s_ashr_i32 s54, s50, 31
	s_mul_hi_i32 s1, s34, s14
	s_add_u32 s0, s0, s50
	s_addc_u32 s1, s1, s54
	s_lshl_b64 s[0:1], s[0:1], 8
	s_add_u32 s20, s4, s0
	s_addc_u32 s0, s5, s1
	s_and_b32 s21, s0, 0xffff
	s_movk_i32 s55, 0x80
	buffer_load_dwordx4 v[8:11], v6, s[20:23], 0 offen
	buffer_load_dwordx4 v[12:15], v6, s[20:23], s55 offen
	;; [unrolled: 1-line block ×4, first 2 shown]
	v_and_b32_e32 v5, 6, v0
	v_lshlrev_b32_e32 v6, 7, v89
	v_xor_b32_e32 v28, v91, v5
	v_and_b32_e32 v7, 1, v0
	v_lshl_or_b32 v31, v45, 3, v6
	v_lshlrev_b32_e32 v28, 2, v28
	v_lshlrev_b32_e32 v24, 2, v45
	v_or_b32_e32 v97, 0x4000, v31
	v_or_b32_e32 v98, 0x6000, v31
	v_xor_b32_e32 v31, 0x440, v28
	v_cmp_eq_u32_e32 vcc, 0, v7
	v_or_b32_e32 v26, 16, v45
	v_or_b32_e32 v27, 32, v45
	v_xor_b32_e32 v29, v89, v24
	v_xor_b32_e32 v30, v90, v24
	v_cndmask_b32_e32 v7, v31, v28, vcc
	s_add_i32 s0, s43, s42
	s_mov_b32 s56, 0x1000504
	v_lshl_or_b32 v32, v26, 3, v6
	v_lshlrev_b32_e32 v26, 8, v26
	v_lshl_or_b32 v33, v27, 3, v6
	v_lshlrev_b32_e32 v29, 1, v29
	v_lshlrev_b32_e32 v30, 1, v30
	v_lshl_or_b32 v5, v5, 10, v7
	s_add_i32 s17, s0, s44
	s_mul_i32 s0, s33, s19
	s_mul_hi_u32 s1, s33, s18
	s_mov_b32 s57, 0x3020706
	v_lshlrev_b32_e32 v25, 8, v45
	v_or_b32_e32 v101, 0x4000, v33
	v_or_b32_e32 v102, 0x6000, v33
	;; [unrolled: 1-line block ×4, first 2 shown]
	v_xor_b32_e32 v7, 8, v5
	v_xor_b32_e32 v26, 24, v5
	;; [unrolled: 1-line block ×4, first 2 shown]
	s_add_i32 s0, s1, s0
	s_mul_i32 s1, s53, s18
	v_or_b32_e32 v99, 0x4000, v32
	v_or_b32_e32 v100, 0x6000, v32
	;; [unrolled: 1-line block ×4, first 2 shown]
	v_xor_b32_e32 v25, 16, v5
	v_xor_b32_e32 v28, 32, v5
	;; [unrolled: 1-line block ×3, first 2 shown]
	v_add_u32_e32 v7, 0x80, v7
	v_add_u32_e32 v26, 0x80, v26
	;; [unrolled: 1-line block ×4, first 2 shown]
	s_add_i32 s1, s0, s1
	s_lshl_b64 s[20:21], s[16:17], 2
	s_mul_i32 s0, s33, s18
	s_add_u32 s17, s10, s20
	s_addc_u32 s20, s11, s21
	s_lshl_b64 s[0:1], s[0:1], 2
	s_add_u32 s40, s17, s0
	s_movk_i32 s0, 0xf8
	s_addc_u32 s41, s20, s1
	s_ashr_i32 s31, s30, 31
	s_lshl_b32 s26, s15, 7
	v_mov_b32_e32 v79, 0
	s_movk_i32 s17, 0x100
	v_lshlrev_b32_e32 v78, 4, v45
	v_lshlrev_b32_e32 v27, 8, v27
	s_mov_b32 s59, 0
	s_movk_i32 s22, 0x4000
	v_or_b32_e32 v107, v27, v29
	v_or_b32_e32 v108, v27, v30
	v_add_u32_e32 v134, v1, v2
	s_movk_i32 s58, 0x3000
	v_mov_b32_e32 v144, 0x3fb8aa3b
	v_mov_b32_e32 v70, v79
	;; [unrolled: 1-line block ×7, first 2 shown]
	s_waitcnt vmcnt(1)
	v_perm_b32 v34, v8, v16, s56
	s_waitcnt vmcnt(0)
	v_perm_b32 v35, v12, v20, s56
	v_perm_b32 v8, v8, v16, s57
	;; [unrolled: 1-line block ×15, first 2 shown]
	ds_write2st64_b32 v5, v34, v35 offset0:128 offset1:160
	ds_write2st64_b32 v7, v8, v12 offset0:128 offset1:160
	ds_write2st64_b32 v25, v16, v20 offset0:129 offset1:161
	ds_write2st64_b32 v26, v9, v13 offset0:129 offset1:161
	ds_write2st64_b32 v28, v17, v21 offset0:130 offset1:162
	ds_write2st64_b32 v31, v10, v14 offset0:130 offset1:162
	ds_write2st64_b32 v32, v18, v22 offset0:131 offset1:163
	ds_write2st64_b32 v33, v11, v15 offset0:131 offset1:163
	v_or_b32_e32 v5, 48, v45
	v_lshl_or_b32 v7, v5, 3, v6
	v_lshlrev_b32_e32 v5, 8, v5
	v_or_b32_e32 v111, v5, v29
	v_or_b32_e32 v112, v5, v30
	;; [unrolled: 1-line block ×3, first 2 shown]
	v_lshlrev_b32_e32 v5, 3, v5
	v_lshrrev_b32_e32 v9, 5, v84
	v_and_or_b32 v9, v5, s0, v9
	v_lshlrev_b32_e32 v9, 4, v9
	v_lshlrev_b32_e32 v11, 11, v85
	v_and_b32_e32 v5, 0x78, v5
	v_or_b32_e32 v14, 32, v9
	v_and_b32_e32 v8, 0x1000, v11
	v_xor_b32_e32 v10, v9, v5
	v_lshrrev_b32_e32 v12, 1, v84
	v_xor_b32_e32 v14, v14, v5
	v_or_b32_e32 v10, v10, v8
	v_and_b32_e32 v12, 8, v12
	v_or_b32_e32 v14, v14, v8
	v_xor_b32_e32 v113, v10, v12
	v_lshlrev_b32_e32 v10, 8, v86
	v_xor_b32_e32 v115, v14, v12
	v_or_b32_e32 v14, 64, v9
	v_or_b32_e32 v9, 0x60, v9
	;; [unrolled: 1-line block ×3, first 2 shown]
	v_xor_b32_e32 v14, v14, v5
	v_xor_b32_e32 v5, v9, v5
	v_lshlrev_b32_e32 v13, 1, v13
	v_or_b32_e32 v14, v14, v8
	v_or_b32_e32 v5, v5, v8
	s_lshl_b64 s[0:1], s[30:31], 8
	v_or_b32_e32 v114, 0x4000, v13
	v_or_b32_e32 v116, 0x4080, v13
	;; [unrolled: 1-line block ×4, first 2 shown]
	v_xor_b32_e32 v119, v14, v12
	v_xor_b32_e32 v120, v5, v12
	v_or_b32_e32 v121, 0x6000, v13
	v_or_b32_e32 v122, 0x6080, v13
	;; [unrolled: 1-line block ×4, first 2 shown]
	v_lshlrev_b32_e32 v12, 1, v4
	v_add_lshl_u32 v13, v4, s15, 1
	s_add_u32 s0, s36, s0
	v_lshlrev_b32_e32 v4, 1, v45
	v_lshrrev_b32_e32 v15, 4, v0
	s_addc_u32 s1, s37, s1
	v_or_b32_e32 v5, 1, v4
	v_lshlrev_b32_e32 v18, 2, v0
	v_or_b32_e32 v14, 0x100, v3
	v_xor_b32_e32 v16, v15, v4
	v_xor_b32_e32 v17, v5, v15
	v_lshl_add_u64 v[4:5], s[0:1], 0, v[78:79]
	v_lshlrev_b32_e32 v78, 8, v15
	v_lshrrev_b32_e32 v19, 1, v0
	v_and_or_b32 v10, v18, 60, v10
	v_cndmask_b32_e64 v131, v12, v3, s[2:3]
	v_mov_b32_e32 v3, 0xa000
	v_mov_b32_e32 v12, 0x8000
	v_cmp_gt_u32_e64 s[0:1], s17, v0
	v_lshl_or_b32 v125, v16, 3, v78
	v_and_b32_e32 v16, 8, v0
	v_and_b32_e32 v19, 24, v19
	v_lshlrev_b32_e32 v10, 1, v10
	v_cndmask_b32_e64 v3, v3, v12, s[0:1]
	v_lshlrev_b32_e32 v12, 3, v85
	v_or_b32_e32 v127, 0x6000, v10
	v_or_b32_e32 v128, 0x6080, v10
	;; [unrolled: 1-line block ×4, first 2 shown]
	v_mov_b32_e32 v10, 0x400
	v_cmp_eq_u32_e32 vcc, 0, v16
	v_cndmask_b32_e64 v132, v13, v14, s[2:3]
	v_xor_b32_e32 v13, v12, v19
	v_and_b32_e32 v15, 7, v0
	v_cndmask_b32_e64 v16, v10, 64, vcc
	v_or_b32_e32 v14, 0x440, v13
	v_lshl_or_b32 v126, v17, 3, v78
	v_lshlrev_b32_e32 v17, 3, v15
	v_or_b32_e32 v18, 32, v19
	v_or_b32_e32 v20, 0x60, v19
	v_cndmask_b32_e32 v14, v14, v13, vcc
	v_or3_b32 v13, v11, v16, v13
	v_lshlrev_b32_e32 v15, 7, v15
	v_xor_b32_e32 v18, v12, v18
	v_xor_b32_e32 v13, v13, v17
	;; [unrolled: 1-line block ×3, first 2 shown]
	v_or_b32_e32 v21, 0x440, v18
	v_or_b32_e32 v133, v13, v15
	v_xor_b32_e32 v13, 0x440, v12
	v_cndmask_b32_e32 v18, v21, v18, vcc
	v_cndmask_b32_e32 v12, v13, v12, vcc
	v_or_b32_e32 v109, 0x4000, v7
	v_or_b32_e32 v110, 0x6000, v7
	v_lshrrev_b32_e32 v7, 2, v84
	v_or_b32_e32 v14, v14, v11
	v_or_b32_e32 v18, v18, v11
	;; [unrolled: 1-line block ×3, first 2 shown]
	v_and_b32_e32 v7, 12, v7
	v_or_b32_e32 v8, s30, v45
	v_xor_b32_e32 v14, v14, v17
	v_xor_b32_e32 v18, v18, v17
	;; [unrolled: 1-line block ×3, first 2 shown]
	v_ashrrev_i32_e32 v9, 31, v8
	v_or_b32_e32 v10, v1, v7
	v_add_u32_e32 v19, v3, v14
	v_add_u32_e32 v21, v3, v18
	;; [unrolled: 1-line block ×3, first 2 shown]
	v_or3_b32 v12, v1, v7, 64
	v_add_u32_e32 v7, 0xa000, v14
	v_add_u32_e32 v14, 0xa000, v18
	;; [unrolled: 1-line block ×3, first 2 shown]
	v_lshl_add_u64 v[80:81], v[8:9], 1, s[8:9]
	v_lshl_add_u64 v[82:83], v[4:5], 0, v[78:79]
	s_mov_b32 s17, 0x7060302
	v_lshlrev_b32_e32 v78, 1, v6
	s_movk_i32 s31, 0x2000
	v_lshlrev_b32_e32 v135, 2, v10
	v_add_u32_e32 v136, v19, v15
	v_add_u32_e32 v137, v21, v15
	;; [unrolled: 1-line block ×4, first 2 shown]
	v_lshlrev_b32_e32 v140, 2, v12
	v_add_u32_e32 v141, v7, v15
	v_add_u32_e32 v142, v14, v15
	;; [unrolled: 1-line block ×3, first 2 shown]
	v_mov_b32_e32 v76, v79
	v_mov_b32_e32 v77, v79
	;; [unrolled: 1-line block ×26, first 2 shown]
	s_waitcnt lgkmcnt(0)
	s_barrier
.LBB88_6:                               ; =>This Inner Loop Header: Depth=1
	s_add_i32 s60, s59, 1
	s_cmp_lt_i32 s60, s45
	s_mov_b64 s[24:25], 0
	s_cselect_b64 s[2:3], -1, 0
	s_cmp_ge_i32 s60, s45
	s_mov_b64 s[20:21], 0
	s_cbranch_scc1 .LBB88_8
; %bb.7:                                ;   in Loop: Header=BB88_6 Depth=1
	s_add_i32 s0, s52, 64
	s_ashr_i32 s1, s0, 31
	s_add_u32 s0, s49, s0
	s_addc_u32 s1, s48, s1
	s_lshl_b64 s[0:1], s[0:1], 8
	s_add_u32 s20, s6, s0
	s_addc_u32 s21, s7, s1
.LBB88_8:                               ;   in Loop: Header=BB88_6 Depth=1
	v_cndmask_b32_e64 v2, 0, 1, s[2:3]
	v_cmp_ne_u32_e64 s[0:1], 1, v2
	s_andn2_b64 vcc, exec, s[2:3]
	s_cbranch_vccnz .LBB88_10
; %bb.9:                                ;   in Loop: Header=BB88_6 Depth=1
	s_add_i32 s2, s52, 64
	s_mul_hi_i32 s3, s2, s14
	s_mul_i32 s2, s2, s14
	s_add_u32 s2, s2, s50
	s_addc_u32 s3, s3, s54
	s_lshl_b64 s[2:3], s[2:3], 8
	s_add_u32 s24, s4, s2
	s_addc_u32 s25, s5, s3
.LBB88_10:                              ;   in Loop: Header=BB88_6 Depth=1
	v_perm_b32 v3, v77, v76, s17
	v_perm_b32 v2, v75, v74, s17
	v_perm_b32 v5, v73, v72, s17
	v_perm_b32 v4, v71, v70, s17
	ds_write_b64 v97, v[2:3]
	ds_write_b64 v98, v[4:5]
	ds_write_b64 v103, v[2:3]
	ds_write_b64 v104, v[4:5]
	v_perm_b32 v3, v69, v68, s17
	v_perm_b32 v2, v67, v66, s17
	v_perm_b32 v5, v65, v64, s17
	v_perm_b32 v4, v63, v62, s17
	ds_write_b64 v99, v[2:3]
	ds_write_b64 v100, v[4:5]
	ds_write_b64 v105, v[2:3]
	ds_write_b64 v106, v[4:5]
	;; [unrolled: 8-line block ×4, first 2 shown]
	s_waitcnt lgkmcnt(0)
	s_barrier
	ds_read_b64 v[6:7], v113 offset:49152
	ds_read2_b64 v[2:5], v114 offset1:16
	ds_read_b64 v[18:19], v116 offset:6144
	ds_read_b64 v[20:21], v114 offset:6144
	s_waitcnt lgkmcnt(2)
	v_mfma_f32_16x16x16_bf16 a[0:3], v[6:7], v[2:3], 0
	ds_read_b64 v[22:23], v115 offset:49152
	ds_read2st64_b64 v[10:13], v117 offset0:4 offset1:8
	ds_read2st64_b64 v[14:17], v118 offset0:4 offset1:8
	v_mfma_f32_16x16x16_bf16 a[4:7], v[6:7], v[4:5], 0
	ds_read2_b64 v[2:5], v114 offset0:32 offset1:48
	s_add_i32 s61, s52, 63
	s_ashr_i32 s2, s61, 31
	s_waitcnt lgkmcnt(0)
	v_mfma_f32_16x16x16_bf16 a[8:11], v[6:7], v[2:3], 0
	s_mul_i32 s3, s61, s29
	s_mul_hi_u32 s27, s61, s28
	s_add_i32 s3, s27, s3
	v_mfma_f32_16x16x16_bf16 a[12:15], v[6:7], v[4:5], 0
	ds_read2st64_b64 v[2:5], v114 offset0:4 offset1:8
	ds_read2st64_b64 v[6:9], v116 offset0:4 offset1:8
	s_mul_i32 s2, s2, s28
	s_waitcnt lgkmcnt(1)
	v_mfma_f32_16x16x16_bf16 a[0:3], v[22:23], v[2:3], a[0:3]
	s_add_i32 s3, s3, s2
	s_mul_i32 s2, s61, s28
	s_lshl_b64 s[2:3], s[2:3], 2
	s_waitcnt lgkmcnt(0)
	v_mfma_f32_16x16x16_bf16 a[4:7], v[22:23], v[6:7], a[4:7]
	s_add_u32 s2, s40, s2
	s_addc_u32 s3, s41, s3
	s_and_b64 vcc, exec, s[0:1]
	v_mfma_f32_16x16x16_bf16 a[8:11], v[22:23], v[10:11], a[8:11]
	ds_read_b64 v[2:3], v119 offset:49152
	ds_read_b64 v[6:7], v120 offset:49152
	;; [unrolled: 1-line block ×3, first 2 shown]
	v_mov_b32_e32 v147, 0
	v_mov_b32_e32 v146, 0
	v_mfma_f32_16x16x16_bf16 a[12:15], v[22:23], v[14:15], a[12:15]
	v_mov_b32_e32 v145, 0
	v_mov_b32_e32 v14, 0
	v_mov_b32_e32 v15, 0
	s_waitcnt lgkmcnt(2)
	v_mfma_f32_16x16x16_bf16 a[0:3], v[2:3], v[4:5], a[0:3]
	v_mov_b32_e32 v4, 0
	v_mov_b32_e32 v5, 0
	v_mfma_f32_16x16x16_bf16 a[16:19], v[2:3], v[8:9], a[4:7]
	v_mov_b32_e32 v8, 0
	v_mov_b32_e32 v9, 0
	;; [unrolled: 3-line block ×3, first 2 shown]
	v_mfma_f32_16x16x16_bf16 a[24:27], v[2:3], v[16:17], a[12:15]
	ds_read_b64 v[2:3], v117 offset:6144
	v_mov_b32_e32 v16, 0
	v_mov_b32_e32 v17, 0
	s_waitcnt lgkmcnt(2)
	v_mfma_f32_16x16x16_bf16 a[4:7], v[6:7], v[20:21], a[0:3]
	v_mfma_f32_16x16x16_bf16 a[8:11], v[6:7], v[18:19], a[16:19]
	s_waitcnt lgkmcnt(0)
	v_mfma_f32_16x16x16_bf16 a[12:15], v[6:7], v[2:3], a[20:23]
	v_mov_b32_e32 v2, 0
	v_mov_b32_e32 v3, 0
	v_mfma_f32_16x16x16_bf16 a[0:3], v[6:7], v[10:11], a[24:27]
	v_mov_b32_e32 v6, 0
	v_mov_b32_e32 v7, 0
	;; [unrolled: 1-line block ×4, first 2 shown]
	s_cbranch_vccnz .LBB88_12
; %bb.11:                               ;   in Loop: Header=BB88_6 Depth=1
	s_and_b32 s21, s21, 0xffff
	buffer_load_dwordx4 v[14:17], v93, s[20:23], 0 offen
	buffer_load_dwordx4 v[10:13], v93, s[20:23], s55 offen
	;; [unrolled: 1-line block ×4, first 2 shown]
	v_mov_b32_e32 v146, v95
	v_mov_b32_e32 v145, v96
.LBB88_12:                              ;   in Loop: Header=BB88_6 Depth=1
	ds_read_b64 v[34:35], v113 offset:57344
	ds_read2_b64 v[18:21], v121 offset1:16
	ds_read_b64 v[36:37], v115 offset:57344
	ds_read_b64 v[38:39], v119 offset:57344
	;; [unrolled: 1-line block ×3, first 2 shown]
	v_add_u32_e32 v42, s52, v134
	s_waitcnt lgkmcnt(3)
	v_mfma_f32_16x16x16_bf16 a[4:7], v[34:35], v[18:19], a[4:7]
	v_mfma_f32_16x16x16_bf16 a[8:11], v[34:35], v[20:21], a[8:11]
	ds_read2_b64 v[18:21], v121 offset0:32 offset1:48
	ds_read2st64_b64 v[22:25], v121 offset0:4 offset1:8
	ds_read2st64_b64 v[26:29], v122 offset0:4 offset1:8
	;; [unrolled: 1-line block ×3, first 2 shown]
	s_waitcnt lgkmcnt(3)
	v_mfma_f32_16x16x16_bf16 a[12:15], v[34:35], v[18:19], a[12:15]
	v_ashrrev_i32_e32 v18, 31, v42
	v_mfma_f32_16x16x16_bf16 a[0:3], v[34:35], v[20:21], a[0:3]
	v_mul_lo_u32 v20, v18, s28
	v_mul_lo_u32 v21, v42, s29
	v_mad_u64_u32 v[18:19], s[20:21], v42, s28, 0
	v_add3_u32 v19, v19, v21, v20
	v_add_u32_e32 v20, 1, v42
	v_ashrrev_i32_e32 v21, 31, v20
	s_waitcnt lgkmcnt(2)
	v_mfma_f32_16x16x16_bf16 a[4:7], v[36:37], v[22:23], a[4:7]
	v_mul_lo_u32 v22, v21, s28
	v_mul_lo_u32 v23, v20, s29
	v_mad_u64_u32 v[20:21], s[20:21], v20, s28, 0
	v_add3_u32 v21, v21, v23, v22
	v_add_u32_e32 v22, 2, v42
	v_ashrrev_i32_e32 v23, 31, v22
	s_waitcnt lgkmcnt(1)
	v_mfma_f32_16x16x16_bf16 a[8:11], v[36:37], v[26:27], a[8:11]
	v_mul_lo_u32 v26, v23, s28
	v_mul_lo_u32 v27, v22, s29
	v_mad_u64_u32 v[22:23], s[20:21], v22, s28, 0
	v_add3_u32 v23, v23, v27, v26
	v_add_u32_e32 v26, 3, v42
	v_ashrrev_i32_e32 v27, 31, v26
	v_mul_lo_u32 v34, v27, s28
	v_mul_lo_u32 v35, v26, s29
	v_mad_u64_u32 v[26:27], s[20:21], v26, s28, 0
	s_ashr_i32 s21, s52, 31
	s_add_u32 s20, s49, s52
	v_lshl_add_u64 v[18:19], v[18:19], 2, s[40:41]
	v_add3_u32 v27, v27, v35, v34
	s_addc_u32 s21, s48, s21
	v_lshl_add_u64 v[20:21], v[20:21], 2, s[40:41]
	global_load_dword v42, v[18:19], off
	v_lshl_add_u64 v[18:19], v[26:27], 2, s[40:41]
	s_lshl_b64 s[20:21], s[20:21], 8
	v_lshl_add_u64 v[22:23], v[22:23], 2, s[40:41]
	global_load_dword v34, v[20:21], off
	global_load_dword v35, v[22:23], off
	;; [unrolled: 1-line block ×3, first 2 shown]
	v_lshl_add_u64 v[18:19], v[80:81], 0, s[20:21]
	v_lshl_add_u64 v[22:23], v[18:19], 0, v[78:79]
	global_load_ushort v44, v[22:23], off offset:256
	global_load_ushort v148, v[22:23], off
	ds_read2st64_b64 v[18:21], v124 offset0:4 offset1:8
	global_load_ushort v149, v[22:23], off offset:768
	global_load_ushort v150, v[22:23], off offset:512
	s_waitcnt lgkmcnt(1)
	v_mfma_f32_16x16x16_bf16 a[12:15], v[36:37], v[30:31], a[12:15]
	s_and_b64 vcc, exec, s[0:1]
	s_waitcnt vmcnt(3)
	v_lshlrev_b32_e32 v31, 16, v44
	s_waitcnt lgkmcnt(0)
	v_mfma_f32_16x16x16_bf16 a[0:3], v[36:37], v[18:19], a[0:3]
	global_load_ushort v36, v[22:23], off offset:288
	global_load_ushort v37, v[22:23], off offset:32
	;; [unrolled: 1-line block ×8, first 2 shown]
	v_mfma_f32_16x16x16_bf16 a[4:7], v[38:39], v[24:25], a[4:7]
	ds_read_b64 v[18:19], v121 offset:6144
	s_waitcnt vmcnt(10)
	v_lshlrev_b32_e32 v30, 16, v148
	v_mov_b32_e32 v148, 0
	v_mfma_f32_16x16x16_bf16 a[8:11], v[38:39], v[28:29], a[8:11]
	v_mfma_f32_16x16x16_bf16 a[12:15], v[38:39], v[32:33], a[12:15]
	;; [unrolled: 1-line block ×3, first 2 shown]
	global_load_ushort v38, v[22:23], off offset:352
	global_load_ushort v39, v[22:23], off offset:96
	ds_read_b64 v[20:21], v122 offset:6144
	ds_read_b64 v[24:25], v123 offset:6144
	;; [unrolled: 1-line block ×3, first 2 shown]
	global_load_ushort v157, v[22:23], off offset:864
	global_load_ushort v158, v[22:23], off offset:608
	s_load_dword s2, s[2:3], 0x0
	s_waitcnt lgkmcnt(0)
	v_mfma_f32_16x16x16_bf16 a[4:7], v[40:41], v[18:19], a[4:7]
	v_sub_f32_e32 v28, s2, v35
	v_mfma_f32_16x16x16_bf16 a[0:3], v[40:41], v[26:27], a[0:3]
	v_sub_f32_e32 v26, s2, v42
	v_sub_f32_e32 v27, s2, v34
	;; [unrolled: 1-line block ×3, first 2 shown]
	v_mul_f32_e32 v26, 0x3fb8aa3b, v26
	v_mul_f32_e32 v27, 0x3fb8aa3b, v27
	;; [unrolled: 1-line block ×4, first 2 shown]
	v_mfma_f32_16x16x16_bf16 a[8:11], v[40:41], v[20:21], a[8:11]
	v_exp_f32_e32 v26, v26
	v_exp_f32_e32 v27, v27
	;; [unrolled: 1-line block ×4, first 2 shown]
	v_accvgpr_read_b32 v33, a5
	v_accvgpr_read_b32 v32, a4
	;; [unrolled: 1-line block ×4, first 2 shown]
	v_pk_add_f32 v[30:31], v[30:31], v[32:33] neg_lo:[0,1] neg_hi:[0,1]
	s_waitcnt vmcnt(13)
	v_lshlrev_b32_e32 v33, 16, v149
	s_waitcnt vmcnt(12)
	v_lshlrev_b32_e32 v32, 16, v150
	v_pk_add_f32 v[18:19], v[32:33], v[18:19] neg_lo:[0,1] neg_hi:[0,1]
	v_pk_mul_f32 v[30:31], v[26:27], v[30:31]
	v_pk_mul_f32 v[18:19], v[28:29], v[18:19]
	v_accvgpr_read_b32 v33, a9
	v_perm_b32 v19, v19, v18, s17
	v_perm_b32 v18, v31, v30, s17
	v_accvgpr_read_b32 v32, a8
	v_accvgpr_read_b32 v21, a11
	v_mfma_f32_16x16x16_bf16 a[12:15], v[40:41], v[24:25], a[12:15]
	v_accvgpr_read_b32 v20, a10
	v_accvgpr_read_b32 v25, a3
	;; [unrolled: 1-line block ×3, first 2 shown]
	s_waitcnt vmcnt(11)
	v_lshlrev_b32_e32 v31, 16, v36
	s_waitcnt vmcnt(10)
	v_lshlrev_b32_e32 v30, 16, v37
	v_pk_add_f32 v[30:31], v[30:31], v[32:33] neg_lo:[0,1] neg_hi:[0,1]
	s_waitcnt vmcnt(9)
	v_lshlrev_b32_e32 v33, 16, v151
	s_waitcnt vmcnt(8)
	v_lshlrev_b32_e32 v32, 16, v152
	v_pk_add_f32 v[20:21], v[32:33], v[20:21] neg_lo:[0,1] neg_hi:[0,1]
	v_pk_mul_f32 v[30:31], v[26:27], v[30:31]
	v_pk_mul_f32 v[20:21], v[28:29], v[20:21]
	v_accvgpr_read_b32 v23, a15
	v_perm_b32 v21, v21, v20, s17
	v_perm_b32 v20, v31, v30, s17
	ds_write2_b64 v98, v[18:19], v[20:21] offset1:16
	v_accvgpr_read_b32 v21, a13
	s_waitcnt vmcnt(7)
	v_lshlrev_b32_e32 v19, 16, v153
	s_waitcnt vmcnt(6)
	v_lshlrev_b32_e32 v18, 16, v154
	v_accvgpr_read_b32 v20, a12
	v_accvgpr_read_b32 v22, a14
	v_pk_add_f32 v[18:19], v[18:19], v[20:21] neg_lo:[0,1] neg_hi:[0,1]
	s_waitcnt vmcnt(5)
	v_lshlrev_b32_e32 v21, 16, v155
	s_waitcnt vmcnt(4)
	v_lshlrev_b32_e32 v20, 16, v156
	v_pk_add_f32 v[20:21], v[20:21], v[22:23] neg_lo:[0,1] neg_hi:[0,1]
	v_pk_mul_f32 v[18:19], v[26:27], v[18:19]
	v_pk_mul_f32 v[20:21], v[28:29], v[20:21]
	v_accvgpr_read_b32 v23, a1
	v_perm_b32 v21, v21, v20, s17
	v_perm_b32 v20, v19, v18, s17
	s_waitcnt vmcnt(3)
	v_lshlrev_b32_e32 v19, 16, v38
	s_waitcnt vmcnt(2)
	v_lshlrev_b32_e32 v18, 16, v39
	v_accvgpr_read_b32 v22, a0
	v_pk_add_f32 v[18:19], v[18:19], v[22:23] neg_lo:[0,1] neg_hi:[0,1]
	s_waitcnt vmcnt(1)
	v_lshlrev_b32_e32 v23, 16, v157
	s_waitcnt vmcnt(0)
	v_lshlrev_b32_e32 v22, 16, v158
	v_pk_add_f32 v[22:23], v[22:23], v[24:25] neg_lo:[0,1] neg_hi:[0,1]
	v_pk_mul_f32 v[18:19], v[26:27], v[18:19]
	v_pk_mul_f32 v[22:23], v[28:29], v[22:23]
	v_mov_b32_e32 v24, 0
	v_perm_b32 v23, v23, v22, s17
	v_perm_b32 v22, v19, v18, s17
	ds_write2_b64 v98, v[20:21], v[22:23] offset0:32 offset1:48
	v_mov_b32_e32 v18, 0
	v_mov_b32_e32 v19, 0
	;; [unrolled: 1-line block ×15, first 2 shown]
	s_cbranch_vccnz .LBB88_14
; %bb.13:                               ;   in Loop: Header=BB88_6 Depth=1
	s_and_b32 s25, s25, 0xffff
	s_mov_b32 s27, s23
	buffer_load_dwordx4 v[30:33], v131, s[24:27], 0 offen
	buffer_load_dwordx4 v[22:25], v131, s[24:27], s55 offen
	buffer_load_dwordx4 v[26:29], v132, s[24:27], 0 offen
	buffer_load_dwordx4 v[18:21], v132, s[24:27], s55 offen
	v_mov_b32_e32 v147, v92
	v_mov_b32_e32 v148, v91
.LBB88_14:                              ;   in Loop: Header=BB88_6 Depth=1
	s_waitcnt lgkmcnt(0)
	s_barrier
	ds_read_b64 v[42:43], v136
	ds_read2_b64 v[34:37], v127 offset1:16
	ds_read_b64 v[166:167], v137
	ds_read_b64 v[168:169], v138
	;; [unrolled: 1-line block ×3, first 2 shown]
	ds_read2_b64 v[38:41], v127 offset0:32 offset1:48
	ds_read2st64_b64 v[150:153], v127 offset0:4 offset1:8
	ds_read2st64_b64 v[154:157], v128 offset0:4 offset1:8
	;; [unrolled: 1-line block ×4, first 2 shown]
	s_waitcnt lgkmcnt(8)
	v_mfma_f32_16x16x16_bf16 a[0:3], v[42:43], v[34:35], 0
	s_add_i32 s3, s46, s59
	s_mul_hi_i32 s21, s3, s51
	s_mul_i32 s3, s3, s51
	v_mfma_f32_16x16x16_bf16 a[4:7], v[42:43], v[36:37], 0
	s_add_u32 s20, s3, s33
	s_addc_u32 s21, s21, s53
	s_lshl_b64 s[20:21], s[20:21], 15
	s_waitcnt lgkmcnt(4)
	v_mfma_f32_16x16x16_bf16 a[8:11], v[42:43], v[38:39], 0
	s_mul_i32 s24, s61, s51
	s_mul_hi_i32 s3, s61, s51
	s_add_u32 s24, s24, s33
	v_mfma_f32_16x16x16_bf16 a[12:15], v[42:43], v[40:41], 0
	ds_read_b64 v[42:43], v127 offset:6144
	ds_read_b64 v[178:179], v128 offset:6144
	;; [unrolled: 1-line block ×4, first 2 shown]
	s_addc_u32 s25, s3, s53
	s_waitcnt lgkmcnt(7)
	v_mfma_f32_16x16x16_bf16 a[0:3], v[166:167], v[150:151], a[0:3]
	s_lshl_b64 s[24:25], s[24:25], 9
	s_add_u32 s24, s38, s24
	s_addc_u32 s25, s39, s25
	s_waitcnt lgkmcnt(6)
	v_mfma_f32_16x16x16_bf16 a[4:7], v[166:167], v[154:155], a[4:7]
	v_lshl_add_u64 v[188:189], v[82:83], 0, s[20:21]
	s_waitcnt lgkmcnt(5)
	v_mfma_f32_16x16x16_bf16 a[8:11], v[166:167], v[158:159], a[8:11]
	s_waitcnt lgkmcnt(4)
	v_mfma_f32_16x16x16_bf16 a[12:15], v[166:167], v[162:163], a[12:15]
	ds_read_b64 v[166:167], v141
	ds_read_b64 v[176:177], v142
	;; [unrolled: 1-line block ×3, first 2 shown]
	s_waitcnt lgkmcnt(2)
	v_mfma_f32_16x16x16_bf16 a[16:19], v[166:167], v[34:35], 0
	v_mfma_f32_16x16x16_bf16 a[20:23], v[166:167], v[36:37], 0
	global_load_dwordx4 v[34:37], v140, s[24:25]
	v_mfma_f32_16x16x16_bf16 a[24:27], v[166:167], v[38:39], 0
	v_mfma_f32_16x16x16_bf16 a[28:31], v[166:167], v[40:41], 0
	global_load_dwordx4 v[38:41], v135, s[24:25]
	v_mfma_f32_16x16x16_bf16 a[0:3], v[168:169], v[152:153], a[0:3]
	v_mfma_f32_16x16x16_bf16 a[4:7], v[168:169], v[156:157], a[4:7]
	v_mfma_f32_16x16x16_bf16 a[8:11], v[168:169], v[160:161], a[8:11]
	v_mfma_f32_16x16x16_bf16 a[12:15], v[168:169], v[164:165], a[12:15]
	v_mfma_f32_16x16x16_bf16 a[0:3], v[170:171], v[42:43], a[0:3]
	v_mfma_f32_16x16x16_bf16 a[4:7], v[170:171], v[178:179], a[4:7]
	v_mfma_f32_16x16x16_bf16 a[8:11], v[170:171], v[180:181], a[8:11]
	v_mfma_f32_16x16x16_bf16 a[12:15], v[170:171], v[182:183], a[12:15]
	ds_read2st64_b64 v[166:169], v125 offset1:8
	ds_read2st64_b64 v[170:173], v126 offset1:8
	ds_read_b64 v[186:187], v133 offset:40960
	s_waitcnt lgkmcnt(2)
	v_mov_b32_e32 v174, v166
	v_mfma_f32_16x16x16_bf16 a[16:19], v[176:177], v[150:151], a[16:19]
	v_mov_b32_e32 v175, v167
	v_mfma_f32_16x16x16_bf16 a[20:23], v[176:177], v[154:155], a[20:23]
	v_mfma_f32_16x16x16_bf16 a[24:27], v[176:177], v[158:159], a[24:27]
	;; [unrolled: 1-line block ×3, first 2 shown]
	v_add_co_u32_e32 v162, vcc, s31, v188
	s_waitcnt lgkmcnt(1)
	v_mov_b32_e32 v176, v170
	s_waitcnt lgkmcnt(0)
	v_mfma_f32_16x16x16_bf16 a[16:19], v[186:187], v[152:153], a[16:19]
	ds_read2st64_b64 v[150:153], v125 offset0:16 offset1:24
	v_addc_co_u32_e32 v163, vcc, 0, v189, vcc
	v_mfma_f32_16x16x16_bf16 a[20:23], v[186:187], v[156:157], a[20:23]
	ds_read2st64_b64 v[154:157], v126 offset0:16 offset1:24
	v_mov_b32_e32 v177, v171
	v_mov_b32_e32 v170, v168
	v_mfma_f32_16x16x16_bf16 a[32:35], v[186:187], v[160:161], a[24:27]
	v_mov_b32_e32 v171, v169
	s_waitcnt lgkmcnt(0)
	v_mov_b32_e32 v160, v154
	v_mov_b32_e32 v161, v155
	v_mfma_f32_16x16x16_bf16 a[36:39], v[186:187], v[164:165], a[28:31]
	v_mov_b32_e32 v154, v152
	v_mov_b32_e32 v155, v153
	;; [unrolled: 1-line block ×3, first 2 shown]
	v_mfma_f32_16x16x16_bf16 a[24:27], v[184:185], v[42:43], a[16:19]
	v_add_co_u32_e32 v42, vcc, s58, v188
	v_mov_b32_e32 v159, v151
	v_mfma_f32_16x16x16_bf16 a[28:31], v[184:185], v[178:179], a[20:23]
	v_addc_co_u32_e32 v43, vcc, 0, v189, vcc
	global_store_dwordx4 v[42:43], v[154:157], off
	v_mfma_f32_16x16x16_bf16 a[16:19], v[184:185], v[180:181], a[32:35]
	s_waitcnt vmcnt(2)
	v_mov_b32_e32 v44, v37
	v_mov_b32_e32 v43, v36
	;; [unrolled: 1-line block ×3, first 2 shown]
	v_mfma_f32_16x16x16_bf16 a[20:23], v[184:185], v[182:183], a[36:39]
	s_and_b64 vcc, exec, s[0:1]
	global_store_dwordx4 v[188:189], v[174:177], off
	global_store_dwordx4 v[162:163], v[170:173], off offset:-4096
	global_store_dwordx4 v[162:163], v[158:161], off
	s_cbranch_vccnz .LBB88_16
; %bb.15:                               ;   in Loop: Header=BB88_6 Depth=1
	v_lshrrev_b32_e32 v35, 3, v147
	v_and_b32_e32 v35, 6, v35
	v_xor_b32_e32 v36, v35, v148
	v_lshlrev_b32_e32 v36, 2, v36
	v_and_b32_e32 v37, 8, v147
	v_xor_b32_e32 v147, 0x440, v36
	v_cmp_eq_u32_e32 vcc, 0, v37
	v_perm_b32 v37, v22, v18, s56
	s_nop 0
	v_cndmask_b32_e32 v36, v147, v36, vcc
	v_lshl_or_b32 v35, v35, 10, v36
	v_perm_b32 v36, v30, v26, s56
	s_barrier
	ds_write2st64_b32 v35, v36, v37 offset0:128 offset1:160
	v_xor_b32_e32 v36, 8, v35
	v_perm_b32 v26, v30, v26, s57
	v_perm_b32 v18, v22, v18, s57
	v_add_u32_e32 v22, 0x80, v36
	ds_write2st64_b32 v22, v26, v18 offset0:128 offset1:160
	v_xor_b32_e32 v18, 16, v35
	v_perm_b32 v22, v31, v27, s56
	v_perm_b32 v26, v23, v19, s56
	ds_write2st64_b32 v18, v22, v26 offset0:129 offset1:161
	v_xor_b32_e32 v18, 24, v35
	v_perm_b32 v22, v31, v27, s57
	v_perm_b32 v19, v23, v19, s57
	v_add_u32_e32 v18, 0x80, v18
	ds_write2st64_b32 v18, v22, v19 offset0:129 offset1:161
	v_xor_b32_e32 v18, 32, v35
	v_perm_b32 v19, v32, v28, s56
	v_perm_b32 v22, v24, v20, s56
	;; [unrolled: 9-line block ×3, first 2 shown]
	ds_write2st64_b32 v18, v19, v20 offset0:131 offset1:163
	v_xor_b32_e32 v18, 56, v35
	v_perm_b32 v19, v33, v29, s57
	v_perm_b32 v20, v25, v21, s57
	v_add_u32_e32 v18, 0x80, v18
	ds_write2st64_b32 v18, v19, v20 offset0:131 offset1:163
	ds_write_b64 v146, v[14:15] offset:49152
	v_xor_b32_e32 v14, 8, v146
	ds_write_b64 v14, v[16:17] offset:49152
	ds_write_b64 v146, v[10:11] offset:57344
	;; [unrolled: 1-line block ×4, first 2 shown]
	v_xor_b32_e32 v6, 8, v145
	ds_write_b64 v6, v[8:9] offset:49152
	ds_write_b64 v145, v[2:3] offset:57344
	;; [unrolled: 1-line block ×3, first 2 shown]
.LBB88_16:                              ;   in Loop: Header=BB88_6 Depth=1
	v_mul_f32_e32 v26, s2, v144
	v_exp_f32_e32 v36, v26
	s_waitcnt vmcnt(4)
	v_mul_f32_e32 v26, 0x3fb8aa3b, v38
	v_exp_f32_e32 v38, v26
	v_mul_f32_e32 v26, 0x3fb8aa3b, v39
	v_exp_f32_e32 v39, v26
	;; [unrolled: 2-line block ×4, first 2 shown]
	v_accvgpr_read_b32 v5, a3
	v_accvgpr_read_b32 v4, a2
	;; [unrolled: 1-line block ×4, first 2 shown]
	v_pk_mul_f32 v[38:39], v[36:37], v[38:39] op_sel_hi:[0,1]
	v_pk_mul_f32 v[40:41], v[36:37], v[40:41] op_sel_hi:[0,1]
	v_pk_fma_f32 v[74:75], v[74:75], v[38:39], v[2:3]
	v_pk_fma_f32 v[76:77], v[76:77], v[40:41], v[4:5]
	v_mul_f32_e32 v2, 0x3fb8aa3b, v34
	v_mul_f32_e32 v3, 0x3fb8aa3b, v42
	;; [unrolled: 1-line block ×4, first 2 shown]
	v_exp_f32_e32 v2, v2
	v_exp_f32_e32 v3, v3
	;; [unrolled: 1-line block ×4, first 2 shown]
	v_accvgpr_read_b32 v9, a7
	v_accvgpr_read_b32 v13, a11
	;; [unrolled: 1-line block ×28, first 2 shown]
	v_pk_mul_f32 v[2:3], v[36:37], v[2:3] op_sel_hi:[0,1]
	v_pk_mul_f32 v[4:5], v[36:37], v[4:5] op_sel_hi:[0,1]
	s_add_i32 s52, s52, 64
	v_pk_fma_f32 v[66:67], v[38:39], v[66:67], v[6:7]
	v_pk_fma_f32 v[68:69], v[40:41], v[68:69], v[8:9]
	;; [unrolled: 1-line block ×13, first 2 shown]
	s_cmp_eq_u32 s45, s60
	v_pk_fma_f32 v[50:51], v[4:5], v[50:51], v[32:33]
	s_cbranch_scc1 .LBB88_18
; %bb.17:                               ;   in Loop: Header=BB88_6 Depth=1
	s_mov_b32 s59, s60
	s_branch .LBB88_6
.LBB88_18:
	s_lshl_b32 s0, s45, 6
	s_sub_i32 s40, s47, s0
	s_cmp_gt_i32 s40, 0
	s_cbranch_scc0 .LBB88_99
; %bb.19:
	s_add_i32 s34, s0, s34
	s_ashr_i32 s2, s34, 31
	s_cmpk_lg_i32 s15, 0x80
	s_cselect_b64 s[26:27], -1, 0
	s_and_b64 vcc, exec, s[26:27]
	s_cbranch_vccz .LBB88_21
; %bb.20:
	s_mul_i32 s1, s34, s14
	s_ashr_i32 s3, s50, 31
	s_mul_hi_i32 s0, s34, s14
	s_add_u32 s38, s1, s50
	s_addc_u32 s39, s0, s3
	s_cbranch_execz .LBB88_22
	s_branch .LBB88_23
.LBB88_21:
                                        ; implicit-def: $sgpr38_sgpr39
.LBB88_22:
	s_mul_i32 s1, s50, s12
	s_mul_hi_i32 s0, s50, s12
	s_add_u32 s38, s1, s34
	s_addc_u32 s39, s0, s2
.LBB88_23:
	s_add_i32 s3, s45, s46
	s_ashr_i32 s12, s33, 31
	s_add_u32 s0, s49, s34
	v_lshlrev_b32_e32 v6, 6, v89
	v_lshlrev_b32_e32 v24, 2, v45
	s_addc_u32 s1, s48, s2
	s_mov_b32 s2, 0x7060302
	v_or_b32_e32 v9, v6, v24
	v_xor_b32_e32 v7, v89, v24
	v_perm_b32 v3, v77, v76, s2
	v_perm_b32 v2, v75, v74, s2
	;; [unrolled: 1-line block ×4, first 2 shown]
	v_lshlrev_b32_e32 v9, 1, v9
	v_xor_b32_e32 v8, v90, v24
	ds_write2st64_b64 v9, v[2:3], v[4:5] offset0:32 offset1:48
	v_lshlrev_b32_e32 v7, 1, v7
	v_lshlrev_b32_e32 v9, 8, v45
	v_or_b32_e32 v10, v7, v9
	v_lshlrev_b32_e32 v8, 1, v8
	ds_write_b64 v10, v[2:3]
	v_or_b32_e32 v2, v8, v9
	v_or_b32_e32 v9, 16, v45
	v_lshlrev_b32_e32 v23, 2, v9
	v_or_b32_e32 v10, v6, v23
	ds_write_b64 v2, v[4:5]
	v_perm_b32 v3, v69, v68, s2
	v_perm_b32 v2, v67, v66, s2
	;; [unrolled: 1-line block ×4, first 2 shown]
	v_lshlrev_b32_e32 v10, 1, v10
	v_lshlrev_b32_e32 v9, 8, v9
	ds_write2st64_b64 v10, v[2:3], v[4:5] offset0:32 offset1:48
	v_or_b32_e32 v10, v7, v9
	ds_write_b64 v10, v[2:3]
	v_or_b32_e32 v2, v8, v9
	v_or_b32_e32 v9, 32, v45
	v_lshlrev_b32_e32 v22, 2, v9
	v_or_b32_e32 v10, v6, v22
	s_lshl_b64 s[24:25], s[0:1], 8
	ds_write_b64 v2, v[4:5]
	v_perm_b32 v3, v61, v60, s2
	v_perm_b32 v2, v59, v58, s2
	;; [unrolled: 1-line block ×4, first 2 shown]
	v_lshlrev_b32_e32 v10, 1, v10
	v_lshlrev_b32_e32 v9, 8, v9
	s_add_u32 s0, s6, s24
	ds_write2st64_b64 v10, v[2:3], v[4:5] offset0:32 offset1:48
	v_or_b32_e32 v10, v7, v9
	s_addc_u32 s1, s7, s25
	ds_write_b64 v10, v[2:3]
	v_or_b32_e32 v2, v8, v9
	v_or_b32_e32 v9, 48, v45
	s_mul_hi_i32 s6, s3, s13
	s_mul_i32 s3, s3, s13
	ds_write_b64 v2, v[4:5]
	v_perm_b32 v3, v47, v46, s2
	v_perm_b32 v2, v53, v52, s2
	;; [unrolled: 1-line block ×4, first 2 shown]
	v_lshlrev_b32_e32 v19, 2, v9
	s_add_u32 s2, s3, s33
	v_or_b32_e32 v6, v6, v19
	s_addc_u32 s3, s6, s12
	v_lshlrev_b32_e32 v6, 1, v6
	s_ashr_i32 s31, s30, 31
	s_lshl_b64 s[2:3], s[2:3], 15
	ds_write2st64_b64 v6, v[2:3], v[4:5] offset0:32 offset1:48
	v_lshlrev_b32_e32 v6, 8, v9
	s_add_u32 s6, s36, s2
	v_or_b32_e32 v7, v7, v6
	s_addc_u32 s7, s37, s3
	s_lshl_b64 s[2:3], s[30:31], 8
	ds_write_b64 v7, v[2:3]
	v_or_b32_e32 v2, v8, v6
	s_add_u32 s2, s6, s2
	v_lshlrev_b32_e32 v3, 1, v45
	ds_write_b64 v2, v[4:5]
	v_lshrrev_b32_e32 v2, 4, v0
	s_addc_u32 s3, s7, s3
	v_or_b32_e32 v4, 1, v3
	v_lshlrev_b32_e32 v10, 4, v45
	v_mov_b32_e32 v11, 0
	v_xor_b32_e32 v3, v2, v3
	v_xor_b32_e32 v6, v4, v2
	v_lshl_add_u64 v[12:13], s[2:3], 0, v[10:11]
	v_lshlrev_b32_e32 v10, 8, v2
	v_lshl_or_b32 v16, v3, 3, v10
	v_lshl_or_b32 v17, v6, 3, v10
	s_waitcnt lgkmcnt(0)
	s_barrier
	ds_read2st64_b64 v[2:5], v16 offset1:8
	ds_read2st64_b64 v[6:9], v17 offset1:8
	v_lshl_add_u64 v[14:15], v[12:13], 0, v[10:11]
	s_movk_i32 s2, 0x2000
	s_cmp_lg_u32 s40, 64
	s_waitcnt lgkmcnt(1)
	v_mov_b32_e32 v10, v2
	v_mov_b32_e32 v11, v3
	s_waitcnt lgkmcnt(0)
	v_mov_b32_e32 v12, v6
	v_mov_b32_e32 v13, v7
	global_store_dwordx4 v[14:15], v[10:13], off
	v_mov_b32_e32 v6, v4
	v_mov_b32_e32 v7, v5
	ds_read2st64_b64 v[2:5], v16 offset0:16 offset1:24
	ds_read2st64_b64 v[10:13], v17 offset0:16 offset1:24
	v_add_co_u32_e32 v16, vcc, s2, v14
	s_cselect_b64 s[6:7], -1, 0
	s_nop 0
	v_addc_co_u32_e32 v17, vcc, 0, v15, vcc
	global_store_dwordx4 v[16:17], v[6:9], off offset:-4096
	v_lshl_or_b32 v25, v85, 3, v88
	s_mov_b32 s20, 0
	s_waitcnt lgkmcnt(1)
	v_mov_b32_e32 v6, v2
	v_add_co_u32_e32 v2, vcc, 0x3000, v14
	v_mov_b32_e32 v7, v3
	s_nop 0
	v_addc_co_u32_e32 v3, vcc, 0, v15, vcc
	s_waitcnt lgkmcnt(0)
	v_mov_b32_e32 v8, v10
	v_mov_b32_e32 v9, v11
	;; [unrolled: 1-line block ×4, first 2 shown]
	v_or_b32_e32 v20, 32, v25
	v_and_b32_e32 v18, 56, v87
	s_and_b64 vcc, exec, s[6:7]
	global_store_dwordx4 v[16:17], v[6:9], off
	global_store_dwordx4 v[2:3], v[10:13], off
	s_cbranch_vccz .LBB88_29
; %bb.24:
	s_mov_b32 s21, s20
	s_mov_b32 s22, s20
	;; [unrolled: 1-line block ×3, first 2 shown]
	v_mov_b64_e32 v[6:7], s[20:21]
	v_mov_b64_e32 v[8:9], s[22:23]
	;; [unrolled: 1-line block ×3, first 2 shown]
	v_cmp_gt_i32_e32 vcc, s40, v25
	v_mov_b64_e32 v[4:5], v[8:9]
	s_and_saveexec_b64 s[2:3], vcc
	s_cbranch_execz .LBB88_26
; %bb.25:
	v_lshlrev_b32_e32 v2, 8, v25
	v_mov_b32_e32 v3, 0
	v_lshl_add_u64 v[4:5], s[0:1], 0, v[2:3]
	v_lshlrev_b32_e32 v2, 1, v18
	v_lshl_add_u64 v[10:11], v[4:5], 0, v[2:3]
	global_load_dwordx4 v[6:9], v[10:11], off
	global_load_dwordx4 v[2:5], v[10:11], off offset:128
.LBB88_26:
	s_or_b64 exec, exec, s[2:3]
	s_mov_b32 s21, s20
	s_mov_b32 s22, s20
	s_mov_b32 s23, s20
	v_mov_b64_e32 v[14:15], s[20:21]
	v_mov_b64_e32 v[16:17], s[22:23]
	;; [unrolled: 1-line block ×3, first 2 shown]
	v_cmp_gt_i32_e32 vcc, s40, v20
	v_lshlrev_b32_e32 v21, 7, v20
	v_mov_b64_e32 v[12:13], v[16:17]
	s_and_saveexec_b64 s[2:3], vcc
	s_cbranch_execz .LBB88_28
; %bb.27:
	v_lshlrev_b32_e32 v10, 1, v21
	v_mov_b32_e32 v11, 0
	v_lshl_add_u64 v[12:13], s[0:1], 0, v[10:11]
	v_lshlrev_b32_e32 v10, 1, v18
	v_lshl_add_u64 v[26:27], v[12:13], 0, v[10:11]
	global_load_dwordx4 v[14:17], v[26:27], off
	global_load_dwordx4 v[10:13], v[26:27], off offset:128
.LBB88_28:
	s_or_b64 exec, exec, s[2:3]
	v_lshrrev_b32_e32 v26, 3, v18
	v_lshlrev_b32_e32 v27, 3, v25
	v_or_b32_e32 v26, v27, v26
	v_lshlrev_b32_e32 v26, 4, v26
	v_and_b32_e32 v27, 0x78, v27
	v_xor_b32_e32 v26, v26, v27
	s_branch .LBB88_31
.LBB88_29:
                                        ; implicit-def: $vgpr26
                                        ; implicit-def: $vgpr21
                                        ; implicit-def: $vgpr6_vgpr7_vgpr8_vgpr9
                                        ; implicit-def: $vgpr2_vgpr3_vgpr4_vgpr5
                                        ; implicit-def: $vgpr14_vgpr15_vgpr16_vgpr17
                                        ; implicit-def: $vgpr10_vgpr11_vgpr12_vgpr13
	s_cbranch_execz .LBB88_31
; %bb.30:
	s_waitcnt vmcnt(0)
	v_lshlrev_b32_e32 v2, 1, v18
	v_lshl_or_b32 v21, v25, 8, v2
	s_and_b32 s1, s1, 0xffff
	s_mov_b32 s3, 0x20000
	s_movk_i32 s2, 0x4000
	v_lshl_or_b32 v26, v20, 8, v2
	s_movk_i32 s13, 0x80
	buffer_load_dwordx4 v[6:9], v21, s[0:3], 0 offen
	buffer_load_dwordx4 v[2:5], v21, s[0:3], s13 offen
	;; [unrolled: 1-line block ×4, first 2 shown]
	v_lshrrev_b32_e32 v21, 3, v18
	v_lshlrev_b32_e32 v26, 3, v25
	v_or_b32_e32 v21, v26, v21
	v_lshlrev_b32_e32 v21, 4, v21
	v_and_b32_e32 v26, 0x78, v26
	v_xor_b32_e32 v26, v21, v26
	v_lshlrev_b32_e32 v21, 7, v20
.LBB88_31:
	s_movk_i32 s0, 0x1000
	v_and_or_b32 v20, v21, s0, v26
	s_waitcnt vmcnt(1)
	ds_write_b64 v26, v[6:7] offset:49152
	v_xor_b32_e32 v6, 8, v26
	ds_write_b64 v6, v[8:9] offset:49152
	s_waitcnt vmcnt(0)
	ds_write_b64 v26, v[2:3] offset:57344
	ds_write_b64 v6, v[4:5] offset:57344
	;; [unrolled: 1-line block ×3, first 2 shown]
	v_xor_b32_e32 v2, 8, v20
	ds_write_b64 v2, v[16:17] offset:49152
	ds_write_b64 v20, v[10:11] offset:57344
	;; [unrolled: 1-line block ×3, first 2 shown]
	v_or_b32_e32 v2, v1, v45
	v_lshlrev_b32_e32 v3, 11, v85
	v_lshlrev_b32_e32 v2, 3, v2
	v_and_b32_e32 v6, 0x1000, v3
	v_lshrrev_b32_e32 v3, 5, v84
	s_movk_i32 s0, 0xf8
	v_and_or_b32 v3, v2, s0, v3
	v_lshlrev_b32_e32 v7, 4, v3
	v_and_b32_e32 v8, 0x78, v2
	v_or_b32_e32 v10, 32, v7
	v_lshrrev_b32_e32 v3, 1, v84
	v_xor_b32_e32 v10, v10, v8
	v_xor_b32_e32 v2, v7, v8
	v_and_b32_e32 v9, 8, v3
	v_or_b32_e32 v10, v10, v6
	v_or_b32_e32 v2, v2, v6
	v_xor_b32_e32 v28, v10, v9
	v_or_b32_e32 v10, 64, v7
	v_xor_b32_e32 v27, v2, v9
	v_xor_b32_e32 v10, v10, v8
	s_waitcnt lgkmcnt(0)
	s_barrier
	v_or_b32_e32 v13, v10, v6
	ds_read_b64 v[10:11], v27 offset:49152
	v_lshl_or_b32 v14, v86, 8, v24
	v_lshlrev_b32_e32 v26, 1, v14
	v_add_u32_e32 v12, 0x4000, v26
	ds_read2_b64 v[2:5], v12 offset1:16
	v_or_b32_e32 v7, 0x60, v7
	v_xor_b32_e32 v7, v7, v8
	v_or_b32_e32 v6, v7, v6
	v_xor_b32_e32 v29, v13, v9
	v_xor_b32_e32 v30, v6, v9
	ds_read_b64 v[20:21], v28 offset:49152
	ds_read_b64 v[34:35], v29 offset:49152
	;; [unrolled: 1-line block ×3, first 2 shown]
	s_waitcnt lgkmcnt(3)
	v_mfma_f32_16x16x16_bf16 a[0:3], v[10:11], v[2:3], 0
	ds_read2_b64 v[6:9], v12 offset0:32 offset1:48
	s_lshl_b64 s[0:1], s[38:39], 8
	s_add_u32 s4, s4, s0
	v_mfma_f32_16x16x16_bf16 a[4:7], v[10:11], v[4:5], 0
	ds_read2st64_b64 v[2:5], v26 offset0:36 offset1:40
	s_addc_u32 s5, s5, s1
	s_add_i32 s0, s43, s42
	s_waitcnt lgkmcnt(1)
	v_mfma_f32_16x16x16_bf16 a[8:11], v[10:11], v[6:7], 0
	v_or_b32_e32 v6, 64, v14
	v_lshlrev_b32_e32 v31, 1, v6
	s_add_i32 s2, s35, -1
	s_waitcnt lgkmcnt(0)
	v_mfma_f32_16x16x16_bf16 a[0:3], v[20:21], v[2:3], a[0:3]
	v_or_b32_e32 v2, 0x80, v14
	v_lshlrev_b32_e32 v32, 1, v2
	v_or_b32_e32 v2, 0xc0, v14
	v_mfma_f32_16x16x16_bf16 a[12:15], v[10:11], v[8:9], 0
	ds_read2st64_b64 v[6:9], v31 offset0:36 offset1:40
	v_lshlrev_b32_e32 v33, 1, v2
	ds_read2st64_b64 v[10:13], v32 offset0:36 offset1:40
	ds_read2st64_b64 v[14:17], v33 offset0:36 offset1:40
	s_add_i32 s17, s0, s44
	s_mul_i32 s0, s33, s19
	s_mul_hi_u32 s1, s33, s18
	s_add_i32 s0, s1, s0
	s_mul_i32 s1, s12, s18
	s_ashr_i32 s3, s2, 31
	s_mul_i32 s12, s2, s29
	s_mul_hi_u32 s13, s2, s28
	s_waitcnt lgkmcnt(2)
	v_mfma_f32_16x16x16_bf16 a[4:7], v[20:21], v[6:7], a[4:7]
	s_add_i32 s12, s13, s12
	s_mul_i32 s3, s3, s28
	s_add_i32 s1, s0, s1
	s_waitcnt lgkmcnt(1)
	v_mfma_f32_16x16x16_bf16 a[8:11], v[20:21], v[10:11], a[8:11]
	s_add_i32 s3, s12, s3
	s_lshl_b64 s[12:13], s[16:17], 2
	s_mul_i32 s0, s33, s18
	s_waitcnt lgkmcnt(0)
	v_mfma_f32_16x16x16_bf16 a[12:15], v[20:21], v[14:15], a[12:15]
	s_add_u32 s10, s10, s12
	s_addc_u32 s11, s11, s13
	s_lshl_b64 s[0:1], s[0:1], 2
	v_mfma_f32_16x16x16_bf16 a[0:3], v[34:35], v[4:5], a[0:3]
	s_mul_i32 s2, s2, s28
	ds_read_b64 v[2:3], v26 offset:22528
	s_add_u32 s10, s10, s0
	v_mfma_f32_16x16x16_bf16 a[4:7], v[34:35], v[8:9], a[4:7]
	ds_read_b64 v[4:5], v31 offset:22528
	ds_read_b64 v[6:7], v32 offset:22528
	;; [unrolled: 1-line block ×3, first 2 shown]
	s_addc_u32 s11, s11, s1
	s_lshl_b64 s[0:1], s[2:3], 2
	v_mfma_f32_16x16x16_bf16 a[8:11], v[34:35], v[12:13], a[8:11]
	s_add_u32 s0, s10, s0
	s_addc_u32 s1, s11, s1
	s_load_dword s12, s[0:1], 0x0
	v_mfma_f32_16x16x16_bf16 a[12:15], v[34:35], v[16:17], a[12:15]
	s_and_b64 vcc, exec, s[26:27]
	s_waitcnt lgkmcnt(0)
	v_mfma_f32_16x16x16_bf16 a[0:3], v[36:37], v[2:3], a[0:3]
	v_mfma_f32_16x16x16_bf16 a[4:7], v[36:37], v[4:5], a[4:7]
	;; [unrolled: 1-line block ×4, first 2 shown]
	s_cbranch_vccz .LBB88_42
; %bb.32:
	v_lshlrev_b32_e32 v20, 1, v25
	s_and_b64 vcc, exec, s[6:7]
	s_cbranch_vccz .LBB88_43
; %bb.33:
	v_cmp_gt_i32_e32 vcc, s40, v20
	v_mov_b32_e32 v6, 0
	v_mov_b32_e32 v2, 0
	v_mov_b32_e32 v3, 0
	v_mov_b32_e32 v4, 0
	v_mov_b32_e32 v5, 0
	s_and_saveexec_b64 s[0:1], vcc
	s_cbranch_execz .LBB88_35
; %bb.34:
	v_mad_i64_i32 v[2:3], s[2:3], s15, v20, 0
	v_lshl_add_u64 v[2:3], v[2:3], 1, s[4:5]
	v_lshlrev_b32_e32 v4, 1, v18
	v_mov_b32_e32 v5, 0
	v_lshl_add_u64 v[2:3], v[2:3], 0, v[4:5]
	global_load_dwordx4 v[2:5], v[2:3], off
.LBB88_35:
	s_or_b64 exec, exec, s[0:1]
	v_or_b32_e32 v21, 1, v20
	v_cmp_gt_i32_e64 s[0:1], s40, v21
	v_mov_b32_e32 v7, 0
	v_mov_b32_e32 v8, 0
	;; [unrolled: 1-line block ×3, first 2 shown]
	s_and_saveexec_b64 s[2:3], s[0:1]
	s_cbranch_execz .LBB88_37
; %bb.36:
	v_mad_i64_i32 v[6:7], s[16:17], s15, v21, 0
	v_lshl_add_u64 v[6:7], v[6:7], 1, s[4:5]
	v_lshlrev_b32_e32 v8, 1, v18
	v_mov_b32_e32 v9, 0
	v_lshl_add_u64 v[6:7], v[6:7], 0, v[8:9]
	global_load_dwordx4 v[6:9], v[6:7], off
.LBB88_37:
	s_or_b64 exec, exec, s[2:3]
	v_mov_b32_e32 v17, 0
	v_mov_b32_e32 v10, 0
	;; [unrolled: 1-line block ×5, first 2 shown]
	s_and_saveexec_b64 s[2:3], vcc
	s_cbranch_execz .LBB88_39
; %bb.38:
	v_mad_i64_i32 v[10:11], s[16:17], s15, v20, 0
	v_lshl_add_u64 v[10:11], v[10:11], 1, s[4:5]
	v_lshlrev_b32_e32 v12, 1, v18
	v_mov_b32_e32 v13, 0
	v_lshl_add_u64 v[10:11], v[10:11], 0, v[12:13]
	global_load_dwordx4 v[10:13], v[10:11], off offset:128
.LBB88_39:
	s_or_b64 exec, exec, s[2:3]
	v_mov_b32_e32 v16, 0
	v_mov_b32_e32 v15, 0
	;; [unrolled: 1-line block ×3, first 2 shown]
	s_and_saveexec_b64 s[2:3], s[0:1]
	s_cbranch_execz .LBB88_41
; %bb.40:
	v_mad_i64_i32 v[14:15], s[0:1], s15, v21, 0
	v_lshl_add_u64 v[14:15], v[14:15], 1, s[4:5]
	v_lshlrev_b32_e32 v16, 1, v18
	v_mov_b32_e32 v17, 0
	v_lshl_add_u64 v[14:15], v[14:15], 0, v[16:17]
	global_load_dwordx4 v[14:17], v[14:15], off offset:128
.LBB88_41:
	s_or_b64 exec, exec, s[2:3]
	s_branch .LBB88_45
.LBB88_42:
                                        ; implicit-def: $vgpr5
                                        ; implicit-def: $vgpr9
                                        ; implicit-def: $vgpr13
                                        ; implicit-def: $vgpr17
	v_lshrrev_b32_e32 v34, 2, v84
	s_branch .LBB88_46
.LBB88_43:
                                        ; implicit-def: $vgpr5
                                        ; implicit-def: $vgpr9
                                        ; implicit-def: $vgpr13
                                        ; implicit-def: $vgpr17
	s_cbranch_execz .LBB88_45
; %bb.44:
	s_waitcnt vmcnt(0)
	v_mad_u64_u32 v[2:3], s[0:1], v20, s15, v[18:19]
	v_lshlrev_b32_e32 v20, 1, v2
	s_lshl_b32 s2, s15, 7
	s_and_b32 s1, s5, 0xffff
	s_mov_b32 s3, 0x20000
	s_mov_b32 s0, s4
	v_add_lshl_u32 v21, v2, s15, 1
	s_movk_i32 s13, 0x80
	buffer_load_dwordx4 v[2:5], v20, s[0:3], 0 offen
	buffer_load_dwordx4 v[10:13], v20, s[0:3], s13 offen
	;; [unrolled: 1-line block ×4, first 2 shown]
.LBB88_45:
	v_lshrrev_b32_e32 v34, 2, v84
	s_cbranch_execnz .LBB88_58
.LBB88_46:
	s_and_b64 vcc, exec, s[6:7]
	s_cbranch_vccz .LBB88_56
; %bb.47:
	s_waitcnt vmcnt(0)
	v_lshlrev_b32_e32 v7, 1, v25
	v_cmp_gt_i32_e32 vcc, s40, v7
	v_mov_b32_e32 v6, 0
	v_lshlrev_b32_e32 v14, 9, v25
	v_mov_b32_e32 v2, 0
	v_mov_b32_e32 v3, 0
	;; [unrolled: 1-line block ×4, first 2 shown]
	s_and_saveexec_b64 s[0:1], vcc
	s_cbranch_execz .LBB88_49
; %bb.48:
	v_mov_b32_e32 v15, 0
	v_lshl_add_u64 v[2:3], s[4:5], 0, v[14:15]
	v_lshlrev_b32_e32 v4, 1, v18
	v_mov_b32_e32 v5, v15
	v_lshl_add_u64 v[2:3], v[2:3], 0, v[4:5]
	global_load_dwordx4 v[2:5], v[2:3], off
.LBB88_49:
	s_or_b64 exec, exec, s[0:1]
	v_or_b32_e32 v7, 1, v7
	v_cmp_gt_i32_e64 s[0:1], s40, v7
	v_lshlrev_b32_e32 v20, 8, v7
	v_mov_b32_e32 v7, 0
	v_mov_b32_e32 v8, 0
	;; [unrolled: 1-line block ×3, first 2 shown]
	s_and_saveexec_b64 s[2:3], s[0:1]
	s_cbranch_execz .LBB88_51
; %bb.50:
	v_mov_b32_e32 v21, 0
	v_lshl_add_u64 v[6:7], s[4:5], 0, v[20:21]
	v_lshlrev_b32_e32 v8, 1, v18
	v_mov_b32_e32 v9, v21
	v_lshl_add_u64 v[6:7], v[6:7], 0, v[8:9]
	global_load_dwordx4 v[6:9], v[6:7], off
.LBB88_51:
	s_or_b64 exec, exec, s[2:3]
	v_mov_b32_e32 v17, 0
	v_mov_b32_e32 v10, 0
	;; [unrolled: 1-line block ×5, first 2 shown]
	s_and_saveexec_b64 s[2:3], vcc
	s_cbranch_execz .LBB88_53
; %bb.52:
	v_mov_b32_e32 v15, 0
	v_lshl_add_u64 v[10:11], s[4:5], 0, v[14:15]
	v_lshlrev_b32_e32 v14, 1, v18
	v_lshl_add_u64 v[10:11], v[10:11], 0, v[14:15]
	global_load_dwordx4 v[10:13], v[10:11], off offset:128
.LBB88_53:
	s_or_b64 exec, exec, s[2:3]
	v_mov_b32_e32 v16, 0
	v_mov_b32_e32 v15, 0
	;; [unrolled: 1-line block ×3, first 2 shown]
	s_and_saveexec_b64 s[2:3], s[0:1]
	s_cbranch_execz .LBB88_55
; %bb.54:
	v_mov_b32_e32 v21, 0
	v_lshl_add_u64 v[14:15], s[4:5], 0, v[20:21]
	v_lshlrev_b32_e32 v20, 1, v18
	v_lshl_add_u64 v[14:15], v[14:15], 0, v[20:21]
	global_load_dwordx4 v[14:17], v[14:15], off offset:128
.LBB88_55:
	s_or_b64 exec, exec, s[2:3]
	s_branch .LBB88_58
.LBB88_56:
                                        ; implicit-def: $vgpr5
                                        ; implicit-def: $vgpr9
                                        ; implicit-def: $vgpr13
                                        ; implicit-def: $vgpr17
	s_cbranch_execz .LBB88_58
; %bb.57:
	s_waitcnt vmcnt(0)
	v_lshlrev_b32_e32 v2, 1, v18
	v_lshl_or_b32 v18, v25, 9, v2
	s_and_b32 s5, s5, 0xffff
	s_mov_b32 s7, 0x20000
	s_movk_i32 s6, 0x4000
	s_movk_i32 s0, 0x80
	buffer_load_dwordx4 v[2:5], v18, s[4:7], 0 offen
	buffer_load_dwordx4 v[6:9], v18, s[4:7], 0 offen offset:256
	buffer_load_dwordx4 v[10:13], v18, s[4:7], s0 offen
	buffer_load_dwordx4 v[14:17], v18, s[4:7], s0 offen offset:256
.LBB88_58:
	ds_read_b64 v[20:21], v27 offset:57344
	v_add_u32_e32 v18, 0x6000, v26
	ds_read2_b64 v[36:39], v18 offset1:16
	ds_read_b64 v[54:55], v28 offset:57344
	ds_read_b64 v[28:29], v29 offset:57344
	;; [unrolled: 1-line block ×3, first 2 shown]
	ds_read2st64_b64 v[40:43], v26 offset0:52 offset1:56
	s_mov_b32 s0, 0x1000504
	s_mov_b32 s1, 0x3020706
	s_waitcnt lgkmcnt(4)
	v_mfma_f32_16x16x16_bf16 a[0:3], v[20:21], v[36:37], a[0:3]
	v_mfma_f32_16x16x16_bf16 a[4:7], v[20:21], v[38:39], a[4:7]
	ds_read2_b64 v[36:39], v18 offset0:32 offset1:48
	v_and_b32_e32 v18, 6, v0
	v_xor_b32_e32 v25, v25, v18
	s_waitcnt lgkmcnt(0)
	v_mfma_f32_16x16x16_bf16 a[8:11], v[20:21], v[36:37], a[8:11]
	v_lshlrev_b32_e32 v25, 2, v25
	v_and_b32_e32 v0, 1, v0
	v_xor_b32_e32 v35, 0x440, v25
	v_mfma_f32_16x16x16_bf16 a[12:15], v[20:21], v[38:39], a[12:15]
	ds_read2st64_b64 v[36:39], v31 offset0:52 offset1:56
	ds_read2st64_b64 v[46:49], v32 offset0:52 offset1:56
	;; [unrolled: 1-line block ×3, first 2 shown]
	v_cmp_eq_u32_e32 vcc, 0, v0
	ds_read_b64 v[20:21], v26 offset:30720
	ds_read_b64 v[26:27], v31 offset:30720
	;; [unrolled: 1-line block ×4, first 2 shown]
	v_mfma_f32_16x16x16_bf16 a[0:3], v[54:55], v[40:41], a[0:3]
	v_cndmask_b32_e32 v0, v35, v25, vcc
	v_lshl_or_b32 v0, v18, 10, v0
	s_waitcnt vmcnt(0)
	v_perm_b32 v18, v2, v6, s0
	s_waitcnt lgkmcnt(6)
	v_mfma_f32_16x16x16_bf16 a[4:7], v[54:55], v[36:37], a[4:7]
	v_perm_b32 v25, v10, v14, s0
	ds_write2st64_b32 v0, v18, v25 offset0:128 offset1:160
	v_xor_b32_e32 v18, 8, v0
	s_waitcnt lgkmcnt(6)
	v_mfma_f32_16x16x16_bf16 a[8:11], v[54:55], v[46:47], a[8:11]
	v_perm_b32 v2, v2, v6, s1
	v_perm_b32 v6, v10, v14, s1
	v_add_u32_e32 v10, 0x80, v18
	s_waitcnt lgkmcnt(5)
	v_mfma_f32_16x16x16_bf16 a[12:15], v[54:55], v[50:51], a[12:15]
	ds_write2st64_b32 v10, v2, v6 offset0:128 offset1:160
	v_xor_b32_e32 v2, 16, v0
	v_perm_b32 v6, v3, v7, s0
	v_mfma_f32_16x16x16_bf16 a[0:3], v[28:29], v[42:43], a[0:3]
	v_perm_b32 v10, v11, v15, s0
	ds_write2st64_b32 v2, v6, v10 offset0:129 offset1:161
	v_xor_b32_e32 v2, 24, v0
	v_mfma_f32_16x16x16_bf16 a[4:7], v[28:29], v[38:39], a[4:7]
	v_perm_b32 v3, v3, v7, s1
	v_perm_b32 v6, v11, v15, s1
	v_add_u32_e32 v2, 0x80, v2
	v_mfma_f32_16x16x16_bf16 a[16:19], v[28:29], v[48:49], a[8:11]
	ds_write2st64_b32 v2, v3, v6 offset0:129 offset1:161
	v_xor_b32_e32 v2, 32, v0
	v_perm_b32 v3, v4, v8, s0
	v_mfma_f32_16x16x16_bf16 a[20:23], v[28:29], v[52:53], a[12:15]
	v_perm_b32 v6, v12, v16, s0
	ds_write2st64_b32 v2, v3, v6 offset0:130 offset1:162
	v_xor_b32_e32 v2, 40, v0
	s_waitcnt lgkmcnt(8)
	v_mfma_f32_16x16x16_bf16 a[12:15], v[56:57], v[20:21], a[0:3]
	v_perm_b32 v3, v4, v8, s1
	v_perm_b32 v4, v12, v16, s1
	v_add_u32_e32 v2, 0x80, v2
	s_waitcnt lgkmcnt(7)
	v_mfma_f32_16x16x16_bf16 a[8:11], v[56:57], v[26:27], a[4:7]
	ds_write2st64_b32 v2, v3, v4 offset0:130 offset1:162
	v_xor_b32_e32 v2, 48, v0
	v_perm_b32 v3, v5, v9, s0
	s_waitcnt lgkmcnt(7)
	v_mfma_f32_16x16x16_bf16 a[4:7], v[56:57], v[30:31], a[16:19]
	v_perm_b32 v4, v13, v17, s0
	v_xor_b32_e32 v0, 56, v0
	v_and_or_b32 v18, v34, 12, v1
	s_waitcnt lgkmcnt(6)
	v_mfma_f32_16x16x16_bf16 a[0:3], v[56:57], v[32:33], a[20:23]
	ds_write2st64_b32 v2, v3, v4 offset0:131 offset1:163
	v_perm_b32 v2, v5, v9, s1
	v_perm_b32 v3, v13, v17, s1
	v_add_u32_e32 v0, 0x80, v0
	v_cmp_gt_i32_e32 vcc, s40, v18
	v_mov_b32_e32 v14, 0
	v_mov_b32_e32 v16, 0
	ds_write2st64_b32 v0, v2, v3 offset0:131 offset1:163
	s_and_saveexec_b64 s[0:1], vcc
	s_cbranch_execz .LBB88_60
; %bb.59:
	v_add_u32_e32 v0, s34, v18
	v_ashrrev_i32_e32 v1, 31, v0
	v_mul_lo_u32 v2, v1, s28
	v_mul_lo_u32 v3, v0, s29
	v_mad_u64_u32 v[0:1], s[2:3], v0, s28, 0
	v_add3_u32 v1, v1, v3, v2
	v_lshl_add_u64 v[0:1], v[0:1], 2, s[10:11]
	global_load_dword v0, v[0:1], off
	s_waitcnt vmcnt(0)
	v_sub_f32_e32 v0, s12, v0
	v_mul_f32_e32 v0, 0x3fb8aa3b, v0
	v_exp_f32_e32 v16, v0
.LBB88_60:
	s_or_b64 exec, exec, s[0:1]
	v_or_b32_e32 v8, 1, v18
	v_cmp_gt_i32_e64 s[0:1], s40, v8
	s_and_saveexec_b64 s[2:3], s[0:1]
	s_cbranch_execz .LBB88_62
; %bb.61:
	v_add_u32_e32 v0, s34, v8
	v_ashrrev_i32_e32 v1, 31, v0
	v_mul_lo_u32 v2, v1, s28
	v_mul_lo_u32 v3, v0, s29
	v_mad_u64_u32 v[0:1], s[4:5], v0, s28, 0
	v_add3_u32 v1, v1, v3, v2
	v_lshl_add_u64 v[0:1], v[0:1], 2, s[10:11]
	global_load_dword v0, v[0:1], off
	s_waitcnt vmcnt(0)
	v_sub_f32_e32 v0, s12, v0
	v_mul_f32_e32 v0, 0x3fb8aa3b, v0
	v_exp_f32_e32 v14, v0
.LBB88_62:
	s_or_b64 exec, exec, s[2:3]
	v_or_b32_e32 v10, 2, v18
	v_cmp_gt_i32_e64 s[2:3], s40, v10
	v_mov_b32_e32 v15, 0
	v_mov_b32_e32 v17, 0
	s_and_saveexec_b64 s[4:5], s[2:3]
	s_cbranch_execz .LBB88_64
; %bb.63:
	v_add_u32_e32 v0, s34, v10
	v_ashrrev_i32_e32 v1, 31, v0
	v_mul_lo_u32 v2, v1, s28
	v_mul_lo_u32 v3, v0, s29
	v_mad_u64_u32 v[0:1], s[6:7], v0, s28, 0
	v_add3_u32 v1, v1, v3, v2
	v_lshl_add_u64 v[0:1], v[0:1], 2, s[10:11]
	global_load_dword v0, v[0:1], off
	s_waitcnt vmcnt(0)
	v_sub_f32_e32 v0, s12, v0
	v_mul_f32_e32 v0, 0x3fb8aa3b, v0
	v_exp_f32_e32 v17, v0
.LBB88_64:
	s_or_b64 exec, exec, s[4:5]
	v_or_b32_e32 v12, 3, v18
	v_cmp_gt_i32_e64 s[4:5], s40, v12
	s_and_saveexec_b64 s[6:7], s[4:5]
	s_cbranch_execz .LBB88_66
; %bb.65:
	v_add_u32_e32 v0, s34, v12
	v_ashrrev_i32_e32 v1, 31, v0
	v_mul_lo_u32 v2, v1, s28
	v_mul_lo_u32 v3, v0, s29
	v_mad_u64_u32 v[0:1], s[14:15], v0, s28, 0
	v_add3_u32 v1, v1, v3, v2
	v_lshl_add_u64 v[0:1], v[0:1], 2, s[10:11]
	global_load_dword v0, v[0:1], off
	s_waitcnt vmcnt(0)
	v_sub_f32_e32 v0, s12, v0
	v_mul_f32_e32 v0, 0x3fb8aa3b, v0
	v_exp_f32_e32 v15, v0
.LBB88_66:
	s_or_b64 exec, exec, s[6:7]
	v_or_b32_e32 v4, s30, v45
	s_add_u32 s6, s8, s24
	v_accvgpr_read_b32 v0, a12
	s_addc_u32 s7, s9, s25
	v_ashrrev_i32_e32 v5, 31, v4
	v_accvgpr_read_b32 v1, a13
	v_accvgpr_read_b32 v2, a14
	;; [unrolled: 1-line block ×3, first 2 shown]
	v_lshl_add_u64 v[4:5], v[4:5], 1, s[6:7]
	v_mov_b32_e32 v9, 0
	v_lshlrev_b32_e32 v6, 8, v18
	v_mov_b32_e32 v7, 0
	s_and_saveexec_b64 s[6:7], vcc
	s_cbranch_execz .LBB88_68
; %bb.67:
	v_mov_b32_e32 v7, 0
	v_lshl_add_u64 v[20:21], v[4:5], 0, v[6:7]
	global_load_ushort v7, v[20:21], off
	s_waitcnt vmcnt(0)
	v_lshlrev_b32_e32 v7, 16, v7
	v_sub_f32_e32 v0, v7, v0
	v_mul_f32_e32 v0, v16, v0
	v_lshrrev_b32_e32 v7, 16, v0
.LBB88_68:
	s_or_b64 exec, exec, s[6:7]
	v_lshlrev_b32_e32 v8, 8, v8
	s_and_saveexec_b64 s[6:7], s[0:1]
	s_cbranch_execz .LBB88_70
; %bb.69:
	v_mov_b32_e32 v9, 0
	v_lshl_add_u64 v[20:21], v[4:5], 0, v[8:9]
	global_load_ushort v0, v[20:21], off
	s_waitcnt vmcnt(0)
	v_lshlrev_b32_e32 v0, 16, v0
	v_sub_f32_e32 v0, v0, v1
	v_mul_f32_e32 v0, v14, v0
	v_lshrrev_b32_e32 v9, 16, v0
.LBB88_70:
	s_or_b64 exec, exec, s[6:7]
	v_mov_b32_e32 v13, 0
	v_lshlrev_b32_e32 v10, 8, v10
	v_mov_b32_e32 v11, 0
	s_and_saveexec_b64 s[6:7], s[2:3]
	s_cbranch_execz .LBB88_72
; %bb.71:
	v_mov_b32_e32 v11, 0
	v_lshl_add_u64 v[0:1], v[4:5], 0, v[10:11]
	global_load_ushort v0, v[0:1], off
	s_waitcnt vmcnt(0)
	v_lshlrev_b32_e32 v0, 16, v0
	v_sub_f32_e32 v0, v0, v2
	v_mul_f32_e32 v0, v17, v0
	v_lshrrev_b32_e32 v11, 16, v0
.LBB88_72:
	s_or_b64 exec, exec, s[6:7]
	v_lshlrev_b32_e32 v12, 8, v12
	s_and_saveexec_b64 s[6:7], s[4:5]
	s_cbranch_execz .LBB88_74
; %bb.73:
	v_mov_b32_e32 v13, 0
	v_lshl_add_u64 v[0:1], v[4:5], 0, v[12:13]
	global_load_ushort v0, v[0:1], off
	s_waitcnt vmcnt(0)
	v_lshlrev_b32_e32 v0, 16, v0
	v_sub_f32_e32 v0, v0, v3
	v_mul_f32_e32 v0, v15, v0
	v_lshrrev_b32_e32 v13, 16, v0
.LBB88_74:
	s_or_b64 exec, exec, s[6:7]
	v_lshlrev_b32_e32 v18, 6, v18
	s_mov_b32 s6, 0x5040100
	v_perm_b32 v20, v9, v7, s6
	v_or_b32_e32 v7, v18, v24
	v_accvgpr_read_b32 v0, a8
	v_perm_b32 v21, v13, v11, s6
	v_lshlrev_b32_e32 v7, 1, v7
	v_accvgpr_read_b32 v1, a9
	v_accvgpr_read_b32 v2, a10
	;; [unrolled: 1-line block ×3, first 2 shown]
	ds_write_b64 v7, v[20:21] offset:24576
	v_mov_b32_e32 v9, 0
	v_mov_b32_e32 v7, 0
	s_and_saveexec_b64 s[6:7], vcc
	s_cbranch_execz .LBB88_76
; %bb.75:
	v_mov_b32_e32 v7, 0
	v_lshl_add_u64 v[20:21], v[4:5], 0, v[6:7]
	global_load_ushort v7, v[20:21], off offset:32
	s_waitcnt vmcnt(0)
	v_lshlrev_b32_e32 v7, 16, v7
	v_sub_f32_e32 v0, v7, v0
	v_mul_f32_e32 v0, v16, v0
	v_lshrrev_b32_e32 v7, 16, v0
.LBB88_76:
	s_or_b64 exec, exec, s[6:7]
	s_and_saveexec_b64 s[6:7], s[0:1]
	s_cbranch_execz .LBB88_78
; %bb.77:
	v_mov_b32_e32 v9, 0
	v_lshl_add_u64 v[20:21], v[4:5], 0, v[8:9]
	global_load_ushort v0, v[20:21], off offset:32
	s_waitcnt vmcnt(0)
	v_lshlrev_b32_e32 v0, 16, v0
	v_sub_f32_e32 v0, v0, v1
	v_mul_f32_e32 v0, v14, v0
	v_lshrrev_b32_e32 v9, 16, v0
.LBB88_78:
	s_or_b64 exec, exec, s[6:7]
	v_mov_b32_e32 v13, 0
	v_mov_b32_e32 v11, 0
	s_and_saveexec_b64 s[6:7], s[2:3]
	s_cbranch_execz .LBB88_80
; %bb.79:
	v_mov_b32_e32 v11, 0
	v_lshl_add_u64 v[0:1], v[4:5], 0, v[10:11]
	global_load_ushort v0, v[0:1], off offset:32
	s_waitcnt vmcnt(0)
	v_lshlrev_b32_e32 v0, 16, v0
	v_sub_f32_e32 v0, v0, v2
	v_mul_f32_e32 v0, v17, v0
	v_lshrrev_b32_e32 v11, 16, v0
.LBB88_80:
	s_or_b64 exec, exec, s[6:7]
	s_and_saveexec_b64 s[6:7], s[4:5]
	s_cbranch_execz .LBB88_82
; %bb.81:
	v_mov_b32_e32 v13, 0
	v_lshl_add_u64 v[0:1], v[4:5], 0, v[12:13]
	global_load_ushort v0, v[0:1], off offset:32
	s_waitcnt vmcnt(0)
	v_lshlrev_b32_e32 v0, 16, v0
	v_sub_f32_e32 v0, v0, v3
	v_mul_f32_e32 v0, v15, v0
	v_lshrrev_b32_e32 v13, 16, v0
.LBB88_82:
	s_or_b64 exec, exec, s[6:7]
	s_mov_b32 s6, 0x5040100
	v_perm_b32 v20, v9, v7, s6
	v_or_b32_e32 v7, v18, v23
	v_accvgpr_read_b32 v0, a4
	v_perm_b32 v21, v13, v11, s6
	v_lshlrev_b32_e32 v7, 1, v7
	v_accvgpr_read_b32 v1, a5
	v_accvgpr_read_b32 v2, a6
	;; [unrolled: 1-line block ×3, first 2 shown]
	ds_write_b64 v7, v[20:21] offset:24576
	v_mov_b32_e32 v9, 0
	v_mov_b32_e32 v7, 0
	s_and_saveexec_b64 s[6:7], vcc
	s_cbranch_execz .LBB88_84
; %bb.83:
	v_mov_b32_e32 v7, 0
	v_lshl_add_u64 v[20:21], v[4:5], 0, v[6:7]
	global_load_ushort v7, v[20:21], off offset:64
	s_waitcnt vmcnt(0)
	v_lshlrev_b32_e32 v7, 16, v7
	v_sub_f32_e32 v0, v7, v0
	v_mul_f32_e32 v0, v16, v0
	v_lshrrev_b32_e32 v7, 16, v0
.LBB88_84:
	s_or_b64 exec, exec, s[6:7]
	s_and_saveexec_b64 s[6:7], s[0:1]
	s_cbranch_execz .LBB88_86
; %bb.85:
	v_mov_b32_e32 v9, 0
	v_lshl_add_u64 v[20:21], v[4:5], 0, v[8:9]
	global_load_ushort v0, v[20:21], off offset:64
	s_waitcnt vmcnt(0)
	v_lshlrev_b32_e32 v0, 16, v0
	v_sub_f32_e32 v0, v0, v1
	v_mul_f32_e32 v0, v14, v0
	v_lshrrev_b32_e32 v9, 16, v0
.LBB88_86:
	s_or_b64 exec, exec, s[6:7]
	v_mov_b32_e32 v13, 0
	v_mov_b32_e32 v11, 0
	s_and_saveexec_b64 s[6:7], s[2:3]
	s_cbranch_execz .LBB88_88
; %bb.87:
	v_mov_b32_e32 v11, 0
	v_lshl_add_u64 v[0:1], v[4:5], 0, v[10:11]
	global_load_ushort v0, v[0:1], off offset:64
	s_waitcnt vmcnt(0)
	v_lshlrev_b32_e32 v0, 16, v0
	v_sub_f32_e32 v0, v0, v2
	v_mul_f32_e32 v0, v17, v0
	v_lshrrev_b32_e32 v11, 16, v0
.LBB88_88:
	s_or_b64 exec, exec, s[6:7]
	s_and_saveexec_b64 s[6:7], s[4:5]
	s_cbranch_execz .LBB88_90
; %bb.89:
	v_mov_b32_e32 v13, 0
	v_lshl_add_u64 v[0:1], v[4:5], 0, v[12:13]
	global_load_ushort v0, v[0:1], off offset:64
	s_waitcnt vmcnt(0)
	v_lshlrev_b32_e32 v0, 16, v0
	v_sub_f32_e32 v0, v0, v3
	v_mul_f32_e32 v0, v15, v0
	v_lshrrev_b32_e32 v13, 16, v0
.LBB88_90:
	s_or_b64 exec, exec, s[6:7]
	s_mov_b32 s6, 0x5040100
	v_perm_b32 v20, v9, v7, s6
	v_or_b32_e32 v7, v18, v22
	v_accvgpr_read_b32 v0, a0
	v_perm_b32 v21, v13, v11, s6
	v_lshlrev_b32_e32 v7, 1, v7
	v_accvgpr_read_b32 v1, a1
	v_accvgpr_read_b32 v2, a2
	;; [unrolled: 1-line block ×3, first 2 shown]
	ds_write_b64 v7, v[20:21] offset:24576
	v_mov_b32_e32 v9, 0
	v_mov_b32_e32 v7, 0
	s_and_saveexec_b64 s[6:7], vcc
	s_cbranch_execz .LBB88_92
; %bb.91:
	v_mov_b32_e32 v7, 0
	v_lshl_add_u64 v[6:7], v[4:5], 0, v[6:7]
	global_load_ushort v6, v[6:7], off offset:96
	s_waitcnt vmcnt(0)
	v_lshlrev_b32_e32 v6, 16, v6
	v_sub_f32_e32 v0, v6, v0
	v_mul_f32_e32 v0, v16, v0
	v_lshrrev_b32_e32 v7, 16, v0
.LBB88_92:
	s_or_b64 exec, exec, s[6:7]
	s_and_saveexec_b64 s[6:7], s[0:1]
	s_cbranch_execz .LBB88_94
; %bb.93:
	v_mov_b32_e32 v9, 0
	v_lshl_add_u64 v[8:9], v[4:5], 0, v[8:9]
	global_load_ushort v0, v[8:9], off offset:96
	s_waitcnt vmcnt(0)
	v_lshlrev_b32_e32 v0, 16, v0
	v_sub_f32_e32 v0, v0, v1
	v_mul_f32_e32 v0, v14, v0
	v_lshrrev_b32_e32 v9, 16, v0
.LBB88_94:
	s_or_b64 exec, exec, s[6:7]
	v_mov_b32_e32 v0, 0
	v_mov_b32_e32 v1, 0
	s_and_saveexec_b64 s[0:1], s[2:3]
	s_cbranch_execz .LBB88_96
; %bb.95:
	v_mov_b32_e32 v11, 0
	v_lshl_add_u64 v[10:11], v[4:5], 0, v[10:11]
	global_load_ushort v1, v[10:11], off offset:96
	s_waitcnt vmcnt(0)
	v_lshlrev_b32_e32 v1, 16, v1
	v_sub_f32_e32 v1, v1, v2
	v_mul_f32_e32 v1, v17, v1
	v_lshrrev_b32_e32 v1, 16, v1
.LBB88_96:
	s_or_b64 exec, exec, s[0:1]
	s_and_saveexec_b64 s[0:1], s[4:5]
	s_cbranch_execz .LBB88_98
; %bb.97:
	v_mov_b32_e32 v13, 0
	v_lshl_add_u64 v[4:5], v[4:5], 0, v[12:13]
	global_load_ushort v0, v[4:5], off offset:96
	s_waitcnt vmcnt(0)
	v_lshlrev_b32_e32 v0, 16, v0
	v_sub_f32_e32 v0, v0, v3
	v_mul_f32_e32 v0, v15, v0
	v_lshrrev_b32_e32 v0, 16, v0
.LBB88_98:
	s_or_b64 exec, exec, s[0:1]
	s_mov_b32 s0, 0x5040100
	v_or_b32_e32 v2, v18, v19
	v_perm_b32 v1, v0, v1, s0
	v_perm_b32 v0, v9, v7, s0
	v_lshlrev_b32_e32 v2, 1, v2
	ds_write_b64 v2, v[0:1] offset:24576
	s_waitcnt lgkmcnt(0)
	s_barrier
.LBB88_99:
	s_endpgm
	.section	.rodata,"a",@progbits
	.p2align	6, 0x0
	.amdhsa_kernel _ZN12_GLOBAL__N_139chunk_gated_delta_rule_fwd_h_hip_kernelILi64ELb0ELb0ELb0ELb1ELb0ELb1ELb0ELb1EEEvPK12hip_bfloat16S3_S3_PKfS5_PKvPS1_S8_PvPKiSB_iiiiilll
		.amdhsa_group_segment_fixed_size 65536
		.amdhsa_private_segment_fixed_size 0
		.amdhsa_kernarg_size 136
		.amdhsa_user_sgpr_count 2
		.amdhsa_user_sgpr_dispatch_ptr 0
		.amdhsa_user_sgpr_queue_ptr 0
		.amdhsa_user_sgpr_kernarg_segment_ptr 1
		.amdhsa_user_sgpr_dispatch_id 0
		.amdhsa_user_sgpr_kernarg_preload_length 0
		.amdhsa_user_sgpr_kernarg_preload_offset 0
		.amdhsa_user_sgpr_private_segment_size 0
		.amdhsa_uses_dynamic_stack 0
		.amdhsa_enable_private_segment 0
		.amdhsa_system_sgpr_workgroup_id_x 1
		.amdhsa_system_sgpr_workgroup_id_y 1
		.amdhsa_system_sgpr_workgroup_id_z 0
		.amdhsa_system_sgpr_workgroup_info 0
		.amdhsa_system_vgpr_workitem_id 0
		.amdhsa_next_free_vgpr 232
		.amdhsa_next_free_sgpr 62
		.amdhsa_accum_offset 192
		.amdhsa_reserve_vcc 1
		.amdhsa_float_round_mode_32 0
		.amdhsa_float_round_mode_16_64 0
		.amdhsa_float_denorm_mode_32 3
		.amdhsa_float_denorm_mode_16_64 3
		.amdhsa_dx10_clamp 1
		.amdhsa_ieee_mode 1
		.amdhsa_fp16_overflow 0
		.amdhsa_tg_split 0
		.amdhsa_exception_fp_ieee_invalid_op 0
		.amdhsa_exception_fp_denorm_src 0
		.amdhsa_exception_fp_ieee_div_zero 0
		.amdhsa_exception_fp_ieee_overflow 0
		.amdhsa_exception_fp_ieee_underflow 0
		.amdhsa_exception_fp_ieee_inexact 0
		.amdhsa_exception_int_div_zero 0
	.end_amdhsa_kernel
	.section	.text._ZN12_GLOBAL__N_139chunk_gated_delta_rule_fwd_h_hip_kernelILi64ELb0ELb0ELb0ELb1ELb0ELb1ELb0ELb1EEEvPK12hip_bfloat16S3_S3_PKfS5_PKvPS1_S8_PvPKiSB_iiiiilll,"axG",@progbits,_ZN12_GLOBAL__N_139chunk_gated_delta_rule_fwd_h_hip_kernelILi64ELb0ELb0ELb0ELb1ELb0ELb1ELb0ELb1EEEvPK12hip_bfloat16S3_S3_PKfS5_PKvPS1_S8_PvPKiSB_iiiiilll,comdat
.Lfunc_end88:
	.size	_ZN12_GLOBAL__N_139chunk_gated_delta_rule_fwd_h_hip_kernelILi64ELb0ELb0ELb0ELb1ELb0ELb1ELb0ELb1EEEvPK12hip_bfloat16S3_S3_PKfS5_PKvPS1_S8_PvPKiSB_iiiiilll, .Lfunc_end88-_ZN12_GLOBAL__N_139chunk_gated_delta_rule_fwd_h_hip_kernelILi64ELb0ELb0ELb0ELb1ELb0ELb1ELb0ELb1EEEvPK12hip_bfloat16S3_S3_PKfS5_PKvPS1_S8_PvPKiSB_iiiiilll
                                        ; -- End function
	.section	.AMDGPU.csdata,"",@progbits
; Kernel info:
; codeLenInByte = 11012
; NumSgprs: 68
; NumVgprs: 190
; NumAgprs: 40
; TotalNumVgprs: 232
; ScratchSize: 0
; MemoryBound: 0
; FloatMode: 240
; IeeeMode: 1
; LDSByteSize: 65536 bytes/workgroup (compile time only)
; SGPRBlocks: 8
; VGPRBlocks: 28
; NumSGPRsForWavesPerEU: 68
; NumVGPRsForWavesPerEU: 232
; AccumOffset: 192
; Occupancy: 1
; WaveLimiterHint : 1
; COMPUTE_PGM_RSRC2:SCRATCH_EN: 0
; COMPUTE_PGM_RSRC2:USER_SGPR: 2
; COMPUTE_PGM_RSRC2:TRAP_HANDLER: 0
; COMPUTE_PGM_RSRC2:TGID_X_EN: 1
; COMPUTE_PGM_RSRC2:TGID_Y_EN: 1
; COMPUTE_PGM_RSRC2:TGID_Z_EN: 0
; COMPUTE_PGM_RSRC2:TIDIG_COMP_CNT: 0
; COMPUTE_PGM_RSRC3_GFX90A:ACCUM_OFFSET: 47
; COMPUTE_PGM_RSRC3_GFX90A:TG_SPLIT: 0
	.section	.text._ZN12_GLOBAL__N_139chunk_gated_delta_rule_fwd_h_hip_kernelILi64ELb1ELb1ELb1ELb0ELb0ELb1ELb0ELb1EEEvPK12hip_bfloat16S3_S3_PKfS5_PKvPS1_S8_PvPKiSB_iiiiilll,"axG",@progbits,_ZN12_GLOBAL__N_139chunk_gated_delta_rule_fwd_h_hip_kernelILi64ELb1ELb1ELb1ELb0ELb0ELb1ELb0ELb1EEEvPK12hip_bfloat16S3_S3_PKfS5_PKvPS1_S8_PvPKiSB_iiiiilll,comdat
	.globl	_ZN12_GLOBAL__N_139chunk_gated_delta_rule_fwd_h_hip_kernelILi64ELb1ELb1ELb1ELb0ELb0ELb1ELb0ELb1EEEvPK12hip_bfloat16S3_S3_PKfS5_PKvPS1_S8_PvPKiSB_iiiiilll ; -- Begin function _ZN12_GLOBAL__N_139chunk_gated_delta_rule_fwd_h_hip_kernelILi64ELb1ELb1ELb1ELb0ELb0ELb1ELb0ELb1EEEvPK12hip_bfloat16S3_S3_PKfS5_PKvPS1_S8_PvPKiSB_iiiiilll
	.p2align	8
	.type	_ZN12_GLOBAL__N_139chunk_gated_delta_rule_fwd_h_hip_kernelILi64ELb1ELb1ELb1ELb0ELb0ELb1ELb0ELb1EEEvPK12hip_bfloat16S3_S3_PKfS5_PKvPS1_S8_PvPKiSB_iiiiilll,@function
_ZN12_GLOBAL__N_139chunk_gated_delta_rule_fwd_h_hip_kernelILi64ELb1ELb1ELb1ELb0ELb0ELb1ELb0ELb1EEEvPK12hip_bfloat16S3_S3_PKfS5_PKvPS1_S8_PvPKiSB_iiiiilll: ; @_ZN12_GLOBAL__N_139chunk_gated_delta_rule_fwd_h_hip_kernelILi64ELb1ELb1ELb1ELb0ELb0ELb1ELb0ELb1EEEvPK12hip_bfloat16S3_S3_PKfS5_PKvPS1_S8_PvPKiSB_iiiiilll
; %bb.0:
	s_load_dwordx4 s[24:27], s[0:1], 0x5c
	s_abs_i32 s6, s3
	s_ashr_i32 s5, s3, 31
	v_and_b32_e32 v99, 15, v0
	v_bfe_u32 v98, v0, 4, 2
	s_waitcnt lgkmcnt(0)
	s_abs_i32 s4, s25
	v_cvt_f32_u32_e32 v1, s4
	s_sub_i32 s8, 0, s4
	s_ashr_i32 s7, s25, 31
	s_xor_b32 s5, s5, s7
	v_rcp_iflag_f32_e32 v1, v1
	v_mov_b32_e32 v47, 0
	v_lshlrev_b32_e32 v100, 3, v0
	v_mul_f32_e32 v1, 0x4f7ffffe, v1
	v_cvt_u32_f32_e32 v1, v1
	s_nop 0
	v_readfirstlane_b32 s9, v1
	s_mul_i32 s8, s8, s9
	s_mul_hi_u32 s8, s9, s8
	s_add_i32 s9, s9, s8
	s_mul_hi_u32 s8, s6, s9
	s_mul_i32 s9, s8, s4
	s_sub_i32 s6, s6, s9
	s_add_i32 s10, s8, 1
	s_sub_i32 s9, s6, s4
	s_cmp_ge_u32 s6, s4
	s_cselect_b32 s8, s10, s8
	s_cselect_b32 s6, s9, s6
	s_add_i32 s9, s8, 1
	s_cmp_ge_u32 s6, s4
	s_cselect_b32 s6, s9, s8
	s_xor_b32 s6, s6, s5
	s_sub_i32 s58, s6, s5
	s_mul_i32 s6, s58, s25
	s_sub_i32 s33, s3, s6
	s_abs_i32 s3, s26
	v_cvt_f32_u32_e32 v1, s3
	s_add_i32 s8, s24, 63
	s_ashr_i32 s9, s8, 31
	s_lshr_b32 s5, s9, 26
	v_rcp_iflag_f32_e32 v1, v1
	s_ashr_i32 s57, s24, 31
	s_add_i32 s8, s8, s5
	s_lshr_b32 s5, s57, 26
	v_mul_f32_e32 v1, 0x4f7ffffe, v1
	v_cvt_u32_f32_e32 v1, v1
	s_add_i32 s5, s24, s5
	s_ashr_i32 s60, s26, 31
	s_ashr_i32 s28, s8, 6
	s_ashr_i32 s59, s5, 6
	s_xor_b32 s5, s7, s60
	s_sub_i32 s7, 0, s3
	v_readfirstlane_b32 s8, v1
	s_mul_i32 s7, s7, s8
	s_mul_hi_u32 s7, s8, s7
	s_add_i32 s8, s8, s7
	s_mul_hi_u32 s7, s4, s8
	s_mul_i32 s8, s7, s3
	s_sub_i32 s4, s4, s8
	s_lshl_b32 s2, s2, 6
	s_add_i32 s8, s7, 1
	s_sub_i32 s9, s4, s3
	s_cmp_ge_u32 s4, s3
	s_cselect_b32 s7, s8, s7
	s_cselect_b32 s4, s9, s4
	s_add_i32 s8, s7, 1
	s_cmp_ge_u32 s4, s3
	s_cselect_b32 s3, s8, s7
	s_xor_b32 s3, s3, s5
	s_sub_i32 s3, s3, s5
	s_abs_i32 s4, s3
	v_cvt_f32_u32_e32 v1, s4
	s_sub_i32 s7, 0, s4
	s_abs_i32 s5, s33
	s_xor_b32 s3, s33, s3
	v_rcp_iflag_f32_e32 v2, v1
	s_ashr_i32 s3, s3, 31
	s_load_dwordx8 s[8:15], s[0:1], 0x20
	v_or_b32_e32 v88, s2, v99
	v_mul_f32_e32 v2, 0x4f7ffffe, v2
	v_cvt_u32_f32_e32 v2, v2
	v_lshrrev_b32_e32 v1, 6, v0
	v_lshlrev_b32_e32 v48, 7, v88
	v_lshlrev_b32_e32 v45, 4, v1
	v_readfirstlane_b32 s16, v2
	s_mul_i32 s7, s7, s16
	s_mul_hi_u32 s7, s16, s7
	s_add_i32 s16, s16, s7
	s_mul_hi_u32 s7, s5, s16
	s_mul_i32 s16, s7, s4
	s_sub_i32 s5, s5, s16
	s_add_i32 s16, s7, 1
	s_sub_i32 s17, s5, s4
	s_cmp_ge_u32 s5, s4
	s_cselect_b32 s7, s16, s7
	s_cselect_b32 s5, s17, s5
	s_add_i32 s16, s7, 1
	s_cmp_ge_u32 s5, s4
	s_cselect_b32 s4, s16, s7
	s_xor_b32 s4, s4, s3
	s_sub_i32 s61, s4, s3
	s_ashr_i32 s3, s58, 31
	s_ashr_i32 s50, s33, 31
	s_mul_hi_i32 s4, s58, s25
	s_add_u32 s42, s6, s33
	s_addc_u32 s43, s4, s50
	s_lshl_b64 s[34:35], s[42:43], 15
	s_waitcnt lgkmcnt(0)
	s_add_u32 s4, s10, s34
	v_or_b32_e32 v50, 0x800, v48
	v_lshl_or_b32 v102, v98, 2, v45
	s_addc_u32 s5, s11, s35
	v_ashrrev_i32_e32 v49, 31, v48
	v_ashrrev_i32_e32 v51, 31, v50
	v_lshl_add_u64 v[2:3], v[48:49], 1, s[4:5]
	v_lshlrev_b32_e32 v46, 1, v102
	v_lshl_add_u64 v[6:7], v[50:51], 1, s[4:5]
	v_or_b32_e32 v52, 0x1000, v48
	v_or_b32_e32 v54, 0x1800, v48
	v_lshl_add_u64 v[2:3], v[2:3], 0, v[46:47]
	v_lshl_add_u64 v[6:7], v[6:7], 0, v[46:47]
	v_ashrrev_i32_e32 v53, 31, v52
	v_ashrrev_i32_e32 v55, 31, v54
	global_load_dwordx2 v[4:5], v[2:3], off
	v_lshl_add_u64 v[14:15], v[54:55], 1, s[4:5]
	global_load_dwordx2 v[2:3], v[2:3], off offset:128
	s_nop 0
	global_load_dwordx2 v[8:9], v[6:7], off
	global_load_dwordx2 v[10:11], v[6:7], off offset:128
	v_lshl_add_u64 v[6:7], v[52:53], 1, s[4:5]
	v_lshl_add_u64 v[6:7], v[6:7], 0, v[46:47]
	;; [unrolled: 1-line block ×3, first 2 shown]
	global_load_dwordx2 v[12:13], v[6:7], off
	v_and_b32_e32 v47, 63, v0
	global_load_dwordx2 v[6:7], v[6:7], off offset:128
	s_nop 0
	global_load_dwordx2 v[16:17], v[14:15], off
	global_load_dwordx2 v[18:19], v[14:15], off offset:128
	s_load_dwordx2 s[10:11], s[0:1], 0x40
	s_load_dwordx8 s[16:23], s[0:1], 0x0
	s_load_dwordx2 s[36:37], s[0:1], 0x80
	s_load_dwordx4 s[4:7], s[0:1], 0x70
	v_or_b32_e32 v103, 64, v102
	s_mul_i32 s51, s58, s24
	s_mul_i32 s62, s58, s28
	s_cmp_lt_i32 s24, 64
	v_lshrrev_b32_e32 v101, 3, v47
	s_mul_i32 s63, s43, s24
	s_mul_hi_u32 s64, s42, s24
	s_mul_i32 s44, s42, s24
	s_waitcnt lgkmcnt(0)
	s_mul_i32 s43, s58, s5
	s_mul_hi_u32 s53, s58, s4
	s_mul_i32 s52, s3, s4
	s_mul_i32 s40, s58, s4
	;; [unrolled: 1-line block ×3, first 2 shown]
	s_mul_hi_u32 s55, s33, s6
	s_mul_i32 s56, s50, s6
	s_mul_i32 s38, s33, s6
	s_waitcnt vmcnt(7)
	v_and_b32_e32 v83, 0xffff0000, v4
	v_lshlrev_b32_e32 v82, 16, v4
	v_and_b32_e32 v87, 0xffff0000, v5
	v_lshlrev_b32_e32 v86, 16, v5
	s_waitcnt vmcnt(6)
	v_and_b32_e32 v81, 0xffff0000, v2
	v_lshlrev_b32_e32 v80, 16, v2
	v_and_b32_e32 v85, 0xffff0000, v3
	v_lshlrev_b32_e32 v84, 16, v3
	;; [unrolled: 5-line block ×8, first 2 shown]
	s_cbranch_scc1 .LBB89_18
; %bb.1:
	s_add_i32 s45, s64, s63
	s_lshl_b64 s[0:1], s[44:45], 8
	v_and_b32_e32 v105, 56, v100
	s_add_u32 s4, s18, s0
	v_lshl_or_b32 v104, v1, 3, v101
	v_lshlrev_b32_e32 v2, 1, v105
	s_addc_u32 s0, s19, s1
	v_lshl_or_b32 v106, v104, 8, v2
	s_and_b32 s5, s0, 0xffff
	s_mov_b32 s7, 0x20000
	s_movk_i32 s6, 0x4000
	s_movk_i32 s0, 0x80
	v_or_b32_e32 v107, 0x2000, v106
	buffer_load_dwordx4 v[4:7], v106, s[4:7], 0 offen
	buffer_load_dwordx4 v[8:11], v106, s[4:7], s0 offen
	;; [unrolled: 1-line block ×4, first 2 shown]
	v_lshlrev_b32_e32 v3, 3, v104
	v_and_or_b32 v21, v0, 7, v3
	v_and_b32_e32 v3, 0x78, v3
	v_lshlrev_b32_e32 v21, 4, v21
	v_xor_b32_e32 v108, v21, v3
	v_mul_lo_u32 v20, v104, s27
	v_or_b32_e32 v109, 0x1000, v108
	v_xor_b32_e32 v3, 8, v108
	s_cmpk_eq_i32 s27, 0x80
	s_mov_b32 s65, s26
	v_xor_b32_e32 v21, 8, v109
	s_cselect_b64 s[0:1], -1, 0
	s_cmpk_lg_i32 s27, 0x80
	s_waitcnt vmcnt(3)
	ds_write_b64 v108, v[4:5] offset:49152
	ds_write_b64 v3, v[6:7] offset:49152
	s_waitcnt vmcnt(2)
	ds_write_b64 v108, v[8:9] offset:57344
	ds_write_b64 v3, v[10:11] offset:57344
	;; [unrolled: 3-line block ×4, first 2 shown]
	v_lshl_add_u32 v3, v20, 1, v105
	s_cbranch_scc0 .LBB89_3
; %bb.2:
	v_lshlrev_b32_e32 v5, 1, v3
	v_add_lshl_u32 v4, v3, s27, 1
	s_lshl_b32 s6, s27, 7
	v_lshl_or_b32 v2, v104, 9, v2
	s_cbranch_execz .LBB89_4
	s_branch .LBB89_5
.LBB89_3:
                                        ; implicit-def: $vgpr4
                                        ; implicit-def: $vgpr5
                                        ; implicit-def: $sgpr6
	v_lshl_or_b32 v2, v104, 9, v2
.LBB89_4:
	v_or_b32_e32 v4, 0x100, v2
	s_movk_i32 s6, 0x4000
	v_mov_b32_e32 v5, v2
.LBB89_5:
	s_mul_hi_u32 s4, s26, s24
	s_mul_i32 s5, s60, s24
	s_add_i32 s4, s4, s5
	s_mul_i32 s5, s26, s24
	s_mul_i32 s7, s5, s3
	s_mul_hi_u32 s28, s5, s58
	s_add_i32 s7, s28, s7
	s_mul_i32 s4, s4, s58
	s_add_i32 s7, s7, s4
	s_mul_i32 s5, s5, s58
	s_ashr_i32 s66, s61, 31
	s_add_u32 s4, s5, s61
	s_addc_u32 s5, s7, s66
	s_lshl_b64 s[4:5], s[4:5], 8
	s_add_u32 s4, s16, s4
	s_addc_u32 s5, s17, s5
	s_and_b32 s5, s5, 0xffff
	s_mov_b32 s7, 0x20000
	s_movk_i32 s67, 0x80
	buffer_load_dwordx4 v[6:9], v5, s[4:7], 0 offen
	buffer_load_dwordx4 v[10:13], v5, s[4:7], s67 offen
	;; [unrolled: 1-line block ×4, first 2 shown]
	v_and_b32_e32 v5, 6, v0
	v_lshlrev_b32_e32 v4, 7, v102
	v_xor_b32_e32 v26, v104, v5
	v_and_b32_e32 v22, 1, v0
	v_lshl_or_b32 v29, v99, 3, v4
	v_lshlrev_b32_e32 v26, 2, v26
	v_or_b32_e32 v110, 0x4000, v29
	v_or_b32_e32 v111, 0x6000, v29
	v_xor_b32_e32 v29, 0x440, v26
	v_cmp_eq_u32_e32 vcc, 0, v22
	v_lshlrev_b32_e32 v23, 2, v99
	v_or_b32_e32 v25, 16, v99
	v_cndmask_b32_e32 v22, v29, v26, vcc
	s_mov_b32 s69, 0x1000504
	v_xor_b32_e32 v27, v102, v23
	v_xor_b32_e32 v28, v103, v23
	v_lshl_or_b32 v30, v25, 3, v4
	v_lshl_or_b32 v5, v5, 10, v22
	s_mov_b32 s70, 0x3020706
	v_lshlrev_b32_e32 v24, 8, v99
	v_lshlrev_b32_e32 v27, 1, v27
	;; [unrolled: 1-line block ×3, first 2 shown]
	v_or_b32_e32 v112, 0x4000, v30
	v_or_b32_e32 v113, 0x6000, v30
	v_xor_b32_e32 v22, 8, v5
	v_xor_b32_e32 v26, 24, v5
	;; [unrolled: 1-line block ×4, first 2 shown]
	s_mul_i32 s3, s3, s24
	s_mul_hi_u32 s4, s58, s24
	v_or_b32_e32 v114, v24, v27
	v_or_b32_e32 v115, v24, v28
	v_xor_b32_e32 v24, 16, v5
	v_xor_b32_e32 v29, 32, v5
	;; [unrolled: 1-line block ×3, first 2 shown]
	v_add_u32_e32 v22, 0x80, v22
	v_add_u32_e32 v26, 0x80, v26
	;; [unrolled: 1-line block ×4, first 2 shown]
	s_add_i32 s71, s4, s3
	s_add_i32 s3, s53, s43
	;; [unrolled: 1-line block ×5, first 2 shown]
	s_lshl_b64 s[4:5], s[40:41], 2
	s_add_u32 s3, s22, s4
	s_addc_u32 s28, s23, s5
	s_lshl_b64 s[4:5], s[38:39], 2
	s_add_u32 s46, s3, s4
	s_movk_i32 s3, 0xf8
	s_addc_u32 s47, s28, s5
	s_lshl_b32 s30, s27, 7
	s_movk_i32 s28, 0x100
	v_mov_b32_e32 v91, 0
	v_lshlrev_b32_e32 v90, 4, v99
	v_ashrrev_i32_e32 v89, 31, v88
	s_mov_b32 s68, 0
	s_movk_i32 s6, 0x4000
	s_mov_b32 s39, 0x7060302
	s_movk_i32 s41, 0x2000
	s_movk_i32 s72, 0x3000
	v_mov_b32_e32 v155, 0x3fb8aa3b
	s_mov_b32 s74, 0
	s_waitcnt vmcnt(1)
	v_perm_b32 v33, v6, v14, s69
	s_waitcnt vmcnt(0)
	v_perm_b32 v34, v10, v18, s69
	v_perm_b32 v6, v6, v14, s70
	;; [unrolled: 1-line block ×15, first 2 shown]
	ds_write2st64_b32 v5, v33, v34 offset0:128 offset1:160
	ds_write2st64_b32 v22, v6, v10 offset0:128 offset1:160
	;; [unrolled: 1-line block ×8, first 2 shown]
	v_lshlrev_b32_e32 v5, 8, v25
	v_or_b32_e32 v116, v5, v27
	v_or_b32_e32 v117, v5, v28
	;; [unrolled: 1-line block ×3, first 2 shown]
	v_lshl_or_b32 v6, v5, 3, v4
	v_lshlrev_b32_e32 v5, 8, v5
	v_or_b32_e32 v120, v5, v27
	v_or_b32_e32 v121, v5, v28
	;; [unrolled: 1-line block ×5, first 2 shown]
	v_lshl_or_b32 v6, v5, 3, v4
	v_lshlrev_b32_e32 v5, 8, v5
	v_or_b32_e32 v124, v5, v27
	v_or_b32_e32 v125, v5, v28
	;; [unrolled: 1-line block ×3, first 2 shown]
	v_lshlrev_b32_e32 v5, 3, v5
	v_lshrrev_b32_e32 v7, 5, v47
	v_and_or_b32 v7, v5, s3, v7
	v_lshlrev_b32_e32 v7, 4, v7
	v_or_b32_e32 v122, 0x4000, v6
	v_or_b32_e32 v123, 0x6000, v6
	v_lshrrev_b32_e32 v6, 2, v47
	v_lshlrev_b32_e32 v9, 11, v1
	v_and_b32_e32 v5, 0x78, v5
	v_or_b32_e32 v13, 32, v7
	v_and_b32_e32 v8, 12, v6
	v_and_b32_e32 v6, 0x1000, v9
	v_lshrrev_b32_e32 v11, 1, v47
	v_xor_b32_e32 v13, v13, v5
	v_xor_b32_e32 v10, v7, v5
	v_and_b32_e32 v11, 8, v11
	v_or_b32_e32 v13, v13, v6
	v_or_b32_e32 v10, v10, v6
	v_xor_b32_e32 v128, v13, v11
	v_or_b32_e32 v13, 64, v7
	v_or_b32_e32 v7, 0x60, v7
	v_xor_b32_e32 v126, v10, v11
	v_lshlrev_b32_e32 v10, 8, v98
	v_xor_b32_e32 v13, v13, v5
	v_xor_b32_e32 v5, v7, v5
	s_ashr_i32 s3, s2, 31
	v_or_b32_e32 v12, v10, v23
	v_or_b32_e32 v13, v13, v6
	;; [unrolled: 1-line block ×3, first 2 shown]
	s_lshl_b64 s[4:5], s[2:3], 8
	v_lshlrev_b32_e32 v15, 2, v0
	v_lshlrev_b32_e32 v12, 1, v12
	v_xor_b32_e32 v132, v13, v11
	v_xor_b32_e32 v133, v5, v11
	v_lshlrev_b32_e32 v5, 1, v3
	v_add_lshl_u32 v3, v3, s27, 1
	v_or_b32_e32 v11, 0x100, v2
	s_add_u32 s4, s12, s4
	v_lshlrev_b32_e32 v6, 1, v99
	v_lshrrev_b32_e32 v16, 1, v0
	v_and_or_b32 v10, v15, 60, v10
	v_or_b32_e32 v127, 0x4000, v12
	v_or_b32_e32 v129, 0x4080, v12
	;; [unrolled: 1-line block ×8, first 2 shown]
	v_lshrrev_b32_e32 v12, 4, v0
	s_addc_u32 s5, s13, s5
	v_or_b32_e32 v7, 1, v6
	v_and_b32_e32 v16, 24, v16
	v_lshlrev_b32_e32 v10, 1, v10
	v_cndmask_b32_e64 v144, v5, v2, s[0:1]
	v_cndmask_b32_e64 v145, v3, v11, s[0:1]
	v_mov_b32_e32 v3, 0xa000
	v_mov_b32_e32 v5, 0x8000
	v_cmp_gt_u32_e64 s[0:1], s28, v0
	v_xor_b32_e32 v13, v12, v6
	v_xor_b32_e32 v14, v7, v12
	v_lshl_add_u64 v[6:7], s[4:5], 0, v[90:91]
	v_lshlrev_b32_e32 v90, 8, v12
	v_or_b32_e32 v140, 0x6000, v10
	v_or_b32_e32 v15, 32, v16
	;; [unrolled: 1-line block ×6, first 2 shown]
	v_cndmask_b32_e64 v3, v3, v5, s[0:1]
	v_lshlrev_b32_e32 v5, 3, v1
	v_lshl_or_b32 v138, v13, 3, v90
	v_and_b32_e32 v13, 8, v0
	v_xor_b32_e32 v11, v5, v16
	v_xor_b32_e32 v15, v5, v15
	;; [unrolled: 1-line block ×3, first 2 shown]
	v_mov_b32_e32 v17, 0x400
	v_cmp_eq_u32_e32 vcc, 0, v13
	v_or_b32_e32 v16, 0x440, v11
	v_or_b32_e32 v18, 0x440, v15
	v_xor_b32_e32 v10, 0x440, v5
	v_and_b32_e32 v12, 7, v0
	v_cndmask_b32_e64 v13, v17, 64, vcc
	v_cndmask_b32_e32 v16, v16, v11, vcc
	v_cndmask_b32_e32 v15, v18, v15, vcc
	;; [unrolled: 1-line block ×3, first 2 shown]
	v_lshl_or_b32 v139, v14, 3, v90
	v_lshlrev_b32_e32 v14, 3, v12
	v_or_b32_e32 v16, v16, v9
	v_or_b32_e32 v15, v15, v9
	v_or3_b32 v11, v9, v13, v11
	v_or_b32_e32 v5, v5, v9
	v_lshlrev_b32_e32 v12, 7, v12
	v_xor_b32_e32 v16, v16, v14
	v_xor_b32_e32 v15, v15, v14
	;; [unrolled: 1-line block ×4, first 2 shown]
	v_or_b32_e32 v2, v45, v8
	v_add_u32_e32 v17, v3, v16
	v_add_u32_e32 v18, v3, v15
	v_or_b32_e32 v146, v11, v12
	v_add_u32_e32 v9, v3, v5
	v_or3_b32 v8, v45, v8, 64
	v_add_u32_e32 v13, 0xa000, v16
	v_add_u32_e32 v14, 0xa000, v15
	;; [unrolled: 1-line block ×3, first 2 shown]
	v_lshlrev_b64 v[10:11], 1, v[88:89]
	v_lshl_add_u64 v[92:93], s[20:21], 0, v[10:11]
	v_lshl_add_u64 v[94:95], s[14:15], 0, v[10:11]
	;; [unrolled: 1-line block ×3, first 2 shown]
	s_add_i32 s3, s51, 63
	v_lshlrev_b32_e32 v90, 1, v4
	v_lshlrev_b32_e32 v89, 2, v2
	v_add_u32_e32 v147, v17, v12
	v_add_u32_e32 v148, v18, v12
	;; [unrolled: 1-line block ×4, first 2 shown]
	v_lshlrev_b32_e32 v151, 2, v8
	v_add_u32_e32 v152, v13, v12
	v_add_u32_e32 v153, v14, v12
	;; [unrolled: 1-line block ×3, first 2 shown]
	s_waitcnt lgkmcnt(0)
	s_barrier
.LBB89_6:                               ; =>This Inner Loop Header: Depth=1
	s_add_i32 s73, s74, 1
	s_cmp_lt_i32 s73, s59
	s_mov_b64 s[28:29], 0
	s_cselect_b64 s[48:49], -1, 0
	s_cmp_ge_i32 s73, s59
	s_mov_b64 s[4:5], 0
	s_cbranch_scc1 .LBB89_8
; %bb.7:                                ;   in Loop: Header=BB89_6 Depth=1
	s_add_i32 s0, s68, 64
	s_add_u32 s0, s44, s0
	s_addc_u32 s1, s45, 0
	s_lshl_b64 s[0:1], s[0:1], 8
	s_add_u32 s4, s18, s0
	s_addc_u32 s5, s19, s1
.LBB89_8:                               ;   in Loop: Header=BB89_6 Depth=1
	v_cndmask_b32_e64 v2, 0, 1, s[48:49]
	v_cmp_ne_u32_e64 s[0:1], 1, v2
	s_andn2_b64 vcc, exec, s[48:49]
	s_cbranch_vccnz .LBB89_10
; %bb.9:                                ;   in Loop: Header=BB89_6 Depth=1
	s_add_i32 s28, s68, 64
	s_add_u32 s28, s51, s28
	s_addc_u32 s29, s71, 0
	s_mul_i32 s31, s28, s60
	s_mul_hi_u32 s48, s28, s65
	s_add_i32 s31, s48, s31
	s_mul_i32 s29, s29, s65
	s_add_i32 s31, s31, s29
	s_mul_i32 s28, s28, s65
	s_add_u32 s28, s28, s61
	s_addc_u32 s29, s31, s66
	s_lshl_b64 s[28:29], s[28:29], 8
	s_add_u32 s28, s16, s28
	s_addc_u32 s29, s17, s29
.LBB89_10:                              ;   in Loop: Header=BB89_6 Depth=1
	v_perm_b32 v3, v87, v86, s39
	v_perm_b32 v2, v83, v82, s39
	v_perm_b32 v5, v85, v84, s39
	v_perm_b32 v4, v81, v80, s39
	ds_write_b64 v110, v[2:3]
	ds_write_b64 v111, v[4:5]
	ds_write_b64 v114, v[2:3]
	ds_write_b64 v115, v[4:5]
	v_perm_b32 v3, v79, v78, s39
	v_perm_b32 v2, v75, v74, s39
	v_perm_b32 v5, v77, v76, s39
	v_perm_b32 v4, v73, v72, s39
	ds_write_b64 v112, v[2:3]
	ds_write_b64 v113, v[4:5]
	ds_write_b64 v116, v[2:3]
	ds_write_b64 v117, v[4:5]
	;; [unrolled: 8-line block ×4, first 2 shown]
	s_waitcnt lgkmcnt(0)
	s_barrier
	ds_read_b64 v[6:7], v126 offset:49152
	ds_read2_b64 v[2:5], v127 offset1:16
	ds_read_b64 v[18:19], v129 offset:6144
	ds_read_b64 v[20:21], v127 offset:6144
	s_waitcnt lgkmcnt(2)
	v_mfma_f32_16x16x16_bf16 a[0:3], v[6:7], v[2:3], 0
	ds_read_b64 v[22:23], v128 offset:49152
	ds_read2st64_b64 v[10:13], v130 offset0:4 offset1:8
	ds_read2st64_b64 v[14:17], v131 offset0:4 offset1:8
	v_mfma_f32_16x16x16_bf16 a[4:7], v[6:7], v[4:5], 0
	ds_read2_b64 v[2:5], v127 offset0:32 offset1:48
	s_add_i32 s31, s68, 63
	s_mul_i32 s48, s31, s37
	s_waitcnt lgkmcnt(0)
	v_mfma_f32_16x16x16_bf16 a[8:11], v[6:7], v[2:3], 0
	s_mul_hi_u32 s49, s31, s36
	s_add_i32 s49, s49, s48
	s_mul_i32 s48, s31, s36
	v_mfma_f32_16x16x16_bf16 a[12:15], v[6:7], v[4:5], 0
	ds_read2st64_b64 v[2:5], v127 offset0:4 offset1:8
	ds_read2st64_b64 v[6:9], v129 offset0:4 offset1:8
	s_lshl_b64 s[48:49], s[48:49], 2
	s_waitcnt lgkmcnt(1)
	v_mfma_f32_16x16x16_bf16 a[0:3], v[22:23], v[2:3], a[0:3]
	s_add_u32 s48, s46, s48
	s_addc_u32 s49, s47, s49
	s_and_b64 vcc, exec, s[0:1]
	s_waitcnt lgkmcnt(0)
	v_mfma_f32_16x16x16_bf16 a[4:7], v[22:23], v[6:7], a[4:7]
	v_mov_b32_e32 v158, 0
	v_mov_b32_e32 v157, 0
	;; [unrolled: 1-line block ×3, first 2 shown]
	v_mfma_f32_16x16x16_bf16 a[8:11], v[22:23], v[10:11], a[8:11]
	ds_read_b64 v[2:3], v132 offset:49152
	ds_read_b64 v[6:7], v133 offset:49152
	;; [unrolled: 1-line block ×3, first 2 shown]
	v_mfma_f32_16x16x16_bf16 a[12:15], v[22:23], v[14:15], a[12:15]
	v_mov_b32_e32 v14, 0
	v_mov_b32_e32 v15, 0
	s_waitcnt lgkmcnt(2)
	v_mfma_f32_16x16x16_bf16 a[0:3], v[2:3], v[4:5], a[0:3]
	v_mov_b32_e32 v4, 0
	v_mov_b32_e32 v5, 0
	v_mfma_f32_16x16x16_bf16 a[4:7], v[2:3], v[8:9], a[4:7]
	v_mov_b32_e32 v8, 0
	v_mov_b32_e32 v9, 0
	;; [unrolled: 3-line block ×3, first 2 shown]
	v_mfma_f32_16x16x16_bf16 a[12:15], v[2:3], v[16:17], a[12:15]
	ds_read_b64 v[2:3], v130 offset:6144
	v_mov_b32_e32 v16, 0
	v_mov_b32_e32 v17, 0
	s_waitcnt lgkmcnt(2)
	v_mfma_f32_16x16x16_bf16 a[0:3], v[6:7], v[20:21], a[0:3]
	v_mfma_f32_16x16x16_bf16 a[4:7], v[6:7], v[18:19], a[4:7]
	s_waitcnt lgkmcnt(0)
	v_mfma_f32_16x16x16_bf16 a[8:11], v[6:7], v[2:3], a[8:11]
	v_mov_b32_e32 v2, 0
	v_mov_b32_e32 v3, 0
	v_mfma_f32_16x16x16_bf16 a[12:15], v[6:7], v[10:11], a[12:15]
	v_mov_b32_e32 v6, 0
	v_mov_b32_e32 v7, 0
	;; [unrolled: 1-line block ×4, first 2 shown]
	s_cbranch_vccnz .LBB89_12
; %bb.11:                               ;   in Loop: Header=BB89_6 Depth=1
	s_and_b32 s5, s5, 0xffff
	buffer_load_dwordx4 v[14:17], v106, s[4:7], 0 offen
	buffer_load_dwordx4 v[10:13], v106, s[4:7], s67 offen
	;; [unrolled: 1-line block ×4, first 2 shown]
	v_mov_b32_e32 v157, v108
	v_mov_b32_e32 v156, v109
.LBB89_12:                              ;   in Loop: Header=BB89_6 Depth=1
	ds_read_b64 v[38:39], v126 offset:57344
	ds_read2_b64 v[18:21], v134 offset1:16
	ds_read_b64 v[40:41], v128 offset:57344
	ds_read_b64 v[42:43], v132 offset:57344
	;; [unrolled: 1-line block ×3, first 2 shown]
	s_waitcnt lgkmcnt(3)
	v_mfma_f32_16x16x16_bf16 a[0:3], v[38:39], v[18:19], a[0:3]
	v_mfma_f32_16x16x16_bf16 a[4:7], v[38:39], v[20:21], a[4:7]
	ds_read2_b64 v[18:21], v134 offset0:32 offset1:48
	ds_read2st64_b64 v[22:25], v134 offset0:4 offset1:8
	ds_read2st64_b64 v[26:29], v135 offset0:4 offset1:8
	;; [unrolled: 1-line block ×4, first 2 shown]
	s_waitcnt lgkmcnt(4)
	v_mfma_f32_16x16x16_bf16 a[8:11], v[38:39], v[18:19], a[8:11]
	v_mfma_f32_16x16x16_bf16 a[12:15], v[38:39], v[20:21], a[12:15]
	v_add_u32_e32 v38, s68, v102
	v_ashrrev_i32_e32 v18, 31, v38
	v_mul_lo_u32 v20, v18, s36
	v_mul_lo_u32 v21, v38, s37
	v_mad_u64_u32 v[18:19], s[4:5], v38, s36, 0
	v_add3_u32 v19, v19, v21, v20
	v_add_u32_e32 v20, 1, v38
	v_ashrrev_i32_e32 v21, 31, v20
	s_waitcnt lgkmcnt(3)
	v_mfma_f32_16x16x16_bf16 a[0:3], v[40:41], v[22:23], a[0:3]
	v_mul_lo_u32 v22, v21, s36
	v_mul_lo_u32 v23, v20, s37
	v_mad_u64_u32 v[20:21], s[4:5], v20, s36, 0
	v_add3_u32 v21, v21, v23, v22
	v_add_u32_e32 v22, 2, v38
	v_ashrrev_i32_e32 v23, 31, v22
	s_waitcnt lgkmcnt(2)
	v_mfma_f32_16x16x16_bf16 a[4:7], v[40:41], v[26:27], a[4:7]
	v_mul_lo_u32 v26, v23, s36
	v_mul_lo_u32 v27, v22, s37
	v_mad_u64_u32 v[22:23], s[4:5], v22, s36, 0
	v_add3_u32 v23, v23, v27, v26
	v_add_u32_e32 v26, 3, v38
	v_lshl_add_u64 v[18:19], v[18:19], 2, s[46:47]
	v_lshl_add_u64 v[20:21], v[20:21], 2, s[46:47]
	v_ashrrev_i32_e32 v27, 31, v26
	s_waitcnt lgkmcnt(1)
	v_mfma_f32_16x16x16_bf16 a[8:11], v[40:41], v[30:31], a[8:11]
	v_mul_lo_u32 v27, v27, s36
	global_load_dword v30, v[18:19], off
	v_mul_lo_u32 v31, v26, s37
	s_waitcnt lgkmcnt(0)
	v_mfma_f32_16x16x16_bf16 a[12:15], v[40:41], v[34:35], a[12:15]
	global_load_dword v34, v[20:21], off
	v_mad_u64_u32 v[18:19], s[4:5], v26, s36, 0
	v_add3_u32 v19, v19, v31, v27
	s_add_u32 s4, s44, s68
	v_lshl_add_u64 v[22:23], v[22:23], 2, s[46:47]
	v_lshl_add_u64 v[18:19], v[18:19], 2, s[46:47]
	s_addc_u32 s5, s45, 0
	global_load_dword v31, v[22:23], off
	global_load_dword v35, v[18:19], off
	s_lshl_b64 s[4:5], s[4:5], 8
	v_lshl_add_u64 v[18:19], v[92:93], 0, s[4:5]
	v_lshl_add_u64 v[18:19], v[18:19], 0, v[90:91]
	global_load_ushort v38, v[18:19], off offset:256
	global_load_ushort v39, v[18:19], off
	global_load_ushort v40, v[18:19], off offset:768
	global_load_ushort v41, v[18:19], off offset:512
	;; [unrolled: 1-line block ×6, first 2 shown]
	s_load_dword s48, s[48:49], 0x0
	v_mfma_f32_16x16x16_bf16 a[12:15], v[42:43], v[36:37], a[12:15]
	global_load_ushort v36, v[18:19], off offset:320
	global_load_ushort v37, v[18:19], off offset:64
	s_and_b64 vcc, exec, s[0:1]
	v_mfma_f32_16x16x16_bf16 a[0:3], v[42:43], v[24:25], a[0:3]
	ds_read_b64 v[20:21], v134 offset:6144
	ds_read_b64 v[22:23], v135 offset:6144
	;; [unrolled: 1-line block ×4, first 2 shown]
	v_mfma_f32_16x16x16_bf16 a[4:7], v[42:43], v[28:29], a[4:7]
	s_waitcnt vmcnt(11) lgkmcnt(0)
	v_sub_f32_e32 v28, s48, v31
	v_mfma_f32_16x16x16_bf16 a[8:11], v[42:43], v[32:33], a[8:11]
	global_load_ushort v42, v[18:19], off offset:832
	global_load_ushort v43, v[18:19], off offset:576
	;; [unrolled: 1-line block ×6, first 2 shown]
	v_mfma_f32_16x16x16_bf16 a[0:3], v[160:161], v[20:21], a[0:3]
	s_waitcnt vmcnt(16)
	v_sub_f32_e32 v29, s48, v35
	v_mul_f32_e32 v28, 0x3fb8aa3b, v28
	v_mul_f32_e32 v29, 0x3fb8aa3b, v29
	v_exp_f32_e32 v28, v28
	v_exp_f32_e32 v29, v29
	s_waitcnt vmcnt(15)
	v_lshlrev_b32_e32 v33, 16, v38
	s_waitcnt vmcnt(14)
	v_lshlrev_b32_e32 v32, 16, v39
	v_accvgpr_read_b32 v21, a3
	v_accvgpr_read_b32 v20, a2
	v_mfma_f32_16x16x16_bf16 a[2:5], v[160:161], v[22:23], a[4:7]
	v_mfma_f32_16x16x16_bf16 a[6:9], v[160:161], v[24:25], a[8:11]
	s_nop 5
	v_accvgpr_read_b32 v23, a5
	v_accvgpr_read_b32 v22, a4
	;; [unrolled: 1-line block ×4, first 2 shown]
	v_mfma_f32_16x16x16_bf16 a[8:11], v[160:161], v[26:27], a[12:15]
	v_sub_f32_e32 v26, s48, v30
	v_sub_f32_e32 v27, s48, v34
	v_mul_f32_e32 v26, 0x3fb8aa3b, v26
	v_mul_f32_e32 v27, 0x3fb8aa3b, v27
	v_exp_f32_e32 v26, v26
	v_exp_f32_e32 v27, v27
	v_accvgpr_read_b32 v35, a1
	v_accvgpr_read_b32 v34, a0
	v_lshl_add_u64 v[30:31], v[94:95], 0, s[4:5]
	v_pk_add_f32 v[32:33], v[32:33], v[34:35] neg_lo:[0,1] neg_hi:[0,1]
	s_waitcnt vmcnt(13)
	v_lshlrev_b32_e32 v35, 16, v40
	s_waitcnt vmcnt(12)
	v_lshlrev_b32_e32 v34, 16, v41
	v_lshl_add_u64 v[30:31], v[30:31], 0, v[90:91]
	v_pk_add_f32 v[20:21], v[34:35], v[20:21] neg_lo:[0,1] neg_hi:[0,1]
	global_store_short_d16_hi v[30:31], v32, off
	global_store_short_d16_hi v[30:31], v33, off offset:256
	global_store_short_d16_hi v[30:31], v20, off offset:512
	;; [unrolled: 1-line block ×3, first 2 shown]
	v_pk_mul_f32 v[32:33], v[26:27], v[32:33]
	v_pk_mul_f32 v[20:21], v[28:29], v[20:21]
	v_accvgpr_read_b32 v35, a3
	v_perm_b32 v21, v21, v20, s39
	v_perm_b32 v20, v33, v32, s39
	s_waitcnt vmcnt(15)
	v_lshlrev_b32_e32 v33, 16, v44
	s_waitcnt vmcnt(14)
	v_lshlrev_b32_e32 v32, 16, v159
	v_accvgpr_read_b32 v34, a2
	v_pk_add_f32 v[32:33], v[32:33], v[34:35] neg_lo:[0,1] neg_hi:[0,1]
	s_waitcnt vmcnt(13)
	v_lshlrev_b32_e32 v35, 16, v162
	s_waitcnt vmcnt(12)
	v_lshlrev_b32_e32 v34, 16, v163
	v_pk_add_f32 v[22:23], v[34:35], v[22:23] neg_lo:[0,1] neg_hi:[0,1]
	global_store_short_d16_hi v[30:31], v32, off offset:32
	global_store_short_d16_hi v[30:31], v33, off offset:288
	;; [unrolled: 1-line block ×4, first 2 shown]
	v_pk_mul_f32 v[32:33], v[26:27], v[32:33]
	v_pk_mul_f32 v[22:23], v[28:29], v[22:23]
	v_accvgpr_read_b32 v25, a11
	v_perm_b32 v23, v23, v22, s39
	v_perm_b32 v22, v33, v32, s39
	ds_write2_b64 v111, v[20:21], v[22:23] offset1:16
	v_accvgpr_read_b32 v23, a7
	s_waitcnt vmcnt(15)
	v_lshlrev_b32_e32 v21, 16, v36
	s_waitcnt vmcnt(14)
	v_lshlrev_b32_e32 v20, 16, v37
	v_accvgpr_read_b32 v22, a6
	v_pk_add_f32 v[20:21], v[20:21], v[22:23] neg_lo:[0,1] neg_hi:[0,1]
	global_store_short_d16_hi v[30:31], v20, off offset:64
	global_store_short_d16_hi v[30:31], v21, off offset:320
	v_pk_mul_f32 v[20:21], v[26:27], v[20:21]
	v_accvgpr_read_b32 v24, a10
	v_perm_b32 v20, v21, v20, s39
	v_mov_b32_e32 v159, 0
	v_mov_b32_e32 v32, 0
	;; [unrolled: 1-line block ×3, first 2 shown]
	s_waitcnt vmcnt(15)
	v_lshlrev_b32_e32 v23, 16, v42
	s_waitcnt vmcnt(14)
	v_lshlrev_b32_e32 v22, 16, v43
	v_pk_add_f32 v[18:19], v[22:23], v[18:19] neg_lo:[0,1] neg_hi:[0,1]
	global_store_short_d16_hi v[30:31], v18, off offset:576
	global_store_short_d16_hi v[30:31], v19, off offset:832
	v_pk_mul_f32 v[18:19], v[28:29], v[18:19]
	v_accvgpr_read_b32 v23, a9
	v_perm_b32 v21, v19, v18, s39
	s_waitcnt vmcnt(15)
	v_lshlrev_b32_e32 v19, 16, v164
	s_waitcnt vmcnt(14)
	v_lshlrev_b32_e32 v18, 16, v165
	v_accvgpr_read_b32 v22, a8
	v_pk_add_f32 v[18:19], v[18:19], v[22:23] neg_lo:[0,1] neg_hi:[0,1]
	s_waitcnt vmcnt(13)
	v_lshlrev_b32_e32 v23, 16, v166
	s_waitcnt vmcnt(12)
	v_lshlrev_b32_e32 v22, 16, v167
	v_pk_add_f32 v[22:23], v[22:23], v[24:25] neg_lo:[0,1] neg_hi:[0,1]
	global_store_short_d16_hi v[30:31], v18, off offset:96
	global_store_short_d16_hi v[30:31], v19, off offset:352
	;; [unrolled: 1-line block ×4, first 2 shown]
	v_pk_mul_f32 v[18:19], v[26:27], v[18:19]
	v_pk_mul_f32 v[22:23], v[28:29], v[22:23]
	v_mov_b32_e32 v24, 0
	v_perm_b32 v23, v23, v22, s39
	v_perm_b32 v22, v19, v18, s39
	ds_write2_b64 v111, v[20:21], v[22:23] offset0:32 offset1:48
	v_mov_b32_e32 v18, 0
	v_mov_b32_e32 v19, 0
	;; [unrolled: 1-line block ×13, first 2 shown]
	s_cbranch_vccnz .LBB89_14
; %bb.13:                               ;   in Loop: Header=BB89_6 Depth=1
	s_and_b32 s29, s29, 0xffff
	s_mov_b32 s31, s7
	buffer_load_dwordx4 v[30:33], v144, s[28:31], 0 offen
	buffer_load_dwordx4 v[22:25], v144, s[28:31], s67 offen
	;; [unrolled: 1-line block ×4, first 2 shown]
	v_mov_b32_e32 v158, v105
	v_mov_b32_e32 v159, v104
.LBB89_14:                              ;   in Loop: Header=BB89_6 Depth=1
	s_waitcnt lgkmcnt(0)
	s_barrier
	ds_read_b64 v[42:43], v147
	ds_read2_b64 v[34:37], v140 offset1:16
	ds_read_b64 v[176:177], v148
	ds_read_b64 v[178:179], v149
	;; [unrolled: 1-line block ×3, first 2 shown]
	ds_read2_b64 v[38:41], v140 offset0:32 offset1:48
	ds_read2st64_b64 v[160:163], v140 offset0:4 offset1:8
	ds_read2st64_b64 v[164:167], v141 offset0:4 offset1:8
	ds_read2st64_b64 v[168:171], v142 offset0:4 offset1:8
	ds_read2st64_b64 v[172:175], v143 offset0:4 offset1:8
	s_waitcnt lgkmcnt(8)
	v_mfma_f32_16x16x16_bf16 a[0:3], v[42:43], v[34:35], 0
	s_add_i32 s4, s62, s74
	s_mul_hi_i32 s5, s4, s25
	s_mul_i32 s4, s4, s25
	v_mfma_f32_16x16x16_bf16 a[4:7], v[42:43], v[36:37], 0
	s_add_u32 s4, s4, s33
	s_addc_u32 s5, s5, s50
	s_add_i32 s28, s3, s68
	s_waitcnt lgkmcnt(4)
	v_mfma_f32_16x16x16_bf16 a[8:11], v[42:43], v[38:39], 0
	s_lshl_b64 s[4:5], s[4:5], 15
	s_mul_hi_i32 s29, s28, s25
	s_mul_i32 s28, s28, s25
	v_mfma_f32_16x16x16_bf16 a[12:15], v[42:43], v[40:41], 0
	ds_read_b64 v[42:43], v140 offset:6144
	ds_read_b64 v[188:189], v141 offset:6144
	;; [unrolled: 1-line block ×4, first 2 shown]
	s_add_u32 s28, s28, s33
	s_waitcnt lgkmcnt(7)
	v_mfma_f32_16x16x16_bf16 a[0:3], v[176:177], v[160:161], a[0:3]
	s_addc_u32 s29, s29, s50
	s_lshl_b64 s[28:29], s[28:29], 9
	s_add_u32 s28, s8, s28
	s_waitcnt lgkmcnt(6)
	v_mfma_f32_16x16x16_bf16 a[4:7], v[176:177], v[164:165], a[4:7]
	s_addc_u32 s29, s9, s29
	v_lshl_add_u64 v[198:199], v[96:97], 0, s[4:5]
	s_waitcnt lgkmcnt(5)
	v_mfma_f32_16x16x16_bf16 a[8:11], v[176:177], v[168:169], a[8:11]
	s_waitcnt lgkmcnt(4)
	v_mfma_f32_16x16x16_bf16 a[12:15], v[176:177], v[172:173], a[12:15]
	ds_read_b64 v[176:177], v152
	ds_read_b64 v[186:187], v153
	;; [unrolled: 1-line block ×3, first 2 shown]
	s_waitcnt lgkmcnt(2)
	v_mfma_f32_16x16x16_bf16 a[16:19], v[176:177], v[34:35], 0
	v_mfma_f32_16x16x16_bf16 a[20:23], v[176:177], v[36:37], 0
	global_load_dwordx4 v[34:37], v151, s[28:29]
	v_mfma_f32_16x16x16_bf16 a[24:27], v[176:177], v[38:39], 0
	v_mfma_f32_16x16x16_bf16 a[28:31], v[176:177], v[40:41], 0
	global_load_dwordx4 v[38:41], v89, s[28:29]
	v_mfma_f32_16x16x16_bf16 a[0:3], v[178:179], v[162:163], a[0:3]
	v_mfma_f32_16x16x16_bf16 a[4:7], v[178:179], v[166:167], a[4:7]
	;; [unrolled: 1-line block ×8, first 2 shown]
	ds_read2st64_b64 v[176:179], v138 offset1:8
	ds_read2st64_b64 v[180:183], v139 offset1:8
	ds_read_b64 v[196:197], v146 offset:40960
	s_waitcnt lgkmcnt(2)
	v_mov_b32_e32 v184, v176
	v_mfma_f32_16x16x16_bf16 a[16:19], v[186:187], v[160:161], a[16:19]
	v_mov_b32_e32 v185, v177
	v_mfma_f32_16x16x16_bf16 a[20:23], v[186:187], v[164:165], a[20:23]
	v_mfma_f32_16x16x16_bf16 a[24:27], v[186:187], v[168:169], a[24:27]
	v_mfma_f32_16x16x16_bf16 a[28:31], v[186:187], v[172:173], a[28:31]
	v_add_co_u32_e32 v172, vcc, s41, v198
	s_waitcnt lgkmcnt(1)
	v_mov_b32_e32 v186, v180
	s_waitcnt lgkmcnt(0)
	v_mfma_f32_16x16x16_bf16 a[16:19], v[196:197], v[162:163], a[16:19]
	ds_read2st64_b64 v[160:163], v138 offset0:16 offset1:24
	v_addc_co_u32_e32 v173, vcc, 0, v199, vcc
	v_mfma_f32_16x16x16_bf16 a[20:23], v[196:197], v[166:167], a[20:23]
	ds_read2st64_b64 v[164:167], v139 offset0:16 offset1:24
	v_mov_b32_e32 v187, v181
	v_mov_b32_e32 v180, v178
	v_mfma_f32_16x16x16_bf16 a[32:35], v[196:197], v[170:171], a[24:27]
	v_mov_b32_e32 v181, v179
	s_waitcnt lgkmcnt(0)
	v_mov_b32_e32 v170, v164
	v_mov_b32_e32 v171, v165
	v_mfma_f32_16x16x16_bf16 a[36:39], v[196:197], v[174:175], a[28:31]
	v_mov_b32_e32 v164, v162
	v_mov_b32_e32 v165, v163
	;; [unrolled: 1-line block ×3, first 2 shown]
	v_mfma_f32_16x16x16_bf16 a[24:27], v[194:195], v[42:43], a[16:19]
	v_add_co_u32_e32 v42, vcc, s72, v198
	v_mov_b32_e32 v169, v161
	v_mfma_f32_16x16x16_bf16 a[28:31], v[194:195], v[188:189], a[20:23]
	v_addc_co_u32_e32 v43, vcc, 0, v199, vcc
	global_store_dwordx4 v[42:43], v[164:167], off
	v_mfma_f32_16x16x16_bf16 a[16:19], v[194:195], v[190:191], a[32:35]
	s_waitcnt vmcnt(2)
	v_mov_b32_e32 v44, v37
	v_mov_b32_e32 v43, v36
	;; [unrolled: 1-line block ×3, first 2 shown]
	v_mfma_f32_16x16x16_bf16 a[20:23], v[194:195], v[192:193], a[36:39]
	s_and_b64 vcc, exec, s[0:1]
	global_store_dwordx4 v[198:199], v[184:187], off
	global_store_dwordx4 v[172:173], v[180:183], off offset:-4096
	global_store_dwordx4 v[172:173], v[168:171], off
	s_cbranch_vccnz .LBB89_16
; %bb.15:                               ;   in Loop: Header=BB89_6 Depth=1
	v_lshrrev_b32_e32 v35, 3, v158
	v_and_b32_e32 v35, 6, v35
	v_xor_b32_e32 v36, v35, v159
	v_lshlrev_b32_e32 v36, 2, v36
	v_and_b32_e32 v37, 8, v158
	v_xor_b32_e32 v158, 0x440, v36
	v_cmp_eq_u32_e32 vcc, 0, v37
	v_perm_b32 v37, v22, v18, s69
	s_nop 0
	v_cndmask_b32_e32 v36, v158, v36, vcc
	v_lshl_or_b32 v35, v35, 10, v36
	v_perm_b32 v36, v30, v26, s69
	s_barrier
	ds_write2st64_b32 v35, v36, v37 offset0:128 offset1:160
	v_xor_b32_e32 v36, 8, v35
	v_perm_b32 v26, v30, v26, s70
	v_perm_b32 v18, v22, v18, s70
	v_add_u32_e32 v22, 0x80, v36
	ds_write2st64_b32 v22, v26, v18 offset0:128 offset1:160
	v_xor_b32_e32 v18, 16, v35
	v_perm_b32 v22, v31, v27, s69
	v_perm_b32 v26, v23, v19, s69
	ds_write2st64_b32 v18, v22, v26 offset0:129 offset1:161
	v_xor_b32_e32 v18, 24, v35
	v_perm_b32 v22, v31, v27, s70
	v_perm_b32 v19, v23, v19, s70
	v_add_u32_e32 v18, 0x80, v18
	ds_write2st64_b32 v18, v22, v19 offset0:129 offset1:161
	v_xor_b32_e32 v18, 32, v35
	v_perm_b32 v19, v32, v28, s69
	v_perm_b32 v22, v24, v20, s69
	ds_write2st64_b32 v18, v19, v22 offset0:130 offset1:162
	v_xor_b32_e32 v18, 40, v35
	v_perm_b32 v19, v32, v28, s70
	v_perm_b32 v20, v24, v20, s70
	v_add_u32_e32 v18, 0x80, v18
	ds_write2st64_b32 v18, v19, v20 offset0:130 offset1:162
	v_xor_b32_e32 v18, 48, v35
	v_perm_b32 v19, v33, v29, s69
	v_perm_b32 v20, v25, v21, s69
	ds_write2st64_b32 v18, v19, v20 offset0:131 offset1:163
	v_xor_b32_e32 v18, 56, v35
	v_perm_b32 v19, v33, v29, s70
	v_perm_b32 v20, v25, v21, s70
	v_add_u32_e32 v18, 0x80, v18
	ds_write2st64_b32 v18, v19, v20 offset0:131 offset1:163
	ds_write_b64 v157, v[14:15] offset:49152
	v_xor_b32_e32 v14, 8, v157
	ds_write_b64 v14, v[16:17] offset:49152
	ds_write_b64 v157, v[10:11] offset:57344
	;; [unrolled: 1-line block ×4, first 2 shown]
	v_xor_b32_e32 v6, 8, v156
	ds_write_b64 v6, v[8:9] offset:49152
	ds_write_b64 v156, v[2:3] offset:57344
	;; [unrolled: 1-line block ×3, first 2 shown]
.LBB89_16:                              ;   in Loop: Header=BB89_6 Depth=1
	v_mul_f32_e32 v26, s48, v155
	v_exp_f32_e32 v36, v26
	s_waitcnt vmcnt(4)
	v_mul_f32_e32 v26, 0x3fb8aa3b, v38
	v_exp_f32_e32 v38, v26
	v_mul_f32_e32 v26, 0x3fb8aa3b, v39
	v_exp_f32_e32 v39, v26
	;; [unrolled: 2-line block ×4, first 2 shown]
	v_accvgpr_read_b32 v5, a3
	v_accvgpr_read_b32 v4, a2
	;; [unrolled: 1-line block ×4, first 2 shown]
	v_pk_mul_f32 v[38:39], v[36:37], v[38:39] op_sel_hi:[0,1]
	v_pk_mul_f32 v[40:41], v[36:37], v[40:41] op_sel_hi:[0,1]
	v_pk_fma_f32 v[82:83], v[82:83], v[38:39], v[2:3]
	v_pk_fma_f32 v[86:87], v[86:87], v[40:41], v[4:5]
	v_mul_f32_e32 v2, 0x3fb8aa3b, v34
	v_mul_f32_e32 v3, 0x3fb8aa3b, v42
	;; [unrolled: 1-line block ×4, first 2 shown]
	v_exp_f32_e32 v2, v2
	v_exp_f32_e32 v3, v3
	;; [unrolled: 1-line block ×4, first 2 shown]
	v_accvgpr_read_b32 v9, a7
	v_accvgpr_read_b32 v13, a11
	;; [unrolled: 1-line block ×28, first 2 shown]
	v_pk_mul_f32 v[2:3], v[36:37], v[2:3] op_sel_hi:[0,1]
	v_pk_mul_f32 v[4:5], v[36:37], v[4:5] op_sel_hi:[0,1]
	s_add_i32 s68, s68, 64
	v_pk_fma_f32 v[74:75], v[38:39], v[74:75], v[6:7]
	v_pk_fma_f32 v[78:79], v[40:41], v[78:79], v[8:9]
	;; [unrolled: 1-line block ×13, first 2 shown]
	s_cmp_eq_u32 s59, s73
	v_pk_fma_f32 v[60:61], v[4:5], v[60:61], v[32:33]
	s_cbranch_scc1 .LBB89_18
; %bb.17:                               ;   in Loop: Header=BB89_6 Depth=1
	s_mov_b32 s74, s73
	s_branch .LBB89_6
.LBB89_18:
	s_lshl_b32 s45, s59, 6
	s_sub_i32 s48, s24, s45
	s_cmp_gt_i32 s48, 0
	s_cbranch_scc0 .LBB89_99
; %bb.19:
	s_ashr_i32 s3, s45, 31
	s_cmpk_lg_i32 s27, 0x80
	s_cselect_b64 s[30:31], -1, 0
	s_and_b64 vcc, exec, s[30:31]
	s_cbranch_vccz .LBB89_21
; %bb.20:
	s_mul_hi_i32 s0, s58, s24
	s_add_u32 s1, s51, s45
	s_addc_u32 s0, s0, s3
	s_mul_i32 s4, s1, s60
	s_mul_hi_u32 s5, s1, s26
	s_add_i32 s4, s5, s4
	s_mul_i32 s0, s0, s26
	s_add_i32 s4, s4, s0
	s_mul_i32 s1, s1, s26
	s_ashr_i32 s0, s61, 31
	s_add_u32 s46, s1, s61
	s_addc_u32 s47, s4, s0
	s_cbranch_execz .LBB89_22
	s_branch .LBB89_23
.LBB89_21:
                                        ; implicit-def: $sgpr46_sgpr47
.LBB89_22:
	s_mul_hi_i32 s0, s58, s26
	s_mul_i32 s58, s58, s26
	s_ashr_i32 s1, s61, 31
	s_add_u32 s4, s58, s61
	s_addc_u32 s0, s0, s1
	s_mul_i32 s1, s4, s57
	s_mul_hi_u32 s5, s4, s24
	s_add_i32 s1, s5, s1
	s_mul_i32 s0, s0, s24
	s_add_i32 s1, s1, s0
	s_mul_i32 s4, s4, s24
	s_add_u32 s46, s4, s45
	s_addc_u32 s47, s1, s3
.LBB89_23:
	s_mul_i32 s0, s42, s57
	s_add_i32 s0, s64, s0
	s_add_i32 s4, s62, s59
	;; [unrolled: 1-line block ×3, first 2 shown]
	s_add_u32 s0, s44, s45
	v_lshlrev_b32_e32 v6, 6, v102
	v_lshlrev_b32_e32 v25, 2, v99
	s_addc_u32 s1, s1, s3
	s_mov_b32 s3, 0x7060302
	v_or_b32_e32 v9, v6, v25
	v_xor_b32_e32 v7, v102, v25
	v_perm_b32 v3, v87, v86, s3
	v_perm_b32 v2, v83, v82, s3
	;; [unrolled: 1-line block ×4, first 2 shown]
	v_lshlrev_b32_e32 v9, 1, v9
	v_xor_b32_e32 v8, v103, v25
	ds_write2st64_b64 v9, v[2:3], v[4:5] offset0:32 offset1:48
	v_lshlrev_b32_e32 v7, 1, v7
	v_lshlrev_b32_e32 v9, 8, v99
	v_or_b32_e32 v10, v7, v9
	v_lshlrev_b32_e32 v8, 1, v8
	ds_write_b64 v10, v[2:3]
	v_or_b32_e32 v2, v8, v9
	v_or_b32_e32 v9, 16, v99
	v_lshlrev_b32_e32 v23, 2, v9
	v_or_b32_e32 v10, v6, v23
	ds_write_b64 v2, v[4:5]
	v_perm_b32 v3, v79, v78, s3
	v_perm_b32 v2, v75, v74, s3
	;; [unrolled: 1-line block ×4, first 2 shown]
	v_lshlrev_b32_e32 v10, 1, v10
	v_lshlrev_b32_e32 v9, 8, v9
	ds_write2st64_b64 v10, v[2:3], v[4:5] offset0:32 offset1:48
	v_or_b32_e32 v10, v7, v9
	ds_write_b64 v10, v[2:3]
	v_or_b32_e32 v2, v8, v9
	v_or_b32_e32 v9, 32, v99
	v_lshlrev_b32_e32 v22, 2, v9
	v_or_b32_e32 v10, v6, v22
	ds_write_b64 v2, v[4:5]
	v_perm_b32 v3, v71, v70, s3
	v_perm_b32 v2, v67, v66, s3
	;; [unrolled: 1-line block ×4, first 2 shown]
	v_lshlrev_b32_e32 v10, 1, v10
	v_lshlrev_b32_e32 v9, 8, v9
	s_lshl_b64 s[28:29], s[0:1], 8
	ds_write2st64_b64 v10, v[2:3], v[4:5] offset0:32 offset1:48
	v_or_b32_e32 v10, v7, v9
	s_add_u32 s0, s18, s28
	ds_write_b64 v10, v[2:3]
	v_or_b32_e32 v2, v8, v9
	s_addc_u32 s1, s19, s29
	ds_write_b64 v2, v[4:5]
	v_perm_b32 v3, v63, v62, s3
	v_perm_b32 v2, v59, v58, s3
	;; [unrolled: 1-line block ×4, first 2 shown]
	v_or_b32_e32 v9, 48, v99
	s_mul_hi_i32 s3, s4, s25
	s_mul_i32 s4, s4, s25
	v_lshlrev_b32_e32 v19, 2, v9
	s_add_u32 s4, s4, s33
	v_or_b32_e32 v6, v6, v19
	s_addc_u32 s5, s3, s50
	v_lshlrev_b32_e32 v6, 1, v6
	s_ashr_i32 s3, s2, 31
	s_lshl_b64 s[4:5], s[4:5], 15
	ds_write2st64_b64 v6, v[2:3], v[4:5] offset0:32 offset1:48
	v_lshlrev_b32_e32 v6, 8, v9
	s_add_u32 s4, s12, s4
	v_or_b32_e32 v7, v7, v6
	s_addc_u32 s5, s13, s5
	s_lshl_b64 s[2:3], s[2:3], 8
	ds_write_b64 v7, v[2:3]
	v_or_b32_e32 v2, v8, v6
	s_add_u32 s2, s4, s2
	v_lshlrev_b32_e32 v3, 1, v99
	ds_write_b64 v2, v[4:5]
	v_lshrrev_b32_e32 v2, 4, v0
	s_addc_u32 s3, s5, s3
	v_or_b32_e32 v4, 1, v3
	v_lshlrev_b32_e32 v10, 4, v99
	v_mov_b32_e32 v11, 0
	v_xor_b32_e32 v3, v2, v3
	v_xor_b32_e32 v6, v4, v2
	v_lshl_add_u64 v[12:13], s[2:3], 0, v[10:11]
	v_lshlrev_b32_e32 v10, 8, v2
	v_lshl_or_b32 v16, v3, 3, v10
	v_lshl_or_b32 v17, v6, 3, v10
	s_waitcnt lgkmcnt(0)
	s_barrier
	ds_read2st64_b64 v[2:5], v16 offset1:8
	ds_read2st64_b64 v[6:9], v17 offset1:8
	v_lshl_add_u64 v[14:15], v[12:13], 0, v[10:11]
	s_movk_i32 s2, 0x2000
	s_cmp_lg_u32 s48, 64
	s_waitcnt lgkmcnt(1)
	v_mov_b32_e32 v10, v2
	v_mov_b32_e32 v11, v3
	s_waitcnt lgkmcnt(0)
	v_mov_b32_e32 v12, v6
	v_mov_b32_e32 v13, v7
	global_store_dwordx4 v[14:15], v[10:13], off
	v_mov_b32_e32 v6, v4
	v_mov_b32_e32 v7, v5
	ds_read2st64_b64 v[2:5], v16 offset0:16 offset1:24
	ds_read2st64_b64 v[10:13], v17 offset0:16 offset1:24
	v_add_co_u32_e32 v16, vcc, s2, v14
	s_cselect_b64 s[18:19], -1, 0
	s_nop 0
	v_addc_co_u32_e32 v17, vcc, 0, v15, vcc
	global_store_dwordx4 v[16:17], v[6:9], off offset:-4096
	v_lshl_or_b32 v30, v1, 3, v101
	s_mov_b32 s4, 0
	s_waitcnt lgkmcnt(1)
	v_mov_b32_e32 v6, v2
	v_add_co_u32_e32 v2, vcc, 0x3000, v14
	v_mov_b32_e32 v7, v3
	s_nop 0
	v_addc_co_u32_e32 v3, vcc, 0, v15, vcc
	s_waitcnt lgkmcnt(0)
	v_mov_b32_e32 v8, v10
	v_mov_b32_e32 v9, v11
	;; [unrolled: 1-line block ×4, first 2 shown]
	v_or_b32_e32 v20, 32, v30
	v_and_b32_e32 v18, 56, v100
	s_and_b64 vcc, exec, s[18:19]
	global_store_dwordx4 v[16:17], v[6:9], off
	global_store_dwordx4 v[2:3], v[10:13], off
	s_cbranch_vccz .LBB89_29
; %bb.24:
	s_mov_b32 s6, s4
	s_mov_b32 s7, s4
	;; [unrolled: 1-line block ×3, first 2 shown]
	v_mov_b64_e32 v[8:9], s[6:7]
	v_mov_b64_e32 v[6:7], s[4:5]
	;; [unrolled: 1-line block ×3, first 2 shown]
	v_cmp_gt_i32_e32 vcc, s48, v30
	v_mov_b64_e32 v[4:5], v[8:9]
	s_and_saveexec_b64 s[2:3], vcc
	s_cbranch_execz .LBB89_26
; %bb.25:
	v_lshlrev_b32_e32 v2, 8, v30
	v_mov_b32_e32 v3, 0
	v_lshl_add_u64 v[4:5], s[0:1], 0, v[2:3]
	v_lshlrev_b32_e32 v2, 1, v18
	v_lshl_add_u64 v[10:11], v[4:5], 0, v[2:3]
	global_load_dwordx4 v[6:9], v[10:11], off
	global_load_dwordx4 v[2:5], v[10:11], off offset:128
.LBB89_26:
	s_or_b64 exec, exec, s[2:3]
	s_mov_b32 s6, s4
	s_mov_b32 s7, s4
	;; [unrolled: 1-line block ×3, first 2 shown]
	v_mov_b64_e32 v[16:17], s[6:7]
	v_mov_b64_e32 v[14:15], s[4:5]
	;; [unrolled: 1-line block ×3, first 2 shown]
	v_cmp_gt_i32_e32 vcc, s48, v20
	v_lshlrev_b32_e32 v21, 7, v20
	v_mov_b64_e32 v[12:13], v[16:17]
	s_and_saveexec_b64 s[2:3], vcc
	s_cbranch_execz .LBB89_28
; %bb.27:
	v_lshlrev_b32_e32 v10, 1, v21
	v_mov_b32_e32 v11, 0
	v_lshl_add_u64 v[12:13], s[0:1], 0, v[10:11]
	v_lshlrev_b32_e32 v10, 1, v18
	v_lshl_add_u64 v[26:27], v[12:13], 0, v[10:11]
	global_load_dwordx4 v[14:17], v[26:27], off
	global_load_dwordx4 v[10:13], v[26:27], off offset:128
.LBB89_28:
	s_or_b64 exec, exec, s[2:3]
	v_lshrrev_b32_e32 v24, 3, v18
	v_lshlrev_b32_e32 v26, 3, v30
	v_or_b32_e32 v24, v26, v24
	v_lshlrev_b32_e32 v24, 4, v24
	v_and_b32_e32 v26, 0x78, v26
	v_xor_b32_e32 v24, v24, v26
	s_branch .LBB89_31
.LBB89_29:
                                        ; implicit-def: $vgpr24
                                        ; implicit-def: $vgpr21
                                        ; implicit-def: $vgpr6_vgpr7_vgpr8_vgpr9
                                        ; implicit-def: $vgpr2_vgpr3_vgpr4_vgpr5
                                        ; implicit-def: $vgpr14_vgpr15_vgpr16_vgpr17
                                        ; implicit-def: $vgpr10_vgpr11_vgpr12_vgpr13
	s_cbranch_execz .LBB89_31
; %bb.30:
	s_waitcnt vmcnt(0)
	v_lshlrev_b32_e32 v2, 1, v18
	v_lshl_or_b32 v21, v30, 8, v2
	s_and_b32 s1, s1, 0xffff
	s_mov_b32 s3, 0x20000
	s_movk_i32 s2, 0x4000
	v_lshl_or_b32 v24, v20, 8, v2
	s_movk_i32 s4, 0x80
	buffer_load_dwordx4 v[6:9], v21, s[0:3], 0 offen
	buffer_load_dwordx4 v[2:5], v21, s[0:3], s4 offen
	;; [unrolled: 1-line block ×4, first 2 shown]
	v_lshrrev_b32_e32 v21, 3, v18
	v_lshlrev_b32_e32 v24, 3, v30
	v_or_b32_e32 v21, v24, v21
	v_lshlrev_b32_e32 v21, 4, v21
	v_and_b32_e32 v24, 0x78, v24
	v_xor_b32_e32 v24, v21, v24
	v_lshlrev_b32_e32 v21, 7, v20
.LBB89_31:
	s_movk_i32 s0, 0x1000
	v_and_or_b32 v20, v21, s0, v24
	s_waitcnt vmcnt(1)
	ds_write_b64 v24, v[6:7] offset:49152
	v_xor_b32_e32 v6, 8, v24
	ds_write_b64 v6, v[8:9] offset:49152
	s_waitcnt vmcnt(0)
	ds_write_b64 v24, v[2:3] offset:57344
	ds_write_b64 v6, v[4:5] offset:57344
	;; [unrolled: 1-line block ×3, first 2 shown]
	v_xor_b32_e32 v2, 8, v20
	ds_write_b64 v2, v[16:17] offset:49152
	ds_write_b64 v20, v[10:11] offset:57344
	;; [unrolled: 1-line block ×3, first 2 shown]
	v_or_b32_e32 v2, v45, v99
	v_lshlrev_b32_e32 v2, 3, v2
	v_lshrrev_b32_e32 v3, 5, v47
	s_movk_i32 s0, 0xf8
	v_and_or_b32 v3, v2, s0, v3
	v_lshlrev_b32_e32 v7, 4, v3
	v_lshlrev_b32_e32 v24, 11, v1
	v_and_b32_e32 v8, 0x78, v2
	v_or_b32_e32 v10, 32, v7
	v_and_b32_e32 v6, 0x1000, v24
	v_lshrrev_b32_e32 v3, 1, v47
	v_xor_b32_e32 v10, v10, v8
	v_xor_b32_e32 v2, v7, v8
	v_and_b32_e32 v9, 8, v3
	v_or_b32_e32 v10, v10, v6
	v_or_b32_e32 v2, v2, v6
	v_xor_b32_e32 v32, v10, v9
	v_or_b32_e32 v10, 64, v7
	v_xor_b32_e32 v31, v2, v9
	v_xor_b32_e32 v10, v10, v8
	s_waitcnt lgkmcnt(0)
	s_barrier
	v_or_b32_e32 v13, v10, v6
	ds_read_b64 v[10:11], v31 offset:49152
	v_lshl_or_b32 v14, v98, 8, v25
	v_lshlrev_b32_e32 v26, 1, v14
	v_add_u32_e32 v12, 0x4000, v26
	ds_read2_b64 v[2:5], v12 offset1:16
	v_or_b32_e32 v7, 0x60, v7
	v_xor_b32_e32 v7, v7, v8
	v_or_b32_e32 v6, v7, v6
	v_xor_b32_e32 v33, v13, v9
	v_xor_b32_e32 v34, v6, v9
	ds_read_b64 v[20:21], v32 offset:49152
	ds_read_b64 v[36:37], v33 offset:49152
	;; [unrolled: 1-line block ×3, first 2 shown]
	s_waitcnt lgkmcnt(3)
	v_mfma_f32_16x16x16_bf16 a[0:3], v[10:11], v[2:3], 0
	ds_read2st64_b64 v[6:9], v26 offset0:36 offset1:40
	s_lshl_b64 s[0:1], s[46:47], 8
	s_add_u32 s4, s16, s0
	v_mfma_f32_16x16x16_bf16 a[4:7], v[10:11], v[4:5], 0
	ds_read2_b64 v[2:5], v12 offset0:32 offset1:48
	s_addc_u32 s5, s17, s1
	s_add_i32 s0, s53, s43
	s_waitcnt lgkmcnt(0)
	v_mfma_f32_16x16x16_bf16 a[8:11], v[10:11], v[2:3], 0
	v_or_b32_e32 v2, 64, v14
	v_lshlrev_b32_e32 v27, 1, v2
	s_add_i32 s17, s24, -1
	v_mfma_f32_16x16x16_bf16 a[12:15], v[10:11], v[4:5], 0
	ds_read2st64_b64 v[2:5], v27 offset0:36 offset1:40
	s_add_i32 s41, s0, s52
	s_add_i32 s0, s55, s54
	v_mfma_f32_16x16x16_bf16 a[0:3], v[20:21], v[6:7], a[0:3]
	v_or_b32_e32 v6, 0x80, v14
	v_lshlrev_b32_e32 v28, 1, v6
	ds_read2st64_b64 v[10:13], v28 offset0:36 offset1:40
	s_waitcnt lgkmcnt(1)
	v_mfma_f32_16x16x16_bf16 a[4:7], v[20:21], v[2:3], a[4:7]
	v_or_b32_e32 v2, 0xc0, v14
	v_lshlrev_b32_e32 v29, 1, v2
	ds_read2st64_b64 v[14:17], v29 offset0:36 offset1:40
	s_add_i32 s39, s0, s56
	s_ashr_i32 s0, s17, 31
	s_mul_i32 s1, s17, s37
	s_mul_hi_u32 s2, s17, s36
	s_add_i32 s1, s2, s1
	s_mul_i32 s0, s0, s36
	s_waitcnt lgkmcnt(1)
	v_mfma_f32_16x16x16_bf16 a[8:11], v[20:21], v[10:11], a[8:11]
	s_add_i32 s1, s1, s0
	s_lshl_b64 s[2:3], s[40:41], 2
	s_add_u32 s6, s22, s2
	s_waitcnt lgkmcnt(0)
	v_mfma_f32_16x16x16_bf16 a[12:15], v[20:21], v[14:15], a[12:15]
	s_addc_u32 s7, s23, s3
	s_lshl_b64 s[2:3], s[38:39], 2
	s_mul_i32 s0, s17, s36
	v_mfma_f32_16x16x16_bf16 a[0:3], v[36:37], v[8:9], a[0:3]
	ds_read_b64 v[2:3], v26 offset:22528
	s_add_u32 s12, s6, s2
	s_addc_u32 s13, s7, s3
	v_mfma_f32_16x16x16_bf16 a[4:7], v[36:37], v[4:5], a[4:7]
	ds_read_b64 v[4:5], v27 offset:22528
	ds_read_b64 v[6:7], v28 offset:22528
	;; [unrolled: 1-line block ×3, first 2 shown]
	s_lshl_b64 s[0:1], s[0:1], 2
	s_add_u32 s0, s12, s0
	v_mfma_f32_16x16x16_bf16 a[8:11], v[36:37], v[12:13], a[8:11]
	s_addc_u32 s1, s13, s1
	s_load_dword s16, s[0:1], 0x0
	s_and_b64 vcc, exec, s[30:31]
	v_mfma_f32_16x16x16_bf16 a[12:15], v[36:37], v[16:17], a[12:15]
	s_waitcnt lgkmcnt(0)
	v_mfma_f32_16x16x16_bf16 a[0:3], v[38:39], v[2:3], a[0:3]
	v_mfma_f32_16x16x16_bf16 a[4:7], v[38:39], v[4:5], a[4:7]
	;; [unrolled: 1-line block ×4, first 2 shown]
	s_cbranch_vccz .LBB89_42
; %bb.32:
	v_lshlrev_b32_e32 v20, 1, v30
	s_and_b64 vcc, exec, s[18:19]
	s_cbranch_vccz .LBB89_43
; %bb.33:
	v_cmp_gt_i32_e32 vcc, s48, v20
	v_mov_b32_e32 v6, 0
	v_mov_b32_e32 v2, 0
	v_mov_b32_e32 v3, 0
	v_mov_b32_e32 v4, 0
	v_mov_b32_e32 v5, 0
	s_and_saveexec_b64 s[0:1], vcc
	s_cbranch_execz .LBB89_35
; %bb.34:
	v_mad_i64_i32 v[2:3], s[2:3], s27, v20, 0
	v_lshl_add_u64 v[2:3], v[2:3], 1, s[4:5]
	v_lshlrev_b32_e32 v4, 1, v18
	v_mov_b32_e32 v5, 0
	v_lshl_add_u64 v[2:3], v[2:3], 0, v[4:5]
	global_load_dwordx4 v[2:5], v[2:3], off
.LBB89_35:
	s_or_b64 exec, exec, s[0:1]
	v_or_b32_e32 v21, 1, v20
	v_cmp_gt_i32_e64 s[0:1], s48, v21
	v_mov_b32_e32 v7, 0
	v_mov_b32_e32 v8, 0
	;; [unrolled: 1-line block ×3, first 2 shown]
	s_and_saveexec_b64 s[2:3], s[0:1]
	s_cbranch_execz .LBB89_37
; %bb.36:
	v_mad_i64_i32 v[6:7], s[6:7], s27, v21, 0
	v_lshl_add_u64 v[6:7], v[6:7], 1, s[4:5]
	v_lshlrev_b32_e32 v8, 1, v18
	v_mov_b32_e32 v9, 0
	v_lshl_add_u64 v[6:7], v[6:7], 0, v[8:9]
	global_load_dwordx4 v[6:9], v[6:7], off
.LBB89_37:
	s_or_b64 exec, exec, s[2:3]
	v_mov_b32_e32 v17, 0
	v_mov_b32_e32 v10, 0
	;; [unrolled: 1-line block ×5, first 2 shown]
	s_and_saveexec_b64 s[2:3], vcc
	s_cbranch_execz .LBB89_39
; %bb.38:
	v_mad_i64_i32 v[10:11], s[6:7], s27, v20, 0
	v_lshl_add_u64 v[10:11], v[10:11], 1, s[4:5]
	v_lshlrev_b32_e32 v12, 1, v18
	v_mov_b32_e32 v13, 0
	v_lshl_add_u64 v[10:11], v[10:11], 0, v[12:13]
	global_load_dwordx4 v[10:13], v[10:11], off offset:128
.LBB89_39:
	s_or_b64 exec, exec, s[2:3]
	v_mov_b32_e32 v16, 0
	v_mov_b32_e32 v15, 0
	;; [unrolled: 1-line block ×3, first 2 shown]
	s_and_saveexec_b64 s[2:3], s[0:1]
	s_cbranch_execz .LBB89_41
; %bb.40:
	v_mad_i64_i32 v[14:15], s[0:1], s27, v21, 0
	v_lshl_add_u64 v[14:15], v[14:15], 1, s[4:5]
	v_lshlrev_b32_e32 v16, 1, v18
	v_mov_b32_e32 v17, 0
	v_lshl_add_u64 v[14:15], v[14:15], 0, v[16:17]
	global_load_dwordx4 v[14:17], v[14:15], off offset:128
.LBB89_41:
	s_or_b64 exec, exec, s[2:3]
	s_branch .LBB89_45
.LBB89_42:
                                        ; implicit-def: $vgpr5
                                        ; implicit-def: $vgpr9
                                        ; implicit-def: $vgpr13
                                        ; implicit-def: $vgpr17
	v_lshrrev_b32_e32 v35, 2, v47
	s_branch .LBB89_46
.LBB89_43:
                                        ; implicit-def: $vgpr5
                                        ; implicit-def: $vgpr9
                                        ; implicit-def: $vgpr13
                                        ; implicit-def: $vgpr17
	s_cbranch_execz .LBB89_45
; %bb.44:
	s_waitcnt vmcnt(0)
	v_mad_u64_u32 v[2:3], s[0:1], v20, s27, v[18:19]
	v_lshlrev_b32_e32 v20, 1, v2
	s_lshl_b32 s2, s27, 7
	s_and_b32 s1, s5, 0xffff
	s_mov_b32 s3, 0x20000
	s_mov_b32 s0, s4
	v_add_lshl_u32 v21, v2, s27, 1
	s_movk_i32 s6, 0x80
	buffer_load_dwordx4 v[2:5], v20, s[0:3], 0 offen
	buffer_load_dwordx4 v[10:13], v20, s[0:3], s6 offen
	;; [unrolled: 1-line block ×4, first 2 shown]
.LBB89_45:
	v_lshrrev_b32_e32 v35, 2, v47
	s_cbranch_execnz .LBB89_58
.LBB89_46:
	s_and_b64 vcc, exec, s[18:19]
	s_cbranch_vccz .LBB89_56
; %bb.47:
	s_waitcnt vmcnt(0)
	v_lshlrev_b32_e32 v7, 1, v30
	v_cmp_gt_i32_e32 vcc, s48, v7
	v_mov_b32_e32 v6, 0
	v_lshlrev_b32_e32 v14, 9, v30
	v_mov_b32_e32 v2, 0
	v_mov_b32_e32 v3, 0
	;; [unrolled: 1-line block ×4, first 2 shown]
	s_and_saveexec_b64 s[0:1], vcc
	s_cbranch_execz .LBB89_49
; %bb.48:
	v_mov_b32_e32 v15, 0
	v_lshl_add_u64 v[2:3], s[4:5], 0, v[14:15]
	v_lshlrev_b32_e32 v4, 1, v18
	v_mov_b32_e32 v5, v15
	v_lshl_add_u64 v[2:3], v[2:3], 0, v[4:5]
	global_load_dwordx4 v[2:5], v[2:3], off
.LBB89_49:
	s_or_b64 exec, exec, s[0:1]
	v_or_b32_e32 v7, 1, v7
	v_cmp_gt_i32_e64 s[0:1], s48, v7
	v_lshlrev_b32_e32 v20, 8, v7
	v_mov_b32_e32 v7, 0
	v_mov_b32_e32 v8, 0
	;; [unrolled: 1-line block ×3, first 2 shown]
	s_and_saveexec_b64 s[2:3], s[0:1]
	s_cbranch_execz .LBB89_51
; %bb.50:
	v_mov_b32_e32 v21, 0
	v_lshl_add_u64 v[6:7], s[4:5], 0, v[20:21]
	v_lshlrev_b32_e32 v8, 1, v18
	v_mov_b32_e32 v9, v21
	v_lshl_add_u64 v[6:7], v[6:7], 0, v[8:9]
	global_load_dwordx4 v[6:9], v[6:7], off
.LBB89_51:
	s_or_b64 exec, exec, s[2:3]
	v_mov_b32_e32 v17, 0
	v_mov_b32_e32 v10, 0
	;; [unrolled: 1-line block ×5, first 2 shown]
	s_and_saveexec_b64 s[2:3], vcc
	s_cbranch_execz .LBB89_53
; %bb.52:
	v_mov_b32_e32 v15, 0
	v_lshl_add_u64 v[10:11], s[4:5], 0, v[14:15]
	v_lshlrev_b32_e32 v14, 1, v18
	v_lshl_add_u64 v[10:11], v[10:11], 0, v[14:15]
	global_load_dwordx4 v[10:13], v[10:11], off offset:128
.LBB89_53:
	s_or_b64 exec, exec, s[2:3]
	v_mov_b32_e32 v16, 0
	v_mov_b32_e32 v15, 0
	;; [unrolled: 1-line block ×3, first 2 shown]
	s_and_saveexec_b64 s[2:3], s[0:1]
	s_cbranch_execz .LBB89_55
; %bb.54:
	v_mov_b32_e32 v21, 0
	v_lshl_add_u64 v[14:15], s[4:5], 0, v[20:21]
	v_lshlrev_b32_e32 v20, 1, v18
	v_lshl_add_u64 v[14:15], v[14:15], 0, v[20:21]
	global_load_dwordx4 v[14:17], v[14:15], off offset:128
.LBB89_55:
	s_or_b64 exec, exec, s[2:3]
	s_branch .LBB89_58
.LBB89_56:
                                        ; implicit-def: $vgpr5
                                        ; implicit-def: $vgpr9
                                        ; implicit-def: $vgpr13
                                        ; implicit-def: $vgpr17
	s_cbranch_execz .LBB89_58
; %bb.57:
	s_waitcnt vmcnt(0)
	v_lshlrev_b32_e32 v2, 1, v18
	v_lshl_or_b32 v18, v30, 9, v2
	s_and_b32 s5, s5, 0xffff
	s_mov_b32 s7, 0x20000
	s_movk_i32 s6, 0x4000
	s_movk_i32 s0, 0x80
	buffer_load_dwordx4 v[2:5], v18, s[4:7], 0 offen
	buffer_load_dwordx4 v[6:9], v18, s[4:7], 0 offen offset:256
	buffer_load_dwordx4 v[10:13], v18, s[4:7], s0 offen
	buffer_load_dwordx4 v[14:17], v18, s[4:7], s0 offen offset:256
.LBB89_58:
	ds_read_b64 v[20:21], v31 offset:57344
	v_add_u32_e32 v18, 0x6000, v26
	ds_read2_b64 v[36:39], v18 offset1:16
	ds_read_b64 v[94:95], v32 offset:57344
	ds_read_b64 v[96:97], v33 offset:57344
	;; [unrolled: 1-line block ×3, first 2 shown]
	v_and_b32_e32 v31, 6, v0
	v_xor_b32_e32 v30, v30, v31
	v_lshlrev_b32_e32 v30, 2, v30
	s_mov_b32 s0, 0x1000504
	s_mov_b32 s1, 0x3020706
	s_waitcnt lgkmcnt(3)
	v_mfma_f32_16x16x16_bf16 a[0:3], v[20:21], v[36:37], a[0:3]
	v_mfma_f32_16x16x16_bf16 a[4:7], v[20:21], v[38:39], a[4:7]
	ds_read2_b64 v[36:39], v18 offset0:32 offset1:48
	v_and_b32_e32 v18, 12, v35
	ds_read2st64_b64 v[32:35], v26 offset0:52 offset1:56
	s_waitcnt lgkmcnt(1)
	v_mfma_f32_16x16x16_bf16 a[8:11], v[20:21], v[36:37], a[8:11]
	v_mfma_f32_16x16x16_bf16 a[12:15], v[20:21], v[38:39], a[12:15]
	ds_read2st64_b64 v[36:39], v27 offset0:52 offset1:56
	ds_read2st64_b64 v[40:43], v28 offset0:52 offset1:56
	;; [unrolled: 1-line block ×3, first 2 shown]
	s_waitcnt lgkmcnt(3)
	v_mfma_f32_16x16x16_bf16 a[0:3], v[94:95], v[32:33], a[0:3]
	ds_read_b64 v[20:21], v26 offset:30720
	ds_read_b64 v[32:33], v27 offset:30720
	ds_read_b64 v[100:101], v28 offset:30720
	ds_read_b64 v[102:103], v29 offset:30720
	s_waitcnt lgkmcnt(6)
	v_mfma_f32_16x16x16_bf16 a[4:7], v[94:95], v[36:37], a[4:7]
	v_and_b32_e32 v36, 1, v0
	v_xor_b32_e32 v37, 0x440, v30
	v_cmp_eq_u32_e32 vcc, 0, v36
	s_waitcnt lgkmcnt(5)
	v_mfma_f32_16x16x16_bf16 a[8:11], v[94:95], v[40:41], a[8:11]
	v_cndmask_b32_e32 v30, v37, v30, vcc
	v_lshl_or_b32 v30, v31, 10, v30
	s_waitcnt lgkmcnt(4)
	v_mfma_f32_16x16x16_bf16 a[12:15], v[94:95], v[90:91], a[12:15]
	s_waitcnt vmcnt(0)
	v_perm_b32 v31, v2, v6, s0
	v_perm_b32 v2, v2, v6, s1
	;; [unrolled: 1-line block ×3, first 2 shown]
	v_mfma_f32_16x16x16_bf16 a[0:3], v[96:97], v[34:35], a[0:3]
	v_perm_b32 v34, v10, v14, s0
	ds_write2st64_b32 v30, v31, v34 offset0:128 offset1:160
	v_xor_b32_e32 v31, 8, v30
	v_add_u32_e32 v10, 0x80, v31
	ds_write2st64_b32 v10, v2, v6 offset0:128 offset1:160
	v_xor_b32_e32 v2, 16, v30
	v_perm_b32 v6, v3, v7, s0
	v_perm_b32 v10, v11, v15, s0
	v_mfma_f32_16x16x16_bf16 a[4:7], v[96:97], v[38:39], a[4:7]
	ds_write2st64_b32 v2, v6, v10 offset0:129 offset1:161
	v_xor_b32_e32 v2, 24, v30
	v_perm_b32 v3, v3, v7, s1
	v_mfma_f32_16x16x16_bf16 a[16:19], v[96:97], v[42:43], a[8:11]
	v_perm_b32 v6, v11, v15, s1
	v_add_u32_e32 v2, 0x80, v2
	ds_write2st64_b32 v2, v3, v6 offset0:129 offset1:161
	v_mfma_f32_16x16x16_bf16 a[20:23], v[96:97], v[92:93], a[12:15]
	v_xor_b32_e32 v2, 32, v30
	v_perm_b32 v3, v4, v8, s0
	v_perm_b32 v6, v12, v16, s0
	ds_write2st64_b32 v2, v3, v6 offset0:130 offset1:162
	v_xor_b32_e32 v2, 40, v30
	s_waitcnt lgkmcnt(8)
	v_mfma_f32_16x16x16_bf16 a[12:15], v[98:99], v[20:21], a[0:3]
	v_perm_b32 v3, v4, v8, s1
	v_perm_b32 v4, v12, v16, s1
	v_add_u32_e32 v2, 0x80, v2
	s_waitcnt lgkmcnt(7)
	v_mfma_f32_16x16x16_bf16 a[8:11], v[98:99], v[32:33], a[4:7]
	ds_write2st64_b32 v2, v3, v4 offset0:130 offset1:162
	v_xor_b32_e32 v2, 48, v30
	v_perm_b32 v3, v5, v9, s0
	s_waitcnt lgkmcnt(7)
	v_mfma_f32_16x16x16_bf16 a[4:7], v[98:99], v[100:101], a[16:19]
	v_perm_b32 v4, v13, v17, s0
	ds_write2st64_b32 v2, v3, v4 offset0:131 offset1:163
	v_xor_b32_e32 v2, 56, v30
	s_waitcnt lgkmcnt(7)
	v_mfma_f32_16x16x16_bf16 a[0:3], v[98:99], v[102:103], a[20:23]
	v_or_b32_e32 v20, v18, v45
	v_perm_b32 v3, v5, v9, s1
	v_perm_b32 v4, v13, v17, s1
	v_add_u32_e32 v2, 0x80, v2
	v_cmp_gt_i32_e32 vcc, s48, v20
	v_mov_b32_e32 v30, 0
	v_mov_b32_e32 v31, 0
	ds_write2st64_b32 v2, v3, v4 offset0:131 offset1:163
	s_and_saveexec_b64 s[0:1], vcc
	s_cbranch_execz .LBB89_60
; %bb.59:
	v_add_u32_e32 v2, s45, v20
	v_ashrrev_i32_e32 v3, 31, v2
	v_mul_lo_u32 v4, v3, s36
	v_mul_lo_u32 v5, v2, s37
	v_mad_u64_u32 v[2:3], s[2:3], v2, s36, 0
	v_add3_u32 v3, v3, v5, v4
	v_lshl_add_u64 v[2:3], v[2:3], 2, s[12:13]
	global_load_dword v2, v[2:3], off
	s_waitcnt vmcnt(0)
	v_sub_f32_e32 v2, s16, v2
	v_mul_f32_e32 v2, 0x3fb8aa3b, v2
	v_exp_f32_e32 v31, v2
.LBB89_60:
	s_or_b64 exec, exec, s[0:1]
	v_or_b32_e32 v11, 1, v20
	v_cmp_gt_i32_e64 s[2:3], s48, v11
	s_and_saveexec_b64 s[0:1], s[2:3]
	s_cbranch_execz .LBB89_62
; %bb.61:
	v_add_u32_e32 v2, s45, v11
	v_ashrrev_i32_e32 v3, 31, v2
	v_mul_lo_u32 v4, v3, s36
	v_mul_lo_u32 v5, v2, s37
	v_mad_u64_u32 v[2:3], s[4:5], v2, s36, 0
	v_add3_u32 v3, v3, v5, v4
	v_lshl_add_u64 v[2:3], v[2:3], 2, s[12:13]
	global_load_dword v2, v[2:3], off
	s_waitcnt vmcnt(0)
	v_sub_f32_e32 v2, s16, v2
	v_mul_f32_e32 v2, 0x3fb8aa3b, v2
	v_exp_f32_e32 v30, v2
.LBB89_62:
	s_or_b64 exec, exec, s[0:1]
	v_or_b32_e32 v10, 2, v20
	v_cmp_gt_i32_e64 s[4:5], s48, v10
	v_mov_b32_e32 v21, 0
	v_mov_b32_e32 v32, 0
	s_and_saveexec_b64 s[0:1], s[4:5]
	s_cbranch_execz .LBB89_64
; %bb.63:
	v_add_u32_e32 v2, s45, v10
	v_ashrrev_i32_e32 v3, 31, v2
	v_mul_lo_u32 v4, v3, s36
	v_mul_lo_u32 v5, v2, s37
	v_mad_u64_u32 v[2:3], s[6:7], v2, s36, 0
	v_add3_u32 v3, v3, v5, v4
	v_lshl_add_u64 v[2:3], v[2:3], 2, s[12:13]
	global_load_dword v2, v[2:3], off
	s_waitcnt vmcnt(0)
	v_sub_f32_e32 v2, s16, v2
	v_mul_f32_e32 v2, 0x3fb8aa3b, v2
	v_exp_f32_e32 v32, v2
.LBB89_64:
	s_or_b64 exec, exec, s[0:1]
	v_or_b32_e32 v33, 3, v20
	v_cmp_gt_i32_e64 s[0:1], s48, v33
	s_and_saveexec_b64 s[6:7], s[0:1]
	s_cbranch_execz .LBB89_66
; %bb.65:
	v_add_u32_e32 v2, s45, v33
	v_ashrrev_i32_e32 v3, 31, v2
	v_mul_lo_u32 v4, v3, s36
	v_mul_lo_u32 v5, v2, s37
	v_mad_u64_u32 v[2:3], s[18:19], v2, s36, 0
	v_add3_u32 v3, v3, v5, v4
	v_lshl_add_u64 v[2:3], v[2:3], 2, s[12:13]
	global_load_dword v2, v[2:3], off
	s_waitcnt vmcnt(0)
	v_sub_f32_e32 v2, s16, v2
	v_mul_f32_e32 v2, 0x3fb8aa3b, v2
	v_exp_f32_e32 v21, v2
.LBB89_66:
	s_or_b64 exec, exec, s[6:7]
	s_add_u32 s6, s20, s28
	s_addc_u32 s7, s21, s29
	s_add_u32 s12, s14, s28
	v_ashrrev_i32_e32 v89, 31, v88
	v_accvgpr_read_b32 v2, a12
	s_addc_u32 s13, s15, s29
	v_lshlrev_b64 v[6:7], 1, v[88:89]
	v_accvgpr_read_b32 v3, a13
	v_accvgpr_read_b32 v4, a14
	;; [unrolled: 1-line block ×3, first 2 shown]
	v_lshl_add_u64 v[8:9], s[6:7], 0, v[6:7]
	v_lshl_add_u64 v[6:7], s[12:13], 0, v[6:7]
	v_mov_b32_e32 v15, 0
	v_lshlrev_b32_e32 v12, 8, v20
	v_mov_b32_e32 v13, 0
	s_and_saveexec_b64 s[6:7], vcc
	s_cbranch_execz .LBB89_68
; %bb.67:
	v_mov_b32_e32 v13, 0
	v_lshl_add_u64 v[16:17], v[8:9], 0, v[12:13]
	global_load_ushort v14, v[16:17], off
	v_lshl_add_u64 v[16:17], v[6:7], 0, v[12:13]
	s_waitcnt vmcnt(0)
	v_lshlrev_b32_e32 v13, 16, v14
	v_sub_f32_e32 v2, v13, v2
	global_store_short_d16_hi v[16:17], v2, off
	v_mul_f32_e32 v2, v31, v2
	v_lshrrev_b32_e32 v13, 16, v2
.LBB89_68:
	s_or_b64 exec, exec, s[6:7]
	v_lshlrev_b32_e32 v14, 8, v11
	s_and_saveexec_b64 s[6:7], s[2:3]
	s_cbranch_execz .LBB89_70
; %bb.69:
	v_mov_b32_e32 v15, 0
	v_lshl_add_u64 v[16:17], v[8:9], 0, v[14:15]
	global_load_ushort v2, v[16:17], off
	v_lshl_add_u64 v[16:17], v[6:7], 0, v[14:15]
	s_waitcnt vmcnt(0)
	v_lshlrev_b32_e32 v2, 16, v2
	v_sub_f32_e32 v2, v2, v3
	global_store_short_d16_hi v[16:17], v2, off
	v_mul_f32_e32 v2, v30, v2
	v_lshrrev_b32_e32 v15, 16, v2
.LBB89_70:
	s_or_b64 exec, exec, s[6:7]
	v_mov_b32_e32 v11, 0
	v_lshlrev_b32_e32 v16, 8, v10
	v_mov_b32_e32 v17, 0
	s_and_saveexec_b64 s[6:7], s[4:5]
	s_cbranch_execz .LBB89_72
; %bb.71:
	v_mov_b32_e32 v17, 0
	v_lshl_add_u64 v[2:3], v[8:9], 0, v[16:17]
	global_load_ushort v10, v[2:3], off
	v_lshl_add_u64 v[2:3], v[6:7], 0, v[16:17]
	s_waitcnt vmcnt(0)
	v_lshlrev_b32_e32 v10, 16, v10
	v_sub_f32_e32 v4, v10, v4
	global_store_short_d16_hi v[2:3], v4, off
	v_mul_f32_e32 v2, v32, v4
	v_lshrrev_b32_e32 v17, 16, v2
.LBB89_72:
	s_or_b64 exec, exec, s[6:7]
	v_lshlrev_b32_e32 v10, 8, v33
	s_and_saveexec_b64 s[6:7], s[0:1]
	s_cbranch_execz .LBB89_74
; %bb.73:
	v_mov_b32_e32 v11, 0
	v_lshl_add_u64 v[2:3], v[8:9], 0, v[10:11]
	global_load_ushort v4, v[2:3], off
	v_lshl_add_u64 v[2:3], v[6:7], 0, v[10:11]
	s_waitcnt vmcnt(0)
	v_lshlrev_b32_e32 v4, 16, v4
	v_sub_f32_e32 v4, v4, v5
	global_store_short_d16_hi v[2:3], v4, off
	v_mul_f32_e32 v2, v21, v4
	v_lshrrev_b32_e32 v11, 16, v2
.LBB89_74:
	s_or_b64 exec, exec, s[6:7]
	v_lshlrev_b32_e32 v33, 6, v20
	s_mov_b32 s6, 0x5040100
	v_accvgpr_read_b32 v2, a8
	v_perm_b32 v35, v11, v17, s6
	v_or_b32_e32 v11, v33, v25
	v_accvgpr_read_b32 v3, a9
	v_accvgpr_read_b32 v4, a10
	;; [unrolled: 1-line block ×3, first 2 shown]
	v_perm_b32 v34, v15, v13, s6
	v_lshlrev_b32_e32 v11, 1, v11
	v_mov_b32_e32 v15, 0
	v_mov_b32_e32 v13, 0
	ds_write_b64 v11, v[34:35] offset:24576
	s_and_saveexec_b64 s[6:7], vcc
	s_cbranch_execz .LBB89_76
; %bb.75:
	v_mov_b32_e32 v13, 0
	v_lshl_add_u64 v[34:35], v[8:9], 0, v[12:13]
	global_load_ushort v11, v[34:35], off offset:32
	v_lshl_add_u64 v[34:35], v[6:7], 0, v[12:13]
	s_waitcnt vmcnt(0)
	v_lshlrev_b32_e32 v11, 16, v11
	v_sub_f32_e32 v2, v11, v2
	global_store_short_d16_hi v[34:35], v2, off offset:32
	v_mul_f32_e32 v2, v31, v2
	v_lshrrev_b32_e32 v13, 16, v2
.LBB89_76:
	s_or_b64 exec, exec, s[6:7]
	s_and_saveexec_b64 s[6:7], s[2:3]
	s_cbranch_execz .LBB89_78
; %bb.77:
	v_mov_b32_e32 v15, 0
	v_lshl_add_u64 v[34:35], v[8:9], 0, v[14:15]
	global_load_ushort v2, v[34:35], off offset:32
	v_lshl_add_u64 v[34:35], v[6:7], 0, v[14:15]
	s_waitcnt vmcnt(0)
	v_lshlrev_b32_e32 v2, 16, v2
	v_sub_f32_e32 v2, v2, v3
	global_store_short_d16_hi v[34:35], v2, off offset:32
	v_mul_f32_e32 v2, v30, v2
	v_lshrrev_b32_e32 v15, 16, v2
.LBB89_78:
	s_or_b64 exec, exec, s[6:7]
	v_mov_b32_e32 v11, 0
	v_mov_b32_e32 v17, 0
	s_and_saveexec_b64 s[6:7], s[4:5]
	s_cbranch_execz .LBB89_80
; %bb.79:
	v_mov_b32_e32 v17, 0
	v_lshl_add_u64 v[2:3], v[8:9], 0, v[16:17]
	global_load_ushort v25, v[2:3], off offset:32
	v_lshl_add_u64 v[2:3], v[6:7], 0, v[16:17]
	s_waitcnt vmcnt(0)
	v_lshlrev_b32_e32 v17, 16, v25
	v_sub_f32_e32 v4, v17, v4
	global_store_short_d16_hi v[2:3], v4, off offset:32
	v_mul_f32_e32 v2, v32, v4
	v_lshrrev_b32_e32 v17, 16, v2
.LBB89_80:
	s_or_b64 exec, exec, s[6:7]
	s_and_saveexec_b64 s[6:7], s[0:1]
	s_cbranch_execz .LBB89_82
; %bb.81:
	v_mov_b32_e32 v11, 0
	v_lshl_add_u64 v[2:3], v[8:9], 0, v[10:11]
	global_load_ushort v4, v[2:3], off offset:32
	v_lshl_add_u64 v[2:3], v[6:7], 0, v[10:11]
	s_waitcnt vmcnt(0)
	v_lshlrev_b32_e32 v4, 16, v4
	v_sub_f32_e32 v4, v4, v5
	global_store_short_d16_hi v[2:3], v4, off offset:32
	v_mul_f32_e32 v2, v21, v4
	v_lshrrev_b32_e32 v11, 16, v2
.LBB89_82:
	s_or_b64 exec, exec, s[6:7]
	s_mov_b32 s6, 0x5040100
	v_accvgpr_read_b32 v2, a4
	v_perm_b32 v35, v11, v17, s6
	v_or_b32_e32 v11, v33, v23
	v_accvgpr_read_b32 v3, a5
	v_accvgpr_read_b32 v4, a6
	;; [unrolled: 1-line block ×3, first 2 shown]
	v_perm_b32 v34, v15, v13, s6
	v_lshlrev_b32_e32 v11, 1, v11
	v_mov_b32_e32 v15, 0
	v_mov_b32_e32 v13, 0
	ds_write_b64 v11, v[34:35] offset:24576
	s_and_saveexec_b64 s[6:7], vcc
	s_cbranch_execz .LBB89_84
; %bb.83:
	v_mov_b32_e32 v13, 0
	v_lshl_add_u64 v[34:35], v[8:9], 0, v[12:13]
	global_load_ushort v11, v[34:35], off offset:64
	v_lshl_add_u64 v[34:35], v[6:7], 0, v[12:13]
	s_waitcnt vmcnt(0)
	v_lshlrev_b32_e32 v11, 16, v11
	v_sub_f32_e32 v2, v11, v2
	global_store_short_d16_hi v[34:35], v2, off offset:64
	v_mul_f32_e32 v2, v31, v2
	v_lshrrev_b32_e32 v13, 16, v2
.LBB89_84:
	s_or_b64 exec, exec, s[6:7]
	s_and_saveexec_b64 s[6:7], s[2:3]
	s_cbranch_execz .LBB89_86
; %bb.85:
	v_mov_b32_e32 v15, 0
	v_lshl_add_u64 v[34:35], v[8:9], 0, v[14:15]
	global_load_ushort v2, v[34:35], off offset:64
	v_lshl_add_u64 v[34:35], v[6:7], 0, v[14:15]
	s_waitcnt vmcnt(0)
	v_lshlrev_b32_e32 v2, 16, v2
	v_sub_f32_e32 v2, v2, v3
	global_store_short_d16_hi v[34:35], v2, off offset:64
	v_mul_f32_e32 v2, v30, v2
	v_lshrrev_b32_e32 v15, 16, v2
.LBB89_86:
	s_or_b64 exec, exec, s[6:7]
	v_mov_b32_e32 v11, 0
	v_mov_b32_e32 v17, 0
	s_and_saveexec_b64 s[6:7], s[4:5]
	s_cbranch_execz .LBB89_88
; %bb.87:
	v_mov_b32_e32 v17, 0
	v_lshl_add_u64 v[2:3], v[8:9], 0, v[16:17]
	global_load_ushort v23, v[2:3], off offset:64
	v_lshl_add_u64 v[2:3], v[6:7], 0, v[16:17]
	s_waitcnt vmcnt(0)
	v_lshlrev_b32_e32 v17, 16, v23
	v_sub_f32_e32 v4, v17, v4
	global_store_short_d16_hi v[2:3], v4, off offset:64
	v_mul_f32_e32 v2, v32, v4
	v_lshrrev_b32_e32 v17, 16, v2
.LBB89_88:
	s_or_b64 exec, exec, s[6:7]
	s_and_saveexec_b64 s[6:7], s[0:1]
	s_cbranch_execz .LBB89_90
; %bb.89:
	v_mov_b32_e32 v11, 0
	v_lshl_add_u64 v[2:3], v[8:9], 0, v[10:11]
	global_load_ushort v4, v[2:3], off offset:64
	v_lshl_add_u64 v[2:3], v[6:7], 0, v[10:11]
	s_waitcnt vmcnt(0)
	v_lshlrev_b32_e32 v4, 16, v4
	v_sub_f32_e32 v4, v4, v5
	global_store_short_d16_hi v[2:3], v4, off offset:64
	v_mul_f32_e32 v2, v21, v4
	v_lshrrev_b32_e32 v11, 16, v2
.LBB89_90:
	s_or_b64 exec, exec, s[6:7]
	s_mov_b32 s6, 0x5040100
	v_accvgpr_read_b32 v5, a3
	v_perm_b32 v35, v11, v17, s6
	v_or_b32_e32 v11, v33, v22
	v_accvgpr_read_b32 v4, a2
	v_accvgpr_read_b32 v3, a1
	;; [unrolled: 1-line block ×3, first 2 shown]
	v_perm_b32 v34, v15, v13, s6
	v_lshlrev_b32_e32 v11, 1, v11
	v_mov_b32_e32 v15, 0
	v_mov_b32_e32 v13, 0
	ds_write_b64 v11, v[34:35] offset:24576
	s_and_saveexec_b64 s[6:7], vcc
	s_cbranch_execz .LBB89_92
; %bb.91:
	v_mov_b32_e32 v13, 0
	v_lshl_add_u64 v[22:23], v[8:9], 0, v[12:13]
	global_load_ushort v11, v[22:23], off offset:96
	v_lshl_add_u64 v[12:13], v[6:7], 0, v[12:13]
	s_waitcnt vmcnt(0)
	v_lshlrev_b32_e32 v11, 16, v11
	v_sub_f32_e32 v2, v11, v2
	global_store_short_d16_hi v[12:13], v2, off offset:96
	v_mul_f32_e32 v2, v31, v2
	v_lshrrev_b32_e32 v13, 16, v2
.LBB89_92:
	s_or_b64 exec, exec, s[6:7]
	s_and_saveexec_b64 s[6:7], s[2:3]
	s_cbranch_execz .LBB89_94
; %bb.93:
	v_mov_b32_e32 v15, 0
	v_lshl_add_u64 v[22:23], v[8:9], 0, v[14:15]
	global_load_ushort v2, v[22:23], off offset:96
	v_lshl_add_u64 v[14:15], v[6:7], 0, v[14:15]
	s_waitcnt vmcnt(0)
	v_lshlrev_b32_e32 v2, 16, v2
	v_sub_f32_e32 v2, v2, v3
	global_store_short_d16_hi v[14:15], v2, off offset:96
	v_mul_f32_e32 v2, v30, v2
	v_lshrrev_b32_e32 v15, 16, v2
.LBB89_94:
	s_or_b64 exec, exec, s[6:7]
	v_mov_b32_e32 v11, 0
	v_mov_b32_e32 v14, 0
	s_and_saveexec_b64 s[2:3], s[4:5]
	s_cbranch_execz .LBB89_96
; %bb.95:
	v_mov_b32_e32 v17, 0
	v_lshl_add_u64 v[2:3], v[8:9], 0, v[16:17]
	global_load_ushort v12, v[2:3], off offset:96
	v_lshl_add_u64 v[2:3], v[6:7], 0, v[16:17]
	s_waitcnt vmcnt(0)
	v_lshlrev_b32_e32 v12, 16, v12
	v_sub_f32_e32 v4, v12, v4
	global_store_short_d16_hi v[2:3], v4, off offset:96
	v_mul_f32_e32 v2, v32, v4
	v_lshrrev_b32_e32 v14, 16, v2
.LBB89_96:
	s_or_b64 exec, exec, s[2:3]
	v_or_b32_e32 v12, 0x6000, v26
	v_or_b32_e32 v2, 0x6000, v27
	;; [unrolled: 1-line block ×4, first 2 shown]
	s_and_saveexec_b64 s[2:3], s[0:1]
	s_cbranch_execz .LBB89_98
; %bb.97:
	v_mov_b32_e32 v11, 0
	v_lshl_add_u64 v[8:9], v[8:9], 0, v[10:11]
	global_load_ushort v8, v[8:9], off offset:96
	v_lshl_add_u64 v[6:7], v[6:7], 0, v[10:11]
	s_waitcnt vmcnt(0)
	v_lshlrev_b32_e32 v8, 16, v8
	v_sub_f32_e32 v5, v8, v5
	global_store_short_d16_hi v[6:7], v5, off offset:96
	v_mul_f32_e32 v5, v21, v5
	v_lshrrev_b32_e32 v11, 16, v5
.LBB89_98:
	s_or_b64 exec, exec, s[2:3]
	s_mov_b32 s0, 0x5040100
	v_or_b32_e32 v5, v33, v19
	v_perm_b32 v7, v11, v14, s0
	v_perm_b32 v6, v15, v13, s0
	v_lshlrev_b32_e32 v5, 1, v5
	ds_write_b64 v5, v[6:7] offset:24576
	v_and_b32_e32 v5, 7, v0
	v_and_b32_e32 v10, 8, v0
	v_lshlrev_b32_e32 v13, 3, v5
	v_lshlrev_b32_e32 v19, 7, v5
	v_lshrrev_b32_e32 v5, 1, v0
	v_and_b32_e32 v5, 24, v5
	v_mov_b32_e32 v11, 0x400
	v_cmp_eq_u32_e32 vcc, 0, v10
	s_movk_i32 s2, 0x100
	v_lshlrev_b32_e32 v25, 3, v1
	v_cndmask_b32_e64 v21, v11, 64, vcc
	v_mov_b32_e32 v10, 0xa000
	v_mov_b32_e32 v11, 0x8000
	v_cmp_gt_u32_e64 s[0:1], s2, v0
	v_xor_b32_e32 v42, v25, v5
	v_or_b32_e32 v14, 32, v5
	v_cndmask_b32_e64 v0, v10, v11, s[0:1]
	v_or_b32_e32 v10, 0x440, v42
	v_cndmask_b32_e32 v10, v10, v42, vcc
	v_or_b32_e32 v10, v10, v24
	v_xor_b32_e32 v47, v10, v13
	v_xor_b32_e32 v14, v25, v14
	v_add3_u32 v10, v0, v47, v19
	v_or_b32_e32 v15, 0x440, v14
	s_waitcnt lgkmcnt(0)
	s_barrier
	ds_read_b64 v[10:11], v10
	v_cndmask_b32_e32 v14, v15, v14, vcc
	v_or_b32_e32 v14, v14, v24
	v_xor_b32_e32 v88, v14, v13
	v_add3_u32 v14, v0, v88, v19
	ds_read_b64 v[22:23], v14
	ds_read2_b64 v[6:9], v12 offset1:16
	ds_read2_b64 v[14:17], v12 offset0:32 offset1:48
	v_or_b32_e32 v5, 0x60, v5
	s_add_i32 s0, s17, s51
	v_xor_b32_e32 v5, v25, v5
	s_waitcnt lgkmcnt(1)
	v_mfma_f32_16x16x16_bf16 a[0:3], v[10:11], v[6:7], 0
	s_mul_hi_i32 s1, s0, s25
	s_mul_i32 s0, s0, s25
	ds_read2st64_b64 v[26:29], v12 offset0:4 offset1:8
	ds_read2st64_b64 v[30:33], v2 offset0:4 offset1:8
	v_mfma_f32_16x16x16_bf16 a[4:7], v[10:11], v[8:9], 0
	ds_read2st64_b64 v[34:37], v3 offset0:4 offset1:8
	ds_read2st64_b64 v[38:41], v4 offset0:4 offset1:8
	s_add_u32 s0, s0, s33
	s_waitcnt lgkmcnt(4)
	v_mfma_f32_16x16x16_bf16 a[8:11], v[10:11], v[14:15], 0
	s_addc_u32 s1, s1, s50
	s_lshl_b64 s[0:1], s[0:1], 9
	s_add_u32 s0, s8, s0
	v_mfma_f32_16x16x16_bf16 a[12:15], v[10:11], v[16:17], 0
	v_or3_b32 v10, v24, v21, v42
	v_xor_b32_e32 v21, 0x440, v5
	v_cndmask_b32_e32 v5, v21, v5, vcc
	v_xor_b32_e32 v10, v10, v13
	v_or_b32_e32 v5, v5, v24
	v_or_b32_e32 v90, v10, v19
	v_xor_b32_e32 v89, v5, v13
	v_or_b32_e32 v10, v0, v90
	v_add3_u32 v0, v0, v89, v19
	ds_read_b64 v[10:11], v10
	ds_read_b64 v[24:25], v0
	s_addc_u32 s1, s9, s1
	v_lshlrev_b32_e32 v0, 2, v20
	s_waitcnt lgkmcnt(5)
	v_mfma_f32_16x16x16_bf16 a[0:3], v[22:23], v[26:27], a[0:3]
	ds_read_b64 v[12:13], v12 offset:6144
	s_waitcnt lgkmcnt(5)
	v_mfma_f32_16x16x16_bf16 a[4:7], v[22:23], v[30:31], a[4:7]
	s_waitcnt lgkmcnt(4)
	v_mfma_f32_16x16x16_bf16 a[8:11], v[22:23], v[34:35], a[8:11]
	;; [unrolled: 2-line block ×3, first 2 shown]
	global_load_dwordx4 v[20:23], v0, s[0:1]
	v_lshlrev_b32_e32 v0, 6, v1
	v_lshlrev_b32_e32 v1, 2, v18
	v_or3_b32 v0, v0, v1, s2
	s_waitcnt lgkmcnt(2)
	v_mfma_f32_16x16x16_bf16 a[0:3], v[10:11], v[28:29], a[0:3]
	s_waitcnt vmcnt(0)
	v_mul_f32_e32 v20, 0x3fb8aa3b, v20
	v_mfma_f32_16x16x16_bf16 a[4:7], v[10:11], v[32:33], a[4:7]
	v_mul_f32_e32 v21, 0x3fb8aa3b, v21
	v_exp_f32_e32 v20, v20
	v_exp_f32_e32 v21, v21
	v_mfma_f32_16x16x16_bf16 a[8:11], v[10:11], v[36:37], a[8:11]
	v_mfma_f32_16x16x16_bf16 a[12:15], v[10:11], v[40:41], a[12:15]
	ds_read_b64 v[10:11], v2 offset:6144
	ds_read_b64 v[42:43], v3 offset:6144
	;; [unrolled: 1-line block ×3, first 2 shown]
	global_load_dwordx4 v[0:3], v0, s[0:1]
	v_mov_b32_e32 v4, 0x3fb8aa3b
	v_mul_f32_e32 v4, s16, v4
	v_exp_f32_e32 v18, v4
	v_add_u32_e32 v4, v47, v19
	ds_read_b64 v[4:5], v4 offset:40960
	s_waitcnt lgkmcnt(4)
	v_mfma_f32_16x16x16_bf16 a[0:3], v[24:25], v[12:13], a[0:3]
	s_waitcnt vmcnt(0)
	v_mul_f32_e32 v0, 0x3fb8aa3b, v0
	s_waitcnt lgkmcnt(3)
	v_mfma_f32_16x16x16_bf16 a[4:7], v[24:25], v[10:11], a[4:7]
	v_exp_f32_e32 v0, v0
	s_waitcnt lgkmcnt(2)
	v_mfma_f32_16x16x16_bf16 a[8:11], v[24:25], v[42:43], a[8:11]
	s_waitcnt lgkmcnt(1)
	v_mfma_f32_16x16x16_bf16 a[12:15], v[24:25], v[44:45], a[12:15]
	v_add_u32_e32 v24, v88, v19
	v_add_u32_e32 v19, v89, v19
	ds_read_b64 v[24:25], v24 offset:40960
	ds_read_b64 v[88:89], v19 offset:40960
	s_waitcnt lgkmcnt(2)
	v_mfma_f32_16x16x16_bf16 a[16:19], v[4:5], v[6:7], 0
	v_mul_f32_e32 v6, 0x3fb8aa3b, v22
	v_mul_f32_e32 v7, 0x3fb8aa3b, v23
	v_accvgpr_read_b32 v23, a1
	v_mfma_f32_16x16x16_bf16 a[20:23], v[4:5], v[8:9], 0
	v_pk_mul_f32 v[8:9], v[18:19], v[20:21] op_sel_hi:[0,1]
	v_accvgpr_read_b32 v22, a0
	v_pk_fma_f32 v[82:83], v[82:83], v[8:9], v[22:23]
	ds_read_b64 v[22:23], v90 offset:40960
	v_exp_f32_e32 v6, v6
	v_exp_f32_e32 v7, v7
	v_mfma_f32_16x16x16_bf16 a[24:27], v[4:5], v[14:15], 0
	v_accvgpr_read_b32 v15, a3
	v_accvgpr_read_b32 v14, a2
	v_pk_mul_f32 v[6:7], v[18:19], v[6:7] op_sel_hi:[0,1]
	v_mfma_f32_16x16x16_bf16 a[28:31], v[4:5], v[16:17], 0
	v_accvgpr_read_b32 v5, a7
	v_accvgpr_read_b32 v4, a6
	v_pk_fma_f32 v[78:79], v[6:7], v[78:79], v[4:5]
	s_waitcnt lgkmcnt(2)
	v_mfma_f32_16x16x16_bf16 a[16:19], v[24:25], v[26:27], a[16:19]
	v_accvgpr_read_b32 v4, a8
	v_accvgpr_read_b32 v5, a9
	v_pk_fma_f32 v[66:67], v[8:9], v[66:67], v[4:5]
	v_mfma_f32_16x16x16_bf16 a[20:23], v[24:25], v[30:31], a[20:23]
	v_accvgpr_read_b32 v4, a12
	v_accvgpr_read_b32 v17, a11
	;; [unrolled: 1-line block ×3, first 2 shown]
	v_mfma_f32_16x16x16_bf16 a[0:3], v[24:25], v[34:35], a[24:27]
	v_pk_fma_f32 v[86:87], v[86:87], v[6:7], v[14:15]
	v_accvgpr_read_b32 v15, a5
	v_accvgpr_read_b32 v5, a13
	s_waitcnt lgkmcnt(0)
	v_mfma_f32_16x16x16_bf16 a[8:11], v[22:23], v[28:29], a[16:19]
	v_accvgpr_read_b32 v21, a15
	v_accvgpr_read_b32 v20, a14
	;; [unrolled: 1-line block ×3, first 2 shown]
	v_mfma_f32_16x16x16_bf16 a[4:7], v[24:25], v[38:39], a[28:31]
	v_pk_fma_f32 v[58:59], v[8:9], v[58:59], v[4:5]
	v_mov_b32_e32 v4, v3
	v_mov_b32_e32 v3, v2
	v_mfma_f32_16x16x16_bf16 a[12:15], v[22:23], v[32:33], a[20:23]
	v_mov_b32_e32 v2, v1
	v_mul_f32_e32 v1, 0x3fb8aa3b, v2
	v_mul_f32_e32 v2, 0x3fb8aa3b, v3
	v_mfma_f32_16x16x16_bf16 a[0:3], v[22:23], v[36:37], a[0:3]
	v_mul_f32_e32 v3, 0x3fb8aa3b, v4
	v_exp_f32_e32 v2, v2
	v_exp_f32_e32 v3, v3
	v_mfma_f32_16x16x16_bf16 a[8:11], v[88:89], v[12:13], a[8:11]
	v_exp_f32_e32 v1, v1
	v_pk_fma_f32 v[74:75], v[8:9], v[74:75], v[14:15]
	v_pk_mul_f32 v[2:3], v[18:19], v[2:3] op_sel_hi:[0,1]
	v_mfma_f32_16x16x16_bf16 a[4:7], v[22:23], v[40:41], a[4:7]
	v_pk_mul_f32 v[0:1], v[18:19], v[0:1] op_sel_hi:[0,1]
	v_pk_fma_f32 v[70:71], v[6:7], v[70:71], v[16:17]
	v_pk_fma_f32 v[62:63], v[6:7], v[62:63], v[20:21]
	v_mfma_f32_16x16x16_bf16 a[12:15], v[88:89], v[10:11], a[12:15]
	v_accvgpr_read_b32 v5, a11
	v_accvgpr_read_b32 v4, a10
	v_pk_fma_f32 v[84:85], v[84:85], v[2:3], v[4:5]
	v_mfma_f32_16x16x16_bf16 a[0:3], v[88:89], v[42:43], a[0:3]
	v_accvgpr_read_b32 v13, a9
	v_accvgpr_read_b32 v12, a8
	v_pk_fma_f32 v[80:81], v[80:81], v[0:1], v[12:13]
	v_accvgpr_read_b32 v4, a12
	v_accvgpr_read_b32 v5, a13
	v_pk_fma_f32 v[72:73], v[0:1], v[72:73], v[4:5]
	v_accvgpr_read_b32 v7, a15
	v_accvgpr_read_b32 v9, a3
	v_accvgpr_read_b32 v8, a2
	v_mfma_f32_16x16x16_bf16 a[2:5], v[88:89], v[44:45], a[4:7]
	v_accvgpr_read_b32 v5, a1
	v_accvgpr_read_b32 v4, a0
	v_pk_fma_f32 v[64:65], v[0:1], v[64:65], v[4:5]
	v_accvgpr_read_b32 v6, a14
	v_pk_fma_f32 v[76:77], v[2:3], v[76:77], v[6:7]
	v_pk_fma_f32 v[68:69], v[2:3], v[68:69], v[8:9]
	s_nop 0
	v_accvgpr_read_b32 v5, a3
	v_accvgpr_read_b32 v11, a5
	;; [unrolled: 1-line block ×4, first 2 shown]
	v_pk_fma_f32 v[56:57], v[0:1], v[56:57], v[4:5]
	v_pk_fma_f32 v[60:61], v[2:3], v[60:61], v[10:11]
.LBB89_99:
	s_add_u32 s0, s10, s34
	s_addc_u32 s1, s11, s35
	v_lshl_add_u64 v[0:1], v[48:49], 1, s[0:1]
	v_mov_b32_e32 v47, 0
	s_mov_b32 s2, 0x7060302
	v_lshl_add_u64 v[0:1], v[0:1], 0, v[46:47]
	v_perm_b32 v3, v87, v86, s2
	v_perm_b32 v2, v83, v82, s2
	global_store_dwordx2 v[0:1], v[2:3], off
	v_perm_b32 v3, v85, v84, s2
	v_perm_b32 v2, v81, v80, s2
	global_store_dwordx2 v[0:1], v[2:3], off offset:128
	v_lshl_add_u64 v[0:1], v[50:51], 1, s[0:1]
	v_lshl_add_u64 v[0:1], v[0:1], 0, v[46:47]
	v_perm_b32 v3, v79, v78, s2
	v_perm_b32 v2, v75, v74, s2
	global_store_dwordx2 v[0:1], v[2:3], off
	v_perm_b32 v3, v77, v76, s2
	v_perm_b32 v2, v73, v72, s2
	global_store_dwordx2 v[0:1], v[2:3], off offset:128
	v_lshl_add_u64 v[0:1], v[52:53], 1, s[0:1]
	;; [unrolled: 8-line block ×3, first 2 shown]
	v_lshl_add_u64 v[0:1], v[0:1], 0, v[46:47]
	v_perm_b32 v3, v63, v62, s2
	v_perm_b32 v2, v59, v58, s2
	global_store_dwordx2 v[0:1], v[2:3], off
	v_perm_b32 v3, v61, v60, s2
	v_perm_b32 v2, v57, v56, s2
	global_store_dwordx2 v[0:1], v[2:3], off offset:128
	s_endpgm
	.section	.rodata,"a",@progbits
	.p2align	6, 0x0
	.amdhsa_kernel _ZN12_GLOBAL__N_139chunk_gated_delta_rule_fwd_h_hip_kernelILi64ELb1ELb1ELb1ELb0ELb0ELb1ELb0ELb1EEEvPK12hip_bfloat16S3_S3_PKfS5_PKvPS1_S8_PvPKiSB_iiiiilll
		.amdhsa_group_segment_fixed_size 65536
		.amdhsa_private_segment_fixed_size 0
		.amdhsa_kernarg_size 136
		.amdhsa_user_sgpr_count 2
		.amdhsa_user_sgpr_dispatch_ptr 0
		.amdhsa_user_sgpr_queue_ptr 0
		.amdhsa_user_sgpr_kernarg_segment_ptr 1
		.amdhsa_user_sgpr_dispatch_id 0
		.amdhsa_user_sgpr_kernarg_preload_length 0
		.amdhsa_user_sgpr_kernarg_preload_offset 0
		.amdhsa_user_sgpr_private_segment_size 0
		.amdhsa_uses_dynamic_stack 0
		.amdhsa_enable_private_segment 0
		.amdhsa_system_sgpr_workgroup_id_x 1
		.amdhsa_system_sgpr_workgroup_id_y 1
		.amdhsa_system_sgpr_workgroup_id_z 0
		.amdhsa_system_sgpr_workgroup_info 0
		.amdhsa_system_vgpr_workitem_id 0
		.amdhsa_next_free_vgpr 240
		.amdhsa_next_free_sgpr 75
		.amdhsa_accum_offset 200
		.amdhsa_reserve_vcc 1
		.amdhsa_float_round_mode_32 0
		.amdhsa_float_round_mode_16_64 0
		.amdhsa_float_denorm_mode_32 3
		.amdhsa_float_denorm_mode_16_64 3
		.amdhsa_dx10_clamp 1
		.amdhsa_ieee_mode 1
		.amdhsa_fp16_overflow 0
		.amdhsa_tg_split 0
		.amdhsa_exception_fp_ieee_invalid_op 0
		.amdhsa_exception_fp_denorm_src 0
		.amdhsa_exception_fp_ieee_div_zero 0
		.amdhsa_exception_fp_ieee_overflow 0
		.amdhsa_exception_fp_ieee_underflow 0
		.amdhsa_exception_fp_ieee_inexact 0
		.amdhsa_exception_int_div_zero 0
	.end_amdhsa_kernel
	.section	.text._ZN12_GLOBAL__N_139chunk_gated_delta_rule_fwd_h_hip_kernelILi64ELb1ELb1ELb1ELb0ELb0ELb1ELb0ELb1EEEvPK12hip_bfloat16S3_S3_PKfS5_PKvPS1_S8_PvPKiSB_iiiiilll,"axG",@progbits,_ZN12_GLOBAL__N_139chunk_gated_delta_rule_fwd_h_hip_kernelILi64ELb1ELb1ELb1ELb0ELb0ELb1ELb0ELb1EEEvPK12hip_bfloat16S3_S3_PKfS5_PKvPS1_S8_PvPKiSB_iiiiilll,comdat
.Lfunc_end89:
	.size	_ZN12_GLOBAL__N_139chunk_gated_delta_rule_fwd_h_hip_kernelILi64ELb1ELb1ELb1ELb0ELb0ELb1ELb0ELb1EEEvPK12hip_bfloat16S3_S3_PKfS5_PKvPS1_S8_PvPKiSB_iiiiilll, .Lfunc_end89-_ZN12_GLOBAL__N_139chunk_gated_delta_rule_fwd_h_hip_kernelILi64ELb1ELb1ELb1ELb0ELb0ELb1ELb0ELb1EEEvPK12hip_bfloat16S3_S3_PKfS5_PKvPS1_S8_PvPKiSB_iiiiilll
                                        ; -- End function
	.section	.AMDGPU.csdata,"",@progbits
; Kernel info:
; codeLenInByte = 13332
; NumSgprs: 81
; NumVgprs: 200
; NumAgprs: 40
; TotalNumVgprs: 240
; ScratchSize: 0
; MemoryBound: 0
; FloatMode: 240
; IeeeMode: 1
; LDSByteSize: 65536 bytes/workgroup (compile time only)
; SGPRBlocks: 10
; VGPRBlocks: 29
; NumSGPRsForWavesPerEU: 81
; NumVGPRsForWavesPerEU: 240
; AccumOffset: 200
; Occupancy: 1
; WaveLimiterHint : 1
; COMPUTE_PGM_RSRC2:SCRATCH_EN: 0
; COMPUTE_PGM_RSRC2:USER_SGPR: 2
; COMPUTE_PGM_RSRC2:TRAP_HANDLER: 0
; COMPUTE_PGM_RSRC2:TGID_X_EN: 1
; COMPUTE_PGM_RSRC2:TGID_Y_EN: 1
; COMPUTE_PGM_RSRC2:TGID_Z_EN: 0
; COMPUTE_PGM_RSRC2:TIDIG_COMP_CNT: 0
; COMPUTE_PGM_RSRC3_GFX90A:ACCUM_OFFSET: 49
; COMPUTE_PGM_RSRC3_GFX90A:TG_SPLIT: 0
	.section	.text._ZN12_GLOBAL__N_139chunk_gated_delta_rule_fwd_h_hip_kernelILi64ELb1ELb1ELb0ELb0ELb0ELb1ELb0ELb1EEEvPK12hip_bfloat16S3_S3_PKfS5_PKvPS1_S8_PvPKiSB_iiiiilll,"axG",@progbits,_ZN12_GLOBAL__N_139chunk_gated_delta_rule_fwd_h_hip_kernelILi64ELb1ELb1ELb0ELb0ELb0ELb1ELb0ELb1EEEvPK12hip_bfloat16S3_S3_PKfS5_PKvPS1_S8_PvPKiSB_iiiiilll,comdat
	.globl	_ZN12_GLOBAL__N_139chunk_gated_delta_rule_fwd_h_hip_kernelILi64ELb1ELb1ELb0ELb0ELb0ELb1ELb0ELb1EEEvPK12hip_bfloat16S3_S3_PKfS5_PKvPS1_S8_PvPKiSB_iiiiilll ; -- Begin function _ZN12_GLOBAL__N_139chunk_gated_delta_rule_fwd_h_hip_kernelILi64ELb1ELb1ELb0ELb0ELb0ELb1ELb0ELb1EEEvPK12hip_bfloat16S3_S3_PKfS5_PKvPS1_S8_PvPKiSB_iiiiilll
	.p2align	8
	.type	_ZN12_GLOBAL__N_139chunk_gated_delta_rule_fwd_h_hip_kernelILi64ELb1ELb1ELb0ELb0ELb0ELb1ELb0ELb1EEEvPK12hip_bfloat16S3_S3_PKfS5_PKvPS1_S8_PvPKiSB_iiiiilll,@function
_ZN12_GLOBAL__N_139chunk_gated_delta_rule_fwd_h_hip_kernelILi64ELb1ELb1ELb0ELb0ELb0ELb1ELb0ELb1EEEvPK12hip_bfloat16S3_S3_PKfS5_PKvPS1_S8_PvPKiSB_iiiiilll: ; @_ZN12_GLOBAL__N_139chunk_gated_delta_rule_fwd_h_hip_kernelILi64ELb1ELb1ELb0ELb0ELb0ELb1ELb0ELb1EEEvPK12hip_bfloat16S3_S3_PKfS5_PKvPS1_S8_PvPKiSB_iiiiilll
; %bb.0:
	s_load_dwordx4 s[12:15], s[0:1], 0x5c
	s_abs_i32 s6, s3
	s_ashr_i32 s5, s3, 31
	s_load_dwordx4 s[16:19], s[0:1], 0x20
	s_load_dwordx2 s[38:39], s[0:1], 0x30
	v_and_b32_e32 v97, 15, v0
	s_waitcnt lgkmcnt(0)
	s_abs_i32 s4, s13
	v_cvt_f32_u32_e32 v1, s4
	s_sub_i32 s8, 0, s4
	s_ashr_i32 s7, s13, 31
	s_xor_b32 s5, s5, s7
	v_rcp_iflag_f32_e32 v1, v1
	v_bfe_u32 v96, v0, 4, 2
	v_mov_b32_e32 v47, 0
	v_lshlrev_b32_e32 v98, 3, v0
	v_mul_f32_e32 v1, 0x4f7ffffe, v1
	v_cvt_u32_f32_e32 v1, v1
	s_nop 0
	v_readfirstlane_b32 s9, v1
	s_mul_i32 s8, s8, s9
	s_mul_hi_u32 s8, s9, s8
	s_add_i32 s9, s9, s8
	s_mul_hi_u32 s8, s6, s9
	s_mul_i32 s9, s8, s4
	s_sub_i32 s6, s6, s9
	s_add_i32 s10, s8, 1
	s_sub_i32 s9, s6, s4
	s_cmp_ge_u32 s6, s4
	s_cselect_b32 s8, s10, s8
	s_cselect_b32 s6, s9, s6
	s_add_i32 s9, s8, 1
	s_cmp_ge_u32 s6, s4
	s_cselect_b32 s6, s9, s8
	s_xor_b32 s6, s6, s5
	s_sub_i32 s56, s6, s5
	s_mul_i32 s6, s56, s13
	s_sub_i32 s33, s3, s6
	s_abs_i32 s3, s14
	v_cvt_f32_u32_e32 v1, s3
	s_add_i32 s8, s12, 63
	s_ashr_i32 s9, s8, 31
	s_lshr_b32 s5, s9, 26
	v_rcp_iflag_f32_e32 v1, v1
	s_ashr_i32 s55, s12, 31
	s_add_i32 s8, s8, s5
	s_lshr_b32 s5, s55, 26
	v_mul_f32_e32 v1, 0x4f7ffffe, v1
	v_cvt_u32_f32_e32 v1, v1
	s_add_i32 s5, s12, s5
	s_ashr_i32 s58, s14, 31
	s_ashr_i32 s24, s8, 6
	;; [unrolled: 1-line block ×3, first 2 shown]
	s_xor_b32 s5, s7, s58
	s_sub_i32 s7, 0, s3
	v_readfirstlane_b32 s8, v1
	s_mul_i32 s7, s7, s8
	s_mul_hi_u32 s7, s8, s7
	s_add_i32 s8, s8, s7
	s_mul_hi_u32 s7, s4, s8
	s_mul_i32 s8, s7, s3
	s_sub_i32 s4, s4, s8
	s_lshl_b32 s2, s2, 6
	s_add_i32 s8, s7, 1
	s_sub_i32 s9, s4, s3
	s_cmp_ge_u32 s4, s3
	s_cselect_b32 s7, s8, s7
	s_cselect_b32 s4, s9, s4
	s_add_i32 s8, s7, 1
	s_cmp_ge_u32 s4, s3
	s_cselect_b32 s3, s8, s7
	s_xor_b32 s3, s3, s5
	s_sub_i32 s3, s3, s5
	s_abs_i32 s4, s3
	v_cvt_f32_u32_e32 v1, s4
	s_sub_i32 s7, 0, s4
	s_abs_i32 s5, s33
	s_xor_b32 s3, s33, s3
	v_rcp_iflag_f32_e32 v2, v1
	s_ashr_i32 s3, s3, 31
	v_or_b32_e32 v88, s2, v97
	v_lshrrev_b32_e32 v1, 6, v0
	v_mul_f32_e32 v2, 0x4f7ffffe, v2
	v_cvt_u32_f32_e32 v2, v2
	v_lshlrev_b32_e32 v48, 7, v88
	v_lshlrev_b32_e32 v45, 4, v1
	v_or_b32_e32 v50, 0x800, v48
	v_readfirstlane_b32 s8, v2
	s_mul_i32 s7, s7, s8
	s_mul_hi_u32 s7, s8, s7
	s_add_i32 s8, s8, s7
	s_mul_hi_u32 s7, s5, s8
	s_mul_i32 s8, s7, s4
	s_sub_i32 s5, s5, s8
	s_add_i32 s8, s7, 1
	s_sub_i32 s9, s5, s4
	s_cmp_ge_u32 s5, s4
	s_cselect_b32 s7, s8, s7
	s_cselect_b32 s5, s9, s5
	s_add_i32 s8, s7, 1
	s_cmp_ge_u32 s5, s4
	s_cselect_b32 s4, s8, s7
	s_xor_b32 s4, s4, s3
	s_sub_i32 s59, s4, s3
	s_ashr_i32 s3, s56, 31
	s_ashr_i32 s48, s33, 31
	s_mul_hi_i32 s4, s56, s13
	s_add_u32 s40, s6, s33
	s_addc_u32 s41, s4, s48
	s_lshl_b64 s[28:29], s[40:41], 15
	s_add_u32 s4, s18, s28
	v_lshl_or_b32 v100, v96, 2, v45
	s_addc_u32 s5, s19, s29
	v_ashrrev_i32_e32 v49, 31, v48
	v_ashrrev_i32_e32 v51, 31, v50
	v_lshl_add_u64 v[2:3], v[48:49], 1, s[4:5]
	v_lshlrev_b32_e32 v46, 1, v100
	v_lshl_add_u64 v[6:7], v[50:51], 1, s[4:5]
	v_or_b32_e32 v52, 0x1000, v48
	v_or_b32_e32 v54, 0x1800, v48
	v_lshl_add_u64 v[2:3], v[2:3], 0, v[46:47]
	v_lshl_add_u64 v[6:7], v[6:7], 0, v[46:47]
	v_ashrrev_i32_e32 v53, 31, v52
	v_ashrrev_i32_e32 v55, 31, v54
	global_load_dwordx2 v[4:5], v[2:3], off
	v_lshl_add_u64 v[14:15], v[54:55], 1, s[4:5]
	global_load_dwordx2 v[2:3], v[2:3], off offset:128
	s_nop 0
	global_load_dwordx2 v[8:9], v[6:7], off
	global_load_dwordx2 v[10:11], v[6:7], off offset:128
	v_lshl_add_u64 v[6:7], v[52:53], 1, s[4:5]
	v_lshl_add_u64 v[6:7], v[6:7], 0, v[46:47]
	;; [unrolled: 1-line block ×3, first 2 shown]
	global_load_dwordx2 v[12:13], v[6:7], off
	v_and_b32_e32 v47, 63, v0
	global_load_dwordx2 v[6:7], v[6:7], off offset:128
	s_nop 0
	global_load_dwordx2 v[16:17], v[14:15], off
	global_load_dwordx2 v[18:19], v[14:15], off offset:128
	s_load_dwordx2 s[18:19], s[0:1], 0x40
	s_load_dwordx8 s[4:11], s[0:1], 0x0
	s_load_dwordx2 s[30:31], s[0:1], 0x80
	s_load_dwordx4 s[20:23], s[0:1], 0x70
	v_or_b32_e32 v101, 64, v100
	s_mul_i32 s49, s56, s12
	s_mul_i32 s60, s56, s24
	s_cmp_lt_i32 s12, 64
	v_lshrrev_b32_e32 v99, 3, v47
	s_mul_i32 s61, s41, s12
	s_mul_hi_u32 s62, s40, s12
	s_mul_i32 s42, s40, s12
	s_waitcnt lgkmcnt(0)
	s_mul_i32 s41, s56, s21
	s_mul_hi_u32 s51, s56, s20
	s_mul_i32 s50, s3, s20
	s_mul_i32 s36, s56, s20
	;; [unrolled: 1-line block ×3, first 2 shown]
	s_mul_hi_u32 s53, s33, s22
	s_mul_i32 s54, s48, s22
	s_mul_i32 s34, s33, s22
	s_waitcnt vmcnt(7)
	v_and_b32_e32 v83, 0xffff0000, v4
	v_lshlrev_b32_e32 v82, 16, v4
	v_and_b32_e32 v87, 0xffff0000, v5
	v_lshlrev_b32_e32 v86, 16, v5
	s_waitcnt vmcnt(6)
	v_and_b32_e32 v81, 0xffff0000, v2
	v_lshlrev_b32_e32 v80, 16, v2
	v_and_b32_e32 v85, 0xffff0000, v3
	v_lshlrev_b32_e32 v84, 16, v3
	;; [unrolled: 5-line block ×8, first 2 shown]
	s_cbranch_scc1 .LBB90_18
; %bb.1:
	s_add_i32 s43, s62, s61
	s_lshl_b64 s[0:1], s[42:43], 8
	v_and_b32_e32 v103, 56, v98
	s_add_u32 s20, s6, s0
	v_lshl_or_b32 v102, v1, 3, v99
	v_lshlrev_b32_e32 v2, 1, v103
	s_addc_u32 s0, s7, s1
	v_lshl_or_b32 v104, v102, 8, v2
	s_and_b32 s21, s0, 0xffff
	s_mov_b32 s23, 0x20000
	s_movk_i32 s22, 0x4000
	s_movk_i32 s0, 0x80
	v_or_b32_e32 v105, 0x2000, v104
	buffer_load_dwordx4 v[4:7], v104, s[20:23], 0 offen
	buffer_load_dwordx4 v[8:11], v104, s[20:23], s0 offen
	;; [unrolled: 1-line block ×4, first 2 shown]
	v_lshlrev_b32_e32 v3, 3, v102
	v_and_or_b32 v21, v0, 7, v3
	v_and_b32_e32 v3, 0x78, v3
	v_lshlrev_b32_e32 v21, 4, v21
	v_xor_b32_e32 v106, v21, v3
	v_mul_lo_u32 v20, v102, s15
	v_or_b32_e32 v107, 0x1000, v106
	v_xor_b32_e32 v3, 8, v106
	s_cmpk_eq_i32 s15, 0x80
	s_mov_b32 s63, s14
	v_xor_b32_e32 v21, 8, v107
	s_cselect_b64 s[0:1], -1, 0
	s_cmpk_lg_i32 s15, 0x80
	s_waitcnt vmcnt(3)
	ds_write_b64 v106, v[4:5] offset:49152
	ds_write_b64 v3, v[6:7] offset:49152
	s_waitcnt vmcnt(2)
	ds_write_b64 v106, v[8:9] offset:57344
	ds_write_b64 v3, v[10:11] offset:57344
	;; [unrolled: 3-line block ×4, first 2 shown]
	v_lshl_add_u32 v3, v20, 1, v103
	s_cbranch_scc0 .LBB90_3
; %bb.2:
	v_lshlrev_b32_e32 v5, 1, v3
	v_add_lshl_u32 v4, v3, s15, 1
	s_lshl_b32 s22, s15, 7
	v_lshl_or_b32 v2, v102, 9, v2
	s_cbranch_execz .LBB90_4
	s_branch .LBB90_5
.LBB90_3:
                                        ; implicit-def: $vgpr4
                                        ; implicit-def: $vgpr5
                                        ; implicit-def: $sgpr22
	v_lshl_or_b32 v2, v102, 9, v2
.LBB90_4:
	v_or_b32_e32 v4, 0x100, v2
	s_movk_i32 s22, 0x4000
	v_mov_b32_e32 v5, v2
.LBB90_5:
	s_mul_hi_u32 s20, s14, s12
	s_mul_i32 s21, s58, s12
	s_add_i32 s20, s20, s21
	s_mul_i32 s21, s14, s12
	s_mul_i32 s23, s21, s3
	s_mul_hi_u32 s24, s21, s56
	s_add_i32 s23, s24, s23
	s_mul_i32 s20, s20, s56
	s_add_i32 s23, s23, s20
	s_mul_i32 s21, s21, s56
	s_ashr_i32 s64, s59, 31
	s_add_u32 s20, s21, s59
	s_addc_u32 s21, s23, s64
	s_lshl_b64 s[20:21], s[20:21], 8
	s_add_u32 s20, s4, s20
	s_addc_u32 s21, s5, s21
	s_and_b32 s21, s21, 0xffff
	s_mov_b32 s23, 0x20000
	s_movk_i32 s65, 0x80
	buffer_load_dwordx4 v[6:9], v5, s[20:23], 0 offen
	buffer_load_dwordx4 v[10:13], v5, s[20:23], s65 offen
	;; [unrolled: 1-line block ×4, first 2 shown]
	v_and_b32_e32 v5, 6, v0
	v_lshlrev_b32_e32 v4, 7, v100
	v_xor_b32_e32 v26, v102, v5
	v_and_b32_e32 v22, 1, v0
	v_lshl_or_b32 v29, v97, 3, v4
	v_lshlrev_b32_e32 v26, 2, v26
	v_or_b32_e32 v108, 0x4000, v29
	v_or_b32_e32 v109, 0x6000, v29
	v_xor_b32_e32 v29, 0x440, v26
	v_cmp_eq_u32_e32 vcc, 0, v22
	v_lshlrev_b32_e32 v23, 2, v97
	v_or_b32_e32 v25, 16, v97
	v_cndmask_b32_e32 v22, v29, v26, vcc
	s_mov_b32 s67, 0x1000504
	v_xor_b32_e32 v27, v100, v23
	v_xor_b32_e32 v28, v101, v23
	v_lshl_or_b32 v30, v25, 3, v4
	v_lshl_or_b32 v5, v5, 10, v22
	s_mov_b32 s68, 0x3020706
	v_lshlrev_b32_e32 v24, 8, v97
	v_lshlrev_b32_e32 v27, 1, v27
	;; [unrolled: 1-line block ×3, first 2 shown]
	v_or_b32_e32 v110, 0x4000, v30
	v_or_b32_e32 v111, 0x6000, v30
	v_xor_b32_e32 v22, 8, v5
	v_xor_b32_e32 v26, 24, v5
	;; [unrolled: 1-line block ×4, first 2 shown]
	s_mul_i32 s3, s3, s12
	s_mul_hi_u32 s20, s56, s12
	v_or_b32_e32 v112, v24, v27
	v_or_b32_e32 v113, v24, v28
	v_xor_b32_e32 v24, 16, v5
	v_xor_b32_e32 v29, 32, v5
	;; [unrolled: 1-line block ×3, first 2 shown]
	v_add_u32_e32 v22, 0x80, v22
	v_add_u32_e32 v26, 0x80, v26
	;; [unrolled: 1-line block ×4, first 2 shown]
	s_add_i32 s69, s20, s3
	s_add_i32 s3, s51, s41
	s_add_i32 s37, s3, s50
	s_add_i32 s3, s53, s52
	s_add_i32 s35, s3, s54
	s_lshl_b64 s[20:21], s[36:37], 2
	s_add_u32 s3, s10, s20
	s_addc_u32 s24, s11, s21
	s_lshl_b64 s[20:21], s[34:35], 2
	s_add_u32 s44, s3, s20
	s_movk_i32 s3, 0xf8
	s_addc_u32 s45, s24, s21
	s_lshl_b32 s26, s15, 7
	s_movk_i32 s24, 0x100
	v_mov_b32_e32 v91, 0
	v_lshlrev_b32_e32 v90, 4, v97
	v_ashrrev_i32_e32 v89, 31, v88
	s_mov_b32 s66, 0
	s_movk_i32 s22, 0x4000
	v_lshl_add_u64 v[92:93], v[88:89], 1, s[8:9]
	s_mov_b32 s35, 0x7060302
	s_movk_i32 s37, 0x2000
	s_movk_i32 s70, 0x3000
	v_mov_b32_e32 v153, 0x3fb8aa3b
	s_mov_b32 s72, 0
	s_waitcnt vmcnt(1)
	v_perm_b32 v33, v6, v14, s67
	s_waitcnt vmcnt(0)
	v_perm_b32 v34, v10, v18, s67
	v_perm_b32 v6, v6, v14, s68
	;; [unrolled: 1-line block ×15, first 2 shown]
	ds_write2st64_b32 v5, v33, v34 offset0:128 offset1:160
	ds_write2st64_b32 v22, v6, v10 offset0:128 offset1:160
	;; [unrolled: 1-line block ×8, first 2 shown]
	v_lshlrev_b32_e32 v5, 8, v25
	v_or_b32_e32 v114, v5, v27
	v_or_b32_e32 v115, v5, v28
	v_or_b32_e32 v5, 32, v97
	v_lshl_or_b32 v6, v5, 3, v4
	v_lshlrev_b32_e32 v5, 8, v5
	v_or_b32_e32 v118, v5, v27
	v_or_b32_e32 v119, v5, v28
	;; [unrolled: 1-line block ×5, first 2 shown]
	v_lshl_or_b32 v6, v5, 3, v4
	v_lshlrev_b32_e32 v5, 8, v5
	v_or_b32_e32 v122, v5, v27
	v_or_b32_e32 v123, v5, v28
	v_or_b32_e32 v5, v45, v97
	v_lshlrev_b32_e32 v5, 3, v5
	v_lshrrev_b32_e32 v7, 5, v47
	v_and_or_b32 v7, v5, s3, v7
	v_lshlrev_b32_e32 v7, 4, v7
	v_or_b32_e32 v120, 0x4000, v6
	v_or_b32_e32 v121, 0x6000, v6
	v_lshrrev_b32_e32 v6, 2, v47
	v_lshlrev_b32_e32 v9, 11, v1
	v_and_b32_e32 v5, 0x78, v5
	v_or_b32_e32 v13, 32, v7
	v_and_b32_e32 v8, 12, v6
	v_and_b32_e32 v6, 0x1000, v9
	v_lshrrev_b32_e32 v11, 1, v47
	v_xor_b32_e32 v13, v13, v5
	v_xor_b32_e32 v10, v7, v5
	v_and_b32_e32 v11, 8, v11
	v_or_b32_e32 v13, v13, v6
	v_or_b32_e32 v10, v10, v6
	v_xor_b32_e32 v126, v13, v11
	v_or_b32_e32 v13, 64, v7
	v_or_b32_e32 v7, 0x60, v7
	v_xor_b32_e32 v124, v10, v11
	v_lshlrev_b32_e32 v10, 8, v96
	v_xor_b32_e32 v13, v13, v5
	v_xor_b32_e32 v5, v7, v5
	s_ashr_i32 s3, s2, 31
	v_or_b32_e32 v12, v10, v23
	v_or_b32_e32 v13, v13, v6
	;; [unrolled: 1-line block ×3, first 2 shown]
	s_lshl_b64 s[20:21], s[2:3], 8
	v_lshlrev_b32_e32 v15, 2, v0
	v_lshlrev_b32_e32 v12, 1, v12
	v_xor_b32_e32 v130, v13, v11
	v_xor_b32_e32 v131, v5, v11
	v_lshlrev_b32_e32 v5, 1, v3
	v_add_lshl_u32 v3, v3, s15, 1
	v_or_b32_e32 v11, 0x100, v2
	s_add_u32 s20, s38, s20
	v_lshlrev_b32_e32 v6, 1, v97
	v_lshrrev_b32_e32 v16, 1, v0
	v_and_or_b32 v10, v15, 60, v10
	v_or_b32_e32 v125, 0x4000, v12
	v_or_b32_e32 v127, 0x4080, v12
	;; [unrolled: 1-line block ×8, first 2 shown]
	v_lshrrev_b32_e32 v12, 4, v0
	s_addc_u32 s21, s39, s21
	v_or_b32_e32 v7, 1, v6
	v_and_b32_e32 v16, 24, v16
	v_lshlrev_b32_e32 v10, 1, v10
	v_cndmask_b32_e64 v142, v5, v2, s[0:1]
	v_cndmask_b32_e64 v143, v3, v11, s[0:1]
	v_mov_b32_e32 v3, 0xa000
	v_mov_b32_e32 v5, 0x8000
	v_cmp_gt_u32_e64 s[0:1], s24, v0
	v_xor_b32_e32 v13, v12, v6
	v_xor_b32_e32 v14, v7, v12
	v_lshl_add_u64 v[6:7], s[20:21], 0, v[90:91]
	v_lshlrev_b32_e32 v90, 8, v12
	v_or_b32_e32 v138, 0x6000, v10
	v_or_b32_e32 v15, 32, v16
	v_or_b32_e32 v139, 0x6080, v10
	v_or_b32_e32 v140, 0x6100, v10
	v_or_b32_e32 v141, 0x6180, v10
	v_or_b32_e32 v10, 0x60, v16
	v_cndmask_b32_e64 v3, v3, v5, s[0:1]
	v_lshlrev_b32_e32 v5, 3, v1
	v_lshl_or_b32 v136, v13, 3, v90
	v_and_b32_e32 v13, 8, v0
	v_xor_b32_e32 v11, v5, v16
	v_xor_b32_e32 v15, v5, v15
	;; [unrolled: 1-line block ×3, first 2 shown]
	v_mov_b32_e32 v17, 0x400
	v_cmp_eq_u32_e32 vcc, 0, v13
	v_or_b32_e32 v16, 0x440, v11
	v_or_b32_e32 v18, 0x440, v15
	v_xor_b32_e32 v10, 0x440, v5
	v_and_b32_e32 v12, 7, v0
	v_cndmask_b32_e64 v13, v17, 64, vcc
	v_cndmask_b32_e32 v16, v16, v11, vcc
	v_cndmask_b32_e32 v15, v18, v15, vcc
	;; [unrolled: 1-line block ×3, first 2 shown]
	v_lshl_or_b32 v137, v14, 3, v90
	v_lshlrev_b32_e32 v14, 3, v12
	v_or_b32_e32 v16, v16, v9
	v_or_b32_e32 v15, v15, v9
	v_or3_b32 v11, v9, v13, v11
	v_or_b32_e32 v5, v5, v9
	v_lshlrev_b32_e32 v12, 7, v12
	v_xor_b32_e32 v16, v16, v14
	v_xor_b32_e32 v15, v15, v14
	;; [unrolled: 1-line block ×4, first 2 shown]
	v_or_b32_e32 v2, v45, v8
	v_add_u32_e32 v17, v3, v16
	v_add_u32_e32 v18, v3, v15
	v_or_b32_e32 v144, v11, v12
	v_add_u32_e32 v9, v3, v5
	v_or3_b32 v8, v45, v8, 64
	v_add_u32_e32 v10, 0xa000, v16
	v_add_u32_e32 v11, 0xa000, v15
	v_add_u32_e32 v5, 0xa000, v5
	v_lshl_add_u64 v[94:95], v[6:7], 0, v[90:91]
	s_add_i32 s3, s49, 63
	v_lshlrev_b32_e32 v90, 1, v4
	v_lshlrev_b32_e32 v89, 2, v2
	v_add_u32_e32 v145, v17, v12
	v_add_u32_e32 v146, v18, v12
	;; [unrolled: 1-line block ×4, first 2 shown]
	v_lshlrev_b32_e32 v149, 2, v8
	v_add_u32_e32 v150, v10, v12
	v_add_u32_e32 v151, v11, v12
	;; [unrolled: 1-line block ×3, first 2 shown]
	s_waitcnt lgkmcnt(0)
	s_barrier
.LBB90_6:                               ; =>This Inner Loop Header: Depth=1
	s_add_i32 s71, s72, 1
	s_cmp_lt_i32 s71, s57
	s_mov_b64 s[24:25], 0
	s_cselect_b64 s[46:47], -1, 0
	s_cmp_ge_i32 s71, s57
	s_mov_b64 s[20:21], 0
	s_cbranch_scc1 .LBB90_8
; %bb.7:                                ;   in Loop: Header=BB90_6 Depth=1
	s_add_i32 s0, s66, 64
	s_add_u32 s0, s42, s0
	s_addc_u32 s1, s43, 0
	s_lshl_b64 s[0:1], s[0:1], 8
	s_add_u32 s20, s6, s0
	s_addc_u32 s21, s7, s1
.LBB90_8:                               ;   in Loop: Header=BB90_6 Depth=1
	v_cndmask_b32_e64 v2, 0, 1, s[46:47]
	v_cmp_ne_u32_e64 s[0:1], 1, v2
	s_andn2_b64 vcc, exec, s[46:47]
	s_cbranch_vccnz .LBB90_10
; %bb.9:                                ;   in Loop: Header=BB90_6 Depth=1
	s_add_i32 s24, s66, 64
	s_add_u32 s24, s49, s24
	s_addc_u32 s25, s69, 0
	s_mul_i32 s27, s24, s58
	s_mul_hi_u32 s46, s24, s63
	s_add_i32 s27, s46, s27
	s_mul_i32 s25, s25, s63
	s_add_i32 s27, s27, s25
	s_mul_i32 s24, s24, s63
	s_add_u32 s24, s24, s59
	s_addc_u32 s25, s27, s64
	s_lshl_b64 s[24:25], s[24:25], 8
	s_add_u32 s24, s4, s24
	s_addc_u32 s25, s5, s25
.LBB90_10:                              ;   in Loop: Header=BB90_6 Depth=1
	v_perm_b32 v3, v87, v86, s35
	v_perm_b32 v2, v83, v82, s35
	v_perm_b32 v5, v85, v84, s35
	v_perm_b32 v4, v81, v80, s35
	ds_write_b64 v108, v[2:3]
	ds_write_b64 v109, v[4:5]
	ds_write_b64 v112, v[2:3]
	ds_write_b64 v113, v[4:5]
	v_perm_b32 v3, v79, v78, s35
	v_perm_b32 v2, v75, v74, s35
	v_perm_b32 v5, v77, v76, s35
	v_perm_b32 v4, v73, v72, s35
	ds_write_b64 v110, v[2:3]
	ds_write_b64 v111, v[4:5]
	ds_write_b64 v114, v[2:3]
	ds_write_b64 v115, v[4:5]
	;; [unrolled: 8-line block ×4, first 2 shown]
	s_waitcnt lgkmcnt(0)
	s_barrier
	ds_read_b64 v[6:7], v124 offset:49152
	ds_read2_b64 v[2:5], v125 offset1:16
	ds_read_b64 v[18:19], v127 offset:6144
	ds_read_b64 v[20:21], v125 offset:6144
	s_waitcnt lgkmcnt(2)
	v_mfma_f32_16x16x16_bf16 a[0:3], v[6:7], v[2:3], 0
	ds_read_b64 v[22:23], v126 offset:49152
	ds_read2st64_b64 v[10:13], v128 offset0:4 offset1:8
	ds_read2st64_b64 v[14:17], v129 offset0:4 offset1:8
	v_mfma_f32_16x16x16_bf16 a[4:7], v[6:7], v[4:5], 0
	ds_read2_b64 v[2:5], v125 offset0:32 offset1:48
	s_add_i32 s27, s66, 63
	s_mul_i32 s46, s27, s31
	s_waitcnt lgkmcnt(0)
	v_mfma_f32_16x16x16_bf16 a[8:11], v[6:7], v[2:3], 0
	s_mul_hi_u32 s47, s27, s30
	s_add_i32 s47, s47, s46
	s_mul_i32 s46, s27, s30
	v_mfma_f32_16x16x16_bf16 a[12:15], v[6:7], v[4:5], 0
	ds_read2st64_b64 v[2:5], v125 offset0:4 offset1:8
	ds_read2st64_b64 v[6:9], v127 offset0:4 offset1:8
	s_lshl_b64 s[46:47], s[46:47], 2
	s_waitcnt lgkmcnt(1)
	v_mfma_f32_16x16x16_bf16 a[0:3], v[22:23], v[2:3], a[0:3]
	s_add_u32 s46, s44, s46
	s_addc_u32 s47, s45, s47
	s_and_b64 vcc, exec, s[0:1]
	s_waitcnt lgkmcnt(0)
	v_mfma_f32_16x16x16_bf16 a[4:7], v[22:23], v[6:7], a[4:7]
	v_mov_b32_e32 v156, 0
	v_mov_b32_e32 v155, 0
	;; [unrolled: 1-line block ×3, first 2 shown]
	v_mfma_f32_16x16x16_bf16 a[8:11], v[22:23], v[10:11], a[8:11]
	ds_read_b64 v[2:3], v130 offset:49152
	ds_read_b64 v[6:7], v131 offset:49152
	;; [unrolled: 1-line block ×3, first 2 shown]
	v_mfma_f32_16x16x16_bf16 a[12:15], v[22:23], v[14:15], a[12:15]
	v_mov_b32_e32 v14, 0
	v_mov_b32_e32 v15, 0
	s_waitcnt lgkmcnt(2)
	v_mfma_f32_16x16x16_bf16 a[0:3], v[2:3], v[4:5], a[0:3]
	v_mov_b32_e32 v4, 0
	v_mov_b32_e32 v5, 0
	v_mfma_f32_16x16x16_bf16 a[16:19], v[2:3], v[8:9], a[4:7]
	v_mov_b32_e32 v8, 0
	v_mov_b32_e32 v9, 0
	;; [unrolled: 3-line block ×3, first 2 shown]
	v_mfma_f32_16x16x16_bf16 a[24:27], v[2:3], v[16:17], a[12:15]
	ds_read_b64 v[2:3], v128 offset:6144
	v_mov_b32_e32 v16, 0
	v_mov_b32_e32 v17, 0
	s_waitcnt lgkmcnt(2)
	v_mfma_f32_16x16x16_bf16 a[4:7], v[6:7], v[20:21], a[0:3]
	v_mfma_f32_16x16x16_bf16 a[8:11], v[6:7], v[18:19], a[16:19]
	s_waitcnt lgkmcnt(0)
	v_mfma_f32_16x16x16_bf16 a[12:15], v[6:7], v[2:3], a[20:23]
	v_mov_b32_e32 v2, 0
	v_mov_b32_e32 v3, 0
	v_mfma_f32_16x16x16_bf16 a[0:3], v[6:7], v[10:11], a[24:27]
	v_mov_b32_e32 v6, 0
	v_mov_b32_e32 v7, 0
	;; [unrolled: 1-line block ×4, first 2 shown]
	s_cbranch_vccnz .LBB90_12
; %bb.11:                               ;   in Loop: Header=BB90_6 Depth=1
	s_and_b32 s21, s21, 0xffff
	buffer_load_dwordx4 v[14:17], v104, s[20:23], 0 offen
	buffer_load_dwordx4 v[10:13], v104, s[20:23], s65 offen
	;; [unrolled: 1-line block ×4, first 2 shown]
	v_mov_b32_e32 v155, v106
	v_mov_b32_e32 v154, v107
.LBB90_12:                              ;   in Loop: Header=BB90_6 Depth=1
	ds_read_b64 v[34:35], v124 offset:57344
	ds_read2_b64 v[18:21], v132 offset1:16
	ds_read_b64 v[36:37], v126 offset:57344
	ds_read_b64 v[38:39], v130 offset:57344
	;; [unrolled: 1-line block ×3, first 2 shown]
	v_add_u32_e32 v42, s66, v100
	s_waitcnt lgkmcnt(3)
	v_mfma_f32_16x16x16_bf16 a[4:7], v[34:35], v[18:19], a[4:7]
	v_mfma_f32_16x16x16_bf16 a[8:11], v[34:35], v[20:21], a[8:11]
	ds_read2_b64 v[18:21], v132 offset0:32 offset1:48
	ds_read2st64_b64 v[22:25], v132 offset0:4 offset1:8
	ds_read2st64_b64 v[26:29], v133 offset0:4 offset1:8
	;; [unrolled: 1-line block ×3, first 2 shown]
	s_waitcnt lgkmcnt(3)
	v_mfma_f32_16x16x16_bf16 a[12:15], v[34:35], v[18:19], a[12:15]
	v_ashrrev_i32_e32 v18, 31, v42
	v_mfma_f32_16x16x16_bf16 a[0:3], v[34:35], v[20:21], a[0:3]
	v_mul_lo_u32 v20, v18, s30
	v_mul_lo_u32 v21, v42, s31
	v_mad_u64_u32 v[18:19], s[20:21], v42, s30, 0
	v_add3_u32 v19, v19, v21, v20
	v_add_u32_e32 v20, 1, v42
	v_ashrrev_i32_e32 v21, 31, v20
	s_waitcnt lgkmcnt(2)
	v_mfma_f32_16x16x16_bf16 a[4:7], v[36:37], v[22:23], a[4:7]
	v_mul_lo_u32 v22, v21, s30
	v_mul_lo_u32 v23, v20, s31
	v_mad_u64_u32 v[20:21], s[20:21], v20, s30, 0
	v_add3_u32 v21, v21, v23, v22
	v_add_u32_e32 v22, 2, v42
	v_ashrrev_i32_e32 v23, 31, v22
	s_waitcnt lgkmcnt(1)
	v_mfma_f32_16x16x16_bf16 a[8:11], v[36:37], v[26:27], a[8:11]
	v_mul_lo_u32 v26, v23, s30
	v_mul_lo_u32 v27, v22, s31
	v_mad_u64_u32 v[22:23], s[20:21], v22, s30, 0
	v_lshl_add_u64 v[18:19], v[18:19], 2, s[44:45]
	v_add3_u32 v23, v23, v27, v26
	v_add_u32_e32 v26, 3, v42
	v_ashrrev_i32_e32 v27, 31, v26
	global_load_dword v35, v[18:19], off
	v_mad_u64_u32 v[18:19], s[20:21], v26, s30, 0
	v_mul_lo_u32 v27, v27, s30
	v_mul_lo_u32 v34, v26, s31
	s_add_u32 s20, s42, s66
	v_add3_u32 v19, v19, v34, v27
	s_addc_u32 s21, s43, 0
	v_lshl_add_u64 v[20:21], v[20:21], 2, s[44:45]
	v_lshl_add_u64 v[22:23], v[22:23], 2, s[44:45]
	;; [unrolled: 1-line block ×3, first 2 shown]
	s_lshl_b64 s[20:21], s[20:21], 8
	global_load_dword v34, v[20:21], off
	global_load_dword v42, v[22:23], off
	;; [unrolled: 1-line block ×3, first 2 shown]
	v_lshl_add_u64 v[18:19], v[92:93], 0, s[20:21]
	v_lshl_add_u64 v[22:23], v[18:19], 0, v[90:91]
	global_load_ushort v44, v[22:23], off offset:256
	global_load_ushort v157, v[22:23], off
	ds_read2st64_b64 v[18:21], v135 offset0:4 offset1:8
	global_load_ushort v158, v[22:23], off offset:768
	global_load_ushort v159, v[22:23], off offset:512
	s_waitcnt lgkmcnt(1)
	v_mfma_f32_16x16x16_bf16 a[12:15], v[36:37], v[30:31], a[12:15]
	s_and_b64 vcc, exec, s[0:1]
	s_waitcnt vmcnt(3)
	v_lshlrev_b32_e32 v31, 16, v44
	s_waitcnt lgkmcnt(0)
	v_mfma_f32_16x16x16_bf16 a[0:3], v[36:37], v[18:19], a[0:3]
	global_load_ushort v36, v[22:23], off offset:288
	global_load_ushort v37, v[22:23], off offset:32
	;; [unrolled: 1-line block ×8, first 2 shown]
	v_mfma_f32_16x16x16_bf16 a[4:7], v[38:39], v[24:25], a[4:7]
	ds_read_b64 v[18:19], v132 offset:6144
	s_waitcnt vmcnt(10)
	v_lshlrev_b32_e32 v30, 16, v157
	v_mov_b32_e32 v157, 0
	v_mfma_f32_16x16x16_bf16 a[8:11], v[38:39], v[28:29], a[8:11]
	v_mfma_f32_16x16x16_bf16 a[12:15], v[38:39], v[32:33], a[12:15]
	;; [unrolled: 1-line block ×3, first 2 shown]
	global_load_ushort v38, v[22:23], off offset:352
	global_load_ushort v39, v[22:23], off offset:96
	ds_read_b64 v[20:21], v133 offset:6144
	ds_read_b64 v[24:25], v134 offset:6144
	;; [unrolled: 1-line block ×3, first 2 shown]
	global_load_ushort v166, v[22:23], off offset:864
	global_load_ushort v167, v[22:23], off offset:608
	s_load_dword s20, s[46:47], 0x0
	s_waitcnt lgkmcnt(0)
	v_mfma_f32_16x16x16_bf16 a[4:7], v[40:41], v[18:19], a[4:7]
	v_sub_f32_e32 v28, s20, v42
	v_mfma_f32_16x16x16_bf16 a[0:3], v[40:41], v[26:27], a[0:3]
	v_sub_f32_e32 v26, s20, v35
	v_sub_f32_e32 v27, s20, v34
	;; [unrolled: 1-line block ×3, first 2 shown]
	v_mul_f32_e32 v26, 0x3fb8aa3b, v26
	v_mul_f32_e32 v27, 0x3fb8aa3b, v27
	;; [unrolled: 1-line block ×4, first 2 shown]
	v_mfma_f32_16x16x16_bf16 a[8:11], v[40:41], v[20:21], a[8:11]
	v_exp_f32_e32 v26, v26
	v_exp_f32_e32 v27, v27
	;; [unrolled: 1-line block ×4, first 2 shown]
	v_accvgpr_read_b32 v33, a5
	v_accvgpr_read_b32 v32, a4
	;; [unrolled: 1-line block ×4, first 2 shown]
	v_pk_add_f32 v[30:31], v[30:31], v[32:33] neg_lo:[0,1] neg_hi:[0,1]
	s_waitcnt vmcnt(13)
	v_lshlrev_b32_e32 v33, 16, v158
	s_waitcnt vmcnt(12)
	v_lshlrev_b32_e32 v32, 16, v159
	v_pk_add_f32 v[18:19], v[32:33], v[18:19] neg_lo:[0,1] neg_hi:[0,1]
	v_pk_mul_f32 v[30:31], v[26:27], v[30:31]
	v_pk_mul_f32 v[18:19], v[28:29], v[18:19]
	v_accvgpr_read_b32 v33, a9
	v_perm_b32 v19, v19, v18, s35
	v_perm_b32 v18, v31, v30, s35
	v_accvgpr_read_b32 v32, a8
	v_accvgpr_read_b32 v21, a11
	v_mfma_f32_16x16x16_bf16 a[12:15], v[40:41], v[24:25], a[12:15]
	v_accvgpr_read_b32 v20, a10
	v_accvgpr_read_b32 v25, a3
	;; [unrolled: 1-line block ×3, first 2 shown]
	s_waitcnt vmcnt(11)
	v_lshlrev_b32_e32 v31, 16, v36
	s_waitcnt vmcnt(10)
	v_lshlrev_b32_e32 v30, 16, v37
	v_pk_add_f32 v[30:31], v[30:31], v[32:33] neg_lo:[0,1] neg_hi:[0,1]
	s_waitcnt vmcnt(9)
	v_lshlrev_b32_e32 v33, 16, v160
	s_waitcnt vmcnt(8)
	v_lshlrev_b32_e32 v32, 16, v161
	v_pk_add_f32 v[20:21], v[32:33], v[20:21] neg_lo:[0,1] neg_hi:[0,1]
	v_pk_mul_f32 v[30:31], v[26:27], v[30:31]
	v_pk_mul_f32 v[20:21], v[28:29], v[20:21]
	v_accvgpr_read_b32 v23, a15
	v_perm_b32 v21, v21, v20, s35
	v_perm_b32 v20, v31, v30, s35
	ds_write2_b64 v109, v[18:19], v[20:21] offset1:16
	v_accvgpr_read_b32 v21, a13
	s_waitcnt vmcnt(7)
	v_lshlrev_b32_e32 v19, 16, v162
	s_waitcnt vmcnt(6)
	v_lshlrev_b32_e32 v18, 16, v163
	v_accvgpr_read_b32 v20, a12
	v_accvgpr_read_b32 v22, a14
	v_pk_add_f32 v[18:19], v[18:19], v[20:21] neg_lo:[0,1] neg_hi:[0,1]
	s_waitcnt vmcnt(5)
	v_lshlrev_b32_e32 v21, 16, v164
	s_waitcnt vmcnt(4)
	v_lshlrev_b32_e32 v20, 16, v165
	v_pk_add_f32 v[20:21], v[20:21], v[22:23] neg_lo:[0,1] neg_hi:[0,1]
	v_pk_mul_f32 v[18:19], v[26:27], v[18:19]
	v_pk_mul_f32 v[20:21], v[28:29], v[20:21]
	v_accvgpr_read_b32 v23, a1
	v_perm_b32 v21, v21, v20, s35
	v_perm_b32 v20, v19, v18, s35
	s_waitcnt vmcnt(3)
	v_lshlrev_b32_e32 v19, 16, v38
	s_waitcnt vmcnt(2)
	v_lshlrev_b32_e32 v18, 16, v39
	v_accvgpr_read_b32 v22, a0
	v_pk_add_f32 v[18:19], v[18:19], v[22:23] neg_lo:[0,1] neg_hi:[0,1]
	s_waitcnt vmcnt(1)
	v_lshlrev_b32_e32 v23, 16, v166
	s_waitcnt vmcnt(0)
	v_lshlrev_b32_e32 v22, 16, v167
	v_pk_add_f32 v[22:23], v[22:23], v[24:25] neg_lo:[0,1] neg_hi:[0,1]
	v_pk_mul_f32 v[18:19], v[26:27], v[18:19]
	v_pk_mul_f32 v[22:23], v[28:29], v[22:23]
	v_mov_b32_e32 v24, 0
	v_perm_b32 v23, v23, v22, s35
	v_perm_b32 v22, v19, v18, s35
	ds_write2_b64 v109, v[20:21], v[22:23] offset0:32 offset1:48
	v_mov_b32_e32 v18, 0
	v_mov_b32_e32 v19, 0
	;; [unrolled: 1-line block ×15, first 2 shown]
	s_cbranch_vccnz .LBB90_14
; %bb.13:                               ;   in Loop: Header=BB90_6 Depth=1
	s_and_b32 s25, s25, 0xffff
	s_mov_b32 s27, s23
	buffer_load_dwordx4 v[30:33], v142, s[24:27], 0 offen
	buffer_load_dwordx4 v[22:25], v142, s[24:27], s65 offen
	;; [unrolled: 1-line block ×4, first 2 shown]
	v_mov_b32_e32 v156, v103
	v_mov_b32_e32 v157, v102
.LBB90_14:                              ;   in Loop: Header=BB90_6 Depth=1
	s_waitcnt lgkmcnt(0)
	s_barrier
	ds_read_b64 v[42:43], v145
	ds_read2_b64 v[34:37], v138 offset1:16
	ds_read_b64 v[174:175], v146
	ds_read_b64 v[176:177], v147
	;; [unrolled: 1-line block ×3, first 2 shown]
	ds_read2_b64 v[38:41], v138 offset0:32 offset1:48
	ds_read2st64_b64 v[158:161], v138 offset0:4 offset1:8
	ds_read2st64_b64 v[162:165], v139 offset0:4 offset1:8
	;; [unrolled: 1-line block ×4, first 2 shown]
	s_waitcnt lgkmcnt(8)
	v_mfma_f32_16x16x16_bf16 a[0:3], v[42:43], v[34:35], 0
	s_add_i32 s21, s60, s72
	s_mul_hi_i32 s25, s21, s13
	s_mul_i32 s21, s21, s13
	v_mfma_f32_16x16x16_bf16 a[4:7], v[42:43], v[36:37], 0
	s_add_u32 s24, s21, s33
	s_addc_u32 s25, s25, s48
	s_add_i32 s21, s3, s66
	s_waitcnt lgkmcnt(4)
	v_mfma_f32_16x16x16_bf16 a[8:11], v[42:43], v[38:39], 0
	s_lshl_b64 s[24:25], s[24:25], 15
	s_mul_hi_i32 s27, s21, s13
	s_mul_i32 s21, s21, s13
	v_mfma_f32_16x16x16_bf16 a[12:15], v[42:43], v[40:41], 0
	ds_read_b64 v[42:43], v138 offset:6144
	ds_read_b64 v[186:187], v139 offset:6144
	ds_read_b64 v[188:189], v140 offset:6144
	ds_read_b64 v[190:191], v141 offset:6144
	s_add_u32 s46, s21, s33
	s_waitcnt lgkmcnt(7)
	v_mfma_f32_16x16x16_bf16 a[0:3], v[174:175], v[158:159], a[0:3]
	s_addc_u32 s47, s27, s48
	s_lshl_b64 s[46:47], s[46:47], 9
	s_add_u32 s46, s16, s46
	s_waitcnt lgkmcnt(6)
	v_mfma_f32_16x16x16_bf16 a[4:7], v[174:175], v[162:163], a[4:7]
	s_addc_u32 s47, s17, s47
	v_lshl_add_u64 v[196:197], v[94:95], 0, s[24:25]
	s_waitcnt lgkmcnt(5)
	v_mfma_f32_16x16x16_bf16 a[8:11], v[174:175], v[166:167], a[8:11]
	s_waitcnt lgkmcnt(4)
	v_mfma_f32_16x16x16_bf16 a[12:15], v[174:175], v[170:171], a[12:15]
	ds_read_b64 v[174:175], v150
	ds_read_b64 v[184:185], v151
	;; [unrolled: 1-line block ×3, first 2 shown]
	s_waitcnt lgkmcnt(2)
	v_mfma_f32_16x16x16_bf16 a[16:19], v[174:175], v[34:35], 0
	v_mfma_f32_16x16x16_bf16 a[20:23], v[174:175], v[36:37], 0
	global_load_dwordx4 v[34:37], v149, s[46:47]
	v_mfma_f32_16x16x16_bf16 a[24:27], v[174:175], v[38:39], 0
	v_mfma_f32_16x16x16_bf16 a[28:31], v[174:175], v[40:41], 0
	global_load_dwordx4 v[38:41], v89, s[46:47]
	v_mfma_f32_16x16x16_bf16 a[0:3], v[176:177], v[160:161], a[0:3]
	v_mfma_f32_16x16x16_bf16 a[4:7], v[176:177], v[164:165], a[4:7]
	;; [unrolled: 1-line block ×8, first 2 shown]
	ds_read2st64_b64 v[174:177], v136 offset1:8
	ds_read2st64_b64 v[178:181], v137 offset1:8
	ds_read_b64 v[194:195], v144 offset:40960
	s_waitcnt lgkmcnt(2)
	v_mov_b32_e32 v182, v174
	v_mfma_f32_16x16x16_bf16 a[16:19], v[184:185], v[158:159], a[16:19]
	v_mov_b32_e32 v183, v175
	v_mfma_f32_16x16x16_bf16 a[20:23], v[184:185], v[162:163], a[20:23]
	v_mfma_f32_16x16x16_bf16 a[24:27], v[184:185], v[166:167], a[24:27]
	;; [unrolled: 1-line block ×3, first 2 shown]
	v_add_co_u32_e32 v170, vcc, s37, v196
	s_waitcnt lgkmcnt(1)
	v_mov_b32_e32 v184, v178
	s_waitcnt lgkmcnt(0)
	v_mfma_f32_16x16x16_bf16 a[16:19], v[194:195], v[160:161], a[16:19]
	ds_read2st64_b64 v[158:161], v136 offset0:16 offset1:24
	v_addc_co_u32_e32 v171, vcc, 0, v197, vcc
	v_mfma_f32_16x16x16_bf16 a[20:23], v[194:195], v[164:165], a[20:23]
	ds_read2st64_b64 v[162:165], v137 offset0:16 offset1:24
	v_mov_b32_e32 v185, v179
	v_mov_b32_e32 v178, v176
	v_mfma_f32_16x16x16_bf16 a[32:35], v[194:195], v[168:169], a[24:27]
	v_mov_b32_e32 v179, v177
	s_waitcnt lgkmcnt(0)
	v_mov_b32_e32 v168, v162
	v_mov_b32_e32 v169, v163
	v_mfma_f32_16x16x16_bf16 a[36:39], v[194:195], v[172:173], a[28:31]
	v_mov_b32_e32 v162, v160
	v_mov_b32_e32 v163, v161
	;; [unrolled: 1-line block ×3, first 2 shown]
	v_mfma_f32_16x16x16_bf16 a[24:27], v[192:193], v[42:43], a[16:19]
	v_add_co_u32_e32 v42, vcc, s70, v196
	v_mov_b32_e32 v167, v159
	v_mfma_f32_16x16x16_bf16 a[28:31], v[192:193], v[186:187], a[20:23]
	v_addc_co_u32_e32 v43, vcc, 0, v197, vcc
	global_store_dwordx4 v[42:43], v[162:165], off
	v_mfma_f32_16x16x16_bf16 a[16:19], v[192:193], v[188:189], a[32:35]
	s_waitcnt vmcnt(2)
	v_mov_b32_e32 v44, v37
	v_mov_b32_e32 v43, v36
	;; [unrolled: 1-line block ×3, first 2 shown]
	v_mfma_f32_16x16x16_bf16 a[20:23], v[192:193], v[190:191], a[36:39]
	s_and_b64 vcc, exec, s[0:1]
	global_store_dwordx4 v[196:197], v[182:185], off
	global_store_dwordx4 v[170:171], v[178:181], off offset:-4096
	global_store_dwordx4 v[170:171], v[166:169], off
	s_cbranch_vccnz .LBB90_16
; %bb.15:                               ;   in Loop: Header=BB90_6 Depth=1
	v_lshrrev_b32_e32 v35, 3, v156
	v_and_b32_e32 v35, 6, v35
	v_xor_b32_e32 v36, v35, v157
	v_lshlrev_b32_e32 v36, 2, v36
	v_and_b32_e32 v37, 8, v156
	v_xor_b32_e32 v156, 0x440, v36
	v_cmp_eq_u32_e32 vcc, 0, v37
	v_perm_b32 v37, v22, v18, s67
	s_nop 0
	v_cndmask_b32_e32 v36, v156, v36, vcc
	v_lshl_or_b32 v35, v35, 10, v36
	v_perm_b32 v36, v30, v26, s67
	s_barrier
	ds_write2st64_b32 v35, v36, v37 offset0:128 offset1:160
	v_xor_b32_e32 v36, 8, v35
	v_perm_b32 v26, v30, v26, s68
	v_perm_b32 v18, v22, v18, s68
	v_add_u32_e32 v22, 0x80, v36
	ds_write2st64_b32 v22, v26, v18 offset0:128 offset1:160
	v_xor_b32_e32 v18, 16, v35
	v_perm_b32 v22, v31, v27, s67
	v_perm_b32 v26, v23, v19, s67
	ds_write2st64_b32 v18, v22, v26 offset0:129 offset1:161
	v_xor_b32_e32 v18, 24, v35
	v_perm_b32 v22, v31, v27, s68
	v_perm_b32 v19, v23, v19, s68
	v_add_u32_e32 v18, 0x80, v18
	ds_write2st64_b32 v18, v22, v19 offset0:129 offset1:161
	v_xor_b32_e32 v18, 32, v35
	v_perm_b32 v19, v32, v28, s67
	v_perm_b32 v22, v24, v20, s67
	;; [unrolled: 9-line block ×3, first 2 shown]
	ds_write2st64_b32 v18, v19, v20 offset0:131 offset1:163
	v_xor_b32_e32 v18, 56, v35
	v_perm_b32 v19, v33, v29, s68
	v_perm_b32 v20, v25, v21, s68
	v_add_u32_e32 v18, 0x80, v18
	ds_write2st64_b32 v18, v19, v20 offset0:131 offset1:163
	ds_write_b64 v155, v[14:15] offset:49152
	v_xor_b32_e32 v14, 8, v155
	ds_write_b64 v14, v[16:17] offset:49152
	ds_write_b64 v155, v[10:11] offset:57344
	ds_write_b64 v14, v[12:13] offset:57344
	ds_write_b64 v154, v[6:7] offset:49152
	v_xor_b32_e32 v6, 8, v154
	ds_write_b64 v6, v[8:9] offset:49152
	ds_write_b64 v154, v[2:3] offset:57344
	;; [unrolled: 1-line block ×3, first 2 shown]
.LBB90_16:                              ;   in Loop: Header=BB90_6 Depth=1
	v_mul_f32_e32 v26, s20, v153
	v_exp_f32_e32 v36, v26
	s_waitcnt vmcnt(4)
	v_mul_f32_e32 v26, 0x3fb8aa3b, v38
	v_exp_f32_e32 v38, v26
	v_mul_f32_e32 v26, 0x3fb8aa3b, v39
	v_exp_f32_e32 v39, v26
	;; [unrolled: 2-line block ×4, first 2 shown]
	v_accvgpr_read_b32 v5, a3
	v_accvgpr_read_b32 v4, a2
	;; [unrolled: 1-line block ×4, first 2 shown]
	v_pk_mul_f32 v[38:39], v[36:37], v[38:39] op_sel_hi:[0,1]
	v_pk_mul_f32 v[40:41], v[36:37], v[40:41] op_sel_hi:[0,1]
	v_pk_fma_f32 v[82:83], v[82:83], v[38:39], v[2:3]
	v_pk_fma_f32 v[86:87], v[86:87], v[40:41], v[4:5]
	v_mul_f32_e32 v2, 0x3fb8aa3b, v34
	v_mul_f32_e32 v3, 0x3fb8aa3b, v42
	;; [unrolled: 1-line block ×4, first 2 shown]
	v_exp_f32_e32 v2, v2
	v_exp_f32_e32 v3, v3
	;; [unrolled: 1-line block ×4, first 2 shown]
	v_accvgpr_read_b32 v9, a7
	v_accvgpr_read_b32 v13, a11
	;; [unrolled: 1-line block ×28, first 2 shown]
	v_pk_mul_f32 v[2:3], v[36:37], v[2:3] op_sel_hi:[0,1]
	v_pk_mul_f32 v[4:5], v[36:37], v[4:5] op_sel_hi:[0,1]
	s_add_i32 s66, s66, 64
	v_pk_fma_f32 v[74:75], v[38:39], v[74:75], v[6:7]
	v_pk_fma_f32 v[78:79], v[40:41], v[78:79], v[8:9]
	;; [unrolled: 1-line block ×13, first 2 shown]
	s_cmp_eq_u32 s57, s71
	v_pk_fma_f32 v[60:61], v[4:5], v[60:61], v[32:33]
	s_cbranch_scc1 .LBB90_18
; %bb.17:                               ;   in Loop: Header=BB90_6 Depth=1
	s_mov_b32 s72, s71
	s_branch .LBB90_6
.LBB90_18:
	s_lshl_b32 s43, s57, 6
	s_sub_i32 s46, s12, s43
	s_cmp_gt_i32 s46, 0
	s_cbranch_scc0 .LBB90_99
; %bb.19:
	s_ashr_i32 s3, s43, 31
	s_cmpk_lg_i32 s15, 0x80
	s_cselect_b64 s[26:27], -1, 0
	s_and_b64 vcc, exec, s[26:27]
	s_cbranch_vccz .LBB90_21
; %bb.20:
	s_mul_hi_i32 s0, s56, s12
	s_add_u32 s1, s49, s43
	s_addc_u32 s0, s0, s3
	s_mul_i32 s20, s1, s58
	s_mul_hi_u32 s21, s1, s14
	s_add_i32 s20, s21, s20
	s_mul_i32 s0, s0, s14
	s_add_i32 s20, s20, s0
	s_mul_i32 s1, s1, s14
	s_ashr_i32 s0, s59, 31
	s_add_u32 s44, s1, s59
	s_addc_u32 s45, s20, s0
	s_cbranch_execz .LBB90_22
	s_branch .LBB90_23
.LBB90_21:
                                        ; implicit-def: $sgpr44_sgpr45
.LBB90_22:
	s_mul_hi_i32 s0, s56, s14
	s_mul_i32 s56, s56, s14
	s_ashr_i32 s1, s59, 31
	s_add_u32 s14, s56, s59
	s_addc_u32 s0, s0, s1
	s_mul_i32 s1, s14, s55
	s_mul_hi_u32 s20, s14, s12
	s_add_i32 s1, s20, s1
	s_mul_i32 s0, s0, s12
	s_add_i32 s1, s1, s0
	s_mul_i32 s14, s14, s12
	s_add_u32 s44, s14, s43
	s_addc_u32 s45, s1, s3
.LBB90_23:
	s_mul_i32 s0, s40, s55
	s_add_i32 s0, s62, s0
	s_add_i32 s14, s60, s57
	;; [unrolled: 1-line block ×3, first 2 shown]
	s_add_u32 s0, s42, s43
	v_lshlrev_b32_e32 v6, 6, v100
	v_lshlrev_b32_e32 v24, 2, v97
	s_addc_u32 s1, s1, s3
	s_mov_b32 s3, 0x7060302
	v_or_b32_e32 v9, v6, v24
	v_xor_b32_e32 v7, v100, v24
	v_perm_b32 v3, v87, v86, s3
	v_perm_b32 v2, v83, v82, s3
	;; [unrolled: 1-line block ×4, first 2 shown]
	v_lshlrev_b32_e32 v9, 1, v9
	v_xor_b32_e32 v8, v101, v24
	ds_write2st64_b64 v9, v[2:3], v[4:5] offset0:32 offset1:48
	v_lshlrev_b32_e32 v7, 1, v7
	v_lshlrev_b32_e32 v9, 8, v97
	v_or_b32_e32 v10, v7, v9
	v_lshlrev_b32_e32 v8, 1, v8
	ds_write_b64 v10, v[2:3]
	v_or_b32_e32 v2, v8, v9
	v_or_b32_e32 v9, 16, v97
	v_lshlrev_b32_e32 v23, 2, v9
	v_or_b32_e32 v10, v6, v23
	ds_write_b64 v2, v[4:5]
	v_perm_b32 v3, v79, v78, s3
	v_perm_b32 v2, v75, v74, s3
	v_perm_b32 v5, v77, v76, s3
	v_perm_b32 v4, v73, v72, s3
	v_lshlrev_b32_e32 v10, 1, v10
	v_lshlrev_b32_e32 v9, 8, v9
	ds_write2st64_b64 v10, v[2:3], v[4:5] offset0:32 offset1:48
	v_or_b32_e32 v10, v7, v9
	ds_write_b64 v10, v[2:3]
	v_or_b32_e32 v2, v8, v9
	v_or_b32_e32 v9, 32, v97
	v_lshlrev_b32_e32 v22, 2, v9
	v_or_b32_e32 v10, v6, v22
	ds_write_b64 v2, v[4:5]
	v_perm_b32 v3, v71, v70, s3
	v_perm_b32 v2, v67, v66, s3
	;; [unrolled: 1-line block ×4, first 2 shown]
	v_lshlrev_b32_e32 v10, 1, v10
	v_lshlrev_b32_e32 v9, 8, v9
	s_lshl_b64 s[24:25], s[0:1], 8
	ds_write2st64_b64 v10, v[2:3], v[4:5] offset0:32 offset1:48
	v_or_b32_e32 v10, v7, v9
	s_add_u32 s0, s6, s24
	ds_write_b64 v10, v[2:3]
	v_or_b32_e32 v2, v8, v9
	s_addc_u32 s1, s7, s25
	ds_write_b64 v2, v[4:5]
	v_perm_b32 v3, v63, v62, s3
	v_perm_b32 v2, v59, v58, s3
	;; [unrolled: 1-line block ×4, first 2 shown]
	v_or_b32_e32 v9, 48, v97
	s_mul_hi_i32 s3, s14, s13
	s_mul_i32 s14, s14, s13
	v_lshlrev_b32_e32 v19, 2, v9
	s_add_u32 s6, s14, s33
	v_or_b32_e32 v6, v6, v19
	s_addc_u32 s7, s3, s48
	v_lshlrev_b32_e32 v6, 1, v6
	s_ashr_i32 s3, s2, 31
	s_lshl_b64 s[6:7], s[6:7], 15
	ds_write2st64_b64 v6, v[2:3], v[4:5] offset0:32 offset1:48
	v_lshlrev_b32_e32 v6, 8, v9
	s_add_u32 s6, s38, s6
	v_or_b32_e32 v7, v7, v6
	s_addc_u32 s7, s39, s7
	s_lshl_b64 s[2:3], s[2:3], 8
	ds_write_b64 v7, v[2:3]
	v_or_b32_e32 v2, v8, v6
	s_add_u32 s2, s6, s2
	v_lshlrev_b32_e32 v3, 1, v97
	ds_write_b64 v2, v[4:5]
	v_lshrrev_b32_e32 v2, 4, v0
	s_addc_u32 s3, s7, s3
	v_or_b32_e32 v4, 1, v3
	v_lshlrev_b32_e32 v10, 4, v97
	v_mov_b32_e32 v11, 0
	v_xor_b32_e32 v3, v2, v3
	v_xor_b32_e32 v6, v4, v2
	v_lshl_add_u64 v[12:13], s[2:3], 0, v[10:11]
	v_lshlrev_b32_e32 v10, 8, v2
	v_lshl_or_b32 v16, v3, 3, v10
	v_lshl_or_b32 v17, v6, 3, v10
	s_waitcnt lgkmcnt(0)
	s_barrier
	ds_read2st64_b64 v[2:5], v16 offset1:8
	ds_read2st64_b64 v[6:9], v17 offset1:8
	v_lshl_add_u64 v[14:15], v[12:13], 0, v[10:11]
	s_movk_i32 s2, 0x2000
	s_cmp_lg_u32 s46, 64
	s_waitcnt lgkmcnt(1)
	v_mov_b32_e32 v10, v2
	v_mov_b32_e32 v11, v3
	s_waitcnt lgkmcnt(0)
	v_mov_b32_e32 v12, v6
	v_mov_b32_e32 v13, v7
	global_store_dwordx4 v[14:15], v[10:13], off
	v_mov_b32_e32 v6, v4
	v_mov_b32_e32 v7, v5
	ds_read2st64_b64 v[2:5], v16 offset0:16 offset1:24
	ds_read2st64_b64 v[10:13], v17 offset0:16 offset1:24
	v_add_co_u32_e32 v16, vcc, s2, v14
	s_cselect_b64 s[6:7], -1, 0
	s_nop 0
	v_addc_co_u32_e32 v17, vcc, 0, v15, vcc
	global_store_dwordx4 v[16:17], v[6:9], off offset:-4096
	v_lshl_or_b32 v30, v1, 3, v99
	s_mov_b32 s20, 0
	s_waitcnt lgkmcnt(1)
	v_mov_b32_e32 v6, v2
	v_add_co_u32_e32 v2, vcc, 0x3000, v14
	v_mov_b32_e32 v7, v3
	s_nop 0
	v_addc_co_u32_e32 v3, vcc, 0, v15, vcc
	s_waitcnt lgkmcnt(0)
	v_mov_b32_e32 v8, v10
	v_mov_b32_e32 v9, v11
	;; [unrolled: 1-line block ×4, first 2 shown]
	v_or_b32_e32 v20, 32, v30
	v_and_b32_e32 v18, 56, v98
	s_and_b64 vcc, exec, s[6:7]
	global_store_dwordx4 v[16:17], v[6:9], off
	global_store_dwordx4 v[2:3], v[10:13], off
	s_cbranch_vccz .LBB90_29
; %bb.24:
	s_mov_b32 s21, s20
	s_mov_b32 s22, s20
	;; [unrolled: 1-line block ×3, first 2 shown]
	v_mov_b64_e32 v[6:7], s[20:21]
	v_mov_b64_e32 v[8:9], s[22:23]
	;; [unrolled: 1-line block ×3, first 2 shown]
	v_cmp_gt_i32_e32 vcc, s46, v30
	v_mov_b64_e32 v[4:5], v[8:9]
	s_and_saveexec_b64 s[2:3], vcc
	s_cbranch_execz .LBB90_26
; %bb.25:
	v_lshlrev_b32_e32 v2, 8, v30
	v_mov_b32_e32 v3, 0
	v_lshl_add_u64 v[4:5], s[0:1], 0, v[2:3]
	v_lshlrev_b32_e32 v2, 1, v18
	v_lshl_add_u64 v[10:11], v[4:5], 0, v[2:3]
	global_load_dwordx4 v[6:9], v[10:11], off
	global_load_dwordx4 v[2:5], v[10:11], off offset:128
.LBB90_26:
	s_or_b64 exec, exec, s[2:3]
	s_mov_b32 s21, s20
	s_mov_b32 s22, s20
	s_mov_b32 s23, s20
	v_mov_b64_e32 v[14:15], s[20:21]
	v_mov_b64_e32 v[16:17], s[22:23]
	;; [unrolled: 1-line block ×3, first 2 shown]
	v_cmp_gt_i32_e32 vcc, s46, v20
	v_lshlrev_b32_e32 v21, 7, v20
	v_mov_b64_e32 v[12:13], v[16:17]
	s_and_saveexec_b64 s[2:3], vcc
	s_cbranch_execz .LBB90_28
; %bb.27:
	v_lshlrev_b32_e32 v10, 1, v21
	v_mov_b32_e32 v11, 0
	v_lshl_add_u64 v[12:13], s[0:1], 0, v[10:11]
	v_lshlrev_b32_e32 v10, 1, v18
	v_lshl_add_u64 v[26:27], v[12:13], 0, v[10:11]
	global_load_dwordx4 v[14:17], v[26:27], off
	global_load_dwordx4 v[10:13], v[26:27], off offset:128
.LBB90_28:
	s_or_b64 exec, exec, s[2:3]
	v_lshrrev_b32_e32 v25, 3, v18
	v_lshlrev_b32_e32 v26, 3, v30
	v_or_b32_e32 v25, v26, v25
	v_lshlrev_b32_e32 v25, 4, v25
	v_and_b32_e32 v26, 0x78, v26
	v_xor_b32_e32 v25, v25, v26
	s_branch .LBB90_31
.LBB90_29:
                                        ; implicit-def: $vgpr25
                                        ; implicit-def: $vgpr21
                                        ; implicit-def: $vgpr6_vgpr7_vgpr8_vgpr9
                                        ; implicit-def: $vgpr2_vgpr3_vgpr4_vgpr5
                                        ; implicit-def: $vgpr14_vgpr15_vgpr16_vgpr17
                                        ; implicit-def: $vgpr10_vgpr11_vgpr12_vgpr13
	s_cbranch_execz .LBB90_31
; %bb.30:
	s_waitcnt vmcnt(0)
	v_lshlrev_b32_e32 v2, 1, v18
	v_lshl_or_b32 v21, v30, 8, v2
	s_and_b32 s1, s1, 0xffff
	s_mov_b32 s3, 0x20000
	s_movk_i32 s2, 0x4000
	v_lshl_or_b32 v25, v20, 8, v2
	s_movk_i32 s14, 0x80
	buffer_load_dwordx4 v[6:9], v21, s[0:3], 0 offen
	buffer_load_dwordx4 v[2:5], v21, s[0:3], s14 offen
	;; [unrolled: 1-line block ×4, first 2 shown]
	v_lshrrev_b32_e32 v21, 3, v18
	v_lshlrev_b32_e32 v25, 3, v30
	v_or_b32_e32 v21, v25, v21
	v_lshlrev_b32_e32 v21, 4, v21
	v_and_b32_e32 v25, 0x78, v25
	v_xor_b32_e32 v25, v21, v25
	v_lshlrev_b32_e32 v21, 7, v20
.LBB90_31:
	s_movk_i32 s0, 0x1000
	v_and_or_b32 v20, v21, s0, v25
	s_waitcnt vmcnt(1)
	ds_write_b64 v25, v[6:7] offset:49152
	v_xor_b32_e32 v6, 8, v25
	ds_write_b64 v6, v[8:9] offset:49152
	s_waitcnt vmcnt(0)
	ds_write_b64 v25, v[2:3] offset:57344
	ds_write_b64 v6, v[4:5] offset:57344
	;; [unrolled: 1-line block ×3, first 2 shown]
	v_xor_b32_e32 v2, 8, v20
	ds_write_b64 v2, v[16:17] offset:49152
	ds_write_b64 v20, v[10:11] offset:57344
	;; [unrolled: 1-line block ×3, first 2 shown]
	v_or_b32_e32 v2, v45, v97
	v_lshlrev_b32_e32 v2, 3, v2
	v_lshrrev_b32_e32 v3, 5, v47
	s_movk_i32 s0, 0xf8
	v_and_or_b32 v3, v2, s0, v3
	v_lshlrev_b32_e32 v7, 4, v3
	v_lshlrev_b32_e32 v25, 11, v1
	v_and_b32_e32 v8, 0x78, v2
	v_or_b32_e32 v10, 32, v7
	v_and_b32_e32 v6, 0x1000, v25
	v_lshrrev_b32_e32 v3, 1, v47
	v_xor_b32_e32 v10, v10, v8
	v_xor_b32_e32 v2, v7, v8
	v_and_b32_e32 v9, 8, v3
	v_or_b32_e32 v10, v10, v6
	v_or_b32_e32 v2, v2, v6
	v_xor_b32_e32 v32, v10, v9
	v_or_b32_e32 v10, 64, v7
	v_xor_b32_e32 v31, v2, v9
	v_xor_b32_e32 v10, v10, v8
	s_waitcnt lgkmcnt(0)
	s_barrier
	v_or_b32_e32 v13, v10, v6
	ds_read_b64 v[10:11], v31 offset:49152
	v_lshl_or_b32 v14, v96, 8, v24
	v_lshlrev_b32_e32 v26, 1, v14
	v_add_u32_e32 v12, 0x4000, v26
	ds_read2_b64 v[2:5], v12 offset1:16
	v_or_b32_e32 v7, 0x60, v7
	v_xor_b32_e32 v7, v7, v8
	v_or_b32_e32 v6, v7, v6
	v_xor_b32_e32 v33, v13, v9
	v_xor_b32_e32 v34, v6, v9
	ds_read_b64 v[20:21], v32 offset:49152
	ds_read_b64 v[36:37], v33 offset:49152
	;; [unrolled: 1-line block ×3, first 2 shown]
	s_waitcnt lgkmcnt(3)
	v_mfma_f32_16x16x16_bf16 a[0:3], v[10:11], v[2:3], 0
	ds_read2st64_b64 v[6:9], v26 offset0:36 offset1:40
	s_lshl_b64 s[0:1], s[44:45], 8
	s_add_u32 s4, s4, s0
	v_mfma_f32_16x16x16_bf16 a[4:7], v[10:11], v[4:5], 0
	ds_read2_b64 v[2:5], v12 offset0:32 offset1:48
	s_addc_u32 s5, s5, s1
	s_add_i32 s0, s51, s41
	s_waitcnt lgkmcnt(0)
	v_mfma_f32_16x16x16_bf16 a[8:11], v[10:11], v[2:3], 0
	v_or_b32_e32 v2, 64, v14
	v_lshlrev_b32_e32 v27, 1, v2
	s_add_i32 s14, s12, -1
	v_mfma_f32_16x16x16_bf16 a[12:15], v[10:11], v[4:5], 0
	ds_read2st64_b64 v[2:5], v27 offset0:36 offset1:40
	s_add_i32 s37, s0, s50
	s_add_i32 s0, s53, s52
	v_mfma_f32_16x16x16_bf16 a[0:3], v[20:21], v[6:7], a[0:3]
	v_or_b32_e32 v6, 0x80, v14
	v_lshlrev_b32_e32 v28, 1, v6
	ds_read2st64_b64 v[10:13], v28 offset0:36 offset1:40
	s_waitcnt lgkmcnt(1)
	v_mfma_f32_16x16x16_bf16 a[4:7], v[20:21], v[2:3], a[4:7]
	v_or_b32_e32 v2, 0xc0, v14
	v_lshlrev_b32_e32 v29, 1, v2
	ds_read2st64_b64 v[14:17], v29 offset0:36 offset1:40
	s_add_i32 s35, s0, s54
	s_ashr_i32 s0, s14, 31
	s_mul_i32 s1, s14, s31
	s_mul_hi_u32 s2, s14, s30
	s_add_i32 s1, s2, s1
	s_mul_i32 s0, s0, s30
	s_waitcnt lgkmcnt(1)
	v_mfma_f32_16x16x16_bf16 a[8:11], v[20:21], v[10:11], a[8:11]
	s_add_i32 s1, s1, s0
	s_lshl_b64 s[2:3], s[36:37], 2
	s_add_u32 s10, s10, s2
	s_waitcnt lgkmcnt(0)
	v_mfma_f32_16x16x16_bf16 a[12:15], v[20:21], v[14:15], a[12:15]
	s_addc_u32 s11, s11, s3
	s_lshl_b64 s[2:3], s[34:35], 2
	s_mul_i32 s0, s14, s30
	v_mfma_f32_16x16x16_bf16 a[0:3], v[36:37], v[8:9], a[0:3]
	ds_read_b64 v[2:3], v26 offset:22528
	s_add_u32 s10, s10, s2
	s_addc_u32 s11, s11, s3
	v_mfma_f32_16x16x16_bf16 a[4:7], v[36:37], v[4:5], a[4:7]
	ds_read_b64 v[4:5], v27 offset:22528
	ds_read_b64 v[6:7], v28 offset:22528
	;; [unrolled: 1-line block ×3, first 2 shown]
	s_lshl_b64 s[0:1], s[0:1], 2
	s_add_u32 s0, s10, s0
	v_mfma_f32_16x16x16_bf16 a[8:11], v[36:37], v[12:13], a[8:11]
	s_addc_u32 s1, s11, s1
	s_load_dword s12, s[0:1], 0x0
	s_and_b64 vcc, exec, s[26:27]
	v_mfma_f32_16x16x16_bf16 a[12:15], v[36:37], v[16:17], a[12:15]
	s_waitcnt lgkmcnt(0)
	v_mfma_f32_16x16x16_bf16 a[0:3], v[38:39], v[2:3], a[0:3]
	v_mfma_f32_16x16x16_bf16 a[4:7], v[38:39], v[4:5], a[4:7]
	;; [unrolled: 1-line block ×4, first 2 shown]
	s_cbranch_vccz .LBB90_42
; %bb.32:
	v_lshlrev_b32_e32 v20, 1, v30
	s_and_b64 vcc, exec, s[6:7]
	s_cbranch_vccz .LBB90_43
; %bb.33:
	v_cmp_gt_i32_e32 vcc, s46, v20
	v_mov_b32_e32 v6, 0
	v_mov_b32_e32 v2, 0
	;; [unrolled: 1-line block ×5, first 2 shown]
	s_and_saveexec_b64 s[0:1], vcc
	s_cbranch_execz .LBB90_35
; %bb.34:
	v_mad_i64_i32 v[2:3], s[2:3], s15, v20, 0
	v_lshl_add_u64 v[2:3], v[2:3], 1, s[4:5]
	v_lshlrev_b32_e32 v4, 1, v18
	v_mov_b32_e32 v5, 0
	v_lshl_add_u64 v[2:3], v[2:3], 0, v[4:5]
	global_load_dwordx4 v[2:5], v[2:3], off
.LBB90_35:
	s_or_b64 exec, exec, s[0:1]
	v_or_b32_e32 v21, 1, v20
	v_cmp_gt_i32_e64 s[0:1], s46, v21
	v_mov_b32_e32 v7, 0
	v_mov_b32_e32 v8, 0
	;; [unrolled: 1-line block ×3, first 2 shown]
	s_and_saveexec_b64 s[2:3], s[0:1]
	s_cbranch_execz .LBB90_37
; %bb.36:
	v_mad_i64_i32 v[6:7], s[20:21], s15, v21, 0
	v_lshl_add_u64 v[6:7], v[6:7], 1, s[4:5]
	v_lshlrev_b32_e32 v8, 1, v18
	v_mov_b32_e32 v9, 0
	v_lshl_add_u64 v[6:7], v[6:7], 0, v[8:9]
	global_load_dwordx4 v[6:9], v[6:7], off
.LBB90_37:
	s_or_b64 exec, exec, s[2:3]
	v_mov_b32_e32 v17, 0
	v_mov_b32_e32 v10, 0
	;; [unrolled: 1-line block ×5, first 2 shown]
	s_and_saveexec_b64 s[2:3], vcc
	s_cbranch_execz .LBB90_39
; %bb.38:
	v_mad_i64_i32 v[10:11], s[20:21], s15, v20, 0
	v_lshl_add_u64 v[10:11], v[10:11], 1, s[4:5]
	v_lshlrev_b32_e32 v12, 1, v18
	v_mov_b32_e32 v13, 0
	v_lshl_add_u64 v[10:11], v[10:11], 0, v[12:13]
	global_load_dwordx4 v[10:13], v[10:11], off offset:128
.LBB90_39:
	s_or_b64 exec, exec, s[2:3]
	v_mov_b32_e32 v16, 0
	v_mov_b32_e32 v15, 0
	;; [unrolled: 1-line block ×3, first 2 shown]
	s_and_saveexec_b64 s[2:3], s[0:1]
	s_cbranch_execz .LBB90_41
; %bb.40:
	v_mad_i64_i32 v[14:15], s[0:1], s15, v21, 0
	v_lshl_add_u64 v[14:15], v[14:15], 1, s[4:5]
	v_lshlrev_b32_e32 v16, 1, v18
	v_mov_b32_e32 v17, 0
	v_lshl_add_u64 v[14:15], v[14:15], 0, v[16:17]
	global_load_dwordx4 v[14:17], v[14:15], off offset:128
.LBB90_41:
	s_or_b64 exec, exec, s[2:3]
	s_branch .LBB90_45
.LBB90_42:
                                        ; implicit-def: $vgpr5
                                        ; implicit-def: $vgpr9
                                        ; implicit-def: $vgpr13
                                        ; implicit-def: $vgpr17
	v_lshrrev_b32_e32 v35, 2, v47
	s_branch .LBB90_46
.LBB90_43:
                                        ; implicit-def: $vgpr5
                                        ; implicit-def: $vgpr9
                                        ; implicit-def: $vgpr13
                                        ; implicit-def: $vgpr17
	s_cbranch_execz .LBB90_45
; %bb.44:
	s_waitcnt vmcnt(0)
	v_mad_u64_u32 v[2:3], s[0:1], v20, s15, v[18:19]
	v_lshlrev_b32_e32 v20, 1, v2
	s_lshl_b32 s2, s15, 7
	s_and_b32 s1, s5, 0xffff
	s_mov_b32 s3, 0x20000
	s_mov_b32 s0, s4
	v_add_lshl_u32 v21, v2, s15, 1
	s_movk_i32 s15, 0x80
	buffer_load_dwordx4 v[2:5], v20, s[0:3], 0 offen
	buffer_load_dwordx4 v[10:13], v20, s[0:3], s15 offen
	;; [unrolled: 1-line block ×4, first 2 shown]
.LBB90_45:
	v_lshrrev_b32_e32 v35, 2, v47
	s_cbranch_execnz .LBB90_58
.LBB90_46:
	s_and_b64 vcc, exec, s[6:7]
	s_cbranch_vccz .LBB90_56
; %bb.47:
	s_waitcnt vmcnt(0)
	v_lshlrev_b32_e32 v7, 1, v30
	v_cmp_gt_i32_e32 vcc, s46, v7
	v_mov_b32_e32 v6, 0
	v_lshlrev_b32_e32 v14, 9, v30
	v_mov_b32_e32 v2, 0
	v_mov_b32_e32 v3, 0
	;; [unrolled: 1-line block ×4, first 2 shown]
	s_and_saveexec_b64 s[0:1], vcc
	s_cbranch_execz .LBB90_49
; %bb.48:
	v_mov_b32_e32 v15, 0
	v_lshl_add_u64 v[2:3], s[4:5], 0, v[14:15]
	v_lshlrev_b32_e32 v4, 1, v18
	v_mov_b32_e32 v5, v15
	v_lshl_add_u64 v[2:3], v[2:3], 0, v[4:5]
	global_load_dwordx4 v[2:5], v[2:3], off
.LBB90_49:
	s_or_b64 exec, exec, s[0:1]
	v_or_b32_e32 v7, 1, v7
	v_cmp_gt_i32_e64 s[0:1], s46, v7
	v_lshlrev_b32_e32 v20, 8, v7
	v_mov_b32_e32 v7, 0
	v_mov_b32_e32 v8, 0
	;; [unrolled: 1-line block ×3, first 2 shown]
	s_and_saveexec_b64 s[2:3], s[0:1]
	s_cbranch_execz .LBB90_51
; %bb.50:
	v_mov_b32_e32 v21, 0
	v_lshl_add_u64 v[6:7], s[4:5], 0, v[20:21]
	v_lshlrev_b32_e32 v8, 1, v18
	v_mov_b32_e32 v9, v21
	v_lshl_add_u64 v[6:7], v[6:7], 0, v[8:9]
	global_load_dwordx4 v[6:9], v[6:7], off
.LBB90_51:
	s_or_b64 exec, exec, s[2:3]
	v_mov_b32_e32 v17, 0
	v_mov_b32_e32 v10, 0
	;; [unrolled: 1-line block ×5, first 2 shown]
	s_and_saveexec_b64 s[2:3], vcc
	s_cbranch_execz .LBB90_53
; %bb.52:
	v_mov_b32_e32 v15, 0
	v_lshl_add_u64 v[10:11], s[4:5], 0, v[14:15]
	v_lshlrev_b32_e32 v14, 1, v18
	v_lshl_add_u64 v[10:11], v[10:11], 0, v[14:15]
	global_load_dwordx4 v[10:13], v[10:11], off offset:128
.LBB90_53:
	s_or_b64 exec, exec, s[2:3]
	v_mov_b32_e32 v16, 0
	v_mov_b32_e32 v15, 0
	;; [unrolled: 1-line block ×3, first 2 shown]
	s_and_saveexec_b64 s[2:3], s[0:1]
	s_cbranch_execz .LBB90_55
; %bb.54:
	v_mov_b32_e32 v21, 0
	v_lshl_add_u64 v[14:15], s[4:5], 0, v[20:21]
	v_lshlrev_b32_e32 v20, 1, v18
	v_lshl_add_u64 v[14:15], v[14:15], 0, v[20:21]
	global_load_dwordx4 v[14:17], v[14:15], off offset:128
.LBB90_55:
	s_or_b64 exec, exec, s[2:3]
	s_branch .LBB90_58
.LBB90_56:
                                        ; implicit-def: $vgpr5
                                        ; implicit-def: $vgpr9
                                        ; implicit-def: $vgpr13
                                        ; implicit-def: $vgpr17
	s_cbranch_execz .LBB90_58
; %bb.57:
	s_waitcnt vmcnt(0)
	v_lshlrev_b32_e32 v2, 1, v18
	v_lshl_or_b32 v18, v30, 9, v2
	s_and_b32 s5, s5, 0xffff
	s_mov_b32 s7, 0x20000
	s_movk_i32 s6, 0x4000
	s_movk_i32 s0, 0x80
	buffer_load_dwordx4 v[2:5], v18, s[4:7], 0 offen
	buffer_load_dwordx4 v[6:9], v18, s[4:7], 0 offen offset:256
	buffer_load_dwordx4 v[10:13], v18, s[4:7], s0 offen
	buffer_load_dwordx4 v[14:17], v18, s[4:7], s0 offen offset:256
.LBB90_58:
	ds_read_b64 v[20:21], v31 offset:57344
	v_add_u32_e32 v18, 0x6000, v26
	ds_read2_b64 v[36:39], v18 offset1:16
	ds_read_b64 v[94:95], v32 offset:57344
	ds_read_b64 v[96:97], v33 offset:57344
	;; [unrolled: 1-line block ×3, first 2 shown]
	v_and_b32_e32 v31, 6, v0
	v_xor_b32_e32 v30, v30, v31
	v_lshlrev_b32_e32 v30, 2, v30
	s_mov_b32 s0, 0x1000504
	s_mov_b32 s1, 0x3020706
	s_waitcnt lgkmcnt(3)
	v_mfma_f32_16x16x16_bf16 a[0:3], v[20:21], v[36:37], a[0:3]
	v_mfma_f32_16x16x16_bf16 a[4:7], v[20:21], v[38:39], a[4:7]
	ds_read2_b64 v[36:39], v18 offset0:32 offset1:48
	v_and_b32_e32 v18, 12, v35
	ds_read2st64_b64 v[32:35], v26 offset0:52 offset1:56
	s_waitcnt lgkmcnt(1)
	v_mfma_f32_16x16x16_bf16 a[8:11], v[20:21], v[36:37], a[8:11]
	v_mfma_f32_16x16x16_bf16 a[12:15], v[20:21], v[38:39], a[12:15]
	ds_read2st64_b64 v[36:39], v27 offset0:52 offset1:56
	ds_read2st64_b64 v[40:43], v28 offset0:52 offset1:56
	;; [unrolled: 1-line block ×3, first 2 shown]
	s_waitcnt lgkmcnt(3)
	v_mfma_f32_16x16x16_bf16 a[0:3], v[94:95], v[32:33], a[0:3]
	ds_read_b64 v[20:21], v26 offset:30720
	ds_read_b64 v[32:33], v27 offset:30720
	;; [unrolled: 1-line block ×4, first 2 shown]
	s_waitcnt lgkmcnt(6)
	v_mfma_f32_16x16x16_bf16 a[4:7], v[94:95], v[36:37], a[4:7]
	v_and_b32_e32 v36, 1, v0
	v_xor_b32_e32 v37, 0x440, v30
	v_cmp_eq_u32_e32 vcc, 0, v36
	s_waitcnt lgkmcnt(5)
	v_mfma_f32_16x16x16_bf16 a[8:11], v[94:95], v[40:41], a[8:11]
	v_cndmask_b32_e32 v30, v37, v30, vcc
	v_lshl_or_b32 v30, v31, 10, v30
	s_waitcnt lgkmcnt(4)
	v_mfma_f32_16x16x16_bf16 a[12:15], v[94:95], v[90:91], a[12:15]
	s_waitcnt vmcnt(0)
	v_perm_b32 v31, v2, v6, s0
	v_perm_b32 v2, v2, v6, s1
	;; [unrolled: 1-line block ×3, first 2 shown]
	v_mfma_f32_16x16x16_bf16 a[0:3], v[96:97], v[34:35], a[0:3]
	v_perm_b32 v34, v10, v14, s0
	ds_write2st64_b32 v30, v31, v34 offset0:128 offset1:160
	v_xor_b32_e32 v31, 8, v30
	v_add_u32_e32 v10, 0x80, v31
	ds_write2st64_b32 v10, v2, v6 offset0:128 offset1:160
	v_xor_b32_e32 v2, 16, v30
	v_perm_b32 v6, v3, v7, s0
	v_perm_b32 v10, v11, v15, s0
	v_mfma_f32_16x16x16_bf16 a[4:7], v[96:97], v[38:39], a[4:7]
	ds_write2st64_b32 v2, v6, v10 offset0:129 offset1:161
	v_xor_b32_e32 v2, 24, v30
	v_perm_b32 v3, v3, v7, s1
	v_mfma_f32_16x16x16_bf16 a[16:19], v[96:97], v[42:43], a[8:11]
	v_perm_b32 v6, v11, v15, s1
	v_add_u32_e32 v2, 0x80, v2
	ds_write2st64_b32 v2, v3, v6 offset0:129 offset1:161
	v_mfma_f32_16x16x16_bf16 a[20:23], v[96:97], v[92:93], a[12:15]
	v_xor_b32_e32 v2, 32, v30
	v_perm_b32 v3, v4, v8, s0
	v_perm_b32 v6, v12, v16, s0
	ds_write2st64_b32 v2, v3, v6 offset0:130 offset1:162
	v_xor_b32_e32 v2, 40, v30
	s_waitcnt lgkmcnt(8)
	v_mfma_f32_16x16x16_bf16 a[12:15], v[98:99], v[20:21], a[0:3]
	v_perm_b32 v3, v4, v8, s1
	v_perm_b32 v4, v12, v16, s1
	v_add_u32_e32 v2, 0x80, v2
	s_waitcnt lgkmcnt(7)
	v_mfma_f32_16x16x16_bf16 a[8:11], v[98:99], v[32:33], a[4:7]
	ds_write2st64_b32 v2, v3, v4 offset0:130 offset1:162
	v_xor_b32_e32 v2, 48, v30
	v_perm_b32 v3, v5, v9, s0
	s_waitcnt lgkmcnt(7)
	v_mfma_f32_16x16x16_bf16 a[4:7], v[98:99], v[100:101], a[16:19]
	v_perm_b32 v4, v13, v17, s0
	ds_write2st64_b32 v2, v3, v4 offset0:131 offset1:163
	v_xor_b32_e32 v2, 56, v30
	s_waitcnt lgkmcnt(7)
	v_mfma_f32_16x16x16_bf16 a[0:3], v[98:99], v[102:103], a[20:23]
	v_or_b32_e32 v16, v18, v45
	v_perm_b32 v3, v5, v9, s1
	v_perm_b32 v4, v13, v17, s1
	v_add_u32_e32 v2, 0x80, v2
	v_cmp_gt_i32_e32 vcc, s46, v16
	v_mov_b32_e32 v17, 0
	v_mov_b32_e32 v21, 0
	ds_write2st64_b32 v2, v3, v4 offset0:131 offset1:163
	s_and_saveexec_b64 s[0:1], vcc
	s_cbranch_execz .LBB90_60
; %bb.59:
	v_add_u32_e32 v2, s43, v16
	v_ashrrev_i32_e32 v3, 31, v2
	v_mul_lo_u32 v4, v3, s30
	v_mul_lo_u32 v5, v2, s31
	v_mad_u64_u32 v[2:3], s[2:3], v2, s30, 0
	v_add3_u32 v3, v3, v5, v4
	v_lshl_add_u64 v[2:3], v[2:3], 2, s[10:11]
	global_load_dword v2, v[2:3], off
	s_waitcnt vmcnt(0)
	v_sub_f32_e32 v2, s12, v2
	v_mul_f32_e32 v2, 0x3fb8aa3b, v2
	v_exp_f32_e32 v21, v2
.LBB90_60:
	s_or_b64 exec, exec, s[0:1]
	v_or_b32_e32 v8, 1, v16
	v_cmp_gt_i32_e64 s[0:1], s46, v8
	s_and_saveexec_b64 s[2:3], s[0:1]
	s_cbranch_execz .LBB90_62
; %bb.61:
	v_add_u32_e32 v2, s43, v8
	v_ashrrev_i32_e32 v3, 31, v2
	v_mul_lo_u32 v4, v3, s30
	v_mul_lo_u32 v5, v2, s31
	v_mad_u64_u32 v[2:3], s[4:5], v2, s30, 0
	v_add3_u32 v3, v3, v5, v4
	v_lshl_add_u64 v[2:3], v[2:3], 2, s[10:11]
	global_load_dword v2, v[2:3], off
	s_waitcnt vmcnt(0)
	v_sub_f32_e32 v2, s12, v2
	v_mul_f32_e32 v2, 0x3fb8aa3b, v2
	v_exp_f32_e32 v17, v2
.LBB90_62:
	s_or_b64 exec, exec, s[2:3]
	v_or_b32_e32 v9, 2, v16
	v_cmp_gt_i32_e64 s[2:3], s46, v9
	v_mov_b32_e32 v20, 0
	v_mov_b32_e32 v30, 0
	s_and_saveexec_b64 s[4:5], s[2:3]
	s_cbranch_execz .LBB90_64
; %bb.63:
	v_add_u32_e32 v2, s43, v9
	v_ashrrev_i32_e32 v3, 31, v2
	v_mul_lo_u32 v4, v3, s30
	v_mul_lo_u32 v5, v2, s31
	v_mad_u64_u32 v[2:3], s[6:7], v2, s30, 0
	v_add3_u32 v3, v3, v5, v4
	v_lshl_add_u64 v[2:3], v[2:3], 2, s[10:11]
	global_load_dword v2, v[2:3], off
	s_waitcnt vmcnt(0)
	v_sub_f32_e32 v2, s12, v2
	v_mul_f32_e32 v2, 0x3fb8aa3b, v2
	v_exp_f32_e32 v30, v2
.LBB90_64:
	s_or_b64 exec, exec, s[4:5]
	v_or_b32_e32 v31, 3, v16
	v_cmp_gt_i32_e64 s[4:5], s46, v31
	s_and_saveexec_b64 s[6:7], s[4:5]
	s_cbranch_execz .LBB90_66
; %bb.65:
	v_add_u32_e32 v2, s43, v31
	v_ashrrev_i32_e32 v3, 31, v2
	v_mul_lo_u32 v4, v3, s30
	v_mul_lo_u32 v5, v2, s31
	v_mad_u64_u32 v[2:3], s[20:21], v2, s30, 0
	v_add3_u32 v3, v3, v5, v4
	v_lshl_add_u64 v[2:3], v[2:3], 2, s[10:11]
	global_load_dword v2, v[2:3], off
	s_waitcnt vmcnt(0)
	v_sub_f32_e32 v2, s12, v2
	v_mul_f32_e32 v2, 0x3fb8aa3b, v2
	v_exp_f32_e32 v20, v2
.LBB90_66:
	s_or_b64 exec, exec, s[6:7]
	s_add_u32 s6, s8, s24
	v_accvgpr_read_b32 v2, a12
	s_addc_u32 s7, s9, s25
	v_ashrrev_i32_e32 v89, 31, v88
	v_accvgpr_read_b32 v3, a13
	v_accvgpr_read_b32 v4, a14
	;; [unrolled: 1-line block ×3, first 2 shown]
	v_lshl_add_u64 v[6:7], v[88:89], 1, s[6:7]
	v_mov_b32_e32 v13, 0
	v_lshlrev_b32_e32 v10, 8, v16
	v_mov_b32_e32 v11, 0
	s_and_saveexec_b64 s[6:7], vcc
	s_cbranch_execz .LBB90_68
; %bb.67:
	v_mov_b32_e32 v11, 0
	v_lshl_add_u64 v[14:15], v[6:7], 0, v[10:11]
	global_load_ushort v11, v[14:15], off
	s_waitcnt vmcnt(0)
	v_lshlrev_b32_e32 v11, 16, v11
	v_sub_f32_e32 v2, v11, v2
	v_mul_f32_e32 v2, v21, v2
	v_lshrrev_b32_e32 v11, 16, v2
.LBB90_68:
	s_or_b64 exec, exec, s[6:7]
	v_lshlrev_b32_e32 v12, 8, v8
	s_and_saveexec_b64 s[6:7], s[0:1]
	s_cbranch_execz .LBB90_70
; %bb.69:
	v_mov_b32_e32 v13, 0
	v_lshl_add_u64 v[14:15], v[6:7], 0, v[12:13]
	global_load_ushort v2, v[14:15], off
	s_waitcnt vmcnt(0)
	v_lshlrev_b32_e32 v2, 16, v2
	v_sub_f32_e32 v2, v2, v3
	v_mul_f32_e32 v2, v17, v2
	v_lshrrev_b32_e32 v13, 16, v2
.LBB90_70:
	s_or_b64 exec, exec, s[6:7]
	v_mov_b32_e32 v32, 0
	v_lshlrev_b32_e32 v14, 8, v9
	v_mov_b32_e32 v15, 0
	s_and_saveexec_b64 s[6:7], s[2:3]
	s_cbranch_execz .LBB90_72
; %bb.71:
	v_mov_b32_e32 v15, 0
	v_lshl_add_u64 v[2:3], v[6:7], 0, v[14:15]
	global_load_ushort v2, v[2:3], off
	s_waitcnt vmcnt(0)
	v_lshlrev_b32_e32 v2, 16, v2
	v_sub_f32_e32 v2, v2, v4
	v_mul_f32_e32 v2, v30, v2
	v_lshrrev_b32_e32 v15, 16, v2
.LBB90_72:
	s_or_b64 exec, exec, s[6:7]
	v_lshlrev_b32_e32 v8, 8, v31
	s_and_saveexec_b64 s[6:7], s[4:5]
	s_cbranch_execz .LBB90_74
; %bb.73:
	v_mov_b32_e32 v9, 0
	v_lshl_add_u64 v[2:3], v[6:7], 0, v[8:9]
	global_load_ushort v2, v[2:3], off
	s_waitcnt vmcnt(0)
	v_lshlrev_b32_e32 v2, 16, v2
	v_sub_f32_e32 v2, v2, v5
	v_mul_f32_e32 v2, v20, v2
	v_lshrrev_b32_e32 v32, 16, v2
.LBB90_74:
	s_or_b64 exec, exec, s[6:7]
	v_lshlrev_b32_e32 v31, 6, v16
	v_accvgpr_read_b32 v2, a8
	s_mov_b32 s6, 0x5040100
	v_or_b32_e32 v9, v31, v24
	v_accvgpr_read_b32 v3, a9
	v_accvgpr_read_b32 v4, a10
	;; [unrolled: 1-line block ×3, first 2 shown]
	v_perm_b32 v33, v32, v15, s6
	v_perm_b32 v32, v13, v11, s6
	v_lshlrev_b32_e32 v9, 1, v9
	v_mov_b32_e32 v13, 0
	v_mov_b32_e32 v11, 0
	ds_write_b64 v9, v[32:33] offset:24576
	s_and_saveexec_b64 s[6:7], vcc
	s_cbranch_execz .LBB90_76
; %bb.75:
	v_mov_b32_e32 v11, 0
	v_lshl_add_u64 v[32:33], v[6:7], 0, v[10:11]
	global_load_ushort v9, v[32:33], off offset:32
	s_waitcnt vmcnt(0)
	v_lshlrev_b32_e32 v9, 16, v9
	v_sub_f32_e32 v2, v9, v2
	v_mul_f32_e32 v2, v21, v2
	v_lshrrev_b32_e32 v11, 16, v2
.LBB90_76:
	s_or_b64 exec, exec, s[6:7]
	s_and_saveexec_b64 s[6:7], s[0:1]
	s_cbranch_execz .LBB90_78
; %bb.77:
	v_mov_b32_e32 v13, 0
	v_lshl_add_u64 v[32:33], v[6:7], 0, v[12:13]
	global_load_ushort v2, v[32:33], off offset:32
	s_waitcnt vmcnt(0)
	v_lshlrev_b32_e32 v2, 16, v2
	v_sub_f32_e32 v2, v2, v3
	v_mul_f32_e32 v2, v17, v2
	v_lshrrev_b32_e32 v13, 16, v2
.LBB90_78:
	s_or_b64 exec, exec, s[6:7]
	v_mov_b32_e32 v9, 0
	v_mov_b32_e32 v15, 0
	s_and_saveexec_b64 s[6:7], s[2:3]
	s_cbranch_execz .LBB90_80
; %bb.79:
	v_mov_b32_e32 v15, 0
	v_lshl_add_u64 v[2:3], v[6:7], 0, v[14:15]
	global_load_ushort v2, v[2:3], off offset:32
	s_waitcnt vmcnt(0)
	v_lshlrev_b32_e32 v2, 16, v2
	v_sub_f32_e32 v2, v2, v4
	v_mul_f32_e32 v2, v30, v2
	v_lshrrev_b32_e32 v15, 16, v2
.LBB90_80:
	s_or_b64 exec, exec, s[6:7]
	s_and_saveexec_b64 s[6:7], s[4:5]
	s_cbranch_execz .LBB90_82
; %bb.81:
	v_mov_b32_e32 v9, 0
	v_lshl_add_u64 v[2:3], v[6:7], 0, v[8:9]
	global_load_ushort v2, v[2:3], off offset:32
	s_waitcnt vmcnt(0)
	v_lshlrev_b32_e32 v2, 16, v2
	v_sub_f32_e32 v2, v2, v5
	v_mul_f32_e32 v2, v20, v2
	v_lshrrev_b32_e32 v9, 16, v2
.LBB90_82:
	s_or_b64 exec, exec, s[6:7]
	s_mov_b32 s6, 0x5040100
	v_accvgpr_read_b32 v2, a4
	v_perm_b32 v33, v9, v15, s6
	v_or_b32_e32 v9, v31, v23
	v_accvgpr_read_b32 v3, a5
	v_accvgpr_read_b32 v4, a6
	v_accvgpr_read_b32 v5, a7
	v_perm_b32 v32, v13, v11, s6
	v_lshlrev_b32_e32 v9, 1, v9
	v_mov_b32_e32 v13, 0
	v_mov_b32_e32 v11, 0
	ds_write_b64 v9, v[32:33] offset:24576
	s_and_saveexec_b64 s[6:7], vcc
	s_cbranch_execz .LBB90_84
; %bb.83:
	v_mov_b32_e32 v11, 0
	v_lshl_add_u64 v[32:33], v[6:7], 0, v[10:11]
	global_load_ushort v9, v[32:33], off offset:64
	s_waitcnt vmcnt(0)
	v_lshlrev_b32_e32 v9, 16, v9
	v_sub_f32_e32 v2, v9, v2
	v_mul_f32_e32 v2, v21, v2
	v_lshrrev_b32_e32 v11, 16, v2
.LBB90_84:
	s_or_b64 exec, exec, s[6:7]
	s_and_saveexec_b64 s[6:7], s[0:1]
	s_cbranch_execz .LBB90_86
; %bb.85:
	v_mov_b32_e32 v13, 0
	v_lshl_add_u64 v[32:33], v[6:7], 0, v[12:13]
	global_load_ushort v2, v[32:33], off offset:64
	s_waitcnt vmcnt(0)
	v_lshlrev_b32_e32 v2, 16, v2
	v_sub_f32_e32 v2, v2, v3
	v_mul_f32_e32 v2, v17, v2
	v_lshrrev_b32_e32 v13, 16, v2
.LBB90_86:
	s_or_b64 exec, exec, s[6:7]
	v_mov_b32_e32 v9, 0
	v_mov_b32_e32 v15, 0
	s_and_saveexec_b64 s[6:7], s[2:3]
	s_cbranch_execz .LBB90_88
; %bb.87:
	v_mov_b32_e32 v15, 0
	v_lshl_add_u64 v[2:3], v[6:7], 0, v[14:15]
	global_load_ushort v2, v[2:3], off offset:64
	s_waitcnt vmcnt(0)
	v_lshlrev_b32_e32 v2, 16, v2
	v_sub_f32_e32 v2, v2, v4
	v_mul_f32_e32 v2, v30, v2
	v_lshrrev_b32_e32 v15, 16, v2
.LBB90_88:
	s_or_b64 exec, exec, s[6:7]
	s_and_saveexec_b64 s[6:7], s[4:5]
	s_cbranch_execz .LBB90_90
; %bb.89:
	v_mov_b32_e32 v9, 0
	v_lshl_add_u64 v[2:3], v[6:7], 0, v[8:9]
	global_load_ushort v2, v[2:3], off offset:64
	s_waitcnt vmcnt(0)
	v_lshlrev_b32_e32 v2, 16, v2
	v_sub_f32_e32 v2, v2, v5
	v_mul_f32_e32 v2, v20, v2
	v_lshrrev_b32_e32 v9, 16, v2
.LBB90_90:
	s_or_b64 exec, exec, s[6:7]
	s_mov_b32 s6, 0x5040100
	v_accvgpr_read_b32 v5, a3
	v_perm_b32 v33, v9, v15, s6
	v_or_b32_e32 v9, v31, v22
	v_accvgpr_read_b32 v4, a2
	v_accvgpr_read_b32 v3, a1
	v_accvgpr_read_b32 v2, a0
	v_perm_b32 v32, v13, v11, s6
	v_lshlrev_b32_e32 v9, 1, v9
	v_mov_b32_e32 v13, 0
	v_mov_b32_e32 v11, 0
	ds_write_b64 v9, v[32:33] offset:24576
	s_and_saveexec_b64 s[6:7], vcc
	s_cbranch_execz .LBB90_92
; %bb.91:
	v_mov_b32_e32 v11, 0
	v_lshl_add_u64 v[10:11], v[6:7], 0, v[10:11]
	global_load_ushort v9, v[10:11], off offset:96
	s_waitcnt vmcnt(0)
	v_lshlrev_b32_e32 v9, 16, v9
	v_sub_f32_e32 v2, v9, v2
	v_mul_f32_e32 v2, v21, v2
	v_lshrrev_b32_e32 v11, 16, v2
.LBB90_92:
	s_or_b64 exec, exec, s[6:7]
	s_and_saveexec_b64 s[6:7], s[0:1]
	s_cbranch_execz .LBB90_94
; %bb.93:
	v_mov_b32_e32 v13, 0
	v_lshl_add_u64 v[12:13], v[6:7], 0, v[12:13]
	global_load_ushort v2, v[12:13], off offset:96
	s_waitcnt vmcnt(0)
	v_lshlrev_b32_e32 v2, 16, v2
	v_sub_f32_e32 v2, v2, v3
	v_mul_f32_e32 v2, v17, v2
	v_lshrrev_b32_e32 v13, 16, v2
.LBB90_94:
	s_or_b64 exec, exec, s[6:7]
	v_mov_b32_e32 v9, 0
	v_mov_b32_e32 v12, 0
	s_and_saveexec_b64 s[0:1], s[2:3]
	s_cbranch_execz .LBB90_96
; %bb.95:
	v_mov_b32_e32 v15, 0
	v_lshl_add_u64 v[2:3], v[6:7], 0, v[14:15]
	global_load_ushort v2, v[2:3], off offset:96
	s_waitcnt vmcnt(0)
	v_lshlrev_b32_e32 v2, 16, v2
	v_sub_f32_e32 v2, v2, v4
	v_mul_f32_e32 v2, v30, v2
	v_lshrrev_b32_e32 v12, 16, v2
.LBB90_96:
	s_or_b64 exec, exec, s[0:1]
	v_or_b32_e32 v10, 0x6000, v26
	v_or_b32_e32 v2, 0x6000, v27
	;; [unrolled: 1-line block ×4, first 2 shown]
	s_and_saveexec_b64 s[0:1], s[4:5]
	s_cbranch_execz .LBB90_98
; %bb.97:
	v_mov_b32_e32 v9, 0
	v_lshl_add_u64 v[6:7], v[6:7], 0, v[8:9]
	global_load_ushort v6, v[6:7], off offset:96
	s_waitcnt vmcnt(0)
	v_lshlrev_b32_e32 v6, 16, v6
	v_sub_f32_e32 v5, v6, v5
	v_mul_f32_e32 v5, v20, v5
	v_lshrrev_b32_e32 v9, 16, v5
.LBB90_98:
	s_or_b64 exec, exec, s[0:1]
	s_mov_b32 s0, 0x5040100
	v_or_b32_e32 v5, v31, v19
	v_perm_b32 v7, v9, v12, s0
	v_perm_b32 v6, v13, v11, s0
	v_lshlrev_b32_e32 v5, 1, v5
	ds_write_b64 v5, v[6:7] offset:24576
	v_and_b32_e32 v5, 7, v0
	v_and_b32_e32 v11, 8, v0
	v_lshlrev_b32_e32 v17, 3, v5
	v_lshlrev_b32_e32 v19, 7, v5
	v_lshrrev_b32_e32 v5, 1, v0
	v_and_b32_e32 v5, 24, v5
	v_mov_b32_e32 v12, 0x400
	v_cmp_eq_u32_e32 vcc, 0, v11
	s_movk_i32 s2, 0x100
	v_lshlrev_b32_e32 v24, 3, v1
	v_cndmask_b32_e64 v11, v12, 64, vcc
	v_mov_b32_e32 v12, 0xa000
	v_mov_b32_e32 v13, 0x8000
	v_cmp_gt_u32_e64 s[0:1], s2, v0
	v_xor_b32_e32 v40, v24, v5
	s_waitcnt lgkmcnt(0)
	v_cndmask_b32_e64 v0, v12, v13, s[0:1]
	v_or_b32_e32 v12, 0x440, v40
	v_cndmask_b32_e32 v12, v12, v40, vcc
	v_or_b32_e32 v12, v12, v25
	v_xor_b32_e32 v47, v12, v17
	v_add3_u32 v12, v0, v47, v19
	s_barrier
	ds_read_b64 v[20:21], v12
	v_or_b32_e32 v12, 32, v5
	v_xor_b32_e32 v12, v24, v12
	v_or_b32_e32 v13, 0x440, v12
	v_cndmask_b32_e32 v12, v13, v12, vcc
	v_or_b32_e32 v12, v12, v25
	v_xor_b32_e32 v88, v12, v17
	v_add3_u32 v12, v0, v88, v19
	ds_read2_b64 v[6:9], v10 offset1:16
	ds_read_b64 v[38:39], v12
	ds_read2_b64 v[12:15], v10 offset0:32 offset1:48
	v_or3_b32 v11, v25, v11, v40
	v_xor_b32_e32 v11, v11, v17
	v_or_b32_e32 v5, 0x60, v5
	v_or_b32_e32 v90, v11, v19
	s_add_i32 s0, s14, s49
	v_or_b32_e32 v11, v0, v90
	v_xor_b32_e32 v5, v24, v5
	s_waitcnt lgkmcnt(2)
	v_mfma_f32_16x16x16_bf16 a[0:3], v[20:21], v[6:7], 0
	s_mul_hi_i32 s1, s0, s13
	s_mul_i32 s0, s0, s13
	s_add_u32 s0, s0, s33
	v_mfma_f32_16x16x16_bf16 a[4:7], v[20:21], v[8:9], 0
	s_addc_u32 s1, s1, s48
	s_lshl_b64 s[0:1], s[0:1], 9
	s_add_u32 s0, s16, s0
	s_waitcnt lgkmcnt(0)
	v_mfma_f32_16x16x16_bf16 a[8:11], v[20:21], v[12:13], 0
	s_addc_u32 s1, s17, s1
	v_mfma_f32_16x16x16_bf16 a[12:15], v[20:21], v[14:15], 0
	ds_read2st64_b64 v[20:23], v10 offset0:4 offset1:8
	ds_read2st64_b64 v[26:29], v2 offset0:4 offset1:8
	ds_read_b64 v[42:43], v11
	v_xor_b32_e32 v11, 0x440, v5
	ds_read2st64_b64 v[30:33], v3 offset0:4 offset1:8
	ds_read2st64_b64 v[34:37], v4 offset0:4 offset1:8
	v_cndmask_b32_e32 v5, v11, v5, vcc
	v_or_b32_e32 v5, v5, v25
	v_xor_b32_e32 v89, v5, v17
	v_add3_u32 v0, v0, v89, v19
	ds_read_b64 v[24:25], v0
	v_lshlrev_b32_e32 v0, 2, v16
	s_waitcnt lgkmcnt(5)
	v_mfma_f32_16x16x16_bf16 a[0:3], v[38:39], v[20:21], a[0:3]
	ds_read_b64 v[10:11], v10 offset:6144
	s_waitcnt lgkmcnt(5)
	v_mfma_f32_16x16x16_bf16 a[4:7], v[38:39], v[26:27], a[4:7]
	s_waitcnt lgkmcnt(3)
	v_mfma_f32_16x16x16_bf16 a[8:11], v[38:39], v[30:31], a[8:11]
	;; [unrolled: 2-line block ×3, first 2 shown]
	global_load_dwordx4 v[38:41], v0, s[0:1]
	v_lshlrev_b32_e32 v0, 6, v1
	v_lshlrev_b32_e32 v1, 2, v18
	v_or3_b32 v0, v0, v1, s2
	v_mfma_f32_16x16x16_bf16 a[0:3], v[42:43], v[22:23], a[0:3]
	s_waitcnt vmcnt(0)
	v_mul_f32_e32 v38, 0x3fb8aa3b, v38
	v_mfma_f32_16x16x16_bf16 a[4:7], v[42:43], v[28:29], a[4:7]
	v_mul_f32_e32 v39, 0x3fb8aa3b, v39
	v_exp_f32_e32 v38, v38
	v_exp_f32_e32 v39, v39
	v_mfma_f32_16x16x16_bf16 a[8:11], v[42:43], v[32:33], a[8:11]
	v_mfma_f32_16x16x16_bf16 a[12:15], v[42:43], v[36:37], a[12:15]
	ds_read_b64 v[16:17], v2 offset:6144
	ds_read_b64 v[42:43], v3 offset:6144
	;; [unrolled: 1-line block ×3, first 2 shown]
	global_load_dwordx4 v[0:3], v0, s[0:1]
	v_mov_b32_e32 v4, 0x3fb8aa3b
	v_mul_f32_e32 v4, s12, v4
	v_exp_f32_e32 v18, v4
	v_add_u32_e32 v4, v47, v19
	ds_read_b64 v[4:5], v4 offset:40960
	s_waitcnt lgkmcnt(4)
	v_mfma_f32_16x16x16_bf16 a[0:3], v[24:25], v[10:11], a[0:3]
	s_waitcnt vmcnt(0)
	v_mul_f32_e32 v0, 0x3fb8aa3b, v0
	s_waitcnt lgkmcnt(3)
	v_mfma_f32_16x16x16_bf16 a[4:7], v[24:25], v[16:17], a[4:7]
	v_exp_f32_e32 v0, v0
	s_waitcnt lgkmcnt(2)
	v_mfma_f32_16x16x16_bf16 a[8:11], v[24:25], v[42:43], a[8:11]
	s_waitcnt lgkmcnt(1)
	v_mfma_f32_16x16x16_bf16 a[12:15], v[24:25], v[44:45], a[12:15]
	v_add_u32_e32 v24, v88, v19
	v_add_u32_e32 v19, v89, v19
	ds_read_b64 v[24:25], v24 offset:40960
	ds_read_b64 v[88:89], v19 offset:40960
	s_waitcnt lgkmcnt(2)
	v_mfma_f32_16x16x16_bf16 a[20:23], v[4:5], v[8:9], 0
	v_pk_mul_f32 v[8:9], v[18:19], v[38:39] op_sel_hi:[0,1]
	s_waitcnt lgkmcnt(1)
	v_mfma_f32_16x16x16_bf16 a[20:23], v[24:25], v[26:27], a[20:23]
	v_accvgpr_read_b32 v27, a1
	v_accvgpr_read_b32 v26, a0
	v_pk_fma_f32 v[82:83], v[82:83], v[8:9], v[26:27]
	v_mfma_f32_16x16x16_bf16 a[16:19], v[4:5], v[6:7], 0
	v_mul_f32_e32 v6, 0x3fb8aa3b, v40
	v_mul_f32_e32 v7, 0x3fb8aa3b, v41
	ds_read_b64 v[26:27], v90 offset:40960
	v_exp_f32_e32 v6, v6
	v_exp_f32_e32 v7, v7
	v_mfma_f32_16x16x16_bf16 a[24:27], v[4:5], v[12:13], 0
	v_accvgpr_read_b32 v13, a3
	v_accvgpr_read_b32 v12, a2
	v_pk_mul_f32 v[6:7], v[18:19], v[6:7] op_sel_hi:[0,1]
	v_mfma_f32_16x16x16_bf16 a[28:31], v[4:5], v[14:15], 0
	v_accvgpr_read_b32 v5, a7
	v_accvgpr_read_b32 v4, a6
	v_pk_fma_f32 v[78:79], v[6:7], v[78:79], v[4:5]
	v_mfma_f32_16x16x16_bf16 a[16:19], v[24:25], v[20:21], a[16:19]
	v_accvgpr_read_b32 v4, a8
	v_accvgpr_read_b32 v5, a9
	v_pk_fma_f32 v[66:67], v[8:9], v[66:67], v[4:5]
	v_mfma_f32_16x16x16_bf16 a[0:3], v[24:25], v[30:31], a[24:27]
	v_accvgpr_read_b32 v4, a12
	v_accvgpr_read_b32 v15, a11
	;; [unrolled: 1-line block ×3, first 2 shown]
	v_pk_fma_f32 v[86:87], v[86:87], v[6:7], v[12:13]
	v_accvgpr_read_b32 v13, a5
	s_waitcnt lgkmcnt(0)
	v_mfma_f32_16x16x16_bf16 a[8:11], v[26:27], v[22:23], a[16:19]
	v_accvgpr_read_b32 v5, a13
	v_accvgpr_read_b32 v21, a15
	;; [unrolled: 1-line block ×4, first 2 shown]
	v_mfma_f32_16x16x16_bf16 a[4:7], v[24:25], v[34:35], a[28:31]
	v_pk_fma_f32 v[58:59], v[8:9], v[58:59], v[4:5]
	v_mov_b32_e32 v4, v3
	v_mov_b32_e32 v3, v2
	v_mfma_f32_16x16x16_bf16 a[12:15], v[26:27], v[28:29], a[20:23]
	v_mov_b32_e32 v2, v1
	v_mul_f32_e32 v1, 0x3fb8aa3b, v2
	v_mul_f32_e32 v2, 0x3fb8aa3b, v3
	v_mfma_f32_16x16x16_bf16 a[0:3], v[26:27], v[32:33], a[0:3]
	v_mul_f32_e32 v3, 0x3fb8aa3b, v4
	v_exp_f32_e32 v2, v2
	v_exp_f32_e32 v3, v3
	v_mfma_f32_16x16x16_bf16 a[8:11], v[88:89], v[10:11], a[8:11]
	v_exp_f32_e32 v1, v1
	v_pk_fma_f32 v[74:75], v[8:9], v[74:75], v[12:13]
	v_pk_mul_f32 v[2:3], v[18:19], v[2:3] op_sel_hi:[0,1]
	v_mfma_f32_16x16x16_bf16 a[4:7], v[26:27], v[36:37], a[4:7]
	v_pk_mul_f32 v[0:1], v[18:19], v[0:1] op_sel_hi:[0,1]
	v_pk_fma_f32 v[70:71], v[6:7], v[70:71], v[14:15]
	v_pk_fma_f32 v[62:63], v[6:7], v[62:63], v[20:21]
	v_mfma_f32_16x16x16_bf16 a[12:15], v[88:89], v[16:17], a[12:15]
	v_accvgpr_read_b32 v5, a11
	v_accvgpr_read_b32 v4, a10
	v_pk_fma_f32 v[84:85], v[84:85], v[2:3], v[4:5]
	v_mfma_f32_16x16x16_bf16 a[0:3], v[88:89], v[42:43], a[0:3]
	v_accvgpr_read_b32 v13, a9
	v_accvgpr_read_b32 v12, a8
	v_pk_fma_f32 v[80:81], v[80:81], v[0:1], v[12:13]
	v_accvgpr_read_b32 v4, a12
	v_accvgpr_read_b32 v5, a13
	v_pk_fma_f32 v[72:73], v[0:1], v[72:73], v[4:5]
	v_accvgpr_read_b32 v7, a15
	v_accvgpr_read_b32 v9, a3
	;; [unrolled: 1-line block ×3, first 2 shown]
	v_mfma_f32_16x16x16_bf16 a[2:5], v[88:89], v[44:45], a[4:7]
	v_accvgpr_read_b32 v5, a1
	v_accvgpr_read_b32 v4, a0
	v_pk_fma_f32 v[64:65], v[0:1], v[64:65], v[4:5]
	v_accvgpr_read_b32 v6, a14
	v_pk_fma_f32 v[76:77], v[2:3], v[76:77], v[6:7]
	v_pk_fma_f32 v[68:69], v[2:3], v[68:69], v[8:9]
	s_nop 0
	v_accvgpr_read_b32 v5, a3
	v_accvgpr_read_b32 v11, a5
	;; [unrolled: 1-line block ×4, first 2 shown]
	v_pk_fma_f32 v[56:57], v[0:1], v[56:57], v[4:5]
	v_pk_fma_f32 v[60:61], v[2:3], v[60:61], v[10:11]
.LBB90_99:
	s_add_u32 s0, s18, s28
	s_addc_u32 s1, s19, s29
	v_lshl_add_u64 v[0:1], v[48:49], 1, s[0:1]
	v_mov_b32_e32 v47, 0
	s_mov_b32 s2, 0x7060302
	v_lshl_add_u64 v[0:1], v[0:1], 0, v[46:47]
	v_perm_b32 v3, v87, v86, s2
	v_perm_b32 v2, v83, v82, s2
	global_store_dwordx2 v[0:1], v[2:3], off
	v_perm_b32 v3, v85, v84, s2
	v_perm_b32 v2, v81, v80, s2
	global_store_dwordx2 v[0:1], v[2:3], off offset:128
	v_lshl_add_u64 v[0:1], v[50:51], 1, s[0:1]
	v_lshl_add_u64 v[0:1], v[0:1], 0, v[46:47]
	v_perm_b32 v3, v79, v78, s2
	v_perm_b32 v2, v75, v74, s2
	global_store_dwordx2 v[0:1], v[2:3], off
	v_perm_b32 v3, v77, v76, s2
	v_perm_b32 v2, v73, v72, s2
	global_store_dwordx2 v[0:1], v[2:3], off offset:128
	v_lshl_add_u64 v[0:1], v[52:53], 1, s[0:1]
	;; [unrolled: 8-line block ×3, first 2 shown]
	v_lshl_add_u64 v[0:1], v[0:1], 0, v[46:47]
	v_perm_b32 v3, v63, v62, s2
	v_perm_b32 v2, v59, v58, s2
	global_store_dwordx2 v[0:1], v[2:3], off
	v_perm_b32 v3, v61, v60, s2
	v_perm_b32 v2, v57, v56, s2
	global_store_dwordx2 v[0:1], v[2:3], off offset:128
	s_endpgm
	.section	.rodata,"a",@progbits
	.p2align	6, 0x0
	.amdhsa_kernel _ZN12_GLOBAL__N_139chunk_gated_delta_rule_fwd_h_hip_kernelILi64ELb1ELb1ELb0ELb0ELb0ELb1ELb0ELb1EEEvPK12hip_bfloat16S3_S3_PKfS5_PKvPS1_S8_PvPKiSB_iiiiilll
		.amdhsa_group_segment_fixed_size 65536
		.amdhsa_private_segment_fixed_size 0
		.amdhsa_kernarg_size 136
		.amdhsa_user_sgpr_count 2
		.amdhsa_user_sgpr_dispatch_ptr 0
		.amdhsa_user_sgpr_queue_ptr 0
		.amdhsa_user_sgpr_kernarg_segment_ptr 1
		.amdhsa_user_sgpr_dispatch_id 0
		.amdhsa_user_sgpr_kernarg_preload_length 0
		.amdhsa_user_sgpr_kernarg_preload_offset 0
		.amdhsa_user_sgpr_private_segment_size 0
		.amdhsa_uses_dynamic_stack 0
		.amdhsa_enable_private_segment 0
		.amdhsa_system_sgpr_workgroup_id_x 1
		.amdhsa_system_sgpr_workgroup_id_y 1
		.amdhsa_system_sgpr_workgroup_id_z 0
		.amdhsa_system_sgpr_workgroup_info 0
		.amdhsa_system_vgpr_workitem_id 0
		.amdhsa_next_free_vgpr 240
		.amdhsa_next_free_sgpr 73
		.amdhsa_accum_offset 200
		.amdhsa_reserve_vcc 1
		.amdhsa_float_round_mode_32 0
		.amdhsa_float_round_mode_16_64 0
		.amdhsa_float_denorm_mode_32 3
		.amdhsa_float_denorm_mode_16_64 3
		.amdhsa_dx10_clamp 1
		.amdhsa_ieee_mode 1
		.amdhsa_fp16_overflow 0
		.amdhsa_tg_split 0
		.amdhsa_exception_fp_ieee_invalid_op 0
		.amdhsa_exception_fp_denorm_src 0
		.amdhsa_exception_fp_ieee_div_zero 0
		.amdhsa_exception_fp_ieee_overflow 0
		.amdhsa_exception_fp_ieee_underflow 0
		.amdhsa_exception_fp_ieee_inexact 0
		.amdhsa_exception_int_div_zero 0
	.end_amdhsa_kernel
	.section	.text._ZN12_GLOBAL__N_139chunk_gated_delta_rule_fwd_h_hip_kernelILi64ELb1ELb1ELb0ELb0ELb0ELb1ELb0ELb1EEEvPK12hip_bfloat16S3_S3_PKfS5_PKvPS1_S8_PvPKiSB_iiiiilll,"axG",@progbits,_ZN12_GLOBAL__N_139chunk_gated_delta_rule_fwd_h_hip_kernelILi64ELb1ELb1ELb0ELb0ELb0ELb1ELb0ELb1EEEvPK12hip_bfloat16S3_S3_PKfS5_PKvPS1_S8_PvPKiSB_iiiiilll,comdat
.Lfunc_end90:
	.size	_ZN12_GLOBAL__N_139chunk_gated_delta_rule_fwd_h_hip_kernelILi64ELb1ELb1ELb0ELb0ELb0ELb1ELb0ELb1EEEvPK12hip_bfloat16S3_S3_PKfS5_PKvPS1_S8_PvPKiSB_iiiiilll, .Lfunc_end90-_ZN12_GLOBAL__N_139chunk_gated_delta_rule_fwd_h_hip_kernelILi64ELb1ELb1ELb0ELb0ELb0ELb1ELb0ELb1EEEvPK12hip_bfloat16S3_S3_PKfS5_PKvPS1_S8_PvPKiSB_iiiiilll
                                        ; -- End function
	.section	.AMDGPU.csdata,"",@progbits
; Kernel info:
; codeLenInByte = 12884
; NumSgprs: 79
; NumVgprs: 198
; NumAgprs: 40
; TotalNumVgprs: 240
; ScratchSize: 0
; MemoryBound: 0
; FloatMode: 240
; IeeeMode: 1
; LDSByteSize: 65536 bytes/workgroup (compile time only)
; SGPRBlocks: 9
; VGPRBlocks: 29
; NumSGPRsForWavesPerEU: 79
; NumVGPRsForWavesPerEU: 240
; AccumOffset: 200
; Occupancy: 1
; WaveLimiterHint : 1
; COMPUTE_PGM_RSRC2:SCRATCH_EN: 0
; COMPUTE_PGM_RSRC2:USER_SGPR: 2
; COMPUTE_PGM_RSRC2:TRAP_HANDLER: 0
; COMPUTE_PGM_RSRC2:TGID_X_EN: 1
; COMPUTE_PGM_RSRC2:TGID_Y_EN: 1
; COMPUTE_PGM_RSRC2:TGID_Z_EN: 0
; COMPUTE_PGM_RSRC2:TIDIG_COMP_CNT: 0
; COMPUTE_PGM_RSRC3_GFX90A:ACCUM_OFFSET: 49
; COMPUTE_PGM_RSRC3_GFX90A:TG_SPLIT: 0
	.section	.text._ZN12_GLOBAL__N_139chunk_gated_delta_rule_fwd_h_hip_kernelILi64ELb1ELb0ELb1ELb0ELb0ELb1ELb0ELb1EEEvPK12hip_bfloat16S3_S3_PKfS5_PKvPS1_S8_PvPKiSB_iiiiilll,"axG",@progbits,_ZN12_GLOBAL__N_139chunk_gated_delta_rule_fwd_h_hip_kernelILi64ELb1ELb0ELb1ELb0ELb0ELb1ELb0ELb1EEEvPK12hip_bfloat16S3_S3_PKfS5_PKvPS1_S8_PvPKiSB_iiiiilll,comdat
	.globl	_ZN12_GLOBAL__N_139chunk_gated_delta_rule_fwd_h_hip_kernelILi64ELb1ELb0ELb1ELb0ELb0ELb1ELb0ELb1EEEvPK12hip_bfloat16S3_S3_PKfS5_PKvPS1_S8_PvPKiSB_iiiiilll ; -- Begin function _ZN12_GLOBAL__N_139chunk_gated_delta_rule_fwd_h_hip_kernelILi64ELb1ELb0ELb1ELb0ELb0ELb1ELb0ELb1EEEvPK12hip_bfloat16S3_S3_PKfS5_PKvPS1_S8_PvPKiSB_iiiiilll
	.p2align	8
	.type	_ZN12_GLOBAL__N_139chunk_gated_delta_rule_fwd_h_hip_kernelILi64ELb1ELb0ELb1ELb0ELb0ELb1ELb0ELb1EEEvPK12hip_bfloat16S3_S3_PKfS5_PKvPS1_S8_PvPKiSB_iiiiilll,@function
_ZN12_GLOBAL__N_139chunk_gated_delta_rule_fwd_h_hip_kernelILi64ELb1ELb0ELb1ELb0ELb0ELb1ELb0ELb1EEEvPK12hip_bfloat16S3_S3_PKfS5_PKvPS1_S8_PvPKiSB_iiiiilll: ; @_ZN12_GLOBAL__N_139chunk_gated_delta_rule_fwd_h_hip_kernelILi64ELb1ELb0ELb1ELb0ELb0ELb1ELb0ELb1EEEvPK12hip_bfloat16S3_S3_PKfS5_PKvPS1_S8_PvPKiSB_iiiiilll
; %bb.0:
	s_load_dwordx4 s[12:15], s[0:1], 0x5c
	s_load_dwordx4 s[20:23], s[0:1], 0x70
	s_abs_i32 s6, s3
	s_ashr_i32 s5, s3, 31
	s_load_dwordx4 s[16:19], s[0:1], 0x28
	s_load_dwordx2 s[28:29], s[0:1], 0x38
	s_waitcnt lgkmcnt(0)
	s_abs_i32 s4, s13
	v_cvt_f32_u32_e32 v1, s4
	s_sub_i32 s8, 0, s4
	s_ashr_i32 s7, s13, 31
	s_xor_b32 s5, s5, s7
	v_rcp_iflag_f32_e32 v1, v1
	v_and_b32_e32 v90, 15, v0
	v_lshrrev_b32_e32 v88, 6, v0
	v_bfe_u32 v89, v0, 4, 2
	v_mul_f32_e32 v1, 0x4f7ffffe, v1
	v_cvt_u32_f32_e32 v1, v1
	v_mov_b32_e32 v7, 0
	v_and_b32_e32 v45, 63, v0
	v_lshrrev_b32_e32 v91, 3, v45
	v_readfirstlane_b32 s9, v1
	s_mul_i32 s8, s8, s9
	s_mul_hi_u32 s8, s9, s8
	s_add_i32 s9, s9, s8
	s_mul_hi_u32 s8, s6, s9
	s_mul_i32 s9, s8, s4
	s_sub_i32 s6, s6, s9
	s_add_i32 s10, s8, 1
	s_sub_i32 s9, s6, s4
	s_cmp_ge_u32 s6, s4
	s_cselect_b32 s8, s10, s8
	s_cselect_b32 s6, s9, s6
	s_add_i32 s9, s8, 1
	s_cmp_ge_u32 s6, s4
	s_cselect_b32 s6, s9, s8
	s_xor_b32 s6, s6, s5
	s_add_i32 s8, s12, 63
	s_sub_i32 s53, s6, s5
	s_ashr_i32 s9, s8, 31
	s_mul_i32 s5, s53, s13
	s_sub_i32 s50, s3, s5
	s_lshr_b32 s3, s9, 26
	s_add_i32 s8, s8, s3
	s_abs_i32 s3, s14
	v_cvt_f32_u32_e32 v1, s3
	s_ashr_i32 s52, s12, 31
	s_lshr_b32 s6, s52, 26
	s_add_i32 s6, s12, s6
	v_rcp_iflag_f32_e32 v1, v1
	s_ashr_i32 s55, s14, 31
	s_ashr_i32 s54, s6, 6
	s_lshl_b32 s38, s2, 6
	v_mul_f32_e32 v1, 0x4f7ffffe, v1
	v_cvt_u32_f32_e32 v1, v1
	s_xor_b32 s2, s7, s55
	s_sub_i32 s6, 0, s3
	s_ashr_i32 s25, s8, 6
	v_readfirstlane_b32 s7, v1
	s_mul_i32 s6, s6, s7
	s_mul_hi_u32 s6, s7, s6
	s_add_i32 s7, s7, s6
	s_mul_hi_u32 s6, s4, s7
	s_mul_i32 s7, s6, s3
	s_sub_i32 s4, s4, s7
	s_add_i32 s7, s6, 1
	s_sub_i32 s8, s4, s3
	s_cmp_ge_u32 s4, s3
	s_cselect_b32 s6, s7, s6
	s_cselect_b32 s4, s8, s4
	s_add_i32 s7, s6, 1
	s_cmp_ge_u32 s4, s3
	s_cselect_b32 s3, s7, s6
	s_xor_b32 s3, s3, s2
	s_sub_i32 s2, s3, s2
	s_abs_i32 s3, s2
	v_cvt_f32_u32_e32 v1, s3
	s_sub_i32 s6, 0, s3
	s_abs_i32 s4, s50
	s_xor_b32 s2, s50, s2
	v_rcp_iflag_f32_e32 v1, v1
	s_ashr_i32 s2, s2, 31
	v_or_b32_e32 v46, s38, v90
	v_lshlrev_b32_e32 v2, 7, v46
	v_mul_f32_e32 v1, 0x4f7ffffe, v1
	v_cvt_u32_f32_e32 v1, v1
	v_or_b32_e32 v10, 0x800, v2
	v_ashrrev_i32_e32 v3, 31, v2
	v_ashrrev_i32_e32 v11, 31, v10
	v_readfirstlane_b32 s7, v1
	s_mul_i32 s6, s6, s7
	s_mul_hi_u32 s6, s7, s6
	s_add_i32 s7, s7, s6
	s_mul_hi_u32 s6, s4, s7
	s_mul_i32 s7, s6, s3
	s_sub_i32 s4, s4, s7
	s_add_i32 s7, s6, 1
	s_sub_i32 s8, s4, s3
	s_cmp_ge_u32 s4, s3
	s_cselect_b32 s6, s7, s6
	s_cselect_b32 s4, s8, s4
	s_add_i32 s7, s6, 1
	s_cmp_ge_u32 s4, s3
	s_cselect_b32 s3, s7, s6
	s_xor_b32 s3, s3, s2
	s_sub_i32 s56, s3, s2
	s_ashr_i32 s24, s53, 31
	s_ashr_i32 s51, s50, 31
	s_mul_hi_i32 s2, s53, s13
	s_add_u32 s40, s5, s50
	s_addc_u32 s41, s2, s51
	s_lshl_b64 s[2:3], s[40:41], 15
	v_lshlrev_b32_e32 v1, 4, v88
	s_add_u32 s2, s16, s2
	v_lshl_or_b32 v93, v89, 2, v1
	s_addc_u32 s3, s17, s3
	v_lshl_add_u64 v[4:5], v[2:3], 1, s[2:3]
	v_lshlrev_b32_e32 v6, 1, v93
	v_lshl_add_u64 v[10:11], v[10:11], 1, s[2:3]
	v_lshl_add_u64 v[4:5], v[4:5], 0, v[6:7]
	;; [unrolled: 1-line block ×3, first 2 shown]
	global_load_dwordx2 v[8:9], v[4:5], off
	v_or_b32_e32 v94, 64, v93
	global_load_dwordx2 v[4:5], v[4:5], off offset:128
	s_nop 0
	global_load_dwordx2 v[12:13], v[10:11], off
	global_load_dwordx2 v[14:15], v[10:11], off offset:128
	v_or_b32_e32 v10, 0x1000, v2
	v_or_b32_e32 v2, 0x1800, v2
	v_ashrrev_i32_e32 v11, 31, v10
	v_ashrrev_i32_e32 v3, 31, v2
	v_lshl_add_u64 v[10:11], v[10:11], 1, s[2:3]
	v_lshl_add_u64 v[2:3], v[2:3], 1, s[2:3]
	;; [unrolled: 1-line block ×4, first 2 shown]
	global_load_dwordx2 v[16:17], v[10:11], off
	s_mul_i32 s57, s53, s25
	global_load_dwordx2 v[10:11], v[10:11], off offset:128
	s_nop 0
	global_load_dwordx2 v[6:7], v[2:3], off
	global_load_dwordx2 v[18:19], v[2:3], off offset:128
	s_load_dwordx8 s[4:11], s[0:1], 0x0
	s_load_dwordx2 s[30:31], s[0:1], 0x80
	s_cmp_lt_i32 s12, 64
	v_lshlrev_b32_e32 v92, 3, v0
	s_mul_i32 s58, s41, s12
	s_mul_hi_u32 s59, s40, s12
	s_mul_i32 s16, s40, s12
	s_mul_i32 s33, s53, s21
	s_mul_hi_u32 s46, s53, s20
	s_mul_i32 s41, s24, s20
	s_mul_i32 s36, s53, s20
	;; [unrolled: 1-line block ×3, first 2 shown]
	s_mul_hi_u32 s48, s50, s22
	s_mul_i32 s49, s51, s22
	s_mul_i32 s34, s50, s22
	s_waitcnt vmcnt(7)
	v_and_b32_e32 v75, 0xffff0000, v8
	v_lshlrev_b32_e32 v74, 16, v8
	v_and_b32_e32 v79, 0xffff0000, v9
	v_lshlrev_b32_e32 v78, 16, v9
	s_waitcnt vmcnt(6)
	v_and_b32_e32 v73, 0xffff0000, v4
	v_lshlrev_b32_e32 v72, 16, v4
	v_and_b32_e32 v77, 0xffff0000, v5
	v_lshlrev_b32_e32 v76, 16, v5
	;; [unrolled: 5-line block ×8, first 2 shown]
	s_cbranch_scc1 .LBB91_18
; %bb.1:
	s_add_i32 s17, s59, s58
	s_lshl_b64 s[2:3], s[16:17], 8
	v_and_b32_e32 v96, 56, v92
	s_waitcnt lgkmcnt(0)
	s_add_u32 s20, s6, s2
	v_lshl_or_b32 v95, v88, 3, v91
	v_lshlrev_b32_e32 v2, 1, v96
	s_addc_u32 s2, s7, s3
	v_lshl_or_b32 v97, v95, 8, v2
	s_and_b32 s21, s2, 0xffff
	s_mov_b32 s23, 0x20000
	s_movk_i32 s22, 0x4000
	s_movk_i32 s2, 0x80
	v_or_b32_e32 v98, 0x2000, v97
	buffer_load_dwordx4 v[4:7], v97, s[20:23], 0 offen
	buffer_load_dwordx4 v[8:11], v97, s[20:23], s2 offen
	;; [unrolled: 1-line block ×4, first 2 shown]
	v_lshlrev_b32_e32 v3, 3, v95
	v_and_or_b32 v21, v0, 7, v3
	v_and_b32_e32 v3, 0x78, v3
	v_lshlrev_b32_e32 v21, 4, v21
	v_xor_b32_e32 v99, v21, v3
	v_mul_lo_u32 v20, v95, s15
	v_or_b32_e32 v100, 0x1000, v99
	v_xor_b32_e32 v3, 8, v99
	s_cmpk_eq_i32 s15, 0x80
	s_mov_b32 s60, s14
	v_xor_b32_e32 v21, 8, v100
	s_cselect_b64 s[2:3], -1, 0
	s_cmpk_lg_i32 s15, 0x80
	s_waitcnt vmcnt(3)
	ds_write_b64 v99, v[4:5] offset:49152
	ds_write_b64 v3, v[6:7] offset:49152
	s_waitcnt vmcnt(2)
	ds_write_b64 v99, v[8:9] offset:57344
	ds_write_b64 v3, v[10:11] offset:57344
	;; [unrolled: 3-line block ×4, first 2 shown]
	v_lshl_add_u32 v3, v20, 1, v96
	s_cbranch_scc0 .LBB91_3
; %bb.2:
	v_lshlrev_b32_e32 v5, 1, v3
	v_add_lshl_u32 v4, v3, s15, 1
	s_lshl_b32 s22, s15, 7
	s_load_dwordx2 s[42:43], s[0:1], 0x20
	v_lshl_or_b32 v2, v95, 9, v2
	s_cbranch_execz .LBB91_4
	s_branch .LBB91_5
.LBB91_3:
                                        ; implicit-def: $vgpr4
                                        ; implicit-def: $vgpr5
                                        ; implicit-def: $sgpr22
	s_load_dwordx2 s[42:43], s[0:1], 0x20
	v_lshl_or_b32 v2, v95, 9, v2
.LBB91_4:
	v_or_b32_e32 v4, 0x100, v2
	s_movk_i32 s22, 0x4000
	v_mov_b32_e32 v5, v2
.LBB91_5:
	s_mul_hi_u32 s0, s14, s12
	s_mul_i32 s1, s55, s12
	s_add_i32 s0, s0, s1
	s_mul_i32 s1, s14, s12
	s_mul_i32 s20, s1, s24
	s_mul_hi_u32 s21, s1, s53
	s_add_i32 s20, s21, s20
	s_mul_i32 s0, s0, s53
	s_add_i32 s20, s20, s0
	s_mul_i32 s1, s1, s53
	s_ashr_i32 s61, s56, 31
	s_add_u32 s0, s1, s56
	s_addc_u32 s1, s20, s61
	s_lshl_b64 s[0:1], s[0:1], 8
	s_add_u32 s20, s4, s0
	s_addc_u32 s0, s5, s1
	s_and_b32 s21, s0, 0xffff
	s_movk_i32 s62, 0x80
	buffer_load_dwordx4 v[6:9], v5, s[20:23], 0 offen
	buffer_load_dwordx4 v[10:13], v5, s[20:23], s62 offen
	;; [unrolled: 1-line block ×4, first 2 shown]
	v_and_b32_e32 v5, 6, v0
	v_lshlrev_b32_e32 v4, 7, v93
	v_xor_b32_e32 v26, v95, v5
	v_and_b32_e32 v22, 1, v0
	v_lshl_or_b32 v29, v90, 3, v4
	v_lshlrev_b32_e32 v26, 2, v26
	v_or_b32_e32 v101, 0x4000, v29
	v_or_b32_e32 v102, 0x6000, v29
	v_xor_b32_e32 v29, 0x440, v26
	v_cmp_eq_u32_e32 vcc, 0, v22
	v_lshlrev_b32_e32 v23, 2, v90
	s_mov_b32 s65, 0x1000504
	v_cndmask_b32_e32 v22, v29, v26, vcc
	v_xor_b32_e32 v27, v93, v23
	v_xor_b32_e32 v28, v94, v23
	v_lshl_or_b32 v5, v5, 10, v22
	s_mov_b32 s66, 0x3020706
	v_lshlrev_b32_e32 v24, 8, v90
	v_or_b32_e32 v25, 16, v90
	v_lshlrev_b32_e32 v27, 1, v27
	v_lshlrev_b32_e32 v28, 1, v28
	v_xor_b32_e32 v22, 8, v5
	v_xor_b32_e32 v26, 24, v5
	;; [unrolled: 1-line block ×4, first 2 shown]
	s_mul_i32 s24, s24, s12
	s_mul_hi_u32 s0, s53, s12
	v_or_b32_e32 v104, v24, v27
	v_or_b32_e32 v105, v24, v28
	v_xor_b32_e32 v24, 16, v5
	v_xor_b32_e32 v29, 32, v5
	;; [unrolled: 1-line block ×3, first 2 shown]
	v_add_u32_e32 v22, 0x80, v22
	v_add_u32_e32 v26, 0x80, v26
	;; [unrolled: 1-line block ×4, first 2 shown]
	s_add_i32 s67, s0, s24
	s_add_i32 s0, s46, s33
	;; [unrolled: 1-line block ×5, first 2 shown]
	s_lshl_b64 s[0:1], s[36:37], 2
	s_add_u32 s20, s10, s0
	s_addc_u32 s21, s11, s1
	s_lshl_b64 s[0:1], s[34:35], 2
	s_add_u32 s44, s20, s0
	s_movk_i32 s0, 0xf8
	s_addc_u32 s45, s21, s1
	s_ashr_i32 s39, s38, 31
	s_lshl_b32 s26, s15, 7
	v_mov_b32_e32 v81, 0
	s_movk_i32 s20, 0x100
	v_lshlrev_b32_e32 v80, 4, v90
	v_ashrrev_i32_e32 v47, 31, v46
	s_mul_i32 s63, s53, s12
	v_lshl_or_b32 v30, v25, 3, v4
	s_mov_b32 s64, 0
	v_or_b32_e32 v103, 0x4000, v30
	s_movk_i32 s22, 0x4000
	v_or_b32_e32 v106, 0x6000, v30
	s_mov_b32 s37, 0x7060302
	s_movk_i32 s68, 0x3000
	v_mov_b32_e32 v146, 0x3fb8aa3b
	s_mov_b32 s70, 0
	s_waitcnt vmcnt(1)
	v_perm_b32 v34, v6, v14, s65
	s_waitcnt vmcnt(0)
	v_perm_b32 v35, v10, v18, s65
	v_perm_b32 v6, v6, v14, s66
	;; [unrolled: 1-line block ×15, first 2 shown]
	ds_write2st64_b32 v5, v34, v35 offset0:128 offset1:160
	ds_write2st64_b32 v22, v6, v10 offset0:128 offset1:160
	;; [unrolled: 1-line block ×8, first 2 shown]
	v_lshlrev_b32_e32 v5, 8, v25
	v_or_b32_e32 v107, v5, v27
	v_or_b32_e32 v108, v5, v28
	;; [unrolled: 1-line block ×3, first 2 shown]
	v_lshl_or_b32 v6, v5, 3, v4
	v_lshlrev_b32_e32 v5, 8, v5
	v_or_b32_e32 v111, v5, v27
	v_or_b32_e32 v112, v5, v28
	;; [unrolled: 1-line block ×5, first 2 shown]
	v_lshl_or_b32 v6, v5, 3, v4
	v_lshlrev_b32_e32 v5, 8, v5
	v_or_b32_e32 v115, v5, v27
	v_or_b32_e32 v116, v5, v28
	;; [unrolled: 1-line block ×3, first 2 shown]
	v_lshlrev_b32_e32 v5, 3, v5
	v_lshrrev_b32_e32 v7, 5, v45
	v_and_or_b32 v7, v5, s0, v7
	v_lshlrev_b32_e32 v7, 4, v7
	v_or_b32_e32 v113, 0x4000, v6
	v_or_b32_e32 v114, 0x6000, v6
	v_lshrrev_b32_e32 v6, 2, v45
	v_lshlrev_b32_e32 v9, 11, v88
	v_and_b32_e32 v5, 0x78, v5
	v_or_b32_e32 v13, 32, v7
	v_and_b32_e32 v8, 12, v6
	v_and_b32_e32 v6, 0x1000, v9
	v_xor_b32_e32 v10, v7, v5
	v_lshrrev_b32_e32 v11, 1, v45
	v_xor_b32_e32 v13, v13, v5
	v_or_b32_e32 v10, v10, v6
	v_and_b32_e32 v11, 8, v11
	v_or_b32_e32 v13, v13, v6
	v_xor_b32_e32 v117, v10, v11
	v_lshlrev_b32_e32 v10, 8, v89
	v_xor_b32_e32 v119, v13, v11
	v_or_b32_e32 v13, 64, v7
	v_or_b32_e32 v7, 0x60, v7
	;; [unrolled: 1-line block ×3, first 2 shown]
	v_xor_b32_e32 v13, v13, v5
	v_xor_b32_e32 v5, v7, v5
	s_lshl_b64 s[0:1], s[38:39], 8
	v_lshlrev_b32_e32 v12, 1, v12
	v_or_b32_e32 v13, v13, v6
	v_or_b32_e32 v5, v5, v6
	s_add_u32 s0, s18, s0
	v_lshlrev_b32_e32 v6, 1, v90
	v_lshlrev_b32_e32 v15, 2, v0
	v_or_b32_e32 v118, 0x4000, v12
	v_or_b32_e32 v120, 0x4080, v12
	;; [unrolled: 1-line block ×4, first 2 shown]
	v_xor_b32_e32 v123, v13, v11
	v_xor_b32_e32 v124, v5, v11
	v_or_b32_e32 v125, 0x6000, v12
	v_or_b32_e32 v126, 0x6080, v12
	;; [unrolled: 1-line block ×4, first 2 shown]
	v_lshlrev_b32_e32 v5, 1, v3
	v_add_lshl_u32 v3, v3, s15, 1
	v_or_b32_e32 v11, 0x100, v2
	v_lshrrev_b32_e32 v12, 4, v0
	s_addc_u32 s1, s19, s1
	v_or_b32_e32 v7, 1, v6
	v_lshrrev_b32_e32 v16, 1, v0
	v_and_or_b32 v10, v15, 60, v10
	v_xor_b32_e32 v13, v12, v6
	v_xor_b32_e32 v14, v7, v12
	v_lshl_add_u64 v[6:7], s[0:1], 0, v[80:81]
	v_and_b32_e32 v16, 24, v16
	v_lshlrev_b32_e32 v10, 1, v10
	v_cndmask_b32_e64 v135, v5, v2, s[2:3]
	v_cndmask_b32_e64 v136, v3, v11, s[2:3]
	v_mov_b32_e32 v3, 0xa000
	v_mov_b32_e32 v5, 0x8000
	v_cmp_gt_u32_e64 s[0:1], s20, v0
	v_lshlrev_b32_e32 v80, 8, v12
	v_or_b32_e32 v131, 0x6000, v10
	v_or_b32_e32 v15, 32, v16
	;; [unrolled: 1-line block ×6, first 2 shown]
	v_cndmask_b32_e64 v3, v3, v5, s[0:1]
	v_lshlrev_b32_e32 v5, 3, v88
	v_lshl_or_b32 v129, v13, 3, v80
	v_and_b32_e32 v13, 8, v0
	v_xor_b32_e32 v11, v5, v16
	v_xor_b32_e32 v15, v5, v15
	;; [unrolled: 1-line block ×3, first 2 shown]
	v_mov_b32_e32 v17, 0x400
	v_cmp_eq_u32_e32 vcc, 0, v13
	v_or_b32_e32 v16, 0x440, v11
	v_or_b32_e32 v18, 0x440, v15
	v_xor_b32_e32 v10, 0x440, v5
	v_and_b32_e32 v12, 7, v0
	v_cndmask_b32_e64 v13, v17, 64, vcc
	v_cndmask_b32_e32 v16, v16, v11, vcc
	v_cndmask_b32_e32 v15, v18, v15, vcc
	;; [unrolled: 1-line block ×3, first 2 shown]
	v_lshl_or_b32 v130, v14, 3, v80
	v_lshlrev_b32_e32 v14, 3, v12
	v_or_b32_e32 v16, v16, v9
	v_or_b32_e32 v15, v15, v9
	v_or3_b32 v11, v9, v13, v11
	v_or_b32_e32 v5, v5, v9
	v_lshlrev_b32_e32 v12, 7, v12
	v_xor_b32_e32 v16, v16, v14
	v_xor_b32_e32 v15, v15, v14
	;; [unrolled: 1-line block ×4, first 2 shown]
	v_or_b32_e32 v2, v1, v8
	v_add_u32_e32 v17, v3, v16
	v_add_u32_e32 v18, v3, v15
	v_or_b32_e32 v137, v11, v12
	v_add_u32_e32 v9, v3, v5
	v_or3_b32 v8, v1, v8, 64
	v_add_u32_e32 v13, 0xa000, v16
	v_add_u32_e32 v14, 0xa000, v15
	v_add_u32_e32 v5, 0xa000, v5
	v_lshlrev_b64 v[10:11], 1, v[46:47]
	v_lshl_add_u64 v[82:83], s[8:9], 0, v[10:11]
	v_lshl_add_u64 v[84:85], s[28:29], 0, v[10:11]
	;; [unrolled: 1-line block ×3, first 2 shown]
	s_add_i32 s35, s63, 63
	v_lshlrev_b32_e32 v80, 1, v4
	s_movk_i32 s39, 0x2000
	v_lshlrev_b32_e32 v47, 2, v2
	v_add_u32_e32 v138, v17, v12
	v_add_u32_e32 v139, v18, v12
	;; [unrolled: 1-line block ×4, first 2 shown]
	v_lshlrev_b32_e32 v142, 2, v8
	v_add_u32_e32 v143, v13, v12
	v_add_u32_e32 v144, v14, v12
	;; [unrolled: 1-line block ×3, first 2 shown]
	s_waitcnt lgkmcnt(0)
	s_barrier
.LBB91_6:                               ; =>This Inner Loop Header: Depth=1
	s_add_i32 s69, s70, 1
	s_cmp_lt_i32 s69, s54
	s_mov_b64 s[24:25], 0
	s_cselect_b64 s[2:3], -1, 0
	s_cmp_ge_i32 s69, s54
	s_mov_b64 s[20:21], 0
	s_cbranch_scc1 .LBB91_8
; %bb.7:                                ;   in Loop: Header=BB91_6 Depth=1
	s_add_i32 s0, s64, 64
	s_add_u32 s0, s16, s0
	s_addc_u32 s1, s17, 0
	s_lshl_b64 s[0:1], s[0:1], 8
	s_add_u32 s20, s6, s0
	s_addc_u32 s21, s7, s1
.LBB91_8:                               ;   in Loop: Header=BB91_6 Depth=1
	v_cndmask_b32_e64 v2, 0, 1, s[2:3]
	v_cmp_ne_u32_e64 s[0:1], 1, v2
	s_andn2_b64 vcc, exec, s[2:3]
	s_cbranch_vccnz .LBB91_10
; %bb.9:                                ;   in Loop: Header=BB91_6 Depth=1
	s_add_i32 s2, s64, 64
	s_add_u32 s2, s63, s2
	s_addc_u32 s3, s67, 0
	s_mul_i32 s24, s2, s55
	s_mul_hi_u32 s25, s2, s60
	s_add_i32 s24, s25, s24
	s_mul_i32 s3, s3, s60
	s_add_i32 s24, s24, s3
	s_mul_i32 s2, s2, s60
	s_add_u32 s2, s2, s56
	s_addc_u32 s3, s24, s61
	s_lshl_b64 s[2:3], s[2:3], 8
	s_add_u32 s24, s4, s2
	s_addc_u32 s25, s5, s3
.LBB91_10:                              ;   in Loop: Header=BB91_6 Depth=1
	v_perm_b32 v3, v79, v78, s37
	v_perm_b32 v2, v75, v74, s37
	v_perm_b32 v5, v77, v76, s37
	v_perm_b32 v4, v73, v72, s37
	ds_write_b64 v101, v[2:3]
	ds_write_b64 v102, v[4:5]
	ds_write_b64 v104, v[2:3]
	ds_write_b64 v105, v[4:5]
	v_perm_b32 v3, v71, v70, s37
	v_perm_b32 v2, v67, v66, s37
	v_perm_b32 v5, v69, v68, s37
	v_perm_b32 v4, v65, v64, s37
	ds_write_b64 v103, v[2:3]
	ds_write_b64 v106, v[4:5]
	ds_write_b64 v107, v[2:3]
	ds_write_b64 v108, v[4:5]
	;; [unrolled: 8-line block ×4, first 2 shown]
	s_waitcnt lgkmcnt(0)
	s_barrier
	ds_read_b64 v[6:7], v117 offset:49152
	ds_read2_b64 v[2:5], v118 offset1:16
	ds_read_b64 v[18:19], v120 offset:6144
	ds_read_b64 v[20:21], v118 offset:6144
	s_waitcnt lgkmcnt(2)
	v_mfma_f32_16x16x16_bf16 a[0:3], v[6:7], v[2:3], 0
	ds_read_b64 v[22:23], v119 offset:49152
	ds_read2st64_b64 v[10:13], v121 offset0:4 offset1:8
	ds_read2st64_b64 v[14:17], v122 offset0:4 offset1:8
	v_mfma_f32_16x16x16_bf16 a[4:7], v[6:7], v[4:5], 0
	ds_read2_b64 v[2:5], v118 offset0:32 offset1:48
	s_add_i32 s2, s64, 63
	s_mul_i32 s3, s2, s31
	s_waitcnt lgkmcnt(0)
	v_mfma_f32_16x16x16_bf16 a[8:11], v[6:7], v[2:3], 0
	s_mul_hi_u32 s27, s2, s30
	s_add_i32 s3, s27, s3
	s_mul_i32 s2, s2, s30
	v_mfma_f32_16x16x16_bf16 a[12:15], v[6:7], v[4:5], 0
	ds_read2st64_b64 v[2:5], v118 offset0:4 offset1:8
	ds_read2st64_b64 v[6:9], v120 offset0:4 offset1:8
	s_lshl_b64 s[2:3], s[2:3], 2
	s_waitcnt lgkmcnt(1)
	v_mfma_f32_16x16x16_bf16 a[0:3], v[22:23], v[2:3], a[0:3]
	s_add_u32 s2, s44, s2
	s_addc_u32 s3, s45, s3
	s_and_b64 vcc, exec, s[0:1]
	s_waitcnt lgkmcnt(0)
	v_mfma_f32_16x16x16_bf16 a[4:7], v[22:23], v[6:7], a[4:7]
	v_mov_b32_e32 v149, 0
	v_mov_b32_e32 v148, 0
	;; [unrolled: 1-line block ×3, first 2 shown]
	v_mfma_f32_16x16x16_bf16 a[8:11], v[22:23], v[10:11], a[8:11]
	ds_read_b64 v[2:3], v123 offset:49152
	ds_read_b64 v[6:7], v124 offset:49152
	;; [unrolled: 1-line block ×3, first 2 shown]
	v_mfma_f32_16x16x16_bf16 a[12:15], v[22:23], v[14:15], a[12:15]
	v_mov_b32_e32 v14, 0
	v_mov_b32_e32 v15, 0
	s_waitcnt lgkmcnt(2)
	v_mfma_f32_16x16x16_bf16 a[0:3], v[2:3], v[4:5], a[0:3]
	v_mov_b32_e32 v4, 0
	v_mov_b32_e32 v5, 0
	v_mfma_f32_16x16x16_bf16 a[4:7], v[2:3], v[8:9], a[4:7]
	v_mov_b32_e32 v8, 0
	v_mov_b32_e32 v9, 0
	;; [unrolled: 3-line block ×3, first 2 shown]
	v_mfma_f32_16x16x16_bf16 a[12:15], v[2:3], v[16:17], a[12:15]
	ds_read_b64 v[2:3], v121 offset:6144
	v_mov_b32_e32 v16, 0
	v_mov_b32_e32 v17, 0
	s_waitcnt lgkmcnt(2)
	v_mfma_f32_16x16x16_bf16 a[0:3], v[6:7], v[20:21], a[0:3]
	v_mfma_f32_16x16x16_bf16 a[4:7], v[6:7], v[18:19], a[4:7]
	s_waitcnt lgkmcnt(0)
	v_mfma_f32_16x16x16_bf16 a[8:11], v[6:7], v[2:3], a[8:11]
	v_mov_b32_e32 v2, 0
	v_mov_b32_e32 v3, 0
	v_mfma_f32_16x16x16_bf16 a[12:15], v[6:7], v[10:11], a[12:15]
	v_mov_b32_e32 v6, 0
	v_mov_b32_e32 v7, 0
	;; [unrolled: 1-line block ×4, first 2 shown]
	s_cbranch_vccnz .LBB91_12
; %bb.11:                               ;   in Loop: Header=BB91_6 Depth=1
	s_and_b32 s21, s21, 0xffff
	buffer_load_dwordx4 v[14:17], v97, s[20:23], 0 offen
	buffer_load_dwordx4 v[10:13], v97, s[20:23], s62 offen
	;; [unrolled: 1-line block ×4, first 2 shown]
	v_mov_b32_e32 v148, v99
	v_mov_b32_e32 v147, v100
.LBB91_12:                              ;   in Loop: Header=BB91_6 Depth=1
	ds_read_b64 v[38:39], v117 offset:57344
	ds_read2_b64 v[18:21], v125 offset1:16
	ds_read_b64 v[40:41], v119 offset:57344
	ds_read_b64 v[42:43], v123 offset:57344
	;; [unrolled: 1-line block ×3, first 2 shown]
	s_waitcnt lgkmcnt(3)
	v_mfma_f32_16x16x16_bf16 a[0:3], v[38:39], v[18:19], a[0:3]
	v_mfma_f32_16x16x16_bf16 a[4:7], v[38:39], v[20:21], a[4:7]
	ds_read2_b64 v[18:21], v125 offset0:32 offset1:48
	ds_read2st64_b64 v[22:25], v125 offset0:4 offset1:8
	ds_read2st64_b64 v[26:29], v126 offset0:4 offset1:8
	;; [unrolled: 1-line block ×4, first 2 shown]
	s_waitcnt lgkmcnt(4)
	v_mfma_f32_16x16x16_bf16 a[8:11], v[38:39], v[18:19], a[8:11]
	v_mfma_f32_16x16x16_bf16 a[12:15], v[38:39], v[20:21], a[12:15]
	v_add_u32_e32 v38, s64, v93
	v_ashrrev_i32_e32 v18, 31, v38
	v_mul_lo_u32 v20, v18, s30
	v_mul_lo_u32 v21, v38, s31
	v_mad_u64_u32 v[18:19], s[20:21], v38, s30, 0
	v_add3_u32 v19, v19, v21, v20
	v_add_u32_e32 v20, 1, v38
	v_ashrrev_i32_e32 v21, 31, v20
	s_waitcnt lgkmcnt(3)
	v_mfma_f32_16x16x16_bf16 a[0:3], v[40:41], v[22:23], a[0:3]
	v_mul_lo_u32 v22, v21, s30
	v_mul_lo_u32 v23, v20, s31
	v_mad_u64_u32 v[20:21], s[20:21], v20, s30, 0
	v_add3_u32 v21, v21, v23, v22
	v_add_u32_e32 v22, 2, v38
	v_ashrrev_i32_e32 v23, 31, v22
	s_waitcnt lgkmcnt(2)
	v_mfma_f32_16x16x16_bf16 a[4:7], v[40:41], v[26:27], a[4:7]
	v_mul_lo_u32 v26, v23, s30
	v_mul_lo_u32 v27, v22, s31
	v_mad_u64_u32 v[22:23], s[20:21], v22, s30, 0
	v_add3_u32 v23, v23, v27, v26
	v_add_u32_e32 v26, 3, v38
	v_lshl_add_u64 v[18:19], v[18:19], 2, s[44:45]
	v_lshl_add_u64 v[20:21], v[20:21], 2, s[44:45]
	v_ashrrev_i32_e32 v27, 31, v26
	s_waitcnt lgkmcnt(1)
	v_mfma_f32_16x16x16_bf16 a[8:11], v[40:41], v[30:31], a[8:11]
	v_mul_lo_u32 v27, v27, s30
	global_load_dword v30, v[18:19], off
	v_mul_lo_u32 v31, v26, s31
	s_waitcnt lgkmcnt(0)
	v_mfma_f32_16x16x16_bf16 a[12:15], v[40:41], v[34:35], a[12:15]
	global_load_dword v34, v[20:21], off
	v_mad_u64_u32 v[18:19], s[20:21], v26, s30, 0
	v_add3_u32 v19, v19, v31, v27
	s_add_u32 s20, s16, s64
	v_lshl_add_u64 v[22:23], v[22:23], 2, s[44:45]
	v_lshl_add_u64 v[18:19], v[18:19], 2, s[44:45]
	s_addc_u32 s21, s17, 0
	global_load_dword v31, v[22:23], off
	global_load_dword v35, v[18:19], off
	s_lshl_b64 s[20:21], s[20:21], 8
	v_lshl_add_u64 v[18:19], v[82:83], 0, s[20:21]
	v_lshl_add_u64 v[18:19], v[18:19], 0, v[80:81]
	global_load_ushort v38, v[18:19], off offset:256
	global_load_ushort v39, v[18:19], off
	global_load_ushort v40, v[18:19], off offset:768
	global_load_ushort v41, v[18:19], off offset:512
	global_load_ushort v44, v[18:19], off offset:288
	global_load_ushort v152, v[18:19], off offset:32
	global_load_ushort v153, v[18:19], off offset:800
	global_load_ushort v154, v[18:19], off offset:544
	s_load_dword s2, s[2:3], 0x0
	v_mfma_f32_16x16x16_bf16 a[12:15], v[42:43], v[36:37], a[12:15]
	global_load_ushort v36, v[18:19], off offset:320
	global_load_ushort v37, v[18:19], off offset:64
	s_and_b64 vcc, exec, s[0:1]
	v_mfma_f32_16x16x16_bf16 a[0:3], v[42:43], v[24:25], a[0:3]
	ds_read_b64 v[20:21], v125 offset:6144
	ds_read_b64 v[22:23], v126 offset:6144
	;; [unrolled: 1-line block ×4, first 2 shown]
	v_mfma_f32_16x16x16_bf16 a[4:7], v[42:43], v[28:29], a[4:7]
	s_waitcnt vmcnt(11) lgkmcnt(0)
	v_sub_f32_e32 v28, s2, v31
	v_mfma_f32_16x16x16_bf16 a[8:11], v[42:43], v[32:33], a[8:11]
	global_load_ushort v42, v[18:19], off offset:832
	global_load_ushort v43, v[18:19], off offset:576
	global_load_ushort v155, v[18:19], off offset:352
	global_load_ushort v156, v[18:19], off offset:96
	global_load_ushort v157, v[18:19], off offset:864
	global_load_ushort v158, v[18:19], off offset:608
	v_mfma_f32_16x16x16_bf16 a[0:3], v[150:151], v[20:21], a[0:3]
	s_waitcnt vmcnt(16)
	v_sub_f32_e32 v29, s2, v35
	v_mul_f32_e32 v28, 0x3fb8aa3b, v28
	v_mul_f32_e32 v29, 0x3fb8aa3b, v29
	v_exp_f32_e32 v28, v28
	v_exp_f32_e32 v29, v29
	s_waitcnt vmcnt(15)
	v_lshlrev_b32_e32 v33, 16, v38
	s_waitcnt vmcnt(14)
	v_lshlrev_b32_e32 v32, 16, v39
	v_accvgpr_read_b32 v21, a3
	v_accvgpr_read_b32 v20, a2
	v_mfma_f32_16x16x16_bf16 a[2:5], v[150:151], v[22:23], a[4:7]
	v_mfma_f32_16x16x16_bf16 a[6:9], v[150:151], v[24:25], a[8:11]
	s_nop 5
	v_accvgpr_read_b32 v23, a5
	v_accvgpr_read_b32 v22, a4
	;; [unrolled: 1-line block ×4, first 2 shown]
	v_mfma_f32_16x16x16_bf16 a[8:11], v[150:151], v[26:27], a[12:15]
	v_sub_f32_e32 v26, s2, v30
	v_sub_f32_e32 v27, s2, v34
	v_mul_f32_e32 v26, 0x3fb8aa3b, v26
	v_mul_f32_e32 v27, 0x3fb8aa3b, v27
	v_exp_f32_e32 v26, v26
	v_exp_f32_e32 v27, v27
	v_accvgpr_read_b32 v35, a1
	v_accvgpr_read_b32 v34, a0
	v_lshl_add_u64 v[30:31], v[84:85], 0, s[20:21]
	v_pk_add_f32 v[32:33], v[32:33], v[34:35] neg_lo:[0,1] neg_hi:[0,1]
	s_waitcnt vmcnt(13)
	v_lshlrev_b32_e32 v35, 16, v40
	s_waitcnt vmcnt(12)
	v_lshlrev_b32_e32 v34, 16, v41
	v_lshl_add_u64 v[30:31], v[30:31], 0, v[80:81]
	v_pk_add_f32 v[20:21], v[34:35], v[20:21] neg_lo:[0,1] neg_hi:[0,1]
	global_store_short_d16_hi v[30:31], v32, off
	global_store_short_d16_hi v[30:31], v33, off offset:256
	global_store_short_d16_hi v[30:31], v20, off offset:512
	;; [unrolled: 1-line block ×3, first 2 shown]
	v_pk_mul_f32 v[32:33], v[26:27], v[32:33]
	v_pk_mul_f32 v[20:21], v[28:29], v[20:21]
	v_accvgpr_read_b32 v35, a3
	v_perm_b32 v21, v21, v20, s37
	v_perm_b32 v20, v33, v32, s37
	s_waitcnt vmcnt(15)
	v_lshlrev_b32_e32 v33, 16, v44
	s_waitcnt vmcnt(14)
	v_lshlrev_b32_e32 v32, 16, v152
	v_accvgpr_read_b32 v34, a2
	v_pk_add_f32 v[32:33], v[32:33], v[34:35] neg_lo:[0,1] neg_hi:[0,1]
	s_waitcnt vmcnt(13)
	v_lshlrev_b32_e32 v35, 16, v153
	s_waitcnt vmcnt(12)
	v_lshlrev_b32_e32 v34, 16, v154
	v_pk_add_f32 v[22:23], v[34:35], v[22:23] neg_lo:[0,1] neg_hi:[0,1]
	global_store_short_d16_hi v[30:31], v32, off offset:32
	global_store_short_d16_hi v[30:31], v33, off offset:288
	;; [unrolled: 1-line block ×4, first 2 shown]
	v_pk_mul_f32 v[32:33], v[26:27], v[32:33]
	v_pk_mul_f32 v[22:23], v[28:29], v[22:23]
	v_accvgpr_read_b32 v25, a11
	v_perm_b32 v23, v23, v22, s37
	v_perm_b32 v22, v33, v32, s37
	ds_write2_b64 v102, v[20:21], v[22:23] offset1:16
	v_accvgpr_read_b32 v23, a7
	s_waitcnt vmcnt(15)
	v_lshlrev_b32_e32 v21, 16, v36
	s_waitcnt vmcnt(14)
	v_lshlrev_b32_e32 v20, 16, v37
	v_accvgpr_read_b32 v22, a6
	v_pk_add_f32 v[20:21], v[20:21], v[22:23] neg_lo:[0,1] neg_hi:[0,1]
	global_store_short_d16_hi v[30:31], v20, off offset:64
	global_store_short_d16_hi v[30:31], v21, off offset:320
	v_pk_mul_f32 v[20:21], v[26:27], v[20:21]
	v_accvgpr_read_b32 v24, a10
	v_perm_b32 v20, v21, v20, s37
	v_mov_b32_e32 v150, 0
	v_mov_b32_e32 v32, 0
	;; [unrolled: 1-line block ×3, first 2 shown]
	s_waitcnt vmcnt(15)
	v_lshlrev_b32_e32 v23, 16, v42
	s_waitcnt vmcnt(14)
	v_lshlrev_b32_e32 v22, 16, v43
	v_pk_add_f32 v[18:19], v[22:23], v[18:19] neg_lo:[0,1] neg_hi:[0,1]
	global_store_short_d16_hi v[30:31], v18, off offset:576
	global_store_short_d16_hi v[30:31], v19, off offset:832
	v_pk_mul_f32 v[18:19], v[28:29], v[18:19]
	v_accvgpr_read_b32 v23, a9
	v_perm_b32 v21, v19, v18, s37
	s_waitcnt vmcnt(15)
	v_lshlrev_b32_e32 v19, 16, v155
	s_waitcnt vmcnt(14)
	v_lshlrev_b32_e32 v18, 16, v156
	v_accvgpr_read_b32 v22, a8
	v_pk_add_f32 v[18:19], v[18:19], v[22:23] neg_lo:[0,1] neg_hi:[0,1]
	s_waitcnt vmcnt(13)
	v_lshlrev_b32_e32 v23, 16, v157
	s_waitcnt vmcnt(12)
	v_lshlrev_b32_e32 v22, 16, v158
	v_pk_add_f32 v[22:23], v[22:23], v[24:25] neg_lo:[0,1] neg_hi:[0,1]
	global_store_short_d16_hi v[30:31], v18, off offset:96
	global_store_short_d16_hi v[30:31], v19, off offset:352
	;; [unrolled: 1-line block ×4, first 2 shown]
	v_pk_mul_f32 v[18:19], v[26:27], v[18:19]
	v_pk_mul_f32 v[22:23], v[28:29], v[22:23]
	v_mov_b32_e32 v24, 0
	v_perm_b32 v23, v23, v22, s37
	v_perm_b32 v22, v19, v18, s37
	ds_write2_b64 v102, v[20:21], v[22:23] offset0:32 offset1:48
	v_mov_b32_e32 v18, 0
	v_mov_b32_e32 v19, 0
	;; [unrolled: 1-line block ×13, first 2 shown]
	s_cbranch_vccnz .LBB91_14
; %bb.13:                               ;   in Loop: Header=BB91_6 Depth=1
	s_and_b32 s25, s25, 0xffff
	s_mov_b32 s27, s23
	buffer_load_dwordx4 v[30:33], v135, s[24:27], 0 offen
	buffer_load_dwordx4 v[22:25], v135, s[24:27], s62 offen
	;; [unrolled: 1-line block ×4, first 2 shown]
	v_mov_b32_e32 v149, v96
	v_mov_b32_e32 v150, v95
.LBB91_14:                              ;   in Loop: Header=BB91_6 Depth=1
	s_waitcnt lgkmcnt(0)
	s_barrier
	ds_read_b64 v[42:43], v138
	ds_read2_b64 v[34:37], v131 offset1:16
	ds_read_b64 v[168:169], v139
	ds_read_b64 v[170:171], v140
	;; [unrolled: 1-line block ×3, first 2 shown]
	ds_read2_b64 v[38:41], v131 offset0:32 offset1:48
	ds_read2st64_b64 v[152:155], v131 offset0:4 offset1:8
	ds_read2st64_b64 v[156:159], v132 offset0:4 offset1:8
	;; [unrolled: 1-line block ×4, first 2 shown]
	s_waitcnt lgkmcnt(8)
	v_mfma_f32_16x16x16_bf16 a[0:3], v[42:43], v[34:35], 0
	s_add_i32 s3, s57, s70
	s_mul_hi_i32 s21, s3, s13
	s_mul_i32 s3, s3, s13
	v_mfma_f32_16x16x16_bf16 a[4:7], v[42:43], v[36:37], 0
	s_add_u32 s20, s3, s50
	s_addc_u32 s21, s21, s51
	s_add_i32 s3, s35, s64
	s_waitcnt lgkmcnt(4)
	v_mfma_f32_16x16x16_bf16 a[8:11], v[42:43], v[38:39], 0
	s_lshl_b64 s[20:21], s[20:21], 15
	s_mul_hi_i32 s25, s3, s13
	s_mul_i32 s3, s3, s13
	v_mfma_f32_16x16x16_bf16 a[12:15], v[42:43], v[40:41], 0
	ds_read_b64 v[42:43], v131 offset:6144
	ds_read_b64 v[180:181], v132 offset:6144
	;; [unrolled: 1-line block ×4, first 2 shown]
	s_add_u32 s24, s3, s50
	s_waitcnt lgkmcnt(7)
	v_mfma_f32_16x16x16_bf16 a[0:3], v[168:169], v[152:153], a[0:3]
	s_addc_u32 s25, s25, s51
	s_lshl_b64 s[24:25], s[24:25], 9
	s_add_u32 s24, s42, s24
	s_waitcnt lgkmcnt(6)
	v_mfma_f32_16x16x16_bf16 a[4:7], v[168:169], v[156:157], a[4:7]
	s_addc_u32 s25, s43, s25
	v_lshl_add_u64 v[190:191], v[86:87], 0, s[20:21]
	s_waitcnt lgkmcnt(5)
	v_mfma_f32_16x16x16_bf16 a[8:11], v[168:169], v[160:161], a[8:11]
	s_waitcnt lgkmcnt(4)
	v_mfma_f32_16x16x16_bf16 a[12:15], v[168:169], v[164:165], a[12:15]
	ds_read_b64 v[168:169], v143
	ds_read_b64 v[178:179], v144
	;; [unrolled: 1-line block ×3, first 2 shown]
	s_waitcnt lgkmcnt(2)
	v_mfma_f32_16x16x16_bf16 a[16:19], v[168:169], v[34:35], 0
	v_mfma_f32_16x16x16_bf16 a[20:23], v[168:169], v[36:37], 0
	global_load_dwordx4 v[34:37], v142, s[24:25]
	v_mfma_f32_16x16x16_bf16 a[24:27], v[168:169], v[38:39], 0
	v_mfma_f32_16x16x16_bf16 a[28:31], v[168:169], v[40:41], 0
	global_load_dwordx4 v[38:41], v47, s[24:25]
	v_mfma_f32_16x16x16_bf16 a[0:3], v[170:171], v[154:155], a[0:3]
	v_mfma_f32_16x16x16_bf16 a[4:7], v[170:171], v[158:159], a[4:7]
	;; [unrolled: 1-line block ×8, first 2 shown]
	ds_read2st64_b64 v[168:171], v129 offset1:8
	ds_read2st64_b64 v[172:175], v130 offset1:8
	ds_read_b64 v[188:189], v137 offset:40960
	s_waitcnt lgkmcnt(2)
	v_mov_b32_e32 v176, v168
	v_mfma_f32_16x16x16_bf16 a[16:19], v[178:179], v[152:153], a[16:19]
	v_mov_b32_e32 v177, v169
	v_mfma_f32_16x16x16_bf16 a[20:23], v[178:179], v[156:157], a[20:23]
	v_mfma_f32_16x16x16_bf16 a[24:27], v[178:179], v[160:161], a[24:27]
	;; [unrolled: 1-line block ×3, first 2 shown]
	v_add_co_u32_e32 v164, vcc, s39, v190
	s_waitcnt lgkmcnt(1)
	v_mov_b32_e32 v178, v172
	s_waitcnt lgkmcnt(0)
	v_mfma_f32_16x16x16_bf16 a[16:19], v[188:189], v[154:155], a[16:19]
	ds_read2st64_b64 v[152:155], v129 offset0:16 offset1:24
	v_addc_co_u32_e32 v165, vcc, 0, v191, vcc
	v_mfma_f32_16x16x16_bf16 a[20:23], v[188:189], v[158:159], a[20:23]
	ds_read2st64_b64 v[156:159], v130 offset0:16 offset1:24
	v_mov_b32_e32 v179, v173
	v_mov_b32_e32 v172, v170
	v_mfma_f32_16x16x16_bf16 a[32:35], v[188:189], v[162:163], a[24:27]
	v_mov_b32_e32 v173, v171
	s_waitcnt lgkmcnt(0)
	v_mov_b32_e32 v162, v156
	v_mov_b32_e32 v163, v157
	v_mfma_f32_16x16x16_bf16 a[36:39], v[188:189], v[166:167], a[28:31]
	v_mov_b32_e32 v156, v154
	v_mov_b32_e32 v157, v155
	;; [unrolled: 1-line block ×3, first 2 shown]
	v_mfma_f32_16x16x16_bf16 a[24:27], v[186:187], v[42:43], a[16:19]
	v_add_co_u32_e32 v42, vcc, s68, v190
	v_mov_b32_e32 v161, v153
	v_mfma_f32_16x16x16_bf16 a[28:31], v[186:187], v[180:181], a[20:23]
	v_addc_co_u32_e32 v43, vcc, 0, v191, vcc
	global_store_dwordx4 v[42:43], v[156:159], off
	v_mfma_f32_16x16x16_bf16 a[16:19], v[186:187], v[182:183], a[32:35]
	s_waitcnt vmcnt(2)
	v_mov_b32_e32 v44, v37
	v_mov_b32_e32 v43, v36
	v_mov_b32_e32 v42, v35
	v_mfma_f32_16x16x16_bf16 a[20:23], v[186:187], v[184:185], a[36:39]
	s_and_b64 vcc, exec, s[0:1]
	global_store_dwordx4 v[190:191], v[176:179], off
	global_store_dwordx4 v[164:165], v[172:175], off offset:-4096
	global_store_dwordx4 v[164:165], v[160:163], off
	s_cbranch_vccnz .LBB91_16
; %bb.15:                               ;   in Loop: Header=BB91_6 Depth=1
	v_lshrrev_b32_e32 v35, 3, v149
	v_and_b32_e32 v35, 6, v35
	v_xor_b32_e32 v36, v35, v150
	v_lshlrev_b32_e32 v36, 2, v36
	v_and_b32_e32 v37, 8, v149
	v_xor_b32_e32 v149, 0x440, v36
	v_cmp_eq_u32_e32 vcc, 0, v37
	v_perm_b32 v37, v22, v18, s65
	s_nop 0
	v_cndmask_b32_e32 v36, v149, v36, vcc
	v_lshl_or_b32 v35, v35, 10, v36
	v_perm_b32 v36, v30, v26, s65
	s_barrier
	ds_write2st64_b32 v35, v36, v37 offset0:128 offset1:160
	v_xor_b32_e32 v36, 8, v35
	v_perm_b32 v26, v30, v26, s66
	v_perm_b32 v18, v22, v18, s66
	v_add_u32_e32 v22, 0x80, v36
	ds_write2st64_b32 v22, v26, v18 offset0:128 offset1:160
	v_xor_b32_e32 v18, 16, v35
	v_perm_b32 v22, v31, v27, s65
	v_perm_b32 v26, v23, v19, s65
	ds_write2st64_b32 v18, v22, v26 offset0:129 offset1:161
	v_xor_b32_e32 v18, 24, v35
	v_perm_b32 v22, v31, v27, s66
	v_perm_b32 v19, v23, v19, s66
	v_add_u32_e32 v18, 0x80, v18
	ds_write2st64_b32 v18, v22, v19 offset0:129 offset1:161
	v_xor_b32_e32 v18, 32, v35
	v_perm_b32 v19, v32, v28, s65
	v_perm_b32 v22, v24, v20, s65
	;; [unrolled: 9-line block ×3, first 2 shown]
	ds_write2st64_b32 v18, v19, v20 offset0:131 offset1:163
	v_xor_b32_e32 v18, 56, v35
	v_perm_b32 v19, v33, v29, s66
	v_perm_b32 v20, v25, v21, s66
	v_add_u32_e32 v18, 0x80, v18
	ds_write2st64_b32 v18, v19, v20 offset0:131 offset1:163
	ds_write_b64 v148, v[14:15] offset:49152
	v_xor_b32_e32 v14, 8, v148
	ds_write_b64 v14, v[16:17] offset:49152
	ds_write_b64 v148, v[10:11] offset:57344
	;; [unrolled: 1-line block ×4, first 2 shown]
	v_xor_b32_e32 v6, 8, v147
	ds_write_b64 v6, v[8:9] offset:49152
	ds_write_b64 v147, v[2:3] offset:57344
	;; [unrolled: 1-line block ×3, first 2 shown]
.LBB91_16:                              ;   in Loop: Header=BB91_6 Depth=1
	v_mul_f32_e32 v26, s2, v146
	v_exp_f32_e32 v36, v26
	s_waitcnt vmcnt(4)
	v_mul_f32_e32 v26, 0x3fb8aa3b, v38
	v_exp_f32_e32 v38, v26
	v_mul_f32_e32 v26, 0x3fb8aa3b, v39
	v_exp_f32_e32 v39, v26
	;; [unrolled: 2-line block ×4, first 2 shown]
	v_accvgpr_read_b32 v5, a3
	v_accvgpr_read_b32 v4, a2
	;; [unrolled: 1-line block ×4, first 2 shown]
	v_pk_mul_f32 v[38:39], v[36:37], v[38:39] op_sel_hi:[0,1]
	v_pk_mul_f32 v[40:41], v[36:37], v[40:41] op_sel_hi:[0,1]
	v_pk_fma_f32 v[74:75], v[74:75], v[38:39], v[2:3]
	v_pk_fma_f32 v[78:79], v[78:79], v[40:41], v[4:5]
	v_mul_f32_e32 v2, 0x3fb8aa3b, v34
	v_mul_f32_e32 v3, 0x3fb8aa3b, v42
	;; [unrolled: 1-line block ×4, first 2 shown]
	v_exp_f32_e32 v2, v2
	v_exp_f32_e32 v3, v3
	;; [unrolled: 1-line block ×4, first 2 shown]
	v_accvgpr_read_b32 v9, a7
	v_accvgpr_read_b32 v13, a11
	;; [unrolled: 1-line block ×28, first 2 shown]
	v_pk_mul_f32 v[2:3], v[36:37], v[2:3] op_sel_hi:[0,1]
	v_pk_mul_f32 v[4:5], v[36:37], v[4:5] op_sel_hi:[0,1]
	s_add_i32 s64, s64, 64
	v_pk_fma_f32 v[66:67], v[38:39], v[66:67], v[6:7]
	v_pk_fma_f32 v[70:71], v[40:41], v[70:71], v[8:9]
	;; [unrolled: 1-line block ×13, first 2 shown]
	s_cmp_eq_u32 s54, s69
	v_pk_fma_f32 v[52:53], v[4:5], v[52:53], v[32:33]
	s_cbranch_scc1 .LBB91_18
; %bb.17:                               ;   in Loop: Header=BB91_6 Depth=1
	s_mov_b32 s70, s69
	s_branch .LBB91_6
.LBB91_18:
	s_lshl_b32 s26, s54, 6
	s_sub_i32 s27, s12, s26
	s_cmp_gt_i32 s27, 0
	s_cbranch_scc0 .LBB91_99
; %bb.19:
	s_ashr_i32 s2, s26, 31
	s_cmpk_lg_i32 s15, 0x80
	s_cselect_b64 s[22:23], -1, 0
	s_and_b64 vcc, exec, s[22:23]
	s_cbranch_vccz .LBB91_21
; %bb.20:
	s_mul_i32 s1, s53, s12
	s_mul_hi_i32 s0, s53, s12
	s_add_u32 s1, s1, s26
	s_addc_u32 s0, s0, s2
	s_mul_i32 s3, s1, s55
	s_mul_hi_u32 s17, s1, s14
	s_add_i32 s3, s17, s3
	s_mul_i32 s0, s0, s14
	s_add_i32 s3, s3, s0
	s_mul_i32 s1, s1, s14
	s_ashr_i32 s0, s56, 31
	s_add_u32 s24, s1, s56
	s_addc_u32 s25, s3, s0
	s_cbranch_execz .LBB91_22
	s_branch .LBB91_23
.LBB91_21:
                                        ; implicit-def: $sgpr24_sgpr25
.LBB91_22:
	s_mul_hi_i32 s0, s53, s14
	s_mul_i32 s53, s53, s14
	s_ashr_i32 s1, s56, 31
	s_add_u32 s3, s53, s56
	s_addc_u32 s0, s0, s1
	s_mul_i32 s1, s3, s52
	s_mul_hi_u32 s14, s3, s12
	s_add_i32 s1, s14, s1
	s_mul_i32 s0, s0, s12
	s_add_i32 s1, s1, s0
	s_mul_i32 s3, s3, s12
	s_add_u32 s24, s3, s26
	s_addc_u32 s25, s1, s2
.LBB91_23:
	s_mul_i32 s0, s40, s52
	s_add_i32 s0, s59, s0
	s_add_i32 s3, s57, s54
	;; [unrolled: 1-line block ×3, first 2 shown]
	s_add_u32 s0, s16, s26
	v_lshlrev_b32_e32 v6, 6, v93
	v_lshlrev_b32_e32 v24, 2, v90
	s_addc_u32 s1, s1, s2
	s_mov_b32 s2, 0x7060302
	v_or_b32_e32 v9, v6, v24
	v_xor_b32_e32 v7, v93, v24
	v_perm_b32 v3, v79, v78, s2
	v_perm_b32 v2, v75, v74, s2
	;; [unrolled: 1-line block ×4, first 2 shown]
	v_lshlrev_b32_e32 v9, 1, v9
	v_xor_b32_e32 v8, v94, v24
	ds_write2st64_b64 v9, v[2:3], v[4:5] offset0:32 offset1:48
	v_lshlrev_b32_e32 v7, 1, v7
	v_lshlrev_b32_e32 v9, 8, v90
	v_or_b32_e32 v10, v7, v9
	v_lshlrev_b32_e32 v8, 1, v8
	ds_write_b64 v10, v[2:3]
	v_or_b32_e32 v2, v8, v9
	v_or_b32_e32 v9, 16, v90
	v_lshlrev_b32_e32 v23, 2, v9
	v_or_b32_e32 v10, v6, v23
	ds_write_b64 v2, v[4:5]
	v_perm_b32 v3, v71, v70, s2
	v_perm_b32 v2, v67, v66, s2
	;; [unrolled: 1-line block ×4, first 2 shown]
	v_lshlrev_b32_e32 v10, 1, v10
	v_lshlrev_b32_e32 v9, 8, v9
	ds_write2st64_b64 v10, v[2:3], v[4:5] offset0:32 offset1:48
	v_or_b32_e32 v10, v7, v9
	ds_write_b64 v10, v[2:3]
	v_or_b32_e32 v2, v8, v9
	v_or_b32_e32 v9, 32, v90
	v_lshlrev_b32_e32 v22, 2, v9
	v_or_b32_e32 v10, v6, v22
	s_lshl_b64 s[20:21], s[0:1], 8
	ds_write_b64 v2, v[4:5]
	v_perm_b32 v3, v63, v62, s2
	v_perm_b32 v2, v59, v58, s2
	;; [unrolled: 1-line block ×4, first 2 shown]
	v_lshlrev_b32_e32 v10, 1, v10
	v_lshlrev_b32_e32 v9, 8, v9
	s_waitcnt lgkmcnt(0)
	s_add_u32 s0, s6, s20
	ds_write2st64_b64 v10, v[2:3], v[4:5] offset0:32 offset1:48
	v_or_b32_e32 v10, v7, v9
	s_addc_u32 s1, s7, s21
	ds_write_b64 v10, v[2:3]
	v_or_b32_e32 v2, v8, v9
	v_or_b32_e32 v9, 48, v90
	s_mul_hi_i32 s6, s3, s13
	s_mul_i32 s3, s3, s13
	ds_write_b64 v2, v[4:5]
	v_perm_b32 v3, v55, v54, s2
	v_perm_b32 v2, v51, v50, s2
	;; [unrolled: 1-line block ×4, first 2 shown]
	v_lshlrev_b32_e32 v19, 2, v9
	s_add_u32 s2, s3, s50
	v_or_b32_e32 v6, v6, v19
	s_addc_u32 s3, s6, s51
	v_lshlrev_b32_e32 v6, 1, v6
	s_ashr_i32 s39, s38, 31
	s_lshl_b64 s[2:3], s[2:3], 15
	ds_write2st64_b64 v6, v[2:3], v[4:5] offset0:32 offset1:48
	v_lshlrev_b32_e32 v6, 8, v9
	s_add_u32 s6, s18, s2
	v_or_b32_e32 v7, v7, v6
	s_addc_u32 s7, s19, s3
	s_lshl_b64 s[2:3], s[38:39], 8
	ds_write_b64 v7, v[2:3]
	v_or_b32_e32 v2, v8, v6
	s_add_u32 s2, s6, s2
	v_lshlrev_b32_e32 v3, 1, v90
	ds_write_b64 v2, v[4:5]
	v_lshrrev_b32_e32 v2, 4, v0
	s_addc_u32 s3, s7, s3
	v_or_b32_e32 v4, 1, v3
	v_lshlrev_b32_e32 v10, 4, v90
	v_mov_b32_e32 v11, 0
	v_xor_b32_e32 v3, v2, v3
	v_xor_b32_e32 v6, v4, v2
	v_lshl_add_u64 v[12:13], s[2:3], 0, v[10:11]
	v_lshlrev_b32_e32 v10, 8, v2
	v_lshl_or_b32 v16, v3, 3, v10
	v_lshl_or_b32 v17, v6, 3, v10
	s_waitcnt lgkmcnt(0)
	s_barrier
	ds_read2st64_b64 v[2:5], v16 offset1:8
	ds_read2st64_b64 v[6:9], v17 offset1:8
	v_lshl_add_u64 v[14:15], v[12:13], 0, v[10:11]
	s_movk_i32 s2, 0x2000
	s_cmp_lg_u32 s27, 64
	s_waitcnt lgkmcnt(1)
	v_mov_b32_e32 v10, v2
	v_mov_b32_e32 v11, v3
	s_waitcnt lgkmcnt(0)
	v_mov_b32_e32 v12, v6
	v_mov_b32_e32 v13, v7
	global_store_dwordx4 v[14:15], v[10:13], off
	v_mov_b32_e32 v6, v4
	v_mov_b32_e32 v7, v5
	ds_read2st64_b64 v[2:5], v16 offset0:16 offset1:24
	ds_read2st64_b64 v[10:13], v17 offset0:16 offset1:24
	v_add_co_u32_e32 v16, vcc, s2, v14
	s_cselect_b64 s[6:7], -1, 0
	s_nop 0
	v_addc_co_u32_e32 v17, vcc, 0, v15, vcc
	global_store_dwordx4 v[16:17], v[6:9], off offset:-4096
	v_lshl_or_b32 v25, v88, 3, v91
	s_mov_b32 s16, 0
	s_waitcnt lgkmcnt(1)
	v_mov_b32_e32 v6, v2
	v_add_co_u32_e32 v2, vcc, 0x3000, v14
	v_mov_b32_e32 v7, v3
	s_nop 0
	v_addc_co_u32_e32 v3, vcc, 0, v15, vcc
	s_waitcnt lgkmcnt(0)
	v_mov_b32_e32 v8, v10
	v_mov_b32_e32 v9, v11
	v_mov_b32_e32 v10, v4
	v_mov_b32_e32 v11, v5
	v_or_b32_e32 v20, 32, v25
	v_and_b32_e32 v18, 56, v92
	s_and_b64 vcc, exec, s[6:7]
	global_store_dwordx4 v[16:17], v[6:9], off
	global_store_dwordx4 v[2:3], v[10:13], off
	s_cbranch_vccz .LBB91_29
; %bb.24:
	s_mov_b32 s17, s16
	s_mov_b32 s18, s16
	s_mov_b32 s19, s16
	v_mov_b64_e32 v[6:7], s[16:17]
	v_mov_b64_e32 v[8:9], s[18:19]
	v_mov_b64_e32 v[2:3], v[6:7]
	v_cmp_gt_i32_e32 vcc, s27, v25
	v_mov_b64_e32 v[4:5], v[8:9]
	s_and_saveexec_b64 s[2:3], vcc
	s_cbranch_execz .LBB91_26
; %bb.25:
	v_lshlrev_b32_e32 v2, 8, v25
	v_mov_b32_e32 v3, 0
	v_lshl_add_u64 v[4:5], s[0:1], 0, v[2:3]
	v_lshlrev_b32_e32 v2, 1, v18
	v_lshl_add_u64 v[10:11], v[4:5], 0, v[2:3]
	global_load_dwordx4 v[6:9], v[10:11], off
	global_load_dwordx4 v[2:5], v[10:11], off offset:128
.LBB91_26:
	s_or_b64 exec, exec, s[2:3]
	s_mov_b32 s17, s16
	s_mov_b32 s18, s16
	;; [unrolled: 1-line block ×3, first 2 shown]
	v_mov_b64_e32 v[14:15], s[16:17]
	v_mov_b64_e32 v[16:17], s[18:19]
	;; [unrolled: 1-line block ×3, first 2 shown]
	v_cmp_gt_i32_e32 vcc, s27, v20
	v_lshlrev_b32_e32 v21, 7, v20
	v_mov_b64_e32 v[12:13], v[16:17]
	s_and_saveexec_b64 s[2:3], vcc
	s_cbranch_execz .LBB91_28
; %bb.27:
	v_lshlrev_b32_e32 v10, 1, v21
	v_mov_b32_e32 v11, 0
	v_lshl_add_u64 v[12:13], s[0:1], 0, v[10:11]
	v_lshlrev_b32_e32 v10, 1, v18
	v_lshl_add_u64 v[26:27], v[12:13], 0, v[10:11]
	global_load_dwordx4 v[14:17], v[26:27], off
	global_load_dwordx4 v[10:13], v[26:27], off offset:128
.LBB91_28:
	s_or_b64 exec, exec, s[2:3]
	v_lshrrev_b32_e32 v26, 3, v18
	v_lshlrev_b32_e32 v27, 3, v25
	v_or_b32_e32 v26, v27, v26
	v_lshlrev_b32_e32 v26, 4, v26
	v_and_b32_e32 v27, 0x78, v27
	v_xor_b32_e32 v26, v26, v27
	s_branch .LBB91_31
.LBB91_29:
                                        ; implicit-def: $vgpr26
                                        ; implicit-def: $vgpr21
                                        ; implicit-def: $vgpr6_vgpr7_vgpr8_vgpr9
                                        ; implicit-def: $vgpr2_vgpr3_vgpr4_vgpr5
                                        ; implicit-def: $vgpr14_vgpr15_vgpr16_vgpr17
                                        ; implicit-def: $vgpr10_vgpr11_vgpr12_vgpr13
	s_cbranch_execz .LBB91_31
; %bb.30:
	s_waitcnt vmcnt(0)
	v_lshlrev_b32_e32 v2, 1, v18
	v_lshl_or_b32 v21, v25, 8, v2
	s_and_b32 s1, s1, 0xffff
	s_mov_b32 s3, 0x20000
	s_movk_i32 s2, 0x4000
	v_lshl_or_b32 v26, v20, 8, v2
	s_movk_i32 s13, 0x80
	buffer_load_dwordx4 v[6:9], v21, s[0:3], 0 offen
	buffer_load_dwordx4 v[2:5], v21, s[0:3], s13 offen
	;; [unrolled: 1-line block ×4, first 2 shown]
	v_lshrrev_b32_e32 v21, 3, v18
	v_lshlrev_b32_e32 v26, 3, v25
	v_or_b32_e32 v21, v26, v21
	v_lshlrev_b32_e32 v21, 4, v21
	v_and_b32_e32 v26, 0x78, v26
	v_xor_b32_e32 v26, v21, v26
	v_lshlrev_b32_e32 v21, 7, v20
.LBB91_31:
	s_movk_i32 s0, 0x1000
	v_and_or_b32 v20, v21, s0, v26
	s_waitcnt vmcnt(1)
	ds_write_b64 v26, v[6:7] offset:49152
	v_xor_b32_e32 v6, 8, v26
	ds_write_b64 v6, v[8:9] offset:49152
	s_waitcnt vmcnt(0)
	ds_write_b64 v26, v[2:3] offset:57344
	ds_write_b64 v6, v[4:5] offset:57344
	ds_write_b64 v20, v[14:15] offset:49152
	v_xor_b32_e32 v2, 8, v20
	ds_write_b64 v2, v[16:17] offset:49152
	ds_write_b64 v20, v[10:11] offset:57344
	;; [unrolled: 1-line block ×3, first 2 shown]
	v_or_b32_e32 v2, v1, v90
	v_lshlrev_b32_e32 v3, 11, v88
	v_lshlrev_b32_e32 v2, 3, v2
	v_and_b32_e32 v6, 0x1000, v3
	v_lshrrev_b32_e32 v3, 5, v45
	s_movk_i32 s0, 0xf8
	v_and_or_b32 v3, v2, s0, v3
	v_lshlrev_b32_e32 v7, 4, v3
	v_and_b32_e32 v8, 0x78, v2
	v_or_b32_e32 v10, 32, v7
	v_lshrrev_b32_e32 v3, 1, v45
	v_xor_b32_e32 v10, v10, v8
	v_xor_b32_e32 v2, v7, v8
	v_and_b32_e32 v9, 8, v3
	v_or_b32_e32 v10, v10, v6
	v_or_b32_e32 v2, v2, v6
	v_xor_b32_e32 v28, v10, v9
	v_or_b32_e32 v10, 64, v7
	v_xor_b32_e32 v27, v2, v9
	v_xor_b32_e32 v10, v10, v8
	s_waitcnt lgkmcnt(0)
	s_barrier
	v_or_b32_e32 v13, v10, v6
	ds_read_b64 v[10:11], v27 offset:49152
	v_lshl_or_b32 v14, v89, 8, v24
	v_lshlrev_b32_e32 v26, 1, v14
	v_add_u32_e32 v12, 0x4000, v26
	ds_read2_b64 v[2:5], v12 offset1:16
	v_or_b32_e32 v7, 0x60, v7
	v_xor_b32_e32 v7, v7, v8
	v_or_b32_e32 v6, v7, v6
	v_xor_b32_e32 v29, v13, v9
	v_xor_b32_e32 v30, v6, v9
	ds_read_b64 v[20:21], v28 offset:49152
	ds_read_b64 v[34:35], v29 offset:49152
	;; [unrolled: 1-line block ×3, first 2 shown]
	s_waitcnt lgkmcnt(3)
	v_mfma_f32_16x16x16_bf16 a[0:3], v[10:11], v[2:3], 0
	ds_read2st64_b64 v[6:9], v26 offset0:36 offset1:40
	s_lshl_b64 s[0:1], s[24:25], 8
	s_add_u32 s4, s4, s0
	v_mfma_f32_16x16x16_bf16 a[4:7], v[10:11], v[4:5], 0
	ds_read2_b64 v[2:5], v12 offset0:32 offset1:48
	s_addc_u32 s5, s5, s1
	s_add_i32 s1, s46, s33
	s_waitcnt lgkmcnt(0)
	v_mfma_f32_16x16x16_bf16 a[8:11], v[10:11], v[2:3], 0
	v_or_b32_e32 v2, 64, v14
	v_lshlrev_b32_e32 v31, 1, v2
	s_add_i32 s0, s12, -1
	v_mfma_f32_16x16x16_bf16 a[12:15], v[10:11], v[4:5], 0
	ds_read2st64_b64 v[2:5], v31 offset0:36 offset1:40
	s_add_i32 s37, s1, s41
	s_add_i32 s1, s48, s47
	v_mfma_f32_16x16x16_bf16 a[0:3], v[20:21], v[6:7], a[0:3]
	v_or_b32_e32 v6, 0x80, v14
	v_lshlrev_b32_e32 v32, 1, v6
	ds_read2st64_b64 v[10:13], v32 offset0:36 offset1:40
	s_waitcnt lgkmcnt(1)
	v_mfma_f32_16x16x16_bf16 a[4:7], v[20:21], v[2:3], a[4:7]
	v_or_b32_e32 v2, 0xc0, v14
	v_lshlrev_b32_e32 v33, 1, v2
	ds_read2st64_b64 v[14:17], v33 offset0:36 offset1:40
	s_add_i32 s35, s1, s49
	s_ashr_i32 s1, s0, 31
	s_mul_i32 s2, s0, s31
	s_mul_hi_u32 s3, s0, s30
	s_add_i32 s2, s3, s2
	s_mul_i32 s1, s1, s30
	s_waitcnt lgkmcnt(1)
	v_mfma_f32_16x16x16_bf16 a[8:11], v[20:21], v[10:11], a[8:11]
	s_add_i32 s1, s2, s1
	s_lshl_b64 s[2:3], s[36:37], 2
	s_add_u32 s10, s10, s2
	s_waitcnt lgkmcnt(0)
	v_mfma_f32_16x16x16_bf16 a[12:15], v[20:21], v[14:15], a[12:15]
	s_addc_u32 s11, s11, s3
	s_lshl_b64 s[2:3], s[34:35], 2
	s_mul_i32 s0, s0, s30
	v_mfma_f32_16x16x16_bf16 a[0:3], v[34:35], v[8:9], a[0:3]
	ds_read_b64 v[2:3], v26 offset:22528
	s_add_u32 s10, s10, s2
	s_addc_u32 s11, s11, s3
	v_mfma_f32_16x16x16_bf16 a[4:7], v[34:35], v[4:5], a[4:7]
	ds_read_b64 v[4:5], v31 offset:22528
	ds_read_b64 v[6:7], v32 offset:22528
	;; [unrolled: 1-line block ×3, first 2 shown]
	s_lshl_b64 s[0:1], s[0:1], 2
	s_add_u32 s0, s10, s0
	v_mfma_f32_16x16x16_bf16 a[8:11], v[34:35], v[12:13], a[8:11]
	s_addc_u32 s1, s11, s1
	s_load_dword s12, s[0:1], 0x0
	s_and_b64 vcc, exec, s[22:23]
	v_mfma_f32_16x16x16_bf16 a[12:15], v[34:35], v[16:17], a[12:15]
	s_waitcnt lgkmcnt(0)
	v_mfma_f32_16x16x16_bf16 a[0:3], v[36:37], v[2:3], a[0:3]
	v_mfma_f32_16x16x16_bf16 a[4:7], v[36:37], v[4:5], a[4:7]
	;; [unrolled: 1-line block ×4, first 2 shown]
	s_cbranch_vccz .LBB91_42
; %bb.32:
	v_lshlrev_b32_e32 v20, 1, v25
	s_and_b64 vcc, exec, s[6:7]
	s_cbranch_vccz .LBB91_43
; %bb.33:
	v_cmp_gt_i32_e32 vcc, s27, v20
	v_mov_b32_e32 v6, 0
	v_mov_b32_e32 v2, 0
	;; [unrolled: 1-line block ×5, first 2 shown]
	s_and_saveexec_b64 s[0:1], vcc
	s_cbranch_execz .LBB91_35
; %bb.34:
	v_mad_i64_i32 v[2:3], s[2:3], s15, v20, 0
	v_lshl_add_u64 v[2:3], v[2:3], 1, s[4:5]
	v_lshlrev_b32_e32 v4, 1, v18
	v_mov_b32_e32 v5, 0
	v_lshl_add_u64 v[2:3], v[2:3], 0, v[4:5]
	global_load_dwordx4 v[2:5], v[2:3], off
.LBB91_35:
	s_or_b64 exec, exec, s[0:1]
	v_or_b32_e32 v21, 1, v20
	v_cmp_gt_i32_e64 s[0:1], s27, v21
	v_mov_b32_e32 v7, 0
	v_mov_b32_e32 v8, 0
	;; [unrolled: 1-line block ×3, first 2 shown]
	s_and_saveexec_b64 s[2:3], s[0:1]
	s_cbranch_execz .LBB91_37
; %bb.36:
	v_mad_i64_i32 v[6:7], s[16:17], s15, v21, 0
	v_lshl_add_u64 v[6:7], v[6:7], 1, s[4:5]
	v_lshlrev_b32_e32 v8, 1, v18
	v_mov_b32_e32 v9, 0
	v_lshl_add_u64 v[6:7], v[6:7], 0, v[8:9]
	global_load_dwordx4 v[6:9], v[6:7], off
.LBB91_37:
	s_or_b64 exec, exec, s[2:3]
	v_mov_b32_e32 v17, 0
	v_mov_b32_e32 v10, 0
	;; [unrolled: 1-line block ×5, first 2 shown]
	s_and_saveexec_b64 s[2:3], vcc
	s_cbranch_execz .LBB91_39
; %bb.38:
	v_mad_i64_i32 v[10:11], s[16:17], s15, v20, 0
	v_lshl_add_u64 v[10:11], v[10:11], 1, s[4:5]
	v_lshlrev_b32_e32 v12, 1, v18
	v_mov_b32_e32 v13, 0
	v_lshl_add_u64 v[10:11], v[10:11], 0, v[12:13]
	global_load_dwordx4 v[10:13], v[10:11], off offset:128
.LBB91_39:
	s_or_b64 exec, exec, s[2:3]
	v_mov_b32_e32 v16, 0
	v_mov_b32_e32 v15, 0
	;; [unrolled: 1-line block ×3, first 2 shown]
	s_and_saveexec_b64 s[2:3], s[0:1]
	s_cbranch_execz .LBB91_41
; %bb.40:
	v_mad_i64_i32 v[14:15], s[0:1], s15, v21, 0
	v_lshl_add_u64 v[14:15], v[14:15], 1, s[4:5]
	v_lshlrev_b32_e32 v16, 1, v18
	v_mov_b32_e32 v17, 0
	v_lshl_add_u64 v[14:15], v[14:15], 0, v[16:17]
	global_load_dwordx4 v[14:17], v[14:15], off offset:128
.LBB91_41:
	s_or_b64 exec, exec, s[2:3]
	s_branch .LBB91_45
.LBB91_42:
                                        ; implicit-def: $vgpr5
                                        ; implicit-def: $vgpr9
                                        ; implicit-def: $vgpr13
                                        ; implicit-def: $vgpr17
	v_lshrrev_b32_e32 v34, 2, v45
	s_branch .LBB91_46
.LBB91_43:
                                        ; implicit-def: $vgpr5
                                        ; implicit-def: $vgpr9
                                        ; implicit-def: $vgpr13
                                        ; implicit-def: $vgpr17
	s_cbranch_execz .LBB91_45
; %bb.44:
	s_waitcnt vmcnt(0)
	v_mad_u64_u32 v[2:3], s[0:1], v20, s15, v[18:19]
	v_lshlrev_b32_e32 v20, 1, v2
	s_lshl_b32 s2, s15, 7
	s_and_b32 s1, s5, 0xffff
	s_mov_b32 s3, 0x20000
	s_mov_b32 s0, s4
	v_add_lshl_u32 v21, v2, s15, 1
	s_movk_i32 s13, 0x80
	buffer_load_dwordx4 v[2:5], v20, s[0:3], 0 offen
	buffer_load_dwordx4 v[10:13], v20, s[0:3], s13 offen
	;; [unrolled: 1-line block ×4, first 2 shown]
.LBB91_45:
	v_lshrrev_b32_e32 v34, 2, v45
	s_cbranch_execnz .LBB91_58
.LBB91_46:
	s_and_b64 vcc, exec, s[6:7]
	s_cbranch_vccz .LBB91_56
; %bb.47:
	s_waitcnt vmcnt(0)
	v_lshlrev_b32_e32 v7, 1, v25
	v_cmp_gt_i32_e32 vcc, s27, v7
	v_mov_b32_e32 v6, 0
	v_lshlrev_b32_e32 v14, 9, v25
	v_mov_b32_e32 v2, 0
	v_mov_b32_e32 v3, 0
	;; [unrolled: 1-line block ×4, first 2 shown]
	s_and_saveexec_b64 s[0:1], vcc
	s_cbranch_execz .LBB91_49
; %bb.48:
	v_mov_b32_e32 v15, 0
	v_lshl_add_u64 v[2:3], s[4:5], 0, v[14:15]
	v_lshlrev_b32_e32 v4, 1, v18
	v_mov_b32_e32 v5, v15
	v_lshl_add_u64 v[2:3], v[2:3], 0, v[4:5]
	global_load_dwordx4 v[2:5], v[2:3], off
.LBB91_49:
	s_or_b64 exec, exec, s[0:1]
	v_or_b32_e32 v7, 1, v7
	v_cmp_gt_i32_e64 s[0:1], s27, v7
	v_lshlrev_b32_e32 v20, 8, v7
	v_mov_b32_e32 v7, 0
	v_mov_b32_e32 v8, 0
	;; [unrolled: 1-line block ×3, first 2 shown]
	s_and_saveexec_b64 s[2:3], s[0:1]
	s_cbranch_execz .LBB91_51
; %bb.50:
	v_mov_b32_e32 v21, 0
	v_lshl_add_u64 v[6:7], s[4:5], 0, v[20:21]
	v_lshlrev_b32_e32 v8, 1, v18
	v_mov_b32_e32 v9, v21
	v_lshl_add_u64 v[6:7], v[6:7], 0, v[8:9]
	global_load_dwordx4 v[6:9], v[6:7], off
.LBB91_51:
	s_or_b64 exec, exec, s[2:3]
	v_mov_b32_e32 v17, 0
	v_mov_b32_e32 v10, 0
	;; [unrolled: 1-line block ×5, first 2 shown]
	s_and_saveexec_b64 s[2:3], vcc
	s_cbranch_execz .LBB91_53
; %bb.52:
	v_mov_b32_e32 v15, 0
	v_lshl_add_u64 v[10:11], s[4:5], 0, v[14:15]
	v_lshlrev_b32_e32 v14, 1, v18
	v_lshl_add_u64 v[10:11], v[10:11], 0, v[14:15]
	global_load_dwordx4 v[10:13], v[10:11], off offset:128
.LBB91_53:
	s_or_b64 exec, exec, s[2:3]
	v_mov_b32_e32 v16, 0
	v_mov_b32_e32 v15, 0
	;; [unrolled: 1-line block ×3, first 2 shown]
	s_and_saveexec_b64 s[2:3], s[0:1]
	s_cbranch_execz .LBB91_55
; %bb.54:
	v_mov_b32_e32 v21, 0
	v_lshl_add_u64 v[14:15], s[4:5], 0, v[20:21]
	v_lshlrev_b32_e32 v20, 1, v18
	v_lshl_add_u64 v[14:15], v[14:15], 0, v[20:21]
	global_load_dwordx4 v[14:17], v[14:15], off offset:128
.LBB91_55:
	s_or_b64 exec, exec, s[2:3]
	s_branch .LBB91_58
.LBB91_56:
                                        ; implicit-def: $vgpr5
                                        ; implicit-def: $vgpr9
                                        ; implicit-def: $vgpr13
                                        ; implicit-def: $vgpr17
	s_cbranch_execz .LBB91_58
; %bb.57:
	s_waitcnt vmcnt(0)
	v_lshlrev_b32_e32 v2, 1, v18
	v_lshl_or_b32 v18, v25, 9, v2
	s_and_b32 s5, s5, 0xffff
	s_mov_b32 s7, 0x20000
	s_movk_i32 s6, 0x4000
	s_movk_i32 s0, 0x80
	buffer_load_dwordx4 v[2:5], v18, s[4:7], 0 offen
	buffer_load_dwordx4 v[6:9], v18, s[4:7], 0 offen offset:256
	buffer_load_dwordx4 v[10:13], v18, s[4:7], s0 offen
	buffer_load_dwordx4 v[14:17], v18, s[4:7], s0 offen offset:256
.LBB91_58:
	ds_read_b64 v[20:21], v27 offset:57344
	v_add_u32_e32 v18, 0x6000, v26
	ds_read2_b64 v[36:39], v18 offset1:16
	ds_read_b64 v[44:45], v28 offset:57344
	ds_read_b64 v[28:29], v29 offset:57344
	;; [unrolled: 1-line block ×3, first 2 shown]
	ds_read2st64_b64 v[40:43], v26 offset0:52 offset1:56
	s_mov_b32 s0, 0x1000504
	s_mov_b32 s1, 0x3020706
	s_waitcnt lgkmcnt(4)
	v_mfma_f32_16x16x16_bf16 a[0:3], v[20:21], v[36:37], a[0:3]
	v_mfma_f32_16x16x16_bf16 a[4:7], v[20:21], v[38:39], a[4:7]
	ds_read2_b64 v[36:39], v18 offset0:32 offset1:48
	v_and_b32_e32 v18, 6, v0
	v_xor_b32_e32 v25, v25, v18
	s_waitcnt lgkmcnt(0)
	v_mfma_f32_16x16x16_bf16 a[8:11], v[20:21], v[36:37], a[8:11]
	v_lshlrev_b32_e32 v25, 2, v25
	v_and_b32_e32 v0, 1, v0
	v_xor_b32_e32 v35, 0x440, v25
	v_mfma_f32_16x16x16_bf16 a[12:15], v[20:21], v[38:39], a[12:15]
	ds_read2st64_b64 v[36:39], v31 offset0:52 offset1:56
	ds_read2st64_b64 v[48:51], v32 offset0:52 offset1:56
	;; [unrolled: 1-line block ×3, first 2 shown]
	v_cmp_eq_u32_e32 vcc, 0, v0
	ds_read_b64 v[20:21], v26 offset:30720
	ds_read_b64 v[26:27], v31 offset:30720
	;; [unrolled: 1-line block ×4, first 2 shown]
	v_mfma_f32_16x16x16_bf16 a[0:3], v[44:45], v[40:41], a[0:3]
	v_cndmask_b32_e32 v0, v35, v25, vcc
	v_lshl_or_b32 v0, v18, 10, v0
	s_waitcnt vmcnt(0)
	v_perm_b32 v18, v2, v6, s0
	s_waitcnt lgkmcnt(6)
	v_mfma_f32_16x16x16_bf16 a[4:7], v[44:45], v[36:37], a[4:7]
	v_perm_b32 v25, v10, v14, s0
	ds_write2st64_b32 v0, v18, v25 offset0:128 offset1:160
	v_xor_b32_e32 v18, 8, v0
	s_waitcnt lgkmcnt(6)
	v_mfma_f32_16x16x16_bf16 a[8:11], v[44:45], v[48:49], a[8:11]
	v_perm_b32 v2, v2, v6, s1
	v_perm_b32 v6, v10, v14, s1
	v_add_u32_e32 v10, 0x80, v18
	s_waitcnt lgkmcnt(5)
	v_mfma_f32_16x16x16_bf16 a[12:15], v[44:45], v[52:53], a[12:15]
	ds_write2st64_b32 v10, v2, v6 offset0:128 offset1:160
	v_xor_b32_e32 v2, 16, v0
	v_perm_b32 v6, v3, v7, s0
	v_mfma_f32_16x16x16_bf16 a[0:3], v[28:29], v[42:43], a[0:3]
	v_perm_b32 v10, v11, v15, s0
	ds_write2st64_b32 v2, v6, v10 offset0:129 offset1:161
	v_xor_b32_e32 v2, 24, v0
	v_mfma_f32_16x16x16_bf16 a[4:7], v[28:29], v[38:39], a[4:7]
	v_perm_b32 v3, v3, v7, s1
	v_perm_b32 v6, v11, v15, s1
	v_add_u32_e32 v2, 0x80, v2
	v_mfma_f32_16x16x16_bf16 a[16:19], v[28:29], v[50:51], a[8:11]
	ds_write2st64_b32 v2, v3, v6 offset0:129 offset1:161
	v_xor_b32_e32 v2, 32, v0
	v_perm_b32 v3, v4, v8, s0
	v_mfma_f32_16x16x16_bf16 a[20:23], v[28:29], v[54:55], a[12:15]
	v_perm_b32 v6, v12, v16, s0
	ds_write2st64_b32 v2, v3, v6 offset0:130 offset1:162
	v_xor_b32_e32 v2, 40, v0
	s_waitcnt lgkmcnt(8)
	v_mfma_f32_16x16x16_bf16 a[12:15], v[56:57], v[20:21], a[0:3]
	v_perm_b32 v3, v4, v8, s1
	v_perm_b32 v4, v12, v16, s1
	v_add_u32_e32 v2, 0x80, v2
	s_waitcnt lgkmcnt(7)
	v_mfma_f32_16x16x16_bf16 a[8:11], v[56:57], v[26:27], a[4:7]
	ds_write2st64_b32 v2, v3, v4 offset0:130 offset1:162
	v_xor_b32_e32 v2, 48, v0
	v_perm_b32 v3, v5, v9, s0
	s_waitcnt lgkmcnt(7)
	v_mfma_f32_16x16x16_bf16 a[4:7], v[56:57], v[30:31], a[16:19]
	v_perm_b32 v4, v13, v17, s0
	v_xor_b32_e32 v0, 56, v0
	v_and_or_b32 v21, v34, 12, v1
	s_waitcnt lgkmcnt(6)
	v_mfma_f32_16x16x16_bf16 a[0:3], v[56:57], v[32:33], a[20:23]
	ds_write2st64_b32 v2, v3, v4 offset0:131 offset1:163
	v_perm_b32 v2, v5, v9, s1
	v_perm_b32 v3, v13, v17, s1
	v_add_u32_e32 v0, 0x80, v0
	v_cmp_gt_i32_e32 vcc, s27, v21
	v_mov_b32_e32 v16, 0
	v_mov_b32_e32 v18, 0
	ds_write2st64_b32 v0, v2, v3 offset0:131 offset1:163
	s_and_saveexec_b64 s[0:1], vcc
	s_cbranch_execz .LBB91_60
; %bb.59:
	v_add_u32_e32 v0, s26, v21
	v_ashrrev_i32_e32 v1, 31, v0
	v_mul_lo_u32 v2, v1, s30
	v_mul_lo_u32 v3, v0, s31
	v_mad_u64_u32 v[0:1], s[2:3], v0, s30, 0
	v_add3_u32 v1, v1, v3, v2
	v_lshl_add_u64 v[0:1], v[0:1], 2, s[10:11]
	global_load_dword v0, v[0:1], off
	s_waitcnt vmcnt(0)
	v_sub_f32_e32 v0, s12, v0
	v_mul_f32_e32 v0, 0x3fb8aa3b, v0
	v_exp_f32_e32 v18, v0
.LBB91_60:
	s_or_b64 exec, exec, s[0:1]
	v_or_b32_e32 v10, 1, v21
	v_cmp_gt_i32_e64 s[0:1], s27, v10
	s_and_saveexec_b64 s[2:3], s[0:1]
	s_cbranch_execz .LBB91_62
; %bb.61:
	v_add_u32_e32 v0, s26, v10
	v_ashrrev_i32_e32 v1, 31, v0
	v_mul_lo_u32 v2, v1, s30
	v_mul_lo_u32 v3, v0, s31
	v_mad_u64_u32 v[0:1], s[4:5], v0, s30, 0
	v_add3_u32 v1, v1, v3, v2
	v_lshl_add_u64 v[0:1], v[0:1], 2, s[10:11]
	global_load_dword v0, v[0:1], off
	s_waitcnt vmcnt(0)
	v_sub_f32_e32 v0, s12, v0
	v_mul_f32_e32 v0, 0x3fb8aa3b, v0
	v_exp_f32_e32 v16, v0
.LBB91_62:
	s_or_b64 exec, exec, s[2:3]
	v_or_b32_e32 v12, 2, v21
	v_cmp_gt_i32_e64 s[2:3], s27, v12
	v_mov_b32_e32 v17, 0
	v_mov_b32_e32 v20, 0
	s_and_saveexec_b64 s[4:5], s[2:3]
	s_cbranch_execz .LBB91_64
; %bb.63:
	v_add_u32_e32 v0, s26, v12
	v_ashrrev_i32_e32 v1, 31, v0
	v_mul_lo_u32 v2, v1, s30
	v_mul_lo_u32 v3, v0, s31
	v_mad_u64_u32 v[0:1], s[6:7], v0, s30, 0
	v_add3_u32 v1, v1, v3, v2
	v_lshl_add_u64 v[0:1], v[0:1], 2, s[10:11]
	global_load_dword v0, v[0:1], off
	s_waitcnt vmcnt(0)
	v_sub_f32_e32 v0, s12, v0
	v_mul_f32_e32 v0, 0x3fb8aa3b, v0
	v_exp_f32_e32 v20, v0
.LBB91_64:
	s_or_b64 exec, exec, s[4:5]
	v_or_b32_e32 v14, 3, v21
	v_cmp_gt_i32_e64 s[4:5], s27, v14
	s_and_saveexec_b64 s[6:7], s[4:5]
	s_cbranch_execz .LBB91_66
; %bb.65:
	v_add_u32_e32 v0, s26, v14
	v_ashrrev_i32_e32 v1, 31, v0
	v_mul_lo_u32 v2, v1, s30
	v_mul_lo_u32 v3, v0, s31
	v_mad_u64_u32 v[0:1], s[14:15], v0, s30, 0
	v_add3_u32 v1, v1, v3, v2
	v_lshl_add_u64 v[0:1], v[0:1], 2, s[10:11]
	global_load_dword v0, v[0:1], off
	s_waitcnt vmcnt(0)
	v_sub_f32_e32 v0, s12, v0
	v_mul_f32_e32 v0, 0x3fb8aa3b, v0
	v_exp_f32_e32 v17, v0
.LBB91_66:
	s_or_b64 exec, exec, s[6:7]
	s_add_u32 s6, s8, s20
	s_addc_u32 s7, s9, s21
	s_add_u32 s8, s28, s20
	v_ashrrev_i32_e32 v47, 31, v46
	v_accvgpr_read_b32 v0, a12
	s_addc_u32 s9, s29, s21
	v_lshlrev_b64 v[4:5], 1, v[46:47]
	v_accvgpr_read_b32 v1, a13
	v_accvgpr_read_b32 v2, a14
	;; [unrolled: 1-line block ×3, first 2 shown]
	v_lshl_add_u64 v[6:7], s[6:7], 0, v[4:5]
	v_lshl_add_u64 v[4:5], s[8:9], 0, v[4:5]
	v_mov_b32_e32 v11, 0
	v_lshlrev_b32_e32 v8, 8, v21
	v_mov_b32_e32 v9, 0
	s_and_saveexec_b64 s[6:7], vcc
	s_cbranch_execz .LBB91_68
; %bb.67:
	v_mov_b32_e32 v9, 0
	v_lshl_add_u64 v[26:27], v[6:7], 0, v[8:9]
	global_load_ushort v13, v[26:27], off
	v_lshl_add_u64 v[26:27], v[4:5], 0, v[8:9]
	s_waitcnt vmcnt(0)
	v_lshlrev_b32_e32 v9, 16, v13
	v_sub_f32_e32 v0, v9, v0
	global_store_short_d16_hi v[26:27], v0, off
	v_mul_f32_e32 v0, v18, v0
	v_lshrrev_b32_e32 v9, 16, v0
.LBB91_68:
	s_or_b64 exec, exec, s[6:7]
	v_lshlrev_b32_e32 v10, 8, v10
	s_and_saveexec_b64 s[6:7], s[0:1]
	s_cbranch_execz .LBB91_70
; %bb.69:
	v_mov_b32_e32 v11, 0
	v_lshl_add_u64 v[26:27], v[6:7], 0, v[10:11]
	global_load_ushort v0, v[26:27], off
	v_lshl_add_u64 v[26:27], v[4:5], 0, v[10:11]
	s_waitcnt vmcnt(0)
	v_lshlrev_b32_e32 v0, 16, v0
	v_sub_f32_e32 v0, v0, v1
	global_store_short_d16_hi v[26:27], v0, off
	v_mul_f32_e32 v0, v16, v0
	v_lshrrev_b32_e32 v11, 16, v0
.LBB91_70:
	s_or_b64 exec, exec, s[6:7]
	v_mov_b32_e32 v15, 0
	v_lshlrev_b32_e32 v12, 8, v12
	v_mov_b32_e32 v13, 0
	s_and_saveexec_b64 s[6:7], s[2:3]
	s_cbranch_execz .LBB91_72
; %bb.71:
	v_mov_b32_e32 v13, 0
	v_lshl_add_u64 v[0:1], v[6:7], 0, v[12:13]
	global_load_ushort v25, v[0:1], off
	v_lshl_add_u64 v[0:1], v[4:5], 0, v[12:13]
	s_waitcnt vmcnt(0)
	v_lshlrev_b32_e32 v13, 16, v25
	v_sub_f32_e32 v2, v13, v2
	global_store_short_d16_hi v[0:1], v2, off
	v_mul_f32_e32 v0, v20, v2
	v_lshrrev_b32_e32 v13, 16, v0
.LBB91_72:
	s_or_b64 exec, exec, s[6:7]
	v_lshlrev_b32_e32 v14, 8, v14
	s_and_saveexec_b64 s[6:7], s[4:5]
	s_cbranch_execz .LBB91_74
; %bb.73:
	v_mov_b32_e32 v15, 0
	v_lshl_add_u64 v[0:1], v[6:7], 0, v[14:15]
	global_load_ushort v2, v[0:1], off
	v_lshl_add_u64 v[0:1], v[4:5], 0, v[14:15]
	s_waitcnt vmcnt(0)
	v_lshlrev_b32_e32 v2, 16, v2
	v_sub_f32_e32 v2, v2, v3
	global_store_short_d16_hi v[0:1], v2, off
	v_mul_f32_e32 v0, v17, v2
	v_lshrrev_b32_e32 v15, 16, v0
.LBB91_74:
	s_or_b64 exec, exec, s[6:7]
	v_lshlrev_b32_e32 v21, 6, v21
	s_mov_b32 s6, 0x5040100
	v_perm_b32 v26, v11, v9, s6
	v_or_b32_e32 v9, v21, v24
	v_accvgpr_read_b32 v0, a8
	v_perm_b32 v27, v15, v13, s6
	v_lshlrev_b32_e32 v9, 1, v9
	v_accvgpr_read_b32 v1, a9
	v_accvgpr_read_b32 v2, a10
	;; [unrolled: 1-line block ×3, first 2 shown]
	ds_write_b64 v9, v[26:27] offset:24576
	v_mov_b32_e32 v11, 0
	v_mov_b32_e32 v9, 0
	s_and_saveexec_b64 s[6:7], vcc
	s_cbranch_execz .LBB91_76
; %bb.75:
	v_mov_b32_e32 v9, 0
	v_lshl_add_u64 v[24:25], v[6:7], 0, v[8:9]
	global_load_ushort v13, v[24:25], off offset:32
	v_lshl_add_u64 v[24:25], v[4:5], 0, v[8:9]
	s_waitcnt vmcnt(0)
	v_lshlrev_b32_e32 v9, 16, v13
	v_sub_f32_e32 v0, v9, v0
	global_store_short_d16_hi v[24:25], v0, off offset:32
	v_mul_f32_e32 v0, v18, v0
	v_lshrrev_b32_e32 v9, 16, v0
.LBB91_76:
	s_or_b64 exec, exec, s[6:7]
	s_and_saveexec_b64 s[6:7], s[0:1]
	s_cbranch_execz .LBB91_78
; %bb.77:
	v_mov_b32_e32 v11, 0
	v_lshl_add_u64 v[24:25], v[6:7], 0, v[10:11]
	global_load_ushort v0, v[24:25], off offset:32
	v_lshl_add_u64 v[24:25], v[4:5], 0, v[10:11]
	s_waitcnt vmcnt(0)
	v_lshlrev_b32_e32 v0, 16, v0
	v_sub_f32_e32 v0, v0, v1
	global_store_short_d16_hi v[24:25], v0, off offset:32
	v_mul_f32_e32 v0, v16, v0
	v_lshrrev_b32_e32 v11, 16, v0
.LBB91_78:
	s_or_b64 exec, exec, s[6:7]
	v_mov_b32_e32 v15, 0
	v_mov_b32_e32 v13, 0
	s_and_saveexec_b64 s[6:7], s[2:3]
	s_cbranch_execz .LBB91_80
; %bb.79:
	v_mov_b32_e32 v13, 0
	v_lshl_add_u64 v[0:1], v[6:7], 0, v[12:13]
	global_load_ushort v24, v[0:1], off offset:32
	v_lshl_add_u64 v[0:1], v[4:5], 0, v[12:13]
	s_waitcnt vmcnt(0)
	v_lshlrev_b32_e32 v13, 16, v24
	v_sub_f32_e32 v2, v13, v2
	global_store_short_d16_hi v[0:1], v2, off offset:32
	v_mul_f32_e32 v0, v20, v2
	v_lshrrev_b32_e32 v13, 16, v0
.LBB91_80:
	s_or_b64 exec, exec, s[6:7]
	s_and_saveexec_b64 s[6:7], s[4:5]
	s_cbranch_execz .LBB91_82
; %bb.81:
	v_mov_b32_e32 v15, 0
	v_lshl_add_u64 v[0:1], v[6:7], 0, v[14:15]
	global_load_ushort v2, v[0:1], off offset:32
	v_lshl_add_u64 v[0:1], v[4:5], 0, v[14:15]
	s_waitcnt vmcnt(0)
	v_lshlrev_b32_e32 v2, 16, v2
	v_sub_f32_e32 v2, v2, v3
	global_store_short_d16_hi v[0:1], v2, off offset:32
	v_mul_f32_e32 v0, v17, v2
	v_lshrrev_b32_e32 v15, 16, v0
.LBB91_82:
	s_or_b64 exec, exec, s[6:7]
	s_mov_b32 s6, 0x5040100
	v_perm_b32 v24, v11, v9, s6
	v_or_b32_e32 v9, v21, v23
	v_accvgpr_read_b32 v0, a4
	v_perm_b32 v25, v15, v13, s6
	v_lshlrev_b32_e32 v9, 1, v9
	v_accvgpr_read_b32 v1, a5
	v_accvgpr_read_b32 v2, a6
	v_accvgpr_read_b32 v3, a7
	ds_write_b64 v9, v[24:25] offset:24576
	v_mov_b32_e32 v11, 0
	v_mov_b32_e32 v9, 0
	s_and_saveexec_b64 s[6:7], vcc
	s_cbranch_execz .LBB91_84
; %bb.83:
	v_mov_b32_e32 v9, 0
	v_lshl_add_u64 v[24:25], v[6:7], 0, v[8:9]
	global_load_ushort v13, v[24:25], off offset:64
	v_lshl_add_u64 v[24:25], v[4:5], 0, v[8:9]
	s_waitcnt vmcnt(0)
	v_lshlrev_b32_e32 v9, 16, v13
	v_sub_f32_e32 v0, v9, v0
	global_store_short_d16_hi v[24:25], v0, off offset:64
	v_mul_f32_e32 v0, v18, v0
	v_lshrrev_b32_e32 v9, 16, v0
.LBB91_84:
	s_or_b64 exec, exec, s[6:7]
	s_and_saveexec_b64 s[6:7], s[0:1]
	s_cbranch_execz .LBB91_86
; %bb.85:
	v_mov_b32_e32 v11, 0
	v_lshl_add_u64 v[24:25], v[6:7], 0, v[10:11]
	global_load_ushort v0, v[24:25], off offset:64
	v_lshl_add_u64 v[24:25], v[4:5], 0, v[10:11]
	s_waitcnt vmcnt(0)
	v_lshlrev_b32_e32 v0, 16, v0
	v_sub_f32_e32 v0, v0, v1
	global_store_short_d16_hi v[24:25], v0, off offset:64
	v_mul_f32_e32 v0, v16, v0
	v_lshrrev_b32_e32 v11, 16, v0
.LBB91_86:
	s_or_b64 exec, exec, s[6:7]
	v_mov_b32_e32 v15, 0
	v_mov_b32_e32 v13, 0
	s_and_saveexec_b64 s[6:7], s[2:3]
	s_cbranch_execz .LBB91_88
; %bb.87:
	v_mov_b32_e32 v13, 0
	v_lshl_add_u64 v[0:1], v[6:7], 0, v[12:13]
	global_load_ushort v23, v[0:1], off offset:64
	v_lshl_add_u64 v[0:1], v[4:5], 0, v[12:13]
	s_waitcnt vmcnt(0)
	v_lshlrev_b32_e32 v13, 16, v23
	v_sub_f32_e32 v2, v13, v2
	global_store_short_d16_hi v[0:1], v2, off offset:64
	v_mul_f32_e32 v0, v20, v2
	v_lshrrev_b32_e32 v13, 16, v0
.LBB91_88:
	s_or_b64 exec, exec, s[6:7]
	s_and_saveexec_b64 s[6:7], s[4:5]
	s_cbranch_execz .LBB91_90
; %bb.89:
	v_mov_b32_e32 v15, 0
	v_lshl_add_u64 v[0:1], v[6:7], 0, v[14:15]
	global_load_ushort v2, v[0:1], off offset:64
	v_lshl_add_u64 v[0:1], v[4:5], 0, v[14:15]
	s_waitcnt vmcnt(0)
	v_lshlrev_b32_e32 v2, 16, v2
	v_sub_f32_e32 v2, v2, v3
	global_store_short_d16_hi v[0:1], v2, off offset:64
	v_mul_f32_e32 v0, v17, v2
	v_lshrrev_b32_e32 v15, 16, v0
.LBB91_90:
	s_or_b64 exec, exec, s[6:7]
	s_mov_b32 s6, 0x5040100
	v_perm_b32 v24, v11, v9, s6
	v_or_b32_e32 v9, v21, v22
	v_accvgpr_read_b32 v0, a0
	v_perm_b32 v25, v15, v13, s6
	v_lshlrev_b32_e32 v9, 1, v9
	v_accvgpr_read_b32 v1, a1
	v_accvgpr_read_b32 v2, a2
	;; [unrolled: 1-line block ×3, first 2 shown]
	ds_write_b64 v9, v[24:25] offset:24576
	v_mov_b32_e32 v11, 0
	v_mov_b32_e32 v9, 0
	s_and_saveexec_b64 s[6:7], vcc
	s_cbranch_execz .LBB91_92
; %bb.91:
	v_mov_b32_e32 v9, 0
	v_lshl_add_u64 v[22:23], v[6:7], 0, v[8:9]
	global_load_ushort v13, v[22:23], off offset:96
	v_lshl_add_u64 v[8:9], v[4:5], 0, v[8:9]
	s_waitcnt vmcnt(0)
	v_lshlrev_b32_e32 v13, 16, v13
	v_sub_f32_e32 v0, v13, v0
	global_store_short_d16_hi v[8:9], v0, off offset:96
	v_mul_f32_e32 v0, v18, v0
	v_lshrrev_b32_e32 v9, 16, v0
.LBB91_92:
	s_or_b64 exec, exec, s[6:7]
	s_and_saveexec_b64 s[6:7], s[0:1]
	s_cbranch_execz .LBB91_94
; %bb.93:
	v_mov_b32_e32 v11, 0
	v_lshl_add_u64 v[22:23], v[6:7], 0, v[10:11]
	global_load_ushort v0, v[22:23], off offset:96
	v_lshl_add_u64 v[10:11], v[4:5], 0, v[10:11]
	s_waitcnt vmcnt(0)
	v_lshlrev_b32_e32 v0, 16, v0
	v_sub_f32_e32 v0, v0, v1
	global_store_short_d16_hi v[10:11], v0, off offset:96
	v_mul_f32_e32 v0, v16, v0
	v_lshrrev_b32_e32 v11, 16, v0
.LBB91_94:
	s_or_b64 exec, exec, s[6:7]
	v_mov_b32_e32 v0, 0
	v_mov_b32_e32 v1, 0
	s_and_saveexec_b64 s[0:1], s[2:3]
	s_cbranch_execz .LBB91_96
; %bb.95:
	v_mov_b32_e32 v13, 0
	v_lshl_add_u64 v[22:23], v[6:7], 0, v[12:13]
	global_load_ushort v1, v[22:23], off offset:96
	v_lshl_add_u64 v[12:13], v[4:5], 0, v[12:13]
	s_waitcnt vmcnt(0)
	v_lshlrev_b32_e32 v1, 16, v1
	v_sub_f32_e32 v1, v1, v2
	global_store_short_d16_hi v[12:13], v1, off offset:96
	v_mul_f32_e32 v1, v20, v1
	v_lshrrev_b32_e32 v1, 16, v1
.LBB91_96:
	s_or_b64 exec, exec, s[0:1]
	s_and_saveexec_b64 s[0:1], s[4:5]
	s_cbranch_execz .LBB91_98
; %bb.97:
	v_mov_b32_e32 v15, 0
	v_lshl_add_u64 v[6:7], v[6:7], 0, v[14:15]
	global_load_ushort v0, v[6:7], off offset:96
	v_lshl_add_u64 v[4:5], v[4:5], 0, v[14:15]
	s_waitcnt vmcnt(0)
	v_lshlrev_b32_e32 v0, 16, v0
	v_sub_f32_e32 v0, v0, v3
	global_store_short_d16_hi v[4:5], v0, off offset:96
	v_mul_f32_e32 v0, v17, v0
	v_lshrrev_b32_e32 v0, 16, v0
.LBB91_98:
	s_or_b64 exec, exec, s[0:1]
	s_mov_b32 s0, 0x5040100
	v_or_b32_e32 v2, v21, v19
	v_perm_b32 v1, v0, v1, s0
	v_perm_b32 v0, v11, v9, s0
	v_lshlrev_b32_e32 v2, 1, v2
	ds_write_b64 v2, v[0:1] offset:24576
	s_waitcnt lgkmcnt(0)
	s_barrier
.LBB91_99:
	s_endpgm
	.section	.rodata,"a",@progbits
	.p2align	6, 0x0
	.amdhsa_kernel _ZN12_GLOBAL__N_139chunk_gated_delta_rule_fwd_h_hip_kernelILi64ELb1ELb0ELb1ELb0ELb0ELb1ELb0ELb1EEEvPK12hip_bfloat16S3_S3_PKfS5_PKvPS1_S8_PvPKiSB_iiiiilll
		.amdhsa_group_segment_fixed_size 65536
		.amdhsa_private_segment_fixed_size 0
		.amdhsa_kernarg_size 136
		.amdhsa_user_sgpr_count 2
		.amdhsa_user_sgpr_dispatch_ptr 0
		.amdhsa_user_sgpr_queue_ptr 0
		.amdhsa_user_sgpr_kernarg_segment_ptr 1
		.amdhsa_user_sgpr_dispatch_id 0
		.amdhsa_user_sgpr_kernarg_preload_length 0
		.amdhsa_user_sgpr_kernarg_preload_offset 0
		.amdhsa_user_sgpr_private_segment_size 0
		.amdhsa_uses_dynamic_stack 0
		.amdhsa_enable_private_segment 0
		.amdhsa_system_sgpr_workgroup_id_x 1
		.amdhsa_system_sgpr_workgroup_id_y 1
		.amdhsa_system_sgpr_workgroup_id_z 0
		.amdhsa_system_sgpr_workgroup_info 0
		.amdhsa_system_vgpr_workitem_id 0
		.amdhsa_next_free_vgpr 232
		.amdhsa_next_free_sgpr 71
		.amdhsa_accum_offset 192
		.amdhsa_reserve_vcc 1
		.amdhsa_float_round_mode_32 0
		.amdhsa_float_round_mode_16_64 0
		.amdhsa_float_denorm_mode_32 3
		.amdhsa_float_denorm_mode_16_64 3
		.amdhsa_dx10_clamp 1
		.amdhsa_ieee_mode 1
		.amdhsa_fp16_overflow 0
		.amdhsa_tg_split 0
		.amdhsa_exception_fp_ieee_invalid_op 0
		.amdhsa_exception_fp_denorm_src 0
		.amdhsa_exception_fp_ieee_div_zero 0
		.amdhsa_exception_fp_ieee_overflow 0
		.amdhsa_exception_fp_ieee_underflow 0
		.amdhsa_exception_fp_ieee_inexact 0
		.amdhsa_exception_int_div_zero 0
	.end_amdhsa_kernel
	.section	.text._ZN12_GLOBAL__N_139chunk_gated_delta_rule_fwd_h_hip_kernelILi64ELb1ELb0ELb1ELb0ELb0ELb1ELb0ELb1EEEvPK12hip_bfloat16S3_S3_PKfS5_PKvPS1_S8_PvPKiSB_iiiiilll,"axG",@progbits,_ZN12_GLOBAL__N_139chunk_gated_delta_rule_fwd_h_hip_kernelILi64ELb1ELb0ELb1ELb0ELb0ELb1ELb0ELb1EEEvPK12hip_bfloat16S3_S3_PKfS5_PKvPS1_S8_PvPKiSB_iiiiilll,comdat
.Lfunc_end91:
	.size	_ZN12_GLOBAL__N_139chunk_gated_delta_rule_fwd_h_hip_kernelILi64ELb1ELb0ELb1ELb0ELb0ELb1ELb0ELb1EEEvPK12hip_bfloat16S3_S3_PKfS5_PKvPS1_S8_PvPKiSB_iiiiilll, .Lfunc_end91-_ZN12_GLOBAL__N_139chunk_gated_delta_rule_fwd_h_hip_kernelILi64ELb1ELb0ELb1ELb0ELb0ELb1ELb0ELb1EEEvPK12hip_bfloat16S3_S3_PKfS5_PKvPS1_S8_PvPKiSB_iiiiilll
                                        ; -- End function
	.section	.AMDGPU.csdata,"",@progbits
; Kernel info:
; codeLenInByte = 11728
; NumSgprs: 77
; NumVgprs: 192
; NumAgprs: 40
; TotalNumVgprs: 232
; ScratchSize: 0
; MemoryBound: 0
; FloatMode: 240
; IeeeMode: 1
; LDSByteSize: 65536 bytes/workgroup (compile time only)
; SGPRBlocks: 9
; VGPRBlocks: 28
; NumSGPRsForWavesPerEU: 77
; NumVGPRsForWavesPerEU: 232
; AccumOffset: 192
; Occupancy: 1
; WaveLimiterHint : 1
; COMPUTE_PGM_RSRC2:SCRATCH_EN: 0
; COMPUTE_PGM_RSRC2:USER_SGPR: 2
; COMPUTE_PGM_RSRC2:TRAP_HANDLER: 0
; COMPUTE_PGM_RSRC2:TGID_X_EN: 1
; COMPUTE_PGM_RSRC2:TGID_Y_EN: 1
; COMPUTE_PGM_RSRC2:TGID_Z_EN: 0
; COMPUTE_PGM_RSRC2:TIDIG_COMP_CNT: 0
; COMPUTE_PGM_RSRC3_GFX90A:ACCUM_OFFSET: 47
; COMPUTE_PGM_RSRC3_GFX90A:TG_SPLIT: 0
	.section	.text._ZN12_GLOBAL__N_139chunk_gated_delta_rule_fwd_h_hip_kernelILi64ELb1ELb0ELb0ELb0ELb0ELb1ELb0ELb1EEEvPK12hip_bfloat16S3_S3_PKfS5_PKvPS1_S8_PvPKiSB_iiiiilll,"axG",@progbits,_ZN12_GLOBAL__N_139chunk_gated_delta_rule_fwd_h_hip_kernelILi64ELb1ELb0ELb0ELb0ELb0ELb1ELb0ELb1EEEvPK12hip_bfloat16S3_S3_PKfS5_PKvPS1_S8_PvPKiSB_iiiiilll,comdat
	.globl	_ZN12_GLOBAL__N_139chunk_gated_delta_rule_fwd_h_hip_kernelILi64ELb1ELb0ELb0ELb0ELb0ELb1ELb0ELb1EEEvPK12hip_bfloat16S3_S3_PKfS5_PKvPS1_S8_PvPKiSB_iiiiilll ; -- Begin function _ZN12_GLOBAL__N_139chunk_gated_delta_rule_fwd_h_hip_kernelILi64ELb1ELb0ELb0ELb0ELb0ELb1ELb0ELb1EEEvPK12hip_bfloat16S3_S3_PKfS5_PKvPS1_S8_PvPKiSB_iiiiilll
	.p2align	8
	.type	_ZN12_GLOBAL__N_139chunk_gated_delta_rule_fwd_h_hip_kernelILi64ELb1ELb0ELb0ELb0ELb0ELb1ELb0ELb1EEEvPK12hip_bfloat16S3_S3_PKfS5_PKvPS1_S8_PvPKiSB_iiiiilll,@function
_ZN12_GLOBAL__N_139chunk_gated_delta_rule_fwd_h_hip_kernelILi64ELb1ELb0ELb0ELb0ELb0ELb1ELb0ELb1EEEvPK12hip_bfloat16S3_S3_PKfS5_PKvPS1_S8_PvPKiSB_iiiiilll: ; @_ZN12_GLOBAL__N_139chunk_gated_delta_rule_fwd_h_hip_kernelILi64ELb1ELb0ELb0ELb0ELb0ELb1ELb0ELb1EEEvPK12hip_bfloat16S3_S3_PKfS5_PKvPS1_S8_PvPKiSB_iiiiilll
; %bb.0:
	s_load_dwordx4 s[12:15], s[0:1], 0x5c
	s_load_dwordx4 s[16:19], s[0:1], 0x28
	s_abs_i32 s6, s3
	s_ashr_i32 s5, s3, 31
	v_and_b32_e32 v88, 15, v0
	s_waitcnt lgkmcnt(0)
	s_abs_i32 s4, s13
	v_cvt_f32_u32_e32 v1, s4
	s_sub_i32 s8, 0, s4
	s_ashr_i32 s7, s13, 31
	s_xor_b32 s5, s5, s7
	v_rcp_iflag_f32_e32 v1, v1
	v_lshrrev_b32_e32 v86, 6, v0
	v_bfe_u32 v87, v0, 4, 2
	v_mov_b32_e32 v7, 0
	v_mul_f32_e32 v1, 0x4f7ffffe, v1
	v_cvt_u32_f32_e32 v1, v1
	v_and_b32_e32 v45, 63, v0
	v_lshlrev_b32_e32 v89, 3, v0
	v_lshrrev_b32_e32 v90, 3, v45
	v_readfirstlane_b32 s9, v1
	s_mul_i32 s8, s8, s9
	s_mul_hi_u32 s8, s9, s8
	s_add_i32 s9, s9, s8
	s_mul_hi_u32 s8, s6, s9
	s_mul_i32 s9, s8, s4
	s_sub_i32 s6, s6, s9
	s_add_i32 s10, s8, 1
	s_sub_i32 s9, s6, s4
	s_cmp_ge_u32 s6, s4
	s_cselect_b32 s8, s10, s8
	s_cselect_b32 s6, s9, s6
	s_add_i32 s9, s8, 1
	s_cmp_ge_u32 s6, s4
	s_cselect_b32 s6, s9, s8
	s_xor_b32 s6, s6, s5
	s_sub_i32 s51, s6, s5
	s_mul_i32 s6, s51, s13
	s_sub_i32 s48, s3, s6
	s_abs_i32 s3, s14
	v_cvt_f32_u32_e32 v1, s3
	s_add_i32 s8, s12, 63
	s_ashr_i32 s9, s8, 31
	s_lshr_b32 s5, s9, 26
	v_rcp_iflag_f32_e32 v1, v1
	s_ashr_i32 s50, s12, 31
	s_add_i32 s8, s8, s5
	s_lshr_b32 s5, s50, 26
	v_mul_f32_e32 v1, 0x4f7ffffe, v1
	v_cvt_u32_f32_e32 v1, v1
	s_add_i32 s5, s12, s5
	s_ashr_i32 s53, s14, 31
	s_ashr_i32 s52, s5, 6
	s_lshl_b32 s36, s2, 6
	s_xor_b32 s2, s7, s53
	s_sub_i32 s5, 0, s3
	v_readfirstlane_b32 s7, v1
	s_mul_i32 s5, s5, s7
	s_mul_hi_u32 s5, s7, s5
	s_add_i32 s7, s7, s5
	s_mul_hi_u32 s5, s4, s7
	s_mul_i32 s7, s5, s3
	s_sub_i32 s4, s4, s7
	s_ashr_i32 s25, s8, 6
	s_add_i32 s7, s5, 1
	s_sub_i32 s8, s4, s3
	s_cmp_ge_u32 s4, s3
	s_cselect_b32 s5, s7, s5
	s_cselect_b32 s4, s8, s4
	s_add_i32 s7, s5, 1
	s_cmp_ge_u32 s4, s3
	s_cselect_b32 s3, s7, s5
	s_xor_b32 s3, s3, s2
	s_sub_i32 s2, s3, s2
	s_abs_i32 s3, s2
	v_cvt_f32_u32_e32 v1, s3
	s_sub_i32 s5, 0, s3
	s_abs_i32 s4, s48
	s_xor_b32 s2, s48, s2
	v_rcp_iflag_f32_e32 v1, v1
	s_ashr_i32 s2, s2, 31
	v_or_b32_e32 v46, s36, v88
	v_lshlrev_b32_e32 v2, 7, v46
	v_mul_f32_e32 v1, 0x4f7ffffe, v1
	v_cvt_u32_f32_e32 v1, v1
	v_or_b32_e32 v10, 0x800, v2
	v_ashrrev_i32_e32 v3, 31, v2
	v_ashrrev_i32_e32 v11, 31, v10
	v_readfirstlane_b32 s7, v1
	s_mul_i32 s5, s5, s7
	s_mul_hi_u32 s5, s7, s5
	s_add_i32 s7, s7, s5
	s_mul_hi_u32 s5, s4, s7
	s_mul_i32 s7, s5, s3
	s_sub_i32 s4, s4, s7
	s_add_i32 s7, s5, 1
	s_sub_i32 s8, s4, s3
	s_cmp_ge_u32 s4, s3
	s_cselect_b32 s5, s7, s5
	s_cselect_b32 s4, s8, s4
	s_add_i32 s7, s5, 1
	s_cmp_ge_u32 s4, s3
	s_cselect_b32 s3, s7, s5
	s_xor_b32 s3, s3, s2
	s_sub_i32 s54, s3, s2
	s_ashr_i32 s24, s51, 31
	s_ashr_i32 s49, s48, 31
	s_mul_hi_i32 s2, s51, s13
	s_add_u32 s38, s6, s48
	s_addc_u32 s39, s2, s49
	s_lshl_b64 s[2:3], s[38:39], 15
	v_lshlrev_b32_e32 v1, 4, v86
	s_add_u32 s2, s16, s2
	v_lshl_or_b32 v91, v87, 2, v1
	s_addc_u32 s3, s17, s3
	v_lshl_add_u64 v[4:5], v[2:3], 1, s[2:3]
	v_lshlrev_b32_e32 v6, 1, v91
	v_lshl_add_u64 v[10:11], v[10:11], 1, s[2:3]
	v_lshl_add_u64 v[4:5], v[4:5], 0, v[6:7]
	;; [unrolled: 1-line block ×3, first 2 shown]
	global_load_dwordx2 v[8:9], v[4:5], off
	v_or_b32_e32 v92, 64, v91
	global_load_dwordx2 v[4:5], v[4:5], off offset:128
	s_nop 0
	global_load_dwordx2 v[12:13], v[10:11], off
	global_load_dwordx2 v[14:15], v[10:11], off offset:128
	v_or_b32_e32 v10, 0x1000, v2
	v_or_b32_e32 v2, 0x1800, v2
	v_ashrrev_i32_e32 v11, 31, v10
	v_ashrrev_i32_e32 v3, 31, v2
	v_lshl_add_u64 v[10:11], v[10:11], 1, s[2:3]
	v_lshl_add_u64 v[2:3], v[2:3], 1, s[2:3]
	;; [unrolled: 1-line block ×4, first 2 shown]
	global_load_dwordx2 v[16:17], v[10:11], off
	s_mul_i32 s55, s51, s25
	global_load_dwordx2 v[10:11], v[10:11], off offset:128
	s_nop 0
	global_load_dwordx2 v[6:7], v[2:3], off
	global_load_dwordx2 v[18:19], v[2:3], off offset:128
	s_load_dwordx8 s[4:11], s[0:1], 0x0
	s_load_dwordx2 s[28:29], s[0:1], 0x80
	s_load_dwordx4 s[20:23], s[0:1], 0x70
	s_cmp_lt_i32 s12, 64
	s_mul_i32 s56, s39, s12
	s_mul_hi_u32 s57, s38, s12
	s_mul_i32 s16, s38, s12
	s_waitcnt lgkmcnt(0)
	s_mul_i32 s33, s51, s21
	s_mul_hi_u32 s44, s51, s20
	s_mul_i32 s39, s24, s20
	s_mul_i32 s34, s51, s20
	;; [unrolled: 1-line block ×3, first 2 shown]
	s_mul_hi_u32 s46, s48, s22
	s_mul_i32 s47, s49, s22
	s_mul_i32 s30, s48, s22
	s_waitcnt vmcnt(7)
	v_and_b32_e32 v75, 0xffff0000, v8
	v_lshlrev_b32_e32 v74, 16, v8
	v_and_b32_e32 v79, 0xffff0000, v9
	v_lshlrev_b32_e32 v78, 16, v9
	s_waitcnt vmcnt(6)
	v_and_b32_e32 v73, 0xffff0000, v4
	v_lshlrev_b32_e32 v72, 16, v4
	v_and_b32_e32 v77, 0xffff0000, v5
	v_lshlrev_b32_e32 v76, 16, v5
	;; [unrolled: 5-line block ×8, first 2 shown]
	s_cbranch_scc1 .LBB92_18
; %bb.1:
	s_add_i32 s17, s57, s56
	s_lshl_b64 s[2:3], s[16:17], 8
	v_and_b32_e32 v94, 56, v89
	s_add_u32 s20, s6, s2
	v_lshl_or_b32 v93, v86, 3, v90
	v_lshlrev_b32_e32 v2, 1, v94
	s_addc_u32 s2, s7, s3
	v_lshl_or_b32 v95, v93, 8, v2
	s_and_b32 s21, s2, 0xffff
	s_mov_b32 s23, 0x20000
	s_movk_i32 s22, 0x4000
	s_movk_i32 s2, 0x80
	v_or_b32_e32 v96, 0x2000, v95
	buffer_load_dwordx4 v[4:7], v95, s[20:23], 0 offen
	buffer_load_dwordx4 v[8:11], v95, s[20:23], s2 offen
	buffer_load_dwordx4 v[12:15], v96, s[20:23], 0 offen
	buffer_load_dwordx4 v[16:19], v96, s[20:23], s2 offen
	v_lshlrev_b32_e32 v3, 3, v93
	v_and_or_b32 v21, v0, 7, v3
	v_and_b32_e32 v3, 0x78, v3
	v_lshlrev_b32_e32 v21, 4, v21
	v_xor_b32_e32 v97, v21, v3
	v_mul_lo_u32 v20, v93, s15
	v_or_b32_e32 v98, 0x1000, v97
	v_xor_b32_e32 v3, 8, v97
	s_cmpk_eq_i32 s15, 0x80
	s_mov_b32 s58, s14
	v_xor_b32_e32 v21, 8, v98
	s_cselect_b64 s[2:3], -1, 0
	s_cmpk_lg_i32 s15, 0x80
	s_waitcnt vmcnt(3)
	ds_write_b64 v97, v[4:5] offset:49152
	ds_write_b64 v3, v[6:7] offset:49152
	s_waitcnt vmcnt(2)
	ds_write_b64 v97, v[8:9] offset:57344
	ds_write_b64 v3, v[10:11] offset:57344
	;; [unrolled: 3-line block ×4, first 2 shown]
	v_lshl_add_u32 v3, v20, 1, v94
	s_cbranch_scc0 .LBB92_3
; %bb.2:
	v_lshlrev_b32_e32 v5, 1, v3
	v_add_lshl_u32 v4, v3, s15, 1
	s_lshl_b32 s22, s15, 7
	s_load_dwordx2 s[40:41], s[0:1], 0x20
	v_lshl_or_b32 v2, v93, 9, v2
	s_cbranch_execz .LBB92_4
	s_branch .LBB92_5
.LBB92_3:
                                        ; implicit-def: $vgpr4
                                        ; implicit-def: $vgpr5
                                        ; implicit-def: $sgpr22
	s_load_dwordx2 s[40:41], s[0:1], 0x20
	v_lshl_or_b32 v2, v93, 9, v2
.LBB92_4:
	v_or_b32_e32 v4, 0x100, v2
	s_movk_i32 s22, 0x4000
	v_mov_b32_e32 v5, v2
.LBB92_5:
	s_mul_hi_u32 s0, s14, s12
	s_mul_i32 s1, s53, s12
	s_add_i32 s0, s0, s1
	s_mul_i32 s1, s14, s12
	s_mul_i32 s20, s1, s24
	s_mul_hi_u32 s21, s1, s51
	s_add_i32 s20, s21, s20
	s_mul_i32 s0, s0, s51
	s_add_i32 s20, s20, s0
	s_mul_i32 s1, s1, s51
	s_ashr_i32 s59, s54, 31
	s_add_u32 s0, s1, s54
	s_addc_u32 s1, s20, s59
	s_lshl_b64 s[0:1], s[0:1], 8
	s_add_u32 s20, s4, s0
	s_addc_u32 s0, s5, s1
	s_and_b32 s21, s0, 0xffff
	s_movk_i32 s60, 0x80
	buffer_load_dwordx4 v[6:9], v5, s[20:23], 0 offen
	buffer_load_dwordx4 v[10:13], v5, s[20:23], s60 offen
	;; [unrolled: 1-line block ×4, first 2 shown]
	v_and_b32_e32 v5, 6, v0
	v_lshlrev_b32_e32 v4, 7, v91
	v_xor_b32_e32 v26, v93, v5
	v_and_b32_e32 v22, 1, v0
	v_lshl_or_b32 v29, v88, 3, v4
	v_lshlrev_b32_e32 v26, 2, v26
	v_or_b32_e32 v99, 0x4000, v29
	v_or_b32_e32 v100, 0x6000, v29
	v_xor_b32_e32 v29, 0x440, v26
	v_cmp_eq_u32_e32 vcc, 0, v22
	v_lshlrev_b32_e32 v23, 2, v88
	s_mov_b32 s63, 0x1000504
	v_cndmask_b32_e32 v22, v29, v26, vcc
	v_xor_b32_e32 v27, v91, v23
	v_xor_b32_e32 v28, v92, v23
	v_lshl_or_b32 v5, v5, 10, v22
	s_mov_b32 s64, 0x3020706
	v_lshlrev_b32_e32 v24, 8, v88
	v_or_b32_e32 v25, 16, v88
	v_lshlrev_b32_e32 v27, 1, v27
	v_lshlrev_b32_e32 v28, 1, v28
	v_xor_b32_e32 v22, 8, v5
	v_xor_b32_e32 v26, 24, v5
	;; [unrolled: 1-line block ×4, first 2 shown]
	s_mul_i32 s24, s24, s12
	s_mul_hi_u32 s0, s51, s12
	v_or_b32_e32 v102, v24, v27
	v_or_b32_e32 v103, v24, v28
	v_xor_b32_e32 v24, 16, v5
	v_xor_b32_e32 v29, 32, v5
	;; [unrolled: 1-line block ×3, first 2 shown]
	v_add_u32_e32 v22, 0x80, v22
	v_add_u32_e32 v26, 0x80, v26
	v_add_u32_e32 v31, 0x80, v31
	v_add_u32_e32 v33, 0x80, v33
	s_add_i32 s65, s0, s24
	s_add_i32 s0, s44, s33
	;; [unrolled: 1-line block ×5, first 2 shown]
	s_lshl_b64 s[0:1], s[34:35], 2
	s_add_u32 s20, s10, s0
	s_addc_u32 s21, s11, s1
	s_lshl_b64 s[0:1], s[30:31], 2
	s_add_u32 s42, s20, s0
	s_movk_i32 s0, 0xf8
	s_addc_u32 s43, s21, s1
	s_ashr_i32 s37, s36, 31
	s_lshl_b32 s26, s15, 7
	v_mov_b32_e32 v81, 0
	s_movk_i32 s20, 0x100
	v_lshlrev_b32_e32 v80, 4, v88
	s_mul_i32 s61, s51, s12
	v_lshl_or_b32 v30, v25, 3, v4
	v_ashrrev_i32_e32 v47, 31, v46
	s_mov_b32 s62, 0
	v_or_b32_e32 v101, 0x4000, v30
	s_movk_i32 s22, 0x4000
	v_or_b32_e32 v104, 0x6000, v30
	v_lshl_add_u64 v[82:83], v[46:47], 1, s[8:9]
	s_mov_b32 s35, 0x7060302
	s_movk_i32 s66, 0x3000
	v_mov_b32_e32 v144, 0x3fb8aa3b
	s_mov_b32 s68, 0
	s_waitcnt vmcnt(1)
	v_perm_b32 v34, v6, v14, s63
	s_waitcnt vmcnt(0)
	v_perm_b32 v35, v10, v18, s63
	v_perm_b32 v6, v6, v14, s64
	;; [unrolled: 1-line block ×15, first 2 shown]
	ds_write2st64_b32 v5, v34, v35 offset0:128 offset1:160
	ds_write2st64_b32 v22, v6, v10 offset0:128 offset1:160
	;; [unrolled: 1-line block ×8, first 2 shown]
	v_lshlrev_b32_e32 v5, 8, v25
	v_or_b32_e32 v105, v5, v27
	v_or_b32_e32 v106, v5, v28
	v_or_b32_e32 v5, 32, v88
	v_lshl_or_b32 v6, v5, 3, v4
	v_lshlrev_b32_e32 v5, 8, v5
	v_or_b32_e32 v109, v5, v27
	v_or_b32_e32 v110, v5, v28
	;; [unrolled: 1-line block ×5, first 2 shown]
	v_lshl_or_b32 v6, v5, 3, v4
	v_lshlrev_b32_e32 v5, 8, v5
	v_or_b32_e32 v113, v5, v27
	v_or_b32_e32 v114, v5, v28
	;; [unrolled: 1-line block ×3, first 2 shown]
	v_lshlrev_b32_e32 v5, 3, v5
	v_lshrrev_b32_e32 v7, 5, v45
	v_and_or_b32 v7, v5, s0, v7
	v_lshlrev_b32_e32 v7, 4, v7
	v_or_b32_e32 v111, 0x4000, v6
	v_or_b32_e32 v112, 0x6000, v6
	v_lshrrev_b32_e32 v6, 2, v45
	v_lshlrev_b32_e32 v9, 11, v86
	v_and_b32_e32 v5, 0x78, v5
	v_or_b32_e32 v13, 32, v7
	v_and_b32_e32 v8, 12, v6
	v_and_b32_e32 v6, 0x1000, v9
	v_xor_b32_e32 v10, v7, v5
	v_lshrrev_b32_e32 v11, 1, v45
	v_xor_b32_e32 v13, v13, v5
	v_or_b32_e32 v10, v10, v6
	v_and_b32_e32 v11, 8, v11
	v_or_b32_e32 v13, v13, v6
	v_xor_b32_e32 v115, v10, v11
	v_lshlrev_b32_e32 v10, 8, v87
	v_xor_b32_e32 v117, v13, v11
	v_or_b32_e32 v13, 64, v7
	v_or_b32_e32 v7, 0x60, v7
	;; [unrolled: 1-line block ×3, first 2 shown]
	v_xor_b32_e32 v13, v13, v5
	v_xor_b32_e32 v5, v7, v5
	s_lshl_b64 s[0:1], s[36:37], 8
	v_lshlrev_b32_e32 v12, 1, v12
	v_or_b32_e32 v13, v13, v6
	v_or_b32_e32 v5, v5, v6
	s_add_u32 s0, s18, s0
	v_lshlrev_b32_e32 v6, 1, v88
	v_lshlrev_b32_e32 v15, 2, v0
	v_or_b32_e32 v116, 0x4000, v12
	v_or_b32_e32 v118, 0x4080, v12
	;; [unrolled: 1-line block ×4, first 2 shown]
	v_xor_b32_e32 v121, v13, v11
	v_xor_b32_e32 v122, v5, v11
	v_or_b32_e32 v123, 0x6000, v12
	v_or_b32_e32 v124, 0x6080, v12
	;; [unrolled: 1-line block ×4, first 2 shown]
	v_lshlrev_b32_e32 v5, 1, v3
	v_add_lshl_u32 v3, v3, s15, 1
	v_or_b32_e32 v11, 0x100, v2
	v_lshrrev_b32_e32 v12, 4, v0
	s_addc_u32 s1, s19, s1
	v_or_b32_e32 v7, 1, v6
	v_lshrrev_b32_e32 v16, 1, v0
	v_and_or_b32 v10, v15, 60, v10
	v_xor_b32_e32 v13, v12, v6
	v_xor_b32_e32 v14, v7, v12
	v_lshl_add_u64 v[6:7], s[0:1], 0, v[80:81]
	v_and_b32_e32 v16, 24, v16
	v_lshlrev_b32_e32 v10, 1, v10
	v_cndmask_b32_e64 v133, v5, v2, s[2:3]
	v_cndmask_b32_e64 v134, v3, v11, s[2:3]
	v_mov_b32_e32 v3, 0xa000
	v_mov_b32_e32 v5, 0x8000
	v_cmp_gt_u32_e64 s[0:1], s20, v0
	v_lshlrev_b32_e32 v80, 8, v12
	v_or_b32_e32 v129, 0x6000, v10
	v_or_b32_e32 v15, 32, v16
	;; [unrolled: 1-line block ×6, first 2 shown]
	v_cndmask_b32_e64 v3, v3, v5, s[0:1]
	v_lshlrev_b32_e32 v5, 3, v86
	v_lshl_or_b32 v127, v13, 3, v80
	v_and_b32_e32 v13, 8, v0
	v_xor_b32_e32 v11, v5, v16
	v_xor_b32_e32 v15, v5, v15
	;; [unrolled: 1-line block ×3, first 2 shown]
	v_mov_b32_e32 v17, 0x400
	v_cmp_eq_u32_e32 vcc, 0, v13
	v_or_b32_e32 v16, 0x440, v11
	v_or_b32_e32 v18, 0x440, v15
	v_xor_b32_e32 v10, 0x440, v5
	v_and_b32_e32 v12, 7, v0
	v_cndmask_b32_e64 v13, v17, 64, vcc
	v_cndmask_b32_e32 v16, v16, v11, vcc
	v_cndmask_b32_e32 v15, v18, v15, vcc
	;; [unrolled: 1-line block ×3, first 2 shown]
	v_lshl_or_b32 v128, v14, 3, v80
	v_lshlrev_b32_e32 v14, 3, v12
	v_or_b32_e32 v16, v16, v9
	v_or_b32_e32 v15, v15, v9
	v_or3_b32 v11, v9, v13, v11
	v_or_b32_e32 v5, v5, v9
	v_lshlrev_b32_e32 v12, 7, v12
	v_xor_b32_e32 v16, v16, v14
	v_xor_b32_e32 v15, v15, v14
	;; [unrolled: 1-line block ×4, first 2 shown]
	v_or_b32_e32 v2, v1, v8
	v_add_u32_e32 v17, v3, v16
	v_add_u32_e32 v18, v3, v15
	v_or_b32_e32 v135, v11, v12
	v_add_u32_e32 v9, v3, v5
	v_or3_b32 v8, v1, v8, 64
	v_add_u32_e32 v10, 0xa000, v16
	v_add_u32_e32 v11, 0xa000, v15
	;; [unrolled: 1-line block ×3, first 2 shown]
	v_lshl_add_u64 v[84:85], v[6:7], 0, v[80:81]
	s_add_i32 s31, s61, 63
	v_lshlrev_b32_e32 v80, 1, v4
	s_movk_i32 s37, 0x2000
	v_lshlrev_b32_e32 v47, 2, v2
	v_add_u32_e32 v136, v17, v12
	v_add_u32_e32 v137, v18, v12
	;; [unrolled: 1-line block ×4, first 2 shown]
	v_lshlrev_b32_e32 v140, 2, v8
	v_add_u32_e32 v141, v10, v12
	v_add_u32_e32 v142, v11, v12
	;; [unrolled: 1-line block ×3, first 2 shown]
	s_waitcnt lgkmcnt(0)
	s_barrier
.LBB92_6:                               ; =>This Inner Loop Header: Depth=1
	s_add_i32 s67, s68, 1
	s_cmp_lt_i32 s67, s52
	s_mov_b64 s[24:25], 0
	s_cselect_b64 s[2:3], -1, 0
	s_cmp_ge_i32 s67, s52
	s_mov_b64 s[20:21], 0
	s_cbranch_scc1 .LBB92_8
; %bb.7:                                ;   in Loop: Header=BB92_6 Depth=1
	s_add_i32 s0, s62, 64
	s_add_u32 s0, s16, s0
	s_addc_u32 s1, s17, 0
	s_lshl_b64 s[0:1], s[0:1], 8
	s_add_u32 s20, s6, s0
	s_addc_u32 s21, s7, s1
.LBB92_8:                               ;   in Loop: Header=BB92_6 Depth=1
	v_cndmask_b32_e64 v2, 0, 1, s[2:3]
	v_cmp_ne_u32_e64 s[0:1], 1, v2
	s_andn2_b64 vcc, exec, s[2:3]
	s_cbranch_vccnz .LBB92_10
; %bb.9:                                ;   in Loop: Header=BB92_6 Depth=1
	s_add_i32 s2, s62, 64
	s_add_u32 s2, s61, s2
	s_addc_u32 s3, s65, 0
	s_mul_i32 s24, s2, s53
	s_mul_hi_u32 s25, s2, s58
	s_add_i32 s24, s25, s24
	s_mul_i32 s3, s3, s58
	s_add_i32 s24, s24, s3
	s_mul_i32 s2, s2, s58
	s_add_u32 s2, s2, s54
	s_addc_u32 s3, s24, s59
	s_lshl_b64 s[2:3], s[2:3], 8
	s_add_u32 s24, s4, s2
	s_addc_u32 s25, s5, s3
.LBB92_10:                              ;   in Loop: Header=BB92_6 Depth=1
	v_perm_b32 v3, v79, v78, s35
	v_perm_b32 v2, v75, v74, s35
	v_perm_b32 v5, v77, v76, s35
	v_perm_b32 v4, v73, v72, s35
	ds_write_b64 v99, v[2:3]
	ds_write_b64 v100, v[4:5]
	ds_write_b64 v102, v[2:3]
	ds_write_b64 v103, v[4:5]
	v_perm_b32 v3, v71, v70, s35
	v_perm_b32 v2, v67, v66, s35
	v_perm_b32 v5, v69, v68, s35
	v_perm_b32 v4, v65, v64, s35
	ds_write_b64 v101, v[2:3]
	ds_write_b64 v104, v[4:5]
	ds_write_b64 v105, v[2:3]
	ds_write_b64 v106, v[4:5]
	;; [unrolled: 8-line block ×4, first 2 shown]
	s_waitcnt lgkmcnt(0)
	s_barrier
	ds_read_b64 v[6:7], v115 offset:49152
	ds_read2_b64 v[2:5], v116 offset1:16
	ds_read_b64 v[18:19], v118 offset:6144
	ds_read_b64 v[20:21], v116 offset:6144
	s_waitcnt lgkmcnt(2)
	v_mfma_f32_16x16x16_bf16 a[0:3], v[6:7], v[2:3], 0
	ds_read_b64 v[22:23], v117 offset:49152
	ds_read2st64_b64 v[10:13], v119 offset0:4 offset1:8
	ds_read2st64_b64 v[14:17], v120 offset0:4 offset1:8
	v_mfma_f32_16x16x16_bf16 a[4:7], v[6:7], v[4:5], 0
	ds_read2_b64 v[2:5], v116 offset0:32 offset1:48
	s_add_i32 s2, s62, 63
	s_mul_i32 s3, s2, s29
	s_waitcnt lgkmcnt(0)
	v_mfma_f32_16x16x16_bf16 a[8:11], v[6:7], v[2:3], 0
	s_mul_hi_u32 s27, s2, s28
	s_add_i32 s3, s27, s3
	s_mul_i32 s2, s2, s28
	v_mfma_f32_16x16x16_bf16 a[12:15], v[6:7], v[4:5], 0
	ds_read2st64_b64 v[2:5], v116 offset0:4 offset1:8
	ds_read2st64_b64 v[6:9], v118 offset0:4 offset1:8
	s_lshl_b64 s[2:3], s[2:3], 2
	s_waitcnt lgkmcnt(1)
	v_mfma_f32_16x16x16_bf16 a[0:3], v[22:23], v[2:3], a[0:3]
	s_add_u32 s2, s42, s2
	s_addc_u32 s3, s43, s3
	s_and_b64 vcc, exec, s[0:1]
	s_waitcnt lgkmcnt(0)
	v_mfma_f32_16x16x16_bf16 a[4:7], v[22:23], v[6:7], a[4:7]
	v_mov_b32_e32 v147, 0
	v_mov_b32_e32 v146, 0
	;; [unrolled: 1-line block ×3, first 2 shown]
	v_mfma_f32_16x16x16_bf16 a[8:11], v[22:23], v[10:11], a[8:11]
	ds_read_b64 v[2:3], v121 offset:49152
	ds_read_b64 v[6:7], v122 offset:49152
	;; [unrolled: 1-line block ×3, first 2 shown]
	v_mfma_f32_16x16x16_bf16 a[12:15], v[22:23], v[14:15], a[12:15]
	v_mov_b32_e32 v14, 0
	v_mov_b32_e32 v15, 0
	s_waitcnt lgkmcnt(2)
	v_mfma_f32_16x16x16_bf16 a[0:3], v[2:3], v[4:5], a[0:3]
	v_mov_b32_e32 v4, 0
	v_mov_b32_e32 v5, 0
	v_mfma_f32_16x16x16_bf16 a[16:19], v[2:3], v[8:9], a[4:7]
	v_mov_b32_e32 v8, 0
	v_mov_b32_e32 v9, 0
	;; [unrolled: 3-line block ×3, first 2 shown]
	v_mfma_f32_16x16x16_bf16 a[24:27], v[2:3], v[16:17], a[12:15]
	ds_read_b64 v[2:3], v119 offset:6144
	v_mov_b32_e32 v16, 0
	v_mov_b32_e32 v17, 0
	s_waitcnt lgkmcnt(2)
	v_mfma_f32_16x16x16_bf16 a[4:7], v[6:7], v[20:21], a[0:3]
	v_mfma_f32_16x16x16_bf16 a[8:11], v[6:7], v[18:19], a[16:19]
	s_waitcnt lgkmcnt(0)
	v_mfma_f32_16x16x16_bf16 a[12:15], v[6:7], v[2:3], a[20:23]
	v_mov_b32_e32 v2, 0
	v_mov_b32_e32 v3, 0
	v_mfma_f32_16x16x16_bf16 a[0:3], v[6:7], v[10:11], a[24:27]
	v_mov_b32_e32 v6, 0
	v_mov_b32_e32 v7, 0
	;; [unrolled: 1-line block ×4, first 2 shown]
	s_cbranch_vccnz .LBB92_12
; %bb.11:                               ;   in Loop: Header=BB92_6 Depth=1
	s_and_b32 s21, s21, 0xffff
	buffer_load_dwordx4 v[14:17], v95, s[20:23], 0 offen
	buffer_load_dwordx4 v[10:13], v95, s[20:23], s60 offen
	;; [unrolled: 1-line block ×4, first 2 shown]
	v_mov_b32_e32 v146, v97
	v_mov_b32_e32 v145, v98
.LBB92_12:                              ;   in Loop: Header=BB92_6 Depth=1
	ds_read_b64 v[34:35], v115 offset:57344
	ds_read2_b64 v[18:21], v123 offset1:16
	ds_read_b64 v[36:37], v117 offset:57344
	ds_read_b64 v[38:39], v121 offset:57344
	;; [unrolled: 1-line block ×3, first 2 shown]
	v_add_u32_e32 v42, s62, v91
	s_waitcnt lgkmcnt(3)
	v_mfma_f32_16x16x16_bf16 a[4:7], v[34:35], v[18:19], a[4:7]
	v_mfma_f32_16x16x16_bf16 a[8:11], v[34:35], v[20:21], a[8:11]
	ds_read2_b64 v[18:21], v123 offset0:32 offset1:48
	ds_read2st64_b64 v[22:25], v123 offset0:4 offset1:8
	ds_read2st64_b64 v[26:29], v124 offset0:4 offset1:8
	;; [unrolled: 1-line block ×3, first 2 shown]
	s_waitcnt lgkmcnt(3)
	v_mfma_f32_16x16x16_bf16 a[12:15], v[34:35], v[18:19], a[12:15]
	v_ashrrev_i32_e32 v18, 31, v42
	v_mfma_f32_16x16x16_bf16 a[0:3], v[34:35], v[20:21], a[0:3]
	v_mul_lo_u32 v20, v18, s28
	v_mul_lo_u32 v21, v42, s29
	v_mad_u64_u32 v[18:19], s[20:21], v42, s28, 0
	v_add3_u32 v19, v19, v21, v20
	v_add_u32_e32 v20, 1, v42
	v_ashrrev_i32_e32 v21, 31, v20
	s_waitcnt lgkmcnt(2)
	v_mfma_f32_16x16x16_bf16 a[4:7], v[36:37], v[22:23], a[4:7]
	v_mul_lo_u32 v22, v21, s28
	v_mul_lo_u32 v23, v20, s29
	v_mad_u64_u32 v[20:21], s[20:21], v20, s28, 0
	v_add3_u32 v21, v21, v23, v22
	v_add_u32_e32 v22, 2, v42
	v_ashrrev_i32_e32 v23, 31, v22
	s_waitcnt lgkmcnt(1)
	v_mfma_f32_16x16x16_bf16 a[8:11], v[36:37], v[26:27], a[8:11]
	v_mul_lo_u32 v26, v23, s28
	v_mul_lo_u32 v27, v22, s29
	v_mad_u64_u32 v[22:23], s[20:21], v22, s28, 0
	v_lshl_add_u64 v[18:19], v[18:19], 2, s[42:43]
	v_add3_u32 v23, v23, v27, v26
	v_add_u32_e32 v26, 3, v42
	v_ashrrev_i32_e32 v27, 31, v26
	global_load_dword v35, v[18:19], off
	v_mad_u64_u32 v[18:19], s[20:21], v26, s28, 0
	v_mul_lo_u32 v27, v27, s28
	v_mul_lo_u32 v34, v26, s29
	s_add_u32 s20, s16, s62
	v_add3_u32 v19, v19, v34, v27
	s_addc_u32 s21, s17, 0
	v_lshl_add_u64 v[20:21], v[20:21], 2, s[42:43]
	v_lshl_add_u64 v[22:23], v[22:23], 2, s[42:43]
	;; [unrolled: 1-line block ×3, first 2 shown]
	s_lshl_b64 s[20:21], s[20:21], 8
	global_load_dword v34, v[20:21], off
	global_load_dword v42, v[22:23], off
	;; [unrolled: 1-line block ×3, first 2 shown]
	v_lshl_add_u64 v[18:19], v[82:83], 0, s[20:21]
	v_lshl_add_u64 v[22:23], v[18:19], 0, v[80:81]
	global_load_ushort v44, v[22:23], off offset:256
	global_load_ushort v148, v[22:23], off
	ds_read2st64_b64 v[18:21], v126 offset0:4 offset1:8
	global_load_ushort v149, v[22:23], off offset:768
	global_load_ushort v150, v[22:23], off offset:512
	s_waitcnt lgkmcnt(1)
	v_mfma_f32_16x16x16_bf16 a[12:15], v[36:37], v[30:31], a[12:15]
	s_and_b64 vcc, exec, s[0:1]
	s_waitcnt vmcnt(3)
	v_lshlrev_b32_e32 v31, 16, v44
	s_waitcnt lgkmcnt(0)
	v_mfma_f32_16x16x16_bf16 a[0:3], v[36:37], v[18:19], a[0:3]
	global_load_ushort v36, v[22:23], off offset:288
	global_load_ushort v37, v[22:23], off offset:32
	;; [unrolled: 1-line block ×8, first 2 shown]
	v_mfma_f32_16x16x16_bf16 a[4:7], v[38:39], v[24:25], a[4:7]
	ds_read_b64 v[18:19], v123 offset:6144
	s_waitcnt vmcnt(10)
	v_lshlrev_b32_e32 v30, 16, v148
	v_mov_b32_e32 v148, 0
	v_mfma_f32_16x16x16_bf16 a[8:11], v[38:39], v[28:29], a[8:11]
	v_mfma_f32_16x16x16_bf16 a[12:15], v[38:39], v[32:33], a[12:15]
	;; [unrolled: 1-line block ×3, first 2 shown]
	global_load_ushort v38, v[22:23], off offset:352
	global_load_ushort v39, v[22:23], off offset:96
	ds_read_b64 v[20:21], v124 offset:6144
	ds_read_b64 v[24:25], v125 offset:6144
	ds_read_b64 v[26:27], v126 offset:6144
	global_load_ushort v157, v[22:23], off offset:864
	global_load_ushort v158, v[22:23], off offset:608
	s_load_dword s2, s[2:3], 0x0
	s_waitcnt lgkmcnt(0)
	v_mfma_f32_16x16x16_bf16 a[4:7], v[40:41], v[18:19], a[4:7]
	v_sub_f32_e32 v28, s2, v42
	v_mfma_f32_16x16x16_bf16 a[0:3], v[40:41], v[26:27], a[0:3]
	v_sub_f32_e32 v26, s2, v35
	v_sub_f32_e32 v27, s2, v34
	;; [unrolled: 1-line block ×3, first 2 shown]
	v_mul_f32_e32 v26, 0x3fb8aa3b, v26
	v_mul_f32_e32 v27, 0x3fb8aa3b, v27
	v_mul_f32_e32 v28, 0x3fb8aa3b, v28
	v_mul_f32_e32 v29, 0x3fb8aa3b, v29
	v_mfma_f32_16x16x16_bf16 a[8:11], v[40:41], v[20:21], a[8:11]
	v_exp_f32_e32 v26, v26
	v_exp_f32_e32 v27, v27
	;; [unrolled: 1-line block ×4, first 2 shown]
	v_accvgpr_read_b32 v33, a5
	v_accvgpr_read_b32 v32, a4
	;; [unrolled: 1-line block ×4, first 2 shown]
	v_pk_add_f32 v[30:31], v[30:31], v[32:33] neg_lo:[0,1] neg_hi:[0,1]
	s_waitcnt vmcnt(13)
	v_lshlrev_b32_e32 v33, 16, v149
	s_waitcnt vmcnt(12)
	v_lshlrev_b32_e32 v32, 16, v150
	v_pk_add_f32 v[18:19], v[32:33], v[18:19] neg_lo:[0,1] neg_hi:[0,1]
	v_pk_mul_f32 v[30:31], v[26:27], v[30:31]
	v_pk_mul_f32 v[18:19], v[28:29], v[18:19]
	v_accvgpr_read_b32 v33, a9
	v_perm_b32 v19, v19, v18, s35
	v_perm_b32 v18, v31, v30, s35
	v_accvgpr_read_b32 v32, a8
	v_accvgpr_read_b32 v21, a11
	v_mfma_f32_16x16x16_bf16 a[12:15], v[40:41], v[24:25], a[12:15]
	v_accvgpr_read_b32 v20, a10
	v_accvgpr_read_b32 v25, a3
	;; [unrolled: 1-line block ×3, first 2 shown]
	s_waitcnt vmcnt(11)
	v_lshlrev_b32_e32 v31, 16, v36
	s_waitcnt vmcnt(10)
	v_lshlrev_b32_e32 v30, 16, v37
	v_pk_add_f32 v[30:31], v[30:31], v[32:33] neg_lo:[0,1] neg_hi:[0,1]
	s_waitcnt vmcnt(9)
	v_lshlrev_b32_e32 v33, 16, v151
	s_waitcnt vmcnt(8)
	v_lshlrev_b32_e32 v32, 16, v152
	v_pk_add_f32 v[20:21], v[32:33], v[20:21] neg_lo:[0,1] neg_hi:[0,1]
	v_pk_mul_f32 v[30:31], v[26:27], v[30:31]
	v_pk_mul_f32 v[20:21], v[28:29], v[20:21]
	v_accvgpr_read_b32 v23, a15
	v_perm_b32 v21, v21, v20, s35
	v_perm_b32 v20, v31, v30, s35
	ds_write2_b64 v100, v[18:19], v[20:21] offset1:16
	v_accvgpr_read_b32 v21, a13
	s_waitcnt vmcnt(7)
	v_lshlrev_b32_e32 v19, 16, v153
	s_waitcnt vmcnt(6)
	v_lshlrev_b32_e32 v18, 16, v154
	v_accvgpr_read_b32 v20, a12
	v_accvgpr_read_b32 v22, a14
	v_pk_add_f32 v[18:19], v[18:19], v[20:21] neg_lo:[0,1] neg_hi:[0,1]
	s_waitcnt vmcnt(5)
	v_lshlrev_b32_e32 v21, 16, v155
	s_waitcnt vmcnt(4)
	v_lshlrev_b32_e32 v20, 16, v156
	v_pk_add_f32 v[20:21], v[20:21], v[22:23] neg_lo:[0,1] neg_hi:[0,1]
	v_pk_mul_f32 v[18:19], v[26:27], v[18:19]
	v_pk_mul_f32 v[20:21], v[28:29], v[20:21]
	v_accvgpr_read_b32 v23, a1
	v_perm_b32 v21, v21, v20, s35
	v_perm_b32 v20, v19, v18, s35
	s_waitcnt vmcnt(3)
	v_lshlrev_b32_e32 v19, 16, v38
	s_waitcnt vmcnt(2)
	v_lshlrev_b32_e32 v18, 16, v39
	v_accvgpr_read_b32 v22, a0
	v_pk_add_f32 v[18:19], v[18:19], v[22:23] neg_lo:[0,1] neg_hi:[0,1]
	s_waitcnt vmcnt(1)
	v_lshlrev_b32_e32 v23, 16, v157
	s_waitcnt vmcnt(0)
	v_lshlrev_b32_e32 v22, 16, v158
	v_pk_add_f32 v[22:23], v[22:23], v[24:25] neg_lo:[0,1] neg_hi:[0,1]
	v_pk_mul_f32 v[18:19], v[26:27], v[18:19]
	v_pk_mul_f32 v[22:23], v[28:29], v[22:23]
	v_mov_b32_e32 v24, 0
	v_perm_b32 v23, v23, v22, s35
	v_perm_b32 v22, v19, v18, s35
	ds_write2_b64 v100, v[20:21], v[22:23] offset0:32 offset1:48
	v_mov_b32_e32 v18, 0
	v_mov_b32_e32 v19, 0
	;; [unrolled: 1-line block ×15, first 2 shown]
	s_cbranch_vccnz .LBB92_14
; %bb.13:                               ;   in Loop: Header=BB92_6 Depth=1
	s_and_b32 s25, s25, 0xffff
	s_mov_b32 s27, s23
	buffer_load_dwordx4 v[30:33], v133, s[24:27], 0 offen
	buffer_load_dwordx4 v[22:25], v133, s[24:27], s60 offen
	;; [unrolled: 1-line block ×4, first 2 shown]
	v_mov_b32_e32 v147, v94
	v_mov_b32_e32 v148, v93
.LBB92_14:                              ;   in Loop: Header=BB92_6 Depth=1
	s_waitcnt lgkmcnt(0)
	s_barrier
	ds_read_b64 v[42:43], v136
	ds_read2_b64 v[34:37], v129 offset1:16
	ds_read_b64 v[166:167], v137
	ds_read_b64 v[168:169], v138
	;; [unrolled: 1-line block ×3, first 2 shown]
	ds_read2_b64 v[38:41], v129 offset0:32 offset1:48
	ds_read2st64_b64 v[150:153], v129 offset0:4 offset1:8
	ds_read2st64_b64 v[154:157], v130 offset0:4 offset1:8
	ds_read2st64_b64 v[158:161], v131 offset0:4 offset1:8
	ds_read2st64_b64 v[162:165], v132 offset0:4 offset1:8
	s_waitcnt lgkmcnt(8)
	v_mfma_f32_16x16x16_bf16 a[0:3], v[42:43], v[34:35], 0
	s_add_i32 s3, s55, s68
	s_mul_hi_i32 s21, s3, s13
	s_mul_i32 s3, s3, s13
	v_mfma_f32_16x16x16_bf16 a[4:7], v[42:43], v[36:37], 0
	s_add_u32 s20, s3, s48
	s_addc_u32 s21, s21, s49
	s_add_i32 s3, s31, s62
	s_waitcnt lgkmcnt(4)
	v_mfma_f32_16x16x16_bf16 a[8:11], v[42:43], v[38:39], 0
	s_lshl_b64 s[20:21], s[20:21], 15
	s_mul_hi_i32 s25, s3, s13
	s_mul_i32 s3, s3, s13
	v_mfma_f32_16x16x16_bf16 a[12:15], v[42:43], v[40:41], 0
	ds_read_b64 v[42:43], v129 offset:6144
	ds_read_b64 v[178:179], v130 offset:6144
	;; [unrolled: 1-line block ×4, first 2 shown]
	s_add_u32 s24, s3, s48
	s_waitcnt lgkmcnt(7)
	v_mfma_f32_16x16x16_bf16 a[0:3], v[166:167], v[150:151], a[0:3]
	s_addc_u32 s25, s25, s49
	s_lshl_b64 s[24:25], s[24:25], 9
	s_add_u32 s24, s40, s24
	s_waitcnt lgkmcnt(6)
	v_mfma_f32_16x16x16_bf16 a[4:7], v[166:167], v[154:155], a[4:7]
	s_addc_u32 s25, s41, s25
	v_lshl_add_u64 v[188:189], v[84:85], 0, s[20:21]
	s_waitcnt lgkmcnt(5)
	v_mfma_f32_16x16x16_bf16 a[8:11], v[166:167], v[158:159], a[8:11]
	s_waitcnt lgkmcnt(4)
	v_mfma_f32_16x16x16_bf16 a[12:15], v[166:167], v[162:163], a[12:15]
	ds_read_b64 v[166:167], v141
	ds_read_b64 v[176:177], v142
	;; [unrolled: 1-line block ×3, first 2 shown]
	s_waitcnt lgkmcnt(2)
	v_mfma_f32_16x16x16_bf16 a[16:19], v[166:167], v[34:35], 0
	v_mfma_f32_16x16x16_bf16 a[20:23], v[166:167], v[36:37], 0
	global_load_dwordx4 v[34:37], v140, s[24:25]
	v_mfma_f32_16x16x16_bf16 a[24:27], v[166:167], v[38:39], 0
	v_mfma_f32_16x16x16_bf16 a[28:31], v[166:167], v[40:41], 0
	global_load_dwordx4 v[38:41], v47, s[24:25]
	v_mfma_f32_16x16x16_bf16 a[0:3], v[168:169], v[152:153], a[0:3]
	v_mfma_f32_16x16x16_bf16 a[4:7], v[168:169], v[156:157], a[4:7]
	;; [unrolled: 1-line block ×8, first 2 shown]
	ds_read2st64_b64 v[166:169], v127 offset1:8
	ds_read2st64_b64 v[170:173], v128 offset1:8
	ds_read_b64 v[186:187], v135 offset:40960
	s_waitcnt lgkmcnt(2)
	v_mov_b32_e32 v174, v166
	v_mfma_f32_16x16x16_bf16 a[16:19], v[176:177], v[150:151], a[16:19]
	v_mov_b32_e32 v175, v167
	v_mfma_f32_16x16x16_bf16 a[20:23], v[176:177], v[154:155], a[20:23]
	v_mfma_f32_16x16x16_bf16 a[24:27], v[176:177], v[158:159], a[24:27]
	;; [unrolled: 1-line block ×3, first 2 shown]
	v_add_co_u32_e32 v162, vcc, s37, v188
	s_waitcnt lgkmcnt(1)
	v_mov_b32_e32 v176, v170
	s_waitcnt lgkmcnt(0)
	v_mfma_f32_16x16x16_bf16 a[16:19], v[186:187], v[152:153], a[16:19]
	ds_read2st64_b64 v[150:153], v127 offset0:16 offset1:24
	v_addc_co_u32_e32 v163, vcc, 0, v189, vcc
	v_mfma_f32_16x16x16_bf16 a[20:23], v[186:187], v[156:157], a[20:23]
	ds_read2st64_b64 v[154:157], v128 offset0:16 offset1:24
	v_mov_b32_e32 v177, v171
	v_mov_b32_e32 v170, v168
	v_mfma_f32_16x16x16_bf16 a[32:35], v[186:187], v[160:161], a[24:27]
	v_mov_b32_e32 v171, v169
	s_waitcnt lgkmcnt(0)
	v_mov_b32_e32 v160, v154
	v_mov_b32_e32 v161, v155
	v_mfma_f32_16x16x16_bf16 a[36:39], v[186:187], v[164:165], a[28:31]
	v_mov_b32_e32 v154, v152
	v_mov_b32_e32 v155, v153
	;; [unrolled: 1-line block ×3, first 2 shown]
	v_mfma_f32_16x16x16_bf16 a[24:27], v[184:185], v[42:43], a[16:19]
	v_add_co_u32_e32 v42, vcc, s66, v188
	v_mov_b32_e32 v159, v151
	v_mfma_f32_16x16x16_bf16 a[28:31], v[184:185], v[178:179], a[20:23]
	v_addc_co_u32_e32 v43, vcc, 0, v189, vcc
	global_store_dwordx4 v[42:43], v[154:157], off
	v_mfma_f32_16x16x16_bf16 a[16:19], v[184:185], v[180:181], a[32:35]
	s_waitcnt vmcnt(2)
	v_mov_b32_e32 v44, v37
	v_mov_b32_e32 v43, v36
	v_mov_b32_e32 v42, v35
	v_mfma_f32_16x16x16_bf16 a[20:23], v[184:185], v[182:183], a[36:39]
	s_and_b64 vcc, exec, s[0:1]
	global_store_dwordx4 v[188:189], v[174:177], off
	global_store_dwordx4 v[162:163], v[170:173], off offset:-4096
	global_store_dwordx4 v[162:163], v[158:161], off
	s_cbranch_vccnz .LBB92_16
; %bb.15:                               ;   in Loop: Header=BB92_6 Depth=1
	v_lshrrev_b32_e32 v35, 3, v147
	v_and_b32_e32 v35, 6, v35
	v_xor_b32_e32 v36, v35, v148
	v_lshlrev_b32_e32 v36, 2, v36
	v_and_b32_e32 v37, 8, v147
	v_xor_b32_e32 v147, 0x440, v36
	v_cmp_eq_u32_e32 vcc, 0, v37
	v_perm_b32 v37, v22, v18, s63
	s_nop 0
	v_cndmask_b32_e32 v36, v147, v36, vcc
	v_lshl_or_b32 v35, v35, 10, v36
	v_perm_b32 v36, v30, v26, s63
	s_barrier
	ds_write2st64_b32 v35, v36, v37 offset0:128 offset1:160
	v_xor_b32_e32 v36, 8, v35
	v_perm_b32 v26, v30, v26, s64
	v_perm_b32 v18, v22, v18, s64
	v_add_u32_e32 v22, 0x80, v36
	ds_write2st64_b32 v22, v26, v18 offset0:128 offset1:160
	v_xor_b32_e32 v18, 16, v35
	v_perm_b32 v22, v31, v27, s63
	v_perm_b32 v26, v23, v19, s63
	ds_write2st64_b32 v18, v22, v26 offset0:129 offset1:161
	v_xor_b32_e32 v18, 24, v35
	v_perm_b32 v22, v31, v27, s64
	v_perm_b32 v19, v23, v19, s64
	v_add_u32_e32 v18, 0x80, v18
	ds_write2st64_b32 v18, v22, v19 offset0:129 offset1:161
	v_xor_b32_e32 v18, 32, v35
	v_perm_b32 v19, v32, v28, s63
	v_perm_b32 v22, v24, v20, s63
	;; [unrolled: 9-line block ×3, first 2 shown]
	ds_write2st64_b32 v18, v19, v20 offset0:131 offset1:163
	v_xor_b32_e32 v18, 56, v35
	v_perm_b32 v19, v33, v29, s64
	v_perm_b32 v20, v25, v21, s64
	v_add_u32_e32 v18, 0x80, v18
	ds_write2st64_b32 v18, v19, v20 offset0:131 offset1:163
	ds_write_b64 v146, v[14:15] offset:49152
	v_xor_b32_e32 v14, 8, v146
	ds_write_b64 v14, v[16:17] offset:49152
	ds_write_b64 v146, v[10:11] offset:57344
	;; [unrolled: 1-line block ×4, first 2 shown]
	v_xor_b32_e32 v6, 8, v145
	ds_write_b64 v6, v[8:9] offset:49152
	ds_write_b64 v145, v[2:3] offset:57344
	;; [unrolled: 1-line block ×3, first 2 shown]
.LBB92_16:                              ;   in Loop: Header=BB92_6 Depth=1
	v_mul_f32_e32 v26, s2, v144
	v_exp_f32_e32 v36, v26
	s_waitcnt vmcnt(4)
	v_mul_f32_e32 v26, 0x3fb8aa3b, v38
	v_exp_f32_e32 v38, v26
	v_mul_f32_e32 v26, 0x3fb8aa3b, v39
	v_exp_f32_e32 v39, v26
	v_mul_f32_e32 v26, 0x3fb8aa3b, v40
	v_exp_f32_e32 v40, v26
	v_mul_f32_e32 v26, 0x3fb8aa3b, v41
	v_exp_f32_e32 v41, v26
	v_accvgpr_read_b32 v5, a3
	v_accvgpr_read_b32 v4, a2
	;; [unrolled: 1-line block ×4, first 2 shown]
	v_pk_mul_f32 v[38:39], v[36:37], v[38:39] op_sel_hi:[0,1]
	v_pk_mul_f32 v[40:41], v[36:37], v[40:41] op_sel_hi:[0,1]
	v_pk_fma_f32 v[74:75], v[74:75], v[38:39], v[2:3]
	v_pk_fma_f32 v[78:79], v[78:79], v[40:41], v[4:5]
	v_mul_f32_e32 v2, 0x3fb8aa3b, v34
	v_mul_f32_e32 v3, 0x3fb8aa3b, v42
	;; [unrolled: 1-line block ×4, first 2 shown]
	v_exp_f32_e32 v2, v2
	v_exp_f32_e32 v3, v3
	;; [unrolled: 1-line block ×4, first 2 shown]
	v_accvgpr_read_b32 v9, a7
	v_accvgpr_read_b32 v13, a11
	;; [unrolled: 1-line block ×28, first 2 shown]
	v_pk_mul_f32 v[2:3], v[36:37], v[2:3] op_sel_hi:[0,1]
	v_pk_mul_f32 v[4:5], v[36:37], v[4:5] op_sel_hi:[0,1]
	s_add_i32 s62, s62, 64
	v_pk_fma_f32 v[66:67], v[38:39], v[66:67], v[6:7]
	v_pk_fma_f32 v[70:71], v[40:41], v[70:71], v[8:9]
	v_pk_fma_f32 v[58:59], v[38:39], v[58:59], v[10:11]
	v_pk_fma_f32 v[62:63], v[40:41], v[62:63], v[12:13]
	v_pk_fma_f32 v[50:51], v[38:39], v[50:51], v[14:15]
	v_pk_fma_f32 v[54:55], v[40:41], v[54:55], v[16:17]
	v_pk_fma_f32 v[72:73], v[72:73], v[2:3], v[18:19]
	v_pk_fma_f32 v[76:77], v[76:77], v[4:5], v[20:21]
	v_pk_fma_f32 v[64:65], v[2:3], v[64:65], v[22:23]
	v_pk_fma_f32 v[68:69], v[4:5], v[68:69], v[24:25]
	v_pk_fma_f32 v[56:57], v[2:3], v[56:57], v[26:27]
	v_pk_fma_f32 v[60:61], v[4:5], v[60:61], v[28:29]
	v_pk_fma_f32 v[48:49], v[2:3], v[48:49], v[30:31]
	s_cmp_eq_u32 s52, s67
	v_pk_fma_f32 v[52:53], v[4:5], v[52:53], v[32:33]
	s_cbranch_scc1 .LBB92_18
; %bb.17:                               ;   in Loop: Header=BB92_6 Depth=1
	s_mov_b32 s68, s67
	s_branch .LBB92_6
.LBB92_18:
	s_lshl_b32 s26, s52, 6
	s_sub_i32 s27, s12, s26
	s_cmp_gt_i32 s27, 0
	s_cbranch_scc0 .LBB92_99
; %bb.19:
	s_ashr_i32 s2, s26, 31
	s_cmpk_lg_i32 s15, 0x80
	s_cselect_b64 s[22:23], -1, 0
	s_and_b64 vcc, exec, s[22:23]
	s_cbranch_vccz .LBB92_21
; %bb.20:
	s_mul_i32 s1, s51, s12
	s_mul_hi_i32 s0, s51, s12
	s_add_u32 s1, s1, s26
	s_addc_u32 s0, s0, s2
	s_mul_i32 s3, s1, s53
	s_mul_hi_u32 s17, s1, s14
	s_add_i32 s3, s17, s3
	s_mul_i32 s0, s0, s14
	s_add_i32 s3, s3, s0
	s_mul_i32 s1, s1, s14
	s_ashr_i32 s0, s54, 31
	s_add_u32 s24, s1, s54
	s_addc_u32 s25, s3, s0
	s_cbranch_execz .LBB92_22
	s_branch .LBB92_23
.LBB92_21:
                                        ; implicit-def: $sgpr24_sgpr25
.LBB92_22:
	s_mul_hi_i32 s0, s51, s14
	s_mul_i32 s51, s51, s14
	s_ashr_i32 s1, s54, 31
	s_add_u32 s3, s51, s54
	s_addc_u32 s0, s0, s1
	s_mul_i32 s1, s3, s50
	s_mul_hi_u32 s14, s3, s12
	s_add_i32 s1, s14, s1
	s_mul_i32 s0, s0, s12
	s_add_i32 s1, s1, s0
	s_mul_i32 s3, s3, s12
	s_add_u32 s24, s3, s26
	s_addc_u32 s25, s1, s2
.LBB92_23:
	s_mul_i32 s0, s38, s50
	s_add_i32 s0, s57, s0
	s_add_i32 s3, s55, s52
	;; [unrolled: 1-line block ×3, first 2 shown]
	s_add_u32 s0, s16, s26
	v_lshlrev_b32_e32 v6, 6, v91
	v_lshlrev_b32_e32 v24, 2, v88
	s_addc_u32 s1, s1, s2
	s_mov_b32 s2, 0x7060302
	v_or_b32_e32 v9, v6, v24
	v_xor_b32_e32 v7, v91, v24
	v_perm_b32 v3, v79, v78, s2
	v_perm_b32 v2, v75, v74, s2
	;; [unrolled: 1-line block ×4, first 2 shown]
	v_lshlrev_b32_e32 v9, 1, v9
	v_xor_b32_e32 v8, v92, v24
	ds_write2st64_b64 v9, v[2:3], v[4:5] offset0:32 offset1:48
	v_lshlrev_b32_e32 v7, 1, v7
	v_lshlrev_b32_e32 v9, 8, v88
	v_or_b32_e32 v10, v7, v9
	v_lshlrev_b32_e32 v8, 1, v8
	ds_write_b64 v10, v[2:3]
	v_or_b32_e32 v2, v8, v9
	v_or_b32_e32 v9, 16, v88
	v_lshlrev_b32_e32 v23, 2, v9
	v_or_b32_e32 v10, v6, v23
	ds_write_b64 v2, v[4:5]
	v_perm_b32 v3, v71, v70, s2
	v_perm_b32 v2, v67, v66, s2
	;; [unrolled: 1-line block ×4, first 2 shown]
	v_lshlrev_b32_e32 v10, 1, v10
	v_lshlrev_b32_e32 v9, 8, v9
	ds_write2st64_b64 v10, v[2:3], v[4:5] offset0:32 offset1:48
	v_or_b32_e32 v10, v7, v9
	ds_write_b64 v10, v[2:3]
	v_or_b32_e32 v2, v8, v9
	v_or_b32_e32 v9, 32, v88
	v_lshlrev_b32_e32 v22, 2, v9
	v_or_b32_e32 v10, v6, v22
	s_lshl_b64 s[20:21], s[0:1], 8
	ds_write_b64 v2, v[4:5]
	v_perm_b32 v3, v63, v62, s2
	v_perm_b32 v2, v59, v58, s2
	;; [unrolled: 1-line block ×4, first 2 shown]
	v_lshlrev_b32_e32 v10, 1, v10
	v_lshlrev_b32_e32 v9, 8, v9
	s_add_u32 s0, s6, s20
	ds_write2st64_b64 v10, v[2:3], v[4:5] offset0:32 offset1:48
	v_or_b32_e32 v10, v7, v9
	s_addc_u32 s1, s7, s21
	ds_write_b64 v10, v[2:3]
	v_or_b32_e32 v2, v8, v9
	v_or_b32_e32 v9, 48, v88
	s_mul_hi_i32 s6, s3, s13
	s_mul_i32 s3, s3, s13
	ds_write_b64 v2, v[4:5]
	v_perm_b32 v3, v55, v54, s2
	v_perm_b32 v2, v51, v50, s2
	;; [unrolled: 1-line block ×4, first 2 shown]
	v_lshlrev_b32_e32 v19, 2, v9
	s_add_u32 s2, s3, s48
	v_or_b32_e32 v6, v6, v19
	s_addc_u32 s3, s6, s49
	v_lshlrev_b32_e32 v6, 1, v6
	s_ashr_i32 s37, s36, 31
	s_lshl_b64 s[2:3], s[2:3], 15
	ds_write2st64_b64 v6, v[2:3], v[4:5] offset0:32 offset1:48
	v_lshlrev_b32_e32 v6, 8, v9
	s_add_u32 s6, s18, s2
	v_or_b32_e32 v7, v7, v6
	s_addc_u32 s7, s19, s3
	s_lshl_b64 s[2:3], s[36:37], 8
	ds_write_b64 v7, v[2:3]
	v_or_b32_e32 v2, v8, v6
	s_add_u32 s2, s6, s2
	v_lshlrev_b32_e32 v3, 1, v88
	ds_write_b64 v2, v[4:5]
	v_lshrrev_b32_e32 v2, 4, v0
	s_addc_u32 s3, s7, s3
	v_or_b32_e32 v4, 1, v3
	v_lshlrev_b32_e32 v10, 4, v88
	v_mov_b32_e32 v11, 0
	v_xor_b32_e32 v3, v2, v3
	v_xor_b32_e32 v6, v4, v2
	v_lshl_add_u64 v[12:13], s[2:3], 0, v[10:11]
	v_lshlrev_b32_e32 v10, 8, v2
	v_lshl_or_b32 v16, v3, 3, v10
	v_lshl_or_b32 v17, v6, 3, v10
	s_waitcnt lgkmcnt(0)
	s_barrier
	ds_read2st64_b64 v[2:5], v16 offset1:8
	ds_read2st64_b64 v[6:9], v17 offset1:8
	v_lshl_add_u64 v[14:15], v[12:13], 0, v[10:11]
	s_movk_i32 s2, 0x2000
	s_cmp_lg_u32 s27, 64
	s_waitcnt lgkmcnt(1)
	v_mov_b32_e32 v10, v2
	v_mov_b32_e32 v11, v3
	s_waitcnt lgkmcnt(0)
	v_mov_b32_e32 v12, v6
	v_mov_b32_e32 v13, v7
	global_store_dwordx4 v[14:15], v[10:13], off
	v_mov_b32_e32 v6, v4
	v_mov_b32_e32 v7, v5
	ds_read2st64_b64 v[2:5], v16 offset0:16 offset1:24
	ds_read2st64_b64 v[10:13], v17 offset0:16 offset1:24
	v_add_co_u32_e32 v16, vcc, s2, v14
	s_cselect_b64 s[6:7], -1, 0
	s_nop 0
	v_addc_co_u32_e32 v17, vcc, 0, v15, vcc
	global_store_dwordx4 v[16:17], v[6:9], off offset:-4096
	v_lshl_or_b32 v25, v86, 3, v90
	s_mov_b32 s16, 0
	s_waitcnt lgkmcnt(1)
	v_mov_b32_e32 v6, v2
	v_add_co_u32_e32 v2, vcc, 0x3000, v14
	v_mov_b32_e32 v7, v3
	s_nop 0
	v_addc_co_u32_e32 v3, vcc, 0, v15, vcc
	s_waitcnt lgkmcnt(0)
	v_mov_b32_e32 v8, v10
	v_mov_b32_e32 v9, v11
	;; [unrolled: 1-line block ×4, first 2 shown]
	v_or_b32_e32 v20, 32, v25
	v_and_b32_e32 v18, 56, v89
	s_and_b64 vcc, exec, s[6:7]
	global_store_dwordx4 v[16:17], v[6:9], off
	global_store_dwordx4 v[2:3], v[10:13], off
	s_cbranch_vccz .LBB92_29
; %bb.24:
	s_mov_b32 s17, s16
	s_mov_b32 s18, s16
	;; [unrolled: 1-line block ×3, first 2 shown]
	v_mov_b64_e32 v[6:7], s[16:17]
	v_mov_b64_e32 v[8:9], s[18:19]
	;; [unrolled: 1-line block ×3, first 2 shown]
	v_cmp_gt_i32_e32 vcc, s27, v25
	v_mov_b64_e32 v[4:5], v[8:9]
	s_and_saveexec_b64 s[2:3], vcc
	s_cbranch_execz .LBB92_26
; %bb.25:
	v_lshlrev_b32_e32 v2, 8, v25
	v_mov_b32_e32 v3, 0
	v_lshl_add_u64 v[4:5], s[0:1], 0, v[2:3]
	v_lshlrev_b32_e32 v2, 1, v18
	v_lshl_add_u64 v[10:11], v[4:5], 0, v[2:3]
	global_load_dwordx4 v[6:9], v[10:11], off
	global_load_dwordx4 v[2:5], v[10:11], off offset:128
.LBB92_26:
	s_or_b64 exec, exec, s[2:3]
	s_mov_b32 s17, s16
	s_mov_b32 s18, s16
	;; [unrolled: 1-line block ×3, first 2 shown]
	v_mov_b64_e32 v[14:15], s[16:17]
	v_mov_b64_e32 v[16:17], s[18:19]
	v_mov_b64_e32 v[10:11], v[14:15]
	v_cmp_gt_i32_e32 vcc, s27, v20
	v_lshlrev_b32_e32 v21, 7, v20
	v_mov_b64_e32 v[12:13], v[16:17]
	s_and_saveexec_b64 s[2:3], vcc
	s_cbranch_execz .LBB92_28
; %bb.27:
	v_lshlrev_b32_e32 v10, 1, v21
	v_mov_b32_e32 v11, 0
	v_lshl_add_u64 v[12:13], s[0:1], 0, v[10:11]
	v_lshlrev_b32_e32 v10, 1, v18
	v_lshl_add_u64 v[26:27], v[12:13], 0, v[10:11]
	global_load_dwordx4 v[14:17], v[26:27], off
	global_load_dwordx4 v[10:13], v[26:27], off offset:128
.LBB92_28:
	s_or_b64 exec, exec, s[2:3]
	v_lshrrev_b32_e32 v26, 3, v18
	v_lshlrev_b32_e32 v27, 3, v25
	v_or_b32_e32 v26, v27, v26
	v_lshlrev_b32_e32 v26, 4, v26
	v_and_b32_e32 v27, 0x78, v27
	v_xor_b32_e32 v26, v26, v27
	s_branch .LBB92_31
.LBB92_29:
                                        ; implicit-def: $vgpr26
                                        ; implicit-def: $vgpr21
                                        ; implicit-def: $vgpr6_vgpr7_vgpr8_vgpr9
                                        ; implicit-def: $vgpr2_vgpr3_vgpr4_vgpr5
                                        ; implicit-def: $vgpr14_vgpr15_vgpr16_vgpr17
                                        ; implicit-def: $vgpr10_vgpr11_vgpr12_vgpr13
	s_cbranch_execz .LBB92_31
; %bb.30:
	s_waitcnt vmcnt(0)
	v_lshlrev_b32_e32 v2, 1, v18
	v_lshl_or_b32 v21, v25, 8, v2
	s_and_b32 s1, s1, 0xffff
	s_mov_b32 s3, 0x20000
	s_movk_i32 s2, 0x4000
	v_lshl_or_b32 v26, v20, 8, v2
	s_movk_i32 s13, 0x80
	buffer_load_dwordx4 v[6:9], v21, s[0:3], 0 offen
	buffer_load_dwordx4 v[2:5], v21, s[0:3], s13 offen
	;; [unrolled: 1-line block ×4, first 2 shown]
	v_lshrrev_b32_e32 v21, 3, v18
	v_lshlrev_b32_e32 v26, 3, v25
	v_or_b32_e32 v21, v26, v21
	v_lshlrev_b32_e32 v21, 4, v21
	v_and_b32_e32 v26, 0x78, v26
	v_xor_b32_e32 v26, v21, v26
	v_lshlrev_b32_e32 v21, 7, v20
.LBB92_31:
	s_movk_i32 s0, 0x1000
	v_and_or_b32 v20, v21, s0, v26
	s_waitcnt vmcnt(1)
	ds_write_b64 v26, v[6:7] offset:49152
	v_xor_b32_e32 v6, 8, v26
	ds_write_b64 v6, v[8:9] offset:49152
	s_waitcnt vmcnt(0)
	ds_write_b64 v26, v[2:3] offset:57344
	ds_write_b64 v6, v[4:5] offset:57344
	ds_write_b64 v20, v[14:15] offset:49152
	v_xor_b32_e32 v2, 8, v20
	ds_write_b64 v2, v[16:17] offset:49152
	ds_write_b64 v20, v[10:11] offset:57344
	;; [unrolled: 1-line block ×3, first 2 shown]
	v_or_b32_e32 v2, v1, v88
	v_lshlrev_b32_e32 v3, 11, v86
	v_lshlrev_b32_e32 v2, 3, v2
	v_and_b32_e32 v6, 0x1000, v3
	v_lshrrev_b32_e32 v3, 5, v45
	s_movk_i32 s0, 0xf8
	v_and_or_b32 v3, v2, s0, v3
	v_lshlrev_b32_e32 v7, 4, v3
	v_and_b32_e32 v8, 0x78, v2
	v_or_b32_e32 v10, 32, v7
	v_lshrrev_b32_e32 v3, 1, v45
	v_xor_b32_e32 v10, v10, v8
	v_xor_b32_e32 v2, v7, v8
	v_and_b32_e32 v9, 8, v3
	v_or_b32_e32 v10, v10, v6
	v_or_b32_e32 v2, v2, v6
	v_xor_b32_e32 v28, v10, v9
	v_or_b32_e32 v10, 64, v7
	v_xor_b32_e32 v27, v2, v9
	v_xor_b32_e32 v10, v10, v8
	s_waitcnt lgkmcnt(0)
	s_barrier
	v_or_b32_e32 v13, v10, v6
	ds_read_b64 v[10:11], v27 offset:49152
	v_lshl_or_b32 v14, v87, 8, v24
	v_lshlrev_b32_e32 v26, 1, v14
	v_add_u32_e32 v12, 0x4000, v26
	ds_read2_b64 v[2:5], v12 offset1:16
	v_or_b32_e32 v7, 0x60, v7
	v_xor_b32_e32 v7, v7, v8
	v_or_b32_e32 v6, v7, v6
	v_xor_b32_e32 v29, v13, v9
	v_xor_b32_e32 v30, v6, v9
	ds_read_b64 v[20:21], v28 offset:49152
	ds_read_b64 v[34:35], v29 offset:49152
	;; [unrolled: 1-line block ×3, first 2 shown]
	s_waitcnt lgkmcnt(3)
	v_mfma_f32_16x16x16_bf16 a[0:3], v[10:11], v[2:3], 0
	ds_read2st64_b64 v[6:9], v26 offset0:36 offset1:40
	s_lshl_b64 s[0:1], s[24:25], 8
	s_add_u32 s4, s4, s0
	v_mfma_f32_16x16x16_bf16 a[4:7], v[10:11], v[4:5], 0
	ds_read2_b64 v[2:5], v12 offset0:32 offset1:48
	s_addc_u32 s5, s5, s1
	s_add_i32 s1, s44, s33
	s_waitcnt lgkmcnt(0)
	v_mfma_f32_16x16x16_bf16 a[8:11], v[10:11], v[2:3], 0
	v_or_b32_e32 v2, 64, v14
	v_lshlrev_b32_e32 v31, 1, v2
	s_add_i32 s0, s12, -1
	v_mfma_f32_16x16x16_bf16 a[12:15], v[10:11], v[4:5], 0
	ds_read2st64_b64 v[2:5], v31 offset0:36 offset1:40
	s_add_i32 s35, s1, s39
	s_add_i32 s1, s46, s45
	v_mfma_f32_16x16x16_bf16 a[0:3], v[20:21], v[6:7], a[0:3]
	v_or_b32_e32 v6, 0x80, v14
	v_lshlrev_b32_e32 v32, 1, v6
	ds_read2st64_b64 v[10:13], v32 offset0:36 offset1:40
	s_waitcnt lgkmcnt(1)
	v_mfma_f32_16x16x16_bf16 a[4:7], v[20:21], v[2:3], a[4:7]
	v_or_b32_e32 v2, 0xc0, v14
	v_lshlrev_b32_e32 v33, 1, v2
	ds_read2st64_b64 v[14:17], v33 offset0:36 offset1:40
	s_add_i32 s31, s1, s47
	s_ashr_i32 s1, s0, 31
	s_mul_i32 s2, s0, s29
	s_mul_hi_u32 s3, s0, s28
	s_add_i32 s2, s3, s2
	s_mul_i32 s1, s1, s28
	s_waitcnt lgkmcnt(1)
	v_mfma_f32_16x16x16_bf16 a[8:11], v[20:21], v[10:11], a[8:11]
	s_add_i32 s1, s2, s1
	s_lshl_b64 s[2:3], s[34:35], 2
	s_add_u32 s10, s10, s2
	s_waitcnt lgkmcnt(0)
	v_mfma_f32_16x16x16_bf16 a[12:15], v[20:21], v[14:15], a[12:15]
	s_addc_u32 s11, s11, s3
	s_lshl_b64 s[2:3], s[30:31], 2
	s_mul_i32 s0, s0, s28
	v_mfma_f32_16x16x16_bf16 a[0:3], v[34:35], v[8:9], a[0:3]
	ds_read_b64 v[2:3], v26 offset:22528
	s_add_u32 s10, s10, s2
	s_addc_u32 s11, s11, s3
	v_mfma_f32_16x16x16_bf16 a[4:7], v[34:35], v[4:5], a[4:7]
	ds_read_b64 v[4:5], v31 offset:22528
	ds_read_b64 v[6:7], v32 offset:22528
	;; [unrolled: 1-line block ×3, first 2 shown]
	s_lshl_b64 s[0:1], s[0:1], 2
	s_add_u32 s0, s10, s0
	v_mfma_f32_16x16x16_bf16 a[8:11], v[34:35], v[12:13], a[8:11]
	s_addc_u32 s1, s11, s1
	s_load_dword s12, s[0:1], 0x0
	s_and_b64 vcc, exec, s[22:23]
	v_mfma_f32_16x16x16_bf16 a[12:15], v[34:35], v[16:17], a[12:15]
	s_waitcnt lgkmcnt(0)
	v_mfma_f32_16x16x16_bf16 a[0:3], v[36:37], v[2:3], a[0:3]
	v_mfma_f32_16x16x16_bf16 a[4:7], v[36:37], v[4:5], a[4:7]
	;; [unrolled: 1-line block ×4, first 2 shown]
	s_cbranch_vccz .LBB92_42
; %bb.32:
	v_lshlrev_b32_e32 v20, 1, v25
	s_and_b64 vcc, exec, s[6:7]
	s_cbranch_vccz .LBB92_43
; %bb.33:
	v_cmp_gt_i32_e32 vcc, s27, v20
	v_mov_b32_e32 v6, 0
	v_mov_b32_e32 v2, 0
	;; [unrolled: 1-line block ×5, first 2 shown]
	s_and_saveexec_b64 s[0:1], vcc
	s_cbranch_execz .LBB92_35
; %bb.34:
	v_mad_i64_i32 v[2:3], s[2:3], s15, v20, 0
	v_lshl_add_u64 v[2:3], v[2:3], 1, s[4:5]
	v_lshlrev_b32_e32 v4, 1, v18
	v_mov_b32_e32 v5, 0
	v_lshl_add_u64 v[2:3], v[2:3], 0, v[4:5]
	global_load_dwordx4 v[2:5], v[2:3], off
.LBB92_35:
	s_or_b64 exec, exec, s[0:1]
	v_or_b32_e32 v21, 1, v20
	v_cmp_gt_i32_e64 s[0:1], s27, v21
	v_mov_b32_e32 v7, 0
	v_mov_b32_e32 v8, 0
	;; [unrolled: 1-line block ×3, first 2 shown]
	s_and_saveexec_b64 s[2:3], s[0:1]
	s_cbranch_execz .LBB92_37
; %bb.36:
	v_mad_i64_i32 v[6:7], s[16:17], s15, v21, 0
	v_lshl_add_u64 v[6:7], v[6:7], 1, s[4:5]
	v_lshlrev_b32_e32 v8, 1, v18
	v_mov_b32_e32 v9, 0
	v_lshl_add_u64 v[6:7], v[6:7], 0, v[8:9]
	global_load_dwordx4 v[6:9], v[6:7], off
.LBB92_37:
	s_or_b64 exec, exec, s[2:3]
	v_mov_b32_e32 v17, 0
	v_mov_b32_e32 v10, 0
	;; [unrolled: 1-line block ×5, first 2 shown]
	s_and_saveexec_b64 s[2:3], vcc
	s_cbranch_execz .LBB92_39
; %bb.38:
	v_mad_i64_i32 v[10:11], s[16:17], s15, v20, 0
	v_lshl_add_u64 v[10:11], v[10:11], 1, s[4:5]
	v_lshlrev_b32_e32 v12, 1, v18
	v_mov_b32_e32 v13, 0
	v_lshl_add_u64 v[10:11], v[10:11], 0, v[12:13]
	global_load_dwordx4 v[10:13], v[10:11], off offset:128
.LBB92_39:
	s_or_b64 exec, exec, s[2:3]
	v_mov_b32_e32 v16, 0
	v_mov_b32_e32 v15, 0
	;; [unrolled: 1-line block ×3, first 2 shown]
	s_and_saveexec_b64 s[2:3], s[0:1]
	s_cbranch_execz .LBB92_41
; %bb.40:
	v_mad_i64_i32 v[14:15], s[0:1], s15, v21, 0
	v_lshl_add_u64 v[14:15], v[14:15], 1, s[4:5]
	v_lshlrev_b32_e32 v16, 1, v18
	v_mov_b32_e32 v17, 0
	v_lshl_add_u64 v[14:15], v[14:15], 0, v[16:17]
	global_load_dwordx4 v[14:17], v[14:15], off offset:128
.LBB92_41:
	s_or_b64 exec, exec, s[2:3]
	s_branch .LBB92_45
.LBB92_42:
                                        ; implicit-def: $vgpr5
                                        ; implicit-def: $vgpr9
                                        ; implicit-def: $vgpr13
                                        ; implicit-def: $vgpr17
	v_lshrrev_b32_e32 v34, 2, v45
	s_branch .LBB92_46
.LBB92_43:
                                        ; implicit-def: $vgpr5
                                        ; implicit-def: $vgpr9
                                        ; implicit-def: $vgpr13
                                        ; implicit-def: $vgpr17
	s_cbranch_execz .LBB92_45
; %bb.44:
	s_waitcnt vmcnt(0)
	v_mad_u64_u32 v[2:3], s[0:1], v20, s15, v[18:19]
	v_lshlrev_b32_e32 v20, 1, v2
	s_lshl_b32 s2, s15, 7
	s_and_b32 s1, s5, 0xffff
	s_mov_b32 s3, 0x20000
	s_mov_b32 s0, s4
	v_add_lshl_u32 v21, v2, s15, 1
	s_movk_i32 s13, 0x80
	buffer_load_dwordx4 v[2:5], v20, s[0:3], 0 offen
	buffer_load_dwordx4 v[10:13], v20, s[0:3], s13 offen
	;; [unrolled: 1-line block ×4, first 2 shown]
.LBB92_45:
	v_lshrrev_b32_e32 v34, 2, v45
	s_cbranch_execnz .LBB92_58
.LBB92_46:
	s_and_b64 vcc, exec, s[6:7]
	s_cbranch_vccz .LBB92_56
; %bb.47:
	s_waitcnt vmcnt(0)
	v_lshlrev_b32_e32 v7, 1, v25
	v_cmp_gt_i32_e32 vcc, s27, v7
	v_mov_b32_e32 v6, 0
	v_lshlrev_b32_e32 v14, 9, v25
	v_mov_b32_e32 v2, 0
	v_mov_b32_e32 v3, 0
	;; [unrolled: 1-line block ×4, first 2 shown]
	s_and_saveexec_b64 s[0:1], vcc
	s_cbranch_execz .LBB92_49
; %bb.48:
	v_mov_b32_e32 v15, 0
	v_lshl_add_u64 v[2:3], s[4:5], 0, v[14:15]
	v_lshlrev_b32_e32 v4, 1, v18
	v_mov_b32_e32 v5, v15
	v_lshl_add_u64 v[2:3], v[2:3], 0, v[4:5]
	global_load_dwordx4 v[2:5], v[2:3], off
.LBB92_49:
	s_or_b64 exec, exec, s[0:1]
	v_or_b32_e32 v7, 1, v7
	v_cmp_gt_i32_e64 s[0:1], s27, v7
	v_lshlrev_b32_e32 v20, 8, v7
	v_mov_b32_e32 v7, 0
	v_mov_b32_e32 v8, 0
	;; [unrolled: 1-line block ×3, first 2 shown]
	s_and_saveexec_b64 s[2:3], s[0:1]
	s_cbranch_execz .LBB92_51
; %bb.50:
	v_mov_b32_e32 v21, 0
	v_lshl_add_u64 v[6:7], s[4:5], 0, v[20:21]
	v_lshlrev_b32_e32 v8, 1, v18
	v_mov_b32_e32 v9, v21
	v_lshl_add_u64 v[6:7], v[6:7], 0, v[8:9]
	global_load_dwordx4 v[6:9], v[6:7], off
.LBB92_51:
	s_or_b64 exec, exec, s[2:3]
	v_mov_b32_e32 v17, 0
	v_mov_b32_e32 v10, 0
	;; [unrolled: 1-line block ×5, first 2 shown]
	s_and_saveexec_b64 s[2:3], vcc
	s_cbranch_execz .LBB92_53
; %bb.52:
	v_mov_b32_e32 v15, 0
	v_lshl_add_u64 v[10:11], s[4:5], 0, v[14:15]
	v_lshlrev_b32_e32 v14, 1, v18
	v_lshl_add_u64 v[10:11], v[10:11], 0, v[14:15]
	global_load_dwordx4 v[10:13], v[10:11], off offset:128
.LBB92_53:
	s_or_b64 exec, exec, s[2:3]
	v_mov_b32_e32 v16, 0
	v_mov_b32_e32 v15, 0
	;; [unrolled: 1-line block ×3, first 2 shown]
	s_and_saveexec_b64 s[2:3], s[0:1]
	s_cbranch_execz .LBB92_55
; %bb.54:
	v_mov_b32_e32 v21, 0
	v_lshl_add_u64 v[14:15], s[4:5], 0, v[20:21]
	v_lshlrev_b32_e32 v20, 1, v18
	v_lshl_add_u64 v[14:15], v[14:15], 0, v[20:21]
	global_load_dwordx4 v[14:17], v[14:15], off offset:128
.LBB92_55:
	s_or_b64 exec, exec, s[2:3]
	s_branch .LBB92_58
.LBB92_56:
                                        ; implicit-def: $vgpr5
                                        ; implicit-def: $vgpr9
                                        ; implicit-def: $vgpr13
                                        ; implicit-def: $vgpr17
	s_cbranch_execz .LBB92_58
; %bb.57:
	s_waitcnt vmcnt(0)
	v_lshlrev_b32_e32 v2, 1, v18
	v_lshl_or_b32 v18, v25, 9, v2
	s_and_b32 s5, s5, 0xffff
	s_mov_b32 s7, 0x20000
	s_movk_i32 s6, 0x4000
	s_movk_i32 s0, 0x80
	buffer_load_dwordx4 v[2:5], v18, s[4:7], 0 offen
	buffer_load_dwordx4 v[6:9], v18, s[4:7], 0 offen offset:256
	buffer_load_dwordx4 v[10:13], v18, s[4:7], s0 offen
	buffer_load_dwordx4 v[14:17], v18, s[4:7], s0 offen offset:256
.LBB92_58:
	ds_read_b64 v[20:21], v27 offset:57344
	v_add_u32_e32 v18, 0x6000, v26
	ds_read2_b64 v[36:39], v18 offset1:16
	ds_read_b64 v[44:45], v28 offset:57344
	ds_read_b64 v[28:29], v29 offset:57344
	;; [unrolled: 1-line block ×3, first 2 shown]
	ds_read2st64_b64 v[40:43], v26 offset0:52 offset1:56
	s_mov_b32 s0, 0x1000504
	s_mov_b32 s1, 0x3020706
	s_waitcnt lgkmcnt(4)
	v_mfma_f32_16x16x16_bf16 a[0:3], v[20:21], v[36:37], a[0:3]
	v_mfma_f32_16x16x16_bf16 a[4:7], v[20:21], v[38:39], a[4:7]
	ds_read2_b64 v[36:39], v18 offset0:32 offset1:48
	v_and_b32_e32 v18, 6, v0
	v_xor_b32_e32 v25, v25, v18
	s_waitcnt lgkmcnt(0)
	v_mfma_f32_16x16x16_bf16 a[8:11], v[20:21], v[36:37], a[8:11]
	v_lshlrev_b32_e32 v25, 2, v25
	v_and_b32_e32 v0, 1, v0
	v_xor_b32_e32 v35, 0x440, v25
	v_mfma_f32_16x16x16_bf16 a[12:15], v[20:21], v[38:39], a[12:15]
	ds_read2st64_b64 v[36:39], v31 offset0:52 offset1:56
	ds_read2st64_b64 v[48:51], v32 offset0:52 offset1:56
	;; [unrolled: 1-line block ×3, first 2 shown]
	v_cmp_eq_u32_e32 vcc, 0, v0
	ds_read_b64 v[20:21], v26 offset:30720
	ds_read_b64 v[26:27], v31 offset:30720
	ds_read_b64 v[30:31], v32 offset:30720
	ds_read_b64 v[32:33], v33 offset:30720
	v_mfma_f32_16x16x16_bf16 a[0:3], v[44:45], v[40:41], a[0:3]
	v_cndmask_b32_e32 v0, v35, v25, vcc
	v_lshl_or_b32 v0, v18, 10, v0
	s_waitcnt vmcnt(0)
	v_perm_b32 v18, v2, v6, s0
	s_waitcnt lgkmcnt(6)
	v_mfma_f32_16x16x16_bf16 a[4:7], v[44:45], v[36:37], a[4:7]
	v_perm_b32 v25, v10, v14, s0
	ds_write2st64_b32 v0, v18, v25 offset0:128 offset1:160
	v_xor_b32_e32 v18, 8, v0
	s_waitcnt lgkmcnt(6)
	v_mfma_f32_16x16x16_bf16 a[8:11], v[44:45], v[48:49], a[8:11]
	v_perm_b32 v2, v2, v6, s1
	v_perm_b32 v6, v10, v14, s1
	v_add_u32_e32 v10, 0x80, v18
	s_waitcnt lgkmcnt(5)
	v_mfma_f32_16x16x16_bf16 a[12:15], v[44:45], v[52:53], a[12:15]
	ds_write2st64_b32 v10, v2, v6 offset0:128 offset1:160
	v_xor_b32_e32 v2, 16, v0
	v_perm_b32 v6, v3, v7, s0
	v_mfma_f32_16x16x16_bf16 a[0:3], v[28:29], v[42:43], a[0:3]
	v_perm_b32 v10, v11, v15, s0
	ds_write2st64_b32 v2, v6, v10 offset0:129 offset1:161
	v_xor_b32_e32 v2, 24, v0
	v_mfma_f32_16x16x16_bf16 a[4:7], v[28:29], v[38:39], a[4:7]
	v_perm_b32 v3, v3, v7, s1
	v_perm_b32 v6, v11, v15, s1
	v_add_u32_e32 v2, 0x80, v2
	v_mfma_f32_16x16x16_bf16 a[16:19], v[28:29], v[50:51], a[8:11]
	ds_write2st64_b32 v2, v3, v6 offset0:129 offset1:161
	v_xor_b32_e32 v2, 32, v0
	v_perm_b32 v3, v4, v8, s0
	v_mfma_f32_16x16x16_bf16 a[20:23], v[28:29], v[54:55], a[12:15]
	v_perm_b32 v6, v12, v16, s0
	ds_write2st64_b32 v2, v3, v6 offset0:130 offset1:162
	v_xor_b32_e32 v2, 40, v0
	s_waitcnt lgkmcnt(8)
	v_mfma_f32_16x16x16_bf16 a[12:15], v[56:57], v[20:21], a[0:3]
	v_perm_b32 v3, v4, v8, s1
	v_perm_b32 v4, v12, v16, s1
	v_add_u32_e32 v2, 0x80, v2
	s_waitcnt lgkmcnt(7)
	v_mfma_f32_16x16x16_bf16 a[8:11], v[56:57], v[26:27], a[4:7]
	ds_write2st64_b32 v2, v3, v4 offset0:130 offset1:162
	v_xor_b32_e32 v2, 48, v0
	v_perm_b32 v3, v5, v9, s0
	s_waitcnt lgkmcnt(7)
	v_mfma_f32_16x16x16_bf16 a[4:7], v[56:57], v[30:31], a[16:19]
	v_perm_b32 v4, v13, v17, s0
	v_xor_b32_e32 v0, 56, v0
	v_and_or_b32 v18, v34, 12, v1
	s_waitcnt lgkmcnt(6)
	v_mfma_f32_16x16x16_bf16 a[0:3], v[56:57], v[32:33], a[20:23]
	ds_write2st64_b32 v2, v3, v4 offset0:131 offset1:163
	v_perm_b32 v2, v5, v9, s1
	v_perm_b32 v3, v13, v17, s1
	v_add_u32_e32 v0, 0x80, v0
	v_cmp_gt_i32_e32 vcc, s27, v18
	v_mov_b32_e32 v14, 0
	v_mov_b32_e32 v16, 0
	ds_write2st64_b32 v0, v2, v3 offset0:131 offset1:163
	s_and_saveexec_b64 s[0:1], vcc
	s_cbranch_execz .LBB92_60
; %bb.59:
	v_add_u32_e32 v0, s26, v18
	v_ashrrev_i32_e32 v1, 31, v0
	v_mul_lo_u32 v2, v1, s28
	v_mul_lo_u32 v3, v0, s29
	v_mad_u64_u32 v[0:1], s[2:3], v0, s28, 0
	v_add3_u32 v1, v1, v3, v2
	v_lshl_add_u64 v[0:1], v[0:1], 2, s[10:11]
	global_load_dword v0, v[0:1], off
	s_waitcnt vmcnt(0)
	v_sub_f32_e32 v0, s12, v0
	v_mul_f32_e32 v0, 0x3fb8aa3b, v0
	v_exp_f32_e32 v16, v0
.LBB92_60:
	s_or_b64 exec, exec, s[0:1]
	v_or_b32_e32 v8, 1, v18
	v_cmp_gt_i32_e64 s[0:1], s27, v8
	s_and_saveexec_b64 s[2:3], s[0:1]
	s_cbranch_execz .LBB92_62
; %bb.61:
	v_add_u32_e32 v0, s26, v8
	v_ashrrev_i32_e32 v1, 31, v0
	v_mul_lo_u32 v2, v1, s28
	v_mul_lo_u32 v3, v0, s29
	v_mad_u64_u32 v[0:1], s[4:5], v0, s28, 0
	v_add3_u32 v1, v1, v3, v2
	v_lshl_add_u64 v[0:1], v[0:1], 2, s[10:11]
	global_load_dword v0, v[0:1], off
	s_waitcnt vmcnt(0)
	v_sub_f32_e32 v0, s12, v0
	v_mul_f32_e32 v0, 0x3fb8aa3b, v0
	v_exp_f32_e32 v14, v0
.LBB92_62:
	s_or_b64 exec, exec, s[2:3]
	v_or_b32_e32 v10, 2, v18
	v_cmp_gt_i32_e64 s[2:3], s27, v10
	v_mov_b32_e32 v15, 0
	v_mov_b32_e32 v17, 0
	s_and_saveexec_b64 s[4:5], s[2:3]
	s_cbranch_execz .LBB92_64
; %bb.63:
	v_add_u32_e32 v0, s26, v10
	v_ashrrev_i32_e32 v1, 31, v0
	v_mul_lo_u32 v2, v1, s28
	v_mul_lo_u32 v3, v0, s29
	v_mad_u64_u32 v[0:1], s[6:7], v0, s28, 0
	v_add3_u32 v1, v1, v3, v2
	v_lshl_add_u64 v[0:1], v[0:1], 2, s[10:11]
	global_load_dword v0, v[0:1], off
	s_waitcnt vmcnt(0)
	v_sub_f32_e32 v0, s12, v0
	v_mul_f32_e32 v0, 0x3fb8aa3b, v0
	v_exp_f32_e32 v17, v0
.LBB92_64:
	s_or_b64 exec, exec, s[4:5]
	v_or_b32_e32 v12, 3, v18
	v_cmp_gt_i32_e64 s[4:5], s27, v12
	s_and_saveexec_b64 s[6:7], s[4:5]
	s_cbranch_execz .LBB92_66
; %bb.65:
	v_add_u32_e32 v0, s26, v12
	v_ashrrev_i32_e32 v1, 31, v0
	v_mul_lo_u32 v2, v1, s28
	v_mul_lo_u32 v3, v0, s29
	v_mad_u64_u32 v[0:1], s[14:15], v0, s28, 0
	v_add3_u32 v1, v1, v3, v2
	v_lshl_add_u64 v[0:1], v[0:1], 2, s[10:11]
	global_load_dword v0, v[0:1], off
	s_waitcnt vmcnt(0)
	v_sub_f32_e32 v0, s12, v0
	v_mul_f32_e32 v0, 0x3fb8aa3b, v0
	v_exp_f32_e32 v15, v0
.LBB92_66:
	s_or_b64 exec, exec, s[6:7]
	s_add_u32 s6, s8, s20
	v_accvgpr_read_b32 v0, a12
	s_addc_u32 s7, s9, s21
	v_ashrrev_i32_e32 v47, 31, v46
	v_accvgpr_read_b32 v1, a13
	v_accvgpr_read_b32 v2, a14
	v_accvgpr_read_b32 v3, a15
	v_lshl_add_u64 v[4:5], v[46:47], 1, s[6:7]
	v_mov_b32_e32 v9, 0
	v_lshlrev_b32_e32 v6, 8, v18
	v_mov_b32_e32 v7, 0
	s_and_saveexec_b64 s[6:7], vcc
	s_cbranch_execz .LBB92_68
; %bb.67:
	v_mov_b32_e32 v7, 0
	v_lshl_add_u64 v[20:21], v[4:5], 0, v[6:7]
	global_load_ushort v7, v[20:21], off
	s_waitcnt vmcnt(0)
	v_lshlrev_b32_e32 v7, 16, v7
	v_sub_f32_e32 v0, v7, v0
	v_mul_f32_e32 v0, v16, v0
	v_lshrrev_b32_e32 v7, 16, v0
.LBB92_68:
	s_or_b64 exec, exec, s[6:7]
	v_lshlrev_b32_e32 v8, 8, v8
	s_and_saveexec_b64 s[6:7], s[0:1]
	s_cbranch_execz .LBB92_70
; %bb.69:
	v_mov_b32_e32 v9, 0
	v_lshl_add_u64 v[20:21], v[4:5], 0, v[8:9]
	global_load_ushort v0, v[20:21], off
	s_waitcnt vmcnt(0)
	v_lshlrev_b32_e32 v0, 16, v0
	v_sub_f32_e32 v0, v0, v1
	v_mul_f32_e32 v0, v14, v0
	v_lshrrev_b32_e32 v9, 16, v0
.LBB92_70:
	s_or_b64 exec, exec, s[6:7]
	v_mov_b32_e32 v13, 0
	v_lshlrev_b32_e32 v10, 8, v10
	v_mov_b32_e32 v11, 0
	s_and_saveexec_b64 s[6:7], s[2:3]
	s_cbranch_execz .LBB92_72
; %bb.71:
	v_mov_b32_e32 v11, 0
	v_lshl_add_u64 v[0:1], v[4:5], 0, v[10:11]
	global_load_ushort v0, v[0:1], off
	s_waitcnt vmcnt(0)
	v_lshlrev_b32_e32 v0, 16, v0
	v_sub_f32_e32 v0, v0, v2
	v_mul_f32_e32 v0, v17, v0
	v_lshrrev_b32_e32 v11, 16, v0
.LBB92_72:
	s_or_b64 exec, exec, s[6:7]
	v_lshlrev_b32_e32 v12, 8, v12
	s_and_saveexec_b64 s[6:7], s[4:5]
	s_cbranch_execz .LBB92_74
; %bb.73:
	v_mov_b32_e32 v13, 0
	v_lshl_add_u64 v[0:1], v[4:5], 0, v[12:13]
	global_load_ushort v0, v[0:1], off
	s_waitcnt vmcnt(0)
	v_lshlrev_b32_e32 v0, 16, v0
	v_sub_f32_e32 v0, v0, v3
	v_mul_f32_e32 v0, v15, v0
	v_lshrrev_b32_e32 v13, 16, v0
.LBB92_74:
	s_or_b64 exec, exec, s[6:7]
	v_lshlrev_b32_e32 v18, 6, v18
	s_mov_b32 s6, 0x5040100
	v_perm_b32 v20, v9, v7, s6
	v_or_b32_e32 v7, v18, v24
	v_accvgpr_read_b32 v0, a8
	v_perm_b32 v21, v13, v11, s6
	v_lshlrev_b32_e32 v7, 1, v7
	v_accvgpr_read_b32 v1, a9
	v_accvgpr_read_b32 v2, a10
	v_accvgpr_read_b32 v3, a11
	ds_write_b64 v7, v[20:21] offset:24576
	v_mov_b32_e32 v9, 0
	v_mov_b32_e32 v7, 0
	s_and_saveexec_b64 s[6:7], vcc
	s_cbranch_execz .LBB92_76
; %bb.75:
	v_mov_b32_e32 v7, 0
	v_lshl_add_u64 v[20:21], v[4:5], 0, v[6:7]
	global_load_ushort v7, v[20:21], off offset:32
	s_waitcnt vmcnt(0)
	v_lshlrev_b32_e32 v7, 16, v7
	v_sub_f32_e32 v0, v7, v0
	v_mul_f32_e32 v0, v16, v0
	v_lshrrev_b32_e32 v7, 16, v0
.LBB92_76:
	s_or_b64 exec, exec, s[6:7]
	s_and_saveexec_b64 s[6:7], s[0:1]
	s_cbranch_execz .LBB92_78
; %bb.77:
	v_mov_b32_e32 v9, 0
	v_lshl_add_u64 v[20:21], v[4:5], 0, v[8:9]
	global_load_ushort v0, v[20:21], off offset:32
	s_waitcnt vmcnt(0)
	v_lshlrev_b32_e32 v0, 16, v0
	v_sub_f32_e32 v0, v0, v1
	v_mul_f32_e32 v0, v14, v0
	v_lshrrev_b32_e32 v9, 16, v0
.LBB92_78:
	s_or_b64 exec, exec, s[6:7]
	v_mov_b32_e32 v13, 0
	v_mov_b32_e32 v11, 0
	s_and_saveexec_b64 s[6:7], s[2:3]
	s_cbranch_execz .LBB92_80
; %bb.79:
	v_mov_b32_e32 v11, 0
	v_lshl_add_u64 v[0:1], v[4:5], 0, v[10:11]
	global_load_ushort v0, v[0:1], off offset:32
	s_waitcnt vmcnt(0)
	v_lshlrev_b32_e32 v0, 16, v0
	v_sub_f32_e32 v0, v0, v2
	v_mul_f32_e32 v0, v17, v0
	v_lshrrev_b32_e32 v11, 16, v0
.LBB92_80:
	s_or_b64 exec, exec, s[6:7]
	s_and_saveexec_b64 s[6:7], s[4:5]
	s_cbranch_execz .LBB92_82
; %bb.81:
	v_mov_b32_e32 v13, 0
	v_lshl_add_u64 v[0:1], v[4:5], 0, v[12:13]
	global_load_ushort v0, v[0:1], off offset:32
	s_waitcnt vmcnt(0)
	v_lshlrev_b32_e32 v0, 16, v0
	v_sub_f32_e32 v0, v0, v3
	v_mul_f32_e32 v0, v15, v0
	v_lshrrev_b32_e32 v13, 16, v0
.LBB92_82:
	s_or_b64 exec, exec, s[6:7]
	s_mov_b32 s6, 0x5040100
	v_perm_b32 v20, v9, v7, s6
	v_or_b32_e32 v7, v18, v23
	v_accvgpr_read_b32 v0, a4
	v_perm_b32 v21, v13, v11, s6
	v_lshlrev_b32_e32 v7, 1, v7
	v_accvgpr_read_b32 v1, a5
	v_accvgpr_read_b32 v2, a6
	;; [unrolled: 1-line block ×3, first 2 shown]
	ds_write_b64 v7, v[20:21] offset:24576
	v_mov_b32_e32 v9, 0
	v_mov_b32_e32 v7, 0
	s_and_saveexec_b64 s[6:7], vcc
	s_cbranch_execz .LBB92_84
; %bb.83:
	v_mov_b32_e32 v7, 0
	v_lshl_add_u64 v[20:21], v[4:5], 0, v[6:7]
	global_load_ushort v7, v[20:21], off offset:64
	s_waitcnt vmcnt(0)
	v_lshlrev_b32_e32 v7, 16, v7
	v_sub_f32_e32 v0, v7, v0
	v_mul_f32_e32 v0, v16, v0
	v_lshrrev_b32_e32 v7, 16, v0
.LBB92_84:
	s_or_b64 exec, exec, s[6:7]
	s_and_saveexec_b64 s[6:7], s[0:1]
	s_cbranch_execz .LBB92_86
; %bb.85:
	v_mov_b32_e32 v9, 0
	v_lshl_add_u64 v[20:21], v[4:5], 0, v[8:9]
	global_load_ushort v0, v[20:21], off offset:64
	s_waitcnt vmcnt(0)
	v_lshlrev_b32_e32 v0, 16, v0
	v_sub_f32_e32 v0, v0, v1
	v_mul_f32_e32 v0, v14, v0
	v_lshrrev_b32_e32 v9, 16, v0
.LBB92_86:
	s_or_b64 exec, exec, s[6:7]
	v_mov_b32_e32 v13, 0
	v_mov_b32_e32 v11, 0
	s_and_saveexec_b64 s[6:7], s[2:3]
	s_cbranch_execz .LBB92_88
; %bb.87:
	v_mov_b32_e32 v11, 0
	v_lshl_add_u64 v[0:1], v[4:5], 0, v[10:11]
	global_load_ushort v0, v[0:1], off offset:64
	s_waitcnt vmcnt(0)
	v_lshlrev_b32_e32 v0, 16, v0
	v_sub_f32_e32 v0, v0, v2
	v_mul_f32_e32 v0, v17, v0
	v_lshrrev_b32_e32 v11, 16, v0
.LBB92_88:
	s_or_b64 exec, exec, s[6:7]
	s_and_saveexec_b64 s[6:7], s[4:5]
	s_cbranch_execz .LBB92_90
; %bb.89:
	v_mov_b32_e32 v13, 0
	v_lshl_add_u64 v[0:1], v[4:5], 0, v[12:13]
	global_load_ushort v0, v[0:1], off offset:64
	s_waitcnt vmcnt(0)
	v_lshlrev_b32_e32 v0, 16, v0
	v_sub_f32_e32 v0, v0, v3
	v_mul_f32_e32 v0, v15, v0
	v_lshrrev_b32_e32 v13, 16, v0
.LBB92_90:
	s_or_b64 exec, exec, s[6:7]
	s_mov_b32 s6, 0x5040100
	v_perm_b32 v20, v9, v7, s6
	v_or_b32_e32 v7, v18, v22
	v_accvgpr_read_b32 v0, a0
	v_perm_b32 v21, v13, v11, s6
	v_lshlrev_b32_e32 v7, 1, v7
	v_accvgpr_read_b32 v1, a1
	v_accvgpr_read_b32 v2, a2
	;; [unrolled: 1-line block ×3, first 2 shown]
	ds_write_b64 v7, v[20:21] offset:24576
	v_mov_b32_e32 v9, 0
	v_mov_b32_e32 v7, 0
	s_and_saveexec_b64 s[6:7], vcc
	s_cbranch_execz .LBB92_92
; %bb.91:
	v_mov_b32_e32 v7, 0
	v_lshl_add_u64 v[6:7], v[4:5], 0, v[6:7]
	global_load_ushort v6, v[6:7], off offset:96
	s_waitcnt vmcnt(0)
	v_lshlrev_b32_e32 v6, 16, v6
	v_sub_f32_e32 v0, v6, v0
	v_mul_f32_e32 v0, v16, v0
	v_lshrrev_b32_e32 v7, 16, v0
.LBB92_92:
	s_or_b64 exec, exec, s[6:7]
	s_and_saveexec_b64 s[6:7], s[0:1]
	s_cbranch_execz .LBB92_94
; %bb.93:
	v_mov_b32_e32 v9, 0
	v_lshl_add_u64 v[8:9], v[4:5], 0, v[8:9]
	global_load_ushort v0, v[8:9], off offset:96
	s_waitcnt vmcnt(0)
	v_lshlrev_b32_e32 v0, 16, v0
	v_sub_f32_e32 v0, v0, v1
	v_mul_f32_e32 v0, v14, v0
	v_lshrrev_b32_e32 v9, 16, v0
.LBB92_94:
	s_or_b64 exec, exec, s[6:7]
	v_mov_b32_e32 v0, 0
	v_mov_b32_e32 v1, 0
	s_and_saveexec_b64 s[0:1], s[2:3]
	s_cbranch_execz .LBB92_96
; %bb.95:
	v_mov_b32_e32 v11, 0
	v_lshl_add_u64 v[10:11], v[4:5], 0, v[10:11]
	global_load_ushort v1, v[10:11], off offset:96
	s_waitcnt vmcnt(0)
	v_lshlrev_b32_e32 v1, 16, v1
	v_sub_f32_e32 v1, v1, v2
	v_mul_f32_e32 v1, v17, v1
	v_lshrrev_b32_e32 v1, 16, v1
.LBB92_96:
	s_or_b64 exec, exec, s[0:1]
	s_and_saveexec_b64 s[0:1], s[4:5]
	s_cbranch_execz .LBB92_98
; %bb.97:
	v_mov_b32_e32 v13, 0
	v_lshl_add_u64 v[4:5], v[4:5], 0, v[12:13]
	global_load_ushort v0, v[4:5], off offset:96
	s_waitcnt vmcnt(0)
	v_lshlrev_b32_e32 v0, 16, v0
	v_sub_f32_e32 v0, v0, v3
	v_mul_f32_e32 v0, v15, v0
	v_lshrrev_b32_e32 v0, 16, v0
.LBB92_98:
	s_or_b64 exec, exec, s[0:1]
	s_mov_b32 s0, 0x5040100
	v_or_b32_e32 v2, v18, v19
	v_perm_b32 v1, v0, v1, s0
	v_perm_b32 v0, v9, v7, s0
	v_lshlrev_b32_e32 v2, 1, v2
	ds_write_b64 v2, v[0:1] offset:24576
	s_waitcnt lgkmcnt(0)
	s_barrier
.LBB92_99:
	s_endpgm
	.section	.rodata,"a",@progbits
	.p2align	6, 0x0
	.amdhsa_kernel _ZN12_GLOBAL__N_139chunk_gated_delta_rule_fwd_h_hip_kernelILi64ELb1ELb0ELb0ELb0ELb0ELb1ELb0ELb1EEEvPK12hip_bfloat16S3_S3_PKfS5_PKvPS1_S8_PvPKiSB_iiiiilll
		.amdhsa_group_segment_fixed_size 65536
		.amdhsa_private_segment_fixed_size 0
		.amdhsa_kernarg_size 136
		.amdhsa_user_sgpr_count 2
		.amdhsa_user_sgpr_dispatch_ptr 0
		.amdhsa_user_sgpr_queue_ptr 0
		.amdhsa_user_sgpr_kernarg_segment_ptr 1
		.amdhsa_user_sgpr_dispatch_id 0
		.amdhsa_user_sgpr_kernarg_preload_length 0
		.amdhsa_user_sgpr_kernarg_preload_offset 0
		.amdhsa_user_sgpr_private_segment_size 0
		.amdhsa_uses_dynamic_stack 0
		.amdhsa_enable_private_segment 0
		.amdhsa_system_sgpr_workgroup_id_x 1
		.amdhsa_system_sgpr_workgroup_id_y 1
		.amdhsa_system_sgpr_workgroup_id_z 0
		.amdhsa_system_sgpr_workgroup_info 0
		.amdhsa_system_vgpr_workitem_id 0
		.amdhsa_next_free_vgpr 232
		.amdhsa_next_free_sgpr 69
		.amdhsa_accum_offset 192
		.amdhsa_reserve_vcc 1
		.amdhsa_float_round_mode_32 0
		.amdhsa_float_round_mode_16_64 0
		.amdhsa_float_denorm_mode_32 3
		.amdhsa_float_denorm_mode_16_64 3
		.amdhsa_dx10_clamp 1
		.amdhsa_ieee_mode 1
		.amdhsa_fp16_overflow 0
		.amdhsa_tg_split 0
		.amdhsa_exception_fp_ieee_invalid_op 0
		.amdhsa_exception_fp_denorm_src 0
		.amdhsa_exception_fp_ieee_div_zero 0
		.amdhsa_exception_fp_ieee_overflow 0
		.amdhsa_exception_fp_ieee_underflow 0
		.amdhsa_exception_fp_ieee_inexact 0
		.amdhsa_exception_int_div_zero 0
	.end_amdhsa_kernel
	.section	.text._ZN12_GLOBAL__N_139chunk_gated_delta_rule_fwd_h_hip_kernelILi64ELb1ELb0ELb0ELb0ELb0ELb1ELb0ELb1EEEvPK12hip_bfloat16S3_S3_PKfS5_PKvPS1_S8_PvPKiSB_iiiiilll,"axG",@progbits,_ZN12_GLOBAL__N_139chunk_gated_delta_rule_fwd_h_hip_kernelILi64ELb1ELb0ELb0ELb0ELb0ELb1ELb0ELb1EEEvPK12hip_bfloat16S3_S3_PKfS5_PKvPS1_S8_PvPKiSB_iiiiilll,comdat
.Lfunc_end92:
	.size	_ZN12_GLOBAL__N_139chunk_gated_delta_rule_fwd_h_hip_kernelILi64ELb1ELb0ELb0ELb0ELb0ELb1ELb0ELb1EEEvPK12hip_bfloat16S3_S3_PKfS5_PKvPS1_S8_PvPKiSB_iiiiilll, .Lfunc_end92-_ZN12_GLOBAL__N_139chunk_gated_delta_rule_fwd_h_hip_kernelILi64ELb1ELb0ELb0ELb0ELb0ELb1ELb0ELb1EEEvPK12hip_bfloat16S3_S3_PKfS5_PKvPS1_S8_PvPKiSB_iiiiilll
                                        ; -- End function
	.section	.AMDGPU.csdata,"",@progbits
; Kernel info:
; codeLenInByte = 11268
; NumSgprs: 75
; NumVgprs: 190
; NumAgprs: 40
; TotalNumVgprs: 232
; ScratchSize: 0
; MemoryBound: 0
; FloatMode: 240
; IeeeMode: 1
; LDSByteSize: 65536 bytes/workgroup (compile time only)
; SGPRBlocks: 9
; VGPRBlocks: 28
; NumSGPRsForWavesPerEU: 75
; NumVGPRsForWavesPerEU: 232
; AccumOffset: 192
; Occupancy: 1
; WaveLimiterHint : 1
; COMPUTE_PGM_RSRC2:SCRATCH_EN: 0
; COMPUTE_PGM_RSRC2:USER_SGPR: 2
; COMPUTE_PGM_RSRC2:TRAP_HANDLER: 0
; COMPUTE_PGM_RSRC2:TGID_X_EN: 1
; COMPUTE_PGM_RSRC2:TGID_Y_EN: 1
; COMPUTE_PGM_RSRC2:TGID_Z_EN: 0
; COMPUTE_PGM_RSRC2:TIDIG_COMP_CNT: 0
; COMPUTE_PGM_RSRC3_GFX90A:ACCUM_OFFSET: 47
; COMPUTE_PGM_RSRC3_GFX90A:TG_SPLIT: 0
	.section	.text._ZN12_GLOBAL__N_139chunk_gated_delta_rule_fwd_h_hip_kernelILi64ELb0ELb1ELb1ELb0ELb0ELb1ELb0ELb1EEEvPK12hip_bfloat16S3_S3_PKfS5_PKvPS1_S8_PvPKiSB_iiiiilll,"axG",@progbits,_ZN12_GLOBAL__N_139chunk_gated_delta_rule_fwd_h_hip_kernelILi64ELb0ELb1ELb1ELb0ELb0ELb1ELb0ELb1EEEvPK12hip_bfloat16S3_S3_PKfS5_PKvPS1_S8_PvPKiSB_iiiiilll,comdat
	.globl	_ZN12_GLOBAL__N_139chunk_gated_delta_rule_fwd_h_hip_kernelILi64ELb0ELb1ELb1ELb0ELb0ELb1ELb0ELb1EEEvPK12hip_bfloat16S3_S3_PKfS5_PKvPS1_S8_PvPKiSB_iiiiilll ; -- Begin function _ZN12_GLOBAL__N_139chunk_gated_delta_rule_fwd_h_hip_kernelILi64ELb0ELb1ELb1ELb0ELb0ELb1ELb0ELb1EEEvPK12hip_bfloat16S3_S3_PKfS5_PKvPS1_S8_PvPKiSB_iiiiilll
	.p2align	8
	.type	_ZN12_GLOBAL__N_139chunk_gated_delta_rule_fwd_h_hip_kernelILi64ELb0ELb1ELb1ELb0ELb0ELb1ELb0ELb1EEEvPK12hip_bfloat16S3_S3_PKfS5_PKvPS1_S8_PvPKiSB_iiiiilll,@function
_ZN12_GLOBAL__N_139chunk_gated_delta_rule_fwd_h_hip_kernelILi64ELb0ELb1ELb1ELb0ELb0ELb1ELb0ELb1EEEvPK12hip_bfloat16S3_S3_PKfS5_PKvPS1_S8_PvPKiSB_iiiiilll: ; @_ZN12_GLOBAL__N_139chunk_gated_delta_rule_fwd_h_hip_kernelILi64ELb0ELb1ELb1ELb0ELb0ELb1ELb0ELb1EEEvPK12hip_bfloat16S3_S3_PKfS5_PKvPS1_S8_PvPKiSB_iiiiilll
; %bb.0:
	s_load_dwordx4 s[12:15], s[0:1], 0x5c
	s_load_dwordx2 s[34:35], s[0:1], 0x40
	s_abs_i32 s22, s3
	s_ashr_i32 s21, s3, 31
	s_load_dwordx8 s[4:11], s[0:1], 0x0
	s_load_dwordx2 s[36:37], s[0:1], 0x20
	s_load_dwordx4 s[16:19], s[0:1], 0x30
	s_waitcnt lgkmcnt(0)
	s_abs_i32 s20, s13
	v_cvt_f32_u32_e32 v1, s20
	s_sub_i32 s24, 0, s20
	s_ashr_i32 s23, s13, 31
	s_xor_b32 s21, s21, s23
	v_rcp_iflag_f32_e32 v1, v1
	v_lshrrev_b32_e32 v45, 6, v0
	v_bfe_u32 v88, v0, 4, 2
	v_lshlrev_b32_e32 v86, 4, v45
	v_mul_f32_e32 v1, 0x4f7ffffe, v1
	v_cvt_u32_f32_e32 v1, v1
	v_lshlrev_b32_e32 v2, 2, v88
	v_and_b32_e32 v87, 63, v0
	v_and_b32_e32 v89, 15, v0
	v_readfirstlane_b32 s25, v1
	s_mul_i32 s24, s24, s25
	s_mul_hi_u32 s24, s25, s24
	s_add_i32 s25, s25, s24
	s_mul_hi_u32 s24, s22, s25
	s_mul_i32 s25, s24, s20
	s_sub_i32 s22, s22, s25
	s_add_i32 s25, s24, 1
	s_sub_i32 s26, s22, s20
	s_cmp_ge_u32 s22, s20
	s_cselect_b32 s24, s25, s24
	s_cselect_b32 s22, s26, s22
	s_add_i32 s25, s24, 1
	s_cmp_ge_u32 s22, s20
	s_cselect_b32 s22, s25, s24
	s_xor_b32 s22, s22, s21
	s_sub_i32 s52, s22, s21
	s_abs_i32 s21, s14
	v_cvt_f32_u32_e32 v1, s21
	s_ashr_i32 s51, s12, 31
	s_lshr_b32 s22, s51, 26
	s_add_i32 s22, s12, s22
	v_rcp_iflag_f32_e32 v1, v1
	s_ashr_i32 s54, s14, 31
	s_ashr_i32 s53, s22, 6
	s_xor_b32 s22, s23, s54
	v_mul_f32_e32 v1, 0x4f7ffffe, v1
	v_cvt_u32_f32_e32 v1, v1
	s_sub_i32 s23, 0, s21
	s_mul_i32 s50, s52, s13
	s_sub_i32 s33, s3, s50
	v_readfirstlane_b32 s24, v1
	s_mul_i32 s23, s23, s24
	s_mul_hi_u32 s23, s24, s23
	s_add_i32 s24, s24, s23
	s_mul_hi_u32 s23, s20, s24
	s_mul_i32 s24, s23, s21
	s_sub_i32 s20, s20, s24
	s_add_i32 s3, s12, 63
	s_add_i32 s24, s23, 1
	s_sub_i32 s25, s20, s21
	s_cmp_ge_u32 s20, s21
	s_cselect_b32 s23, s24, s23
	s_cselect_b32 s20, s25, s20
	s_add_i32 s24, s23, 1
	s_cmp_ge_u32 s20, s21
	s_cselect_b32 s20, s24, s23
	s_xor_b32 s20, s20, s22
	s_sub_i32 s24, s20, s22
	s_abs_i32 s25, s24
	v_cvt_f32_u32_e32 v1, s25
	s_sub_i32 s26, 0, s25
	s_load_dwordx2 s[38:39], s[0:1], 0x80
	s_load_dwordx4 s[20:23], s[0:1], 0x70
	s_xor_b32 s1, s33, s24
	v_rcp_iflag_f32_e32 v1, v1
	s_abs_i32 s24, s33
	s_ashr_i32 s1, s1, 31
	s_mov_b32 s0, 0
	v_mul_f32_e32 v1, 0x4f7ffffe, v1
	v_cvt_u32_f32_e32 v1, v1
	s_mul_i32 s48, s52, s12
	s_mul_hi_i32 s56, s52, s13
	v_lshrrev_b32_e32 v91, 3, v87
	v_readfirstlane_b32 s27, v1
	s_mul_i32 s26, s26, s27
	s_mul_hi_u32 s26, s27, s26
	s_add_i32 s27, s27, s26
	s_mul_hi_u32 s26, s24, s27
	s_mul_i32 s27, s26, s25
	s_sub_i32 s24, s24, s27
	s_add_i32 s27, s26, 1
	s_sub_i32 s28, s24, s25
	s_cmp_ge_u32 s24, s25
	s_cselect_b32 s26, s27, s26
	s_cselect_b32 s24, s28, s24
	s_add_i32 s27, s26, 1
	s_cmp_ge_u32 s24, s25
	s_cselect_b32 s24, s27, s26
	s_xor_b32 s24, s24, s1
	s_sub_i32 s57, s24, s1
	s_ashr_i32 s1, s3, 31
	s_lshr_b32 s1, s1, 26
	s_add_i32 s3, s3, s1
	s_ashr_i32 s1, s3, 6
	v_or_b32_e32 v1, v2, v86
	s_mul_i32 s55, s52, s1
	s_lshl_b32 s2, s2, 6
	s_mov_b32 s1, s0
	v_or_b32_e32 v92, 64, v1
	s_cmp_lt_i32 s12, 64
	v_mov_b64_e32 v[54:55], s[0:1]
	v_lshlrev_b32_e32 v90, 3, v0
	s_waitcnt lgkmcnt(0)
	s_mul_i32 s21, s52, s21
	s_mul_hi_u32 s49, s52, s20
	s_mul_i32 s40, s52, s20
	v_mov_b64_e32 v[56:57], s[0:1]
	v_mov_b64_e32 v[60:61], s[0:1]
	;; [unrolled: 1-line block ×15, first 2 shown]
	s_cbranch_scc1 .LBB93_17
; %bb.1:
	s_ashr_i32 s3, s52, 31
	s_ashr_i32 s59, s33, 31
	s_add_u32 s0, s50, s33
	s_addc_u32 s1, s56, s59
	s_mul_i32 s1, s12, s1
	s_mul_hi_u32 s24, s12, s0
	s_add_i32 s43, s24, s1
	s_mul_i32 s42, s12, s0
	s_lshl_b64 s[0:1], s[42:43], 8
	v_and_b32_e32 v94, 56, v90
	s_add_u32 s24, s6, s0
	v_lshl_or_b32 v93, v45, 3, v91
	v_lshlrev_b32_e32 v3, 1, v94
	s_addc_u32 s0, s7, s1
	v_lshl_or_b32 v95, v93, 8, v3
	s_and_b32 s25, s0, 0xffff
	s_mov_b32 s27, 0x20000
	s_movk_i32 s26, 0x4000
	s_movk_i32 s0, 0x80
	v_or_b32_e32 v96, 0x2000, v95
	buffer_load_dwordx4 v[4:7], v95, s[24:27], 0 offen
	buffer_load_dwordx4 v[8:11], v95, s[24:27], s0 offen
	buffer_load_dwordx4 v[12:15], v96, s[24:27], 0 offen
	buffer_load_dwordx4 v[16:19], v96, s[24:27], s0 offen
	v_lshlrev_b32_e32 v20, 3, v93
	v_and_or_b32 v22, v0, 7, v20
	v_and_b32_e32 v20, 0x78, v20
	v_lshlrev_b32_e32 v22, 4, v22
	v_xor_b32_e32 v97, v22, v20
	v_mul_lo_u32 v21, v93, s15
	v_or_b32_e32 v98, 0x1000, v97
	s_cmpk_eq_i32 s15, 0x80
	s_mov_b32 s58, s14
	v_xor_b32_e32 v20, 8, v97
	v_xor_b32_e32 v22, 8, v98
	s_cselect_b64 s[0:1], -1, 0
	s_cmpk_lg_i32 s15, 0x80
	s_waitcnt vmcnt(3)
	ds_write_b64 v97, v[4:5] offset:49152
	ds_write_b64 v20, v[6:7] offset:49152
	s_waitcnt vmcnt(2)
	ds_write_b64 v97, v[8:9] offset:57344
	ds_write_b64 v20, v[10:11] offset:57344
	;; [unrolled: 3-line block ×4, first 2 shown]
	v_lshl_add_u32 v4, v21, 1, v94
	s_cbranch_scc0 .LBB93_3
; %bb.2:
	v_lshlrev_b32_e32 v6, 1, v4
	v_add_lshl_u32 v5, v4, s15, 1
	s_lshl_b32 s26, s15, 7
	v_lshl_or_b32 v3, v93, 9, v3
	s_cbranch_execz .LBB93_4
	s_branch .LBB93_5
.LBB93_3:
                                        ; implicit-def: $vgpr5
                                        ; implicit-def: $vgpr6
                                        ; implicit-def: $sgpr26
	v_lshl_or_b32 v3, v93, 9, v3
.LBB93_4:
	v_or_b32_e32 v5, 0x100, v3
	s_movk_i32 s26, 0x4000
	v_mov_b32_e32 v6, v3
.LBB93_5:
	s_mul_hi_u32 s24, s14, s12
	s_mul_i32 s25, s54, s12
	s_add_i32 s24, s24, s25
	s_mul_i32 s25, s14, s12
	s_mul_i32 s27, s25, s3
	s_mul_hi_u32 s28, s25, s52
	s_add_i32 s27, s28, s27
	s_mul_i32 s24, s24, s52
	s_add_i32 s27, s27, s24
	s_mul_i32 s25, s25, s52
	s_ashr_i32 s60, s57, 31
	s_add_u32 s24, s25, s57
	s_addc_u32 s25, s27, s60
	s_lshl_b64 s[24:25], s[24:25], 8
	s_add_u32 s24, s4, s24
	s_addc_u32 s25, s5, s25
	s_and_b32 s25, s25, 0xffff
	s_mov_b32 s27, 0x20000
	s_movk_i32 s61, 0x80
	buffer_load_dwordx4 v[8:11], v6, s[24:27], 0 offen
	buffer_load_dwordx4 v[12:15], v6, s[24:27], s61 offen
	;; [unrolled: 1-line block ×4, first 2 shown]
	v_and_b32_e32 v5, 6, v0
	v_lshlrev_b32_e32 v6, 7, v1
	v_xor_b32_e32 v27, v93, v5
	v_and_b32_e32 v7, 1, v0
	v_lshl_or_b32 v30, v89, 3, v6
	v_lshlrev_b32_e32 v27, 2, v27
	v_or_b32_e32 v99, 0x4000, v30
	v_or_b32_e32 v100, 0x6000, v30
	v_xor_b32_e32 v30, 0x440, v27
	v_cmp_eq_u32_e32 vcc, 0, v7
	v_lshlrev_b32_e32 v24, 2, v89
	v_or_b32_e32 v26, 16, v89
	v_cndmask_b32_e32 v7, v30, v27, vcc
	s_mov_b32 s63, 0x1000504
	v_xor_b32_e32 v28, v1, v24
	v_xor_b32_e32 v29, v92, v24
	v_lshl_or_b32 v31, v26, 3, v6
	v_lshl_or_b32 v5, v5, 10, v7
	s_mov_b32 s64, 0x3020706
	s_mul_i32 s24, s3, s12
	s_mul_hi_u32 s25, s52, s12
	v_lshlrev_b32_e32 v25, 8, v89
	v_lshlrev_b32_e32 v28, 1, v28
	;; [unrolled: 1-line block ×3, first 2 shown]
	v_or_b32_e32 v101, 0x4000, v31
	v_or_b32_e32 v102, 0x6000, v31
	v_xor_b32_e32 v7, 8, v5
	v_xor_b32_e32 v27, 24, v5
	;; [unrolled: 1-line block ×4, first 2 shown]
	v_or_b32_e32 v103, v25, v28
	v_or_b32_e32 v104, v25, v29
	v_xor_b32_e32 v25, 16, v5
	v_xor_b32_e32 v30, 32, v5
	;; [unrolled: 1-line block ×3, first 2 shown]
	v_add_u32_e32 v7, 0x80, v7
	v_add_u32_e32 v27, 0x80, v27
	;; [unrolled: 1-line block ×4, first 2 shown]
	s_add_i32 s65, s25, s24
	s_add_i32 s24, s49, s21
	s_mul_i32 s3, s3, s20
	s_add_i32 s41, s24, s3
	s_mul_i32 s3, s33, s23
	s_mul_hi_u32 s24, s33, s22
	s_add_i32 s3, s24, s3
	s_mul_i32 s24, s59, s22
	s_add_i32 s25, s3, s24
	s_lshl_b64 s[28:29], s[40:41], 2
	s_mul_i32 s24, s33, s22
	s_add_u32 s3, s10, s28
	s_addc_u32 s28, s11, s29
	s_lshl_b64 s[24:25], s[24:25], 2
	s_add_u32 s44, s3, s24
	s_movk_i32 s3, 0xf8
	s_addc_u32 s45, s28, s25
	s_lshl_b32 s30, s15, 7
	v_mov_b32_e32 v79, 0
	s_movk_i32 s28, 0x100
	v_lshlrev_b32_e32 v78, 4, v89
	s_mov_b32 s62, 0
	s_movk_i32 s26, 0x4000
	v_add_u32_e32 v136, v86, v2
	s_mov_b32 s41, 0x7060302
	s_movk_i32 s66, 0x2000
	s_movk_i32 s67, 0x3000
	v_mov_b32_e32 v146, 0x3fb8aa3b
	s_mov_b32 s69, 0
	v_mov_b32_e32 v48, v79
	v_mov_b32_e32 v49, v79
	;; [unrolled: 1-line block ×10, first 2 shown]
	s_waitcnt vmcnt(1)
	v_perm_b32 v34, v8, v16, s63
	s_waitcnt vmcnt(0)
	v_perm_b32 v35, v12, v20, s63
	v_perm_b32 v8, v8, v16, s64
	;; [unrolled: 1-line block ×15, first 2 shown]
	ds_write2st64_b32 v5, v34, v35 offset0:128 offset1:160
	ds_write2st64_b32 v7, v8, v12 offset0:128 offset1:160
	;; [unrolled: 1-line block ×8, first 2 shown]
	v_lshlrev_b32_e32 v5, 8, v26
	v_or_b32_e32 v105, v5, v28
	v_or_b32_e32 v106, v5, v29
	;; [unrolled: 1-line block ×3, first 2 shown]
	v_lshl_or_b32 v7, v5, 3, v6
	v_lshlrev_b32_e32 v5, 8, v5
	v_or_b32_e32 v109, v5, v28
	v_or_b32_e32 v110, v5, v29
	;; [unrolled: 1-line block ×5, first 2 shown]
	v_lshl_or_b32 v7, v5, 3, v6
	v_lshlrev_b32_e32 v5, 8, v5
	v_or_b32_e32 v113, v5, v28
	v_or_b32_e32 v114, v5, v29
	;; [unrolled: 1-line block ×3, first 2 shown]
	v_lshlrev_b32_e32 v5, 3, v5
	v_lshrrev_b32_e32 v9, 5, v87
	v_and_or_b32 v9, v5, s3, v9
	v_lshlrev_b32_e32 v9, 4, v9
	v_lshlrev_b32_e32 v11, 11, v45
	v_and_b32_e32 v5, 0x78, v5
	v_or_b32_e32 v14, 32, v9
	v_and_b32_e32 v8, 0x1000, v11
	v_xor_b32_e32 v10, v9, v5
	v_lshrrev_b32_e32 v12, 1, v87
	v_xor_b32_e32 v14, v14, v5
	v_or_b32_e32 v10, v10, v8
	v_and_b32_e32 v12, 8, v12
	v_or_b32_e32 v14, v14, v8
	v_xor_b32_e32 v115, v10, v12
	v_lshlrev_b32_e32 v10, 8, v88
	v_xor_b32_e32 v117, v14, v12
	v_or_b32_e32 v14, 64, v9
	v_or_b32_e32 v9, 0x60, v9
	;; [unrolled: 1-line block ×3, first 2 shown]
	v_xor_b32_e32 v14, v14, v5
	v_xor_b32_e32 v5, v9, v5
	s_ashr_i32 s3, s2, 31
	v_lshlrev_b32_e32 v13, 1, v13
	v_or_b32_e32 v14, v14, v8
	v_or_b32_e32 v5, v5, v8
	s_lshl_b64 s[24:25], s[2:3], 8
	v_or_b32_e32 v116, 0x4000, v13
	v_or_b32_e32 v118, 0x4080, v13
	;; [unrolled: 1-line block ×4, first 2 shown]
	v_xor_b32_e32 v121, v14, v12
	v_xor_b32_e32 v122, v5, v12
	v_or_b32_e32 v123, 0x6000, v13
	v_or_b32_e32 v124, 0x6080, v13
	;; [unrolled: 1-line block ×4, first 2 shown]
	v_lshlrev_b32_e32 v12, 1, v4
	v_add_lshl_u32 v13, v4, s15, 1
	s_add_u32 s24, s16, s24
	v_lshlrev_b32_e32 v4, 1, v89
	v_or_b32_e32 v14, 0x100, v3
	v_lshrrev_b32_e32 v15, 4, v0
	s_addc_u32 s25, s17, s25
	v_or_b32_e32 v5, 1, v4
	v_lshlrev_b32_e32 v18, 2, v0
	v_xor_b32_e32 v16, v15, v4
	v_xor_b32_e32 v17, v5, v15
	v_lshl_add_u64 v[4:5], s[24:25], 0, v[78:79]
	v_lshlrev_b32_e32 v78, 8, v15
	v_lshrrev_b32_e32 v19, 1, v0
	v_and_or_b32 v10, v18, 60, v10
	v_cndmask_b32_e64 v133, v12, v3, s[0:1]
	v_cndmask_b32_e64 v134, v13, v14, s[0:1]
	v_mov_b32_e32 v3, 0xa000
	v_mov_b32_e32 v12, 0x8000
	v_cmp_gt_u32_e64 s[0:1], s28, v0
	v_lshl_or_b32 v127, v16, 3, v78
	v_and_b32_e32 v16, 8, v0
	v_and_b32_e32 v19, 24, v19
	v_lshlrev_b32_e32 v10, 1, v10
	v_cndmask_b32_e64 v3, v3, v12, s[0:1]
	v_lshlrev_b32_e32 v12, 3, v45
	v_or_b32_e32 v129, 0x6000, v10
	v_or_b32_e32 v130, 0x6080, v10
	;; [unrolled: 1-line block ×4, first 2 shown]
	v_mov_b32_e32 v10, 0x400
	v_cmp_eq_u32_e32 vcc, 0, v16
	v_xor_b32_e32 v13, v12, v19
	v_and_b32_e32 v15, 7, v0
	v_cndmask_b32_e64 v16, v10, 64, vcc
	v_or_b32_e32 v14, 0x440, v13
	v_lshl_or_b32 v128, v17, 3, v78
	v_lshlrev_b32_e32 v17, 3, v15
	v_or_b32_e32 v18, 32, v19
	v_or_b32_e32 v20, 0x60, v19
	v_cndmask_b32_e32 v14, v14, v13, vcc
	v_or3_b32 v13, v11, v16, v13
	v_lshlrev_b32_e32 v15, 7, v15
	v_xor_b32_e32 v18, v12, v18
	v_xor_b32_e32 v13, v13, v17
	;; [unrolled: 1-line block ×3, first 2 shown]
	v_or_b32_e32 v21, 0x440, v18
	v_or_b32_e32 v135, v13, v15
	v_xor_b32_e32 v13, 0x440, v12
	v_cndmask_b32_e32 v18, v21, v18, vcc
	v_cndmask_b32_e32 v12, v13, v12, vcc
	v_or_b32_e32 v111, 0x4000, v7
	v_or_b32_e32 v112, 0x6000, v7
	v_lshrrev_b32_e32 v7, 2, v87
	v_or_b32_e32 v8, s2, v89
	v_or_b32_e32 v14, v14, v11
	v_or_b32_e32 v18, v18, v11
	v_or_b32_e32 v11, v12, v11
	v_and_b32_e32 v7, 12, v7
	v_ashrrev_i32_e32 v9, 31, v8
	v_xor_b32_e32 v14, v14, v17
	v_xor_b32_e32 v18, v18, v17
	;; [unrolled: 1-line block ×3, first 2 shown]
	v_or_b32_e32 v10, v86, v7
	v_add_u32_e32 v19, v3, v14
	v_add_u32_e32 v21, v3, v18
	;; [unrolled: 1-line block ×3, first 2 shown]
	v_or3_b32 v12, v86, v7, 64
	v_add_u32_e32 v7, 0xa000, v14
	v_add_u32_e32 v14, 0xa000, v18
	;; [unrolled: 1-line block ×3, first 2 shown]
	v_lshlrev_b64 v[8:9], 1, v[8:9]
	v_lshl_add_u64 v[80:81], s[8:9], 0, v[8:9]
	v_lshl_add_u64 v[82:83], s[18:19], 0, v[8:9]
	;; [unrolled: 1-line block ×3, first 2 shown]
	s_add_i32 s3, s48, 63
	v_lshlrev_b32_e32 v78, 1, v6
	v_lshlrev_b32_e32 v137, 2, v10
	v_add_u32_e32 v138, v19, v15
	v_add_u32_e32 v139, v21, v15
	;; [unrolled: 1-line block ×4, first 2 shown]
	v_lshlrev_b32_e32 v142, 2, v12
	v_add_u32_e32 v143, v7, v15
	v_add_u32_e32 v144, v14, v15
	;; [unrolled: 1-line block ×3, first 2 shown]
	v_mov_b32_e32 v76, v79
	v_mov_b32_e32 v77, v79
	;; [unrolled: 1-line block ×22, first 2 shown]
	s_waitcnt lgkmcnt(0)
	s_barrier
	s_branch .LBB93_7
.LBB93_6:                               ;   in Loop: Header=BB93_7 Depth=1
	v_mul_f32_e32 v26, s46, v146
	v_exp_f32_e32 v36, v26
	s_waitcnt vmcnt(4)
	v_mul_f32_e32 v26, 0x3fb8aa3b, v38
	v_exp_f32_e32 v38, v26
	v_mul_f32_e32 v26, 0x3fb8aa3b, v39
	v_exp_f32_e32 v39, v26
	;; [unrolled: 2-line block ×4, first 2 shown]
	v_accvgpr_read_b32 v5, a3
	v_accvgpr_read_b32 v4, a2
	;; [unrolled: 1-line block ×4, first 2 shown]
	v_pk_mul_f32 v[38:39], v[36:37], v[38:39] op_sel_hi:[0,1]
	v_pk_mul_f32 v[40:41], v[36:37], v[40:41] op_sel_hi:[0,1]
	v_pk_fma_f32 v[74:75], v[74:75], v[38:39], v[2:3]
	v_pk_fma_f32 v[76:77], v[76:77], v[40:41], v[4:5]
	v_mul_f32_e32 v2, 0x3fb8aa3b, v34
	v_mul_f32_e32 v3, 0x3fb8aa3b, v42
	v_mul_f32_e32 v4, 0x3fb8aa3b, v43
	v_mul_f32_e32 v5, 0x3fb8aa3b, v44
	v_exp_f32_e32 v2, v2
	v_exp_f32_e32 v3, v3
	;; [unrolled: 1-line block ×4, first 2 shown]
	v_accvgpr_read_b32 v9, a7
	v_accvgpr_read_b32 v13, a11
	;; [unrolled: 1-line block ×28, first 2 shown]
	v_pk_mul_f32 v[2:3], v[36:37], v[2:3] op_sel_hi:[0,1]
	v_pk_mul_f32 v[4:5], v[36:37], v[4:5] op_sel_hi:[0,1]
	s_add_i32 s62, s62, 64
	v_pk_fma_f32 v[66:67], v[38:39], v[66:67], v[6:7]
	v_pk_fma_f32 v[68:69], v[40:41], v[68:69], v[8:9]
	;; [unrolled: 1-line block ×14, first 2 shown]
	s_cmp_eq_u32 s53, s68
	s_mov_b32 s69, s68
	s_cbranch_scc1 .LBB93_17
.LBB93_7:                               ; =>This Inner Loop Header: Depth=1
	s_add_i32 s68, s69, 1
	s_cmp_lt_i32 s68, s53
	s_mov_b64 s[28:29], 0
	s_cselect_b64 s[46:47], -1, 0
	s_cmp_ge_i32 s68, s53
	s_mov_b64 s[24:25], 0
	s_cbranch_scc1 .LBB93_9
; %bb.8:                                ;   in Loop: Header=BB93_7 Depth=1
	s_add_i32 s0, s62, 64
	s_add_u32 s0, s42, s0
	s_addc_u32 s1, s43, 0
	s_lshl_b64 s[0:1], s[0:1], 8
	s_add_u32 s24, s6, s0
	s_addc_u32 s25, s7, s1
.LBB93_9:                               ;   in Loop: Header=BB93_7 Depth=1
	v_cndmask_b32_e64 v2, 0, 1, s[46:47]
	v_cmp_ne_u32_e64 s[0:1], 1, v2
	s_andn2_b64 vcc, exec, s[46:47]
	s_cbranch_vccnz .LBB93_11
; %bb.10:                               ;   in Loop: Header=BB93_7 Depth=1
	s_add_i32 s28, s62, 64
	s_add_u32 s28, s48, s28
	s_addc_u32 s29, s65, 0
	s_mul_i32 s31, s28, s54
	s_mul_hi_u32 s46, s28, s58
	s_add_i32 s31, s46, s31
	s_mul_i32 s29, s29, s58
	s_add_i32 s31, s31, s29
	s_mul_i32 s28, s28, s58
	s_add_u32 s28, s28, s57
	s_addc_u32 s29, s31, s60
	s_lshl_b64 s[28:29], s[28:29], 8
	s_add_u32 s28, s4, s28
	s_addc_u32 s29, s5, s29
.LBB93_11:                              ;   in Loop: Header=BB93_7 Depth=1
	v_perm_b32 v3, v77, v76, s41
	v_perm_b32 v2, v75, v74, s41
	v_perm_b32 v5, v73, v72, s41
	v_perm_b32 v4, v71, v70, s41
	ds_write_b64 v99, v[2:3]
	ds_write_b64 v100, v[4:5]
	ds_write_b64 v103, v[2:3]
	ds_write_b64 v104, v[4:5]
	v_perm_b32 v3, v69, v68, s41
	v_perm_b32 v2, v67, v66, s41
	v_perm_b32 v5, v65, v64, s41
	v_perm_b32 v4, v63, v62, s41
	ds_write_b64 v101, v[2:3]
	ds_write_b64 v102, v[4:5]
	ds_write_b64 v105, v[2:3]
	ds_write_b64 v106, v[4:5]
	;; [unrolled: 8-line block ×4, first 2 shown]
	s_waitcnt lgkmcnt(0)
	s_barrier
	ds_read_b64 v[6:7], v115 offset:49152
	ds_read2_b64 v[2:5], v116 offset1:16
	ds_read_b64 v[18:19], v118 offset:6144
	ds_read_b64 v[20:21], v116 offset:6144
	s_waitcnt lgkmcnt(2)
	v_mfma_f32_16x16x16_bf16 a[0:3], v[6:7], v[2:3], 0
	ds_read_b64 v[22:23], v117 offset:49152
	ds_read2st64_b64 v[10:13], v119 offset0:4 offset1:8
	ds_read2st64_b64 v[14:17], v120 offset0:4 offset1:8
	v_mfma_f32_16x16x16_bf16 a[4:7], v[6:7], v[4:5], 0
	ds_read2_b64 v[2:5], v116 offset0:32 offset1:48
	s_add_i32 s31, s62, 63
	s_mul_i32 s46, s31, s39
	s_waitcnt lgkmcnt(0)
	v_mfma_f32_16x16x16_bf16 a[8:11], v[6:7], v[2:3], 0
	s_mul_hi_u32 s47, s31, s38
	s_add_i32 s47, s47, s46
	s_mul_i32 s46, s31, s38
	v_mfma_f32_16x16x16_bf16 a[12:15], v[6:7], v[4:5], 0
	ds_read2st64_b64 v[2:5], v116 offset0:4 offset1:8
	ds_read2st64_b64 v[6:9], v118 offset0:4 offset1:8
	s_lshl_b64 s[46:47], s[46:47], 2
	s_waitcnt lgkmcnt(1)
	v_mfma_f32_16x16x16_bf16 a[0:3], v[22:23], v[2:3], a[0:3]
	s_add_u32 s46, s44, s46
	s_addc_u32 s47, s45, s47
	s_and_b64 vcc, exec, s[0:1]
	s_waitcnt lgkmcnt(0)
	v_mfma_f32_16x16x16_bf16 a[4:7], v[22:23], v[6:7], a[4:7]
	v_mov_b32_e32 v149, 0
	v_mov_b32_e32 v148, 0
	v_mov_b32_e32 v147, 0
	v_mfma_f32_16x16x16_bf16 a[8:11], v[22:23], v[10:11], a[8:11]
	ds_read_b64 v[2:3], v121 offset:49152
	ds_read_b64 v[6:7], v122 offset:49152
	;; [unrolled: 1-line block ×3, first 2 shown]
	v_mfma_f32_16x16x16_bf16 a[12:15], v[22:23], v[14:15], a[12:15]
	v_mov_b32_e32 v14, 0
	v_mov_b32_e32 v15, 0
	s_waitcnt lgkmcnt(2)
	v_mfma_f32_16x16x16_bf16 a[0:3], v[2:3], v[4:5], a[0:3]
	v_mov_b32_e32 v4, 0
	v_mov_b32_e32 v5, 0
	v_mfma_f32_16x16x16_bf16 a[4:7], v[2:3], v[8:9], a[4:7]
	v_mov_b32_e32 v8, 0
	v_mov_b32_e32 v9, 0
	;; [unrolled: 3-line block ×3, first 2 shown]
	v_mfma_f32_16x16x16_bf16 a[12:15], v[2:3], v[16:17], a[12:15]
	ds_read_b64 v[2:3], v119 offset:6144
	v_mov_b32_e32 v16, 0
	v_mov_b32_e32 v17, 0
	s_waitcnt lgkmcnt(2)
	v_mfma_f32_16x16x16_bf16 a[0:3], v[6:7], v[20:21], a[0:3]
	v_mfma_f32_16x16x16_bf16 a[4:7], v[6:7], v[18:19], a[4:7]
	s_waitcnt lgkmcnt(0)
	v_mfma_f32_16x16x16_bf16 a[8:11], v[6:7], v[2:3], a[8:11]
	v_mov_b32_e32 v2, 0
	v_mov_b32_e32 v3, 0
	v_mfma_f32_16x16x16_bf16 a[12:15], v[6:7], v[10:11], a[12:15]
	v_mov_b32_e32 v6, 0
	v_mov_b32_e32 v7, 0
	;; [unrolled: 1-line block ×4, first 2 shown]
	s_cbranch_vccnz .LBB93_13
; %bb.12:                               ;   in Loop: Header=BB93_7 Depth=1
	s_and_b32 s25, s25, 0xffff
	buffer_load_dwordx4 v[14:17], v95, s[24:27], 0 offen
	buffer_load_dwordx4 v[10:13], v95, s[24:27], s61 offen
	;; [unrolled: 1-line block ×4, first 2 shown]
	v_mov_b32_e32 v148, v97
	v_mov_b32_e32 v147, v98
.LBB93_13:                              ;   in Loop: Header=BB93_7 Depth=1
	ds_read_b64 v[38:39], v115 offset:57344
	ds_read2_b64 v[18:21], v123 offset1:16
	ds_read_b64 v[40:41], v117 offset:57344
	ds_read_b64 v[42:43], v121 offset:57344
	;; [unrolled: 1-line block ×3, first 2 shown]
	s_waitcnt lgkmcnt(3)
	v_mfma_f32_16x16x16_bf16 a[0:3], v[38:39], v[18:19], a[0:3]
	v_mfma_f32_16x16x16_bf16 a[4:7], v[38:39], v[20:21], a[4:7]
	ds_read2_b64 v[18:21], v123 offset0:32 offset1:48
	ds_read2st64_b64 v[22:25], v123 offset0:4 offset1:8
	ds_read2st64_b64 v[26:29], v124 offset0:4 offset1:8
	;; [unrolled: 1-line block ×4, first 2 shown]
	s_waitcnt lgkmcnt(4)
	v_mfma_f32_16x16x16_bf16 a[8:11], v[38:39], v[18:19], a[8:11]
	v_mfma_f32_16x16x16_bf16 a[12:15], v[38:39], v[20:21], a[12:15]
	v_add_u32_e32 v38, s62, v136
	v_ashrrev_i32_e32 v18, 31, v38
	v_mul_lo_u32 v20, v18, s38
	v_mul_lo_u32 v21, v38, s39
	v_mad_u64_u32 v[18:19], s[24:25], v38, s38, 0
	v_add3_u32 v19, v19, v21, v20
	v_add_u32_e32 v20, 1, v38
	v_ashrrev_i32_e32 v21, 31, v20
	s_waitcnt lgkmcnt(3)
	v_mfma_f32_16x16x16_bf16 a[0:3], v[40:41], v[22:23], a[0:3]
	v_mul_lo_u32 v22, v21, s38
	v_mul_lo_u32 v23, v20, s39
	v_mad_u64_u32 v[20:21], s[24:25], v20, s38, 0
	v_add3_u32 v21, v21, v23, v22
	v_add_u32_e32 v22, 2, v38
	v_ashrrev_i32_e32 v23, 31, v22
	s_waitcnt lgkmcnt(2)
	v_mfma_f32_16x16x16_bf16 a[4:7], v[40:41], v[26:27], a[4:7]
	v_mul_lo_u32 v26, v23, s38
	v_mul_lo_u32 v27, v22, s39
	v_mad_u64_u32 v[22:23], s[24:25], v22, s38, 0
	v_add3_u32 v23, v23, v27, v26
	v_add_u32_e32 v26, 3, v38
	v_lshl_add_u64 v[18:19], v[18:19], 2, s[44:45]
	v_lshl_add_u64 v[20:21], v[20:21], 2, s[44:45]
	v_ashrrev_i32_e32 v27, 31, v26
	s_waitcnt lgkmcnt(1)
	v_mfma_f32_16x16x16_bf16 a[8:11], v[40:41], v[30:31], a[8:11]
	v_mul_lo_u32 v27, v27, s38
	global_load_dword v30, v[18:19], off
	v_mul_lo_u32 v31, v26, s39
	s_waitcnt lgkmcnt(0)
	v_mfma_f32_16x16x16_bf16 a[12:15], v[40:41], v[34:35], a[12:15]
	global_load_dword v34, v[20:21], off
	v_mad_u64_u32 v[18:19], s[24:25], v26, s38, 0
	v_add3_u32 v19, v19, v31, v27
	s_add_u32 s24, s42, s62
	v_lshl_add_u64 v[22:23], v[22:23], 2, s[44:45]
	v_lshl_add_u64 v[18:19], v[18:19], 2, s[44:45]
	s_addc_u32 s25, s43, 0
	global_load_dword v31, v[22:23], off
	global_load_dword v35, v[18:19], off
	s_lshl_b64 s[24:25], s[24:25], 8
	v_lshl_add_u64 v[18:19], v[80:81], 0, s[24:25]
	v_lshl_add_u64 v[18:19], v[18:19], 0, v[78:79]
	global_load_ushort v38, v[18:19], off offset:256
	global_load_ushort v39, v[18:19], off
	global_load_ushort v40, v[18:19], off offset:768
	global_load_ushort v41, v[18:19], off offset:512
	;; [unrolled: 1-line block ×6, first 2 shown]
	s_load_dword s46, s[46:47], 0x0
	v_mfma_f32_16x16x16_bf16 a[12:15], v[42:43], v[36:37], a[12:15]
	global_load_ushort v36, v[18:19], off offset:320
	global_load_ushort v37, v[18:19], off offset:64
	s_and_b64 vcc, exec, s[0:1]
	v_mfma_f32_16x16x16_bf16 a[0:3], v[42:43], v[24:25], a[0:3]
	ds_read_b64 v[20:21], v123 offset:6144
	ds_read_b64 v[22:23], v124 offset:6144
	;; [unrolled: 1-line block ×4, first 2 shown]
	v_mfma_f32_16x16x16_bf16 a[4:7], v[42:43], v[28:29], a[4:7]
	s_waitcnt vmcnt(11) lgkmcnt(0)
	v_sub_f32_e32 v28, s46, v31
	v_mfma_f32_16x16x16_bf16 a[8:11], v[42:43], v[32:33], a[8:11]
	global_load_ushort v42, v[18:19], off offset:832
	global_load_ushort v43, v[18:19], off offset:576
	;; [unrolled: 1-line block ×6, first 2 shown]
	v_mfma_f32_16x16x16_bf16 a[0:3], v[150:151], v[20:21], a[0:3]
	s_waitcnt vmcnt(16)
	v_sub_f32_e32 v29, s46, v35
	v_mul_f32_e32 v28, 0x3fb8aa3b, v28
	v_mul_f32_e32 v29, 0x3fb8aa3b, v29
	v_exp_f32_e32 v28, v28
	v_exp_f32_e32 v29, v29
	s_waitcnt vmcnt(15)
	v_lshlrev_b32_e32 v33, 16, v38
	s_waitcnt vmcnt(14)
	v_lshlrev_b32_e32 v32, 16, v39
	v_accvgpr_read_b32 v21, a3
	v_accvgpr_read_b32 v20, a2
	v_mfma_f32_16x16x16_bf16 a[2:5], v[150:151], v[22:23], a[4:7]
	v_mfma_f32_16x16x16_bf16 a[6:9], v[150:151], v[24:25], a[8:11]
	s_nop 5
	v_accvgpr_read_b32 v23, a5
	v_accvgpr_read_b32 v22, a4
	;; [unrolled: 1-line block ×4, first 2 shown]
	v_mfma_f32_16x16x16_bf16 a[8:11], v[150:151], v[26:27], a[12:15]
	v_sub_f32_e32 v26, s46, v30
	v_sub_f32_e32 v27, s46, v34
	v_mul_f32_e32 v26, 0x3fb8aa3b, v26
	v_mul_f32_e32 v27, 0x3fb8aa3b, v27
	v_exp_f32_e32 v26, v26
	v_exp_f32_e32 v27, v27
	v_accvgpr_read_b32 v35, a1
	v_accvgpr_read_b32 v34, a0
	v_lshl_add_u64 v[30:31], v[82:83], 0, s[24:25]
	v_pk_add_f32 v[32:33], v[32:33], v[34:35] neg_lo:[0,1] neg_hi:[0,1]
	s_waitcnt vmcnt(13)
	v_lshlrev_b32_e32 v35, 16, v40
	s_waitcnt vmcnt(12)
	v_lshlrev_b32_e32 v34, 16, v41
	v_lshl_add_u64 v[30:31], v[30:31], 0, v[78:79]
	v_pk_add_f32 v[20:21], v[34:35], v[20:21] neg_lo:[0,1] neg_hi:[0,1]
	global_store_short_d16_hi v[30:31], v32, off
	global_store_short_d16_hi v[30:31], v33, off offset:256
	global_store_short_d16_hi v[30:31], v20, off offset:512
	;; [unrolled: 1-line block ×3, first 2 shown]
	v_pk_mul_f32 v[32:33], v[26:27], v[32:33]
	v_pk_mul_f32 v[20:21], v[28:29], v[20:21]
	v_accvgpr_read_b32 v35, a3
	v_perm_b32 v21, v21, v20, s41
	v_perm_b32 v20, v33, v32, s41
	s_waitcnt vmcnt(15)
	v_lshlrev_b32_e32 v33, 16, v44
	s_waitcnt vmcnt(14)
	v_lshlrev_b32_e32 v32, 16, v152
	v_accvgpr_read_b32 v34, a2
	v_pk_add_f32 v[32:33], v[32:33], v[34:35] neg_lo:[0,1] neg_hi:[0,1]
	s_waitcnt vmcnt(13)
	v_lshlrev_b32_e32 v35, 16, v153
	s_waitcnt vmcnt(12)
	v_lshlrev_b32_e32 v34, 16, v154
	v_pk_add_f32 v[22:23], v[34:35], v[22:23] neg_lo:[0,1] neg_hi:[0,1]
	global_store_short_d16_hi v[30:31], v32, off offset:32
	global_store_short_d16_hi v[30:31], v33, off offset:288
	;; [unrolled: 1-line block ×4, first 2 shown]
	v_pk_mul_f32 v[32:33], v[26:27], v[32:33]
	v_pk_mul_f32 v[22:23], v[28:29], v[22:23]
	v_accvgpr_read_b32 v25, a11
	v_perm_b32 v23, v23, v22, s41
	v_perm_b32 v22, v33, v32, s41
	ds_write2_b64 v100, v[20:21], v[22:23] offset1:16
	v_accvgpr_read_b32 v23, a7
	s_waitcnt vmcnt(15)
	v_lshlrev_b32_e32 v21, 16, v36
	s_waitcnt vmcnt(14)
	v_lshlrev_b32_e32 v20, 16, v37
	v_accvgpr_read_b32 v22, a6
	v_pk_add_f32 v[20:21], v[20:21], v[22:23] neg_lo:[0,1] neg_hi:[0,1]
	global_store_short_d16_hi v[30:31], v20, off offset:64
	global_store_short_d16_hi v[30:31], v21, off offset:320
	v_pk_mul_f32 v[20:21], v[26:27], v[20:21]
	v_accvgpr_read_b32 v24, a10
	v_perm_b32 v20, v21, v20, s41
	v_mov_b32_e32 v150, 0
	v_mov_b32_e32 v32, 0
	;; [unrolled: 1-line block ×3, first 2 shown]
	s_waitcnt vmcnt(15)
	v_lshlrev_b32_e32 v23, 16, v42
	s_waitcnt vmcnt(14)
	v_lshlrev_b32_e32 v22, 16, v43
	v_pk_add_f32 v[18:19], v[22:23], v[18:19] neg_lo:[0,1] neg_hi:[0,1]
	global_store_short_d16_hi v[30:31], v18, off offset:576
	global_store_short_d16_hi v[30:31], v19, off offset:832
	v_pk_mul_f32 v[18:19], v[28:29], v[18:19]
	v_accvgpr_read_b32 v23, a9
	v_perm_b32 v21, v19, v18, s41
	s_waitcnt vmcnt(15)
	v_lshlrev_b32_e32 v19, 16, v155
	s_waitcnt vmcnt(14)
	v_lshlrev_b32_e32 v18, 16, v156
	v_accvgpr_read_b32 v22, a8
	v_pk_add_f32 v[18:19], v[18:19], v[22:23] neg_lo:[0,1] neg_hi:[0,1]
	s_waitcnt vmcnt(13)
	v_lshlrev_b32_e32 v23, 16, v157
	s_waitcnt vmcnt(12)
	v_lshlrev_b32_e32 v22, 16, v158
	v_pk_add_f32 v[22:23], v[22:23], v[24:25] neg_lo:[0,1] neg_hi:[0,1]
	global_store_short_d16_hi v[30:31], v18, off offset:96
	global_store_short_d16_hi v[30:31], v19, off offset:352
	;; [unrolled: 1-line block ×4, first 2 shown]
	v_pk_mul_f32 v[18:19], v[26:27], v[18:19]
	v_pk_mul_f32 v[22:23], v[28:29], v[22:23]
	v_mov_b32_e32 v24, 0
	v_perm_b32 v23, v23, v22, s41
	v_perm_b32 v22, v19, v18, s41
	ds_write2_b64 v100, v[20:21], v[22:23] offset0:32 offset1:48
	v_mov_b32_e32 v18, 0
	v_mov_b32_e32 v19, 0
	;; [unrolled: 1-line block ×13, first 2 shown]
	s_cbranch_vccnz .LBB93_15
; %bb.14:                               ;   in Loop: Header=BB93_7 Depth=1
	s_and_b32 s29, s29, 0xffff
	s_mov_b32 s31, s27
	buffer_load_dwordx4 v[30:33], v133, s[28:31], 0 offen
	buffer_load_dwordx4 v[22:25], v133, s[28:31], s61 offen
	;; [unrolled: 1-line block ×4, first 2 shown]
	v_mov_b32_e32 v149, v94
	v_mov_b32_e32 v150, v93
.LBB93_15:                              ;   in Loop: Header=BB93_7 Depth=1
	s_waitcnt lgkmcnt(0)
	s_barrier
	ds_read_b64 v[42:43], v138
	ds_read2_b64 v[34:37], v129 offset1:16
	ds_read_b64 v[168:169], v139
	ds_read_b64 v[170:171], v140
	;; [unrolled: 1-line block ×3, first 2 shown]
	ds_read2_b64 v[38:41], v129 offset0:32 offset1:48
	ds_read2st64_b64 v[152:155], v129 offset0:4 offset1:8
	ds_read2st64_b64 v[156:159], v130 offset0:4 offset1:8
	;; [unrolled: 1-line block ×4, first 2 shown]
	s_waitcnt lgkmcnt(8)
	v_mfma_f32_16x16x16_bf16 a[0:3], v[42:43], v[34:35], 0
	s_add_i32 s24, s55, s69
	s_mul_hi_i32 s25, s24, s13
	s_mul_i32 s24, s24, s13
	v_mfma_f32_16x16x16_bf16 a[4:7], v[42:43], v[36:37], 0
	s_add_u32 s24, s24, s33
	s_addc_u32 s25, s25, s59
	s_add_i32 s28, s3, s62
	s_waitcnt lgkmcnt(4)
	v_mfma_f32_16x16x16_bf16 a[8:11], v[42:43], v[38:39], 0
	s_lshl_b64 s[24:25], s[24:25], 15
	s_mul_hi_i32 s29, s28, s13
	s_mul_i32 s28, s28, s13
	v_mfma_f32_16x16x16_bf16 a[12:15], v[42:43], v[40:41], 0
	ds_read_b64 v[42:43], v129 offset:6144
	ds_read_b64 v[180:181], v130 offset:6144
	;; [unrolled: 1-line block ×4, first 2 shown]
	s_add_u32 s28, s28, s33
	s_waitcnt lgkmcnt(7)
	v_mfma_f32_16x16x16_bf16 a[0:3], v[168:169], v[152:153], a[0:3]
	s_addc_u32 s29, s29, s59
	s_lshl_b64 s[28:29], s[28:29], 9
	s_add_u32 s28, s36, s28
	s_waitcnt lgkmcnt(6)
	v_mfma_f32_16x16x16_bf16 a[4:7], v[168:169], v[156:157], a[4:7]
	s_addc_u32 s29, s37, s29
	v_lshl_add_u64 v[190:191], v[84:85], 0, s[24:25]
	s_waitcnt lgkmcnt(5)
	v_mfma_f32_16x16x16_bf16 a[8:11], v[168:169], v[160:161], a[8:11]
	s_waitcnt lgkmcnt(4)
	v_mfma_f32_16x16x16_bf16 a[12:15], v[168:169], v[164:165], a[12:15]
	ds_read_b64 v[168:169], v143
	ds_read_b64 v[178:179], v144
	;; [unrolled: 1-line block ×3, first 2 shown]
	s_waitcnt lgkmcnt(2)
	v_mfma_f32_16x16x16_bf16 a[16:19], v[168:169], v[34:35], 0
	v_mfma_f32_16x16x16_bf16 a[20:23], v[168:169], v[36:37], 0
	global_load_dwordx4 v[34:37], v142, s[28:29]
	v_mfma_f32_16x16x16_bf16 a[24:27], v[168:169], v[38:39], 0
	v_mfma_f32_16x16x16_bf16 a[28:31], v[168:169], v[40:41], 0
	global_load_dwordx4 v[38:41], v137, s[28:29]
	v_mfma_f32_16x16x16_bf16 a[0:3], v[170:171], v[154:155], a[0:3]
	v_mfma_f32_16x16x16_bf16 a[4:7], v[170:171], v[158:159], a[4:7]
	;; [unrolled: 1-line block ×8, first 2 shown]
	ds_read2st64_b64 v[168:171], v127 offset1:8
	ds_read2st64_b64 v[172:175], v128 offset1:8
	ds_read_b64 v[188:189], v135 offset:40960
	s_waitcnt lgkmcnt(2)
	v_mov_b32_e32 v176, v168
	v_mfma_f32_16x16x16_bf16 a[16:19], v[178:179], v[152:153], a[16:19]
	v_mov_b32_e32 v177, v169
	v_mfma_f32_16x16x16_bf16 a[20:23], v[178:179], v[156:157], a[20:23]
	v_mfma_f32_16x16x16_bf16 a[24:27], v[178:179], v[160:161], a[24:27]
	;; [unrolled: 1-line block ×3, first 2 shown]
	v_add_co_u32_e32 v164, vcc, s66, v190
	s_waitcnt lgkmcnt(1)
	v_mov_b32_e32 v178, v172
	s_waitcnt lgkmcnt(0)
	v_mfma_f32_16x16x16_bf16 a[16:19], v[188:189], v[154:155], a[16:19]
	ds_read2st64_b64 v[152:155], v127 offset0:16 offset1:24
	v_addc_co_u32_e32 v165, vcc, 0, v191, vcc
	v_mfma_f32_16x16x16_bf16 a[20:23], v[188:189], v[158:159], a[20:23]
	ds_read2st64_b64 v[156:159], v128 offset0:16 offset1:24
	v_mov_b32_e32 v179, v173
	v_mov_b32_e32 v172, v170
	v_mfma_f32_16x16x16_bf16 a[32:35], v[188:189], v[162:163], a[24:27]
	v_mov_b32_e32 v173, v171
	s_waitcnt lgkmcnt(0)
	v_mov_b32_e32 v162, v156
	v_mov_b32_e32 v163, v157
	v_mfma_f32_16x16x16_bf16 a[36:39], v[188:189], v[166:167], a[28:31]
	v_mov_b32_e32 v156, v154
	v_mov_b32_e32 v157, v155
	;; [unrolled: 1-line block ×3, first 2 shown]
	v_mfma_f32_16x16x16_bf16 a[24:27], v[186:187], v[42:43], a[16:19]
	v_add_co_u32_e32 v42, vcc, s67, v190
	v_mov_b32_e32 v161, v153
	v_mfma_f32_16x16x16_bf16 a[28:31], v[186:187], v[180:181], a[20:23]
	v_addc_co_u32_e32 v43, vcc, 0, v191, vcc
	global_store_dwordx4 v[42:43], v[156:159], off
	v_mfma_f32_16x16x16_bf16 a[16:19], v[186:187], v[182:183], a[32:35]
	s_waitcnt vmcnt(2)
	v_mov_b32_e32 v44, v37
	v_mov_b32_e32 v43, v36
	;; [unrolled: 1-line block ×3, first 2 shown]
	v_mfma_f32_16x16x16_bf16 a[20:23], v[186:187], v[184:185], a[36:39]
	s_and_b64 vcc, exec, s[0:1]
	global_store_dwordx4 v[190:191], v[176:179], off
	global_store_dwordx4 v[164:165], v[172:175], off offset:-4096
	global_store_dwordx4 v[164:165], v[160:163], off
	s_cbranch_vccnz .LBB93_6
; %bb.16:                               ;   in Loop: Header=BB93_7 Depth=1
	v_lshrrev_b32_e32 v35, 3, v149
	v_and_b32_e32 v35, 6, v35
	v_xor_b32_e32 v36, v35, v150
	v_lshlrev_b32_e32 v36, 2, v36
	v_and_b32_e32 v37, 8, v149
	v_xor_b32_e32 v149, 0x440, v36
	v_cmp_eq_u32_e32 vcc, 0, v37
	v_perm_b32 v37, v22, v18, s63
	s_nop 0
	v_cndmask_b32_e32 v36, v149, v36, vcc
	v_lshl_or_b32 v35, v35, 10, v36
	v_perm_b32 v36, v30, v26, s63
	s_barrier
	ds_write2st64_b32 v35, v36, v37 offset0:128 offset1:160
	v_xor_b32_e32 v36, 8, v35
	v_perm_b32 v26, v30, v26, s64
	v_perm_b32 v18, v22, v18, s64
	v_add_u32_e32 v22, 0x80, v36
	ds_write2st64_b32 v22, v26, v18 offset0:128 offset1:160
	v_xor_b32_e32 v18, 16, v35
	v_perm_b32 v22, v31, v27, s63
	v_perm_b32 v26, v23, v19, s63
	ds_write2st64_b32 v18, v22, v26 offset0:129 offset1:161
	v_xor_b32_e32 v18, 24, v35
	v_perm_b32 v22, v31, v27, s64
	v_perm_b32 v19, v23, v19, s64
	v_add_u32_e32 v18, 0x80, v18
	ds_write2st64_b32 v18, v22, v19 offset0:129 offset1:161
	v_xor_b32_e32 v18, 32, v35
	v_perm_b32 v19, v32, v28, s63
	v_perm_b32 v22, v24, v20, s63
	;; [unrolled: 9-line block ×3, first 2 shown]
	ds_write2st64_b32 v18, v19, v20 offset0:131 offset1:163
	v_xor_b32_e32 v18, 56, v35
	v_perm_b32 v19, v33, v29, s64
	v_perm_b32 v20, v25, v21, s64
	v_add_u32_e32 v18, 0x80, v18
	ds_write2st64_b32 v18, v19, v20 offset0:131 offset1:163
	ds_write_b64 v148, v[14:15] offset:49152
	v_xor_b32_e32 v14, 8, v148
	ds_write_b64 v14, v[16:17] offset:49152
	ds_write_b64 v148, v[10:11] offset:57344
	;; [unrolled: 1-line block ×4, first 2 shown]
	v_xor_b32_e32 v6, 8, v147
	ds_write_b64 v6, v[8:9] offset:49152
	ds_write_b64 v147, v[2:3] offset:57344
	;; [unrolled: 1-line block ×3, first 2 shown]
	s_branch .LBB93_6
.LBB93_17:
	s_lshl_b32 s46, s53, 6
	s_sub_i32 s47, s12, s46
	s_cmp_gt_i32 s47, 0
	v_or_b32_e32 v18, s2, v89
	s_cbranch_scc1 .LBB93_19
; %bb.18:
	s_ashr_i32 s0, s33, 31
	s_add_u32 s28, s50, s33
	s_addc_u32 s29, s56, s0
	v_or_b32_e32 v2, s2, v89
	s_cbranch_execz .LBB93_20
	s_branch .LBB93_100
.LBB93_19:
                                        ; implicit-def: $sgpr28_sgpr29
                                        ; implicit-def: $vgpr2
.LBB93_20:
	s_ashr_i32 s41, s52, 31
	s_ashr_i32 s3, s46, 31
	s_cmpk_lg_i32 s15, 0x80
	s_cselect_b64 s[42:43], -1, 0
	s_and_b64 vcc, exec, s[42:43]
	s_cbranch_vccz .LBB93_22
; %bb.21:
	s_mul_hi_i32 s0, s52, s12
	s_add_u32 s1, s48, s46
	s_addc_u32 s0, s0, s3
	s_mul_i32 s24, s1, s54
	s_mul_hi_u32 s25, s1, s14
	s_add_i32 s24, s25, s24
	s_mul_i32 s0, s0, s14
	s_add_i32 s24, s24, s0
	s_mul_i32 s1, s1, s14
	s_ashr_i32 s0, s57, 31
	s_add_u32 s44, s1, s57
	s_addc_u32 s45, s24, s0
	s_cbranch_execz .LBB93_23
	s_branch .LBB93_24
.LBB93_22:
                                        ; implicit-def: $sgpr44_sgpr45
.LBB93_23:
	s_mul_hi_i32 s0, s52, s14
	s_mul_i32 s52, s52, s14
	s_ashr_i32 s1, s57, 31
	s_add_u32 s14, s52, s57
	s_addc_u32 s0, s0, s1
	s_mul_i32 s1, s14, s51
	s_mul_hi_u32 s24, s14, s12
	s_add_i32 s1, s24, s1
	s_mul_i32 s0, s0, s12
	s_add_i32 s1, s1, s0
	s_mul_i32 s14, s14, s12
	s_add_u32 s44, s14, s46
	s_addc_u32 s45, s1, s3
.LBB93_24:
	s_add_i32 s24, s55, s53
	s_ashr_i32 s14, s33, 31
	s_add_u32 s28, s50, s33
	s_addc_u32 s29, s56, s14
	s_mul_i32 s0, s28, s51
	s_mul_hi_u32 s1, s28, s12
	s_add_i32 s0, s1, s0
	s_mul_i32 s1, s29, s12
	s_add_i32 s1, s0, s1
	s_mul_i32 s0, s28, s12
	s_add_u32 s0, s0, s46
	v_lshlrev_b32_e32 v6, 6, v1
	v_lshlrev_b32_e32 v27, 2, v89
	s_addc_u32 s1, s1, s3
	s_mov_b32 s3, 0x7060302
	v_or_b32_e32 v9, v6, v27
	v_xor_b32_e32 v7, v1, v27
	v_perm_b32 v3, v77, v76, s3
	v_perm_b32 v2, v75, v74, s3
	;; [unrolled: 1-line block ×4, first 2 shown]
	v_lshlrev_b32_e32 v9, 1, v9
	v_xor_b32_e32 v8, v92, v27
	ds_write2st64_b64 v9, v[2:3], v[4:5] offset0:32 offset1:48
	v_lshlrev_b32_e32 v7, 1, v7
	v_lshlrev_b32_e32 v9, 8, v89
	v_or_b32_e32 v10, v7, v9
	v_lshlrev_b32_e32 v8, 1, v8
	ds_write_b64 v10, v[2:3]
	v_or_b32_e32 v2, v8, v9
	v_or_b32_e32 v9, 16, v89
	v_lshlrev_b32_e32 v25, 2, v9
	v_or_b32_e32 v10, v6, v25
	ds_write_b64 v2, v[4:5]
	v_perm_b32 v3, v69, v68, s3
	v_perm_b32 v2, v67, v66, s3
	;; [unrolled: 1-line block ×4, first 2 shown]
	v_lshlrev_b32_e32 v10, 1, v10
	v_lshlrev_b32_e32 v9, 8, v9
	ds_write2st64_b64 v10, v[2:3], v[4:5] offset0:32 offset1:48
	v_or_b32_e32 v10, v7, v9
	ds_write_b64 v10, v[2:3]
	v_or_b32_e32 v2, v8, v9
	v_or_b32_e32 v9, 32, v89
	v_lshlrev_b32_e32 v24, 2, v9
	v_or_b32_e32 v10, v6, v24
	ds_write_b64 v2, v[4:5]
	v_perm_b32 v3, v61, v60, s3
	v_perm_b32 v2, v59, v58, s3
	;; [unrolled: 1-line block ×4, first 2 shown]
	v_lshlrev_b32_e32 v10, 1, v10
	v_lshlrev_b32_e32 v9, 8, v9
	s_lshl_b64 s[30:31], s[0:1], 8
	ds_write2st64_b64 v10, v[2:3], v[4:5] offset0:32 offset1:48
	v_or_b32_e32 v10, v7, v9
	s_add_u32 s0, s6, s30
	ds_write_b64 v10, v[2:3]
	v_or_b32_e32 v2, v8, v9
	s_addc_u32 s1, s7, s31
	ds_write_b64 v2, v[4:5]
	v_perm_b32 v3, v53, v52, s3
	v_perm_b32 v2, v51, v50, s3
	;; [unrolled: 1-line block ×4, first 2 shown]
	v_or_b32_e32 v9, 48, v89
	s_mul_hi_i32 s3, s24, s13
	s_mul_i32 s24, s24, s13
	v_lshlrev_b32_e32 v21, 2, v9
	s_add_u32 s6, s24, s33
	v_or_b32_e32 v6, v6, v21
	s_addc_u32 s7, s3, s14
	v_lshlrev_b32_e32 v6, 1, v6
	s_ashr_i32 s3, s2, 31
	s_lshl_b64 s[6:7], s[6:7], 15
	ds_write2st64_b64 v6, v[2:3], v[4:5] offset0:32 offset1:48
	v_lshlrev_b32_e32 v6, 8, v9
	s_add_u32 s6, s16, s6
	v_or_b32_e32 v7, v7, v6
	s_addc_u32 s7, s17, s7
	s_lshl_b64 s[2:3], s[2:3], 8
	ds_write_b64 v7, v[2:3]
	v_or_b32_e32 v2, v8, v6
	s_add_u32 s2, s6, s2
	v_lshlrev_b32_e32 v3, 1, v89
	ds_write_b64 v2, v[4:5]
	v_lshrrev_b32_e32 v2, 4, v0
	s_addc_u32 s3, s7, s3
	v_or_b32_e32 v4, 1, v3
	v_lshlrev_b32_e32 v10, 4, v89
	v_mov_b32_e32 v11, 0
	v_xor_b32_e32 v3, v2, v3
	v_xor_b32_e32 v6, v4, v2
	v_lshl_add_u64 v[12:13], s[2:3], 0, v[10:11]
	v_lshlrev_b32_e32 v10, 8, v2
	v_lshl_or_b32 v16, v3, 3, v10
	v_lshl_or_b32 v17, v6, 3, v10
	s_waitcnt lgkmcnt(0)
	s_barrier
	ds_read2st64_b64 v[2:5], v16 offset1:8
	ds_read2st64_b64 v[6:9], v17 offset1:8
	v_lshl_add_u64 v[14:15], v[12:13], 0, v[10:11]
	s_movk_i32 s2, 0x2000
	s_cmp_lg_u32 s47, 64
	s_waitcnt lgkmcnt(1)
	v_mov_b32_e32 v10, v2
	v_mov_b32_e32 v11, v3
	s_waitcnt lgkmcnt(0)
	v_mov_b32_e32 v12, v6
	v_mov_b32_e32 v13, v7
	global_store_dwordx4 v[14:15], v[10:13], off
	v_mov_b32_e32 v6, v4
	v_mov_b32_e32 v7, v5
	ds_read2st64_b64 v[2:5], v16 offset0:16 offset1:24
	ds_read2st64_b64 v[10:13], v17 offset0:16 offset1:24
	v_add_co_u32_e32 v16, vcc, s2, v14
	s_cselect_b64 s[6:7], -1, 0
	s_nop 0
	v_addc_co_u32_e32 v17, vcc, 0, v15, vcc
	global_store_dwordx4 v[16:17], v[6:9], off offset:-4096
	v_lshl_or_b32 v19, v45, 3, v91
	s_mov_b32 s24, 0
	s_waitcnt lgkmcnt(1)
	v_mov_b32_e32 v6, v2
	v_add_co_u32_e32 v2, vcc, 0x3000, v14
	v_mov_b32_e32 v7, v3
	s_nop 0
	v_addc_co_u32_e32 v3, vcc, 0, v15, vcc
	s_waitcnt lgkmcnt(0)
	v_mov_b32_e32 v8, v10
	v_mov_b32_e32 v9, v11
	v_mov_b32_e32 v10, v4
	v_mov_b32_e32 v11, v5
	v_or_b32_e32 v22, 32, v19
	v_and_b32_e32 v20, 56, v90
	s_and_b64 vcc, exec, s[6:7]
	global_store_dwordx4 v[16:17], v[6:9], off
	global_store_dwordx4 v[2:3], v[10:13], off
	s_cbranch_vccz .LBB93_30
; %bb.25:
	s_mov_b32 s25, s24
	s_mov_b32 s26, s24
	;; [unrolled: 1-line block ×3, first 2 shown]
	v_mov_b64_e32 v[6:7], s[24:25]
	v_mov_b64_e32 v[8:9], s[26:27]
	;; [unrolled: 1-line block ×3, first 2 shown]
	v_cmp_gt_i32_e32 vcc, s47, v19
	v_mov_b64_e32 v[4:5], v[8:9]
	s_and_saveexec_b64 s[2:3], vcc
	s_cbranch_execz .LBB93_27
; %bb.26:
	v_lshlrev_b32_e32 v2, 8, v19
	v_mov_b32_e32 v3, 0
	v_lshl_add_u64 v[4:5], s[0:1], 0, v[2:3]
	v_lshlrev_b32_e32 v2, 1, v20
	v_lshl_add_u64 v[10:11], v[4:5], 0, v[2:3]
	global_load_dwordx4 v[6:9], v[10:11], off
	global_load_dwordx4 v[2:5], v[10:11], off offset:128
.LBB93_27:
	s_or_b64 exec, exec, s[2:3]
	s_mov_b32 s25, s24
	s_mov_b32 s26, s24
	;; [unrolled: 1-line block ×3, first 2 shown]
	v_mov_b64_e32 v[14:15], s[24:25]
	v_mov_b64_e32 v[16:17], s[26:27]
	;; [unrolled: 1-line block ×3, first 2 shown]
	v_cmp_gt_i32_e32 vcc, s47, v22
	v_lshlrev_b32_e32 v23, 7, v22
	v_mov_b64_e32 v[12:13], v[16:17]
	s_and_saveexec_b64 s[2:3], vcc
	s_cbranch_execz .LBB93_29
; %bb.28:
	v_lshlrev_b32_e32 v10, 1, v23
	v_mov_b32_e32 v11, 0
	v_lshl_add_u64 v[12:13], s[0:1], 0, v[10:11]
	v_lshlrev_b32_e32 v10, 1, v20
	v_lshl_add_u64 v[28:29], v[12:13], 0, v[10:11]
	global_load_dwordx4 v[14:17], v[28:29], off
	global_load_dwordx4 v[10:13], v[28:29], off offset:128
.LBB93_29:
	s_or_b64 exec, exec, s[2:3]
	v_lshrrev_b32_e32 v26, 3, v20
	v_lshlrev_b32_e32 v28, 3, v19
	v_or_b32_e32 v26, v28, v26
	v_lshlrev_b32_e32 v26, 4, v26
	v_and_b32_e32 v28, 0x78, v28
	v_xor_b32_e32 v26, v26, v28
	s_branch .LBB93_32
.LBB93_30:
                                        ; implicit-def: $vgpr26
                                        ; implicit-def: $vgpr23
                                        ; implicit-def: $vgpr6_vgpr7_vgpr8_vgpr9
                                        ; implicit-def: $vgpr2_vgpr3_vgpr4_vgpr5
                                        ; implicit-def: $vgpr14_vgpr15_vgpr16_vgpr17
                                        ; implicit-def: $vgpr10_vgpr11_vgpr12_vgpr13
	s_cbranch_execz .LBB93_32
; %bb.31:
	s_waitcnt vmcnt(0)
	v_lshlrev_b32_e32 v2, 1, v20
	v_lshl_or_b32 v23, v19, 8, v2
	s_and_b32 s1, s1, 0xffff
	s_mov_b32 s3, 0x20000
	s_movk_i32 s2, 0x4000
	v_lshl_or_b32 v26, v22, 8, v2
	s_movk_i32 s16, 0x80
	buffer_load_dwordx4 v[6:9], v23, s[0:3], 0 offen
	buffer_load_dwordx4 v[2:5], v23, s[0:3], s16 offen
	;; [unrolled: 1-line block ×4, first 2 shown]
	v_lshrrev_b32_e32 v23, 3, v20
	v_lshlrev_b32_e32 v26, 3, v19
	v_or_b32_e32 v23, v26, v23
	v_lshlrev_b32_e32 v23, 4, v23
	v_and_b32_e32 v26, 0x78, v26
	v_xor_b32_e32 v26, v23, v26
	v_lshlrev_b32_e32 v23, 7, v22
.LBB93_32:
	s_movk_i32 s0, 0x1000
	v_and_or_b32 v22, v23, s0, v26
	s_waitcnt vmcnt(1)
	ds_write_b64 v26, v[6:7] offset:49152
	v_xor_b32_e32 v6, 8, v26
	ds_write_b64 v6, v[8:9] offset:49152
	s_waitcnt vmcnt(0)
	ds_write_b64 v26, v[2:3] offset:57344
	ds_write_b64 v6, v[4:5] offset:57344
	;; [unrolled: 1-line block ×3, first 2 shown]
	v_xor_b32_e32 v2, 8, v22
	ds_write_b64 v2, v[16:17] offset:49152
	ds_write_b64 v22, v[10:11] offset:57344
	;; [unrolled: 1-line block ×3, first 2 shown]
	v_or_b32_e32 v2, v86, v89
	v_lshlrev_b32_e32 v2, 3, v2
	v_lshrrev_b32_e32 v3, 5, v87
	s_movk_i32 s0, 0xf8
	v_and_or_b32 v3, v2, s0, v3
	v_lshlrev_b32_e32 v7, 4, v3
	v_lshlrev_b32_e32 v26, 11, v45
	v_and_b32_e32 v8, 0x78, v2
	v_or_b32_e32 v10, 32, v7
	v_and_b32_e32 v6, 0x1000, v26
	v_lshrrev_b32_e32 v3, 1, v87
	v_xor_b32_e32 v10, v10, v8
	v_xor_b32_e32 v2, v7, v8
	v_and_b32_e32 v9, 8, v3
	v_or_b32_e32 v10, v10, v6
	v_or_b32_e32 v2, v2, v6
	v_xor_b32_e32 v33, v10, v9
	v_or_b32_e32 v10, 64, v7
	v_xor_b32_e32 v32, v2, v9
	v_xor_b32_e32 v10, v10, v8
	s_waitcnt lgkmcnt(0)
	s_barrier
	v_or_b32_e32 v13, v10, v6
	ds_read_b64 v[10:11], v32 offset:49152
	v_lshl_or_b32 v14, v88, 8, v27
	v_lshlrev_b32_e32 v28, 1, v14
	v_add_u32_e32 v12, 0x4000, v28
	ds_read2_b64 v[2:5], v12 offset1:16
	v_or_b32_e32 v7, 0x60, v7
	v_xor_b32_e32 v7, v7, v8
	v_or_b32_e32 v6, v7, v6
	v_xor_b32_e32 v34, v13, v9
	v_xor_b32_e32 v35, v6, v9
	ds_read_b64 v[22:23], v33 offset:49152
	ds_read_b64 v[36:37], v34 offset:49152
	;; [unrolled: 1-line block ×3, first 2 shown]
	s_waitcnt lgkmcnt(3)
	v_mfma_f32_16x16x16_bf16 a[0:3], v[10:11], v[2:3], 0
	ds_read2_b64 v[6:9], v12 offset0:32 offset1:48
	s_lshl_b64 s[0:1], s[44:45], 8
	s_add_u32 s4, s4, s0
	v_mfma_f32_16x16x16_bf16 a[4:7], v[10:11], v[4:5], 0
	ds_read2st64_b64 v[2:5], v28 offset0:36 offset1:40
	s_addc_u32 s5, s5, s1
	s_add_i32 s16, s12, -1
	s_waitcnt lgkmcnt(1)
	v_mfma_f32_16x16x16_bf16 a[8:11], v[10:11], v[6:7], 0
	v_or_b32_e32 v6, 64, v14
	v_lshlrev_b32_e32 v29, 1, v6
	s_add_i32 s0, s49, s21
	s_waitcnt lgkmcnt(0)
	v_mfma_f32_16x16x16_bf16 a[0:3], v[22:23], v[2:3], a[0:3]
	v_or_b32_e32 v2, 0x80, v14
	v_lshlrev_b32_e32 v30, 1, v2
	v_or_b32_e32 v2, 0xc0, v14
	v_mfma_f32_16x16x16_bf16 a[12:15], v[10:11], v[8:9], 0
	ds_read2st64_b64 v[6:9], v29 offset0:36 offset1:40
	v_lshlrev_b32_e32 v31, 1, v2
	ds_read2st64_b64 v[10:13], v30 offset0:36 offset1:40
	ds_read2st64_b64 v[14:17], v31 offset0:36 offset1:40
	s_mul_i32 s41, s41, s20
	s_add_i32 s41, s0, s41
	s_mul_i32 s0, s33, s23
	s_mul_hi_u32 s1, s33, s22
	s_ashr_i32 s2, s16, 31
	s_mul_i32 s3, s16, s39
	s_mul_hi_u32 s12, s16, s38
	s_waitcnt lgkmcnt(2)
	v_mfma_f32_16x16x16_bf16 a[4:7], v[22:23], v[6:7], a[4:7]
	s_add_i32 s0, s1, s0
	s_mul_i32 s1, s14, s22
	s_add_i32 s3, s12, s3
	s_mul_i32 s2, s2, s38
	s_waitcnt lgkmcnt(1)
	v_mfma_f32_16x16x16_bf16 a[8:11], v[22:23], v[10:11], a[8:11]
	s_add_i32 s1, s0, s1
	s_add_i32 s3, s3, s2
	s_lshl_b64 s[20:21], s[40:41], 2
	s_waitcnt lgkmcnt(0)
	v_mfma_f32_16x16x16_bf16 a[12:15], v[22:23], v[14:15], a[12:15]
	s_mul_i32 s0, s33, s22
	s_add_u32 s10, s10, s20
	s_addc_u32 s11, s11, s21
	s_lshl_b64 s[0:1], s[0:1], 2
	v_mfma_f32_16x16x16_bf16 a[0:3], v[36:37], v[4:5], a[0:3]
	s_mul_i32 s2, s16, s38
	ds_read_b64 v[2:3], v28 offset:22528
	s_add_u32 s10, s10, s0
	v_mfma_f32_16x16x16_bf16 a[4:7], v[36:37], v[8:9], a[4:7]
	ds_read_b64 v[4:5], v29 offset:22528
	ds_read_b64 v[6:7], v30 offset:22528
	;; [unrolled: 1-line block ×3, first 2 shown]
	s_addc_u32 s11, s11, s1
	s_lshl_b64 s[0:1], s[2:3], 2
	v_mfma_f32_16x16x16_bf16 a[8:11], v[36:37], v[12:13], a[8:11]
	s_add_u32 s0, s10, s0
	s_addc_u32 s1, s11, s1
	s_load_dword s12, s[0:1], 0x0
	v_mfma_f32_16x16x16_bf16 a[12:15], v[36:37], v[16:17], a[12:15]
	s_and_b64 vcc, exec, s[42:43]
	s_waitcnt lgkmcnt(0)
	v_mfma_f32_16x16x16_bf16 a[0:3], v[38:39], v[2:3], a[0:3]
	v_mfma_f32_16x16x16_bf16 a[4:7], v[38:39], v[4:5], a[4:7]
	v_mfma_f32_16x16x16_bf16 a[8:11], v[38:39], v[6:7], a[8:11]
	v_mfma_f32_16x16x16_bf16 a[12:15], v[38:39], v[8:9], a[12:15]
	s_cbranch_vccz .LBB93_43
; %bb.33:
	v_lshlrev_b32_e32 v22, 1, v19
	s_and_b64 vcc, exec, s[6:7]
	s_cbranch_vccz .LBB93_44
; %bb.34:
	v_cmp_gt_i32_e32 vcc, s47, v22
	v_mov_b32_e32 v6, 0
	v_mov_b32_e32 v2, 0
	;; [unrolled: 1-line block ×5, first 2 shown]
	s_and_saveexec_b64 s[0:1], vcc
	s_cbranch_execz .LBB93_36
; %bb.35:
	v_mad_i64_i32 v[2:3], s[2:3], s15, v22, 0
	v_lshl_add_u64 v[2:3], v[2:3], 1, s[4:5]
	v_lshlrev_b32_e32 v4, 1, v20
	v_mov_b32_e32 v5, 0
	v_lshl_add_u64 v[2:3], v[2:3], 0, v[4:5]
	global_load_dwordx4 v[2:5], v[2:3], off
.LBB93_36:
	s_or_b64 exec, exec, s[0:1]
	v_or_b32_e32 v23, 1, v22
	v_cmp_gt_i32_e64 s[0:1], s47, v23
	v_mov_b32_e32 v7, 0
	v_mov_b32_e32 v8, 0
	;; [unrolled: 1-line block ×3, first 2 shown]
	s_and_saveexec_b64 s[2:3], s[0:1]
	s_cbranch_execz .LBB93_38
; %bb.37:
	v_mad_i64_i32 v[6:7], s[20:21], s15, v23, 0
	v_lshl_add_u64 v[6:7], v[6:7], 1, s[4:5]
	v_lshlrev_b32_e32 v8, 1, v20
	v_mov_b32_e32 v9, 0
	v_lshl_add_u64 v[6:7], v[6:7], 0, v[8:9]
	global_load_dwordx4 v[6:9], v[6:7], off
.LBB93_38:
	s_or_b64 exec, exec, s[2:3]
	v_mov_b32_e32 v17, 0
	v_mov_b32_e32 v10, 0
	;; [unrolled: 1-line block ×5, first 2 shown]
	s_and_saveexec_b64 s[2:3], vcc
	s_cbranch_execz .LBB93_40
; %bb.39:
	v_mad_i64_i32 v[10:11], s[20:21], s15, v22, 0
	v_lshl_add_u64 v[10:11], v[10:11], 1, s[4:5]
	v_lshlrev_b32_e32 v12, 1, v20
	v_mov_b32_e32 v13, 0
	v_lshl_add_u64 v[10:11], v[10:11], 0, v[12:13]
	global_load_dwordx4 v[10:13], v[10:11], off offset:128
.LBB93_40:
	s_or_b64 exec, exec, s[2:3]
	v_mov_b32_e32 v16, 0
	v_mov_b32_e32 v15, 0
	;; [unrolled: 1-line block ×3, first 2 shown]
	s_and_saveexec_b64 s[2:3], s[0:1]
	s_cbranch_execz .LBB93_42
; %bb.41:
	v_mad_i64_i32 v[14:15], s[0:1], s15, v23, 0
	v_lshl_add_u64 v[14:15], v[14:15], 1, s[4:5]
	v_lshlrev_b32_e32 v16, 1, v20
	v_mov_b32_e32 v17, 0
	v_lshl_add_u64 v[14:15], v[14:15], 0, v[16:17]
	global_load_dwordx4 v[14:17], v[14:15], off offset:128
.LBB93_42:
	s_or_b64 exec, exec, s[2:3]
	s_branch .LBB93_46
.LBB93_43:
                                        ; implicit-def: $vgpr5
                                        ; implicit-def: $vgpr9
                                        ; implicit-def: $vgpr13
                                        ; implicit-def: $vgpr17
	v_lshrrev_b32_e32 v36, 2, v87
	s_branch .LBB93_47
.LBB93_44:
                                        ; implicit-def: $vgpr5
                                        ; implicit-def: $vgpr9
                                        ; implicit-def: $vgpr13
                                        ; implicit-def: $vgpr17
	s_cbranch_execz .LBB93_46
; %bb.45:
	s_waitcnt vmcnt(0)
	v_mad_u64_u32 v[2:3], s[0:1], v22, s15, v[20:21]
	v_lshlrev_b32_e32 v22, 1, v2
	s_lshl_b32 s2, s15, 7
	s_and_b32 s1, s5, 0xffff
	s_mov_b32 s3, 0x20000
	s_mov_b32 s0, s4
	v_add_lshl_u32 v23, v2, s15, 1
	s_movk_i32 s15, 0x80
	buffer_load_dwordx4 v[2:5], v22, s[0:3], 0 offen
	buffer_load_dwordx4 v[10:13], v22, s[0:3], s15 offen
	;; [unrolled: 1-line block ×4, first 2 shown]
.LBB93_46:
	v_lshrrev_b32_e32 v36, 2, v87
	s_cbranch_execnz .LBB93_59
.LBB93_47:
	s_and_b64 vcc, exec, s[6:7]
	s_cbranch_vccz .LBB93_57
; %bb.48:
	s_waitcnt vmcnt(0)
	v_lshlrev_b32_e32 v7, 1, v19
	v_cmp_gt_i32_e32 vcc, s47, v7
	v_mov_b32_e32 v6, 0
	v_lshlrev_b32_e32 v14, 9, v19
	v_mov_b32_e32 v2, 0
	v_mov_b32_e32 v3, 0
	;; [unrolled: 1-line block ×4, first 2 shown]
	s_and_saveexec_b64 s[0:1], vcc
	s_cbranch_execz .LBB93_50
; %bb.49:
	v_mov_b32_e32 v15, 0
	v_lshl_add_u64 v[2:3], s[4:5], 0, v[14:15]
	v_lshlrev_b32_e32 v4, 1, v20
	v_mov_b32_e32 v5, v15
	v_lshl_add_u64 v[2:3], v[2:3], 0, v[4:5]
	global_load_dwordx4 v[2:5], v[2:3], off
.LBB93_50:
	s_or_b64 exec, exec, s[0:1]
	v_or_b32_e32 v7, 1, v7
	v_cmp_gt_i32_e64 s[0:1], s47, v7
	v_lshlrev_b32_e32 v22, 8, v7
	v_mov_b32_e32 v7, 0
	v_mov_b32_e32 v8, 0
	;; [unrolled: 1-line block ×3, first 2 shown]
	s_and_saveexec_b64 s[2:3], s[0:1]
	s_cbranch_execz .LBB93_52
; %bb.51:
	v_mov_b32_e32 v23, 0
	v_lshl_add_u64 v[6:7], s[4:5], 0, v[22:23]
	v_lshlrev_b32_e32 v8, 1, v20
	v_mov_b32_e32 v9, v23
	v_lshl_add_u64 v[6:7], v[6:7], 0, v[8:9]
	global_load_dwordx4 v[6:9], v[6:7], off
.LBB93_52:
	s_or_b64 exec, exec, s[2:3]
	v_mov_b32_e32 v17, 0
	v_mov_b32_e32 v10, 0
	;; [unrolled: 1-line block ×5, first 2 shown]
	s_and_saveexec_b64 s[2:3], vcc
	s_cbranch_execz .LBB93_54
; %bb.53:
	v_mov_b32_e32 v15, 0
	v_lshl_add_u64 v[10:11], s[4:5], 0, v[14:15]
	v_lshlrev_b32_e32 v14, 1, v20
	v_lshl_add_u64 v[10:11], v[10:11], 0, v[14:15]
	global_load_dwordx4 v[10:13], v[10:11], off offset:128
.LBB93_54:
	s_or_b64 exec, exec, s[2:3]
	v_mov_b32_e32 v16, 0
	v_mov_b32_e32 v15, 0
	;; [unrolled: 1-line block ×3, first 2 shown]
	s_and_saveexec_b64 s[2:3], s[0:1]
	s_cbranch_execz .LBB93_56
; %bb.55:
	v_mov_b32_e32 v23, 0
	v_lshl_add_u64 v[14:15], s[4:5], 0, v[22:23]
	v_lshlrev_b32_e32 v22, 1, v20
	v_lshl_add_u64 v[14:15], v[14:15], 0, v[22:23]
	global_load_dwordx4 v[14:17], v[14:15], off offset:128
.LBB93_56:
	s_or_b64 exec, exec, s[2:3]
	s_branch .LBB93_59
.LBB93_57:
                                        ; implicit-def: $vgpr5
                                        ; implicit-def: $vgpr9
                                        ; implicit-def: $vgpr13
                                        ; implicit-def: $vgpr17
	s_cbranch_execz .LBB93_59
; %bb.58:
	s_waitcnt vmcnt(0)
	v_lshlrev_b32_e32 v2, 1, v20
	v_lshl_or_b32 v20, v19, 9, v2
	s_and_b32 s5, s5, 0xffff
	s_mov_b32 s7, 0x20000
	s_movk_i32 s6, 0x4000
	s_movk_i32 s0, 0x80
	buffer_load_dwordx4 v[2:5], v20, s[4:7], 0 offen
	buffer_load_dwordx4 v[6:9], v20, s[4:7], 0 offen offset:256
	buffer_load_dwordx4 v[10:13], v20, s[4:7], s0 offen
	buffer_load_dwordx4 v[14:17], v20, s[4:7], s0 offen offset:256
.LBB93_59:
	ds_read_b64 v[22:23], v32 offset:57344
	v_add_u32_e32 v20, 0x6000, v28
	ds_read2_b64 v[38:41], v20 offset1:16
	ds_read_b64 v[82:83], v33 offset:57344
	ds_read_b64 v[84:85], v34 offset:57344
	;; [unrolled: 1-line block ×3, first 2 shown]
	ds_read2_b64 v[32:35], v20 offset0:32 offset1:48
	v_and_b32_e32 v20, 12, v36
	v_and_b32_e32 v44, 6, v0
	v_xor_b32_e32 v19, v19, v44
	v_lshlrev_b32_e32 v19, 2, v19
	s_mov_b32 s0, 0x1000504
	s_waitcnt lgkmcnt(4)
	v_mfma_f32_16x16x16_bf16 a[4:7], v[22:23], v[40:41], a[4:7]
	s_mov_b32 s1, 0x3020706
	v_mfma_f32_16x16x16_bf16 a[0:3], v[22:23], v[38:39], a[0:3]
	ds_read2st64_b64 v[36:39], v28 offset0:52 offset1:56
	s_waitcnt lgkmcnt(1)
	v_mfma_f32_16x16x16_bf16 a[8:11], v[22:23], v[32:33], a[8:11]
	v_mfma_f32_16x16x16_bf16 a[12:15], v[22:23], v[34:35], a[12:15]
	ds_read2st64_b64 v[32:35], v29 offset0:52 offset1:56
	ds_read2st64_b64 v[40:43], v30 offset0:52 offset1:56
	ds_read2st64_b64 v[78:81], v31 offset0:52 offset1:56
	s_waitcnt lgkmcnt(2)
	v_mfma_f32_16x16x16_bf16 a[4:7], v[82:83], v[32:33], a[4:7]
	v_and_b32_e32 v32, 1, v0
	v_xor_b32_e32 v33, 0x440, v19
	v_cmp_eq_u32_e32 vcc, 0, v32
	v_mfma_f32_16x16x16_bf16 a[0:3], v[82:83], v[36:37], a[0:3]
	s_waitcnt vmcnt(0)
	v_perm_b32 v32, v2, v6, s0
	v_cndmask_b32_e32 v19, v33, v19, vcc
	v_lshl_or_b32 v19, v44, 10, v19
	s_waitcnt lgkmcnt(1)
	v_mfma_f32_16x16x16_bf16 a[8:11], v[82:83], v[40:41], a[8:11]
	v_perm_b32 v33, v10, v14, s0
	ds_read_b64 v[22:23], v28 offset:30720
	ds_read_b64 v[36:37], v29 offset:30720
	;; [unrolled: 1-line block ×4, first 2 shown]
	ds_write2st64_b32 v19, v32, v33 offset0:128 offset1:160
	s_waitcnt lgkmcnt(5)
	v_mfma_f32_16x16x16_bf16 a[12:15], v[82:83], v[78:79], a[12:15]
	v_xor_b32_e32 v32, 8, v19
	v_perm_b32 v2, v2, v6, s1
	v_perm_b32 v6, v10, v14, s1
	v_add_u32_e32 v10, 0x80, v32
	ds_write2st64_b32 v10, v2, v6 offset0:128 offset1:160
	v_xor_b32_e32 v2, 16, v19
	v_perm_b32 v6, v3, v7, s0
	v_perm_b32 v10, v11, v15, s0
	v_mfma_f32_16x16x16_bf16 a[0:3], v[84:85], v[38:39], a[0:3]
	ds_write2st64_b32 v2, v6, v10 offset0:129 offset1:161
	v_xor_b32_e32 v2, 24, v19
	v_perm_b32 v3, v3, v7, s1
	v_mfma_f32_16x16x16_bf16 a[4:7], v[84:85], v[34:35], a[4:7]
	v_perm_b32 v6, v11, v15, s1
	v_add_u32_e32 v2, 0x80, v2
	ds_write2st64_b32 v2, v3, v6 offset0:129 offset1:161
	v_mfma_f32_16x16x16_bf16 a[16:19], v[84:85], v[42:43], a[8:11]
	v_xor_b32_e32 v2, 32, v19
	v_perm_b32 v3, v4, v8, s0
	v_perm_b32 v6, v12, v16, s0
	v_mfma_f32_16x16x16_bf16 a[20:23], v[84:85], v[80:81], a[12:15]
	ds_write2st64_b32 v2, v3, v6 offset0:130 offset1:162
	v_xor_b32_e32 v2, 40, v19
	v_perm_b32 v3, v4, v8, s1
	s_waitcnt lgkmcnt(8)
	v_mfma_f32_16x16x16_bf16 a[12:15], v[88:89], v[22:23], a[0:3]
	v_perm_b32 v4, v12, v16, s1
	v_add_u32_e32 v2, 0x80, v2
	ds_write2st64_b32 v2, v3, v4 offset0:130 offset1:162
	s_waitcnt lgkmcnt(8)
	v_mfma_f32_16x16x16_bf16 a[8:11], v[88:89], v[36:37], a[4:7]
	v_xor_b32_e32 v2, 48, v19
	v_perm_b32 v3, v5, v9, s0
	v_perm_b32 v4, v13, v17, s0
	s_waitcnt lgkmcnt(7)
	v_mfma_f32_16x16x16_bf16 a[4:7], v[88:89], v[90:91], a[16:19]
	ds_write2st64_b32 v2, v3, v4 offset0:131 offset1:163
	v_xor_b32_e32 v2, 56, v19
	v_or_b32_e32 v22, v20, v86
	s_waitcnt lgkmcnt(7)
	v_mfma_f32_16x16x16_bf16 a[0:3], v[88:89], v[92:93], a[20:23]
	v_perm_b32 v3, v5, v9, s1
	v_perm_b32 v4, v13, v17, s1
	v_add_u32_e32 v2, 0x80, v2
	v_cmp_gt_i32_e32 vcc, s47, v22
	v_mov_b32_e32 v32, 0
	v_mov_b32_e32 v33, 0
	ds_write2st64_b32 v2, v3, v4 offset0:131 offset1:163
	s_and_saveexec_b64 s[0:1], vcc
	s_cbranch_execz .LBB93_61
; %bb.60:
	v_add_u32_e32 v2, s46, v22
	v_ashrrev_i32_e32 v3, 31, v2
	v_mul_lo_u32 v4, v3, s38
	v_mul_lo_u32 v5, v2, s39
	v_mad_u64_u32 v[2:3], s[2:3], v2, s38, 0
	v_add3_u32 v3, v3, v5, v4
	v_lshl_add_u64 v[2:3], v[2:3], 2, s[10:11]
	global_load_dword v2, v[2:3], off
	s_waitcnt vmcnt(0)
	v_sub_f32_e32 v2, s12, v2
	v_mul_f32_e32 v2, 0x3fb8aa3b, v2
	v_exp_f32_e32 v33, v2
.LBB93_61:
	s_or_b64 exec, exec, s[0:1]
	v_or_b32_e32 v11, 1, v22
	v_cmp_gt_i32_e64 s[2:3], s47, v11
	s_and_saveexec_b64 s[0:1], s[2:3]
	s_cbranch_execz .LBB93_63
; %bb.62:
	v_add_u32_e32 v2, s46, v11
	v_ashrrev_i32_e32 v3, 31, v2
	v_mul_lo_u32 v4, v3, s38
	v_mul_lo_u32 v5, v2, s39
	v_mad_u64_u32 v[2:3], s[4:5], v2, s38, 0
	v_add3_u32 v3, v3, v5, v4
	v_lshl_add_u64 v[2:3], v[2:3], 2, s[10:11]
	global_load_dword v2, v[2:3], off
	s_waitcnt vmcnt(0)
	v_sub_f32_e32 v2, s12, v2
	v_mul_f32_e32 v2, 0x3fb8aa3b, v2
	v_exp_f32_e32 v32, v2
.LBB93_63:
	s_or_b64 exec, exec, s[0:1]
	v_or_b32_e32 v10, 2, v22
	v_cmp_gt_i32_e64 s[4:5], s47, v10
	v_mov_b32_e32 v23, 0
	v_mov_b32_e32 v34, 0
	s_and_saveexec_b64 s[0:1], s[4:5]
	s_cbranch_execz .LBB93_65
; %bb.64:
	v_add_u32_e32 v2, s46, v10
	v_ashrrev_i32_e32 v3, 31, v2
	v_mul_lo_u32 v4, v3, s38
	v_mul_lo_u32 v5, v2, s39
	v_mad_u64_u32 v[2:3], s[6:7], v2, s38, 0
	v_add3_u32 v3, v3, v5, v4
	v_lshl_add_u64 v[2:3], v[2:3], 2, s[10:11]
	global_load_dword v2, v[2:3], off
	s_waitcnt vmcnt(0)
	v_sub_f32_e32 v2, s12, v2
	v_mul_f32_e32 v2, 0x3fb8aa3b, v2
	v_exp_f32_e32 v34, v2
.LBB93_65:
	s_or_b64 exec, exec, s[0:1]
	v_or_b32_e32 v35, 3, v22
	v_cmp_gt_i32_e64 s[0:1], s47, v35
	s_and_saveexec_b64 s[6:7], s[0:1]
	s_cbranch_execz .LBB93_67
; %bb.66:
	v_add_u32_e32 v2, s46, v35
	v_ashrrev_i32_e32 v3, 31, v2
	v_mul_lo_u32 v4, v3, s38
	v_mul_lo_u32 v5, v2, s39
	v_mad_u64_u32 v[2:3], s[20:21], v2, s38, 0
	v_add3_u32 v3, v3, v5, v4
	v_lshl_add_u64 v[2:3], v[2:3], 2, s[10:11]
	global_load_dword v2, v[2:3], off
	s_waitcnt vmcnt(0)
	v_sub_f32_e32 v2, s12, v2
	v_mul_f32_e32 v2, 0x3fb8aa3b, v2
	v_exp_f32_e32 v23, v2
.LBB93_67:
	s_or_b64 exec, exec, s[6:7]
	s_add_u32 s6, s8, s30
	s_addc_u32 s7, s9, s31
	s_add_u32 s8, s18, s30
	v_ashrrev_i32_e32 v19, 31, v18
	v_accvgpr_read_b32 v2, a12
	s_addc_u32 s9, s19, s31
	v_lshlrev_b64 v[6:7], 1, v[18:19]
	v_accvgpr_read_b32 v3, a13
	v_accvgpr_read_b32 v4, a14
	;; [unrolled: 1-line block ×3, first 2 shown]
	v_lshl_add_u64 v[8:9], s[6:7], 0, v[6:7]
	v_lshl_add_u64 v[6:7], s[8:9], 0, v[6:7]
	v_mov_b32_e32 v15, 0
	v_lshlrev_b32_e32 v12, 8, v22
	v_mov_b32_e32 v13, 0
	s_and_saveexec_b64 s[6:7], vcc
	s_cbranch_execz .LBB93_69
; %bb.68:
	v_mov_b32_e32 v13, 0
	v_lshl_add_u64 v[16:17], v[8:9], 0, v[12:13]
	global_load_ushort v14, v[16:17], off
	v_lshl_add_u64 v[16:17], v[6:7], 0, v[12:13]
	s_waitcnt vmcnt(0)
	v_lshlrev_b32_e32 v13, 16, v14
	v_sub_f32_e32 v2, v13, v2
	global_store_short_d16_hi v[16:17], v2, off
	v_mul_f32_e32 v2, v33, v2
	v_lshrrev_b32_e32 v13, 16, v2
.LBB93_69:
	s_or_b64 exec, exec, s[6:7]
	v_lshlrev_b32_e32 v14, 8, v11
	s_and_saveexec_b64 s[6:7], s[2:3]
	s_cbranch_execz .LBB93_71
; %bb.70:
	v_mov_b32_e32 v15, 0
	v_lshl_add_u64 v[16:17], v[8:9], 0, v[14:15]
	global_load_ushort v2, v[16:17], off
	v_lshl_add_u64 v[16:17], v[6:7], 0, v[14:15]
	s_waitcnt vmcnt(0)
	v_lshlrev_b32_e32 v2, 16, v2
	v_sub_f32_e32 v2, v2, v3
	global_store_short_d16_hi v[16:17], v2, off
	v_mul_f32_e32 v2, v32, v2
	v_lshrrev_b32_e32 v15, 16, v2
.LBB93_71:
	s_or_b64 exec, exec, s[6:7]
	v_mov_b32_e32 v11, 0
	v_lshlrev_b32_e32 v16, 8, v10
	v_mov_b32_e32 v17, 0
	s_and_saveexec_b64 s[6:7], s[4:5]
	s_cbranch_execz .LBB93_73
; %bb.72:
	v_mov_b32_e32 v17, 0
	v_lshl_add_u64 v[2:3], v[8:9], 0, v[16:17]
	global_load_ushort v10, v[2:3], off
	v_lshl_add_u64 v[2:3], v[6:7], 0, v[16:17]
	s_waitcnt vmcnt(0)
	v_lshlrev_b32_e32 v10, 16, v10
	v_sub_f32_e32 v4, v10, v4
	global_store_short_d16_hi v[2:3], v4, off
	v_mul_f32_e32 v2, v34, v4
	v_lshrrev_b32_e32 v17, 16, v2
.LBB93_73:
	s_or_b64 exec, exec, s[6:7]
	v_lshlrev_b32_e32 v10, 8, v35
	s_and_saveexec_b64 s[6:7], s[0:1]
	s_cbranch_execz .LBB93_75
; %bb.74:
	v_mov_b32_e32 v11, 0
	v_lshl_add_u64 v[2:3], v[8:9], 0, v[10:11]
	global_load_ushort v4, v[2:3], off
	v_lshl_add_u64 v[2:3], v[6:7], 0, v[10:11]
	s_waitcnt vmcnt(0)
	v_lshlrev_b32_e32 v4, 16, v4
	v_sub_f32_e32 v4, v4, v5
	global_store_short_d16_hi v[2:3], v4, off
	v_mul_f32_e32 v2, v23, v4
	v_lshrrev_b32_e32 v11, 16, v2
.LBB93_75:
	s_or_b64 exec, exec, s[6:7]
	v_lshlrev_b32_e32 v19, 6, v22
	s_mov_b32 s6, 0x5040100
	v_accvgpr_read_b32 v2, a8
	v_perm_b32 v37, v11, v17, s6
	v_or_b32_e32 v11, v19, v27
	v_accvgpr_read_b32 v3, a9
	v_accvgpr_read_b32 v4, a10
	;; [unrolled: 1-line block ×3, first 2 shown]
	v_perm_b32 v36, v15, v13, s6
	v_lshlrev_b32_e32 v11, 1, v11
	v_mov_b32_e32 v15, 0
	v_mov_b32_e32 v13, 0
	ds_write_b64 v11, v[36:37] offset:24576
	s_and_saveexec_b64 s[6:7], vcc
	s_cbranch_execz .LBB93_77
; %bb.76:
	v_mov_b32_e32 v13, 0
	v_lshl_add_u64 v[36:37], v[8:9], 0, v[12:13]
	global_load_ushort v11, v[36:37], off offset:32
	v_lshl_add_u64 v[36:37], v[6:7], 0, v[12:13]
	s_waitcnt vmcnt(0)
	v_lshlrev_b32_e32 v11, 16, v11
	v_sub_f32_e32 v2, v11, v2
	global_store_short_d16_hi v[36:37], v2, off offset:32
	v_mul_f32_e32 v2, v33, v2
	v_lshrrev_b32_e32 v13, 16, v2
.LBB93_77:
	s_or_b64 exec, exec, s[6:7]
	s_and_saveexec_b64 s[6:7], s[2:3]
	s_cbranch_execz .LBB93_79
; %bb.78:
	v_mov_b32_e32 v15, 0
	v_lshl_add_u64 v[36:37], v[8:9], 0, v[14:15]
	global_load_ushort v2, v[36:37], off offset:32
	v_lshl_add_u64 v[36:37], v[6:7], 0, v[14:15]
	s_waitcnt vmcnt(0)
	v_lshlrev_b32_e32 v2, 16, v2
	v_sub_f32_e32 v2, v2, v3
	global_store_short_d16_hi v[36:37], v2, off offset:32
	v_mul_f32_e32 v2, v32, v2
	v_lshrrev_b32_e32 v15, 16, v2
.LBB93_79:
	s_or_b64 exec, exec, s[6:7]
	v_mov_b32_e32 v11, 0
	v_mov_b32_e32 v17, 0
	s_and_saveexec_b64 s[6:7], s[4:5]
	s_cbranch_execz .LBB93_81
; %bb.80:
	v_mov_b32_e32 v17, 0
	v_lshl_add_u64 v[2:3], v[8:9], 0, v[16:17]
	global_load_ushort v27, v[2:3], off offset:32
	v_lshl_add_u64 v[2:3], v[6:7], 0, v[16:17]
	s_waitcnt vmcnt(0)
	v_lshlrev_b32_e32 v17, 16, v27
	v_sub_f32_e32 v4, v17, v4
	global_store_short_d16_hi v[2:3], v4, off offset:32
	v_mul_f32_e32 v2, v34, v4
	v_lshrrev_b32_e32 v17, 16, v2
.LBB93_81:
	s_or_b64 exec, exec, s[6:7]
	s_and_saveexec_b64 s[6:7], s[0:1]
	s_cbranch_execz .LBB93_83
; %bb.82:
	v_mov_b32_e32 v11, 0
	v_lshl_add_u64 v[2:3], v[8:9], 0, v[10:11]
	global_load_ushort v4, v[2:3], off offset:32
	v_lshl_add_u64 v[2:3], v[6:7], 0, v[10:11]
	s_waitcnt vmcnt(0)
	v_lshlrev_b32_e32 v4, 16, v4
	v_sub_f32_e32 v4, v4, v5
	global_store_short_d16_hi v[2:3], v4, off offset:32
	v_mul_f32_e32 v2, v23, v4
	v_lshrrev_b32_e32 v11, 16, v2
.LBB93_83:
	s_or_b64 exec, exec, s[6:7]
	s_mov_b32 s6, 0x5040100
	v_accvgpr_read_b32 v2, a4
	v_perm_b32 v37, v11, v17, s6
	v_or_b32_e32 v11, v19, v25
	v_accvgpr_read_b32 v3, a5
	v_accvgpr_read_b32 v4, a6
	;; [unrolled: 1-line block ×3, first 2 shown]
	v_perm_b32 v36, v15, v13, s6
	v_lshlrev_b32_e32 v11, 1, v11
	v_mov_b32_e32 v15, 0
	v_mov_b32_e32 v13, 0
	ds_write_b64 v11, v[36:37] offset:24576
	s_and_saveexec_b64 s[6:7], vcc
	s_cbranch_execz .LBB93_85
; %bb.84:
	v_mov_b32_e32 v13, 0
	v_lshl_add_u64 v[36:37], v[8:9], 0, v[12:13]
	global_load_ushort v11, v[36:37], off offset:64
	v_lshl_add_u64 v[36:37], v[6:7], 0, v[12:13]
	s_waitcnt vmcnt(0)
	v_lshlrev_b32_e32 v11, 16, v11
	v_sub_f32_e32 v2, v11, v2
	global_store_short_d16_hi v[36:37], v2, off offset:64
	v_mul_f32_e32 v2, v33, v2
	v_lshrrev_b32_e32 v13, 16, v2
.LBB93_85:
	s_or_b64 exec, exec, s[6:7]
	s_and_saveexec_b64 s[6:7], s[2:3]
	s_cbranch_execz .LBB93_87
; %bb.86:
	v_mov_b32_e32 v15, 0
	v_lshl_add_u64 v[36:37], v[8:9], 0, v[14:15]
	global_load_ushort v2, v[36:37], off offset:64
	v_lshl_add_u64 v[36:37], v[6:7], 0, v[14:15]
	s_waitcnt vmcnt(0)
	v_lshlrev_b32_e32 v2, 16, v2
	v_sub_f32_e32 v2, v2, v3
	global_store_short_d16_hi v[36:37], v2, off offset:64
	v_mul_f32_e32 v2, v32, v2
	v_lshrrev_b32_e32 v15, 16, v2
.LBB93_87:
	s_or_b64 exec, exec, s[6:7]
	v_mov_b32_e32 v11, 0
	v_mov_b32_e32 v17, 0
	s_and_saveexec_b64 s[6:7], s[4:5]
	s_cbranch_execz .LBB93_89
; %bb.88:
	v_mov_b32_e32 v17, 0
	v_lshl_add_u64 v[2:3], v[8:9], 0, v[16:17]
	global_load_ushort v25, v[2:3], off offset:64
	v_lshl_add_u64 v[2:3], v[6:7], 0, v[16:17]
	s_waitcnt vmcnt(0)
	v_lshlrev_b32_e32 v17, 16, v25
	v_sub_f32_e32 v4, v17, v4
	global_store_short_d16_hi v[2:3], v4, off offset:64
	v_mul_f32_e32 v2, v34, v4
	v_lshrrev_b32_e32 v17, 16, v2
.LBB93_89:
	s_or_b64 exec, exec, s[6:7]
	s_and_saveexec_b64 s[6:7], s[0:1]
	s_cbranch_execz .LBB93_91
; %bb.90:
	v_mov_b32_e32 v11, 0
	v_lshl_add_u64 v[2:3], v[8:9], 0, v[10:11]
	global_load_ushort v4, v[2:3], off offset:64
	v_lshl_add_u64 v[2:3], v[6:7], 0, v[10:11]
	s_waitcnt vmcnt(0)
	v_lshlrev_b32_e32 v4, 16, v4
	v_sub_f32_e32 v4, v4, v5
	global_store_short_d16_hi v[2:3], v4, off offset:64
	v_mul_f32_e32 v2, v23, v4
	v_lshrrev_b32_e32 v11, 16, v2
.LBB93_91:
	s_or_b64 exec, exec, s[6:7]
	s_mov_b32 s6, 0x5040100
	v_accvgpr_read_b32 v5, a3
	v_perm_b32 v37, v11, v17, s6
	v_or_b32_e32 v11, v19, v24
	v_accvgpr_read_b32 v4, a2
	v_accvgpr_read_b32 v3, a1
	;; [unrolled: 1-line block ×3, first 2 shown]
	v_perm_b32 v36, v15, v13, s6
	v_lshlrev_b32_e32 v11, 1, v11
	v_mov_b32_e32 v15, 0
	v_mov_b32_e32 v13, 0
	ds_write_b64 v11, v[36:37] offset:24576
	s_and_saveexec_b64 s[6:7], vcc
	s_cbranch_execz .LBB93_93
; %bb.92:
	v_mov_b32_e32 v13, 0
	v_lshl_add_u64 v[24:25], v[8:9], 0, v[12:13]
	global_load_ushort v11, v[24:25], off offset:96
	v_lshl_add_u64 v[12:13], v[6:7], 0, v[12:13]
	s_waitcnt vmcnt(0)
	v_lshlrev_b32_e32 v11, 16, v11
	v_sub_f32_e32 v2, v11, v2
	global_store_short_d16_hi v[12:13], v2, off offset:96
	v_mul_f32_e32 v2, v33, v2
	v_lshrrev_b32_e32 v13, 16, v2
.LBB93_93:
	s_or_b64 exec, exec, s[6:7]
	s_and_saveexec_b64 s[6:7], s[2:3]
	s_cbranch_execz .LBB93_95
; %bb.94:
	v_mov_b32_e32 v15, 0
	v_lshl_add_u64 v[24:25], v[8:9], 0, v[14:15]
	global_load_ushort v2, v[24:25], off offset:96
	v_lshl_add_u64 v[14:15], v[6:7], 0, v[14:15]
	s_waitcnt vmcnt(0)
	v_lshlrev_b32_e32 v2, 16, v2
	v_sub_f32_e32 v2, v2, v3
	global_store_short_d16_hi v[14:15], v2, off offset:96
	v_mul_f32_e32 v2, v32, v2
	v_lshrrev_b32_e32 v15, 16, v2
.LBB93_95:
	s_or_b64 exec, exec, s[6:7]
	v_mov_b32_e32 v11, 0
	v_mov_b32_e32 v14, 0
	s_and_saveexec_b64 s[2:3], s[4:5]
	s_cbranch_execz .LBB93_97
; %bb.96:
	v_mov_b32_e32 v17, 0
	v_lshl_add_u64 v[2:3], v[8:9], 0, v[16:17]
	global_load_ushort v12, v[2:3], off offset:96
	v_lshl_add_u64 v[2:3], v[6:7], 0, v[16:17]
	s_waitcnt vmcnt(0)
	v_lshlrev_b32_e32 v12, 16, v12
	v_sub_f32_e32 v4, v12, v4
	global_store_short_d16_hi v[2:3], v4, off offset:96
	v_mul_f32_e32 v2, v34, v4
	v_lshrrev_b32_e32 v14, 16, v2
.LBB93_97:
	s_or_b64 exec, exec, s[2:3]
	v_or_b32_e32 v12, 0x6000, v28
	v_or_b32_e32 v2, 0x6000, v29
	;; [unrolled: 1-line block ×4, first 2 shown]
	s_and_saveexec_b64 s[2:3], s[0:1]
	s_cbranch_execz .LBB93_99
; %bb.98:
	v_mov_b32_e32 v11, 0
	v_lshl_add_u64 v[8:9], v[8:9], 0, v[10:11]
	global_load_ushort v8, v[8:9], off offset:96
	v_lshl_add_u64 v[6:7], v[6:7], 0, v[10:11]
	s_waitcnt vmcnt(0)
	v_lshlrev_b32_e32 v8, 16, v8
	v_sub_f32_e32 v5, v8, v5
	global_store_short_d16_hi v[6:7], v5, off offset:96
	v_mul_f32_e32 v5, v23, v5
	v_lshrrev_b32_e32 v11, 16, v5
.LBB93_99:
	s_or_b64 exec, exec, s[2:3]
	s_mov_b32 s0, 0x5040100
	v_or_b32_e32 v5, v19, v21
	v_perm_b32 v7, v11, v14, s0
	v_perm_b32 v6, v15, v13, s0
	v_lshlrev_b32_e32 v5, 1, v5
	ds_write_b64 v5, v[6:7] offset:24576
	v_and_b32_e32 v5, 7, v0
	v_and_b32_e32 v10, 8, v0
	v_lshlrev_b32_e32 v13, 3, v5
	v_lshlrev_b32_e32 v19, 7, v5
	v_lshrrev_b32_e32 v5, 1, v0
	v_and_b32_e32 v5, 24, v5
	v_mov_b32_e32 v11, 0x400
	v_cmp_eq_u32_e32 vcc, 0, v10
	s_movk_i32 s2, 0x100
	v_lshlrev_b32_e32 v23, 3, v45
	v_cndmask_b32_e64 v21, v11, 64, vcc
	v_mov_b32_e32 v10, 0xa000
	v_mov_b32_e32 v11, 0x8000
	v_cmp_gt_u32_e64 s[0:1], s2, v0
	v_xor_b32_e32 v27, v23, v5
	v_or_b32_e32 v14, 32, v5
	v_cndmask_b32_e64 v0, v10, v11, s[0:1]
	v_or_b32_e32 v10, 0x440, v27
	v_cndmask_b32_e32 v10, v10, v27, vcc
	v_or_b32_e32 v10, v10, v26
	v_xor_b32_e32 v44, v10, v13
	v_xor_b32_e32 v14, v23, v14
	v_add3_u32 v10, v0, v44, v19
	v_or_b32_e32 v15, 0x440, v14
	s_waitcnt lgkmcnt(0)
	s_barrier
	ds_read_b64 v[10:11], v10
	v_cndmask_b32_e32 v14, v15, v14, vcc
	v_or_b32_e32 v14, v14, v26
	v_xor_b32_e32 v82, v14, v13
	v_add3_u32 v14, v0, v82, v19
	ds_read_b64 v[24:25], v14
	ds_read2_b64 v[6:9], v12 offset1:16
	ds_read2_b64 v[14:17], v12 offset0:32 offset1:48
	v_or_b32_e32 v5, 0x60, v5
	s_add_i32 s0, s16, s48
	v_xor_b32_e32 v5, v23, v5
	s_waitcnt lgkmcnt(1)
	v_mfma_f32_16x16x16_bf16 a[0:3], v[10:11], v[6:7], 0
	s_mul_hi_i32 s1, s0, s13
	s_mul_i32 s0, s0, s13
	ds_read2st64_b64 v[28:31], v12 offset0:4 offset1:8
	ds_read2st64_b64 v[32:35], v2 offset0:4 offset1:8
	v_mfma_f32_16x16x16_bf16 a[4:7], v[10:11], v[8:9], 0
	ds_read2st64_b64 v[36:39], v3 offset0:4 offset1:8
	ds_read2st64_b64 v[40:43], v4 offset0:4 offset1:8
	s_add_u32 s0, s0, s33
	s_waitcnt lgkmcnt(4)
	v_mfma_f32_16x16x16_bf16 a[8:11], v[10:11], v[14:15], 0
	s_addc_u32 s1, s1, s14
	s_lshl_b64 s[0:1], s[0:1], 9
	s_add_u32 s0, s36, s0
	v_mfma_f32_16x16x16_bf16 a[12:15], v[10:11], v[16:17], 0
	v_or3_b32 v10, v26, v21, v27
	v_xor_b32_e32 v21, 0x440, v5
	v_cndmask_b32_e32 v5, v21, v5, vcc
	v_xor_b32_e32 v10, v10, v13
	v_or_b32_e32 v5, v5, v26
	v_or_b32_e32 v83, v10, v19
	v_xor_b32_e32 v84, v5, v13
	v_or_b32_e32 v10, v0, v83
	v_add3_u32 v0, v0, v84, v19
	ds_read_b64 v[10:11], v10
	ds_read_b64 v[26:27], v0
	s_addc_u32 s1, s37, s1
	v_lshlrev_b32_e32 v0, 2, v22
	s_waitcnt lgkmcnt(5)
	v_mfma_f32_16x16x16_bf16 a[0:3], v[24:25], v[28:29], a[0:3]
	ds_read_b64 v[12:13], v12 offset:6144
	s_waitcnt lgkmcnt(5)
	v_mfma_f32_16x16x16_bf16 a[4:7], v[24:25], v[32:33], a[4:7]
	s_waitcnt lgkmcnt(4)
	v_mfma_f32_16x16x16_bf16 a[8:11], v[24:25], v[36:37], a[8:11]
	;; [unrolled: 2-line block ×3, first 2 shown]
	global_load_dwordx4 v[22:25], v0, s[0:1]
	v_lshlrev_b32_e32 v0, 6, v45
	s_waitcnt vmcnt(0)
	v_mul_f32_e32 v22, 0x3fb8aa3b, v22
	s_waitcnt lgkmcnt(2)
	v_mfma_f32_16x16x16_bf16 a[0:3], v[10:11], v[30:31], a[0:3]
	v_mul_f32_e32 v23, 0x3fb8aa3b, v23
	v_exp_f32_e32 v22, v22
	v_exp_f32_e32 v23, v23
	v_mfma_f32_16x16x16_bf16 a[4:7], v[10:11], v[34:35], a[4:7]
	v_mfma_f32_16x16x16_bf16 a[8:11], v[10:11], v[38:39], a[8:11]
	;; [unrolled: 1-line block ×3, first 2 shown]
	ds_read_b64 v[10:11], v2 offset:6144
	ds_read_b64 v[78:79], v3 offset:6144
	;; [unrolled: 1-line block ×3, first 2 shown]
	v_lshlrev_b32_e32 v2, 2, v20
	v_or3_b32 v0, v0, v2, s2
	global_load_dwordx4 v[2:5], v0, s[0:1]
	v_add_u32_e32 v20, v44, v19
	ds_read_b64 v[20:21], v20 offset:40960
	v_mov_b32_e32 v0, 0x3fb8aa3b
	s_waitcnt lgkmcnt(4)
	v_mfma_f32_16x16x16_bf16 a[0:3], v[26:27], v[12:13], a[0:3]
	v_mul_f32_e32 v0, s12, v0
	v_exp_f32_e32 v0, v0
	s_waitcnt vmcnt(0)
	v_mul_f32_e32 v2, 0x3fb8aa3b, v2
	s_waitcnt lgkmcnt(0)
	v_mfma_f32_16x16x16_bf16 a[16:19], v[20:21], v[6:7], 0
	v_mul_f32_e32 v6, 0x3fb8aa3b, v24
	v_mul_f32_e32 v7, 0x3fb8aa3b, v25
	v_accvgpr_read_b32 v25, a1
	v_mfma_f32_16x16x16_bf16 a[4:7], v[26:27], v[10:11], a[4:7]
	v_exp_f32_e32 v6, v6
	v_exp_f32_e32 v7, v7
	v_accvgpr_read_b32 v24, a0
	v_mfma_f32_16x16x16_bf16 a[8:11], v[26:27], v[78:79], a[8:11]
	v_exp_f32_e32 v2, v2
	v_mfma_f32_16x16x16_bf16 a[12:15], v[26:27], v[80:81], a[12:15]
	v_add_u32_e32 v26, v82, v19
	v_add_u32_e32 v19, v84, v19
	ds_read_b64 v[26:27], v26 offset:40960
	ds_read_b64 v[44:45], v19 offset:40960
	v_mfma_f32_16x16x16_bf16 a[20:23], v[20:21], v[8:9], 0
	v_pk_mul_f32 v[8:9], v[0:1], v[22:23] op_sel_hi:[0,1]
	v_pk_fma_f32 v[74:75], v[74:75], v[8:9], v[24:25]
	ds_read_b64 v[24:25], v83 offset:40960
	v_mfma_f32_16x16x16_bf16 a[24:27], v[20:21], v[14:15], 0
	v_pk_mul_f32 v[14:15], v[0:1], v[6:7] op_sel_hi:[0,1]
	v_accvgpr_read_b32 v7, a3
	v_accvgpr_read_b32 v6, a2
	v_pk_fma_f32 v[76:77], v[76:77], v[14:15], v[6:7]
	v_accvgpr_read_b32 v7, a5
	s_waitcnt lgkmcnt(2)
	v_mfma_f32_16x16x16_bf16 a[16:19], v[26:27], v[28:29], a[16:19]
	v_accvgpr_read_b32 v6, a4
	v_pk_fma_f32 v[66:67], v[8:9], v[66:67], v[6:7]
	v_accvgpr_read_b32 v6, a8
	v_mfma_f32_16x16x16_bf16 a[28:31], v[20:21], v[16:17], 0
	v_accvgpr_read_b32 v7, a9
	v_pk_fma_f32 v[58:59], v[8:9], v[58:59], v[6:7]
	v_accvgpr_read_b32 v6, a12
	v_mfma_f32_16x16x16_bf16 a[20:23], v[26:27], v[32:33], a[20:23]
	v_accvgpr_read_b32 v21, a11
	v_accvgpr_read_b32 v20, a10
	;; [unrolled: 1-line block ×3, first 2 shown]
	v_mfma_f32_16x16x16_bf16 a[0:3], v[26:27], v[36:37], a[24:27]
	v_accvgpr_read_b32 v17, a7
	v_accvgpr_read_b32 v16, a6
	;; [unrolled: 1-line block ×3, first 2 shown]
	s_waitcnt lgkmcnt(0)
	v_mfma_f32_16x16x16_bf16 a[8:11], v[24:25], v[30:31], a[16:19]
	v_accvgpr_read_b32 v22, a14
	v_pk_fma_f32 v[50:51], v[8:9], v[50:51], v[6:7]
	v_mov_b32_e32 v6, v5
	v_mfma_f32_16x16x16_bf16 a[4:7], v[26:27], v[40:41], a[28:31]
	v_mov_b32_e32 v5, v4
	v_mov_b32_e32 v4, v3
	v_mul_f32_e32 v3, 0x3fb8aa3b, v4
	v_mfma_f32_16x16x16_bf16 a[12:15], v[24:25], v[34:35], a[20:23]
	v_mul_f32_e32 v4, 0x3fb8aa3b, v5
	v_mul_f32_e32 v5, 0x3fb8aa3b, v6
	v_exp_f32_e32 v4, v4
	v_mfma_f32_16x16x16_bf16 a[0:3], v[24:25], v[38:39], a[0:3]
	v_exp_f32_e32 v5, v5
	v_exp_f32_e32 v3, v3
	v_pk_fma_f32 v[68:69], v[14:15], v[68:69], v[16:17]
	v_mfma_f32_16x16x16_bf16 a[8:11], v[44:45], v[12:13], a[8:11]
	v_pk_mul_f32 v[4:5], v[0:1], v[4:5] op_sel_hi:[0,1]
	v_pk_mul_f32 v[2:3], v[0:1], v[2:3] op_sel_hi:[0,1]
	v_pk_fma_f32 v[60:61], v[14:15], v[60:61], v[20:21]
	v_mfma_f32_16x16x16_bf16 a[4:7], v[24:25], v[42:43], a[4:7]
	v_pk_fma_f32 v[52:53], v[14:15], v[52:53], v[22:23]
	v_mfma_f32_16x16x16_bf16 a[12:15], v[44:45], v[10:11], a[12:15]
	s_nop 0
	v_accvgpr_read_b32 v7, a11
	v_accvgpr_read_b32 v6, a10
	v_pk_fma_f32 v[72:73], v[72:73], v[4:5], v[6:7]
	v_mfma_f32_16x16x16_bf16 a[0:3], v[44:45], v[78:79], a[0:3]
	v_accvgpr_read_b32 v15, a9
	v_accvgpr_read_b32 v14, a8
	v_pk_fma_f32 v[70:71], v[70:71], v[2:3], v[14:15]
	v_accvgpr_read_b32 v6, a12
	v_accvgpr_read_b32 v7, a13
	v_pk_fma_f32 v[62:63], v[2:3], v[62:63], v[6:7]
	v_accvgpr_read_b32 v9, a15
	v_accvgpr_read_b32 v11, a3
	;; [unrolled: 1-line block ×3, first 2 shown]
	v_mfma_f32_16x16x16_bf16 a[2:5], v[44:45], v[80:81], a[4:7]
	v_accvgpr_read_b32 v7, a1
	v_accvgpr_read_b32 v6, a0
	v_pk_fma_f32 v[56:57], v[2:3], v[56:57], v[6:7]
	v_accvgpr_read_b32 v8, a14
	v_pk_fma_f32 v[64:65], v[4:5], v[64:65], v[8:9]
	v_pk_fma_f32 v[54:55], v[4:5], v[54:55], v[10:11]
	s_nop 0
	v_accvgpr_read_b32 v7, a3
	v_accvgpr_read_b32 v13, a5
	;; [unrolled: 1-line block ×4, first 2 shown]
	v_pk_fma_f32 v[46:47], v[2:3], v[46:47], v[6:7]
	v_pk_fma_f32 v[48:49], v[4:5], v[48:49], v[12:13]
	v_mov_b32_e32 v2, v18
.LBB93_100:
	s_lshl_b64 s[0:1], s[28:29], 15
	s_add_u32 s0, s34, s0
	v_lshlrev_b32_e32 v2, 7, v2
	s_addc_u32 s1, s35, s1
	v_ashrrev_i32_e32 v3, 31, v2
	v_lshl_add_u64 v[4:5], v[2:3], 1, s[0:1]
	v_lshlrev_b32_e32 v0, 1, v1
	v_mov_b32_e32 v1, 0
	s_mov_b32 s2, 0x7060302
	v_lshl_add_u64 v[4:5], v[4:5], 0, v[0:1]
	v_perm_b32 v7, v77, v76, s2
	v_perm_b32 v6, v75, v74, s2
	global_store_dwordx2 v[4:5], v[6:7], off
	v_perm_b32 v7, v73, v72, s2
	v_perm_b32 v6, v71, v70, s2
	global_store_dwordx2 v[4:5], v[6:7], off offset:128
	v_or_b32_e32 v4, 0x800, v2
	v_ashrrev_i32_e32 v5, 31, v4
	v_lshl_add_u64 v[4:5], v[4:5], 1, s[0:1]
	v_lshl_add_u64 v[4:5], v[4:5], 0, v[0:1]
	v_perm_b32 v7, v69, v68, s2
	v_perm_b32 v6, v67, v66, s2
	global_store_dwordx2 v[4:5], v[6:7], off
	v_perm_b32 v7, v65, v64, s2
	v_perm_b32 v6, v63, v62, s2
	global_store_dwordx2 v[4:5], v[6:7], off offset:128
	v_or_b32_e32 v4, 0x1000, v2
	v_or_b32_e32 v2, 0x1800, v2
	v_ashrrev_i32_e32 v5, 31, v4
	v_ashrrev_i32_e32 v3, 31, v2
	v_lshl_add_u64 v[4:5], v[4:5], 1, s[0:1]
	v_lshl_add_u64 v[2:3], v[2:3], 1, s[0:1]
	;; [unrolled: 1-line block ×3, first 2 shown]
	v_perm_b32 v7, v61, v60, s2
	v_perm_b32 v6, v59, v58, s2
	v_lshl_add_u64 v[0:1], v[2:3], 0, v[0:1]
	v_perm_b32 v3, v53, v52, s2
	v_perm_b32 v2, v51, v50, s2
	global_store_dwordx2 v[4:5], v[6:7], off
	v_perm_b32 v7, v55, v54, s2
	v_perm_b32 v6, v57, v56, s2
	global_store_dwordx2 v[0:1], v[2:3], off
	v_perm_b32 v3, v49, v48, s2
	v_perm_b32 v2, v47, v46, s2
	global_store_dwordx2 v[4:5], v[6:7], off offset:128
	global_store_dwordx2 v[0:1], v[2:3], off offset:128
	s_endpgm
	.section	.rodata,"a",@progbits
	.p2align	6, 0x0
	.amdhsa_kernel _ZN12_GLOBAL__N_139chunk_gated_delta_rule_fwd_h_hip_kernelILi64ELb0ELb1ELb1ELb0ELb0ELb1ELb0ELb1EEEvPK12hip_bfloat16S3_S3_PKfS5_PKvPS1_S8_PvPKiSB_iiiiilll
		.amdhsa_group_segment_fixed_size 65536
		.amdhsa_private_segment_fixed_size 0
		.amdhsa_kernarg_size 136
		.amdhsa_user_sgpr_count 2
		.amdhsa_user_sgpr_dispatch_ptr 0
		.amdhsa_user_sgpr_queue_ptr 0
		.amdhsa_user_sgpr_kernarg_segment_ptr 1
		.amdhsa_user_sgpr_dispatch_id 0
		.amdhsa_user_sgpr_kernarg_preload_length 0
		.amdhsa_user_sgpr_kernarg_preload_offset 0
		.amdhsa_user_sgpr_private_segment_size 0
		.amdhsa_uses_dynamic_stack 0
		.amdhsa_enable_private_segment 0
		.amdhsa_system_sgpr_workgroup_id_x 1
		.amdhsa_system_sgpr_workgroup_id_y 1
		.amdhsa_system_sgpr_workgroup_id_z 0
		.amdhsa_system_sgpr_workgroup_info 0
		.amdhsa_system_vgpr_workitem_id 0
		.amdhsa_next_free_vgpr 232
		.amdhsa_next_free_sgpr 70
		.amdhsa_accum_offset 192
		.amdhsa_reserve_vcc 1
		.amdhsa_float_round_mode_32 0
		.amdhsa_float_round_mode_16_64 0
		.amdhsa_float_denorm_mode_32 3
		.amdhsa_float_denorm_mode_16_64 3
		.amdhsa_dx10_clamp 1
		.amdhsa_ieee_mode 1
		.amdhsa_fp16_overflow 0
		.amdhsa_tg_split 0
		.amdhsa_exception_fp_ieee_invalid_op 0
		.amdhsa_exception_fp_denorm_src 0
		.amdhsa_exception_fp_ieee_div_zero 0
		.amdhsa_exception_fp_ieee_overflow 0
		.amdhsa_exception_fp_ieee_underflow 0
		.amdhsa_exception_fp_ieee_inexact 0
		.amdhsa_exception_int_div_zero 0
	.end_amdhsa_kernel
	.section	.text._ZN12_GLOBAL__N_139chunk_gated_delta_rule_fwd_h_hip_kernelILi64ELb0ELb1ELb1ELb0ELb0ELb1ELb0ELb1EEEvPK12hip_bfloat16S3_S3_PKfS5_PKvPS1_S8_PvPKiSB_iiiiilll,"axG",@progbits,_ZN12_GLOBAL__N_139chunk_gated_delta_rule_fwd_h_hip_kernelILi64ELb0ELb1ELb1ELb0ELb0ELb1ELb0ELb1EEEvPK12hip_bfloat16S3_S3_PKfS5_PKvPS1_S8_PvPKiSB_iiiiilll,comdat
.Lfunc_end93:
	.size	_ZN12_GLOBAL__N_139chunk_gated_delta_rule_fwd_h_hip_kernelILi64ELb0ELb1ELb1ELb0ELb0ELb1ELb0ELb1EEEvPK12hip_bfloat16S3_S3_PKfS5_PKvPS1_S8_PvPKiSB_iiiiilll, .Lfunc_end93-_ZN12_GLOBAL__N_139chunk_gated_delta_rule_fwd_h_hip_kernelILi64ELb0ELb1ELb1ELb0ELb0ELb1ELb0ELb1EEEvPK12hip_bfloat16S3_S3_PKfS5_PKvPS1_S8_PvPKiSB_iiiiilll
                                        ; -- End function
	.section	.AMDGPU.csdata,"",@progbits
; Kernel info:
; codeLenInByte = 13240
; NumSgprs: 76
; NumVgprs: 192
; NumAgprs: 40
; TotalNumVgprs: 232
; ScratchSize: 0
; MemoryBound: 0
; FloatMode: 240
; IeeeMode: 1
; LDSByteSize: 65536 bytes/workgroup (compile time only)
; SGPRBlocks: 9
; VGPRBlocks: 28
; NumSGPRsForWavesPerEU: 76
; NumVGPRsForWavesPerEU: 232
; AccumOffset: 192
; Occupancy: 1
; WaveLimiterHint : 1
; COMPUTE_PGM_RSRC2:SCRATCH_EN: 0
; COMPUTE_PGM_RSRC2:USER_SGPR: 2
; COMPUTE_PGM_RSRC2:TRAP_HANDLER: 0
; COMPUTE_PGM_RSRC2:TGID_X_EN: 1
; COMPUTE_PGM_RSRC2:TGID_Y_EN: 1
; COMPUTE_PGM_RSRC2:TGID_Z_EN: 0
; COMPUTE_PGM_RSRC2:TIDIG_COMP_CNT: 0
; COMPUTE_PGM_RSRC3_GFX90A:ACCUM_OFFSET: 47
; COMPUTE_PGM_RSRC3_GFX90A:TG_SPLIT: 0
	.section	.text._ZN12_GLOBAL__N_139chunk_gated_delta_rule_fwd_h_hip_kernelILi64ELb0ELb1ELb0ELb0ELb0ELb1ELb0ELb1EEEvPK12hip_bfloat16S3_S3_PKfS5_PKvPS1_S8_PvPKiSB_iiiiilll,"axG",@progbits,_ZN12_GLOBAL__N_139chunk_gated_delta_rule_fwd_h_hip_kernelILi64ELb0ELb1ELb0ELb0ELb0ELb1ELb0ELb1EEEvPK12hip_bfloat16S3_S3_PKfS5_PKvPS1_S8_PvPKiSB_iiiiilll,comdat
	.globl	_ZN12_GLOBAL__N_139chunk_gated_delta_rule_fwd_h_hip_kernelILi64ELb0ELb1ELb0ELb0ELb0ELb1ELb0ELb1EEEvPK12hip_bfloat16S3_S3_PKfS5_PKvPS1_S8_PvPKiSB_iiiiilll ; -- Begin function _ZN12_GLOBAL__N_139chunk_gated_delta_rule_fwd_h_hip_kernelILi64ELb0ELb1ELb0ELb0ELb0ELb1ELb0ELb1EEEvPK12hip_bfloat16S3_S3_PKfS5_PKvPS1_S8_PvPKiSB_iiiiilll
	.p2align	8
	.type	_ZN12_GLOBAL__N_139chunk_gated_delta_rule_fwd_h_hip_kernelILi64ELb0ELb1ELb0ELb0ELb0ELb1ELb0ELb1EEEvPK12hip_bfloat16S3_S3_PKfS5_PKvPS1_S8_PvPKiSB_iiiiilll,@function
_ZN12_GLOBAL__N_139chunk_gated_delta_rule_fwd_h_hip_kernelILi64ELb0ELb1ELb0ELb0ELb0ELb1ELb0ELb1EEEvPK12hip_bfloat16S3_S3_PKfS5_PKvPS1_S8_PvPKiSB_iiiiilll: ; @_ZN12_GLOBAL__N_139chunk_gated_delta_rule_fwd_h_hip_kernelILi64ELb0ELb1ELb0ELb0ELb0ELb1ELb0ELb1EEEvPK12hip_bfloat16S3_S3_PKfS5_PKvPS1_S8_PvPKiSB_iiiiilll
; %bb.0:
	s_load_dwordx4 s[12:15], s[0:1], 0x5c
	s_load_dwordx8 s[4:11], s[0:1], 0x0
	s_load_dwordx4 s[16:19], s[0:1], 0x70
	s_abs_i32 s23, s3
	s_ashr_i32 s21, s3, 31
	s_waitcnt lgkmcnt(0)
	s_abs_i32 s20, s13
	v_cvt_f32_u32_e32 v1, s20
	s_sub_i32 s24, 0, s20
	s_ashr_i32 s22, s13, 31
	s_xor_b32 s21, s21, s22
	v_rcp_iflag_f32_e32 v1, v1
	s_load_dwordx2 s[30:31], s[0:1], 0x20
	s_load_dwordx2 s[28:29], s[0:1], 0x40
	;; [unrolled: 1-line block ×4, first 2 shown]
	v_lshrrev_b32_e32 v45, 6, v0
	v_mul_f32_e32 v1, 0x4f7ffffe, v1
	v_cvt_u32_f32_e32 v1, v1
	v_bfe_u32 v86, v0, 4, 2
	s_mov_b32 s0, 0
	v_lshlrev_b32_e32 v84, 4, v45
	v_readfirstlane_b32 s25, v1
	s_mul_i32 s24, s24, s25
	s_mul_hi_u32 s24, s25, s24
	s_add_i32 s25, s25, s24
	s_mul_hi_u32 s24, s23, s25
	s_mul_i32 s25, s24, s20
	s_sub_i32 s23, s23, s25
	s_add_i32 s25, s24, 1
	s_sub_i32 s26, s23, s20
	s_cmp_ge_u32 s23, s20
	s_cselect_b32 s24, s25, s24
	s_cselect_b32 s23, s26, s23
	s_add_i32 s25, s24, 1
	s_cmp_ge_u32 s23, s20
	s_cselect_b32 s23, s25, s24
	s_xor_b32 s23, s23, s21
	s_sub_i32 s50, s23, s21
	s_abs_i32 s21, s14
	v_cvt_f32_u32_e32 v1, s21
	s_ashr_i32 s49, s12, 31
	s_lshr_b32 s23, s49, 26
	s_add_i32 s23, s12, s23
	v_rcp_iflag_f32_e32 v1, v1
	s_ashr_i32 s51, s23, 6
	s_sub_i32 s23, 0, s21
	s_mul_i32 s48, s50, s13
	v_mul_f32_e32 v1, 0x4f7ffffe, v1
	v_cvt_u32_f32_e32 v1, v1
	s_ashr_i32 s52, s14, 31
	s_sub_i32 s33, s3, s48
	s_add_i32 s3, s12, 63
	v_readfirstlane_b32 s24, v1
	s_mul_i32 s23, s23, s24
	s_mul_hi_u32 s23, s24, s23
	s_add_i32 s24, s24, s23
	s_mul_hi_u32 s23, s20, s24
	s_mul_i32 s24, s23, s21
	s_sub_i32 s20, s20, s24
	s_xor_b32 s22, s22, s52
	s_add_i32 s24, s23, 1
	s_sub_i32 s25, s20, s21
	s_cmp_ge_u32 s20, s21
	s_cselect_b32 s23, s24, s23
	s_cselect_b32 s20, s25, s20
	s_add_i32 s24, s23, 1
	s_cmp_ge_u32 s20, s21
	s_cselect_b32 s20, s24, s23
	s_xor_b32 s20, s20, s22
	s_sub_i32 s20, s20, s22
	s_abs_i32 s21, s20
	v_cvt_f32_u32_e32 v1, s21
	s_sub_i32 s22, 0, s21
	s_xor_b32 s1, s33, s20
	s_abs_i32 s20, s33
	v_rcp_iflag_f32_e32 v1, v1
	s_ashr_i32 s1, s1, 31
	v_lshlrev_b32_e32 v2, 2, v86
	v_and_b32_e32 v85, 63, v0
	v_mul_f32_e32 v1, 0x4f7ffffe, v1
	v_cvt_u32_f32_e32 v1, v1
	s_mul_i32 s46, s50, s12
	v_and_b32_e32 v87, 15, v0
	s_mul_hi_i32 s54, s50, s13
	v_readfirstlane_b32 s23, v1
	s_mul_i32 s22, s22, s23
	s_mul_hi_u32 s22, s23, s22
	s_add_i32 s23, s23, s22
	s_mul_hi_u32 s22, s20, s23
	s_mul_i32 s23, s22, s21
	s_sub_i32 s20, s20, s23
	s_add_i32 s23, s22, 1
	s_sub_i32 s24, s20, s21
	s_cmp_ge_u32 s20, s21
	s_cselect_b32 s22, s23, s22
	s_cselect_b32 s20, s24, s20
	s_add_i32 s23, s22, 1
	s_cmp_ge_u32 s20, s21
	s_cselect_b32 s20, s23, s22
	s_xor_b32 s20, s20, s1
	s_sub_i32 s55, s20, s1
	s_ashr_i32 s1, s3, 31
	s_lshr_b32 s1, s1, 26
	s_add_i32 s3, s3, s1
	s_ashr_i32 s1, s3, 6
	v_or_b32_e32 v1, v2, v84
	s_mul_i32 s53, s50, s1
	s_lshl_b32 s2, s2, 6
	s_mov_b32 s1, s0
	v_or_b32_e32 v90, 64, v1
	s_cmp_lt_i32 s12, 64
	v_mov_b64_e32 v[54:55], s[0:1]
	v_lshrrev_b32_e32 v89, 3, v85
	v_lshlrev_b32_e32 v88, 3, v0
	s_mul_i32 s17, s50, s17
	s_mul_hi_u32 s47, s50, s16
	s_mul_i32 s36, s50, s16
	v_mov_b64_e32 v[56:57], s[0:1]
	v_mov_b64_e32 v[60:61], s[0:1]
	;; [unrolled: 1-line block ×15, first 2 shown]
	s_cbranch_scc1 .LBB94_17
; %bb.1:
	s_ashr_i32 s3, s50, 31
	s_ashr_i32 s57, s33, 31
	s_add_u32 s0, s48, s33
	s_addc_u32 s1, s54, s57
	s_mul_i32 s1, s12, s1
	s_mul_hi_u32 s20, s12, s0
	s_add_i32 s41, s20, s1
	s_mul_i32 s40, s12, s0
	s_lshl_b64 s[0:1], s[40:41], 8
	v_and_b32_e32 v92, 56, v88
	s_add_u32 s20, s6, s0
	v_lshl_or_b32 v91, v45, 3, v89
	v_lshlrev_b32_e32 v3, 1, v92
	s_addc_u32 s0, s7, s1
	v_lshl_or_b32 v93, v91, 8, v3
	s_and_b32 s21, s0, 0xffff
	s_mov_b32 s23, 0x20000
	s_movk_i32 s22, 0x4000
	s_movk_i32 s0, 0x80
	v_or_b32_e32 v94, 0x2000, v93
	buffer_load_dwordx4 v[4:7], v93, s[20:23], 0 offen
	buffer_load_dwordx4 v[8:11], v93, s[20:23], s0 offen
	;; [unrolled: 1-line block ×4, first 2 shown]
	v_lshlrev_b32_e32 v20, 3, v91
	v_and_or_b32 v22, v0, 7, v20
	v_and_b32_e32 v20, 0x78, v20
	v_lshlrev_b32_e32 v22, 4, v22
	v_xor_b32_e32 v95, v22, v20
	v_mul_lo_u32 v21, v91, s15
	v_or_b32_e32 v96, 0x1000, v95
	s_cmpk_eq_i32 s15, 0x80
	s_mov_b32 s56, s14
	v_xor_b32_e32 v20, 8, v95
	v_xor_b32_e32 v22, 8, v96
	s_cselect_b64 s[0:1], -1, 0
	s_cmpk_lg_i32 s15, 0x80
	s_waitcnt vmcnt(3)
	ds_write_b64 v95, v[4:5] offset:49152
	ds_write_b64 v20, v[6:7] offset:49152
	s_waitcnt vmcnt(2)
	ds_write_b64 v95, v[8:9] offset:57344
	ds_write_b64 v20, v[10:11] offset:57344
	;; [unrolled: 3-line block ×4, first 2 shown]
	v_lshl_add_u32 v4, v21, 1, v92
	s_cbranch_scc0 .LBB94_3
; %bb.2:
	v_lshlrev_b32_e32 v6, 1, v4
	v_add_lshl_u32 v5, v4, s15, 1
	s_lshl_b32 s22, s15, 7
	v_lshl_or_b32 v3, v91, 9, v3
	s_cbranch_execz .LBB94_4
	s_branch .LBB94_5
.LBB94_3:
                                        ; implicit-def: $vgpr5
                                        ; implicit-def: $vgpr6
                                        ; implicit-def: $sgpr22
	v_lshl_or_b32 v3, v91, 9, v3
.LBB94_4:
	v_or_b32_e32 v5, 0x100, v3
	s_movk_i32 s22, 0x4000
	v_mov_b32_e32 v6, v3
.LBB94_5:
	s_mul_hi_u32 s20, s14, s12
	s_mul_i32 s21, s52, s12
	s_add_i32 s20, s20, s21
	s_mul_i32 s21, s14, s12
	s_mul_i32 s23, s21, s3
	s_mul_hi_u32 s24, s21, s50
	s_add_i32 s23, s24, s23
	s_mul_i32 s20, s20, s50
	s_add_i32 s23, s23, s20
	s_mul_i32 s21, s21, s50
	s_ashr_i32 s58, s55, 31
	s_add_u32 s20, s21, s55
	s_addc_u32 s21, s23, s58
	s_lshl_b64 s[20:21], s[20:21], 8
	s_add_u32 s20, s4, s20
	s_addc_u32 s21, s5, s21
	s_and_b32 s21, s21, 0xffff
	s_mov_b32 s23, 0x20000
	s_movk_i32 s59, 0x80
	buffer_load_dwordx4 v[8:11], v6, s[20:23], 0 offen
	buffer_load_dwordx4 v[12:15], v6, s[20:23], s59 offen
	;; [unrolled: 1-line block ×4, first 2 shown]
	v_and_b32_e32 v5, 6, v0
	v_lshlrev_b32_e32 v6, 7, v1
	v_xor_b32_e32 v27, v91, v5
	v_and_b32_e32 v7, 1, v0
	v_lshl_or_b32 v30, v87, 3, v6
	v_lshlrev_b32_e32 v27, 2, v27
	v_or_b32_e32 v97, 0x4000, v30
	v_or_b32_e32 v98, 0x6000, v30
	v_xor_b32_e32 v30, 0x440, v27
	v_cmp_eq_u32_e32 vcc, 0, v7
	v_lshlrev_b32_e32 v24, 2, v87
	v_or_b32_e32 v26, 16, v87
	v_cndmask_b32_e32 v7, v30, v27, vcc
	s_mov_b32 s61, 0x1000504
	v_xor_b32_e32 v28, v1, v24
	v_xor_b32_e32 v29, v90, v24
	v_lshl_or_b32 v31, v26, 3, v6
	v_lshl_or_b32 v5, v5, 10, v7
	s_mov_b32 s62, 0x3020706
	s_mul_i32 s20, s3, s12
	s_mul_hi_u32 s21, s50, s12
	v_lshlrev_b32_e32 v25, 8, v87
	v_lshlrev_b32_e32 v28, 1, v28
	;; [unrolled: 1-line block ×3, first 2 shown]
	v_or_b32_e32 v99, 0x4000, v31
	v_or_b32_e32 v100, 0x6000, v31
	v_xor_b32_e32 v7, 8, v5
	v_xor_b32_e32 v27, 24, v5
	;; [unrolled: 1-line block ×4, first 2 shown]
	v_or_b32_e32 v101, v25, v28
	v_or_b32_e32 v102, v25, v29
	v_xor_b32_e32 v25, 16, v5
	v_xor_b32_e32 v30, 32, v5
	;; [unrolled: 1-line block ×3, first 2 shown]
	v_add_u32_e32 v7, 0x80, v7
	v_add_u32_e32 v27, 0x80, v27
	;; [unrolled: 1-line block ×4, first 2 shown]
	s_add_i32 s63, s21, s20
	s_add_i32 s20, s47, s17
	s_mul_i32 s3, s3, s16
	s_add_i32 s37, s20, s3
	s_mul_i32 s3, s33, s19
	s_mul_hi_u32 s20, s33, s18
	s_add_i32 s3, s20, s3
	s_mul_i32 s20, s57, s18
	s_add_i32 s21, s3, s20
	s_lshl_b64 s[24:25], s[36:37], 2
	s_mul_i32 s20, s33, s18
	s_add_u32 s3, s10, s24
	s_addc_u32 s24, s11, s25
	s_lshl_b64 s[20:21], s[20:21], 2
	s_add_u32 s42, s3, s20
	s_movk_i32 s3, 0xf8
	s_addc_u32 s43, s24, s21
	s_lshl_b32 s26, s15, 7
	v_mov_b32_e32 v79, 0
	s_movk_i32 s24, 0x100
	v_lshlrev_b32_e32 v78, 4, v87
	s_mov_b32 s60, 0
	s_movk_i32 s22, 0x4000
	v_add_u32_e32 v134, v84, v2
	s_mov_b32 s37, 0x7060302
	s_movk_i32 s64, 0x2000
	s_movk_i32 s65, 0x3000
	v_mov_b32_e32 v144, 0x3fb8aa3b
	s_mov_b32 s67, 0
	v_mov_b32_e32 v48, v79
	v_mov_b32_e32 v49, v79
	;; [unrolled: 1-line block ×10, first 2 shown]
	s_waitcnt vmcnt(1)
	v_perm_b32 v34, v8, v16, s61
	s_waitcnt vmcnt(0)
	v_perm_b32 v35, v12, v20, s61
	v_perm_b32 v8, v8, v16, s62
	;; [unrolled: 1-line block ×15, first 2 shown]
	ds_write2st64_b32 v5, v34, v35 offset0:128 offset1:160
	ds_write2st64_b32 v7, v8, v12 offset0:128 offset1:160
	;; [unrolled: 1-line block ×8, first 2 shown]
	v_lshlrev_b32_e32 v5, 8, v26
	v_or_b32_e32 v103, v5, v28
	v_or_b32_e32 v104, v5, v29
	;; [unrolled: 1-line block ×3, first 2 shown]
	v_lshl_or_b32 v7, v5, 3, v6
	v_lshlrev_b32_e32 v5, 8, v5
	v_or_b32_e32 v107, v5, v28
	v_or_b32_e32 v108, v5, v29
	;; [unrolled: 1-line block ×5, first 2 shown]
	v_lshl_or_b32 v7, v5, 3, v6
	v_lshlrev_b32_e32 v5, 8, v5
	v_or_b32_e32 v111, v5, v28
	v_or_b32_e32 v112, v5, v29
	;; [unrolled: 1-line block ×3, first 2 shown]
	v_lshlrev_b32_e32 v5, 3, v5
	v_lshrrev_b32_e32 v9, 5, v85
	v_and_or_b32 v9, v5, s3, v9
	v_lshlrev_b32_e32 v9, 4, v9
	v_lshlrev_b32_e32 v11, 11, v45
	v_and_b32_e32 v5, 0x78, v5
	v_or_b32_e32 v14, 32, v9
	v_and_b32_e32 v8, 0x1000, v11
	v_xor_b32_e32 v10, v9, v5
	v_lshrrev_b32_e32 v12, 1, v85
	v_xor_b32_e32 v14, v14, v5
	v_or_b32_e32 v10, v10, v8
	v_and_b32_e32 v12, 8, v12
	v_or_b32_e32 v14, v14, v8
	v_xor_b32_e32 v113, v10, v12
	v_lshlrev_b32_e32 v10, 8, v86
	v_xor_b32_e32 v115, v14, v12
	v_or_b32_e32 v14, 64, v9
	v_or_b32_e32 v9, 0x60, v9
	;; [unrolled: 1-line block ×3, first 2 shown]
	v_xor_b32_e32 v14, v14, v5
	v_xor_b32_e32 v5, v9, v5
	s_ashr_i32 s3, s2, 31
	v_lshlrev_b32_e32 v13, 1, v13
	v_or_b32_e32 v14, v14, v8
	v_or_b32_e32 v5, v5, v8
	s_lshl_b64 s[20:21], s[2:3], 8
	v_or_b32_e32 v114, 0x4000, v13
	v_or_b32_e32 v116, 0x4080, v13
	;; [unrolled: 1-line block ×4, first 2 shown]
	v_xor_b32_e32 v119, v14, v12
	v_xor_b32_e32 v120, v5, v12
	v_or_b32_e32 v121, 0x6000, v13
	v_or_b32_e32 v122, 0x6080, v13
	;; [unrolled: 1-line block ×4, first 2 shown]
	v_lshlrev_b32_e32 v12, 1, v4
	v_add_lshl_u32 v13, v4, s15, 1
	s_waitcnt lgkmcnt(0)
	s_add_u32 s20, s38, s20
	v_lshlrev_b32_e32 v4, 1, v87
	v_or_b32_e32 v14, 0x100, v3
	v_lshrrev_b32_e32 v15, 4, v0
	s_addc_u32 s21, s39, s21
	v_or_b32_e32 v5, 1, v4
	v_lshlrev_b32_e32 v18, 2, v0
	v_xor_b32_e32 v16, v15, v4
	v_xor_b32_e32 v17, v5, v15
	v_lshl_add_u64 v[4:5], s[20:21], 0, v[78:79]
	v_lshlrev_b32_e32 v78, 8, v15
	v_lshrrev_b32_e32 v19, 1, v0
	v_and_or_b32 v10, v18, 60, v10
	v_cndmask_b32_e64 v131, v12, v3, s[0:1]
	v_cndmask_b32_e64 v132, v13, v14, s[0:1]
	v_mov_b32_e32 v3, 0xa000
	v_mov_b32_e32 v12, 0x8000
	v_cmp_gt_u32_e64 s[0:1], s24, v0
	v_lshl_or_b32 v125, v16, 3, v78
	v_and_b32_e32 v16, 8, v0
	v_and_b32_e32 v19, 24, v19
	v_lshlrev_b32_e32 v10, 1, v10
	v_cndmask_b32_e64 v3, v3, v12, s[0:1]
	v_lshlrev_b32_e32 v12, 3, v45
	v_or_b32_e32 v127, 0x6000, v10
	v_or_b32_e32 v128, 0x6080, v10
	;; [unrolled: 1-line block ×4, first 2 shown]
	v_mov_b32_e32 v10, 0x400
	v_cmp_eq_u32_e32 vcc, 0, v16
	v_xor_b32_e32 v13, v12, v19
	v_and_b32_e32 v15, 7, v0
	v_cndmask_b32_e64 v16, v10, 64, vcc
	v_or_b32_e32 v14, 0x440, v13
	v_lshl_or_b32 v126, v17, 3, v78
	v_lshlrev_b32_e32 v17, 3, v15
	v_or_b32_e32 v18, 32, v19
	v_or_b32_e32 v20, 0x60, v19
	v_cndmask_b32_e32 v14, v14, v13, vcc
	v_or3_b32 v13, v11, v16, v13
	v_lshlrev_b32_e32 v15, 7, v15
	v_xor_b32_e32 v18, v12, v18
	v_xor_b32_e32 v13, v13, v17
	;; [unrolled: 1-line block ×3, first 2 shown]
	v_or_b32_e32 v21, 0x440, v18
	v_or_b32_e32 v133, v13, v15
	v_xor_b32_e32 v13, 0x440, v12
	v_cndmask_b32_e32 v18, v21, v18, vcc
	v_cndmask_b32_e32 v12, v13, v12, vcc
	v_or_b32_e32 v109, 0x4000, v7
	v_or_b32_e32 v110, 0x6000, v7
	v_lshrrev_b32_e32 v7, 2, v85
	v_or_b32_e32 v14, v14, v11
	v_or_b32_e32 v18, v18, v11
	;; [unrolled: 1-line block ×3, first 2 shown]
	v_and_b32_e32 v7, 12, v7
	v_or_b32_e32 v8, s2, v87
	v_xor_b32_e32 v14, v14, v17
	v_xor_b32_e32 v18, v18, v17
	;; [unrolled: 1-line block ×3, first 2 shown]
	v_ashrrev_i32_e32 v9, 31, v8
	v_or_b32_e32 v10, v84, v7
	v_add_u32_e32 v19, v3, v14
	v_add_u32_e32 v21, v3, v18
	;; [unrolled: 1-line block ×3, first 2 shown]
	v_or3_b32 v12, v84, v7, 64
	v_add_u32_e32 v7, 0xa000, v14
	v_add_u32_e32 v14, 0xa000, v18
	;; [unrolled: 1-line block ×3, first 2 shown]
	v_lshl_add_u64 v[80:81], v[8:9], 1, s[8:9]
	v_lshl_add_u64 v[82:83], v[4:5], 0, v[78:79]
	s_add_i32 s3, s46, 63
	v_lshlrev_b32_e32 v78, 1, v6
	v_lshlrev_b32_e32 v135, 2, v10
	v_add_u32_e32 v136, v19, v15
	v_add_u32_e32 v137, v21, v15
	;; [unrolled: 1-line block ×4, first 2 shown]
	v_lshlrev_b32_e32 v140, 2, v12
	v_add_u32_e32 v141, v7, v15
	v_add_u32_e32 v142, v14, v15
	;; [unrolled: 1-line block ×3, first 2 shown]
	v_mov_b32_e32 v76, v79
	v_mov_b32_e32 v77, v79
	;; [unrolled: 1-line block ×22, first 2 shown]
	s_barrier
	s_branch .LBB94_7
.LBB94_6:                               ;   in Loop: Header=BB94_7 Depth=1
	v_mul_f32_e32 v26, s20, v144
	v_exp_f32_e32 v36, v26
	s_waitcnt vmcnt(4)
	v_mul_f32_e32 v26, 0x3fb8aa3b, v38
	v_exp_f32_e32 v38, v26
	v_mul_f32_e32 v26, 0x3fb8aa3b, v39
	v_exp_f32_e32 v39, v26
	;; [unrolled: 2-line block ×4, first 2 shown]
	v_accvgpr_read_b32 v5, a3
	v_accvgpr_read_b32 v4, a2
	;; [unrolled: 1-line block ×4, first 2 shown]
	v_pk_mul_f32 v[38:39], v[36:37], v[38:39] op_sel_hi:[0,1]
	v_pk_mul_f32 v[40:41], v[36:37], v[40:41] op_sel_hi:[0,1]
	v_pk_fma_f32 v[74:75], v[74:75], v[38:39], v[2:3]
	v_pk_fma_f32 v[76:77], v[76:77], v[40:41], v[4:5]
	v_mul_f32_e32 v2, 0x3fb8aa3b, v34
	v_mul_f32_e32 v3, 0x3fb8aa3b, v42
	;; [unrolled: 1-line block ×4, first 2 shown]
	v_exp_f32_e32 v2, v2
	v_exp_f32_e32 v3, v3
	;; [unrolled: 1-line block ×4, first 2 shown]
	v_accvgpr_read_b32 v9, a7
	v_accvgpr_read_b32 v13, a11
	;; [unrolled: 1-line block ×28, first 2 shown]
	v_pk_mul_f32 v[2:3], v[36:37], v[2:3] op_sel_hi:[0,1]
	v_pk_mul_f32 v[4:5], v[36:37], v[4:5] op_sel_hi:[0,1]
	s_add_i32 s60, s60, 64
	v_pk_fma_f32 v[66:67], v[38:39], v[66:67], v[6:7]
	v_pk_fma_f32 v[68:69], v[40:41], v[68:69], v[8:9]
	;; [unrolled: 1-line block ×14, first 2 shown]
	s_cmp_eq_u32 s51, s66
	s_mov_b32 s67, s66
	s_cbranch_scc1 .LBB94_17
.LBB94_7:                               ; =>This Inner Loop Header: Depth=1
	s_add_i32 s66, s67, 1
	s_cmp_lt_i32 s66, s51
	s_mov_b64 s[24:25], 0
	s_cselect_b64 s[44:45], -1, 0
	s_cmp_ge_i32 s66, s51
	s_mov_b64 s[20:21], 0
	s_cbranch_scc1 .LBB94_9
; %bb.8:                                ;   in Loop: Header=BB94_7 Depth=1
	s_add_i32 s0, s60, 64
	s_add_u32 s0, s40, s0
	s_addc_u32 s1, s41, 0
	s_lshl_b64 s[0:1], s[0:1], 8
	s_add_u32 s20, s6, s0
	s_addc_u32 s21, s7, s1
.LBB94_9:                               ;   in Loop: Header=BB94_7 Depth=1
	v_cndmask_b32_e64 v2, 0, 1, s[44:45]
	v_cmp_ne_u32_e64 s[0:1], 1, v2
	s_andn2_b64 vcc, exec, s[44:45]
	s_cbranch_vccnz .LBB94_11
; %bb.10:                               ;   in Loop: Header=BB94_7 Depth=1
	s_add_i32 s24, s60, 64
	s_add_u32 s24, s46, s24
	s_addc_u32 s25, s63, 0
	s_mul_i32 s27, s24, s52
	s_mul_hi_u32 s44, s24, s56
	s_add_i32 s27, s44, s27
	s_mul_i32 s25, s25, s56
	s_add_i32 s27, s27, s25
	s_mul_i32 s24, s24, s56
	s_add_u32 s24, s24, s55
	s_addc_u32 s25, s27, s58
	s_lshl_b64 s[24:25], s[24:25], 8
	s_add_u32 s24, s4, s24
	s_addc_u32 s25, s5, s25
.LBB94_11:                              ;   in Loop: Header=BB94_7 Depth=1
	v_perm_b32 v3, v77, v76, s37
	v_perm_b32 v2, v75, v74, s37
	v_perm_b32 v5, v73, v72, s37
	v_perm_b32 v4, v71, v70, s37
	ds_write_b64 v97, v[2:3]
	ds_write_b64 v98, v[4:5]
	ds_write_b64 v101, v[2:3]
	ds_write_b64 v102, v[4:5]
	v_perm_b32 v3, v69, v68, s37
	v_perm_b32 v2, v67, v66, s37
	v_perm_b32 v5, v65, v64, s37
	v_perm_b32 v4, v63, v62, s37
	ds_write_b64 v99, v[2:3]
	ds_write_b64 v100, v[4:5]
	ds_write_b64 v103, v[2:3]
	ds_write_b64 v104, v[4:5]
	v_perm_b32 v3, v61, v60, s37
	v_perm_b32 v2, v59, v58, s37
	v_perm_b32 v5, v55, v54, s37
	v_perm_b32 v4, v57, v56, s37
	ds_write_b64 v105, v[2:3]
	ds_write_b64 v106, v[4:5]
	ds_write_b64 v107, v[2:3]
	ds_write_b64 v108, v[4:5]
	v_perm_b32 v3, v53, v52, s37
	v_perm_b32 v2, v51, v50, s37
	v_perm_b32 v5, v49, v48, s37
	v_perm_b32 v4, v47, v46, s37
	ds_write_b64 v109, v[2:3]
	ds_write_b64 v110, v[4:5]
	ds_write_b64 v111, v[2:3]
	ds_write_b64 v112, v[4:5]
	s_waitcnt lgkmcnt(0)
	s_barrier
	ds_read_b64 v[6:7], v113 offset:49152
	ds_read2_b64 v[2:5], v114 offset1:16
	ds_read_b64 v[18:19], v116 offset:6144
	ds_read_b64 v[20:21], v114 offset:6144
	s_waitcnt lgkmcnt(2)
	v_mfma_f32_16x16x16_bf16 a[0:3], v[6:7], v[2:3], 0
	ds_read_b64 v[22:23], v115 offset:49152
	ds_read2st64_b64 v[10:13], v117 offset0:4 offset1:8
	ds_read2st64_b64 v[14:17], v118 offset0:4 offset1:8
	v_mfma_f32_16x16x16_bf16 a[4:7], v[6:7], v[4:5], 0
	ds_read2_b64 v[2:5], v114 offset0:32 offset1:48
	s_add_i32 s27, s60, 63
	s_mul_i32 s44, s27, s35
	s_waitcnt lgkmcnt(0)
	v_mfma_f32_16x16x16_bf16 a[8:11], v[6:7], v[2:3], 0
	s_mul_hi_u32 s45, s27, s34
	s_add_i32 s45, s45, s44
	s_mul_i32 s44, s27, s34
	v_mfma_f32_16x16x16_bf16 a[12:15], v[6:7], v[4:5], 0
	ds_read2st64_b64 v[2:5], v114 offset0:4 offset1:8
	ds_read2st64_b64 v[6:9], v116 offset0:4 offset1:8
	s_lshl_b64 s[44:45], s[44:45], 2
	s_waitcnt lgkmcnt(1)
	v_mfma_f32_16x16x16_bf16 a[0:3], v[22:23], v[2:3], a[0:3]
	s_add_u32 s44, s42, s44
	s_addc_u32 s45, s43, s45
	s_and_b64 vcc, exec, s[0:1]
	s_waitcnt lgkmcnt(0)
	v_mfma_f32_16x16x16_bf16 a[4:7], v[22:23], v[6:7], a[4:7]
	v_mov_b32_e32 v147, 0
	v_mov_b32_e32 v146, 0
	;; [unrolled: 1-line block ×3, first 2 shown]
	v_mfma_f32_16x16x16_bf16 a[8:11], v[22:23], v[10:11], a[8:11]
	ds_read_b64 v[2:3], v119 offset:49152
	ds_read_b64 v[6:7], v120 offset:49152
	ds_read_b64 v[10:11], v118 offset:6144
	v_mfma_f32_16x16x16_bf16 a[12:15], v[22:23], v[14:15], a[12:15]
	v_mov_b32_e32 v14, 0
	v_mov_b32_e32 v15, 0
	s_waitcnt lgkmcnt(2)
	v_mfma_f32_16x16x16_bf16 a[0:3], v[2:3], v[4:5], a[0:3]
	v_mov_b32_e32 v4, 0
	v_mov_b32_e32 v5, 0
	v_mfma_f32_16x16x16_bf16 a[16:19], v[2:3], v[8:9], a[4:7]
	v_mov_b32_e32 v8, 0
	v_mov_b32_e32 v9, 0
	;; [unrolled: 3-line block ×3, first 2 shown]
	v_mfma_f32_16x16x16_bf16 a[24:27], v[2:3], v[16:17], a[12:15]
	ds_read_b64 v[2:3], v117 offset:6144
	v_mov_b32_e32 v16, 0
	v_mov_b32_e32 v17, 0
	s_waitcnt lgkmcnt(2)
	v_mfma_f32_16x16x16_bf16 a[4:7], v[6:7], v[20:21], a[0:3]
	v_mfma_f32_16x16x16_bf16 a[8:11], v[6:7], v[18:19], a[16:19]
	s_waitcnt lgkmcnt(0)
	v_mfma_f32_16x16x16_bf16 a[12:15], v[6:7], v[2:3], a[20:23]
	v_mov_b32_e32 v2, 0
	v_mov_b32_e32 v3, 0
	v_mfma_f32_16x16x16_bf16 a[0:3], v[6:7], v[10:11], a[24:27]
	v_mov_b32_e32 v6, 0
	v_mov_b32_e32 v7, 0
	;; [unrolled: 1-line block ×4, first 2 shown]
	s_cbranch_vccnz .LBB94_13
; %bb.12:                               ;   in Loop: Header=BB94_7 Depth=1
	s_and_b32 s21, s21, 0xffff
	buffer_load_dwordx4 v[14:17], v93, s[20:23], 0 offen
	buffer_load_dwordx4 v[10:13], v93, s[20:23], s59 offen
	;; [unrolled: 1-line block ×4, first 2 shown]
	v_mov_b32_e32 v146, v95
	v_mov_b32_e32 v145, v96
.LBB94_13:                              ;   in Loop: Header=BB94_7 Depth=1
	ds_read_b64 v[34:35], v113 offset:57344
	ds_read2_b64 v[18:21], v121 offset1:16
	ds_read_b64 v[36:37], v115 offset:57344
	ds_read_b64 v[38:39], v119 offset:57344
	;; [unrolled: 1-line block ×3, first 2 shown]
	v_add_u32_e32 v42, s60, v134
	s_waitcnt lgkmcnt(3)
	v_mfma_f32_16x16x16_bf16 a[4:7], v[34:35], v[18:19], a[4:7]
	v_mfma_f32_16x16x16_bf16 a[8:11], v[34:35], v[20:21], a[8:11]
	ds_read2_b64 v[18:21], v121 offset0:32 offset1:48
	ds_read2st64_b64 v[22:25], v121 offset0:4 offset1:8
	ds_read2st64_b64 v[26:29], v122 offset0:4 offset1:8
	;; [unrolled: 1-line block ×3, first 2 shown]
	s_waitcnt lgkmcnt(3)
	v_mfma_f32_16x16x16_bf16 a[12:15], v[34:35], v[18:19], a[12:15]
	v_ashrrev_i32_e32 v18, 31, v42
	v_mfma_f32_16x16x16_bf16 a[0:3], v[34:35], v[20:21], a[0:3]
	v_mul_lo_u32 v20, v18, s34
	v_mul_lo_u32 v21, v42, s35
	v_mad_u64_u32 v[18:19], s[20:21], v42, s34, 0
	v_add3_u32 v19, v19, v21, v20
	v_add_u32_e32 v20, 1, v42
	v_ashrrev_i32_e32 v21, 31, v20
	s_waitcnt lgkmcnt(2)
	v_mfma_f32_16x16x16_bf16 a[4:7], v[36:37], v[22:23], a[4:7]
	v_mul_lo_u32 v22, v21, s34
	v_mul_lo_u32 v23, v20, s35
	v_mad_u64_u32 v[20:21], s[20:21], v20, s34, 0
	v_add3_u32 v21, v21, v23, v22
	v_add_u32_e32 v22, 2, v42
	v_ashrrev_i32_e32 v23, 31, v22
	s_waitcnt lgkmcnt(1)
	v_mfma_f32_16x16x16_bf16 a[8:11], v[36:37], v[26:27], a[8:11]
	v_mul_lo_u32 v26, v23, s34
	v_mul_lo_u32 v27, v22, s35
	v_mad_u64_u32 v[22:23], s[20:21], v22, s34, 0
	v_lshl_add_u64 v[18:19], v[18:19], 2, s[42:43]
	v_add3_u32 v23, v23, v27, v26
	v_add_u32_e32 v26, 3, v42
	v_ashrrev_i32_e32 v27, 31, v26
	global_load_dword v35, v[18:19], off
	v_mad_u64_u32 v[18:19], s[20:21], v26, s34, 0
	v_mul_lo_u32 v27, v27, s34
	v_mul_lo_u32 v34, v26, s35
	s_add_u32 s20, s40, s60
	v_add3_u32 v19, v19, v34, v27
	s_addc_u32 s21, s41, 0
	v_lshl_add_u64 v[20:21], v[20:21], 2, s[42:43]
	v_lshl_add_u64 v[22:23], v[22:23], 2, s[42:43]
	;; [unrolled: 1-line block ×3, first 2 shown]
	s_lshl_b64 s[20:21], s[20:21], 8
	global_load_dword v34, v[20:21], off
	global_load_dword v42, v[22:23], off
	;; [unrolled: 1-line block ×3, first 2 shown]
	v_lshl_add_u64 v[18:19], v[80:81], 0, s[20:21]
	v_lshl_add_u64 v[22:23], v[18:19], 0, v[78:79]
	global_load_ushort v44, v[22:23], off offset:256
	global_load_ushort v148, v[22:23], off
	ds_read2st64_b64 v[18:21], v124 offset0:4 offset1:8
	global_load_ushort v149, v[22:23], off offset:768
	global_load_ushort v150, v[22:23], off offset:512
	s_waitcnt lgkmcnt(1)
	v_mfma_f32_16x16x16_bf16 a[12:15], v[36:37], v[30:31], a[12:15]
	s_and_b64 vcc, exec, s[0:1]
	s_waitcnt vmcnt(3)
	v_lshlrev_b32_e32 v31, 16, v44
	s_waitcnt lgkmcnt(0)
	v_mfma_f32_16x16x16_bf16 a[0:3], v[36:37], v[18:19], a[0:3]
	global_load_ushort v36, v[22:23], off offset:288
	global_load_ushort v37, v[22:23], off offset:32
	;; [unrolled: 1-line block ×8, first 2 shown]
	v_mfma_f32_16x16x16_bf16 a[4:7], v[38:39], v[24:25], a[4:7]
	ds_read_b64 v[18:19], v121 offset:6144
	s_waitcnt vmcnt(10)
	v_lshlrev_b32_e32 v30, 16, v148
	v_mov_b32_e32 v148, 0
	v_mfma_f32_16x16x16_bf16 a[8:11], v[38:39], v[28:29], a[8:11]
	v_mfma_f32_16x16x16_bf16 a[12:15], v[38:39], v[32:33], a[12:15]
	;; [unrolled: 1-line block ×3, first 2 shown]
	global_load_ushort v38, v[22:23], off offset:352
	global_load_ushort v39, v[22:23], off offset:96
	ds_read_b64 v[20:21], v122 offset:6144
	ds_read_b64 v[24:25], v123 offset:6144
	;; [unrolled: 1-line block ×3, first 2 shown]
	global_load_ushort v157, v[22:23], off offset:864
	global_load_ushort v158, v[22:23], off offset:608
	s_load_dword s20, s[44:45], 0x0
	s_waitcnt lgkmcnt(0)
	v_mfma_f32_16x16x16_bf16 a[4:7], v[40:41], v[18:19], a[4:7]
	v_sub_f32_e32 v28, s20, v42
	v_mfma_f32_16x16x16_bf16 a[0:3], v[40:41], v[26:27], a[0:3]
	v_sub_f32_e32 v26, s20, v35
	v_sub_f32_e32 v27, s20, v34
	v_sub_f32_e32 v29, s20, v43
	v_mul_f32_e32 v26, 0x3fb8aa3b, v26
	v_mul_f32_e32 v27, 0x3fb8aa3b, v27
	;; [unrolled: 1-line block ×4, first 2 shown]
	v_mfma_f32_16x16x16_bf16 a[8:11], v[40:41], v[20:21], a[8:11]
	v_exp_f32_e32 v26, v26
	v_exp_f32_e32 v27, v27
	;; [unrolled: 1-line block ×4, first 2 shown]
	v_accvgpr_read_b32 v33, a5
	v_accvgpr_read_b32 v32, a4
	;; [unrolled: 1-line block ×4, first 2 shown]
	v_pk_add_f32 v[30:31], v[30:31], v[32:33] neg_lo:[0,1] neg_hi:[0,1]
	s_waitcnt vmcnt(13)
	v_lshlrev_b32_e32 v33, 16, v149
	s_waitcnt vmcnt(12)
	v_lshlrev_b32_e32 v32, 16, v150
	v_pk_add_f32 v[18:19], v[32:33], v[18:19] neg_lo:[0,1] neg_hi:[0,1]
	v_pk_mul_f32 v[30:31], v[26:27], v[30:31]
	v_pk_mul_f32 v[18:19], v[28:29], v[18:19]
	v_accvgpr_read_b32 v33, a9
	v_perm_b32 v19, v19, v18, s37
	v_perm_b32 v18, v31, v30, s37
	v_accvgpr_read_b32 v32, a8
	v_accvgpr_read_b32 v21, a11
	v_mfma_f32_16x16x16_bf16 a[12:15], v[40:41], v[24:25], a[12:15]
	v_accvgpr_read_b32 v20, a10
	v_accvgpr_read_b32 v25, a3
	v_accvgpr_read_b32 v24, a2
	s_waitcnt vmcnt(11)
	v_lshlrev_b32_e32 v31, 16, v36
	s_waitcnt vmcnt(10)
	v_lshlrev_b32_e32 v30, 16, v37
	v_pk_add_f32 v[30:31], v[30:31], v[32:33] neg_lo:[0,1] neg_hi:[0,1]
	s_waitcnt vmcnt(9)
	v_lshlrev_b32_e32 v33, 16, v151
	s_waitcnt vmcnt(8)
	v_lshlrev_b32_e32 v32, 16, v152
	v_pk_add_f32 v[20:21], v[32:33], v[20:21] neg_lo:[0,1] neg_hi:[0,1]
	v_pk_mul_f32 v[30:31], v[26:27], v[30:31]
	v_pk_mul_f32 v[20:21], v[28:29], v[20:21]
	v_accvgpr_read_b32 v23, a15
	v_perm_b32 v21, v21, v20, s37
	v_perm_b32 v20, v31, v30, s37
	ds_write2_b64 v98, v[18:19], v[20:21] offset1:16
	v_accvgpr_read_b32 v21, a13
	s_waitcnt vmcnt(7)
	v_lshlrev_b32_e32 v19, 16, v153
	s_waitcnt vmcnt(6)
	v_lshlrev_b32_e32 v18, 16, v154
	v_accvgpr_read_b32 v20, a12
	v_accvgpr_read_b32 v22, a14
	v_pk_add_f32 v[18:19], v[18:19], v[20:21] neg_lo:[0,1] neg_hi:[0,1]
	s_waitcnt vmcnt(5)
	v_lshlrev_b32_e32 v21, 16, v155
	s_waitcnt vmcnt(4)
	v_lshlrev_b32_e32 v20, 16, v156
	v_pk_add_f32 v[20:21], v[20:21], v[22:23] neg_lo:[0,1] neg_hi:[0,1]
	v_pk_mul_f32 v[18:19], v[26:27], v[18:19]
	v_pk_mul_f32 v[20:21], v[28:29], v[20:21]
	v_accvgpr_read_b32 v23, a1
	v_perm_b32 v21, v21, v20, s37
	v_perm_b32 v20, v19, v18, s37
	s_waitcnt vmcnt(3)
	v_lshlrev_b32_e32 v19, 16, v38
	s_waitcnt vmcnt(2)
	v_lshlrev_b32_e32 v18, 16, v39
	v_accvgpr_read_b32 v22, a0
	v_pk_add_f32 v[18:19], v[18:19], v[22:23] neg_lo:[0,1] neg_hi:[0,1]
	s_waitcnt vmcnt(1)
	v_lshlrev_b32_e32 v23, 16, v157
	s_waitcnt vmcnt(0)
	v_lshlrev_b32_e32 v22, 16, v158
	v_pk_add_f32 v[22:23], v[22:23], v[24:25] neg_lo:[0,1] neg_hi:[0,1]
	v_pk_mul_f32 v[18:19], v[26:27], v[18:19]
	v_pk_mul_f32 v[22:23], v[28:29], v[22:23]
	v_mov_b32_e32 v24, 0
	v_perm_b32 v23, v23, v22, s37
	v_perm_b32 v22, v19, v18, s37
	ds_write2_b64 v98, v[20:21], v[22:23] offset0:32 offset1:48
	v_mov_b32_e32 v18, 0
	v_mov_b32_e32 v19, 0
	;; [unrolled: 1-line block ×15, first 2 shown]
	s_cbranch_vccnz .LBB94_15
; %bb.14:                               ;   in Loop: Header=BB94_7 Depth=1
	s_and_b32 s25, s25, 0xffff
	s_mov_b32 s27, s23
	buffer_load_dwordx4 v[30:33], v131, s[24:27], 0 offen
	buffer_load_dwordx4 v[22:25], v131, s[24:27], s59 offen
	;; [unrolled: 1-line block ×4, first 2 shown]
	v_mov_b32_e32 v147, v92
	v_mov_b32_e32 v148, v91
.LBB94_15:                              ;   in Loop: Header=BB94_7 Depth=1
	s_waitcnt lgkmcnt(0)
	s_barrier
	ds_read_b64 v[42:43], v136
	ds_read2_b64 v[34:37], v127 offset1:16
	ds_read_b64 v[166:167], v137
	ds_read_b64 v[168:169], v138
	;; [unrolled: 1-line block ×3, first 2 shown]
	ds_read2_b64 v[38:41], v127 offset0:32 offset1:48
	ds_read2st64_b64 v[150:153], v127 offset0:4 offset1:8
	ds_read2st64_b64 v[154:157], v128 offset0:4 offset1:8
	;; [unrolled: 1-line block ×4, first 2 shown]
	s_waitcnt lgkmcnt(8)
	v_mfma_f32_16x16x16_bf16 a[0:3], v[42:43], v[34:35], 0
	s_add_i32 s21, s53, s67
	s_mul_hi_i32 s25, s21, s13
	s_mul_i32 s21, s21, s13
	v_mfma_f32_16x16x16_bf16 a[4:7], v[42:43], v[36:37], 0
	s_add_u32 s24, s21, s33
	s_addc_u32 s25, s25, s57
	s_add_i32 s21, s3, s60
	s_waitcnt lgkmcnt(4)
	v_mfma_f32_16x16x16_bf16 a[8:11], v[42:43], v[38:39], 0
	s_lshl_b64 s[24:25], s[24:25], 15
	s_mul_hi_i32 s27, s21, s13
	s_mul_i32 s21, s21, s13
	v_mfma_f32_16x16x16_bf16 a[12:15], v[42:43], v[40:41], 0
	ds_read_b64 v[42:43], v127 offset:6144
	ds_read_b64 v[178:179], v128 offset:6144
	;; [unrolled: 1-line block ×4, first 2 shown]
	s_add_u32 s44, s21, s33
	s_waitcnt lgkmcnt(7)
	v_mfma_f32_16x16x16_bf16 a[0:3], v[166:167], v[150:151], a[0:3]
	s_addc_u32 s45, s27, s57
	s_lshl_b64 s[44:45], s[44:45], 9
	s_add_u32 s44, s30, s44
	s_waitcnt lgkmcnt(6)
	v_mfma_f32_16x16x16_bf16 a[4:7], v[166:167], v[154:155], a[4:7]
	s_addc_u32 s45, s31, s45
	v_lshl_add_u64 v[188:189], v[82:83], 0, s[24:25]
	s_waitcnt lgkmcnt(5)
	v_mfma_f32_16x16x16_bf16 a[8:11], v[166:167], v[158:159], a[8:11]
	s_waitcnt lgkmcnt(4)
	v_mfma_f32_16x16x16_bf16 a[12:15], v[166:167], v[162:163], a[12:15]
	ds_read_b64 v[166:167], v141
	ds_read_b64 v[176:177], v142
	;; [unrolled: 1-line block ×3, first 2 shown]
	s_waitcnt lgkmcnt(2)
	v_mfma_f32_16x16x16_bf16 a[16:19], v[166:167], v[34:35], 0
	v_mfma_f32_16x16x16_bf16 a[20:23], v[166:167], v[36:37], 0
	global_load_dwordx4 v[34:37], v140, s[44:45]
	v_mfma_f32_16x16x16_bf16 a[24:27], v[166:167], v[38:39], 0
	v_mfma_f32_16x16x16_bf16 a[28:31], v[166:167], v[40:41], 0
	global_load_dwordx4 v[38:41], v135, s[44:45]
	v_mfma_f32_16x16x16_bf16 a[0:3], v[168:169], v[152:153], a[0:3]
	v_mfma_f32_16x16x16_bf16 a[4:7], v[168:169], v[156:157], a[4:7]
	;; [unrolled: 1-line block ×8, first 2 shown]
	ds_read2st64_b64 v[166:169], v125 offset1:8
	ds_read2st64_b64 v[170:173], v126 offset1:8
	ds_read_b64 v[186:187], v133 offset:40960
	s_waitcnt lgkmcnt(2)
	v_mov_b32_e32 v174, v166
	v_mfma_f32_16x16x16_bf16 a[16:19], v[176:177], v[150:151], a[16:19]
	v_mov_b32_e32 v175, v167
	v_mfma_f32_16x16x16_bf16 a[20:23], v[176:177], v[154:155], a[20:23]
	v_mfma_f32_16x16x16_bf16 a[24:27], v[176:177], v[158:159], a[24:27]
	;; [unrolled: 1-line block ×3, first 2 shown]
	v_add_co_u32_e32 v162, vcc, s64, v188
	s_waitcnt lgkmcnt(1)
	v_mov_b32_e32 v176, v170
	s_waitcnt lgkmcnt(0)
	v_mfma_f32_16x16x16_bf16 a[16:19], v[186:187], v[152:153], a[16:19]
	ds_read2st64_b64 v[150:153], v125 offset0:16 offset1:24
	v_addc_co_u32_e32 v163, vcc, 0, v189, vcc
	v_mfma_f32_16x16x16_bf16 a[20:23], v[186:187], v[156:157], a[20:23]
	ds_read2st64_b64 v[154:157], v126 offset0:16 offset1:24
	v_mov_b32_e32 v177, v171
	v_mov_b32_e32 v170, v168
	v_mfma_f32_16x16x16_bf16 a[32:35], v[186:187], v[160:161], a[24:27]
	v_mov_b32_e32 v171, v169
	s_waitcnt lgkmcnt(0)
	v_mov_b32_e32 v160, v154
	v_mov_b32_e32 v161, v155
	v_mfma_f32_16x16x16_bf16 a[36:39], v[186:187], v[164:165], a[28:31]
	v_mov_b32_e32 v154, v152
	v_mov_b32_e32 v155, v153
	;; [unrolled: 1-line block ×3, first 2 shown]
	v_mfma_f32_16x16x16_bf16 a[24:27], v[184:185], v[42:43], a[16:19]
	v_add_co_u32_e32 v42, vcc, s65, v188
	v_mov_b32_e32 v159, v151
	v_mfma_f32_16x16x16_bf16 a[28:31], v[184:185], v[178:179], a[20:23]
	v_addc_co_u32_e32 v43, vcc, 0, v189, vcc
	global_store_dwordx4 v[42:43], v[154:157], off
	v_mfma_f32_16x16x16_bf16 a[16:19], v[184:185], v[180:181], a[32:35]
	s_waitcnt vmcnt(2)
	v_mov_b32_e32 v44, v37
	v_mov_b32_e32 v43, v36
	;; [unrolled: 1-line block ×3, first 2 shown]
	v_mfma_f32_16x16x16_bf16 a[20:23], v[184:185], v[182:183], a[36:39]
	s_and_b64 vcc, exec, s[0:1]
	global_store_dwordx4 v[188:189], v[174:177], off
	global_store_dwordx4 v[162:163], v[170:173], off offset:-4096
	global_store_dwordx4 v[162:163], v[158:161], off
	s_cbranch_vccnz .LBB94_6
; %bb.16:                               ;   in Loop: Header=BB94_7 Depth=1
	v_lshrrev_b32_e32 v35, 3, v147
	v_and_b32_e32 v35, 6, v35
	v_xor_b32_e32 v36, v35, v148
	v_lshlrev_b32_e32 v36, 2, v36
	v_and_b32_e32 v37, 8, v147
	v_xor_b32_e32 v147, 0x440, v36
	v_cmp_eq_u32_e32 vcc, 0, v37
	v_perm_b32 v37, v22, v18, s61
	s_nop 0
	v_cndmask_b32_e32 v36, v147, v36, vcc
	v_lshl_or_b32 v35, v35, 10, v36
	v_perm_b32 v36, v30, v26, s61
	s_barrier
	ds_write2st64_b32 v35, v36, v37 offset0:128 offset1:160
	v_xor_b32_e32 v36, 8, v35
	v_perm_b32 v26, v30, v26, s62
	v_perm_b32 v18, v22, v18, s62
	v_add_u32_e32 v22, 0x80, v36
	ds_write2st64_b32 v22, v26, v18 offset0:128 offset1:160
	v_xor_b32_e32 v18, 16, v35
	v_perm_b32 v22, v31, v27, s61
	v_perm_b32 v26, v23, v19, s61
	ds_write2st64_b32 v18, v22, v26 offset0:129 offset1:161
	v_xor_b32_e32 v18, 24, v35
	v_perm_b32 v22, v31, v27, s62
	v_perm_b32 v19, v23, v19, s62
	v_add_u32_e32 v18, 0x80, v18
	ds_write2st64_b32 v18, v22, v19 offset0:129 offset1:161
	v_xor_b32_e32 v18, 32, v35
	v_perm_b32 v19, v32, v28, s61
	v_perm_b32 v22, v24, v20, s61
	;; [unrolled: 9-line block ×3, first 2 shown]
	ds_write2st64_b32 v18, v19, v20 offset0:131 offset1:163
	v_xor_b32_e32 v18, 56, v35
	v_perm_b32 v19, v33, v29, s62
	v_perm_b32 v20, v25, v21, s62
	v_add_u32_e32 v18, 0x80, v18
	ds_write2st64_b32 v18, v19, v20 offset0:131 offset1:163
	ds_write_b64 v146, v[14:15] offset:49152
	v_xor_b32_e32 v14, 8, v146
	ds_write_b64 v14, v[16:17] offset:49152
	ds_write_b64 v146, v[10:11] offset:57344
	ds_write_b64 v14, v[12:13] offset:57344
	ds_write_b64 v145, v[6:7] offset:49152
	v_xor_b32_e32 v6, 8, v145
	ds_write_b64 v6, v[8:9] offset:49152
	ds_write_b64 v145, v[2:3] offset:57344
	;; [unrolled: 1-line block ×3, first 2 shown]
	s_branch .LBB94_6
.LBB94_17:
	s_lshl_b32 s44, s51, 6
	s_sub_i32 s45, s12, s44
	s_cmp_gt_i32 s45, 0
	v_or_b32_e32 v18, s2, v87
	s_cbranch_scc1 .LBB94_19
; %bb.18:
	s_ashr_i32 s0, s33, 31
	s_add_u32 s24, s48, s33
	s_addc_u32 s25, s54, s0
	v_or_b32_e32 v2, s2, v87
	s_cbranch_execz .LBB94_20
	s_branch .LBB94_100
.LBB94_19:
                                        ; implicit-def: $sgpr24_sgpr25
                                        ; implicit-def: $vgpr2
.LBB94_20:
	s_ashr_i32 s37, s50, 31
	s_ashr_i32 s3, s44, 31
	s_cmpk_lg_i32 s15, 0x80
	s_cselect_b64 s[40:41], -1, 0
	s_and_b64 vcc, exec, s[40:41]
	s_cbranch_vccz .LBB94_22
; %bb.21:
	s_mul_hi_i32 s0, s50, s12
	s_add_u32 s1, s46, s44
	s_addc_u32 s0, s0, s3
	s_mul_i32 s20, s1, s52
	s_mul_hi_u32 s21, s1, s14
	s_add_i32 s20, s21, s20
	s_mul_i32 s0, s0, s14
	s_add_i32 s20, s20, s0
	s_mul_i32 s1, s1, s14
	s_ashr_i32 s0, s55, 31
	s_add_u32 s42, s1, s55
	s_addc_u32 s43, s20, s0
	s_cbranch_execz .LBB94_23
	s_branch .LBB94_24
.LBB94_22:
                                        ; implicit-def: $sgpr42_sgpr43
.LBB94_23:
	s_mul_hi_i32 s0, s50, s14
	s_mul_i32 s50, s50, s14
	s_ashr_i32 s1, s55, 31
	s_add_u32 s14, s50, s55
	s_addc_u32 s0, s0, s1
	s_mul_i32 s1, s14, s49
	s_mul_hi_u32 s20, s14, s12
	s_add_i32 s1, s20, s1
	s_mul_i32 s0, s0, s12
	s_add_i32 s1, s1, s0
	s_mul_i32 s14, s14, s12
	s_add_u32 s42, s14, s44
	s_addc_u32 s43, s1, s3
.LBB94_24:
	s_add_i32 s20, s53, s51
	s_ashr_i32 s14, s33, 31
	s_add_u32 s24, s48, s33
	s_addc_u32 s25, s54, s14
	s_mul_i32 s0, s24, s49
	s_mul_hi_u32 s1, s24, s12
	s_add_i32 s0, s1, s0
	s_mul_i32 s1, s25, s12
	s_add_i32 s1, s0, s1
	s_mul_i32 s0, s24, s12
	s_add_u32 s0, s0, s44
	v_lshlrev_b32_e32 v6, 6, v1
	v_lshlrev_b32_e32 v26, 2, v87
	s_addc_u32 s1, s1, s3
	s_mov_b32 s3, 0x7060302
	v_or_b32_e32 v9, v6, v26
	v_xor_b32_e32 v7, v1, v26
	v_perm_b32 v3, v77, v76, s3
	v_perm_b32 v2, v75, v74, s3
	;; [unrolled: 1-line block ×4, first 2 shown]
	v_lshlrev_b32_e32 v9, 1, v9
	v_xor_b32_e32 v8, v90, v26
	ds_write2st64_b64 v9, v[2:3], v[4:5] offset0:32 offset1:48
	v_lshlrev_b32_e32 v7, 1, v7
	v_lshlrev_b32_e32 v9, 8, v87
	v_or_b32_e32 v10, v7, v9
	v_lshlrev_b32_e32 v8, 1, v8
	ds_write_b64 v10, v[2:3]
	v_or_b32_e32 v2, v8, v9
	v_or_b32_e32 v9, 16, v87
	v_lshlrev_b32_e32 v25, 2, v9
	v_or_b32_e32 v10, v6, v25
	ds_write_b64 v2, v[4:5]
	v_perm_b32 v3, v69, v68, s3
	v_perm_b32 v2, v67, v66, s3
	;; [unrolled: 1-line block ×4, first 2 shown]
	v_lshlrev_b32_e32 v10, 1, v10
	v_lshlrev_b32_e32 v9, 8, v9
	ds_write2st64_b64 v10, v[2:3], v[4:5] offset0:32 offset1:48
	v_or_b32_e32 v10, v7, v9
	ds_write_b64 v10, v[2:3]
	v_or_b32_e32 v2, v8, v9
	v_or_b32_e32 v9, 32, v87
	v_lshlrev_b32_e32 v24, 2, v9
	v_or_b32_e32 v10, v6, v24
	ds_write_b64 v2, v[4:5]
	v_perm_b32 v3, v61, v60, s3
	v_perm_b32 v2, v59, v58, s3
	;; [unrolled: 1-line block ×4, first 2 shown]
	v_lshlrev_b32_e32 v10, 1, v10
	v_lshlrev_b32_e32 v9, 8, v9
	s_lshl_b64 s[26:27], s[0:1], 8
	ds_write2st64_b64 v10, v[2:3], v[4:5] offset0:32 offset1:48
	v_or_b32_e32 v10, v7, v9
	s_add_u32 s0, s6, s26
	ds_write_b64 v10, v[2:3]
	v_or_b32_e32 v2, v8, v9
	s_addc_u32 s1, s7, s27
	ds_write_b64 v2, v[4:5]
	v_perm_b32 v3, v53, v52, s3
	v_perm_b32 v2, v51, v50, s3
	;; [unrolled: 1-line block ×4, first 2 shown]
	v_or_b32_e32 v9, 48, v87
	s_mul_hi_i32 s3, s20, s13
	s_mul_i32 s20, s20, s13
	v_lshlrev_b32_e32 v21, 2, v9
	s_add_u32 s6, s20, s33
	v_or_b32_e32 v6, v6, v21
	s_addc_u32 s7, s3, s14
	v_lshlrev_b32_e32 v6, 1, v6
	s_ashr_i32 s3, s2, 31
	s_lshl_b64 s[6:7], s[6:7], 15
	ds_write2st64_b64 v6, v[2:3], v[4:5] offset0:32 offset1:48
	v_lshlrev_b32_e32 v6, 8, v9
	s_waitcnt lgkmcnt(0)
	s_add_u32 s6, s38, s6
	v_or_b32_e32 v7, v7, v6
	s_addc_u32 s7, s39, s7
	s_lshl_b64 s[2:3], s[2:3], 8
	ds_write_b64 v7, v[2:3]
	v_or_b32_e32 v2, v8, v6
	s_add_u32 s2, s6, s2
	v_lshlrev_b32_e32 v3, 1, v87
	ds_write_b64 v2, v[4:5]
	v_lshrrev_b32_e32 v2, 4, v0
	s_addc_u32 s3, s7, s3
	v_or_b32_e32 v4, 1, v3
	v_lshlrev_b32_e32 v10, 4, v87
	v_mov_b32_e32 v11, 0
	v_xor_b32_e32 v3, v2, v3
	v_xor_b32_e32 v6, v4, v2
	v_lshl_add_u64 v[12:13], s[2:3], 0, v[10:11]
	v_lshlrev_b32_e32 v10, 8, v2
	v_lshl_or_b32 v16, v3, 3, v10
	v_lshl_or_b32 v17, v6, 3, v10
	s_waitcnt lgkmcnt(0)
	s_barrier
	ds_read2st64_b64 v[2:5], v16 offset1:8
	ds_read2st64_b64 v[6:9], v17 offset1:8
	v_lshl_add_u64 v[14:15], v[12:13], 0, v[10:11]
	s_movk_i32 s2, 0x2000
	s_cmp_lg_u32 s45, 64
	s_waitcnt lgkmcnt(1)
	v_mov_b32_e32 v10, v2
	v_mov_b32_e32 v11, v3
	s_waitcnt lgkmcnt(0)
	v_mov_b32_e32 v12, v6
	v_mov_b32_e32 v13, v7
	global_store_dwordx4 v[14:15], v[10:13], off
	v_mov_b32_e32 v6, v4
	v_mov_b32_e32 v7, v5
	ds_read2st64_b64 v[2:5], v16 offset0:16 offset1:24
	ds_read2st64_b64 v[10:13], v17 offset0:16 offset1:24
	v_add_co_u32_e32 v16, vcc, s2, v14
	s_cselect_b64 s[6:7], -1, 0
	s_nop 0
	v_addc_co_u32_e32 v17, vcc, 0, v15, vcc
	global_store_dwordx4 v[16:17], v[6:9], off offset:-4096
	v_lshl_or_b32 v19, v45, 3, v89
	s_mov_b32 s20, 0
	s_waitcnt lgkmcnt(1)
	v_mov_b32_e32 v6, v2
	v_add_co_u32_e32 v2, vcc, 0x3000, v14
	v_mov_b32_e32 v7, v3
	s_nop 0
	v_addc_co_u32_e32 v3, vcc, 0, v15, vcc
	s_waitcnt lgkmcnt(0)
	v_mov_b32_e32 v8, v10
	v_mov_b32_e32 v9, v11
	;; [unrolled: 1-line block ×4, first 2 shown]
	v_or_b32_e32 v22, 32, v19
	v_and_b32_e32 v20, 56, v88
	s_and_b64 vcc, exec, s[6:7]
	global_store_dwordx4 v[16:17], v[6:9], off
	global_store_dwordx4 v[2:3], v[10:13], off
	s_cbranch_vccz .LBB94_30
; %bb.25:
	s_mov_b32 s21, s20
	s_mov_b32 s22, s20
	;; [unrolled: 1-line block ×3, first 2 shown]
	v_mov_b64_e32 v[6:7], s[20:21]
	v_mov_b64_e32 v[8:9], s[22:23]
	;; [unrolled: 1-line block ×3, first 2 shown]
	v_cmp_gt_i32_e32 vcc, s45, v19
	v_mov_b64_e32 v[4:5], v[8:9]
	s_and_saveexec_b64 s[2:3], vcc
	s_cbranch_execz .LBB94_27
; %bb.26:
	v_lshlrev_b32_e32 v2, 8, v19
	v_mov_b32_e32 v3, 0
	v_lshl_add_u64 v[4:5], s[0:1], 0, v[2:3]
	v_lshlrev_b32_e32 v2, 1, v20
	v_lshl_add_u64 v[10:11], v[4:5], 0, v[2:3]
	global_load_dwordx4 v[6:9], v[10:11], off
	global_load_dwordx4 v[2:5], v[10:11], off offset:128
.LBB94_27:
	s_or_b64 exec, exec, s[2:3]
	s_mov_b32 s21, s20
	s_mov_b32 s22, s20
	s_mov_b32 s23, s20
	v_mov_b64_e32 v[14:15], s[20:21]
	v_mov_b64_e32 v[16:17], s[22:23]
	v_mov_b64_e32 v[10:11], v[14:15]
	v_cmp_gt_i32_e32 vcc, s45, v22
	v_lshlrev_b32_e32 v23, 7, v22
	v_mov_b64_e32 v[12:13], v[16:17]
	s_and_saveexec_b64 s[2:3], vcc
	s_cbranch_execz .LBB94_29
; %bb.28:
	v_lshlrev_b32_e32 v10, 1, v23
	v_mov_b32_e32 v11, 0
	v_lshl_add_u64 v[12:13], s[0:1], 0, v[10:11]
	v_lshlrev_b32_e32 v10, 1, v20
	v_lshl_add_u64 v[28:29], v[12:13], 0, v[10:11]
	global_load_dwordx4 v[14:17], v[28:29], off
	global_load_dwordx4 v[10:13], v[28:29], off offset:128
.LBB94_29:
	s_or_b64 exec, exec, s[2:3]
	v_lshrrev_b32_e32 v27, 3, v20
	v_lshlrev_b32_e32 v28, 3, v19
	v_or_b32_e32 v27, v28, v27
	v_lshlrev_b32_e32 v27, 4, v27
	v_and_b32_e32 v28, 0x78, v28
	v_xor_b32_e32 v27, v27, v28
	s_branch .LBB94_32
.LBB94_30:
                                        ; implicit-def: $vgpr27
                                        ; implicit-def: $vgpr23
                                        ; implicit-def: $vgpr6_vgpr7_vgpr8_vgpr9
                                        ; implicit-def: $vgpr2_vgpr3_vgpr4_vgpr5
                                        ; implicit-def: $vgpr14_vgpr15_vgpr16_vgpr17
                                        ; implicit-def: $vgpr10_vgpr11_vgpr12_vgpr13
	s_cbranch_execz .LBB94_32
; %bb.31:
	s_waitcnt vmcnt(0)
	v_lshlrev_b32_e32 v2, 1, v20
	v_lshl_or_b32 v23, v19, 8, v2
	s_and_b32 s1, s1, 0xffff
	s_mov_b32 s3, 0x20000
	s_movk_i32 s2, 0x4000
	v_lshl_or_b32 v27, v22, 8, v2
	s_movk_i32 s20, 0x80
	buffer_load_dwordx4 v[6:9], v23, s[0:3], 0 offen
	buffer_load_dwordx4 v[2:5], v23, s[0:3], s20 offen
	;; [unrolled: 1-line block ×4, first 2 shown]
	v_lshrrev_b32_e32 v23, 3, v20
	v_lshlrev_b32_e32 v27, 3, v19
	v_or_b32_e32 v23, v27, v23
	v_lshlrev_b32_e32 v23, 4, v23
	v_and_b32_e32 v27, 0x78, v27
	v_xor_b32_e32 v27, v23, v27
	v_lshlrev_b32_e32 v23, 7, v22
.LBB94_32:
	s_movk_i32 s0, 0x1000
	v_and_or_b32 v22, v23, s0, v27
	s_waitcnt vmcnt(1)
	ds_write_b64 v27, v[6:7] offset:49152
	v_xor_b32_e32 v6, 8, v27
	ds_write_b64 v6, v[8:9] offset:49152
	s_waitcnt vmcnt(0)
	ds_write_b64 v27, v[2:3] offset:57344
	ds_write_b64 v6, v[4:5] offset:57344
	;; [unrolled: 1-line block ×3, first 2 shown]
	v_xor_b32_e32 v2, 8, v22
	ds_write_b64 v2, v[16:17] offset:49152
	ds_write_b64 v22, v[10:11] offset:57344
	;; [unrolled: 1-line block ×3, first 2 shown]
	v_or_b32_e32 v2, v84, v87
	v_lshlrev_b32_e32 v2, 3, v2
	v_lshrrev_b32_e32 v3, 5, v85
	s_movk_i32 s0, 0xf8
	v_and_or_b32 v3, v2, s0, v3
	v_lshlrev_b32_e32 v7, 4, v3
	v_lshlrev_b32_e32 v27, 11, v45
	v_and_b32_e32 v8, 0x78, v2
	v_or_b32_e32 v10, 32, v7
	v_and_b32_e32 v6, 0x1000, v27
	v_lshrrev_b32_e32 v3, 1, v85
	v_xor_b32_e32 v10, v10, v8
	v_xor_b32_e32 v2, v7, v8
	v_and_b32_e32 v9, 8, v3
	v_or_b32_e32 v10, v10, v6
	v_or_b32_e32 v2, v2, v6
	v_xor_b32_e32 v33, v10, v9
	v_or_b32_e32 v10, 64, v7
	v_xor_b32_e32 v32, v2, v9
	v_xor_b32_e32 v10, v10, v8
	s_waitcnt lgkmcnt(0)
	s_barrier
	v_or_b32_e32 v13, v10, v6
	ds_read_b64 v[10:11], v32 offset:49152
	v_lshl_or_b32 v14, v86, 8, v26
	v_lshlrev_b32_e32 v28, 1, v14
	v_add_u32_e32 v12, 0x4000, v28
	ds_read2_b64 v[2:5], v12 offset1:16
	v_or_b32_e32 v7, 0x60, v7
	v_xor_b32_e32 v7, v7, v8
	v_or_b32_e32 v6, v7, v6
	v_xor_b32_e32 v34, v13, v9
	v_xor_b32_e32 v35, v6, v9
	ds_read_b64 v[22:23], v33 offset:49152
	ds_read_b64 v[36:37], v34 offset:49152
	ds_read_b64 v[38:39], v35 offset:49152
	s_waitcnt lgkmcnt(3)
	v_mfma_f32_16x16x16_bf16 a[0:3], v[10:11], v[2:3], 0
	ds_read2_b64 v[6:9], v12 offset0:32 offset1:48
	s_lshl_b64 s[0:1], s[42:43], 8
	s_add_u32 s4, s4, s0
	v_mfma_f32_16x16x16_bf16 a[4:7], v[10:11], v[4:5], 0
	ds_read2st64_b64 v[2:5], v28 offset0:36 offset1:40
	s_addc_u32 s5, s5, s1
	s_add_i32 s20, s12, -1
	s_waitcnt lgkmcnt(1)
	v_mfma_f32_16x16x16_bf16 a[8:11], v[10:11], v[6:7], 0
	v_or_b32_e32 v6, 64, v14
	v_lshlrev_b32_e32 v29, 1, v6
	s_add_i32 s0, s47, s17
	s_waitcnt lgkmcnt(0)
	v_mfma_f32_16x16x16_bf16 a[0:3], v[22:23], v[2:3], a[0:3]
	v_or_b32_e32 v2, 0x80, v14
	v_lshlrev_b32_e32 v30, 1, v2
	v_or_b32_e32 v2, 0xc0, v14
	v_mfma_f32_16x16x16_bf16 a[12:15], v[10:11], v[8:9], 0
	ds_read2st64_b64 v[6:9], v29 offset0:36 offset1:40
	v_lshlrev_b32_e32 v31, 1, v2
	ds_read2st64_b64 v[10:13], v30 offset0:36 offset1:40
	ds_read2st64_b64 v[14:17], v31 offset0:36 offset1:40
	s_mul_i32 s37, s37, s16
	s_add_i32 s37, s0, s37
	s_mul_i32 s0, s33, s19
	s_mul_hi_u32 s1, s33, s18
	s_ashr_i32 s2, s20, 31
	s_mul_i32 s3, s20, s35
	s_mul_hi_u32 s12, s20, s34
	s_waitcnt lgkmcnt(2)
	v_mfma_f32_16x16x16_bf16 a[4:7], v[22:23], v[6:7], a[4:7]
	s_add_i32 s0, s1, s0
	s_mul_i32 s1, s14, s18
	s_add_i32 s3, s12, s3
	s_mul_i32 s2, s2, s34
	s_waitcnt lgkmcnt(1)
	v_mfma_f32_16x16x16_bf16 a[8:11], v[22:23], v[10:11], a[8:11]
	s_add_i32 s1, s0, s1
	s_add_i32 s3, s3, s2
	s_lshl_b64 s[16:17], s[36:37], 2
	s_waitcnt lgkmcnt(0)
	v_mfma_f32_16x16x16_bf16 a[12:15], v[22:23], v[14:15], a[12:15]
	s_mul_i32 s0, s33, s18
	s_add_u32 s10, s10, s16
	s_addc_u32 s11, s11, s17
	s_lshl_b64 s[0:1], s[0:1], 2
	v_mfma_f32_16x16x16_bf16 a[0:3], v[36:37], v[4:5], a[0:3]
	s_mul_i32 s2, s20, s34
	ds_read_b64 v[2:3], v28 offset:22528
	s_add_u32 s10, s10, s0
	v_mfma_f32_16x16x16_bf16 a[4:7], v[36:37], v[8:9], a[4:7]
	ds_read_b64 v[4:5], v29 offset:22528
	ds_read_b64 v[6:7], v30 offset:22528
	;; [unrolled: 1-line block ×3, first 2 shown]
	s_addc_u32 s11, s11, s1
	s_lshl_b64 s[0:1], s[2:3], 2
	v_mfma_f32_16x16x16_bf16 a[8:11], v[36:37], v[12:13], a[8:11]
	s_add_u32 s0, s10, s0
	s_addc_u32 s1, s11, s1
	s_load_dword s12, s[0:1], 0x0
	v_mfma_f32_16x16x16_bf16 a[12:15], v[36:37], v[16:17], a[12:15]
	s_and_b64 vcc, exec, s[40:41]
	s_waitcnt lgkmcnt(0)
	v_mfma_f32_16x16x16_bf16 a[0:3], v[38:39], v[2:3], a[0:3]
	v_mfma_f32_16x16x16_bf16 a[4:7], v[38:39], v[4:5], a[4:7]
	;; [unrolled: 1-line block ×4, first 2 shown]
	s_cbranch_vccz .LBB94_43
; %bb.33:
	v_lshlrev_b32_e32 v22, 1, v19
	s_and_b64 vcc, exec, s[6:7]
	s_cbranch_vccz .LBB94_44
; %bb.34:
	v_cmp_gt_i32_e32 vcc, s45, v22
	v_mov_b32_e32 v6, 0
	v_mov_b32_e32 v2, 0
	;; [unrolled: 1-line block ×5, first 2 shown]
	s_and_saveexec_b64 s[0:1], vcc
	s_cbranch_execz .LBB94_36
; %bb.35:
	v_mad_i64_i32 v[2:3], s[2:3], s15, v22, 0
	v_lshl_add_u64 v[2:3], v[2:3], 1, s[4:5]
	v_lshlrev_b32_e32 v4, 1, v20
	v_mov_b32_e32 v5, 0
	v_lshl_add_u64 v[2:3], v[2:3], 0, v[4:5]
	global_load_dwordx4 v[2:5], v[2:3], off
.LBB94_36:
	s_or_b64 exec, exec, s[0:1]
	v_or_b32_e32 v23, 1, v22
	v_cmp_gt_i32_e64 s[0:1], s45, v23
	v_mov_b32_e32 v7, 0
	v_mov_b32_e32 v8, 0
	;; [unrolled: 1-line block ×3, first 2 shown]
	s_and_saveexec_b64 s[2:3], s[0:1]
	s_cbranch_execz .LBB94_38
; %bb.37:
	v_mad_i64_i32 v[6:7], s[16:17], s15, v23, 0
	v_lshl_add_u64 v[6:7], v[6:7], 1, s[4:5]
	v_lshlrev_b32_e32 v8, 1, v20
	v_mov_b32_e32 v9, 0
	v_lshl_add_u64 v[6:7], v[6:7], 0, v[8:9]
	global_load_dwordx4 v[6:9], v[6:7], off
.LBB94_38:
	s_or_b64 exec, exec, s[2:3]
	v_mov_b32_e32 v17, 0
	v_mov_b32_e32 v10, 0
	v_mov_b32_e32 v11, 0
	v_mov_b32_e32 v12, 0
	v_mov_b32_e32 v13, 0
	s_and_saveexec_b64 s[2:3], vcc
	s_cbranch_execz .LBB94_40
; %bb.39:
	v_mad_i64_i32 v[10:11], s[16:17], s15, v22, 0
	v_lshl_add_u64 v[10:11], v[10:11], 1, s[4:5]
	v_lshlrev_b32_e32 v12, 1, v20
	v_mov_b32_e32 v13, 0
	v_lshl_add_u64 v[10:11], v[10:11], 0, v[12:13]
	global_load_dwordx4 v[10:13], v[10:11], off offset:128
.LBB94_40:
	s_or_b64 exec, exec, s[2:3]
	v_mov_b32_e32 v16, 0
	v_mov_b32_e32 v15, 0
	;; [unrolled: 1-line block ×3, first 2 shown]
	s_and_saveexec_b64 s[2:3], s[0:1]
	s_cbranch_execz .LBB94_42
; %bb.41:
	v_mad_i64_i32 v[14:15], s[0:1], s15, v23, 0
	v_lshl_add_u64 v[14:15], v[14:15], 1, s[4:5]
	v_lshlrev_b32_e32 v16, 1, v20
	v_mov_b32_e32 v17, 0
	v_lshl_add_u64 v[14:15], v[14:15], 0, v[16:17]
	global_load_dwordx4 v[14:17], v[14:15], off offset:128
.LBB94_42:
	s_or_b64 exec, exec, s[2:3]
	s_branch .LBB94_46
.LBB94_43:
                                        ; implicit-def: $vgpr5
                                        ; implicit-def: $vgpr9
                                        ; implicit-def: $vgpr13
                                        ; implicit-def: $vgpr17
	v_lshrrev_b32_e32 v36, 2, v85
	s_branch .LBB94_47
.LBB94_44:
                                        ; implicit-def: $vgpr5
                                        ; implicit-def: $vgpr9
                                        ; implicit-def: $vgpr13
                                        ; implicit-def: $vgpr17
	s_cbranch_execz .LBB94_46
; %bb.45:
	s_waitcnt vmcnt(0)
	v_mad_u64_u32 v[2:3], s[0:1], v22, s15, v[20:21]
	v_lshlrev_b32_e32 v22, 1, v2
	s_lshl_b32 s2, s15, 7
	s_and_b32 s1, s5, 0xffff
	s_mov_b32 s3, 0x20000
	s_mov_b32 s0, s4
	v_add_lshl_u32 v23, v2, s15, 1
	s_movk_i32 s15, 0x80
	buffer_load_dwordx4 v[2:5], v22, s[0:3], 0 offen
	buffer_load_dwordx4 v[10:13], v22, s[0:3], s15 offen
	;; [unrolled: 1-line block ×4, first 2 shown]
.LBB94_46:
	v_lshrrev_b32_e32 v36, 2, v85
	s_cbranch_execnz .LBB94_59
.LBB94_47:
	s_and_b64 vcc, exec, s[6:7]
	s_cbranch_vccz .LBB94_57
; %bb.48:
	s_waitcnt vmcnt(0)
	v_lshlrev_b32_e32 v7, 1, v19
	v_cmp_gt_i32_e32 vcc, s45, v7
	v_mov_b32_e32 v6, 0
	v_lshlrev_b32_e32 v14, 9, v19
	v_mov_b32_e32 v2, 0
	v_mov_b32_e32 v3, 0
	;; [unrolled: 1-line block ×4, first 2 shown]
	s_and_saveexec_b64 s[0:1], vcc
	s_cbranch_execz .LBB94_50
; %bb.49:
	v_mov_b32_e32 v15, 0
	v_lshl_add_u64 v[2:3], s[4:5], 0, v[14:15]
	v_lshlrev_b32_e32 v4, 1, v20
	v_mov_b32_e32 v5, v15
	v_lshl_add_u64 v[2:3], v[2:3], 0, v[4:5]
	global_load_dwordx4 v[2:5], v[2:3], off
.LBB94_50:
	s_or_b64 exec, exec, s[0:1]
	v_or_b32_e32 v7, 1, v7
	v_cmp_gt_i32_e64 s[0:1], s45, v7
	v_lshlrev_b32_e32 v22, 8, v7
	v_mov_b32_e32 v7, 0
	v_mov_b32_e32 v8, 0
	;; [unrolled: 1-line block ×3, first 2 shown]
	s_and_saveexec_b64 s[2:3], s[0:1]
	s_cbranch_execz .LBB94_52
; %bb.51:
	v_mov_b32_e32 v23, 0
	v_lshl_add_u64 v[6:7], s[4:5], 0, v[22:23]
	v_lshlrev_b32_e32 v8, 1, v20
	v_mov_b32_e32 v9, v23
	v_lshl_add_u64 v[6:7], v[6:7], 0, v[8:9]
	global_load_dwordx4 v[6:9], v[6:7], off
.LBB94_52:
	s_or_b64 exec, exec, s[2:3]
	v_mov_b32_e32 v17, 0
	v_mov_b32_e32 v10, 0
	;; [unrolled: 1-line block ×5, first 2 shown]
	s_and_saveexec_b64 s[2:3], vcc
	s_cbranch_execz .LBB94_54
; %bb.53:
	v_mov_b32_e32 v15, 0
	v_lshl_add_u64 v[10:11], s[4:5], 0, v[14:15]
	v_lshlrev_b32_e32 v14, 1, v20
	v_lshl_add_u64 v[10:11], v[10:11], 0, v[14:15]
	global_load_dwordx4 v[10:13], v[10:11], off offset:128
.LBB94_54:
	s_or_b64 exec, exec, s[2:3]
	v_mov_b32_e32 v16, 0
	v_mov_b32_e32 v15, 0
	;; [unrolled: 1-line block ×3, first 2 shown]
	s_and_saveexec_b64 s[2:3], s[0:1]
	s_cbranch_execz .LBB94_56
; %bb.55:
	v_mov_b32_e32 v23, 0
	v_lshl_add_u64 v[14:15], s[4:5], 0, v[22:23]
	v_lshlrev_b32_e32 v22, 1, v20
	v_lshl_add_u64 v[14:15], v[14:15], 0, v[22:23]
	global_load_dwordx4 v[14:17], v[14:15], off offset:128
.LBB94_56:
	s_or_b64 exec, exec, s[2:3]
	s_branch .LBB94_59
.LBB94_57:
                                        ; implicit-def: $vgpr5
                                        ; implicit-def: $vgpr9
                                        ; implicit-def: $vgpr13
                                        ; implicit-def: $vgpr17
	s_cbranch_execz .LBB94_59
; %bb.58:
	s_waitcnt vmcnt(0)
	v_lshlrev_b32_e32 v2, 1, v20
	v_lshl_or_b32 v20, v19, 9, v2
	s_and_b32 s5, s5, 0xffff
	s_mov_b32 s7, 0x20000
	s_movk_i32 s6, 0x4000
	s_movk_i32 s0, 0x80
	buffer_load_dwordx4 v[2:5], v20, s[4:7], 0 offen
	buffer_load_dwordx4 v[6:9], v20, s[4:7], 0 offen offset:256
	buffer_load_dwordx4 v[10:13], v20, s[4:7], s0 offen
	buffer_load_dwordx4 v[14:17], v20, s[4:7], s0 offen offset:256
.LBB94_59:
	ds_read_b64 v[22:23], v32 offset:57344
	v_add_u32_e32 v20, 0x6000, v28
	ds_read2_b64 v[38:41], v20 offset1:16
	ds_read_b64 v[82:83], v33 offset:57344
	ds_read_b64 v[86:87], v34 offset:57344
	;; [unrolled: 1-line block ×3, first 2 shown]
	ds_read2_b64 v[32:35], v20 offset0:32 offset1:48
	v_and_b32_e32 v20, 12, v36
	v_and_b32_e32 v44, 6, v0
	v_xor_b32_e32 v19, v19, v44
	v_lshlrev_b32_e32 v19, 2, v19
	s_mov_b32 s0, 0x1000504
	s_waitcnt lgkmcnt(4)
	v_mfma_f32_16x16x16_bf16 a[4:7], v[22:23], v[40:41], a[4:7]
	s_mov_b32 s1, 0x3020706
	v_mfma_f32_16x16x16_bf16 a[0:3], v[22:23], v[38:39], a[0:3]
	ds_read2st64_b64 v[36:39], v28 offset0:52 offset1:56
	s_waitcnt lgkmcnt(1)
	v_mfma_f32_16x16x16_bf16 a[8:11], v[22:23], v[32:33], a[8:11]
	v_mfma_f32_16x16x16_bf16 a[12:15], v[22:23], v[34:35], a[12:15]
	ds_read2st64_b64 v[32:35], v29 offset0:52 offset1:56
	ds_read2st64_b64 v[40:43], v30 offset0:52 offset1:56
	;; [unrolled: 1-line block ×3, first 2 shown]
	s_waitcnt lgkmcnt(2)
	v_mfma_f32_16x16x16_bf16 a[4:7], v[82:83], v[32:33], a[4:7]
	v_and_b32_e32 v32, 1, v0
	v_xor_b32_e32 v33, 0x440, v19
	v_cmp_eq_u32_e32 vcc, 0, v32
	v_mfma_f32_16x16x16_bf16 a[0:3], v[82:83], v[36:37], a[0:3]
	s_waitcnt vmcnt(0)
	v_perm_b32 v32, v2, v6, s0
	v_cndmask_b32_e32 v19, v33, v19, vcc
	v_lshl_or_b32 v19, v44, 10, v19
	s_waitcnt lgkmcnt(1)
	v_mfma_f32_16x16x16_bf16 a[8:11], v[82:83], v[40:41], a[8:11]
	v_perm_b32 v33, v10, v14, s0
	ds_read_b64 v[22:23], v28 offset:30720
	ds_read_b64 v[36:37], v29 offset:30720
	;; [unrolled: 1-line block ×4, first 2 shown]
	ds_write2st64_b32 v19, v32, v33 offset0:128 offset1:160
	s_waitcnt lgkmcnt(5)
	v_mfma_f32_16x16x16_bf16 a[12:15], v[82:83], v[78:79], a[12:15]
	v_xor_b32_e32 v32, 8, v19
	v_perm_b32 v2, v2, v6, s1
	v_perm_b32 v6, v10, v14, s1
	v_add_u32_e32 v10, 0x80, v32
	ds_write2st64_b32 v10, v2, v6 offset0:128 offset1:160
	v_xor_b32_e32 v2, 16, v19
	v_perm_b32 v6, v3, v7, s0
	v_perm_b32 v10, v11, v15, s0
	v_mfma_f32_16x16x16_bf16 a[0:3], v[86:87], v[38:39], a[0:3]
	ds_write2st64_b32 v2, v6, v10 offset0:129 offset1:161
	v_xor_b32_e32 v2, 24, v19
	v_perm_b32 v3, v3, v7, s1
	v_mfma_f32_16x16x16_bf16 a[4:7], v[86:87], v[34:35], a[4:7]
	v_perm_b32 v6, v11, v15, s1
	v_add_u32_e32 v2, 0x80, v2
	ds_write2st64_b32 v2, v3, v6 offset0:129 offset1:161
	v_mfma_f32_16x16x16_bf16 a[16:19], v[86:87], v[42:43], a[8:11]
	v_xor_b32_e32 v2, 32, v19
	v_perm_b32 v3, v4, v8, s0
	v_perm_b32 v6, v12, v16, s0
	v_mfma_f32_16x16x16_bf16 a[20:23], v[86:87], v[80:81], a[12:15]
	ds_write2st64_b32 v2, v3, v6 offset0:130 offset1:162
	v_xor_b32_e32 v2, 40, v19
	v_perm_b32 v3, v4, v8, s1
	s_waitcnt lgkmcnt(8)
	v_mfma_f32_16x16x16_bf16 a[12:15], v[88:89], v[22:23], a[0:3]
	v_perm_b32 v4, v12, v16, s1
	v_add_u32_e32 v2, 0x80, v2
	ds_write2st64_b32 v2, v3, v4 offset0:130 offset1:162
	s_waitcnt lgkmcnt(8)
	v_mfma_f32_16x16x16_bf16 a[8:11], v[88:89], v[36:37], a[4:7]
	v_xor_b32_e32 v2, 48, v19
	v_perm_b32 v3, v5, v9, s0
	v_perm_b32 v4, v13, v17, s0
	s_waitcnt lgkmcnt(7)
	v_mfma_f32_16x16x16_bf16 a[4:7], v[88:89], v[90:91], a[16:19]
	ds_write2st64_b32 v2, v3, v4 offset0:131 offset1:163
	v_xor_b32_e32 v2, 56, v19
	v_or_b32_e32 v16, v20, v84
	s_waitcnt lgkmcnt(7)
	v_mfma_f32_16x16x16_bf16 a[0:3], v[88:89], v[92:93], a[20:23]
	v_perm_b32 v3, v5, v9, s1
	v_perm_b32 v4, v13, v17, s1
	v_add_u32_e32 v2, 0x80, v2
	v_cmp_gt_i32_e32 vcc, s45, v16
	v_mov_b32_e32 v17, 0
	v_mov_b32_e32 v23, 0
	ds_write2st64_b32 v2, v3, v4 offset0:131 offset1:163
	s_and_saveexec_b64 s[0:1], vcc
	s_cbranch_execz .LBB94_61
; %bb.60:
	v_add_u32_e32 v2, s44, v16
	v_ashrrev_i32_e32 v3, 31, v2
	v_mul_lo_u32 v4, v3, s34
	v_mul_lo_u32 v5, v2, s35
	v_mad_u64_u32 v[2:3], s[2:3], v2, s34, 0
	v_add3_u32 v3, v3, v5, v4
	v_lshl_add_u64 v[2:3], v[2:3], 2, s[10:11]
	global_load_dword v2, v[2:3], off
	s_waitcnt vmcnt(0)
	v_sub_f32_e32 v2, s12, v2
	v_mul_f32_e32 v2, 0x3fb8aa3b, v2
	v_exp_f32_e32 v23, v2
.LBB94_61:
	s_or_b64 exec, exec, s[0:1]
	v_or_b32_e32 v8, 1, v16
	v_cmp_gt_i32_e64 s[0:1], s45, v8
	s_and_saveexec_b64 s[2:3], s[0:1]
	s_cbranch_execz .LBB94_63
; %bb.62:
	v_add_u32_e32 v2, s44, v8
	v_ashrrev_i32_e32 v3, 31, v2
	v_mul_lo_u32 v4, v3, s34
	v_mul_lo_u32 v5, v2, s35
	v_mad_u64_u32 v[2:3], s[4:5], v2, s34, 0
	v_add3_u32 v3, v3, v5, v4
	v_lshl_add_u64 v[2:3], v[2:3], 2, s[10:11]
	global_load_dword v2, v[2:3], off
	s_waitcnt vmcnt(0)
	v_sub_f32_e32 v2, s12, v2
	v_mul_f32_e32 v2, 0x3fb8aa3b, v2
	v_exp_f32_e32 v17, v2
.LBB94_63:
	s_or_b64 exec, exec, s[2:3]
	v_or_b32_e32 v9, 2, v16
	v_cmp_gt_i32_e64 s[2:3], s45, v9
	v_mov_b32_e32 v22, 0
	v_mov_b32_e32 v32, 0
	s_and_saveexec_b64 s[4:5], s[2:3]
	s_cbranch_execz .LBB94_65
; %bb.64:
	v_add_u32_e32 v2, s44, v9
	v_ashrrev_i32_e32 v3, 31, v2
	v_mul_lo_u32 v4, v3, s34
	v_mul_lo_u32 v5, v2, s35
	v_mad_u64_u32 v[2:3], s[6:7], v2, s34, 0
	v_add3_u32 v3, v3, v5, v4
	v_lshl_add_u64 v[2:3], v[2:3], 2, s[10:11]
	global_load_dword v2, v[2:3], off
	s_waitcnt vmcnt(0)
	v_sub_f32_e32 v2, s12, v2
	v_mul_f32_e32 v2, 0x3fb8aa3b, v2
	v_exp_f32_e32 v32, v2
.LBB94_65:
	s_or_b64 exec, exec, s[4:5]
	v_or_b32_e32 v33, 3, v16
	v_cmp_gt_i32_e64 s[4:5], s45, v33
	s_and_saveexec_b64 s[6:7], s[4:5]
	s_cbranch_execz .LBB94_67
; %bb.66:
	v_add_u32_e32 v2, s44, v33
	v_ashrrev_i32_e32 v3, 31, v2
	v_mul_lo_u32 v4, v3, s34
	v_mul_lo_u32 v5, v2, s35
	v_mad_u64_u32 v[2:3], s[16:17], v2, s34, 0
	v_add3_u32 v3, v3, v5, v4
	v_lshl_add_u64 v[2:3], v[2:3], 2, s[10:11]
	global_load_dword v2, v[2:3], off
	s_waitcnt vmcnt(0)
	v_sub_f32_e32 v2, s12, v2
	v_mul_f32_e32 v2, 0x3fb8aa3b, v2
	v_exp_f32_e32 v22, v2
.LBB94_67:
	s_or_b64 exec, exec, s[6:7]
	s_add_u32 s6, s8, s26
	v_accvgpr_read_b32 v2, a12
	s_addc_u32 s7, s9, s27
	v_ashrrev_i32_e32 v19, 31, v18
	v_accvgpr_read_b32 v3, a13
	v_accvgpr_read_b32 v4, a14
	;; [unrolled: 1-line block ×3, first 2 shown]
	v_lshl_add_u64 v[6:7], v[18:19], 1, s[6:7]
	v_mov_b32_e32 v13, 0
	v_lshlrev_b32_e32 v10, 8, v16
	v_mov_b32_e32 v11, 0
	s_and_saveexec_b64 s[6:7], vcc
	s_cbranch_execz .LBB94_69
; %bb.68:
	v_mov_b32_e32 v11, 0
	v_lshl_add_u64 v[14:15], v[6:7], 0, v[10:11]
	global_load_ushort v11, v[14:15], off
	s_waitcnt vmcnt(0)
	v_lshlrev_b32_e32 v11, 16, v11
	v_sub_f32_e32 v2, v11, v2
	v_mul_f32_e32 v2, v23, v2
	v_lshrrev_b32_e32 v11, 16, v2
.LBB94_69:
	s_or_b64 exec, exec, s[6:7]
	v_lshlrev_b32_e32 v12, 8, v8
	s_and_saveexec_b64 s[6:7], s[0:1]
	s_cbranch_execz .LBB94_71
; %bb.70:
	v_mov_b32_e32 v13, 0
	v_lshl_add_u64 v[14:15], v[6:7], 0, v[12:13]
	global_load_ushort v2, v[14:15], off
	s_waitcnt vmcnt(0)
	v_lshlrev_b32_e32 v2, 16, v2
	v_sub_f32_e32 v2, v2, v3
	v_mul_f32_e32 v2, v17, v2
	v_lshrrev_b32_e32 v13, 16, v2
.LBB94_71:
	s_or_b64 exec, exec, s[6:7]
	v_mov_b32_e32 v34, 0
	v_lshlrev_b32_e32 v14, 8, v9
	v_mov_b32_e32 v15, 0
	s_and_saveexec_b64 s[6:7], s[2:3]
	s_cbranch_execz .LBB94_73
; %bb.72:
	v_mov_b32_e32 v15, 0
	v_lshl_add_u64 v[2:3], v[6:7], 0, v[14:15]
	global_load_ushort v2, v[2:3], off
	s_waitcnt vmcnt(0)
	v_lshlrev_b32_e32 v2, 16, v2
	v_sub_f32_e32 v2, v2, v4
	v_mul_f32_e32 v2, v32, v2
	v_lshrrev_b32_e32 v15, 16, v2
.LBB94_73:
	s_or_b64 exec, exec, s[6:7]
	v_lshlrev_b32_e32 v8, 8, v33
	s_and_saveexec_b64 s[6:7], s[4:5]
	s_cbranch_execz .LBB94_75
; %bb.74:
	v_mov_b32_e32 v9, 0
	v_lshl_add_u64 v[2:3], v[6:7], 0, v[8:9]
	global_load_ushort v2, v[2:3], off
	s_waitcnt vmcnt(0)
	v_lshlrev_b32_e32 v2, 16, v2
	v_sub_f32_e32 v2, v2, v5
	v_mul_f32_e32 v2, v22, v2
	v_lshrrev_b32_e32 v34, 16, v2
.LBB94_75:
	s_or_b64 exec, exec, s[6:7]
	v_lshlrev_b32_e32 v19, 6, v16
	v_accvgpr_read_b32 v2, a8
	s_mov_b32 s6, 0x5040100
	v_or_b32_e32 v9, v19, v26
	v_accvgpr_read_b32 v3, a9
	v_accvgpr_read_b32 v4, a10
	;; [unrolled: 1-line block ×3, first 2 shown]
	v_perm_b32 v35, v34, v15, s6
	v_perm_b32 v34, v13, v11, s6
	v_lshlrev_b32_e32 v9, 1, v9
	v_mov_b32_e32 v13, 0
	v_mov_b32_e32 v11, 0
	ds_write_b64 v9, v[34:35] offset:24576
	s_and_saveexec_b64 s[6:7], vcc
	s_cbranch_execz .LBB94_77
; %bb.76:
	v_mov_b32_e32 v11, 0
	v_lshl_add_u64 v[34:35], v[6:7], 0, v[10:11]
	global_load_ushort v9, v[34:35], off offset:32
	s_waitcnt vmcnt(0)
	v_lshlrev_b32_e32 v9, 16, v9
	v_sub_f32_e32 v2, v9, v2
	v_mul_f32_e32 v2, v23, v2
	v_lshrrev_b32_e32 v11, 16, v2
.LBB94_77:
	s_or_b64 exec, exec, s[6:7]
	s_and_saveexec_b64 s[6:7], s[0:1]
	s_cbranch_execz .LBB94_79
; %bb.78:
	v_mov_b32_e32 v13, 0
	v_lshl_add_u64 v[34:35], v[6:7], 0, v[12:13]
	global_load_ushort v2, v[34:35], off offset:32
	s_waitcnt vmcnt(0)
	v_lshlrev_b32_e32 v2, 16, v2
	v_sub_f32_e32 v2, v2, v3
	v_mul_f32_e32 v2, v17, v2
	v_lshrrev_b32_e32 v13, 16, v2
.LBB94_79:
	s_or_b64 exec, exec, s[6:7]
	v_mov_b32_e32 v9, 0
	v_mov_b32_e32 v15, 0
	s_and_saveexec_b64 s[6:7], s[2:3]
	s_cbranch_execz .LBB94_81
; %bb.80:
	v_mov_b32_e32 v15, 0
	v_lshl_add_u64 v[2:3], v[6:7], 0, v[14:15]
	global_load_ushort v2, v[2:3], off offset:32
	s_waitcnt vmcnt(0)
	v_lshlrev_b32_e32 v2, 16, v2
	v_sub_f32_e32 v2, v2, v4
	v_mul_f32_e32 v2, v32, v2
	v_lshrrev_b32_e32 v15, 16, v2
.LBB94_81:
	s_or_b64 exec, exec, s[6:7]
	s_and_saveexec_b64 s[6:7], s[4:5]
	s_cbranch_execz .LBB94_83
; %bb.82:
	v_mov_b32_e32 v9, 0
	v_lshl_add_u64 v[2:3], v[6:7], 0, v[8:9]
	global_load_ushort v2, v[2:3], off offset:32
	s_waitcnt vmcnt(0)
	v_lshlrev_b32_e32 v2, 16, v2
	v_sub_f32_e32 v2, v2, v5
	v_mul_f32_e32 v2, v22, v2
	v_lshrrev_b32_e32 v9, 16, v2
.LBB94_83:
	s_or_b64 exec, exec, s[6:7]
	s_mov_b32 s6, 0x5040100
	v_accvgpr_read_b32 v2, a4
	v_perm_b32 v35, v9, v15, s6
	v_or_b32_e32 v9, v19, v25
	v_accvgpr_read_b32 v3, a5
	v_accvgpr_read_b32 v4, a6
	v_accvgpr_read_b32 v5, a7
	v_perm_b32 v34, v13, v11, s6
	v_lshlrev_b32_e32 v9, 1, v9
	v_mov_b32_e32 v13, 0
	v_mov_b32_e32 v11, 0
	ds_write_b64 v9, v[34:35] offset:24576
	s_and_saveexec_b64 s[6:7], vcc
	s_cbranch_execz .LBB94_85
; %bb.84:
	v_mov_b32_e32 v11, 0
	v_lshl_add_u64 v[34:35], v[6:7], 0, v[10:11]
	global_load_ushort v9, v[34:35], off offset:64
	s_waitcnt vmcnt(0)
	v_lshlrev_b32_e32 v9, 16, v9
	v_sub_f32_e32 v2, v9, v2
	v_mul_f32_e32 v2, v23, v2
	v_lshrrev_b32_e32 v11, 16, v2
.LBB94_85:
	s_or_b64 exec, exec, s[6:7]
	s_and_saveexec_b64 s[6:7], s[0:1]
	s_cbranch_execz .LBB94_87
; %bb.86:
	v_mov_b32_e32 v13, 0
	v_lshl_add_u64 v[34:35], v[6:7], 0, v[12:13]
	global_load_ushort v2, v[34:35], off offset:64
	s_waitcnt vmcnt(0)
	v_lshlrev_b32_e32 v2, 16, v2
	v_sub_f32_e32 v2, v2, v3
	v_mul_f32_e32 v2, v17, v2
	v_lshrrev_b32_e32 v13, 16, v2
.LBB94_87:
	s_or_b64 exec, exec, s[6:7]
	v_mov_b32_e32 v9, 0
	v_mov_b32_e32 v15, 0
	s_and_saveexec_b64 s[6:7], s[2:3]
	s_cbranch_execz .LBB94_89
; %bb.88:
	v_mov_b32_e32 v15, 0
	v_lshl_add_u64 v[2:3], v[6:7], 0, v[14:15]
	global_load_ushort v2, v[2:3], off offset:64
	s_waitcnt vmcnt(0)
	v_lshlrev_b32_e32 v2, 16, v2
	v_sub_f32_e32 v2, v2, v4
	v_mul_f32_e32 v2, v32, v2
	v_lshrrev_b32_e32 v15, 16, v2
.LBB94_89:
	s_or_b64 exec, exec, s[6:7]
	s_and_saveexec_b64 s[6:7], s[4:5]
	s_cbranch_execz .LBB94_91
; %bb.90:
	v_mov_b32_e32 v9, 0
	v_lshl_add_u64 v[2:3], v[6:7], 0, v[8:9]
	global_load_ushort v2, v[2:3], off offset:64
	s_waitcnt vmcnt(0)
	v_lshlrev_b32_e32 v2, 16, v2
	v_sub_f32_e32 v2, v2, v5
	v_mul_f32_e32 v2, v22, v2
	v_lshrrev_b32_e32 v9, 16, v2
.LBB94_91:
	s_or_b64 exec, exec, s[6:7]
	s_mov_b32 s6, 0x5040100
	v_accvgpr_read_b32 v5, a3
	v_perm_b32 v35, v9, v15, s6
	v_or_b32_e32 v9, v19, v24
	v_accvgpr_read_b32 v4, a2
	v_accvgpr_read_b32 v3, a1
	;; [unrolled: 1-line block ×3, first 2 shown]
	v_perm_b32 v34, v13, v11, s6
	v_lshlrev_b32_e32 v9, 1, v9
	v_mov_b32_e32 v13, 0
	v_mov_b32_e32 v11, 0
	ds_write_b64 v9, v[34:35] offset:24576
	s_and_saveexec_b64 s[6:7], vcc
	s_cbranch_execz .LBB94_93
; %bb.92:
	v_mov_b32_e32 v11, 0
	v_lshl_add_u64 v[10:11], v[6:7], 0, v[10:11]
	global_load_ushort v9, v[10:11], off offset:96
	s_waitcnt vmcnt(0)
	v_lshlrev_b32_e32 v9, 16, v9
	v_sub_f32_e32 v2, v9, v2
	v_mul_f32_e32 v2, v23, v2
	v_lshrrev_b32_e32 v11, 16, v2
.LBB94_93:
	s_or_b64 exec, exec, s[6:7]
	s_and_saveexec_b64 s[6:7], s[0:1]
	s_cbranch_execz .LBB94_95
; %bb.94:
	v_mov_b32_e32 v13, 0
	v_lshl_add_u64 v[12:13], v[6:7], 0, v[12:13]
	global_load_ushort v2, v[12:13], off offset:96
	s_waitcnt vmcnt(0)
	v_lshlrev_b32_e32 v2, 16, v2
	v_sub_f32_e32 v2, v2, v3
	v_mul_f32_e32 v2, v17, v2
	v_lshrrev_b32_e32 v13, 16, v2
.LBB94_95:
	s_or_b64 exec, exec, s[6:7]
	v_mov_b32_e32 v9, 0
	v_mov_b32_e32 v12, 0
	s_and_saveexec_b64 s[0:1], s[2:3]
	s_cbranch_execz .LBB94_97
; %bb.96:
	v_mov_b32_e32 v15, 0
	v_lshl_add_u64 v[2:3], v[6:7], 0, v[14:15]
	global_load_ushort v2, v[2:3], off offset:96
	s_waitcnt vmcnt(0)
	v_lshlrev_b32_e32 v2, 16, v2
	v_sub_f32_e32 v2, v2, v4
	v_mul_f32_e32 v2, v32, v2
	v_lshrrev_b32_e32 v12, 16, v2
.LBB94_97:
	s_or_b64 exec, exec, s[0:1]
	v_or_b32_e32 v10, 0x6000, v28
	v_or_b32_e32 v2, 0x6000, v29
	;; [unrolled: 1-line block ×4, first 2 shown]
	s_and_saveexec_b64 s[0:1], s[4:5]
	s_cbranch_execz .LBB94_99
; %bb.98:
	v_mov_b32_e32 v9, 0
	v_lshl_add_u64 v[6:7], v[6:7], 0, v[8:9]
	global_load_ushort v6, v[6:7], off offset:96
	s_waitcnt vmcnt(0)
	v_lshlrev_b32_e32 v6, 16, v6
	v_sub_f32_e32 v5, v6, v5
	v_mul_f32_e32 v5, v22, v5
	v_lshrrev_b32_e32 v9, 16, v5
.LBB94_99:
	s_or_b64 exec, exec, s[0:1]
	s_mov_b32 s0, 0x5040100
	v_or_b32_e32 v5, v19, v21
	v_perm_b32 v7, v9, v12, s0
	v_perm_b32 v6, v13, v11, s0
	v_lshlrev_b32_e32 v5, 1, v5
	ds_write_b64 v5, v[6:7] offset:24576
	v_and_b32_e32 v5, 7, v0
	v_and_b32_e32 v11, 8, v0
	v_lshlrev_b32_e32 v17, 3, v5
	v_lshlrev_b32_e32 v19, 7, v5
	v_lshrrev_b32_e32 v5, 1, v0
	v_and_b32_e32 v5, 24, v5
	v_mov_b32_e32 v12, 0x400
	v_cmp_eq_u32_e32 vcc, 0, v11
	s_movk_i32 s2, 0x100
	v_lshlrev_b32_e32 v21, 3, v45
	v_cndmask_b32_e64 v11, v12, 64, vcc
	v_mov_b32_e32 v12, 0xa000
	v_mov_b32_e32 v13, 0x8000
	v_cmp_gt_u32_e64 s[0:1], s2, v0
	v_xor_b32_e32 v26, v21, v5
	s_waitcnt lgkmcnt(0)
	v_cndmask_b32_e64 v0, v12, v13, s[0:1]
	v_or_b32_e32 v12, 0x440, v26
	v_cndmask_b32_e32 v12, v12, v26, vcc
	v_or_b32_e32 v12, v12, v27
	v_xor_b32_e32 v44, v12, v17
	v_add3_u32 v12, v0, v44, v19
	s_barrier
	ds_read_b64 v[22:23], v12
	v_or_b32_e32 v12, 32, v5
	v_xor_b32_e32 v12, v21, v12
	v_or_b32_e32 v13, 0x440, v12
	v_cndmask_b32_e32 v12, v13, v12, vcc
	v_or_b32_e32 v12, v12, v27
	v_xor_b32_e32 v82, v12, v17
	v_add3_u32 v12, v0, v82, v19
	ds_read2_b64 v[6:9], v10 offset1:16
	ds_read_b64 v[40:41], v12
	ds_read2_b64 v[12:15], v10 offset0:32 offset1:48
	v_or3_b32 v11, v27, v11, v26
	v_xor_b32_e32 v11, v11, v17
	v_or_b32_e32 v5, 0x60, v5
	v_or_b32_e32 v83, v11, v19
	s_add_i32 s0, s20, s46
	v_or_b32_e32 v11, v0, v83
	v_xor_b32_e32 v5, v21, v5
	s_waitcnt lgkmcnt(2)
	v_mfma_f32_16x16x16_bf16 a[0:3], v[22:23], v[6:7], 0
	s_mul_hi_i32 s1, s0, s13
	s_mul_i32 s0, s0, s13
	s_add_u32 s0, s0, s33
	v_mfma_f32_16x16x16_bf16 a[4:7], v[22:23], v[8:9], 0
	s_addc_u32 s1, s1, s14
	s_lshl_b64 s[0:1], s[0:1], 9
	s_add_u32 s0, s30, s0
	s_waitcnt lgkmcnt(0)
	v_mfma_f32_16x16x16_bf16 a[8:11], v[22:23], v[12:13], 0
	s_addc_u32 s1, s31, s1
	v_mfma_f32_16x16x16_bf16 a[12:15], v[22:23], v[14:15], 0
	ds_read2st64_b64 v[22:25], v10 offset0:4 offset1:8
	ds_read2st64_b64 v[28:31], v2 offset0:4 offset1:8
	ds_read_b64 v[78:79], v11
	v_xor_b32_e32 v11, 0x440, v5
	ds_read2st64_b64 v[32:35], v3 offset0:4 offset1:8
	ds_read2st64_b64 v[36:39], v4 offset0:4 offset1:8
	v_cndmask_b32_e32 v5, v11, v5, vcc
	v_or_b32_e32 v5, v5, v27
	v_xor_b32_e32 v84, v5, v17
	v_add3_u32 v0, v0, v84, v19
	ds_read_b64 v[26:27], v0
	v_lshlrev_b32_e32 v0, 2, v16
	s_waitcnt lgkmcnt(5)
	v_mfma_f32_16x16x16_bf16 a[0:3], v[40:41], v[22:23], a[0:3]
	ds_read_b64 v[10:11], v10 offset:6144
	s_waitcnt lgkmcnt(5)
	v_mfma_f32_16x16x16_bf16 a[4:7], v[40:41], v[28:29], a[4:7]
	s_waitcnt lgkmcnt(3)
	v_mfma_f32_16x16x16_bf16 a[8:11], v[40:41], v[32:33], a[8:11]
	;; [unrolled: 2-line block ×3, first 2 shown]
	global_load_dwordx4 v[40:43], v0, s[0:1]
	v_lshlrev_b32_e32 v0, 6, v45
	s_waitcnt vmcnt(0)
	v_mul_f32_e32 v40, 0x3fb8aa3b, v40
	v_mfma_f32_16x16x16_bf16 a[0:3], v[78:79], v[24:25], a[0:3]
	v_mul_f32_e32 v41, 0x3fb8aa3b, v41
	v_exp_f32_e32 v40, v40
	v_exp_f32_e32 v41, v41
	v_mfma_f32_16x16x16_bf16 a[4:7], v[78:79], v[30:31], a[4:7]
	v_mfma_f32_16x16x16_bf16 a[8:11], v[78:79], v[34:35], a[8:11]
	;; [unrolled: 1-line block ×3, first 2 shown]
	ds_read_b64 v[16:17], v2 offset:6144
	ds_read_b64 v[78:79], v3 offset:6144
	;; [unrolled: 1-line block ×3, first 2 shown]
	v_lshlrev_b32_e32 v2, 2, v20
	v_or3_b32 v0, v0, v2, s2
	global_load_dwordx4 v[2:5], v0, s[0:1]
	v_add_u32_e32 v20, v44, v19
	ds_read_b64 v[20:21], v20 offset:40960
	s_waitcnt lgkmcnt(4)
	v_mfma_f32_16x16x16_bf16 a[0:3], v[26:27], v[10:11], a[0:3]
	v_mov_b32_e32 v0, 0x3fb8aa3b
	v_mul_f32_e32 v0, s12, v0
	v_exp_f32_e32 v0, v0
	s_waitcnt lgkmcnt(3)
	v_mfma_f32_16x16x16_bf16 a[4:7], v[26:27], v[16:17], a[4:7]
	s_waitcnt vmcnt(0)
	v_mul_f32_e32 v2, 0x3fb8aa3b, v2
	s_waitcnt lgkmcnt(2)
	v_mfma_f32_16x16x16_bf16 a[8:11], v[26:27], v[78:79], a[8:11]
	v_exp_f32_e32 v2, v2
	s_waitcnt lgkmcnt(1)
	v_mfma_f32_16x16x16_bf16 a[12:15], v[26:27], v[80:81], a[12:15]
	v_add_u32_e32 v26, v82, v19
	v_add_u32_e32 v19, v84, v19
	ds_read_b64 v[26:27], v26 offset:40960
	ds_read_b64 v[44:45], v19 offset:40960
	s_waitcnt lgkmcnt(2)
	v_mfma_f32_16x16x16_bf16 a[20:23], v[20:21], v[8:9], 0
	v_pk_mul_f32 v[8:9], v[0:1], v[40:41] op_sel_hi:[0,1]
	v_mfma_f32_16x16x16_bf16 a[16:19], v[20:21], v[6:7], 0
	v_mul_f32_e32 v6, 0x3fb8aa3b, v42
	v_mul_f32_e32 v7, 0x3fb8aa3b, v43
	v_exp_f32_e32 v6, v6
	s_waitcnt lgkmcnt(1)
	v_mfma_f32_16x16x16_bf16 a[20:23], v[26:27], v[28:29], a[20:23]
	v_accvgpr_read_b32 v29, a1
	v_exp_f32_e32 v7, v7
	v_accvgpr_read_b32 v28, a0
	v_pk_fma_f32 v[74:75], v[74:75], v[8:9], v[28:29]
	ds_read_b64 v[28:29], v83 offset:40960
	v_mfma_f32_16x16x16_bf16 a[24:27], v[20:21], v[12:13], 0
	v_pk_mul_f32 v[12:13], v[0:1], v[6:7] op_sel_hi:[0,1]
	v_accvgpr_read_b32 v7, a3
	v_accvgpr_read_b32 v6, a2
	v_pk_fma_f32 v[76:77], v[76:77], v[12:13], v[6:7]
	v_accvgpr_read_b32 v7, a5
	v_mfma_f32_16x16x16_bf16 a[16:19], v[26:27], v[22:23], a[16:19]
	v_accvgpr_read_b32 v6, a4
	v_pk_fma_f32 v[66:67], v[8:9], v[66:67], v[6:7]
	v_accvgpr_read_b32 v6, a8
	v_mfma_f32_16x16x16_bf16 a[28:31], v[20:21], v[14:15], 0
	;; [unrolled: 4-line block ×3, first 2 shown]
	v_accvgpr_read_b32 v21, a11
	v_accvgpr_read_b32 v20, a10
	;; [unrolled: 1-line block ×3, first 2 shown]
	s_waitcnt lgkmcnt(0)
	v_mfma_f32_16x16x16_bf16 a[8:11], v[28:29], v[24:25], a[16:19]
	v_accvgpr_read_b32 v15, a7
	v_accvgpr_read_b32 v14, a6
	v_accvgpr_read_b32 v23, a15
	v_accvgpr_read_b32 v22, a14
	v_mfma_f32_16x16x16_bf16 a[4:7], v[26:27], v[36:37], a[28:31]
	v_pk_fma_f32 v[50:51], v[8:9], v[50:51], v[6:7]
	v_mov_b32_e32 v6, v5
	v_mov_b32_e32 v5, v4
	v_mfma_f32_16x16x16_bf16 a[12:15], v[28:29], v[30:31], a[20:23]
	v_mov_b32_e32 v4, v3
	v_mul_f32_e32 v3, 0x3fb8aa3b, v4
	v_mul_f32_e32 v4, 0x3fb8aa3b, v5
	v_mfma_f32_16x16x16_bf16 a[0:3], v[28:29], v[34:35], a[0:3]
	v_mul_f32_e32 v5, 0x3fb8aa3b, v6
	v_exp_f32_e32 v4, v4
	v_exp_f32_e32 v5, v5
	v_mfma_f32_16x16x16_bf16 a[8:11], v[44:45], v[10:11], a[8:11]
	v_exp_f32_e32 v3, v3
	v_pk_fma_f32 v[68:69], v[12:13], v[68:69], v[14:15]
	v_pk_mul_f32 v[4:5], v[0:1], v[4:5] op_sel_hi:[0,1]
	v_mfma_f32_16x16x16_bf16 a[4:7], v[28:29], v[38:39], a[4:7]
	v_pk_mul_f32 v[2:3], v[0:1], v[2:3] op_sel_hi:[0,1]
	v_pk_fma_f32 v[60:61], v[12:13], v[60:61], v[20:21]
	v_pk_fma_f32 v[52:53], v[12:13], v[52:53], v[22:23]
	v_mfma_f32_16x16x16_bf16 a[12:15], v[44:45], v[16:17], a[12:15]
	v_accvgpr_read_b32 v7, a11
	v_accvgpr_read_b32 v6, a10
	v_pk_fma_f32 v[72:73], v[72:73], v[4:5], v[6:7]
	v_mfma_f32_16x16x16_bf16 a[0:3], v[44:45], v[78:79], a[0:3]
	v_accvgpr_read_b32 v15, a9
	v_accvgpr_read_b32 v14, a8
	v_pk_fma_f32 v[70:71], v[70:71], v[2:3], v[14:15]
	v_accvgpr_read_b32 v6, a12
	v_accvgpr_read_b32 v7, a13
	v_pk_fma_f32 v[62:63], v[2:3], v[62:63], v[6:7]
	v_accvgpr_read_b32 v9, a15
	v_accvgpr_read_b32 v11, a3
	;; [unrolled: 1-line block ×3, first 2 shown]
	v_mfma_f32_16x16x16_bf16 a[2:5], v[44:45], v[80:81], a[4:7]
	v_accvgpr_read_b32 v7, a1
	v_accvgpr_read_b32 v6, a0
	v_pk_fma_f32 v[56:57], v[2:3], v[56:57], v[6:7]
	v_accvgpr_read_b32 v8, a14
	v_pk_fma_f32 v[64:65], v[4:5], v[64:65], v[8:9]
	v_pk_fma_f32 v[54:55], v[4:5], v[54:55], v[10:11]
	s_nop 0
	v_accvgpr_read_b32 v7, a3
	v_accvgpr_read_b32 v13, a5
	;; [unrolled: 1-line block ×4, first 2 shown]
	v_pk_fma_f32 v[46:47], v[2:3], v[46:47], v[6:7]
	v_pk_fma_f32 v[48:49], v[4:5], v[48:49], v[12:13]
	v_mov_b32_e32 v2, v18
.LBB94_100:
	s_lshl_b64 s[0:1], s[24:25], 15
	s_waitcnt lgkmcnt(0)
	s_add_u32 s0, s28, s0
	v_lshlrev_b32_e32 v2, 7, v2
	s_addc_u32 s1, s29, s1
	v_ashrrev_i32_e32 v3, 31, v2
	v_lshl_add_u64 v[4:5], v[2:3], 1, s[0:1]
	v_lshlrev_b32_e32 v0, 1, v1
	v_mov_b32_e32 v1, 0
	s_mov_b32 s2, 0x7060302
	v_lshl_add_u64 v[4:5], v[4:5], 0, v[0:1]
	v_perm_b32 v7, v77, v76, s2
	v_perm_b32 v6, v75, v74, s2
	global_store_dwordx2 v[4:5], v[6:7], off
	v_perm_b32 v7, v73, v72, s2
	v_perm_b32 v6, v71, v70, s2
	global_store_dwordx2 v[4:5], v[6:7], off offset:128
	v_or_b32_e32 v4, 0x800, v2
	v_ashrrev_i32_e32 v5, 31, v4
	v_lshl_add_u64 v[4:5], v[4:5], 1, s[0:1]
	v_lshl_add_u64 v[4:5], v[4:5], 0, v[0:1]
	v_perm_b32 v7, v69, v68, s2
	v_perm_b32 v6, v67, v66, s2
	global_store_dwordx2 v[4:5], v[6:7], off
	v_perm_b32 v7, v65, v64, s2
	v_perm_b32 v6, v63, v62, s2
	global_store_dwordx2 v[4:5], v[6:7], off offset:128
	v_or_b32_e32 v4, 0x1000, v2
	v_or_b32_e32 v2, 0x1800, v2
	v_ashrrev_i32_e32 v5, 31, v4
	v_ashrrev_i32_e32 v3, 31, v2
	v_lshl_add_u64 v[4:5], v[4:5], 1, s[0:1]
	v_lshl_add_u64 v[2:3], v[2:3], 1, s[0:1]
	;; [unrolled: 1-line block ×3, first 2 shown]
	v_perm_b32 v7, v61, v60, s2
	v_perm_b32 v6, v59, v58, s2
	v_lshl_add_u64 v[0:1], v[2:3], 0, v[0:1]
	v_perm_b32 v3, v53, v52, s2
	v_perm_b32 v2, v51, v50, s2
	global_store_dwordx2 v[4:5], v[6:7], off
	v_perm_b32 v7, v55, v54, s2
	v_perm_b32 v6, v57, v56, s2
	global_store_dwordx2 v[0:1], v[2:3], off
	v_perm_b32 v3, v49, v48, s2
	v_perm_b32 v2, v47, v46, s2
	global_store_dwordx2 v[4:5], v[6:7], off offset:128
	global_store_dwordx2 v[0:1], v[2:3], off offset:128
	s_endpgm
	.section	.rodata,"a",@progbits
	.p2align	6, 0x0
	.amdhsa_kernel _ZN12_GLOBAL__N_139chunk_gated_delta_rule_fwd_h_hip_kernelILi64ELb0ELb1ELb0ELb0ELb0ELb1ELb0ELb1EEEvPK12hip_bfloat16S3_S3_PKfS5_PKvPS1_S8_PvPKiSB_iiiiilll
		.amdhsa_group_segment_fixed_size 65536
		.amdhsa_private_segment_fixed_size 0
		.amdhsa_kernarg_size 136
		.amdhsa_user_sgpr_count 2
		.amdhsa_user_sgpr_dispatch_ptr 0
		.amdhsa_user_sgpr_queue_ptr 0
		.amdhsa_user_sgpr_kernarg_segment_ptr 1
		.amdhsa_user_sgpr_dispatch_id 0
		.amdhsa_user_sgpr_kernarg_preload_length 0
		.amdhsa_user_sgpr_kernarg_preload_offset 0
		.amdhsa_user_sgpr_private_segment_size 0
		.amdhsa_uses_dynamic_stack 0
		.amdhsa_enable_private_segment 0
		.amdhsa_system_sgpr_workgroup_id_x 1
		.amdhsa_system_sgpr_workgroup_id_y 1
		.amdhsa_system_sgpr_workgroup_id_z 0
		.amdhsa_system_sgpr_workgroup_info 0
		.amdhsa_system_vgpr_workitem_id 0
		.amdhsa_next_free_vgpr 232
		.amdhsa_next_free_sgpr 68
		.amdhsa_accum_offset 192
		.amdhsa_reserve_vcc 1
		.amdhsa_float_round_mode_32 0
		.amdhsa_float_round_mode_16_64 0
		.amdhsa_float_denorm_mode_32 3
		.amdhsa_float_denorm_mode_16_64 3
		.amdhsa_dx10_clamp 1
		.amdhsa_ieee_mode 1
		.amdhsa_fp16_overflow 0
		.amdhsa_tg_split 0
		.amdhsa_exception_fp_ieee_invalid_op 0
		.amdhsa_exception_fp_denorm_src 0
		.amdhsa_exception_fp_ieee_div_zero 0
		.amdhsa_exception_fp_ieee_overflow 0
		.amdhsa_exception_fp_ieee_underflow 0
		.amdhsa_exception_fp_ieee_inexact 0
		.amdhsa_exception_int_div_zero 0
	.end_amdhsa_kernel
	.section	.text._ZN12_GLOBAL__N_139chunk_gated_delta_rule_fwd_h_hip_kernelILi64ELb0ELb1ELb0ELb0ELb0ELb1ELb0ELb1EEEvPK12hip_bfloat16S3_S3_PKfS5_PKvPS1_S8_PvPKiSB_iiiiilll,"axG",@progbits,_ZN12_GLOBAL__N_139chunk_gated_delta_rule_fwd_h_hip_kernelILi64ELb0ELb1ELb0ELb0ELb0ELb1ELb0ELb1EEEvPK12hip_bfloat16S3_S3_PKfS5_PKvPS1_S8_PvPKiSB_iiiiilll,comdat
.Lfunc_end94:
	.size	_ZN12_GLOBAL__N_139chunk_gated_delta_rule_fwd_h_hip_kernelILi64ELb0ELb1ELb0ELb0ELb0ELb1ELb0ELb1EEEvPK12hip_bfloat16S3_S3_PKfS5_PKvPS1_S8_PvPKiSB_iiiiilll, .Lfunc_end94-_ZN12_GLOBAL__N_139chunk_gated_delta_rule_fwd_h_hip_kernelILi64ELb0ELb1ELb0ELb0ELb0ELb1ELb0ELb1EEEvPK12hip_bfloat16S3_S3_PKfS5_PKvPS1_S8_PvPKiSB_iiiiilll
                                        ; -- End function
	.section	.AMDGPU.csdata,"",@progbits
; Kernel info:
; codeLenInByte = 12800
; NumSgprs: 74
; NumVgprs: 190
; NumAgprs: 40
; TotalNumVgprs: 232
; ScratchSize: 0
; MemoryBound: 0
; FloatMode: 240
; IeeeMode: 1
; LDSByteSize: 65536 bytes/workgroup (compile time only)
; SGPRBlocks: 9
; VGPRBlocks: 28
; NumSGPRsForWavesPerEU: 74
; NumVGPRsForWavesPerEU: 232
; AccumOffset: 192
; Occupancy: 1
; WaveLimiterHint : 1
; COMPUTE_PGM_RSRC2:SCRATCH_EN: 0
; COMPUTE_PGM_RSRC2:USER_SGPR: 2
; COMPUTE_PGM_RSRC2:TRAP_HANDLER: 0
; COMPUTE_PGM_RSRC2:TGID_X_EN: 1
; COMPUTE_PGM_RSRC2:TGID_Y_EN: 1
; COMPUTE_PGM_RSRC2:TGID_Z_EN: 0
; COMPUTE_PGM_RSRC2:TIDIG_COMP_CNT: 0
; COMPUTE_PGM_RSRC3_GFX90A:ACCUM_OFFSET: 47
; COMPUTE_PGM_RSRC3_GFX90A:TG_SPLIT: 0
	.section	.text._ZN12_GLOBAL__N_139chunk_gated_delta_rule_fwd_h_hip_kernelILi64ELb0ELb0ELb1ELb0ELb0ELb1ELb0ELb1EEEvPK12hip_bfloat16S3_S3_PKfS5_PKvPS1_S8_PvPKiSB_iiiiilll,"axG",@progbits,_ZN12_GLOBAL__N_139chunk_gated_delta_rule_fwd_h_hip_kernelILi64ELb0ELb0ELb1ELb0ELb0ELb1ELb0ELb1EEEvPK12hip_bfloat16S3_S3_PKfS5_PKvPS1_S8_PvPKiSB_iiiiilll,comdat
	.globl	_ZN12_GLOBAL__N_139chunk_gated_delta_rule_fwd_h_hip_kernelILi64ELb0ELb0ELb1ELb0ELb0ELb1ELb0ELb1EEEvPK12hip_bfloat16S3_S3_PKfS5_PKvPS1_S8_PvPKiSB_iiiiilll ; -- Begin function _ZN12_GLOBAL__N_139chunk_gated_delta_rule_fwd_h_hip_kernelILi64ELb0ELb0ELb1ELb0ELb0ELb1ELb0ELb1EEEvPK12hip_bfloat16S3_S3_PKfS5_PKvPS1_S8_PvPKiSB_iiiiilll
	.p2align	8
	.type	_ZN12_GLOBAL__N_139chunk_gated_delta_rule_fwd_h_hip_kernelILi64ELb0ELb0ELb1ELb0ELb0ELb1ELb0ELb1EEEvPK12hip_bfloat16S3_S3_PKfS5_PKvPS1_S8_PvPKiSB_iiiiilll,@function
_ZN12_GLOBAL__N_139chunk_gated_delta_rule_fwd_h_hip_kernelILi64ELb0ELb0ELb1ELb0ELb0ELb1ELb0ELb1EEEvPK12hip_bfloat16S3_S3_PKfS5_PKvPS1_S8_PvPKiSB_iiiiilll: ; @_ZN12_GLOBAL__N_139chunk_gated_delta_rule_fwd_h_hip_kernelILi64ELb0ELb0ELb1ELb0ELb0ELb1ELb0ELb1EEEvPK12hip_bfloat16S3_S3_PKfS5_PKvPS1_S8_PvPKiSB_iiiiilll
; %bb.0:
	s_load_dwordx4 s[16:19], s[0:1], 0x5c
	s_load_dwordx4 s[12:15], s[0:1], 0x30
	s_abs_i32 s22, s3
	s_ashr_i32 s21, s3, 31
	s_load_dwordx8 s[4:11], s[0:1], 0x0
	s_waitcnt lgkmcnt(0)
	s_abs_i32 s20, s17
	v_cvt_f32_u32_e32 v1, s20
	s_sub_i32 s24, 0, s20
	s_ashr_i32 s23, s17, 31
	s_xor_b32 s21, s21, s23
	v_rcp_iflag_f32_e32 v1, v1
	v_lshrrev_b32_e32 v87, 6, v0
	v_bfe_u32 v88, v0, 4, 2
	v_lshlrev_b32_e32 v2, 2, v88
	v_mul_f32_e32 v1, 0x4f7ffffe, v1
	v_cvt_u32_f32_e32 v1, v1
	v_and_b32_e32 v86, 63, v0
	v_mov_b32_e32 v47, 0
	v_and_b32_e32 v45, 15, v0
	v_readfirstlane_b32 s25, v1
	s_mul_i32 s24, s24, s25
	s_mul_hi_u32 s24, s25, s24
	s_add_i32 s25, s25, s24
	s_mul_hi_u32 s24, s22, s25
	s_mul_i32 s25, s24, s20
	s_sub_i32 s22, s22, s25
	s_add_i32 s26, s24, 1
	s_sub_i32 s25, s22, s20
	s_cmp_ge_u32 s22, s20
	s_cselect_b32 s24, s26, s24
	s_cselect_b32 s22, s25, s22
	s_add_i32 s25, s24, 1
	s_cmp_ge_u32 s22, s20
	s_cselect_b32 s22, s25, s24
	s_abs_i32 s24, s18
	v_cvt_f32_u32_e32 v1, s24
	s_xor_b32 s22, s22, s21
	s_ashr_i32 s48, s16, 31
	s_sub_i32 s50, s22, s21
	v_rcp_iflag_f32_e32 v1, v1
	s_lshr_b32 s21, s48, 26
	s_add_i32 s21, s16, s21
	s_ashr_i32 s51, s18, 31
	v_mul_f32_e32 v1, 0x4f7ffffe, v1
	v_cvt_u32_f32_e32 v1, v1
	s_ashr_i32 s49, s21, 6
	s_xor_b32 s21, s23, s51
	s_sub_i32 s22, 0, s24
	v_readfirstlane_b32 s23, v1
	s_mul_i32 s22, s22, s23
	s_mul_hi_u32 s22, s23, s22
	s_add_i32 s23, s23, s22
	s_mul_hi_u32 s22, s20, s23
	s_mul_i32 s23, s22, s24
	s_mul_i32 s47, s50, s17
	s_sub_i32 s20, s20, s23
	s_sub_i32 s33, s3, s47
	s_add_i32 s3, s16, 63
	s_add_i32 s23, s22, 1
	s_sub_i32 s25, s20, s24
	s_cmp_ge_u32 s20, s24
	s_cselect_b32 s22, s23, s22
	s_cselect_b32 s20, s25, s20
	s_add_i32 s23, s22, 1
	s_cmp_ge_u32 s20, s24
	s_cselect_b32 s20, s23, s22
	s_xor_b32 s20, s20, s21
	s_sub_i32 s24, s20, s21
	s_abs_i32 s25, s24
	v_cvt_f32_u32_e32 v1, s25
	s_sub_i32 s27, 0, s25
	s_abs_i32 s26, s33
	s_xor_b32 s24, s33, s24
	v_rcp_iflag_f32_e32 v1, v1
	s_ashr_i32 s24, s24, 31
	s_load_dwordx2 s[34:35], s[0:1], 0x80
	s_load_dwordx4 s[20:23], s[0:1], 0x70
	s_mul_hi_i32 s53, s50, s17
	v_mul_f32_e32 v1, 0x4f7ffffe, v1
	v_cvt_u32_f32_e32 v1, v1
	v_lshrrev_b32_e32 v90, 3, v86
	v_lshlrev_b32_e32 v89, 3, v0
	s_waitcnt lgkmcnt(0)
	s_mul_i32 s21, s50, s21
	v_readfirstlane_b32 s28, v1
	s_mul_i32 s27, s27, s28
	s_mul_hi_u32 s27, s28, s27
	s_add_i32 s28, s28, s27
	s_mul_hi_u32 s27, s26, s28
	s_mul_i32 s28, s27, s25
	s_sub_i32 s26, s26, s28
	s_add_i32 s28, s27, 1
	s_sub_i32 s29, s26, s25
	s_cmp_ge_u32 s26, s25
	s_cselect_b32 s27, s28, s27
	s_cselect_b32 s26, s29, s26
	s_add_i32 s28, s27, 1
	s_cmp_ge_u32 s26, s25
	s_cselect_b32 s25, s28, s27
	s_xor_b32 s25, s25, s24
	s_sub_i32 s54, s25, s24
	s_ashr_i32 s24, s3, 31
	s_lshr_b32 s24, s24, 26
	v_lshlrev_b32_e32 v1, 4, v87
	s_add_i32 s3, s3, s24
	v_or_b32_e32 v91, v2, v1
	s_ashr_i32 s3, s3, 6
	s_lshl_b32 s36, s2, 6
	s_mul_i32 s52, s50, s3
	v_or_b32_e32 v92, 64, v91
	s_cmp_lt_i32 s16, 64
	s_mul_hi_u32 s46, s50, s20
	s_mul_i32 s38, s50, s20
	v_mov_b32_e32 v46, v47
	v_mov_b32_e32 v53, v47
	;; [unrolled: 1-line block ×31, first 2 shown]
	s_cbranch_scc1 .LBB95_18
; %bb.1:
	s_ashr_i32 s28, s50, 31
	s_ashr_i32 s56, s33, 31
	s_add_u32 s2, s47, s33
	s_addc_u32 s3, s53, s56
	s_mul_i32 s3, s16, s3
	s_mul_hi_u32 s24, s16, s2
	s_add_i32 s41, s24, s3
	s_mul_i32 s40, s16, s2
	s_lshl_b64 s[2:3], s[40:41], 8
	v_and_b32_e32 v94, 56, v89
	s_add_u32 s24, s6, s2
	v_lshl_or_b32 v93, v87, 3, v90
	v_lshlrev_b32_e32 v3, 1, v94
	s_addc_u32 s2, s7, s3
	v_lshl_or_b32 v95, v93, 8, v3
	s_and_b32 s25, s2, 0xffff
	s_mov_b32 s27, 0x20000
	s_movk_i32 s26, 0x4000
	s_movk_i32 s2, 0x80
	v_or_b32_e32 v96, 0x2000, v95
	buffer_load_dwordx4 v[4:7], v95, s[24:27], 0 offen
	buffer_load_dwordx4 v[8:11], v95, s[24:27], s2 offen
	;; [unrolled: 1-line block ×4, first 2 shown]
	v_lshlrev_b32_e32 v20, 3, v93
	v_and_or_b32 v22, v0, 7, v20
	v_and_b32_e32 v20, 0x78, v20
	v_lshlrev_b32_e32 v22, 4, v22
	v_xor_b32_e32 v97, v22, v20
	v_mul_lo_u32 v21, v93, s19
	v_or_b32_e32 v98, 0x1000, v97
	s_cmpk_eq_i32 s19, 0x80
	s_mov_b32 s55, s18
	v_xor_b32_e32 v20, 8, v97
	v_xor_b32_e32 v22, 8, v98
	s_cselect_b64 s[2:3], -1, 0
	s_cmpk_lg_i32 s19, 0x80
	s_waitcnt vmcnt(3)
	ds_write_b64 v97, v[4:5] offset:49152
	ds_write_b64 v20, v[6:7] offset:49152
	s_waitcnt vmcnt(2)
	ds_write_b64 v97, v[8:9] offset:57344
	ds_write_b64 v20, v[10:11] offset:57344
	;; [unrolled: 3-line block ×4, first 2 shown]
	v_lshl_add_u32 v4, v21, 1, v94
	s_cbranch_scc0 .LBB95_3
; %bb.2:
	v_lshlrev_b32_e32 v6, 1, v4
	v_add_lshl_u32 v5, v4, s19, 1
	s_lshl_b32 s26, s19, 7
	s_load_dwordx2 s[42:43], s[0:1], 0x20
	v_lshl_or_b32 v3, v93, 9, v3
	s_cbranch_execz .LBB95_4
	s_branch .LBB95_5
.LBB95_3:
                                        ; implicit-def: $vgpr5
                                        ; implicit-def: $vgpr6
                                        ; implicit-def: $sgpr26
	s_load_dwordx2 s[42:43], s[0:1], 0x20
	v_lshl_or_b32 v3, v93, 9, v3
.LBB95_4:
	v_or_b32_e32 v5, 0x100, v3
	s_movk_i32 s26, 0x4000
	v_mov_b32_e32 v6, v3
.LBB95_5:
	s_mul_hi_u32 s0, s18, s16
	s_mul_i32 s1, s51, s16
	s_add_i32 s0, s0, s1
	s_mul_i32 s1, s18, s16
	s_mul_i32 s24, s1, s28
	s_mul_hi_u32 s25, s1, s50
	s_add_i32 s24, s25, s24
	s_mul_i32 s0, s0, s50
	s_add_i32 s24, s24, s0
	s_mul_i32 s1, s1, s50
	s_ashr_i32 s57, s54, 31
	s_add_u32 s0, s1, s54
	s_addc_u32 s1, s24, s57
	s_lshl_b64 s[0:1], s[0:1], 8
	s_add_u32 s24, s4, s0
	s_addc_u32 s0, s5, s1
	s_and_b32 s25, s0, 0xffff
	s_movk_i32 s58, 0x80
	buffer_load_dwordx4 v[8:11], v6, s[24:27], 0 offen
	buffer_load_dwordx4 v[12:15], v6, s[24:27], s58 offen
	;; [unrolled: 1-line block ×4, first 2 shown]
	v_and_b32_e32 v5, 6, v0
	v_lshlrev_b32_e32 v6, 7, v91
	v_xor_b32_e32 v27, v93, v5
	v_and_b32_e32 v7, 1, v0
	v_lshl_or_b32 v30, v45, 3, v6
	v_lshlrev_b32_e32 v27, 2, v27
	v_or_b32_e32 v99, 0x4000, v30
	v_or_b32_e32 v100, 0x6000, v30
	v_xor_b32_e32 v30, 0x440, v27
	v_cmp_eq_u32_e32 vcc, 0, v7
	v_lshlrev_b32_e32 v24, 2, v45
	s_mov_b32 s61, 0x1000504
	v_cndmask_b32_e32 v7, v30, v27, vcc
	v_xor_b32_e32 v28, v91, v24
	v_xor_b32_e32 v29, v92, v24
	v_lshl_or_b32 v5, v5, 10, v7
	s_mov_b32 s62, 0x3020706
	s_mul_i32 s0, s28, s16
	s_mul_hi_u32 s1, s50, s16
	v_lshlrev_b32_e32 v25, 8, v45
	v_or_b32_e32 v26, 16, v45
	v_lshlrev_b32_e32 v28, 1, v28
	v_lshlrev_b32_e32 v29, 1, v29
	v_xor_b32_e32 v7, 8, v5
	v_xor_b32_e32 v27, 24, v5
	;; [unrolled: 1-line block ×4, first 2 shown]
	v_or_b32_e32 v102, v25, v28
	v_or_b32_e32 v103, v25, v29
	v_xor_b32_e32 v25, 16, v5
	v_xor_b32_e32 v30, 32, v5
	;; [unrolled: 1-line block ×3, first 2 shown]
	v_add_u32_e32 v7, 0x80, v7
	v_add_u32_e32 v27, 0x80, v27
	;; [unrolled: 1-line block ×4, first 2 shown]
	s_add_i32 s63, s1, s0
	s_add_i32 s0, s46, s21
	s_mul_i32 s28, s28, s20
	s_add_i32 s39, s0, s28
	s_mul_i32 s0, s33, s23
	s_mul_hi_u32 s1, s33, s22
	s_add_i32 s0, s1, s0
	s_mul_i32 s1, s56, s22
	s_add_i32 s1, s0, s1
	s_lshl_b64 s[24:25], s[38:39], 2
	s_mul_i32 s0, s33, s22
	s_add_u32 s24, s10, s24
	s_addc_u32 s25, s11, s25
	s_lshl_b64 s[0:1], s[0:1], 2
	s_add_u32 s44, s24, s0
	s_movk_i32 s0, 0xf8
	s_addc_u32 s45, s25, s1
	s_ashr_i32 s37, s36, 31
	s_lshl_b32 s30, s19, 7
	v_mov_b32_e32 v79, 0
	s_movk_i32 s24, 0x100
	v_lshlrev_b32_e32 v78, 4, v45
	s_mul_i32 s59, s50, s16
	v_lshl_or_b32 v31, v26, 3, v6
	s_mov_b32 s60, 0
	v_or_b32_e32 v101, 0x4000, v31
	s_movk_i32 s26, 0x4000
	v_or_b32_e32 v104, 0x6000, v31
	v_add_u32_e32 v136, v1, v2
	s_mov_b32 s39, 0x7060302
	s_movk_i32 s64, 0x2000
	s_movk_i32 s65, 0x3000
	v_mov_b32_e32 v146, 0x3fb8aa3b
	s_mov_b32 s67, 0
	v_mov_b32_e32 v70, v79
	v_mov_b32_e32 v71, v79
	;; [unrolled: 1-line block ×8, first 2 shown]
	s_waitcnt vmcnt(1)
	v_perm_b32 v35, v8, v16, s61
	s_waitcnt vmcnt(0)
	v_perm_b32 v36, v12, v20, s61
	v_perm_b32 v8, v8, v16, s62
	;; [unrolled: 1-line block ×15, first 2 shown]
	ds_write2st64_b32 v5, v35, v36 offset0:128 offset1:160
	ds_write2st64_b32 v7, v8, v12 offset0:128 offset1:160
	;; [unrolled: 1-line block ×8, first 2 shown]
	v_lshlrev_b32_e32 v5, 8, v26
	v_or_b32_e32 v105, v5, v28
	v_or_b32_e32 v106, v5, v29
	;; [unrolled: 1-line block ×3, first 2 shown]
	v_lshl_or_b32 v7, v5, 3, v6
	v_lshlrev_b32_e32 v5, 8, v5
	v_or_b32_e32 v109, v5, v28
	v_or_b32_e32 v110, v5, v29
	;; [unrolled: 1-line block ×5, first 2 shown]
	v_lshl_or_b32 v7, v5, 3, v6
	v_lshlrev_b32_e32 v5, 8, v5
	v_or_b32_e32 v113, v5, v28
	v_or_b32_e32 v114, v5, v29
	;; [unrolled: 1-line block ×3, first 2 shown]
	v_lshlrev_b32_e32 v5, 3, v5
	v_lshrrev_b32_e32 v9, 5, v86
	v_and_or_b32 v9, v5, s0, v9
	v_lshlrev_b32_e32 v9, 4, v9
	v_lshlrev_b32_e32 v11, 11, v87
	v_and_b32_e32 v5, 0x78, v5
	v_or_b32_e32 v14, 32, v9
	v_and_b32_e32 v8, 0x1000, v11
	v_xor_b32_e32 v10, v9, v5
	v_lshrrev_b32_e32 v12, 1, v86
	v_xor_b32_e32 v14, v14, v5
	v_or_b32_e32 v10, v10, v8
	v_and_b32_e32 v12, 8, v12
	v_or_b32_e32 v14, v14, v8
	v_xor_b32_e32 v115, v10, v12
	v_lshlrev_b32_e32 v10, 8, v88
	v_xor_b32_e32 v117, v14, v12
	v_or_b32_e32 v14, 64, v9
	v_or_b32_e32 v9, 0x60, v9
	;; [unrolled: 1-line block ×3, first 2 shown]
	v_xor_b32_e32 v14, v14, v5
	v_xor_b32_e32 v5, v9, v5
	v_lshlrev_b32_e32 v13, 1, v13
	v_or_b32_e32 v14, v14, v8
	v_or_b32_e32 v5, v5, v8
	s_lshl_b64 s[0:1], s[36:37], 8
	v_or_b32_e32 v116, 0x4000, v13
	v_or_b32_e32 v118, 0x4080, v13
	;; [unrolled: 1-line block ×4, first 2 shown]
	v_xor_b32_e32 v121, v14, v12
	v_xor_b32_e32 v122, v5, v12
	v_or_b32_e32 v123, 0x6000, v13
	v_or_b32_e32 v124, 0x6080, v13
	;; [unrolled: 1-line block ×4, first 2 shown]
	v_lshlrev_b32_e32 v12, 1, v4
	v_add_lshl_u32 v13, v4, s19, 1
	s_add_u32 s0, s12, s0
	v_lshlrev_b32_e32 v4, 1, v45
	v_lshrrev_b32_e32 v15, 4, v0
	s_addc_u32 s1, s13, s1
	v_or_b32_e32 v5, 1, v4
	v_lshlrev_b32_e32 v18, 2, v0
	v_or_b32_e32 v14, 0x100, v3
	v_xor_b32_e32 v16, v15, v4
	v_xor_b32_e32 v17, v5, v15
	v_lshl_add_u64 v[4:5], s[0:1], 0, v[78:79]
	v_lshlrev_b32_e32 v78, 8, v15
	v_lshrrev_b32_e32 v19, 1, v0
	v_and_or_b32 v10, v18, 60, v10
	v_cndmask_b32_e64 v133, v12, v3, s[2:3]
	v_mov_b32_e32 v3, 0xa000
	v_mov_b32_e32 v12, 0x8000
	v_cmp_gt_u32_e64 s[0:1], s24, v0
	v_lshl_or_b32 v127, v16, 3, v78
	v_and_b32_e32 v16, 8, v0
	v_and_b32_e32 v19, 24, v19
	v_lshlrev_b32_e32 v10, 1, v10
	v_cndmask_b32_e64 v3, v3, v12, s[0:1]
	v_lshlrev_b32_e32 v12, 3, v87
	v_or_b32_e32 v129, 0x6000, v10
	v_or_b32_e32 v130, 0x6080, v10
	;; [unrolled: 1-line block ×4, first 2 shown]
	v_mov_b32_e32 v10, 0x400
	v_cmp_eq_u32_e32 vcc, 0, v16
	v_cndmask_b32_e64 v134, v13, v14, s[2:3]
	v_xor_b32_e32 v13, v12, v19
	v_and_b32_e32 v15, 7, v0
	v_cndmask_b32_e64 v16, v10, 64, vcc
	v_or_b32_e32 v14, 0x440, v13
	v_lshl_or_b32 v128, v17, 3, v78
	v_lshlrev_b32_e32 v17, 3, v15
	v_or_b32_e32 v18, 32, v19
	v_or_b32_e32 v20, 0x60, v19
	v_cndmask_b32_e32 v14, v14, v13, vcc
	v_or3_b32 v13, v11, v16, v13
	v_lshlrev_b32_e32 v15, 7, v15
	v_xor_b32_e32 v18, v12, v18
	v_xor_b32_e32 v13, v13, v17
	;; [unrolled: 1-line block ×3, first 2 shown]
	v_or_b32_e32 v21, 0x440, v18
	v_or_b32_e32 v135, v13, v15
	v_xor_b32_e32 v13, 0x440, v12
	v_cndmask_b32_e32 v18, v21, v18, vcc
	v_cndmask_b32_e32 v12, v13, v12, vcc
	v_or_b32_e32 v111, 0x4000, v7
	v_or_b32_e32 v112, 0x6000, v7
	v_lshrrev_b32_e32 v7, 2, v86
	v_or_b32_e32 v8, s36, v45
	v_or_b32_e32 v14, v14, v11
	;; [unrolled: 1-line block ×4, first 2 shown]
	v_and_b32_e32 v7, 12, v7
	v_ashrrev_i32_e32 v9, 31, v8
	v_xor_b32_e32 v14, v14, v17
	v_xor_b32_e32 v18, v18, v17
	;; [unrolled: 1-line block ×3, first 2 shown]
	v_or_b32_e32 v10, v1, v7
	v_add_u32_e32 v19, v3, v14
	v_add_u32_e32 v21, v3, v18
	;; [unrolled: 1-line block ×3, first 2 shown]
	v_or3_b32 v12, v1, v7, 64
	v_add_u32_e32 v7, 0xa000, v14
	v_add_u32_e32 v14, 0xa000, v18
	v_add_u32_e32 v11, 0xa000, v11
	v_lshlrev_b64 v[8:9], 1, v[8:9]
	v_lshl_add_u64 v[80:81], s[8:9], 0, v[8:9]
	v_lshl_add_u64 v[82:83], s[14:15], 0, v[8:9]
	;; [unrolled: 1-line block ×3, first 2 shown]
	s_add_i32 s37, s59, 63
	v_lshlrev_b32_e32 v78, 1, v6
	v_lshlrev_b32_e32 v137, 2, v10
	v_add_u32_e32 v138, v19, v15
	v_add_u32_e32 v139, v21, v15
	;; [unrolled: 1-line block ×4, first 2 shown]
	v_lshlrev_b32_e32 v142, 2, v12
	v_add_u32_e32 v143, v7, v15
	v_add_u32_e32 v144, v14, v15
	;; [unrolled: 1-line block ×3, first 2 shown]
	v_mov_b32_e32 v62, v79
	v_mov_b32_e32 v63, v79
	;; [unrolled: 1-line block ×24, first 2 shown]
	s_waitcnt lgkmcnt(0)
	s_barrier
.LBB95_6:                               ; =>This Inner Loop Header: Depth=1
	s_add_i32 s66, s67, 1
	s_cmp_lt_i32 s66, s49
	s_mov_b64 s[28:29], 0
	s_cselect_b64 s[2:3], -1, 0
	s_cmp_ge_i32 s66, s49
	s_mov_b64 s[24:25], 0
	s_cbranch_scc1 .LBB95_8
; %bb.7:                                ;   in Loop: Header=BB95_6 Depth=1
	s_add_i32 s0, s60, 64
	s_add_u32 s0, s40, s0
	s_addc_u32 s1, s41, 0
	s_lshl_b64 s[0:1], s[0:1], 8
	s_add_u32 s24, s6, s0
	s_addc_u32 s25, s7, s1
.LBB95_8:                               ;   in Loop: Header=BB95_6 Depth=1
	v_cndmask_b32_e64 v2, 0, 1, s[2:3]
	v_cmp_ne_u32_e64 s[0:1], 1, v2
	s_andn2_b64 vcc, exec, s[2:3]
	s_cbranch_vccnz .LBB95_10
; %bb.9:                                ;   in Loop: Header=BB95_6 Depth=1
	s_add_i32 s2, s60, 64
	s_add_u32 s2, s59, s2
	s_addc_u32 s3, s63, 0
	s_mul_i32 s28, s2, s51
	s_mul_hi_u32 s29, s2, s55
	s_add_i32 s28, s29, s28
	s_mul_i32 s3, s3, s55
	s_add_i32 s28, s28, s3
	s_mul_i32 s2, s2, s55
	s_add_u32 s2, s2, s54
	s_addc_u32 s3, s28, s57
	s_lshl_b64 s[2:3], s[2:3], 8
	s_add_u32 s28, s4, s2
	s_addc_u32 s29, s5, s3
.LBB95_10:                              ;   in Loop: Header=BB95_6 Depth=1
	v_perm_b32 v3, v77, v76, s39
	v_perm_b32 v2, v75, v74, s39
	v_perm_b32 v5, v73, v72, s39
	v_perm_b32 v4, v71, v70, s39
	ds_write_b64 v99, v[2:3]
	ds_write_b64 v100, v[4:5]
	ds_write_b64 v102, v[2:3]
	ds_write_b64 v103, v[4:5]
	v_perm_b32 v3, v69, v68, s39
	v_perm_b32 v2, v67, v66, s39
	v_perm_b32 v5, v65, v64, s39
	v_perm_b32 v4, v63, v62, s39
	ds_write_b64 v101, v[2:3]
	ds_write_b64 v104, v[4:5]
	ds_write_b64 v105, v[2:3]
	ds_write_b64 v106, v[4:5]
	;; [unrolled: 8-line block ×4, first 2 shown]
	s_waitcnt lgkmcnt(0)
	s_barrier
	ds_read_b64 v[6:7], v115 offset:49152
	ds_read2_b64 v[2:5], v116 offset1:16
	ds_read_b64 v[18:19], v118 offset:6144
	ds_read_b64 v[20:21], v116 offset:6144
	s_waitcnt lgkmcnt(2)
	v_mfma_f32_16x16x16_bf16 a[0:3], v[6:7], v[2:3], 0
	ds_read_b64 v[22:23], v117 offset:49152
	ds_read2st64_b64 v[10:13], v119 offset0:4 offset1:8
	ds_read2st64_b64 v[14:17], v120 offset0:4 offset1:8
	v_mfma_f32_16x16x16_bf16 a[4:7], v[6:7], v[4:5], 0
	ds_read2_b64 v[2:5], v116 offset0:32 offset1:48
	s_add_i32 s2, s60, 63
	s_mul_i32 s3, s2, s35
	s_waitcnt lgkmcnt(0)
	v_mfma_f32_16x16x16_bf16 a[8:11], v[6:7], v[2:3], 0
	s_mul_hi_u32 s31, s2, s34
	s_add_i32 s3, s31, s3
	s_mul_i32 s2, s2, s34
	v_mfma_f32_16x16x16_bf16 a[12:15], v[6:7], v[4:5], 0
	ds_read2st64_b64 v[2:5], v116 offset0:4 offset1:8
	ds_read2st64_b64 v[6:9], v118 offset0:4 offset1:8
	s_lshl_b64 s[2:3], s[2:3], 2
	s_waitcnt lgkmcnt(1)
	v_mfma_f32_16x16x16_bf16 a[0:3], v[22:23], v[2:3], a[0:3]
	s_add_u32 s2, s44, s2
	s_addc_u32 s3, s45, s3
	s_and_b64 vcc, exec, s[0:1]
	s_waitcnt lgkmcnt(0)
	v_mfma_f32_16x16x16_bf16 a[4:7], v[22:23], v[6:7], a[4:7]
	v_mov_b32_e32 v149, 0
	v_mov_b32_e32 v148, 0
	;; [unrolled: 1-line block ×3, first 2 shown]
	v_mfma_f32_16x16x16_bf16 a[8:11], v[22:23], v[10:11], a[8:11]
	ds_read_b64 v[2:3], v121 offset:49152
	ds_read_b64 v[6:7], v122 offset:49152
	;; [unrolled: 1-line block ×3, first 2 shown]
	v_mfma_f32_16x16x16_bf16 a[12:15], v[22:23], v[14:15], a[12:15]
	v_mov_b32_e32 v14, 0
	v_mov_b32_e32 v15, 0
	s_waitcnt lgkmcnt(2)
	v_mfma_f32_16x16x16_bf16 a[0:3], v[2:3], v[4:5], a[0:3]
	v_mov_b32_e32 v4, 0
	v_mov_b32_e32 v5, 0
	v_mfma_f32_16x16x16_bf16 a[4:7], v[2:3], v[8:9], a[4:7]
	v_mov_b32_e32 v8, 0
	v_mov_b32_e32 v9, 0
	;; [unrolled: 3-line block ×3, first 2 shown]
	v_mfma_f32_16x16x16_bf16 a[12:15], v[2:3], v[16:17], a[12:15]
	ds_read_b64 v[2:3], v119 offset:6144
	v_mov_b32_e32 v16, 0
	v_mov_b32_e32 v17, 0
	s_waitcnt lgkmcnt(2)
	v_mfma_f32_16x16x16_bf16 a[0:3], v[6:7], v[20:21], a[0:3]
	v_mfma_f32_16x16x16_bf16 a[4:7], v[6:7], v[18:19], a[4:7]
	s_waitcnt lgkmcnt(0)
	v_mfma_f32_16x16x16_bf16 a[8:11], v[6:7], v[2:3], a[8:11]
	v_mov_b32_e32 v2, 0
	v_mov_b32_e32 v3, 0
	v_mfma_f32_16x16x16_bf16 a[12:15], v[6:7], v[10:11], a[12:15]
	v_mov_b32_e32 v6, 0
	v_mov_b32_e32 v7, 0
	;; [unrolled: 1-line block ×4, first 2 shown]
	s_cbranch_vccnz .LBB95_12
; %bb.11:                               ;   in Loop: Header=BB95_6 Depth=1
	s_and_b32 s25, s25, 0xffff
	buffer_load_dwordx4 v[14:17], v95, s[24:27], 0 offen
	buffer_load_dwordx4 v[10:13], v95, s[24:27], s58 offen
	;; [unrolled: 1-line block ×4, first 2 shown]
	v_mov_b32_e32 v148, v97
	v_mov_b32_e32 v147, v98
.LBB95_12:                              ;   in Loop: Header=BB95_6 Depth=1
	ds_read_b64 v[38:39], v115 offset:57344
	ds_read2_b64 v[18:21], v123 offset1:16
	ds_read_b64 v[40:41], v117 offset:57344
	ds_read_b64 v[42:43], v121 offset:57344
	;; [unrolled: 1-line block ×3, first 2 shown]
	s_waitcnt lgkmcnt(3)
	v_mfma_f32_16x16x16_bf16 a[0:3], v[38:39], v[18:19], a[0:3]
	v_mfma_f32_16x16x16_bf16 a[4:7], v[38:39], v[20:21], a[4:7]
	ds_read2_b64 v[18:21], v123 offset0:32 offset1:48
	ds_read2st64_b64 v[22:25], v123 offset0:4 offset1:8
	ds_read2st64_b64 v[26:29], v124 offset0:4 offset1:8
	;; [unrolled: 1-line block ×4, first 2 shown]
	s_waitcnt lgkmcnt(4)
	v_mfma_f32_16x16x16_bf16 a[8:11], v[38:39], v[18:19], a[8:11]
	v_mfma_f32_16x16x16_bf16 a[12:15], v[38:39], v[20:21], a[12:15]
	v_add_u32_e32 v38, s60, v136
	v_ashrrev_i32_e32 v18, 31, v38
	v_mul_lo_u32 v20, v18, s34
	v_mul_lo_u32 v21, v38, s35
	v_mad_u64_u32 v[18:19], s[24:25], v38, s34, 0
	v_add3_u32 v19, v19, v21, v20
	v_add_u32_e32 v20, 1, v38
	v_ashrrev_i32_e32 v21, 31, v20
	s_waitcnt lgkmcnt(3)
	v_mfma_f32_16x16x16_bf16 a[0:3], v[40:41], v[22:23], a[0:3]
	v_mul_lo_u32 v22, v21, s34
	v_mul_lo_u32 v23, v20, s35
	v_mad_u64_u32 v[20:21], s[24:25], v20, s34, 0
	v_add3_u32 v21, v21, v23, v22
	v_add_u32_e32 v22, 2, v38
	v_ashrrev_i32_e32 v23, 31, v22
	s_waitcnt lgkmcnt(2)
	v_mfma_f32_16x16x16_bf16 a[4:7], v[40:41], v[26:27], a[4:7]
	v_mul_lo_u32 v26, v23, s34
	v_mul_lo_u32 v27, v22, s35
	v_mad_u64_u32 v[22:23], s[24:25], v22, s34, 0
	v_add3_u32 v23, v23, v27, v26
	v_add_u32_e32 v26, 3, v38
	v_lshl_add_u64 v[18:19], v[18:19], 2, s[44:45]
	v_lshl_add_u64 v[20:21], v[20:21], 2, s[44:45]
	v_ashrrev_i32_e32 v27, 31, v26
	s_waitcnt lgkmcnt(1)
	v_mfma_f32_16x16x16_bf16 a[8:11], v[40:41], v[30:31], a[8:11]
	v_mul_lo_u32 v27, v27, s34
	global_load_dword v30, v[18:19], off
	v_mul_lo_u32 v31, v26, s35
	s_waitcnt lgkmcnt(0)
	v_mfma_f32_16x16x16_bf16 a[12:15], v[40:41], v[34:35], a[12:15]
	global_load_dword v34, v[20:21], off
	v_mad_u64_u32 v[18:19], s[24:25], v26, s34, 0
	v_add3_u32 v19, v19, v31, v27
	s_add_u32 s24, s40, s60
	v_lshl_add_u64 v[22:23], v[22:23], 2, s[44:45]
	v_lshl_add_u64 v[18:19], v[18:19], 2, s[44:45]
	s_addc_u32 s25, s41, 0
	global_load_dword v31, v[22:23], off
	global_load_dword v35, v[18:19], off
	s_lshl_b64 s[24:25], s[24:25], 8
	v_lshl_add_u64 v[18:19], v[80:81], 0, s[24:25]
	v_lshl_add_u64 v[18:19], v[18:19], 0, v[78:79]
	global_load_ushort v38, v[18:19], off offset:256
	global_load_ushort v39, v[18:19], off
	global_load_ushort v40, v[18:19], off offset:768
	global_load_ushort v41, v[18:19], off offset:512
	;; [unrolled: 1-line block ×6, first 2 shown]
	s_load_dword s2, s[2:3], 0x0
	v_mfma_f32_16x16x16_bf16 a[12:15], v[42:43], v[36:37], a[12:15]
	global_load_ushort v36, v[18:19], off offset:320
	global_load_ushort v37, v[18:19], off offset:64
	s_and_b64 vcc, exec, s[0:1]
	v_mfma_f32_16x16x16_bf16 a[0:3], v[42:43], v[24:25], a[0:3]
	ds_read_b64 v[20:21], v123 offset:6144
	ds_read_b64 v[22:23], v124 offset:6144
	;; [unrolled: 1-line block ×4, first 2 shown]
	v_mfma_f32_16x16x16_bf16 a[4:7], v[42:43], v[28:29], a[4:7]
	s_waitcnt vmcnt(11) lgkmcnt(0)
	v_sub_f32_e32 v28, s2, v31
	v_mfma_f32_16x16x16_bf16 a[8:11], v[42:43], v[32:33], a[8:11]
	global_load_ushort v42, v[18:19], off offset:832
	global_load_ushort v43, v[18:19], off offset:576
	global_load_ushort v155, v[18:19], off offset:352
	global_load_ushort v156, v[18:19], off offset:96
	global_load_ushort v157, v[18:19], off offset:864
	global_load_ushort v158, v[18:19], off offset:608
	v_mfma_f32_16x16x16_bf16 a[0:3], v[150:151], v[20:21], a[0:3]
	s_waitcnt vmcnt(16)
	v_sub_f32_e32 v29, s2, v35
	v_mul_f32_e32 v28, 0x3fb8aa3b, v28
	v_mul_f32_e32 v29, 0x3fb8aa3b, v29
	v_exp_f32_e32 v28, v28
	v_exp_f32_e32 v29, v29
	s_waitcnt vmcnt(15)
	v_lshlrev_b32_e32 v33, 16, v38
	s_waitcnt vmcnt(14)
	v_lshlrev_b32_e32 v32, 16, v39
	v_accvgpr_read_b32 v21, a3
	v_accvgpr_read_b32 v20, a2
	v_mfma_f32_16x16x16_bf16 a[2:5], v[150:151], v[22:23], a[4:7]
	v_mfma_f32_16x16x16_bf16 a[6:9], v[150:151], v[24:25], a[8:11]
	s_nop 5
	v_accvgpr_read_b32 v23, a5
	v_accvgpr_read_b32 v22, a4
	;; [unrolled: 1-line block ×4, first 2 shown]
	v_mfma_f32_16x16x16_bf16 a[8:11], v[150:151], v[26:27], a[12:15]
	v_sub_f32_e32 v26, s2, v30
	v_sub_f32_e32 v27, s2, v34
	v_mul_f32_e32 v26, 0x3fb8aa3b, v26
	v_mul_f32_e32 v27, 0x3fb8aa3b, v27
	v_exp_f32_e32 v26, v26
	v_exp_f32_e32 v27, v27
	v_accvgpr_read_b32 v35, a1
	v_accvgpr_read_b32 v34, a0
	v_lshl_add_u64 v[30:31], v[82:83], 0, s[24:25]
	v_pk_add_f32 v[32:33], v[32:33], v[34:35] neg_lo:[0,1] neg_hi:[0,1]
	s_waitcnt vmcnt(13)
	v_lshlrev_b32_e32 v35, 16, v40
	s_waitcnt vmcnt(12)
	v_lshlrev_b32_e32 v34, 16, v41
	v_lshl_add_u64 v[30:31], v[30:31], 0, v[78:79]
	v_pk_add_f32 v[20:21], v[34:35], v[20:21] neg_lo:[0,1] neg_hi:[0,1]
	global_store_short_d16_hi v[30:31], v32, off
	global_store_short_d16_hi v[30:31], v33, off offset:256
	global_store_short_d16_hi v[30:31], v20, off offset:512
	global_store_short_d16_hi v[30:31], v21, off offset:768
	v_pk_mul_f32 v[32:33], v[26:27], v[32:33]
	v_pk_mul_f32 v[20:21], v[28:29], v[20:21]
	v_accvgpr_read_b32 v35, a3
	v_perm_b32 v21, v21, v20, s39
	v_perm_b32 v20, v33, v32, s39
	s_waitcnt vmcnt(15)
	v_lshlrev_b32_e32 v33, 16, v44
	s_waitcnt vmcnt(14)
	v_lshlrev_b32_e32 v32, 16, v152
	v_accvgpr_read_b32 v34, a2
	v_pk_add_f32 v[32:33], v[32:33], v[34:35] neg_lo:[0,1] neg_hi:[0,1]
	s_waitcnt vmcnt(13)
	v_lshlrev_b32_e32 v35, 16, v153
	s_waitcnt vmcnt(12)
	v_lshlrev_b32_e32 v34, 16, v154
	v_pk_add_f32 v[22:23], v[34:35], v[22:23] neg_lo:[0,1] neg_hi:[0,1]
	global_store_short_d16_hi v[30:31], v32, off offset:32
	global_store_short_d16_hi v[30:31], v33, off offset:288
	;; [unrolled: 1-line block ×4, first 2 shown]
	v_pk_mul_f32 v[32:33], v[26:27], v[32:33]
	v_pk_mul_f32 v[22:23], v[28:29], v[22:23]
	v_accvgpr_read_b32 v25, a11
	v_perm_b32 v23, v23, v22, s39
	v_perm_b32 v22, v33, v32, s39
	ds_write2_b64 v100, v[20:21], v[22:23] offset1:16
	v_accvgpr_read_b32 v23, a7
	s_waitcnt vmcnt(15)
	v_lshlrev_b32_e32 v21, 16, v36
	s_waitcnt vmcnt(14)
	v_lshlrev_b32_e32 v20, 16, v37
	v_accvgpr_read_b32 v22, a6
	v_pk_add_f32 v[20:21], v[20:21], v[22:23] neg_lo:[0,1] neg_hi:[0,1]
	global_store_short_d16_hi v[30:31], v20, off offset:64
	global_store_short_d16_hi v[30:31], v21, off offset:320
	v_pk_mul_f32 v[20:21], v[26:27], v[20:21]
	v_accvgpr_read_b32 v24, a10
	v_perm_b32 v20, v21, v20, s39
	v_mov_b32_e32 v150, 0
	v_mov_b32_e32 v32, 0
	;; [unrolled: 1-line block ×3, first 2 shown]
	s_waitcnt vmcnt(15)
	v_lshlrev_b32_e32 v23, 16, v42
	s_waitcnt vmcnt(14)
	v_lshlrev_b32_e32 v22, 16, v43
	v_pk_add_f32 v[18:19], v[22:23], v[18:19] neg_lo:[0,1] neg_hi:[0,1]
	global_store_short_d16_hi v[30:31], v18, off offset:576
	global_store_short_d16_hi v[30:31], v19, off offset:832
	v_pk_mul_f32 v[18:19], v[28:29], v[18:19]
	v_accvgpr_read_b32 v23, a9
	v_perm_b32 v21, v19, v18, s39
	s_waitcnt vmcnt(15)
	v_lshlrev_b32_e32 v19, 16, v155
	s_waitcnt vmcnt(14)
	v_lshlrev_b32_e32 v18, 16, v156
	v_accvgpr_read_b32 v22, a8
	v_pk_add_f32 v[18:19], v[18:19], v[22:23] neg_lo:[0,1] neg_hi:[0,1]
	s_waitcnt vmcnt(13)
	v_lshlrev_b32_e32 v23, 16, v157
	s_waitcnt vmcnt(12)
	v_lshlrev_b32_e32 v22, 16, v158
	v_pk_add_f32 v[22:23], v[22:23], v[24:25] neg_lo:[0,1] neg_hi:[0,1]
	global_store_short_d16_hi v[30:31], v18, off offset:96
	global_store_short_d16_hi v[30:31], v19, off offset:352
	;; [unrolled: 1-line block ×4, first 2 shown]
	v_pk_mul_f32 v[18:19], v[26:27], v[18:19]
	v_pk_mul_f32 v[22:23], v[28:29], v[22:23]
	v_mov_b32_e32 v24, 0
	v_perm_b32 v23, v23, v22, s39
	v_perm_b32 v22, v19, v18, s39
	ds_write2_b64 v100, v[20:21], v[22:23] offset0:32 offset1:48
	v_mov_b32_e32 v18, 0
	v_mov_b32_e32 v19, 0
	;; [unrolled: 1-line block ×13, first 2 shown]
	s_cbranch_vccnz .LBB95_14
; %bb.13:                               ;   in Loop: Header=BB95_6 Depth=1
	s_and_b32 s29, s29, 0xffff
	s_mov_b32 s31, s27
	buffer_load_dwordx4 v[30:33], v133, s[28:31], 0 offen
	buffer_load_dwordx4 v[22:25], v133, s[28:31], s58 offen
	;; [unrolled: 1-line block ×4, first 2 shown]
	v_mov_b32_e32 v149, v94
	v_mov_b32_e32 v150, v93
.LBB95_14:                              ;   in Loop: Header=BB95_6 Depth=1
	s_waitcnt lgkmcnt(0)
	s_barrier
	ds_read_b64 v[42:43], v138
	ds_read2_b64 v[34:37], v129 offset1:16
	ds_read_b64 v[168:169], v139
	ds_read_b64 v[170:171], v140
	;; [unrolled: 1-line block ×3, first 2 shown]
	ds_read2_b64 v[38:41], v129 offset0:32 offset1:48
	ds_read2st64_b64 v[152:155], v129 offset0:4 offset1:8
	ds_read2st64_b64 v[156:159], v130 offset0:4 offset1:8
	;; [unrolled: 1-line block ×4, first 2 shown]
	s_waitcnt lgkmcnt(8)
	v_mfma_f32_16x16x16_bf16 a[0:3], v[42:43], v[34:35], 0
	s_add_i32 s3, s52, s67
	s_mul_hi_i32 s25, s3, s17
	s_mul_i32 s3, s3, s17
	v_mfma_f32_16x16x16_bf16 a[4:7], v[42:43], v[36:37], 0
	s_add_u32 s24, s3, s33
	s_addc_u32 s25, s25, s56
	s_add_i32 s3, s37, s60
	s_waitcnt lgkmcnt(4)
	v_mfma_f32_16x16x16_bf16 a[8:11], v[42:43], v[38:39], 0
	s_lshl_b64 s[24:25], s[24:25], 15
	s_mul_hi_i32 s29, s3, s17
	s_mul_i32 s3, s3, s17
	v_mfma_f32_16x16x16_bf16 a[12:15], v[42:43], v[40:41], 0
	ds_read_b64 v[42:43], v129 offset:6144
	ds_read_b64 v[180:181], v130 offset:6144
	;; [unrolled: 1-line block ×4, first 2 shown]
	s_add_u32 s28, s3, s33
	s_waitcnt lgkmcnt(7)
	v_mfma_f32_16x16x16_bf16 a[0:3], v[168:169], v[152:153], a[0:3]
	s_addc_u32 s29, s29, s56
	s_lshl_b64 s[28:29], s[28:29], 9
	s_add_u32 s28, s42, s28
	s_waitcnt lgkmcnt(6)
	v_mfma_f32_16x16x16_bf16 a[4:7], v[168:169], v[156:157], a[4:7]
	s_addc_u32 s29, s43, s29
	v_lshl_add_u64 v[190:191], v[84:85], 0, s[24:25]
	s_waitcnt lgkmcnt(5)
	v_mfma_f32_16x16x16_bf16 a[8:11], v[168:169], v[160:161], a[8:11]
	s_waitcnt lgkmcnt(4)
	v_mfma_f32_16x16x16_bf16 a[12:15], v[168:169], v[164:165], a[12:15]
	ds_read_b64 v[168:169], v143
	ds_read_b64 v[178:179], v144
	;; [unrolled: 1-line block ×3, first 2 shown]
	s_waitcnt lgkmcnt(2)
	v_mfma_f32_16x16x16_bf16 a[16:19], v[168:169], v[34:35], 0
	v_mfma_f32_16x16x16_bf16 a[20:23], v[168:169], v[36:37], 0
	global_load_dwordx4 v[34:37], v142, s[28:29]
	v_mfma_f32_16x16x16_bf16 a[24:27], v[168:169], v[38:39], 0
	v_mfma_f32_16x16x16_bf16 a[28:31], v[168:169], v[40:41], 0
	global_load_dwordx4 v[38:41], v137, s[28:29]
	v_mfma_f32_16x16x16_bf16 a[0:3], v[170:171], v[154:155], a[0:3]
	v_mfma_f32_16x16x16_bf16 a[4:7], v[170:171], v[158:159], a[4:7]
	;; [unrolled: 1-line block ×8, first 2 shown]
	ds_read2st64_b64 v[168:171], v127 offset1:8
	ds_read2st64_b64 v[172:175], v128 offset1:8
	ds_read_b64 v[188:189], v135 offset:40960
	s_waitcnt lgkmcnt(2)
	v_mov_b32_e32 v176, v168
	v_mfma_f32_16x16x16_bf16 a[16:19], v[178:179], v[152:153], a[16:19]
	v_mov_b32_e32 v177, v169
	v_mfma_f32_16x16x16_bf16 a[20:23], v[178:179], v[156:157], a[20:23]
	v_mfma_f32_16x16x16_bf16 a[24:27], v[178:179], v[160:161], a[24:27]
	;; [unrolled: 1-line block ×3, first 2 shown]
	v_add_co_u32_e32 v164, vcc, s64, v190
	s_waitcnt lgkmcnt(1)
	v_mov_b32_e32 v178, v172
	s_waitcnt lgkmcnt(0)
	v_mfma_f32_16x16x16_bf16 a[16:19], v[188:189], v[154:155], a[16:19]
	ds_read2st64_b64 v[152:155], v127 offset0:16 offset1:24
	v_addc_co_u32_e32 v165, vcc, 0, v191, vcc
	v_mfma_f32_16x16x16_bf16 a[20:23], v[188:189], v[158:159], a[20:23]
	ds_read2st64_b64 v[156:159], v128 offset0:16 offset1:24
	v_mov_b32_e32 v179, v173
	v_mov_b32_e32 v172, v170
	v_mfma_f32_16x16x16_bf16 a[32:35], v[188:189], v[162:163], a[24:27]
	v_mov_b32_e32 v173, v171
	s_waitcnt lgkmcnt(0)
	v_mov_b32_e32 v162, v156
	v_mov_b32_e32 v163, v157
	v_mfma_f32_16x16x16_bf16 a[36:39], v[188:189], v[166:167], a[28:31]
	v_mov_b32_e32 v156, v154
	v_mov_b32_e32 v157, v155
	;; [unrolled: 1-line block ×3, first 2 shown]
	v_mfma_f32_16x16x16_bf16 a[24:27], v[186:187], v[42:43], a[16:19]
	v_add_co_u32_e32 v42, vcc, s65, v190
	v_mov_b32_e32 v161, v153
	v_mfma_f32_16x16x16_bf16 a[28:31], v[186:187], v[180:181], a[20:23]
	v_addc_co_u32_e32 v43, vcc, 0, v191, vcc
	global_store_dwordx4 v[42:43], v[156:159], off
	v_mfma_f32_16x16x16_bf16 a[16:19], v[186:187], v[182:183], a[32:35]
	s_waitcnt vmcnt(2)
	v_mov_b32_e32 v44, v37
	v_mov_b32_e32 v43, v36
	;; [unrolled: 1-line block ×3, first 2 shown]
	v_mfma_f32_16x16x16_bf16 a[20:23], v[186:187], v[184:185], a[36:39]
	s_and_b64 vcc, exec, s[0:1]
	global_store_dwordx4 v[190:191], v[176:179], off
	global_store_dwordx4 v[164:165], v[172:175], off offset:-4096
	global_store_dwordx4 v[164:165], v[160:163], off
	s_cbranch_vccnz .LBB95_16
; %bb.15:                               ;   in Loop: Header=BB95_6 Depth=1
	v_lshrrev_b32_e32 v35, 3, v149
	v_and_b32_e32 v35, 6, v35
	v_xor_b32_e32 v36, v35, v150
	v_lshlrev_b32_e32 v36, 2, v36
	v_and_b32_e32 v37, 8, v149
	v_xor_b32_e32 v149, 0x440, v36
	v_cmp_eq_u32_e32 vcc, 0, v37
	v_perm_b32 v37, v22, v18, s61
	s_nop 0
	v_cndmask_b32_e32 v36, v149, v36, vcc
	v_lshl_or_b32 v35, v35, 10, v36
	v_perm_b32 v36, v30, v26, s61
	s_barrier
	ds_write2st64_b32 v35, v36, v37 offset0:128 offset1:160
	v_xor_b32_e32 v36, 8, v35
	v_perm_b32 v26, v30, v26, s62
	v_perm_b32 v18, v22, v18, s62
	v_add_u32_e32 v22, 0x80, v36
	ds_write2st64_b32 v22, v26, v18 offset0:128 offset1:160
	v_xor_b32_e32 v18, 16, v35
	v_perm_b32 v22, v31, v27, s61
	v_perm_b32 v26, v23, v19, s61
	ds_write2st64_b32 v18, v22, v26 offset0:129 offset1:161
	v_xor_b32_e32 v18, 24, v35
	v_perm_b32 v22, v31, v27, s62
	v_perm_b32 v19, v23, v19, s62
	v_add_u32_e32 v18, 0x80, v18
	ds_write2st64_b32 v18, v22, v19 offset0:129 offset1:161
	v_xor_b32_e32 v18, 32, v35
	v_perm_b32 v19, v32, v28, s61
	v_perm_b32 v22, v24, v20, s61
	;; [unrolled: 9-line block ×3, first 2 shown]
	ds_write2st64_b32 v18, v19, v20 offset0:131 offset1:163
	v_xor_b32_e32 v18, 56, v35
	v_perm_b32 v19, v33, v29, s62
	v_perm_b32 v20, v25, v21, s62
	v_add_u32_e32 v18, 0x80, v18
	ds_write2st64_b32 v18, v19, v20 offset0:131 offset1:163
	ds_write_b64 v148, v[14:15] offset:49152
	v_xor_b32_e32 v14, 8, v148
	ds_write_b64 v14, v[16:17] offset:49152
	ds_write_b64 v148, v[10:11] offset:57344
	;; [unrolled: 1-line block ×4, first 2 shown]
	v_xor_b32_e32 v6, 8, v147
	ds_write_b64 v6, v[8:9] offset:49152
	ds_write_b64 v147, v[2:3] offset:57344
	;; [unrolled: 1-line block ×3, first 2 shown]
.LBB95_16:                              ;   in Loop: Header=BB95_6 Depth=1
	v_mul_f32_e32 v26, s2, v146
	v_exp_f32_e32 v36, v26
	s_waitcnt vmcnt(4)
	v_mul_f32_e32 v26, 0x3fb8aa3b, v38
	v_exp_f32_e32 v38, v26
	v_mul_f32_e32 v26, 0x3fb8aa3b, v39
	v_exp_f32_e32 v39, v26
	;; [unrolled: 2-line block ×4, first 2 shown]
	v_accvgpr_read_b32 v5, a3
	v_accvgpr_read_b32 v4, a2
	;; [unrolled: 1-line block ×4, first 2 shown]
	v_pk_mul_f32 v[38:39], v[36:37], v[38:39] op_sel_hi:[0,1]
	v_pk_mul_f32 v[40:41], v[36:37], v[40:41] op_sel_hi:[0,1]
	v_pk_fma_f32 v[74:75], v[74:75], v[38:39], v[2:3]
	v_pk_fma_f32 v[76:77], v[76:77], v[40:41], v[4:5]
	v_mul_f32_e32 v2, 0x3fb8aa3b, v34
	v_mul_f32_e32 v3, 0x3fb8aa3b, v42
	;; [unrolled: 1-line block ×4, first 2 shown]
	v_exp_f32_e32 v2, v2
	v_exp_f32_e32 v3, v3
	;; [unrolled: 1-line block ×4, first 2 shown]
	v_accvgpr_read_b32 v9, a7
	v_accvgpr_read_b32 v13, a11
	;; [unrolled: 1-line block ×28, first 2 shown]
	v_pk_mul_f32 v[2:3], v[36:37], v[2:3] op_sel_hi:[0,1]
	v_pk_mul_f32 v[4:5], v[36:37], v[4:5] op_sel_hi:[0,1]
	s_add_i32 s60, s60, 64
	v_pk_fma_f32 v[66:67], v[38:39], v[66:67], v[6:7]
	v_pk_fma_f32 v[68:69], v[40:41], v[68:69], v[8:9]
	v_pk_fma_f32 v[58:59], v[38:39], v[58:59], v[10:11]
	v_pk_fma_f32 v[60:61], v[40:41], v[60:61], v[12:13]
	v_pk_fma_f32 v[52:53], v[38:39], v[52:53], v[14:15]
	v_pk_fma_f32 v[46:47], v[40:41], v[46:47], v[16:17]
	v_pk_fma_f32 v[70:71], v[70:71], v[2:3], v[18:19]
	v_pk_fma_f32 v[72:73], v[72:73], v[4:5], v[20:21]
	v_pk_fma_f32 v[62:63], v[2:3], v[62:63], v[22:23]
	v_pk_fma_f32 v[64:65], v[4:5], v[64:65], v[24:25]
	v_pk_fma_f32 v[54:55], v[2:3], v[54:55], v[26:27]
	v_pk_fma_f32 v[56:57], v[4:5], v[56:57], v[28:29]
	v_pk_fma_f32 v[48:49], v[2:3], v[48:49], v[30:31]
	s_cmp_eq_u32 s49, s66
	v_pk_fma_f32 v[50:51], v[4:5], v[50:51], v[32:33]
	s_cbranch_scc1 .LBB95_18
; %bb.17:                               ;   in Loop: Header=BB95_6 Depth=1
	s_mov_b32 s67, s66
	s_branch .LBB95_6
.LBB95_18:
	s_lshl_b32 s42, s49, 6
	s_sub_i32 s43, s16, s42
	s_cmp_gt_i32 s43, 0
	s_cbranch_scc0 .LBB95_99
; %bb.19:
	s_ashr_i32 s39, s50, 31
	s_ashr_i32 s2, s42, 31
	s_cmpk_lg_i32 s19, 0x80
	s_cselect_b64 s[30:31], -1, 0
	s_and_b64 vcc, exec, s[30:31]
	s_cbranch_vccz .LBB95_21
; %bb.20:
	s_mul_i32 s1, s50, s16
	s_mul_hi_i32 s0, s50, s16
	s_add_u32 s1, s1, s42
	s_addc_u32 s0, s0, s2
	s_mul_i32 s3, s1, s51
	s_mul_hi_u32 s24, s1, s18
	s_add_i32 s3, s24, s3
	s_mul_i32 s0, s0, s18
	s_add_i32 s3, s3, s0
	s_mul_i32 s1, s1, s18
	s_ashr_i32 s0, s54, 31
	s_add_u32 s40, s1, s54
	s_addc_u32 s41, s3, s0
	s_cbranch_execz .LBB95_22
	s_branch .LBB95_23
.LBB95_21:
                                        ; implicit-def: $sgpr40_sgpr41
.LBB95_22:
	s_mul_hi_i32 s0, s50, s18
	s_mul_i32 s50, s50, s18
	s_ashr_i32 s1, s54, 31
	s_add_u32 s3, s50, s54
	s_addc_u32 s0, s0, s1
	s_mul_i32 s1, s3, s48
	s_mul_hi_u32 s18, s3, s16
	s_add_i32 s1, s18, s1
	s_mul_i32 s0, s0, s16
	s_add_i32 s1, s1, s0
	s_mul_i32 s3, s3, s16
	s_add_u32 s40, s3, s42
	s_addc_u32 s41, s1, s2
.LBB95_23:
	s_add_i32 s3, s52, s49
	s_ashr_i32 s18, s33, 31
	s_add_u32 s0, s47, s33
	s_addc_u32 s1, s53, s18
	s_mul_i32 s24, s0, s48
	s_mul_hi_u32 s25, s0, s16
	s_add_i32 s24, s25, s24
	s_mul_i32 s1, s1, s16
	s_add_i32 s24, s24, s1
	s_mul_i32 s0, s0, s16
	s_add_u32 s0, s0, s42
	v_lshlrev_b32_e32 v6, 6, v91
	v_lshlrev_b32_e32 v24, 2, v45
	s_addc_u32 s1, s24, s2
	s_mov_b32 s2, 0x7060302
	v_or_b32_e32 v9, v6, v24
	v_xor_b32_e32 v7, v91, v24
	v_perm_b32 v3, v77, v76, s2
	v_perm_b32 v2, v75, v74, s2
	v_perm_b32 v5, v73, v72, s2
	v_perm_b32 v4, v71, v70, s2
	v_lshlrev_b32_e32 v9, 1, v9
	v_xor_b32_e32 v8, v92, v24
	ds_write2st64_b64 v9, v[2:3], v[4:5] offset0:32 offset1:48
	v_lshlrev_b32_e32 v7, 1, v7
	v_lshlrev_b32_e32 v9, 8, v45
	v_or_b32_e32 v10, v7, v9
	v_lshlrev_b32_e32 v8, 1, v8
	ds_write_b64 v10, v[2:3]
	v_or_b32_e32 v2, v8, v9
	v_or_b32_e32 v9, 16, v45
	v_lshlrev_b32_e32 v23, 2, v9
	v_or_b32_e32 v10, v6, v23
	ds_write_b64 v2, v[4:5]
	v_perm_b32 v3, v69, v68, s2
	v_perm_b32 v2, v67, v66, s2
	;; [unrolled: 1-line block ×4, first 2 shown]
	v_lshlrev_b32_e32 v10, 1, v10
	v_lshlrev_b32_e32 v9, 8, v9
	ds_write2st64_b64 v10, v[2:3], v[4:5] offset0:32 offset1:48
	v_or_b32_e32 v10, v7, v9
	ds_write_b64 v10, v[2:3]
	v_or_b32_e32 v2, v8, v9
	v_or_b32_e32 v9, 32, v45
	v_lshlrev_b32_e32 v22, 2, v9
	v_or_b32_e32 v10, v6, v22
	s_lshl_b64 s[28:29], s[0:1], 8
	ds_write_b64 v2, v[4:5]
	v_perm_b32 v3, v61, v60, s2
	v_perm_b32 v2, v59, v58, s2
	;; [unrolled: 1-line block ×4, first 2 shown]
	v_lshlrev_b32_e32 v10, 1, v10
	v_lshlrev_b32_e32 v9, 8, v9
	s_add_u32 s0, s6, s28
	ds_write2st64_b64 v10, v[2:3], v[4:5] offset0:32 offset1:48
	v_or_b32_e32 v10, v7, v9
	s_addc_u32 s1, s7, s29
	ds_write_b64 v10, v[2:3]
	v_or_b32_e32 v2, v8, v9
	v_or_b32_e32 v9, 48, v45
	s_mul_hi_i32 s6, s3, s17
	s_mul_i32 s3, s3, s17
	ds_write_b64 v2, v[4:5]
	v_perm_b32 v3, v47, v46, s2
	v_perm_b32 v2, v53, v52, s2
	;; [unrolled: 1-line block ×4, first 2 shown]
	v_lshlrev_b32_e32 v19, 2, v9
	s_add_u32 s2, s3, s33
	v_or_b32_e32 v6, v6, v19
	s_addc_u32 s3, s6, s18
	v_lshlrev_b32_e32 v6, 1, v6
	s_ashr_i32 s37, s36, 31
	s_lshl_b64 s[2:3], s[2:3], 15
	ds_write2st64_b64 v6, v[2:3], v[4:5] offset0:32 offset1:48
	v_lshlrev_b32_e32 v6, 8, v9
	s_add_u32 s6, s12, s2
	v_or_b32_e32 v7, v7, v6
	s_addc_u32 s7, s13, s3
	s_lshl_b64 s[2:3], s[36:37], 8
	ds_write_b64 v7, v[2:3]
	v_or_b32_e32 v2, v8, v6
	s_add_u32 s2, s6, s2
	v_lshlrev_b32_e32 v3, 1, v45
	ds_write_b64 v2, v[4:5]
	v_lshrrev_b32_e32 v2, 4, v0
	s_addc_u32 s3, s7, s3
	v_or_b32_e32 v4, 1, v3
	v_lshlrev_b32_e32 v10, 4, v45
	v_mov_b32_e32 v11, 0
	v_xor_b32_e32 v3, v2, v3
	v_xor_b32_e32 v6, v4, v2
	v_lshl_add_u64 v[12:13], s[2:3], 0, v[10:11]
	v_lshlrev_b32_e32 v10, 8, v2
	v_lshl_or_b32 v16, v3, 3, v10
	v_lshl_or_b32 v17, v6, 3, v10
	s_waitcnt lgkmcnt(0)
	s_barrier
	ds_read2st64_b64 v[2:5], v16 offset1:8
	ds_read2st64_b64 v[6:9], v17 offset1:8
	v_lshl_add_u64 v[14:15], v[12:13], 0, v[10:11]
	s_movk_i32 s2, 0x2000
	s_cmp_lg_u32 s43, 64
	s_waitcnt lgkmcnt(1)
	v_mov_b32_e32 v10, v2
	v_mov_b32_e32 v11, v3
	s_waitcnt lgkmcnt(0)
	v_mov_b32_e32 v12, v6
	v_mov_b32_e32 v13, v7
	global_store_dwordx4 v[14:15], v[10:13], off
	v_mov_b32_e32 v6, v4
	v_mov_b32_e32 v7, v5
	ds_read2st64_b64 v[2:5], v16 offset0:16 offset1:24
	ds_read2st64_b64 v[10:13], v17 offset0:16 offset1:24
	v_add_co_u32_e32 v16, vcc, s2, v14
	s_cselect_b64 s[6:7], -1, 0
	s_nop 0
	v_addc_co_u32_e32 v17, vcc, 0, v15, vcc
	global_store_dwordx4 v[16:17], v[6:9], off offset:-4096
	v_lshl_or_b32 v25, v87, 3, v90
	s_mov_b32 s24, 0
	s_waitcnt lgkmcnt(1)
	v_mov_b32_e32 v6, v2
	v_add_co_u32_e32 v2, vcc, 0x3000, v14
	v_mov_b32_e32 v7, v3
	s_nop 0
	v_addc_co_u32_e32 v3, vcc, 0, v15, vcc
	s_waitcnt lgkmcnt(0)
	v_mov_b32_e32 v8, v10
	v_mov_b32_e32 v9, v11
	;; [unrolled: 1-line block ×4, first 2 shown]
	v_or_b32_e32 v20, 32, v25
	v_and_b32_e32 v18, 56, v89
	s_and_b64 vcc, exec, s[6:7]
	global_store_dwordx4 v[16:17], v[6:9], off
	global_store_dwordx4 v[2:3], v[10:13], off
	s_cbranch_vccz .LBB95_29
; %bb.24:
	s_mov_b32 s25, s24
	s_mov_b32 s26, s24
	;; [unrolled: 1-line block ×3, first 2 shown]
	v_mov_b64_e32 v[6:7], s[24:25]
	v_mov_b64_e32 v[8:9], s[26:27]
	;; [unrolled: 1-line block ×3, first 2 shown]
	v_cmp_gt_i32_e32 vcc, s43, v25
	v_mov_b64_e32 v[4:5], v[8:9]
	s_and_saveexec_b64 s[2:3], vcc
	s_cbranch_execz .LBB95_26
; %bb.25:
	v_lshlrev_b32_e32 v2, 8, v25
	v_mov_b32_e32 v3, 0
	v_lshl_add_u64 v[4:5], s[0:1], 0, v[2:3]
	v_lshlrev_b32_e32 v2, 1, v18
	v_lshl_add_u64 v[10:11], v[4:5], 0, v[2:3]
	global_load_dwordx4 v[6:9], v[10:11], off
	global_load_dwordx4 v[2:5], v[10:11], off offset:128
.LBB95_26:
	s_or_b64 exec, exec, s[2:3]
	s_mov_b32 s25, s24
	s_mov_b32 s26, s24
	;; [unrolled: 1-line block ×3, first 2 shown]
	v_mov_b64_e32 v[14:15], s[24:25]
	v_mov_b64_e32 v[16:17], s[26:27]
	;; [unrolled: 1-line block ×3, first 2 shown]
	v_cmp_gt_i32_e32 vcc, s43, v20
	v_lshlrev_b32_e32 v21, 7, v20
	v_mov_b64_e32 v[12:13], v[16:17]
	s_and_saveexec_b64 s[2:3], vcc
	s_cbranch_execz .LBB95_28
; %bb.27:
	v_lshlrev_b32_e32 v10, 1, v21
	v_mov_b32_e32 v11, 0
	v_lshl_add_u64 v[12:13], s[0:1], 0, v[10:11]
	v_lshlrev_b32_e32 v10, 1, v18
	v_lshl_add_u64 v[26:27], v[12:13], 0, v[10:11]
	global_load_dwordx4 v[14:17], v[26:27], off
	global_load_dwordx4 v[10:13], v[26:27], off offset:128
.LBB95_28:
	s_or_b64 exec, exec, s[2:3]
	v_lshrrev_b32_e32 v26, 3, v18
	v_lshlrev_b32_e32 v27, 3, v25
	v_or_b32_e32 v26, v27, v26
	v_lshlrev_b32_e32 v26, 4, v26
	v_and_b32_e32 v27, 0x78, v27
	v_xor_b32_e32 v26, v26, v27
	s_branch .LBB95_31
.LBB95_29:
                                        ; implicit-def: $vgpr26
                                        ; implicit-def: $vgpr21
                                        ; implicit-def: $vgpr6_vgpr7_vgpr8_vgpr9
                                        ; implicit-def: $vgpr2_vgpr3_vgpr4_vgpr5
                                        ; implicit-def: $vgpr14_vgpr15_vgpr16_vgpr17
                                        ; implicit-def: $vgpr10_vgpr11_vgpr12_vgpr13
	s_cbranch_execz .LBB95_31
; %bb.30:
	s_waitcnt vmcnt(0)
	v_lshlrev_b32_e32 v2, 1, v18
	v_lshl_or_b32 v21, v25, 8, v2
	s_and_b32 s1, s1, 0xffff
	s_mov_b32 s3, 0x20000
	s_movk_i32 s2, 0x4000
	v_lshl_or_b32 v26, v20, 8, v2
	s_movk_i32 s12, 0x80
	buffer_load_dwordx4 v[6:9], v21, s[0:3], 0 offen
	buffer_load_dwordx4 v[2:5], v21, s[0:3], s12 offen
	;; [unrolled: 1-line block ×4, first 2 shown]
	v_lshrrev_b32_e32 v21, 3, v18
	v_lshlrev_b32_e32 v26, 3, v25
	v_or_b32_e32 v21, v26, v21
	v_lshlrev_b32_e32 v21, 4, v21
	v_and_b32_e32 v26, 0x78, v26
	v_xor_b32_e32 v26, v21, v26
	v_lshlrev_b32_e32 v21, 7, v20
.LBB95_31:
	s_movk_i32 s0, 0x1000
	v_and_or_b32 v20, v21, s0, v26
	s_waitcnt vmcnt(1)
	ds_write_b64 v26, v[6:7] offset:49152
	v_xor_b32_e32 v6, 8, v26
	ds_write_b64 v6, v[8:9] offset:49152
	s_waitcnt vmcnt(0)
	ds_write_b64 v26, v[2:3] offset:57344
	ds_write_b64 v6, v[4:5] offset:57344
	;; [unrolled: 1-line block ×3, first 2 shown]
	v_xor_b32_e32 v2, 8, v20
	ds_write_b64 v2, v[16:17] offset:49152
	ds_write_b64 v20, v[10:11] offset:57344
	ds_write_b64 v2, v[12:13] offset:57344
	v_or_b32_e32 v2, v1, v45
	v_lshlrev_b32_e32 v3, 11, v87
	v_lshlrev_b32_e32 v2, 3, v2
	v_and_b32_e32 v6, 0x1000, v3
	v_lshrrev_b32_e32 v3, 5, v86
	s_movk_i32 s0, 0xf8
	v_and_or_b32 v3, v2, s0, v3
	v_lshlrev_b32_e32 v7, 4, v3
	v_and_b32_e32 v8, 0x78, v2
	v_or_b32_e32 v10, 32, v7
	v_lshrrev_b32_e32 v3, 1, v86
	v_xor_b32_e32 v10, v10, v8
	v_xor_b32_e32 v2, v7, v8
	v_and_b32_e32 v9, 8, v3
	v_or_b32_e32 v10, v10, v6
	v_or_b32_e32 v2, v2, v6
	v_xor_b32_e32 v28, v10, v9
	v_or_b32_e32 v10, 64, v7
	v_xor_b32_e32 v27, v2, v9
	v_xor_b32_e32 v10, v10, v8
	s_waitcnt lgkmcnt(0)
	s_barrier
	v_or_b32_e32 v13, v10, v6
	ds_read_b64 v[10:11], v27 offset:49152
	v_lshl_or_b32 v14, v88, 8, v24
	v_lshlrev_b32_e32 v26, 1, v14
	v_add_u32_e32 v12, 0x4000, v26
	ds_read2_b64 v[2:5], v12 offset1:16
	v_or_b32_e32 v7, 0x60, v7
	v_xor_b32_e32 v7, v7, v8
	v_or_b32_e32 v6, v7, v6
	v_xor_b32_e32 v29, v13, v9
	v_xor_b32_e32 v30, v6, v9
	ds_read_b64 v[20:21], v28 offset:49152
	ds_read_b64 v[34:35], v29 offset:49152
	;; [unrolled: 1-line block ×3, first 2 shown]
	s_waitcnt lgkmcnt(3)
	v_mfma_f32_16x16x16_bf16 a[0:3], v[10:11], v[2:3], 0
	ds_read2_b64 v[6:9], v12 offset0:32 offset1:48
	s_lshl_b64 s[0:1], s[40:41], 8
	s_add_u32 s4, s4, s0
	v_mfma_f32_16x16x16_bf16 a[4:7], v[10:11], v[4:5], 0
	ds_read2st64_b64 v[2:5], v26 offset0:36 offset1:40
	s_addc_u32 s5, s5, s1
	s_add_i32 s2, s16, -1
	s_waitcnt lgkmcnt(1)
	v_mfma_f32_16x16x16_bf16 a[8:11], v[10:11], v[6:7], 0
	v_or_b32_e32 v6, 64, v14
	v_lshlrev_b32_e32 v31, 1, v6
	s_add_i32 s0, s46, s21
	s_waitcnt lgkmcnt(0)
	v_mfma_f32_16x16x16_bf16 a[0:3], v[20:21], v[2:3], a[0:3]
	v_or_b32_e32 v2, 0x80, v14
	v_lshlrev_b32_e32 v32, 1, v2
	v_or_b32_e32 v2, 0xc0, v14
	v_mfma_f32_16x16x16_bf16 a[12:15], v[10:11], v[8:9], 0
	ds_read2st64_b64 v[6:9], v31 offset0:36 offset1:40
	v_lshlrev_b32_e32 v33, 1, v2
	ds_read2st64_b64 v[10:13], v32 offset0:36 offset1:40
	ds_read2st64_b64 v[14:17], v33 offset0:36 offset1:40
	s_mul_i32 s39, s39, s20
	s_add_i32 s39, s0, s39
	s_mul_i32 s0, s33, s23
	s_mul_hi_u32 s1, s33, s22
	s_ashr_i32 s3, s2, 31
	s_mul_i32 s12, s2, s35
	s_mul_hi_u32 s13, s2, s34
	s_waitcnt lgkmcnt(2)
	v_mfma_f32_16x16x16_bf16 a[4:7], v[20:21], v[6:7], a[4:7]
	s_add_i32 s0, s1, s0
	s_mul_i32 s1, s18, s22
	s_add_i32 s12, s13, s12
	s_mul_i32 s3, s3, s34
	s_waitcnt lgkmcnt(1)
	v_mfma_f32_16x16x16_bf16 a[8:11], v[20:21], v[10:11], a[8:11]
	s_add_i32 s1, s0, s1
	s_add_i32 s3, s12, s3
	s_lshl_b64 s[12:13], s[38:39], 2
	s_waitcnt lgkmcnt(0)
	v_mfma_f32_16x16x16_bf16 a[12:15], v[20:21], v[14:15], a[12:15]
	s_mul_i32 s0, s33, s22
	s_add_u32 s10, s10, s12
	s_addc_u32 s11, s11, s13
	s_lshl_b64 s[0:1], s[0:1], 2
	v_mfma_f32_16x16x16_bf16 a[0:3], v[34:35], v[4:5], a[0:3]
	s_mul_i32 s2, s2, s34
	ds_read_b64 v[2:3], v26 offset:22528
	s_add_u32 s10, s10, s0
	v_mfma_f32_16x16x16_bf16 a[4:7], v[34:35], v[8:9], a[4:7]
	ds_read_b64 v[4:5], v31 offset:22528
	ds_read_b64 v[6:7], v32 offset:22528
	;; [unrolled: 1-line block ×3, first 2 shown]
	s_addc_u32 s11, s11, s1
	s_lshl_b64 s[0:1], s[2:3], 2
	v_mfma_f32_16x16x16_bf16 a[8:11], v[34:35], v[12:13], a[8:11]
	s_add_u32 s0, s10, s0
	s_addc_u32 s1, s11, s1
	s_load_dword s12, s[0:1], 0x0
	v_mfma_f32_16x16x16_bf16 a[12:15], v[34:35], v[16:17], a[12:15]
	s_and_b64 vcc, exec, s[30:31]
	s_waitcnt lgkmcnt(0)
	v_mfma_f32_16x16x16_bf16 a[0:3], v[36:37], v[2:3], a[0:3]
	v_mfma_f32_16x16x16_bf16 a[4:7], v[36:37], v[4:5], a[4:7]
	;; [unrolled: 1-line block ×4, first 2 shown]
	s_cbranch_vccz .LBB95_42
; %bb.32:
	v_lshlrev_b32_e32 v20, 1, v25
	s_and_b64 vcc, exec, s[6:7]
	s_cbranch_vccz .LBB95_43
; %bb.33:
	v_cmp_gt_i32_e32 vcc, s43, v20
	v_mov_b32_e32 v6, 0
	v_mov_b32_e32 v2, 0
	;; [unrolled: 1-line block ×5, first 2 shown]
	s_and_saveexec_b64 s[0:1], vcc
	s_cbranch_execz .LBB95_35
; %bb.34:
	v_mad_i64_i32 v[2:3], s[2:3], s19, v20, 0
	v_lshl_add_u64 v[2:3], v[2:3], 1, s[4:5]
	v_lshlrev_b32_e32 v4, 1, v18
	v_mov_b32_e32 v5, 0
	v_lshl_add_u64 v[2:3], v[2:3], 0, v[4:5]
	global_load_dwordx4 v[2:5], v[2:3], off
.LBB95_35:
	s_or_b64 exec, exec, s[0:1]
	v_or_b32_e32 v21, 1, v20
	v_cmp_gt_i32_e64 s[0:1], s43, v21
	v_mov_b32_e32 v7, 0
	v_mov_b32_e32 v8, 0
	;; [unrolled: 1-line block ×3, first 2 shown]
	s_and_saveexec_b64 s[2:3], s[0:1]
	s_cbranch_execz .LBB95_37
; %bb.36:
	v_mad_i64_i32 v[6:7], s[16:17], s19, v21, 0
	v_lshl_add_u64 v[6:7], v[6:7], 1, s[4:5]
	v_lshlrev_b32_e32 v8, 1, v18
	v_mov_b32_e32 v9, 0
	v_lshl_add_u64 v[6:7], v[6:7], 0, v[8:9]
	global_load_dwordx4 v[6:9], v[6:7], off
.LBB95_37:
	s_or_b64 exec, exec, s[2:3]
	v_mov_b32_e32 v17, 0
	v_mov_b32_e32 v10, 0
	;; [unrolled: 1-line block ×5, first 2 shown]
	s_and_saveexec_b64 s[2:3], vcc
	s_cbranch_execz .LBB95_39
; %bb.38:
	v_mad_i64_i32 v[10:11], s[16:17], s19, v20, 0
	v_lshl_add_u64 v[10:11], v[10:11], 1, s[4:5]
	v_lshlrev_b32_e32 v12, 1, v18
	v_mov_b32_e32 v13, 0
	v_lshl_add_u64 v[10:11], v[10:11], 0, v[12:13]
	global_load_dwordx4 v[10:13], v[10:11], off offset:128
.LBB95_39:
	s_or_b64 exec, exec, s[2:3]
	v_mov_b32_e32 v16, 0
	v_mov_b32_e32 v15, 0
	;; [unrolled: 1-line block ×3, first 2 shown]
	s_and_saveexec_b64 s[2:3], s[0:1]
	s_cbranch_execz .LBB95_41
; %bb.40:
	v_mad_i64_i32 v[14:15], s[0:1], s19, v21, 0
	v_lshl_add_u64 v[14:15], v[14:15], 1, s[4:5]
	v_lshlrev_b32_e32 v16, 1, v18
	v_mov_b32_e32 v17, 0
	v_lshl_add_u64 v[14:15], v[14:15], 0, v[16:17]
	global_load_dwordx4 v[14:17], v[14:15], off offset:128
.LBB95_41:
	s_or_b64 exec, exec, s[2:3]
	s_branch .LBB95_45
.LBB95_42:
                                        ; implicit-def: $vgpr5
                                        ; implicit-def: $vgpr9
                                        ; implicit-def: $vgpr13
                                        ; implicit-def: $vgpr17
	v_lshrrev_b32_e32 v34, 2, v86
	s_branch .LBB95_46
.LBB95_43:
                                        ; implicit-def: $vgpr5
                                        ; implicit-def: $vgpr9
                                        ; implicit-def: $vgpr13
                                        ; implicit-def: $vgpr17
	s_cbranch_execz .LBB95_45
; %bb.44:
	s_waitcnt vmcnt(0)
	v_mad_u64_u32 v[2:3], s[0:1], v20, s19, v[18:19]
	v_lshlrev_b32_e32 v20, 1, v2
	s_lshl_b32 s2, s19, 7
	s_and_b32 s1, s5, 0xffff
	s_mov_b32 s3, 0x20000
	s_mov_b32 s0, s4
	v_add_lshl_u32 v21, v2, s19, 1
	s_movk_i32 s13, 0x80
	buffer_load_dwordx4 v[2:5], v20, s[0:3], 0 offen
	buffer_load_dwordx4 v[10:13], v20, s[0:3], s13 offen
	;; [unrolled: 1-line block ×4, first 2 shown]
.LBB95_45:
	v_lshrrev_b32_e32 v34, 2, v86
	s_cbranch_execnz .LBB95_58
.LBB95_46:
	s_and_b64 vcc, exec, s[6:7]
	s_cbranch_vccz .LBB95_56
; %bb.47:
	s_waitcnt vmcnt(0)
	v_lshlrev_b32_e32 v7, 1, v25
	v_cmp_gt_i32_e32 vcc, s43, v7
	v_mov_b32_e32 v6, 0
	v_lshlrev_b32_e32 v14, 9, v25
	v_mov_b32_e32 v2, 0
	v_mov_b32_e32 v3, 0
	v_mov_b32_e32 v4, 0
	v_mov_b32_e32 v5, 0
	s_and_saveexec_b64 s[0:1], vcc
	s_cbranch_execz .LBB95_49
; %bb.48:
	v_mov_b32_e32 v15, 0
	v_lshl_add_u64 v[2:3], s[4:5], 0, v[14:15]
	v_lshlrev_b32_e32 v4, 1, v18
	v_mov_b32_e32 v5, v15
	v_lshl_add_u64 v[2:3], v[2:3], 0, v[4:5]
	global_load_dwordx4 v[2:5], v[2:3], off
.LBB95_49:
	s_or_b64 exec, exec, s[0:1]
	v_or_b32_e32 v7, 1, v7
	v_cmp_gt_i32_e64 s[0:1], s43, v7
	v_lshlrev_b32_e32 v20, 8, v7
	v_mov_b32_e32 v7, 0
	v_mov_b32_e32 v8, 0
	;; [unrolled: 1-line block ×3, first 2 shown]
	s_and_saveexec_b64 s[2:3], s[0:1]
	s_cbranch_execz .LBB95_51
; %bb.50:
	v_mov_b32_e32 v21, 0
	v_lshl_add_u64 v[6:7], s[4:5], 0, v[20:21]
	v_lshlrev_b32_e32 v8, 1, v18
	v_mov_b32_e32 v9, v21
	v_lshl_add_u64 v[6:7], v[6:7], 0, v[8:9]
	global_load_dwordx4 v[6:9], v[6:7], off
.LBB95_51:
	s_or_b64 exec, exec, s[2:3]
	v_mov_b32_e32 v17, 0
	v_mov_b32_e32 v10, 0
	;; [unrolled: 1-line block ×5, first 2 shown]
	s_and_saveexec_b64 s[2:3], vcc
	s_cbranch_execz .LBB95_53
; %bb.52:
	v_mov_b32_e32 v15, 0
	v_lshl_add_u64 v[10:11], s[4:5], 0, v[14:15]
	v_lshlrev_b32_e32 v14, 1, v18
	v_lshl_add_u64 v[10:11], v[10:11], 0, v[14:15]
	global_load_dwordx4 v[10:13], v[10:11], off offset:128
.LBB95_53:
	s_or_b64 exec, exec, s[2:3]
	v_mov_b32_e32 v16, 0
	v_mov_b32_e32 v15, 0
	;; [unrolled: 1-line block ×3, first 2 shown]
	s_and_saveexec_b64 s[2:3], s[0:1]
	s_cbranch_execz .LBB95_55
; %bb.54:
	v_mov_b32_e32 v21, 0
	v_lshl_add_u64 v[14:15], s[4:5], 0, v[20:21]
	v_lshlrev_b32_e32 v20, 1, v18
	v_lshl_add_u64 v[14:15], v[14:15], 0, v[20:21]
	global_load_dwordx4 v[14:17], v[14:15], off offset:128
.LBB95_55:
	s_or_b64 exec, exec, s[2:3]
	s_branch .LBB95_58
.LBB95_56:
                                        ; implicit-def: $vgpr5
                                        ; implicit-def: $vgpr9
                                        ; implicit-def: $vgpr13
                                        ; implicit-def: $vgpr17
	s_cbranch_execz .LBB95_58
; %bb.57:
	s_waitcnt vmcnt(0)
	v_lshlrev_b32_e32 v2, 1, v18
	v_lshl_or_b32 v18, v25, 9, v2
	s_and_b32 s5, s5, 0xffff
	s_mov_b32 s7, 0x20000
	s_movk_i32 s6, 0x4000
	s_movk_i32 s0, 0x80
	buffer_load_dwordx4 v[2:5], v18, s[4:7], 0 offen
	buffer_load_dwordx4 v[6:9], v18, s[4:7], 0 offen offset:256
	buffer_load_dwordx4 v[10:13], v18, s[4:7], s0 offen
	buffer_load_dwordx4 v[14:17], v18, s[4:7], s0 offen offset:256
.LBB95_58:
	ds_read_b64 v[20:21], v27 offset:57344
	v_add_u32_e32 v18, 0x6000, v26
	ds_read2_b64 v[36:39], v18 offset1:16
	ds_read_b64 v[54:55], v28 offset:57344
	ds_read_b64 v[28:29], v29 offset:57344
	;; [unrolled: 1-line block ×3, first 2 shown]
	ds_read2st64_b64 v[40:43], v26 offset0:52 offset1:56
	s_mov_b32 s0, 0x1000504
	s_mov_b32 s1, 0x3020706
	s_waitcnt lgkmcnt(4)
	v_mfma_f32_16x16x16_bf16 a[0:3], v[20:21], v[36:37], a[0:3]
	v_mfma_f32_16x16x16_bf16 a[4:7], v[20:21], v[38:39], a[4:7]
	ds_read2_b64 v[36:39], v18 offset0:32 offset1:48
	v_and_b32_e32 v18, 6, v0
	v_xor_b32_e32 v25, v25, v18
	s_waitcnt lgkmcnt(0)
	v_mfma_f32_16x16x16_bf16 a[8:11], v[20:21], v[36:37], a[8:11]
	v_lshlrev_b32_e32 v25, 2, v25
	v_and_b32_e32 v0, 1, v0
	v_xor_b32_e32 v35, 0x440, v25
	v_mfma_f32_16x16x16_bf16 a[12:15], v[20:21], v[38:39], a[12:15]
	ds_read2st64_b64 v[36:39], v31 offset0:52 offset1:56
	ds_read2st64_b64 v[46:49], v32 offset0:52 offset1:56
	;; [unrolled: 1-line block ×3, first 2 shown]
	v_cmp_eq_u32_e32 vcc, 0, v0
	ds_read_b64 v[20:21], v26 offset:30720
	ds_read_b64 v[26:27], v31 offset:30720
	;; [unrolled: 1-line block ×4, first 2 shown]
	v_mfma_f32_16x16x16_bf16 a[0:3], v[54:55], v[40:41], a[0:3]
	v_cndmask_b32_e32 v0, v35, v25, vcc
	v_lshl_or_b32 v0, v18, 10, v0
	s_waitcnt vmcnt(0)
	v_perm_b32 v18, v2, v6, s0
	s_waitcnt lgkmcnt(6)
	v_mfma_f32_16x16x16_bf16 a[4:7], v[54:55], v[36:37], a[4:7]
	v_perm_b32 v25, v10, v14, s0
	ds_write2st64_b32 v0, v18, v25 offset0:128 offset1:160
	v_xor_b32_e32 v18, 8, v0
	s_waitcnt lgkmcnt(6)
	v_mfma_f32_16x16x16_bf16 a[8:11], v[54:55], v[46:47], a[8:11]
	v_perm_b32 v2, v2, v6, s1
	v_perm_b32 v6, v10, v14, s1
	v_add_u32_e32 v10, 0x80, v18
	s_waitcnt lgkmcnt(5)
	v_mfma_f32_16x16x16_bf16 a[12:15], v[54:55], v[50:51], a[12:15]
	ds_write2st64_b32 v10, v2, v6 offset0:128 offset1:160
	v_xor_b32_e32 v2, 16, v0
	v_perm_b32 v6, v3, v7, s0
	v_mfma_f32_16x16x16_bf16 a[0:3], v[28:29], v[42:43], a[0:3]
	v_perm_b32 v10, v11, v15, s0
	ds_write2st64_b32 v2, v6, v10 offset0:129 offset1:161
	v_xor_b32_e32 v2, 24, v0
	v_mfma_f32_16x16x16_bf16 a[4:7], v[28:29], v[38:39], a[4:7]
	v_perm_b32 v3, v3, v7, s1
	v_perm_b32 v6, v11, v15, s1
	v_add_u32_e32 v2, 0x80, v2
	v_mfma_f32_16x16x16_bf16 a[16:19], v[28:29], v[48:49], a[8:11]
	ds_write2st64_b32 v2, v3, v6 offset0:129 offset1:161
	v_xor_b32_e32 v2, 32, v0
	v_perm_b32 v3, v4, v8, s0
	v_mfma_f32_16x16x16_bf16 a[20:23], v[28:29], v[52:53], a[12:15]
	v_perm_b32 v6, v12, v16, s0
	ds_write2st64_b32 v2, v3, v6 offset0:130 offset1:162
	v_xor_b32_e32 v2, 40, v0
	s_waitcnt lgkmcnt(8)
	v_mfma_f32_16x16x16_bf16 a[12:15], v[56:57], v[20:21], a[0:3]
	v_perm_b32 v3, v4, v8, s1
	v_perm_b32 v4, v12, v16, s1
	v_add_u32_e32 v2, 0x80, v2
	s_waitcnt lgkmcnt(7)
	v_mfma_f32_16x16x16_bf16 a[8:11], v[56:57], v[26:27], a[4:7]
	ds_write2st64_b32 v2, v3, v4 offset0:130 offset1:162
	v_xor_b32_e32 v2, 48, v0
	v_perm_b32 v3, v5, v9, s0
	s_waitcnt lgkmcnt(7)
	v_mfma_f32_16x16x16_bf16 a[4:7], v[56:57], v[30:31], a[16:19]
	v_perm_b32 v4, v13, v17, s0
	v_xor_b32_e32 v0, 56, v0
	v_and_or_b32 v21, v34, 12, v1
	s_waitcnt lgkmcnt(6)
	v_mfma_f32_16x16x16_bf16 a[0:3], v[56:57], v[32:33], a[20:23]
	ds_write2st64_b32 v2, v3, v4 offset0:131 offset1:163
	v_perm_b32 v2, v5, v9, s1
	v_perm_b32 v3, v13, v17, s1
	v_add_u32_e32 v0, 0x80, v0
	v_cmp_gt_i32_e32 vcc, s43, v21
	v_mov_b32_e32 v16, 0
	v_mov_b32_e32 v18, 0
	ds_write2st64_b32 v0, v2, v3 offset0:131 offset1:163
	s_and_saveexec_b64 s[0:1], vcc
	s_cbranch_execz .LBB95_60
; %bb.59:
	v_add_u32_e32 v0, s42, v21
	v_ashrrev_i32_e32 v1, 31, v0
	v_mul_lo_u32 v2, v1, s34
	v_mul_lo_u32 v3, v0, s35
	v_mad_u64_u32 v[0:1], s[2:3], v0, s34, 0
	v_add3_u32 v1, v1, v3, v2
	v_lshl_add_u64 v[0:1], v[0:1], 2, s[10:11]
	global_load_dword v0, v[0:1], off
	s_waitcnt vmcnt(0)
	v_sub_f32_e32 v0, s12, v0
	v_mul_f32_e32 v0, 0x3fb8aa3b, v0
	v_exp_f32_e32 v18, v0
.LBB95_60:
	s_or_b64 exec, exec, s[0:1]
	v_or_b32_e32 v10, 1, v21
	v_cmp_gt_i32_e64 s[0:1], s43, v10
	s_and_saveexec_b64 s[2:3], s[0:1]
	s_cbranch_execz .LBB95_62
; %bb.61:
	v_add_u32_e32 v0, s42, v10
	v_ashrrev_i32_e32 v1, 31, v0
	v_mul_lo_u32 v2, v1, s34
	v_mul_lo_u32 v3, v0, s35
	v_mad_u64_u32 v[0:1], s[4:5], v0, s34, 0
	v_add3_u32 v1, v1, v3, v2
	v_lshl_add_u64 v[0:1], v[0:1], 2, s[10:11]
	global_load_dword v0, v[0:1], off
	s_waitcnt vmcnt(0)
	v_sub_f32_e32 v0, s12, v0
	v_mul_f32_e32 v0, 0x3fb8aa3b, v0
	v_exp_f32_e32 v16, v0
.LBB95_62:
	s_or_b64 exec, exec, s[2:3]
	v_or_b32_e32 v12, 2, v21
	v_cmp_gt_i32_e64 s[2:3], s43, v12
	v_mov_b32_e32 v17, 0
	v_mov_b32_e32 v20, 0
	s_and_saveexec_b64 s[4:5], s[2:3]
	s_cbranch_execz .LBB95_64
; %bb.63:
	v_add_u32_e32 v0, s42, v12
	v_ashrrev_i32_e32 v1, 31, v0
	v_mul_lo_u32 v2, v1, s34
	v_mul_lo_u32 v3, v0, s35
	v_mad_u64_u32 v[0:1], s[6:7], v0, s34, 0
	v_add3_u32 v1, v1, v3, v2
	v_lshl_add_u64 v[0:1], v[0:1], 2, s[10:11]
	global_load_dword v0, v[0:1], off
	s_waitcnt vmcnt(0)
	v_sub_f32_e32 v0, s12, v0
	v_mul_f32_e32 v0, 0x3fb8aa3b, v0
	v_exp_f32_e32 v20, v0
.LBB95_64:
	s_or_b64 exec, exec, s[4:5]
	v_or_b32_e32 v14, 3, v21
	v_cmp_gt_i32_e64 s[4:5], s43, v14
	s_and_saveexec_b64 s[6:7], s[4:5]
	s_cbranch_execz .LBB95_66
; %bb.65:
	v_add_u32_e32 v0, s42, v14
	v_ashrrev_i32_e32 v1, 31, v0
	v_mul_lo_u32 v2, v1, s34
	v_mul_lo_u32 v3, v0, s35
	v_mad_u64_u32 v[0:1], s[16:17], v0, s34, 0
	v_add3_u32 v1, v1, v3, v2
	v_lshl_add_u64 v[0:1], v[0:1], 2, s[10:11]
	global_load_dword v0, v[0:1], off
	s_waitcnt vmcnt(0)
	v_sub_f32_e32 v0, s12, v0
	v_mul_f32_e32 v0, 0x3fb8aa3b, v0
	v_exp_f32_e32 v17, v0
.LBB95_66:
	s_or_b64 exec, exec, s[6:7]
	s_add_u32 s6, s8, s28
	v_or_b32_e32 v4, s36, v45
	s_addc_u32 s7, s9, s29
	s_add_u32 s8, s14, s28
	v_ashrrev_i32_e32 v5, 31, v4
	v_accvgpr_read_b32 v0, a12
	s_addc_u32 s9, s15, s29
	v_lshlrev_b64 v[4:5], 1, v[4:5]
	v_accvgpr_read_b32 v1, a13
	v_accvgpr_read_b32 v2, a14
	;; [unrolled: 1-line block ×3, first 2 shown]
	v_lshl_add_u64 v[6:7], s[6:7], 0, v[4:5]
	v_lshl_add_u64 v[4:5], s[8:9], 0, v[4:5]
	v_mov_b32_e32 v11, 0
	v_lshlrev_b32_e32 v8, 8, v21
	v_mov_b32_e32 v9, 0
	s_and_saveexec_b64 s[6:7], vcc
	s_cbranch_execz .LBB95_68
; %bb.67:
	v_mov_b32_e32 v9, 0
	v_lshl_add_u64 v[26:27], v[6:7], 0, v[8:9]
	global_load_ushort v13, v[26:27], off
	v_lshl_add_u64 v[26:27], v[4:5], 0, v[8:9]
	s_waitcnt vmcnt(0)
	v_lshlrev_b32_e32 v9, 16, v13
	v_sub_f32_e32 v0, v9, v0
	global_store_short_d16_hi v[26:27], v0, off
	v_mul_f32_e32 v0, v18, v0
	v_lshrrev_b32_e32 v9, 16, v0
.LBB95_68:
	s_or_b64 exec, exec, s[6:7]
	v_lshlrev_b32_e32 v10, 8, v10
	s_and_saveexec_b64 s[6:7], s[0:1]
	s_cbranch_execz .LBB95_70
; %bb.69:
	v_mov_b32_e32 v11, 0
	v_lshl_add_u64 v[26:27], v[6:7], 0, v[10:11]
	global_load_ushort v0, v[26:27], off
	v_lshl_add_u64 v[26:27], v[4:5], 0, v[10:11]
	s_waitcnt vmcnt(0)
	v_lshlrev_b32_e32 v0, 16, v0
	v_sub_f32_e32 v0, v0, v1
	global_store_short_d16_hi v[26:27], v0, off
	v_mul_f32_e32 v0, v16, v0
	v_lshrrev_b32_e32 v11, 16, v0
.LBB95_70:
	s_or_b64 exec, exec, s[6:7]
	v_mov_b32_e32 v15, 0
	v_lshlrev_b32_e32 v12, 8, v12
	v_mov_b32_e32 v13, 0
	s_and_saveexec_b64 s[6:7], s[2:3]
	s_cbranch_execz .LBB95_72
; %bb.71:
	v_mov_b32_e32 v13, 0
	v_lshl_add_u64 v[0:1], v[6:7], 0, v[12:13]
	global_load_ushort v25, v[0:1], off
	v_lshl_add_u64 v[0:1], v[4:5], 0, v[12:13]
	s_waitcnt vmcnt(0)
	v_lshlrev_b32_e32 v13, 16, v25
	v_sub_f32_e32 v2, v13, v2
	global_store_short_d16_hi v[0:1], v2, off
	v_mul_f32_e32 v0, v20, v2
	v_lshrrev_b32_e32 v13, 16, v0
.LBB95_72:
	s_or_b64 exec, exec, s[6:7]
	v_lshlrev_b32_e32 v14, 8, v14
	s_and_saveexec_b64 s[6:7], s[4:5]
	s_cbranch_execz .LBB95_74
; %bb.73:
	v_mov_b32_e32 v15, 0
	v_lshl_add_u64 v[0:1], v[6:7], 0, v[14:15]
	global_load_ushort v2, v[0:1], off
	v_lshl_add_u64 v[0:1], v[4:5], 0, v[14:15]
	s_waitcnt vmcnt(0)
	v_lshlrev_b32_e32 v2, 16, v2
	v_sub_f32_e32 v2, v2, v3
	global_store_short_d16_hi v[0:1], v2, off
	v_mul_f32_e32 v0, v17, v2
	v_lshrrev_b32_e32 v15, 16, v0
.LBB95_74:
	s_or_b64 exec, exec, s[6:7]
	v_lshlrev_b32_e32 v21, 6, v21
	s_mov_b32 s6, 0x5040100
	v_perm_b32 v26, v11, v9, s6
	v_or_b32_e32 v9, v21, v24
	v_accvgpr_read_b32 v0, a8
	v_perm_b32 v27, v15, v13, s6
	v_lshlrev_b32_e32 v9, 1, v9
	v_accvgpr_read_b32 v1, a9
	v_accvgpr_read_b32 v2, a10
	v_accvgpr_read_b32 v3, a11
	ds_write_b64 v9, v[26:27] offset:24576
	v_mov_b32_e32 v11, 0
	v_mov_b32_e32 v9, 0
	s_and_saveexec_b64 s[6:7], vcc
	s_cbranch_execz .LBB95_76
; %bb.75:
	v_mov_b32_e32 v9, 0
	v_lshl_add_u64 v[24:25], v[6:7], 0, v[8:9]
	global_load_ushort v13, v[24:25], off offset:32
	v_lshl_add_u64 v[24:25], v[4:5], 0, v[8:9]
	s_waitcnt vmcnt(0)
	v_lshlrev_b32_e32 v9, 16, v13
	v_sub_f32_e32 v0, v9, v0
	global_store_short_d16_hi v[24:25], v0, off offset:32
	v_mul_f32_e32 v0, v18, v0
	v_lshrrev_b32_e32 v9, 16, v0
.LBB95_76:
	s_or_b64 exec, exec, s[6:7]
	s_and_saveexec_b64 s[6:7], s[0:1]
	s_cbranch_execz .LBB95_78
; %bb.77:
	v_mov_b32_e32 v11, 0
	v_lshl_add_u64 v[24:25], v[6:7], 0, v[10:11]
	global_load_ushort v0, v[24:25], off offset:32
	v_lshl_add_u64 v[24:25], v[4:5], 0, v[10:11]
	s_waitcnt vmcnt(0)
	v_lshlrev_b32_e32 v0, 16, v0
	v_sub_f32_e32 v0, v0, v1
	global_store_short_d16_hi v[24:25], v0, off offset:32
	v_mul_f32_e32 v0, v16, v0
	v_lshrrev_b32_e32 v11, 16, v0
.LBB95_78:
	s_or_b64 exec, exec, s[6:7]
	v_mov_b32_e32 v15, 0
	v_mov_b32_e32 v13, 0
	s_and_saveexec_b64 s[6:7], s[2:3]
	s_cbranch_execz .LBB95_80
; %bb.79:
	v_mov_b32_e32 v13, 0
	v_lshl_add_u64 v[0:1], v[6:7], 0, v[12:13]
	global_load_ushort v24, v[0:1], off offset:32
	v_lshl_add_u64 v[0:1], v[4:5], 0, v[12:13]
	s_waitcnt vmcnt(0)
	v_lshlrev_b32_e32 v13, 16, v24
	v_sub_f32_e32 v2, v13, v2
	global_store_short_d16_hi v[0:1], v2, off offset:32
	v_mul_f32_e32 v0, v20, v2
	v_lshrrev_b32_e32 v13, 16, v0
.LBB95_80:
	s_or_b64 exec, exec, s[6:7]
	s_and_saveexec_b64 s[6:7], s[4:5]
	s_cbranch_execz .LBB95_82
; %bb.81:
	v_mov_b32_e32 v15, 0
	v_lshl_add_u64 v[0:1], v[6:7], 0, v[14:15]
	global_load_ushort v2, v[0:1], off offset:32
	v_lshl_add_u64 v[0:1], v[4:5], 0, v[14:15]
	s_waitcnt vmcnt(0)
	v_lshlrev_b32_e32 v2, 16, v2
	v_sub_f32_e32 v2, v2, v3
	global_store_short_d16_hi v[0:1], v2, off offset:32
	v_mul_f32_e32 v0, v17, v2
	v_lshrrev_b32_e32 v15, 16, v0
.LBB95_82:
	s_or_b64 exec, exec, s[6:7]
	s_mov_b32 s6, 0x5040100
	v_perm_b32 v24, v11, v9, s6
	v_or_b32_e32 v9, v21, v23
	v_accvgpr_read_b32 v0, a4
	v_perm_b32 v25, v15, v13, s6
	v_lshlrev_b32_e32 v9, 1, v9
	v_accvgpr_read_b32 v1, a5
	v_accvgpr_read_b32 v2, a6
	;; [unrolled: 1-line block ×3, first 2 shown]
	ds_write_b64 v9, v[24:25] offset:24576
	v_mov_b32_e32 v11, 0
	v_mov_b32_e32 v9, 0
	s_and_saveexec_b64 s[6:7], vcc
	s_cbranch_execz .LBB95_84
; %bb.83:
	v_mov_b32_e32 v9, 0
	v_lshl_add_u64 v[24:25], v[6:7], 0, v[8:9]
	global_load_ushort v13, v[24:25], off offset:64
	v_lshl_add_u64 v[24:25], v[4:5], 0, v[8:9]
	s_waitcnt vmcnt(0)
	v_lshlrev_b32_e32 v9, 16, v13
	v_sub_f32_e32 v0, v9, v0
	global_store_short_d16_hi v[24:25], v0, off offset:64
	v_mul_f32_e32 v0, v18, v0
	v_lshrrev_b32_e32 v9, 16, v0
.LBB95_84:
	s_or_b64 exec, exec, s[6:7]
	s_and_saveexec_b64 s[6:7], s[0:1]
	s_cbranch_execz .LBB95_86
; %bb.85:
	v_mov_b32_e32 v11, 0
	v_lshl_add_u64 v[24:25], v[6:7], 0, v[10:11]
	global_load_ushort v0, v[24:25], off offset:64
	v_lshl_add_u64 v[24:25], v[4:5], 0, v[10:11]
	s_waitcnt vmcnt(0)
	v_lshlrev_b32_e32 v0, 16, v0
	v_sub_f32_e32 v0, v0, v1
	global_store_short_d16_hi v[24:25], v0, off offset:64
	v_mul_f32_e32 v0, v16, v0
	v_lshrrev_b32_e32 v11, 16, v0
.LBB95_86:
	s_or_b64 exec, exec, s[6:7]
	v_mov_b32_e32 v15, 0
	v_mov_b32_e32 v13, 0
	s_and_saveexec_b64 s[6:7], s[2:3]
	s_cbranch_execz .LBB95_88
; %bb.87:
	v_mov_b32_e32 v13, 0
	v_lshl_add_u64 v[0:1], v[6:7], 0, v[12:13]
	global_load_ushort v23, v[0:1], off offset:64
	v_lshl_add_u64 v[0:1], v[4:5], 0, v[12:13]
	s_waitcnt vmcnt(0)
	v_lshlrev_b32_e32 v13, 16, v23
	v_sub_f32_e32 v2, v13, v2
	global_store_short_d16_hi v[0:1], v2, off offset:64
	v_mul_f32_e32 v0, v20, v2
	v_lshrrev_b32_e32 v13, 16, v0
.LBB95_88:
	s_or_b64 exec, exec, s[6:7]
	s_and_saveexec_b64 s[6:7], s[4:5]
	s_cbranch_execz .LBB95_90
; %bb.89:
	v_mov_b32_e32 v15, 0
	v_lshl_add_u64 v[0:1], v[6:7], 0, v[14:15]
	global_load_ushort v2, v[0:1], off offset:64
	v_lshl_add_u64 v[0:1], v[4:5], 0, v[14:15]
	s_waitcnt vmcnt(0)
	v_lshlrev_b32_e32 v2, 16, v2
	v_sub_f32_e32 v2, v2, v3
	global_store_short_d16_hi v[0:1], v2, off offset:64
	v_mul_f32_e32 v0, v17, v2
	v_lshrrev_b32_e32 v15, 16, v0
.LBB95_90:
	s_or_b64 exec, exec, s[6:7]
	s_mov_b32 s6, 0x5040100
	v_perm_b32 v24, v11, v9, s6
	v_or_b32_e32 v9, v21, v22
	v_accvgpr_read_b32 v0, a0
	v_perm_b32 v25, v15, v13, s6
	v_lshlrev_b32_e32 v9, 1, v9
	v_accvgpr_read_b32 v1, a1
	v_accvgpr_read_b32 v2, a2
	;; [unrolled: 1-line block ×3, first 2 shown]
	ds_write_b64 v9, v[24:25] offset:24576
	v_mov_b32_e32 v11, 0
	v_mov_b32_e32 v9, 0
	s_and_saveexec_b64 s[6:7], vcc
	s_cbranch_execz .LBB95_92
; %bb.91:
	v_mov_b32_e32 v9, 0
	v_lshl_add_u64 v[22:23], v[6:7], 0, v[8:9]
	global_load_ushort v13, v[22:23], off offset:96
	v_lshl_add_u64 v[8:9], v[4:5], 0, v[8:9]
	s_waitcnt vmcnt(0)
	v_lshlrev_b32_e32 v13, 16, v13
	v_sub_f32_e32 v0, v13, v0
	global_store_short_d16_hi v[8:9], v0, off offset:96
	v_mul_f32_e32 v0, v18, v0
	v_lshrrev_b32_e32 v9, 16, v0
.LBB95_92:
	s_or_b64 exec, exec, s[6:7]
	s_and_saveexec_b64 s[6:7], s[0:1]
	s_cbranch_execz .LBB95_94
; %bb.93:
	v_mov_b32_e32 v11, 0
	v_lshl_add_u64 v[22:23], v[6:7], 0, v[10:11]
	global_load_ushort v0, v[22:23], off offset:96
	v_lshl_add_u64 v[10:11], v[4:5], 0, v[10:11]
	s_waitcnt vmcnt(0)
	v_lshlrev_b32_e32 v0, 16, v0
	v_sub_f32_e32 v0, v0, v1
	global_store_short_d16_hi v[10:11], v0, off offset:96
	v_mul_f32_e32 v0, v16, v0
	v_lshrrev_b32_e32 v11, 16, v0
.LBB95_94:
	s_or_b64 exec, exec, s[6:7]
	v_mov_b32_e32 v0, 0
	v_mov_b32_e32 v1, 0
	s_and_saveexec_b64 s[0:1], s[2:3]
	s_cbranch_execz .LBB95_96
; %bb.95:
	v_mov_b32_e32 v13, 0
	v_lshl_add_u64 v[22:23], v[6:7], 0, v[12:13]
	global_load_ushort v1, v[22:23], off offset:96
	v_lshl_add_u64 v[12:13], v[4:5], 0, v[12:13]
	s_waitcnt vmcnt(0)
	v_lshlrev_b32_e32 v1, 16, v1
	v_sub_f32_e32 v1, v1, v2
	global_store_short_d16_hi v[12:13], v1, off offset:96
	v_mul_f32_e32 v1, v20, v1
	v_lshrrev_b32_e32 v1, 16, v1
.LBB95_96:
	s_or_b64 exec, exec, s[0:1]
	s_and_saveexec_b64 s[0:1], s[4:5]
	s_cbranch_execz .LBB95_98
; %bb.97:
	v_mov_b32_e32 v15, 0
	v_lshl_add_u64 v[6:7], v[6:7], 0, v[14:15]
	global_load_ushort v0, v[6:7], off offset:96
	v_lshl_add_u64 v[4:5], v[4:5], 0, v[14:15]
	s_waitcnt vmcnt(0)
	v_lshlrev_b32_e32 v0, 16, v0
	v_sub_f32_e32 v0, v0, v3
	global_store_short_d16_hi v[4:5], v0, off offset:96
	v_mul_f32_e32 v0, v17, v0
	v_lshrrev_b32_e32 v0, 16, v0
.LBB95_98:
	s_or_b64 exec, exec, s[0:1]
	s_mov_b32 s0, 0x5040100
	v_or_b32_e32 v2, v21, v19
	v_perm_b32 v1, v0, v1, s0
	v_perm_b32 v0, v11, v9, s0
	v_lshlrev_b32_e32 v2, 1, v2
	ds_write_b64 v2, v[0:1] offset:24576
	s_waitcnt lgkmcnt(0)
	s_barrier
.LBB95_99:
	s_endpgm
	.section	.rodata,"a",@progbits
	.p2align	6, 0x0
	.amdhsa_kernel _ZN12_GLOBAL__N_139chunk_gated_delta_rule_fwd_h_hip_kernelILi64ELb0ELb0ELb1ELb0ELb0ELb1ELb0ELb1EEEvPK12hip_bfloat16S3_S3_PKfS5_PKvPS1_S8_PvPKiSB_iiiiilll
		.amdhsa_group_segment_fixed_size 65536
		.amdhsa_private_segment_fixed_size 0
		.amdhsa_kernarg_size 136
		.amdhsa_user_sgpr_count 2
		.amdhsa_user_sgpr_dispatch_ptr 0
		.amdhsa_user_sgpr_queue_ptr 0
		.amdhsa_user_sgpr_kernarg_segment_ptr 1
		.amdhsa_user_sgpr_dispatch_id 0
		.amdhsa_user_sgpr_kernarg_preload_length 0
		.amdhsa_user_sgpr_kernarg_preload_offset 0
		.amdhsa_user_sgpr_private_segment_size 0
		.amdhsa_uses_dynamic_stack 0
		.amdhsa_enable_private_segment 0
		.amdhsa_system_sgpr_workgroup_id_x 1
		.amdhsa_system_sgpr_workgroup_id_y 1
		.amdhsa_system_sgpr_workgroup_id_z 0
		.amdhsa_system_sgpr_workgroup_info 0
		.amdhsa_system_vgpr_workitem_id 0
		.amdhsa_next_free_vgpr 232
		.amdhsa_next_free_sgpr 68
		.amdhsa_accum_offset 192
		.amdhsa_reserve_vcc 1
		.amdhsa_float_round_mode_32 0
		.amdhsa_float_round_mode_16_64 0
		.amdhsa_float_denorm_mode_32 3
		.amdhsa_float_denorm_mode_16_64 3
		.amdhsa_dx10_clamp 1
		.amdhsa_ieee_mode 1
		.amdhsa_fp16_overflow 0
		.amdhsa_tg_split 0
		.amdhsa_exception_fp_ieee_invalid_op 0
		.amdhsa_exception_fp_denorm_src 0
		.amdhsa_exception_fp_ieee_div_zero 0
		.amdhsa_exception_fp_ieee_overflow 0
		.amdhsa_exception_fp_ieee_underflow 0
		.amdhsa_exception_fp_ieee_inexact 0
		.amdhsa_exception_int_div_zero 0
	.end_amdhsa_kernel
	.section	.text._ZN12_GLOBAL__N_139chunk_gated_delta_rule_fwd_h_hip_kernelILi64ELb0ELb0ELb1ELb0ELb0ELb1ELb0ELb1EEEvPK12hip_bfloat16S3_S3_PKfS5_PKvPS1_S8_PvPKiSB_iiiiilll,"axG",@progbits,_ZN12_GLOBAL__N_139chunk_gated_delta_rule_fwd_h_hip_kernelILi64ELb0ELb0ELb1ELb0ELb0ELb1ELb0ELb1EEEvPK12hip_bfloat16S3_S3_PKfS5_PKvPS1_S8_PvPKiSB_iiiiilll,comdat
.Lfunc_end95:
	.size	_ZN12_GLOBAL__N_139chunk_gated_delta_rule_fwd_h_hip_kernelILi64ELb0ELb0ELb1ELb0ELb0ELb1ELb0ELb1EEEvPK12hip_bfloat16S3_S3_PKfS5_PKvPS1_S8_PvPKiSB_iiiiilll, .Lfunc_end95-_ZN12_GLOBAL__N_139chunk_gated_delta_rule_fwd_h_hip_kernelILi64ELb0ELb0ELb1ELb0ELb0ELb1ELb0ELb1EEEvPK12hip_bfloat16S3_S3_PKfS5_PKvPS1_S8_PvPKiSB_iiiiilll
                                        ; -- End function
	.section	.AMDGPU.csdata,"",@progbits
; Kernel info:
; codeLenInByte = 11608
; NumSgprs: 74
; NumVgprs: 192
; NumAgprs: 40
; TotalNumVgprs: 232
; ScratchSize: 0
; MemoryBound: 0
; FloatMode: 240
; IeeeMode: 1
; LDSByteSize: 65536 bytes/workgroup (compile time only)
; SGPRBlocks: 9
; VGPRBlocks: 28
; NumSGPRsForWavesPerEU: 74
; NumVGPRsForWavesPerEU: 232
; AccumOffset: 192
; Occupancy: 1
; WaveLimiterHint : 1
; COMPUTE_PGM_RSRC2:SCRATCH_EN: 0
; COMPUTE_PGM_RSRC2:USER_SGPR: 2
; COMPUTE_PGM_RSRC2:TRAP_HANDLER: 0
; COMPUTE_PGM_RSRC2:TGID_X_EN: 1
; COMPUTE_PGM_RSRC2:TGID_Y_EN: 1
; COMPUTE_PGM_RSRC2:TGID_Z_EN: 0
; COMPUTE_PGM_RSRC2:TIDIG_COMP_CNT: 0
; COMPUTE_PGM_RSRC3_GFX90A:ACCUM_OFFSET: 47
; COMPUTE_PGM_RSRC3_GFX90A:TG_SPLIT: 0
	.section	.text._ZN12_GLOBAL__N_139chunk_gated_delta_rule_fwd_h_hip_kernelILi64ELb0ELb0ELb0ELb0ELb0ELb1ELb0ELb1EEEvPK12hip_bfloat16S3_S3_PKfS5_PKvPS1_S8_PvPKiSB_iiiiilll,"axG",@progbits,_ZN12_GLOBAL__N_139chunk_gated_delta_rule_fwd_h_hip_kernelILi64ELb0ELb0ELb0ELb0ELb0ELb1ELb0ELb1EEEvPK12hip_bfloat16S3_S3_PKfS5_PKvPS1_S8_PvPKiSB_iiiiilll,comdat
	.globl	_ZN12_GLOBAL__N_139chunk_gated_delta_rule_fwd_h_hip_kernelILi64ELb0ELb0ELb0ELb0ELb0ELb1ELb0ELb1EEEvPK12hip_bfloat16S3_S3_PKfS5_PKvPS1_S8_PvPKiSB_iiiiilll ; -- Begin function _ZN12_GLOBAL__N_139chunk_gated_delta_rule_fwd_h_hip_kernelILi64ELb0ELb0ELb0ELb0ELb0ELb1ELb0ELb1EEEvPK12hip_bfloat16S3_S3_PKfS5_PKvPS1_S8_PvPKiSB_iiiiilll
	.p2align	8
	.type	_ZN12_GLOBAL__N_139chunk_gated_delta_rule_fwd_h_hip_kernelILi64ELb0ELb0ELb0ELb0ELb0ELb1ELb0ELb1EEEvPK12hip_bfloat16S3_S3_PKfS5_PKvPS1_S8_PvPKiSB_iiiiilll,@function
_ZN12_GLOBAL__N_139chunk_gated_delta_rule_fwd_h_hip_kernelILi64ELb0ELb0ELb0ELb0ELb0ELb1ELb0ELb1EEEvPK12hip_bfloat16S3_S3_PKfS5_PKvPS1_S8_PvPKiSB_iiiiilll: ; @_ZN12_GLOBAL__N_139chunk_gated_delta_rule_fwd_h_hip_kernelILi64ELb0ELb0ELb0ELb0ELb0ELb1ELb0ELb1EEEvPK12hip_bfloat16S3_S3_PKfS5_PKvPS1_S8_PvPKiSB_iiiiilll
; %bb.0:
	s_load_dwordx4 s[12:15], s[0:1], 0x5c
	s_load_dwordx2 s[36:37], s[0:1], 0x30
	s_abs_i32 s18, s3
	s_ashr_i32 s17, s3, 31
	s_load_dwordx8 s[4:11], s[0:1], 0x0
	s_waitcnt lgkmcnt(0)
	s_abs_i32 s16, s13
	v_cvt_f32_u32_e32 v1, s16
	s_sub_i32 s20, 0, s16
	s_ashr_i32 s19, s13, 31
	s_xor_b32 s17, s17, s19
	v_rcp_iflag_f32_e32 v1, v1
	v_lshrrev_b32_e32 v85, 6, v0
	v_bfe_u32 v86, v0, 4, 2
	v_lshlrev_b32_e32 v2, 2, v86
	v_mul_f32_e32 v1, 0x4f7ffffe, v1
	v_cvt_u32_f32_e32 v1, v1
	v_and_b32_e32 v84, 63, v0
	v_mov_b32_e32 v47, 0
	v_and_b32_e32 v45, 15, v0
	v_readfirstlane_b32 s21, v1
	s_mul_i32 s20, s20, s21
	s_mul_hi_u32 s20, s21, s20
	s_add_i32 s21, s21, s20
	s_mul_hi_u32 s20, s18, s21
	s_mul_i32 s21, s20, s16
	s_sub_i32 s18, s18, s21
	s_add_i32 s22, s20, 1
	s_sub_i32 s21, s18, s16
	s_cmp_ge_u32 s18, s16
	s_cselect_b32 s20, s22, s20
	s_cselect_b32 s18, s21, s18
	s_add_i32 s21, s20, 1
	s_cmp_ge_u32 s18, s16
	s_cselect_b32 s18, s21, s20
	s_abs_i32 s20, s14
	v_cvt_f32_u32_e32 v1, s20
	s_xor_b32 s18, s18, s17
	s_ashr_i32 s46, s12, 31
	s_sub_i32 s48, s18, s17
	v_rcp_iflag_f32_e32 v1, v1
	s_lshr_b32 s17, s46, 26
	s_add_i32 s17, s12, s17
	s_ashr_i32 s49, s14, 31
	v_mul_f32_e32 v1, 0x4f7ffffe, v1
	v_cvt_u32_f32_e32 v1, v1
	s_ashr_i32 s47, s17, 6
	s_xor_b32 s17, s19, s49
	s_sub_i32 s18, 0, s20
	v_readfirstlane_b32 s19, v1
	s_mul_i32 s18, s18, s19
	s_mul_hi_u32 s18, s19, s18
	s_add_i32 s19, s19, s18
	s_mul_hi_u32 s18, s16, s19
	s_mul_i32 s19, s18, s20
	s_mul_i32 s45, s48, s13
	s_sub_i32 s16, s16, s19
	s_sub_i32 s33, s3, s45
	s_add_i32 s3, s12, 63
	s_add_i32 s19, s18, 1
	s_sub_i32 s21, s16, s20
	s_cmp_ge_u32 s16, s20
	s_cselect_b32 s18, s19, s18
	s_cselect_b32 s16, s21, s16
	s_add_i32 s19, s18, 1
	s_cmp_ge_u32 s16, s20
	s_cselect_b32 s16, s19, s18
	s_xor_b32 s16, s16, s17
	s_sub_i32 s20, s16, s17
	s_abs_i32 s21, s20
	v_cvt_f32_u32_e32 v1, s21
	s_sub_i32 s23, 0, s21
	s_abs_i32 s22, s33
	s_xor_b32 s20, s33, s20
	v_rcp_iflag_f32_e32 v1, v1
	s_ashr_i32 s20, s20, 31
	s_load_dwordx2 s[28:29], s[0:1], 0x80
	s_load_dwordx4 s[16:19], s[0:1], 0x70
	s_mul_hi_i32 s51, s48, s13
	v_mul_f32_e32 v1, 0x4f7ffffe, v1
	v_cvt_u32_f32_e32 v1, v1
	v_lshrrev_b32_e32 v88, 3, v84
	v_lshlrev_b32_e32 v87, 3, v0
	s_waitcnt lgkmcnt(0)
	s_mul_i32 s17, s48, s17
	v_readfirstlane_b32 s24, v1
	s_mul_i32 s23, s23, s24
	s_mul_hi_u32 s23, s24, s23
	s_add_i32 s24, s24, s23
	s_mul_hi_u32 s23, s22, s24
	s_mul_i32 s24, s23, s21
	s_sub_i32 s22, s22, s24
	s_add_i32 s24, s23, 1
	s_sub_i32 s25, s22, s21
	s_cmp_ge_u32 s22, s21
	s_cselect_b32 s23, s24, s23
	s_cselect_b32 s22, s25, s22
	s_add_i32 s24, s23, 1
	s_cmp_ge_u32 s22, s21
	s_cselect_b32 s21, s24, s23
	s_xor_b32 s21, s21, s20
	s_sub_i32 s52, s21, s20
	s_ashr_i32 s20, s3, 31
	s_lshr_b32 s20, s20, 26
	v_lshlrev_b32_e32 v1, 4, v85
	s_add_i32 s3, s3, s20
	v_or_b32_e32 v89, v2, v1
	s_ashr_i32 s3, s3, 6
	s_lshl_b32 s30, s2, 6
	s_mul_i32 s50, s48, s3
	v_or_b32_e32 v90, 64, v89
	s_cmp_lt_i32 s12, 64
	s_mul_hi_u32 s44, s48, s16
	s_mul_i32 s34, s48, s16
	v_mov_b32_e32 v46, v47
	v_mov_b32_e32 v53, v47
	;; [unrolled: 1-line block ×31, first 2 shown]
	s_cbranch_scc1 .LBB96_18
; %bb.1:
	s_ashr_i32 s24, s48, 31
	s_ashr_i32 s54, s33, 31
	s_add_u32 s2, s45, s33
	s_addc_u32 s3, s51, s54
	s_mul_i32 s3, s12, s3
	s_mul_hi_u32 s20, s12, s2
	s_add_i32 s39, s20, s3
	s_mul_i32 s38, s12, s2
	s_lshl_b64 s[2:3], s[38:39], 8
	v_and_b32_e32 v92, 56, v87
	s_add_u32 s20, s6, s2
	v_lshl_or_b32 v91, v85, 3, v88
	v_lshlrev_b32_e32 v3, 1, v92
	s_addc_u32 s2, s7, s3
	v_lshl_or_b32 v93, v91, 8, v3
	s_and_b32 s21, s2, 0xffff
	s_mov_b32 s23, 0x20000
	s_movk_i32 s22, 0x4000
	s_movk_i32 s2, 0x80
	v_or_b32_e32 v94, 0x2000, v93
	buffer_load_dwordx4 v[4:7], v93, s[20:23], 0 offen
	buffer_load_dwordx4 v[8:11], v93, s[20:23], s2 offen
	;; [unrolled: 1-line block ×4, first 2 shown]
	v_lshlrev_b32_e32 v20, 3, v91
	v_and_or_b32 v22, v0, 7, v20
	v_and_b32_e32 v20, 0x78, v20
	v_lshlrev_b32_e32 v22, 4, v22
	v_xor_b32_e32 v95, v22, v20
	v_mul_lo_u32 v21, v91, s15
	v_or_b32_e32 v96, 0x1000, v95
	s_cmpk_eq_i32 s15, 0x80
	s_mov_b32 s53, s14
	v_xor_b32_e32 v20, 8, v95
	v_xor_b32_e32 v22, 8, v96
	s_cselect_b64 s[2:3], -1, 0
	s_cmpk_lg_i32 s15, 0x80
	s_waitcnt vmcnt(3)
	ds_write_b64 v95, v[4:5] offset:49152
	ds_write_b64 v20, v[6:7] offset:49152
	s_waitcnt vmcnt(2)
	ds_write_b64 v95, v[8:9] offset:57344
	ds_write_b64 v20, v[10:11] offset:57344
	;; [unrolled: 3-line block ×4, first 2 shown]
	v_lshl_add_u32 v4, v21, 1, v92
	s_cbranch_scc0 .LBB96_3
; %bb.2:
	v_lshlrev_b32_e32 v6, 1, v4
	v_add_lshl_u32 v5, v4, s15, 1
	s_lshl_b32 s22, s15, 7
	s_load_dwordx2 s[40:41], s[0:1], 0x20
	v_lshl_or_b32 v3, v91, 9, v3
	s_cbranch_execz .LBB96_4
	s_branch .LBB96_5
.LBB96_3:
                                        ; implicit-def: $vgpr5
                                        ; implicit-def: $vgpr6
                                        ; implicit-def: $sgpr22
	s_load_dwordx2 s[40:41], s[0:1], 0x20
	v_lshl_or_b32 v3, v91, 9, v3
.LBB96_4:
	v_or_b32_e32 v5, 0x100, v3
	s_movk_i32 s22, 0x4000
	v_mov_b32_e32 v6, v3
.LBB96_5:
	s_mul_hi_u32 s0, s14, s12
	s_mul_i32 s1, s49, s12
	s_add_i32 s0, s0, s1
	s_mul_i32 s1, s14, s12
	s_mul_i32 s20, s1, s24
	s_mul_hi_u32 s21, s1, s48
	s_add_i32 s20, s21, s20
	s_mul_i32 s0, s0, s48
	s_add_i32 s20, s20, s0
	s_mul_i32 s1, s1, s48
	s_ashr_i32 s55, s52, 31
	s_add_u32 s0, s1, s52
	s_addc_u32 s1, s20, s55
	s_lshl_b64 s[0:1], s[0:1], 8
	s_add_u32 s20, s4, s0
	s_addc_u32 s0, s5, s1
	s_and_b32 s21, s0, 0xffff
	s_movk_i32 s56, 0x80
	buffer_load_dwordx4 v[8:11], v6, s[20:23], 0 offen
	buffer_load_dwordx4 v[12:15], v6, s[20:23], s56 offen
	;; [unrolled: 1-line block ×4, first 2 shown]
	v_and_b32_e32 v5, 6, v0
	v_lshlrev_b32_e32 v6, 7, v89
	v_xor_b32_e32 v27, v91, v5
	v_and_b32_e32 v7, 1, v0
	v_lshl_or_b32 v30, v45, 3, v6
	v_lshlrev_b32_e32 v27, 2, v27
	v_or_b32_e32 v97, 0x4000, v30
	v_or_b32_e32 v98, 0x6000, v30
	v_xor_b32_e32 v30, 0x440, v27
	v_cmp_eq_u32_e32 vcc, 0, v7
	v_lshlrev_b32_e32 v24, 2, v45
	s_mov_b32 s59, 0x1000504
	v_cndmask_b32_e32 v7, v30, v27, vcc
	v_xor_b32_e32 v28, v89, v24
	v_xor_b32_e32 v29, v90, v24
	v_lshl_or_b32 v5, v5, 10, v7
	s_mov_b32 s60, 0x3020706
	s_mul_i32 s0, s24, s12
	s_mul_hi_u32 s1, s48, s12
	v_lshlrev_b32_e32 v25, 8, v45
	v_or_b32_e32 v26, 16, v45
	v_lshlrev_b32_e32 v28, 1, v28
	v_lshlrev_b32_e32 v29, 1, v29
	v_xor_b32_e32 v7, 8, v5
	v_xor_b32_e32 v27, 24, v5
	;; [unrolled: 1-line block ×4, first 2 shown]
	v_or_b32_e32 v100, v25, v28
	v_or_b32_e32 v101, v25, v29
	v_xor_b32_e32 v25, 16, v5
	v_xor_b32_e32 v30, 32, v5
	;; [unrolled: 1-line block ×3, first 2 shown]
	v_add_u32_e32 v7, 0x80, v7
	v_add_u32_e32 v27, 0x80, v27
	;; [unrolled: 1-line block ×4, first 2 shown]
	s_add_i32 s61, s1, s0
	s_add_i32 s0, s44, s17
	s_mul_i32 s24, s24, s16
	s_add_i32 s35, s0, s24
	s_mul_i32 s0, s33, s19
	s_mul_hi_u32 s1, s33, s18
	s_add_i32 s0, s1, s0
	s_mul_i32 s1, s54, s18
	s_add_i32 s1, s0, s1
	s_lshl_b64 s[20:21], s[34:35], 2
	s_mul_i32 s0, s33, s18
	s_add_u32 s20, s10, s20
	s_addc_u32 s21, s11, s21
	s_lshl_b64 s[0:1], s[0:1], 2
	s_add_u32 s42, s20, s0
	s_movk_i32 s0, 0xf8
	s_addc_u32 s43, s21, s1
	s_ashr_i32 s31, s30, 31
	s_lshl_b32 s26, s15, 7
	v_mov_b32_e32 v79, 0
	s_movk_i32 s20, 0x100
	v_lshlrev_b32_e32 v78, 4, v45
	s_mul_i32 s57, s48, s12
	v_lshl_or_b32 v31, v26, 3, v6
	s_mov_b32 s58, 0
	v_or_b32_e32 v99, 0x4000, v31
	s_movk_i32 s22, 0x4000
	v_or_b32_e32 v102, 0x6000, v31
	v_add_u32_e32 v134, v1, v2
	s_mov_b32 s35, 0x7060302
	s_movk_i32 s62, 0x2000
	s_movk_i32 s63, 0x3000
	v_mov_b32_e32 v144, 0x3fb8aa3b
	s_mov_b32 s65, 0
	v_mov_b32_e32 v70, v79
	v_mov_b32_e32 v71, v79
	;; [unrolled: 1-line block ×8, first 2 shown]
	s_waitcnt vmcnt(1)
	v_perm_b32 v35, v8, v16, s59
	s_waitcnt vmcnt(0)
	v_perm_b32 v36, v12, v20, s59
	v_perm_b32 v8, v8, v16, s60
	;; [unrolled: 1-line block ×15, first 2 shown]
	ds_write2st64_b32 v5, v35, v36 offset0:128 offset1:160
	ds_write2st64_b32 v7, v8, v12 offset0:128 offset1:160
	;; [unrolled: 1-line block ×8, first 2 shown]
	v_lshlrev_b32_e32 v5, 8, v26
	v_or_b32_e32 v103, v5, v28
	v_or_b32_e32 v104, v5, v29
	;; [unrolled: 1-line block ×3, first 2 shown]
	v_lshl_or_b32 v7, v5, 3, v6
	v_lshlrev_b32_e32 v5, 8, v5
	v_or_b32_e32 v107, v5, v28
	v_or_b32_e32 v108, v5, v29
	;; [unrolled: 1-line block ×5, first 2 shown]
	v_lshl_or_b32 v7, v5, 3, v6
	v_lshlrev_b32_e32 v5, 8, v5
	v_or_b32_e32 v111, v5, v28
	v_or_b32_e32 v112, v5, v29
	;; [unrolled: 1-line block ×3, first 2 shown]
	v_lshlrev_b32_e32 v5, 3, v5
	v_lshrrev_b32_e32 v9, 5, v84
	v_and_or_b32 v9, v5, s0, v9
	v_lshlrev_b32_e32 v9, 4, v9
	v_lshlrev_b32_e32 v11, 11, v85
	v_and_b32_e32 v5, 0x78, v5
	v_or_b32_e32 v14, 32, v9
	v_and_b32_e32 v8, 0x1000, v11
	v_xor_b32_e32 v10, v9, v5
	v_lshrrev_b32_e32 v12, 1, v84
	v_xor_b32_e32 v14, v14, v5
	v_or_b32_e32 v10, v10, v8
	v_and_b32_e32 v12, 8, v12
	v_or_b32_e32 v14, v14, v8
	v_xor_b32_e32 v113, v10, v12
	v_lshlrev_b32_e32 v10, 8, v86
	v_xor_b32_e32 v115, v14, v12
	v_or_b32_e32 v14, 64, v9
	v_or_b32_e32 v9, 0x60, v9
	;; [unrolled: 1-line block ×3, first 2 shown]
	v_xor_b32_e32 v14, v14, v5
	v_xor_b32_e32 v5, v9, v5
	v_lshlrev_b32_e32 v13, 1, v13
	v_or_b32_e32 v14, v14, v8
	v_or_b32_e32 v5, v5, v8
	s_lshl_b64 s[0:1], s[30:31], 8
	v_or_b32_e32 v114, 0x4000, v13
	v_or_b32_e32 v116, 0x4080, v13
	;; [unrolled: 1-line block ×4, first 2 shown]
	v_xor_b32_e32 v119, v14, v12
	v_xor_b32_e32 v120, v5, v12
	v_or_b32_e32 v121, 0x6000, v13
	v_or_b32_e32 v122, 0x6080, v13
	;; [unrolled: 1-line block ×4, first 2 shown]
	v_lshlrev_b32_e32 v12, 1, v4
	v_add_lshl_u32 v13, v4, s15, 1
	s_add_u32 s0, s36, s0
	v_lshlrev_b32_e32 v4, 1, v45
	v_lshrrev_b32_e32 v15, 4, v0
	s_addc_u32 s1, s37, s1
	v_or_b32_e32 v5, 1, v4
	v_lshlrev_b32_e32 v18, 2, v0
	v_or_b32_e32 v14, 0x100, v3
	v_xor_b32_e32 v16, v15, v4
	v_xor_b32_e32 v17, v5, v15
	v_lshl_add_u64 v[4:5], s[0:1], 0, v[78:79]
	v_lshlrev_b32_e32 v78, 8, v15
	v_lshrrev_b32_e32 v19, 1, v0
	v_and_or_b32 v10, v18, 60, v10
	v_cndmask_b32_e64 v131, v12, v3, s[2:3]
	v_mov_b32_e32 v3, 0xa000
	v_mov_b32_e32 v12, 0x8000
	v_cmp_gt_u32_e64 s[0:1], s20, v0
	v_lshl_or_b32 v125, v16, 3, v78
	v_and_b32_e32 v16, 8, v0
	v_and_b32_e32 v19, 24, v19
	v_lshlrev_b32_e32 v10, 1, v10
	v_cndmask_b32_e64 v3, v3, v12, s[0:1]
	v_lshlrev_b32_e32 v12, 3, v85
	v_or_b32_e32 v127, 0x6000, v10
	v_or_b32_e32 v128, 0x6080, v10
	;; [unrolled: 1-line block ×4, first 2 shown]
	v_mov_b32_e32 v10, 0x400
	v_cmp_eq_u32_e32 vcc, 0, v16
	v_cndmask_b32_e64 v132, v13, v14, s[2:3]
	v_xor_b32_e32 v13, v12, v19
	v_and_b32_e32 v15, 7, v0
	v_cndmask_b32_e64 v16, v10, 64, vcc
	v_or_b32_e32 v14, 0x440, v13
	v_lshl_or_b32 v126, v17, 3, v78
	v_lshlrev_b32_e32 v17, 3, v15
	v_or_b32_e32 v18, 32, v19
	v_or_b32_e32 v20, 0x60, v19
	v_cndmask_b32_e32 v14, v14, v13, vcc
	v_or3_b32 v13, v11, v16, v13
	v_lshlrev_b32_e32 v15, 7, v15
	v_xor_b32_e32 v18, v12, v18
	v_xor_b32_e32 v13, v13, v17
	;; [unrolled: 1-line block ×3, first 2 shown]
	v_or_b32_e32 v21, 0x440, v18
	v_or_b32_e32 v133, v13, v15
	v_xor_b32_e32 v13, 0x440, v12
	v_cndmask_b32_e32 v18, v21, v18, vcc
	v_cndmask_b32_e32 v12, v13, v12, vcc
	v_or_b32_e32 v109, 0x4000, v7
	v_or_b32_e32 v110, 0x6000, v7
	v_lshrrev_b32_e32 v7, 2, v84
	v_or_b32_e32 v14, v14, v11
	v_or_b32_e32 v18, v18, v11
	;; [unrolled: 1-line block ×3, first 2 shown]
	v_and_b32_e32 v7, 12, v7
	v_or_b32_e32 v8, s30, v45
	v_xor_b32_e32 v14, v14, v17
	v_xor_b32_e32 v18, v18, v17
	;; [unrolled: 1-line block ×3, first 2 shown]
	v_ashrrev_i32_e32 v9, 31, v8
	v_or_b32_e32 v10, v1, v7
	v_add_u32_e32 v19, v3, v14
	v_add_u32_e32 v21, v3, v18
	;; [unrolled: 1-line block ×3, first 2 shown]
	v_or3_b32 v12, v1, v7, 64
	v_add_u32_e32 v7, 0xa000, v14
	v_add_u32_e32 v14, 0xa000, v18
	;; [unrolled: 1-line block ×3, first 2 shown]
	v_lshl_add_u64 v[80:81], v[8:9], 1, s[8:9]
	v_lshl_add_u64 v[82:83], v[4:5], 0, v[78:79]
	s_add_i32 s31, s57, 63
	v_lshlrev_b32_e32 v78, 1, v6
	v_lshlrev_b32_e32 v135, 2, v10
	v_add_u32_e32 v136, v19, v15
	v_add_u32_e32 v137, v21, v15
	;; [unrolled: 1-line block ×4, first 2 shown]
	v_lshlrev_b32_e32 v140, 2, v12
	v_add_u32_e32 v141, v7, v15
	v_add_u32_e32 v142, v14, v15
	;; [unrolled: 1-line block ×3, first 2 shown]
	v_mov_b32_e32 v62, v79
	v_mov_b32_e32 v63, v79
	v_mov_b32_e32 v64, v79
	v_mov_b32_e32 v65, v79
	v_mov_b32_e32 v66, v79
	v_mov_b32_e32 v67, v79
	v_mov_b32_e32 v68, v79
	v_mov_b32_e32 v69, v79
	v_mov_b32_e32 v54, v79
	v_mov_b32_e32 v55, v79
	v_mov_b32_e32 v56, v79
	v_mov_b32_e32 v57, v79
	v_mov_b32_e32 v58, v79
	v_mov_b32_e32 v59, v79
	v_mov_b32_e32 v60, v79
	v_mov_b32_e32 v61, v79
	v_mov_b32_e32 v48, v79
	v_mov_b32_e32 v49, v79
	v_mov_b32_e32 v50, v79
	v_mov_b32_e32 v51, v79
	v_mov_b32_e32 v52, v79
	v_mov_b32_e32 v53, v79
	v_mov_b32_e32 v46, v79
	v_mov_b32_e32 v47, v79
	s_waitcnt lgkmcnt(0)
	s_barrier
.LBB96_6:                               ; =>This Inner Loop Header: Depth=1
	s_add_i32 s64, s65, 1
	s_cmp_lt_i32 s64, s47
	s_mov_b64 s[24:25], 0
	s_cselect_b64 s[2:3], -1, 0
	s_cmp_ge_i32 s64, s47
	s_mov_b64 s[20:21], 0
	s_cbranch_scc1 .LBB96_8
; %bb.7:                                ;   in Loop: Header=BB96_6 Depth=1
	s_add_i32 s0, s58, 64
	s_add_u32 s0, s38, s0
	s_addc_u32 s1, s39, 0
	s_lshl_b64 s[0:1], s[0:1], 8
	s_add_u32 s20, s6, s0
	s_addc_u32 s21, s7, s1
.LBB96_8:                               ;   in Loop: Header=BB96_6 Depth=1
	v_cndmask_b32_e64 v2, 0, 1, s[2:3]
	v_cmp_ne_u32_e64 s[0:1], 1, v2
	s_andn2_b64 vcc, exec, s[2:3]
	s_cbranch_vccnz .LBB96_10
; %bb.9:                                ;   in Loop: Header=BB96_6 Depth=1
	s_add_i32 s2, s58, 64
	s_add_u32 s2, s57, s2
	s_addc_u32 s3, s61, 0
	s_mul_i32 s24, s2, s49
	s_mul_hi_u32 s25, s2, s53
	s_add_i32 s24, s25, s24
	s_mul_i32 s3, s3, s53
	s_add_i32 s24, s24, s3
	s_mul_i32 s2, s2, s53
	s_add_u32 s2, s2, s52
	s_addc_u32 s3, s24, s55
	s_lshl_b64 s[2:3], s[2:3], 8
	s_add_u32 s24, s4, s2
	s_addc_u32 s25, s5, s3
.LBB96_10:                              ;   in Loop: Header=BB96_6 Depth=1
	v_perm_b32 v3, v77, v76, s35
	v_perm_b32 v2, v75, v74, s35
	v_perm_b32 v5, v73, v72, s35
	v_perm_b32 v4, v71, v70, s35
	ds_write_b64 v97, v[2:3]
	ds_write_b64 v98, v[4:5]
	ds_write_b64 v100, v[2:3]
	ds_write_b64 v101, v[4:5]
	v_perm_b32 v3, v69, v68, s35
	v_perm_b32 v2, v67, v66, s35
	v_perm_b32 v5, v65, v64, s35
	v_perm_b32 v4, v63, v62, s35
	ds_write_b64 v99, v[2:3]
	ds_write_b64 v102, v[4:5]
	ds_write_b64 v103, v[2:3]
	ds_write_b64 v104, v[4:5]
	;; [unrolled: 8-line block ×4, first 2 shown]
	s_waitcnt lgkmcnt(0)
	s_barrier
	ds_read_b64 v[6:7], v113 offset:49152
	ds_read2_b64 v[2:5], v114 offset1:16
	ds_read_b64 v[18:19], v116 offset:6144
	ds_read_b64 v[20:21], v114 offset:6144
	s_waitcnt lgkmcnt(2)
	v_mfma_f32_16x16x16_bf16 a[0:3], v[6:7], v[2:3], 0
	ds_read_b64 v[22:23], v115 offset:49152
	ds_read2st64_b64 v[10:13], v117 offset0:4 offset1:8
	ds_read2st64_b64 v[14:17], v118 offset0:4 offset1:8
	v_mfma_f32_16x16x16_bf16 a[4:7], v[6:7], v[4:5], 0
	ds_read2_b64 v[2:5], v114 offset0:32 offset1:48
	s_add_i32 s2, s58, 63
	s_mul_i32 s3, s2, s29
	s_waitcnt lgkmcnt(0)
	v_mfma_f32_16x16x16_bf16 a[8:11], v[6:7], v[2:3], 0
	s_mul_hi_u32 s27, s2, s28
	s_add_i32 s3, s27, s3
	s_mul_i32 s2, s2, s28
	v_mfma_f32_16x16x16_bf16 a[12:15], v[6:7], v[4:5], 0
	ds_read2st64_b64 v[2:5], v114 offset0:4 offset1:8
	ds_read2st64_b64 v[6:9], v116 offset0:4 offset1:8
	s_lshl_b64 s[2:3], s[2:3], 2
	s_waitcnt lgkmcnt(1)
	v_mfma_f32_16x16x16_bf16 a[0:3], v[22:23], v[2:3], a[0:3]
	s_add_u32 s2, s42, s2
	s_addc_u32 s3, s43, s3
	s_and_b64 vcc, exec, s[0:1]
	s_waitcnt lgkmcnt(0)
	v_mfma_f32_16x16x16_bf16 a[4:7], v[22:23], v[6:7], a[4:7]
	v_mov_b32_e32 v147, 0
	v_mov_b32_e32 v146, 0
	;; [unrolled: 1-line block ×3, first 2 shown]
	v_mfma_f32_16x16x16_bf16 a[8:11], v[22:23], v[10:11], a[8:11]
	ds_read_b64 v[2:3], v119 offset:49152
	ds_read_b64 v[6:7], v120 offset:49152
	;; [unrolled: 1-line block ×3, first 2 shown]
	v_mfma_f32_16x16x16_bf16 a[12:15], v[22:23], v[14:15], a[12:15]
	v_mov_b32_e32 v14, 0
	v_mov_b32_e32 v15, 0
	s_waitcnt lgkmcnt(2)
	v_mfma_f32_16x16x16_bf16 a[0:3], v[2:3], v[4:5], a[0:3]
	v_mov_b32_e32 v4, 0
	v_mov_b32_e32 v5, 0
	v_mfma_f32_16x16x16_bf16 a[16:19], v[2:3], v[8:9], a[4:7]
	v_mov_b32_e32 v8, 0
	v_mov_b32_e32 v9, 0
	;; [unrolled: 3-line block ×3, first 2 shown]
	v_mfma_f32_16x16x16_bf16 a[24:27], v[2:3], v[16:17], a[12:15]
	ds_read_b64 v[2:3], v117 offset:6144
	v_mov_b32_e32 v16, 0
	v_mov_b32_e32 v17, 0
	s_waitcnt lgkmcnt(2)
	v_mfma_f32_16x16x16_bf16 a[4:7], v[6:7], v[20:21], a[0:3]
	v_mfma_f32_16x16x16_bf16 a[8:11], v[6:7], v[18:19], a[16:19]
	s_waitcnt lgkmcnt(0)
	v_mfma_f32_16x16x16_bf16 a[12:15], v[6:7], v[2:3], a[20:23]
	v_mov_b32_e32 v2, 0
	v_mov_b32_e32 v3, 0
	v_mfma_f32_16x16x16_bf16 a[0:3], v[6:7], v[10:11], a[24:27]
	v_mov_b32_e32 v6, 0
	v_mov_b32_e32 v7, 0
	;; [unrolled: 1-line block ×4, first 2 shown]
	s_cbranch_vccnz .LBB96_12
; %bb.11:                               ;   in Loop: Header=BB96_6 Depth=1
	s_and_b32 s21, s21, 0xffff
	buffer_load_dwordx4 v[14:17], v93, s[20:23], 0 offen
	buffer_load_dwordx4 v[10:13], v93, s[20:23], s56 offen
	;; [unrolled: 1-line block ×4, first 2 shown]
	v_mov_b32_e32 v146, v95
	v_mov_b32_e32 v145, v96
.LBB96_12:                              ;   in Loop: Header=BB96_6 Depth=1
	ds_read_b64 v[34:35], v113 offset:57344
	ds_read2_b64 v[18:21], v121 offset1:16
	ds_read_b64 v[36:37], v115 offset:57344
	ds_read_b64 v[38:39], v119 offset:57344
	;; [unrolled: 1-line block ×3, first 2 shown]
	v_add_u32_e32 v42, s58, v134
	s_waitcnt lgkmcnt(3)
	v_mfma_f32_16x16x16_bf16 a[4:7], v[34:35], v[18:19], a[4:7]
	v_mfma_f32_16x16x16_bf16 a[8:11], v[34:35], v[20:21], a[8:11]
	ds_read2_b64 v[18:21], v121 offset0:32 offset1:48
	ds_read2st64_b64 v[22:25], v121 offset0:4 offset1:8
	ds_read2st64_b64 v[26:29], v122 offset0:4 offset1:8
	;; [unrolled: 1-line block ×3, first 2 shown]
	s_waitcnt lgkmcnt(3)
	v_mfma_f32_16x16x16_bf16 a[12:15], v[34:35], v[18:19], a[12:15]
	v_ashrrev_i32_e32 v18, 31, v42
	v_mfma_f32_16x16x16_bf16 a[0:3], v[34:35], v[20:21], a[0:3]
	v_mul_lo_u32 v20, v18, s28
	v_mul_lo_u32 v21, v42, s29
	v_mad_u64_u32 v[18:19], s[20:21], v42, s28, 0
	v_add3_u32 v19, v19, v21, v20
	v_add_u32_e32 v20, 1, v42
	v_ashrrev_i32_e32 v21, 31, v20
	s_waitcnt lgkmcnt(2)
	v_mfma_f32_16x16x16_bf16 a[4:7], v[36:37], v[22:23], a[4:7]
	v_mul_lo_u32 v22, v21, s28
	v_mul_lo_u32 v23, v20, s29
	v_mad_u64_u32 v[20:21], s[20:21], v20, s28, 0
	v_add3_u32 v21, v21, v23, v22
	v_add_u32_e32 v22, 2, v42
	v_ashrrev_i32_e32 v23, 31, v22
	s_waitcnt lgkmcnt(1)
	v_mfma_f32_16x16x16_bf16 a[8:11], v[36:37], v[26:27], a[8:11]
	v_mul_lo_u32 v26, v23, s28
	v_mul_lo_u32 v27, v22, s29
	v_mad_u64_u32 v[22:23], s[20:21], v22, s28, 0
	v_lshl_add_u64 v[18:19], v[18:19], 2, s[42:43]
	v_add3_u32 v23, v23, v27, v26
	v_add_u32_e32 v26, 3, v42
	v_ashrrev_i32_e32 v27, 31, v26
	global_load_dword v35, v[18:19], off
	v_mad_u64_u32 v[18:19], s[20:21], v26, s28, 0
	v_mul_lo_u32 v27, v27, s28
	v_mul_lo_u32 v34, v26, s29
	s_add_u32 s20, s38, s58
	v_add3_u32 v19, v19, v34, v27
	s_addc_u32 s21, s39, 0
	v_lshl_add_u64 v[20:21], v[20:21], 2, s[42:43]
	v_lshl_add_u64 v[22:23], v[22:23], 2, s[42:43]
	;; [unrolled: 1-line block ×3, first 2 shown]
	s_lshl_b64 s[20:21], s[20:21], 8
	global_load_dword v34, v[20:21], off
	global_load_dword v42, v[22:23], off
	;; [unrolled: 1-line block ×3, first 2 shown]
	v_lshl_add_u64 v[18:19], v[80:81], 0, s[20:21]
	v_lshl_add_u64 v[22:23], v[18:19], 0, v[78:79]
	global_load_ushort v44, v[22:23], off offset:256
	global_load_ushort v148, v[22:23], off
	ds_read2st64_b64 v[18:21], v124 offset0:4 offset1:8
	global_load_ushort v149, v[22:23], off offset:768
	global_load_ushort v150, v[22:23], off offset:512
	s_waitcnt lgkmcnt(1)
	v_mfma_f32_16x16x16_bf16 a[12:15], v[36:37], v[30:31], a[12:15]
	s_and_b64 vcc, exec, s[0:1]
	s_waitcnt vmcnt(3)
	v_lshlrev_b32_e32 v31, 16, v44
	s_waitcnt lgkmcnt(0)
	v_mfma_f32_16x16x16_bf16 a[0:3], v[36:37], v[18:19], a[0:3]
	global_load_ushort v36, v[22:23], off offset:288
	global_load_ushort v37, v[22:23], off offset:32
	;; [unrolled: 1-line block ×8, first 2 shown]
	v_mfma_f32_16x16x16_bf16 a[4:7], v[38:39], v[24:25], a[4:7]
	ds_read_b64 v[18:19], v121 offset:6144
	s_waitcnt vmcnt(10)
	v_lshlrev_b32_e32 v30, 16, v148
	v_mov_b32_e32 v148, 0
	v_mfma_f32_16x16x16_bf16 a[8:11], v[38:39], v[28:29], a[8:11]
	v_mfma_f32_16x16x16_bf16 a[12:15], v[38:39], v[32:33], a[12:15]
	;; [unrolled: 1-line block ×3, first 2 shown]
	global_load_ushort v38, v[22:23], off offset:352
	global_load_ushort v39, v[22:23], off offset:96
	ds_read_b64 v[20:21], v122 offset:6144
	ds_read_b64 v[24:25], v123 offset:6144
	;; [unrolled: 1-line block ×3, first 2 shown]
	global_load_ushort v157, v[22:23], off offset:864
	global_load_ushort v158, v[22:23], off offset:608
	s_load_dword s2, s[2:3], 0x0
	s_waitcnt lgkmcnt(0)
	v_mfma_f32_16x16x16_bf16 a[4:7], v[40:41], v[18:19], a[4:7]
	v_sub_f32_e32 v28, s2, v42
	v_mfma_f32_16x16x16_bf16 a[0:3], v[40:41], v[26:27], a[0:3]
	v_sub_f32_e32 v26, s2, v35
	v_sub_f32_e32 v27, s2, v34
	;; [unrolled: 1-line block ×3, first 2 shown]
	v_mul_f32_e32 v26, 0x3fb8aa3b, v26
	v_mul_f32_e32 v27, 0x3fb8aa3b, v27
	;; [unrolled: 1-line block ×4, first 2 shown]
	v_mfma_f32_16x16x16_bf16 a[8:11], v[40:41], v[20:21], a[8:11]
	v_exp_f32_e32 v26, v26
	v_exp_f32_e32 v27, v27
	;; [unrolled: 1-line block ×4, first 2 shown]
	v_accvgpr_read_b32 v33, a5
	v_accvgpr_read_b32 v32, a4
	;; [unrolled: 1-line block ×4, first 2 shown]
	v_pk_add_f32 v[30:31], v[30:31], v[32:33] neg_lo:[0,1] neg_hi:[0,1]
	s_waitcnt vmcnt(13)
	v_lshlrev_b32_e32 v33, 16, v149
	s_waitcnt vmcnt(12)
	v_lshlrev_b32_e32 v32, 16, v150
	v_pk_add_f32 v[18:19], v[32:33], v[18:19] neg_lo:[0,1] neg_hi:[0,1]
	v_pk_mul_f32 v[30:31], v[26:27], v[30:31]
	v_pk_mul_f32 v[18:19], v[28:29], v[18:19]
	v_accvgpr_read_b32 v33, a9
	v_perm_b32 v19, v19, v18, s35
	v_perm_b32 v18, v31, v30, s35
	v_accvgpr_read_b32 v32, a8
	v_accvgpr_read_b32 v21, a11
	v_mfma_f32_16x16x16_bf16 a[12:15], v[40:41], v[24:25], a[12:15]
	v_accvgpr_read_b32 v20, a10
	v_accvgpr_read_b32 v25, a3
	;; [unrolled: 1-line block ×3, first 2 shown]
	s_waitcnt vmcnt(11)
	v_lshlrev_b32_e32 v31, 16, v36
	s_waitcnt vmcnt(10)
	v_lshlrev_b32_e32 v30, 16, v37
	v_pk_add_f32 v[30:31], v[30:31], v[32:33] neg_lo:[0,1] neg_hi:[0,1]
	s_waitcnt vmcnt(9)
	v_lshlrev_b32_e32 v33, 16, v151
	s_waitcnt vmcnt(8)
	v_lshlrev_b32_e32 v32, 16, v152
	v_pk_add_f32 v[20:21], v[32:33], v[20:21] neg_lo:[0,1] neg_hi:[0,1]
	v_pk_mul_f32 v[30:31], v[26:27], v[30:31]
	v_pk_mul_f32 v[20:21], v[28:29], v[20:21]
	v_accvgpr_read_b32 v23, a15
	v_perm_b32 v21, v21, v20, s35
	v_perm_b32 v20, v31, v30, s35
	ds_write2_b64 v98, v[18:19], v[20:21] offset1:16
	v_accvgpr_read_b32 v21, a13
	s_waitcnt vmcnt(7)
	v_lshlrev_b32_e32 v19, 16, v153
	s_waitcnt vmcnt(6)
	v_lshlrev_b32_e32 v18, 16, v154
	v_accvgpr_read_b32 v20, a12
	v_accvgpr_read_b32 v22, a14
	v_pk_add_f32 v[18:19], v[18:19], v[20:21] neg_lo:[0,1] neg_hi:[0,1]
	s_waitcnt vmcnt(5)
	v_lshlrev_b32_e32 v21, 16, v155
	s_waitcnt vmcnt(4)
	v_lshlrev_b32_e32 v20, 16, v156
	v_pk_add_f32 v[20:21], v[20:21], v[22:23] neg_lo:[0,1] neg_hi:[0,1]
	v_pk_mul_f32 v[18:19], v[26:27], v[18:19]
	v_pk_mul_f32 v[20:21], v[28:29], v[20:21]
	v_accvgpr_read_b32 v23, a1
	v_perm_b32 v21, v21, v20, s35
	v_perm_b32 v20, v19, v18, s35
	s_waitcnt vmcnt(3)
	v_lshlrev_b32_e32 v19, 16, v38
	s_waitcnt vmcnt(2)
	v_lshlrev_b32_e32 v18, 16, v39
	v_accvgpr_read_b32 v22, a0
	v_pk_add_f32 v[18:19], v[18:19], v[22:23] neg_lo:[0,1] neg_hi:[0,1]
	s_waitcnt vmcnt(1)
	v_lshlrev_b32_e32 v23, 16, v157
	s_waitcnt vmcnt(0)
	v_lshlrev_b32_e32 v22, 16, v158
	v_pk_add_f32 v[22:23], v[22:23], v[24:25] neg_lo:[0,1] neg_hi:[0,1]
	v_pk_mul_f32 v[18:19], v[26:27], v[18:19]
	v_pk_mul_f32 v[22:23], v[28:29], v[22:23]
	v_mov_b32_e32 v24, 0
	v_perm_b32 v23, v23, v22, s35
	v_perm_b32 v22, v19, v18, s35
	ds_write2_b64 v98, v[20:21], v[22:23] offset0:32 offset1:48
	v_mov_b32_e32 v18, 0
	v_mov_b32_e32 v19, 0
	;; [unrolled: 1-line block ×15, first 2 shown]
	s_cbranch_vccnz .LBB96_14
; %bb.13:                               ;   in Loop: Header=BB96_6 Depth=1
	s_and_b32 s25, s25, 0xffff
	s_mov_b32 s27, s23
	buffer_load_dwordx4 v[30:33], v131, s[24:27], 0 offen
	buffer_load_dwordx4 v[22:25], v131, s[24:27], s56 offen
	;; [unrolled: 1-line block ×4, first 2 shown]
	v_mov_b32_e32 v147, v92
	v_mov_b32_e32 v148, v91
.LBB96_14:                              ;   in Loop: Header=BB96_6 Depth=1
	s_waitcnt lgkmcnt(0)
	s_barrier
	ds_read_b64 v[42:43], v136
	ds_read2_b64 v[34:37], v127 offset1:16
	ds_read_b64 v[166:167], v137
	ds_read_b64 v[168:169], v138
	;; [unrolled: 1-line block ×3, first 2 shown]
	ds_read2_b64 v[38:41], v127 offset0:32 offset1:48
	ds_read2st64_b64 v[150:153], v127 offset0:4 offset1:8
	ds_read2st64_b64 v[154:157], v128 offset0:4 offset1:8
	;; [unrolled: 1-line block ×4, first 2 shown]
	s_waitcnt lgkmcnt(8)
	v_mfma_f32_16x16x16_bf16 a[0:3], v[42:43], v[34:35], 0
	s_add_i32 s3, s50, s65
	s_mul_hi_i32 s21, s3, s13
	s_mul_i32 s3, s3, s13
	v_mfma_f32_16x16x16_bf16 a[4:7], v[42:43], v[36:37], 0
	s_add_u32 s20, s3, s33
	s_addc_u32 s21, s21, s54
	s_add_i32 s3, s31, s58
	s_waitcnt lgkmcnt(4)
	v_mfma_f32_16x16x16_bf16 a[8:11], v[42:43], v[38:39], 0
	s_lshl_b64 s[20:21], s[20:21], 15
	s_mul_hi_i32 s25, s3, s13
	s_mul_i32 s3, s3, s13
	v_mfma_f32_16x16x16_bf16 a[12:15], v[42:43], v[40:41], 0
	ds_read_b64 v[42:43], v127 offset:6144
	ds_read_b64 v[178:179], v128 offset:6144
	;; [unrolled: 1-line block ×4, first 2 shown]
	s_add_u32 s24, s3, s33
	s_waitcnt lgkmcnt(7)
	v_mfma_f32_16x16x16_bf16 a[0:3], v[166:167], v[150:151], a[0:3]
	s_addc_u32 s25, s25, s54
	s_lshl_b64 s[24:25], s[24:25], 9
	s_add_u32 s24, s40, s24
	s_waitcnt lgkmcnt(6)
	v_mfma_f32_16x16x16_bf16 a[4:7], v[166:167], v[154:155], a[4:7]
	s_addc_u32 s25, s41, s25
	v_lshl_add_u64 v[188:189], v[82:83], 0, s[20:21]
	s_waitcnt lgkmcnt(5)
	v_mfma_f32_16x16x16_bf16 a[8:11], v[166:167], v[158:159], a[8:11]
	s_waitcnt lgkmcnt(4)
	v_mfma_f32_16x16x16_bf16 a[12:15], v[166:167], v[162:163], a[12:15]
	ds_read_b64 v[166:167], v141
	ds_read_b64 v[176:177], v142
	;; [unrolled: 1-line block ×3, first 2 shown]
	s_waitcnt lgkmcnt(2)
	v_mfma_f32_16x16x16_bf16 a[16:19], v[166:167], v[34:35], 0
	v_mfma_f32_16x16x16_bf16 a[20:23], v[166:167], v[36:37], 0
	global_load_dwordx4 v[34:37], v140, s[24:25]
	v_mfma_f32_16x16x16_bf16 a[24:27], v[166:167], v[38:39], 0
	v_mfma_f32_16x16x16_bf16 a[28:31], v[166:167], v[40:41], 0
	global_load_dwordx4 v[38:41], v135, s[24:25]
	v_mfma_f32_16x16x16_bf16 a[0:3], v[168:169], v[152:153], a[0:3]
	v_mfma_f32_16x16x16_bf16 a[4:7], v[168:169], v[156:157], a[4:7]
	;; [unrolled: 1-line block ×8, first 2 shown]
	ds_read2st64_b64 v[166:169], v125 offset1:8
	ds_read2st64_b64 v[170:173], v126 offset1:8
	ds_read_b64 v[186:187], v133 offset:40960
	s_waitcnt lgkmcnt(2)
	v_mov_b32_e32 v174, v166
	v_mfma_f32_16x16x16_bf16 a[16:19], v[176:177], v[150:151], a[16:19]
	v_mov_b32_e32 v175, v167
	v_mfma_f32_16x16x16_bf16 a[20:23], v[176:177], v[154:155], a[20:23]
	v_mfma_f32_16x16x16_bf16 a[24:27], v[176:177], v[158:159], a[24:27]
	;; [unrolled: 1-line block ×3, first 2 shown]
	v_add_co_u32_e32 v162, vcc, s62, v188
	s_waitcnt lgkmcnt(1)
	v_mov_b32_e32 v176, v170
	s_waitcnt lgkmcnt(0)
	v_mfma_f32_16x16x16_bf16 a[16:19], v[186:187], v[152:153], a[16:19]
	ds_read2st64_b64 v[150:153], v125 offset0:16 offset1:24
	v_addc_co_u32_e32 v163, vcc, 0, v189, vcc
	v_mfma_f32_16x16x16_bf16 a[20:23], v[186:187], v[156:157], a[20:23]
	ds_read2st64_b64 v[154:157], v126 offset0:16 offset1:24
	v_mov_b32_e32 v177, v171
	v_mov_b32_e32 v170, v168
	v_mfma_f32_16x16x16_bf16 a[32:35], v[186:187], v[160:161], a[24:27]
	v_mov_b32_e32 v171, v169
	s_waitcnt lgkmcnt(0)
	v_mov_b32_e32 v160, v154
	v_mov_b32_e32 v161, v155
	v_mfma_f32_16x16x16_bf16 a[36:39], v[186:187], v[164:165], a[28:31]
	v_mov_b32_e32 v154, v152
	v_mov_b32_e32 v155, v153
	;; [unrolled: 1-line block ×3, first 2 shown]
	v_mfma_f32_16x16x16_bf16 a[24:27], v[184:185], v[42:43], a[16:19]
	v_add_co_u32_e32 v42, vcc, s63, v188
	v_mov_b32_e32 v159, v151
	v_mfma_f32_16x16x16_bf16 a[28:31], v[184:185], v[178:179], a[20:23]
	v_addc_co_u32_e32 v43, vcc, 0, v189, vcc
	global_store_dwordx4 v[42:43], v[154:157], off
	v_mfma_f32_16x16x16_bf16 a[16:19], v[184:185], v[180:181], a[32:35]
	s_waitcnt vmcnt(2)
	v_mov_b32_e32 v44, v37
	v_mov_b32_e32 v43, v36
	;; [unrolled: 1-line block ×3, first 2 shown]
	v_mfma_f32_16x16x16_bf16 a[20:23], v[184:185], v[182:183], a[36:39]
	s_and_b64 vcc, exec, s[0:1]
	global_store_dwordx4 v[188:189], v[174:177], off
	global_store_dwordx4 v[162:163], v[170:173], off offset:-4096
	global_store_dwordx4 v[162:163], v[158:161], off
	s_cbranch_vccnz .LBB96_16
; %bb.15:                               ;   in Loop: Header=BB96_6 Depth=1
	v_lshrrev_b32_e32 v35, 3, v147
	v_and_b32_e32 v35, 6, v35
	v_xor_b32_e32 v36, v35, v148
	v_lshlrev_b32_e32 v36, 2, v36
	v_and_b32_e32 v37, 8, v147
	v_xor_b32_e32 v147, 0x440, v36
	v_cmp_eq_u32_e32 vcc, 0, v37
	v_perm_b32 v37, v22, v18, s59
	s_nop 0
	v_cndmask_b32_e32 v36, v147, v36, vcc
	v_lshl_or_b32 v35, v35, 10, v36
	v_perm_b32 v36, v30, v26, s59
	s_barrier
	ds_write2st64_b32 v35, v36, v37 offset0:128 offset1:160
	v_xor_b32_e32 v36, 8, v35
	v_perm_b32 v26, v30, v26, s60
	v_perm_b32 v18, v22, v18, s60
	v_add_u32_e32 v22, 0x80, v36
	ds_write2st64_b32 v22, v26, v18 offset0:128 offset1:160
	v_xor_b32_e32 v18, 16, v35
	v_perm_b32 v22, v31, v27, s59
	v_perm_b32 v26, v23, v19, s59
	ds_write2st64_b32 v18, v22, v26 offset0:129 offset1:161
	v_xor_b32_e32 v18, 24, v35
	v_perm_b32 v22, v31, v27, s60
	v_perm_b32 v19, v23, v19, s60
	v_add_u32_e32 v18, 0x80, v18
	ds_write2st64_b32 v18, v22, v19 offset0:129 offset1:161
	v_xor_b32_e32 v18, 32, v35
	v_perm_b32 v19, v32, v28, s59
	v_perm_b32 v22, v24, v20, s59
	;; [unrolled: 9-line block ×3, first 2 shown]
	ds_write2st64_b32 v18, v19, v20 offset0:131 offset1:163
	v_xor_b32_e32 v18, 56, v35
	v_perm_b32 v19, v33, v29, s60
	v_perm_b32 v20, v25, v21, s60
	v_add_u32_e32 v18, 0x80, v18
	ds_write2st64_b32 v18, v19, v20 offset0:131 offset1:163
	ds_write_b64 v146, v[14:15] offset:49152
	v_xor_b32_e32 v14, 8, v146
	ds_write_b64 v14, v[16:17] offset:49152
	ds_write_b64 v146, v[10:11] offset:57344
	;; [unrolled: 1-line block ×4, first 2 shown]
	v_xor_b32_e32 v6, 8, v145
	ds_write_b64 v6, v[8:9] offset:49152
	ds_write_b64 v145, v[2:3] offset:57344
	;; [unrolled: 1-line block ×3, first 2 shown]
.LBB96_16:                              ;   in Loop: Header=BB96_6 Depth=1
	v_mul_f32_e32 v26, s2, v144
	v_exp_f32_e32 v36, v26
	s_waitcnt vmcnt(4)
	v_mul_f32_e32 v26, 0x3fb8aa3b, v38
	v_exp_f32_e32 v38, v26
	v_mul_f32_e32 v26, 0x3fb8aa3b, v39
	v_exp_f32_e32 v39, v26
	;; [unrolled: 2-line block ×4, first 2 shown]
	v_accvgpr_read_b32 v5, a3
	v_accvgpr_read_b32 v4, a2
	;; [unrolled: 1-line block ×4, first 2 shown]
	v_pk_mul_f32 v[38:39], v[36:37], v[38:39] op_sel_hi:[0,1]
	v_pk_mul_f32 v[40:41], v[36:37], v[40:41] op_sel_hi:[0,1]
	v_pk_fma_f32 v[74:75], v[74:75], v[38:39], v[2:3]
	v_pk_fma_f32 v[76:77], v[76:77], v[40:41], v[4:5]
	v_mul_f32_e32 v2, 0x3fb8aa3b, v34
	v_mul_f32_e32 v3, 0x3fb8aa3b, v42
	;; [unrolled: 1-line block ×4, first 2 shown]
	v_exp_f32_e32 v2, v2
	v_exp_f32_e32 v3, v3
	;; [unrolled: 1-line block ×4, first 2 shown]
	v_accvgpr_read_b32 v9, a7
	v_accvgpr_read_b32 v13, a11
	;; [unrolled: 1-line block ×28, first 2 shown]
	v_pk_mul_f32 v[2:3], v[36:37], v[2:3] op_sel_hi:[0,1]
	v_pk_mul_f32 v[4:5], v[36:37], v[4:5] op_sel_hi:[0,1]
	s_add_i32 s58, s58, 64
	v_pk_fma_f32 v[66:67], v[38:39], v[66:67], v[6:7]
	v_pk_fma_f32 v[68:69], v[40:41], v[68:69], v[8:9]
	;; [unrolled: 1-line block ×13, first 2 shown]
	s_cmp_eq_u32 s47, s64
	v_pk_fma_f32 v[50:51], v[4:5], v[50:51], v[32:33]
	s_cbranch_scc1 .LBB96_18
; %bb.17:                               ;   in Loop: Header=BB96_6 Depth=1
	s_mov_b32 s65, s64
	s_branch .LBB96_6
.LBB96_18:
	s_lshl_b32 s40, s47, 6
	s_sub_i32 s41, s12, s40
	s_cmp_gt_i32 s41, 0
	s_cbranch_scc0 .LBB96_99
; %bb.19:
	s_ashr_i32 s35, s48, 31
	s_ashr_i32 s2, s40, 31
	s_cmpk_lg_i32 s15, 0x80
	s_cselect_b64 s[26:27], -1, 0
	s_and_b64 vcc, exec, s[26:27]
	s_cbranch_vccz .LBB96_21
; %bb.20:
	s_mul_i32 s1, s48, s12
	s_mul_hi_i32 s0, s48, s12
	s_add_u32 s1, s1, s40
	s_addc_u32 s0, s0, s2
	s_mul_i32 s3, s1, s49
	s_mul_hi_u32 s20, s1, s14
	s_add_i32 s3, s20, s3
	s_mul_i32 s0, s0, s14
	s_add_i32 s3, s3, s0
	s_mul_i32 s1, s1, s14
	s_ashr_i32 s0, s52, 31
	s_add_u32 s38, s1, s52
	s_addc_u32 s39, s3, s0
	s_cbranch_execz .LBB96_22
	s_branch .LBB96_23
.LBB96_21:
                                        ; implicit-def: $sgpr38_sgpr39
.LBB96_22:
	s_mul_hi_i32 s0, s48, s14
	s_mul_i32 s48, s48, s14
	s_ashr_i32 s1, s52, 31
	s_add_u32 s3, s48, s52
	s_addc_u32 s0, s0, s1
	s_mul_i32 s1, s3, s46
	s_mul_hi_u32 s14, s3, s12
	s_add_i32 s1, s14, s1
	s_mul_i32 s0, s0, s12
	s_add_i32 s1, s1, s0
	s_mul_i32 s3, s3, s12
	s_add_u32 s38, s3, s40
	s_addc_u32 s39, s1, s2
.LBB96_23:
	s_add_i32 s3, s50, s47
	s_ashr_i32 s14, s33, 31
	s_add_u32 s0, s45, s33
	s_addc_u32 s1, s51, s14
	s_mul_i32 s20, s0, s46
	s_mul_hi_u32 s21, s0, s12
	s_add_i32 s20, s21, s20
	s_mul_i32 s1, s1, s12
	s_add_i32 s20, s20, s1
	s_mul_i32 s0, s0, s12
	s_add_u32 s0, s0, s40
	v_lshlrev_b32_e32 v6, 6, v89
	v_lshlrev_b32_e32 v24, 2, v45
	s_addc_u32 s1, s20, s2
	s_mov_b32 s2, 0x7060302
	v_or_b32_e32 v9, v6, v24
	v_xor_b32_e32 v7, v89, v24
	v_perm_b32 v3, v77, v76, s2
	v_perm_b32 v2, v75, v74, s2
	;; [unrolled: 1-line block ×4, first 2 shown]
	v_lshlrev_b32_e32 v9, 1, v9
	v_xor_b32_e32 v8, v90, v24
	ds_write2st64_b64 v9, v[2:3], v[4:5] offset0:32 offset1:48
	v_lshlrev_b32_e32 v7, 1, v7
	v_lshlrev_b32_e32 v9, 8, v45
	v_or_b32_e32 v10, v7, v9
	v_lshlrev_b32_e32 v8, 1, v8
	ds_write_b64 v10, v[2:3]
	v_or_b32_e32 v2, v8, v9
	v_or_b32_e32 v9, 16, v45
	v_lshlrev_b32_e32 v23, 2, v9
	v_or_b32_e32 v10, v6, v23
	ds_write_b64 v2, v[4:5]
	v_perm_b32 v3, v69, v68, s2
	v_perm_b32 v2, v67, v66, s2
	;; [unrolled: 1-line block ×4, first 2 shown]
	v_lshlrev_b32_e32 v10, 1, v10
	v_lshlrev_b32_e32 v9, 8, v9
	ds_write2st64_b64 v10, v[2:3], v[4:5] offset0:32 offset1:48
	v_or_b32_e32 v10, v7, v9
	ds_write_b64 v10, v[2:3]
	v_or_b32_e32 v2, v8, v9
	v_or_b32_e32 v9, 32, v45
	v_lshlrev_b32_e32 v22, 2, v9
	v_or_b32_e32 v10, v6, v22
	s_lshl_b64 s[24:25], s[0:1], 8
	ds_write_b64 v2, v[4:5]
	v_perm_b32 v3, v61, v60, s2
	v_perm_b32 v2, v59, v58, s2
	v_perm_b32 v5, v57, v56, s2
	v_perm_b32 v4, v55, v54, s2
	v_lshlrev_b32_e32 v10, 1, v10
	v_lshlrev_b32_e32 v9, 8, v9
	s_add_u32 s0, s6, s24
	ds_write2st64_b64 v10, v[2:3], v[4:5] offset0:32 offset1:48
	v_or_b32_e32 v10, v7, v9
	s_addc_u32 s1, s7, s25
	ds_write_b64 v10, v[2:3]
	v_or_b32_e32 v2, v8, v9
	v_or_b32_e32 v9, 48, v45
	s_mul_hi_i32 s6, s3, s13
	s_mul_i32 s3, s3, s13
	ds_write_b64 v2, v[4:5]
	v_perm_b32 v3, v47, v46, s2
	v_perm_b32 v2, v53, v52, s2
	;; [unrolled: 1-line block ×4, first 2 shown]
	v_lshlrev_b32_e32 v19, 2, v9
	s_add_u32 s2, s3, s33
	v_or_b32_e32 v6, v6, v19
	s_addc_u32 s3, s6, s14
	v_lshlrev_b32_e32 v6, 1, v6
	s_ashr_i32 s31, s30, 31
	s_lshl_b64 s[2:3], s[2:3], 15
	ds_write2st64_b64 v6, v[2:3], v[4:5] offset0:32 offset1:48
	v_lshlrev_b32_e32 v6, 8, v9
	s_add_u32 s6, s36, s2
	v_or_b32_e32 v7, v7, v6
	s_addc_u32 s7, s37, s3
	s_lshl_b64 s[2:3], s[30:31], 8
	ds_write_b64 v7, v[2:3]
	v_or_b32_e32 v2, v8, v6
	s_add_u32 s2, s6, s2
	v_lshlrev_b32_e32 v3, 1, v45
	ds_write_b64 v2, v[4:5]
	v_lshrrev_b32_e32 v2, 4, v0
	s_addc_u32 s3, s7, s3
	v_or_b32_e32 v4, 1, v3
	v_lshlrev_b32_e32 v10, 4, v45
	v_mov_b32_e32 v11, 0
	v_xor_b32_e32 v3, v2, v3
	v_xor_b32_e32 v6, v4, v2
	v_lshl_add_u64 v[12:13], s[2:3], 0, v[10:11]
	v_lshlrev_b32_e32 v10, 8, v2
	v_lshl_or_b32 v16, v3, 3, v10
	v_lshl_or_b32 v17, v6, 3, v10
	s_waitcnt lgkmcnt(0)
	s_barrier
	ds_read2st64_b64 v[2:5], v16 offset1:8
	ds_read2st64_b64 v[6:9], v17 offset1:8
	v_lshl_add_u64 v[14:15], v[12:13], 0, v[10:11]
	s_movk_i32 s2, 0x2000
	s_cmp_lg_u32 s41, 64
	s_waitcnt lgkmcnt(1)
	v_mov_b32_e32 v10, v2
	v_mov_b32_e32 v11, v3
	s_waitcnt lgkmcnt(0)
	v_mov_b32_e32 v12, v6
	v_mov_b32_e32 v13, v7
	global_store_dwordx4 v[14:15], v[10:13], off
	v_mov_b32_e32 v6, v4
	v_mov_b32_e32 v7, v5
	ds_read2st64_b64 v[2:5], v16 offset0:16 offset1:24
	ds_read2st64_b64 v[10:13], v17 offset0:16 offset1:24
	v_add_co_u32_e32 v16, vcc, s2, v14
	s_cselect_b64 s[6:7], -1, 0
	s_nop 0
	v_addc_co_u32_e32 v17, vcc, 0, v15, vcc
	global_store_dwordx4 v[16:17], v[6:9], off offset:-4096
	v_lshl_or_b32 v25, v85, 3, v88
	s_mov_b32 s20, 0
	s_waitcnt lgkmcnt(1)
	v_mov_b32_e32 v6, v2
	v_add_co_u32_e32 v2, vcc, 0x3000, v14
	v_mov_b32_e32 v7, v3
	s_nop 0
	v_addc_co_u32_e32 v3, vcc, 0, v15, vcc
	s_waitcnt lgkmcnt(0)
	v_mov_b32_e32 v8, v10
	v_mov_b32_e32 v9, v11
	;; [unrolled: 1-line block ×4, first 2 shown]
	v_or_b32_e32 v20, 32, v25
	v_and_b32_e32 v18, 56, v87
	s_and_b64 vcc, exec, s[6:7]
	global_store_dwordx4 v[16:17], v[6:9], off
	global_store_dwordx4 v[2:3], v[10:13], off
	s_cbranch_vccz .LBB96_29
; %bb.24:
	s_mov_b32 s21, s20
	s_mov_b32 s22, s20
	;; [unrolled: 1-line block ×3, first 2 shown]
	v_mov_b64_e32 v[6:7], s[20:21]
	v_mov_b64_e32 v[8:9], s[22:23]
	;; [unrolled: 1-line block ×3, first 2 shown]
	v_cmp_gt_i32_e32 vcc, s41, v25
	v_mov_b64_e32 v[4:5], v[8:9]
	s_and_saveexec_b64 s[2:3], vcc
	s_cbranch_execz .LBB96_26
; %bb.25:
	v_lshlrev_b32_e32 v2, 8, v25
	v_mov_b32_e32 v3, 0
	v_lshl_add_u64 v[4:5], s[0:1], 0, v[2:3]
	v_lshlrev_b32_e32 v2, 1, v18
	v_lshl_add_u64 v[10:11], v[4:5], 0, v[2:3]
	global_load_dwordx4 v[6:9], v[10:11], off
	global_load_dwordx4 v[2:5], v[10:11], off offset:128
.LBB96_26:
	s_or_b64 exec, exec, s[2:3]
	s_mov_b32 s21, s20
	s_mov_b32 s22, s20
	;; [unrolled: 1-line block ×3, first 2 shown]
	v_mov_b64_e32 v[14:15], s[20:21]
	v_mov_b64_e32 v[16:17], s[22:23]
	;; [unrolled: 1-line block ×3, first 2 shown]
	v_cmp_gt_i32_e32 vcc, s41, v20
	v_lshlrev_b32_e32 v21, 7, v20
	v_mov_b64_e32 v[12:13], v[16:17]
	s_and_saveexec_b64 s[2:3], vcc
	s_cbranch_execz .LBB96_28
; %bb.27:
	v_lshlrev_b32_e32 v10, 1, v21
	v_mov_b32_e32 v11, 0
	v_lshl_add_u64 v[12:13], s[0:1], 0, v[10:11]
	v_lshlrev_b32_e32 v10, 1, v18
	v_lshl_add_u64 v[26:27], v[12:13], 0, v[10:11]
	global_load_dwordx4 v[14:17], v[26:27], off
	global_load_dwordx4 v[10:13], v[26:27], off offset:128
.LBB96_28:
	s_or_b64 exec, exec, s[2:3]
	v_lshrrev_b32_e32 v26, 3, v18
	v_lshlrev_b32_e32 v27, 3, v25
	v_or_b32_e32 v26, v27, v26
	v_lshlrev_b32_e32 v26, 4, v26
	v_and_b32_e32 v27, 0x78, v27
	v_xor_b32_e32 v26, v26, v27
	s_branch .LBB96_31
.LBB96_29:
                                        ; implicit-def: $vgpr26
                                        ; implicit-def: $vgpr21
                                        ; implicit-def: $vgpr6_vgpr7_vgpr8_vgpr9
                                        ; implicit-def: $vgpr2_vgpr3_vgpr4_vgpr5
                                        ; implicit-def: $vgpr14_vgpr15_vgpr16_vgpr17
                                        ; implicit-def: $vgpr10_vgpr11_vgpr12_vgpr13
	s_cbranch_execz .LBB96_31
; %bb.30:
	s_waitcnt vmcnt(0)
	v_lshlrev_b32_e32 v2, 1, v18
	v_lshl_or_b32 v21, v25, 8, v2
	s_and_b32 s1, s1, 0xffff
	s_mov_b32 s3, 0x20000
	s_movk_i32 s2, 0x4000
	v_lshl_or_b32 v26, v20, 8, v2
	s_movk_i32 s13, 0x80
	buffer_load_dwordx4 v[6:9], v21, s[0:3], 0 offen
	buffer_load_dwordx4 v[2:5], v21, s[0:3], s13 offen
	;; [unrolled: 1-line block ×4, first 2 shown]
	v_lshrrev_b32_e32 v21, 3, v18
	v_lshlrev_b32_e32 v26, 3, v25
	v_or_b32_e32 v21, v26, v21
	v_lshlrev_b32_e32 v21, 4, v21
	v_and_b32_e32 v26, 0x78, v26
	v_xor_b32_e32 v26, v21, v26
	v_lshlrev_b32_e32 v21, 7, v20
.LBB96_31:
	s_movk_i32 s0, 0x1000
	v_and_or_b32 v20, v21, s0, v26
	s_waitcnt vmcnt(1)
	ds_write_b64 v26, v[6:7] offset:49152
	v_xor_b32_e32 v6, 8, v26
	ds_write_b64 v6, v[8:9] offset:49152
	s_waitcnt vmcnt(0)
	ds_write_b64 v26, v[2:3] offset:57344
	ds_write_b64 v6, v[4:5] offset:57344
	ds_write_b64 v20, v[14:15] offset:49152
	v_xor_b32_e32 v2, 8, v20
	ds_write_b64 v2, v[16:17] offset:49152
	ds_write_b64 v20, v[10:11] offset:57344
	;; [unrolled: 1-line block ×3, first 2 shown]
	v_or_b32_e32 v2, v1, v45
	v_lshlrev_b32_e32 v3, 11, v85
	v_lshlrev_b32_e32 v2, 3, v2
	v_and_b32_e32 v6, 0x1000, v3
	v_lshrrev_b32_e32 v3, 5, v84
	s_movk_i32 s0, 0xf8
	v_and_or_b32 v3, v2, s0, v3
	v_lshlrev_b32_e32 v7, 4, v3
	v_and_b32_e32 v8, 0x78, v2
	v_or_b32_e32 v10, 32, v7
	v_lshrrev_b32_e32 v3, 1, v84
	v_xor_b32_e32 v10, v10, v8
	v_xor_b32_e32 v2, v7, v8
	v_and_b32_e32 v9, 8, v3
	v_or_b32_e32 v10, v10, v6
	v_or_b32_e32 v2, v2, v6
	v_xor_b32_e32 v28, v10, v9
	v_or_b32_e32 v10, 64, v7
	v_xor_b32_e32 v27, v2, v9
	v_xor_b32_e32 v10, v10, v8
	s_waitcnt lgkmcnt(0)
	s_barrier
	v_or_b32_e32 v13, v10, v6
	ds_read_b64 v[10:11], v27 offset:49152
	v_lshl_or_b32 v14, v86, 8, v24
	v_lshlrev_b32_e32 v26, 1, v14
	v_add_u32_e32 v12, 0x4000, v26
	ds_read2_b64 v[2:5], v12 offset1:16
	v_or_b32_e32 v7, 0x60, v7
	v_xor_b32_e32 v7, v7, v8
	v_or_b32_e32 v6, v7, v6
	v_xor_b32_e32 v29, v13, v9
	v_xor_b32_e32 v30, v6, v9
	ds_read_b64 v[20:21], v28 offset:49152
	ds_read_b64 v[34:35], v29 offset:49152
	;; [unrolled: 1-line block ×3, first 2 shown]
	s_waitcnt lgkmcnt(3)
	v_mfma_f32_16x16x16_bf16 a[0:3], v[10:11], v[2:3], 0
	ds_read2_b64 v[6:9], v12 offset0:32 offset1:48
	s_lshl_b64 s[0:1], s[38:39], 8
	s_add_u32 s4, s4, s0
	v_mfma_f32_16x16x16_bf16 a[4:7], v[10:11], v[4:5], 0
	ds_read2st64_b64 v[2:5], v26 offset0:36 offset1:40
	s_addc_u32 s5, s5, s1
	s_add_i32 s2, s12, -1
	s_waitcnt lgkmcnt(1)
	v_mfma_f32_16x16x16_bf16 a[8:11], v[10:11], v[6:7], 0
	v_or_b32_e32 v6, 64, v14
	v_lshlrev_b32_e32 v31, 1, v6
	s_add_i32 s0, s44, s17
	s_waitcnt lgkmcnt(0)
	v_mfma_f32_16x16x16_bf16 a[0:3], v[20:21], v[2:3], a[0:3]
	v_or_b32_e32 v2, 0x80, v14
	v_lshlrev_b32_e32 v32, 1, v2
	v_or_b32_e32 v2, 0xc0, v14
	v_mfma_f32_16x16x16_bf16 a[12:15], v[10:11], v[8:9], 0
	ds_read2st64_b64 v[6:9], v31 offset0:36 offset1:40
	v_lshlrev_b32_e32 v33, 1, v2
	ds_read2st64_b64 v[10:13], v32 offset0:36 offset1:40
	ds_read2st64_b64 v[14:17], v33 offset0:36 offset1:40
	s_mul_i32 s35, s35, s16
	s_add_i32 s35, s0, s35
	s_mul_i32 s0, s33, s19
	s_mul_hi_u32 s1, s33, s18
	s_ashr_i32 s3, s2, 31
	s_mul_i32 s12, s2, s29
	s_mul_hi_u32 s13, s2, s28
	s_waitcnt lgkmcnt(2)
	v_mfma_f32_16x16x16_bf16 a[4:7], v[20:21], v[6:7], a[4:7]
	s_add_i32 s0, s1, s0
	s_mul_i32 s1, s14, s18
	s_add_i32 s12, s13, s12
	s_mul_i32 s3, s3, s28
	s_waitcnt lgkmcnt(1)
	v_mfma_f32_16x16x16_bf16 a[8:11], v[20:21], v[10:11], a[8:11]
	s_add_i32 s1, s0, s1
	s_add_i32 s3, s12, s3
	s_lshl_b64 s[12:13], s[34:35], 2
	s_waitcnt lgkmcnt(0)
	v_mfma_f32_16x16x16_bf16 a[12:15], v[20:21], v[14:15], a[12:15]
	s_mul_i32 s0, s33, s18
	s_add_u32 s10, s10, s12
	s_addc_u32 s11, s11, s13
	s_lshl_b64 s[0:1], s[0:1], 2
	v_mfma_f32_16x16x16_bf16 a[0:3], v[34:35], v[4:5], a[0:3]
	s_mul_i32 s2, s2, s28
	ds_read_b64 v[2:3], v26 offset:22528
	s_add_u32 s10, s10, s0
	v_mfma_f32_16x16x16_bf16 a[4:7], v[34:35], v[8:9], a[4:7]
	ds_read_b64 v[4:5], v31 offset:22528
	ds_read_b64 v[6:7], v32 offset:22528
	;; [unrolled: 1-line block ×3, first 2 shown]
	s_addc_u32 s11, s11, s1
	s_lshl_b64 s[0:1], s[2:3], 2
	v_mfma_f32_16x16x16_bf16 a[8:11], v[34:35], v[12:13], a[8:11]
	s_add_u32 s0, s10, s0
	s_addc_u32 s1, s11, s1
	s_load_dword s12, s[0:1], 0x0
	v_mfma_f32_16x16x16_bf16 a[12:15], v[34:35], v[16:17], a[12:15]
	s_and_b64 vcc, exec, s[26:27]
	s_waitcnt lgkmcnt(0)
	v_mfma_f32_16x16x16_bf16 a[0:3], v[36:37], v[2:3], a[0:3]
	v_mfma_f32_16x16x16_bf16 a[4:7], v[36:37], v[4:5], a[4:7]
	;; [unrolled: 1-line block ×4, first 2 shown]
	s_cbranch_vccz .LBB96_42
; %bb.32:
	v_lshlrev_b32_e32 v20, 1, v25
	s_and_b64 vcc, exec, s[6:7]
	s_cbranch_vccz .LBB96_43
; %bb.33:
	v_cmp_gt_i32_e32 vcc, s41, v20
	v_mov_b32_e32 v6, 0
	v_mov_b32_e32 v2, 0
	;; [unrolled: 1-line block ×5, first 2 shown]
	s_and_saveexec_b64 s[0:1], vcc
	s_cbranch_execz .LBB96_35
; %bb.34:
	v_mad_i64_i32 v[2:3], s[2:3], s15, v20, 0
	v_lshl_add_u64 v[2:3], v[2:3], 1, s[4:5]
	v_lshlrev_b32_e32 v4, 1, v18
	v_mov_b32_e32 v5, 0
	v_lshl_add_u64 v[2:3], v[2:3], 0, v[4:5]
	global_load_dwordx4 v[2:5], v[2:3], off
.LBB96_35:
	s_or_b64 exec, exec, s[0:1]
	v_or_b32_e32 v21, 1, v20
	v_cmp_gt_i32_e64 s[0:1], s41, v21
	v_mov_b32_e32 v7, 0
	v_mov_b32_e32 v8, 0
	;; [unrolled: 1-line block ×3, first 2 shown]
	s_and_saveexec_b64 s[2:3], s[0:1]
	s_cbranch_execz .LBB96_37
; %bb.36:
	v_mad_i64_i32 v[6:7], s[16:17], s15, v21, 0
	v_lshl_add_u64 v[6:7], v[6:7], 1, s[4:5]
	v_lshlrev_b32_e32 v8, 1, v18
	v_mov_b32_e32 v9, 0
	v_lshl_add_u64 v[6:7], v[6:7], 0, v[8:9]
	global_load_dwordx4 v[6:9], v[6:7], off
.LBB96_37:
	s_or_b64 exec, exec, s[2:3]
	v_mov_b32_e32 v17, 0
	v_mov_b32_e32 v10, 0
	;; [unrolled: 1-line block ×5, first 2 shown]
	s_and_saveexec_b64 s[2:3], vcc
	s_cbranch_execz .LBB96_39
; %bb.38:
	v_mad_i64_i32 v[10:11], s[16:17], s15, v20, 0
	v_lshl_add_u64 v[10:11], v[10:11], 1, s[4:5]
	v_lshlrev_b32_e32 v12, 1, v18
	v_mov_b32_e32 v13, 0
	v_lshl_add_u64 v[10:11], v[10:11], 0, v[12:13]
	global_load_dwordx4 v[10:13], v[10:11], off offset:128
.LBB96_39:
	s_or_b64 exec, exec, s[2:3]
	v_mov_b32_e32 v16, 0
	v_mov_b32_e32 v15, 0
	;; [unrolled: 1-line block ×3, first 2 shown]
	s_and_saveexec_b64 s[2:3], s[0:1]
	s_cbranch_execz .LBB96_41
; %bb.40:
	v_mad_i64_i32 v[14:15], s[0:1], s15, v21, 0
	v_lshl_add_u64 v[14:15], v[14:15], 1, s[4:5]
	v_lshlrev_b32_e32 v16, 1, v18
	v_mov_b32_e32 v17, 0
	v_lshl_add_u64 v[14:15], v[14:15], 0, v[16:17]
	global_load_dwordx4 v[14:17], v[14:15], off offset:128
.LBB96_41:
	s_or_b64 exec, exec, s[2:3]
	s_branch .LBB96_45
.LBB96_42:
                                        ; implicit-def: $vgpr5
                                        ; implicit-def: $vgpr9
                                        ; implicit-def: $vgpr13
                                        ; implicit-def: $vgpr17
	v_lshrrev_b32_e32 v34, 2, v84
	s_branch .LBB96_46
.LBB96_43:
                                        ; implicit-def: $vgpr5
                                        ; implicit-def: $vgpr9
                                        ; implicit-def: $vgpr13
                                        ; implicit-def: $vgpr17
	s_cbranch_execz .LBB96_45
; %bb.44:
	s_waitcnt vmcnt(0)
	v_mad_u64_u32 v[2:3], s[0:1], v20, s15, v[18:19]
	v_lshlrev_b32_e32 v20, 1, v2
	s_lshl_b32 s2, s15, 7
	s_and_b32 s1, s5, 0xffff
	s_mov_b32 s3, 0x20000
	s_mov_b32 s0, s4
	v_add_lshl_u32 v21, v2, s15, 1
	s_movk_i32 s13, 0x80
	buffer_load_dwordx4 v[2:5], v20, s[0:3], 0 offen
	buffer_load_dwordx4 v[10:13], v20, s[0:3], s13 offen
	;; [unrolled: 1-line block ×4, first 2 shown]
.LBB96_45:
	v_lshrrev_b32_e32 v34, 2, v84
	s_cbranch_execnz .LBB96_58
.LBB96_46:
	s_and_b64 vcc, exec, s[6:7]
	s_cbranch_vccz .LBB96_56
; %bb.47:
	s_waitcnt vmcnt(0)
	v_lshlrev_b32_e32 v7, 1, v25
	v_cmp_gt_i32_e32 vcc, s41, v7
	v_mov_b32_e32 v6, 0
	v_lshlrev_b32_e32 v14, 9, v25
	v_mov_b32_e32 v2, 0
	v_mov_b32_e32 v3, 0
	;; [unrolled: 1-line block ×4, first 2 shown]
	s_and_saveexec_b64 s[0:1], vcc
	s_cbranch_execz .LBB96_49
; %bb.48:
	v_mov_b32_e32 v15, 0
	v_lshl_add_u64 v[2:3], s[4:5], 0, v[14:15]
	v_lshlrev_b32_e32 v4, 1, v18
	v_mov_b32_e32 v5, v15
	v_lshl_add_u64 v[2:3], v[2:3], 0, v[4:5]
	global_load_dwordx4 v[2:5], v[2:3], off
.LBB96_49:
	s_or_b64 exec, exec, s[0:1]
	v_or_b32_e32 v7, 1, v7
	v_cmp_gt_i32_e64 s[0:1], s41, v7
	v_lshlrev_b32_e32 v20, 8, v7
	v_mov_b32_e32 v7, 0
	v_mov_b32_e32 v8, 0
	;; [unrolled: 1-line block ×3, first 2 shown]
	s_and_saveexec_b64 s[2:3], s[0:1]
	s_cbranch_execz .LBB96_51
; %bb.50:
	v_mov_b32_e32 v21, 0
	v_lshl_add_u64 v[6:7], s[4:5], 0, v[20:21]
	v_lshlrev_b32_e32 v8, 1, v18
	v_mov_b32_e32 v9, v21
	v_lshl_add_u64 v[6:7], v[6:7], 0, v[8:9]
	global_load_dwordx4 v[6:9], v[6:7], off
.LBB96_51:
	s_or_b64 exec, exec, s[2:3]
	v_mov_b32_e32 v17, 0
	v_mov_b32_e32 v10, 0
	;; [unrolled: 1-line block ×5, first 2 shown]
	s_and_saveexec_b64 s[2:3], vcc
	s_cbranch_execz .LBB96_53
; %bb.52:
	v_mov_b32_e32 v15, 0
	v_lshl_add_u64 v[10:11], s[4:5], 0, v[14:15]
	v_lshlrev_b32_e32 v14, 1, v18
	v_lshl_add_u64 v[10:11], v[10:11], 0, v[14:15]
	global_load_dwordx4 v[10:13], v[10:11], off offset:128
.LBB96_53:
	s_or_b64 exec, exec, s[2:3]
	v_mov_b32_e32 v16, 0
	v_mov_b32_e32 v15, 0
	;; [unrolled: 1-line block ×3, first 2 shown]
	s_and_saveexec_b64 s[2:3], s[0:1]
	s_cbranch_execz .LBB96_55
; %bb.54:
	v_mov_b32_e32 v21, 0
	v_lshl_add_u64 v[14:15], s[4:5], 0, v[20:21]
	v_lshlrev_b32_e32 v20, 1, v18
	v_lshl_add_u64 v[14:15], v[14:15], 0, v[20:21]
	global_load_dwordx4 v[14:17], v[14:15], off offset:128
.LBB96_55:
	s_or_b64 exec, exec, s[2:3]
	s_branch .LBB96_58
.LBB96_56:
                                        ; implicit-def: $vgpr5
                                        ; implicit-def: $vgpr9
                                        ; implicit-def: $vgpr13
                                        ; implicit-def: $vgpr17
	s_cbranch_execz .LBB96_58
; %bb.57:
	s_waitcnt vmcnt(0)
	v_lshlrev_b32_e32 v2, 1, v18
	v_lshl_or_b32 v18, v25, 9, v2
	s_and_b32 s5, s5, 0xffff
	s_mov_b32 s7, 0x20000
	s_movk_i32 s6, 0x4000
	s_movk_i32 s0, 0x80
	buffer_load_dwordx4 v[2:5], v18, s[4:7], 0 offen
	buffer_load_dwordx4 v[6:9], v18, s[4:7], 0 offen offset:256
	buffer_load_dwordx4 v[10:13], v18, s[4:7], s0 offen
	buffer_load_dwordx4 v[14:17], v18, s[4:7], s0 offen offset:256
.LBB96_58:
	ds_read_b64 v[20:21], v27 offset:57344
	v_add_u32_e32 v18, 0x6000, v26
	ds_read2_b64 v[36:39], v18 offset1:16
	ds_read_b64 v[54:55], v28 offset:57344
	ds_read_b64 v[28:29], v29 offset:57344
	;; [unrolled: 1-line block ×3, first 2 shown]
	ds_read2st64_b64 v[40:43], v26 offset0:52 offset1:56
	s_mov_b32 s0, 0x1000504
	s_mov_b32 s1, 0x3020706
	s_waitcnt lgkmcnt(4)
	v_mfma_f32_16x16x16_bf16 a[0:3], v[20:21], v[36:37], a[0:3]
	v_mfma_f32_16x16x16_bf16 a[4:7], v[20:21], v[38:39], a[4:7]
	ds_read2_b64 v[36:39], v18 offset0:32 offset1:48
	v_and_b32_e32 v18, 6, v0
	v_xor_b32_e32 v25, v25, v18
	s_waitcnt lgkmcnt(0)
	v_mfma_f32_16x16x16_bf16 a[8:11], v[20:21], v[36:37], a[8:11]
	v_lshlrev_b32_e32 v25, 2, v25
	v_and_b32_e32 v0, 1, v0
	v_xor_b32_e32 v35, 0x440, v25
	v_mfma_f32_16x16x16_bf16 a[12:15], v[20:21], v[38:39], a[12:15]
	ds_read2st64_b64 v[36:39], v31 offset0:52 offset1:56
	ds_read2st64_b64 v[46:49], v32 offset0:52 offset1:56
	;; [unrolled: 1-line block ×3, first 2 shown]
	v_cmp_eq_u32_e32 vcc, 0, v0
	ds_read_b64 v[20:21], v26 offset:30720
	ds_read_b64 v[26:27], v31 offset:30720
	;; [unrolled: 1-line block ×4, first 2 shown]
	v_mfma_f32_16x16x16_bf16 a[0:3], v[54:55], v[40:41], a[0:3]
	v_cndmask_b32_e32 v0, v35, v25, vcc
	v_lshl_or_b32 v0, v18, 10, v0
	s_waitcnt vmcnt(0)
	v_perm_b32 v18, v2, v6, s0
	s_waitcnt lgkmcnt(6)
	v_mfma_f32_16x16x16_bf16 a[4:7], v[54:55], v[36:37], a[4:7]
	v_perm_b32 v25, v10, v14, s0
	ds_write2st64_b32 v0, v18, v25 offset0:128 offset1:160
	v_xor_b32_e32 v18, 8, v0
	s_waitcnt lgkmcnt(6)
	v_mfma_f32_16x16x16_bf16 a[8:11], v[54:55], v[46:47], a[8:11]
	v_perm_b32 v2, v2, v6, s1
	v_perm_b32 v6, v10, v14, s1
	v_add_u32_e32 v10, 0x80, v18
	s_waitcnt lgkmcnt(5)
	v_mfma_f32_16x16x16_bf16 a[12:15], v[54:55], v[50:51], a[12:15]
	ds_write2st64_b32 v10, v2, v6 offset0:128 offset1:160
	v_xor_b32_e32 v2, 16, v0
	v_perm_b32 v6, v3, v7, s0
	v_mfma_f32_16x16x16_bf16 a[0:3], v[28:29], v[42:43], a[0:3]
	v_perm_b32 v10, v11, v15, s0
	ds_write2st64_b32 v2, v6, v10 offset0:129 offset1:161
	v_xor_b32_e32 v2, 24, v0
	v_mfma_f32_16x16x16_bf16 a[4:7], v[28:29], v[38:39], a[4:7]
	v_perm_b32 v3, v3, v7, s1
	v_perm_b32 v6, v11, v15, s1
	v_add_u32_e32 v2, 0x80, v2
	v_mfma_f32_16x16x16_bf16 a[16:19], v[28:29], v[48:49], a[8:11]
	ds_write2st64_b32 v2, v3, v6 offset0:129 offset1:161
	v_xor_b32_e32 v2, 32, v0
	v_perm_b32 v3, v4, v8, s0
	v_mfma_f32_16x16x16_bf16 a[20:23], v[28:29], v[52:53], a[12:15]
	v_perm_b32 v6, v12, v16, s0
	ds_write2st64_b32 v2, v3, v6 offset0:130 offset1:162
	v_xor_b32_e32 v2, 40, v0
	s_waitcnt lgkmcnt(8)
	v_mfma_f32_16x16x16_bf16 a[12:15], v[56:57], v[20:21], a[0:3]
	v_perm_b32 v3, v4, v8, s1
	v_perm_b32 v4, v12, v16, s1
	v_add_u32_e32 v2, 0x80, v2
	s_waitcnt lgkmcnt(7)
	v_mfma_f32_16x16x16_bf16 a[8:11], v[56:57], v[26:27], a[4:7]
	ds_write2st64_b32 v2, v3, v4 offset0:130 offset1:162
	v_xor_b32_e32 v2, 48, v0
	v_perm_b32 v3, v5, v9, s0
	s_waitcnt lgkmcnt(7)
	v_mfma_f32_16x16x16_bf16 a[4:7], v[56:57], v[30:31], a[16:19]
	v_perm_b32 v4, v13, v17, s0
	v_xor_b32_e32 v0, 56, v0
	v_and_or_b32 v18, v34, 12, v1
	s_waitcnt lgkmcnt(6)
	v_mfma_f32_16x16x16_bf16 a[0:3], v[56:57], v[32:33], a[20:23]
	ds_write2st64_b32 v2, v3, v4 offset0:131 offset1:163
	v_perm_b32 v2, v5, v9, s1
	v_perm_b32 v3, v13, v17, s1
	v_add_u32_e32 v0, 0x80, v0
	v_cmp_gt_i32_e32 vcc, s41, v18
	v_mov_b32_e32 v14, 0
	v_mov_b32_e32 v16, 0
	ds_write2st64_b32 v0, v2, v3 offset0:131 offset1:163
	s_and_saveexec_b64 s[0:1], vcc
	s_cbranch_execz .LBB96_60
; %bb.59:
	v_add_u32_e32 v0, s40, v18
	v_ashrrev_i32_e32 v1, 31, v0
	v_mul_lo_u32 v2, v1, s28
	v_mul_lo_u32 v3, v0, s29
	v_mad_u64_u32 v[0:1], s[2:3], v0, s28, 0
	v_add3_u32 v1, v1, v3, v2
	v_lshl_add_u64 v[0:1], v[0:1], 2, s[10:11]
	global_load_dword v0, v[0:1], off
	s_waitcnt vmcnt(0)
	v_sub_f32_e32 v0, s12, v0
	v_mul_f32_e32 v0, 0x3fb8aa3b, v0
	v_exp_f32_e32 v16, v0
.LBB96_60:
	s_or_b64 exec, exec, s[0:1]
	v_or_b32_e32 v8, 1, v18
	v_cmp_gt_i32_e64 s[0:1], s41, v8
	s_and_saveexec_b64 s[2:3], s[0:1]
	s_cbranch_execz .LBB96_62
; %bb.61:
	v_add_u32_e32 v0, s40, v8
	v_ashrrev_i32_e32 v1, 31, v0
	v_mul_lo_u32 v2, v1, s28
	v_mul_lo_u32 v3, v0, s29
	v_mad_u64_u32 v[0:1], s[4:5], v0, s28, 0
	v_add3_u32 v1, v1, v3, v2
	v_lshl_add_u64 v[0:1], v[0:1], 2, s[10:11]
	global_load_dword v0, v[0:1], off
	s_waitcnt vmcnt(0)
	v_sub_f32_e32 v0, s12, v0
	v_mul_f32_e32 v0, 0x3fb8aa3b, v0
	v_exp_f32_e32 v14, v0
.LBB96_62:
	s_or_b64 exec, exec, s[2:3]
	v_or_b32_e32 v10, 2, v18
	v_cmp_gt_i32_e64 s[2:3], s41, v10
	v_mov_b32_e32 v15, 0
	v_mov_b32_e32 v17, 0
	s_and_saveexec_b64 s[4:5], s[2:3]
	s_cbranch_execz .LBB96_64
; %bb.63:
	v_add_u32_e32 v0, s40, v10
	v_ashrrev_i32_e32 v1, 31, v0
	v_mul_lo_u32 v2, v1, s28
	v_mul_lo_u32 v3, v0, s29
	v_mad_u64_u32 v[0:1], s[6:7], v0, s28, 0
	v_add3_u32 v1, v1, v3, v2
	v_lshl_add_u64 v[0:1], v[0:1], 2, s[10:11]
	global_load_dword v0, v[0:1], off
	s_waitcnt vmcnt(0)
	v_sub_f32_e32 v0, s12, v0
	v_mul_f32_e32 v0, 0x3fb8aa3b, v0
	v_exp_f32_e32 v17, v0
.LBB96_64:
	s_or_b64 exec, exec, s[4:5]
	v_or_b32_e32 v12, 3, v18
	v_cmp_gt_i32_e64 s[4:5], s41, v12
	s_and_saveexec_b64 s[6:7], s[4:5]
	s_cbranch_execz .LBB96_66
; %bb.65:
	v_add_u32_e32 v0, s40, v12
	v_ashrrev_i32_e32 v1, 31, v0
	v_mul_lo_u32 v2, v1, s28
	v_mul_lo_u32 v3, v0, s29
	v_mad_u64_u32 v[0:1], s[14:15], v0, s28, 0
	v_add3_u32 v1, v1, v3, v2
	v_lshl_add_u64 v[0:1], v[0:1], 2, s[10:11]
	global_load_dword v0, v[0:1], off
	s_waitcnt vmcnt(0)
	v_sub_f32_e32 v0, s12, v0
	v_mul_f32_e32 v0, 0x3fb8aa3b, v0
	v_exp_f32_e32 v15, v0
.LBB96_66:
	s_or_b64 exec, exec, s[6:7]
	v_or_b32_e32 v4, s30, v45
	s_add_u32 s6, s8, s24
	v_accvgpr_read_b32 v0, a12
	s_addc_u32 s7, s9, s25
	v_ashrrev_i32_e32 v5, 31, v4
	v_accvgpr_read_b32 v1, a13
	v_accvgpr_read_b32 v2, a14
	;; [unrolled: 1-line block ×3, first 2 shown]
	v_lshl_add_u64 v[4:5], v[4:5], 1, s[6:7]
	v_mov_b32_e32 v9, 0
	v_lshlrev_b32_e32 v6, 8, v18
	v_mov_b32_e32 v7, 0
	s_and_saveexec_b64 s[6:7], vcc
	s_cbranch_execz .LBB96_68
; %bb.67:
	v_mov_b32_e32 v7, 0
	v_lshl_add_u64 v[20:21], v[4:5], 0, v[6:7]
	global_load_ushort v7, v[20:21], off
	s_waitcnt vmcnt(0)
	v_lshlrev_b32_e32 v7, 16, v7
	v_sub_f32_e32 v0, v7, v0
	v_mul_f32_e32 v0, v16, v0
	v_lshrrev_b32_e32 v7, 16, v0
.LBB96_68:
	s_or_b64 exec, exec, s[6:7]
	v_lshlrev_b32_e32 v8, 8, v8
	s_and_saveexec_b64 s[6:7], s[0:1]
	s_cbranch_execz .LBB96_70
; %bb.69:
	v_mov_b32_e32 v9, 0
	v_lshl_add_u64 v[20:21], v[4:5], 0, v[8:9]
	global_load_ushort v0, v[20:21], off
	s_waitcnt vmcnt(0)
	v_lshlrev_b32_e32 v0, 16, v0
	v_sub_f32_e32 v0, v0, v1
	v_mul_f32_e32 v0, v14, v0
	v_lshrrev_b32_e32 v9, 16, v0
.LBB96_70:
	s_or_b64 exec, exec, s[6:7]
	v_mov_b32_e32 v13, 0
	v_lshlrev_b32_e32 v10, 8, v10
	v_mov_b32_e32 v11, 0
	s_and_saveexec_b64 s[6:7], s[2:3]
	s_cbranch_execz .LBB96_72
; %bb.71:
	v_mov_b32_e32 v11, 0
	v_lshl_add_u64 v[0:1], v[4:5], 0, v[10:11]
	global_load_ushort v0, v[0:1], off
	s_waitcnt vmcnt(0)
	v_lshlrev_b32_e32 v0, 16, v0
	v_sub_f32_e32 v0, v0, v2
	v_mul_f32_e32 v0, v17, v0
	v_lshrrev_b32_e32 v11, 16, v0
.LBB96_72:
	s_or_b64 exec, exec, s[6:7]
	v_lshlrev_b32_e32 v12, 8, v12
	s_and_saveexec_b64 s[6:7], s[4:5]
	s_cbranch_execz .LBB96_74
; %bb.73:
	v_mov_b32_e32 v13, 0
	v_lshl_add_u64 v[0:1], v[4:5], 0, v[12:13]
	global_load_ushort v0, v[0:1], off
	s_waitcnt vmcnt(0)
	v_lshlrev_b32_e32 v0, 16, v0
	v_sub_f32_e32 v0, v0, v3
	v_mul_f32_e32 v0, v15, v0
	v_lshrrev_b32_e32 v13, 16, v0
.LBB96_74:
	s_or_b64 exec, exec, s[6:7]
	v_lshlrev_b32_e32 v18, 6, v18
	s_mov_b32 s6, 0x5040100
	v_perm_b32 v20, v9, v7, s6
	v_or_b32_e32 v7, v18, v24
	v_accvgpr_read_b32 v0, a8
	v_perm_b32 v21, v13, v11, s6
	v_lshlrev_b32_e32 v7, 1, v7
	v_accvgpr_read_b32 v1, a9
	v_accvgpr_read_b32 v2, a10
	;; [unrolled: 1-line block ×3, first 2 shown]
	ds_write_b64 v7, v[20:21] offset:24576
	v_mov_b32_e32 v9, 0
	v_mov_b32_e32 v7, 0
	s_and_saveexec_b64 s[6:7], vcc
	s_cbranch_execz .LBB96_76
; %bb.75:
	v_mov_b32_e32 v7, 0
	v_lshl_add_u64 v[20:21], v[4:5], 0, v[6:7]
	global_load_ushort v7, v[20:21], off offset:32
	s_waitcnt vmcnt(0)
	v_lshlrev_b32_e32 v7, 16, v7
	v_sub_f32_e32 v0, v7, v0
	v_mul_f32_e32 v0, v16, v0
	v_lshrrev_b32_e32 v7, 16, v0
.LBB96_76:
	s_or_b64 exec, exec, s[6:7]
	s_and_saveexec_b64 s[6:7], s[0:1]
	s_cbranch_execz .LBB96_78
; %bb.77:
	v_mov_b32_e32 v9, 0
	v_lshl_add_u64 v[20:21], v[4:5], 0, v[8:9]
	global_load_ushort v0, v[20:21], off offset:32
	s_waitcnt vmcnt(0)
	v_lshlrev_b32_e32 v0, 16, v0
	v_sub_f32_e32 v0, v0, v1
	v_mul_f32_e32 v0, v14, v0
	v_lshrrev_b32_e32 v9, 16, v0
.LBB96_78:
	s_or_b64 exec, exec, s[6:7]
	v_mov_b32_e32 v13, 0
	v_mov_b32_e32 v11, 0
	s_and_saveexec_b64 s[6:7], s[2:3]
	s_cbranch_execz .LBB96_80
; %bb.79:
	v_mov_b32_e32 v11, 0
	v_lshl_add_u64 v[0:1], v[4:5], 0, v[10:11]
	global_load_ushort v0, v[0:1], off offset:32
	s_waitcnt vmcnt(0)
	v_lshlrev_b32_e32 v0, 16, v0
	v_sub_f32_e32 v0, v0, v2
	v_mul_f32_e32 v0, v17, v0
	v_lshrrev_b32_e32 v11, 16, v0
.LBB96_80:
	s_or_b64 exec, exec, s[6:7]
	s_and_saveexec_b64 s[6:7], s[4:5]
	s_cbranch_execz .LBB96_82
; %bb.81:
	v_mov_b32_e32 v13, 0
	v_lshl_add_u64 v[0:1], v[4:5], 0, v[12:13]
	global_load_ushort v0, v[0:1], off offset:32
	s_waitcnt vmcnt(0)
	v_lshlrev_b32_e32 v0, 16, v0
	v_sub_f32_e32 v0, v0, v3
	v_mul_f32_e32 v0, v15, v0
	v_lshrrev_b32_e32 v13, 16, v0
.LBB96_82:
	s_or_b64 exec, exec, s[6:7]
	s_mov_b32 s6, 0x5040100
	v_perm_b32 v20, v9, v7, s6
	v_or_b32_e32 v7, v18, v23
	v_accvgpr_read_b32 v0, a4
	v_perm_b32 v21, v13, v11, s6
	v_lshlrev_b32_e32 v7, 1, v7
	v_accvgpr_read_b32 v1, a5
	v_accvgpr_read_b32 v2, a6
	;; [unrolled: 1-line block ×3, first 2 shown]
	ds_write_b64 v7, v[20:21] offset:24576
	v_mov_b32_e32 v9, 0
	v_mov_b32_e32 v7, 0
	s_and_saveexec_b64 s[6:7], vcc
	s_cbranch_execz .LBB96_84
; %bb.83:
	v_mov_b32_e32 v7, 0
	v_lshl_add_u64 v[20:21], v[4:5], 0, v[6:7]
	global_load_ushort v7, v[20:21], off offset:64
	s_waitcnt vmcnt(0)
	v_lshlrev_b32_e32 v7, 16, v7
	v_sub_f32_e32 v0, v7, v0
	v_mul_f32_e32 v0, v16, v0
	v_lshrrev_b32_e32 v7, 16, v0
.LBB96_84:
	s_or_b64 exec, exec, s[6:7]
	s_and_saveexec_b64 s[6:7], s[0:1]
	s_cbranch_execz .LBB96_86
; %bb.85:
	v_mov_b32_e32 v9, 0
	v_lshl_add_u64 v[20:21], v[4:5], 0, v[8:9]
	global_load_ushort v0, v[20:21], off offset:64
	s_waitcnt vmcnt(0)
	v_lshlrev_b32_e32 v0, 16, v0
	v_sub_f32_e32 v0, v0, v1
	v_mul_f32_e32 v0, v14, v0
	v_lshrrev_b32_e32 v9, 16, v0
.LBB96_86:
	s_or_b64 exec, exec, s[6:7]
	v_mov_b32_e32 v13, 0
	v_mov_b32_e32 v11, 0
	s_and_saveexec_b64 s[6:7], s[2:3]
	s_cbranch_execz .LBB96_88
; %bb.87:
	v_mov_b32_e32 v11, 0
	v_lshl_add_u64 v[0:1], v[4:5], 0, v[10:11]
	global_load_ushort v0, v[0:1], off offset:64
	s_waitcnt vmcnt(0)
	v_lshlrev_b32_e32 v0, 16, v0
	v_sub_f32_e32 v0, v0, v2
	v_mul_f32_e32 v0, v17, v0
	v_lshrrev_b32_e32 v11, 16, v0
.LBB96_88:
	s_or_b64 exec, exec, s[6:7]
	s_and_saveexec_b64 s[6:7], s[4:5]
	s_cbranch_execz .LBB96_90
; %bb.89:
	v_mov_b32_e32 v13, 0
	v_lshl_add_u64 v[0:1], v[4:5], 0, v[12:13]
	global_load_ushort v0, v[0:1], off offset:64
	s_waitcnt vmcnt(0)
	v_lshlrev_b32_e32 v0, 16, v0
	v_sub_f32_e32 v0, v0, v3
	v_mul_f32_e32 v0, v15, v0
	v_lshrrev_b32_e32 v13, 16, v0
.LBB96_90:
	s_or_b64 exec, exec, s[6:7]
	s_mov_b32 s6, 0x5040100
	v_perm_b32 v20, v9, v7, s6
	v_or_b32_e32 v7, v18, v22
	v_accvgpr_read_b32 v0, a0
	v_perm_b32 v21, v13, v11, s6
	v_lshlrev_b32_e32 v7, 1, v7
	v_accvgpr_read_b32 v1, a1
	v_accvgpr_read_b32 v2, a2
	;; [unrolled: 1-line block ×3, first 2 shown]
	ds_write_b64 v7, v[20:21] offset:24576
	v_mov_b32_e32 v9, 0
	v_mov_b32_e32 v7, 0
	s_and_saveexec_b64 s[6:7], vcc
	s_cbranch_execz .LBB96_92
; %bb.91:
	v_mov_b32_e32 v7, 0
	v_lshl_add_u64 v[6:7], v[4:5], 0, v[6:7]
	global_load_ushort v6, v[6:7], off offset:96
	s_waitcnt vmcnt(0)
	v_lshlrev_b32_e32 v6, 16, v6
	v_sub_f32_e32 v0, v6, v0
	v_mul_f32_e32 v0, v16, v0
	v_lshrrev_b32_e32 v7, 16, v0
.LBB96_92:
	s_or_b64 exec, exec, s[6:7]
	s_and_saveexec_b64 s[6:7], s[0:1]
	s_cbranch_execz .LBB96_94
; %bb.93:
	v_mov_b32_e32 v9, 0
	v_lshl_add_u64 v[8:9], v[4:5], 0, v[8:9]
	global_load_ushort v0, v[8:9], off offset:96
	s_waitcnt vmcnt(0)
	v_lshlrev_b32_e32 v0, 16, v0
	v_sub_f32_e32 v0, v0, v1
	v_mul_f32_e32 v0, v14, v0
	v_lshrrev_b32_e32 v9, 16, v0
.LBB96_94:
	s_or_b64 exec, exec, s[6:7]
	v_mov_b32_e32 v0, 0
	v_mov_b32_e32 v1, 0
	s_and_saveexec_b64 s[0:1], s[2:3]
	s_cbranch_execz .LBB96_96
; %bb.95:
	v_mov_b32_e32 v11, 0
	v_lshl_add_u64 v[10:11], v[4:5], 0, v[10:11]
	global_load_ushort v1, v[10:11], off offset:96
	s_waitcnt vmcnt(0)
	v_lshlrev_b32_e32 v1, 16, v1
	v_sub_f32_e32 v1, v1, v2
	v_mul_f32_e32 v1, v17, v1
	v_lshrrev_b32_e32 v1, 16, v1
.LBB96_96:
	s_or_b64 exec, exec, s[0:1]
	s_and_saveexec_b64 s[0:1], s[4:5]
	s_cbranch_execz .LBB96_98
; %bb.97:
	v_mov_b32_e32 v13, 0
	v_lshl_add_u64 v[4:5], v[4:5], 0, v[12:13]
	global_load_ushort v0, v[4:5], off offset:96
	s_waitcnt vmcnt(0)
	v_lshlrev_b32_e32 v0, 16, v0
	v_sub_f32_e32 v0, v0, v3
	v_mul_f32_e32 v0, v15, v0
	v_lshrrev_b32_e32 v0, 16, v0
.LBB96_98:
	s_or_b64 exec, exec, s[0:1]
	s_mov_b32 s0, 0x5040100
	v_or_b32_e32 v2, v18, v19
	v_perm_b32 v1, v0, v1, s0
	v_perm_b32 v0, v9, v7, s0
	v_lshlrev_b32_e32 v2, 1, v2
	ds_write_b64 v2, v[0:1] offset:24576
	s_waitcnt lgkmcnt(0)
	s_barrier
.LBB96_99:
	s_endpgm
	.section	.rodata,"a",@progbits
	.p2align	6, 0x0
	.amdhsa_kernel _ZN12_GLOBAL__N_139chunk_gated_delta_rule_fwd_h_hip_kernelILi64ELb0ELb0ELb0ELb0ELb0ELb1ELb0ELb1EEEvPK12hip_bfloat16S3_S3_PKfS5_PKvPS1_S8_PvPKiSB_iiiiilll
		.amdhsa_group_segment_fixed_size 65536
		.amdhsa_private_segment_fixed_size 0
		.amdhsa_kernarg_size 136
		.amdhsa_user_sgpr_count 2
		.amdhsa_user_sgpr_dispatch_ptr 0
		.amdhsa_user_sgpr_queue_ptr 0
		.amdhsa_user_sgpr_kernarg_segment_ptr 1
		.amdhsa_user_sgpr_dispatch_id 0
		.amdhsa_user_sgpr_kernarg_preload_length 0
		.amdhsa_user_sgpr_kernarg_preload_offset 0
		.amdhsa_user_sgpr_private_segment_size 0
		.amdhsa_uses_dynamic_stack 0
		.amdhsa_enable_private_segment 0
		.amdhsa_system_sgpr_workgroup_id_x 1
		.amdhsa_system_sgpr_workgroup_id_y 1
		.amdhsa_system_sgpr_workgroup_id_z 0
		.amdhsa_system_sgpr_workgroup_info 0
		.amdhsa_system_vgpr_workitem_id 0
		.amdhsa_next_free_vgpr 232
		.amdhsa_next_free_sgpr 66
		.amdhsa_accum_offset 192
		.amdhsa_reserve_vcc 1
		.amdhsa_float_round_mode_32 0
		.amdhsa_float_round_mode_16_64 0
		.amdhsa_float_denorm_mode_32 3
		.amdhsa_float_denorm_mode_16_64 3
		.amdhsa_dx10_clamp 1
		.amdhsa_ieee_mode 1
		.amdhsa_fp16_overflow 0
		.amdhsa_tg_split 0
		.amdhsa_exception_fp_ieee_invalid_op 0
		.amdhsa_exception_fp_denorm_src 0
		.amdhsa_exception_fp_ieee_div_zero 0
		.amdhsa_exception_fp_ieee_overflow 0
		.amdhsa_exception_fp_ieee_underflow 0
		.amdhsa_exception_fp_ieee_inexact 0
		.amdhsa_exception_int_div_zero 0
	.end_amdhsa_kernel
	.section	.text._ZN12_GLOBAL__N_139chunk_gated_delta_rule_fwd_h_hip_kernelILi64ELb0ELb0ELb0ELb0ELb0ELb1ELb0ELb1EEEvPK12hip_bfloat16S3_S3_PKfS5_PKvPS1_S8_PvPKiSB_iiiiilll,"axG",@progbits,_ZN12_GLOBAL__N_139chunk_gated_delta_rule_fwd_h_hip_kernelILi64ELb0ELb0ELb0ELb0ELb0ELb1ELb0ELb1EEEvPK12hip_bfloat16S3_S3_PKfS5_PKvPS1_S8_PvPKiSB_iiiiilll,comdat
.Lfunc_end96:
	.size	_ZN12_GLOBAL__N_139chunk_gated_delta_rule_fwd_h_hip_kernelILi64ELb0ELb0ELb0ELb0ELb0ELb1ELb0ELb1EEEvPK12hip_bfloat16S3_S3_PKfS5_PKvPS1_S8_PvPKiSB_iiiiilll, .Lfunc_end96-_ZN12_GLOBAL__N_139chunk_gated_delta_rule_fwd_h_hip_kernelILi64ELb0ELb0ELb0ELb0ELb0ELb1ELb0ELb1EEEvPK12hip_bfloat16S3_S3_PKfS5_PKvPS1_S8_PvPKiSB_iiiiilll
                                        ; -- End function
	.section	.AMDGPU.csdata,"",@progbits
; Kernel info:
; codeLenInByte = 11160
; NumSgprs: 72
; NumVgprs: 190
; NumAgprs: 40
; TotalNumVgprs: 232
; ScratchSize: 0
; MemoryBound: 0
; FloatMode: 240
; IeeeMode: 1
; LDSByteSize: 65536 bytes/workgroup (compile time only)
; SGPRBlocks: 8
; VGPRBlocks: 28
; NumSGPRsForWavesPerEU: 72
; NumVGPRsForWavesPerEU: 232
; AccumOffset: 192
; Occupancy: 1
; WaveLimiterHint : 1
; COMPUTE_PGM_RSRC2:SCRATCH_EN: 0
; COMPUTE_PGM_RSRC2:USER_SGPR: 2
; COMPUTE_PGM_RSRC2:TRAP_HANDLER: 0
; COMPUTE_PGM_RSRC2:TGID_X_EN: 1
; COMPUTE_PGM_RSRC2:TGID_Y_EN: 1
; COMPUTE_PGM_RSRC2:TGID_Z_EN: 0
; COMPUTE_PGM_RSRC2:TIDIG_COMP_CNT: 0
; COMPUTE_PGM_RSRC3_GFX90A:ACCUM_OFFSET: 47
; COMPUTE_PGM_RSRC3_GFX90A:TG_SPLIT: 0
	.section	.text._ZN12_GLOBAL__N_139chunk_gated_delta_rule_fwd_h_hip_kernelILi64ELb1ELb1ELb1ELb1ELb0ELb0ELb1ELb1EEEvPK12hip_bfloat16S3_S3_PKfS5_PKvPS1_S8_PvPKiSB_iiiiilll,"axG",@progbits,_ZN12_GLOBAL__N_139chunk_gated_delta_rule_fwd_h_hip_kernelILi64ELb1ELb1ELb1ELb1ELb0ELb0ELb1ELb1EEEvPK12hip_bfloat16S3_S3_PKfS5_PKvPS1_S8_PvPKiSB_iiiiilll,comdat
	.globl	_ZN12_GLOBAL__N_139chunk_gated_delta_rule_fwd_h_hip_kernelILi64ELb1ELb1ELb1ELb1ELb0ELb0ELb1ELb1EEEvPK12hip_bfloat16S3_S3_PKfS5_PKvPS1_S8_PvPKiSB_iiiiilll ; -- Begin function _ZN12_GLOBAL__N_139chunk_gated_delta_rule_fwd_h_hip_kernelILi64ELb1ELb1ELb1ELb1ELb0ELb0ELb1ELb1EEEvPK12hip_bfloat16S3_S3_PKfS5_PKvPS1_S8_PvPKiSB_iiiiilll
	.p2align	8
	.type	_ZN12_GLOBAL__N_139chunk_gated_delta_rule_fwd_h_hip_kernelILi64ELb1ELb1ELb1ELb1ELb0ELb0ELb1ELb1EEEvPK12hip_bfloat16S3_S3_PKfS5_PKvPS1_S8_PvPKiSB_iiiiilll,@function
_ZN12_GLOBAL__N_139chunk_gated_delta_rule_fwd_h_hip_kernelILi64ELb1ELb1ELb1ELb1ELb0ELb0ELb1ELb1EEEvPK12hip_bfloat16S3_S3_PKfS5_PKvPS1_S8_PvPKiSB_iiiiilll: ; @_ZN12_GLOBAL__N_139chunk_gated_delta_rule_fwd_h_hip_kernelILi64ELb1ELb1ELb1ELb1ELb0ELb0ELb1ELb1EEEvPK12hip_bfloat16S3_S3_PKfS5_PKvPS1_S8_PvPKiSB_iiiiilll
; %bb.0:
	s_load_dwordx4 s[20:23], s[0:1], 0x5c
	s_load_dwordx4 s[4:7], s[0:1], 0x48
	s_abs_i32 s9, s3
	s_ashr_i32 s8, s3, 31
	v_and_b32_e32 v88, 15, v0
	s_waitcnt lgkmcnt(0)
	s_abs_i32 s10, s21
	v_cvt_f32_u32_e32 v1, s10
	s_sub_i32 s12, 0, s10
	s_ashr_i32 s11, s21, 31
	s_xor_b32 s8, s8, s11
	v_rcp_iflag_f32_e32 v1, v1
	v_bfe_u32 v87, v0, 4, 2
	v_mov_b32_e32 v35, 0
	v_lshlrev_b32_e32 v89, 3, v0
	v_mul_f32_e32 v1, 0x4f7ffffe, v1
	v_cvt_u32_f32_e32 v1, v1
	s_nop 0
	v_readfirstlane_b32 s13, v1
	s_mul_i32 s12, s12, s13
	s_mul_hi_u32 s12, s13, s12
	s_add_i32 s13, s13, s12
	s_mul_hi_u32 s12, s9, s13
	s_mul_i32 s13, s12, s10
	s_sub_i32 s9, s9, s13
	s_add_i32 s14, s12, 1
	s_sub_i32 s13, s9, s10
	s_cmp_ge_u32 s9, s10
	s_cselect_b32 s12, s14, s12
	s_cselect_b32 s9, s13, s9
	s_add_i32 s13, s12, 1
	s_cmp_ge_u32 s9, s10
	s_cselect_b32 s9, s13, s12
	s_xor_b32 s9, s9, s8
	s_sub_i32 s28, s9, s8
	s_mul_i32 s12, s28, s21
	s_ashr_i32 s29, s28, 31
	s_sub_i32 s51, s3, s12
	s_lshl_b64 s[8:9], s[28:29], 2
	s_add_u32 s4, s4, s8
	s_addc_u32 s5, s5, s9
	s_add_u32 s30, s6, s8
	s_addc_u32 s31, s7, s9
	s_abs_i32 s3, s22
	v_cvt_f32_u32_e32 v1, s3
	s_load_dwordx2 s[38:39], s[4:5], 0x0
	s_sub_i32 s5, 0, s3
	s_lshl_b32 s2, s2, 6
	v_rcp_iflag_f32_e32 v1, v1
	v_or_b32_e32 v76, s2, v88
	s_waitcnt lgkmcnt(0)
	s_sub_i32 s54, s39, s38
	s_ashr_i32 s4, s54, 31
	v_mul_f32_e32 v1, 0x4f7ffffe, v1
	v_cvt_u32_f32_e32 v1, v1
	s_lshr_b32 s4, s4, 26
	s_add_i32 s4, s54, s4
	s_ashr_i32 s53, s4, 6
	v_readfirstlane_b32 s6, v1
	s_mul_i32 s5, s5, s6
	s_mul_hi_u32 s5, s6, s5
	s_add_i32 s6, s6, s5
	s_mul_hi_u32 s5, s10, s6
	s_mul_i32 s6, s5, s3
	s_ashr_i32 s4, s22, 31
	s_sub_i32 s6, s10, s6
	s_xor_b32 s4, s11, s4
	s_add_i32 s7, s5, 1
	s_sub_i32 s8, s6, s3
	s_cmp_ge_u32 s6, s3
	s_cselect_b32 s5, s7, s5
	s_cselect_b32 s6, s8, s6
	s_add_i32 s7, s5, 1
	s_cmp_ge_u32 s6, s3
	s_cselect_b32 s3, s7, s5
	s_xor_b32 s3, s3, s4
	s_sub_i32 s3, s3, s4
	s_abs_i32 s13, s3
	v_cvt_f32_u32_e32 v1, s13
	s_sub_i32 s15, 0, s13
	s_abs_i32 s14, s51
	s_xor_b32 s3, s51, s3
	v_rcp_iflag_f32_e32 v2, v1
	s_ashr_i32 s3, s3, 31
	s_load_dwordx8 s[4:11], s[0:1], 0x28
	v_lshrrev_b32_e32 v1, 6, v0
	v_mul_f32_e32 v2, 0x4f7ffffe, v2
	v_cvt_u32_f32_e32 v2, v2
	v_lshlrev_b32_e32 v36, 7, v76
	v_lshlrev_b32_e32 v86, 4, v1
	v_or_b32_e32 v38, 0x800, v36
	v_readfirstlane_b32 s16, v2
	s_mul_i32 s15, s15, s16
	s_mul_hi_u32 s15, s16, s15
	s_add_i32 s16, s16, s15
	s_mul_hi_u32 s15, s14, s16
	s_mul_i32 s16, s15, s13
	s_sub_i32 s14, s14, s16
	s_add_i32 s16, s15, 1
	s_sub_i32 s17, s14, s13
	s_cmp_ge_u32 s14, s13
	s_cselect_b32 s15, s16, s15
	s_cselect_b32 s14, s17, s14
	s_add_i32 s16, s15, 1
	s_cmp_ge_u32 s14, s13
	s_cselect_b32 s13, s16, s15
	s_xor_b32 s13, s13, s3
	s_sub_i32 s55, s13, s3
	s_ashr_i32 s52, s51, 31
	s_mul_hi_i32 s3, s28, s21
	s_add_u32 s12, s12, s51
	s_addc_u32 s13, s3, s52
	s_lshl_b64 s[34:35], s[12:13], 15
	s_waitcnt lgkmcnt(0)
	s_add_u32 s4, s4, s34
	v_lshl_or_b32 v91, v87, 2, v86
	s_addc_u32 s5, s5, s35
	v_ashrrev_i32_e32 v37, 31, v36
	v_ashrrev_i32_e32 v39, 31, v38
	v_lshl_add_u64 v[2:3], v[36:37], 1, s[4:5]
	v_lshlrev_b32_e32 v34, 1, v91
	v_lshl_add_u64 v[6:7], v[38:39], 1, s[4:5]
	v_or_b32_e32 v40, 0x1000, v36
	v_or_b32_e32 v42, 0x1800, v36
	v_lshl_add_u64 v[2:3], v[2:3], 0, v[34:35]
	v_lshl_add_u64 v[6:7], v[6:7], 0, v[34:35]
	v_ashrrev_i32_e32 v41, 31, v40
	v_ashrrev_i32_e32 v43, 31, v42
	global_load_dwordx2 v[4:5], v[2:3], off
	v_lshl_add_u64 v[14:15], v[42:43], 1, s[4:5]
	global_load_dwordx2 v[2:3], v[2:3], off offset:128
	s_nop 0
	global_load_dwordx2 v[8:9], v[6:7], off
	global_load_dwordx2 v[10:11], v[6:7], off offset:128
	v_lshl_add_u64 v[6:7], v[40:41], 1, s[4:5]
	v_lshl_add_u64 v[6:7], v[6:7], 0, v[34:35]
	;; [unrolled: 1-line block ×3, first 2 shown]
	global_load_dwordx2 v[12:13], v[6:7], off
	v_and_b32_e32 v35, 63, v0
	global_load_dwordx2 v[6:7], v[6:7], off offset:128
	s_nop 0
	global_load_dwordx2 v[16:17], v[14:15], off
	global_load_dwordx2 v[18:19], v[14:15], off offset:128
	s_load_dwordx8 s[12:19], s[0:1], 0x0
	s_load_dwordx2 s[36:37], s[0:1], 0x80
	s_load_dwordx4 s[24:27], s[0:1], 0x70
	s_load_dword s58, s[30:31], 0x0
	v_lshrrev_b32_e32 v90, 3, v35
	v_or_b32_e32 v92, 64, v91
	s_mul_hi_i32 s56, s51, s20
	s_waitcnt lgkmcnt(0)
	s_mul_i32 s33, s28, s25
	s_mul_hi_u32 s47, s28, s24
	s_mul_i32 s46, s29, s24
	s_mul_i32 s57, s51, s20
	s_cmp_lt_i32 s54, 64
	s_mul_i32 s42, s28, s24
	s_mul_i32 s48, s51, s27
	s_mul_hi_u32 s49, s51, s26
	s_mul_i32 s50, s52, s26
	s_mul_i32 s40, s51, s26
	s_waitcnt vmcnt(7)
	v_and_b32_e32 v71, 0xffff0000, v4
	v_lshlrev_b32_e32 v70, 16, v4
	v_and_b32_e32 v75, 0xffff0000, v5
	v_lshlrev_b32_e32 v74, 16, v5
	s_waitcnt vmcnt(6)
	v_and_b32_e32 v69, 0xffff0000, v2
	v_lshlrev_b32_e32 v68, 16, v2
	v_and_b32_e32 v73, 0xffff0000, v3
	v_lshlrev_b32_e32 v72, 16, v3
	;; [unrolled: 5-line block ×8, first 2 shown]
	s_cbranch_scc1 .LBB97_18
; %bb.1:
	s_ashr_i32 s1, s38, 31
	s_add_u32 s0, s57, s38
	s_addc_u32 s1, s56, s1
	s_lshl_b64 s[0:1], s[0:1], 8
	v_and_b32_e32 v94, 56, v89
	s_add_u32 s24, s14, s0
	v_lshl_or_b32 v93, v1, 3, v90
	v_lshlrev_b32_e32 v2, 1, v94
	s_addc_u32 s0, s15, s1
	v_lshl_or_b32 v95, v93, 8, v2
	s_and_b32 s25, s0, 0xffff
	s_mov_b32 s27, 0x20000
	s_movk_i32 s26, 0x4000
	s_movk_i32 s0, 0x80
	v_or_b32_e32 v96, 0x2000, v95
	buffer_load_dwordx4 v[4:7], v95, s[24:27], 0 offen
	buffer_load_dwordx4 v[8:11], v95, s[24:27], s0 offen
	;; [unrolled: 1-line block ×4, first 2 shown]
	v_lshlrev_b32_e32 v3, 3, v93
	v_and_or_b32 v21, v0, 7, v3
	v_and_b32_e32 v3, 0x78, v3
	v_lshlrev_b32_e32 v21, 4, v21
	v_xor_b32_e32 v97, v21, v3
	v_mul_lo_u32 v20, v93, s23
	v_or_b32_e32 v98, 0x1000, v97
	v_xor_b32_e32 v3, 8, v97
	s_cmpk_eq_i32 s23, 0x80
	s_mov_b32 s59, s38
	v_xor_b32_e32 v21, 8, v98
	s_cselect_b64 s[0:1], -1, 0
	s_cmpk_lg_i32 s23, 0x80
	s_waitcnt vmcnt(3)
	ds_write_b64 v97, v[4:5] offset:49152
	ds_write_b64 v3, v[6:7] offset:49152
	s_waitcnt vmcnt(2)
	ds_write_b64 v97, v[8:9] offset:57344
	ds_write_b64 v3, v[10:11] offset:57344
	;; [unrolled: 3-line block ×4, first 2 shown]
	v_lshl_add_u32 v3, v20, 1, v94
	s_cbranch_scc0 .LBB97_3
; %bb.2:
	v_lshlrev_b32_e32 v5, 1, v3
	v_add_lshl_u32 v4, v3, s23, 1
	s_lshl_b32 s26, s23, 7
	v_lshl_or_b32 v2, v93, 9, v2
	s_cbranch_execz .LBB97_4
	s_branch .LBB97_5
.LBB97_3:
                                        ; implicit-def: $vgpr4
                                        ; implicit-def: $vgpr5
                                        ; implicit-def: $sgpr26
	v_lshl_or_b32 v2, v93, 9, v2
.LBB97_4:
	v_or_b32_e32 v4, 0x100, v2
	s_movk_i32 s26, 0x4000
	v_mov_b32_e32 v5, v2
.LBB97_5:
	s_mul_i32 s4, s38, s22
	s_ashr_i32 s60, s55, 31
	s_mul_hi_i32 s3, s38, s22
	s_add_u32 s4, s4, s55
	s_addc_u32 s5, s3, s60
	s_lshl_b64 s[4:5], s[4:5], 8
	s_add_u32 s24, s12, s4
	s_addc_u32 s3, s13, s5
	s_and_b32 s25, s3, 0xffff
	s_movk_i32 s61, 0x80
	buffer_load_dwordx4 v[6:9], v5, s[24:27], 0 offen
	buffer_load_dwordx4 v[10:13], v5, s[24:27], s61 offen
	;; [unrolled: 1-line block ×4, first 2 shown]
	v_and_b32_e32 v5, 6, v0
	v_lshlrev_b32_e32 v4, 7, v91
	v_xor_b32_e32 v27, v93, v5
	v_and_b32_e32 v22, 1, v0
	v_lshl_or_b32 v30, v88, 3, v4
	v_lshlrev_b32_e32 v27, 2, v27
	v_lshlrev_b32_e32 v23, 2, v88
	v_or_b32_e32 v99, 0x4000, v30
	v_or_b32_e32 v100, 0x6000, v30
	v_xor_b32_e32 v30, 0x440, v27
	v_cmp_eq_u32_e32 vcc, 0, v22
	v_or_b32_e32 v25, 16, v88
	v_or_b32_e32 v26, 32, v88
	v_xor_b32_e32 v28, v91, v23
	v_xor_b32_e32 v29, v92, v23
	v_cndmask_b32_e32 v22, v30, v27, vcc
	s_mov_b32 s62, 0x1000504
	v_lshl_or_b32 v31, v25, 3, v4
	v_lshlrev_b32_e32 v25, 8, v25
	v_lshl_or_b32 v32, v26, 3, v4
	v_lshlrev_b32_e32 v28, 1, v28
	v_lshlrev_b32_e32 v29, 1, v29
	v_lshl_or_b32 v5, v5, 10, v22
	s_add_i32 s3, s47, s33
	s_mov_b32 s63, 0x3020706
	v_lshlrev_b32_e32 v24, 8, v88
	v_or_b32_e32 v103, 0x4000, v32
	v_or_b32_e32 v104, 0x6000, v32
	;; [unrolled: 1-line block ×4, first 2 shown]
	v_xor_b32_e32 v22, 8, v5
	v_xor_b32_e32 v25, 24, v5
	;; [unrolled: 1-line block ×4, first 2 shown]
	s_add_i32 s43, s3, s46
	s_add_i32 s3, s49, s48
	v_or_b32_e32 v101, 0x4000, v31
	v_or_b32_e32 v102, 0x6000, v31
	;; [unrolled: 1-line block ×4, first 2 shown]
	v_xor_b32_e32 v24, 16, v5
	v_xor_b32_e32 v27, 32, v5
	v_xor_b32_e32 v31, 48, v5
	v_add_u32_e32 v22, 0x80, v22
	v_add_u32_e32 v25, 0x80, v25
	;; [unrolled: 1-line block ×4, first 2 shown]
	s_add_i32 s41, s3, s50
	s_lshl_b64 s[4:5], s[42:43], 2
	s_add_u32 s3, s18, s4
	s_addc_u32 s24, s19, s5
	s_lshl_b64 s[4:5], s[40:41], 2
	s_add_u32 s4, s3, s4
	s_movk_i32 s3, 0xf8
	s_addc_u32 s5, s24, s5
	s_lshl_b32 s30, s23, 7
	s_movk_i32 s28, 0x100
	v_mov_b32_e32 v79, 0
	v_lshlrev_b32_e32 v78, 4, v88
	v_cmp_gt_u32_e32 vcc, s28, v0
	v_lshlrev_b32_e32 v26, 8, v26
	s_mov_b32 s64, 0
	s_movk_i32 s26, 0x4000
	v_or_b32_e32 v109, v26, v28
	v_or_b32_e32 v110, v26, v29
	s_movk_i32 s41, 0x2000
	s_movk_i32 s43, 0x3000
	v_mov_b32_e32 v142, 0x3fb8aa3b
	s_waitcnt vmcnt(1)
	v_perm_b32 v33, v6, v14, s62
	s_waitcnt vmcnt(0)
	v_perm_b32 v77, v10, v18, s62
	v_perm_b32 v6, v6, v14, s63
	;; [unrolled: 1-line block ×15, first 2 shown]
	ds_write2st64_b32 v5, v33, v77 offset0:128 offset1:160
	ds_write2st64_b32 v22, v6, v10 offset0:128 offset1:160
	;; [unrolled: 1-line block ×8, first 2 shown]
	v_or_b32_e32 v5, 48, v88
	v_lshl_or_b32 v6, v5, 3, v4
	v_lshlrev_b32_e32 v5, 8, v5
	v_or_b32_e32 v113, v5, v28
	v_or_b32_e32 v114, v5, v29
	;; [unrolled: 1-line block ×3, first 2 shown]
	v_lshlrev_b32_e32 v5, 3, v5
	v_lshrrev_b32_e32 v7, 5, v35
	v_and_or_b32 v7, v5, s3, v7
	v_lshlrev_b32_e32 v7, 4, v7
	v_lshlrev_b32_e32 v8, 11, v1
	v_and_b32_e32 v5, 0x78, v5
	v_or_b32_e32 v13, 32, v7
	v_or_b32_e32 v111, 0x4000, v6
	v_or_b32_e32 v112, 0x6000, v6
	v_and_b32_e32 v6, 0x1000, v8
	v_xor_b32_e32 v9, v7, v5
	v_lshrrev_b32_e32 v10, 1, v0
	v_xor_b32_e32 v13, v13, v5
	v_or_b32_e32 v9, v9, v6
	v_and_b32_e32 v11, 8, v10
	v_or_b32_e32 v13, v13, v6
	v_xor_b32_e32 v115, v9, v11
	v_lshlrev_b32_e32 v9, 8, v87
	v_xor_b32_e32 v117, v13, v11
	v_or_b32_e32 v13, 64, v7
	v_or_b32_e32 v7, 0x60, v7
	s_ashr_i32 s3, s2, 31
	v_or_b32_e32 v12, v9, v23
	v_xor_b32_e32 v13, v13, v5
	v_xor_b32_e32 v5, v7, v5
	s_lshl_b64 s[24:25], s[2:3], 8
	v_lshlrev_b32_e32 v12, 1, v12
	v_or_b32_e32 v13, v13, v6
	v_or_b32_e32 v5, v5, v6
	s_add_u32 s24, s6, s24
	v_lshlrev_b32_e32 v6, 1, v88
	v_or_b32_e32 v116, 0x4000, v12
	v_or_b32_e32 v118, 0x4080, v12
	;; [unrolled: 1-line block ×8, first 2 shown]
	v_lshrrev_b32_e32 v12, 4, v0
	s_addc_u32 s25, s7, s25
	v_or_b32_e32 v7, 1, v6
	v_mov_b32_e32 v16, 0xa000
	v_mov_b32_e32 v17, 0x8000
	v_xor_b32_e32 v121, v13, v11
	v_xor_b32_e32 v13, v12, v6
	;; [unrolled: 1-line block ×3, first 2 shown]
	v_lshl_add_u64 v[6:7], s[24:25], 0, v[78:79]
	v_lshlrev_b32_e32 v78, 8, v12
	v_cndmask_b32_e32 v16, v16, v17, vcc
	v_lshlrev_b32_e32 v17, 3, v1
	v_and_b32_e32 v10, 24, v10
	v_lshl_or_b32 v127, v13, 3, v78
	v_and_b32_e32 v13, 8, v0
	v_xor_b32_e32 v18, v17, v10
	v_or_b32_e32 v19, 0x440, v18
	v_cmp_eq_u32_e32 vcc, 0, v13
	v_and_b32_e32 v12, 7, v0
	v_lshl_or_b32 v128, v14, 3, v78
	v_cndmask_b32_e32 v13, v19, v18, vcc
	v_lshlrev_b32_e32 v14, 3, v12
	v_lshlrev_b32_e32 v12, 7, v12
	v_or_b32_e32 v13, v13, v8
	v_lshlrev_b32_e32 v15, 2, v0
	v_xad_u32 v129, v13, v14, v12
	v_or_b32_e32 v13, 32, v10
	v_and_or_b32 v9, v15, 60, v9
	v_xor_b32_e32 v13, v17, v13
	v_lshlrev_b32_e32 v9, 1, v9
	v_or_b32_e32 v15, 0x440, v13
	v_or_b32_e32 v130, 0x6000, v9
	v_cndmask_b32_e32 v13, v15, v13, vcc
	v_or_b32_e32 v132, 0x6080, v9
	v_or_b32_e32 v133, 0x6100, v9
	;; [unrolled: 1-line block ×5, first 2 shown]
	v_xor_b32_e32 v9, v17, v9
	v_xad_u32 v131, v13, v14, v12
	v_xor_b32_e32 v13, 0x440, v9
	v_cndmask_b32_e32 v9, v13, v9, vcc
	v_or_b32_e32 v9, v9, v8
	v_xad_u32 v135, v9, v14, v12
	v_or_b32_e32 v9, 0x60, v10
	v_xor_b32_e32 v9, v17, v9
	v_xor_b32_e32 v10, 0x440, v9
	v_cndmask_b32_e32 v9, v10, v9, vcc
	v_xor_b32_e32 v122, v5, v11
	v_ashrrev_i32_e32 v77, 31, v76
	v_lshlrev_b32_e32 v5, 1, v3
	v_add_lshl_u32 v3, v3, s23, 1
	v_or_b32_e32 v11, 0x100, v2
	v_or_b32_e32 v8, v9, v8
	v_xad_u32 v136, v8, v14, v12
	v_cndmask_b32_e64 v137, v5, v2, s[0:1]
	v_cndmask_b32_e64 v138, v3, v11, s[0:1]
	v_lshlrev_b64 v[2:3], 1, v[76:77]
	v_lshl_add_u64 v[80:81], s[16:17], 0, v[2:3]
	v_lshl_add_u64 v[82:83], s[8:9], 0, v[2:3]
	;; [unrolled: 1-line block ×3, first 2 shown]
	s_mov_b32 s3, 0x7060302
	v_lshlrev_b32_e32 v78, 1, v4
	v_add_u32_e32 v77, v16, v129
	v_add_u32_e32 v139, v16, v131
	;; [unrolled: 1-line block ×4, first 2 shown]
	s_waitcnt lgkmcnt(0)
	s_barrier
.LBB97_6:                               ; =>This Inner Loop Header: Depth=1
	s_add_i32 s65, s64, 1
	s_cmp_lt_i32 s65, s53
	s_mov_b64 s[28:29], 0
	s_cselect_b64 s[44:45], -1, 0
	s_cmp_ge_i32 s65, s53
	s_mov_b64 s[24:25], 0
	s_cbranch_scc1 .LBB97_8
; %bb.7:                                ;   in Loop: Header=BB97_6 Depth=1
	s_add_i32 s0, s59, 64
	s_ashr_i32 s1, s0, 31
	s_add_u32 s0, s57, s0
	s_addc_u32 s1, s56, s1
	s_lshl_b64 s[0:1], s[0:1], 8
	s_add_u32 s24, s14, s0
	s_addc_u32 s25, s15, s1
.LBB97_8:                               ;   in Loop: Header=BB97_6 Depth=1
	v_cndmask_b32_e64 v2, 0, 1, s[44:45]
	v_cmp_ne_u32_e64 s[0:1], 1, v2
	s_andn2_b64 vcc, exec, s[44:45]
	s_cbranch_vccnz .LBB97_10
; %bb.9:                                ;   in Loop: Header=BB97_6 Depth=1
	s_add_i32 s28, s59, 64
	s_mul_hi_i32 s29, s28, s22
	s_mul_i32 s28, s28, s22
	s_add_u32 s28, s28, s55
	s_addc_u32 s29, s29, s60
	s_lshl_b64 s[28:29], s[28:29], 8
	s_add_u32 s28, s12, s28
	s_addc_u32 s29, s13, s29
.LBB97_10:                              ;   in Loop: Header=BB97_6 Depth=1
	v_perm_b32 v3, v75, v74, s3
	v_perm_b32 v2, v71, v70, s3
	v_perm_b32 v5, v73, v72, s3
	v_perm_b32 v4, v69, v68, s3
	ds_write_b64 v99, v[2:3]
	ds_write_b64 v100, v[4:5]
	ds_write_b64 v105, v[2:3]
	ds_write_b64 v106, v[4:5]
	v_perm_b32 v3, v67, v66, s3
	v_perm_b32 v2, v63, v62, s3
	v_perm_b32 v5, v65, v64, s3
	v_perm_b32 v4, v61, v60, s3
	ds_write_b64 v101, v[2:3]
	ds_write_b64 v102, v[4:5]
	ds_write_b64 v107, v[2:3]
	ds_write_b64 v108, v[4:5]
	v_perm_b32 v3, v59, v58, s3
	v_perm_b32 v2, v55, v54, s3
	v_perm_b32 v5, v57, v56, s3
	v_perm_b32 v4, v51, v50, s3
	ds_write_b64 v103, v[2:3]
	ds_write_b64 v104, v[4:5]
	ds_write_b64 v109, v[2:3]
	ds_write_b64 v110, v[4:5]
	v_perm_b32 v3, v53, v52, s3
	v_perm_b32 v2, v47, v46, s3
	v_perm_b32 v5, v49, v48, s3
	v_perm_b32 v4, v45, v44, s3
	ds_write_b64 v111, v[2:3]
	ds_write_b64 v112, v[4:5]
	ds_write_b64 v113, v[2:3]
	ds_write_b64 v114, v[4:5]
	s_waitcnt lgkmcnt(0)
	s_barrier
	ds_read_b64 v[6:7], v115 offset:49152
	ds_read2_b64 v[2:5], v116 offset1:16
	ds_read_b64 v[18:19], v118 offset:6144
	ds_read_b64 v[20:21], v116 offset:6144
	s_waitcnt lgkmcnt(2)
	v_mfma_f32_16x16x16_bf16 a[0:3], v[6:7], v[2:3], 0
	ds_read_b64 v[22:23], v117 offset:49152
	ds_read2st64_b64 v[10:13], v119 offset0:4 offset1:8
	ds_read2st64_b64 v[14:17], v120 offset0:4 offset1:8
	v_mfma_f32_16x16x16_bf16 a[4:7], v[6:7], v[4:5], 0
	ds_read2_b64 v[2:5], v116 offset0:32 offset1:48
	s_add_i32 s31, s59, 63
	s_ashr_i32 s44, s31, 31
	s_waitcnt lgkmcnt(0)
	v_mfma_f32_16x16x16_bf16 a[8:11], v[6:7], v[2:3], 0
	s_mul_i32 s45, s31, s37
	s_mul_hi_u32 s66, s31, s36
	s_add_i32 s45, s66, s45
	v_mfma_f32_16x16x16_bf16 a[12:15], v[6:7], v[4:5], 0
	ds_read2st64_b64 v[2:5], v116 offset0:4 offset1:8
	ds_read2st64_b64 v[6:9], v118 offset0:4 offset1:8
	s_mul_i32 s44, s44, s36
	s_waitcnt lgkmcnt(1)
	v_mfma_f32_16x16x16_bf16 a[0:3], v[22:23], v[2:3], a[0:3]
	s_add_i32 s45, s45, s44
	s_mul_i32 s44, s31, s36
	s_lshl_b64 s[44:45], s[44:45], 2
	s_waitcnt lgkmcnt(0)
	v_mfma_f32_16x16x16_bf16 a[4:7], v[22:23], v[6:7], a[4:7]
	s_add_u32 s44, s4, s44
	s_addc_u32 s45, s5, s45
	s_and_b64 vcc, exec, s[0:1]
	v_mfma_f32_16x16x16_bf16 a[8:11], v[22:23], v[10:11], a[8:11]
	ds_read_b64 v[2:3], v121 offset:49152
	ds_read_b64 v[6:7], v122 offset:49152
	;; [unrolled: 1-line block ×3, first 2 shown]
	v_mov_b32_e32 v145, 0
	v_mov_b32_e32 v144, 0
	v_mfma_f32_16x16x16_bf16 a[12:15], v[22:23], v[14:15], a[12:15]
	v_mov_b32_e32 v143, 0
	v_mov_b32_e32 v14, 0
	;; [unrolled: 1-line block ×3, first 2 shown]
	s_waitcnt lgkmcnt(2)
	v_mfma_f32_16x16x16_bf16 a[0:3], v[2:3], v[4:5], a[0:3]
	v_mov_b32_e32 v4, 0
	v_mov_b32_e32 v5, 0
	v_mfma_f32_16x16x16_bf16 a[4:7], v[2:3], v[8:9], a[4:7]
	v_mov_b32_e32 v8, 0
	v_mov_b32_e32 v9, 0
	;; [unrolled: 3-line block ×3, first 2 shown]
	v_mfma_f32_16x16x16_bf16 a[12:15], v[2:3], v[16:17], a[12:15]
	ds_read_b64 v[2:3], v119 offset:6144
	v_mov_b32_e32 v16, 0
	v_mov_b32_e32 v17, 0
	s_waitcnt lgkmcnt(2)
	v_mfma_f32_16x16x16_bf16 a[0:3], v[6:7], v[20:21], a[0:3]
	v_mfma_f32_16x16x16_bf16 a[4:7], v[6:7], v[18:19], a[4:7]
	s_waitcnt lgkmcnt(0)
	v_mfma_f32_16x16x16_bf16 a[8:11], v[6:7], v[2:3], a[8:11]
	v_mov_b32_e32 v2, 0
	v_mov_b32_e32 v3, 0
	v_mfma_f32_16x16x16_bf16 a[12:15], v[6:7], v[10:11], a[12:15]
	v_mov_b32_e32 v6, 0
	v_mov_b32_e32 v7, 0
	;; [unrolled: 1-line block ×4, first 2 shown]
	s_cbranch_vccnz .LBB97_12
; %bb.11:                               ;   in Loop: Header=BB97_6 Depth=1
	s_and_b32 s25, s25, 0xffff
	buffer_load_dwordx4 v[14:17], v95, s[24:27], 0 offen
	buffer_load_dwordx4 v[10:13], v95, s[24:27], s61 offen
	;; [unrolled: 1-line block ×4, first 2 shown]
	v_mov_b32_e32 v144, v97
	v_mov_b32_e32 v143, v98
.LBB97_12:                              ;   in Loop: Header=BB97_6 Depth=1
	ds_read_b64 v[150:151], v115 offset:57344
	ds_read2_b64 v[18:21], v123 offset1:16
	ds_read_b64 v[152:153], v117 offset:57344
	ds_read_b64 v[154:155], v121 offset:57344
	ds_read_b64 v[156:157], v122 offset:57344
	s_waitcnt lgkmcnt(3)
	v_mfma_f32_16x16x16_bf16 a[0:3], v[150:151], v[18:19], a[0:3]
	v_mfma_f32_16x16x16_bf16 a[4:7], v[150:151], v[20:21], a[4:7]
	ds_read2_b64 v[18:21], v123 offset0:32 offset1:48
	ds_read2st64_b64 v[22:25], v123 offset0:4 offset1:8
	ds_read2st64_b64 v[26:29], v124 offset0:4 offset1:8
	;; [unrolled: 1-line block ×4, first 2 shown]
	s_waitcnt lgkmcnt(4)
	v_mfma_f32_16x16x16_bf16 a[8:11], v[150:151], v[18:19], a[8:11]
	v_mfma_f32_16x16x16_bf16 a[12:15], v[150:151], v[20:21], a[12:15]
	v_add_u32_e32 v150, s59, v91
	v_ashrrev_i32_e32 v18, 31, v150
	v_mul_lo_u32 v20, v18, s36
	v_mul_lo_u32 v21, v150, s37
	v_mad_u64_u32 v[18:19], s[24:25], v150, s36, 0
	v_add3_u32 v19, v19, v21, v20
	v_add_u32_e32 v20, 1, v150
	v_ashrrev_i32_e32 v21, 31, v20
	s_waitcnt lgkmcnt(3)
	v_mfma_f32_16x16x16_bf16 a[0:3], v[152:153], v[22:23], a[0:3]
	v_mul_lo_u32 v22, v21, s36
	v_mul_lo_u32 v23, v20, s37
	v_mad_u64_u32 v[20:21], s[24:25], v20, s36, 0
	v_add3_u32 v21, v21, v23, v22
	v_add_u32_e32 v22, 2, v150
	v_ashrrev_i32_e32 v23, 31, v22
	s_waitcnt lgkmcnt(2)
	v_mfma_f32_16x16x16_bf16 a[4:7], v[152:153], v[26:27], a[4:7]
	v_mul_lo_u32 v26, v23, s36
	v_mul_lo_u32 v27, v22, s37
	v_mad_u64_u32 v[22:23], s[24:25], v22, s36, 0
	v_lshl_add_u64 v[18:19], v[18:19], 2, s[4:5]
	v_lshl_add_u64 v[20:21], v[20:21], 2, s[4:5]
	v_add3_u32 v23, v23, v27, v26
	v_add_u32_e32 v26, 3, v150
	s_waitcnt lgkmcnt(1)
	v_mfma_f32_16x16x16_bf16 a[8:11], v[152:153], v[30:31], a[8:11]
	global_load_dword v31, v[18:19], off
	v_ashrrev_i32_e32 v27, 31, v26
	v_mul_lo_u32 v27, v27, s36
	s_waitcnt lgkmcnt(0)
	v_mfma_f32_16x16x16_bf16 a[12:15], v[152:153], v[146:147], a[12:15]
	global_load_dword v146, v[20:21], off
	v_mad_u64_u32 v[18:19], s[24:25], v26, s36, 0
	s_ashr_i32 s25, s59, 31
	v_mul_lo_u32 v30, v26, s37
	s_add_u32 s24, s57, s59
	v_lshl_add_u64 v[22:23], v[22:23], 2, s[4:5]
	v_add3_u32 v19, v19, v30, v27
	s_addc_u32 s25, s56, s25
	v_lshl_add_u64 v[18:19], v[18:19], 2, s[4:5]
	global_load_dword v30, v[22:23], off
	global_load_dword v147, v[18:19], off
	s_lshl_b64 s[24:25], s[24:25], 8
	v_lshl_add_u64 v[18:19], v[80:81], 0, s[24:25]
	v_lshl_add_u64 v[18:19], v[18:19], 0, v[78:79]
	global_load_ushort v150, v[18:19], off offset:256
	global_load_ushort v151, v[18:19], off
	global_load_ushort v152, v[18:19], off offset:768
	global_load_ushort v153, v[18:19], off offset:512
	;; [unrolled: 1-line block ×6, first 2 shown]
	s_load_dword s44, s[44:45], 0x0
	v_mfma_f32_16x16x16_bf16 a[12:15], v[154:155], v[148:149], a[12:15]
	global_load_ushort v148, v[18:19], off offset:320
	global_load_ushort v149, v[18:19], off offset:64
	s_and_b64 vcc, exec, s[0:1]
	v_mfma_f32_16x16x16_bf16 a[0:3], v[154:155], v[24:25], a[0:3]
	ds_read_b64 v[20:21], v123 offset:6144
	ds_read_b64 v[22:23], v124 offset:6144
	;; [unrolled: 1-line block ×4, first 2 shown]
	v_mfma_f32_16x16x16_bf16 a[4:7], v[154:155], v[28:29], a[4:7]
	s_waitcnt vmcnt(11) lgkmcnt(0)
	v_sub_f32_e32 v28, s44, v30
	v_mfma_f32_16x16x16_bf16 a[8:11], v[154:155], v[32:33], a[8:11]
	global_load_ushort v154, v[18:19], off offset:832
	global_load_ushort v155, v[18:19], off offset:576
	;; [unrolled: 1-line block ×6, first 2 shown]
	v_mfma_f32_16x16x16_bf16 a[0:3], v[156:157], v[20:21], a[0:3]
	s_waitcnt vmcnt(16)
	v_sub_f32_e32 v29, s44, v147
	v_mul_f32_e32 v28, 0x3fb8aa3b, v28
	v_mul_f32_e32 v29, 0x3fb8aa3b, v29
	v_exp_f32_e32 v28, v28
	v_exp_f32_e32 v29, v29
	s_waitcnt vmcnt(15)
	v_lshlrev_b32_e32 v33, 16, v150
	s_waitcnt vmcnt(14)
	v_lshlrev_b32_e32 v32, 16, v151
	v_accvgpr_read_b32 v21, a3
	v_accvgpr_read_b32 v20, a2
	v_mfma_f32_16x16x16_bf16 a[2:5], v[156:157], v[22:23], a[4:7]
	v_mfma_f32_16x16x16_bf16 a[6:9], v[156:157], v[24:25], a[8:11]
	s_nop 5
	v_accvgpr_read_b32 v23, a5
	v_accvgpr_read_b32 v22, a4
	;; [unrolled: 1-line block ×4, first 2 shown]
	v_mfma_f32_16x16x16_bf16 a[8:11], v[156:157], v[26:27], a[12:15]
	v_sub_f32_e32 v26, s44, v31
	v_sub_f32_e32 v27, s44, v146
	v_mul_f32_e32 v26, 0x3fb8aa3b, v26
	v_mul_f32_e32 v27, 0x3fb8aa3b, v27
	v_exp_f32_e32 v26, v26
	v_exp_f32_e32 v27, v27
	v_accvgpr_read_b32 v147, a1
	v_accvgpr_read_b32 v146, a0
	v_lshl_add_u64 v[30:31], v[82:83], 0, s[24:25]
	v_pk_add_f32 v[32:33], v[32:33], v[146:147] neg_lo:[0,1] neg_hi:[0,1]
	s_waitcnt vmcnt(13)
	v_lshlrev_b32_e32 v147, 16, v152
	s_waitcnt vmcnt(12)
	v_lshlrev_b32_e32 v146, 16, v153
	v_lshl_add_u64 v[30:31], v[30:31], 0, v[78:79]
	v_pk_add_f32 v[20:21], v[146:147], v[20:21] neg_lo:[0,1] neg_hi:[0,1]
	global_store_short_d16_hi v[30:31], v32, off
	global_store_short_d16_hi v[30:31], v33, off offset:256
	global_store_short_d16_hi v[30:31], v20, off offset:512
	;; [unrolled: 1-line block ×3, first 2 shown]
	v_pk_mul_f32 v[32:33], v[26:27], v[32:33]
	v_pk_mul_f32 v[20:21], v[28:29], v[20:21]
	v_accvgpr_read_b32 v147, a3
	v_perm_b32 v21, v21, v20, s3
	v_perm_b32 v20, v33, v32, s3
	s_waitcnt vmcnt(15)
	v_lshlrev_b32_e32 v33, 16, v158
	s_waitcnt vmcnt(14)
	v_lshlrev_b32_e32 v32, 16, v159
	v_accvgpr_read_b32 v146, a2
	v_pk_add_f32 v[32:33], v[32:33], v[146:147] neg_lo:[0,1] neg_hi:[0,1]
	s_waitcnt vmcnt(13)
	v_lshlrev_b32_e32 v147, 16, v160
	s_waitcnt vmcnt(12)
	v_lshlrev_b32_e32 v146, 16, v161
	v_pk_add_f32 v[22:23], v[146:147], v[22:23] neg_lo:[0,1] neg_hi:[0,1]
	global_store_short_d16_hi v[30:31], v32, off offset:32
	global_store_short_d16_hi v[30:31], v33, off offset:288
	;; [unrolled: 1-line block ×4, first 2 shown]
	v_pk_mul_f32 v[32:33], v[26:27], v[32:33]
	v_pk_mul_f32 v[22:23], v[28:29], v[22:23]
	v_accvgpr_read_b32 v25, a11
	v_perm_b32 v23, v23, v22, s3
	v_perm_b32 v22, v33, v32, s3
	ds_write2_b64 v100, v[20:21], v[22:23] offset1:16
	v_accvgpr_read_b32 v23, a7
	s_waitcnt vmcnt(15)
	v_lshlrev_b32_e32 v21, 16, v148
	s_waitcnt vmcnt(14)
	v_lshlrev_b32_e32 v20, 16, v149
	v_accvgpr_read_b32 v22, a6
	v_pk_add_f32 v[20:21], v[20:21], v[22:23] neg_lo:[0,1] neg_hi:[0,1]
	global_store_short_d16_hi v[30:31], v20, off offset:64
	global_store_short_d16_hi v[30:31], v21, off offset:320
	v_pk_mul_f32 v[20:21], v[26:27], v[20:21]
	v_accvgpr_read_b32 v24, a10
	v_perm_b32 v20, v21, v20, s3
	v_mov_b32_e32 v146, 0
	v_mov_b32_e32 v32, 0
	;; [unrolled: 1-line block ×3, first 2 shown]
	s_waitcnt vmcnt(15)
	v_lshlrev_b32_e32 v23, 16, v154
	s_waitcnt vmcnt(14)
	v_lshlrev_b32_e32 v22, 16, v155
	v_pk_add_f32 v[18:19], v[22:23], v[18:19] neg_lo:[0,1] neg_hi:[0,1]
	global_store_short_d16_hi v[30:31], v18, off offset:576
	global_store_short_d16_hi v[30:31], v19, off offset:832
	v_pk_mul_f32 v[18:19], v[28:29], v[18:19]
	v_accvgpr_read_b32 v23, a9
	v_perm_b32 v21, v19, v18, s3
	s_waitcnt vmcnt(15)
	v_lshlrev_b32_e32 v19, 16, v162
	s_waitcnt vmcnt(14)
	v_lshlrev_b32_e32 v18, 16, v163
	v_accvgpr_read_b32 v22, a8
	v_pk_add_f32 v[18:19], v[18:19], v[22:23] neg_lo:[0,1] neg_hi:[0,1]
	s_waitcnt vmcnt(13)
	v_lshlrev_b32_e32 v23, 16, v164
	s_waitcnt vmcnt(12)
	v_lshlrev_b32_e32 v22, 16, v165
	v_pk_add_f32 v[22:23], v[22:23], v[24:25] neg_lo:[0,1] neg_hi:[0,1]
	global_store_short_d16_hi v[30:31], v18, off offset:96
	global_store_short_d16_hi v[30:31], v19, off offset:352
	;; [unrolled: 1-line block ×4, first 2 shown]
	v_pk_mul_f32 v[18:19], v[26:27], v[18:19]
	v_pk_mul_f32 v[22:23], v[28:29], v[22:23]
	v_mov_b32_e32 v24, 0
	v_perm_b32 v23, v23, v22, s3
	v_perm_b32 v22, v19, v18, s3
	ds_write2_b64 v100, v[20:21], v[22:23] offset0:32 offset1:48
	v_mov_b32_e32 v18, 0
	v_mov_b32_e32 v19, 0
	;; [unrolled: 1-line block ×13, first 2 shown]
	s_cbranch_vccnz .LBB97_14
; %bb.13:                               ;   in Loop: Header=BB97_6 Depth=1
	s_and_b32 s29, s29, 0xffff
	s_mov_b32 s31, s27
	buffer_load_dwordx4 v[30:33], v137, s[28:31], 0 offen
	buffer_load_dwordx4 v[22:25], v137, s[28:31], s61 offen
	;; [unrolled: 1-line block ×4, first 2 shown]
	v_mov_b32_e32 v145, v94
	v_mov_b32_e32 v146, v93
.LBB97_14:                              ;   in Loop: Header=BB97_6 Depth=1
	s_waitcnt lgkmcnt(0)
	s_barrier
	ds_read_b64 v[156:157], v77
	ds_read2_b64 v[148:151], v130 offset1:16
	ds_read_b64 v[172:173], v139
	ds_read_b64 v[174:175], v140
	;; [unrolled: 1-line block ×3, first 2 shown]
	ds_read2_b64 v[152:155], v130 offset0:32 offset1:48
	s_waitcnt lgkmcnt(4)
	v_mfma_f32_16x16x16_bf16 a[0:3], v[156:157], v[148:149], 0
	ds_read2st64_b64 v[160:163], v132 offset0:4 offset1:8
	ds_read2st64_b64 v[164:167], v133 offset0:4 offset1:8
	;; [unrolled: 1-line block ×3, first 2 shown]
	v_mfma_f32_16x16x16_bf16 a[4:7], v[156:157], v[150:151], 0
	s_add_i32 s24, s58, s64
	s_mul_hi_i32 s25, s24, s21
	s_mul_i32 s24, s24, s21
	s_waitcnt lgkmcnt(3)
	v_mfma_f32_16x16x16_bf16 a[8:11], v[156:157], v[152:153], 0
	s_add_u32 s24, s24, s51
	s_addc_u32 s25, s25, s52
	s_lshl_b64 s[24:25], s[24:25], 15
	v_mfma_f32_16x16x16_bf16 a[12:15], v[156:157], v[154:155], 0
	ds_read2st64_b64 v[156:159], v130 offset0:4 offset1:8
	s_waitcnt lgkmcnt(0)
	v_mfma_f32_16x16x16_bf16 a[0:3], v[172:173], v[156:157], a[0:3]
	v_mfma_f32_16x16x16_bf16 a[4:7], v[172:173], v[160:161], a[4:7]
	;; [unrolled: 1-line block ×8, first 2 shown]
	ds_read_b64 v[172:173], v130 offset:6144
	ds_read_b64 v[174:175], v131 offset:40960
	;; [unrolled: 1-line block ×8, first 2 shown]
	s_waitcnt lgkmcnt(5)
	v_mfma_f32_16x16x16_bf16 a[16:19], v[178:179], v[148:149], 0
	v_mfma_f32_16x16x16_bf16 a[20:23], v[178:179], v[150:151], 0
	ds_read2st64_b64 v[148:151], v127 offset1:8
	v_mfma_f32_16x16x16_bf16 a[24:27], v[178:179], v[152:153], 0
	v_mfma_f32_16x16x16_bf16 a[28:31], v[178:179], v[154:155], 0
	ds_read2st64_b64 v[152:155], v128 offset1:8
	v_mfma_f32_16x16x16_bf16 a[16:19], v[174:175], v[156:157], a[16:19]
	s_waitcnt lgkmcnt(1)
	v_mov_b32_e32 v156, v148
	v_mov_b32_e32 v157, v149
	v_mfma_f32_16x16x16_bf16 a[20:23], v[174:175], v[160:161], a[20:23]
	v_lshl_add_u64 v[160:161], v[84:85], 0, s[24:25]
	v_mfma_f32_16x16x16_bf16 a[24:27], v[174:175], v[164:165], a[24:27]
	v_mfma_f32_16x16x16_bf16 a[28:31], v[174:175], v[168:169], a[28:31]
	v_mfma_f32_16x16x16_bf16 a[16:19], v[186:187], v[158:159], a[16:19]
	s_waitcnt lgkmcnt(0)
	v_mov_b32_e32 v158, v152
	v_mov_b32_e32 v159, v153
	;; [unrolled: 1-line block ×3, first 2 shown]
	v_mfma_f32_16x16x16_bf16 a[32:35], v[186:187], v[162:163], a[20:23]
	v_mov_b32_e32 v153, v151
	ds_read2st64_b64 v[148:151], v127 offset0:16 offset1:24
	global_store_dwordx4 v[160:161], v[156:159], off
	v_mfma_f32_16x16x16_bf16 a[24:27], v[186:187], v[166:167], a[24:27]
	ds_read2st64_b64 v[156:159], v128 offset0:16 offset1:24
	v_add_co_u32_e32 v162, vcc, s41, v160
	v_mfma_f32_16x16x16_bf16 a[28:31], v[186:187], v[170:171], a[28:31]
	s_nop 0
	v_addc_co_u32_e32 v163, vcc, 0, v161, vcc
	global_store_dwordx4 v[162:163], v[152:155], off offset:-4096
	v_mfma_f32_16x16x16_bf16 a[0:3], v[176:177], v[172:173], a[0:3]
	s_waitcnt lgkmcnt(1)
	v_mov_b32_e32 v152, v148
	v_add_co_u32_e32 v148, vcc, s43, v160
	v_mfma_f32_16x16x16_bf16 a[4:7], v[176:177], v[180:181], a[4:7]
	v_mov_b32_e32 v153, v149
	v_addc_co_u32_e32 v149, vcc, 0, v161, vcc
	v_mfma_f32_16x16x16_bf16 a[8:11], v[176:177], v[182:183], a[8:11]
	s_waitcnt lgkmcnt(0)
	v_mov_b32_e32 v154, v156
	v_mov_b32_e32 v155, v157
	v_mov_b32_e32 v156, v150
	v_mfma_f32_16x16x16_bf16 a[12:15], v[176:177], v[184:185], a[12:15]
	v_mov_b32_e32 v157, v151
	s_and_b64 vcc, exec, s[0:1]
	global_store_dwordx4 v[162:163], v[152:155], off
	v_mfma_f32_16x16x16_bf16 a[20:23], v[188:189], v[172:173], a[16:19]
	global_store_dwordx4 v[148:149], v[156:159], off
	v_mfma_f32_16x16x16_bf16 a[16:19], v[188:189], v[180:181], a[32:35]
	v_mfma_f32_16x16x16_bf16 a[24:27], v[188:189], v[182:183], a[24:27]
	;; [unrolled: 1-line block ×3, first 2 shown]
	s_cbranch_vccnz .LBB97_16
; %bb.15:                               ;   in Loop: Header=BB97_6 Depth=1
	v_lshrrev_b32_e32 v147, 3, v145
	v_and_b32_e32 v147, 6, v147
	v_xor_b32_e32 v146, v147, v146
	v_lshlrev_b32_e32 v146, 2, v146
	v_and_b32_e32 v145, 8, v145
	v_xor_b32_e32 v148, 0x440, v146
	v_cmp_eq_u32_e32 vcc, 0, v145
	s_barrier
	s_nop 0
	v_cndmask_b32_e32 v145, v148, v146, vcc
	v_lshl_or_b32 v145, v147, 10, v145
	s_waitcnt vmcnt(5)
	v_perm_b32 v146, v30, v26, s62
	s_waitcnt vmcnt(4)
	v_perm_b32 v147, v22, v18, s62
	ds_write2st64_b32 v145, v146, v147 offset0:128 offset1:160
	v_xor_b32_e32 v146, 8, v145
	v_perm_b32 v26, v30, v26, s63
	v_perm_b32 v18, v22, v18, s63
	v_add_u32_e32 v22, 0x80, v146
	ds_write2st64_b32 v22, v26, v18 offset0:128 offset1:160
	v_xor_b32_e32 v18, 16, v145
	v_perm_b32 v22, v31, v27, s62
	v_perm_b32 v26, v23, v19, s62
	ds_write2st64_b32 v18, v22, v26 offset0:129 offset1:161
	v_xor_b32_e32 v18, 24, v145
	v_perm_b32 v22, v31, v27, s63
	v_perm_b32 v19, v23, v19, s63
	v_add_u32_e32 v18, 0x80, v18
	ds_write2st64_b32 v18, v22, v19 offset0:129 offset1:161
	v_xor_b32_e32 v18, 32, v145
	v_perm_b32 v19, v32, v28, s62
	;; [unrolled: 9-line block ×3, first 2 shown]
	v_perm_b32 v20, v25, v21, s62
	ds_write2st64_b32 v18, v19, v20 offset0:131 offset1:163
	v_xor_b32_e32 v18, 56, v145
	v_perm_b32 v19, v33, v29, s63
	v_perm_b32 v20, v25, v21, s63
	v_add_u32_e32 v18, 0x80, v18
	ds_write2st64_b32 v18, v19, v20 offset0:131 offset1:163
	ds_write_b64 v144, v[14:15] offset:49152
	v_xor_b32_e32 v14, 8, v144
	ds_write_b64 v14, v[16:17] offset:49152
	ds_write_b64 v144, v[10:11] offset:57344
	;; [unrolled: 1-line block ×4, first 2 shown]
	v_xor_b32_e32 v6, 8, v143
	ds_write_b64 v6, v[8:9] offset:49152
	ds_write_b64 v143, v[2:3] offset:57344
	;; [unrolled: 1-line block ×3, first 2 shown]
.LBB97_16:                              ;   in Loop: Header=BB97_6 Depth=1
	s_waitcnt vmcnt(6)
	v_mul_f32_e32 v22, s44, v142
	v_exp_f32_e32 v144, v22
	v_accvgpr_read_b32 v5, a3
	v_accvgpr_read_b32 v9, a7
	;; [unrolled: 1-line block ×4, first 2 shown]
	s_waitcnt vmcnt(4)
	v_accvgpr_read_b32 v18, a20
	v_accvgpr_read_b32 v25, a19
	;; [unrolled: 1-line block ×28, first 2 shown]
	s_add_i32 s59, s59, 64
	v_pk_fma_f32 v[70:71], v[70:71], v[144:145], v[2:3] op_sel_hi:[1,0,1]
	v_pk_fma_f32 v[74:75], v[74:75], v[144:145], v[4:5] op_sel_hi:[1,0,1]
	;; [unrolled: 1-line block ×15, first 2 shown]
	s_cmp_eq_u32 s53, s65
	v_pk_fma_f32 v[48:49], v[48:49], v[144:145], v[32:33] op_sel_hi:[1,0,1]
	s_cbranch_scc1 .LBB97_18
; %bb.17:                               ;   in Loop: Header=BB97_6 Depth=1
	s_mov_b32 s64, s65
	s_branch .LBB97_6
.LBB97_18:
	s_lshl_b32 s30, s53, 6
	s_sub_i32 s31, s54, s30
	s_cmp_gt_i32 s31, 0
	s_cbranch_scc0 .LBB97_99
; %bb.19:
	s_add_i32 s30, s30, s38
	s_ashr_i32 s3, s30, 31
	s_cmpk_lg_i32 s23, 0x80
	s_cselect_b64 s[26:27], -1, 0
	s_and_b64 vcc, exec, s[26:27]
	s_cbranch_vccz .LBB97_21
; %bb.20:
	s_mul_i32 s1, s30, s22
	s_ashr_i32 s4, s55, 31
	s_mul_hi_i32 s0, s30, s22
	s_add_u32 s28, s1, s55
	s_addc_u32 s29, s0, s4
	s_cbranch_execz .LBB97_22
	s_branch .LBB97_23
.LBB97_21:
                                        ; implicit-def: $sgpr28_sgpr29
.LBB97_22:
	s_mul_i32 s1, s55, s20
	s_mul_hi_i32 s0, s55, s20
	s_add_u32 s28, s1, s30
	s_addc_u32 s29, s0, s3
.LBB97_23:
	s_add_i32 s4, s53, s58
	s_add_u32 s0, s57, s30
	v_lshlrev_b32_e32 v6, 6, v91
	v_lshlrev_b32_e32 v24, 2, v88
	s_addc_u32 s1, s56, s3
	s_mov_b32 s3, 0x7060302
	v_or_b32_e32 v9, v6, v24
	v_xor_b32_e32 v7, v91, v24
	v_perm_b32 v3, v75, v74, s3
	v_perm_b32 v2, v71, v70, s3
	;; [unrolled: 1-line block ×4, first 2 shown]
	v_lshlrev_b32_e32 v9, 1, v9
	v_xor_b32_e32 v8, v92, v24
	ds_write2st64_b64 v9, v[2:3], v[4:5] offset0:32 offset1:48
	v_lshlrev_b32_e32 v7, 1, v7
	v_lshlrev_b32_e32 v9, 8, v88
	v_or_b32_e32 v10, v7, v9
	v_lshlrev_b32_e32 v8, 1, v8
	ds_write_b64 v10, v[2:3]
	v_or_b32_e32 v2, v8, v9
	v_or_b32_e32 v9, 16, v88
	v_lshlrev_b32_e32 v23, 2, v9
	v_or_b32_e32 v10, v6, v23
	ds_write_b64 v2, v[4:5]
	v_perm_b32 v3, v67, v66, s3
	v_perm_b32 v2, v63, v62, s3
	;; [unrolled: 1-line block ×4, first 2 shown]
	v_lshlrev_b32_e32 v10, 1, v10
	v_lshlrev_b32_e32 v9, 8, v9
	ds_write2st64_b64 v10, v[2:3], v[4:5] offset0:32 offset1:48
	v_or_b32_e32 v10, v7, v9
	ds_write_b64 v10, v[2:3]
	v_or_b32_e32 v2, v8, v9
	v_or_b32_e32 v9, 32, v88
	v_lshlrev_b32_e32 v22, 2, v9
	v_or_b32_e32 v10, v6, v22
	ds_write_b64 v2, v[4:5]
	v_perm_b32 v3, v59, v58, s3
	v_perm_b32 v2, v55, v54, s3
	;; [unrolled: 1-line block ×4, first 2 shown]
	v_lshlrev_b32_e32 v10, 1, v10
	v_lshlrev_b32_e32 v9, 8, v9
	s_lshl_b64 s[24:25], s[0:1], 8
	ds_write2st64_b64 v10, v[2:3], v[4:5] offset0:32 offset1:48
	v_or_b32_e32 v10, v7, v9
	s_add_u32 s0, s14, s24
	ds_write_b64 v10, v[2:3]
	v_or_b32_e32 v2, v8, v9
	s_addc_u32 s1, s15, s25
	ds_write_b64 v2, v[4:5]
	v_perm_b32 v3, v53, v52, s3
	v_perm_b32 v2, v47, v46, s3
	;; [unrolled: 1-line block ×4, first 2 shown]
	v_or_b32_e32 v9, 48, v88
	s_mul_hi_i32 s3, s4, s21
	s_mul_i32 s4, s4, s21
	v_lshlrev_b32_e32 v19, 2, v9
	s_add_u32 s4, s4, s51
	v_or_b32_e32 v6, v6, v19
	s_addc_u32 s5, s3, s52
	v_lshlrev_b32_e32 v6, 1, v6
	s_ashr_i32 s3, s2, 31
	s_lshl_b64 s[4:5], s[4:5], 15
	ds_write2st64_b64 v6, v[2:3], v[4:5] offset0:32 offset1:48
	v_lshlrev_b32_e32 v6, 8, v9
	s_add_u32 s4, s6, s4
	v_or_b32_e32 v7, v7, v6
	s_addc_u32 s5, s7, s5
	s_lshl_b64 s[2:3], s[2:3], 8
	ds_write_b64 v7, v[2:3]
	v_or_b32_e32 v2, v8, v6
	s_add_u32 s2, s4, s2
	v_lshlrev_b32_e32 v3, 1, v88
	ds_write_b64 v2, v[4:5]
	v_lshrrev_b32_e32 v2, 4, v0
	s_addc_u32 s3, s5, s3
	v_or_b32_e32 v4, 1, v3
	v_lshlrev_b32_e32 v10, 4, v88
	v_mov_b32_e32 v11, 0
	v_xor_b32_e32 v3, v2, v3
	v_xor_b32_e32 v6, v4, v2
	v_lshl_add_u64 v[12:13], s[2:3], 0, v[10:11]
	v_lshlrev_b32_e32 v10, 8, v2
	v_lshl_or_b32 v16, v3, 3, v10
	v_lshl_or_b32 v17, v6, 3, v10
	s_waitcnt lgkmcnt(0)
	s_barrier
	ds_read2st64_b64 v[2:5], v16 offset1:8
	ds_read2st64_b64 v[6:9], v17 offset1:8
	v_lshl_add_u64 v[14:15], v[12:13], 0, v[10:11]
	s_movk_i32 s2, 0x2000
	s_cmp_lg_u32 s31, 64
	s_waitcnt lgkmcnt(1)
	v_mov_b32_e32 v10, v2
	v_mov_b32_e32 v11, v3
	s_waitcnt lgkmcnt(0)
	v_mov_b32_e32 v12, v6
	v_mov_b32_e32 v13, v7
	global_store_dwordx4 v[14:15], v[10:13], off
	v_mov_b32_e32 v6, v4
	v_mov_b32_e32 v7, v5
	ds_read2st64_b64 v[2:5], v16 offset0:16 offset1:24
	ds_read2st64_b64 v[10:13], v17 offset0:16 offset1:24
	v_add_co_u32_e32 v16, vcc, s2, v14
	s_cselect_b64 s[14:15], -1, 0
	s_nop 0
	v_addc_co_u32_e32 v17, vcc, 0, v15, vcc
	global_store_dwordx4 v[16:17], v[6:9], off offset:-4096
	v_lshl_or_b32 v30, v1, 3, v90
	s_mov_b32 s4, 0
	s_waitcnt lgkmcnt(1)
	v_mov_b32_e32 v6, v2
	v_add_co_u32_e32 v2, vcc, 0x3000, v14
	v_mov_b32_e32 v7, v3
	s_nop 0
	v_addc_co_u32_e32 v3, vcc, 0, v15, vcc
	s_waitcnt lgkmcnt(0)
	v_mov_b32_e32 v8, v10
	v_mov_b32_e32 v9, v11
	;; [unrolled: 1-line block ×4, first 2 shown]
	v_or_b32_e32 v20, 32, v30
	v_and_b32_e32 v18, 56, v89
	s_and_b64 vcc, exec, s[14:15]
	global_store_dwordx4 v[16:17], v[6:9], off
	global_store_dwordx4 v[2:3], v[10:13], off
	s_cbranch_vccz .LBB97_29
; %bb.24:
	s_mov_b32 s6, s4
	s_mov_b32 s7, s4
	;; [unrolled: 1-line block ×3, first 2 shown]
	v_mov_b64_e32 v[8:9], s[6:7]
	v_mov_b64_e32 v[6:7], s[4:5]
	;; [unrolled: 1-line block ×3, first 2 shown]
	v_cmp_gt_i32_e32 vcc, s31, v30
	v_mov_b64_e32 v[4:5], v[8:9]
	s_and_saveexec_b64 s[2:3], vcc
	s_cbranch_execz .LBB97_26
; %bb.25:
	v_lshlrev_b32_e32 v2, 8, v30
	v_mov_b32_e32 v3, 0
	v_lshl_add_u64 v[4:5], s[0:1], 0, v[2:3]
	v_lshlrev_b32_e32 v2, 1, v18
	v_lshl_add_u64 v[10:11], v[4:5], 0, v[2:3]
	global_load_dwordx4 v[6:9], v[10:11], off
	global_load_dwordx4 v[2:5], v[10:11], off offset:128
.LBB97_26:
	s_or_b64 exec, exec, s[2:3]
	s_mov_b32 s6, s4
	s_mov_b32 s7, s4
	;; [unrolled: 1-line block ×3, first 2 shown]
	v_mov_b64_e32 v[16:17], s[6:7]
	v_mov_b64_e32 v[14:15], s[4:5]
	;; [unrolled: 1-line block ×3, first 2 shown]
	v_cmp_gt_i32_e32 vcc, s31, v20
	v_lshlrev_b32_e32 v21, 7, v20
	v_mov_b64_e32 v[12:13], v[16:17]
	s_and_saveexec_b64 s[2:3], vcc
	s_cbranch_execz .LBB97_28
; %bb.27:
	v_lshlrev_b32_e32 v10, 1, v21
	v_mov_b32_e32 v11, 0
	v_lshl_add_u64 v[12:13], s[0:1], 0, v[10:11]
	v_lshlrev_b32_e32 v10, 1, v18
	v_lshl_add_u64 v[26:27], v[12:13], 0, v[10:11]
	global_load_dwordx4 v[14:17], v[26:27], off
	global_load_dwordx4 v[10:13], v[26:27], off offset:128
.LBB97_28:
	s_or_b64 exec, exec, s[2:3]
	v_lshrrev_b32_e32 v25, 3, v18
	v_lshlrev_b32_e32 v26, 3, v30
	v_or_b32_e32 v25, v26, v25
	v_lshlrev_b32_e32 v25, 4, v25
	v_and_b32_e32 v26, 0x78, v26
	v_xor_b32_e32 v25, v25, v26
	s_branch .LBB97_31
.LBB97_29:
                                        ; implicit-def: $vgpr25
                                        ; implicit-def: $vgpr21
                                        ; implicit-def: $vgpr6_vgpr7_vgpr8_vgpr9
                                        ; implicit-def: $vgpr2_vgpr3_vgpr4_vgpr5
                                        ; implicit-def: $vgpr14_vgpr15_vgpr16_vgpr17
                                        ; implicit-def: $vgpr10_vgpr11_vgpr12_vgpr13
	s_cbranch_execz .LBB97_31
; %bb.30:
	s_waitcnt vmcnt(0)
	v_lshlrev_b32_e32 v2, 1, v18
	v_lshl_or_b32 v21, v30, 8, v2
	s_and_b32 s1, s1, 0xffff
	s_mov_b32 s3, 0x20000
	s_movk_i32 s2, 0x4000
	v_lshl_or_b32 v25, v20, 8, v2
	s_movk_i32 s4, 0x80
	buffer_load_dwordx4 v[6:9], v21, s[0:3], 0 offen
	buffer_load_dwordx4 v[2:5], v21, s[0:3], s4 offen
	;; [unrolled: 1-line block ×4, first 2 shown]
	v_lshrrev_b32_e32 v21, 3, v18
	v_lshlrev_b32_e32 v25, 3, v30
	v_or_b32_e32 v21, v25, v21
	v_lshlrev_b32_e32 v21, 4, v21
	v_and_b32_e32 v25, 0x78, v25
	v_xor_b32_e32 v25, v21, v25
	v_lshlrev_b32_e32 v21, 7, v20
.LBB97_31:
	s_movk_i32 s0, 0x1000
	v_and_or_b32 v20, v21, s0, v25
	s_waitcnt vmcnt(1)
	ds_write_b64 v25, v[6:7] offset:49152
	v_xor_b32_e32 v6, 8, v25
	ds_write_b64 v6, v[8:9] offset:49152
	s_waitcnt vmcnt(0)
	ds_write_b64 v25, v[2:3] offset:57344
	ds_write_b64 v6, v[4:5] offset:57344
	;; [unrolled: 1-line block ×3, first 2 shown]
	v_xor_b32_e32 v2, 8, v20
	ds_write_b64 v2, v[16:17] offset:49152
	ds_write_b64 v20, v[10:11] offset:57344
	;; [unrolled: 1-line block ×3, first 2 shown]
	v_or_b32_e32 v2, v86, v88
	v_lshlrev_b32_e32 v2, 3, v2
	v_lshrrev_b32_e32 v3, 5, v35
	s_movk_i32 s0, 0xf8
	v_and_or_b32 v3, v2, s0, v3
	v_lshlrev_b32_e32 v7, 4, v3
	v_lshlrev_b32_e32 v25, 11, v1
	v_and_b32_e32 v8, 0x78, v2
	v_or_b32_e32 v10, 32, v7
	v_and_b32_e32 v6, 0x1000, v25
	v_lshrrev_b32_e32 v3, 1, v35
	v_xor_b32_e32 v10, v10, v8
	v_xor_b32_e32 v2, v7, v8
	v_and_b32_e32 v9, 8, v3
	v_or_b32_e32 v10, v10, v6
	v_or_b32_e32 v2, v2, v6
	v_xor_b32_e32 v32, v10, v9
	v_or_b32_e32 v10, 64, v7
	v_xor_b32_e32 v31, v2, v9
	v_xor_b32_e32 v10, v10, v8
	s_waitcnt lgkmcnt(0)
	s_barrier
	v_or_b32_e32 v13, v10, v6
	ds_read_b64 v[10:11], v31 offset:49152
	v_lshl_or_b32 v14, v87, 8, v24
	v_lshlrev_b32_e32 v26, 1, v14
	v_add_u32_e32 v12, 0x4000, v26
	ds_read2_b64 v[2:5], v12 offset1:16
	v_or_b32_e32 v7, 0x60, v7
	v_xor_b32_e32 v7, v7, v8
	v_or_b32_e32 v6, v7, v6
	v_xor_b32_e32 v33, v13, v9
	v_xor_b32_e32 v77, v6, v9
	ds_read_b64 v[20:21], v32 offset:49152
	ds_read_b64 v[78:79], v33 offset:49152
	;; [unrolled: 1-line block ×3, first 2 shown]
	s_waitcnt lgkmcnt(3)
	v_mfma_f32_16x16x16_bf16 a[0:3], v[10:11], v[2:3], 0
	ds_read2st64_b64 v[6:9], v26 offset0:36 offset1:40
	s_lshl_b64 s[0:1], s[28:29], 8
	s_add_u32 s4, s12, s0
	v_mfma_f32_16x16x16_bf16 a[4:7], v[10:11], v[4:5], 0
	ds_read2_b64 v[2:5], v12 offset0:32 offset1:48
	s_addc_u32 s5, s13, s1
	s_add_i32 s1, s47, s33
	s_waitcnt lgkmcnt(0)
	v_mfma_f32_16x16x16_bf16 a[8:11], v[10:11], v[2:3], 0
	v_or_b32_e32 v2, 64, v14
	v_lshlrev_b32_e32 v27, 1, v2
	s_add_i32 s0, s39, -1
	v_mfma_f32_16x16x16_bf16 a[12:15], v[10:11], v[4:5], 0
	ds_read2st64_b64 v[2:5], v27 offset0:36 offset1:40
	s_add_i32 s43, s1, s46
	s_add_i32 s1, s49, s48
	v_mfma_f32_16x16x16_bf16 a[0:3], v[20:21], v[6:7], a[0:3]
	v_or_b32_e32 v6, 0x80, v14
	v_lshlrev_b32_e32 v28, 1, v6
	ds_read2st64_b64 v[10:13], v28 offset0:36 offset1:40
	s_waitcnt lgkmcnt(1)
	v_mfma_f32_16x16x16_bf16 a[4:7], v[20:21], v[2:3], a[4:7]
	v_or_b32_e32 v2, 0xc0, v14
	v_lshlrev_b32_e32 v29, 1, v2
	ds_read2st64_b64 v[14:17], v29 offset0:36 offset1:40
	s_add_i32 s41, s1, s50
	s_ashr_i32 s1, s0, 31
	s_mul_i32 s2, s0, s37
	s_mul_hi_u32 s3, s0, s36
	s_add_i32 s2, s3, s2
	s_mul_i32 s1, s1, s36
	s_waitcnt lgkmcnt(1)
	v_mfma_f32_16x16x16_bf16 a[8:11], v[20:21], v[10:11], a[8:11]
	s_add_i32 s1, s2, s1
	s_lshl_b64 s[2:3], s[42:43], 2
	s_add_u32 s6, s18, s2
	s_waitcnt lgkmcnt(0)
	v_mfma_f32_16x16x16_bf16 a[12:15], v[20:21], v[14:15], a[12:15]
	s_addc_u32 s7, s19, s3
	s_lshl_b64 s[2:3], s[40:41], 2
	s_mul_i32 s0, s0, s36
	v_mfma_f32_16x16x16_bf16 a[0:3], v[78:79], v[8:9], a[0:3]
	ds_read_b64 v[2:3], v26 offset:22528
	s_add_u32 s12, s6, s2
	s_addc_u32 s13, s7, s3
	v_mfma_f32_16x16x16_bf16 a[4:7], v[78:79], v[4:5], a[4:7]
	ds_read_b64 v[4:5], v27 offset:22528
	ds_read_b64 v[6:7], v28 offset:22528
	;; [unrolled: 1-line block ×3, first 2 shown]
	s_lshl_b64 s[0:1], s[0:1], 2
	s_add_u32 s0, s12, s0
	v_mfma_f32_16x16x16_bf16 a[8:11], v[78:79], v[12:13], a[8:11]
	s_addc_u32 s1, s13, s1
	s_load_dword s18, s[0:1], 0x0
	s_and_b64 vcc, exec, s[26:27]
	v_mfma_f32_16x16x16_bf16 a[12:15], v[78:79], v[16:17], a[12:15]
	s_waitcnt lgkmcnt(0)
	v_mfma_f32_16x16x16_bf16 a[0:3], v[80:81], v[2:3], a[0:3]
	v_mfma_f32_16x16x16_bf16 a[4:7], v[80:81], v[4:5], a[4:7]
	;; [unrolled: 1-line block ×4, first 2 shown]
	s_cbranch_vccz .LBB97_42
; %bb.32:
	v_lshlrev_b32_e32 v20, 1, v30
	s_and_b64 vcc, exec, s[14:15]
	s_cbranch_vccz .LBB97_43
; %bb.33:
	v_cmp_gt_i32_e32 vcc, s31, v20
	v_mov_b32_e32 v6, 0
	v_mov_b32_e32 v2, 0
	;; [unrolled: 1-line block ×5, first 2 shown]
	s_and_saveexec_b64 s[0:1], vcc
	s_cbranch_execz .LBB97_35
; %bb.34:
	v_mad_i64_i32 v[2:3], s[2:3], s23, v20, 0
	v_lshl_add_u64 v[2:3], v[2:3], 1, s[4:5]
	v_lshlrev_b32_e32 v4, 1, v18
	v_mov_b32_e32 v5, 0
	v_lshl_add_u64 v[2:3], v[2:3], 0, v[4:5]
	global_load_dwordx4 v[2:5], v[2:3], off
.LBB97_35:
	s_or_b64 exec, exec, s[0:1]
	v_or_b32_e32 v21, 1, v20
	v_cmp_gt_i32_e64 s[0:1], s31, v21
	v_mov_b32_e32 v7, 0
	v_mov_b32_e32 v8, 0
	;; [unrolled: 1-line block ×3, first 2 shown]
	s_and_saveexec_b64 s[2:3], s[0:1]
	s_cbranch_execz .LBB97_37
; %bb.36:
	v_mad_i64_i32 v[6:7], s[6:7], s23, v21, 0
	v_lshl_add_u64 v[6:7], v[6:7], 1, s[4:5]
	v_lshlrev_b32_e32 v8, 1, v18
	v_mov_b32_e32 v9, 0
	v_lshl_add_u64 v[6:7], v[6:7], 0, v[8:9]
	global_load_dwordx4 v[6:9], v[6:7], off
.LBB97_37:
	s_or_b64 exec, exec, s[2:3]
	v_mov_b32_e32 v17, 0
	v_mov_b32_e32 v10, 0
	;; [unrolled: 1-line block ×5, first 2 shown]
	s_and_saveexec_b64 s[2:3], vcc
	s_cbranch_execz .LBB97_39
; %bb.38:
	v_mad_i64_i32 v[10:11], s[6:7], s23, v20, 0
	v_lshl_add_u64 v[10:11], v[10:11], 1, s[4:5]
	v_lshlrev_b32_e32 v12, 1, v18
	v_mov_b32_e32 v13, 0
	v_lshl_add_u64 v[10:11], v[10:11], 0, v[12:13]
	global_load_dwordx4 v[10:13], v[10:11], off offset:128
.LBB97_39:
	s_or_b64 exec, exec, s[2:3]
	v_mov_b32_e32 v16, 0
	v_mov_b32_e32 v15, 0
	;; [unrolled: 1-line block ×3, first 2 shown]
	s_and_saveexec_b64 s[2:3], s[0:1]
	s_cbranch_execz .LBB97_41
; %bb.40:
	v_mad_i64_i32 v[14:15], s[0:1], s23, v21, 0
	v_lshl_add_u64 v[14:15], v[14:15], 1, s[4:5]
	v_lshlrev_b32_e32 v16, 1, v18
	v_mov_b32_e32 v17, 0
	v_lshl_add_u64 v[14:15], v[14:15], 0, v[16:17]
	global_load_dwordx4 v[14:17], v[14:15], off offset:128
.LBB97_41:
	s_or_b64 exec, exec, s[2:3]
	s_branch .LBB97_45
.LBB97_42:
                                        ; implicit-def: $vgpr5
                                        ; implicit-def: $vgpr9
                                        ; implicit-def: $vgpr13
                                        ; implicit-def: $vgpr17
	v_lshrrev_b32_e32 v35, 2, v35
	s_branch .LBB97_46
.LBB97_43:
                                        ; implicit-def: $vgpr5
                                        ; implicit-def: $vgpr9
                                        ; implicit-def: $vgpr13
                                        ; implicit-def: $vgpr17
	s_cbranch_execz .LBB97_45
; %bb.44:
	s_waitcnt vmcnt(0)
	v_mad_u64_u32 v[2:3], s[0:1], v20, s23, v[18:19]
	v_lshlrev_b32_e32 v20, 1, v2
	s_lshl_b32 s2, s23, 7
	s_and_b32 s1, s5, 0xffff
	s_mov_b32 s3, 0x20000
	s_mov_b32 s0, s4
	v_add_lshl_u32 v21, v2, s23, 1
	s_movk_i32 s6, 0x80
	buffer_load_dwordx4 v[2:5], v20, s[0:3], 0 offen
	buffer_load_dwordx4 v[10:13], v20, s[0:3], s6 offen
	;; [unrolled: 1-line block ×4, first 2 shown]
.LBB97_45:
	v_lshrrev_b32_e32 v35, 2, v35
	s_cbranch_execnz .LBB97_58
.LBB97_46:
	s_and_b64 vcc, exec, s[14:15]
	s_cbranch_vccz .LBB97_56
; %bb.47:
	s_waitcnt vmcnt(0)
	v_lshlrev_b32_e32 v7, 1, v30
	v_cmp_gt_i32_e32 vcc, s31, v7
	v_mov_b32_e32 v6, 0
	v_lshlrev_b32_e32 v14, 9, v30
	v_mov_b32_e32 v2, 0
	v_mov_b32_e32 v3, 0
	;; [unrolled: 1-line block ×4, first 2 shown]
	s_and_saveexec_b64 s[0:1], vcc
	s_cbranch_execz .LBB97_49
; %bb.48:
	v_mov_b32_e32 v15, 0
	v_lshl_add_u64 v[2:3], s[4:5], 0, v[14:15]
	v_lshlrev_b32_e32 v4, 1, v18
	v_mov_b32_e32 v5, v15
	v_lshl_add_u64 v[2:3], v[2:3], 0, v[4:5]
	global_load_dwordx4 v[2:5], v[2:3], off
.LBB97_49:
	s_or_b64 exec, exec, s[0:1]
	v_or_b32_e32 v7, 1, v7
	v_cmp_gt_i32_e64 s[0:1], s31, v7
	v_lshlrev_b32_e32 v20, 8, v7
	v_mov_b32_e32 v7, 0
	v_mov_b32_e32 v8, 0
	;; [unrolled: 1-line block ×3, first 2 shown]
	s_and_saveexec_b64 s[2:3], s[0:1]
	s_cbranch_execz .LBB97_51
; %bb.50:
	v_mov_b32_e32 v21, 0
	v_lshl_add_u64 v[6:7], s[4:5], 0, v[20:21]
	v_lshlrev_b32_e32 v8, 1, v18
	v_mov_b32_e32 v9, v21
	v_lshl_add_u64 v[6:7], v[6:7], 0, v[8:9]
	global_load_dwordx4 v[6:9], v[6:7], off
.LBB97_51:
	s_or_b64 exec, exec, s[2:3]
	v_mov_b32_e32 v17, 0
	v_mov_b32_e32 v10, 0
	;; [unrolled: 1-line block ×5, first 2 shown]
	s_and_saveexec_b64 s[2:3], vcc
	s_cbranch_execz .LBB97_53
; %bb.52:
	v_mov_b32_e32 v15, 0
	v_lshl_add_u64 v[10:11], s[4:5], 0, v[14:15]
	v_lshlrev_b32_e32 v14, 1, v18
	v_lshl_add_u64 v[10:11], v[10:11], 0, v[14:15]
	global_load_dwordx4 v[10:13], v[10:11], off offset:128
.LBB97_53:
	s_or_b64 exec, exec, s[2:3]
	v_mov_b32_e32 v16, 0
	v_mov_b32_e32 v15, 0
	;; [unrolled: 1-line block ×3, first 2 shown]
	s_and_saveexec_b64 s[2:3], s[0:1]
	s_cbranch_execz .LBB97_55
; %bb.54:
	v_mov_b32_e32 v21, 0
	v_lshl_add_u64 v[14:15], s[4:5], 0, v[20:21]
	v_lshlrev_b32_e32 v20, 1, v18
	v_lshl_add_u64 v[14:15], v[14:15], 0, v[20:21]
	global_load_dwordx4 v[14:17], v[14:15], off offset:128
.LBB97_55:
	s_or_b64 exec, exec, s[2:3]
	s_branch .LBB97_58
.LBB97_56:
                                        ; implicit-def: $vgpr5
                                        ; implicit-def: $vgpr9
                                        ; implicit-def: $vgpr13
                                        ; implicit-def: $vgpr17
	s_cbranch_execz .LBB97_58
; %bb.57:
	s_waitcnt vmcnt(0)
	v_lshlrev_b32_e32 v2, 1, v18
	v_lshl_or_b32 v18, v30, 9, v2
	s_and_b32 s5, s5, 0xffff
	s_mov_b32 s7, 0x20000
	s_movk_i32 s6, 0x4000
	s_movk_i32 s0, 0x80
	buffer_load_dwordx4 v[2:5], v18, s[4:7], 0 offen
	buffer_load_dwordx4 v[6:9], v18, s[4:7], 0 offen offset:256
	buffer_load_dwordx4 v[10:13], v18, s[4:7], s0 offen
	buffer_load_dwordx4 v[14:17], v18, s[4:7], s0 offen offset:256
.LBB97_58:
	ds_read_b64 v[20:21], v31 offset:57344
	v_add_u32_e32 v18, 0x6000, v26
	ds_read2_b64 v[78:81], v18 offset1:16
	ds_read_b64 v[96:97], v32 offset:57344
	ds_read_b64 v[32:33], v33 offset:57344
	;; [unrolled: 1-line block ×3, first 2 shown]
	ds_read2st64_b64 v[82:85], v26 offset0:52 offset1:56
	v_and_b32_e32 v31, 1, v0
	v_cmp_eq_u32_e32 vcc, 0, v31
	s_mov_b32 s0, 0x1000504
	s_waitcnt vmcnt(0)
	v_perm_b32 v31, v10, v14, s0
	s_mov_b32 s1, 0x3020706
	s_waitcnt lgkmcnt(4)
	v_mfma_f32_16x16x16_bf16 a[0:3], v[20:21], v[78:79], a[0:3]
	v_mfma_f32_16x16x16_bf16 a[4:7], v[20:21], v[80:81], a[4:7]
	ds_read2_b64 v[78:81], v18 offset0:32 offset1:48
	v_and_b32_e32 v18, 6, v0
	v_xor_b32_e32 v30, v30, v18
	s_waitcnt lgkmcnt(0)
	v_mfma_f32_16x16x16_bf16 a[8:11], v[20:21], v[78:79], a[8:11]
	v_lshlrev_b32_e32 v30, 2, v30
	v_xor_b32_e32 v77, 0x440, v30
	v_cndmask_b32_e32 v30, v77, v30, vcc
	v_mfma_f32_16x16x16_bf16 a[12:15], v[20:21], v[80:81], a[12:15]
	ds_read2st64_b64 v[78:81], v27 offset0:52 offset1:56
	ds_read2st64_b64 v[88:91], v28 offset0:52 offset1:56
	;; [unrolled: 1-line block ×3, first 2 shown]
	v_lshl_or_b32 v18, v18, 10, v30
	v_perm_b32 v30, v2, v6, s0
	v_mfma_f32_16x16x16_bf16 a[0:3], v[96:97], v[82:83], a[0:3]
	ds_read_b64 v[20:21], v26 offset:30720
	ds_read_b64 v[82:83], v27 offset:30720
	;; [unrolled: 1-line block ×4, first 2 shown]
	ds_write2st64_b32 v18, v30, v31 offset0:128 offset1:160
	v_xor_b32_e32 v30, 8, v18
	s_waitcnt lgkmcnt(7)
	v_mfma_f32_16x16x16_bf16 a[4:7], v[96:97], v[78:79], a[4:7]
	v_perm_b32 v2, v2, v6, s1
	v_perm_b32 v6, v10, v14, s1
	v_add_u32_e32 v10, 0x80, v30
	s_waitcnt lgkmcnt(6)
	v_mfma_f32_16x16x16_bf16 a[8:11], v[96:97], v[88:89], a[8:11]
	ds_write2st64_b32 v10, v2, v6 offset0:128 offset1:160
	v_xor_b32_e32 v2, 16, v18
	v_perm_b32 v6, v3, v7, s0
	s_waitcnt lgkmcnt(6)
	v_mfma_f32_16x16x16_bf16 a[12:15], v[96:97], v[92:93], a[12:15]
	v_perm_b32 v10, v11, v15, s0
	ds_write2st64_b32 v2, v6, v10 offset0:129 offset1:161
	v_xor_b32_e32 v2, 24, v18
	v_mfma_f32_16x16x16_bf16 a[0:3], v[32:33], v[84:85], a[0:3]
	v_perm_b32 v3, v3, v7, s1
	v_perm_b32 v6, v11, v15, s1
	v_add_u32_e32 v2, 0x80, v2
	v_mfma_f32_16x16x16_bf16 a[4:7], v[32:33], v[80:81], a[4:7]
	ds_write2st64_b32 v2, v3, v6 offset0:129 offset1:161
	v_xor_b32_e32 v2, 32, v18
	v_perm_b32 v3, v4, v8, s0
	v_mfma_f32_16x16x16_bf16 a[16:19], v[32:33], v[90:91], a[8:11]
	v_perm_b32 v6, v12, v16, s0
	ds_write2st64_b32 v2, v3, v6 offset0:130 offset1:162
	v_xor_b32_e32 v2, 40, v18
	v_mfma_f32_16x16x16_bf16 a[20:23], v[32:33], v[94:95], a[12:15]
	v_perm_b32 v3, v4, v8, s1
	v_perm_b32 v4, v12, v16, s1
	v_add_u32_e32 v2, 0x80, v2
	s_waitcnt lgkmcnt(8)
	v_mfma_f32_16x16x16_bf16 a[12:15], v[98:99], v[20:21], a[0:3]
	ds_write2st64_b32 v2, v3, v4 offset0:130 offset1:162
	v_xor_b32_e32 v2, 48, v18
	v_perm_b32 v3, v5, v9, s0
	s_waitcnt lgkmcnt(8)
	v_mfma_f32_16x16x16_bf16 a[8:11], v[98:99], v[82:83], a[4:7]
	v_perm_b32 v4, v13, v17, s0
	ds_write2st64_b32 v2, v3, v4 offset0:131 offset1:163
	v_xor_b32_e32 v2, 56, v18
	s_waitcnt lgkmcnt(8)
	v_mfma_f32_16x16x16_bf16 a[4:7], v[98:99], v[100:101], a[16:19]
	v_and_or_b32 v31, v35, 12, v86
	v_perm_b32 v3, v5, v9, s1
	v_perm_b32 v4, v13, v17, s1
	s_waitcnt lgkmcnt(7)
	v_mfma_f32_16x16x16_bf16 a[0:3], v[98:99], v[102:103], a[20:23]
	v_add_u32_e32 v2, 0x80, v2
	v_cmp_gt_i32_e32 vcc, s31, v31
	v_mov_b32_e32 v20, 0
	v_mov_b32_e32 v21, 0
	ds_write2st64_b32 v2, v3, v4 offset0:131 offset1:163
	s_and_saveexec_b64 s[0:1], vcc
	s_cbranch_execz .LBB97_60
; %bb.59:
	v_add_u32_e32 v2, s30, v31
	v_ashrrev_i32_e32 v3, 31, v2
	v_mul_lo_u32 v4, v3, s36
	v_mul_lo_u32 v5, v2, s37
	v_mad_u64_u32 v[2:3], s[2:3], v2, s36, 0
	v_add3_u32 v3, v3, v5, v4
	v_lshl_add_u64 v[2:3], v[2:3], 2, s[12:13]
	global_load_dword v2, v[2:3], off
	s_waitcnt vmcnt(0)
	v_sub_f32_e32 v2, s18, v2
	v_mul_f32_e32 v2, 0x3fb8aa3b, v2
	v_exp_f32_e32 v21, v2
.LBB97_60:
	s_or_b64 exec, exec, s[0:1]
	v_or_b32_e32 v11, 1, v31
	v_cmp_gt_i32_e64 s[2:3], s31, v11
	s_and_saveexec_b64 s[0:1], s[2:3]
	s_cbranch_execz .LBB97_62
; %bb.61:
	v_add_u32_e32 v2, s30, v11
	v_ashrrev_i32_e32 v3, 31, v2
	v_mul_lo_u32 v4, v3, s36
	v_mul_lo_u32 v5, v2, s37
	v_mad_u64_u32 v[2:3], s[4:5], v2, s36, 0
	v_add3_u32 v3, v3, v5, v4
	v_lshl_add_u64 v[2:3], v[2:3], 2, s[12:13]
	global_load_dword v2, v[2:3], off
	s_waitcnt vmcnt(0)
	v_sub_f32_e32 v2, s18, v2
	v_mul_f32_e32 v2, 0x3fb8aa3b, v2
	v_exp_f32_e32 v20, v2
.LBB97_62:
	s_or_b64 exec, exec, s[0:1]
	v_or_b32_e32 v10, 2, v31
	v_cmp_gt_i32_e64 s[4:5], s31, v10
	v_mov_b32_e32 v18, 0
	v_mov_b32_e32 v30, 0
	s_and_saveexec_b64 s[0:1], s[4:5]
	s_cbranch_execz .LBB97_64
; %bb.63:
	v_add_u32_e32 v2, s30, v10
	v_ashrrev_i32_e32 v3, 31, v2
	v_mul_lo_u32 v4, v3, s36
	v_mul_lo_u32 v5, v2, s37
	v_mad_u64_u32 v[2:3], s[6:7], v2, s36, 0
	v_add3_u32 v3, v3, v5, v4
	v_lshl_add_u64 v[2:3], v[2:3], 2, s[12:13]
	global_load_dword v2, v[2:3], off
	s_waitcnt vmcnt(0)
	v_sub_f32_e32 v2, s18, v2
	v_mul_f32_e32 v2, 0x3fb8aa3b, v2
	v_exp_f32_e32 v30, v2
.LBB97_64:
	s_or_b64 exec, exec, s[0:1]
	v_or_b32_e32 v32, 3, v31
	v_cmp_gt_i32_e64 s[0:1], s31, v32
	s_and_saveexec_b64 s[6:7], s[0:1]
	s_cbranch_execz .LBB97_66
; %bb.65:
	v_add_u32_e32 v2, s30, v32
	v_ashrrev_i32_e32 v3, 31, v2
	v_mul_lo_u32 v4, v3, s36
	v_mul_lo_u32 v5, v2, s37
	v_mad_u64_u32 v[2:3], s[14:15], v2, s36, 0
	v_add3_u32 v3, v3, v5, v4
	v_lshl_add_u64 v[2:3], v[2:3], 2, s[12:13]
	global_load_dword v2, v[2:3], off
	s_waitcnt vmcnt(0)
	v_sub_f32_e32 v2, s18, v2
	v_mul_f32_e32 v2, 0x3fb8aa3b, v2
	v_exp_f32_e32 v18, v2
.LBB97_66:
	s_or_b64 exec, exec, s[6:7]
	s_add_u32 s6, s16, s24
	s_addc_u32 s7, s17, s25
	s_add_u32 s8, s8, s24
	v_ashrrev_i32_e32 v77, 31, v76
	v_accvgpr_read_b32 v2, a12
	s_addc_u32 s9, s9, s25
	v_lshlrev_b64 v[6:7], 1, v[76:77]
	v_accvgpr_read_b32 v3, a13
	v_accvgpr_read_b32 v4, a14
	v_accvgpr_read_b32 v5, a15
	v_lshl_add_u64 v[8:9], s[6:7], 0, v[6:7]
	v_lshl_add_u64 v[6:7], s[8:9], 0, v[6:7]
	v_mov_b32_e32 v15, 0
	v_lshlrev_b32_e32 v12, 8, v31
	v_mov_b32_e32 v13, 0
	s_and_saveexec_b64 s[6:7], vcc
	s_cbranch_execz .LBB97_68
; %bb.67:
	v_mov_b32_e32 v13, 0
	v_lshl_add_u64 v[16:17], v[8:9], 0, v[12:13]
	global_load_ushort v14, v[16:17], off
	v_lshl_add_u64 v[16:17], v[6:7], 0, v[12:13]
	s_waitcnt vmcnt(0)
	v_lshlrev_b32_e32 v13, 16, v14
	v_sub_f32_e32 v2, v13, v2
	global_store_short_d16_hi v[16:17], v2, off
	v_mul_f32_e32 v2, v21, v2
	v_lshrrev_b32_e32 v13, 16, v2
.LBB97_68:
	s_or_b64 exec, exec, s[6:7]
	v_lshlrev_b32_e32 v14, 8, v11
	s_and_saveexec_b64 s[6:7], s[2:3]
	s_cbranch_execz .LBB97_70
; %bb.69:
	v_mov_b32_e32 v15, 0
	v_lshl_add_u64 v[16:17], v[8:9], 0, v[14:15]
	global_load_ushort v2, v[16:17], off
	v_lshl_add_u64 v[16:17], v[6:7], 0, v[14:15]
	s_waitcnt vmcnt(0)
	v_lshlrev_b32_e32 v2, 16, v2
	v_sub_f32_e32 v2, v2, v3
	global_store_short_d16_hi v[16:17], v2, off
	v_mul_f32_e32 v2, v20, v2
	v_lshrrev_b32_e32 v15, 16, v2
.LBB97_70:
	s_or_b64 exec, exec, s[6:7]
	v_mov_b32_e32 v11, 0
	v_lshlrev_b32_e32 v16, 8, v10
	v_mov_b32_e32 v17, 0
	s_and_saveexec_b64 s[6:7], s[4:5]
	s_cbranch_execz .LBB97_72
; %bb.71:
	v_mov_b32_e32 v17, 0
	v_lshl_add_u64 v[2:3], v[8:9], 0, v[16:17]
	global_load_ushort v10, v[2:3], off
	v_lshl_add_u64 v[2:3], v[6:7], 0, v[16:17]
	s_waitcnt vmcnt(0)
	v_lshlrev_b32_e32 v10, 16, v10
	v_sub_f32_e32 v4, v10, v4
	global_store_short_d16_hi v[2:3], v4, off
	v_mul_f32_e32 v2, v30, v4
	v_lshrrev_b32_e32 v17, 16, v2
.LBB97_72:
	s_or_b64 exec, exec, s[6:7]
	v_lshlrev_b32_e32 v10, 8, v32
	s_and_saveexec_b64 s[6:7], s[0:1]
	s_cbranch_execz .LBB97_74
; %bb.73:
	v_mov_b32_e32 v11, 0
	v_lshl_add_u64 v[2:3], v[8:9], 0, v[10:11]
	global_load_ushort v4, v[2:3], off
	v_lshl_add_u64 v[2:3], v[6:7], 0, v[10:11]
	s_waitcnt vmcnt(0)
	v_lshlrev_b32_e32 v4, 16, v4
	v_sub_f32_e32 v4, v4, v5
	global_store_short_d16_hi v[2:3], v4, off
	v_mul_f32_e32 v2, v18, v4
	v_lshrrev_b32_e32 v11, 16, v2
.LBB97_74:
	s_or_b64 exec, exec, s[6:7]
	v_lshlrev_b32_e32 v31, 6, v31
	s_mov_b32 s6, 0x5040100
	v_accvgpr_read_b32 v2, a8
	v_perm_b32 v33, v11, v17, s6
	v_or_b32_e32 v11, v31, v24
	v_accvgpr_read_b32 v3, a9
	v_accvgpr_read_b32 v4, a10
	;; [unrolled: 1-line block ×3, first 2 shown]
	v_perm_b32 v32, v15, v13, s6
	v_lshlrev_b32_e32 v11, 1, v11
	v_mov_b32_e32 v15, 0
	v_mov_b32_e32 v13, 0
	ds_write_b64 v11, v[32:33] offset:24576
	s_and_saveexec_b64 s[6:7], vcc
	s_cbranch_execz .LBB97_76
; %bb.75:
	v_mov_b32_e32 v13, 0
	v_lshl_add_u64 v[32:33], v[8:9], 0, v[12:13]
	global_load_ushort v11, v[32:33], off offset:32
	v_lshl_add_u64 v[32:33], v[6:7], 0, v[12:13]
	s_waitcnt vmcnt(0)
	v_lshlrev_b32_e32 v11, 16, v11
	v_sub_f32_e32 v2, v11, v2
	global_store_short_d16_hi v[32:33], v2, off offset:32
	v_mul_f32_e32 v2, v21, v2
	v_lshrrev_b32_e32 v13, 16, v2
.LBB97_76:
	s_or_b64 exec, exec, s[6:7]
	s_and_saveexec_b64 s[6:7], s[2:3]
	s_cbranch_execz .LBB97_78
; %bb.77:
	v_mov_b32_e32 v15, 0
	v_lshl_add_u64 v[32:33], v[8:9], 0, v[14:15]
	global_load_ushort v2, v[32:33], off offset:32
	v_lshl_add_u64 v[32:33], v[6:7], 0, v[14:15]
	s_waitcnt vmcnt(0)
	v_lshlrev_b32_e32 v2, 16, v2
	v_sub_f32_e32 v2, v2, v3
	global_store_short_d16_hi v[32:33], v2, off offset:32
	v_mul_f32_e32 v2, v20, v2
	v_lshrrev_b32_e32 v15, 16, v2
.LBB97_78:
	s_or_b64 exec, exec, s[6:7]
	v_mov_b32_e32 v11, 0
	v_mov_b32_e32 v17, 0
	s_and_saveexec_b64 s[6:7], s[4:5]
	s_cbranch_execz .LBB97_80
; %bb.79:
	v_mov_b32_e32 v17, 0
	v_lshl_add_u64 v[2:3], v[8:9], 0, v[16:17]
	global_load_ushort v24, v[2:3], off offset:32
	v_lshl_add_u64 v[2:3], v[6:7], 0, v[16:17]
	s_waitcnt vmcnt(0)
	v_lshlrev_b32_e32 v17, 16, v24
	v_sub_f32_e32 v4, v17, v4
	global_store_short_d16_hi v[2:3], v4, off offset:32
	v_mul_f32_e32 v2, v30, v4
	v_lshrrev_b32_e32 v17, 16, v2
.LBB97_80:
	s_or_b64 exec, exec, s[6:7]
	s_and_saveexec_b64 s[6:7], s[0:1]
	s_cbranch_execz .LBB97_82
; %bb.81:
	v_mov_b32_e32 v11, 0
	v_lshl_add_u64 v[2:3], v[8:9], 0, v[10:11]
	global_load_ushort v4, v[2:3], off offset:32
	v_lshl_add_u64 v[2:3], v[6:7], 0, v[10:11]
	s_waitcnt vmcnt(0)
	v_lshlrev_b32_e32 v4, 16, v4
	v_sub_f32_e32 v4, v4, v5
	global_store_short_d16_hi v[2:3], v4, off offset:32
	v_mul_f32_e32 v2, v18, v4
	v_lshrrev_b32_e32 v11, 16, v2
.LBB97_82:
	s_or_b64 exec, exec, s[6:7]
	s_mov_b32 s6, 0x5040100
	v_accvgpr_read_b32 v2, a4
	v_perm_b32 v33, v11, v17, s6
	v_or_b32_e32 v11, v31, v23
	v_accvgpr_read_b32 v3, a5
	v_accvgpr_read_b32 v4, a6
	;; [unrolled: 1-line block ×3, first 2 shown]
	v_perm_b32 v32, v15, v13, s6
	v_lshlrev_b32_e32 v11, 1, v11
	v_mov_b32_e32 v15, 0
	v_mov_b32_e32 v13, 0
	ds_write_b64 v11, v[32:33] offset:24576
	s_and_saveexec_b64 s[6:7], vcc
	s_cbranch_execz .LBB97_84
; %bb.83:
	v_mov_b32_e32 v13, 0
	v_lshl_add_u64 v[32:33], v[8:9], 0, v[12:13]
	global_load_ushort v11, v[32:33], off offset:64
	v_lshl_add_u64 v[32:33], v[6:7], 0, v[12:13]
	s_waitcnt vmcnt(0)
	v_lshlrev_b32_e32 v11, 16, v11
	v_sub_f32_e32 v2, v11, v2
	global_store_short_d16_hi v[32:33], v2, off offset:64
	v_mul_f32_e32 v2, v21, v2
	v_lshrrev_b32_e32 v13, 16, v2
.LBB97_84:
	s_or_b64 exec, exec, s[6:7]
	s_and_saveexec_b64 s[6:7], s[2:3]
	s_cbranch_execz .LBB97_86
; %bb.85:
	v_mov_b32_e32 v15, 0
	v_lshl_add_u64 v[32:33], v[8:9], 0, v[14:15]
	global_load_ushort v2, v[32:33], off offset:64
	v_lshl_add_u64 v[32:33], v[6:7], 0, v[14:15]
	s_waitcnt vmcnt(0)
	v_lshlrev_b32_e32 v2, 16, v2
	v_sub_f32_e32 v2, v2, v3
	global_store_short_d16_hi v[32:33], v2, off offset:64
	v_mul_f32_e32 v2, v20, v2
	v_lshrrev_b32_e32 v15, 16, v2
.LBB97_86:
	s_or_b64 exec, exec, s[6:7]
	v_mov_b32_e32 v11, 0
	v_mov_b32_e32 v17, 0
	s_and_saveexec_b64 s[6:7], s[4:5]
	s_cbranch_execz .LBB97_88
; %bb.87:
	v_mov_b32_e32 v17, 0
	v_lshl_add_u64 v[2:3], v[8:9], 0, v[16:17]
	global_load_ushort v23, v[2:3], off offset:64
	v_lshl_add_u64 v[2:3], v[6:7], 0, v[16:17]
	s_waitcnt vmcnt(0)
	v_lshlrev_b32_e32 v17, 16, v23
	v_sub_f32_e32 v4, v17, v4
	global_store_short_d16_hi v[2:3], v4, off offset:64
	v_mul_f32_e32 v2, v30, v4
	v_lshrrev_b32_e32 v17, 16, v2
.LBB97_88:
	s_or_b64 exec, exec, s[6:7]
	s_and_saveexec_b64 s[6:7], s[0:1]
	s_cbranch_execz .LBB97_90
; %bb.89:
	v_mov_b32_e32 v11, 0
	v_lshl_add_u64 v[2:3], v[8:9], 0, v[10:11]
	global_load_ushort v4, v[2:3], off offset:64
	v_lshl_add_u64 v[2:3], v[6:7], 0, v[10:11]
	s_waitcnt vmcnt(0)
	v_lshlrev_b32_e32 v4, 16, v4
	v_sub_f32_e32 v4, v4, v5
	global_store_short_d16_hi v[2:3], v4, off offset:64
	v_mul_f32_e32 v2, v18, v4
	v_lshrrev_b32_e32 v11, 16, v2
.LBB97_90:
	s_or_b64 exec, exec, s[6:7]
	s_mov_b32 s6, 0x5040100
	v_accvgpr_read_b32 v5, a3
	v_perm_b32 v33, v11, v17, s6
	v_or_b32_e32 v11, v31, v22
	v_accvgpr_read_b32 v4, a2
	v_accvgpr_read_b32 v3, a1
	;; [unrolled: 1-line block ×3, first 2 shown]
	v_perm_b32 v32, v15, v13, s6
	v_lshlrev_b32_e32 v11, 1, v11
	v_mov_b32_e32 v15, 0
	v_mov_b32_e32 v13, 0
	ds_write_b64 v11, v[32:33] offset:24576
	s_and_saveexec_b64 s[6:7], vcc
	s_cbranch_execz .LBB97_92
; %bb.91:
	v_mov_b32_e32 v13, 0
	v_lshl_add_u64 v[22:23], v[8:9], 0, v[12:13]
	global_load_ushort v11, v[22:23], off offset:96
	v_lshl_add_u64 v[12:13], v[6:7], 0, v[12:13]
	s_waitcnt vmcnt(0)
	v_lshlrev_b32_e32 v11, 16, v11
	v_sub_f32_e32 v2, v11, v2
	global_store_short_d16_hi v[12:13], v2, off offset:96
	v_mul_f32_e32 v2, v21, v2
	v_lshrrev_b32_e32 v13, 16, v2
.LBB97_92:
	s_or_b64 exec, exec, s[6:7]
	s_and_saveexec_b64 s[6:7], s[2:3]
	s_cbranch_execz .LBB97_94
; %bb.93:
	v_mov_b32_e32 v15, 0
	v_lshl_add_u64 v[22:23], v[8:9], 0, v[14:15]
	global_load_ushort v2, v[22:23], off offset:96
	v_lshl_add_u64 v[14:15], v[6:7], 0, v[14:15]
	s_waitcnt vmcnt(0)
	v_lshlrev_b32_e32 v2, 16, v2
	v_sub_f32_e32 v2, v2, v3
	global_store_short_d16_hi v[14:15], v2, off offset:96
	v_mul_f32_e32 v2, v20, v2
	v_lshrrev_b32_e32 v15, 16, v2
.LBB97_94:
	s_or_b64 exec, exec, s[6:7]
	v_mov_b32_e32 v11, 0
	v_mov_b32_e32 v14, 0
	s_and_saveexec_b64 s[2:3], s[4:5]
	s_cbranch_execz .LBB97_96
; %bb.95:
	v_mov_b32_e32 v17, 0
	v_lshl_add_u64 v[2:3], v[8:9], 0, v[16:17]
	global_load_ushort v12, v[2:3], off offset:96
	v_lshl_add_u64 v[2:3], v[6:7], 0, v[16:17]
	s_waitcnt vmcnt(0)
	v_lshlrev_b32_e32 v12, 16, v12
	v_sub_f32_e32 v4, v12, v4
	global_store_short_d16_hi v[2:3], v4, off offset:96
	v_mul_f32_e32 v2, v30, v4
	v_lshrrev_b32_e32 v14, 16, v2
.LBB97_96:
	s_or_b64 exec, exec, s[2:3]
	v_or_b32_e32 v12, 0x6000, v26
	v_or_b32_e32 v4, 0x6000, v27
	;; [unrolled: 1-line block ×4, first 2 shown]
	s_and_saveexec_b64 s[2:3], s[0:1]
	s_cbranch_execz .LBB97_98
; %bb.97:
	v_mov_b32_e32 v11, 0
	v_lshl_add_u64 v[8:9], v[8:9], 0, v[10:11]
	global_load_ushort v8, v[8:9], off offset:96
	v_lshl_add_u64 v[6:7], v[6:7], 0, v[10:11]
	s_waitcnt vmcnt(0)
	v_lshlrev_b32_e32 v8, 16, v8
	v_sub_f32_e32 v5, v8, v5
	global_store_short_d16_hi v[6:7], v5, off offset:96
	v_mul_f32_e32 v5, v18, v5
	v_lshrrev_b32_e32 v11, 16, v5
.LBB97_98:
	s_or_b64 exec, exec, s[2:3]
	s_mov_b32 s0, 0x5040100
	v_or_b32_e32 v5, v31, v19
	v_perm_b32 v7, v11, v14, s0
	v_perm_b32 v6, v15, v13, s0
	v_lshlrev_b32_e32 v5, 1, v5
	s_movk_i32 s0, 0x100
	ds_write_b64 v5, v[6:7] offset:24576
	v_and_b32_e32 v5, 7, v0
	v_and_b32_e32 v6, 8, v0
	v_cmp_gt_u32_e32 vcc, s0, v0
	v_lshrrev_b32_e32 v0, 1, v0
	v_lshlrev_b32_e32 v23, 3, v1
	v_and_b32_e32 v24, 24, v0
	v_mov_b32_e32 v7, 0xa000
	v_mov_b32_e32 v8, 0x8000
	v_xor_b32_e32 v0, v23, v24
	v_cndmask_b32_e32 v22, v7, v8, vcc
	v_or_b32_e32 v1, 0x440, v0
	v_cmp_eq_u32_e32 vcc, 0, v6
	v_lshlrev_b32_e32 v13, 3, v5
	v_lshlrev_b32_e32 v5, 7, v5
	v_cndmask_b32_e32 v0, v1, v0, vcc
	v_or_b32_e32 v0, v0, v25
	v_xad_u32 v35, v0, v13, v5
	v_or_b32_e32 v10, 32, v24
	v_add_u32_e32 v0, v22, v35
	v_xor_b32_e32 v10, v23, v10
	s_waitcnt lgkmcnt(0)
	s_barrier
	ds_read_b64 v[0:1], v0
	ds_read2_b64 v[6:9], v12 offset1:16
	ds_read2_b64 v[14:17], v12 offset0:32 offset1:48
	v_or_b32_e32 v11, 0x440, v10
	v_cndmask_b32_e32 v10, v11, v10, vcc
	v_or_b32_e32 v10, v10, v25
	v_xad_u32 v80, v10, v13, v5
	v_add_u32_e32 v10, v22, v80
	s_waitcnt lgkmcnt(1)
	v_mfma_f32_16x16x16_bf16 a[0:3], v[0:1], v[6:7], 0
	ds_read_b64 v[10:11], v10
	ds_read2st64_b64 v[18:21], v12 offset0:4 offset1:8
	ds_read2st64_b64 v[26:29], v4 offset0:4 offset1:8
	v_mfma_f32_16x16x16_bf16 a[4:7], v[0:1], v[8:9], 0
	ds_read2st64_b64 v[30:33], v3 offset0:4 offset1:8
	ds_read2st64_b64 v[76:79], v2 offset0:4 offset1:8
	s_waitcnt lgkmcnt(5)
	v_mfma_f32_16x16x16_bf16 a[8:11], v[0:1], v[14:15], 0
	v_mfma_f32_16x16x16_bf16 a[12:15], v[0:1], v[16:17], 0
	v_or_b32_e32 v0, 64, v24
	v_xor_b32_e32 v0, v23, v0
	v_xor_b32_e32 v1, 0x440, v0
	v_cndmask_b32_e32 v0, v1, v0, vcc
	v_or_b32_e32 v0, v0, v25
	v_xad_u32 v81, v0, v13, v5
	v_add_u32_e32 v0, v22, v81
	ds_read_b64 v[0:1], v0
	s_waitcnt lgkmcnt(4)
	v_mfma_f32_16x16x16_bf16 a[0:3], v[10:11], v[18:19], a[0:3]
	s_waitcnt lgkmcnt(3)
	v_mfma_f32_16x16x16_bf16 a[4:7], v[10:11], v[26:27], a[4:7]
	;; [unrolled: 2-line block ×4, first 2 shown]
	v_or_b32_e32 v10, 0x60, v24
	v_xor_b32_e32 v10, v23, v10
	v_xor_b32_e32 v11, 0x440, v10
	v_cndmask_b32_e32 v10, v11, v10, vcc
	v_or_b32_e32 v10, v10, v25
	v_xad_u32 v23, v10, v13, v5
	v_add_u32_e32 v5, v22, v23
	s_waitcnt lgkmcnt(0)
	v_mfma_f32_16x16x16_bf16 a[0:3], v[0:1], v[20:21], a[0:3]
	ds_read_b64 v[10:11], v5
	ds_read_b64 v[12:13], v12 offset:6144
	v_mfma_f32_16x16x16_bf16 a[4:7], v[0:1], v[28:29], a[4:7]
	v_mfma_f32_16x16x16_bf16 a[8:11], v[0:1], v[32:33], a[8:11]
	;; [unrolled: 1-line block ×3, first 2 shown]
	ds_read_b64 v[0:1], v4 offset:6144
	ds_read_b64 v[4:5], v3 offset:6144
	;; [unrolled: 1-line block ×3, first 2 shown]
	s_waitcnt lgkmcnt(3)
	v_mfma_f32_16x16x16_bf16 a[0:3], v[10:11], v[12:13], a[0:3]
	s_waitcnt lgkmcnt(2)
	v_mfma_f32_16x16x16_bf16 a[4:7], v[10:11], v[0:1], a[4:7]
	;; [unrolled: 2-line block ×4, first 2 shown]
	ds_read_b64 v[10:11], v35 offset:40960
	s_waitcnt lgkmcnt(0)
	v_mfma_f32_16x16x16_bf16 a[16:19], v[10:11], v[6:7], 0
	ds_read_b64 v[6:7], v80 offset:40960
	v_mfma_f32_16x16x16_bf16 a[20:23], v[10:11], v[8:9], 0
	v_mov_b32_e32 v8, 0x3fb8aa3b
	v_mul_f32_e32 v8, s18, v8
	v_exp_f32_e32 v8, v8
	v_mfma_f32_16x16x16_bf16 a[24:27], v[10:11], v[14:15], 0
	v_accvgpr_read_b32 v15, a3
	v_accvgpr_read_b32 v14, a2
	v_pk_fma_f32 v[74:75], v[74:75], v[8:9], v[14:15] op_sel_hi:[1,0,1]
	v_mfma_f32_16x16x16_bf16 a[28:31], v[10:11], v[16:17], 0
	ds_read_b64 v[10:11], v81 offset:40960
	ds_read_b64 v[14:15], v23 offset:40960
	v_accvgpr_read_b32 v17, a7
	s_waitcnt lgkmcnt(2)
	v_mfma_f32_16x16x16_bf16 a[16:19], v[6:7], v[18:19], a[16:19]
	v_accvgpr_read_b32 v16, a6
	v_accvgpr_read_b32 v19, a15
	v_accvgpr_read_b32 v18, a14
	v_mfma_f32_16x16x16_bf16 a[20:23], v[6:7], v[26:27], a[20:23]
	v_pk_fma_f32 v[66:67], v[66:67], v[8:9], v[16:17] op_sel_hi:[1,0,1]
	v_pk_fma_f32 v[52:53], v[52:53], v[8:9], v[18:19] op_sel_hi:[1,0,1]
	v_mfma_f32_16x16x16_bf16 a[24:27], v[6:7], v[30:31], a[24:27]
	v_mfma_f32_16x16x16_bf16 a[28:31], v[6:7], v[76:77], a[28:31]
	v_accvgpr_read_b32 v7, a11
	v_accvgpr_read_b32 v6, a10
	v_pk_fma_f32 v[58:59], v[58:59], v[8:9], v[6:7] op_sel_hi:[1,0,1]
	s_waitcnt lgkmcnt(1)
	v_mfma_f32_16x16x16_bf16 a[16:19], v[10:11], v[20:21], a[16:19]
	v_accvgpr_read_b32 v21, a1
	v_accvgpr_read_b32 v20, a0
	v_pk_fma_f32 v[70:71], v[70:71], v[8:9], v[20:21] op_sel_hi:[1,0,1]
	v_mfma_f32_16x16x16_bf16 a[0:3], v[10:11], v[28:29], a[20:23]
	v_accvgpr_read_b32 v21, a5
	v_accvgpr_read_b32 v20, a4
	;; [unrolled: 1-line block ×3, first 2 shown]
	v_mfma_f32_16x16x16_bf16 a[20:23], v[10:11], v[32:33], a[24:27]
	v_accvgpr_read_b32 v7, a13
	v_pk_fma_f32 v[46:47], v[46:47], v[8:9], v[6:7] op_sel_hi:[1,0,1]
	v_pk_fma_f32 v[62:63], v[62:63], v[8:9], v[20:21] op_sel_hi:[1,0,1]
	v_mfma_f32_16x16x16_bf16 a[4:7], v[10:11], v[78:79], a[28:31]
	v_accvgpr_read_b32 v11, a9
	v_accvgpr_read_b32 v10, a8
	v_pk_fma_f32 v[54:55], v[54:55], v[8:9], v[10:11] op_sel_hi:[1,0,1]
	s_waitcnt lgkmcnt(0)
	v_mfma_f32_16x16x16_bf16 a[8:11], v[14:15], v[12:13], a[16:19]
	v_mfma_f32_16x16x16_bf16 a[0:3], v[14:15], v[0:1], a[0:3]
	s_nop 5
	v_accvgpr_read_b32 v1, a11
	v_accvgpr_read_b32 v0, a10
	v_mfma_f32_16x16x16_bf16 a[10:13], v[14:15], v[4:5], a[20:23]
	v_pk_fma_f32 v[72:73], v[72:73], v[8:9], v[0:1] op_sel_hi:[1,0,1]
	v_accvgpr_read_b32 v7, a3
	v_accvgpr_read_b32 v6, a2
	v_mfma_f32_16x16x16_bf16 a[2:5], v[14:15], v[2:3], a[4:7]
	v_accvgpr_read_b32 v0, a0
	v_accvgpr_read_b32 v1, a1
	v_pk_fma_f32 v[60:61], v[60:61], v[8:9], v[0:1] op_sel_hi:[1,0,1]
	v_accvgpr_read_b32 v0, a10
	v_accvgpr_read_b32 v1, a11
	;; [unrolled: 1-line block ×3, first 2 shown]
	v_pk_fma_f32 v[50:51], v[50:51], v[8:9], v[0:1] op_sel_hi:[1,0,1]
	v_accvgpr_read_b32 v0, a2
	v_accvgpr_read_b32 v5, a13
	;; [unrolled: 1-line block ×7, first 2 shown]
	v_pk_fma_f32 v[68:69], v[68:69], v[8:9], v[10:11] op_sel_hi:[1,0,1]
	v_pk_fma_f32 v[64:65], v[64:65], v[8:9], v[6:7] op_sel_hi:[1,0,1]
	;; [unrolled: 1-line block ×5, first 2 shown]
.LBB97_99:
	s_add_u32 s0, s10, s34
	s_addc_u32 s1, s11, s35
	v_lshl_add_u64 v[0:1], v[36:37], 1, s[0:1]
	v_mov_b32_e32 v35, 0
	s_mov_b32 s2, 0x7060302
	v_lshl_add_u64 v[0:1], v[0:1], 0, v[34:35]
	v_perm_b32 v3, v75, v74, s2
	v_perm_b32 v2, v71, v70, s2
	global_store_dwordx2 v[0:1], v[2:3], off
	v_perm_b32 v3, v73, v72, s2
	v_perm_b32 v2, v69, v68, s2
	global_store_dwordx2 v[0:1], v[2:3], off offset:128
	v_lshl_add_u64 v[0:1], v[38:39], 1, s[0:1]
	v_lshl_add_u64 v[0:1], v[0:1], 0, v[34:35]
	v_perm_b32 v3, v67, v66, s2
	v_perm_b32 v2, v63, v62, s2
	global_store_dwordx2 v[0:1], v[2:3], off
	v_perm_b32 v3, v65, v64, s2
	v_perm_b32 v2, v61, v60, s2
	global_store_dwordx2 v[0:1], v[2:3], off offset:128
	v_lshl_add_u64 v[0:1], v[40:41], 1, s[0:1]
	;; [unrolled: 8-line block ×3, first 2 shown]
	v_lshl_add_u64 v[0:1], v[0:1], 0, v[34:35]
	v_perm_b32 v3, v53, v52, s2
	v_perm_b32 v2, v47, v46, s2
	global_store_dwordx2 v[0:1], v[2:3], off
	v_perm_b32 v3, v49, v48, s2
	v_perm_b32 v2, v45, v44, s2
	global_store_dwordx2 v[0:1], v[2:3], off offset:128
	s_endpgm
	.section	.rodata,"a",@progbits
	.p2align	6, 0x0
	.amdhsa_kernel _ZN12_GLOBAL__N_139chunk_gated_delta_rule_fwd_h_hip_kernelILi64ELb1ELb1ELb1ELb1ELb0ELb0ELb1ELb1EEEvPK12hip_bfloat16S3_S3_PKfS5_PKvPS1_S8_PvPKiSB_iiiiilll
		.amdhsa_group_segment_fixed_size 65536
		.amdhsa_private_segment_fixed_size 0
		.amdhsa_kernarg_size 136
		.amdhsa_user_sgpr_count 2
		.amdhsa_user_sgpr_dispatch_ptr 0
		.amdhsa_user_sgpr_queue_ptr 0
		.amdhsa_user_sgpr_kernarg_segment_ptr 1
		.amdhsa_user_sgpr_dispatch_id 0
		.amdhsa_user_sgpr_kernarg_preload_length 0
		.amdhsa_user_sgpr_kernarg_preload_offset 0
		.amdhsa_user_sgpr_private_segment_size 0
		.amdhsa_uses_dynamic_stack 0
		.amdhsa_enable_private_segment 0
		.amdhsa_system_sgpr_workgroup_id_x 1
		.amdhsa_system_sgpr_workgroup_id_y 1
		.amdhsa_system_sgpr_workgroup_id_z 0
		.amdhsa_system_sgpr_workgroup_info 0
		.amdhsa_system_vgpr_workitem_id 0
		.amdhsa_next_free_vgpr 228
		.amdhsa_next_free_sgpr 67
		.amdhsa_accum_offset 192
		.amdhsa_reserve_vcc 1
		.amdhsa_float_round_mode_32 0
		.amdhsa_float_round_mode_16_64 0
		.amdhsa_float_denorm_mode_32 3
		.amdhsa_float_denorm_mode_16_64 3
		.amdhsa_dx10_clamp 1
		.amdhsa_ieee_mode 1
		.amdhsa_fp16_overflow 0
		.amdhsa_tg_split 0
		.amdhsa_exception_fp_ieee_invalid_op 0
		.amdhsa_exception_fp_denorm_src 0
		.amdhsa_exception_fp_ieee_div_zero 0
		.amdhsa_exception_fp_ieee_overflow 0
		.amdhsa_exception_fp_ieee_underflow 0
		.amdhsa_exception_fp_ieee_inexact 0
		.amdhsa_exception_int_div_zero 0
	.end_amdhsa_kernel
	.section	.text._ZN12_GLOBAL__N_139chunk_gated_delta_rule_fwd_h_hip_kernelILi64ELb1ELb1ELb1ELb1ELb0ELb0ELb1ELb1EEEvPK12hip_bfloat16S3_S3_PKfS5_PKvPS1_S8_PvPKiSB_iiiiilll,"axG",@progbits,_ZN12_GLOBAL__N_139chunk_gated_delta_rule_fwd_h_hip_kernelILi64ELb1ELb1ELb1ELb1ELb0ELb0ELb1ELb1EEEvPK12hip_bfloat16S3_S3_PKfS5_PKvPS1_S8_PvPKiSB_iiiiilll,comdat
.Lfunc_end97:
	.size	_ZN12_GLOBAL__N_139chunk_gated_delta_rule_fwd_h_hip_kernelILi64ELb1ELb1ELb1ELb1ELb0ELb0ELb1ELb1EEEvPK12hip_bfloat16S3_S3_PKfS5_PKvPS1_S8_PvPKiSB_iiiiilll, .Lfunc_end97-_ZN12_GLOBAL__N_139chunk_gated_delta_rule_fwd_h_hip_kernelILi64ELb1ELb1ELb1ELb1ELb0ELb0ELb1ELb1EEEvPK12hip_bfloat16S3_S3_PKfS5_PKvPS1_S8_PvPKiSB_iiiiilll
                                        ; -- End function
	.section	.AMDGPU.csdata,"",@progbits
; Kernel info:
; codeLenInByte = 12716
; NumSgprs: 73
; NumVgprs: 190
; NumAgprs: 36
; TotalNumVgprs: 228
; ScratchSize: 0
; MemoryBound: 0
; FloatMode: 240
; IeeeMode: 1
; LDSByteSize: 65536 bytes/workgroup (compile time only)
; SGPRBlocks: 9
; VGPRBlocks: 28
; NumSGPRsForWavesPerEU: 73
; NumVGPRsForWavesPerEU: 228
; AccumOffset: 192
; Occupancy: 1
; WaveLimiterHint : 1
; COMPUTE_PGM_RSRC2:SCRATCH_EN: 0
; COMPUTE_PGM_RSRC2:USER_SGPR: 2
; COMPUTE_PGM_RSRC2:TRAP_HANDLER: 0
; COMPUTE_PGM_RSRC2:TGID_X_EN: 1
; COMPUTE_PGM_RSRC2:TGID_Y_EN: 1
; COMPUTE_PGM_RSRC2:TGID_Z_EN: 0
; COMPUTE_PGM_RSRC2:TIDIG_COMP_CNT: 0
; COMPUTE_PGM_RSRC3_GFX90A:ACCUM_OFFSET: 47
; COMPUTE_PGM_RSRC3_GFX90A:TG_SPLIT: 0
	.section	.text._ZN12_GLOBAL__N_139chunk_gated_delta_rule_fwd_h_hip_kernelILi64ELb1ELb1ELb0ELb1ELb0ELb0ELb1ELb1EEEvPK12hip_bfloat16S3_S3_PKfS5_PKvPS1_S8_PvPKiSB_iiiiilll,"axG",@progbits,_ZN12_GLOBAL__N_139chunk_gated_delta_rule_fwd_h_hip_kernelILi64ELb1ELb1ELb0ELb1ELb0ELb0ELb1ELb1EEEvPK12hip_bfloat16S3_S3_PKfS5_PKvPS1_S8_PvPKiSB_iiiiilll,comdat
	.globl	_ZN12_GLOBAL__N_139chunk_gated_delta_rule_fwd_h_hip_kernelILi64ELb1ELb1ELb0ELb1ELb0ELb0ELb1ELb1EEEvPK12hip_bfloat16S3_S3_PKfS5_PKvPS1_S8_PvPKiSB_iiiiilll ; -- Begin function _ZN12_GLOBAL__N_139chunk_gated_delta_rule_fwd_h_hip_kernelILi64ELb1ELb1ELb0ELb1ELb0ELb0ELb1ELb1EEEvPK12hip_bfloat16S3_S3_PKfS5_PKvPS1_S8_PvPKiSB_iiiiilll
	.p2align	8
	.type	_ZN12_GLOBAL__N_139chunk_gated_delta_rule_fwd_h_hip_kernelILi64ELb1ELb1ELb0ELb1ELb0ELb0ELb1ELb1EEEvPK12hip_bfloat16S3_S3_PKfS5_PKvPS1_S8_PvPKiSB_iiiiilll,@function
_ZN12_GLOBAL__N_139chunk_gated_delta_rule_fwd_h_hip_kernelILi64ELb1ELb1ELb0ELb1ELb0ELb0ELb1ELb1EEEvPK12hip_bfloat16S3_S3_PKfS5_PKvPS1_S8_PvPKiSB_iiiiilll: ; @_ZN12_GLOBAL__N_139chunk_gated_delta_rule_fwd_h_hip_kernelILi64ELb1ELb1ELb0ELb1ELb0ELb0ELb1ELb1EEEvPK12hip_bfloat16S3_S3_PKfS5_PKvPS1_S8_PvPKiSB_iiiiilll
; %bb.0:
	s_load_dwordx4 s[16:19], s[0:1], 0x5c
	s_load_dwordx2 s[4:5], s[0:1], 0x50
	s_abs_i32 s7, s3
	s_ashr_i32 s6, s3, 31
	s_load_dwordx4 s[12:15], s[0:1], 0x40
	s_load_dwordx4 s[20:23], s[0:1], 0x28
	s_waitcnt lgkmcnt(0)
	s_abs_i32 s10, s17
	v_cvt_f32_u32_e32 v1, s10
	s_sub_i32 s8, 0, s10
	s_ashr_i32 s11, s17, 31
	s_xor_b32 s6, s6, s11
	v_rcp_iflag_f32_e32 v1, v1
	v_and_b32_e32 v86, 15, v0
	v_bfe_u32 v85, v0, 4, 2
	v_mov_b32_e32 v35, 0
	v_mul_f32_e32 v1, 0x4f7ffffe, v1
	v_cvt_u32_f32_e32 v1, v1
	v_lshlrev_b32_e32 v87, 3, v0
	v_readfirstlane_b32 s9, v1
	s_mul_i32 s8, s8, s9
	s_mul_hi_u32 s8, s9, s8
	s_add_i32 s9, s9, s8
	s_mul_hi_u32 s8, s7, s9
	s_mul_i32 s9, s8, s10
	s_sub_i32 s7, s7, s9
	s_add_i32 s24, s8, 1
	s_sub_i32 s9, s7, s10
	s_cmp_ge_u32 s7, s10
	s_cselect_b32 s8, s24, s8
	s_cselect_b32 s7, s9, s7
	s_add_i32 s9, s8, 1
	s_cmp_ge_u32 s7, s10
	s_cselect_b32 s7, s9, s8
	s_xor_b32 s7, s7, s6
	s_sub_i32 s28, s7, s6
	s_mul_i32 s24, s28, s17
	s_ashr_i32 s29, s28, 31
	s_sub_i32 s49, s3, s24
	s_lshl_b64 s[6:7], s[28:29], 2
	s_add_u32 s8, s14, s6
	s_addc_u32 s9, s15, s7
	s_add_u32 s30, s4, s6
	s_addc_u32 s31, s5, s7
	s_abs_i32 s3, s18
	v_cvt_f32_u32_e32 v1, s3
	s_load_dwordx2 s[36:37], s[8:9], 0x0
	s_sub_i32 s5, 0, s3
	s_lshl_b32 s2, s2, 6
	v_rcp_iflag_f32_e32 v1, v1
	v_or_b32_e32 v76, s2, v86
	s_waitcnt lgkmcnt(0)
	s_sub_i32 s52, s37, s36
	s_ashr_i32 s4, s52, 31
	v_mul_f32_e32 v1, 0x4f7ffffe, v1
	v_cvt_u32_f32_e32 v1, v1
	s_lshr_b32 s4, s4, 26
	s_add_i32 s4, s52, s4
	s_ashr_i32 s51, s4, 6
	v_readfirstlane_b32 s6, v1
	s_mul_i32 s5, s5, s6
	s_mul_hi_u32 s5, s6, s5
	s_add_i32 s6, s6, s5
	s_mul_hi_u32 s5, s10, s6
	s_mul_i32 s6, s5, s3
	s_ashr_i32 s4, s18, 31
	s_sub_i32 s6, s10, s6
	s_xor_b32 s4, s11, s4
	s_add_i32 s7, s5, 1
	s_sub_i32 s8, s6, s3
	s_cmp_ge_u32 s6, s3
	s_cselect_b32 s5, s7, s5
	s_cselect_b32 s6, s8, s6
	s_add_i32 s7, s5, 1
	s_cmp_ge_u32 s6, s3
	s_cselect_b32 s3, s7, s5
	s_xor_b32 s3, s3, s4
	s_sub_i32 s3, s3, s4
	s_abs_i32 s4, s3
	v_cvt_f32_u32_e32 v1, s4
	s_sub_i32 s6, 0, s4
	s_abs_i32 s5, s49
	s_xor_b32 s3, s49, s3
	v_rcp_iflag_f32_e32 v2, v1
	s_ashr_i32 s3, s3, 31
	v_lshrrev_b32_e32 v1, 6, v0
	v_lshlrev_b32_e32 v36, 7, v76
	v_mul_f32_e32 v2, 0x4f7ffffe, v2
	v_cvt_u32_f32_e32 v2, v2
	v_lshlrev_b32_e32 v84, 4, v1
	v_or_b32_e32 v38, 0x800, v36
	v_lshl_or_b32 v89, v85, 2, v84
	v_readfirstlane_b32 s7, v2
	s_mul_i32 s6, s6, s7
	s_mul_hi_u32 s6, s7, s6
	s_add_i32 s7, s7, s6
	s_mul_hi_u32 s6, s5, s7
	s_mul_i32 s7, s6, s4
	s_sub_i32 s5, s5, s7
	s_add_i32 s7, s6, 1
	s_sub_i32 s8, s5, s4
	s_cmp_ge_u32 s5, s4
	s_cselect_b32 s6, s7, s6
	s_cselect_b32 s5, s8, s5
	s_add_i32 s7, s6, 1
	s_cmp_ge_u32 s5, s4
	s_cselect_b32 s4, s7, s6
	s_xor_b32 s4, s4, s3
	s_sub_i32 s53, s4, s3
	s_ashr_i32 s50, s49, 31
	s_mul_hi_i32 s3, s28, s17
	s_add_u32 s4, s24, s49
	s_addc_u32 s5, s3, s50
	s_lshl_b64 s[14:15], s[4:5], 15
	s_add_u32 s4, s20, s14
	s_addc_u32 s5, s21, s15
	v_ashrrev_i32_e32 v37, 31, v36
	v_ashrrev_i32_e32 v39, 31, v38
	v_lshl_add_u64 v[2:3], v[36:37], 1, s[4:5]
	v_lshlrev_b32_e32 v34, 1, v89
	v_lshl_add_u64 v[6:7], v[38:39], 1, s[4:5]
	v_or_b32_e32 v40, 0x1000, v36
	v_or_b32_e32 v42, 0x1800, v36
	v_lshl_add_u64 v[2:3], v[2:3], 0, v[34:35]
	v_lshl_add_u64 v[6:7], v[6:7], 0, v[34:35]
	v_ashrrev_i32_e32 v41, 31, v40
	v_ashrrev_i32_e32 v43, 31, v42
	global_load_dwordx2 v[4:5], v[2:3], off
	v_lshl_add_u64 v[14:15], v[42:43], 1, s[4:5]
	global_load_dwordx2 v[2:3], v[2:3], off offset:128
	s_nop 0
	global_load_dwordx2 v[8:9], v[6:7], off
	global_load_dwordx2 v[10:11], v[6:7], off offset:128
	v_lshl_add_u64 v[6:7], v[40:41], 1, s[4:5]
	v_lshl_add_u64 v[6:7], v[6:7], 0, v[34:35]
	;; [unrolled: 1-line block ×3, first 2 shown]
	global_load_dwordx2 v[12:13], v[6:7], off
	v_and_b32_e32 v35, 63, v0
	global_load_dwordx2 v[6:7], v[6:7], off offset:128
	s_nop 0
	global_load_dwordx2 v[16:17], v[14:15], off
	global_load_dwordx2 v[18:19], v[14:15], off offset:128
	s_load_dwordx8 s[4:11], s[0:1], 0x0
	s_load_dwordx2 s[34:35], s[0:1], 0x80
	s_load_dwordx4 s[24:27], s[0:1], 0x70
	s_load_dword s56, s[30:31], 0x0
	v_lshrrev_b32_e32 v88, 3, v35
	v_or_b32_e32 v90, 64, v89
	s_mul_hi_i32 s54, s49, s16
	s_waitcnt lgkmcnt(0)
	s_mul_i32 s33, s28, s25
	s_mul_hi_u32 s44, s28, s24
	s_mul_i32 s55, s49, s16
	s_cmp_lt_i32 s52, 64
	s_mul_i32 s45, s29, s24
	s_mul_i32 s40, s28, s24
	s_mul_i32 s46, s49, s27
	s_mul_hi_u32 s47, s49, s26
	s_mul_i32 s48, s50, s26
	s_mul_i32 s38, s49, s26
	s_waitcnt vmcnt(7)
	v_and_b32_e32 v71, 0xffff0000, v4
	v_lshlrev_b32_e32 v70, 16, v4
	v_and_b32_e32 v75, 0xffff0000, v5
	v_lshlrev_b32_e32 v74, 16, v5
	s_waitcnt vmcnt(6)
	v_and_b32_e32 v69, 0xffff0000, v2
	v_lshlrev_b32_e32 v68, 16, v2
	v_and_b32_e32 v73, 0xffff0000, v3
	v_lshlrev_b32_e32 v72, 16, v3
	;; [unrolled: 5-line block ×8, first 2 shown]
	s_cbranch_scc1 .LBB98_18
; %bb.1:
	s_ashr_i32 s1, s36, 31
	s_add_u32 s0, s55, s36
	s_addc_u32 s1, s54, s1
	s_lshl_b64 s[0:1], s[0:1], 8
	v_and_b32_e32 v92, 56, v87
	s_add_u32 s24, s6, s0
	v_lshl_or_b32 v91, v1, 3, v88
	v_lshlrev_b32_e32 v2, 1, v92
	s_addc_u32 s0, s7, s1
	v_lshl_or_b32 v93, v91, 8, v2
	s_and_b32 s25, s0, 0xffff
	s_mov_b32 s27, 0x20000
	s_movk_i32 s26, 0x4000
	s_movk_i32 s0, 0x80
	v_or_b32_e32 v94, 0x2000, v93
	buffer_load_dwordx4 v[4:7], v93, s[24:27], 0 offen
	buffer_load_dwordx4 v[8:11], v93, s[24:27], s0 offen
	;; [unrolled: 1-line block ×4, first 2 shown]
	v_lshlrev_b32_e32 v3, 3, v91
	v_and_or_b32 v21, v0, 7, v3
	v_and_b32_e32 v3, 0x78, v3
	v_lshlrev_b32_e32 v21, 4, v21
	v_xor_b32_e32 v95, v21, v3
	v_mul_lo_u32 v20, v91, s19
	v_or_b32_e32 v96, 0x1000, v95
	v_xor_b32_e32 v3, 8, v95
	s_cmpk_eq_i32 s19, 0x80
	s_mov_b32 s57, s36
	v_xor_b32_e32 v21, 8, v96
	s_cselect_b64 s[0:1], -1, 0
	s_cmpk_lg_i32 s19, 0x80
	s_waitcnt vmcnt(3)
	ds_write_b64 v95, v[4:5] offset:49152
	ds_write_b64 v3, v[6:7] offset:49152
	s_waitcnt vmcnt(2)
	ds_write_b64 v95, v[8:9] offset:57344
	ds_write_b64 v3, v[10:11] offset:57344
	;; [unrolled: 3-line block ×4, first 2 shown]
	v_lshl_add_u32 v3, v20, 1, v92
	s_cbranch_scc0 .LBB98_3
; %bb.2:
	v_lshlrev_b32_e32 v5, 1, v3
	v_add_lshl_u32 v4, v3, s19, 1
	s_lshl_b32 s26, s19, 7
	v_lshl_or_b32 v2, v91, 9, v2
	s_cbranch_execz .LBB98_4
	s_branch .LBB98_5
.LBB98_3:
                                        ; implicit-def: $vgpr4
                                        ; implicit-def: $vgpr5
                                        ; implicit-def: $sgpr26
	v_lshl_or_b32 v2, v91, 9, v2
.LBB98_4:
	v_or_b32_e32 v4, 0x100, v2
	s_movk_i32 s26, 0x4000
	v_mov_b32_e32 v5, v2
.LBB98_5:
	s_mul_i32 s20, s36, s18
	s_ashr_i32 s58, s53, 31
	s_mul_hi_i32 s3, s36, s18
	s_add_u32 s20, s20, s53
	s_addc_u32 s21, s3, s58
	s_lshl_b64 s[20:21], s[20:21], 8
	s_add_u32 s24, s4, s20
	s_addc_u32 s3, s5, s21
	s_and_b32 s25, s3, 0xffff
	s_movk_i32 s59, 0x80
	buffer_load_dwordx4 v[6:9], v5, s[24:27], 0 offen
	buffer_load_dwordx4 v[10:13], v5, s[24:27], s59 offen
	;; [unrolled: 1-line block ×4, first 2 shown]
	v_and_b32_e32 v5, 6, v0
	v_lshlrev_b32_e32 v4, 7, v89
	v_xor_b32_e32 v27, v91, v5
	v_and_b32_e32 v22, 1, v0
	v_lshl_or_b32 v30, v86, 3, v4
	v_lshlrev_b32_e32 v27, 2, v27
	v_lshlrev_b32_e32 v23, 2, v86
	v_or_b32_e32 v97, 0x4000, v30
	v_or_b32_e32 v98, 0x6000, v30
	v_xor_b32_e32 v30, 0x440, v27
	v_cmp_eq_u32_e32 vcc, 0, v22
	v_or_b32_e32 v25, 16, v86
	v_or_b32_e32 v26, 32, v86
	v_xor_b32_e32 v28, v89, v23
	v_xor_b32_e32 v29, v90, v23
	v_cndmask_b32_e32 v22, v30, v27, vcc
	s_mov_b32 s60, 0x1000504
	v_lshl_or_b32 v31, v25, 3, v4
	v_lshlrev_b32_e32 v25, 8, v25
	v_lshl_or_b32 v32, v26, 3, v4
	v_lshlrev_b32_e32 v28, 1, v28
	v_lshlrev_b32_e32 v29, 1, v29
	v_lshl_or_b32 v5, v5, 10, v22
	s_add_i32 s3, s44, s33
	s_mov_b32 s61, 0x3020706
	v_lshlrev_b32_e32 v24, 8, v86
	v_or_b32_e32 v101, 0x4000, v32
	v_or_b32_e32 v102, 0x6000, v32
	;; [unrolled: 1-line block ×4, first 2 shown]
	v_xor_b32_e32 v22, 8, v5
	v_xor_b32_e32 v25, 24, v5
	;; [unrolled: 1-line block ×4, first 2 shown]
	s_add_i32 s41, s3, s45
	s_add_i32 s3, s47, s46
	v_or_b32_e32 v99, 0x4000, v31
	v_or_b32_e32 v100, 0x6000, v31
	;; [unrolled: 1-line block ×4, first 2 shown]
	v_xor_b32_e32 v24, 16, v5
	v_xor_b32_e32 v27, 32, v5
	;; [unrolled: 1-line block ×3, first 2 shown]
	v_add_u32_e32 v22, 0x80, v22
	v_add_u32_e32 v25, 0x80, v25
	;; [unrolled: 1-line block ×4, first 2 shown]
	s_add_i32 s39, s3, s48
	s_lshl_b64 s[20:21], s[40:41], 2
	s_add_u32 s3, s10, s20
	s_addc_u32 s24, s11, s21
	s_lshl_b64 s[20:21], s[38:39], 2
	s_add_u32 s20, s3, s20
	s_movk_i32 s3, 0xf8
	s_addc_u32 s21, s24, s21
	s_lshl_b32 s30, s19, 7
	s_movk_i32 s28, 0x100
	v_mov_b32_e32 v79, 0
	v_lshlrev_b32_e32 v78, 4, v86
	v_cmp_gt_u32_e32 vcc, s28, v0
	v_lshlrev_b32_e32 v26, 8, v26
	s_mov_b32 s62, 0
	s_movk_i32 s26, 0x4000
	v_or_b32_e32 v107, v26, v28
	v_or_b32_e32 v108, v26, v29
	s_movk_i32 s39, 0x2000
	s_movk_i32 s41, 0x3000
	v_mov_b32_e32 v140, 0x3fb8aa3b
	s_waitcnt vmcnt(1)
	v_perm_b32 v33, v6, v14, s60
	s_waitcnt vmcnt(0)
	v_perm_b32 v77, v10, v18, s60
	v_perm_b32 v6, v6, v14, s61
	;; [unrolled: 1-line block ×15, first 2 shown]
	ds_write2st64_b32 v5, v33, v77 offset0:128 offset1:160
	ds_write2st64_b32 v22, v6, v10 offset0:128 offset1:160
	;; [unrolled: 1-line block ×8, first 2 shown]
	v_or_b32_e32 v5, 48, v86
	v_lshl_or_b32 v6, v5, 3, v4
	v_lshlrev_b32_e32 v5, 8, v5
	v_or_b32_e32 v111, v5, v28
	v_or_b32_e32 v112, v5, v29
	;; [unrolled: 1-line block ×3, first 2 shown]
	v_lshlrev_b32_e32 v5, 3, v5
	v_lshrrev_b32_e32 v7, 5, v35
	v_and_or_b32 v7, v5, s3, v7
	v_lshlrev_b32_e32 v7, 4, v7
	v_lshlrev_b32_e32 v8, 11, v1
	v_and_b32_e32 v5, 0x78, v5
	v_or_b32_e32 v13, 32, v7
	v_or_b32_e32 v109, 0x4000, v6
	;; [unrolled: 1-line block ×3, first 2 shown]
	v_and_b32_e32 v6, 0x1000, v8
	v_xor_b32_e32 v9, v7, v5
	v_lshrrev_b32_e32 v10, 1, v0
	v_xor_b32_e32 v13, v13, v5
	v_or_b32_e32 v9, v9, v6
	v_and_b32_e32 v11, 8, v10
	v_or_b32_e32 v13, v13, v6
	v_xor_b32_e32 v113, v9, v11
	v_lshlrev_b32_e32 v9, 8, v85
	v_xor_b32_e32 v115, v13, v11
	v_or_b32_e32 v13, 64, v7
	v_or_b32_e32 v7, 0x60, v7
	s_ashr_i32 s3, s2, 31
	v_or_b32_e32 v12, v9, v23
	v_xor_b32_e32 v13, v13, v5
	v_xor_b32_e32 v5, v7, v5
	s_lshl_b64 s[24:25], s[2:3], 8
	v_lshlrev_b32_e32 v12, 1, v12
	v_or_b32_e32 v13, v13, v6
	v_or_b32_e32 v5, v5, v6
	s_add_u32 s24, s22, s24
	v_lshlrev_b32_e32 v6, 1, v86
	v_or_b32_e32 v114, 0x4000, v12
	v_or_b32_e32 v116, 0x4080, v12
	;; [unrolled: 1-line block ×8, first 2 shown]
	v_lshrrev_b32_e32 v12, 4, v0
	s_addc_u32 s25, s23, s25
	v_or_b32_e32 v7, 1, v6
	v_mov_b32_e32 v16, 0xa000
	v_mov_b32_e32 v17, 0x8000
	v_xor_b32_e32 v119, v13, v11
	v_xor_b32_e32 v13, v12, v6
	;; [unrolled: 1-line block ×3, first 2 shown]
	v_lshl_add_u64 v[6:7], s[24:25], 0, v[78:79]
	v_lshlrev_b32_e32 v78, 8, v12
	v_cndmask_b32_e32 v16, v16, v17, vcc
	v_lshlrev_b32_e32 v17, 3, v1
	v_and_b32_e32 v10, 24, v10
	v_lshl_or_b32 v125, v13, 3, v78
	v_and_b32_e32 v13, 8, v0
	v_xor_b32_e32 v18, v17, v10
	v_or_b32_e32 v19, 0x440, v18
	v_cmp_eq_u32_e32 vcc, 0, v13
	v_and_b32_e32 v12, 7, v0
	v_lshl_or_b32 v126, v14, 3, v78
	v_cndmask_b32_e32 v13, v19, v18, vcc
	v_lshlrev_b32_e32 v14, 3, v12
	v_lshlrev_b32_e32 v12, 7, v12
	v_or_b32_e32 v13, v13, v8
	v_lshlrev_b32_e32 v15, 2, v0
	v_xad_u32 v127, v13, v14, v12
	v_or_b32_e32 v13, 32, v10
	v_and_or_b32 v9, v15, 60, v9
	v_xor_b32_e32 v13, v17, v13
	v_lshlrev_b32_e32 v9, 1, v9
	v_or_b32_e32 v15, 0x440, v13
	v_or_b32_e32 v128, 0x6000, v9
	v_cndmask_b32_e32 v13, v15, v13, vcc
	v_or_b32_e32 v130, 0x6080, v9
	v_or_b32_e32 v131, 0x6100, v9
	;; [unrolled: 1-line block ×5, first 2 shown]
	v_xor_b32_e32 v9, v17, v9
	v_xad_u32 v129, v13, v14, v12
	v_xor_b32_e32 v13, 0x440, v9
	v_cndmask_b32_e32 v9, v13, v9, vcc
	v_or_b32_e32 v9, v9, v8
	v_xad_u32 v133, v9, v14, v12
	v_or_b32_e32 v9, 0x60, v10
	v_xor_b32_e32 v9, v17, v9
	v_xor_b32_e32 v10, 0x440, v9
	v_cndmask_b32_e32 v9, v10, v9, vcc
	v_or_b32_e32 v8, v9, v8
	v_xor_b32_e32 v120, v5, v11
	v_ashrrev_i32_e32 v77, 31, v76
	v_lshlrev_b32_e32 v5, 1, v3
	v_add_lshl_u32 v3, v3, s19, 1
	v_or_b32_e32 v11, 0x100, v2
	v_xad_u32 v134, v8, v14, v12
	v_cndmask_b32_e64 v135, v5, v2, s[0:1]
	v_cndmask_b32_e64 v136, v3, v11, s[0:1]
	v_lshl_add_u64 v[80:81], v[76:77], 1, s[8:9]
	v_lshl_add_u64 v[82:83], v[6:7], 0, v[78:79]
	s_mov_b32 s3, 0x7060302
	v_lshlrev_b32_e32 v78, 1, v4
	v_add_u32_e32 v77, v16, v127
	v_add_u32_e32 v137, v16, v129
	v_add_u32_e32 v138, v16, v133
	v_add_u32_e32 v139, v16, v134
	s_waitcnt lgkmcnt(0)
	s_barrier
.LBB98_6:                               ; =>This Inner Loop Header: Depth=1
	s_add_i32 s63, s62, 1
	s_cmp_lt_i32 s63, s51
	s_mov_b64 s[28:29], 0
	s_cselect_b64 s[42:43], -1, 0
	s_cmp_ge_i32 s63, s51
	s_mov_b64 s[24:25], 0
	s_cbranch_scc1 .LBB98_8
; %bb.7:                                ;   in Loop: Header=BB98_6 Depth=1
	s_add_i32 s0, s57, 64
	s_ashr_i32 s1, s0, 31
	s_add_u32 s0, s55, s0
	s_addc_u32 s1, s54, s1
	s_lshl_b64 s[0:1], s[0:1], 8
	s_add_u32 s24, s6, s0
	s_addc_u32 s25, s7, s1
.LBB98_8:                               ;   in Loop: Header=BB98_6 Depth=1
	v_cndmask_b32_e64 v2, 0, 1, s[42:43]
	v_cmp_ne_u32_e64 s[0:1], 1, v2
	s_andn2_b64 vcc, exec, s[42:43]
	s_cbranch_vccnz .LBB98_10
; %bb.9:                                ;   in Loop: Header=BB98_6 Depth=1
	s_add_i32 s28, s57, 64
	s_mul_hi_i32 s29, s28, s18
	s_mul_i32 s28, s28, s18
	s_add_u32 s28, s28, s53
	s_addc_u32 s29, s29, s58
	s_lshl_b64 s[28:29], s[28:29], 8
	s_add_u32 s28, s4, s28
	s_addc_u32 s29, s5, s29
.LBB98_10:                              ;   in Loop: Header=BB98_6 Depth=1
	v_perm_b32 v3, v75, v74, s3
	v_perm_b32 v2, v71, v70, s3
	v_perm_b32 v5, v73, v72, s3
	v_perm_b32 v4, v69, v68, s3
	ds_write_b64 v97, v[2:3]
	ds_write_b64 v98, v[4:5]
	ds_write_b64 v103, v[2:3]
	ds_write_b64 v104, v[4:5]
	v_perm_b32 v3, v67, v66, s3
	v_perm_b32 v2, v63, v62, s3
	v_perm_b32 v5, v65, v64, s3
	v_perm_b32 v4, v61, v60, s3
	ds_write_b64 v99, v[2:3]
	ds_write_b64 v100, v[4:5]
	ds_write_b64 v105, v[2:3]
	ds_write_b64 v106, v[4:5]
	;; [unrolled: 8-line block ×4, first 2 shown]
	s_waitcnt lgkmcnt(0)
	s_barrier
	ds_read_b64 v[6:7], v113 offset:49152
	ds_read2_b64 v[2:5], v114 offset1:16
	ds_read_b64 v[18:19], v116 offset:6144
	ds_read_b64 v[20:21], v114 offset:6144
	s_waitcnt lgkmcnt(2)
	v_mfma_f32_16x16x16_bf16 a[0:3], v[6:7], v[2:3], 0
	ds_read_b64 v[22:23], v115 offset:49152
	ds_read2st64_b64 v[10:13], v117 offset0:4 offset1:8
	ds_read2st64_b64 v[14:17], v118 offset0:4 offset1:8
	v_mfma_f32_16x16x16_bf16 a[4:7], v[6:7], v[4:5], 0
	ds_read2_b64 v[2:5], v114 offset0:32 offset1:48
	s_add_i32 s31, s57, 63
	s_ashr_i32 s42, s31, 31
	s_waitcnt lgkmcnt(0)
	v_mfma_f32_16x16x16_bf16 a[8:11], v[6:7], v[2:3], 0
	s_mul_i32 s43, s31, s35
	s_mul_hi_u32 s64, s31, s34
	s_add_i32 s43, s64, s43
	v_mfma_f32_16x16x16_bf16 a[12:15], v[6:7], v[4:5], 0
	ds_read2st64_b64 v[2:5], v114 offset0:4 offset1:8
	ds_read2st64_b64 v[6:9], v116 offset0:4 offset1:8
	s_mul_i32 s42, s42, s34
	s_waitcnt lgkmcnt(1)
	v_mfma_f32_16x16x16_bf16 a[0:3], v[22:23], v[2:3], a[0:3]
	s_add_i32 s43, s43, s42
	s_mul_i32 s42, s31, s34
	s_lshl_b64 s[42:43], s[42:43], 2
	s_waitcnt lgkmcnt(0)
	v_mfma_f32_16x16x16_bf16 a[4:7], v[22:23], v[6:7], a[4:7]
	s_add_u32 s42, s20, s42
	s_addc_u32 s43, s21, s43
	s_and_b64 vcc, exec, s[0:1]
	v_mfma_f32_16x16x16_bf16 a[8:11], v[22:23], v[10:11], a[8:11]
	ds_read_b64 v[2:3], v119 offset:49152
	ds_read_b64 v[6:7], v120 offset:49152
	;; [unrolled: 1-line block ×3, first 2 shown]
	v_mov_b32_e32 v143, 0
	v_mov_b32_e32 v142, 0
	v_mfma_f32_16x16x16_bf16 a[12:15], v[22:23], v[14:15], a[12:15]
	v_mov_b32_e32 v141, 0
	v_mov_b32_e32 v14, 0
	;; [unrolled: 1-line block ×3, first 2 shown]
	s_waitcnt lgkmcnt(2)
	v_mfma_f32_16x16x16_bf16 a[0:3], v[2:3], v[4:5], a[0:3]
	v_mov_b32_e32 v4, 0
	v_mov_b32_e32 v5, 0
	v_mfma_f32_16x16x16_bf16 a[16:19], v[2:3], v[8:9], a[4:7]
	v_mov_b32_e32 v8, 0
	v_mov_b32_e32 v9, 0
	;; [unrolled: 3-line block ×3, first 2 shown]
	v_mfma_f32_16x16x16_bf16 a[24:27], v[2:3], v[16:17], a[12:15]
	ds_read_b64 v[2:3], v117 offset:6144
	v_mov_b32_e32 v16, 0
	v_mov_b32_e32 v17, 0
	s_waitcnt lgkmcnt(2)
	v_mfma_f32_16x16x16_bf16 a[4:7], v[6:7], v[20:21], a[0:3]
	v_mfma_f32_16x16x16_bf16 a[8:11], v[6:7], v[18:19], a[16:19]
	s_waitcnt lgkmcnt(0)
	v_mfma_f32_16x16x16_bf16 a[12:15], v[6:7], v[2:3], a[20:23]
	v_mov_b32_e32 v2, 0
	v_mov_b32_e32 v3, 0
	v_mfma_f32_16x16x16_bf16 a[0:3], v[6:7], v[10:11], a[24:27]
	v_mov_b32_e32 v6, 0
	v_mov_b32_e32 v7, 0
	;; [unrolled: 1-line block ×4, first 2 shown]
	s_cbranch_vccnz .LBB98_12
; %bb.11:                               ;   in Loop: Header=BB98_6 Depth=1
	s_and_b32 s25, s25, 0xffff
	buffer_load_dwordx4 v[14:17], v93, s[24:27], 0 offen
	buffer_load_dwordx4 v[10:13], v93, s[24:27], s59 offen
	;; [unrolled: 1-line block ×4, first 2 shown]
	v_mov_b32_e32 v142, v95
	v_mov_b32_e32 v141, v96
.LBB98_12:                              ;   in Loop: Header=BB98_6 Depth=1
	ds_read_b64 v[144:145], v113 offset:57344
	ds_read2_b64 v[18:21], v121 offset1:16
	ds_read_b64 v[146:147], v115 offset:57344
	ds_read_b64 v[148:149], v119 offset:57344
	;; [unrolled: 1-line block ×3, first 2 shown]
	v_add_u32_e32 v152, s57, v89
	s_waitcnt lgkmcnt(3)
	v_mfma_f32_16x16x16_bf16 a[4:7], v[144:145], v[18:19], a[4:7]
	v_mfma_f32_16x16x16_bf16 a[8:11], v[144:145], v[20:21], a[8:11]
	ds_read2_b64 v[18:21], v121 offset0:32 offset1:48
	ds_read2st64_b64 v[22:25], v121 offset0:4 offset1:8
	ds_read2st64_b64 v[26:29], v122 offset0:4 offset1:8
	;; [unrolled: 1-line block ×3, first 2 shown]
	s_waitcnt lgkmcnt(3)
	v_mfma_f32_16x16x16_bf16 a[12:15], v[144:145], v[18:19], a[12:15]
	v_ashrrev_i32_e32 v18, 31, v152
	v_mfma_f32_16x16x16_bf16 a[0:3], v[144:145], v[20:21], a[0:3]
	v_mul_lo_u32 v20, v18, s34
	v_mul_lo_u32 v21, v152, s35
	v_mad_u64_u32 v[18:19], s[24:25], v152, s34, 0
	v_add3_u32 v19, v19, v21, v20
	v_add_u32_e32 v20, 1, v152
	v_ashrrev_i32_e32 v21, 31, v20
	s_waitcnt lgkmcnt(2)
	v_mfma_f32_16x16x16_bf16 a[4:7], v[146:147], v[22:23], a[4:7]
	v_mul_lo_u32 v22, v21, s34
	v_mul_lo_u32 v23, v20, s35
	v_mad_u64_u32 v[20:21], s[24:25], v20, s34, 0
	v_add3_u32 v21, v21, v23, v22
	v_add_u32_e32 v22, 2, v152
	v_ashrrev_i32_e32 v23, 31, v22
	s_waitcnt lgkmcnt(1)
	v_mfma_f32_16x16x16_bf16 a[8:11], v[146:147], v[26:27], a[8:11]
	v_mul_lo_u32 v26, v23, s34
	v_mul_lo_u32 v27, v22, s35
	v_mad_u64_u32 v[22:23], s[24:25], v22, s34, 0
	v_add3_u32 v23, v23, v27, v26
	v_add_u32_e32 v26, 3, v152
	v_ashrrev_i32_e32 v27, 31, v26
	v_mul_lo_u32 v144, v27, s34
	v_mul_lo_u32 v145, v26, s35
	v_mad_u64_u32 v[26:27], s[24:25], v26, s34, 0
	s_ashr_i32 s25, s57, 31
	s_add_u32 s24, s55, s57
	v_lshl_add_u64 v[18:19], v[18:19], 2, s[20:21]
	v_add3_u32 v27, v27, v145, v144
	s_addc_u32 s25, s54, s25
	v_lshl_add_u64 v[20:21], v[20:21], 2, s[20:21]
	global_load_dword v152, v[18:19], off
	v_lshl_add_u64 v[18:19], v[26:27], 2, s[20:21]
	s_lshl_b64 s[24:25], s[24:25], 8
	v_lshl_add_u64 v[22:23], v[22:23], 2, s[20:21]
	global_load_dword v144, v[20:21], off
	global_load_dword v145, v[22:23], off
	;; [unrolled: 1-line block ×3, first 2 shown]
	v_lshl_add_u64 v[18:19], v[80:81], 0, s[24:25]
	v_lshl_add_u64 v[22:23], v[18:19], 0, v[78:79]
	global_load_ushort v154, v[22:23], off offset:256
	global_load_ushort v155, v[22:23], off
	ds_read2st64_b64 v[18:21], v124 offset0:4 offset1:8
	global_load_ushort v156, v[22:23], off offset:768
	global_load_ushort v157, v[22:23], off offset:512
	s_waitcnt lgkmcnt(1)
	v_mfma_f32_16x16x16_bf16 a[12:15], v[146:147], v[30:31], a[12:15]
	s_and_b64 vcc, exec, s[0:1]
	s_waitcnt vmcnt(3)
	v_lshlrev_b32_e32 v31, 16, v154
	s_waitcnt lgkmcnt(0)
	v_mfma_f32_16x16x16_bf16 a[0:3], v[146:147], v[18:19], a[0:3]
	global_load_ushort v146, v[22:23], off offset:288
	global_load_ushort v147, v[22:23], off offset:32
	;; [unrolled: 1-line block ×8, first 2 shown]
	v_mfma_f32_16x16x16_bf16 a[4:7], v[148:149], v[24:25], a[4:7]
	ds_read_b64 v[18:19], v121 offset:6144
	s_waitcnt vmcnt(10)
	v_lshlrev_b32_e32 v30, 16, v155
	v_mfma_f32_16x16x16_bf16 a[8:11], v[148:149], v[28:29], a[8:11]
	v_mfma_f32_16x16x16_bf16 a[12:15], v[148:149], v[32:33], a[12:15]
	;; [unrolled: 1-line block ×3, first 2 shown]
	global_load_ushort v148, v[22:23], off offset:352
	global_load_ushort v149, v[22:23], off offset:96
	ds_read_b64 v[20:21], v122 offset:6144
	ds_read_b64 v[24:25], v123 offset:6144
	;; [unrolled: 1-line block ×3, first 2 shown]
	global_load_ushort v164, v[22:23], off offset:864
	global_load_ushort v165, v[22:23], off offset:608
	s_load_dword s24, s[42:43], 0x0
	s_waitcnt lgkmcnt(0)
	v_mfma_f32_16x16x16_bf16 a[4:7], v[150:151], v[18:19], a[4:7]
	v_sub_f32_e32 v28, s24, v145
	v_mfma_f32_16x16x16_bf16 a[0:3], v[150:151], v[26:27], a[0:3]
	v_sub_f32_e32 v26, s24, v152
	v_sub_f32_e32 v27, s24, v144
	;; [unrolled: 1-line block ×3, first 2 shown]
	v_mul_f32_e32 v26, 0x3fb8aa3b, v26
	v_mul_f32_e32 v27, 0x3fb8aa3b, v27
	;; [unrolled: 1-line block ×4, first 2 shown]
	v_mfma_f32_16x16x16_bf16 a[8:11], v[150:151], v[20:21], a[8:11]
	v_exp_f32_e32 v26, v26
	v_exp_f32_e32 v27, v27
	;; [unrolled: 1-line block ×4, first 2 shown]
	v_accvgpr_read_b32 v33, a5
	v_accvgpr_read_b32 v32, a4
	;; [unrolled: 1-line block ×4, first 2 shown]
	v_pk_add_f32 v[30:31], v[30:31], v[32:33] neg_lo:[0,1] neg_hi:[0,1]
	s_waitcnt vmcnt(13)
	v_lshlrev_b32_e32 v33, 16, v156
	s_waitcnt vmcnt(12)
	v_lshlrev_b32_e32 v32, 16, v157
	v_pk_add_f32 v[18:19], v[32:33], v[18:19] neg_lo:[0,1] neg_hi:[0,1]
	v_pk_mul_f32 v[30:31], v[26:27], v[30:31]
	v_pk_mul_f32 v[18:19], v[28:29], v[18:19]
	v_accvgpr_read_b32 v33, a9
	v_perm_b32 v19, v19, v18, s3
	v_perm_b32 v18, v31, v30, s3
	v_accvgpr_read_b32 v32, a8
	v_accvgpr_read_b32 v21, a11
	v_mfma_f32_16x16x16_bf16 a[12:15], v[150:151], v[24:25], a[12:15]
	v_accvgpr_read_b32 v20, a10
	v_accvgpr_read_b32 v25, a3
	;; [unrolled: 1-line block ×3, first 2 shown]
	v_mov_b32_e32 v144, 0
	s_waitcnt vmcnt(11)
	v_lshlrev_b32_e32 v31, 16, v146
	s_waitcnt vmcnt(10)
	v_lshlrev_b32_e32 v30, 16, v147
	v_pk_add_f32 v[30:31], v[30:31], v[32:33] neg_lo:[0,1] neg_hi:[0,1]
	s_waitcnt vmcnt(9)
	v_lshlrev_b32_e32 v33, 16, v158
	s_waitcnt vmcnt(8)
	v_lshlrev_b32_e32 v32, 16, v159
	v_pk_add_f32 v[20:21], v[32:33], v[20:21] neg_lo:[0,1] neg_hi:[0,1]
	v_pk_mul_f32 v[30:31], v[26:27], v[30:31]
	v_pk_mul_f32 v[20:21], v[28:29], v[20:21]
	v_accvgpr_read_b32 v23, a15
	v_perm_b32 v21, v21, v20, s3
	v_perm_b32 v20, v31, v30, s3
	ds_write2_b64 v98, v[18:19], v[20:21] offset1:16
	v_accvgpr_read_b32 v21, a13
	s_waitcnt vmcnt(7)
	v_lshlrev_b32_e32 v19, 16, v160
	s_waitcnt vmcnt(6)
	v_lshlrev_b32_e32 v18, 16, v161
	v_accvgpr_read_b32 v20, a12
	v_accvgpr_read_b32 v22, a14
	v_pk_add_f32 v[18:19], v[18:19], v[20:21] neg_lo:[0,1] neg_hi:[0,1]
	s_waitcnt vmcnt(5)
	v_lshlrev_b32_e32 v21, 16, v162
	s_waitcnt vmcnt(4)
	v_lshlrev_b32_e32 v20, 16, v163
	v_pk_add_f32 v[20:21], v[20:21], v[22:23] neg_lo:[0,1] neg_hi:[0,1]
	v_pk_mul_f32 v[18:19], v[26:27], v[18:19]
	v_pk_mul_f32 v[20:21], v[28:29], v[20:21]
	v_accvgpr_read_b32 v23, a1
	v_perm_b32 v21, v21, v20, s3
	v_perm_b32 v20, v19, v18, s3
	s_waitcnt vmcnt(3)
	v_lshlrev_b32_e32 v19, 16, v148
	s_waitcnt vmcnt(2)
	v_lshlrev_b32_e32 v18, 16, v149
	v_accvgpr_read_b32 v22, a0
	v_pk_add_f32 v[18:19], v[18:19], v[22:23] neg_lo:[0,1] neg_hi:[0,1]
	s_waitcnt vmcnt(1)
	v_lshlrev_b32_e32 v23, 16, v164
	s_waitcnt vmcnt(0)
	v_lshlrev_b32_e32 v22, 16, v165
	v_pk_add_f32 v[22:23], v[22:23], v[24:25] neg_lo:[0,1] neg_hi:[0,1]
	v_pk_mul_f32 v[18:19], v[26:27], v[18:19]
	v_pk_mul_f32 v[22:23], v[28:29], v[22:23]
	v_mov_b32_e32 v24, 0
	v_perm_b32 v23, v23, v22, s3
	v_perm_b32 v22, v19, v18, s3
	ds_write2_b64 v98, v[20:21], v[22:23] offset0:32 offset1:48
	v_mov_b32_e32 v18, 0
	v_mov_b32_e32 v19, 0
	;; [unrolled: 1-line block ×15, first 2 shown]
	s_cbranch_vccnz .LBB98_14
; %bb.13:                               ;   in Loop: Header=BB98_6 Depth=1
	s_and_b32 s29, s29, 0xffff
	s_mov_b32 s31, s27
	buffer_load_dwordx4 v[30:33], v135, s[28:31], 0 offen
	buffer_load_dwordx4 v[22:25], v135, s[28:31], s59 offen
	;; [unrolled: 1-line block ×4, first 2 shown]
	v_mov_b32_e32 v143, v92
	v_mov_b32_e32 v144, v91
.LBB98_14:                              ;   in Loop: Header=BB98_6 Depth=1
	s_waitcnt lgkmcnt(0)
	s_barrier
	ds_read_b64 v[154:155], v77
	ds_read2_b64 v[146:149], v128 offset1:16
	ds_read_b64 v[170:171], v137
	ds_read_b64 v[172:173], v138
	;; [unrolled: 1-line block ×3, first 2 shown]
	ds_read2_b64 v[150:153], v128 offset0:32 offset1:48
	s_waitcnt lgkmcnt(4)
	v_mfma_f32_16x16x16_bf16 a[0:3], v[154:155], v[146:147], 0
	ds_read2st64_b64 v[158:161], v130 offset0:4 offset1:8
	ds_read2st64_b64 v[162:165], v131 offset0:4 offset1:8
	;; [unrolled: 1-line block ×3, first 2 shown]
	v_mfma_f32_16x16x16_bf16 a[4:7], v[154:155], v[148:149], 0
	s_add_i32 s25, s56, s62
	s_mul_hi_i32 s29, s25, s17
	s_mul_i32 s25, s25, s17
	s_waitcnt lgkmcnt(3)
	v_mfma_f32_16x16x16_bf16 a[8:11], v[154:155], v[150:151], 0
	s_add_u32 s28, s25, s49
	s_addc_u32 s29, s29, s50
	s_lshl_b64 s[28:29], s[28:29], 15
	v_mfma_f32_16x16x16_bf16 a[12:15], v[154:155], v[152:153], 0
	ds_read2st64_b64 v[154:157], v128 offset0:4 offset1:8
	s_waitcnt lgkmcnt(0)
	v_mfma_f32_16x16x16_bf16 a[0:3], v[170:171], v[154:155], a[0:3]
	v_mfma_f32_16x16x16_bf16 a[4:7], v[170:171], v[158:159], a[4:7]
	;; [unrolled: 1-line block ×8, first 2 shown]
	ds_read_b64 v[170:171], v128 offset:6144
	ds_read_b64 v[172:173], v129 offset:40960
	;; [unrolled: 1-line block ×8, first 2 shown]
	s_waitcnt lgkmcnt(5)
	v_mfma_f32_16x16x16_bf16 a[16:19], v[176:177], v[146:147], 0
	v_mfma_f32_16x16x16_bf16 a[20:23], v[176:177], v[148:149], 0
	ds_read2st64_b64 v[146:149], v125 offset1:8
	v_mfma_f32_16x16x16_bf16 a[24:27], v[176:177], v[150:151], 0
	v_mfma_f32_16x16x16_bf16 a[28:31], v[176:177], v[152:153], 0
	ds_read2st64_b64 v[150:153], v126 offset1:8
	v_mfma_f32_16x16x16_bf16 a[16:19], v[172:173], v[154:155], a[16:19]
	s_waitcnt lgkmcnt(1)
	v_mov_b32_e32 v154, v146
	v_mov_b32_e32 v155, v147
	v_mfma_f32_16x16x16_bf16 a[20:23], v[172:173], v[158:159], a[20:23]
	v_lshl_add_u64 v[158:159], v[82:83], 0, s[28:29]
	v_mfma_f32_16x16x16_bf16 a[24:27], v[172:173], v[162:163], a[24:27]
	v_mfma_f32_16x16x16_bf16 a[28:31], v[172:173], v[166:167], a[28:31]
	;; [unrolled: 1-line block ×3, first 2 shown]
	s_waitcnt lgkmcnt(0)
	v_mov_b32_e32 v156, v150
	v_mov_b32_e32 v157, v151
	;; [unrolled: 1-line block ×3, first 2 shown]
	v_mfma_f32_16x16x16_bf16 a[32:35], v[184:185], v[160:161], a[20:23]
	v_mov_b32_e32 v151, v149
	ds_read2st64_b64 v[146:149], v125 offset0:16 offset1:24
	global_store_dwordx4 v[158:159], v[154:157], off
	v_mfma_f32_16x16x16_bf16 a[24:27], v[184:185], v[164:165], a[24:27]
	ds_read2st64_b64 v[154:157], v126 offset0:16 offset1:24
	v_add_co_u32_e32 v160, vcc, s39, v158
	v_mfma_f32_16x16x16_bf16 a[28:31], v[184:185], v[168:169], a[28:31]
	s_nop 0
	v_addc_co_u32_e32 v161, vcc, 0, v159, vcc
	global_store_dwordx4 v[160:161], v[150:153], off offset:-4096
	v_mfma_f32_16x16x16_bf16 a[0:3], v[174:175], v[170:171], a[0:3]
	s_waitcnt lgkmcnt(1)
	v_mov_b32_e32 v150, v146
	v_add_co_u32_e32 v146, vcc, s41, v158
	v_mfma_f32_16x16x16_bf16 a[4:7], v[174:175], v[178:179], a[4:7]
	v_mov_b32_e32 v151, v147
	v_addc_co_u32_e32 v147, vcc, 0, v159, vcc
	v_mfma_f32_16x16x16_bf16 a[8:11], v[174:175], v[180:181], a[8:11]
	s_waitcnt lgkmcnt(0)
	v_mov_b32_e32 v152, v154
	v_mov_b32_e32 v153, v155
	;; [unrolled: 1-line block ×3, first 2 shown]
	v_mfma_f32_16x16x16_bf16 a[12:15], v[174:175], v[182:183], a[12:15]
	v_mov_b32_e32 v155, v149
	s_and_b64 vcc, exec, s[0:1]
	global_store_dwordx4 v[160:161], v[150:153], off
	v_mfma_f32_16x16x16_bf16 a[20:23], v[186:187], v[170:171], a[16:19]
	global_store_dwordx4 v[146:147], v[154:157], off
	v_mfma_f32_16x16x16_bf16 a[16:19], v[186:187], v[178:179], a[32:35]
	v_mfma_f32_16x16x16_bf16 a[24:27], v[186:187], v[180:181], a[24:27]
	;; [unrolled: 1-line block ×3, first 2 shown]
	s_cbranch_vccnz .LBB98_16
; %bb.15:                               ;   in Loop: Header=BB98_6 Depth=1
	v_lshrrev_b32_e32 v145, 3, v143
	v_and_b32_e32 v145, 6, v145
	v_xor_b32_e32 v144, v145, v144
	v_lshlrev_b32_e32 v144, 2, v144
	v_and_b32_e32 v143, 8, v143
	v_xor_b32_e32 v146, 0x440, v144
	v_cmp_eq_u32_e32 vcc, 0, v143
	s_barrier
	s_nop 0
	v_cndmask_b32_e32 v143, v146, v144, vcc
	v_lshl_or_b32 v143, v145, 10, v143
	s_waitcnt vmcnt(5)
	v_perm_b32 v144, v30, v26, s60
	s_waitcnt vmcnt(4)
	v_perm_b32 v145, v22, v18, s60
	ds_write2st64_b32 v143, v144, v145 offset0:128 offset1:160
	v_xor_b32_e32 v144, 8, v143
	v_perm_b32 v26, v30, v26, s61
	v_perm_b32 v18, v22, v18, s61
	v_add_u32_e32 v22, 0x80, v144
	ds_write2st64_b32 v22, v26, v18 offset0:128 offset1:160
	v_xor_b32_e32 v18, 16, v143
	v_perm_b32 v22, v31, v27, s60
	v_perm_b32 v26, v23, v19, s60
	ds_write2st64_b32 v18, v22, v26 offset0:129 offset1:161
	v_xor_b32_e32 v18, 24, v143
	v_perm_b32 v22, v31, v27, s61
	v_perm_b32 v19, v23, v19, s61
	v_add_u32_e32 v18, 0x80, v18
	ds_write2st64_b32 v18, v22, v19 offset0:129 offset1:161
	v_xor_b32_e32 v18, 32, v143
	v_perm_b32 v19, v32, v28, s60
	;; [unrolled: 9-line block ×3, first 2 shown]
	v_perm_b32 v20, v25, v21, s60
	ds_write2st64_b32 v18, v19, v20 offset0:131 offset1:163
	v_xor_b32_e32 v18, 56, v143
	v_perm_b32 v19, v33, v29, s61
	v_perm_b32 v20, v25, v21, s61
	v_add_u32_e32 v18, 0x80, v18
	ds_write2st64_b32 v18, v19, v20 offset0:131 offset1:163
	ds_write_b64 v142, v[14:15] offset:49152
	v_xor_b32_e32 v14, 8, v142
	ds_write_b64 v14, v[16:17] offset:49152
	ds_write_b64 v142, v[10:11] offset:57344
	;; [unrolled: 1-line block ×4, first 2 shown]
	v_xor_b32_e32 v6, 8, v141
	ds_write_b64 v6, v[8:9] offset:49152
	ds_write_b64 v141, v[2:3] offset:57344
	;; [unrolled: 1-line block ×3, first 2 shown]
.LBB98_16:                              ;   in Loop: Header=BB98_6 Depth=1
	s_waitcnt vmcnt(6)
	v_mul_f32_e32 v22, s24, v140
	v_exp_f32_e32 v142, v22
	v_accvgpr_read_b32 v5, a3
	v_accvgpr_read_b32 v9, a7
	;; [unrolled: 1-line block ×4, first 2 shown]
	s_waitcnt vmcnt(4)
	v_accvgpr_read_b32 v18, a20
	v_accvgpr_read_b32 v25, a19
	;; [unrolled: 1-line block ×28, first 2 shown]
	s_add_i32 s57, s57, 64
	v_pk_fma_f32 v[70:71], v[70:71], v[142:143], v[2:3] op_sel_hi:[1,0,1]
	v_pk_fma_f32 v[74:75], v[74:75], v[142:143], v[4:5] op_sel_hi:[1,0,1]
	;; [unrolled: 1-line block ×15, first 2 shown]
	s_cmp_eq_u32 s51, s63
	v_pk_fma_f32 v[48:49], v[48:49], v[142:143], v[32:33] op_sel_hi:[1,0,1]
	s_cbranch_scc1 .LBB98_18
; %bb.17:                               ;   in Loop: Header=BB98_6 Depth=1
	s_mov_b32 s62, s63
	s_branch .LBB98_6
.LBB98_18:
	s_lshl_b32 s30, s51, 6
	s_sub_i32 s31, s52, s30
	s_cmp_gt_i32 s31, 0
	s_cbranch_scc0 .LBB98_99
; %bb.19:
	s_add_i32 s30, s30, s36
	s_ashr_i32 s3, s30, 31
	s_cmpk_lg_i32 s19, 0x80
	s_cselect_b64 s[26:27], -1, 0
	s_and_b64 vcc, exec, s[26:27]
	s_cbranch_vccz .LBB98_21
; %bb.20:
	s_mul_hi_i32 s0, s30, s18
	s_mul_i32 s1, s30, s18
	s_ashr_i32 s18, s53, 31
	s_add_u32 s28, s1, s53
	s_addc_u32 s29, s0, s18
	s_cbranch_execz .LBB98_22
	s_branch .LBB98_23
.LBB98_21:
                                        ; implicit-def: $sgpr28_sgpr29
.LBB98_22:
	s_mul_i32 s1, s53, s16
	s_mul_hi_i32 s0, s53, s16
	s_add_u32 s28, s1, s30
	s_addc_u32 s29, s0, s3
.LBB98_23:
	s_add_i32 s16, s51, s56
	s_add_u32 s0, s55, s30
	v_lshlrev_b32_e32 v6, 6, v89
	v_lshlrev_b32_e32 v24, 2, v86
	s_addc_u32 s1, s54, s3
	s_mov_b32 s3, 0x7060302
	v_or_b32_e32 v9, v6, v24
	v_xor_b32_e32 v7, v89, v24
	v_perm_b32 v3, v75, v74, s3
	v_perm_b32 v2, v71, v70, s3
	;; [unrolled: 1-line block ×4, first 2 shown]
	v_lshlrev_b32_e32 v9, 1, v9
	v_xor_b32_e32 v8, v90, v24
	ds_write2st64_b64 v9, v[2:3], v[4:5] offset0:32 offset1:48
	v_lshlrev_b32_e32 v7, 1, v7
	v_lshlrev_b32_e32 v9, 8, v86
	v_or_b32_e32 v10, v7, v9
	v_lshlrev_b32_e32 v8, 1, v8
	ds_write_b64 v10, v[2:3]
	v_or_b32_e32 v2, v8, v9
	v_or_b32_e32 v9, 16, v86
	v_lshlrev_b32_e32 v23, 2, v9
	v_or_b32_e32 v10, v6, v23
	ds_write_b64 v2, v[4:5]
	v_perm_b32 v3, v67, v66, s3
	v_perm_b32 v2, v63, v62, s3
	;; [unrolled: 1-line block ×4, first 2 shown]
	v_lshlrev_b32_e32 v10, 1, v10
	v_lshlrev_b32_e32 v9, 8, v9
	ds_write2st64_b64 v10, v[2:3], v[4:5] offset0:32 offset1:48
	v_or_b32_e32 v10, v7, v9
	ds_write_b64 v10, v[2:3]
	v_or_b32_e32 v2, v8, v9
	v_or_b32_e32 v9, 32, v86
	v_lshlrev_b32_e32 v22, 2, v9
	v_or_b32_e32 v10, v6, v22
	ds_write_b64 v2, v[4:5]
	v_perm_b32 v3, v59, v58, s3
	v_perm_b32 v2, v55, v54, s3
	;; [unrolled: 1-line block ×4, first 2 shown]
	v_lshlrev_b32_e32 v10, 1, v10
	v_lshlrev_b32_e32 v9, 8, v9
	s_lshl_b64 s[24:25], s[0:1], 8
	ds_write2st64_b64 v10, v[2:3], v[4:5] offset0:32 offset1:48
	v_or_b32_e32 v10, v7, v9
	s_add_u32 s0, s6, s24
	ds_write_b64 v10, v[2:3]
	v_or_b32_e32 v2, v8, v9
	s_addc_u32 s1, s7, s25
	ds_write_b64 v2, v[4:5]
	v_perm_b32 v3, v53, v52, s3
	v_perm_b32 v2, v47, v46, s3
	;; [unrolled: 1-line block ×4, first 2 shown]
	v_or_b32_e32 v9, 48, v86
	s_mul_hi_i32 s3, s16, s17
	s_mul_i32 s16, s16, s17
	v_lshlrev_b32_e32 v19, 2, v9
	s_add_u32 s6, s16, s49
	v_or_b32_e32 v6, v6, v19
	s_addc_u32 s7, s3, s50
	v_lshlrev_b32_e32 v6, 1, v6
	s_ashr_i32 s3, s2, 31
	s_lshl_b64 s[6:7], s[6:7], 15
	ds_write2st64_b64 v6, v[2:3], v[4:5] offset0:32 offset1:48
	v_lshlrev_b32_e32 v6, 8, v9
	s_add_u32 s6, s22, s6
	v_or_b32_e32 v7, v7, v6
	s_addc_u32 s7, s23, s7
	s_lshl_b64 s[2:3], s[2:3], 8
	ds_write_b64 v7, v[2:3]
	v_or_b32_e32 v2, v8, v6
	s_add_u32 s2, s6, s2
	v_lshlrev_b32_e32 v3, 1, v86
	ds_write_b64 v2, v[4:5]
	v_lshrrev_b32_e32 v2, 4, v0
	s_addc_u32 s3, s7, s3
	v_or_b32_e32 v4, 1, v3
	v_lshlrev_b32_e32 v10, 4, v86
	v_mov_b32_e32 v11, 0
	v_xor_b32_e32 v3, v2, v3
	v_xor_b32_e32 v6, v4, v2
	v_lshl_add_u64 v[12:13], s[2:3], 0, v[10:11]
	v_lshlrev_b32_e32 v10, 8, v2
	v_lshl_or_b32 v16, v3, 3, v10
	v_lshl_or_b32 v17, v6, 3, v10
	s_waitcnt lgkmcnt(0)
	s_barrier
	ds_read2st64_b64 v[2:5], v16 offset1:8
	ds_read2st64_b64 v[6:9], v17 offset1:8
	v_lshl_add_u64 v[14:15], v[12:13], 0, v[10:11]
	s_movk_i32 s2, 0x2000
	s_cmp_lg_u32 s31, 64
	s_waitcnt lgkmcnt(1)
	v_mov_b32_e32 v10, v2
	v_mov_b32_e32 v11, v3
	s_waitcnt lgkmcnt(0)
	v_mov_b32_e32 v12, v6
	v_mov_b32_e32 v13, v7
	global_store_dwordx4 v[14:15], v[10:13], off
	v_mov_b32_e32 v6, v4
	v_mov_b32_e32 v7, v5
	ds_read2st64_b64 v[2:5], v16 offset0:16 offset1:24
	ds_read2st64_b64 v[10:13], v17 offset0:16 offset1:24
	v_add_co_u32_e32 v16, vcc, s2, v14
	s_cselect_b64 s[6:7], -1, 0
	s_nop 0
	v_addc_co_u32_e32 v17, vcc, 0, v15, vcc
	global_store_dwordx4 v[16:17], v[6:9], off offset:-4096
	v_lshl_or_b32 v30, v1, 3, v88
	s_mov_b32 s20, 0
	s_waitcnt lgkmcnt(1)
	v_mov_b32_e32 v6, v2
	v_add_co_u32_e32 v2, vcc, 0x3000, v14
	v_mov_b32_e32 v7, v3
	s_nop 0
	v_addc_co_u32_e32 v3, vcc, 0, v15, vcc
	s_waitcnt lgkmcnt(0)
	v_mov_b32_e32 v8, v10
	v_mov_b32_e32 v9, v11
	;; [unrolled: 1-line block ×4, first 2 shown]
	v_or_b32_e32 v20, 32, v30
	v_and_b32_e32 v18, 56, v87
	s_and_b64 vcc, exec, s[6:7]
	global_store_dwordx4 v[16:17], v[6:9], off
	global_store_dwordx4 v[2:3], v[10:13], off
	s_cbranch_vccz .LBB98_29
; %bb.24:
	s_mov_b32 s21, s20
	s_mov_b32 s22, s20
	s_mov_b32 s23, s20
	v_mov_b64_e32 v[6:7], s[20:21]
	v_mov_b64_e32 v[8:9], s[22:23]
	;; [unrolled: 1-line block ×3, first 2 shown]
	v_cmp_gt_i32_e32 vcc, s31, v30
	v_mov_b64_e32 v[4:5], v[8:9]
	s_and_saveexec_b64 s[2:3], vcc
	s_cbranch_execz .LBB98_26
; %bb.25:
	v_lshlrev_b32_e32 v2, 8, v30
	v_mov_b32_e32 v3, 0
	v_lshl_add_u64 v[4:5], s[0:1], 0, v[2:3]
	v_lshlrev_b32_e32 v2, 1, v18
	v_lshl_add_u64 v[10:11], v[4:5], 0, v[2:3]
	global_load_dwordx4 v[6:9], v[10:11], off
	global_load_dwordx4 v[2:5], v[10:11], off offset:128
.LBB98_26:
	s_or_b64 exec, exec, s[2:3]
	s_mov_b32 s21, s20
	s_mov_b32 s22, s20
	;; [unrolled: 1-line block ×3, first 2 shown]
	v_mov_b64_e32 v[14:15], s[20:21]
	v_mov_b64_e32 v[16:17], s[22:23]
	;; [unrolled: 1-line block ×3, first 2 shown]
	v_cmp_gt_i32_e32 vcc, s31, v20
	v_lshlrev_b32_e32 v21, 7, v20
	v_mov_b64_e32 v[12:13], v[16:17]
	s_and_saveexec_b64 s[2:3], vcc
	s_cbranch_execz .LBB98_28
; %bb.27:
	v_lshlrev_b32_e32 v10, 1, v21
	v_mov_b32_e32 v11, 0
	v_lshl_add_u64 v[12:13], s[0:1], 0, v[10:11]
	v_lshlrev_b32_e32 v10, 1, v18
	v_lshl_add_u64 v[26:27], v[12:13], 0, v[10:11]
	global_load_dwordx4 v[14:17], v[26:27], off
	global_load_dwordx4 v[10:13], v[26:27], off offset:128
.LBB98_28:
	s_or_b64 exec, exec, s[2:3]
	v_lshrrev_b32_e32 v25, 3, v18
	v_lshlrev_b32_e32 v26, 3, v30
	v_or_b32_e32 v25, v26, v25
	v_lshlrev_b32_e32 v25, 4, v25
	v_and_b32_e32 v26, 0x78, v26
	v_xor_b32_e32 v25, v25, v26
	s_branch .LBB98_31
.LBB98_29:
                                        ; implicit-def: $vgpr25
                                        ; implicit-def: $vgpr21
                                        ; implicit-def: $vgpr6_vgpr7_vgpr8_vgpr9
                                        ; implicit-def: $vgpr2_vgpr3_vgpr4_vgpr5
                                        ; implicit-def: $vgpr14_vgpr15_vgpr16_vgpr17
                                        ; implicit-def: $vgpr10_vgpr11_vgpr12_vgpr13
	s_cbranch_execz .LBB98_31
; %bb.30:
	s_waitcnt vmcnt(0)
	v_lshlrev_b32_e32 v2, 1, v18
	v_lshl_or_b32 v21, v30, 8, v2
	s_and_b32 s1, s1, 0xffff
	s_mov_b32 s3, 0x20000
	s_movk_i32 s2, 0x4000
	v_lshl_or_b32 v25, v20, 8, v2
	s_movk_i32 s16, 0x80
	buffer_load_dwordx4 v[6:9], v21, s[0:3], 0 offen
	buffer_load_dwordx4 v[2:5], v21, s[0:3], s16 offen
	;; [unrolled: 1-line block ×4, first 2 shown]
	v_lshrrev_b32_e32 v21, 3, v18
	v_lshlrev_b32_e32 v25, 3, v30
	v_or_b32_e32 v21, v25, v21
	v_lshlrev_b32_e32 v21, 4, v21
	v_and_b32_e32 v25, 0x78, v25
	v_xor_b32_e32 v25, v21, v25
	v_lshlrev_b32_e32 v21, 7, v20
.LBB98_31:
	s_movk_i32 s0, 0x1000
	v_and_or_b32 v20, v21, s0, v25
	s_waitcnt vmcnt(1)
	ds_write_b64 v25, v[6:7] offset:49152
	v_xor_b32_e32 v6, 8, v25
	ds_write_b64 v6, v[8:9] offset:49152
	s_waitcnt vmcnt(0)
	ds_write_b64 v25, v[2:3] offset:57344
	ds_write_b64 v6, v[4:5] offset:57344
	;; [unrolled: 1-line block ×3, first 2 shown]
	v_xor_b32_e32 v2, 8, v20
	ds_write_b64 v2, v[16:17] offset:49152
	ds_write_b64 v20, v[10:11] offset:57344
	ds_write_b64 v2, v[12:13] offset:57344
	v_or_b32_e32 v2, v84, v86
	v_lshlrev_b32_e32 v2, 3, v2
	v_lshrrev_b32_e32 v3, 5, v35
	s_movk_i32 s0, 0xf8
	v_and_or_b32 v3, v2, s0, v3
	v_lshlrev_b32_e32 v7, 4, v3
	v_lshlrev_b32_e32 v25, 11, v1
	v_and_b32_e32 v8, 0x78, v2
	v_or_b32_e32 v10, 32, v7
	v_and_b32_e32 v6, 0x1000, v25
	v_lshrrev_b32_e32 v3, 1, v35
	v_xor_b32_e32 v10, v10, v8
	v_xor_b32_e32 v2, v7, v8
	v_and_b32_e32 v9, 8, v3
	v_or_b32_e32 v10, v10, v6
	v_or_b32_e32 v2, v2, v6
	v_xor_b32_e32 v32, v10, v9
	v_or_b32_e32 v10, 64, v7
	v_xor_b32_e32 v31, v2, v9
	v_xor_b32_e32 v10, v10, v8
	s_waitcnt lgkmcnt(0)
	s_barrier
	v_or_b32_e32 v13, v10, v6
	ds_read_b64 v[10:11], v31 offset:49152
	v_lshl_or_b32 v14, v85, 8, v24
	v_lshlrev_b32_e32 v26, 1, v14
	v_add_u32_e32 v12, 0x4000, v26
	ds_read2_b64 v[2:5], v12 offset1:16
	v_or_b32_e32 v7, 0x60, v7
	v_xor_b32_e32 v7, v7, v8
	v_or_b32_e32 v6, v7, v6
	v_xor_b32_e32 v33, v13, v9
	v_xor_b32_e32 v77, v6, v9
	ds_read_b64 v[20:21], v32 offset:49152
	ds_read_b64 v[78:79], v33 offset:49152
	;; [unrolled: 1-line block ×3, first 2 shown]
	s_waitcnt lgkmcnt(3)
	v_mfma_f32_16x16x16_bf16 a[0:3], v[10:11], v[2:3], 0
	ds_read2st64_b64 v[6:9], v26 offset0:36 offset1:40
	s_lshl_b64 s[0:1], s[28:29], 8
	s_add_u32 s4, s4, s0
	v_mfma_f32_16x16x16_bf16 a[4:7], v[10:11], v[4:5], 0
	ds_read2_b64 v[2:5], v12 offset0:32 offset1:48
	s_addc_u32 s5, s5, s1
	s_add_i32 s1, s44, s33
	s_waitcnt lgkmcnt(0)
	v_mfma_f32_16x16x16_bf16 a[8:11], v[10:11], v[2:3], 0
	v_or_b32_e32 v2, 64, v14
	v_lshlrev_b32_e32 v27, 1, v2
	s_add_i32 s0, s37, -1
	v_mfma_f32_16x16x16_bf16 a[12:15], v[10:11], v[4:5], 0
	ds_read2st64_b64 v[2:5], v27 offset0:36 offset1:40
	s_add_i32 s41, s1, s45
	s_add_i32 s1, s47, s46
	v_mfma_f32_16x16x16_bf16 a[0:3], v[20:21], v[6:7], a[0:3]
	v_or_b32_e32 v6, 0x80, v14
	v_lshlrev_b32_e32 v28, 1, v6
	ds_read2st64_b64 v[10:13], v28 offset0:36 offset1:40
	s_waitcnt lgkmcnt(1)
	v_mfma_f32_16x16x16_bf16 a[4:7], v[20:21], v[2:3], a[4:7]
	v_or_b32_e32 v2, 0xc0, v14
	v_lshlrev_b32_e32 v29, 1, v2
	ds_read2st64_b64 v[14:17], v29 offset0:36 offset1:40
	s_add_i32 s39, s1, s48
	s_ashr_i32 s1, s0, 31
	s_mul_i32 s2, s0, s35
	s_mul_hi_u32 s3, s0, s34
	s_add_i32 s2, s3, s2
	s_mul_i32 s1, s1, s34
	s_waitcnt lgkmcnt(1)
	v_mfma_f32_16x16x16_bf16 a[8:11], v[20:21], v[10:11], a[8:11]
	s_add_i32 s1, s2, s1
	s_lshl_b64 s[2:3], s[40:41], 2
	s_add_u32 s10, s10, s2
	s_waitcnt lgkmcnt(0)
	v_mfma_f32_16x16x16_bf16 a[12:15], v[20:21], v[14:15], a[12:15]
	s_addc_u32 s11, s11, s3
	s_lshl_b64 s[2:3], s[38:39], 2
	s_mul_i32 s0, s0, s34
	v_mfma_f32_16x16x16_bf16 a[0:3], v[78:79], v[8:9], a[0:3]
	ds_read_b64 v[2:3], v26 offset:22528
	s_add_u32 s10, s10, s2
	s_addc_u32 s11, s11, s3
	v_mfma_f32_16x16x16_bf16 a[4:7], v[78:79], v[4:5], a[4:7]
	ds_read_b64 v[4:5], v27 offset:22528
	ds_read_b64 v[6:7], v28 offset:22528
	;; [unrolled: 1-line block ×3, first 2 shown]
	s_lshl_b64 s[0:1], s[0:1], 2
	s_add_u32 s0, s10, s0
	v_mfma_f32_16x16x16_bf16 a[8:11], v[78:79], v[12:13], a[8:11]
	s_addc_u32 s1, s11, s1
	s_load_dword s16, s[0:1], 0x0
	s_and_b64 vcc, exec, s[26:27]
	v_mfma_f32_16x16x16_bf16 a[12:15], v[78:79], v[16:17], a[12:15]
	s_waitcnt lgkmcnt(0)
	v_mfma_f32_16x16x16_bf16 a[0:3], v[80:81], v[2:3], a[0:3]
	v_mfma_f32_16x16x16_bf16 a[4:7], v[80:81], v[4:5], a[4:7]
	;; [unrolled: 1-line block ×4, first 2 shown]
	s_cbranch_vccz .LBB98_42
; %bb.32:
	v_lshlrev_b32_e32 v20, 1, v30
	s_and_b64 vcc, exec, s[6:7]
	s_cbranch_vccz .LBB98_43
; %bb.33:
	v_cmp_gt_i32_e32 vcc, s31, v20
	v_mov_b32_e32 v6, 0
	v_mov_b32_e32 v2, 0
	;; [unrolled: 1-line block ×5, first 2 shown]
	s_and_saveexec_b64 s[0:1], vcc
	s_cbranch_execz .LBB98_35
; %bb.34:
	v_mad_i64_i32 v[2:3], s[2:3], s19, v20, 0
	v_lshl_add_u64 v[2:3], v[2:3], 1, s[4:5]
	v_lshlrev_b32_e32 v4, 1, v18
	v_mov_b32_e32 v5, 0
	v_lshl_add_u64 v[2:3], v[2:3], 0, v[4:5]
	global_load_dwordx4 v[2:5], v[2:3], off
.LBB98_35:
	s_or_b64 exec, exec, s[0:1]
	v_or_b32_e32 v21, 1, v20
	v_cmp_gt_i32_e64 s[0:1], s31, v21
	v_mov_b32_e32 v7, 0
	v_mov_b32_e32 v8, 0
	v_mov_b32_e32 v9, 0
	s_and_saveexec_b64 s[2:3], s[0:1]
	s_cbranch_execz .LBB98_37
; %bb.36:
	v_mad_i64_i32 v[6:7], s[20:21], s19, v21, 0
	v_lshl_add_u64 v[6:7], v[6:7], 1, s[4:5]
	v_lshlrev_b32_e32 v8, 1, v18
	v_mov_b32_e32 v9, 0
	v_lshl_add_u64 v[6:7], v[6:7], 0, v[8:9]
	global_load_dwordx4 v[6:9], v[6:7], off
.LBB98_37:
	s_or_b64 exec, exec, s[2:3]
	v_mov_b32_e32 v17, 0
	v_mov_b32_e32 v10, 0
	;; [unrolled: 1-line block ×5, first 2 shown]
	s_and_saveexec_b64 s[2:3], vcc
	s_cbranch_execz .LBB98_39
; %bb.38:
	v_mad_i64_i32 v[10:11], s[20:21], s19, v20, 0
	v_lshl_add_u64 v[10:11], v[10:11], 1, s[4:5]
	v_lshlrev_b32_e32 v12, 1, v18
	v_mov_b32_e32 v13, 0
	v_lshl_add_u64 v[10:11], v[10:11], 0, v[12:13]
	global_load_dwordx4 v[10:13], v[10:11], off offset:128
.LBB98_39:
	s_or_b64 exec, exec, s[2:3]
	v_mov_b32_e32 v16, 0
	v_mov_b32_e32 v15, 0
	;; [unrolled: 1-line block ×3, first 2 shown]
	s_and_saveexec_b64 s[2:3], s[0:1]
	s_cbranch_execz .LBB98_41
; %bb.40:
	v_mad_i64_i32 v[14:15], s[0:1], s19, v21, 0
	v_lshl_add_u64 v[14:15], v[14:15], 1, s[4:5]
	v_lshlrev_b32_e32 v16, 1, v18
	v_mov_b32_e32 v17, 0
	v_lshl_add_u64 v[14:15], v[14:15], 0, v[16:17]
	global_load_dwordx4 v[14:17], v[14:15], off offset:128
.LBB98_41:
	s_or_b64 exec, exec, s[2:3]
	s_branch .LBB98_45
.LBB98_42:
                                        ; implicit-def: $vgpr5
                                        ; implicit-def: $vgpr9
                                        ; implicit-def: $vgpr13
                                        ; implicit-def: $vgpr17
	v_lshrrev_b32_e32 v35, 2, v35
	s_branch .LBB98_46
.LBB98_43:
                                        ; implicit-def: $vgpr5
                                        ; implicit-def: $vgpr9
                                        ; implicit-def: $vgpr13
                                        ; implicit-def: $vgpr17
	s_cbranch_execz .LBB98_45
; %bb.44:
	s_waitcnt vmcnt(0)
	v_mad_u64_u32 v[2:3], s[0:1], v20, s19, v[18:19]
	v_lshlrev_b32_e32 v20, 1, v2
	s_lshl_b32 s2, s19, 7
	s_and_b32 s1, s5, 0xffff
	s_mov_b32 s3, 0x20000
	s_mov_b32 s0, s4
	v_add_lshl_u32 v21, v2, s19, 1
	s_movk_i32 s17, 0x80
	buffer_load_dwordx4 v[2:5], v20, s[0:3], 0 offen
	buffer_load_dwordx4 v[10:13], v20, s[0:3], s17 offen
	;; [unrolled: 1-line block ×4, first 2 shown]
.LBB98_45:
	v_lshrrev_b32_e32 v35, 2, v35
	s_cbranch_execnz .LBB98_58
.LBB98_46:
	s_and_b64 vcc, exec, s[6:7]
	s_cbranch_vccz .LBB98_56
; %bb.47:
	s_waitcnt vmcnt(0)
	v_lshlrev_b32_e32 v7, 1, v30
	v_cmp_gt_i32_e32 vcc, s31, v7
	v_mov_b32_e32 v6, 0
	v_lshlrev_b32_e32 v14, 9, v30
	v_mov_b32_e32 v2, 0
	v_mov_b32_e32 v3, 0
	;; [unrolled: 1-line block ×4, first 2 shown]
	s_and_saveexec_b64 s[0:1], vcc
	s_cbranch_execz .LBB98_49
; %bb.48:
	v_mov_b32_e32 v15, 0
	v_lshl_add_u64 v[2:3], s[4:5], 0, v[14:15]
	v_lshlrev_b32_e32 v4, 1, v18
	v_mov_b32_e32 v5, v15
	v_lshl_add_u64 v[2:3], v[2:3], 0, v[4:5]
	global_load_dwordx4 v[2:5], v[2:3], off
.LBB98_49:
	s_or_b64 exec, exec, s[0:1]
	v_or_b32_e32 v7, 1, v7
	v_cmp_gt_i32_e64 s[0:1], s31, v7
	v_lshlrev_b32_e32 v20, 8, v7
	v_mov_b32_e32 v7, 0
	v_mov_b32_e32 v8, 0
	;; [unrolled: 1-line block ×3, first 2 shown]
	s_and_saveexec_b64 s[2:3], s[0:1]
	s_cbranch_execz .LBB98_51
; %bb.50:
	v_mov_b32_e32 v21, 0
	v_lshl_add_u64 v[6:7], s[4:5], 0, v[20:21]
	v_lshlrev_b32_e32 v8, 1, v18
	v_mov_b32_e32 v9, v21
	v_lshl_add_u64 v[6:7], v[6:7], 0, v[8:9]
	global_load_dwordx4 v[6:9], v[6:7], off
.LBB98_51:
	s_or_b64 exec, exec, s[2:3]
	v_mov_b32_e32 v17, 0
	v_mov_b32_e32 v10, 0
	;; [unrolled: 1-line block ×5, first 2 shown]
	s_and_saveexec_b64 s[2:3], vcc
	s_cbranch_execz .LBB98_53
; %bb.52:
	v_mov_b32_e32 v15, 0
	v_lshl_add_u64 v[10:11], s[4:5], 0, v[14:15]
	v_lshlrev_b32_e32 v14, 1, v18
	v_lshl_add_u64 v[10:11], v[10:11], 0, v[14:15]
	global_load_dwordx4 v[10:13], v[10:11], off offset:128
.LBB98_53:
	s_or_b64 exec, exec, s[2:3]
	v_mov_b32_e32 v16, 0
	v_mov_b32_e32 v15, 0
	v_mov_b32_e32 v14, 0
	s_and_saveexec_b64 s[2:3], s[0:1]
	s_cbranch_execz .LBB98_55
; %bb.54:
	v_mov_b32_e32 v21, 0
	v_lshl_add_u64 v[14:15], s[4:5], 0, v[20:21]
	v_lshlrev_b32_e32 v20, 1, v18
	v_lshl_add_u64 v[14:15], v[14:15], 0, v[20:21]
	global_load_dwordx4 v[14:17], v[14:15], off offset:128
.LBB98_55:
	s_or_b64 exec, exec, s[2:3]
	s_branch .LBB98_58
.LBB98_56:
                                        ; implicit-def: $vgpr5
                                        ; implicit-def: $vgpr9
                                        ; implicit-def: $vgpr13
                                        ; implicit-def: $vgpr17
	s_cbranch_execz .LBB98_58
; %bb.57:
	s_waitcnt vmcnt(0)
	v_lshlrev_b32_e32 v2, 1, v18
	v_lshl_or_b32 v18, v30, 9, v2
	s_and_b32 s5, s5, 0xffff
	s_mov_b32 s7, 0x20000
	s_movk_i32 s6, 0x4000
	s_movk_i32 s0, 0x80
	buffer_load_dwordx4 v[2:5], v18, s[4:7], 0 offen
	buffer_load_dwordx4 v[6:9], v18, s[4:7], 0 offen offset:256
	buffer_load_dwordx4 v[10:13], v18, s[4:7], s0 offen
	buffer_load_dwordx4 v[14:17], v18, s[4:7], s0 offen offset:256
.LBB98_58:
	ds_read_b64 v[20:21], v31 offset:57344
	v_add_u32_e32 v18, 0x6000, v26
	ds_read2_b64 v[78:81], v18 offset1:16
	ds_read_b64 v[82:83], v32 offset:57344
	ds_read_b64 v[32:33], v33 offset:57344
	;; [unrolled: 1-line block ×3, first 2 shown]
	ds_read2st64_b64 v[86:89], v26 offset0:52 offset1:56
	v_and_b32_e32 v31, 1, v0
	v_cmp_eq_u32_e32 vcc, 0, v31
	s_mov_b32 s0, 0x1000504
	s_waitcnt vmcnt(0)
	v_perm_b32 v31, v10, v14, s0
	s_mov_b32 s1, 0x3020706
	s_waitcnt lgkmcnt(4)
	v_mfma_f32_16x16x16_bf16 a[0:3], v[20:21], v[78:79], a[0:3]
	v_mfma_f32_16x16x16_bf16 a[4:7], v[20:21], v[80:81], a[4:7]
	ds_read2_b64 v[78:81], v18 offset0:32 offset1:48
	v_and_b32_e32 v18, 6, v0
	v_xor_b32_e32 v30, v30, v18
	s_waitcnt lgkmcnt(0)
	v_mfma_f32_16x16x16_bf16 a[8:11], v[20:21], v[78:79], a[8:11]
	v_lshlrev_b32_e32 v30, 2, v30
	v_xor_b32_e32 v77, 0x440, v30
	v_cndmask_b32_e32 v30, v77, v30, vcc
	v_mfma_f32_16x16x16_bf16 a[12:15], v[20:21], v[80:81], a[12:15]
	ds_read2st64_b64 v[78:81], v27 offset0:52 offset1:56
	ds_read2st64_b64 v[90:93], v28 offset0:52 offset1:56
	;; [unrolled: 1-line block ×3, first 2 shown]
	v_lshl_or_b32 v18, v18, 10, v30
	v_perm_b32 v30, v2, v6, s0
	v_mfma_f32_16x16x16_bf16 a[0:3], v[82:83], v[86:87], a[0:3]
	ds_read_b64 v[20:21], v26 offset:30720
	ds_read_b64 v[86:87], v27 offset:30720
	;; [unrolled: 1-line block ×4, first 2 shown]
	ds_write2st64_b32 v18, v30, v31 offset0:128 offset1:160
	v_xor_b32_e32 v30, 8, v18
	s_waitcnt lgkmcnt(7)
	v_mfma_f32_16x16x16_bf16 a[4:7], v[82:83], v[78:79], a[4:7]
	v_perm_b32 v2, v2, v6, s1
	v_perm_b32 v6, v10, v14, s1
	v_add_u32_e32 v10, 0x80, v30
	s_waitcnt lgkmcnt(6)
	v_mfma_f32_16x16x16_bf16 a[8:11], v[82:83], v[90:91], a[8:11]
	ds_write2st64_b32 v10, v2, v6 offset0:128 offset1:160
	v_xor_b32_e32 v2, 16, v18
	v_perm_b32 v6, v3, v7, s0
	s_waitcnt lgkmcnt(6)
	v_mfma_f32_16x16x16_bf16 a[12:15], v[82:83], v[94:95], a[12:15]
	v_perm_b32 v10, v11, v15, s0
	ds_write2st64_b32 v2, v6, v10 offset0:129 offset1:161
	v_xor_b32_e32 v2, 24, v18
	v_mfma_f32_16x16x16_bf16 a[0:3], v[32:33], v[88:89], a[0:3]
	v_perm_b32 v3, v3, v7, s1
	v_perm_b32 v6, v11, v15, s1
	v_add_u32_e32 v2, 0x80, v2
	v_mfma_f32_16x16x16_bf16 a[4:7], v[32:33], v[80:81], a[4:7]
	ds_write2st64_b32 v2, v3, v6 offset0:129 offset1:161
	v_xor_b32_e32 v2, 32, v18
	v_perm_b32 v3, v4, v8, s0
	v_mfma_f32_16x16x16_bf16 a[16:19], v[32:33], v[92:93], a[8:11]
	v_perm_b32 v6, v12, v16, s0
	ds_write2st64_b32 v2, v3, v6 offset0:130 offset1:162
	v_xor_b32_e32 v2, 40, v18
	v_mfma_f32_16x16x16_bf16 a[20:23], v[32:33], v[96:97], a[12:15]
	v_perm_b32 v3, v4, v8, s1
	v_perm_b32 v4, v12, v16, s1
	v_add_u32_e32 v2, 0x80, v2
	s_waitcnt lgkmcnt(8)
	v_mfma_f32_16x16x16_bf16 a[12:15], v[98:99], v[20:21], a[0:3]
	ds_write2st64_b32 v2, v3, v4 offset0:130 offset1:162
	v_xor_b32_e32 v2, 48, v18
	v_perm_b32 v3, v5, v9, s0
	s_waitcnt lgkmcnt(8)
	v_mfma_f32_16x16x16_bf16 a[8:11], v[98:99], v[86:87], a[4:7]
	v_perm_b32 v4, v13, v17, s0
	ds_write2st64_b32 v2, v3, v4 offset0:131 offset1:163
	v_xor_b32_e32 v2, 56, v18
	s_waitcnt lgkmcnt(8)
	v_mfma_f32_16x16x16_bf16 a[4:7], v[98:99], v[100:101], a[16:19]
	v_and_or_b32 v21, v35, 12, v84
	v_perm_b32 v3, v5, v9, s1
	v_perm_b32 v4, v13, v17, s1
	s_waitcnt lgkmcnt(7)
	v_mfma_f32_16x16x16_bf16 a[0:3], v[98:99], v[102:103], a[20:23]
	v_add_u32_e32 v2, 0x80, v2
	v_cmp_gt_i32_e32 vcc, s31, v21
	v_mov_b32_e32 v16, 0
	v_mov_b32_e32 v18, 0
	ds_write2st64_b32 v2, v3, v4 offset0:131 offset1:163
	s_and_saveexec_b64 s[0:1], vcc
	s_cbranch_execz .LBB98_60
; %bb.59:
	v_add_u32_e32 v2, s30, v21
	v_ashrrev_i32_e32 v3, 31, v2
	v_mul_lo_u32 v4, v3, s34
	v_mul_lo_u32 v5, v2, s35
	v_mad_u64_u32 v[2:3], s[2:3], v2, s34, 0
	v_add3_u32 v3, v3, v5, v4
	v_lshl_add_u64 v[2:3], v[2:3], 2, s[10:11]
	global_load_dword v2, v[2:3], off
	s_waitcnt vmcnt(0)
	v_sub_f32_e32 v2, s16, v2
	v_mul_f32_e32 v2, 0x3fb8aa3b, v2
	v_exp_f32_e32 v18, v2
.LBB98_60:
	s_or_b64 exec, exec, s[0:1]
	v_or_b32_e32 v8, 1, v21
	v_cmp_gt_i32_e64 s[0:1], s31, v8
	s_and_saveexec_b64 s[2:3], s[0:1]
	s_cbranch_execz .LBB98_62
; %bb.61:
	v_add_u32_e32 v2, s30, v8
	v_ashrrev_i32_e32 v3, 31, v2
	v_mul_lo_u32 v4, v3, s34
	v_mul_lo_u32 v5, v2, s35
	v_mad_u64_u32 v[2:3], s[4:5], v2, s34, 0
	v_add3_u32 v3, v3, v5, v4
	v_lshl_add_u64 v[2:3], v[2:3], 2, s[10:11]
	global_load_dword v2, v[2:3], off
	s_waitcnt vmcnt(0)
	v_sub_f32_e32 v2, s16, v2
	v_mul_f32_e32 v2, 0x3fb8aa3b, v2
	v_exp_f32_e32 v16, v2
.LBB98_62:
	s_or_b64 exec, exec, s[2:3]
	v_or_b32_e32 v9, 2, v21
	v_cmp_gt_i32_e64 s[2:3], s31, v9
	v_mov_b32_e32 v17, 0
	v_mov_b32_e32 v20, 0
	s_and_saveexec_b64 s[4:5], s[2:3]
	s_cbranch_execz .LBB98_64
; %bb.63:
	v_add_u32_e32 v2, s30, v9
	v_ashrrev_i32_e32 v3, 31, v2
	v_mul_lo_u32 v4, v3, s34
	v_mul_lo_u32 v5, v2, s35
	v_mad_u64_u32 v[2:3], s[6:7], v2, s34, 0
	v_add3_u32 v3, v3, v5, v4
	v_lshl_add_u64 v[2:3], v[2:3], 2, s[10:11]
	global_load_dword v2, v[2:3], off
	s_waitcnt vmcnt(0)
	v_sub_f32_e32 v2, s16, v2
	v_mul_f32_e32 v2, 0x3fb8aa3b, v2
	v_exp_f32_e32 v20, v2
.LBB98_64:
	s_or_b64 exec, exec, s[4:5]
	v_or_b32_e32 v30, 3, v21
	v_cmp_gt_i32_e64 s[4:5], s31, v30
	s_and_saveexec_b64 s[6:7], s[4:5]
	s_cbranch_execz .LBB98_66
; %bb.65:
	v_add_u32_e32 v2, s30, v30
	v_ashrrev_i32_e32 v3, 31, v2
	v_mul_lo_u32 v4, v3, s34
	v_mul_lo_u32 v5, v2, s35
	v_mad_u64_u32 v[2:3], s[18:19], v2, s34, 0
	v_add3_u32 v3, v3, v5, v4
	v_lshl_add_u64 v[2:3], v[2:3], 2, s[10:11]
	global_load_dword v2, v[2:3], off
	s_waitcnt vmcnt(0)
	v_sub_f32_e32 v2, s16, v2
	v_mul_f32_e32 v2, 0x3fb8aa3b, v2
	v_exp_f32_e32 v17, v2
.LBB98_66:
	s_or_b64 exec, exec, s[6:7]
	s_add_u32 s6, s8, s24
	v_accvgpr_read_b32 v2, a12
	s_addc_u32 s7, s9, s25
	v_ashrrev_i32_e32 v77, 31, v76
	v_accvgpr_read_b32 v3, a13
	v_accvgpr_read_b32 v4, a14
	;; [unrolled: 1-line block ×3, first 2 shown]
	v_lshl_add_u64 v[6:7], v[76:77], 1, s[6:7]
	v_mov_b32_e32 v13, 0
	v_lshlrev_b32_e32 v10, 8, v21
	v_mov_b32_e32 v11, 0
	s_and_saveexec_b64 s[6:7], vcc
	s_cbranch_execz .LBB98_68
; %bb.67:
	v_mov_b32_e32 v11, 0
	v_lshl_add_u64 v[14:15], v[6:7], 0, v[10:11]
	global_load_ushort v11, v[14:15], off
	s_waitcnt vmcnt(0)
	v_lshlrev_b32_e32 v11, 16, v11
	v_sub_f32_e32 v2, v11, v2
	v_mul_f32_e32 v2, v18, v2
	v_lshrrev_b32_e32 v11, 16, v2
.LBB98_68:
	s_or_b64 exec, exec, s[6:7]
	v_lshlrev_b32_e32 v12, 8, v8
	s_and_saveexec_b64 s[6:7], s[0:1]
	s_cbranch_execz .LBB98_70
; %bb.69:
	v_mov_b32_e32 v13, 0
	v_lshl_add_u64 v[14:15], v[6:7], 0, v[12:13]
	global_load_ushort v2, v[14:15], off
	s_waitcnt vmcnt(0)
	v_lshlrev_b32_e32 v2, 16, v2
	v_sub_f32_e32 v2, v2, v3
	v_mul_f32_e32 v2, v16, v2
	v_lshrrev_b32_e32 v13, 16, v2
.LBB98_70:
	s_or_b64 exec, exec, s[6:7]
	v_mov_b32_e32 v31, 0
	v_lshlrev_b32_e32 v14, 8, v9
	v_mov_b32_e32 v15, 0
	s_and_saveexec_b64 s[6:7], s[2:3]
	s_cbranch_execz .LBB98_72
; %bb.71:
	v_mov_b32_e32 v15, 0
	v_lshl_add_u64 v[2:3], v[6:7], 0, v[14:15]
	global_load_ushort v2, v[2:3], off
	s_waitcnt vmcnt(0)
	v_lshlrev_b32_e32 v2, 16, v2
	v_sub_f32_e32 v2, v2, v4
	v_mul_f32_e32 v2, v20, v2
	v_lshrrev_b32_e32 v15, 16, v2
.LBB98_72:
	s_or_b64 exec, exec, s[6:7]
	v_lshlrev_b32_e32 v8, 8, v30
	s_and_saveexec_b64 s[6:7], s[4:5]
	s_cbranch_execz .LBB98_74
; %bb.73:
	v_mov_b32_e32 v9, 0
	v_lshl_add_u64 v[2:3], v[6:7], 0, v[8:9]
	global_load_ushort v2, v[2:3], off
	s_waitcnt vmcnt(0)
	v_lshlrev_b32_e32 v2, 16, v2
	v_sub_f32_e32 v2, v2, v5
	v_mul_f32_e32 v2, v17, v2
	v_lshrrev_b32_e32 v31, 16, v2
.LBB98_74:
	s_or_b64 exec, exec, s[6:7]
	v_lshlrev_b32_e32 v21, 6, v21
	v_accvgpr_read_b32 v2, a8
	s_mov_b32 s6, 0x5040100
	v_or_b32_e32 v9, v21, v24
	v_accvgpr_read_b32 v3, a9
	v_accvgpr_read_b32 v4, a10
	v_accvgpr_read_b32 v5, a11
	v_perm_b32 v31, v31, v15, s6
	v_perm_b32 v30, v13, v11, s6
	v_lshlrev_b32_e32 v9, 1, v9
	v_mov_b32_e32 v13, 0
	v_mov_b32_e32 v11, 0
	ds_write_b64 v9, v[30:31] offset:24576
	s_and_saveexec_b64 s[6:7], vcc
	s_cbranch_execz .LBB98_76
; %bb.75:
	v_mov_b32_e32 v11, 0
	v_lshl_add_u64 v[30:31], v[6:7], 0, v[10:11]
	global_load_ushort v9, v[30:31], off offset:32
	s_waitcnt vmcnt(0)
	v_lshlrev_b32_e32 v9, 16, v9
	v_sub_f32_e32 v2, v9, v2
	v_mul_f32_e32 v2, v18, v2
	v_lshrrev_b32_e32 v11, 16, v2
.LBB98_76:
	s_or_b64 exec, exec, s[6:7]
	s_and_saveexec_b64 s[6:7], s[0:1]
	s_cbranch_execz .LBB98_78
; %bb.77:
	v_mov_b32_e32 v13, 0
	v_lshl_add_u64 v[30:31], v[6:7], 0, v[12:13]
	global_load_ushort v2, v[30:31], off offset:32
	s_waitcnt vmcnt(0)
	v_lshlrev_b32_e32 v2, 16, v2
	v_sub_f32_e32 v2, v2, v3
	v_mul_f32_e32 v2, v16, v2
	v_lshrrev_b32_e32 v13, 16, v2
.LBB98_78:
	s_or_b64 exec, exec, s[6:7]
	v_mov_b32_e32 v9, 0
	v_mov_b32_e32 v15, 0
	s_and_saveexec_b64 s[6:7], s[2:3]
	s_cbranch_execz .LBB98_80
; %bb.79:
	v_mov_b32_e32 v15, 0
	v_lshl_add_u64 v[2:3], v[6:7], 0, v[14:15]
	global_load_ushort v2, v[2:3], off offset:32
	s_waitcnt vmcnt(0)
	v_lshlrev_b32_e32 v2, 16, v2
	v_sub_f32_e32 v2, v2, v4
	v_mul_f32_e32 v2, v20, v2
	v_lshrrev_b32_e32 v15, 16, v2
.LBB98_80:
	s_or_b64 exec, exec, s[6:7]
	s_and_saveexec_b64 s[6:7], s[4:5]
	s_cbranch_execz .LBB98_82
; %bb.81:
	v_mov_b32_e32 v9, 0
	v_lshl_add_u64 v[2:3], v[6:7], 0, v[8:9]
	global_load_ushort v2, v[2:3], off offset:32
	s_waitcnt vmcnt(0)
	v_lshlrev_b32_e32 v2, 16, v2
	v_sub_f32_e32 v2, v2, v5
	v_mul_f32_e32 v2, v17, v2
	v_lshrrev_b32_e32 v9, 16, v2
.LBB98_82:
	s_or_b64 exec, exec, s[6:7]
	s_mov_b32 s6, 0x5040100
	v_accvgpr_read_b32 v2, a4
	v_perm_b32 v31, v9, v15, s6
	v_or_b32_e32 v9, v21, v23
	v_accvgpr_read_b32 v3, a5
	v_accvgpr_read_b32 v4, a6
	;; [unrolled: 1-line block ×3, first 2 shown]
	v_perm_b32 v30, v13, v11, s6
	v_lshlrev_b32_e32 v9, 1, v9
	v_mov_b32_e32 v13, 0
	v_mov_b32_e32 v11, 0
	ds_write_b64 v9, v[30:31] offset:24576
	s_and_saveexec_b64 s[6:7], vcc
	s_cbranch_execz .LBB98_84
; %bb.83:
	v_mov_b32_e32 v11, 0
	v_lshl_add_u64 v[30:31], v[6:7], 0, v[10:11]
	global_load_ushort v9, v[30:31], off offset:64
	s_waitcnt vmcnt(0)
	v_lshlrev_b32_e32 v9, 16, v9
	v_sub_f32_e32 v2, v9, v2
	v_mul_f32_e32 v2, v18, v2
	v_lshrrev_b32_e32 v11, 16, v2
.LBB98_84:
	s_or_b64 exec, exec, s[6:7]
	s_and_saveexec_b64 s[6:7], s[0:1]
	s_cbranch_execz .LBB98_86
; %bb.85:
	v_mov_b32_e32 v13, 0
	v_lshl_add_u64 v[30:31], v[6:7], 0, v[12:13]
	global_load_ushort v2, v[30:31], off offset:64
	s_waitcnt vmcnt(0)
	v_lshlrev_b32_e32 v2, 16, v2
	v_sub_f32_e32 v2, v2, v3
	v_mul_f32_e32 v2, v16, v2
	v_lshrrev_b32_e32 v13, 16, v2
.LBB98_86:
	s_or_b64 exec, exec, s[6:7]
	v_mov_b32_e32 v9, 0
	v_mov_b32_e32 v15, 0
	s_and_saveexec_b64 s[6:7], s[2:3]
	s_cbranch_execz .LBB98_88
; %bb.87:
	v_mov_b32_e32 v15, 0
	v_lshl_add_u64 v[2:3], v[6:7], 0, v[14:15]
	global_load_ushort v2, v[2:3], off offset:64
	s_waitcnt vmcnt(0)
	v_lshlrev_b32_e32 v2, 16, v2
	v_sub_f32_e32 v2, v2, v4
	v_mul_f32_e32 v2, v20, v2
	v_lshrrev_b32_e32 v15, 16, v2
.LBB98_88:
	s_or_b64 exec, exec, s[6:7]
	s_and_saveexec_b64 s[6:7], s[4:5]
	s_cbranch_execz .LBB98_90
; %bb.89:
	v_mov_b32_e32 v9, 0
	v_lshl_add_u64 v[2:3], v[6:7], 0, v[8:9]
	global_load_ushort v2, v[2:3], off offset:64
	s_waitcnt vmcnt(0)
	v_lshlrev_b32_e32 v2, 16, v2
	v_sub_f32_e32 v2, v2, v5
	v_mul_f32_e32 v2, v17, v2
	v_lshrrev_b32_e32 v9, 16, v2
.LBB98_90:
	s_or_b64 exec, exec, s[6:7]
	s_mov_b32 s6, 0x5040100
	v_accvgpr_read_b32 v5, a3
	v_perm_b32 v31, v9, v15, s6
	v_or_b32_e32 v9, v21, v22
	v_accvgpr_read_b32 v4, a2
	v_accvgpr_read_b32 v3, a1
	;; [unrolled: 1-line block ×3, first 2 shown]
	v_perm_b32 v30, v13, v11, s6
	v_lshlrev_b32_e32 v9, 1, v9
	v_mov_b32_e32 v13, 0
	v_mov_b32_e32 v11, 0
	ds_write_b64 v9, v[30:31] offset:24576
	s_and_saveexec_b64 s[6:7], vcc
	s_cbranch_execz .LBB98_92
; %bb.91:
	v_mov_b32_e32 v11, 0
	v_lshl_add_u64 v[10:11], v[6:7], 0, v[10:11]
	global_load_ushort v9, v[10:11], off offset:96
	s_waitcnt vmcnt(0)
	v_lshlrev_b32_e32 v9, 16, v9
	v_sub_f32_e32 v2, v9, v2
	v_mul_f32_e32 v2, v18, v2
	v_lshrrev_b32_e32 v11, 16, v2
.LBB98_92:
	s_or_b64 exec, exec, s[6:7]
	s_and_saveexec_b64 s[6:7], s[0:1]
	s_cbranch_execz .LBB98_94
; %bb.93:
	v_mov_b32_e32 v13, 0
	v_lshl_add_u64 v[12:13], v[6:7], 0, v[12:13]
	global_load_ushort v2, v[12:13], off offset:96
	s_waitcnt vmcnt(0)
	v_lshlrev_b32_e32 v2, 16, v2
	v_sub_f32_e32 v2, v2, v3
	v_mul_f32_e32 v2, v16, v2
	v_lshrrev_b32_e32 v13, 16, v2
.LBB98_94:
	s_or_b64 exec, exec, s[6:7]
	v_mov_b32_e32 v9, 0
	v_mov_b32_e32 v12, 0
	s_and_saveexec_b64 s[0:1], s[2:3]
	s_cbranch_execz .LBB98_96
; %bb.95:
	v_mov_b32_e32 v15, 0
	v_lshl_add_u64 v[2:3], v[6:7], 0, v[14:15]
	global_load_ushort v2, v[2:3], off offset:96
	s_waitcnt vmcnt(0)
	v_lshlrev_b32_e32 v2, 16, v2
	v_sub_f32_e32 v2, v2, v4
	v_mul_f32_e32 v2, v20, v2
	v_lshrrev_b32_e32 v12, 16, v2
.LBB98_96:
	s_or_b64 exec, exec, s[0:1]
	v_or_b32_e32 v10, 0x6000, v26
	v_or_b32_e32 v4, 0x6000, v27
	;; [unrolled: 1-line block ×4, first 2 shown]
	s_and_saveexec_b64 s[0:1], s[4:5]
	s_cbranch_execz .LBB98_98
; %bb.97:
	v_mov_b32_e32 v9, 0
	v_lshl_add_u64 v[6:7], v[6:7], 0, v[8:9]
	global_load_ushort v6, v[6:7], off offset:96
	s_waitcnt vmcnt(0)
	v_lshlrev_b32_e32 v6, 16, v6
	v_sub_f32_e32 v5, v6, v5
	v_mul_f32_e32 v5, v17, v5
	v_lshrrev_b32_e32 v9, 16, v5
.LBB98_98:
	s_or_b64 exec, exec, s[0:1]
	s_mov_b32 s0, 0x5040100
	v_or_b32_e32 v5, v21, v19
	v_perm_b32 v7, v9, v12, s0
	v_perm_b32 v6, v13, v11, s0
	v_lshlrev_b32_e32 v5, 1, v5
	s_movk_i32 s0, 0x100
	ds_write_b64 v5, v[6:7] offset:24576
	v_and_b32_e32 v5, 7, v0
	v_and_b32_e32 v6, 8, v0
	v_cmp_gt_u32_e32 vcc, s0, v0
	v_lshrrev_b32_e32 v0, 1, v0
	v_lshlrev_b32_e32 v35, 3, v1
	v_and_b32_e32 v78, 24, v0
	v_mov_b32_e32 v7, 0xa000
	v_mov_b32_e32 v8, 0x8000
	v_xor_b32_e32 v0, v35, v78
	v_or_b32_e32 v16, 32, v78
	v_cndmask_b32_e32 v24, v7, v8, vcc
	v_or_b32_e32 v1, 0x440, v0
	v_cmp_eq_u32_e32 vcc, 0, v6
	v_xor_b32_e32 v16, v35, v16
	v_or_b32_e32 v17, 0x440, v16
	v_cndmask_b32_e32 v0, v1, v0, vcc
	v_lshlrev_b32_e32 v11, 3, v5
	v_lshlrev_b32_e32 v5, 7, v5
	v_or_b32_e32 v0, v0, v25
	v_cndmask_b32_e32 v16, v17, v16, vcc
	v_xad_u32 v79, v0, v11, v5
	v_or_b32_e32 v16, v16, v25
	v_add_u32_e32 v0, v24, v79
	v_xad_u32 v80, v16, v11, v5
	s_waitcnt lgkmcnt(0)
	s_barrier
	ds_read_b64 v[0:1], v0
	ds_read2_b64 v[6:9], v10 offset1:16
	ds_read2_b64 v[12:15], v10 offset0:32 offset1:48
	v_add_u32_e32 v16, v24, v80
	ds_read_b64 v[76:77], v16
	s_waitcnt lgkmcnt(2)
	v_mfma_f32_16x16x16_bf16 a[0:3], v[0:1], v[6:7], 0
	ds_read2st64_b64 v[16:19], v10 offset0:4 offset1:8
	ds_read2st64_b64 v[20:23], v4 offset0:4 offset1:8
	;; [unrolled: 1-line block ×3, first 2 shown]
	v_mfma_f32_16x16x16_bf16 a[4:7], v[0:1], v[8:9], 0
	ds_read2st64_b64 v[30:33], v2 offset0:4 offset1:8
	s_waitcnt lgkmcnt(5)
	v_mfma_f32_16x16x16_bf16 a[8:11], v[0:1], v[12:13], 0
	v_mfma_f32_16x16x16_bf16 a[12:15], v[0:1], v[14:15], 0
	v_or_b32_e32 v0, 64, v78
	v_xor_b32_e32 v0, v35, v0
	v_xor_b32_e32 v1, 0x440, v0
	v_cndmask_b32_e32 v0, v1, v0, vcc
	v_or_b32_e32 v0, v0, v25
	s_waitcnt lgkmcnt(3)
	v_mfma_f32_16x16x16_bf16 a[0:3], v[76:77], v[16:17], a[0:3]
	s_waitcnt lgkmcnt(2)
	v_mfma_f32_16x16x16_bf16 a[4:7], v[76:77], v[20:21], a[4:7]
	;; [unrolled: 2-line block ×4, first 2 shown]
	v_xad_u32 v76, v0, v11, v5
	v_add_u32_e32 v0, v24, v76
	ds_read_b64 v[0:1], v0
	v_or_b32_e32 v77, 0x60, v78
	v_xor_b32_e32 v35, v35, v77
	v_xor_b32_e32 v77, 0x440, v35
	v_cndmask_b32_e32 v35, v77, v35, vcc
	v_or_b32_e32 v25, v35, v25
	v_xad_u32 v35, v25, v11, v5
	v_add_u32_e32 v5, v24, v35
	s_waitcnt lgkmcnt(0)
	v_mfma_f32_16x16x16_bf16 a[0:3], v[0:1], v[18:19], a[0:3]
	ds_read_b64 v[24:25], v5
	ds_read_b64 v[10:11], v10 offset:6144
	v_mfma_f32_16x16x16_bf16 a[4:7], v[0:1], v[22:23], a[4:7]
	v_mfma_f32_16x16x16_bf16 a[8:11], v[0:1], v[28:29], a[8:11]
	;; [unrolled: 1-line block ×3, first 2 shown]
	ds_read_b64 v[0:1], v4 offset:6144
	ds_read_b64 v[4:5], v3 offset:6144
	;; [unrolled: 1-line block ×3, first 2 shown]
	s_waitcnt lgkmcnt(3)
	v_mfma_f32_16x16x16_bf16 a[0:3], v[24:25], v[10:11], a[0:3]
	s_waitcnt lgkmcnt(2)
	v_mfma_f32_16x16x16_bf16 a[4:7], v[24:25], v[0:1], a[4:7]
	;; [unrolled: 2-line block ×4, first 2 shown]
	ds_read_b64 v[24:25], v79 offset:40960
	s_waitcnt lgkmcnt(0)
	v_mfma_f32_16x16x16_bf16 a[16:19], v[24:25], v[6:7], 0
	ds_read_b64 v[6:7], v80 offset:40960
	v_mfma_f32_16x16x16_bf16 a[20:23], v[24:25], v[8:9], 0
	v_mov_b32_e32 v8, 0x3fb8aa3b
	v_mul_f32_e32 v8, s16, v8
	v_exp_f32_e32 v8, v8
	v_mfma_f32_16x16x16_bf16 a[24:27], v[24:25], v[12:13], 0
	ds_read_b64 v[12:13], v76 offset:40960
	v_mfma_f32_16x16x16_bf16 a[28:31], v[24:25], v[14:15], 0
	v_accvgpr_read_b32 v15, a3
	v_accvgpr_read_b32 v14, a2
	v_pk_fma_f32 v[74:75], v[74:75], v[8:9], v[14:15] op_sel_hi:[1,0,1]
	ds_read_b64 v[14:15], v35 offset:40960
	s_waitcnt lgkmcnt(2)
	v_mfma_f32_16x16x16_bf16 a[16:19], v[6:7], v[16:17], a[16:19]
	v_accvgpr_read_b32 v17, a7
	v_accvgpr_read_b32 v16, a6
	v_pk_fma_f32 v[66:67], v[66:67], v[8:9], v[16:17] op_sel_hi:[1,0,1]
	v_mfma_f32_16x16x16_bf16 a[20:23], v[6:7], v[20:21], a[20:23]
	v_accvgpr_read_b32 v21, a1
	v_accvgpr_read_b32 v20, a0
	v_pk_fma_f32 v[70:71], v[70:71], v[8:9], v[20:21] op_sel_hi:[1,0,1]
	;; [unrolled: 4-line block ×4, first 2 shown]
	s_waitcnt lgkmcnt(1)
	v_mfma_f32_16x16x16_bf16 a[16:19], v[12:13], v[18:19], a[16:19]
	v_accvgpr_read_b32 v6, a12
	v_accvgpr_read_b32 v7, a13
	v_pk_fma_f32 v[46:47], v[46:47], v[8:9], v[6:7] op_sel_hi:[1,0,1]
	v_mfma_f32_16x16x16_bf16 a[0:3], v[12:13], v[22:23], a[20:23]
	v_accvgpr_read_b32 v19, a15
	v_accvgpr_read_b32 v18, a14
	v_pk_fma_f32 v[52:53], v[52:53], v[8:9], v[18:19] op_sel_hi:[1,0,1]
	v_mfma_f32_16x16x16_bf16 a[20:23], v[12:13], v[28:29], a[24:27]
	v_mfma_f32_16x16x16_bf16 a[4:7], v[12:13], v[32:33], a[28:31]
	v_accvgpr_read_b32 v13, a9
	v_accvgpr_read_b32 v12, a8
	v_pk_fma_f32 v[54:55], v[54:55], v[8:9], v[12:13] op_sel_hi:[1,0,1]
	s_waitcnt lgkmcnt(0)
	v_mfma_f32_16x16x16_bf16 a[8:11], v[14:15], v[10:11], a[16:19]
	v_mfma_f32_16x16x16_bf16 a[0:3], v[14:15], v[0:1], a[0:3]
	s_nop 5
	v_accvgpr_read_b32 v1, a11
	v_accvgpr_read_b32 v0, a10
	v_mfma_f32_16x16x16_bf16 a[10:13], v[14:15], v[4:5], a[20:23]
	v_pk_fma_f32 v[72:73], v[72:73], v[8:9], v[0:1] op_sel_hi:[1,0,1]
	v_accvgpr_read_b32 v7, a3
	v_accvgpr_read_b32 v6, a2
	v_mfma_f32_16x16x16_bf16 a[2:5], v[14:15], v[2:3], a[4:7]
	v_accvgpr_read_b32 v0, a0
	v_accvgpr_read_b32 v1, a1
	v_pk_fma_f32 v[60:61], v[60:61], v[8:9], v[0:1] op_sel_hi:[1,0,1]
	v_accvgpr_read_b32 v0, a10
	v_accvgpr_read_b32 v1, a11
	;; [unrolled: 1-line block ×3, first 2 shown]
	v_pk_fma_f32 v[50:51], v[50:51], v[8:9], v[0:1] op_sel_hi:[1,0,1]
	v_accvgpr_read_b32 v0, a2
	v_accvgpr_read_b32 v5, a13
	;; [unrolled: 1-line block ×7, first 2 shown]
	v_pk_fma_f32 v[68:69], v[68:69], v[8:9], v[10:11] op_sel_hi:[1,0,1]
	v_pk_fma_f32 v[64:65], v[64:65], v[8:9], v[6:7] op_sel_hi:[1,0,1]
	;; [unrolled: 1-line block ×5, first 2 shown]
.LBB98_99:
	s_add_u32 s0, s12, s14
	s_addc_u32 s1, s13, s15
	v_lshl_add_u64 v[0:1], v[36:37], 1, s[0:1]
	v_mov_b32_e32 v35, 0
	s_mov_b32 s2, 0x7060302
	v_lshl_add_u64 v[0:1], v[0:1], 0, v[34:35]
	v_perm_b32 v3, v75, v74, s2
	v_perm_b32 v2, v71, v70, s2
	global_store_dwordx2 v[0:1], v[2:3], off
	v_perm_b32 v3, v73, v72, s2
	v_perm_b32 v2, v69, v68, s2
	global_store_dwordx2 v[0:1], v[2:3], off offset:128
	v_lshl_add_u64 v[0:1], v[38:39], 1, s[0:1]
	v_lshl_add_u64 v[0:1], v[0:1], 0, v[34:35]
	v_perm_b32 v3, v67, v66, s2
	v_perm_b32 v2, v63, v62, s2
	global_store_dwordx2 v[0:1], v[2:3], off
	v_perm_b32 v3, v65, v64, s2
	v_perm_b32 v2, v61, v60, s2
	global_store_dwordx2 v[0:1], v[2:3], off offset:128
	v_lshl_add_u64 v[0:1], v[40:41], 1, s[0:1]
	;; [unrolled: 8-line block ×3, first 2 shown]
	v_lshl_add_u64 v[0:1], v[0:1], 0, v[34:35]
	v_perm_b32 v3, v53, v52, s2
	v_perm_b32 v2, v47, v46, s2
	global_store_dwordx2 v[0:1], v[2:3], off
	v_perm_b32 v3, v49, v48, s2
	v_perm_b32 v2, v45, v44, s2
	global_store_dwordx2 v[0:1], v[2:3], off offset:128
	s_endpgm
	.section	.rodata,"a",@progbits
	.p2align	6, 0x0
	.amdhsa_kernel _ZN12_GLOBAL__N_139chunk_gated_delta_rule_fwd_h_hip_kernelILi64ELb1ELb1ELb0ELb1ELb0ELb0ELb1ELb1EEEvPK12hip_bfloat16S3_S3_PKfS5_PKvPS1_S8_PvPKiSB_iiiiilll
		.amdhsa_group_segment_fixed_size 65536
		.amdhsa_private_segment_fixed_size 0
		.amdhsa_kernarg_size 136
		.amdhsa_user_sgpr_count 2
		.amdhsa_user_sgpr_dispatch_ptr 0
		.amdhsa_user_sgpr_queue_ptr 0
		.amdhsa_user_sgpr_kernarg_segment_ptr 1
		.amdhsa_user_sgpr_dispatch_id 0
		.amdhsa_user_sgpr_kernarg_preload_length 0
		.amdhsa_user_sgpr_kernarg_preload_offset 0
		.amdhsa_user_sgpr_private_segment_size 0
		.amdhsa_uses_dynamic_stack 0
		.amdhsa_enable_private_segment 0
		.amdhsa_system_sgpr_workgroup_id_x 1
		.amdhsa_system_sgpr_workgroup_id_y 1
		.amdhsa_system_sgpr_workgroup_id_z 0
		.amdhsa_system_sgpr_workgroup_info 0
		.amdhsa_system_vgpr_workitem_id 0
		.amdhsa_next_free_vgpr 224
		.amdhsa_next_free_sgpr 65
		.amdhsa_accum_offset 188
		.amdhsa_reserve_vcc 1
		.amdhsa_float_round_mode_32 0
		.amdhsa_float_round_mode_16_64 0
		.amdhsa_float_denorm_mode_32 3
		.amdhsa_float_denorm_mode_16_64 3
		.amdhsa_dx10_clamp 1
		.amdhsa_ieee_mode 1
		.amdhsa_fp16_overflow 0
		.amdhsa_tg_split 0
		.amdhsa_exception_fp_ieee_invalid_op 0
		.amdhsa_exception_fp_denorm_src 0
		.amdhsa_exception_fp_ieee_div_zero 0
		.amdhsa_exception_fp_ieee_overflow 0
		.amdhsa_exception_fp_ieee_underflow 0
		.amdhsa_exception_fp_ieee_inexact 0
		.amdhsa_exception_int_div_zero 0
	.end_amdhsa_kernel
	.section	.text._ZN12_GLOBAL__N_139chunk_gated_delta_rule_fwd_h_hip_kernelILi64ELb1ELb1ELb0ELb1ELb0ELb0ELb1ELb1EEEvPK12hip_bfloat16S3_S3_PKfS5_PKvPS1_S8_PvPKiSB_iiiiilll,"axG",@progbits,_ZN12_GLOBAL__N_139chunk_gated_delta_rule_fwd_h_hip_kernelILi64ELb1ELb1ELb0ELb1ELb0ELb0ELb1ELb1EEEvPK12hip_bfloat16S3_S3_PKfS5_PKvPS1_S8_PvPKiSB_iiiiilll,comdat
.Lfunc_end98:
	.size	_ZN12_GLOBAL__N_139chunk_gated_delta_rule_fwd_h_hip_kernelILi64ELb1ELb1ELb0ELb1ELb0ELb0ELb1ELb1EEEvPK12hip_bfloat16S3_S3_PKfS5_PKvPS1_S8_PvPKiSB_iiiiilll, .Lfunc_end98-_ZN12_GLOBAL__N_139chunk_gated_delta_rule_fwd_h_hip_kernelILi64ELb1ELb1ELb0ELb1ELb0ELb0ELb1ELb1EEEvPK12hip_bfloat16S3_S3_PKfS5_PKvPS1_S8_PvPKiSB_iiiiilll
                                        ; -- End function
	.section	.AMDGPU.csdata,"",@progbits
; Kernel info:
; codeLenInByte = 12268
; NumSgprs: 71
; NumVgprs: 188
; NumAgprs: 36
; TotalNumVgprs: 224
; ScratchSize: 0
; MemoryBound: 0
; FloatMode: 240
; IeeeMode: 1
; LDSByteSize: 65536 bytes/workgroup (compile time only)
; SGPRBlocks: 8
; VGPRBlocks: 27
; NumSGPRsForWavesPerEU: 71
; NumVGPRsForWavesPerEU: 224
; AccumOffset: 188
; Occupancy: 1
; WaveLimiterHint : 1
; COMPUTE_PGM_RSRC2:SCRATCH_EN: 0
; COMPUTE_PGM_RSRC2:USER_SGPR: 2
; COMPUTE_PGM_RSRC2:TRAP_HANDLER: 0
; COMPUTE_PGM_RSRC2:TGID_X_EN: 1
; COMPUTE_PGM_RSRC2:TGID_Y_EN: 1
; COMPUTE_PGM_RSRC2:TGID_Z_EN: 0
; COMPUTE_PGM_RSRC2:TIDIG_COMP_CNT: 0
; COMPUTE_PGM_RSRC3_GFX90A:ACCUM_OFFSET: 46
; COMPUTE_PGM_RSRC3_GFX90A:TG_SPLIT: 0
	.section	.text._ZN12_GLOBAL__N_139chunk_gated_delta_rule_fwd_h_hip_kernelILi64ELb1ELb0ELb1ELb1ELb0ELb0ELb1ELb1EEEvPK12hip_bfloat16S3_S3_PKfS5_PKvPS1_S8_PvPKiSB_iiiiilll,"axG",@progbits,_ZN12_GLOBAL__N_139chunk_gated_delta_rule_fwd_h_hip_kernelILi64ELb1ELb0ELb1ELb1ELb0ELb0ELb1ELb1EEEvPK12hip_bfloat16S3_S3_PKfS5_PKvPS1_S8_PvPKiSB_iiiiilll,comdat
	.globl	_ZN12_GLOBAL__N_139chunk_gated_delta_rule_fwd_h_hip_kernelILi64ELb1ELb0ELb1ELb1ELb0ELb0ELb1ELb1EEEvPK12hip_bfloat16S3_S3_PKfS5_PKvPS1_S8_PvPKiSB_iiiiilll ; -- Begin function _ZN12_GLOBAL__N_139chunk_gated_delta_rule_fwd_h_hip_kernelILi64ELb1ELb0ELb1ELb1ELb0ELb0ELb1ELb1EEEvPK12hip_bfloat16S3_S3_PKfS5_PKvPS1_S8_PvPKiSB_iiiiilll
	.p2align	8
	.type	_ZN12_GLOBAL__N_139chunk_gated_delta_rule_fwd_h_hip_kernelILi64ELb1ELb0ELb1ELb1ELb0ELb0ELb1ELb1EEEvPK12hip_bfloat16S3_S3_PKfS5_PKvPS1_S8_PvPKiSB_iiiiilll,@function
_ZN12_GLOBAL__N_139chunk_gated_delta_rule_fwd_h_hip_kernelILi64ELb1ELb0ELb1ELb1ELb0ELb0ELb1ELb1EEEvPK12hip_bfloat16S3_S3_PKfS5_PKvPS1_S8_PvPKiSB_iiiiilll: ; @_ZN12_GLOBAL__N_139chunk_gated_delta_rule_fwd_h_hip_kernelILi64ELb1ELb0ELb1ELb1ELb0ELb0ELb1ELb1EEEvPK12hip_bfloat16S3_S3_PKfS5_PKvPS1_S8_PvPKiSB_iiiiilll
; %bb.0:
	s_load_dwordx4 s[12:15], s[0:1], 0x5c
	s_load_dwordx4 s[4:7], s[0:1], 0x48
	s_abs_i32 s9, s3
	s_ashr_i32 s8, s3, 31
	v_and_b32_e32 v79, 15, v0
	s_waitcnt lgkmcnt(0)
	s_abs_i32 s10, s13
	v_cvt_f32_u32_e32 v1, s10
	s_sub_i32 s16, 0, s10
	s_ashr_i32 s11, s13, 31
	s_xor_b32 s8, s8, s11
	v_rcp_iflag_f32_e32 v1, v1
	v_lshrrev_b32_e32 v77, 6, v0
	v_bfe_u32 v78, v0, 4, 2
	v_mov_b32_e32 v7, 0
	v_mul_f32_e32 v1, 0x4f7ffffe, v1
	v_cvt_u32_f32_e32 v1, v1
	v_and_b32_e32 v76, 63, v0
	v_lshlrev_b32_e32 v80, 3, v0
	v_lshrrev_b32_e32 v81, 3, v76
	v_readfirstlane_b32 s17, v1
	s_mul_i32 s16, s16, s17
	s_mul_hi_u32 s16, s17, s16
	s_add_i32 s17, s17, s16
	s_mul_hi_u32 s16, s9, s17
	s_mul_i32 s17, s16, s10
	s_sub_i32 s9, s9, s17
	s_add_i32 s18, s16, 1
	s_sub_i32 s17, s9, s10
	s_cmp_ge_u32 s9, s10
	s_cselect_b32 s16, s18, s16
	s_cselect_b32 s9, s17, s9
	s_add_i32 s17, s16, 1
	s_cmp_ge_u32 s9, s10
	s_cselect_b32 s9, s17, s16
	s_xor_b32 s9, s9, s8
	s_sub_i32 s24, s9, s8
	s_mul_i32 s20, s24, s13
	s_ashr_i32 s25, s24, 31
	s_sub_i32 s47, s3, s20
	s_lshl_b64 s[8:9], s[24:25], 2
	s_add_u32 s4, s4, s8
	s_addc_u32 s5, s5, s9
	s_add_u32 s26, s6, s8
	s_addc_u32 s27, s7, s9
	s_abs_i32 s3, s14
	v_cvt_f32_u32_e32 v1, s3
	s_load_dwordx2 s[34:35], s[4:5], 0x0
	s_sub_i32 s5, 0, s3
	s_lshl_b32 s2, s2, 6
	v_rcp_iflag_f32_e32 v1, v1
	s_load_dwordx4 s[16:19], s[0:1], 0x28
	s_load_dwordx2 s[28:29], s[0:1], 0x38
	s_waitcnt lgkmcnt(0)
	s_sub_i32 s50, s35, s34
	s_ashr_i32 s4, s50, 31
	v_mul_f32_e32 v1, 0x4f7ffffe, v1
	v_cvt_u32_f32_e32 v1, v1
	s_lshr_b32 s4, s4, 26
	s_add_i32 s4, s50, s4
	s_ashr_i32 s49, s4, 6
	v_readfirstlane_b32 s6, v1
	s_mul_i32 s5, s5, s6
	s_mul_hi_u32 s5, s6, s5
	s_add_i32 s6, s6, s5
	s_mul_hi_u32 s5, s10, s6
	s_mul_i32 s6, s5, s3
	s_ashr_i32 s4, s14, 31
	s_sub_i32 s6, s10, s6
	s_xor_b32 s4, s11, s4
	s_add_i32 s7, s5, 1
	s_sub_i32 s8, s6, s3
	s_cmp_ge_u32 s6, s3
	s_cselect_b32 s5, s7, s5
	s_cselect_b32 s6, s8, s6
	s_add_i32 s7, s5, 1
	s_cmp_ge_u32 s6, s3
	s_cselect_b32 s3, s7, s5
	s_xor_b32 s3, s3, s4
	s_sub_i32 s3, s3, s4
	s_abs_i32 s4, s3
	v_cvt_f32_u32_e32 v1, s4
	s_sub_i32 s6, 0, s4
	s_abs_i32 s5, s47
	s_xor_b32 s3, s47, s3
	v_rcp_iflag_f32_e32 v1, v1
	s_ashr_i32 s3, s3, 31
	v_or_b32_e32 v34, s2, v79
	v_lshlrev_b32_e32 v2, 7, v34
	v_mul_f32_e32 v1, 0x4f7ffffe, v1
	v_cvt_u32_f32_e32 v1, v1
	v_or_b32_e32 v10, 0x800, v2
	v_ashrrev_i32_e32 v3, 31, v2
	v_ashrrev_i32_e32 v11, 31, v10
	v_readfirstlane_b32 s7, v1
	s_mul_i32 s6, s6, s7
	s_mul_hi_u32 s6, s7, s6
	s_add_i32 s7, s7, s6
	s_mul_hi_u32 s6, s5, s7
	s_mul_i32 s7, s6, s4
	s_sub_i32 s5, s5, s7
	s_add_i32 s7, s6, 1
	s_sub_i32 s8, s5, s4
	s_cmp_ge_u32 s5, s4
	s_cselect_b32 s6, s7, s6
	s_cselect_b32 s5, s8, s5
	s_add_i32 s7, s6, 1
	s_cmp_ge_u32 s5, s4
	s_cselect_b32 s4, s7, s6
	s_xor_b32 s4, s4, s3
	s_sub_i32 s51, s4, s3
	s_ashr_i32 s48, s47, 31
	s_mul_hi_i32 s3, s24, s13
	s_add_u32 s4, s20, s47
	s_addc_u32 s5, s3, s48
	s_lshl_b64 s[4:5], s[4:5], 15
	v_lshlrev_b32_e32 v1, 4, v77
	s_add_u32 s4, s16, s4
	v_lshl_or_b32 v82, v78, 2, v1
	s_addc_u32 s5, s17, s5
	v_lshl_add_u64 v[4:5], v[2:3], 1, s[4:5]
	v_lshlrev_b32_e32 v6, 1, v82
	v_lshl_add_u64 v[10:11], v[10:11], 1, s[4:5]
	v_lshl_add_u64 v[4:5], v[4:5], 0, v[6:7]
	;; [unrolled: 1-line block ×3, first 2 shown]
	global_load_dwordx2 v[8:9], v[4:5], off
	v_or_b32_e32 v83, 64, v82
	global_load_dwordx2 v[4:5], v[4:5], off offset:128
	s_nop 0
	global_load_dwordx2 v[12:13], v[10:11], off
	global_load_dwordx2 v[14:15], v[10:11], off offset:128
	v_or_b32_e32 v10, 0x1000, v2
	v_or_b32_e32 v2, 0x1800, v2
	v_ashrrev_i32_e32 v11, 31, v10
	v_ashrrev_i32_e32 v3, 31, v2
	v_lshl_add_u64 v[10:11], v[10:11], 1, s[4:5]
	v_lshl_add_u64 v[2:3], v[2:3], 1, s[4:5]
	;; [unrolled: 1-line block ×4, first 2 shown]
	global_load_dwordx2 v[16:17], v[10:11], off
	s_mul_hi_i32 s52, s47, s12
	global_load_dwordx2 v[10:11], v[10:11], off offset:128
	s_nop 0
	global_load_dwordx2 v[6:7], v[2:3], off
	global_load_dwordx2 v[18:19], v[2:3], off offset:128
	s_load_dwordx8 s[4:11], s[0:1], 0x0
	s_load_dwordx2 s[30:31], s[0:1], 0x80
	s_load_dwordx4 s[20:23], s[0:1], 0x70
	s_load_dword s54, s[26:27], 0x0
	s_mul_i32 s53, s47, s12
	s_cmp_lt_i32 s50, 64
	s_waitcnt lgkmcnt(0)
	s_mul_i32 s33, s24, s21
	s_mul_hi_u32 s42, s24, s20
	s_mul_i32 s43, s25, s20
	s_mul_i32 s38, s24, s20
	;; [unrolled: 1-line block ×3, first 2 shown]
	s_mul_hi_u32 s45, s47, s22
	s_mul_i32 s46, s48, s22
	s_mul_i32 s36, s47, s22
	s_waitcnt vmcnt(7)
	v_and_b32_e32 v63, 0xffff0000, v8
	v_lshlrev_b32_e32 v62, 16, v8
	v_and_b32_e32 v67, 0xffff0000, v9
	v_lshlrev_b32_e32 v66, 16, v9
	s_waitcnt vmcnt(6)
	v_and_b32_e32 v61, 0xffff0000, v4
	v_lshlrev_b32_e32 v60, 16, v4
	v_and_b32_e32 v65, 0xffff0000, v5
	v_lshlrev_b32_e32 v64, 16, v5
	;; [unrolled: 5-line block ×8, first 2 shown]
	s_cbranch_scc1 .LBB99_18
; %bb.1:
	s_ashr_i32 s1, s34, 31
	s_add_u32 s0, s53, s34
	s_addc_u32 s1, s52, s1
	s_lshl_b64 s[0:1], s[0:1], 8
	v_and_b32_e32 v85, 56, v80
	s_add_u32 s20, s6, s0
	v_lshl_or_b32 v84, v77, 3, v81
	v_lshlrev_b32_e32 v2, 1, v85
	s_addc_u32 s0, s7, s1
	v_lshl_or_b32 v86, v84, 8, v2
	s_and_b32 s21, s0, 0xffff
	s_mov_b32 s23, 0x20000
	s_movk_i32 s22, 0x4000
	s_movk_i32 s0, 0x80
	v_or_b32_e32 v87, 0x2000, v86
	buffer_load_dwordx4 v[4:7], v86, s[20:23], 0 offen
	buffer_load_dwordx4 v[8:11], v86, s[20:23], s0 offen
	buffer_load_dwordx4 v[12:15], v87, s[20:23], 0 offen
	buffer_load_dwordx4 v[16:19], v87, s[20:23], s0 offen
	v_lshlrev_b32_e32 v3, 3, v84
	v_and_or_b32 v21, v0, 7, v3
	v_and_b32_e32 v3, 0x78, v3
	v_lshlrev_b32_e32 v21, 4, v21
	v_xor_b32_e32 v88, v21, v3
	v_mul_lo_u32 v20, v84, s15
	v_or_b32_e32 v89, 0x1000, v88
	v_xor_b32_e32 v3, 8, v88
	s_cmpk_eq_i32 s15, 0x80
	s_mov_b32 s55, s34
	v_xor_b32_e32 v21, 8, v89
	s_cselect_b64 s[0:1], -1, 0
	s_cmpk_lg_i32 s15, 0x80
	s_waitcnt vmcnt(3)
	ds_write_b64 v88, v[4:5] offset:49152
	ds_write_b64 v3, v[6:7] offset:49152
	s_waitcnt vmcnt(2)
	ds_write_b64 v88, v[8:9] offset:57344
	ds_write_b64 v3, v[10:11] offset:57344
	;; [unrolled: 3-line block ×4, first 2 shown]
	v_lshl_add_u32 v3, v20, 1, v85
	s_cbranch_scc0 .LBB99_3
; %bb.2:
	v_lshlrev_b32_e32 v5, 1, v3
	v_add_lshl_u32 v4, v3, s15, 1
	s_lshl_b32 s22, s15, 7
	v_lshl_or_b32 v2, v84, 9, v2
	s_cbranch_execz .LBB99_4
	s_branch .LBB99_5
.LBB99_3:
                                        ; implicit-def: $vgpr4
                                        ; implicit-def: $vgpr5
                                        ; implicit-def: $sgpr22
	v_lshl_or_b32 v2, v84, 9, v2
.LBB99_4:
	v_or_b32_e32 v4, 0x100, v2
	s_movk_i32 s22, 0x4000
	v_mov_b32_e32 v5, v2
.LBB99_5:
	s_mul_i32 s16, s34, s14
	s_ashr_i32 s56, s51, 31
	s_mul_hi_i32 s3, s34, s14
	s_add_u32 s16, s16, s51
	s_addc_u32 s17, s3, s56
	s_lshl_b64 s[16:17], s[16:17], 8
	s_add_u32 s20, s4, s16
	s_addc_u32 s3, s5, s17
	s_and_b32 s21, s3, 0xffff
	s_movk_i32 s57, 0x80
	buffer_load_dwordx4 v[6:9], v5, s[20:23], 0 offen
	buffer_load_dwordx4 v[10:13], v5, s[20:23], s57 offen
	;; [unrolled: 1-line block ×4, first 2 shown]
	v_and_b32_e32 v5, 6, v0
	v_lshlrev_b32_e32 v4, 7, v82
	v_xor_b32_e32 v27, v84, v5
	v_and_b32_e32 v22, 1, v0
	v_lshl_or_b32 v30, v79, 3, v4
	v_lshlrev_b32_e32 v27, 2, v27
	v_lshlrev_b32_e32 v23, 2, v79
	v_or_b32_e32 v90, 0x4000, v30
	v_or_b32_e32 v91, 0x6000, v30
	v_xor_b32_e32 v30, 0x440, v27
	v_cmp_eq_u32_e32 vcc, 0, v22
	v_or_b32_e32 v25, 16, v79
	v_or_b32_e32 v26, 32, v79
	v_xor_b32_e32 v28, v82, v23
	v_xor_b32_e32 v29, v83, v23
	v_cndmask_b32_e32 v22, v30, v27, vcc
	s_mov_b32 s58, 0x1000504
	v_lshl_or_b32 v31, v25, 3, v4
	v_lshlrev_b32_e32 v25, 8, v25
	v_lshl_or_b32 v32, v26, 3, v4
	v_lshlrev_b32_e32 v28, 1, v28
	v_lshlrev_b32_e32 v29, 1, v29
	v_lshl_or_b32 v5, v5, 10, v22
	s_add_i32 s3, s42, s33
	s_mov_b32 s59, 0x3020706
	v_lshlrev_b32_e32 v24, 8, v79
	v_or_b32_e32 v94, 0x4000, v32
	v_or_b32_e32 v95, 0x6000, v32
	;; [unrolled: 1-line block ×4, first 2 shown]
	v_xor_b32_e32 v22, 8, v5
	v_xor_b32_e32 v25, 24, v5
	v_xor_b32_e32 v30, 40, v5
	v_xor_b32_e32 v32, 56, v5
	s_add_i32 s39, s3, s43
	s_add_i32 s3, s45, s44
	v_or_b32_e32 v92, 0x4000, v31
	v_or_b32_e32 v93, 0x6000, v31
	;; [unrolled: 1-line block ×4, first 2 shown]
	v_xor_b32_e32 v24, 16, v5
	v_xor_b32_e32 v27, 32, v5
	;; [unrolled: 1-line block ×3, first 2 shown]
	v_add_u32_e32 v22, 0x80, v22
	v_add_u32_e32 v25, 0x80, v25
	;; [unrolled: 1-line block ×4, first 2 shown]
	s_add_i32 s37, s3, s46
	s_lshl_b64 s[16:17], s[38:39], 2
	s_add_u32 s3, s10, s16
	s_addc_u32 s20, s11, s17
	s_lshl_b64 s[16:17], s[36:37], 2
	s_add_u32 s16, s3, s16
	s_movk_i32 s3, 0xf8
	s_addc_u32 s17, s20, s17
	s_lshl_b32 s26, s15, 7
	s_movk_i32 s24, 0x100
	v_mov_b32_e32 v69, 0
	v_lshlrev_b32_e32 v68, 4, v79
	v_cmp_gt_u32_e32 vcc, s24, v0
	v_lshlrev_b32_e32 v26, 8, v26
	s_mov_b32 s60, 0
	s_movk_i32 s22, 0x4000
	v_or_b32_e32 v100, v26, v28
	v_or_b32_e32 v101, v26, v29
	s_movk_i32 s37, 0x2000
	s_movk_i32 s39, 0x3000
	v_mov_b32_e32 v133, 0x3fb8aa3b
	s_waitcnt vmcnt(1)
	v_perm_b32 v33, v6, v14, s58
	s_waitcnt vmcnt(0)
	v_perm_b32 v35, v10, v18, s58
	v_perm_b32 v6, v6, v14, s59
	;; [unrolled: 1-line block ×15, first 2 shown]
	ds_write2st64_b32 v5, v33, v35 offset0:128 offset1:160
	ds_write2st64_b32 v22, v6, v10 offset0:128 offset1:160
	;; [unrolled: 1-line block ×8, first 2 shown]
	v_or_b32_e32 v5, 48, v79
	v_lshl_or_b32 v6, v5, 3, v4
	v_lshlrev_b32_e32 v5, 8, v5
	v_or_b32_e32 v104, v5, v28
	v_or_b32_e32 v105, v5, v29
	;; [unrolled: 1-line block ×3, first 2 shown]
	v_lshlrev_b32_e32 v5, 3, v5
	v_lshrrev_b32_e32 v7, 5, v76
	v_and_or_b32 v7, v5, s3, v7
	v_lshlrev_b32_e32 v7, 4, v7
	v_lshlrev_b32_e32 v8, 11, v77
	v_and_b32_e32 v5, 0x78, v5
	v_or_b32_e32 v13, 32, v7
	v_or_b32_e32 v102, 0x4000, v6
	;; [unrolled: 1-line block ×3, first 2 shown]
	v_and_b32_e32 v6, 0x1000, v8
	v_xor_b32_e32 v9, v7, v5
	v_lshrrev_b32_e32 v10, 1, v0
	v_xor_b32_e32 v13, v13, v5
	v_or_b32_e32 v9, v9, v6
	v_and_b32_e32 v11, 8, v10
	v_or_b32_e32 v13, v13, v6
	v_xor_b32_e32 v106, v9, v11
	v_lshlrev_b32_e32 v9, 8, v78
	v_xor_b32_e32 v108, v13, v11
	v_or_b32_e32 v13, 64, v7
	v_or_b32_e32 v7, 0x60, v7
	s_ashr_i32 s3, s2, 31
	v_or_b32_e32 v12, v9, v23
	v_xor_b32_e32 v13, v13, v5
	v_xor_b32_e32 v5, v7, v5
	s_lshl_b64 s[20:21], s[2:3], 8
	v_lshlrev_b32_e32 v12, 1, v12
	v_or_b32_e32 v13, v13, v6
	v_or_b32_e32 v5, v5, v6
	s_add_u32 s20, s18, s20
	v_lshlrev_b32_e32 v6, 1, v79
	v_or_b32_e32 v107, 0x4000, v12
	v_or_b32_e32 v109, 0x4080, v12
	;; [unrolled: 1-line block ×8, first 2 shown]
	v_lshrrev_b32_e32 v12, 4, v0
	s_addc_u32 s21, s19, s21
	v_or_b32_e32 v7, 1, v6
	v_mov_b32_e32 v16, 0xa000
	v_mov_b32_e32 v17, 0x8000
	v_xor_b32_e32 v112, v13, v11
	v_xor_b32_e32 v13, v12, v6
	;; [unrolled: 1-line block ×3, first 2 shown]
	v_lshl_add_u64 v[6:7], s[20:21], 0, v[68:69]
	v_lshlrev_b32_e32 v68, 8, v12
	v_cndmask_b32_e32 v16, v16, v17, vcc
	v_lshlrev_b32_e32 v17, 3, v77
	v_and_b32_e32 v10, 24, v10
	v_lshl_or_b32 v118, v13, 3, v68
	v_and_b32_e32 v13, 8, v0
	v_xor_b32_e32 v18, v17, v10
	v_or_b32_e32 v19, 0x440, v18
	v_cmp_eq_u32_e32 vcc, 0, v13
	v_and_b32_e32 v12, 7, v0
	v_lshl_or_b32 v119, v14, 3, v68
	v_cndmask_b32_e32 v13, v19, v18, vcc
	v_lshlrev_b32_e32 v14, 3, v12
	v_lshlrev_b32_e32 v12, 7, v12
	v_or_b32_e32 v13, v13, v8
	v_lshlrev_b32_e32 v15, 2, v0
	v_xad_u32 v120, v13, v14, v12
	v_or_b32_e32 v13, 32, v10
	v_and_or_b32 v9, v15, 60, v9
	v_xor_b32_e32 v13, v17, v13
	v_lshlrev_b32_e32 v9, 1, v9
	v_or_b32_e32 v15, 0x440, v13
	v_or_b32_e32 v121, 0x6000, v9
	v_cndmask_b32_e32 v13, v15, v13, vcc
	v_or_b32_e32 v123, 0x6080, v9
	v_or_b32_e32 v124, 0x6100, v9
	;; [unrolled: 1-line block ×5, first 2 shown]
	v_xor_b32_e32 v9, v17, v9
	v_xad_u32 v122, v13, v14, v12
	v_xor_b32_e32 v13, 0x440, v9
	v_cndmask_b32_e32 v9, v13, v9, vcc
	v_or_b32_e32 v9, v9, v8
	v_xad_u32 v126, v9, v14, v12
	v_or_b32_e32 v9, 0x60, v10
	v_xor_b32_e32 v9, v17, v9
	v_xor_b32_e32 v10, 0x440, v9
	v_cndmask_b32_e32 v9, v10, v9, vcc
	v_xor_b32_e32 v113, v5, v11
	v_ashrrev_i32_e32 v35, 31, v34
	v_lshlrev_b32_e32 v5, 1, v3
	v_add_lshl_u32 v3, v3, s15, 1
	v_or_b32_e32 v11, 0x100, v2
	v_or_b32_e32 v8, v9, v8
	v_xad_u32 v127, v8, v14, v12
	v_cndmask_b32_e64 v128, v5, v2, s[0:1]
	v_cndmask_b32_e64 v129, v3, v11, s[0:1]
	v_lshlrev_b64 v[2:3], 1, v[34:35]
	v_lshl_add_u64 v[70:71], s[8:9], 0, v[2:3]
	v_lshl_add_u64 v[72:73], s[28:29], 0, v[2:3]
	;; [unrolled: 1-line block ×3, first 2 shown]
	s_mov_b32 s3, 0x7060302
	v_lshlrev_b32_e32 v68, 1, v4
	v_add_u32_e32 v35, v16, v120
	v_add_u32_e32 v130, v16, v122
	;; [unrolled: 1-line block ×4, first 2 shown]
	s_waitcnt lgkmcnt(0)
	s_barrier
.LBB99_6:                               ; =>This Inner Loop Header: Depth=1
	s_add_i32 s61, s60, 1
	s_cmp_lt_i32 s61, s49
	s_mov_b64 s[24:25], 0
	s_cselect_b64 s[40:41], -1, 0
	s_cmp_ge_i32 s61, s49
	s_mov_b64 s[20:21], 0
	s_cbranch_scc1 .LBB99_8
; %bb.7:                                ;   in Loop: Header=BB99_6 Depth=1
	s_add_i32 s0, s55, 64
	s_ashr_i32 s1, s0, 31
	s_add_u32 s0, s53, s0
	s_addc_u32 s1, s52, s1
	s_lshl_b64 s[0:1], s[0:1], 8
	s_add_u32 s20, s6, s0
	s_addc_u32 s21, s7, s1
.LBB99_8:                               ;   in Loop: Header=BB99_6 Depth=1
	v_cndmask_b32_e64 v2, 0, 1, s[40:41]
	v_cmp_ne_u32_e64 s[0:1], 1, v2
	s_andn2_b64 vcc, exec, s[40:41]
	s_cbranch_vccnz .LBB99_10
; %bb.9:                                ;   in Loop: Header=BB99_6 Depth=1
	s_add_i32 s24, s55, 64
	s_mul_hi_i32 s25, s24, s14
	s_mul_i32 s24, s24, s14
	s_add_u32 s24, s24, s51
	s_addc_u32 s25, s25, s56
	s_lshl_b64 s[24:25], s[24:25], 8
	s_add_u32 s24, s4, s24
	s_addc_u32 s25, s5, s25
.LBB99_10:                              ;   in Loop: Header=BB99_6 Depth=1
	v_perm_b32 v3, v67, v66, s3
	v_perm_b32 v2, v63, v62, s3
	v_perm_b32 v5, v65, v64, s3
	v_perm_b32 v4, v61, v60, s3
	ds_write_b64 v90, v[2:3]
	ds_write_b64 v91, v[4:5]
	ds_write_b64 v96, v[2:3]
	ds_write_b64 v97, v[4:5]
	v_perm_b32 v3, v59, v58, s3
	v_perm_b32 v2, v55, v54, s3
	v_perm_b32 v5, v57, v56, s3
	v_perm_b32 v4, v53, v52, s3
	ds_write_b64 v92, v[2:3]
	ds_write_b64 v93, v[4:5]
	ds_write_b64 v98, v[2:3]
	ds_write_b64 v99, v[4:5]
	;; [unrolled: 8-line block ×4, first 2 shown]
	s_waitcnt lgkmcnt(0)
	s_barrier
	ds_read_b64 v[6:7], v106 offset:49152
	ds_read2_b64 v[2:5], v107 offset1:16
	ds_read_b64 v[18:19], v109 offset:6144
	ds_read_b64 v[20:21], v107 offset:6144
	s_waitcnt lgkmcnt(2)
	v_mfma_f32_16x16x16_bf16 a[0:3], v[6:7], v[2:3], 0
	ds_read_b64 v[22:23], v108 offset:49152
	ds_read2st64_b64 v[10:13], v110 offset0:4 offset1:8
	ds_read2st64_b64 v[14:17], v111 offset0:4 offset1:8
	v_mfma_f32_16x16x16_bf16 a[4:7], v[6:7], v[4:5], 0
	ds_read2_b64 v[2:5], v107 offset0:32 offset1:48
	s_add_i32 s27, s55, 63
	s_ashr_i32 s40, s27, 31
	s_waitcnt lgkmcnt(0)
	v_mfma_f32_16x16x16_bf16 a[8:11], v[6:7], v[2:3], 0
	s_mul_i32 s41, s27, s31
	s_mul_hi_u32 s62, s27, s30
	s_add_i32 s41, s62, s41
	v_mfma_f32_16x16x16_bf16 a[12:15], v[6:7], v[4:5], 0
	ds_read2st64_b64 v[2:5], v107 offset0:4 offset1:8
	ds_read2st64_b64 v[6:9], v109 offset0:4 offset1:8
	s_mul_i32 s40, s40, s30
	s_waitcnt lgkmcnt(1)
	v_mfma_f32_16x16x16_bf16 a[0:3], v[22:23], v[2:3], a[0:3]
	s_add_i32 s41, s41, s40
	s_mul_i32 s40, s27, s30
	s_lshl_b64 s[40:41], s[40:41], 2
	s_waitcnt lgkmcnt(0)
	v_mfma_f32_16x16x16_bf16 a[4:7], v[22:23], v[6:7], a[4:7]
	s_add_u32 s40, s16, s40
	s_addc_u32 s41, s17, s41
	s_and_b64 vcc, exec, s[0:1]
	v_mfma_f32_16x16x16_bf16 a[8:11], v[22:23], v[10:11], a[8:11]
	ds_read_b64 v[2:3], v112 offset:49152
	ds_read_b64 v[6:7], v113 offset:49152
	;; [unrolled: 1-line block ×3, first 2 shown]
	v_mov_b32_e32 v136, 0
	v_mov_b32_e32 v135, 0
	v_mfma_f32_16x16x16_bf16 a[12:15], v[22:23], v[14:15], a[12:15]
	v_mov_b32_e32 v134, 0
	v_mov_b32_e32 v14, 0
	;; [unrolled: 1-line block ×3, first 2 shown]
	s_waitcnt lgkmcnt(2)
	v_mfma_f32_16x16x16_bf16 a[0:3], v[2:3], v[4:5], a[0:3]
	v_mov_b32_e32 v4, 0
	v_mov_b32_e32 v5, 0
	v_mfma_f32_16x16x16_bf16 a[4:7], v[2:3], v[8:9], a[4:7]
	v_mov_b32_e32 v8, 0
	v_mov_b32_e32 v9, 0
	;; [unrolled: 3-line block ×3, first 2 shown]
	v_mfma_f32_16x16x16_bf16 a[12:15], v[2:3], v[16:17], a[12:15]
	ds_read_b64 v[2:3], v110 offset:6144
	v_mov_b32_e32 v16, 0
	v_mov_b32_e32 v17, 0
	s_waitcnt lgkmcnt(2)
	v_mfma_f32_16x16x16_bf16 a[0:3], v[6:7], v[20:21], a[0:3]
	v_mfma_f32_16x16x16_bf16 a[4:7], v[6:7], v[18:19], a[4:7]
	s_waitcnt lgkmcnt(0)
	v_mfma_f32_16x16x16_bf16 a[8:11], v[6:7], v[2:3], a[8:11]
	v_mov_b32_e32 v2, 0
	v_mov_b32_e32 v3, 0
	v_mfma_f32_16x16x16_bf16 a[12:15], v[6:7], v[10:11], a[12:15]
	v_mov_b32_e32 v6, 0
	v_mov_b32_e32 v7, 0
	;; [unrolled: 1-line block ×4, first 2 shown]
	s_cbranch_vccnz .LBB99_12
; %bb.11:                               ;   in Loop: Header=BB99_6 Depth=1
	s_and_b32 s21, s21, 0xffff
	buffer_load_dwordx4 v[14:17], v86, s[20:23], 0 offen
	buffer_load_dwordx4 v[10:13], v86, s[20:23], s57 offen
	buffer_load_dwordx4 v[6:9], v87, s[20:23], 0 offen
	buffer_load_dwordx4 v[2:5], v87, s[20:23], s57 offen
	v_mov_b32_e32 v135, v88
	v_mov_b32_e32 v134, v89
.LBB99_12:                              ;   in Loop: Header=BB99_6 Depth=1
	ds_read_b64 v[142:143], v106 offset:57344
	ds_read2_b64 v[18:21], v114 offset1:16
	ds_read_b64 v[144:145], v108 offset:57344
	ds_read_b64 v[146:147], v112 offset:57344
	;; [unrolled: 1-line block ×3, first 2 shown]
	v_add_u32_e32 v137, s55, v82
	s_waitcnt lgkmcnt(3)
	v_mfma_f32_16x16x16_bf16 a[0:3], v[142:143], v[18:19], a[0:3]
	v_mfma_f32_16x16x16_bf16 a[4:7], v[142:143], v[20:21], a[4:7]
	ds_read2_b64 v[18:21], v114 offset0:32 offset1:48
	ds_read2st64_b64 v[22:25], v114 offset0:4 offset1:8
	ds_read2st64_b64 v[26:29], v115 offset0:4 offset1:8
	;; [unrolled: 1-line block ×4, first 2 shown]
	s_waitcnt lgkmcnt(4)
	v_mfma_f32_16x16x16_bf16 a[8:11], v[142:143], v[18:19], a[8:11]
	v_ashrrev_i32_e32 v18, 31, v137
	v_mfma_f32_16x16x16_bf16 a[12:15], v[142:143], v[20:21], a[12:15]
	v_mul_lo_u32 v20, v18, s30
	v_mul_lo_u32 v21, v137, s31
	v_mad_u64_u32 v[18:19], s[20:21], v137, s30, 0
	v_add3_u32 v19, v19, v21, v20
	v_add_u32_e32 v20, 1, v137
	v_ashrrev_i32_e32 v21, 31, v20
	s_waitcnt lgkmcnt(3)
	v_mfma_f32_16x16x16_bf16 a[0:3], v[144:145], v[22:23], a[0:3]
	v_mul_lo_u32 v22, v21, s30
	v_mul_lo_u32 v23, v20, s31
	v_mad_u64_u32 v[20:21], s[20:21], v20, s30, 0
	v_add3_u32 v21, v21, v23, v22
	v_add_u32_e32 v22, 2, v137
	v_ashrrev_i32_e32 v23, 31, v22
	s_waitcnt lgkmcnt(2)
	v_mfma_f32_16x16x16_bf16 a[4:7], v[144:145], v[26:27], a[4:7]
	v_mul_lo_u32 v26, v23, s30
	v_mul_lo_u32 v27, v22, s31
	v_mad_u64_u32 v[22:23], s[20:21], v22, s30, 0
	v_lshl_add_u64 v[18:19], v[18:19], 2, s[16:17]
	v_lshl_add_u64 v[20:21], v[20:21], 2, s[16:17]
	v_add3_u32 v23, v23, v27, v26
	v_add_u32_e32 v26, 3, v137
	s_waitcnt lgkmcnt(1)
	v_mfma_f32_16x16x16_bf16 a[8:11], v[144:145], v[30:31], a[8:11]
	global_load_dword v31, v[18:19], off
	global_load_dword v137, v[20:21], off
	v_mad_u64_u32 v[18:19], s[20:21], v26, s30, 0
	v_ashrrev_i32_e32 v27, 31, v26
	s_ashr_i32 s21, s55, 31
	v_mul_lo_u32 v27, v27, s30
	v_mul_lo_u32 v30, v26, s31
	s_add_u32 s20, s53, s55
	v_lshl_add_u64 v[22:23], v[22:23], 2, s[16:17]
	v_add3_u32 v19, v19, v30, v27
	s_addc_u32 s21, s52, s21
	s_waitcnt lgkmcnt(0)
	v_mfma_f32_16x16x16_bf16 a[12:15], v[144:145], v[138:139], a[12:15]
	v_lshl_add_u64 v[18:19], v[18:19], 2, s[16:17]
	global_load_dword v30, v[22:23], off
	global_load_dword v138, v[18:19], off
	s_lshl_b64 s[20:21], s[20:21], 8
	v_lshl_add_u64 v[18:19], v[70:71], 0, s[20:21]
	v_lshl_add_u64 v[18:19], v[18:19], 0, v[68:69]
	global_load_ushort v139, v[18:19], off offset:256
	global_load_ushort v142, v[18:19], off
	global_load_ushort v143, v[18:19], off offset:768
	global_load_ushort v144, v[18:19], off offset:512
	;; [unrolled: 1-line block ×6, first 2 shown]
	s_load_dword s40, s[40:41], 0x0
	v_mfma_f32_16x16x16_bf16 a[12:15], v[146:147], v[140:141], a[12:15]
	global_load_ushort v140, v[18:19], off offset:320
	global_load_ushort v141, v[18:19], off offset:64
	s_and_b64 vcc, exec, s[0:1]
	v_mfma_f32_16x16x16_bf16 a[0:3], v[146:147], v[24:25], a[0:3]
	ds_read_b64 v[20:21], v114 offset:6144
	ds_read_b64 v[22:23], v115 offset:6144
	;; [unrolled: 1-line block ×4, first 2 shown]
	v_mfma_f32_16x16x16_bf16 a[4:7], v[146:147], v[28:29], a[4:7]
	s_waitcnt vmcnt(11) lgkmcnt(0)
	v_sub_f32_e32 v28, s40, v30
	v_mfma_f32_16x16x16_bf16 a[8:11], v[146:147], v[32:33], a[8:11]
	global_load_ushort v146, v[18:19], off offset:832
	global_load_ushort v147, v[18:19], off offset:576
	;; [unrolled: 1-line block ×6, first 2 shown]
	v_mfma_f32_16x16x16_bf16 a[0:3], v[148:149], v[20:21], a[0:3]
	s_waitcnt vmcnt(16)
	v_sub_f32_e32 v29, s40, v138
	v_mul_f32_e32 v28, 0x3fb8aa3b, v28
	v_mul_f32_e32 v29, 0x3fb8aa3b, v29
	v_exp_f32_e32 v28, v28
	v_exp_f32_e32 v29, v29
	s_waitcnt vmcnt(15)
	v_lshlrev_b32_e32 v33, 16, v139
	s_waitcnt vmcnt(14)
	v_lshlrev_b32_e32 v32, 16, v142
	v_accvgpr_read_b32 v21, a3
	v_accvgpr_read_b32 v20, a2
	v_mfma_f32_16x16x16_bf16 a[2:5], v[148:149], v[22:23], a[4:7]
	v_accvgpr_read_b32 v139, a1
	v_accvgpr_read_b32 v138, a0
	v_pk_add_f32 v[32:33], v[32:33], v[138:139] neg_lo:[0,1] neg_hi:[0,1]
	v_mfma_f32_16x16x16_bf16 a[6:9], v[148:149], v[24:25], a[8:11]
	s_waitcnt vmcnt(13)
	v_lshlrev_b32_e32 v139, 16, v143
	s_waitcnt vmcnt(12)
	v_lshlrev_b32_e32 v138, 16, v144
	v_pk_add_f32 v[20:21], v[138:139], v[20:21] neg_lo:[0,1] neg_hi:[0,1]
	v_accvgpr_read_b32 v139, a3
	v_accvgpr_read_b32 v138, a2
	;; [unrolled: 1-line block ×6, first 2 shown]
	v_mfma_f32_16x16x16_bf16 a[8:11], v[148:149], v[26:27], a[12:15]
	v_sub_f32_e32 v26, s40, v31
	v_sub_f32_e32 v27, s40, v137
	v_mul_f32_e32 v26, 0x3fb8aa3b, v26
	v_mul_f32_e32 v27, 0x3fb8aa3b, v27
	v_exp_f32_e32 v26, v26
	v_exp_f32_e32 v27, v27
	v_lshl_add_u64 v[30:31], v[72:73], 0, s[20:21]
	v_lshl_add_u64 v[30:31], v[30:31], 0, v[68:69]
	global_store_short_d16_hi v[30:31], v32, off
	global_store_short_d16_hi v[30:31], v33, off offset:256
	global_store_short_d16_hi v[30:31], v20, off offset:512
	;; [unrolled: 1-line block ×3, first 2 shown]
	v_pk_mul_f32 v[32:33], v[26:27], v[32:33]
	v_pk_mul_f32 v[20:21], v[28:29], v[20:21]
	v_accvgpr_read_b32 v25, a11
	v_perm_b32 v21, v21, v20, s3
	v_perm_b32 v20, v33, v32, s3
	s_waitcnt vmcnt(15)
	v_lshlrev_b32_e32 v33, 16, v145
	s_waitcnt vmcnt(14)
	v_lshlrev_b32_e32 v32, 16, v150
	v_pk_add_f32 v[32:33], v[32:33], v[138:139] neg_lo:[0,1] neg_hi:[0,1]
	s_waitcnt vmcnt(13)
	v_lshlrev_b32_e32 v139, 16, v151
	s_waitcnt vmcnt(12)
	v_lshlrev_b32_e32 v138, 16, v152
	v_pk_add_f32 v[22:23], v[138:139], v[22:23] neg_lo:[0,1] neg_hi:[0,1]
	global_store_short_d16_hi v[30:31], v32, off offset:32
	global_store_short_d16_hi v[30:31], v33, off offset:288
	;; [unrolled: 1-line block ×4, first 2 shown]
	v_pk_mul_f32 v[32:33], v[26:27], v[32:33]
	v_pk_mul_f32 v[22:23], v[28:29], v[22:23]
	v_accvgpr_read_b32 v24, a10
	v_perm_b32 v23, v23, v22, s3
	v_perm_b32 v22, v33, v32, s3
	ds_write2_b64 v91, v[20:21], v[22:23] offset1:16
	v_accvgpr_read_b32 v23, a7
	s_waitcnt vmcnt(15)
	v_lshlrev_b32_e32 v21, 16, v140
	s_waitcnt vmcnt(14)
	v_lshlrev_b32_e32 v20, 16, v141
	v_accvgpr_read_b32 v22, a6
	v_pk_add_f32 v[20:21], v[20:21], v[22:23] neg_lo:[0,1] neg_hi:[0,1]
	global_store_short_d16_hi v[30:31], v20, off offset:64
	global_store_short_d16_hi v[30:31], v21, off offset:320
	v_pk_mul_f32 v[20:21], v[26:27], v[20:21]
	v_mov_b32_e32 v137, 0
	v_perm_b32 v20, v21, v20, s3
	v_mov_b32_e32 v32, 0
	v_mov_b32_e32 v33, 0
	s_waitcnt vmcnt(15)
	v_lshlrev_b32_e32 v23, 16, v146
	s_waitcnt vmcnt(14)
	v_lshlrev_b32_e32 v22, 16, v147
	v_pk_add_f32 v[18:19], v[22:23], v[18:19] neg_lo:[0,1] neg_hi:[0,1]
	global_store_short_d16_hi v[30:31], v18, off offset:576
	global_store_short_d16_hi v[30:31], v19, off offset:832
	v_pk_mul_f32 v[18:19], v[28:29], v[18:19]
	v_accvgpr_read_b32 v23, a9
	v_perm_b32 v21, v19, v18, s3
	s_waitcnt vmcnt(15)
	v_lshlrev_b32_e32 v19, 16, v153
	s_waitcnt vmcnt(14)
	v_lshlrev_b32_e32 v18, 16, v154
	v_accvgpr_read_b32 v22, a8
	v_pk_add_f32 v[18:19], v[18:19], v[22:23] neg_lo:[0,1] neg_hi:[0,1]
	s_waitcnt vmcnt(13)
	v_lshlrev_b32_e32 v23, 16, v155
	s_waitcnt vmcnt(12)
	v_lshlrev_b32_e32 v22, 16, v156
	v_pk_add_f32 v[22:23], v[22:23], v[24:25] neg_lo:[0,1] neg_hi:[0,1]
	global_store_short_d16_hi v[30:31], v18, off offset:96
	global_store_short_d16_hi v[30:31], v19, off offset:352
	;; [unrolled: 1-line block ×4, first 2 shown]
	v_pk_mul_f32 v[18:19], v[26:27], v[18:19]
	v_pk_mul_f32 v[22:23], v[28:29], v[22:23]
	v_mov_b32_e32 v24, 0
	v_perm_b32 v23, v23, v22, s3
	v_perm_b32 v22, v19, v18, s3
	ds_write2_b64 v91, v[20:21], v[22:23] offset0:32 offset1:48
	v_mov_b32_e32 v18, 0
	v_mov_b32_e32 v19, 0
	;; [unrolled: 1-line block ×13, first 2 shown]
	s_cbranch_vccnz .LBB99_14
; %bb.13:                               ;   in Loop: Header=BB99_6 Depth=1
	s_and_b32 s25, s25, 0xffff
	s_mov_b32 s27, s23
	buffer_load_dwordx4 v[30:33], v128, s[24:27], 0 offen
	buffer_load_dwordx4 v[22:25], v128, s[24:27], s57 offen
	;; [unrolled: 1-line block ×4, first 2 shown]
	v_mov_b32_e32 v136, v85
	v_mov_b32_e32 v137, v84
.LBB99_14:                              ;   in Loop: Header=BB99_6 Depth=1
	s_waitcnt lgkmcnt(0)
	s_barrier
	ds_read_b64 v[146:147], v35
	ds_read2_b64 v[138:141], v121 offset1:16
	ds_read_b64 v[162:163], v130
	ds_read_b64 v[164:165], v131
	;; [unrolled: 1-line block ×3, first 2 shown]
	ds_read2_b64 v[142:145], v121 offset0:32 offset1:48
	s_waitcnt lgkmcnt(4)
	v_mfma_f32_16x16x16_bf16 a[0:3], v[146:147], v[138:139], 0
	ds_read2st64_b64 v[150:153], v123 offset0:4 offset1:8
	ds_read2st64_b64 v[154:157], v124 offset0:4 offset1:8
	;; [unrolled: 1-line block ×3, first 2 shown]
	v_mfma_f32_16x16x16_bf16 a[4:7], v[146:147], v[140:141], 0
	s_add_i32 s20, s54, s60
	s_mul_hi_i32 s21, s20, s13
	s_mul_i32 s20, s20, s13
	s_waitcnt lgkmcnt(3)
	v_mfma_f32_16x16x16_bf16 a[8:11], v[146:147], v[142:143], 0
	s_add_u32 s20, s20, s47
	s_addc_u32 s21, s21, s48
	s_lshl_b64 s[20:21], s[20:21], 15
	v_mfma_f32_16x16x16_bf16 a[12:15], v[146:147], v[144:145], 0
	ds_read2st64_b64 v[146:149], v121 offset0:4 offset1:8
	s_waitcnt lgkmcnt(0)
	v_mfma_f32_16x16x16_bf16 a[0:3], v[162:163], v[146:147], a[0:3]
	v_mfma_f32_16x16x16_bf16 a[4:7], v[162:163], v[150:151], a[4:7]
	v_mfma_f32_16x16x16_bf16 a[8:11], v[162:163], v[154:155], a[8:11]
	v_mfma_f32_16x16x16_bf16 a[12:15], v[162:163], v[158:159], a[12:15]
	v_mfma_f32_16x16x16_bf16 a[0:3], v[164:165], v[148:149], a[0:3]
	v_mfma_f32_16x16x16_bf16 a[4:7], v[164:165], v[152:153], a[4:7]
	v_mfma_f32_16x16x16_bf16 a[8:11], v[164:165], v[156:157], a[8:11]
	v_mfma_f32_16x16x16_bf16 a[12:15], v[164:165], v[160:161], a[12:15]
	ds_read_b64 v[162:163], v121 offset:6144
	ds_read_b64 v[164:165], v122 offset:40960
	;; [unrolled: 1-line block ×8, first 2 shown]
	s_waitcnt lgkmcnt(5)
	v_mfma_f32_16x16x16_bf16 a[16:19], v[168:169], v[138:139], 0
	v_mfma_f32_16x16x16_bf16 a[20:23], v[168:169], v[140:141], 0
	ds_read2st64_b64 v[138:141], v118 offset1:8
	v_mfma_f32_16x16x16_bf16 a[24:27], v[168:169], v[142:143], 0
	v_mfma_f32_16x16x16_bf16 a[28:31], v[168:169], v[144:145], 0
	ds_read2st64_b64 v[142:145], v119 offset1:8
	v_mfma_f32_16x16x16_bf16 a[16:19], v[164:165], v[146:147], a[16:19]
	s_waitcnt lgkmcnt(1)
	v_mov_b32_e32 v146, v138
	v_mov_b32_e32 v147, v139
	v_mfma_f32_16x16x16_bf16 a[20:23], v[164:165], v[150:151], a[20:23]
	v_lshl_add_u64 v[150:151], v[74:75], 0, s[20:21]
	v_mfma_f32_16x16x16_bf16 a[24:27], v[164:165], v[154:155], a[24:27]
	v_mfma_f32_16x16x16_bf16 a[28:31], v[164:165], v[158:159], a[28:31]
	;; [unrolled: 1-line block ×3, first 2 shown]
	s_waitcnt lgkmcnt(0)
	v_mov_b32_e32 v148, v142
	v_mov_b32_e32 v149, v143
	;; [unrolled: 1-line block ×3, first 2 shown]
	v_mfma_f32_16x16x16_bf16 a[32:35], v[176:177], v[152:153], a[20:23]
	v_mov_b32_e32 v143, v141
	ds_read2st64_b64 v[138:141], v118 offset0:16 offset1:24
	global_store_dwordx4 v[150:151], v[146:149], off
	v_mfma_f32_16x16x16_bf16 a[24:27], v[176:177], v[156:157], a[24:27]
	ds_read2st64_b64 v[146:149], v119 offset0:16 offset1:24
	v_add_co_u32_e32 v152, vcc, s37, v150
	v_mfma_f32_16x16x16_bf16 a[28:31], v[176:177], v[160:161], a[28:31]
	s_nop 0
	v_addc_co_u32_e32 v153, vcc, 0, v151, vcc
	global_store_dwordx4 v[152:153], v[142:145], off offset:-4096
	v_mfma_f32_16x16x16_bf16 a[0:3], v[166:167], v[162:163], a[0:3]
	s_waitcnt lgkmcnt(1)
	v_mov_b32_e32 v142, v138
	v_add_co_u32_e32 v138, vcc, s39, v150
	v_mfma_f32_16x16x16_bf16 a[4:7], v[166:167], v[170:171], a[4:7]
	v_mov_b32_e32 v143, v139
	v_addc_co_u32_e32 v139, vcc, 0, v151, vcc
	v_mfma_f32_16x16x16_bf16 a[8:11], v[166:167], v[172:173], a[8:11]
	s_waitcnt lgkmcnt(0)
	v_mov_b32_e32 v144, v146
	v_mov_b32_e32 v145, v147
	;; [unrolled: 1-line block ×3, first 2 shown]
	v_mfma_f32_16x16x16_bf16 a[12:15], v[166:167], v[174:175], a[12:15]
	v_mov_b32_e32 v147, v141
	s_and_b64 vcc, exec, s[0:1]
	global_store_dwordx4 v[152:153], v[142:145], off
	v_mfma_f32_16x16x16_bf16 a[20:23], v[178:179], v[162:163], a[16:19]
	global_store_dwordx4 v[138:139], v[146:149], off
	v_mfma_f32_16x16x16_bf16 a[16:19], v[178:179], v[170:171], a[32:35]
	v_mfma_f32_16x16x16_bf16 a[24:27], v[178:179], v[172:173], a[24:27]
	;; [unrolled: 1-line block ×3, first 2 shown]
	s_cbranch_vccnz .LBB99_16
; %bb.15:                               ;   in Loop: Header=BB99_6 Depth=1
	v_lshrrev_b32_e32 v138, 3, v136
	v_and_b32_e32 v138, 6, v138
	v_xor_b32_e32 v137, v138, v137
	v_lshlrev_b32_e32 v137, 2, v137
	v_and_b32_e32 v136, 8, v136
	v_xor_b32_e32 v139, 0x440, v137
	v_cmp_eq_u32_e32 vcc, 0, v136
	s_barrier
	s_nop 0
	v_cndmask_b32_e32 v136, v139, v137, vcc
	v_lshl_or_b32 v136, v138, 10, v136
	s_waitcnt vmcnt(5)
	v_perm_b32 v137, v30, v26, s58
	s_waitcnt vmcnt(4)
	v_perm_b32 v138, v22, v18, s58
	ds_write2st64_b32 v136, v137, v138 offset0:128 offset1:160
	v_xor_b32_e32 v137, 8, v136
	v_perm_b32 v26, v30, v26, s59
	v_perm_b32 v18, v22, v18, s59
	v_add_u32_e32 v22, 0x80, v137
	ds_write2st64_b32 v22, v26, v18 offset0:128 offset1:160
	v_xor_b32_e32 v18, 16, v136
	v_perm_b32 v22, v31, v27, s58
	v_perm_b32 v26, v23, v19, s58
	ds_write2st64_b32 v18, v22, v26 offset0:129 offset1:161
	v_xor_b32_e32 v18, 24, v136
	v_perm_b32 v22, v31, v27, s59
	v_perm_b32 v19, v23, v19, s59
	v_add_u32_e32 v18, 0x80, v18
	ds_write2st64_b32 v18, v22, v19 offset0:129 offset1:161
	v_xor_b32_e32 v18, 32, v136
	v_perm_b32 v19, v32, v28, s58
	;; [unrolled: 9-line block ×3, first 2 shown]
	v_perm_b32 v20, v25, v21, s58
	ds_write2st64_b32 v18, v19, v20 offset0:131 offset1:163
	v_xor_b32_e32 v18, 56, v136
	v_perm_b32 v19, v33, v29, s59
	v_perm_b32 v20, v25, v21, s59
	v_add_u32_e32 v18, 0x80, v18
	ds_write2st64_b32 v18, v19, v20 offset0:131 offset1:163
	ds_write_b64 v135, v[14:15] offset:49152
	v_xor_b32_e32 v14, 8, v135
	ds_write_b64 v14, v[16:17] offset:49152
	ds_write_b64 v135, v[10:11] offset:57344
	;; [unrolled: 1-line block ×4, first 2 shown]
	v_xor_b32_e32 v6, 8, v134
	ds_write_b64 v6, v[8:9] offset:49152
	ds_write_b64 v134, v[2:3] offset:57344
	;; [unrolled: 1-line block ×3, first 2 shown]
.LBB99_16:                              ;   in Loop: Header=BB99_6 Depth=1
	s_waitcnt vmcnt(6)
	v_mul_f32_e32 v22, s40, v133
	v_exp_f32_e32 v134, v22
	v_accvgpr_read_b32 v5, a3
	v_accvgpr_read_b32 v9, a7
	;; [unrolled: 1-line block ×4, first 2 shown]
	s_waitcnt vmcnt(4)
	v_accvgpr_read_b32 v18, a20
	v_accvgpr_read_b32 v25, a19
	;; [unrolled: 1-line block ×28, first 2 shown]
	s_add_i32 s55, s55, 64
	v_pk_fma_f32 v[62:63], v[62:63], v[134:135], v[2:3] op_sel_hi:[1,0,1]
	v_pk_fma_f32 v[66:67], v[66:67], v[134:135], v[4:5] op_sel_hi:[1,0,1]
	;; [unrolled: 1-line block ×15, first 2 shown]
	s_cmp_eq_u32 s49, s61
	v_pk_fma_f32 v[40:41], v[40:41], v[134:135], v[32:33] op_sel_hi:[1,0,1]
	s_cbranch_scc1 .LBB99_18
; %bb.17:                               ;   in Loop: Header=BB99_6 Depth=1
	s_mov_b32 s60, s61
	s_branch .LBB99_6
.LBB99_18:
	s_lshl_b32 s26, s49, 6
	s_sub_i32 s27, s50, s26
	s_cmp_gt_i32 s27, 0
	s_cbranch_scc0 .LBB99_99
; %bb.19:
	s_add_i32 s26, s26, s34
	s_ashr_i32 s3, s26, 31
	s_cmpk_lg_i32 s15, 0x80
	s_cselect_b64 s[22:23], -1, 0
	s_and_b64 vcc, exec, s[22:23]
	s_cbranch_vccz .LBB99_21
; %bb.20:
	s_mul_hi_i32 s0, s26, s14
	s_mul_i32 s1, s26, s14
	s_ashr_i32 s14, s51, 31
	s_add_u32 s24, s1, s51
	s_addc_u32 s25, s0, s14
	s_cbranch_execz .LBB99_22
	s_branch .LBB99_23
.LBB99_21:
                                        ; implicit-def: $sgpr24_sgpr25
.LBB99_22:
	s_mul_i32 s1, s51, s12
	s_mul_hi_i32 s0, s51, s12
	s_add_u32 s24, s1, s26
	s_addc_u32 s25, s0, s3
.LBB99_23:
	s_add_i32 s12, s49, s54
	s_add_u32 s0, s53, s26
	v_lshlrev_b32_e32 v6, 6, v82
	v_lshlrev_b32_e32 v24, 2, v79
	s_addc_u32 s1, s52, s3
	s_mov_b32 s3, 0x7060302
	v_or_b32_e32 v9, v6, v24
	v_xor_b32_e32 v7, v82, v24
	v_perm_b32 v3, v67, v66, s3
	v_perm_b32 v2, v63, v62, s3
	;; [unrolled: 1-line block ×4, first 2 shown]
	v_lshlrev_b32_e32 v9, 1, v9
	v_xor_b32_e32 v8, v83, v24
	ds_write2st64_b64 v9, v[2:3], v[4:5] offset0:32 offset1:48
	v_lshlrev_b32_e32 v7, 1, v7
	v_lshlrev_b32_e32 v9, 8, v79
	v_or_b32_e32 v10, v7, v9
	v_lshlrev_b32_e32 v8, 1, v8
	ds_write_b64 v10, v[2:3]
	v_or_b32_e32 v2, v8, v9
	v_or_b32_e32 v9, 16, v79
	v_lshlrev_b32_e32 v23, 2, v9
	v_or_b32_e32 v10, v6, v23
	ds_write_b64 v2, v[4:5]
	v_perm_b32 v3, v59, v58, s3
	v_perm_b32 v2, v55, v54, s3
	;; [unrolled: 1-line block ×4, first 2 shown]
	v_lshlrev_b32_e32 v10, 1, v10
	v_lshlrev_b32_e32 v9, 8, v9
	ds_write2st64_b64 v10, v[2:3], v[4:5] offset0:32 offset1:48
	v_or_b32_e32 v10, v7, v9
	ds_write_b64 v10, v[2:3]
	v_or_b32_e32 v2, v8, v9
	v_or_b32_e32 v9, 32, v79
	v_lshlrev_b32_e32 v22, 2, v9
	v_or_b32_e32 v10, v6, v22
	ds_write_b64 v2, v[4:5]
	v_perm_b32 v3, v51, v50, s3
	v_perm_b32 v2, v47, v46, s3
	;; [unrolled: 1-line block ×4, first 2 shown]
	v_lshlrev_b32_e32 v10, 1, v10
	v_lshlrev_b32_e32 v9, 8, v9
	s_lshl_b64 s[20:21], s[0:1], 8
	ds_write2st64_b64 v10, v[2:3], v[4:5] offset0:32 offset1:48
	v_or_b32_e32 v10, v7, v9
	s_add_u32 s0, s6, s20
	ds_write_b64 v10, v[2:3]
	v_or_b32_e32 v2, v8, v9
	s_addc_u32 s1, s7, s21
	ds_write_b64 v2, v[4:5]
	v_perm_b32 v3, v43, v42, s3
	v_perm_b32 v2, v39, v38, s3
	;; [unrolled: 1-line block ×4, first 2 shown]
	v_or_b32_e32 v9, 48, v79
	s_mul_hi_i32 s3, s12, s13
	s_mul_i32 s12, s12, s13
	v_lshlrev_b32_e32 v19, 2, v9
	s_add_u32 s6, s12, s47
	v_or_b32_e32 v6, v6, v19
	s_addc_u32 s7, s3, s48
	v_lshlrev_b32_e32 v6, 1, v6
	s_ashr_i32 s3, s2, 31
	s_lshl_b64 s[6:7], s[6:7], 15
	ds_write2st64_b64 v6, v[2:3], v[4:5] offset0:32 offset1:48
	v_lshlrev_b32_e32 v6, 8, v9
	s_add_u32 s6, s18, s6
	v_or_b32_e32 v7, v7, v6
	s_addc_u32 s7, s19, s7
	s_lshl_b64 s[2:3], s[2:3], 8
	ds_write_b64 v7, v[2:3]
	v_or_b32_e32 v2, v8, v6
	s_add_u32 s2, s6, s2
	v_lshlrev_b32_e32 v3, 1, v79
	ds_write_b64 v2, v[4:5]
	v_lshrrev_b32_e32 v2, 4, v0
	s_addc_u32 s3, s7, s3
	v_or_b32_e32 v4, 1, v3
	v_lshlrev_b32_e32 v10, 4, v79
	v_mov_b32_e32 v11, 0
	v_xor_b32_e32 v3, v2, v3
	v_xor_b32_e32 v6, v4, v2
	v_lshl_add_u64 v[12:13], s[2:3], 0, v[10:11]
	v_lshlrev_b32_e32 v10, 8, v2
	v_lshl_or_b32 v16, v3, 3, v10
	v_lshl_or_b32 v17, v6, 3, v10
	s_waitcnt lgkmcnt(0)
	s_barrier
	ds_read2st64_b64 v[2:5], v16 offset1:8
	ds_read2st64_b64 v[6:9], v17 offset1:8
	v_lshl_add_u64 v[14:15], v[12:13], 0, v[10:11]
	s_movk_i32 s2, 0x2000
	s_cmp_lg_u32 s27, 64
	s_waitcnt lgkmcnt(1)
	v_mov_b32_e32 v10, v2
	v_mov_b32_e32 v11, v3
	s_waitcnt lgkmcnt(0)
	v_mov_b32_e32 v12, v6
	v_mov_b32_e32 v13, v7
	global_store_dwordx4 v[14:15], v[10:13], off
	v_mov_b32_e32 v6, v4
	v_mov_b32_e32 v7, v5
	ds_read2st64_b64 v[2:5], v16 offset0:16 offset1:24
	ds_read2st64_b64 v[10:13], v17 offset0:16 offset1:24
	v_add_co_u32_e32 v16, vcc, s2, v14
	s_cselect_b64 s[6:7], -1, 0
	s_nop 0
	v_addc_co_u32_e32 v17, vcc, 0, v15, vcc
	global_store_dwordx4 v[16:17], v[6:9], off offset:-4096
	v_lshl_or_b32 v25, v77, 3, v81
	s_mov_b32 s16, 0
	s_waitcnt lgkmcnt(1)
	v_mov_b32_e32 v6, v2
	v_add_co_u32_e32 v2, vcc, 0x3000, v14
	v_mov_b32_e32 v7, v3
	s_nop 0
	v_addc_co_u32_e32 v3, vcc, 0, v15, vcc
	s_waitcnt lgkmcnt(0)
	v_mov_b32_e32 v8, v10
	v_mov_b32_e32 v9, v11
	;; [unrolled: 1-line block ×4, first 2 shown]
	v_or_b32_e32 v20, 32, v25
	v_and_b32_e32 v18, 56, v80
	s_and_b64 vcc, exec, s[6:7]
	global_store_dwordx4 v[16:17], v[6:9], off
	global_store_dwordx4 v[2:3], v[10:13], off
	s_cbranch_vccz .LBB99_29
; %bb.24:
	s_mov_b32 s17, s16
	s_mov_b32 s18, s16
	;; [unrolled: 1-line block ×3, first 2 shown]
	v_mov_b64_e32 v[6:7], s[16:17]
	v_mov_b64_e32 v[8:9], s[18:19]
	;; [unrolled: 1-line block ×3, first 2 shown]
	v_cmp_gt_i32_e32 vcc, s27, v25
	v_mov_b64_e32 v[4:5], v[8:9]
	s_and_saveexec_b64 s[2:3], vcc
	s_cbranch_execz .LBB99_26
; %bb.25:
	v_lshlrev_b32_e32 v2, 8, v25
	v_mov_b32_e32 v3, 0
	v_lshl_add_u64 v[4:5], s[0:1], 0, v[2:3]
	v_lshlrev_b32_e32 v2, 1, v18
	v_lshl_add_u64 v[10:11], v[4:5], 0, v[2:3]
	global_load_dwordx4 v[6:9], v[10:11], off
	global_load_dwordx4 v[2:5], v[10:11], off offset:128
.LBB99_26:
	s_or_b64 exec, exec, s[2:3]
	s_mov_b32 s17, s16
	s_mov_b32 s18, s16
	;; [unrolled: 1-line block ×3, first 2 shown]
	v_mov_b64_e32 v[14:15], s[16:17]
	v_mov_b64_e32 v[16:17], s[18:19]
	;; [unrolled: 1-line block ×3, first 2 shown]
	v_cmp_gt_i32_e32 vcc, s27, v20
	v_lshlrev_b32_e32 v21, 7, v20
	v_mov_b64_e32 v[12:13], v[16:17]
	s_and_saveexec_b64 s[2:3], vcc
	s_cbranch_execz .LBB99_28
; %bb.27:
	v_lshlrev_b32_e32 v10, 1, v21
	v_mov_b32_e32 v11, 0
	v_lshl_add_u64 v[12:13], s[0:1], 0, v[10:11]
	v_lshlrev_b32_e32 v10, 1, v18
	v_lshl_add_u64 v[26:27], v[12:13], 0, v[10:11]
	global_load_dwordx4 v[14:17], v[26:27], off
	global_load_dwordx4 v[10:13], v[26:27], off offset:128
.LBB99_28:
	s_or_b64 exec, exec, s[2:3]
	v_lshrrev_b32_e32 v26, 3, v18
	v_lshlrev_b32_e32 v27, 3, v25
	v_or_b32_e32 v26, v27, v26
	v_lshlrev_b32_e32 v26, 4, v26
	v_and_b32_e32 v27, 0x78, v27
	v_xor_b32_e32 v26, v26, v27
	s_branch .LBB99_31
.LBB99_29:
                                        ; implicit-def: $vgpr26
                                        ; implicit-def: $vgpr21
                                        ; implicit-def: $vgpr6_vgpr7_vgpr8_vgpr9
                                        ; implicit-def: $vgpr2_vgpr3_vgpr4_vgpr5
                                        ; implicit-def: $vgpr14_vgpr15_vgpr16_vgpr17
                                        ; implicit-def: $vgpr10_vgpr11_vgpr12_vgpr13
	s_cbranch_execz .LBB99_31
; %bb.30:
	s_waitcnt vmcnt(0)
	v_lshlrev_b32_e32 v2, 1, v18
	v_lshl_or_b32 v21, v25, 8, v2
	s_and_b32 s1, s1, 0xffff
	s_mov_b32 s3, 0x20000
	s_movk_i32 s2, 0x4000
	v_lshl_or_b32 v26, v20, 8, v2
	s_movk_i32 s12, 0x80
	buffer_load_dwordx4 v[6:9], v21, s[0:3], 0 offen
	buffer_load_dwordx4 v[2:5], v21, s[0:3], s12 offen
	;; [unrolled: 1-line block ×4, first 2 shown]
	v_lshrrev_b32_e32 v21, 3, v18
	v_lshlrev_b32_e32 v26, 3, v25
	v_or_b32_e32 v21, v26, v21
	v_lshlrev_b32_e32 v21, 4, v21
	v_and_b32_e32 v26, 0x78, v26
	v_xor_b32_e32 v26, v21, v26
	v_lshlrev_b32_e32 v21, 7, v20
.LBB99_31:
	s_movk_i32 s0, 0x1000
	v_and_or_b32 v20, v21, s0, v26
	s_waitcnt vmcnt(1)
	ds_write_b64 v26, v[6:7] offset:49152
	v_xor_b32_e32 v6, 8, v26
	ds_write_b64 v6, v[8:9] offset:49152
	s_waitcnt vmcnt(0)
	ds_write_b64 v26, v[2:3] offset:57344
	ds_write_b64 v6, v[4:5] offset:57344
	;; [unrolled: 1-line block ×3, first 2 shown]
	v_xor_b32_e32 v2, 8, v20
	ds_write_b64 v2, v[16:17] offset:49152
	ds_write_b64 v20, v[10:11] offset:57344
	;; [unrolled: 1-line block ×3, first 2 shown]
	v_or_b32_e32 v2, v1, v79
	v_lshlrev_b32_e32 v3, 11, v77
	v_lshlrev_b32_e32 v2, 3, v2
	v_and_b32_e32 v6, 0x1000, v3
	v_lshrrev_b32_e32 v3, 5, v76
	s_movk_i32 s0, 0xf8
	v_and_or_b32 v3, v2, s0, v3
	v_lshlrev_b32_e32 v7, 4, v3
	v_and_b32_e32 v8, 0x78, v2
	v_or_b32_e32 v10, 32, v7
	v_lshrrev_b32_e32 v3, 1, v76
	v_xor_b32_e32 v10, v10, v8
	v_xor_b32_e32 v2, v7, v8
	v_and_b32_e32 v9, 8, v3
	v_or_b32_e32 v10, v10, v6
	v_or_b32_e32 v2, v2, v6
	v_xor_b32_e32 v28, v10, v9
	v_or_b32_e32 v10, 64, v7
	v_xor_b32_e32 v27, v2, v9
	v_xor_b32_e32 v10, v10, v8
	s_waitcnt lgkmcnt(0)
	s_barrier
	v_or_b32_e32 v13, v10, v6
	ds_read_b64 v[10:11], v27 offset:49152
	v_lshl_or_b32 v14, v78, 8, v24
	v_lshlrev_b32_e32 v26, 1, v14
	v_add_u32_e32 v12, 0x4000, v26
	ds_read2_b64 v[2:5], v12 offset1:16
	v_or_b32_e32 v7, 0x60, v7
	v_xor_b32_e32 v7, v7, v8
	v_or_b32_e32 v6, v7, v6
	v_xor_b32_e32 v29, v13, v9
	v_xor_b32_e32 v30, v6, v9
	ds_read_b64 v[20:21], v28 offset:49152
	ds_read_b64 v[36:37], v29 offset:49152
	ds_read_b64 v[38:39], v30 offset:49152
	s_waitcnt lgkmcnt(3)
	v_mfma_f32_16x16x16_bf16 a[0:3], v[10:11], v[2:3], 0
	ds_read2st64_b64 v[6:9], v26 offset0:36 offset1:40
	s_lshl_b64 s[0:1], s[24:25], 8
	s_add_u32 s4, s4, s0
	v_mfma_f32_16x16x16_bf16 a[4:7], v[10:11], v[4:5], 0
	ds_read2_b64 v[2:5], v12 offset0:32 offset1:48
	s_addc_u32 s5, s5, s1
	s_add_i32 s1, s42, s33
	s_waitcnt lgkmcnt(0)
	v_mfma_f32_16x16x16_bf16 a[8:11], v[10:11], v[2:3], 0
	v_or_b32_e32 v2, 64, v14
	v_lshlrev_b32_e32 v31, 1, v2
	s_add_i32 s0, s35, -1
	v_mfma_f32_16x16x16_bf16 a[12:15], v[10:11], v[4:5], 0
	ds_read2st64_b64 v[2:5], v31 offset0:36 offset1:40
	s_add_i32 s39, s1, s43
	s_add_i32 s1, s45, s44
	v_mfma_f32_16x16x16_bf16 a[0:3], v[20:21], v[6:7], a[0:3]
	v_or_b32_e32 v6, 0x80, v14
	v_lshlrev_b32_e32 v32, 1, v6
	ds_read2st64_b64 v[10:13], v32 offset0:36 offset1:40
	s_waitcnt lgkmcnt(1)
	v_mfma_f32_16x16x16_bf16 a[4:7], v[20:21], v[2:3], a[4:7]
	v_or_b32_e32 v2, 0xc0, v14
	v_lshlrev_b32_e32 v33, 1, v2
	ds_read2st64_b64 v[14:17], v33 offset0:36 offset1:40
	s_add_i32 s37, s1, s46
	s_ashr_i32 s1, s0, 31
	s_mul_i32 s2, s0, s31
	s_mul_hi_u32 s3, s0, s30
	s_add_i32 s2, s3, s2
	s_mul_i32 s1, s1, s30
	s_waitcnt lgkmcnt(1)
	v_mfma_f32_16x16x16_bf16 a[8:11], v[20:21], v[10:11], a[8:11]
	s_add_i32 s1, s2, s1
	s_lshl_b64 s[2:3], s[38:39], 2
	s_add_u32 s10, s10, s2
	s_waitcnt lgkmcnt(0)
	v_mfma_f32_16x16x16_bf16 a[12:15], v[20:21], v[14:15], a[12:15]
	s_addc_u32 s11, s11, s3
	s_lshl_b64 s[2:3], s[36:37], 2
	s_mul_i32 s0, s0, s30
	v_mfma_f32_16x16x16_bf16 a[0:3], v[36:37], v[8:9], a[0:3]
	ds_read_b64 v[2:3], v26 offset:22528
	s_add_u32 s10, s10, s2
	s_addc_u32 s11, s11, s3
	v_mfma_f32_16x16x16_bf16 a[4:7], v[36:37], v[4:5], a[4:7]
	ds_read_b64 v[4:5], v31 offset:22528
	ds_read_b64 v[6:7], v32 offset:22528
	;; [unrolled: 1-line block ×3, first 2 shown]
	s_lshl_b64 s[0:1], s[0:1], 2
	s_add_u32 s0, s10, s0
	v_mfma_f32_16x16x16_bf16 a[8:11], v[36:37], v[12:13], a[8:11]
	s_addc_u32 s1, s11, s1
	s_load_dword s12, s[0:1], 0x0
	s_and_b64 vcc, exec, s[22:23]
	v_mfma_f32_16x16x16_bf16 a[12:15], v[36:37], v[16:17], a[12:15]
	s_waitcnt lgkmcnt(0)
	v_mfma_f32_16x16x16_bf16 a[0:3], v[38:39], v[2:3], a[0:3]
	v_mfma_f32_16x16x16_bf16 a[4:7], v[38:39], v[4:5], a[4:7]
	;; [unrolled: 1-line block ×4, first 2 shown]
	s_cbranch_vccz .LBB99_42
; %bb.32:
	v_lshlrev_b32_e32 v20, 1, v25
	s_and_b64 vcc, exec, s[6:7]
	s_cbranch_vccz .LBB99_43
; %bb.33:
	v_cmp_gt_i32_e32 vcc, s27, v20
	v_mov_b32_e32 v6, 0
	v_mov_b32_e32 v2, 0
	;; [unrolled: 1-line block ×5, first 2 shown]
	s_and_saveexec_b64 s[0:1], vcc
	s_cbranch_execz .LBB99_35
; %bb.34:
	v_mad_i64_i32 v[2:3], s[2:3], s15, v20, 0
	v_lshl_add_u64 v[2:3], v[2:3], 1, s[4:5]
	v_lshlrev_b32_e32 v4, 1, v18
	v_mov_b32_e32 v5, 0
	v_lshl_add_u64 v[2:3], v[2:3], 0, v[4:5]
	global_load_dwordx4 v[2:5], v[2:3], off
.LBB99_35:
	s_or_b64 exec, exec, s[0:1]
	v_or_b32_e32 v21, 1, v20
	v_cmp_gt_i32_e64 s[0:1], s27, v21
	v_mov_b32_e32 v7, 0
	v_mov_b32_e32 v8, 0
	;; [unrolled: 1-line block ×3, first 2 shown]
	s_and_saveexec_b64 s[2:3], s[0:1]
	s_cbranch_execz .LBB99_37
; %bb.36:
	v_mad_i64_i32 v[6:7], s[16:17], s15, v21, 0
	v_lshl_add_u64 v[6:7], v[6:7], 1, s[4:5]
	v_lshlrev_b32_e32 v8, 1, v18
	v_mov_b32_e32 v9, 0
	v_lshl_add_u64 v[6:7], v[6:7], 0, v[8:9]
	global_load_dwordx4 v[6:9], v[6:7], off
.LBB99_37:
	s_or_b64 exec, exec, s[2:3]
	v_mov_b32_e32 v17, 0
	v_mov_b32_e32 v10, 0
	;; [unrolled: 1-line block ×5, first 2 shown]
	s_and_saveexec_b64 s[2:3], vcc
	s_cbranch_execz .LBB99_39
; %bb.38:
	v_mad_i64_i32 v[10:11], s[16:17], s15, v20, 0
	v_lshl_add_u64 v[10:11], v[10:11], 1, s[4:5]
	v_lshlrev_b32_e32 v12, 1, v18
	v_mov_b32_e32 v13, 0
	v_lshl_add_u64 v[10:11], v[10:11], 0, v[12:13]
	global_load_dwordx4 v[10:13], v[10:11], off offset:128
.LBB99_39:
	s_or_b64 exec, exec, s[2:3]
	v_mov_b32_e32 v16, 0
	v_mov_b32_e32 v15, 0
	;; [unrolled: 1-line block ×3, first 2 shown]
	s_and_saveexec_b64 s[2:3], s[0:1]
	s_cbranch_execz .LBB99_41
; %bb.40:
	v_mad_i64_i32 v[14:15], s[0:1], s15, v21, 0
	v_lshl_add_u64 v[14:15], v[14:15], 1, s[4:5]
	v_lshlrev_b32_e32 v16, 1, v18
	v_mov_b32_e32 v17, 0
	v_lshl_add_u64 v[14:15], v[14:15], 0, v[16:17]
	global_load_dwordx4 v[14:17], v[14:15], off offset:128
.LBB99_41:
	s_or_b64 exec, exec, s[2:3]
	s_branch .LBB99_45
.LBB99_42:
                                        ; implicit-def: $vgpr5
                                        ; implicit-def: $vgpr9
                                        ; implicit-def: $vgpr13
                                        ; implicit-def: $vgpr17
	v_lshrrev_b32_e32 v35, 2, v76
	s_branch .LBB99_46
.LBB99_43:
                                        ; implicit-def: $vgpr5
                                        ; implicit-def: $vgpr9
                                        ; implicit-def: $vgpr13
                                        ; implicit-def: $vgpr17
	s_cbranch_execz .LBB99_45
; %bb.44:
	s_waitcnt vmcnt(0)
	v_mad_u64_u32 v[2:3], s[0:1], v20, s15, v[18:19]
	v_lshlrev_b32_e32 v20, 1, v2
	s_lshl_b32 s2, s15, 7
	s_and_b32 s1, s5, 0xffff
	s_mov_b32 s3, 0x20000
	s_mov_b32 s0, s4
	v_add_lshl_u32 v21, v2, s15, 1
	s_movk_i32 s13, 0x80
	buffer_load_dwordx4 v[2:5], v20, s[0:3], 0 offen
	buffer_load_dwordx4 v[10:13], v20, s[0:3], s13 offen
	buffer_load_dwordx4 v[6:9], v21, s[0:3], 0 offen
	buffer_load_dwordx4 v[14:17], v21, s[0:3], s13 offen
.LBB99_45:
	v_lshrrev_b32_e32 v35, 2, v76
	s_cbranch_execnz .LBB99_58
.LBB99_46:
	s_and_b64 vcc, exec, s[6:7]
	s_cbranch_vccz .LBB99_56
; %bb.47:
	s_waitcnt vmcnt(0)
	v_lshlrev_b32_e32 v7, 1, v25
	v_cmp_gt_i32_e32 vcc, s27, v7
	v_mov_b32_e32 v6, 0
	v_lshlrev_b32_e32 v14, 9, v25
	v_mov_b32_e32 v2, 0
	v_mov_b32_e32 v3, 0
	;; [unrolled: 1-line block ×4, first 2 shown]
	s_and_saveexec_b64 s[0:1], vcc
	s_cbranch_execz .LBB99_49
; %bb.48:
	v_mov_b32_e32 v15, 0
	v_lshl_add_u64 v[2:3], s[4:5], 0, v[14:15]
	v_lshlrev_b32_e32 v4, 1, v18
	v_mov_b32_e32 v5, v15
	v_lshl_add_u64 v[2:3], v[2:3], 0, v[4:5]
	global_load_dwordx4 v[2:5], v[2:3], off
.LBB99_49:
	s_or_b64 exec, exec, s[0:1]
	v_or_b32_e32 v7, 1, v7
	v_cmp_gt_i32_e64 s[0:1], s27, v7
	v_lshlrev_b32_e32 v20, 8, v7
	v_mov_b32_e32 v7, 0
	v_mov_b32_e32 v8, 0
	;; [unrolled: 1-line block ×3, first 2 shown]
	s_and_saveexec_b64 s[2:3], s[0:1]
	s_cbranch_execz .LBB99_51
; %bb.50:
	v_mov_b32_e32 v21, 0
	v_lshl_add_u64 v[6:7], s[4:5], 0, v[20:21]
	v_lshlrev_b32_e32 v8, 1, v18
	v_mov_b32_e32 v9, v21
	v_lshl_add_u64 v[6:7], v[6:7], 0, v[8:9]
	global_load_dwordx4 v[6:9], v[6:7], off
.LBB99_51:
	s_or_b64 exec, exec, s[2:3]
	v_mov_b32_e32 v17, 0
	v_mov_b32_e32 v10, 0
	;; [unrolled: 1-line block ×5, first 2 shown]
	s_and_saveexec_b64 s[2:3], vcc
	s_cbranch_execz .LBB99_53
; %bb.52:
	v_mov_b32_e32 v15, 0
	v_lshl_add_u64 v[10:11], s[4:5], 0, v[14:15]
	v_lshlrev_b32_e32 v14, 1, v18
	v_lshl_add_u64 v[10:11], v[10:11], 0, v[14:15]
	global_load_dwordx4 v[10:13], v[10:11], off offset:128
.LBB99_53:
	s_or_b64 exec, exec, s[2:3]
	v_mov_b32_e32 v16, 0
	v_mov_b32_e32 v15, 0
	;; [unrolled: 1-line block ×3, first 2 shown]
	s_and_saveexec_b64 s[2:3], s[0:1]
	s_cbranch_execz .LBB99_55
; %bb.54:
	v_mov_b32_e32 v21, 0
	v_lshl_add_u64 v[14:15], s[4:5], 0, v[20:21]
	v_lshlrev_b32_e32 v20, 1, v18
	v_lshl_add_u64 v[14:15], v[14:15], 0, v[20:21]
	global_load_dwordx4 v[14:17], v[14:15], off offset:128
.LBB99_55:
	s_or_b64 exec, exec, s[2:3]
	s_branch .LBB99_58
.LBB99_56:
                                        ; implicit-def: $vgpr5
                                        ; implicit-def: $vgpr9
                                        ; implicit-def: $vgpr13
                                        ; implicit-def: $vgpr17
	s_cbranch_execz .LBB99_58
; %bb.57:
	s_waitcnt vmcnt(0)
	v_lshlrev_b32_e32 v2, 1, v18
	v_lshl_or_b32 v18, v25, 9, v2
	s_and_b32 s5, s5, 0xffff
	s_mov_b32 s7, 0x20000
	s_movk_i32 s6, 0x4000
	s_movk_i32 s0, 0x80
	buffer_load_dwordx4 v[2:5], v18, s[4:7], 0 offen
	buffer_load_dwordx4 v[6:9], v18, s[4:7], 0 offen offset:256
	buffer_load_dwordx4 v[10:13], v18, s[4:7], s0 offen
	buffer_load_dwordx4 v[14:17], v18, s[4:7], s0 offen offset:256
.LBB99_58:
	ds_read_b64 v[20:21], v27 offset:57344
	v_add_u32_e32 v18, 0x6000, v26
	ds_read2_b64 v[36:39], v18 offset1:16
	ds_read_b64 v[52:53], v28 offset:57344
	ds_read_b64 v[28:29], v29 offset:57344
	;; [unrolled: 1-line block ×3, first 2 shown]
	ds_read2st64_b64 v[40:43], v26 offset0:52 offset1:56
	s_mov_b32 s0, 0x1000504
	s_mov_b32 s1, 0x3020706
	s_waitcnt lgkmcnt(4)
	v_mfma_f32_16x16x16_bf16 a[0:3], v[20:21], v[36:37], a[0:3]
	v_mfma_f32_16x16x16_bf16 a[4:7], v[20:21], v[38:39], a[4:7]
	ds_read2_b64 v[36:39], v18 offset0:32 offset1:48
	v_and_b32_e32 v18, 6, v0
	v_xor_b32_e32 v25, v25, v18
	s_waitcnt lgkmcnt(0)
	v_mfma_f32_16x16x16_bf16 a[8:11], v[20:21], v[36:37], a[8:11]
	v_lshlrev_b32_e32 v25, 2, v25
	v_and_b32_e32 v0, 1, v0
	v_cmp_eq_u32_e32 vcc, 0, v0
	v_mfma_f32_16x16x16_bf16 a[12:15], v[20:21], v[38:39], a[12:15]
	ds_read2st64_b64 v[36:39], v31 offset0:52 offset1:56
	ds_read2st64_b64 v[44:47], v32 offset0:52 offset1:56
	;; [unrolled: 1-line block ×3, first 2 shown]
	ds_read_b64 v[20:21], v26 offset:30720
	ds_read_b64 v[26:27], v31 offset:30720
	;; [unrolled: 1-line block ×4, first 2 shown]
	s_waitcnt lgkmcnt(6)
	v_mfma_f32_16x16x16_bf16 a[4:7], v[52:53], v[36:37], a[4:7]
	v_xor_b32_e32 v36, 0x440, v25
	v_cndmask_b32_e32 v0, v36, v25, vcc
	v_lshl_or_b32 v0, v18, 10, v0
	v_mfma_f32_16x16x16_bf16 a[0:3], v[52:53], v[40:41], a[0:3]
	s_waitcnt vmcnt(0)
	v_perm_b32 v18, v2, v6, s0
	v_perm_b32 v25, v10, v14, s0
	ds_write2st64_b32 v0, v18, v25 offset0:128 offset1:160
	s_waitcnt lgkmcnt(6)
	v_mfma_f32_16x16x16_bf16 a[8:11], v[52:53], v[44:45], a[8:11]
	v_xor_b32_e32 v18, 8, v0
	v_perm_b32 v2, v2, v6, s1
	v_perm_b32 v6, v10, v14, s1
	s_waitcnt lgkmcnt(5)
	v_mfma_f32_16x16x16_bf16 a[12:15], v[52:53], v[48:49], a[12:15]
	v_add_u32_e32 v10, 0x80, v18
	ds_write2st64_b32 v10, v2, v6 offset0:128 offset1:160
	v_xor_b32_e32 v2, 16, v0
	v_mfma_f32_16x16x16_bf16 a[0:3], v[28:29], v[42:43], a[0:3]
	v_perm_b32 v6, v3, v7, s0
	v_perm_b32 v10, v11, v15, s0
	ds_write2st64_b32 v2, v6, v10 offset0:129 offset1:161
	v_mfma_f32_16x16x16_bf16 a[4:7], v[28:29], v[38:39], a[4:7]
	v_xor_b32_e32 v2, 24, v0
	v_perm_b32 v3, v3, v7, s1
	v_perm_b32 v6, v11, v15, s1
	v_mfma_f32_16x16x16_bf16 a[16:19], v[28:29], v[46:47], a[8:11]
	v_add_u32_e32 v2, 0x80, v2
	ds_write2st64_b32 v2, v3, v6 offset0:129 offset1:161
	v_xor_b32_e32 v2, 32, v0
	v_mfma_f32_16x16x16_bf16 a[20:23], v[28:29], v[50:51], a[12:15]
	v_perm_b32 v3, v4, v8, s0
	v_perm_b32 v6, v12, v16, s0
	ds_write2st64_b32 v2, v3, v6 offset0:130 offset1:162
	s_waitcnt lgkmcnt(8)
	v_mfma_f32_16x16x16_bf16 a[12:15], v[54:55], v[20:21], a[0:3]
	v_xor_b32_e32 v2, 40, v0
	v_perm_b32 v3, v4, v8, s1
	v_perm_b32 v4, v12, v16, s1
	s_waitcnt lgkmcnt(7)
	v_mfma_f32_16x16x16_bf16 a[8:11], v[54:55], v[26:27], a[4:7]
	v_add_u32_e32 v2, 0x80, v2
	ds_write2st64_b32 v2, v3, v4 offset0:130 offset1:162
	v_xor_b32_e32 v2, 48, v0
	s_waitcnt lgkmcnt(7)
	v_mfma_f32_16x16x16_bf16 a[4:7], v[54:55], v[30:31], a[16:19]
	v_perm_b32 v3, v5, v9, s0
	v_perm_b32 v4, v13, v17, s0
	v_xor_b32_e32 v0, 56, v0
	s_waitcnt lgkmcnt(6)
	v_mfma_f32_16x16x16_bf16 a[0:3], v[54:55], v[32:33], a[20:23]
	v_and_or_b32 v21, v35, 12, v1
	ds_write2st64_b32 v2, v3, v4 offset0:131 offset1:163
	v_perm_b32 v2, v5, v9, s1
	v_perm_b32 v3, v13, v17, s1
	v_add_u32_e32 v0, 0x80, v0
	v_cmp_gt_i32_e32 vcc, s27, v21
	v_mov_b32_e32 v16, 0
	v_mov_b32_e32 v18, 0
	ds_write2st64_b32 v0, v2, v3 offset0:131 offset1:163
	s_and_saveexec_b64 s[0:1], vcc
	s_cbranch_execz .LBB99_60
; %bb.59:
	v_add_u32_e32 v0, s26, v21
	v_ashrrev_i32_e32 v1, 31, v0
	v_mul_lo_u32 v2, v1, s30
	v_mul_lo_u32 v3, v0, s31
	v_mad_u64_u32 v[0:1], s[2:3], v0, s30, 0
	v_add3_u32 v1, v1, v3, v2
	v_lshl_add_u64 v[0:1], v[0:1], 2, s[10:11]
	global_load_dword v0, v[0:1], off
	s_waitcnt vmcnt(0)
	v_sub_f32_e32 v0, s12, v0
	v_mul_f32_e32 v0, 0x3fb8aa3b, v0
	v_exp_f32_e32 v18, v0
.LBB99_60:
	s_or_b64 exec, exec, s[0:1]
	v_or_b32_e32 v10, 1, v21
	v_cmp_gt_i32_e64 s[0:1], s27, v10
	s_and_saveexec_b64 s[2:3], s[0:1]
	s_cbranch_execz .LBB99_62
; %bb.61:
	v_add_u32_e32 v0, s26, v10
	v_ashrrev_i32_e32 v1, 31, v0
	v_mul_lo_u32 v2, v1, s30
	v_mul_lo_u32 v3, v0, s31
	v_mad_u64_u32 v[0:1], s[4:5], v0, s30, 0
	v_add3_u32 v1, v1, v3, v2
	v_lshl_add_u64 v[0:1], v[0:1], 2, s[10:11]
	global_load_dword v0, v[0:1], off
	s_waitcnt vmcnt(0)
	v_sub_f32_e32 v0, s12, v0
	v_mul_f32_e32 v0, 0x3fb8aa3b, v0
	v_exp_f32_e32 v16, v0
.LBB99_62:
	s_or_b64 exec, exec, s[2:3]
	v_or_b32_e32 v12, 2, v21
	v_cmp_gt_i32_e64 s[2:3], s27, v12
	v_mov_b32_e32 v17, 0
	v_mov_b32_e32 v20, 0
	s_and_saveexec_b64 s[4:5], s[2:3]
	s_cbranch_execz .LBB99_64
; %bb.63:
	v_add_u32_e32 v0, s26, v12
	v_ashrrev_i32_e32 v1, 31, v0
	v_mul_lo_u32 v2, v1, s30
	v_mul_lo_u32 v3, v0, s31
	v_mad_u64_u32 v[0:1], s[6:7], v0, s30, 0
	v_add3_u32 v1, v1, v3, v2
	v_lshl_add_u64 v[0:1], v[0:1], 2, s[10:11]
	global_load_dword v0, v[0:1], off
	s_waitcnt vmcnt(0)
	v_sub_f32_e32 v0, s12, v0
	v_mul_f32_e32 v0, 0x3fb8aa3b, v0
	v_exp_f32_e32 v20, v0
.LBB99_64:
	s_or_b64 exec, exec, s[4:5]
	v_or_b32_e32 v14, 3, v21
	v_cmp_gt_i32_e64 s[4:5], s27, v14
	s_and_saveexec_b64 s[6:7], s[4:5]
	s_cbranch_execz .LBB99_66
; %bb.65:
	v_add_u32_e32 v0, s26, v14
	v_ashrrev_i32_e32 v1, 31, v0
	v_mul_lo_u32 v2, v1, s30
	v_mul_lo_u32 v3, v0, s31
	v_mad_u64_u32 v[0:1], s[14:15], v0, s30, 0
	v_add3_u32 v1, v1, v3, v2
	v_lshl_add_u64 v[0:1], v[0:1], 2, s[10:11]
	global_load_dword v0, v[0:1], off
	s_waitcnt vmcnt(0)
	v_sub_f32_e32 v0, s12, v0
	v_mul_f32_e32 v0, 0x3fb8aa3b, v0
	v_exp_f32_e32 v17, v0
.LBB99_66:
	s_or_b64 exec, exec, s[6:7]
	s_add_u32 s6, s8, s20
	s_addc_u32 s7, s9, s21
	s_add_u32 s8, s28, s20
	v_ashrrev_i32_e32 v35, 31, v34
	v_accvgpr_read_b32 v0, a12
	s_addc_u32 s9, s29, s21
	v_lshlrev_b64 v[4:5], 1, v[34:35]
	v_accvgpr_read_b32 v1, a13
	v_accvgpr_read_b32 v2, a14
	;; [unrolled: 1-line block ×3, first 2 shown]
	v_lshl_add_u64 v[6:7], s[6:7], 0, v[4:5]
	v_lshl_add_u64 v[4:5], s[8:9], 0, v[4:5]
	v_mov_b32_e32 v11, 0
	v_lshlrev_b32_e32 v8, 8, v21
	v_mov_b32_e32 v9, 0
	s_and_saveexec_b64 s[6:7], vcc
	s_cbranch_execz .LBB99_68
; %bb.67:
	v_mov_b32_e32 v9, 0
	v_lshl_add_u64 v[26:27], v[6:7], 0, v[8:9]
	global_load_ushort v13, v[26:27], off
	v_lshl_add_u64 v[26:27], v[4:5], 0, v[8:9]
	s_waitcnt vmcnt(0)
	v_lshlrev_b32_e32 v9, 16, v13
	v_sub_f32_e32 v0, v9, v0
	global_store_short_d16_hi v[26:27], v0, off
	v_mul_f32_e32 v0, v18, v0
	v_lshrrev_b32_e32 v9, 16, v0
.LBB99_68:
	s_or_b64 exec, exec, s[6:7]
	v_lshlrev_b32_e32 v10, 8, v10
	s_and_saveexec_b64 s[6:7], s[0:1]
	s_cbranch_execz .LBB99_70
; %bb.69:
	v_mov_b32_e32 v11, 0
	v_lshl_add_u64 v[26:27], v[6:7], 0, v[10:11]
	global_load_ushort v0, v[26:27], off
	v_lshl_add_u64 v[26:27], v[4:5], 0, v[10:11]
	s_waitcnt vmcnt(0)
	v_lshlrev_b32_e32 v0, 16, v0
	v_sub_f32_e32 v0, v0, v1
	global_store_short_d16_hi v[26:27], v0, off
	v_mul_f32_e32 v0, v16, v0
	v_lshrrev_b32_e32 v11, 16, v0
.LBB99_70:
	s_or_b64 exec, exec, s[6:7]
	v_mov_b32_e32 v15, 0
	v_lshlrev_b32_e32 v12, 8, v12
	v_mov_b32_e32 v13, 0
	s_and_saveexec_b64 s[6:7], s[2:3]
	s_cbranch_execz .LBB99_72
; %bb.71:
	v_mov_b32_e32 v13, 0
	v_lshl_add_u64 v[0:1], v[6:7], 0, v[12:13]
	global_load_ushort v25, v[0:1], off
	v_lshl_add_u64 v[0:1], v[4:5], 0, v[12:13]
	s_waitcnt vmcnt(0)
	v_lshlrev_b32_e32 v13, 16, v25
	v_sub_f32_e32 v2, v13, v2
	global_store_short_d16_hi v[0:1], v2, off
	v_mul_f32_e32 v0, v20, v2
	v_lshrrev_b32_e32 v13, 16, v0
.LBB99_72:
	s_or_b64 exec, exec, s[6:7]
	v_lshlrev_b32_e32 v14, 8, v14
	s_and_saveexec_b64 s[6:7], s[4:5]
	s_cbranch_execz .LBB99_74
; %bb.73:
	v_mov_b32_e32 v15, 0
	v_lshl_add_u64 v[0:1], v[6:7], 0, v[14:15]
	global_load_ushort v2, v[0:1], off
	v_lshl_add_u64 v[0:1], v[4:5], 0, v[14:15]
	s_waitcnt vmcnt(0)
	v_lshlrev_b32_e32 v2, 16, v2
	v_sub_f32_e32 v2, v2, v3
	global_store_short_d16_hi v[0:1], v2, off
	v_mul_f32_e32 v0, v17, v2
	v_lshrrev_b32_e32 v15, 16, v0
.LBB99_74:
	s_or_b64 exec, exec, s[6:7]
	v_lshlrev_b32_e32 v21, 6, v21
	s_mov_b32 s6, 0x5040100
	v_perm_b32 v26, v11, v9, s6
	v_or_b32_e32 v9, v21, v24
	v_accvgpr_read_b32 v0, a8
	v_perm_b32 v27, v15, v13, s6
	v_lshlrev_b32_e32 v9, 1, v9
	v_accvgpr_read_b32 v1, a9
	v_accvgpr_read_b32 v2, a10
	;; [unrolled: 1-line block ×3, first 2 shown]
	ds_write_b64 v9, v[26:27] offset:24576
	v_mov_b32_e32 v11, 0
	v_mov_b32_e32 v9, 0
	s_and_saveexec_b64 s[6:7], vcc
	s_cbranch_execz .LBB99_76
; %bb.75:
	v_mov_b32_e32 v9, 0
	v_lshl_add_u64 v[24:25], v[6:7], 0, v[8:9]
	global_load_ushort v13, v[24:25], off offset:32
	v_lshl_add_u64 v[24:25], v[4:5], 0, v[8:9]
	s_waitcnt vmcnt(0)
	v_lshlrev_b32_e32 v9, 16, v13
	v_sub_f32_e32 v0, v9, v0
	global_store_short_d16_hi v[24:25], v0, off offset:32
	v_mul_f32_e32 v0, v18, v0
	v_lshrrev_b32_e32 v9, 16, v0
.LBB99_76:
	s_or_b64 exec, exec, s[6:7]
	s_and_saveexec_b64 s[6:7], s[0:1]
	s_cbranch_execz .LBB99_78
; %bb.77:
	v_mov_b32_e32 v11, 0
	v_lshl_add_u64 v[24:25], v[6:7], 0, v[10:11]
	global_load_ushort v0, v[24:25], off offset:32
	v_lshl_add_u64 v[24:25], v[4:5], 0, v[10:11]
	s_waitcnt vmcnt(0)
	v_lshlrev_b32_e32 v0, 16, v0
	v_sub_f32_e32 v0, v0, v1
	global_store_short_d16_hi v[24:25], v0, off offset:32
	v_mul_f32_e32 v0, v16, v0
	v_lshrrev_b32_e32 v11, 16, v0
.LBB99_78:
	s_or_b64 exec, exec, s[6:7]
	v_mov_b32_e32 v15, 0
	v_mov_b32_e32 v13, 0
	s_and_saveexec_b64 s[6:7], s[2:3]
	s_cbranch_execz .LBB99_80
; %bb.79:
	v_mov_b32_e32 v13, 0
	v_lshl_add_u64 v[0:1], v[6:7], 0, v[12:13]
	global_load_ushort v24, v[0:1], off offset:32
	v_lshl_add_u64 v[0:1], v[4:5], 0, v[12:13]
	s_waitcnt vmcnt(0)
	v_lshlrev_b32_e32 v13, 16, v24
	v_sub_f32_e32 v2, v13, v2
	global_store_short_d16_hi v[0:1], v2, off offset:32
	v_mul_f32_e32 v0, v20, v2
	v_lshrrev_b32_e32 v13, 16, v0
.LBB99_80:
	s_or_b64 exec, exec, s[6:7]
	s_and_saveexec_b64 s[6:7], s[4:5]
	s_cbranch_execz .LBB99_82
; %bb.81:
	v_mov_b32_e32 v15, 0
	v_lshl_add_u64 v[0:1], v[6:7], 0, v[14:15]
	global_load_ushort v2, v[0:1], off offset:32
	v_lshl_add_u64 v[0:1], v[4:5], 0, v[14:15]
	s_waitcnt vmcnt(0)
	v_lshlrev_b32_e32 v2, 16, v2
	v_sub_f32_e32 v2, v2, v3
	global_store_short_d16_hi v[0:1], v2, off offset:32
	v_mul_f32_e32 v0, v17, v2
	v_lshrrev_b32_e32 v15, 16, v0
.LBB99_82:
	s_or_b64 exec, exec, s[6:7]
	s_mov_b32 s6, 0x5040100
	v_perm_b32 v24, v11, v9, s6
	v_or_b32_e32 v9, v21, v23
	v_accvgpr_read_b32 v0, a4
	v_perm_b32 v25, v15, v13, s6
	v_lshlrev_b32_e32 v9, 1, v9
	v_accvgpr_read_b32 v1, a5
	v_accvgpr_read_b32 v2, a6
	;; [unrolled: 1-line block ×3, first 2 shown]
	ds_write_b64 v9, v[24:25] offset:24576
	v_mov_b32_e32 v11, 0
	v_mov_b32_e32 v9, 0
	s_and_saveexec_b64 s[6:7], vcc
	s_cbranch_execz .LBB99_84
; %bb.83:
	v_mov_b32_e32 v9, 0
	v_lshl_add_u64 v[24:25], v[6:7], 0, v[8:9]
	global_load_ushort v13, v[24:25], off offset:64
	v_lshl_add_u64 v[24:25], v[4:5], 0, v[8:9]
	s_waitcnt vmcnt(0)
	v_lshlrev_b32_e32 v9, 16, v13
	v_sub_f32_e32 v0, v9, v0
	global_store_short_d16_hi v[24:25], v0, off offset:64
	v_mul_f32_e32 v0, v18, v0
	v_lshrrev_b32_e32 v9, 16, v0
.LBB99_84:
	s_or_b64 exec, exec, s[6:7]
	s_and_saveexec_b64 s[6:7], s[0:1]
	s_cbranch_execz .LBB99_86
; %bb.85:
	v_mov_b32_e32 v11, 0
	v_lshl_add_u64 v[24:25], v[6:7], 0, v[10:11]
	global_load_ushort v0, v[24:25], off offset:64
	v_lshl_add_u64 v[24:25], v[4:5], 0, v[10:11]
	s_waitcnt vmcnt(0)
	v_lshlrev_b32_e32 v0, 16, v0
	v_sub_f32_e32 v0, v0, v1
	global_store_short_d16_hi v[24:25], v0, off offset:64
	v_mul_f32_e32 v0, v16, v0
	v_lshrrev_b32_e32 v11, 16, v0
.LBB99_86:
	s_or_b64 exec, exec, s[6:7]
	v_mov_b32_e32 v15, 0
	v_mov_b32_e32 v13, 0
	s_and_saveexec_b64 s[6:7], s[2:3]
	s_cbranch_execz .LBB99_88
; %bb.87:
	v_mov_b32_e32 v13, 0
	v_lshl_add_u64 v[0:1], v[6:7], 0, v[12:13]
	global_load_ushort v23, v[0:1], off offset:64
	v_lshl_add_u64 v[0:1], v[4:5], 0, v[12:13]
	s_waitcnt vmcnt(0)
	v_lshlrev_b32_e32 v13, 16, v23
	v_sub_f32_e32 v2, v13, v2
	global_store_short_d16_hi v[0:1], v2, off offset:64
	v_mul_f32_e32 v0, v20, v2
	v_lshrrev_b32_e32 v13, 16, v0
.LBB99_88:
	s_or_b64 exec, exec, s[6:7]
	s_and_saveexec_b64 s[6:7], s[4:5]
	s_cbranch_execz .LBB99_90
; %bb.89:
	v_mov_b32_e32 v15, 0
	v_lshl_add_u64 v[0:1], v[6:7], 0, v[14:15]
	global_load_ushort v2, v[0:1], off offset:64
	v_lshl_add_u64 v[0:1], v[4:5], 0, v[14:15]
	s_waitcnt vmcnt(0)
	v_lshlrev_b32_e32 v2, 16, v2
	v_sub_f32_e32 v2, v2, v3
	global_store_short_d16_hi v[0:1], v2, off offset:64
	v_mul_f32_e32 v0, v17, v2
	v_lshrrev_b32_e32 v15, 16, v0
.LBB99_90:
	s_or_b64 exec, exec, s[6:7]
	s_mov_b32 s6, 0x5040100
	v_perm_b32 v24, v11, v9, s6
	v_or_b32_e32 v9, v21, v22
	v_accvgpr_read_b32 v0, a0
	v_perm_b32 v25, v15, v13, s6
	v_lshlrev_b32_e32 v9, 1, v9
	v_accvgpr_read_b32 v1, a1
	v_accvgpr_read_b32 v2, a2
	;; [unrolled: 1-line block ×3, first 2 shown]
	ds_write_b64 v9, v[24:25] offset:24576
	v_mov_b32_e32 v11, 0
	v_mov_b32_e32 v9, 0
	s_and_saveexec_b64 s[6:7], vcc
	s_cbranch_execz .LBB99_92
; %bb.91:
	v_mov_b32_e32 v9, 0
	v_lshl_add_u64 v[22:23], v[6:7], 0, v[8:9]
	global_load_ushort v13, v[22:23], off offset:96
	v_lshl_add_u64 v[8:9], v[4:5], 0, v[8:9]
	s_waitcnt vmcnt(0)
	v_lshlrev_b32_e32 v13, 16, v13
	v_sub_f32_e32 v0, v13, v0
	global_store_short_d16_hi v[8:9], v0, off offset:96
	v_mul_f32_e32 v0, v18, v0
	v_lshrrev_b32_e32 v9, 16, v0
.LBB99_92:
	s_or_b64 exec, exec, s[6:7]
	s_and_saveexec_b64 s[6:7], s[0:1]
	s_cbranch_execz .LBB99_94
; %bb.93:
	v_mov_b32_e32 v11, 0
	v_lshl_add_u64 v[22:23], v[6:7], 0, v[10:11]
	global_load_ushort v0, v[22:23], off offset:96
	v_lshl_add_u64 v[10:11], v[4:5], 0, v[10:11]
	s_waitcnt vmcnt(0)
	v_lshlrev_b32_e32 v0, 16, v0
	v_sub_f32_e32 v0, v0, v1
	global_store_short_d16_hi v[10:11], v0, off offset:96
	v_mul_f32_e32 v0, v16, v0
	v_lshrrev_b32_e32 v11, 16, v0
.LBB99_94:
	s_or_b64 exec, exec, s[6:7]
	v_mov_b32_e32 v0, 0
	v_mov_b32_e32 v1, 0
	s_and_saveexec_b64 s[0:1], s[2:3]
	s_cbranch_execz .LBB99_96
; %bb.95:
	v_mov_b32_e32 v13, 0
	v_lshl_add_u64 v[22:23], v[6:7], 0, v[12:13]
	global_load_ushort v1, v[22:23], off offset:96
	v_lshl_add_u64 v[12:13], v[4:5], 0, v[12:13]
	s_waitcnt vmcnt(0)
	v_lshlrev_b32_e32 v1, 16, v1
	v_sub_f32_e32 v1, v1, v2
	global_store_short_d16_hi v[12:13], v1, off offset:96
	v_mul_f32_e32 v1, v20, v1
	v_lshrrev_b32_e32 v1, 16, v1
.LBB99_96:
	s_or_b64 exec, exec, s[0:1]
	s_and_saveexec_b64 s[0:1], s[4:5]
	s_cbranch_execz .LBB99_98
; %bb.97:
	v_mov_b32_e32 v15, 0
	v_lshl_add_u64 v[6:7], v[6:7], 0, v[14:15]
	global_load_ushort v0, v[6:7], off offset:96
	v_lshl_add_u64 v[4:5], v[4:5], 0, v[14:15]
	s_waitcnt vmcnt(0)
	v_lshlrev_b32_e32 v0, 16, v0
	v_sub_f32_e32 v0, v0, v3
	global_store_short_d16_hi v[4:5], v0, off offset:96
	v_mul_f32_e32 v0, v17, v0
	v_lshrrev_b32_e32 v0, 16, v0
.LBB99_98:
	s_or_b64 exec, exec, s[0:1]
	s_mov_b32 s0, 0x5040100
	v_or_b32_e32 v2, v21, v19
	v_perm_b32 v1, v0, v1, s0
	v_perm_b32 v0, v11, v9, s0
	v_lshlrev_b32_e32 v2, 1, v2
	ds_write_b64 v2, v[0:1] offset:24576
	s_waitcnt lgkmcnt(0)
	s_barrier
.LBB99_99:
	s_endpgm
	.section	.rodata,"a",@progbits
	.p2align	6, 0x0
	.amdhsa_kernel _ZN12_GLOBAL__N_139chunk_gated_delta_rule_fwd_h_hip_kernelILi64ELb1ELb0ELb1ELb1ELb0ELb0ELb1ELb1EEEvPK12hip_bfloat16S3_S3_PKfS5_PKvPS1_S8_PvPKiSB_iiiiilll
		.amdhsa_group_segment_fixed_size 65536
		.amdhsa_private_segment_fixed_size 0
		.amdhsa_kernarg_size 136
		.amdhsa_user_sgpr_count 2
		.amdhsa_user_sgpr_dispatch_ptr 0
		.amdhsa_user_sgpr_queue_ptr 0
		.amdhsa_user_sgpr_kernarg_segment_ptr 1
		.amdhsa_user_sgpr_dispatch_id 0
		.amdhsa_user_sgpr_kernarg_preload_length 0
		.amdhsa_user_sgpr_kernarg_preload_offset 0
		.amdhsa_user_sgpr_private_segment_size 0
		.amdhsa_uses_dynamic_stack 0
		.amdhsa_enable_private_segment 0
		.amdhsa_system_sgpr_workgroup_id_x 1
		.amdhsa_system_sgpr_workgroup_id_y 1
		.amdhsa_system_sgpr_workgroup_id_z 0
		.amdhsa_system_sgpr_workgroup_info 0
		.amdhsa_system_vgpr_workitem_id 0
		.amdhsa_next_free_vgpr 216
		.amdhsa_next_free_sgpr 63
		.amdhsa_accum_offset 180
		.amdhsa_reserve_vcc 1
		.amdhsa_float_round_mode_32 0
		.amdhsa_float_round_mode_16_64 0
		.amdhsa_float_denorm_mode_32 3
		.amdhsa_float_denorm_mode_16_64 3
		.amdhsa_dx10_clamp 1
		.amdhsa_ieee_mode 1
		.amdhsa_fp16_overflow 0
		.amdhsa_tg_split 0
		.amdhsa_exception_fp_ieee_invalid_op 0
		.amdhsa_exception_fp_denorm_src 0
		.amdhsa_exception_fp_ieee_div_zero 0
		.amdhsa_exception_fp_ieee_overflow 0
		.amdhsa_exception_fp_ieee_underflow 0
		.amdhsa_exception_fp_ieee_inexact 0
		.amdhsa_exception_int_div_zero 0
	.end_amdhsa_kernel
	.section	.text._ZN12_GLOBAL__N_139chunk_gated_delta_rule_fwd_h_hip_kernelILi64ELb1ELb0ELb1ELb1ELb0ELb0ELb1ELb1EEEvPK12hip_bfloat16S3_S3_PKfS5_PKvPS1_S8_PvPKiSB_iiiiilll,"axG",@progbits,_ZN12_GLOBAL__N_139chunk_gated_delta_rule_fwd_h_hip_kernelILi64ELb1ELb0ELb1ELb1ELb0ELb0ELb1ELb1EEEvPK12hip_bfloat16S3_S3_PKfS5_PKvPS1_S8_PvPKiSB_iiiiilll,comdat
.Lfunc_end99:
	.size	_ZN12_GLOBAL__N_139chunk_gated_delta_rule_fwd_h_hip_kernelILi64ELb1ELb0ELb1ELb1ELb0ELb0ELb1ELb1EEEvPK12hip_bfloat16S3_S3_PKfS5_PKvPS1_S8_PvPKiSB_iiiiilll, .Lfunc_end99-_ZN12_GLOBAL__N_139chunk_gated_delta_rule_fwd_h_hip_kernelILi64ELb1ELb0ELb1ELb1ELb0ELb0ELb1ELb1EEEvPK12hip_bfloat16S3_S3_PKfS5_PKvPS1_S8_PvPKiSB_iiiiilll
                                        ; -- End function
	.section	.AMDGPU.csdata,"",@progbits
; Kernel info:
; codeLenInByte = 11336
; NumSgprs: 69
; NumVgprs: 180
; NumAgprs: 36
; TotalNumVgprs: 216
; ScratchSize: 0
; MemoryBound: 0
; FloatMode: 240
; IeeeMode: 1
; LDSByteSize: 65536 bytes/workgroup (compile time only)
; SGPRBlocks: 8
; VGPRBlocks: 26
; NumSGPRsForWavesPerEU: 69
; NumVGPRsForWavesPerEU: 216
; AccumOffset: 180
; Occupancy: 1
; WaveLimiterHint : 1
; COMPUTE_PGM_RSRC2:SCRATCH_EN: 0
; COMPUTE_PGM_RSRC2:USER_SGPR: 2
; COMPUTE_PGM_RSRC2:TRAP_HANDLER: 0
; COMPUTE_PGM_RSRC2:TGID_X_EN: 1
; COMPUTE_PGM_RSRC2:TGID_Y_EN: 1
; COMPUTE_PGM_RSRC2:TGID_Z_EN: 0
; COMPUTE_PGM_RSRC2:TIDIG_COMP_CNT: 0
; COMPUTE_PGM_RSRC3_GFX90A:ACCUM_OFFSET: 44
; COMPUTE_PGM_RSRC3_GFX90A:TG_SPLIT: 0
	.section	.text._ZN12_GLOBAL__N_139chunk_gated_delta_rule_fwd_h_hip_kernelILi64ELb1ELb0ELb0ELb1ELb0ELb0ELb1ELb1EEEvPK12hip_bfloat16S3_S3_PKfS5_PKvPS1_S8_PvPKiSB_iiiiilll,"axG",@progbits,_ZN12_GLOBAL__N_139chunk_gated_delta_rule_fwd_h_hip_kernelILi64ELb1ELb0ELb0ELb1ELb0ELb0ELb1ELb1EEEvPK12hip_bfloat16S3_S3_PKfS5_PKvPS1_S8_PvPKiSB_iiiiilll,comdat
	.globl	_ZN12_GLOBAL__N_139chunk_gated_delta_rule_fwd_h_hip_kernelILi64ELb1ELb0ELb0ELb1ELb0ELb0ELb1ELb1EEEvPK12hip_bfloat16S3_S3_PKfS5_PKvPS1_S8_PvPKiSB_iiiiilll ; -- Begin function _ZN12_GLOBAL__N_139chunk_gated_delta_rule_fwd_h_hip_kernelILi64ELb1ELb0ELb0ELb1ELb0ELb0ELb1ELb1EEEvPK12hip_bfloat16S3_S3_PKfS5_PKvPS1_S8_PvPKiSB_iiiiilll
	.p2align	8
	.type	_ZN12_GLOBAL__N_139chunk_gated_delta_rule_fwd_h_hip_kernelILi64ELb1ELb0ELb0ELb1ELb0ELb0ELb1ELb1EEEvPK12hip_bfloat16S3_S3_PKfS5_PKvPS1_S8_PvPKiSB_iiiiilll,@function
_ZN12_GLOBAL__N_139chunk_gated_delta_rule_fwd_h_hip_kernelILi64ELb1ELb0ELb0ELb1ELb0ELb0ELb1ELb1EEEvPK12hip_bfloat16S3_S3_PKfS5_PKvPS1_S8_PvPKiSB_iiiiilll: ; @_ZN12_GLOBAL__N_139chunk_gated_delta_rule_fwd_h_hip_kernelILi64ELb1ELb0ELb0ELb1ELb0ELb0ELb1ELb1EEEvPK12hip_bfloat16S3_S3_PKfS5_PKvPS1_S8_PvPKiSB_iiiiilll
; %bb.0:
	s_load_dwordx4 s[12:15], s[0:1], 0x5c
	s_load_dwordx4 s[20:23], s[0:1], 0x70
	s_abs_i32 s9, s3
	s_ashr_i32 s8, s3, 31
	s_load_dwordx4 s[4:7], s[0:1], 0x48
	s_waitcnt lgkmcnt(0)
	s_abs_i32 s10, s13
	v_cvt_f32_u32_e32 v1, s10
	s_sub_i32 s16, 0, s10
	s_ashr_i32 s11, s13, 31
	s_xor_b32 s8, s8, s11
	v_rcp_iflag_f32_e32 v1, v1
	v_and_b32_e32 v77, 15, v0
	v_lshrrev_b32_e32 v75, 6, v0
	v_bfe_u32 v76, v0, 4, 2
	v_mul_f32_e32 v1, 0x4f7ffffe, v1
	v_cvt_u32_f32_e32 v1, v1
	v_mov_b32_e32 v7, 0
	v_and_b32_e32 v74, 63, v0
	v_lshlrev_b32_e32 v78, 3, v0
	v_readfirstlane_b32 s17, v1
	s_mul_i32 s16, s16, s17
	s_mul_hi_u32 s16, s17, s16
	s_add_i32 s17, s17, s16
	s_mul_hi_u32 s16, s9, s17
	s_mul_i32 s17, s16, s10
	s_sub_i32 s9, s9, s17
	s_add_i32 s18, s16, 1
	s_sub_i32 s17, s9, s10
	s_cmp_ge_u32 s9, s10
	s_cselect_b32 s16, s18, s16
	s_cselect_b32 s9, s17, s9
	s_add_i32 s17, s16, 1
	s_cmp_ge_u32 s9, s10
	s_cselect_b32 s9, s17, s16
	s_load_dwordx4 s[16:19], s[0:1], 0x28
	s_xor_b32 s9, s9, s8
	s_sub_i32 s24, s9, s8
	s_mul_i32 s28, s24, s13
	s_ashr_i32 s25, s24, 31
	s_sub_i32 s45, s3, s28
	s_lshl_b64 s[8:9], s[24:25], 2
	s_add_u32 s4, s4, s8
	s_addc_u32 s5, s5, s9
	s_add_u32 s26, s6, s8
	s_addc_u32 s27, s7, s9
	s_abs_i32 s3, s14
	v_cvt_f32_u32_e32 v1, s3
	s_load_dwordx2 s[30:31], s[4:5], 0x0
	s_sub_i32 s5, 0, s3
	s_lshl_b32 s2, s2, 6
	v_rcp_iflag_f32_e32 v1, v1
	v_or_b32_e32 v34, s2, v77
	s_waitcnt lgkmcnt(0)
	s_sub_i32 s48, s31, s30
	s_ashr_i32 s4, s48, 31
	v_mul_f32_e32 v1, 0x4f7ffffe, v1
	v_cvt_u32_f32_e32 v1, v1
	s_lshr_b32 s4, s4, 26
	s_add_i32 s4, s48, s4
	s_ashr_i32 s47, s4, 6
	v_readfirstlane_b32 s6, v1
	s_mul_i32 s5, s5, s6
	s_mul_hi_u32 s5, s6, s5
	s_add_i32 s6, s6, s5
	s_mul_hi_u32 s5, s10, s6
	s_mul_i32 s6, s5, s3
	s_ashr_i32 s4, s14, 31
	s_sub_i32 s6, s10, s6
	s_xor_b32 s4, s11, s4
	s_add_i32 s7, s5, 1
	s_sub_i32 s8, s6, s3
	s_cmp_ge_u32 s6, s3
	s_cselect_b32 s5, s7, s5
	s_cselect_b32 s6, s8, s6
	s_add_i32 s7, s5, 1
	s_cmp_ge_u32 s6, s3
	s_cselect_b32 s3, s7, s5
	s_xor_b32 s3, s3, s4
	s_sub_i32 s3, s3, s4
	s_abs_i32 s4, s3
	v_cvt_f32_u32_e32 v1, s4
	s_sub_i32 s6, 0, s4
	s_abs_i32 s5, s45
	s_xor_b32 s3, s45, s3
	v_rcp_iflag_f32_e32 v1, v1
	s_ashr_i32 s3, s3, 31
	v_lshlrev_b32_e32 v2, 7, v34
	v_or_b32_e32 v10, 0x800, v2
	v_mul_f32_e32 v1, 0x4f7ffffe, v1
	v_cvt_u32_f32_e32 v1, v1
	v_ashrrev_i32_e32 v3, 31, v2
	v_ashrrev_i32_e32 v11, 31, v10
	v_lshrrev_b32_e32 v79, 3, v74
	v_readfirstlane_b32 s7, v1
	s_mul_i32 s6, s6, s7
	s_mul_hi_u32 s6, s7, s6
	s_add_i32 s7, s7, s6
	s_mul_hi_u32 s6, s5, s7
	s_mul_i32 s7, s6, s4
	s_sub_i32 s5, s5, s7
	s_add_i32 s7, s6, 1
	s_sub_i32 s8, s5, s4
	s_cmp_ge_u32 s5, s4
	s_cselect_b32 s6, s7, s6
	s_cselect_b32 s5, s8, s5
	s_add_i32 s7, s6, 1
	s_cmp_ge_u32 s5, s4
	s_cselect_b32 s4, s7, s6
	s_xor_b32 s4, s4, s3
	s_sub_i32 s49, s4, s3
	s_ashr_i32 s46, s45, 31
	s_mul_hi_i32 s3, s24, s13
	s_add_u32 s4, s28, s45
	s_addc_u32 s5, s3, s46
	s_lshl_b64 s[4:5], s[4:5], 15
	v_lshlrev_b32_e32 v1, 4, v75
	s_add_u32 s4, s16, s4
	v_lshl_or_b32 v80, v76, 2, v1
	s_addc_u32 s5, s17, s5
	v_lshl_add_u64 v[4:5], v[2:3], 1, s[4:5]
	v_lshlrev_b32_e32 v6, 1, v80
	v_lshl_add_u64 v[10:11], v[10:11], 1, s[4:5]
	v_lshl_add_u64 v[4:5], v[4:5], 0, v[6:7]
	;; [unrolled: 1-line block ×3, first 2 shown]
	global_load_dwordx2 v[8:9], v[4:5], off
	v_or_b32_e32 v81, 64, v80
	global_load_dwordx2 v[4:5], v[4:5], off offset:128
	s_nop 0
	global_load_dwordx2 v[12:13], v[10:11], off
	global_load_dwordx2 v[14:15], v[10:11], off offset:128
	v_or_b32_e32 v10, 0x1000, v2
	v_or_b32_e32 v2, 0x1800, v2
	v_ashrrev_i32_e32 v11, 31, v10
	v_ashrrev_i32_e32 v3, 31, v2
	v_lshl_add_u64 v[10:11], v[10:11], 1, s[4:5]
	v_lshl_add_u64 v[2:3], v[2:3], 1, s[4:5]
	;; [unrolled: 1-line block ×4, first 2 shown]
	global_load_dwordx2 v[16:17], v[10:11], off
	s_mul_i32 s33, s24, s21
	global_load_dwordx2 v[10:11], v[10:11], off offset:128
	s_nop 0
	global_load_dwordx2 v[6:7], v[2:3], off
	global_load_dwordx2 v[18:19], v[2:3], off offset:128
	s_load_dwordx8 s[4:11], s[0:1], 0x0
	s_load_dwordx2 s[28:29], s[0:1], 0x80
	s_load_dword s52, s[26:27], 0x0
	s_mul_hi_u32 s41, s24, s20
	s_mul_i32 s40, s25, s20
	s_mul_hi_i32 s50, s45, s12
	s_mul_i32 s51, s45, s12
	s_cmp_lt_i32 s48, 64
	s_mul_i32 s36, s24, s20
	s_mul_i32 s42, s45, s23
	s_mul_hi_u32 s43, s45, s22
	s_mul_i32 s44, s46, s22
	s_mul_i32 s34, s45, s22
	s_waitcnt vmcnt(7)
	v_and_b32_e32 v63, 0xffff0000, v8
	v_lshlrev_b32_e32 v62, 16, v8
	v_and_b32_e32 v67, 0xffff0000, v9
	v_lshlrev_b32_e32 v66, 16, v9
	s_waitcnt vmcnt(6)
	v_and_b32_e32 v61, 0xffff0000, v4
	v_lshlrev_b32_e32 v60, 16, v4
	v_and_b32_e32 v65, 0xffff0000, v5
	v_lshlrev_b32_e32 v64, 16, v5
	;; [unrolled: 5-line block ×8, first 2 shown]
	s_cbranch_scc1 .LBB100_18
; %bb.1:
	s_ashr_i32 s1, s30, 31
	s_add_u32 s0, s51, s30
	s_addc_u32 s1, s50, s1
	s_lshl_b64 s[0:1], s[0:1], 8
	v_and_b32_e32 v83, 56, v78
	s_waitcnt lgkmcnt(0)
	s_add_u32 s20, s6, s0
	v_lshl_or_b32 v82, v75, 3, v79
	v_lshlrev_b32_e32 v2, 1, v83
	s_addc_u32 s0, s7, s1
	v_lshl_or_b32 v84, v82, 8, v2
	s_and_b32 s21, s0, 0xffff
	s_mov_b32 s23, 0x20000
	s_movk_i32 s22, 0x4000
	s_movk_i32 s0, 0x80
	v_or_b32_e32 v85, 0x2000, v84
	buffer_load_dwordx4 v[4:7], v84, s[20:23], 0 offen
	buffer_load_dwordx4 v[8:11], v84, s[20:23], s0 offen
	;; [unrolled: 1-line block ×4, first 2 shown]
	v_lshlrev_b32_e32 v3, 3, v82
	v_and_or_b32 v21, v0, 7, v3
	v_and_b32_e32 v3, 0x78, v3
	v_lshlrev_b32_e32 v21, 4, v21
	v_xor_b32_e32 v86, v21, v3
	v_mul_lo_u32 v20, v82, s15
	v_or_b32_e32 v87, 0x1000, v86
	v_xor_b32_e32 v3, 8, v86
	s_cmpk_eq_i32 s15, 0x80
	s_mov_b32 s53, s30
	v_xor_b32_e32 v21, 8, v87
	s_cselect_b64 s[0:1], -1, 0
	s_cmpk_lg_i32 s15, 0x80
	s_waitcnt vmcnt(3)
	ds_write_b64 v86, v[4:5] offset:49152
	ds_write_b64 v3, v[6:7] offset:49152
	s_waitcnt vmcnt(2)
	ds_write_b64 v86, v[8:9] offset:57344
	ds_write_b64 v3, v[10:11] offset:57344
	;; [unrolled: 3-line block ×4, first 2 shown]
	v_lshl_add_u32 v3, v20, 1, v83
	s_cbranch_scc0 .LBB100_3
; %bb.2:
	v_lshlrev_b32_e32 v5, 1, v3
	v_add_lshl_u32 v4, v3, s15, 1
	s_lshl_b32 s22, s15, 7
	v_lshl_or_b32 v2, v82, 9, v2
	s_cbranch_execz .LBB100_4
	s_branch .LBB100_5
.LBB100_3:
                                        ; implicit-def: $vgpr4
                                        ; implicit-def: $vgpr5
                                        ; implicit-def: $sgpr22
	v_lshl_or_b32 v2, v82, 9, v2
.LBB100_4:
	v_or_b32_e32 v4, 0x100, v2
	s_movk_i32 s22, 0x4000
	v_mov_b32_e32 v5, v2
.LBB100_5:
	s_mul_i32 s16, s30, s14
	s_ashr_i32 s54, s49, 31
	s_mul_hi_i32 s3, s30, s14
	s_add_u32 s16, s16, s49
	s_addc_u32 s17, s3, s54
	s_lshl_b64 s[16:17], s[16:17], 8
	s_add_u32 s20, s4, s16
	s_addc_u32 s3, s5, s17
	s_and_b32 s21, s3, 0xffff
	s_movk_i32 s55, 0x80
	buffer_load_dwordx4 v[6:9], v5, s[20:23], 0 offen
	buffer_load_dwordx4 v[10:13], v5, s[20:23], s55 offen
	;; [unrolled: 1-line block ×4, first 2 shown]
	v_and_b32_e32 v5, 6, v0
	v_lshlrev_b32_e32 v4, 7, v80
	v_xor_b32_e32 v27, v82, v5
	v_and_b32_e32 v22, 1, v0
	v_lshl_or_b32 v30, v77, 3, v4
	v_lshlrev_b32_e32 v27, 2, v27
	v_lshlrev_b32_e32 v23, 2, v77
	v_or_b32_e32 v88, 0x4000, v30
	v_or_b32_e32 v89, 0x6000, v30
	v_xor_b32_e32 v30, 0x440, v27
	v_cmp_eq_u32_e32 vcc, 0, v22
	v_or_b32_e32 v25, 16, v77
	v_or_b32_e32 v26, 32, v77
	v_xor_b32_e32 v28, v80, v23
	v_xor_b32_e32 v29, v81, v23
	v_cndmask_b32_e32 v22, v30, v27, vcc
	s_mov_b32 s56, 0x1000504
	v_lshl_or_b32 v31, v25, 3, v4
	v_lshlrev_b32_e32 v25, 8, v25
	v_lshl_or_b32 v32, v26, 3, v4
	v_lshlrev_b32_e32 v28, 1, v28
	v_lshlrev_b32_e32 v29, 1, v29
	v_lshl_or_b32 v5, v5, 10, v22
	s_add_i32 s3, s41, s33
	s_mov_b32 s57, 0x3020706
	v_lshlrev_b32_e32 v24, 8, v77
	v_or_b32_e32 v92, 0x4000, v32
	v_or_b32_e32 v93, 0x6000, v32
	;; [unrolled: 1-line block ×4, first 2 shown]
	v_xor_b32_e32 v22, 8, v5
	v_xor_b32_e32 v25, 24, v5
	;; [unrolled: 1-line block ×4, first 2 shown]
	s_add_i32 s37, s3, s40
	s_add_i32 s3, s43, s42
	v_or_b32_e32 v90, 0x4000, v31
	v_or_b32_e32 v91, 0x6000, v31
	;; [unrolled: 1-line block ×4, first 2 shown]
	v_xor_b32_e32 v24, 16, v5
	v_xor_b32_e32 v27, 32, v5
	;; [unrolled: 1-line block ×3, first 2 shown]
	v_add_u32_e32 v22, 0x80, v22
	v_add_u32_e32 v25, 0x80, v25
	;; [unrolled: 1-line block ×4, first 2 shown]
	s_add_i32 s35, s3, s44
	s_lshl_b64 s[16:17], s[36:37], 2
	s_add_u32 s3, s10, s16
	s_addc_u32 s20, s11, s17
	s_lshl_b64 s[16:17], s[34:35], 2
	s_add_u32 s16, s3, s16
	s_movk_i32 s3, 0xf8
	s_addc_u32 s17, s20, s17
	s_lshl_b32 s26, s15, 7
	s_movk_i32 s24, 0x100
	v_mov_b32_e32 v69, 0
	v_lshlrev_b32_e32 v68, 4, v77
	v_cmp_gt_u32_e32 vcc, s24, v0
	v_lshlrev_b32_e32 v26, 8, v26
	s_mov_b32 s58, 0
	s_movk_i32 s22, 0x4000
	v_or_b32_e32 v98, v26, v28
	v_or_b32_e32 v99, v26, v29
	s_movk_i32 s35, 0x2000
	s_movk_i32 s37, 0x3000
	v_mov_b32_e32 v131, 0x3fb8aa3b
	s_waitcnt vmcnt(1)
	v_perm_b32 v33, v6, v14, s56
	s_waitcnt vmcnt(0)
	v_perm_b32 v35, v10, v18, s56
	v_perm_b32 v6, v6, v14, s57
	;; [unrolled: 1-line block ×15, first 2 shown]
	ds_write2st64_b32 v5, v33, v35 offset0:128 offset1:160
	ds_write2st64_b32 v22, v6, v10 offset0:128 offset1:160
	;; [unrolled: 1-line block ×8, first 2 shown]
	v_or_b32_e32 v5, 48, v77
	v_lshl_or_b32 v6, v5, 3, v4
	v_lshlrev_b32_e32 v5, 8, v5
	v_or_b32_e32 v102, v5, v28
	v_or_b32_e32 v103, v5, v29
	;; [unrolled: 1-line block ×3, first 2 shown]
	v_lshlrev_b32_e32 v5, 3, v5
	v_lshrrev_b32_e32 v7, 5, v74
	v_and_or_b32 v7, v5, s3, v7
	v_lshlrev_b32_e32 v7, 4, v7
	v_lshlrev_b32_e32 v8, 11, v75
	v_and_b32_e32 v5, 0x78, v5
	v_or_b32_e32 v13, 32, v7
	v_or_b32_e32 v100, 0x4000, v6
	;; [unrolled: 1-line block ×3, first 2 shown]
	v_and_b32_e32 v6, 0x1000, v8
	v_xor_b32_e32 v9, v7, v5
	v_lshrrev_b32_e32 v10, 1, v0
	v_xor_b32_e32 v13, v13, v5
	v_or_b32_e32 v9, v9, v6
	v_and_b32_e32 v11, 8, v10
	v_or_b32_e32 v13, v13, v6
	v_xor_b32_e32 v104, v9, v11
	v_lshlrev_b32_e32 v9, 8, v76
	v_xor_b32_e32 v106, v13, v11
	v_or_b32_e32 v13, 64, v7
	v_or_b32_e32 v7, 0x60, v7
	s_ashr_i32 s3, s2, 31
	v_or_b32_e32 v12, v9, v23
	v_xor_b32_e32 v13, v13, v5
	v_xor_b32_e32 v5, v7, v5
	s_lshl_b64 s[20:21], s[2:3], 8
	v_lshlrev_b32_e32 v12, 1, v12
	v_or_b32_e32 v13, v13, v6
	v_or_b32_e32 v5, v5, v6
	s_add_u32 s20, s18, s20
	v_lshlrev_b32_e32 v6, 1, v77
	v_or_b32_e32 v105, 0x4000, v12
	v_or_b32_e32 v107, 0x4080, v12
	;; [unrolled: 1-line block ×8, first 2 shown]
	v_lshrrev_b32_e32 v12, 4, v0
	s_addc_u32 s21, s19, s21
	v_or_b32_e32 v7, 1, v6
	v_mov_b32_e32 v16, 0xa000
	v_mov_b32_e32 v17, 0x8000
	v_xor_b32_e32 v110, v13, v11
	v_xor_b32_e32 v13, v12, v6
	;; [unrolled: 1-line block ×3, first 2 shown]
	v_lshl_add_u64 v[6:7], s[20:21], 0, v[68:69]
	v_lshlrev_b32_e32 v68, 8, v12
	v_cndmask_b32_e32 v16, v16, v17, vcc
	v_lshlrev_b32_e32 v17, 3, v75
	v_and_b32_e32 v10, 24, v10
	v_lshl_or_b32 v116, v13, 3, v68
	v_and_b32_e32 v13, 8, v0
	v_xor_b32_e32 v18, v17, v10
	v_or_b32_e32 v19, 0x440, v18
	v_cmp_eq_u32_e32 vcc, 0, v13
	v_and_b32_e32 v12, 7, v0
	v_lshl_or_b32 v117, v14, 3, v68
	v_cndmask_b32_e32 v13, v19, v18, vcc
	v_lshlrev_b32_e32 v14, 3, v12
	v_lshlrev_b32_e32 v12, 7, v12
	v_or_b32_e32 v13, v13, v8
	v_lshlrev_b32_e32 v15, 2, v0
	v_xad_u32 v118, v13, v14, v12
	v_or_b32_e32 v13, 32, v10
	v_and_or_b32 v9, v15, 60, v9
	v_xor_b32_e32 v13, v17, v13
	v_lshlrev_b32_e32 v9, 1, v9
	v_or_b32_e32 v15, 0x440, v13
	v_or_b32_e32 v119, 0x6000, v9
	v_cndmask_b32_e32 v13, v15, v13, vcc
	v_or_b32_e32 v121, 0x6080, v9
	v_or_b32_e32 v122, 0x6100, v9
	;; [unrolled: 1-line block ×5, first 2 shown]
	v_xor_b32_e32 v9, v17, v9
	v_xad_u32 v120, v13, v14, v12
	v_xor_b32_e32 v13, 0x440, v9
	v_cndmask_b32_e32 v9, v13, v9, vcc
	v_or_b32_e32 v9, v9, v8
	v_xad_u32 v124, v9, v14, v12
	v_or_b32_e32 v9, 0x60, v10
	v_xor_b32_e32 v9, v17, v9
	v_xor_b32_e32 v10, 0x440, v9
	v_cndmask_b32_e32 v9, v10, v9, vcc
	v_or_b32_e32 v8, v9, v8
	v_xor_b32_e32 v111, v5, v11
	v_ashrrev_i32_e32 v35, 31, v34
	v_lshlrev_b32_e32 v5, 1, v3
	v_add_lshl_u32 v3, v3, s15, 1
	v_or_b32_e32 v11, 0x100, v2
	v_xad_u32 v125, v8, v14, v12
	v_cndmask_b32_e64 v126, v5, v2, s[0:1]
	v_cndmask_b32_e64 v127, v3, v11, s[0:1]
	v_lshl_add_u64 v[70:71], v[34:35], 1, s[8:9]
	v_lshl_add_u64 v[72:73], v[6:7], 0, v[68:69]
	s_mov_b32 s3, 0x7060302
	v_lshlrev_b32_e32 v68, 1, v4
	v_add_u32_e32 v35, v16, v118
	v_add_u32_e32 v128, v16, v120
	;; [unrolled: 1-line block ×4, first 2 shown]
	s_waitcnt lgkmcnt(0)
	s_barrier
.LBB100_6:                              ; =>This Inner Loop Header: Depth=1
	s_add_i32 s59, s58, 1
	s_cmp_lt_i32 s59, s47
	s_mov_b64 s[24:25], 0
	s_cselect_b64 s[38:39], -1, 0
	s_cmp_ge_i32 s59, s47
	s_mov_b64 s[20:21], 0
	s_cbranch_scc1 .LBB100_8
; %bb.7:                                ;   in Loop: Header=BB100_6 Depth=1
	s_add_i32 s0, s53, 64
	s_ashr_i32 s1, s0, 31
	s_add_u32 s0, s51, s0
	s_addc_u32 s1, s50, s1
	s_lshl_b64 s[0:1], s[0:1], 8
	s_add_u32 s20, s6, s0
	s_addc_u32 s21, s7, s1
.LBB100_8:                              ;   in Loop: Header=BB100_6 Depth=1
	v_cndmask_b32_e64 v2, 0, 1, s[38:39]
	v_cmp_ne_u32_e64 s[0:1], 1, v2
	s_andn2_b64 vcc, exec, s[38:39]
	s_cbranch_vccnz .LBB100_10
; %bb.9:                                ;   in Loop: Header=BB100_6 Depth=1
	s_add_i32 s24, s53, 64
	s_mul_hi_i32 s25, s24, s14
	s_mul_i32 s24, s24, s14
	s_add_u32 s24, s24, s49
	s_addc_u32 s25, s25, s54
	s_lshl_b64 s[24:25], s[24:25], 8
	s_add_u32 s24, s4, s24
	s_addc_u32 s25, s5, s25
.LBB100_10:                             ;   in Loop: Header=BB100_6 Depth=1
	v_perm_b32 v3, v67, v66, s3
	v_perm_b32 v2, v63, v62, s3
	v_perm_b32 v5, v65, v64, s3
	v_perm_b32 v4, v61, v60, s3
	ds_write_b64 v88, v[2:3]
	ds_write_b64 v89, v[4:5]
	ds_write_b64 v94, v[2:3]
	ds_write_b64 v95, v[4:5]
	v_perm_b32 v3, v59, v58, s3
	v_perm_b32 v2, v55, v54, s3
	v_perm_b32 v5, v57, v56, s3
	v_perm_b32 v4, v53, v52, s3
	ds_write_b64 v90, v[2:3]
	ds_write_b64 v91, v[4:5]
	ds_write_b64 v96, v[2:3]
	ds_write_b64 v97, v[4:5]
	v_perm_b32 v3, v51, v50, s3
	v_perm_b32 v2, v47, v46, s3
	v_perm_b32 v5, v49, v48, s3
	v_perm_b32 v4, v45, v44, s3
	ds_write_b64 v92, v[2:3]
	ds_write_b64 v93, v[4:5]
	ds_write_b64 v98, v[2:3]
	ds_write_b64 v99, v[4:5]
	v_perm_b32 v3, v43, v42, s3
	v_perm_b32 v2, v39, v38, s3
	v_perm_b32 v5, v41, v40, s3
	v_perm_b32 v4, v37, v36, s3
	ds_write_b64 v100, v[2:3]
	ds_write_b64 v101, v[4:5]
	ds_write_b64 v102, v[2:3]
	ds_write_b64 v103, v[4:5]
	s_waitcnt lgkmcnt(0)
	s_barrier
	ds_read_b64 v[6:7], v104 offset:49152
	ds_read2_b64 v[2:5], v105 offset1:16
	ds_read_b64 v[18:19], v107 offset:6144
	ds_read_b64 v[20:21], v105 offset:6144
	s_waitcnt lgkmcnt(2)
	v_mfma_f32_16x16x16_bf16 a[0:3], v[6:7], v[2:3], 0
	ds_read_b64 v[22:23], v106 offset:49152
	ds_read2st64_b64 v[10:13], v108 offset0:4 offset1:8
	ds_read2st64_b64 v[14:17], v109 offset0:4 offset1:8
	v_mfma_f32_16x16x16_bf16 a[4:7], v[6:7], v[4:5], 0
	ds_read2_b64 v[2:5], v105 offset0:32 offset1:48
	s_add_i32 s27, s53, 63
	s_ashr_i32 s38, s27, 31
	s_waitcnt lgkmcnt(0)
	v_mfma_f32_16x16x16_bf16 a[8:11], v[6:7], v[2:3], 0
	s_mul_i32 s39, s27, s29
	s_mul_hi_u32 s60, s27, s28
	s_add_i32 s39, s60, s39
	v_mfma_f32_16x16x16_bf16 a[12:15], v[6:7], v[4:5], 0
	ds_read2st64_b64 v[2:5], v105 offset0:4 offset1:8
	ds_read2st64_b64 v[6:9], v107 offset0:4 offset1:8
	s_mul_i32 s38, s38, s28
	s_waitcnt lgkmcnt(1)
	v_mfma_f32_16x16x16_bf16 a[0:3], v[22:23], v[2:3], a[0:3]
	s_add_i32 s39, s39, s38
	s_mul_i32 s38, s27, s28
	s_lshl_b64 s[38:39], s[38:39], 2
	s_waitcnt lgkmcnt(0)
	v_mfma_f32_16x16x16_bf16 a[4:7], v[22:23], v[6:7], a[4:7]
	s_add_u32 s38, s16, s38
	s_addc_u32 s39, s17, s39
	s_and_b64 vcc, exec, s[0:1]
	v_mfma_f32_16x16x16_bf16 a[8:11], v[22:23], v[10:11], a[8:11]
	ds_read_b64 v[2:3], v110 offset:49152
	ds_read_b64 v[6:7], v111 offset:49152
	;; [unrolled: 1-line block ×3, first 2 shown]
	v_mov_b32_e32 v134, 0
	v_mov_b32_e32 v133, 0
	v_mfma_f32_16x16x16_bf16 a[12:15], v[22:23], v[14:15], a[12:15]
	v_mov_b32_e32 v132, 0
	v_mov_b32_e32 v14, 0
	;; [unrolled: 1-line block ×3, first 2 shown]
	s_waitcnt lgkmcnt(2)
	v_mfma_f32_16x16x16_bf16 a[0:3], v[2:3], v[4:5], a[0:3]
	v_mov_b32_e32 v4, 0
	v_mov_b32_e32 v5, 0
	v_mfma_f32_16x16x16_bf16 a[16:19], v[2:3], v[8:9], a[4:7]
	v_mov_b32_e32 v8, 0
	v_mov_b32_e32 v9, 0
	;; [unrolled: 3-line block ×3, first 2 shown]
	v_mfma_f32_16x16x16_bf16 a[24:27], v[2:3], v[16:17], a[12:15]
	ds_read_b64 v[2:3], v108 offset:6144
	v_mov_b32_e32 v16, 0
	v_mov_b32_e32 v17, 0
	s_waitcnt lgkmcnt(2)
	v_mfma_f32_16x16x16_bf16 a[4:7], v[6:7], v[20:21], a[0:3]
	v_mfma_f32_16x16x16_bf16 a[8:11], v[6:7], v[18:19], a[16:19]
	s_waitcnt lgkmcnt(0)
	v_mfma_f32_16x16x16_bf16 a[12:15], v[6:7], v[2:3], a[20:23]
	v_mov_b32_e32 v2, 0
	v_mov_b32_e32 v3, 0
	v_mfma_f32_16x16x16_bf16 a[0:3], v[6:7], v[10:11], a[24:27]
	v_mov_b32_e32 v6, 0
	v_mov_b32_e32 v7, 0
	;; [unrolled: 1-line block ×4, first 2 shown]
	s_cbranch_vccnz .LBB100_12
; %bb.11:                               ;   in Loop: Header=BB100_6 Depth=1
	s_and_b32 s21, s21, 0xffff
	buffer_load_dwordx4 v[14:17], v84, s[20:23], 0 offen
	buffer_load_dwordx4 v[10:13], v84, s[20:23], s55 offen
	;; [unrolled: 1-line block ×4, first 2 shown]
	v_mov_b32_e32 v133, v86
	v_mov_b32_e32 v132, v87
.LBB100_12:                             ;   in Loop: Header=BB100_6 Depth=1
	ds_read_b64 v[136:137], v104 offset:57344
	ds_read2_b64 v[18:21], v112 offset1:16
	ds_read_b64 v[138:139], v106 offset:57344
	ds_read_b64 v[140:141], v110 offset:57344
	;; [unrolled: 1-line block ×3, first 2 shown]
	v_add_u32_e32 v135, s53, v80
	s_waitcnt lgkmcnt(3)
	v_mfma_f32_16x16x16_bf16 a[4:7], v[136:137], v[18:19], a[4:7]
	v_mfma_f32_16x16x16_bf16 a[8:11], v[136:137], v[20:21], a[8:11]
	ds_read2_b64 v[18:21], v112 offset0:32 offset1:48
	ds_read2st64_b64 v[22:25], v112 offset0:4 offset1:8
	ds_read2st64_b64 v[26:29], v113 offset0:4 offset1:8
	;; [unrolled: 1-line block ×3, first 2 shown]
	s_waitcnt lgkmcnt(3)
	v_mfma_f32_16x16x16_bf16 a[12:15], v[136:137], v[18:19], a[12:15]
	v_ashrrev_i32_e32 v18, 31, v135
	v_mfma_f32_16x16x16_bf16 a[0:3], v[136:137], v[20:21], a[0:3]
	v_mul_lo_u32 v20, v18, s28
	v_mul_lo_u32 v21, v135, s29
	v_mad_u64_u32 v[18:19], s[20:21], v135, s28, 0
	v_add3_u32 v19, v19, v21, v20
	v_add_u32_e32 v20, 1, v135
	v_ashrrev_i32_e32 v21, 31, v20
	s_waitcnt lgkmcnt(2)
	v_mfma_f32_16x16x16_bf16 a[4:7], v[138:139], v[22:23], a[4:7]
	v_mul_lo_u32 v22, v21, s28
	v_mul_lo_u32 v23, v20, s29
	v_mad_u64_u32 v[20:21], s[20:21], v20, s28, 0
	v_add3_u32 v21, v21, v23, v22
	v_add_u32_e32 v22, 2, v135
	v_ashrrev_i32_e32 v23, 31, v22
	s_waitcnt lgkmcnt(1)
	v_mfma_f32_16x16x16_bf16 a[8:11], v[138:139], v[26:27], a[8:11]
	v_mul_lo_u32 v26, v23, s28
	v_mul_lo_u32 v27, v22, s29
	v_mad_u64_u32 v[22:23], s[20:21], v22, s28, 0
	v_add3_u32 v23, v23, v27, v26
	v_add_u32_e32 v26, 3, v135
	v_ashrrev_i32_e32 v27, 31, v26
	v_mul_lo_u32 v135, v27, s28
	v_mul_lo_u32 v136, v26, s29
	v_mad_u64_u32 v[26:27], s[20:21], v26, s28, 0
	s_ashr_i32 s21, s53, 31
	s_add_u32 s20, s51, s53
	v_lshl_add_u64 v[18:19], v[18:19], 2, s[16:17]
	v_add3_u32 v27, v27, v136, v135
	s_addc_u32 s21, s50, s21
	v_lshl_add_u64 v[20:21], v[20:21], 2, s[16:17]
	global_load_dword v137, v[18:19], off
	v_lshl_add_u64 v[18:19], v[26:27], 2, s[16:17]
	s_lshl_b64 s[20:21], s[20:21], 8
	v_lshl_add_u64 v[22:23], v[22:23], 2, s[16:17]
	global_load_dword v135, v[20:21], off
	global_load_dword v136, v[22:23], off
	;; [unrolled: 1-line block ×3, first 2 shown]
	v_lshl_add_u64 v[18:19], v[70:71], 0, s[20:21]
	v_lshl_add_u64 v[22:23], v[18:19], 0, v[68:69]
	global_load_ushort v145, v[22:23], off offset:256
	global_load_ushort v146, v[22:23], off
	ds_read2st64_b64 v[18:21], v115 offset0:4 offset1:8
	global_load_ushort v147, v[22:23], off offset:768
	global_load_ushort v148, v[22:23], off offset:512
	s_waitcnt lgkmcnt(1)
	v_mfma_f32_16x16x16_bf16 a[12:15], v[138:139], v[30:31], a[12:15]
	s_and_b64 vcc, exec, s[0:1]
	s_waitcnt vmcnt(3)
	v_lshlrev_b32_e32 v31, 16, v145
	s_waitcnt lgkmcnt(0)
	v_mfma_f32_16x16x16_bf16 a[0:3], v[138:139], v[18:19], a[0:3]
	global_load_ushort v138, v[22:23], off offset:288
	global_load_ushort v139, v[22:23], off offset:32
	;; [unrolled: 1-line block ×8, first 2 shown]
	v_mfma_f32_16x16x16_bf16 a[4:7], v[140:141], v[24:25], a[4:7]
	ds_read_b64 v[18:19], v112 offset:6144
	s_waitcnt vmcnt(10)
	v_lshlrev_b32_e32 v30, 16, v146
	v_mfma_f32_16x16x16_bf16 a[8:11], v[140:141], v[28:29], a[8:11]
	v_mfma_f32_16x16x16_bf16 a[12:15], v[140:141], v[32:33], a[12:15]
	;; [unrolled: 1-line block ×3, first 2 shown]
	global_load_ushort v140, v[22:23], off offset:352
	global_load_ushort v141, v[22:23], off offset:96
	ds_read_b64 v[20:21], v113 offset:6144
	ds_read_b64 v[24:25], v114 offset:6144
	;; [unrolled: 1-line block ×3, first 2 shown]
	global_load_ushort v155, v[22:23], off offset:864
	global_load_ushort v156, v[22:23], off offset:608
	s_load_dword s20, s[38:39], 0x0
	s_waitcnt lgkmcnt(0)
	v_mfma_f32_16x16x16_bf16 a[4:7], v[142:143], v[18:19], a[4:7]
	v_sub_f32_e32 v28, s20, v136
	v_mfma_f32_16x16x16_bf16 a[0:3], v[142:143], v[26:27], a[0:3]
	v_sub_f32_e32 v26, s20, v137
	v_sub_f32_e32 v27, s20, v135
	;; [unrolled: 1-line block ×3, first 2 shown]
	v_mul_f32_e32 v26, 0x3fb8aa3b, v26
	v_mul_f32_e32 v27, 0x3fb8aa3b, v27
	;; [unrolled: 1-line block ×4, first 2 shown]
	v_mfma_f32_16x16x16_bf16 a[8:11], v[142:143], v[20:21], a[8:11]
	v_exp_f32_e32 v26, v26
	v_exp_f32_e32 v27, v27
	;; [unrolled: 1-line block ×4, first 2 shown]
	v_accvgpr_read_b32 v33, a5
	v_accvgpr_read_b32 v32, a4
	;; [unrolled: 1-line block ×4, first 2 shown]
	v_pk_add_f32 v[30:31], v[30:31], v[32:33] neg_lo:[0,1] neg_hi:[0,1]
	s_waitcnt vmcnt(13)
	v_lshlrev_b32_e32 v33, 16, v147
	s_waitcnt vmcnt(12)
	v_lshlrev_b32_e32 v32, 16, v148
	v_pk_add_f32 v[18:19], v[32:33], v[18:19] neg_lo:[0,1] neg_hi:[0,1]
	v_pk_mul_f32 v[30:31], v[26:27], v[30:31]
	v_pk_mul_f32 v[18:19], v[28:29], v[18:19]
	v_accvgpr_read_b32 v33, a9
	v_perm_b32 v19, v19, v18, s3
	v_perm_b32 v18, v31, v30, s3
	v_accvgpr_read_b32 v32, a8
	v_accvgpr_read_b32 v21, a11
	v_mfma_f32_16x16x16_bf16 a[12:15], v[142:143], v[24:25], a[12:15]
	v_accvgpr_read_b32 v20, a10
	v_accvgpr_read_b32 v25, a3
	;; [unrolled: 1-line block ×3, first 2 shown]
	v_mov_b32_e32 v135, 0
	s_waitcnt vmcnt(11)
	v_lshlrev_b32_e32 v31, 16, v138
	s_waitcnt vmcnt(10)
	v_lshlrev_b32_e32 v30, 16, v139
	v_pk_add_f32 v[30:31], v[30:31], v[32:33] neg_lo:[0,1] neg_hi:[0,1]
	s_waitcnt vmcnt(9)
	v_lshlrev_b32_e32 v33, 16, v149
	s_waitcnt vmcnt(8)
	v_lshlrev_b32_e32 v32, 16, v150
	v_pk_add_f32 v[20:21], v[32:33], v[20:21] neg_lo:[0,1] neg_hi:[0,1]
	v_pk_mul_f32 v[30:31], v[26:27], v[30:31]
	v_pk_mul_f32 v[20:21], v[28:29], v[20:21]
	v_accvgpr_read_b32 v23, a15
	v_perm_b32 v21, v21, v20, s3
	v_perm_b32 v20, v31, v30, s3
	ds_write2_b64 v89, v[18:19], v[20:21] offset1:16
	v_accvgpr_read_b32 v21, a13
	s_waitcnt vmcnt(7)
	v_lshlrev_b32_e32 v19, 16, v151
	s_waitcnt vmcnt(6)
	v_lshlrev_b32_e32 v18, 16, v152
	v_accvgpr_read_b32 v20, a12
	v_accvgpr_read_b32 v22, a14
	v_pk_add_f32 v[18:19], v[18:19], v[20:21] neg_lo:[0,1] neg_hi:[0,1]
	s_waitcnt vmcnt(5)
	v_lshlrev_b32_e32 v21, 16, v153
	s_waitcnt vmcnt(4)
	v_lshlrev_b32_e32 v20, 16, v154
	v_pk_add_f32 v[20:21], v[20:21], v[22:23] neg_lo:[0,1] neg_hi:[0,1]
	v_pk_mul_f32 v[18:19], v[26:27], v[18:19]
	v_pk_mul_f32 v[20:21], v[28:29], v[20:21]
	v_accvgpr_read_b32 v23, a1
	v_perm_b32 v21, v21, v20, s3
	v_perm_b32 v20, v19, v18, s3
	s_waitcnt vmcnt(3)
	v_lshlrev_b32_e32 v19, 16, v140
	s_waitcnt vmcnt(2)
	v_lshlrev_b32_e32 v18, 16, v141
	v_accvgpr_read_b32 v22, a0
	v_pk_add_f32 v[18:19], v[18:19], v[22:23] neg_lo:[0,1] neg_hi:[0,1]
	s_waitcnt vmcnt(1)
	v_lshlrev_b32_e32 v23, 16, v155
	s_waitcnt vmcnt(0)
	v_lshlrev_b32_e32 v22, 16, v156
	v_pk_add_f32 v[22:23], v[22:23], v[24:25] neg_lo:[0,1] neg_hi:[0,1]
	v_pk_mul_f32 v[18:19], v[26:27], v[18:19]
	v_pk_mul_f32 v[22:23], v[28:29], v[22:23]
	v_mov_b32_e32 v24, 0
	v_perm_b32 v23, v23, v22, s3
	v_perm_b32 v22, v19, v18, s3
	ds_write2_b64 v89, v[20:21], v[22:23] offset0:32 offset1:48
	v_mov_b32_e32 v18, 0
	v_mov_b32_e32 v19, 0
	;; [unrolled: 1-line block ×15, first 2 shown]
	s_cbranch_vccnz .LBB100_14
; %bb.13:                               ;   in Loop: Header=BB100_6 Depth=1
	s_and_b32 s25, s25, 0xffff
	s_mov_b32 s27, s23
	buffer_load_dwordx4 v[30:33], v126, s[24:27], 0 offen
	buffer_load_dwordx4 v[22:25], v126, s[24:27], s55 offen
	;; [unrolled: 1-line block ×4, first 2 shown]
	v_mov_b32_e32 v134, v83
	v_mov_b32_e32 v135, v82
.LBB100_14:                             ;   in Loop: Header=BB100_6 Depth=1
	s_waitcnt lgkmcnt(0)
	s_barrier
	ds_read_b64 v[144:145], v35
	ds_read2_b64 v[136:139], v119 offset1:16
	ds_read_b64 v[160:161], v128
	ds_read_b64 v[162:163], v129
	ds_read_b64 v[164:165], v130
	ds_read2_b64 v[140:143], v119 offset0:32 offset1:48
	s_waitcnt lgkmcnt(4)
	v_mfma_f32_16x16x16_bf16 a[0:3], v[144:145], v[136:137], 0
	ds_read2st64_b64 v[148:151], v121 offset0:4 offset1:8
	ds_read2st64_b64 v[152:155], v122 offset0:4 offset1:8
	;; [unrolled: 1-line block ×3, first 2 shown]
	v_mfma_f32_16x16x16_bf16 a[4:7], v[144:145], v[138:139], 0
	s_add_i32 s21, s52, s58
	s_mul_hi_i32 s25, s21, s13
	s_mul_i32 s21, s21, s13
	s_waitcnt lgkmcnt(3)
	v_mfma_f32_16x16x16_bf16 a[8:11], v[144:145], v[140:141], 0
	s_add_u32 s24, s21, s45
	s_addc_u32 s25, s25, s46
	s_lshl_b64 s[24:25], s[24:25], 15
	v_mfma_f32_16x16x16_bf16 a[12:15], v[144:145], v[142:143], 0
	ds_read2st64_b64 v[144:147], v119 offset0:4 offset1:8
	s_waitcnt lgkmcnt(0)
	v_mfma_f32_16x16x16_bf16 a[0:3], v[160:161], v[144:145], a[0:3]
	v_mfma_f32_16x16x16_bf16 a[4:7], v[160:161], v[148:149], a[4:7]
	;; [unrolled: 1-line block ×8, first 2 shown]
	ds_read_b64 v[160:161], v119 offset:6144
	ds_read_b64 v[162:163], v120 offset:40960
	;; [unrolled: 1-line block ×8, first 2 shown]
	s_waitcnt lgkmcnt(5)
	v_mfma_f32_16x16x16_bf16 a[16:19], v[166:167], v[136:137], 0
	v_mfma_f32_16x16x16_bf16 a[20:23], v[166:167], v[138:139], 0
	ds_read2st64_b64 v[136:139], v116 offset1:8
	v_mfma_f32_16x16x16_bf16 a[24:27], v[166:167], v[140:141], 0
	v_mfma_f32_16x16x16_bf16 a[28:31], v[166:167], v[142:143], 0
	ds_read2st64_b64 v[140:143], v117 offset1:8
	v_mfma_f32_16x16x16_bf16 a[16:19], v[162:163], v[144:145], a[16:19]
	s_waitcnt lgkmcnt(1)
	v_mov_b32_e32 v144, v136
	v_mov_b32_e32 v145, v137
	v_mfma_f32_16x16x16_bf16 a[20:23], v[162:163], v[148:149], a[20:23]
	v_lshl_add_u64 v[148:149], v[72:73], 0, s[24:25]
	v_mfma_f32_16x16x16_bf16 a[24:27], v[162:163], v[152:153], a[24:27]
	v_mfma_f32_16x16x16_bf16 a[28:31], v[162:163], v[156:157], a[28:31]
	;; [unrolled: 1-line block ×3, first 2 shown]
	s_waitcnt lgkmcnt(0)
	v_mov_b32_e32 v146, v140
	v_mov_b32_e32 v147, v141
	;; [unrolled: 1-line block ×3, first 2 shown]
	v_mfma_f32_16x16x16_bf16 a[32:35], v[174:175], v[150:151], a[20:23]
	v_mov_b32_e32 v141, v139
	ds_read2st64_b64 v[136:139], v116 offset0:16 offset1:24
	global_store_dwordx4 v[148:149], v[144:147], off
	v_mfma_f32_16x16x16_bf16 a[24:27], v[174:175], v[154:155], a[24:27]
	ds_read2st64_b64 v[144:147], v117 offset0:16 offset1:24
	v_add_co_u32_e32 v150, vcc, s35, v148
	v_mfma_f32_16x16x16_bf16 a[28:31], v[174:175], v[158:159], a[28:31]
	s_nop 0
	v_addc_co_u32_e32 v151, vcc, 0, v149, vcc
	global_store_dwordx4 v[150:151], v[140:143], off offset:-4096
	v_mfma_f32_16x16x16_bf16 a[0:3], v[164:165], v[160:161], a[0:3]
	s_waitcnt lgkmcnt(1)
	v_mov_b32_e32 v140, v136
	v_add_co_u32_e32 v136, vcc, s37, v148
	v_mfma_f32_16x16x16_bf16 a[4:7], v[164:165], v[168:169], a[4:7]
	v_mov_b32_e32 v141, v137
	v_addc_co_u32_e32 v137, vcc, 0, v149, vcc
	v_mfma_f32_16x16x16_bf16 a[8:11], v[164:165], v[170:171], a[8:11]
	s_waitcnt lgkmcnt(0)
	v_mov_b32_e32 v142, v144
	v_mov_b32_e32 v143, v145
	;; [unrolled: 1-line block ×3, first 2 shown]
	v_mfma_f32_16x16x16_bf16 a[12:15], v[164:165], v[172:173], a[12:15]
	v_mov_b32_e32 v145, v139
	s_and_b64 vcc, exec, s[0:1]
	global_store_dwordx4 v[150:151], v[140:143], off
	v_mfma_f32_16x16x16_bf16 a[20:23], v[176:177], v[160:161], a[16:19]
	global_store_dwordx4 v[136:137], v[144:147], off
	v_mfma_f32_16x16x16_bf16 a[16:19], v[176:177], v[168:169], a[32:35]
	v_mfma_f32_16x16x16_bf16 a[24:27], v[176:177], v[170:171], a[24:27]
	;; [unrolled: 1-line block ×3, first 2 shown]
	s_cbranch_vccnz .LBB100_16
; %bb.15:                               ;   in Loop: Header=BB100_6 Depth=1
	v_lshrrev_b32_e32 v136, 3, v134
	v_and_b32_e32 v136, 6, v136
	v_xor_b32_e32 v135, v136, v135
	v_lshlrev_b32_e32 v135, 2, v135
	v_and_b32_e32 v134, 8, v134
	v_xor_b32_e32 v137, 0x440, v135
	v_cmp_eq_u32_e32 vcc, 0, v134
	s_barrier
	s_nop 0
	v_cndmask_b32_e32 v134, v137, v135, vcc
	v_lshl_or_b32 v134, v136, 10, v134
	s_waitcnt vmcnt(5)
	v_perm_b32 v135, v30, v26, s56
	s_waitcnt vmcnt(4)
	v_perm_b32 v136, v22, v18, s56
	ds_write2st64_b32 v134, v135, v136 offset0:128 offset1:160
	v_xor_b32_e32 v135, 8, v134
	v_perm_b32 v26, v30, v26, s57
	v_perm_b32 v18, v22, v18, s57
	v_add_u32_e32 v22, 0x80, v135
	ds_write2st64_b32 v22, v26, v18 offset0:128 offset1:160
	v_xor_b32_e32 v18, 16, v134
	v_perm_b32 v22, v31, v27, s56
	v_perm_b32 v26, v23, v19, s56
	ds_write2st64_b32 v18, v22, v26 offset0:129 offset1:161
	v_xor_b32_e32 v18, 24, v134
	v_perm_b32 v22, v31, v27, s57
	v_perm_b32 v19, v23, v19, s57
	v_add_u32_e32 v18, 0x80, v18
	ds_write2st64_b32 v18, v22, v19 offset0:129 offset1:161
	v_xor_b32_e32 v18, 32, v134
	v_perm_b32 v19, v32, v28, s56
	v_perm_b32 v22, v24, v20, s56
	ds_write2st64_b32 v18, v19, v22 offset0:130 offset1:162
	v_xor_b32_e32 v18, 40, v134
	v_perm_b32 v19, v32, v28, s57
	v_perm_b32 v20, v24, v20, s57
	v_add_u32_e32 v18, 0x80, v18
	ds_write2st64_b32 v18, v19, v20 offset0:130 offset1:162
	v_xor_b32_e32 v18, 48, v134
	v_perm_b32 v19, v33, v29, s56
	v_perm_b32 v20, v25, v21, s56
	ds_write2st64_b32 v18, v19, v20 offset0:131 offset1:163
	v_xor_b32_e32 v18, 56, v134
	v_perm_b32 v19, v33, v29, s57
	v_perm_b32 v20, v25, v21, s57
	v_add_u32_e32 v18, 0x80, v18
	ds_write2st64_b32 v18, v19, v20 offset0:131 offset1:163
	ds_write_b64 v133, v[14:15] offset:49152
	v_xor_b32_e32 v14, 8, v133
	ds_write_b64 v14, v[16:17] offset:49152
	ds_write_b64 v133, v[10:11] offset:57344
	ds_write_b64 v14, v[12:13] offset:57344
	ds_write_b64 v132, v[6:7] offset:49152
	v_xor_b32_e32 v6, 8, v132
	ds_write_b64 v6, v[8:9] offset:49152
	ds_write_b64 v132, v[2:3] offset:57344
	;; [unrolled: 1-line block ×3, first 2 shown]
.LBB100_16:                             ;   in Loop: Header=BB100_6 Depth=1
	s_waitcnt vmcnt(6)
	v_mul_f32_e32 v22, s20, v131
	v_exp_f32_e32 v132, v22
	v_accvgpr_read_b32 v5, a3
	v_accvgpr_read_b32 v9, a7
	;; [unrolled: 1-line block ×4, first 2 shown]
	s_waitcnt vmcnt(4)
	v_accvgpr_read_b32 v18, a20
	v_accvgpr_read_b32 v25, a19
	;; [unrolled: 1-line block ×28, first 2 shown]
	s_add_i32 s53, s53, 64
	v_pk_fma_f32 v[62:63], v[62:63], v[132:133], v[2:3] op_sel_hi:[1,0,1]
	v_pk_fma_f32 v[66:67], v[66:67], v[132:133], v[4:5] op_sel_hi:[1,0,1]
	v_pk_fma_f32 v[54:55], v[54:55], v[132:133], v[6:7] op_sel_hi:[1,0,1]
	v_pk_fma_f32 v[58:59], v[58:59], v[132:133], v[8:9] op_sel_hi:[1,0,1]
	v_pk_fma_f32 v[46:47], v[46:47], v[132:133], v[10:11] op_sel_hi:[1,0,1]
	v_pk_fma_f32 v[50:51], v[50:51], v[132:133], v[12:13] op_sel_hi:[1,0,1]
	v_pk_fma_f32 v[38:39], v[38:39], v[132:133], v[14:15] op_sel_hi:[1,0,1]
	v_pk_fma_f32 v[42:43], v[42:43], v[132:133], v[16:17] op_sel_hi:[1,0,1]
	v_pk_fma_f32 v[60:61], v[60:61], v[132:133], v[18:19] op_sel_hi:[1,0,1]
	v_pk_fma_f32 v[64:65], v[64:65], v[132:133], v[20:21] op_sel_hi:[1,0,1]
	v_pk_fma_f32 v[52:53], v[52:53], v[132:133], v[22:23] op_sel_hi:[1,0,1]
	v_pk_fma_f32 v[56:57], v[56:57], v[132:133], v[24:25] op_sel_hi:[1,0,1]
	v_pk_fma_f32 v[44:45], v[44:45], v[132:133], v[26:27] op_sel_hi:[1,0,1]
	v_pk_fma_f32 v[48:49], v[48:49], v[132:133], v[28:29] op_sel_hi:[1,0,1]
	v_pk_fma_f32 v[36:37], v[36:37], v[132:133], v[30:31] op_sel_hi:[1,0,1]
	s_cmp_eq_u32 s47, s59
	v_pk_fma_f32 v[40:41], v[40:41], v[132:133], v[32:33] op_sel_hi:[1,0,1]
	s_cbranch_scc1 .LBB100_18
; %bb.17:                               ;   in Loop: Header=BB100_6 Depth=1
	s_mov_b32 s58, s59
	s_branch .LBB100_6
.LBB100_18:
	s_lshl_b32 s26, s47, 6
	s_sub_i32 s27, s48, s26
	s_cmp_gt_i32 s27, 0
	s_cbranch_scc0 .LBB100_99
; %bb.19:
	s_add_i32 s26, s26, s30
	s_ashr_i32 s3, s26, 31
	s_cmpk_lg_i32 s15, 0x80
	s_cselect_b64 s[22:23], -1, 0
	s_and_b64 vcc, exec, s[22:23]
	s_cbranch_vccz .LBB100_21
; %bb.20:
	s_mul_hi_i32 s0, s26, s14
	s_mul_i32 s1, s26, s14
	s_ashr_i32 s14, s49, 31
	s_add_u32 s24, s1, s49
	s_addc_u32 s25, s0, s14
	s_cbranch_execz .LBB100_22
	s_branch .LBB100_23
.LBB100_21:
                                        ; implicit-def: $sgpr24_sgpr25
.LBB100_22:
	s_mul_i32 s1, s49, s12
	s_mul_hi_i32 s0, s49, s12
	s_add_u32 s24, s1, s26
	s_addc_u32 s25, s0, s3
.LBB100_23:
	s_waitcnt lgkmcnt(0)
	s_add_i32 s12, s47, s52
	s_add_u32 s0, s51, s26
	v_lshlrev_b32_e32 v6, 6, v80
	v_lshlrev_b32_e32 v24, 2, v77
	s_addc_u32 s1, s50, s3
	s_mov_b32 s3, 0x7060302
	v_or_b32_e32 v9, v6, v24
	v_xor_b32_e32 v7, v80, v24
	v_perm_b32 v3, v67, v66, s3
	v_perm_b32 v2, v63, v62, s3
	;; [unrolled: 1-line block ×4, first 2 shown]
	v_lshlrev_b32_e32 v9, 1, v9
	v_xor_b32_e32 v8, v81, v24
	ds_write2st64_b64 v9, v[2:3], v[4:5] offset0:32 offset1:48
	v_lshlrev_b32_e32 v7, 1, v7
	v_lshlrev_b32_e32 v9, 8, v77
	v_or_b32_e32 v10, v7, v9
	v_lshlrev_b32_e32 v8, 1, v8
	ds_write_b64 v10, v[2:3]
	v_or_b32_e32 v2, v8, v9
	v_or_b32_e32 v9, 16, v77
	v_lshlrev_b32_e32 v23, 2, v9
	v_or_b32_e32 v10, v6, v23
	ds_write_b64 v2, v[4:5]
	v_perm_b32 v3, v59, v58, s3
	v_perm_b32 v2, v55, v54, s3
	v_perm_b32 v5, v57, v56, s3
	v_perm_b32 v4, v53, v52, s3
	v_lshlrev_b32_e32 v10, 1, v10
	v_lshlrev_b32_e32 v9, 8, v9
	ds_write2st64_b64 v10, v[2:3], v[4:5] offset0:32 offset1:48
	v_or_b32_e32 v10, v7, v9
	ds_write_b64 v10, v[2:3]
	v_or_b32_e32 v2, v8, v9
	v_or_b32_e32 v9, 32, v77
	v_lshlrev_b32_e32 v22, 2, v9
	v_or_b32_e32 v10, v6, v22
	ds_write_b64 v2, v[4:5]
	v_perm_b32 v3, v51, v50, s3
	v_perm_b32 v2, v47, v46, s3
	;; [unrolled: 1-line block ×4, first 2 shown]
	v_lshlrev_b32_e32 v10, 1, v10
	v_lshlrev_b32_e32 v9, 8, v9
	s_lshl_b64 s[20:21], s[0:1], 8
	ds_write2st64_b64 v10, v[2:3], v[4:5] offset0:32 offset1:48
	v_or_b32_e32 v10, v7, v9
	s_add_u32 s0, s6, s20
	ds_write_b64 v10, v[2:3]
	v_or_b32_e32 v2, v8, v9
	s_addc_u32 s1, s7, s21
	ds_write_b64 v2, v[4:5]
	v_perm_b32 v3, v43, v42, s3
	v_perm_b32 v2, v39, v38, s3
	;; [unrolled: 1-line block ×4, first 2 shown]
	v_or_b32_e32 v9, 48, v77
	s_mul_hi_i32 s3, s12, s13
	s_mul_i32 s12, s12, s13
	v_lshlrev_b32_e32 v19, 2, v9
	s_add_u32 s6, s12, s45
	v_or_b32_e32 v6, v6, v19
	s_addc_u32 s7, s3, s46
	v_lshlrev_b32_e32 v6, 1, v6
	s_ashr_i32 s3, s2, 31
	s_lshl_b64 s[6:7], s[6:7], 15
	ds_write2st64_b64 v6, v[2:3], v[4:5] offset0:32 offset1:48
	v_lshlrev_b32_e32 v6, 8, v9
	s_add_u32 s6, s18, s6
	v_or_b32_e32 v7, v7, v6
	s_addc_u32 s7, s19, s7
	s_lshl_b64 s[2:3], s[2:3], 8
	ds_write_b64 v7, v[2:3]
	v_or_b32_e32 v2, v8, v6
	s_add_u32 s2, s6, s2
	v_lshlrev_b32_e32 v3, 1, v77
	ds_write_b64 v2, v[4:5]
	v_lshrrev_b32_e32 v2, 4, v0
	s_addc_u32 s3, s7, s3
	v_or_b32_e32 v4, 1, v3
	v_lshlrev_b32_e32 v10, 4, v77
	v_mov_b32_e32 v11, 0
	v_xor_b32_e32 v3, v2, v3
	v_xor_b32_e32 v6, v4, v2
	v_lshl_add_u64 v[12:13], s[2:3], 0, v[10:11]
	v_lshlrev_b32_e32 v10, 8, v2
	v_lshl_or_b32 v16, v3, 3, v10
	v_lshl_or_b32 v17, v6, 3, v10
	s_waitcnt lgkmcnt(0)
	s_barrier
	ds_read2st64_b64 v[2:5], v16 offset1:8
	ds_read2st64_b64 v[6:9], v17 offset1:8
	v_lshl_add_u64 v[14:15], v[12:13], 0, v[10:11]
	s_movk_i32 s2, 0x2000
	s_cmp_lg_u32 s27, 64
	s_waitcnt lgkmcnt(1)
	v_mov_b32_e32 v10, v2
	v_mov_b32_e32 v11, v3
	s_waitcnt lgkmcnt(0)
	v_mov_b32_e32 v12, v6
	v_mov_b32_e32 v13, v7
	global_store_dwordx4 v[14:15], v[10:13], off
	v_mov_b32_e32 v6, v4
	v_mov_b32_e32 v7, v5
	ds_read2st64_b64 v[2:5], v16 offset0:16 offset1:24
	ds_read2st64_b64 v[10:13], v17 offset0:16 offset1:24
	v_add_co_u32_e32 v16, vcc, s2, v14
	s_cselect_b64 s[6:7], -1, 0
	s_nop 0
	v_addc_co_u32_e32 v17, vcc, 0, v15, vcc
	global_store_dwordx4 v[16:17], v[6:9], off offset:-4096
	v_lshl_or_b32 v25, v75, 3, v79
	s_mov_b32 s16, 0
	s_waitcnt lgkmcnt(1)
	v_mov_b32_e32 v6, v2
	v_add_co_u32_e32 v2, vcc, 0x3000, v14
	v_mov_b32_e32 v7, v3
	s_nop 0
	v_addc_co_u32_e32 v3, vcc, 0, v15, vcc
	s_waitcnt lgkmcnt(0)
	v_mov_b32_e32 v8, v10
	v_mov_b32_e32 v9, v11
	;; [unrolled: 1-line block ×4, first 2 shown]
	v_or_b32_e32 v20, 32, v25
	v_and_b32_e32 v18, 56, v78
	s_and_b64 vcc, exec, s[6:7]
	global_store_dwordx4 v[16:17], v[6:9], off
	global_store_dwordx4 v[2:3], v[10:13], off
	s_cbranch_vccz .LBB100_29
; %bb.24:
	s_mov_b32 s17, s16
	s_mov_b32 s18, s16
	;; [unrolled: 1-line block ×3, first 2 shown]
	v_mov_b64_e32 v[6:7], s[16:17]
	v_mov_b64_e32 v[8:9], s[18:19]
	;; [unrolled: 1-line block ×3, first 2 shown]
	v_cmp_gt_i32_e32 vcc, s27, v25
	v_mov_b64_e32 v[4:5], v[8:9]
	s_and_saveexec_b64 s[2:3], vcc
	s_cbranch_execz .LBB100_26
; %bb.25:
	v_lshlrev_b32_e32 v2, 8, v25
	v_mov_b32_e32 v3, 0
	v_lshl_add_u64 v[4:5], s[0:1], 0, v[2:3]
	v_lshlrev_b32_e32 v2, 1, v18
	v_lshl_add_u64 v[10:11], v[4:5], 0, v[2:3]
	global_load_dwordx4 v[6:9], v[10:11], off
	global_load_dwordx4 v[2:5], v[10:11], off offset:128
.LBB100_26:
	s_or_b64 exec, exec, s[2:3]
	s_mov_b32 s17, s16
	s_mov_b32 s18, s16
	;; [unrolled: 1-line block ×3, first 2 shown]
	v_mov_b64_e32 v[14:15], s[16:17]
	v_mov_b64_e32 v[16:17], s[18:19]
	;; [unrolled: 1-line block ×3, first 2 shown]
	v_cmp_gt_i32_e32 vcc, s27, v20
	v_lshlrev_b32_e32 v21, 7, v20
	v_mov_b64_e32 v[12:13], v[16:17]
	s_and_saveexec_b64 s[2:3], vcc
	s_cbranch_execz .LBB100_28
; %bb.27:
	v_lshlrev_b32_e32 v10, 1, v21
	v_mov_b32_e32 v11, 0
	v_lshl_add_u64 v[12:13], s[0:1], 0, v[10:11]
	v_lshlrev_b32_e32 v10, 1, v18
	v_lshl_add_u64 v[26:27], v[12:13], 0, v[10:11]
	global_load_dwordx4 v[14:17], v[26:27], off
	global_load_dwordx4 v[10:13], v[26:27], off offset:128
.LBB100_28:
	s_or_b64 exec, exec, s[2:3]
	v_lshrrev_b32_e32 v26, 3, v18
	v_lshlrev_b32_e32 v27, 3, v25
	v_or_b32_e32 v26, v27, v26
	v_lshlrev_b32_e32 v26, 4, v26
	v_and_b32_e32 v27, 0x78, v27
	v_xor_b32_e32 v26, v26, v27
	s_branch .LBB100_31
.LBB100_29:
                                        ; implicit-def: $vgpr26
                                        ; implicit-def: $vgpr21
                                        ; implicit-def: $vgpr6_vgpr7_vgpr8_vgpr9
                                        ; implicit-def: $vgpr2_vgpr3_vgpr4_vgpr5
                                        ; implicit-def: $vgpr14_vgpr15_vgpr16_vgpr17
                                        ; implicit-def: $vgpr10_vgpr11_vgpr12_vgpr13
	s_cbranch_execz .LBB100_31
; %bb.30:
	s_waitcnt vmcnt(0)
	v_lshlrev_b32_e32 v2, 1, v18
	v_lshl_or_b32 v21, v25, 8, v2
	s_and_b32 s1, s1, 0xffff
	s_mov_b32 s3, 0x20000
	s_movk_i32 s2, 0x4000
	v_lshl_or_b32 v26, v20, 8, v2
	s_movk_i32 s12, 0x80
	buffer_load_dwordx4 v[6:9], v21, s[0:3], 0 offen
	buffer_load_dwordx4 v[2:5], v21, s[0:3], s12 offen
	;; [unrolled: 1-line block ×4, first 2 shown]
	v_lshrrev_b32_e32 v21, 3, v18
	v_lshlrev_b32_e32 v26, 3, v25
	v_or_b32_e32 v21, v26, v21
	v_lshlrev_b32_e32 v21, 4, v21
	v_and_b32_e32 v26, 0x78, v26
	v_xor_b32_e32 v26, v21, v26
	v_lshlrev_b32_e32 v21, 7, v20
.LBB100_31:
	s_movk_i32 s0, 0x1000
	v_and_or_b32 v20, v21, s0, v26
	s_waitcnt vmcnt(1)
	ds_write_b64 v26, v[6:7] offset:49152
	v_xor_b32_e32 v6, 8, v26
	ds_write_b64 v6, v[8:9] offset:49152
	s_waitcnt vmcnt(0)
	ds_write_b64 v26, v[2:3] offset:57344
	ds_write_b64 v6, v[4:5] offset:57344
	;; [unrolled: 1-line block ×3, first 2 shown]
	v_xor_b32_e32 v2, 8, v20
	ds_write_b64 v2, v[16:17] offset:49152
	ds_write_b64 v20, v[10:11] offset:57344
	;; [unrolled: 1-line block ×3, first 2 shown]
	v_or_b32_e32 v2, v1, v77
	v_lshlrev_b32_e32 v3, 11, v75
	v_lshlrev_b32_e32 v2, 3, v2
	v_and_b32_e32 v6, 0x1000, v3
	v_lshrrev_b32_e32 v3, 5, v74
	s_movk_i32 s0, 0xf8
	v_and_or_b32 v3, v2, s0, v3
	v_lshlrev_b32_e32 v7, 4, v3
	v_and_b32_e32 v8, 0x78, v2
	v_or_b32_e32 v10, 32, v7
	v_lshrrev_b32_e32 v3, 1, v74
	v_xor_b32_e32 v10, v10, v8
	v_xor_b32_e32 v2, v7, v8
	v_and_b32_e32 v9, 8, v3
	v_or_b32_e32 v10, v10, v6
	v_or_b32_e32 v2, v2, v6
	v_xor_b32_e32 v28, v10, v9
	v_or_b32_e32 v10, 64, v7
	v_xor_b32_e32 v27, v2, v9
	v_xor_b32_e32 v10, v10, v8
	s_waitcnt lgkmcnt(0)
	s_barrier
	v_or_b32_e32 v13, v10, v6
	ds_read_b64 v[10:11], v27 offset:49152
	v_lshl_or_b32 v14, v76, 8, v24
	v_lshlrev_b32_e32 v26, 1, v14
	v_add_u32_e32 v12, 0x4000, v26
	ds_read2_b64 v[2:5], v12 offset1:16
	v_or_b32_e32 v7, 0x60, v7
	v_xor_b32_e32 v7, v7, v8
	v_or_b32_e32 v6, v7, v6
	v_xor_b32_e32 v29, v13, v9
	v_xor_b32_e32 v30, v6, v9
	ds_read_b64 v[20:21], v28 offset:49152
	ds_read_b64 v[36:37], v29 offset:49152
	;; [unrolled: 1-line block ×3, first 2 shown]
	s_waitcnt lgkmcnt(3)
	v_mfma_f32_16x16x16_bf16 a[0:3], v[10:11], v[2:3], 0
	ds_read2st64_b64 v[6:9], v26 offset0:36 offset1:40
	s_lshl_b64 s[0:1], s[24:25], 8
	s_add_u32 s4, s4, s0
	v_mfma_f32_16x16x16_bf16 a[4:7], v[10:11], v[4:5], 0
	ds_read2_b64 v[2:5], v12 offset0:32 offset1:48
	s_addc_u32 s5, s5, s1
	s_add_i32 s1, s41, s33
	s_waitcnt lgkmcnt(0)
	v_mfma_f32_16x16x16_bf16 a[8:11], v[10:11], v[2:3], 0
	v_or_b32_e32 v2, 64, v14
	v_lshlrev_b32_e32 v31, 1, v2
	s_add_i32 s0, s31, -1
	v_mfma_f32_16x16x16_bf16 a[12:15], v[10:11], v[4:5], 0
	ds_read2st64_b64 v[2:5], v31 offset0:36 offset1:40
	s_add_i32 s37, s1, s40
	s_add_i32 s1, s43, s42
	v_mfma_f32_16x16x16_bf16 a[0:3], v[20:21], v[6:7], a[0:3]
	v_or_b32_e32 v6, 0x80, v14
	v_lshlrev_b32_e32 v32, 1, v6
	ds_read2st64_b64 v[10:13], v32 offset0:36 offset1:40
	s_waitcnt lgkmcnt(1)
	v_mfma_f32_16x16x16_bf16 a[4:7], v[20:21], v[2:3], a[4:7]
	v_or_b32_e32 v2, 0xc0, v14
	v_lshlrev_b32_e32 v33, 1, v2
	ds_read2st64_b64 v[14:17], v33 offset0:36 offset1:40
	s_add_i32 s35, s1, s44
	s_ashr_i32 s1, s0, 31
	s_mul_i32 s2, s0, s29
	s_mul_hi_u32 s3, s0, s28
	s_add_i32 s2, s3, s2
	s_mul_i32 s1, s1, s28
	s_waitcnt lgkmcnt(1)
	v_mfma_f32_16x16x16_bf16 a[8:11], v[20:21], v[10:11], a[8:11]
	s_add_i32 s1, s2, s1
	s_lshl_b64 s[2:3], s[36:37], 2
	s_add_u32 s10, s10, s2
	s_waitcnt lgkmcnt(0)
	v_mfma_f32_16x16x16_bf16 a[12:15], v[20:21], v[14:15], a[12:15]
	s_addc_u32 s11, s11, s3
	s_lshl_b64 s[2:3], s[34:35], 2
	s_mul_i32 s0, s0, s28
	v_mfma_f32_16x16x16_bf16 a[0:3], v[36:37], v[8:9], a[0:3]
	ds_read_b64 v[2:3], v26 offset:22528
	s_add_u32 s10, s10, s2
	s_addc_u32 s11, s11, s3
	v_mfma_f32_16x16x16_bf16 a[4:7], v[36:37], v[4:5], a[4:7]
	ds_read_b64 v[4:5], v31 offset:22528
	ds_read_b64 v[6:7], v32 offset:22528
	;; [unrolled: 1-line block ×3, first 2 shown]
	s_lshl_b64 s[0:1], s[0:1], 2
	s_add_u32 s0, s10, s0
	v_mfma_f32_16x16x16_bf16 a[8:11], v[36:37], v[12:13], a[8:11]
	s_addc_u32 s1, s11, s1
	s_load_dword s12, s[0:1], 0x0
	s_and_b64 vcc, exec, s[22:23]
	v_mfma_f32_16x16x16_bf16 a[12:15], v[36:37], v[16:17], a[12:15]
	s_waitcnt lgkmcnt(0)
	v_mfma_f32_16x16x16_bf16 a[0:3], v[38:39], v[2:3], a[0:3]
	v_mfma_f32_16x16x16_bf16 a[4:7], v[38:39], v[4:5], a[4:7]
	;; [unrolled: 1-line block ×4, first 2 shown]
	s_cbranch_vccz .LBB100_42
; %bb.32:
	v_lshlrev_b32_e32 v20, 1, v25
	s_and_b64 vcc, exec, s[6:7]
	s_cbranch_vccz .LBB100_43
; %bb.33:
	v_cmp_gt_i32_e32 vcc, s27, v20
	v_mov_b32_e32 v6, 0
	v_mov_b32_e32 v2, 0
	;; [unrolled: 1-line block ×5, first 2 shown]
	s_and_saveexec_b64 s[0:1], vcc
	s_cbranch_execz .LBB100_35
; %bb.34:
	v_mad_i64_i32 v[2:3], s[2:3], s15, v20, 0
	v_lshl_add_u64 v[2:3], v[2:3], 1, s[4:5]
	v_lshlrev_b32_e32 v4, 1, v18
	v_mov_b32_e32 v5, 0
	v_lshl_add_u64 v[2:3], v[2:3], 0, v[4:5]
	global_load_dwordx4 v[2:5], v[2:3], off
.LBB100_35:
	s_or_b64 exec, exec, s[0:1]
	v_or_b32_e32 v21, 1, v20
	v_cmp_gt_i32_e64 s[0:1], s27, v21
	v_mov_b32_e32 v7, 0
	v_mov_b32_e32 v8, 0
	;; [unrolled: 1-line block ×3, first 2 shown]
	s_and_saveexec_b64 s[2:3], s[0:1]
	s_cbranch_execz .LBB100_37
; %bb.36:
	v_mad_i64_i32 v[6:7], s[16:17], s15, v21, 0
	v_lshl_add_u64 v[6:7], v[6:7], 1, s[4:5]
	v_lshlrev_b32_e32 v8, 1, v18
	v_mov_b32_e32 v9, 0
	v_lshl_add_u64 v[6:7], v[6:7], 0, v[8:9]
	global_load_dwordx4 v[6:9], v[6:7], off
.LBB100_37:
	s_or_b64 exec, exec, s[2:3]
	v_mov_b32_e32 v17, 0
	v_mov_b32_e32 v10, 0
	;; [unrolled: 1-line block ×5, first 2 shown]
	s_and_saveexec_b64 s[2:3], vcc
	s_cbranch_execz .LBB100_39
; %bb.38:
	v_mad_i64_i32 v[10:11], s[16:17], s15, v20, 0
	v_lshl_add_u64 v[10:11], v[10:11], 1, s[4:5]
	v_lshlrev_b32_e32 v12, 1, v18
	v_mov_b32_e32 v13, 0
	v_lshl_add_u64 v[10:11], v[10:11], 0, v[12:13]
	global_load_dwordx4 v[10:13], v[10:11], off offset:128
.LBB100_39:
	s_or_b64 exec, exec, s[2:3]
	v_mov_b32_e32 v16, 0
	v_mov_b32_e32 v15, 0
	;; [unrolled: 1-line block ×3, first 2 shown]
	s_and_saveexec_b64 s[2:3], s[0:1]
	s_cbranch_execz .LBB100_41
; %bb.40:
	v_mad_i64_i32 v[14:15], s[0:1], s15, v21, 0
	v_lshl_add_u64 v[14:15], v[14:15], 1, s[4:5]
	v_lshlrev_b32_e32 v16, 1, v18
	v_mov_b32_e32 v17, 0
	v_lshl_add_u64 v[14:15], v[14:15], 0, v[16:17]
	global_load_dwordx4 v[14:17], v[14:15], off offset:128
.LBB100_41:
	s_or_b64 exec, exec, s[2:3]
	s_branch .LBB100_45
.LBB100_42:
                                        ; implicit-def: $vgpr5
                                        ; implicit-def: $vgpr9
                                        ; implicit-def: $vgpr13
                                        ; implicit-def: $vgpr17
	v_lshrrev_b32_e32 v35, 2, v74
	s_branch .LBB100_46
.LBB100_43:
                                        ; implicit-def: $vgpr5
                                        ; implicit-def: $vgpr9
                                        ; implicit-def: $vgpr13
                                        ; implicit-def: $vgpr17
	s_cbranch_execz .LBB100_45
; %bb.44:
	s_waitcnt vmcnt(0)
	v_mad_u64_u32 v[2:3], s[0:1], v20, s15, v[18:19]
	v_lshlrev_b32_e32 v20, 1, v2
	s_lshl_b32 s2, s15, 7
	s_and_b32 s1, s5, 0xffff
	s_mov_b32 s3, 0x20000
	s_mov_b32 s0, s4
	v_add_lshl_u32 v21, v2, s15, 1
	s_movk_i32 s13, 0x80
	buffer_load_dwordx4 v[2:5], v20, s[0:3], 0 offen
	buffer_load_dwordx4 v[10:13], v20, s[0:3], s13 offen
	;; [unrolled: 1-line block ×4, first 2 shown]
.LBB100_45:
	v_lshrrev_b32_e32 v35, 2, v74
	s_cbranch_execnz .LBB100_58
.LBB100_46:
	s_and_b64 vcc, exec, s[6:7]
	s_cbranch_vccz .LBB100_56
; %bb.47:
	s_waitcnt vmcnt(0)
	v_lshlrev_b32_e32 v7, 1, v25
	v_cmp_gt_i32_e32 vcc, s27, v7
	v_mov_b32_e32 v6, 0
	v_lshlrev_b32_e32 v14, 9, v25
	v_mov_b32_e32 v2, 0
	v_mov_b32_e32 v3, 0
	v_mov_b32_e32 v4, 0
	v_mov_b32_e32 v5, 0
	s_and_saveexec_b64 s[0:1], vcc
	s_cbranch_execz .LBB100_49
; %bb.48:
	v_mov_b32_e32 v15, 0
	v_lshl_add_u64 v[2:3], s[4:5], 0, v[14:15]
	v_lshlrev_b32_e32 v4, 1, v18
	v_mov_b32_e32 v5, v15
	v_lshl_add_u64 v[2:3], v[2:3], 0, v[4:5]
	global_load_dwordx4 v[2:5], v[2:3], off
.LBB100_49:
	s_or_b64 exec, exec, s[0:1]
	v_or_b32_e32 v7, 1, v7
	v_cmp_gt_i32_e64 s[0:1], s27, v7
	v_lshlrev_b32_e32 v20, 8, v7
	v_mov_b32_e32 v7, 0
	v_mov_b32_e32 v8, 0
	;; [unrolled: 1-line block ×3, first 2 shown]
	s_and_saveexec_b64 s[2:3], s[0:1]
	s_cbranch_execz .LBB100_51
; %bb.50:
	v_mov_b32_e32 v21, 0
	v_lshl_add_u64 v[6:7], s[4:5], 0, v[20:21]
	v_lshlrev_b32_e32 v8, 1, v18
	v_mov_b32_e32 v9, v21
	v_lshl_add_u64 v[6:7], v[6:7], 0, v[8:9]
	global_load_dwordx4 v[6:9], v[6:7], off
.LBB100_51:
	s_or_b64 exec, exec, s[2:3]
	v_mov_b32_e32 v17, 0
	v_mov_b32_e32 v10, 0
	;; [unrolled: 1-line block ×5, first 2 shown]
	s_and_saveexec_b64 s[2:3], vcc
	s_cbranch_execz .LBB100_53
; %bb.52:
	v_mov_b32_e32 v15, 0
	v_lshl_add_u64 v[10:11], s[4:5], 0, v[14:15]
	v_lshlrev_b32_e32 v14, 1, v18
	v_lshl_add_u64 v[10:11], v[10:11], 0, v[14:15]
	global_load_dwordx4 v[10:13], v[10:11], off offset:128
.LBB100_53:
	s_or_b64 exec, exec, s[2:3]
	v_mov_b32_e32 v16, 0
	v_mov_b32_e32 v15, 0
	;; [unrolled: 1-line block ×3, first 2 shown]
	s_and_saveexec_b64 s[2:3], s[0:1]
	s_cbranch_execz .LBB100_55
; %bb.54:
	v_mov_b32_e32 v21, 0
	v_lshl_add_u64 v[14:15], s[4:5], 0, v[20:21]
	v_lshlrev_b32_e32 v20, 1, v18
	v_lshl_add_u64 v[14:15], v[14:15], 0, v[20:21]
	global_load_dwordx4 v[14:17], v[14:15], off offset:128
.LBB100_55:
	s_or_b64 exec, exec, s[2:3]
	s_branch .LBB100_58
.LBB100_56:
                                        ; implicit-def: $vgpr5
                                        ; implicit-def: $vgpr9
                                        ; implicit-def: $vgpr13
                                        ; implicit-def: $vgpr17
	s_cbranch_execz .LBB100_58
; %bb.57:
	s_waitcnt vmcnt(0)
	v_lshlrev_b32_e32 v2, 1, v18
	v_lshl_or_b32 v18, v25, 9, v2
	s_and_b32 s5, s5, 0xffff
	s_mov_b32 s7, 0x20000
	s_movk_i32 s6, 0x4000
	s_movk_i32 s0, 0x80
	buffer_load_dwordx4 v[2:5], v18, s[4:7], 0 offen
	buffer_load_dwordx4 v[6:9], v18, s[4:7], 0 offen offset:256
	buffer_load_dwordx4 v[10:13], v18, s[4:7], s0 offen
	buffer_load_dwordx4 v[14:17], v18, s[4:7], s0 offen offset:256
.LBB100_58:
	ds_read_b64 v[20:21], v27 offset:57344
	v_add_u32_e32 v18, 0x6000, v26
	ds_read2_b64 v[36:39], v18 offset1:16
	ds_read_b64 v[52:53], v28 offset:57344
	ds_read_b64 v[28:29], v29 offset:57344
	;; [unrolled: 1-line block ×3, first 2 shown]
	ds_read2st64_b64 v[40:43], v26 offset0:52 offset1:56
	s_mov_b32 s0, 0x1000504
	s_mov_b32 s1, 0x3020706
	s_waitcnt lgkmcnt(4)
	v_mfma_f32_16x16x16_bf16 a[0:3], v[20:21], v[36:37], a[0:3]
	v_mfma_f32_16x16x16_bf16 a[4:7], v[20:21], v[38:39], a[4:7]
	ds_read2_b64 v[36:39], v18 offset0:32 offset1:48
	v_and_b32_e32 v18, 6, v0
	v_xor_b32_e32 v25, v25, v18
	s_waitcnt lgkmcnt(0)
	v_mfma_f32_16x16x16_bf16 a[8:11], v[20:21], v[36:37], a[8:11]
	v_lshlrev_b32_e32 v25, 2, v25
	v_and_b32_e32 v0, 1, v0
	v_cmp_eq_u32_e32 vcc, 0, v0
	v_mfma_f32_16x16x16_bf16 a[12:15], v[20:21], v[38:39], a[12:15]
	ds_read2st64_b64 v[36:39], v31 offset0:52 offset1:56
	ds_read2st64_b64 v[44:47], v32 offset0:52 offset1:56
	;; [unrolled: 1-line block ×3, first 2 shown]
	ds_read_b64 v[20:21], v26 offset:30720
	ds_read_b64 v[26:27], v31 offset:30720
	;; [unrolled: 1-line block ×4, first 2 shown]
	s_waitcnt lgkmcnt(6)
	v_mfma_f32_16x16x16_bf16 a[4:7], v[52:53], v[36:37], a[4:7]
	v_xor_b32_e32 v36, 0x440, v25
	v_cndmask_b32_e32 v0, v36, v25, vcc
	v_lshl_or_b32 v0, v18, 10, v0
	v_mfma_f32_16x16x16_bf16 a[0:3], v[52:53], v[40:41], a[0:3]
	s_waitcnt vmcnt(0)
	v_perm_b32 v18, v2, v6, s0
	v_perm_b32 v25, v10, v14, s0
	ds_write2st64_b32 v0, v18, v25 offset0:128 offset1:160
	s_waitcnt lgkmcnt(6)
	v_mfma_f32_16x16x16_bf16 a[8:11], v[52:53], v[44:45], a[8:11]
	v_xor_b32_e32 v18, 8, v0
	v_perm_b32 v2, v2, v6, s1
	v_perm_b32 v6, v10, v14, s1
	s_waitcnt lgkmcnt(5)
	v_mfma_f32_16x16x16_bf16 a[12:15], v[52:53], v[48:49], a[12:15]
	v_add_u32_e32 v10, 0x80, v18
	ds_write2st64_b32 v10, v2, v6 offset0:128 offset1:160
	v_xor_b32_e32 v2, 16, v0
	v_mfma_f32_16x16x16_bf16 a[0:3], v[28:29], v[42:43], a[0:3]
	v_perm_b32 v6, v3, v7, s0
	v_perm_b32 v10, v11, v15, s0
	ds_write2st64_b32 v2, v6, v10 offset0:129 offset1:161
	v_mfma_f32_16x16x16_bf16 a[4:7], v[28:29], v[38:39], a[4:7]
	v_xor_b32_e32 v2, 24, v0
	v_perm_b32 v3, v3, v7, s1
	v_perm_b32 v6, v11, v15, s1
	v_mfma_f32_16x16x16_bf16 a[16:19], v[28:29], v[46:47], a[8:11]
	v_add_u32_e32 v2, 0x80, v2
	ds_write2st64_b32 v2, v3, v6 offset0:129 offset1:161
	v_xor_b32_e32 v2, 32, v0
	v_mfma_f32_16x16x16_bf16 a[20:23], v[28:29], v[50:51], a[12:15]
	v_perm_b32 v3, v4, v8, s0
	v_perm_b32 v6, v12, v16, s0
	ds_write2st64_b32 v2, v3, v6 offset0:130 offset1:162
	s_waitcnt lgkmcnt(8)
	v_mfma_f32_16x16x16_bf16 a[12:15], v[54:55], v[20:21], a[0:3]
	v_xor_b32_e32 v2, 40, v0
	v_perm_b32 v3, v4, v8, s1
	v_perm_b32 v4, v12, v16, s1
	s_waitcnt lgkmcnt(7)
	v_mfma_f32_16x16x16_bf16 a[8:11], v[54:55], v[26:27], a[4:7]
	v_add_u32_e32 v2, 0x80, v2
	ds_write2st64_b32 v2, v3, v4 offset0:130 offset1:162
	v_xor_b32_e32 v2, 48, v0
	s_waitcnt lgkmcnt(7)
	v_mfma_f32_16x16x16_bf16 a[4:7], v[54:55], v[30:31], a[16:19]
	v_perm_b32 v3, v5, v9, s0
	v_perm_b32 v4, v13, v17, s0
	v_xor_b32_e32 v0, 56, v0
	s_waitcnt lgkmcnt(6)
	v_mfma_f32_16x16x16_bf16 a[0:3], v[54:55], v[32:33], a[20:23]
	v_and_or_b32 v18, v35, 12, v1
	ds_write2st64_b32 v2, v3, v4 offset0:131 offset1:163
	v_perm_b32 v2, v5, v9, s1
	v_perm_b32 v3, v13, v17, s1
	v_add_u32_e32 v0, 0x80, v0
	v_cmp_gt_i32_e32 vcc, s27, v18
	v_mov_b32_e32 v14, 0
	v_mov_b32_e32 v16, 0
	ds_write2st64_b32 v0, v2, v3 offset0:131 offset1:163
	s_and_saveexec_b64 s[0:1], vcc
	s_cbranch_execz .LBB100_60
; %bb.59:
	v_add_u32_e32 v0, s26, v18
	v_ashrrev_i32_e32 v1, 31, v0
	v_mul_lo_u32 v2, v1, s28
	v_mul_lo_u32 v3, v0, s29
	v_mad_u64_u32 v[0:1], s[2:3], v0, s28, 0
	v_add3_u32 v1, v1, v3, v2
	v_lshl_add_u64 v[0:1], v[0:1], 2, s[10:11]
	global_load_dword v0, v[0:1], off
	s_waitcnt vmcnt(0)
	v_sub_f32_e32 v0, s12, v0
	v_mul_f32_e32 v0, 0x3fb8aa3b, v0
	v_exp_f32_e32 v16, v0
.LBB100_60:
	s_or_b64 exec, exec, s[0:1]
	v_or_b32_e32 v8, 1, v18
	v_cmp_gt_i32_e64 s[0:1], s27, v8
	s_and_saveexec_b64 s[2:3], s[0:1]
	s_cbranch_execz .LBB100_62
; %bb.61:
	v_add_u32_e32 v0, s26, v8
	v_ashrrev_i32_e32 v1, 31, v0
	v_mul_lo_u32 v2, v1, s28
	v_mul_lo_u32 v3, v0, s29
	v_mad_u64_u32 v[0:1], s[4:5], v0, s28, 0
	v_add3_u32 v1, v1, v3, v2
	v_lshl_add_u64 v[0:1], v[0:1], 2, s[10:11]
	global_load_dword v0, v[0:1], off
	s_waitcnt vmcnt(0)
	v_sub_f32_e32 v0, s12, v0
	v_mul_f32_e32 v0, 0x3fb8aa3b, v0
	v_exp_f32_e32 v14, v0
.LBB100_62:
	s_or_b64 exec, exec, s[2:3]
	v_or_b32_e32 v10, 2, v18
	v_cmp_gt_i32_e64 s[2:3], s27, v10
	v_mov_b32_e32 v15, 0
	v_mov_b32_e32 v17, 0
	s_and_saveexec_b64 s[4:5], s[2:3]
	s_cbranch_execz .LBB100_64
; %bb.63:
	v_add_u32_e32 v0, s26, v10
	v_ashrrev_i32_e32 v1, 31, v0
	v_mul_lo_u32 v2, v1, s28
	v_mul_lo_u32 v3, v0, s29
	v_mad_u64_u32 v[0:1], s[6:7], v0, s28, 0
	v_add3_u32 v1, v1, v3, v2
	v_lshl_add_u64 v[0:1], v[0:1], 2, s[10:11]
	global_load_dword v0, v[0:1], off
	s_waitcnt vmcnt(0)
	v_sub_f32_e32 v0, s12, v0
	v_mul_f32_e32 v0, 0x3fb8aa3b, v0
	v_exp_f32_e32 v17, v0
.LBB100_64:
	s_or_b64 exec, exec, s[4:5]
	v_or_b32_e32 v12, 3, v18
	v_cmp_gt_i32_e64 s[4:5], s27, v12
	s_and_saveexec_b64 s[6:7], s[4:5]
	s_cbranch_execz .LBB100_66
; %bb.65:
	v_add_u32_e32 v0, s26, v12
	v_ashrrev_i32_e32 v1, 31, v0
	v_mul_lo_u32 v2, v1, s28
	v_mul_lo_u32 v3, v0, s29
	v_mad_u64_u32 v[0:1], s[14:15], v0, s28, 0
	v_add3_u32 v1, v1, v3, v2
	v_lshl_add_u64 v[0:1], v[0:1], 2, s[10:11]
	global_load_dword v0, v[0:1], off
	s_waitcnt vmcnt(0)
	v_sub_f32_e32 v0, s12, v0
	v_mul_f32_e32 v0, 0x3fb8aa3b, v0
	v_exp_f32_e32 v15, v0
.LBB100_66:
	s_or_b64 exec, exec, s[6:7]
	s_add_u32 s6, s8, s20
	v_accvgpr_read_b32 v0, a12
	s_addc_u32 s7, s9, s21
	v_ashrrev_i32_e32 v35, 31, v34
	v_accvgpr_read_b32 v1, a13
	v_accvgpr_read_b32 v2, a14
	;; [unrolled: 1-line block ×3, first 2 shown]
	v_lshl_add_u64 v[4:5], v[34:35], 1, s[6:7]
	v_mov_b32_e32 v9, 0
	v_lshlrev_b32_e32 v6, 8, v18
	v_mov_b32_e32 v7, 0
	s_and_saveexec_b64 s[6:7], vcc
	s_cbranch_execz .LBB100_68
; %bb.67:
	v_mov_b32_e32 v7, 0
	v_lshl_add_u64 v[20:21], v[4:5], 0, v[6:7]
	global_load_ushort v7, v[20:21], off
	s_waitcnt vmcnt(0)
	v_lshlrev_b32_e32 v7, 16, v7
	v_sub_f32_e32 v0, v7, v0
	v_mul_f32_e32 v0, v16, v0
	v_lshrrev_b32_e32 v7, 16, v0
.LBB100_68:
	s_or_b64 exec, exec, s[6:7]
	v_lshlrev_b32_e32 v8, 8, v8
	s_and_saveexec_b64 s[6:7], s[0:1]
	s_cbranch_execz .LBB100_70
; %bb.69:
	v_mov_b32_e32 v9, 0
	v_lshl_add_u64 v[20:21], v[4:5], 0, v[8:9]
	global_load_ushort v0, v[20:21], off
	s_waitcnt vmcnt(0)
	v_lshlrev_b32_e32 v0, 16, v0
	v_sub_f32_e32 v0, v0, v1
	v_mul_f32_e32 v0, v14, v0
	v_lshrrev_b32_e32 v9, 16, v0
.LBB100_70:
	s_or_b64 exec, exec, s[6:7]
	v_mov_b32_e32 v13, 0
	v_lshlrev_b32_e32 v10, 8, v10
	v_mov_b32_e32 v11, 0
	s_and_saveexec_b64 s[6:7], s[2:3]
	s_cbranch_execz .LBB100_72
; %bb.71:
	v_mov_b32_e32 v11, 0
	v_lshl_add_u64 v[0:1], v[4:5], 0, v[10:11]
	global_load_ushort v0, v[0:1], off
	s_waitcnt vmcnt(0)
	v_lshlrev_b32_e32 v0, 16, v0
	v_sub_f32_e32 v0, v0, v2
	v_mul_f32_e32 v0, v17, v0
	v_lshrrev_b32_e32 v11, 16, v0
.LBB100_72:
	s_or_b64 exec, exec, s[6:7]
	v_lshlrev_b32_e32 v12, 8, v12
	s_and_saveexec_b64 s[6:7], s[4:5]
	s_cbranch_execz .LBB100_74
; %bb.73:
	v_mov_b32_e32 v13, 0
	v_lshl_add_u64 v[0:1], v[4:5], 0, v[12:13]
	global_load_ushort v0, v[0:1], off
	s_waitcnt vmcnt(0)
	v_lshlrev_b32_e32 v0, 16, v0
	v_sub_f32_e32 v0, v0, v3
	v_mul_f32_e32 v0, v15, v0
	v_lshrrev_b32_e32 v13, 16, v0
.LBB100_74:
	s_or_b64 exec, exec, s[6:7]
	v_lshlrev_b32_e32 v18, 6, v18
	s_mov_b32 s6, 0x5040100
	v_perm_b32 v20, v9, v7, s6
	v_or_b32_e32 v7, v18, v24
	v_accvgpr_read_b32 v0, a8
	v_perm_b32 v21, v13, v11, s6
	v_lshlrev_b32_e32 v7, 1, v7
	v_accvgpr_read_b32 v1, a9
	v_accvgpr_read_b32 v2, a10
	;; [unrolled: 1-line block ×3, first 2 shown]
	ds_write_b64 v7, v[20:21] offset:24576
	v_mov_b32_e32 v9, 0
	v_mov_b32_e32 v7, 0
	s_and_saveexec_b64 s[6:7], vcc
	s_cbranch_execz .LBB100_76
; %bb.75:
	v_mov_b32_e32 v7, 0
	v_lshl_add_u64 v[20:21], v[4:5], 0, v[6:7]
	global_load_ushort v7, v[20:21], off offset:32
	s_waitcnt vmcnt(0)
	v_lshlrev_b32_e32 v7, 16, v7
	v_sub_f32_e32 v0, v7, v0
	v_mul_f32_e32 v0, v16, v0
	v_lshrrev_b32_e32 v7, 16, v0
.LBB100_76:
	s_or_b64 exec, exec, s[6:7]
	s_and_saveexec_b64 s[6:7], s[0:1]
	s_cbranch_execz .LBB100_78
; %bb.77:
	v_mov_b32_e32 v9, 0
	v_lshl_add_u64 v[20:21], v[4:5], 0, v[8:9]
	global_load_ushort v0, v[20:21], off offset:32
	s_waitcnt vmcnt(0)
	v_lshlrev_b32_e32 v0, 16, v0
	v_sub_f32_e32 v0, v0, v1
	v_mul_f32_e32 v0, v14, v0
	v_lshrrev_b32_e32 v9, 16, v0
.LBB100_78:
	s_or_b64 exec, exec, s[6:7]
	v_mov_b32_e32 v13, 0
	v_mov_b32_e32 v11, 0
	s_and_saveexec_b64 s[6:7], s[2:3]
	s_cbranch_execz .LBB100_80
; %bb.79:
	v_mov_b32_e32 v11, 0
	v_lshl_add_u64 v[0:1], v[4:5], 0, v[10:11]
	global_load_ushort v0, v[0:1], off offset:32
	s_waitcnt vmcnt(0)
	v_lshlrev_b32_e32 v0, 16, v0
	v_sub_f32_e32 v0, v0, v2
	v_mul_f32_e32 v0, v17, v0
	v_lshrrev_b32_e32 v11, 16, v0
.LBB100_80:
	s_or_b64 exec, exec, s[6:7]
	s_and_saveexec_b64 s[6:7], s[4:5]
	s_cbranch_execz .LBB100_82
; %bb.81:
	v_mov_b32_e32 v13, 0
	v_lshl_add_u64 v[0:1], v[4:5], 0, v[12:13]
	global_load_ushort v0, v[0:1], off offset:32
	s_waitcnt vmcnt(0)
	v_lshlrev_b32_e32 v0, 16, v0
	v_sub_f32_e32 v0, v0, v3
	v_mul_f32_e32 v0, v15, v0
	v_lshrrev_b32_e32 v13, 16, v0
.LBB100_82:
	s_or_b64 exec, exec, s[6:7]
	s_mov_b32 s6, 0x5040100
	v_perm_b32 v20, v9, v7, s6
	v_or_b32_e32 v7, v18, v23
	v_accvgpr_read_b32 v0, a4
	v_perm_b32 v21, v13, v11, s6
	v_lshlrev_b32_e32 v7, 1, v7
	v_accvgpr_read_b32 v1, a5
	v_accvgpr_read_b32 v2, a6
	;; [unrolled: 1-line block ×3, first 2 shown]
	ds_write_b64 v7, v[20:21] offset:24576
	v_mov_b32_e32 v9, 0
	v_mov_b32_e32 v7, 0
	s_and_saveexec_b64 s[6:7], vcc
	s_cbranch_execz .LBB100_84
; %bb.83:
	v_mov_b32_e32 v7, 0
	v_lshl_add_u64 v[20:21], v[4:5], 0, v[6:7]
	global_load_ushort v7, v[20:21], off offset:64
	s_waitcnt vmcnt(0)
	v_lshlrev_b32_e32 v7, 16, v7
	v_sub_f32_e32 v0, v7, v0
	v_mul_f32_e32 v0, v16, v0
	v_lshrrev_b32_e32 v7, 16, v0
.LBB100_84:
	s_or_b64 exec, exec, s[6:7]
	s_and_saveexec_b64 s[6:7], s[0:1]
	s_cbranch_execz .LBB100_86
; %bb.85:
	v_mov_b32_e32 v9, 0
	v_lshl_add_u64 v[20:21], v[4:5], 0, v[8:9]
	global_load_ushort v0, v[20:21], off offset:64
	s_waitcnt vmcnt(0)
	v_lshlrev_b32_e32 v0, 16, v0
	v_sub_f32_e32 v0, v0, v1
	v_mul_f32_e32 v0, v14, v0
	v_lshrrev_b32_e32 v9, 16, v0
.LBB100_86:
	s_or_b64 exec, exec, s[6:7]
	v_mov_b32_e32 v13, 0
	v_mov_b32_e32 v11, 0
	s_and_saveexec_b64 s[6:7], s[2:3]
	s_cbranch_execz .LBB100_88
; %bb.87:
	v_mov_b32_e32 v11, 0
	v_lshl_add_u64 v[0:1], v[4:5], 0, v[10:11]
	global_load_ushort v0, v[0:1], off offset:64
	s_waitcnt vmcnt(0)
	v_lshlrev_b32_e32 v0, 16, v0
	v_sub_f32_e32 v0, v0, v2
	v_mul_f32_e32 v0, v17, v0
	v_lshrrev_b32_e32 v11, 16, v0
.LBB100_88:
	s_or_b64 exec, exec, s[6:7]
	s_and_saveexec_b64 s[6:7], s[4:5]
	s_cbranch_execz .LBB100_90
; %bb.89:
	v_mov_b32_e32 v13, 0
	v_lshl_add_u64 v[0:1], v[4:5], 0, v[12:13]
	global_load_ushort v0, v[0:1], off offset:64
	s_waitcnt vmcnt(0)
	v_lshlrev_b32_e32 v0, 16, v0
	v_sub_f32_e32 v0, v0, v3
	v_mul_f32_e32 v0, v15, v0
	v_lshrrev_b32_e32 v13, 16, v0
.LBB100_90:
	s_or_b64 exec, exec, s[6:7]
	s_mov_b32 s6, 0x5040100
	v_perm_b32 v20, v9, v7, s6
	v_or_b32_e32 v7, v18, v22
	v_accvgpr_read_b32 v0, a0
	v_perm_b32 v21, v13, v11, s6
	v_lshlrev_b32_e32 v7, 1, v7
	v_accvgpr_read_b32 v1, a1
	v_accvgpr_read_b32 v2, a2
	;; [unrolled: 1-line block ×3, first 2 shown]
	ds_write_b64 v7, v[20:21] offset:24576
	v_mov_b32_e32 v9, 0
	v_mov_b32_e32 v7, 0
	s_and_saveexec_b64 s[6:7], vcc
	s_cbranch_execz .LBB100_92
; %bb.91:
	v_mov_b32_e32 v7, 0
	v_lshl_add_u64 v[6:7], v[4:5], 0, v[6:7]
	global_load_ushort v6, v[6:7], off offset:96
	s_waitcnt vmcnt(0)
	v_lshlrev_b32_e32 v6, 16, v6
	v_sub_f32_e32 v0, v6, v0
	v_mul_f32_e32 v0, v16, v0
	v_lshrrev_b32_e32 v7, 16, v0
.LBB100_92:
	s_or_b64 exec, exec, s[6:7]
	s_and_saveexec_b64 s[6:7], s[0:1]
	s_cbranch_execz .LBB100_94
; %bb.93:
	v_mov_b32_e32 v9, 0
	v_lshl_add_u64 v[8:9], v[4:5], 0, v[8:9]
	global_load_ushort v0, v[8:9], off offset:96
	s_waitcnt vmcnt(0)
	v_lshlrev_b32_e32 v0, 16, v0
	v_sub_f32_e32 v0, v0, v1
	v_mul_f32_e32 v0, v14, v0
	v_lshrrev_b32_e32 v9, 16, v0
.LBB100_94:
	s_or_b64 exec, exec, s[6:7]
	v_mov_b32_e32 v0, 0
	v_mov_b32_e32 v1, 0
	s_and_saveexec_b64 s[0:1], s[2:3]
	s_cbranch_execz .LBB100_96
; %bb.95:
	v_mov_b32_e32 v11, 0
	v_lshl_add_u64 v[10:11], v[4:5], 0, v[10:11]
	global_load_ushort v1, v[10:11], off offset:96
	s_waitcnt vmcnt(0)
	v_lshlrev_b32_e32 v1, 16, v1
	v_sub_f32_e32 v1, v1, v2
	v_mul_f32_e32 v1, v17, v1
	v_lshrrev_b32_e32 v1, 16, v1
.LBB100_96:
	s_or_b64 exec, exec, s[0:1]
	s_and_saveexec_b64 s[0:1], s[4:5]
	s_cbranch_execz .LBB100_98
; %bb.97:
	v_mov_b32_e32 v13, 0
	v_lshl_add_u64 v[4:5], v[4:5], 0, v[12:13]
	global_load_ushort v0, v[4:5], off offset:96
	s_waitcnt vmcnt(0)
	v_lshlrev_b32_e32 v0, 16, v0
	v_sub_f32_e32 v0, v0, v3
	v_mul_f32_e32 v0, v15, v0
	v_lshrrev_b32_e32 v0, 16, v0
.LBB100_98:
	s_or_b64 exec, exec, s[0:1]
	s_mov_b32 s0, 0x5040100
	v_or_b32_e32 v2, v18, v19
	v_perm_b32 v1, v0, v1, s0
	v_perm_b32 v0, v9, v7, s0
	v_lshlrev_b32_e32 v2, 1, v2
	ds_write_b64 v2, v[0:1] offset:24576
	s_waitcnt lgkmcnt(0)
	s_barrier
.LBB100_99:
	s_endpgm
	.section	.rodata,"a",@progbits
	.p2align	6, 0x0
	.amdhsa_kernel _ZN12_GLOBAL__N_139chunk_gated_delta_rule_fwd_h_hip_kernelILi64ELb1ELb0ELb0ELb1ELb0ELb0ELb1ELb1EEEvPK12hip_bfloat16S3_S3_PKfS5_PKvPS1_S8_PvPKiSB_iiiiilll
		.amdhsa_group_segment_fixed_size 65536
		.amdhsa_private_segment_fixed_size 0
		.amdhsa_kernarg_size 136
		.amdhsa_user_sgpr_count 2
		.amdhsa_user_sgpr_dispatch_ptr 0
		.amdhsa_user_sgpr_queue_ptr 0
		.amdhsa_user_sgpr_kernarg_segment_ptr 1
		.amdhsa_user_sgpr_dispatch_id 0
		.amdhsa_user_sgpr_kernarg_preload_length 0
		.amdhsa_user_sgpr_kernarg_preload_offset 0
		.amdhsa_user_sgpr_private_segment_size 0
		.amdhsa_uses_dynamic_stack 0
		.amdhsa_enable_private_segment 0
		.amdhsa_system_sgpr_workgroup_id_x 1
		.amdhsa_system_sgpr_workgroup_id_y 1
		.amdhsa_system_sgpr_workgroup_id_z 0
		.amdhsa_system_sgpr_workgroup_info 0
		.amdhsa_system_vgpr_workitem_id 0
		.amdhsa_next_free_vgpr 216
		.amdhsa_next_free_sgpr 61
		.amdhsa_accum_offset 180
		.amdhsa_reserve_vcc 1
		.amdhsa_float_round_mode_32 0
		.amdhsa_float_round_mode_16_64 0
		.amdhsa_float_denorm_mode_32 3
		.amdhsa_float_denorm_mode_16_64 3
		.amdhsa_dx10_clamp 1
		.amdhsa_ieee_mode 1
		.amdhsa_fp16_overflow 0
		.amdhsa_tg_split 0
		.amdhsa_exception_fp_ieee_invalid_op 0
		.amdhsa_exception_fp_denorm_src 0
		.amdhsa_exception_fp_ieee_div_zero 0
		.amdhsa_exception_fp_ieee_overflow 0
		.amdhsa_exception_fp_ieee_underflow 0
		.amdhsa_exception_fp_ieee_inexact 0
		.amdhsa_exception_int_div_zero 0
	.end_amdhsa_kernel
	.section	.text._ZN12_GLOBAL__N_139chunk_gated_delta_rule_fwd_h_hip_kernelILi64ELb1ELb0ELb0ELb1ELb0ELb0ELb1ELb1EEEvPK12hip_bfloat16S3_S3_PKfS5_PKvPS1_S8_PvPKiSB_iiiiilll,"axG",@progbits,_ZN12_GLOBAL__N_139chunk_gated_delta_rule_fwd_h_hip_kernelILi64ELb1ELb0ELb0ELb1ELb0ELb0ELb1ELb1EEEvPK12hip_bfloat16S3_S3_PKfS5_PKvPS1_S8_PvPKiSB_iiiiilll,comdat
.Lfunc_end100:
	.size	_ZN12_GLOBAL__N_139chunk_gated_delta_rule_fwd_h_hip_kernelILi64ELb1ELb0ELb0ELb1ELb0ELb0ELb1ELb1EEEvPK12hip_bfloat16S3_S3_PKfS5_PKvPS1_S8_PvPKiSB_iiiiilll, .Lfunc_end100-_ZN12_GLOBAL__N_139chunk_gated_delta_rule_fwd_h_hip_kernelILi64ELb1ELb0ELb0ELb1ELb0ELb0ELb1ELb1EEEvPK12hip_bfloat16S3_S3_PKfS5_PKvPS1_S8_PvPKiSB_iiiiilll
                                        ; -- End function
	.section	.AMDGPU.csdata,"",@progbits
; Kernel info:
; codeLenInByte = 10888
; NumSgprs: 67
; NumVgprs: 178
; NumAgprs: 36
; TotalNumVgprs: 216
; ScratchSize: 0
; MemoryBound: 0
; FloatMode: 240
; IeeeMode: 1
; LDSByteSize: 65536 bytes/workgroup (compile time only)
; SGPRBlocks: 8
; VGPRBlocks: 26
; NumSGPRsForWavesPerEU: 67
; NumVGPRsForWavesPerEU: 216
; AccumOffset: 180
; Occupancy: 1
; WaveLimiterHint : 1
; COMPUTE_PGM_RSRC2:SCRATCH_EN: 0
; COMPUTE_PGM_RSRC2:USER_SGPR: 2
; COMPUTE_PGM_RSRC2:TRAP_HANDLER: 0
; COMPUTE_PGM_RSRC2:TGID_X_EN: 1
; COMPUTE_PGM_RSRC2:TGID_Y_EN: 1
; COMPUTE_PGM_RSRC2:TGID_Z_EN: 0
; COMPUTE_PGM_RSRC2:TIDIG_COMP_CNT: 0
; COMPUTE_PGM_RSRC3_GFX90A:ACCUM_OFFSET: 44
; COMPUTE_PGM_RSRC3_GFX90A:TG_SPLIT: 0
	.section	.text._ZN12_GLOBAL__N_139chunk_gated_delta_rule_fwd_h_hip_kernelILi64ELb0ELb1ELb1ELb1ELb0ELb0ELb1ELb1EEEvPK12hip_bfloat16S3_S3_PKfS5_PKvPS1_S8_PvPKiSB_iiiiilll,"axG",@progbits,_ZN12_GLOBAL__N_139chunk_gated_delta_rule_fwd_h_hip_kernelILi64ELb0ELb1ELb1ELb1ELb0ELb0ELb1ELb1EEEvPK12hip_bfloat16S3_S3_PKfS5_PKvPS1_S8_PvPKiSB_iiiiilll,comdat
	.globl	_ZN12_GLOBAL__N_139chunk_gated_delta_rule_fwd_h_hip_kernelILi64ELb0ELb1ELb1ELb1ELb0ELb0ELb1ELb1EEEvPK12hip_bfloat16S3_S3_PKfS5_PKvPS1_S8_PvPKiSB_iiiiilll ; -- Begin function _ZN12_GLOBAL__N_139chunk_gated_delta_rule_fwd_h_hip_kernelILi64ELb0ELb1ELb1ELb1ELb0ELb0ELb1ELb1EEEvPK12hip_bfloat16S3_S3_PKfS5_PKvPS1_S8_PvPKiSB_iiiiilll
	.p2align	8
	.type	_ZN12_GLOBAL__N_139chunk_gated_delta_rule_fwd_h_hip_kernelILi64ELb0ELb1ELb1ELb1ELb0ELb0ELb1ELb1EEEvPK12hip_bfloat16S3_S3_PKfS5_PKvPS1_S8_PvPKiSB_iiiiilll,@function
_ZN12_GLOBAL__N_139chunk_gated_delta_rule_fwd_h_hip_kernelILi64ELb0ELb1ELb1ELb1ELb0ELb0ELb1ELb1EEEvPK12hip_bfloat16S3_S3_PKfS5_PKvPS1_S8_PvPKiSB_iiiiilll: ; @_ZN12_GLOBAL__N_139chunk_gated_delta_rule_fwd_h_hip_kernelILi64ELb0ELb1ELb1ELb1ELb0ELb0ELb1ELb1EEEvPK12hip_bfloat16S3_S3_PKfS5_PKvPS1_S8_PvPKiSB_iiiiilll
; %bb.0:
	s_load_dwordx4 s[20:23], s[0:1], 0x5c
	s_abs_i32 s27, s3
	s_ashr_i32 s26, s3, 31
	s_load_dwordx2 s[24:25], s[0:1], 0x50
	s_load_dwordx8 s[4:11], s[0:1], 0x30
	s_load_dwordx8 s[12:19], s[0:1], 0x0
	v_lshrrev_b32_e32 v74, 6, v0
	s_waitcnt lgkmcnt(0)
	s_abs_i32 s30, s21
	v_cvt_f32_u32_e32 v1, s30
	s_sub_i32 s28, 0, s30
	s_ashr_i32 s46, s21, 31
	s_xor_b32 s26, s26, s46
	v_rcp_iflag_f32_e32 v1, v1
	v_bfe_u32 v77, v0, 4, 2
	v_lshlrev_b32_e32 v75, 4, v74
	v_lshlrev_b32_e32 v2, 2, v77
	v_mul_f32_e32 v1, 0x4f7ffffe, v1
	v_cvt_u32_f32_e32 v1, v1
	v_and_b32_e32 v76, 63, v0
	s_mov_b32 s33, s21
	v_and_b32_e32 v78, 15, v0
	v_readfirstlane_b32 s29, v1
	s_mul_i32 s28, s28, s29
	s_mul_hi_u32 s28, s29, s28
	s_add_i32 s29, s29, s28
	s_mul_hi_u32 s28, s27, s29
	s_mul_i32 s29, s28, s30
	s_sub_i32 s27, s27, s29
	s_add_i32 s31, s28, 1
	s_sub_i32 s29, s27, s30
	s_cmp_ge_u32 s27, s30
	s_cselect_b32 s28, s31, s28
	s_cselect_b32 s27, s29, s27
	s_add_i32 s29, s28, 1
	s_cmp_ge_u32 s27, s30
	s_cselect_b32 s27, s29, s28
	s_xor_b32 s27, s27, s26
	s_sub_i32 s34, s27, s26
	s_mul_i32 s26, s34, s21
	s_ashr_i32 s35, s34, 31
	s_sub_i32 s47, s3, s26
	s_lshl_b64 s[26:27], s[34:35], 2
	s_add_u32 s10, s10, s26
	s_addc_u32 s11, s11, s27
	s_add_u32 s28, s24, s26
	s_addc_u32 s29, s25, s27
	s_abs_i32 s3, s22
	v_cvt_f32_u32_e32 v1, s3
	s_load_dwordx2 s[40:41], s[10:11], 0x0
	s_nop 0
	s_load_dwordx2 s[10:11], s[0:1], 0x80
	s_load_dwordx4 s[24:27], s[0:1], 0x70
	s_sub_i32 s1, 0, s3
	v_rcp_iflag_f32_e32 v1, v1
	s_load_dword s52, s[28:29], 0x0
	s_waitcnt lgkmcnt(0)
	s_sub_i32 s56, s41, s40
	s_ashr_i32 s0, s56, 31
	v_mul_f32_e32 v1, 0x4f7ffffe, v1
	v_cvt_u32_f32_e32 v1, v1
	s_lshr_b32 s0, s0, 26
	s_add_i32 s0, s56, s0
	s_ashr_i32 s51, s0, 6
	v_readfirstlane_b32 s31, v1
	s_mul_i32 s1, s1, s31
	s_mul_hi_u32 s1, s31, s1
	s_add_i32 s31, s31, s1
	s_mul_hi_u32 s1, s30, s31
	s_mul_i32 s31, s1, s3
	s_ashr_i32 s0, s22, 31
	s_sub_i32 s30, s30, s31
	s_xor_b32 s0, s46, s0
	s_add_i32 s31, s1, 1
	s_sub_i32 s36, s30, s3
	s_cmp_ge_u32 s30, s3
	s_cselect_b32 s1, s31, s1
	s_cselect_b32 s30, s36, s30
	s_add_i32 s31, s1, 1
	s_cmp_ge_u32 s30, s3
	s_cselect_b32 s1, s31, s1
	s_xor_b32 s1, s1, s0
	s_sub_i32 s1, s1, s0
	s_abs_i32 s3, s1
	v_cvt_f32_u32_e32 v1, s3
	s_sub_i32 s29, 0, s3
	s_abs_i32 s28, s47
	s_xor_b32 s1, s47, s1
	v_rcp_iflag_f32_e32 v1, v1
	s_ashr_i32 s1, s1, 31
	s_mov_b32 s0, 0
	s_mul_hi_i32 s53, s47, s20
	v_mul_f32_e32 v1, 0x4f7ffffe, v1
	v_cvt_u32_f32_e32 v1, v1
	s_mul_i32 s54, s47, s20
	v_lshrrev_b32_e32 v80, 3, v76
	v_lshlrev_b32_e32 v79, 3, v0
	v_readfirstlane_b32 s30, v1
	s_mul_i32 s29, s29, s30
	s_mul_hi_u32 s29, s30, s29
	s_add_i32 s30, s30, s29
	s_mul_hi_u32 s29, s28, s30
	s_mul_i32 s30, s29, s3
	s_sub_i32 s28, s28, s30
	s_add_i32 s30, s29, 1
	s_sub_i32 s31, s28, s3
	s_cmp_ge_u32 s28, s3
	s_cselect_b32 s29, s30, s29
	s_cselect_b32 s28, s31, s28
	s_add_i32 s30, s29, 1
	s_cmp_ge_u32 s28, s3
	s_cselect_b32 s3, s30, s29
	s_xor_b32 s3, s3, s1
	s_sub_i32 s55, s3, s1
	v_or_b32_e32 v1, v2, v75
	s_lshl_b32 s2, s2, 6
	s_mov_b32 s1, s0
	v_or_b32_e32 v81, 64, v1
	s_cmp_lt_i32 s56, 64
	v_mov_b64_e32 v[34:35], s[0:1]
	s_mul_i32 s48, s34, s25
	s_mul_hi_u32 s49, s34, s24
	s_mul_i32 s50, s35, s24
	s_mul_i32 s24, s34, s24
	v_mov_b64_e32 v[36:37], s[0:1]
	v_mov_b64_e32 v[40:41], s[0:1]
	v_mov_b64_e32 v[38:39], s[0:1]
	v_mov_b64_e32 v[44:45], s[0:1]
	v_mov_b64_e32 v[42:43], s[0:1]
	v_mov_b64_e32 v[48:49], s[0:1]
	v_mov_b64_e32 v[46:47], s[0:1]
	v_mov_b64_e32 v[52:53], s[0:1]
	v_mov_b64_e32 v[50:51], s[0:1]
	v_mov_b64_e32 v[56:57], s[0:1]
	v_mov_b64_e32 v[54:55], s[0:1]
	v_mov_b64_e32 v[60:61], s[0:1]
	v_mov_b64_e32 v[58:59], s[0:1]
	v_mov_b64_e32 v[64:65], s[0:1]
	v_mov_b64_e32 v[62:63], s[0:1]
	s_cbranch_scc1 .LBB101_17
; %bb.1:
	s_ashr_i32 s58, s47, 31
	s_ashr_i32 s1, s40, 31
	s_add_u32 s0, s54, s40
	s_addc_u32 s1, s53, s1
	s_lshl_b64 s[0:1], s[0:1], 8
	v_and_b32_e32 v83, 56, v79
	s_add_u32 s28, s14, s0
	v_lshl_or_b32 v82, v74, 3, v80
	v_lshlrev_b32_e32 v3, 1, v83
	s_addc_u32 s0, s15, s1
	v_lshl_or_b32 v84, v82, 8, v3
	s_and_b32 s29, s0, 0xffff
	s_mov_b32 s31, 0x20000
	s_movk_i32 s30, 0x4000
	s_movk_i32 s0, 0x80
	v_or_b32_e32 v85, 0x2000, v84
	buffer_load_dwordx4 v[4:7], v84, s[28:31], 0 offen
	buffer_load_dwordx4 v[8:11], v84, s[28:31], s0 offen
	;; [unrolled: 1-line block ×4, first 2 shown]
	v_lshlrev_b32_e32 v20, 3, v82
	v_and_or_b32 v22, v0, 7, v20
	v_and_b32_e32 v20, 0x78, v20
	v_lshlrev_b32_e32 v22, 4, v22
	v_xor_b32_e32 v86, v22, v20
	v_mul_lo_u32 v21, v82, s23
	v_or_b32_e32 v87, 0x1000, v86
	s_cmpk_eq_i32 s23, 0x80
	s_mov_b32 s57, s40
	v_xor_b32_e32 v20, 8, v86
	v_xor_b32_e32 v22, 8, v87
	s_cselect_b64 s[0:1], -1, 0
	s_cmpk_lg_i32 s23, 0x80
	s_waitcnt vmcnt(3)
	ds_write_b64 v86, v[4:5] offset:49152
	ds_write_b64 v20, v[6:7] offset:49152
	s_waitcnt vmcnt(2)
	ds_write_b64 v86, v[8:9] offset:57344
	ds_write_b64 v20, v[10:11] offset:57344
	;; [unrolled: 3-line block ×4, first 2 shown]
	v_lshl_add_u32 v4, v21, 1, v83
	s_cbranch_scc0 .LBB101_3
; %bb.2:
	v_lshlrev_b32_e32 v6, 1, v4
	v_add_lshl_u32 v5, v4, s23, 1
	s_lshl_b32 s30, s23, 7
	v_lshl_or_b32 v3, v82, 9, v3
	s_cbranch_execz .LBB101_4
	s_branch .LBB101_5
.LBB101_3:
                                        ; implicit-def: $vgpr5
                                        ; implicit-def: $vgpr6
                                        ; implicit-def: $sgpr30
	v_lshl_or_b32 v3, v82, 9, v3
.LBB101_4:
	v_or_b32_e32 v5, 0x100, v3
	s_movk_i32 s30, 0x4000
	v_mov_b32_e32 v6, v3
.LBB101_5:
	s_mul_i32 s25, s40, s22
	s_ashr_i32 s59, s55, 31
	s_mul_hi_i32 s3, s40, s22
	s_add_u32 s28, s25, s55
	s_addc_u32 s29, s3, s59
	s_lshl_b64 s[28:29], s[28:29], 8
	s_add_u32 s28, s12, s28
	s_addc_u32 s3, s13, s29
	s_and_b32 s29, s3, 0xffff
	s_movk_i32 s60, 0x80
	buffer_load_dwordx4 v[8:11], v6, s[28:31], 0 offen
	buffer_load_dwordx4 v[12:15], v6, s[28:31], s60 offen
	;; [unrolled: 1-line block ×4, first 2 shown]
	v_and_b32_e32 v5, 6, v0
	v_lshlrev_b32_e32 v6, 7, v1
	v_xor_b32_e32 v28, v82, v5
	v_and_b32_e32 v7, 1, v0
	v_lshl_or_b32 v31, v78, 3, v6
	v_lshlrev_b32_e32 v28, 2, v28
	v_lshlrev_b32_e32 v24, 2, v78
	v_or_b32_e32 v88, 0x4000, v31
	v_or_b32_e32 v89, 0x6000, v31
	v_xor_b32_e32 v31, 0x440, v28
	v_cmp_eq_u32_e32 vcc, 0, v7
	v_or_b32_e32 v26, 16, v78
	v_or_b32_e32 v27, 32, v78
	v_xor_b32_e32 v29, v1, v24
	v_xor_b32_e32 v30, v81, v24
	v_cndmask_b32_e32 v7, v31, v28, vcc
	s_add_i32 s3, s49, s48
	s_mov_b32 s61, 0x1000504
	v_lshl_or_b32 v32, v26, 3, v6
	v_lshlrev_b32_e32 v26, 8, v26
	v_lshl_or_b32 v33, v27, 3, v6
	v_lshlrev_b32_e32 v29, 1, v29
	v_lshlrev_b32_e32 v30, 1, v30
	v_lshl_or_b32 v5, v5, 10, v7
	s_add_i32 s25, s3, s50
	s_mul_i32 s3, s47, s27
	s_mul_hi_u32 s28, s47, s26
	s_mov_b32 s62, 0x3020706
	v_lshlrev_b32_e32 v25, 8, v78
	v_or_b32_e32 v92, 0x4000, v33
	v_or_b32_e32 v93, 0x6000, v33
	;; [unrolled: 1-line block ×4, first 2 shown]
	v_xor_b32_e32 v7, 8, v5
	v_xor_b32_e32 v26, 24, v5
	;; [unrolled: 1-line block ×4, first 2 shown]
	s_add_i32 s3, s28, s3
	s_mul_i32 s28, s58, s26
	v_or_b32_e32 v90, 0x4000, v32
	v_or_b32_e32 v91, 0x6000, v32
	v_or_b32_e32 v94, v25, v29
	v_or_b32_e32 v95, v25, v30
	v_xor_b32_e32 v25, 16, v5
	v_xor_b32_e32 v28, 32, v5
	;; [unrolled: 1-line block ×3, first 2 shown]
	v_add_u32_e32 v7, 0x80, v7
	v_add_u32_e32 v26, 0x80, v26
	;; [unrolled: 1-line block ×4, first 2 shown]
	s_add_i32 s29, s3, s28
	s_lshl_b64 s[36:37], s[24:25], 2
	s_mul_i32 s28, s47, s26
	s_add_u32 s3, s18, s36
	s_addc_u32 s25, s19, s37
	s_lshl_b64 s[28:29], s[28:29], 2
	s_add_u32 s42, s3, s28
	s_movk_i32 s3, 0xf8
	s_addc_u32 s43, s25, s29
	s_lshl_b32 s38, s23, 7
	s_movk_i32 s25, 0x100
	v_mov_b32_e32 v67, 0
	v_lshlrev_b32_e32 v66, 4, v78
	v_cmp_gt_u32_e32 vcc, s25, v0
	v_lshlrev_b32_e32 v27, 8, v27
	s_mov_b32 s63, 0
	s_movk_i32 s30, 0x4000
	v_or_b32_e32 v98, v27, v29
	v_or_b32_e32 v99, v27, v30
	v_add_u32_e32 v128, v75, v2
	s_movk_i32 s25, 0x2000
	s_movk_i32 s64, 0x3000
	v_mov_b32_e32 v133, 0x3fb8aa3b
	v_mov_b32_e32 v62, v67
	;; [unrolled: 1-line block ×6, first 2 shown]
	s_waitcnt vmcnt(1)
	v_perm_b32 v34, v8, v16, s61
	s_waitcnt vmcnt(0)
	v_perm_b32 v35, v12, v20, s61
	v_perm_b32 v8, v8, v16, s62
	v_perm_b32 v12, v12, v20, s62
	v_perm_b32 v16, v9, v17, s61
	v_perm_b32 v20, v13, v21, s61
	v_perm_b32 v9, v9, v17, s62
	v_perm_b32 v13, v13, v21, s62
	v_perm_b32 v17, v10, v18, s61
	v_perm_b32 v21, v14, v22, s61
	v_perm_b32 v10, v10, v18, s62
	v_perm_b32 v14, v14, v22, s62
	v_perm_b32 v18, v11, v19, s61
	v_perm_b32 v22, v15, v23, s61
	v_perm_b32 v11, v11, v19, s62
	v_perm_b32 v15, v15, v23, s62
	ds_write2st64_b32 v5, v34, v35 offset0:128 offset1:160
	ds_write2st64_b32 v7, v8, v12 offset0:128 offset1:160
	;; [unrolled: 1-line block ×8, first 2 shown]
	v_or_b32_e32 v5, 48, v78
	v_lshl_or_b32 v7, v5, 3, v6
	v_lshlrev_b32_e32 v5, 8, v5
	v_or_b32_e32 v102, v5, v29
	v_or_b32_e32 v103, v5, v30
	;; [unrolled: 1-line block ×3, first 2 shown]
	v_lshlrev_b32_e32 v5, 3, v5
	v_lshrrev_b32_e32 v9, 5, v76
	v_and_or_b32 v9, v5, s3, v9
	v_lshlrev_b32_e32 v9, 4, v9
	v_or_b32_e32 v100, 0x4000, v7
	v_or_b32_e32 v101, 0x6000, v7
	v_lshlrev_b32_e32 v7, 11, v74
	v_and_b32_e32 v5, 0x78, v5
	v_or_b32_e32 v14, 32, v9
	v_and_b32_e32 v8, 0x1000, v7
	v_xor_b32_e32 v10, v9, v5
	v_lshrrev_b32_e32 v11, 1, v0
	v_xor_b32_e32 v14, v14, v5
	v_or_b32_e32 v10, v10, v8
	v_and_b32_e32 v12, 8, v11
	v_or_b32_e32 v14, v14, v8
	v_xor_b32_e32 v104, v10, v12
	v_lshlrev_b32_e32 v10, 8, v77
	v_xor_b32_e32 v106, v14, v12
	v_or_b32_e32 v14, 64, v9
	v_or_b32_e32 v9, 0x60, v9
	v_or_b32_e32 v13, v10, v24
	v_xor_b32_e32 v14, v14, v5
	v_xor_b32_e32 v5, v9, v5
	s_ashr_i32 s3, s2, 31
	v_lshlrev_b32_e32 v13, 1, v13
	v_or_b32_e32 v14, v14, v8
	v_or_b32_e32 v5, v5, v8
	s_lshl_b64 s[28:29], s[2:3], 8
	v_or_b32_e32 v105, 0x4000, v13
	v_or_b32_e32 v107, 0x4080, v13
	;; [unrolled: 1-line block ×4, first 2 shown]
	v_xor_b32_e32 v110, v14, v12
	v_xor_b32_e32 v111, v5, v12
	v_or_b32_e32 v112, 0x6000, v13
	v_or_b32_e32 v113, 0x6080, v13
	;; [unrolled: 1-line block ×4, first 2 shown]
	v_lshlrev_b32_e32 v12, 1, v4
	v_add_lshl_u32 v13, v4, s23, 1
	s_add_u32 s28, s4, s28
	v_lshlrev_b32_e32 v4, 1, v78
	v_lshrrev_b32_e32 v15, 4, v0
	s_addc_u32 s29, s5, s29
	v_or_b32_e32 v5, 1, v4
	v_mov_b32_e32 v19, 0xa000
	v_mov_b32_e32 v20, 0x8000
	v_xor_b32_e32 v16, v15, v4
	v_xor_b32_e32 v17, v5, v15
	v_lshl_add_u64 v[4:5], s[28:29], 0, v[66:67]
	v_lshlrev_b32_e32 v66, 8, v15
	v_cndmask_b32_e32 v19, v19, v20, vcc
	v_lshlrev_b32_e32 v20, 3, v74
	v_and_b32_e32 v11, 24, v11
	v_lshl_or_b32 v116, v16, 3, v66
	v_and_b32_e32 v16, 8, v0
	v_xor_b32_e32 v21, v20, v11
	v_or_b32_e32 v22, 0x440, v21
	v_cmp_eq_u32_e32 vcc, 0, v16
	v_and_b32_e32 v15, 7, v0
	v_lshl_or_b32 v117, v17, 3, v66
	v_cndmask_b32_e32 v16, v22, v21, vcc
	v_lshlrev_b32_e32 v17, 3, v15
	v_lshlrev_b32_e32 v15, 7, v15
	v_or_b32_e32 v16, v16, v7
	v_lshlrev_b32_e32 v18, 2, v0
	v_xad_u32 v118, v16, v17, v15
	v_or_b32_e32 v16, 32, v11
	v_and_or_b32 v10, v18, 60, v10
	v_xor_b32_e32 v16, v20, v16
	v_lshlrev_b32_e32 v10, 1, v10
	v_or_b32_e32 v18, 0x440, v16
	v_or_b32_e32 v119, 0x6000, v10
	v_cndmask_b32_e32 v16, v18, v16, vcc
	v_or_b32_e32 v121, 0x6080, v10
	v_or_b32_e32 v122, 0x6100, v10
	;; [unrolled: 1-line block ×5, first 2 shown]
	v_xor_b32_e32 v10, v20, v10
	v_xad_u32 v120, v16, v17, v15
	v_xor_b32_e32 v16, 0x440, v10
	v_cndmask_b32_e32 v10, v16, v10, vcc
	v_or_b32_e32 v10, v10, v7
	v_xad_u32 v124, v10, v17, v15
	v_or_b32_e32 v10, 0x60, v11
	v_xor_b32_e32 v10, v20, v10
	v_xor_b32_e32 v11, 0x440, v10
	v_or_b32_e32 v8, s2, v78
	v_cndmask_b32_e32 v10, v11, v10, vcc
	v_ashrrev_i32_e32 v9, 31, v8
	v_or_b32_e32 v7, v10, v7
	v_or_b32_e32 v14, 0x100, v3
	v_xad_u32 v125, v7, v17, v15
	v_lshlrev_b64 v[8:9], 1, v[8:9]
	v_cndmask_b32_e64 v126, v12, v3, s[0:1]
	v_cndmask_b32_e64 v127, v13, v14, s[0:1]
	v_lshl_add_u64 v[68:69], s[16:17], 0, v[8:9]
	v_lshl_add_u64 v[70:71], s[6:7], 0, v[8:9]
	;; [unrolled: 1-line block ×3, first 2 shown]
	s_mov_b32 s3, 0x7060302
	v_lshlrev_b32_e32 v66, 1, v6
	v_add_u32_e32 v129, v19, v118
	v_add_u32_e32 v130, v19, v120
	;; [unrolled: 1-line block ×4, first 2 shown]
	v_mov_b32_e32 v59, v67
	v_mov_b32_e32 v60, v67
	;; [unrolled: 1-line block ×27, first 2 shown]
	s_waitcnt lgkmcnt(0)
	s_barrier
	s_branch .LBB101_7
.LBB101_6:                              ;   in Loop: Header=BB101_7 Depth=1
	s_waitcnt vmcnt(6)
	v_mul_f32_e32 v22, s44, v133
	v_exp_f32_e32 v134, v22
	v_accvgpr_read_b32 v5, a3
	v_accvgpr_read_b32 v9, a7
	;; [unrolled: 1-line block ×4, first 2 shown]
	s_waitcnt vmcnt(4)
	v_accvgpr_read_b32 v18, a20
	v_accvgpr_read_b32 v25, a19
	;; [unrolled: 1-line block ×28, first 2 shown]
	s_add_i32 s57, s57, 64
	v_pk_fma_f32 v[62:63], v[134:135], v[62:63], v[2:3] op_sel_hi:[0,1,1]
	v_pk_fma_f32 v[64:65], v[134:135], v[64:65], v[4:5] op_sel_hi:[0,1,1]
	;; [unrolled: 1-line block ×16, first 2 shown]
	s_cmp_eq_u32 s51, s65
	s_mov_b32 s63, s65
	s_cbranch_scc1 .LBB101_17
.LBB101_7:                              ; =>This Inner Loop Header: Depth=1
	s_add_i32 s65, s63, 1
	s_cmp_lt_i32 s65, s51
	s_mov_b64 s[36:37], 0
	s_cselect_b64 s[44:45], -1, 0
	s_cmp_ge_i32 s65, s51
	s_mov_b64 s[28:29], 0
	s_cbranch_scc1 .LBB101_9
; %bb.8:                                ;   in Loop: Header=BB101_7 Depth=1
	s_add_i32 s0, s57, 64
	s_ashr_i32 s1, s0, 31
	s_add_u32 s0, s54, s0
	s_addc_u32 s1, s53, s1
	s_lshl_b64 s[0:1], s[0:1], 8
	s_add_u32 s28, s14, s0
	s_addc_u32 s29, s15, s1
.LBB101_9:                              ;   in Loop: Header=BB101_7 Depth=1
	v_cndmask_b32_e64 v2, 0, 1, s[44:45]
	v_cmp_ne_u32_e64 s[0:1], 1, v2
	s_andn2_b64 vcc, exec, s[44:45]
	s_cbranch_vccnz .LBB101_11
; %bb.10:                               ;   in Loop: Header=BB101_7 Depth=1
	s_add_i32 s36, s57, 64
	s_mul_hi_i32 s37, s36, s22
	s_mul_i32 s36, s36, s22
	s_add_u32 s36, s36, s55
	s_addc_u32 s37, s37, s59
	s_lshl_b64 s[36:37], s[36:37], 8
	s_add_u32 s36, s12, s36
	s_addc_u32 s37, s13, s37
.LBB101_11:                             ;   in Loop: Header=BB101_7 Depth=1
	v_perm_b32 v3, v65, v64, s3
	v_perm_b32 v2, v63, v62, s3
	v_perm_b32 v5, v61, v60, s3
	v_perm_b32 v4, v59, v58, s3
	ds_write_b64 v88, v[2:3]
	ds_write_b64 v89, v[4:5]
	ds_write_b64 v94, v[2:3]
	ds_write_b64 v95, v[4:5]
	v_perm_b32 v3, v57, v56, s3
	v_perm_b32 v2, v55, v54, s3
	v_perm_b32 v5, v53, v52, s3
	v_perm_b32 v4, v51, v50, s3
	ds_write_b64 v90, v[2:3]
	ds_write_b64 v91, v[4:5]
	ds_write_b64 v96, v[2:3]
	ds_write_b64 v97, v[4:5]
	;; [unrolled: 8-line block ×4, first 2 shown]
	s_waitcnt lgkmcnt(0)
	s_barrier
	ds_read_b64 v[6:7], v104 offset:49152
	ds_read2_b64 v[2:5], v105 offset1:16
	ds_read_b64 v[18:19], v107 offset:6144
	ds_read_b64 v[20:21], v105 offset:6144
	s_waitcnt lgkmcnt(2)
	v_mfma_f32_16x16x16_bf16 a[0:3], v[6:7], v[2:3], 0
	ds_read_b64 v[22:23], v106 offset:49152
	ds_read2st64_b64 v[10:13], v108 offset0:4 offset1:8
	ds_read2st64_b64 v[14:17], v109 offset0:4 offset1:8
	v_mfma_f32_16x16x16_bf16 a[4:7], v[6:7], v[4:5], 0
	ds_read2_b64 v[2:5], v105 offset0:32 offset1:48
	s_add_i32 s39, s57, 63
	s_ashr_i32 s44, s39, 31
	s_waitcnt lgkmcnt(0)
	v_mfma_f32_16x16x16_bf16 a[8:11], v[6:7], v[2:3], 0
	s_mul_i32 s45, s39, s11
	s_mul_hi_u32 s66, s39, s10
	s_add_i32 s45, s66, s45
	v_mfma_f32_16x16x16_bf16 a[12:15], v[6:7], v[4:5], 0
	ds_read2st64_b64 v[2:5], v105 offset0:4 offset1:8
	ds_read2st64_b64 v[6:9], v107 offset0:4 offset1:8
	s_mul_i32 s44, s44, s10
	s_waitcnt lgkmcnt(1)
	v_mfma_f32_16x16x16_bf16 a[0:3], v[22:23], v[2:3], a[0:3]
	s_add_i32 s45, s45, s44
	s_mul_i32 s44, s39, s10
	s_lshl_b64 s[44:45], s[44:45], 2
	s_waitcnt lgkmcnt(0)
	v_mfma_f32_16x16x16_bf16 a[4:7], v[22:23], v[6:7], a[4:7]
	s_add_u32 s44, s42, s44
	s_addc_u32 s45, s43, s45
	s_and_b64 vcc, exec, s[0:1]
	v_mfma_f32_16x16x16_bf16 a[8:11], v[22:23], v[10:11], a[8:11]
	ds_read_b64 v[2:3], v110 offset:49152
	ds_read_b64 v[6:7], v111 offset:49152
	;; [unrolled: 1-line block ×3, first 2 shown]
	v_mov_b32_e32 v136, 0
	v_mov_b32_e32 v135, 0
	v_mfma_f32_16x16x16_bf16 a[12:15], v[22:23], v[14:15], a[12:15]
	v_mov_b32_e32 v134, 0
	v_mov_b32_e32 v14, 0
	;; [unrolled: 1-line block ×3, first 2 shown]
	s_waitcnt lgkmcnt(2)
	v_mfma_f32_16x16x16_bf16 a[0:3], v[2:3], v[4:5], a[0:3]
	v_mov_b32_e32 v4, 0
	v_mov_b32_e32 v5, 0
	v_mfma_f32_16x16x16_bf16 a[4:7], v[2:3], v[8:9], a[4:7]
	v_mov_b32_e32 v8, 0
	v_mov_b32_e32 v9, 0
	;; [unrolled: 3-line block ×3, first 2 shown]
	v_mfma_f32_16x16x16_bf16 a[12:15], v[2:3], v[16:17], a[12:15]
	ds_read_b64 v[2:3], v108 offset:6144
	v_mov_b32_e32 v16, 0
	v_mov_b32_e32 v17, 0
	s_waitcnt lgkmcnt(2)
	v_mfma_f32_16x16x16_bf16 a[0:3], v[6:7], v[20:21], a[0:3]
	v_mfma_f32_16x16x16_bf16 a[4:7], v[6:7], v[18:19], a[4:7]
	s_waitcnt lgkmcnt(0)
	v_mfma_f32_16x16x16_bf16 a[8:11], v[6:7], v[2:3], a[8:11]
	v_mov_b32_e32 v2, 0
	v_mov_b32_e32 v3, 0
	v_mfma_f32_16x16x16_bf16 a[12:15], v[6:7], v[10:11], a[12:15]
	v_mov_b32_e32 v6, 0
	v_mov_b32_e32 v7, 0
	;; [unrolled: 1-line block ×4, first 2 shown]
	s_cbranch_vccnz .LBB101_13
; %bb.12:                               ;   in Loop: Header=BB101_7 Depth=1
	s_and_b32 s29, s29, 0xffff
	buffer_load_dwordx4 v[14:17], v84, s[28:31], 0 offen
	buffer_load_dwordx4 v[10:13], v84, s[28:31], s60 offen
	;; [unrolled: 1-line block ×4, first 2 shown]
	v_mov_b32_e32 v135, v86
	v_mov_b32_e32 v134, v87
.LBB101_13:                             ;   in Loop: Header=BB101_7 Depth=1
	ds_read_b64 v[142:143], v104 offset:57344
	ds_read2_b64 v[18:21], v112 offset1:16
	ds_read_b64 v[144:145], v106 offset:57344
	ds_read_b64 v[146:147], v110 offset:57344
	;; [unrolled: 1-line block ×3, first 2 shown]
	v_add_u32_e32 v137, s57, v128
	s_waitcnt lgkmcnt(3)
	v_mfma_f32_16x16x16_bf16 a[0:3], v[142:143], v[18:19], a[0:3]
	v_mfma_f32_16x16x16_bf16 a[4:7], v[142:143], v[20:21], a[4:7]
	ds_read2_b64 v[18:21], v112 offset0:32 offset1:48
	ds_read2st64_b64 v[22:25], v112 offset0:4 offset1:8
	ds_read2st64_b64 v[26:29], v113 offset0:4 offset1:8
	;; [unrolled: 1-line block ×4, first 2 shown]
	s_waitcnt lgkmcnt(4)
	v_mfma_f32_16x16x16_bf16 a[8:11], v[142:143], v[18:19], a[8:11]
	v_ashrrev_i32_e32 v18, 31, v137
	v_mfma_f32_16x16x16_bf16 a[12:15], v[142:143], v[20:21], a[12:15]
	v_mul_lo_u32 v20, v18, s10
	v_mul_lo_u32 v21, v137, s11
	v_mad_u64_u32 v[18:19], s[28:29], v137, s10, 0
	v_add3_u32 v19, v19, v21, v20
	v_add_u32_e32 v20, 1, v137
	v_ashrrev_i32_e32 v21, 31, v20
	s_waitcnt lgkmcnt(3)
	v_mfma_f32_16x16x16_bf16 a[0:3], v[144:145], v[22:23], a[0:3]
	v_mul_lo_u32 v22, v21, s10
	v_mul_lo_u32 v23, v20, s11
	v_mad_u64_u32 v[20:21], s[28:29], v20, s10, 0
	v_add3_u32 v21, v21, v23, v22
	v_add_u32_e32 v22, 2, v137
	v_ashrrev_i32_e32 v23, 31, v22
	s_waitcnt lgkmcnt(2)
	v_mfma_f32_16x16x16_bf16 a[4:7], v[144:145], v[26:27], a[4:7]
	v_mul_lo_u32 v26, v23, s10
	v_mul_lo_u32 v27, v22, s11
	v_mad_u64_u32 v[22:23], s[28:29], v22, s10, 0
	v_lshl_add_u64 v[18:19], v[18:19], 2, s[42:43]
	v_lshl_add_u64 v[20:21], v[20:21], 2, s[42:43]
	v_add3_u32 v23, v23, v27, v26
	v_add_u32_e32 v26, 3, v137
	s_waitcnt lgkmcnt(1)
	v_mfma_f32_16x16x16_bf16 a[8:11], v[144:145], v[30:31], a[8:11]
	global_load_dword v31, v[18:19], off
	global_load_dword v137, v[20:21], off
	v_mad_u64_u32 v[18:19], s[28:29], v26, s10, 0
	v_ashrrev_i32_e32 v27, 31, v26
	s_ashr_i32 s29, s57, 31
	v_mul_lo_u32 v27, v27, s10
	v_mul_lo_u32 v30, v26, s11
	s_add_u32 s28, s54, s57
	v_lshl_add_u64 v[22:23], v[22:23], 2, s[42:43]
	v_add3_u32 v19, v19, v30, v27
	s_addc_u32 s29, s53, s29
	s_waitcnt lgkmcnt(0)
	v_mfma_f32_16x16x16_bf16 a[12:15], v[144:145], v[138:139], a[12:15]
	v_lshl_add_u64 v[18:19], v[18:19], 2, s[42:43]
	global_load_dword v30, v[22:23], off
	global_load_dword v138, v[18:19], off
	s_lshl_b64 s[28:29], s[28:29], 8
	v_lshl_add_u64 v[18:19], v[68:69], 0, s[28:29]
	v_lshl_add_u64 v[18:19], v[18:19], 0, v[66:67]
	global_load_ushort v139, v[18:19], off offset:256
	global_load_ushort v142, v[18:19], off
	global_load_ushort v143, v[18:19], off offset:768
	global_load_ushort v144, v[18:19], off offset:512
	global_load_ushort v145, v[18:19], off offset:288
	global_load_ushort v150, v[18:19], off offset:32
	global_load_ushort v151, v[18:19], off offset:800
	global_load_ushort v152, v[18:19], off offset:544
	s_load_dword s44, s[44:45], 0x0
	v_mfma_f32_16x16x16_bf16 a[12:15], v[146:147], v[140:141], a[12:15]
	global_load_ushort v140, v[18:19], off offset:320
	global_load_ushort v141, v[18:19], off offset:64
	s_and_b64 vcc, exec, s[0:1]
	v_mfma_f32_16x16x16_bf16 a[0:3], v[146:147], v[24:25], a[0:3]
	ds_read_b64 v[20:21], v112 offset:6144
	ds_read_b64 v[22:23], v113 offset:6144
	;; [unrolled: 1-line block ×4, first 2 shown]
	v_mfma_f32_16x16x16_bf16 a[4:7], v[146:147], v[28:29], a[4:7]
	s_waitcnt vmcnt(11) lgkmcnt(0)
	v_sub_f32_e32 v28, s44, v30
	v_mfma_f32_16x16x16_bf16 a[8:11], v[146:147], v[32:33], a[8:11]
	global_load_ushort v146, v[18:19], off offset:832
	global_load_ushort v147, v[18:19], off offset:576
	;; [unrolled: 1-line block ×6, first 2 shown]
	v_mfma_f32_16x16x16_bf16 a[0:3], v[148:149], v[20:21], a[0:3]
	s_waitcnt vmcnt(16)
	v_sub_f32_e32 v29, s44, v138
	v_mul_f32_e32 v28, 0x3fb8aa3b, v28
	v_mul_f32_e32 v29, 0x3fb8aa3b, v29
	v_exp_f32_e32 v28, v28
	v_exp_f32_e32 v29, v29
	s_waitcnt vmcnt(15)
	v_lshlrev_b32_e32 v33, 16, v139
	s_waitcnt vmcnt(14)
	v_lshlrev_b32_e32 v32, 16, v142
	v_accvgpr_read_b32 v21, a3
	v_accvgpr_read_b32 v20, a2
	v_mfma_f32_16x16x16_bf16 a[2:5], v[148:149], v[22:23], a[4:7]
	v_accvgpr_read_b32 v139, a1
	v_accvgpr_read_b32 v138, a0
	v_pk_add_f32 v[32:33], v[32:33], v[138:139] neg_lo:[0,1] neg_hi:[0,1]
	v_mfma_f32_16x16x16_bf16 a[6:9], v[148:149], v[24:25], a[8:11]
	s_waitcnt vmcnt(13)
	v_lshlrev_b32_e32 v139, 16, v143
	s_waitcnt vmcnt(12)
	v_lshlrev_b32_e32 v138, 16, v144
	v_pk_add_f32 v[20:21], v[138:139], v[20:21] neg_lo:[0,1] neg_hi:[0,1]
	v_accvgpr_read_b32 v139, a3
	v_accvgpr_read_b32 v138, a2
	;; [unrolled: 1-line block ×6, first 2 shown]
	v_mfma_f32_16x16x16_bf16 a[8:11], v[148:149], v[26:27], a[12:15]
	v_sub_f32_e32 v26, s44, v31
	v_sub_f32_e32 v27, s44, v137
	v_mul_f32_e32 v26, 0x3fb8aa3b, v26
	v_mul_f32_e32 v27, 0x3fb8aa3b, v27
	v_exp_f32_e32 v26, v26
	v_exp_f32_e32 v27, v27
	v_lshl_add_u64 v[30:31], v[70:71], 0, s[28:29]
	v_lshl_add_u64 v[30:31], v[30:31], 0, v[66:67]
	global_store_short_d16_hi v[30:31], v32, off
	global_store_short_d16_hi v[30:31], v33, off offset:256
	global_store_short_d16_hi v[30:31], v20, off offset:512
	;; [unrolled: 1-line block ×3, first 2 shown]
	v_pk_mul_f32 v[32:33], v[26:27], v[32:33]
	v_pk_mul_f32 v[20:21], v[28:29], v[20:21]
	v_accvgpr_read_b32 v25, a11
	v_perm_b32 v21, v21, v20, s3
	v_perm_b32 v20, v33, v32, s3
	s_waitcnt vmcnt(15)
	v_lshlrev_b32_e32 v33, 16, v145
	s_waitcnt vmcnt(14)
	v_lshlrev_b32_e32 v32, 16, v150
	v_pk_add_f32 v[32:33], v[32:33], v[138:139] neg_lo:[0,1] neg_hi:[0,1]
	s_waitcnt vmcnt(13)
	v_lshlrev_b32_e32 v139, 16, v151
	s_waitcnt vmcnt(12)
	v_lshlrev_b32_e32 v138, 16, v152
	v_pk_add_f32 v[22:23], v[138:139], v[22:23] neg_lo:[0,1] neg_hi:[0,1]
	global_store_short_d16_hi v[30:31], v32, off offset:32
	global_store_short_d16_hi v[30:31], v33, off offset:288
	;; [unrolled: 1-line block ×4, first 2 shown]
	v_pk_mul_f32 v[32:33], v[26:27], v[32:33]
	v_pk_mul_f32 v[22:23], v[28:29], v[22:23]
	v_accvgpr_read_b32 v24, a10
	v_perm_b32 v23, v23, v22, s3
	v_perm_b32 v22, v33, v32, s3
	ds_write2_b64 v89, v[20:21], v[22:23] offset1:16
	v_accvgpr_read_b32 v23, a7
	s_waitcnt vmcnt(15)
	v_lshlrev_b32_e32 v21, 16, v140
	s_waitcnt vmcnt(14)
	v_lshlrev_b32_e32 v20, 16, v141
	v_accvgpr_read_b32 v22, a6
	v_pk_add_f32 v[20:21], v[20:21], v[22:23] neg_lo:[0,1] neg_hi:[0,1]
	global_store_short_d16_hi v[30:31], v20, off offset:64
	global_store_short_d16_hi v[30:31], v21, off offset:320
	v_pk_mul_f32 v[20:21], v[26:27], v[20:21]
	v_mov_b32_e32 v137, 0
	v_perm_b32 v20, v21, v20, s3
	v_mov_b32_e32 v32, 0
	v_mov_b32_e32 v33, 0
	s_waitcnt vmcnt(15)
	v_lshlrev_b32_e32 v23, 16, v146
	s_waitcnt vmcnt(14)
	v_lshlrev_b32_e32 v22, 16, v147
	v_pk_add_f32 v[18:19], v[22:23], v[18:19] neg_lo:[0,1] neg_hi:[0,1]
	global_store_short_d16_hi v[30:31], v18, off offset:576
	global_store_short_d16_hi v[30:31], v19, off offset:832
	v_pk_mul_f32 v[18:19], v[28:29], v[18:19]
	v_accvgpr_read_b32 v23, a9
	v_perm_b32 v21, v19, v18, s3
	s_waitcnt vmcnt(15)
	v_lshlrev_b32_e32 v19, 16, v153
	s_waitcnt vmcnt(14)
	v_lshlrev_b32_e32 v18, 16, v154
	v_accvgpr_read_b32 v22, a8
	v_pk_add_f32 v[18:19], v[18:19], v[22:23] neg_lo:[0,1] neg_hi:[0,1]
	s_waitcnt vmcnt(13)
	v_lshlrev_b32_e32 v23, 16, v155
	s_waitcnt vmcnt(12)
	v_lshlrev_b32_e32 v22, 16, v156
	v_pk_add_f32 v[22:23], v[22:23], v[24:25] neg_lo:[0,1] neg_hi:[0,1]
	global_store_short_d16_hi v[30:31], v18, off offset:96
	global_store_short_d16_hi v[30:31], v19, off offset:352
	;; [unrolled: 1-line block ×4, first 2 shown]
	v_pk_mul_f32 v[18:19], v[26:27], v[18:19]
	v_pk_mul_f32 v[22:23], v[28:29], v[22:23]
	v_mov_b32_e32 v24, 0
	v_perm_b32 v23, v23, v22, s3
	v_perm_b32 v22, v19, v18, s3
	ds_write2_b64 v89, v[20:21], v[22:23] offset0:32 offset1:48
	v_mov_b32_e32 v18, 0
	v_mov_b32_e32 v19, 0
	v_mov_b32_e32 v20, 0
	v_mov_b32_e32 v21, 0
	v_mov_b32_e32 v22, 0
	v_mov_b32_e32 v23, 0
	v_mov_b32_e32 v25, 0
	v_mov_b32_e32 v26, 0
	v_mov_b32_e32 v27, 0
	v_mov_b32_e32 v28, 0
	v_mov_b32_e32 v29, 0
	v_mov_b32_e32 v30, 0
	v_mov_b32_e32 v31, 0
	s_cbranch_vccnz .LBB101_15
; %bb.14:                               ;   in Loop: Header=BB101_7 Depth=1
	s_and_b32 s37, s37, 0xffff
	s_mov_b32 s39, s31
	buffer_load_dwordx4 v[30:33], v126, s[36:39], 0 offen
	buffer_load_dwordx4 v[22:25], v126, s[36:39], s60 offen
	;; [unrolled: 1-line block ×4, first 2 shown]
	v_mov_b32_e32 v136, v83
	v_mov_b32_e32 v137, v82
.LBB101_15:                             ;   in Loop: Header=BB101_7 Depth=1
	s_waitcnt lgkmcnt(0)
	s_barrier
	ds_read_b64 v[146:147], v129
	ds_read2_b64 v[138:141], v119 offset1:16
	ds_read_b64 v[162:163], v130
	ds_read_b64 v[164:165], v131
	;; [unrolled: 1-line block ×3, first 2 shown]
	ds_read2_b64 v[142:145], v119 offset0:32 offset1:48
	s_waitcnt lgkmcnt(4)
	v_mfma_f32_16x16x16_bf16 a[0:3], v[146:147], v[138:139], 0
	ds_read2st64_b64 v[150:153], v121 offset0:4 offset1:8
	ds_read2st64_b64 v[154:157], v122 offset0:4 offset1:8
	;; [unrolled: 1-line block ×3, first 2 shown]
	v_mfma_f32_16x16x16_bf16 a[4:7], v[146:147], v[140:141], 0
	s_add_i32 s28, s52, s63
	s_mul_hi_i32 s29, s28, s33
	s_mul_i32 s28, s28, s33
	s_waitcnt lgkmcnt(3)
	v_mfma_f32_16x16x16_bf16 a[8:11], v[146:147], v[142:143], 0
	s_add_u32 s28, s28, s47
	s_addc_u32 s29, s29, s58
	s_lshl_b64 s[28:29], s[28:29], 15
	v_mfma_f32_16x16x16_bf16 a[12:15], v[146:147], v[144:145], 0
	ds_read2st64_b64 v[146:149], v119 offset0:4 offset1:8
	s_waitcnt lgkmcnt(0)
	v_mfma_f32_16x16x16_bf16 a[0:3], v[162:163], v[146:147], a[0:3]
	v_mfma_f32_16x16x16_bf16 a[4:7], v[162:163], v[150:151], a[4:7]
	;; [unrolled: 1-line block ×8, first 2 shown]
	ds_read_b64 v[162:163], v119 offset:6144
	ds_read_b64 v[164:165], v120 offset:40960
	;; [unrolled: 1-line block ×8, first 2 shown]
	s_waitcnt lgkmcnt(5)
	v_mfma_f32_16x16x16_bf16 a[16:19], v[168:169], v[138:139], 0
	v_mfma_f32_16x16x16_bf16 a[20:23], v[168:169], v[140:141], 0
	ds_read2st64_b64 v[138:141], v116 offset1:8
	v_mfma_f32_16x16x16_bf16 a[24:27], v[168:169], v[142:143], 0
	v_mfma_f32_16x16x16_bf16 a[28:31], v[168:169], v[144:145], 0
	ds_read2st64_b64 v[142:145], v117 offset1:8
	v_mfma_f32_16x16x16_bf16 a[16:19], v[164:165], v[146:147], a[16:19]
	s_waitcnt lgkmcnt(1)
	v_mov_b32_e32 v146, v138
	v_mov_b32_e32 v147, v139
	v_mfma_f32_16x16x16_bf16 a[20:23], v[164:165], v[150:151], a[20:23]
	v_lshl_add_u64 v[150:151], v[72:73], 0, s[28:29]
	v_mfma_f32_16x16x16_bf16 a[24:27], v[164:165], v[154:155], a[24:27]
	v_mfma_f32_16x16x16_bf16 a[28:31], v[164:165], v[158:159], a[28:31]
	;; [unrolled: 1-line block ×3, first 2 shown]
	s_waitcnt lgkmcnt(0)
	v_mov_b32_e32 v148, v142
	v_mov_b32_e32 v149, v143
	;; [unrolled: 1-line block ×3, first 2 shown]
	v_mfma_f32_16x16x16_bf16 a[32:35], v[176:177], v[152:153], a[20:23]
	v_mov_b32_e32 v143, v141
	ds_read2st64_b64 v[138:141], v116 offset0:16 offset1:24
	global_store_dwordx4 v[150:151], v[146:149], off
	v_mfma_f32_16x16x16_bf16 a[24:27], v[176:177], v[156:157], a[24:27]
	ds_read2st64_b64 v[146:149], v117 offset0:16 offset1:24
	v_add_co_u32_e32 v152, vcc, s25, v150
	v_mfma_f32_16x16x16_bf16 a[28:31], v[176:177], v[160:161], a[28:31]
	s_nop 0
	v_addc_co_u32_e32 v153, vcc, 0, v151, vcc
	global_store_dwordx4 v[152:153], v[142:145], off offset:-4096
	v_mfma_f32_16x16x16_bf16 a[0:3], v[166:167], v[162:163], a[0:3]
	s_waitcnt lgkmcnt(1)
	v_mov_b32_e32 v142, v138
	v_add_co_u32_e32 v138, vcc, s64, v150
	v_mfma_f32_16x16x16_bf16 a[4:7], v[166:167], v[170:171], a[4:7]
	v_mov_b32_e32 v143, v139
	v_addc_co_u32_e32 v139, vcc, 0, v151, vcc
	v_mfma_f32_16x16x16_bf16 a[8:11], v[166:167], v[172:173], a[8:11]
	s_waitcnt lgkmcnt(0)
	v_mov_b32_e32 v144, v146
	v_mov_b32_e32 v145, v147
	;; [unrolled: 1-line block ×3, first 2 shown]
	v_mfma_f32_16x16x16_bf16 a[12:15], v[166:167], v[174:175], a[12:15]
	v_mov_b32_e32 v147, v141
	s_and_b64 vcc, exec, s[0:1]
	global_store_dwordx4 v[152:153], v[142:145], off
	v_mfma_f32_16x16x16_bf16 a[20:23], v[178:179], v[162:163], a[16:19]
	global_store_dwordx4 v[138:139], v[146:149], off
	v_mfma_f32_16x16x16_bf16 a[16:19], v[178:179], v[170:171], a[32:35]
	v_mfma_f32_16x16x16_bf16 a[24:27], v[178:179], v[172:173], a[24:27]
	;; [unrolled: 1-line block ×3, first 2 shown]
	s_cbranch_vccnz .LBB101_6
; %bb.16:                               ;   in Loop: Header=BB101_7 Depth=1
	v_lshrrev_b32_e32 v138, 3, v136
	v_and_b32_e32 v138, 6, v138
	v_xor_b32_e32 v137, v138, v137
	v_lshlrev_b32_e32 v137, 2, v137
	v_and_b32_e32 v136, 8, v136
	v_xor_b32_e32 v139, 0x440, v137
	v_cmp_eq_u32_e32 vcc, 0, v136
	s_barrier
	s_nop 0
	v_cndmask_b32_e32 v136, v139, v137, vcc
	v_lshl_or_b32 v136, v138, 10, v136
	s_waitcnt vmcnt(5)
	v_perm_b32 v137, v30, v26, s61
	s_waitcnt vmcnt(4)
	v_perm_b32 v138, v22, v18, s61
	ds_write2st64_b32 v136, v137, v138 offset0:128 offset1:160
	v_xor_b32_e32 v137, 8, v136
	v_perm_b32 v26, v30, v26, s62
	v_perm_b32 v18, v22, v18, s62
	v_add_u32_e32 v22, 0x80, v137
	ds_write2st64_b32 v22, v26, v18 offset0:128 offset1:160
	v_xor_b32_e32 v18, 16, v136
	v_perm_b32 v22, v31, v27, s61
	v_perm_b32 v26, v23, v19, s61
	ds_write2st64_b32 v18, v22, v26 offset0:129 offset1:161
	v_xor_b32_e32 v18, 24, v136
	v_perm_b32 v22, v31, v27, s62
	v_perm_b32 v19, v23, v19, s62
	v_add_u32_e32 v18, 0x80, v18
	ds_write2st64_b32 v18, v22, v19 offset0:129 offset1:161
	v_xor_b32_e32 v18, 32, v136
	v_perm_b32 v19, v32, v28, s61
	;; [unrolled: 9-line block ×3, first 2 shown]
	v_perm_b32 v20, v25, v21, s61
	ds_write2st64_b32 v18, v19, v20 offset0:131 offset1:163
	v_xor_b32_e32 v18, 56, v136
	v_perm_b32 v19, v33, v29, s62
	v_perm_b32 v20, v25, v21, s62
	v_add_u32_e32 v18, 0x80, v18
	ds_write2st64_b32 v18, v19, v20 offset0:131 offset1:163
	ds_write_b64 v135, v[14:15] offset:49152
	v_xor_b32_e32 v14, 8, v135
	ds_write_b64 v14, v[16:17] offset:49152
	ds_write_b64 v135, v[10:11] offset:57344
	;; [unrolled: 1-line block ×4, first 2 shown]
	v_xor_b32_e32 v6, 8, v134
	ds_write_b64 v6, v[8:9] offset:49152
	ds_write_b64 v134, v[2:3] offset:57344
	ds_write_b64 v6, v[4:5] offset:57344
	s_branch .LBB101_6
.LBB101_17:
	s_lshl_b32 s3, s51, 6
	s_sub_i32 s56, s56, s3
	s_cmp_gt_i32 s56, 0
	v_or_b32_e32 v18, s2, v78
	s_cbranch_scc1 .LBB101_19
; %bb.18:
	s_ashr_i32 s37, s47, 31
	v_or_b32_e32 v2, s2, v78
	s_cbranch_execz .LBB101_20
	s_branch .LBB101_100
.LBB101_19:
                                        ; implicit-def: $vgpr2
                                        ; implicit-def: $sgpr36_sgpr37
.LBB101_20:
	s_add_i32 s36, s3, s40
	s_ashr_i32 s3, s36, 31
	s_cmpk_lg_i32 s23, 0x80
	s_cselect_b64 s[42:43], -1, 0
	s_and_b64 vcc, exec, s[42:43]
	s_cbranch_vccz .LBB101_22
; %bb.21:
	s_mul_hi_i32 s0, s36, s22
	s_mul_i32 s1, s36, s22
	s_ashr_i32 s22, s55, 31
	s_add_u32 s44, s1, s55
	s_addc_u32 s45, s0, s22
	s_cbranch_execz .LBB101_23
	s_branch .LBB101_24
.LBB101_22:
                                        ; implicit-def: $sgpr44_sgpr45
.LBB101_23:
	s_mul_i32 s1, s55, s20
	s_mul_hi_i32 s0, s55, s20
	s_add_u32 s44, s1, s36
	s_addc_u32 s45, s0, s3
.LBB101_24:
	s_add_i32 s20, s51, s52
	s_ashr_i32 s37, s47, 31
	s_add_u32 s0, s54, s36
	v_lshlrev_b32_e32 v6, 6, v1
	v_lshlrev_b32_e32 v26, 2, v78
	s_addc_u32 s1, s53, s3
	s_mov_b32 s3, 0x7060302
	v_or_b32_e32 v9, v6, v26
	v_xor_b32_e32 v7, v1, v26
	v_perm_b32 v3, v65, v64, s3
	v_perm_b32 v2, v63, v62, s3
	;; [unrolled: 1-line block ×4, first 2 shown]
	v_lshlrev_b32_e32 v9, 1, v9
	v_xor_b32_e32 v8, v81, v26
	ds_write2st64_b64 v9, v[2:3], v[4:5] offset0:32 offset1:48
	v_lshlrev_b32_e32 v7, 1, v7
	v_lshlrev_b32_e32 v9, 8, v78
	v_or_b32_e32 v10, v7, v9
	v_lshlrev_b32_e32 v8, 1, v8
	ds_write_b64 v10, v[2:3]
	v_or_b32_e32 v2, v8, v9
	v_or_b32_e32 v9, 16, v78
	v_lshlrev_b32_e32 v25, 2, v9
	v_or_b32_e32 v10, v6, v25
	ds_write_b64 v2, v[4:5]
	v_perm_b32 v3, v57, v56, s3
	v_perm_b32 v2, v55, v54, s3
	;; [unrolled: 1-line block ×4, first 2 shown]
	v_lshlrev_b32_e32 v10, 1, v10
	v_lshlrev_b32_e32 v9, 8, v9
	ds_write2st64_b64 v10, v[2:3], v[4:5] offset0:32 offset1:48
	v_or_b32_e32 v10, v7, v9
	ds_write_b64 v10, v[2:3]
	v_or_b32_e32 v2, v8, v9
	v_or_b32_e32 v9, 32, v78
	v_lshlrev_b32_e32 v24, 2, v9
	v_or_b32_e32 v10, v6, v24
	ds_write_b64 v2, v[4:5]
	v_perm_b32 v3, v49, v48, s3
	v_perm_b32 v2, v47, v46, s3
	;; [unrolled: 1-line block ×4, first 2 shown]
	v_lshlrev_b32_e32 v10, 1, v10
	v_lshlrev_b32_e32 v9, 8, v9
	s_lshl_b64 s[38:39], s[0:1], 8
	ds_write2st64_b64 v10, v[2:3], v[4:5] offset0:32 offset1:48
	v_or_b32_e32 v10, v7, v9
	s_add_u32 s0, s14, s38
	ds_write_b64 v10, v[2:3]
	v_or_b32_e32 v2, v8, v9
	s_addc_u32 s1, s15, s39
	ds_write_b64 v2, v[4:5]
	v_perm_b32 v3, v41, v40, s3
	v_perm_b32 v2, v39, v38, s3
	;; [unrolled: 1-line block ×4, first 2 shown]
	v_or_b32_e32 v9, 48, v78
	s_mul_hi_i32 s3, s20, s21
	s_mul_i32 s20, s20, s21
	v_lshlrev_b32_e32 v21, 2, v9
	s_add_u32 s14, s20, s47
	v_or_b32_e32 v6, v6, v21
	s_addc_u32 s15, s3, s37
	v_lshlrev_b32_e32 v6, 1, v6
	s_ashr_i32 s3, s2, 31
	s_lshl_b64 s[14:15], s[14:15], 15
	ds_write2st64_b64 v6, v[2:3], v[4:5] offset0:32 offset1:48
	v_lshlrev_b32_e32 v6, 8, v9
	s_add_u32 s4, s4, s14
	v_or_b32_e32 v7, v7, v6
	s_addc_u32 s5, s5, s15
	s_lshl_b64 s[2:3], s[2:3], 8
	ds_write_b64 v7, v[2:3]
	v_or_b32_e32 v2, v8, v6
	s_add_u32 s2, s4, s2
	v_lshlrev_b32_e32 v3, 1, v78
	ds_write_b64 v2, v[4:5]
	v_lshrrev_b32_e32 v2, 4, v0
	s_addc_u32 s3, s5, s3
	v_or_b32_e32 v4, 1, v3
	v_lshlrev_b32_e32 v10, 4, v78
	v_mov_b32_e32 v11, 0
	v_xor_b32_e32 v3, v2, v3
	v_xor_b32_e32 v6, v4, v2
	v_lshl_add_u64 v[12:13], s[2:3], 0, v[10:11]
	v_lshlrev_b32_e32 v10, 8, v2
	v_lshl_or_b32 v16, v3, 3, v10
	v_lshl_or_b32 v17, v6, 3, v10
	s_waitcnt lgkmcnt(0)
	s_barrier
	ds_read2st64_b64 v[2:5], v16 offset1:8
	ds_read2st64_b64 v[6:9], v17 offset1:8
	v_lshl_add_u64 v[14:15], v[12:13], 0, v[10:11]
	s_movk_i32 s2, 0x2000
	s_cmp_lg_u32 s56, 64
	s_waitcnt lgkmcnt(1)
	v_mov_b32_e32 v10, v2
	v_mov_b32_e32 v11, v3
	s_waitcnt lgkmcnt(0)
	v_mov_b32_e32 v12, v6
	v_mov_b32_e32 v13, v7
	global_store_dwordx4 v[14:15], v[10:13], off
	v_mov_b32_e32 v6, v4
	v_mov_b32_e32 v7, v5
	ds_read2st64_b64 v[2:5], v16 offset0:16 offset1:24
	ds_read2st64_b64 v[10:13], v17 offset0:16 offset1:24
	v_add_co_u32_e32 v16, vcc, s2, v14
	s_cselect_b64 s[4:5], -1, 0
	s_nop 0
	v_addc_co_u32_e32 v17, vcc, 0, v15, vcc
	global_store_dwordx4 v[16:17], v[6:9], off offset:-4096
	v_lshl_or_b32 v19, v74, 3, v80
	s_mov_b32 s28, 0
	s_waitcnt lgkmcnt(1)
	v_mov_b32_e32 v6, v2
	v_add_co_u32_e32 v2, vcc, 0x3000, v14
	v_mov_b32_e32 v7, v3
	s_nop 0
	v_addc_co_u32_e32 v3, vcc, 0, v15, vcc
	s_waitcnt lgkmcnt(0)
	v_mov_b32_e32 v8, v10
	v_mov_b32_e32 v9, v11
	;; [unrolled: 1-line block ×4, first 2 shown]
	v_or_b32_e32 v22, 32, v19
	v_and_b32_e32 v20, 56, v79
	s_and_b64 vcc, exec, s[4:5]
	global_store_dwordx4 v[16:17], v[6:9], off
	global_store_dwordx4 v[2:3], v[10:13], off
	s_cbranch_vccz .LBB101_30
; %bb.25:
	s_mov_b32 s29, s28
	s_mov_b32 s30, s28
	;; [unrolled: 1-line block ×3, first 2 shown]
	v_mov_b64_e32 v[6:7], s[28:29]
	v_mov_b64_e32 v[8:9], s[30:31]
	;; [unrolled: 1-line block ×3, first 2 shown]
	v_cmp_gt_i32_e32 vcc, s56, v19
	v_mov_b64_e32 v[4:5], v[8:9]
	s_and_saveexec_b64 s[2:3], vcc
	s_cbranch_execz .LBB101_27
; %bb.26:
	v_lshlrev_b32_e32 v2, 8, v19
	v_mov_b32_e32 v3, 0
	v_lshl_add_u64 v[4:5], s[0:1], 0, v[2:3]
	v_lshlrev_b32_e32 v2, 1, v20
	v_lshl_add_u64 v[10:11], v[4:5], 0, v[2:3]
	global_load_dwordx4 v[6:9], v[10:11], off
	global_load_dwordx4 v[2:5], v[10:11], off offset:128
.LBB101_27:
	s_or_b64 exec, exec, s[2:3]
	s_mov_b32 s29, s28
	s_mov_b32 s30, s28
	;; [unrolled: 1-line block ×3, first 2 shown]
	v_mov_b64_e32 v[14:15], s[28:29]
	v_mov_b64_e32 v[16:17], s[30:31]
	;; [unrolled: 1-line block ×3, first 2 shown]
	v_cmp_gt_i32_e32 vcc, s56, v22
	v_lshlrev_b32_e32 v23, 7, v22
	v_mov_b64_e32 v[12:13], v[16:17]
	s_and_saveexec_b64 s[2:3], vcc
	s_cbranch_execz .LBB101_29
; %bb.28:
	v_lshlrev_b32_e32 v10, 1, v23
	v_mov_b32_e32 v11, 0
	v_lshl_add_u64 v[12:13], s[0:1], 0, v[10:11]
	v_lshlrev_b32_e32 v10, 1, v20
	v_lshl_add_u64 v[28:29], v[12:13], 0, v[10:11]
	global_load_dwordx4 v[14:17], v[28:29], off
	global_load_dwordx4 v[10:13], v[28:29], off offset:128
.LBB101_29:
	s_or_b64 exec, exec, s[2:3]
	v_lshrrev_b32_e32 v27, 3, v20
	v_lshlrev_b32_e32 v28, 3, v19
	v_or_b32_e32 v27, v28, v27
	v_lshlrev_b32_e32 v27, 4, v27
	v_and_b32_e32 v28, 0x78, v28
	v_xor_b32_e32 v27, v27, v28
	s_branch .LBB101_32
.LBB101_30:
                                        ; implicit-def: $vgpr27
                                        ; implicit-def: $vgpr23
                                        ; implicit-def: $vgpr6_vgpr7_vgpr8_vgpr9
                                        ; implicit-def: $vgpr2_vgpr3_vgpr4_vgpr5
                                        ; implicit-def: $vgpr14_vgpr15_vgpr16_vgpr17
                                        ; implicit-def: $vgpr10_vgpr11_vgpr12_vgpr13
	s_cbranch_execz .LBB101_32
; %bb.31:
	s_waitcnt vmcnt(0)
	v_lshlrev_b32_e32 v2, 1, v20
	v_lshl_or_b32 v23, v19, 8, v2
	s_and_b32 s1, s1, 0xffff
	s_mov_b32 s3, 0x20000
	s_movk_i32 s2, 0x4000
	v_lshl_or_b32 v27, v22, 8, v2
	s_movk_i32 s14, 0x80
	buffer_load_dwordx4 v[6:9], v23, s[0:3], 0 offen
	buffer_load_dwordx4 v[2:5], v23, s[0:3], s14 offen
	;; [unrolled: 1-line block ×4, first 2 shown]
	v_lshrrev_b32_e32 v23, 3, v20
	v_lshlrev_b32_e32 v27, 3, v19
	v_or_b32_e32 v23, v27, v23
	v_lshlrev_b32_e32 v23, 4, v23
	v_and_b32_e32 v27, 0x78, v27
	v_xor_b32_e32 v27, v23, v27
	v_lshlrev_b32_e32 v23, 7, v22
.LBB101_32:
	s_movk_i32 s0, 0x1000
	v_and_or_b32 v22, v23, s0, v27
	s_waitcnt vmcnt(1)
	ds_write_b64 v27, v[6:7] offset:49152
	v_xor_b32_e32 v6, 8, v27
	ds_write_b64 v6, v[8:9] offset:49152
	s_waitcnt vmcnt(0)
	ds_write_b64 v27, v[2:3] offset:57344
	ds_write_b64 v6, v[4:5] offset:57344
	;; [unrolled: 1-line block ×3, first 2 shown]
	v_xor_b32_e32 v2, 8, v22
	ds_write_b64 v2, v[16:17] offset:49152
	ds_write_b64 v22, v[10:11] offset:57344
	;; [unrolled: 1-line block ×3, first 2 shown]
	v_or_b32_e32 v2, v75, v78
	v_lshlrev_b32_e32 v2, 3, v2
	v_lshrrev_b32_e32 v3, 5, v76
	s_movk_i32 s0, 0xf8
	v_and_or_b32 v3, v2, s0, v3
	v_lshlrev_b32_e32 v7, 4, v3
	v_lshlrev_b32_e32 v27, 11, v74
	v_and_b32_e32 v8, 0x78, v2
	v_or_b32_e32 v10, 32, v7
	v_and_b32_e32 v6, 0x1000, v27
	v_lshrrev_b32_e32 v3, 1, v76
	v_xor_b32_e32 v10, v10, v8
	v_xor_b32_e32 v2, v7, v8
	v_and_b32_e32 v9, 8, v3
	v_or_b32_e32 v10, v10, v6
	v_or_b32_e32 v2, v2, v6
	v_xor_b32_e32 v33, v10, v9
	v_or_b32_e32 v10, 64, v7
	v_xor_b32_e32 v32, v2, v9
	v_xor_b32_e32 v10, v10, v8
	s_waitcnt lgkmcnt(0)
	s_barrier
	v_or_b32_e32 v13, v10, v6
	ds_read_b64 v[10:11], v32 offset:49152
	v_lshl_or_b32 v14, v77, 8, v26
	v_lshlrev_b32_e32 v28, 1, v14
	v_add_u32_e32 v12, 0x4000, v28
	ds_read2_b64 v[2:5], v12 offset1:16
	v_or_b32_e32 v7, 0x60, v7
	v_xor_b32_e32 v7, v7, v8
	v_or_b32_e32 v6, v7, v6
	v_xor_b32_e32 v66, v13, v9
	v_xor_b32_e32 v67, v6, v9
	ds_read_b64 v[22:23], v33 offset:49152
	ds_read_b64 v[68:69], v66 offset:49152
	;; [unrolled: 1-line block ×3, first 2 shown]
	s_waitcnt lgkmcnt(3)
	v_mfma_f32_16x16x16_bf16 a[0:3], v[10:11], v[2:3], 0
	ds_read2_b64 v[6:9], v12 offset0:32 offset1:48
	s_lshl_b64 s[0:1], s[44:45], 8
	s_add_u32 s12, s12, s0
	v_mfma_f32_16x16x16_bf16 a[4:7], v[10:11], v[4:5], 0
	ds_read2st64_b64 v[2:5], v28 offset0:36 offset1:40
	s_addc_u32 s13, s13, s1
	s_add_i32 s2, s41, -1
	s_waitcnt lgkmcnt(1)
	v_mfma_f32_16x16x16_bf16 a[8:11], v[10:11], v[6:7], 0
	v_or_b32_e32 v6, 64, v14
	v_lshlrev_b32_e32 v29, 1, v6
	s_add_i32 s0, s49, s48
	s_waitcnt lgkmcnt(0)
	v_mfma_f32_16x16x16_bf16 a[0:3], v[22:23], v[2:3], a[0:3]
	v_or_b32_e32 v2, 0x80, v14
	v_lshlrev_b32_e32 v30, 1, v2
	v_or_b32_e32 v2, 0xc0, v14
	v_mfma_f32_16x16x16_bf16 a[12:15], v[10:11], v[8:9], 0
	ds_read2st64_b64 v[6:9], v29 offset0:36 offset1:40
	v_lshlrev_b32_e32 v31, 1, v2
	ds_read2st64_b64 v[10:13], v30 offset0:36 offset1:40
	ds_read2st64_b64 v[14:17], v31 offset0:36 offset1:40
	s_add_i32 s25, s0, s50
	s_mul_i32 s0, s47, s27
	s_mul_hi_u32 s1, s47, s26
	s_ashr_i32 s3, s2, 31
	s_mul_i32 s14, s2, s11
	s_mul_hi_u32 s15, s2, s10
	s_waitcnt lgkmcnt(2)
	v_mfma_f32_16x16x16_bf16 a[4:7], v[22:23], v[6:7], a[4:7]
	s_add_i32 s0, s1, s0
	s_mul_i32 s1, s37, s26
	s_add_i32 s14, s15, s14
	s_mul_i32 s3, s3, s10
	s_waitcnt lgkmcnt(1)
	v_mfma_f32_16x16x16_bf16 a[8:11], v[22:23], v[10:11], a[8:11]
	s_add_i32 s1, s0, s1
	s_add_i32 s3, s14, s3
	s_lshl_b64 s[14:15], s[24:25], 2
	s_waitcnt lgkmcnt(0)
	v_mfma_f32_16x16x16_bf16 a[12:15], v[22:23], v[14:15], a[12:15]
	s_mul_i32 s0, s47, s26
	s_add_u32 s14, s18, s14
	s_addc_u32 s15, s19, s15
	s_lshl_b64 s[0:1], s[0:1], 2
	v_mfma_f32_16x16x16_bf16 a[0:3], v[68:69], v[4:5], a[0:3]
	s_mul_i32 s2, s2, s10
	ds_read_b64 v[2:3], v28 offset:22528
	s_add_u32 s18, s14, s0
	v_mfma_f32_16x16x16_bf16 a[4:7], v[68:69], v[8:9], a[4:7]
	ds_read_b64 v[4:5], v29 offset:22528
	ds_read_b64 v[6:7], v30 offset:22528
	;; [unrolled: 1-line block ×3, first 2 shown]
	s_addc_u32 s19, s15, s1
	s_lshl_b64 s[0:1], s[2:3], 2
	v_mfma_f32_16x16x16_bf16 a[8:11], v[68:69], v[12:13], a[8:11]
	s_add_u32 s0, s18, s0
	s_addc_u32 s1, s19, s1
	s_load_dword s20, s[0:1], 0x0
	v_mfma_f32_16x16x16_bf16 a[12:15], v[68:69], v[16:17], a[12:15]
	s_and_b64 vcc, exec, s[42:43]
	s_waitcnt lgkmcnt(0)
	v_mfma_f32_16x16x16_bf16 a[0:3], v[70:71], v[2:3], a[0:3]
	v_mfma_f32_16x16x16_bf16 a[4:7], v[70:71], v[4:5], a[4:7]
	;; [unrolled: 1-line block ×4, first 2 shown]
	s_cbranch_vccz .LBB101_43
; %bb.33:
	v_lshlrev_b32_e32 v22, 1, v19
	s_and_b64 vcc, exec, s[4:5]
	s_cbranch_vccz .LBB101_44
; %bb.34:
	v_cmp_gt_i32_e32 vcc, s56, v22
	v_mov_b32_e32 v6, 0
	v_mov_b32_e32 v2, 0
	v_mov_b32_e32 v3, 0
	v_mov_b32_e32 v4, 0
	v_mov_b32_e32 v5, 0
	s_and_saveexec_b64 s[0:1], vcc
	s_cbranch_execz .LBB101_36
; %bb.35:
	v_mad_i64_i32 v[2:3], s[2:3], s23, v22, 0
	v_lshl_add_u64 v[2:3], v[2:3], 1, s[12:13]
	v_lshlrev_b32_e32 v4, 1, v20
	v_mov_b32_e32 v5, 0
	v_lshl_add_u64 v[2:3], v[2:3], 0, v[4:5]
	global_load_dwordx4 v[2:5], v[2:3], off
.LBB101_36:
	s_or_b64 exec, exec, s[0:1]
	v_or_b32_e32 v23, 1, v22
	v_cmp_gt_i32_e64 s[0:1], s56, v23
	v_mov_b32_e32 v7, 0
	v_mov_b32_e32 v8, 0
	;; [unrolled: 1-line block ×3, first 2 shown]
	s_and_saveexec_b64 s[2:3], s[0:1]
	s_cbranch_execz .LBB101_38
; %bb.37:
	v_mad_i64_i32 v[6:7], s[14:15], s23, v23, 0
	v_lshl_add_u64 v[6:7], v[6:7], 1, s[12:13]
	v_lshlrev_b32_e32 v8, 1, v20
	v_mov_b32_e32 v9, 0
	v_lshl_add_u64 v[6:7], v[6:7], 0, v[8:9]
	global_load_dwordx4 v[6:9], v[6:7], off
.LBB101_38:
	s_or_b64 exec, exec, s[2:3]
	v_mov_b32_e32 v17, 0
	v_mov_b32_e32 v10, 0
	v_mov_b32_e32 v11, 0
	v_mov_b32_e32 v12, 0
	v_mov_b32_e32 v13, 0
	s_and_saveexec_b64 s[2:3], vcc
	s_cbranch_execz .LBB101_40
; %bb.39:
	v_mad_i64_i32 v[10:11], s[14:15], s23, v22, 0
	v_lshl_add_u64 v[10:11], v[10:11], 1, s[12:13]
	v_lshlrev_b32_e32 v12, 1, v20
	v_mov_b32_e32 v13, 0
	v_lshl_add_u64 v[10:11], v[10:11], 0, v[12:13]
	global_load_dwordx4 v[10:13], v[10:11], off offset:128
.LBB101_40:
	s_or_b64 exec, exec, s[2:3]
	v_mov_b32_e32 v16, 0
	v_mov_b32_e32 v15, 0
	;; [unrolled: 1-line block ×3, first 2 shown]
	s_and_saveexec_b64 s[2:3], s[0:1]
	s_cbranch_execz .LBB101_42
; %bb.41:
	v_mad_i64_i32 v[14:15], s[0:1], s23, v23, 0
	v_lshl_add_u64 v[14:15], v[14:15], 1, s[12:13]
	v_lshlrev_b32_e32 v16, 1, v20
	v_mov_b32_e32 v17, 0
	v_lshl_add_u64 v[14:15], v[14:15], 0, v[16:17]
	global_load_dwordx4 v[14:17], v[14:15], off offset:128
.LBB101_42:
	s_or_b64 exec, exec, s[2:3]
	s_branch .LBB101_46
.LBB101_43:
                                        ; implicit-def: $vgpr5
                                        ; implicit-def: $vgpr9
                                        ; implicit-def: $vgpr13
                                        ; implicit-def: $vgpr17
	v_lshrrev_b32_e32 v68, 2, v76
	s_branch .LBB101_47
.LBB101_44:
                                        ; implicit-def: $vgpr5
                                        ; implicit-def: $vgpr9
                                        ; implicit-def: $vgpr13
                                        ; implicit-def: $vgpr17
	s_cbranch_execz .LBB101_46
; %bb.45:
	s_waitcnt vmcnt(0)
	v_mad_u64_u32 v[2:3], s[0:1], v22, s23, v[20:21]
	v_lshlrev_b32_e32 v22, 1, v2
	s_lshl_b32 s2, s23, 7
	s_and_b32 s1, s13, 0xffff
	s_mov_b32 s3, 0x20000
	s_mov_b32 s0, s12
	v_add_lshl_u32 v23, v2, s23, 1
	s_movk_i32 s14, 0x80
	buffer_load_dwordx4 v[2:5], v22, s[0:3], 0 offen
	buffer_load_dwordx4 v[10:13], v22, s[0:3], s14 offen
	;; [unrolled: 1-line block ×4, first 2 shown]
.LBB101_46:
	v_lshrrev_b32_e32 v68, 2, v76
	s_cbranch_execnz .LBB101_59
.LBB101_47:
	s_and_b64 vcc, exec, s[4:5]
	s_cbranch_vccz .LBB101_57
; %bb.48:
	s_waitcnt vmcnt(0)
	v_lshlrev_b32_e32 v7, 1, v19
	v_cmp_gt_i32_e32 vcc, s56, v7
	v_mov_b32_e32 v6, 0
	v_lshlrev_b32_e32 v14, 9, v19
	v_mov_b32_e32 v2, 0
	v_mov_b32_e32 v3, 0
	;; [unrolled: 1-line block ×4, first 2 shown]
	s_and_saveexec_b64 s[0:1], vcc
	s_cbranch_execz .LBB101_50
; %bb.49:
	v_mov_b32_e32 v15, 0
	v_lshl_add_u64 v[2:3], s[12:13], 0, v[14:15]
	v_lshlrev_b32_e32 v4, 1, v20
	v_mov_b32_e32 v5, v15
	v_lshl_add_u64 v[2:3], v[2:3], 0, v[4:5]
	global_load_dwordx4 v[2:5], v[2:3], off
.LBB101_50:
	s_or_b64 exec, exec, s[0:1]
	v_or_b32_e32 v7, 1, v7
	v_cmp_gt_i32_e64 s[0:1], s56, v7
	v_lshlrev_b32_e32 v22, 8, v7
	v_mov_b32_e32 v7, 0
	v_mov_b32_e32 v8, 0
	;; [unrolled: 1-line block ×3, first 2 shown]
	s_and_saveexec_b64 s[2:3], s[0:1]
	s_cbranch_execz .LBB101_52
; %bb.51:
	v_mov_b32_e32 v23, 0
	v_lshl_add_u64 v[6:7], s[12:13], 0, v[22:23]
	v_lshlrev_b32_e32 v8, 1, v20
	v_mov_b32_e32 v9, v23
	v_lshl_add_u64 v[6:7], v[6:7], 0, v[8:9]
	global_load_dwordx4 v[6:9], v[6:7], off
.LBB101_52:
	s_or_b64 exec, exec, s[2:3]
	v_mov_b32_e32 v17, 0
	v_mov_b32_e32 v10, 0
	;; [unrolled: 1-line block ×5, first 2 shown]
	s_and_saveexec_b64 s[2:3], vcc
	s_cbranch_execz .LBB101_54
; %bb.53:
	v_mov_b32_e32 v15, 0
	v_lshl_add_u64 v[10:11], s[12:13], 0, v[14:15]
	v_lshlrev_b32_e32 v14, 1, v20
	v_lshl_add_u64 v[10:11], v[10:11], 0, v[14:15]
	global_load_dwordx4 v[10:13], v[10:11], off offset:128
.LBB101_54:
	s_or_b64 exec, exec, s[2:3]
	v_mov_b32_e32 v16, 0
	v_mov_b32_e32 v15, 0
	;; [unrolled: 1-line block ×3, first 2 shown]
	s_and_saveexec_b64 s[2:3], s[0:1]
	s_cbranch_execz .LBB101_56
; %bb.55:
	v_mov_b32_e32 v23, 0
	v_lshl_add_u64 v[14:15], s[12:13], 0, v[22:23]
	v_lshlrev_b32_e32 v22, 1, v20
	v_lshl_add_u64 v[14:15], v[14:15], 0, v[22:23]
	global_load_dwordx4 v[14:17], v[14:15], off offset:128
.LBB101_56:
	s_or_b64 exec, exec, s[2:3]
	s_branch .LBB101_59
.LBB101_57:
                                        ; implicit-def: $vgpr5
                                        ; implicit-def: $vgpr9
                                        ; implicit-def: $vgpr13
                                        ; implicit-def: $vgpr17
	s_cbranch_execz .LBB101_59
; %bb.58:
	s_waitcnt vmcnt(0)
	v_lshlrev_b32_e32 v2, 1, v20
	v_lshl_or_b32 v20, v19, 9, v2
	s_and_b32 s13, s13, 0xffff
	s_mov_b32 s15, 0x20000
	s_movk_i32 s14, 0x4000
	s_movk_i32 s0, 0x80
	buffer_load_dwordx4 v[2:5], v20, s[12:15], 0 offen
	buffer_load_dwordx4 v[6:9], v20, s[12:15], 0 offen offset:256
	buffer_load_dwordx4 v[10:13], v20, s[12:15], s0 offen
	buffer_load_dwordx4 v[14:17], v20, s[12:15], s0 offen offset:256
.LBB101_59:
	ds_read_b64 v[22:23], v32 offset:57344
	v_add_u32_e32 v20, 0x6000, v28
	ds_read2_b64 v[70:73], v20 offset1:16
	ds_read_b64 v[32:33], v33 offset:57344
	ds_read_b64 v[88:89], v66 offset:57344
	;; [unrolled: 1-line block ×3, first 2 shown]
	ds_read2st64_b64 v[76:79], v28 offset0:52 offset1:56
	v_and_b32_e32 v69, 1, v0
	v_cmp_eq_u32_e32 vcc, 0, v69
	s_mov_b32 s0, 0x1000504
	s_mov_b32 s1, 0x3020706
	s_waitcnt lgkmcnt(4)
	v_mfma_f32_16x16x16_bf16 a[0:3], v[22:23], v[70:71], a[0:3]
	v_mfma_f32_16x16x16_bf16 a[4:7], v[22:23], v[72:73], a[4:7]
	ds_read2_b64 v[70:73], v20 offset0:32 offset1:48
	v_and_b32_e32 v20, 6, v0
	v_xor_b32_e32 v19, v19, v20
	s_waitcnt lgkmcnt(0)
	v_mfma_f32_16x16x16_bf16 a[8:11], v[22:23], v[70:71], a[8:11]
	v_lshlrev_b32_e32 v19, 2, v19
	v_mfma_f32_16x16x16_bf16 a[12:15], v[22:23], v[72:73], a[12:15]
	ds_read2st64_b64 v[70:73], v29 offset0:52 offset1:56
	ds_read2st64_b64 v[80:83], v30 offset0:52 offset1:56
	;; [unrolled: 1-line block ×3, first 2 shown]
	s_waitcnt lgkmcnt(2)
	v_mfma_f32_16x16x16_bf16 a[4:7], v[32:33], v[70:71], a[4:7]
	v_xor_b32_e32 v70, 0x440, v19
	v_cndmask_b32_e32 v19, v70, v19, vcc
	v_lshl_or_b32 v19, v20, 10, v19
	v_mfma_f32_16x16x16_bf16 a[0:3], v[32:33], v[76:77], a[0:3]
	s_waitcnt vmcnt(0)
	v_perm_b32 v20, v2, v6, s0
	ds_read_b64 v[22:23], v28 offset:30720
	ds_read_b64 v[76:77], v29 offset:30720
	;; [unrolled: 1-line block ×4, first 2 shown]
	v_perm_b32 v2, v2, v6, s1
	s_waitcnt lgkmcnt(5)
	v_mfma_f32_16x16x16_bf16 a[8:11], v[32:33], v[80:81], a[8:11]
	v_perm_b32 v6, v10, v14, s1
	s_waitcnt lgkmcnt(4)
	v_mfma_f32_16x16x16_bf16 a[12:15], v[32:33], v[84:85], a[12:15]
	v_perm_b32 v32, v10, v14, s0
	ds_write2st64_b32 v19, v20, v32 offset0:128 offset1:160
	v_xor_b32_e32 v20, 8, v19
	v_add_u32_e32 v10, 0x80, v20
	ds_write2st64_b32 v10, v2, v6 offset0:128 offset1:160
	v_xor_b32_e32 v2, 16, v19
	v_perm_b32 v6, v3, v7, s0
	v_perm_b32 v10, v11, v15, s0
	v_mfma_f32_16x16x16_bf16 a[0:3], v[88:89], v[78:79], a[0:3]
	ds_write2st64_b32 v2, v6, v10 offset0:129 offset1:161
	v_xor_b32_e32 v2, 24, v19
	v_perm_b32 v3, v3, v7, s1
	v_mfma_f32_16x16x16_bf16 a[4:7], v[88:89], v[72:73], a[4:7]
	v_perm_b32 v6, v11, v15, s1
	v_add_u32_e32 v2, 0x80, v2
	ds_write2st64_b32 v2, v3, v6 offset0:129 offset1:161
	v_mfma_f32_16x16x16_bf16 a[16:19], v[88:89], v[82:83], a[8:11]
	v_xor_b32_e32 v2, 32, v19
	v_perm_b32 v3, v4, v8, s0
	v_perm_b32 v6, v12, v16, s0
	v_mfma_f32_16x16x16_bf16 a[20:23], v[88:89], v[86:87], a[12:15]
	ds_write2st64_b32 v2, v3, v6 offset0:130 offset1:162
	v_xor_b32_e32 v2, 40, v19
	v_perm_b32 v3, v4, v8, s1
	s_waitcnt lgkmcnt(8)
	v_mfma_f32_16x16x16_bf16 a[12:15], v[66:67], v[22:23], a[0:3]
	v_perm_b32 v4, v12, v16, s1
	v_add_u32_e32 v2, 0x80, v2
	ds_write2st64_b32 v2, v3, v4 offset0:130 offset1:162
	s_waitcnt lgkmcnt(8)
	v_mfma_f32_16x16x16_bf16 a[8:11], v[66:67], v[76:77], a[4:7]
	v_xor_b32_e32 v2, 48, v19
	v_perm_b32 v3, v5, v9, s0
	v_perm_b32 v4, v13, v17, s0
	s_waitcnt lgkmcnt(7)
	v_mfma_f32_16x16x16_bf16 a[4:7], v[66:67], v[90:91], a[16:19]
	ds_write2st64_b32 v2, v3, v4 offset0:131 offset1:163
	v_xor_b32_e32 v2, 56, v19
	v_and_or_b32 v33, v68, 12, v75
	s_waitcnt lgkmcnt(7)
	v_mfma_f32_16x16x16_bf16 a[0:3], v[66:67], v[92:93], a[20:23]
	v_perm_b32 v3, v5, v9, s1
	v_perm_b32 v4, v13, v17, s1
	v_add_u32_e32 v2, 0x80, v2
	v_cmp_gt_i32_e32 vcc, s56, v33
	v_mov_b32_e32 v22, 0
	v_mov_b32_e32 v23, 0
	ds_write2st64_b32 v2, v3, v4 offset0:131 offset1:163
	s_and_saveexec_b64 s[0:1], vcc
	s_cbranch_execz .LBB101_61
; %bb.60:
	v_add_u32_e32 v2, s36, v33
	v_ashrrev_i32_e32 v3, 31, v2
	v_mul_lo_u32 v4, v3, s10
	v_mul_lo_u32 v5, v2, s11
	v_mad_u64_u32 v[2:3], s[2:3], v2, s10, 0
	v_add3_u32 v3, v3, v5, v4
	v_lshl_add_u64 v[2:3], v[2:3], 2, s[18:19]
	global_load_dword v2, v[2:3], off
	s_waitcnt vmcnt(0)
	v_sub_f32_e32 v2, s20, v2
	v_mul_f32_e32 v2, 0x3fb8aa3b, v2
	v_exp_f32_e32 v23, v2
.LBB101_61:
	s_or_b64 exec, exec, s[0:1]
	v_or_b32_e32 v11, 1, v33
	v_cmp_gt_i32_e64 s[2:3], s56, v11
	s_and_saveexec_b64 s[0:1], s[2:3]
	s_cbranch_execz .LBB101_63
; %bb.62:
	v_add_u32_e32 v2, s36, v11
	v_ashrrev_i32_e32 v3, 31, v2
	v_mul_lo_u32 v4, v3, s10
	v_mul_lo_u32 v5, v2, s11
	v_mad_u64_u32 v[2:3], s[4:5], v2, s10, 0
	v_add3_u32 v3, v3, v5, v4
	v_lshl_add_u64 v[2:3], v[2:3], 2, s[18:19]
	global_load_dword v2, v[2:3], off
	s_waitcnt vmcnt(0)
	v_sub_f32_e32 v2, s20, v2
	v_mul_f32_e32 v2, 0x3fb8aa3b, v2
	v_exp_f32_e32 v22, v2
.LBB101_63:
	s_or_b64 exec, exec, s[0:1]
	v_or_b32_e32 v10, 2, v33
	v_cmp_gt_i32_e64 s[4:5], s56, v10
	v_mov_b32_e32 v20, 0
	v_mov_b32_e32 v32, 0
	s_and_saveexec_b64 s[0:1], s[4:5]
	s_cbranch_execz .LBB101_65
; %bb.64:
	v_add_u32_e32 v2, s36, v10
	v_ashrrev_i32_e32 v3, 31, v2
	v_mul_lo_u32 v4, v3, s10
	v_mul_lo_u32 v5, v2, s11
	v_mad_u64_u32 v[2:3], s[12:13], v2, s10, 0
	v_add3_u32 v3, v3, v5, v4
	v_lshl_add_u64 v[2:3], v[2:3], 2, s[18:19]
	global_load_dword v2, v[2:3], off
	s_waitcnt vmcnt(0)
	v_sub_f32_e32 v2, s20, v2
	v_mul_f32_e32 v2, 0x3fb8aa3b, v2
	v_exp_f32_e32 v32, v2
.LBB101_65:
	s_or_b64 exec, exec, s[0:1]
	v_or_b32_e32 v66, 3, v33
	v_cmp_gt_i32_e64 s[0:1], s56, v66
	s_and_saveexec_b64 s[12:13], s[0:1]
	s_cbranch_execz .LBB101_67
; %bb.66:
	v_add_u32_e32 v2, s36, v66
	v_ashrrev_i32_e32 v3, 31, v2
	v_mul_lo_u32 v4, v3, s10
	v_mul_lo_u32 v5, v2, s11
	v_mad_u64_u32 v[2:3], s[10:11], v2, s10, 0
	v_add3_u32 v3, v3, v5, v4
	v_lshl_add_u64 v[2:3], v[2:3], 2, s[18:19]
	global_load_dword v2, v[2:3], off
	s_waitcnt vmcnt(0)
	v_sub_f32_e32 v2, s20, v2
	v_mul_f32_e32 v2, 0x3fb8aa3b, v2
	v_exp_f32_e32 v20, v2
.LBB101_67:
	s_or_b64 exec, exec, s[12:13]
	s_add_u32 s10, s16, s38
	s_addc_u32 s11, s17, s39
	s_add_u32 s6, s6, s38
	v_ashrrev_i32_e32 v19, 31, v18
	v_accvgpr_read_b32 v2, a12
	s_addc_u32 s7, s7, s39
	v_lshlrev_b64 v[6:7], 1, v[18:19]
	v_accvgpr_read_b32 v3, a13
	v_accvgpr_read_b32 v4, a14
	;; [unrolled: 1-line block ×3, first 2 shown]
	v_lshl_add_u64 v[8:9], s[10:11], 0, v[6:7]
	v_lshl_add_u64 v[6:7], s[6:7], 0, v[6:7]
	v_mov_b32_e32 v15, 0
	v_lshlrev_b32_e32 v12, 8, v33
	v_mov_b32_e32 v13, 0
	s_and_saveexec_b64 s[6:7], vcc
	s_cbranch_execz .LBB101_69
; %bb.68:
	v_mov_b32_e32 v13, 0
	v_lshl_add_u64 v[16:17], v[8:9], 0, v[12:13]
	global_load_ushort v14, v[16:17], off
	v_lshl_add_u64 v[16:17], v[6:7], 0, v[12:13]
	s_waitcnt vmcnt(0)
	v_lshlrev_b32_e32 v13, 16, v14
	v_sub_f32_e32 v2, v13, v2
	global_store_short_d16_hi v[16:17], v2, off
	v_mul_f32_e32 v2, v23, v2
	v_lshrrev_b32_e32 v13, 16, v2
.LBB101_69:
	s_or_b64 exec, exec, s[6:7]
	v_lshlrev_b32_e32 v14, 8, v11
	s_and_saveexec_b64 s[6:7], s[2:3]
	s_cbranch_execz .LBB101_71
; %bb.70:
	v_mov_b32_e32 v15, 0
	v_lshl_add_u64 v[16:17], v[8:9], 0, v[14:15]
	global_load_ushort v2, v[16:17], off
	v_lshl_add_u64 v[16:17], v[6:7], 0, v[14:15]
	s_waitcnt vmcnt(0)
	v_lshlrev_b32_e32 v2, 16, v2
	v_sub_f32_e32 v2, v2, v3
	global_store_short_d16_hi v[16:17], v2, off
	v_mul_f32_e32 v2, v22, v2
	v_lshrrev_b32_e32 v15, 16, v2
.LBB101_71:
	s_or_b64 exec, exec, s[6:7]
	v_mov_b32_e32 v11, 0
	v_lshlrev_b32_e32 v16, 8, v10
	v_mov_b32_e32 v17, 0
	s_and_saveexec_b64 s[6:7], s[4:5]
	s_cbranch_execz .LBB101_73
; %bb.72:
	v_mov_b32_e32 v17, 0
	v_lshl_add_u64 v[2:3], v[8:9], 0, v[16:17]
	global_load_ushort v10, v[2:3], off
	v_lshl_add_u64 v[2:3], v[6:7], 0, v[16:17]
	s_waitcnt vmcnt(0)
	v_lshlrev_b32_e32 v10, 16, v10
	v_sub_f32_e32 v4, v10, v4
	global_store_short_d16_hi v[2:3], v4, off
	v_mul_f32_e32 v2, v32, v4
	v_lshrrev_b32_e32 v17, 16, v2
.LBB101_73:
	s_or_b64 exec, exec, s[6:7]
	v_lshlrev_b32_e32 v10, 8, v66
	s_and_saveexec_b64 s[6:7], s[0:1]
	s_cbranch_execz .LBB101_75
; %bb.74:
	v_mov_b32_e32 v11, 0
	v_lshl_add_u64 v[2:3], v[8:9], 0, v[10:11]
	global_load_ushort v4, v[2:3], off
	v_lshl_add_u64 v[2:3], v[6:7], 0, v[10:11]
	s_waitcnt vmcnt(0)
	v_lshlrev_b32_e32 v4, 16, v4
	v_sub_f32_e32 v4, v4, v5
	global_store_short_d16_hi v[2:3], v4, off
	v_mul_f32_e32 v2, v20, v4
	v_lshrrev_b32_e32 v11, 16, v2
.LBB101_75:
	s_or_b64 exec, exec, s[6:7]
	v_lshlrev_b32_e32 v19, 6, v33
	s_mov_b32 s6, 0x5040100
	v_accvgpr_read_b32 v2, a8
	v_perm_b32 v67, v11, v17, s6
	v_or_b32_e32 v11, v19, v26
	v_accvgpr_read_b32 v3, a9
	v_accvgpr_read_b32 v4, a10
	;; [unrolled: 1-line block ×3, first 2 shown]
	v_perm_b32 v66, v15, v13, s6
	v_lshlrev_b32_e32 v11, 1, v11
	v_mov_b32_e32 v15, 0
	v_mov_b32_e32 v13, 0
	ds_write_b64 v11, v[66:67] offset:24576
	s_and_saveexec_b64 s[6:7], vcc
	s_cbranch_execz .LBB101_77
; %bb.76:
	v_mov_b32_e32 v13, 0
	v_lshl_add_u64 v[66:67], v[8:9], 0, v[12:13]
	global_load_ushort v11, v[66:67], off offset:32
	v_lshl_add_u64 v[66:67], v[6:7], 0, v[12:13]
	s_waitcnt vmcnt(0)
	v_lshlrev_b32_e32 v11, 16, v11
	v_sub_f32_e32 v2, v11, v2
	global_store_short_d16_hi v[66:67], v2, off offset:32
	v_mul_f32_e32 v2, v23, v2
	v_lshrrev_b32_e32 v13, 16, v2
.LBB101_77:
	s_or_b64 exec, exec, s[6:7]
	s_and_saveexec_b64 s[6:7], s[2:3]
	s_cbranch_execz .LBB101_79
; %bb.78:
	v_mov_b32_e32 v15, 0
	v_lshl_add_u64 v[66:67], v[8:9], 0, v[14:15]
	global_load_ushort v2, v[66:67], off offset:32
	v_lshl_add_u64 v[66:67], v[6:7], 0, v[14:15]
	s_waitcnt vmcnt(0)
	v_lshlrev_b32_e32 v2, 16, v2
	v_sub_f32_e32 v2, v2, v3
	global_store_short_d16_hi v[66:67], v2, off offset:32
	v_mul_f32_e32 v2, v22, v2
	v_lshrrev_b32_e32 v15, 16, v2
.LBB101_79:
	s_or_b64 exec, exec, s[6:7]
	v_mov_b32_e32 v11, 0
	v_mov_b32_e32 v17, 0
	s_and_saveexec_b64 s[6:7], s[4:5]
	s_cbranch_execz .LBB101_81
; %bb.80:
	v_mov_b32_e32 v17, 0
	v_lshl_add_u64 v[2:3], v[8:9], 0, v[16:17]
	global_load_ushort v26, v[2:3], off offset:32
	v_lshl_add_u64 v[2:3], v[6:7], 0, v[16:17]
	s_waitcnt vmcnt(0)
	v_lshlrev_b32_e32 v17, 16, v26
	v_sub_f32_e32 v4, v17, v4
	global_store_short_d16_hi v[2:3], v4, off offset:32
	v_mul_f32_e32 v2, v32, v4
	v_lshrrev_b32_e32 v17, 16, v2
.LBB101_81:
	s_or_b64 exec, exec, s[6:7]
	s_and_saveexec_b64 s[6:7], s[0:1]
	s_cbranch_execz .LBB101_83
; %bb.82:
	v_mov_b32_e32 v11, 0
	v_lshl_add_u64 v[2:3], v[8:9], 0, v[10:11]
	global_load_ushort v4, v[2:3], off offset:32
	v_lshl_add_u64 v[2:3], v[6:7], 0, v[10:11]
	s_waitcnt vmcnt(0)
	v_lshlrev_b32_e32 v4, 16, v4
	v_sub_f32_e32 v4, v4, v5
	global_store_short_d16_hi v[2:3], v4, off offset:32
	v_mul_f32_e32 v2, v20, v4
	v_lshrrev_b32_e32 v11, 16, v2
.LBB101_83:
	s_or_b64 exec, exec, s[6:7]
	s_mov_b32 s6, 0x5040100
	v_accvgpr_read_b32 v2, a4
	v_perm_b32 v67, v11, v17, s6
	v_or_b32_e32 v11, v19, v25
	v_accvgpr_read_b32 v3, a5
	v_accvgpr_read_b32 v4, a6
	;; [unrolled: 1-line block ×3, first 2 shown]
	v_perm_b32 v66, v15, v13, s6
	v_lshlrev_b32_e32 v11, 1, v11
	v_mov_b32_e32 v15, 0
	v_mov_b32_e32 v13, 0
	ds_write_b64 v11, v[66:67] offset:24576
	s_and_saveexec_b64 s[6:7], vcc
	s_cbranch_execz .LBB101_85
; %bb.84:
	v_mov_b32_e32 v13, 0
	v_lshl_add_u64 v[66:67], v[8:9], 0, v[12:13]
	global_load_ushort v11, v[66:67], off offset:64
	v_lshl_add_u64 v[66:67], v[6:7], 0, v[12:13]
	s_waitcnt vmcnt(0)
	v_lshlrev_b32_e32 v11, 16, v11
	v_sub_f32_e32 v2, v11, v2
	global_store_short_d16_hi v[66:67], v2, off offset:64
	v_mul_f32_e32 v2, v23, v2
	v_lshrrev_b32_e32 v13, 16, v2
.LBB101_85:
	s_or_b64 exec, exec, s[6:7]
	s_and_saveexec_b64 s[6:7], s[2:3]
	s_cbranch_execz .LBB101_87
; %bb.86:
	v_mov_b32_e32 v15, 0
	v_lshl_add_u64 v[66:67], v[8:9], 0, v[14:15]
	global_load_ushort v2, v[66:67], off offset:64
	v_lshl_add_u64 v[66:67], v[6:7], 0, v[14:15]
	s_waitcnt vmcnt(0)
	v_lshlrev_b32_e32 v2, 16, v2
	v_sub_f32_e32 v2, v2, v3
	global_store_short_d16_hi v[66:67], v2, off offset:64
	v_mul_f32_e32 v2, v22, v2
	v_lshrrev_b32_e32 v15, 16, v2
.LBB101_87:
	s_or_b64 exec, exec, s[6:7]
	v_mov_b32_e32 v11, 0
	v_mov_b32_e32 v17, 0
	s_and_saveexec_b64 s[6:7], s[4:5]
	s_cbranch_execz .LBB101_89
; %bb.88:
	v_mov_b32_e32 v17, 0
	v_lshl_add_u64 v[2:3], v[8:9], 0, v[16:17]
	global_load_ushort v25, v[2:3], off offset:64
	v_lshl_add_u64 v[2:3], v[6:7], 0, v[16:17]
	s_waitcnt vmcnt(0)
	v_lshlrev_b32_e32 v17, 16, v25
	v_sub_f32_e32 v4, v17, v4
	global_store_short_d16_hi v[2:3], v4, off offset:64
	v_mul_f32_e32 v2, v32, v4
	v_lshrrev_b32_e32 v17, 16, v2
.LBB101_89:
	s_or_b64 exec, exec, s[6:7]
	s_and_saveexec_b64 s[6:7], s[0:1]
	s_cbranch_execz .LBB101_91
; %bb.90:
	v_mov_b32_e32 v11, 0
	v_lshl_add_u64 v[2:3], v[8:9], 0, v[10:11]
	global_load_ushort v4, v[2:3], off offset:64
	v_lshl_add_u64 v[2:3], v[6:7], 0, v[10:11]
	s_waitcnt vmcnt(0)
	v_lshlrev_b32_e32 v4, 16, v4
	v_sub_f32_e32 v4, v4, v5
	global_store_short_d16_hi v[2:3], v4, off offset:64
	v_mul_f32_e32 v2, v20, v4
	v_lshrrev_b32_e32 v11, 16, v2
.LBB101_91:
	s_or_b64 exec, exec, s[6:7]
	s_mov_b32 s6, 0x5040100
	v_accvgpr_read_b32 v5, a3
	v_perm_b32 v67, v11, v17, s6
	v_or_b32_e32 v11, v19, v24
	v_accvgpr_read_b32 v4, a2
	v_accvgpr_read_b32 v3, a1
	;; [unrolled: 1-line block ×3, first 2 shown]
	v_perm_b32 v66, v15, v13, s6
	v_lshlrev_b32_e32 v11, 1, v11
	v_mov_b32_e32 v15, 0
	v_mov_b32_e32 v13, 0
	ds_write_b64 v11, v[66:67] offset:24576
	s_and_saveexec_b64 s[6:7], vcc
	s_cbranch_execz .LBB101_93
; %bb.92:
	v_mov_b32_e32 v13, 0
	v_lshl_add_u64 v[24:25], v[8:9], 0, v[12:13]
	global_load_ushort v11, v[24:25], off offset:96
	v_lshl_add_u64 v[12:13], v[6:7], 0, v[12:13]
	s_waitcnt vmcnt(0)
	v_lshlrev_b32_e32 v11, 16, v11
	v_sub_f32_e32 v2, v11, v2
	global_store_short_d16_hi v[12:13], v2, off offset:96
	v_mul_f32_e32 v2, v23, v2
	v_lshrrev_b32_e32 v13, 16, v2
.LBB101_93:
	s_or_b64 exec, exec, s[6:7]
	s_and_saveexec_b64 s[6:7], s[2:3]
	s_cbranch_execz .LBB101_95
; %bb.94:
	v_mov_b32_e32 v15, 0
	v_lshl_add_u64 v[24:25], v[8:9], 0, v[14:15]
	global_load_ushort v2, v[24:25], off offset:96
	v_lshl_add_u64 v[14:15], v[6:7], 0, v[14:15]
	s_waitcnt vmcnt(0)
	v_lshlrev_b32_e32 v2, 16, v2
	v_sub_f32_e32 v2, v2, v3
	global_store_short_d16_hi v[14:15], v2, off offset:96
	v_mul_f32_e32 v2, v22, v2
	v_lshrrev_b32_e32 v15, 16, v2
.LBB101_95:
	s_or_b64 exec, exec, s[6:7]
	v_mov_b32_e32 v11, 0
	v_mov_b32_e32 v14, 0
	s_and_saveexec_b64 s[2:3], s[4:5]
	s_cbranch_execz .LBB101_97
; %bb.96:
	v_mov_b32_e32 v17, 0
	v_lshl_add_u64 v[2:3], v[8:9], 0, v[16:17]
	global_load_ushort v12, v[2:3], off offset:96
	v_lshl_add_u64 v[2:3], v[6:7], 0, v[16:17]
	s_waitcnt vmcnt(0)
	v_lshlrev_b32_e32 v12, 16, v12
	v_sub_f32_e32 v4, v12, v4
	global_store_short_d16_hi v[2:3], v4, off offset:96
	v_mul_f32_e32 v2, v32, v4
	v_lshrrev_b32_e32 v14, 16, v2
.LBB101_97:
	s_or_b64 exec, exec, s[2:3]
	v_or_b32_e32 v12, 0x6000, v28
	v_or_b32_e32 v4, 0x6000, v29
	;; [unrolled: 1-line block ×4, first 2 shown]
	s_and_saveexec_b64 s[2:3], s[0:1]
	s_cbranch_execz .LBB101_99
; %bb.98:
	v_mov_b32_e32 v11, 0
	v_lshl_add_u64 v[8:9], v[8:9], 0, v[10:11]
	global_load_ushort v8, v[8:9], off offset:96
	v_lshl_add_u64 v[6:7], v[6:7], 0, v[10:11]
	s_waitcnt vmcnt(0)
	v_lshlrev_b32_e32 v8, 16, v8
	v_sub_f32_e32 v5, v8, v5
	global_store_short_d16_hi v[6:7], v5, off offset:96
	v_mul_f32_e32 v5, v20, v5
	v_lshrrev_b32_e32 v11, 16, v5
.LBB101_99:
	s_or_b64 exec, exec, s[2:3]
	s_mov_b32 s0, 0x5040100
	v_or_b32_e32 v5, v19, v21
	v_perm_b32 v7, v11, v14, s0
	v_perm_b32 v6, v15, v13, s0
	v_lshlrev_b32_e32 v5, 1, v5
	s_movk_i32 s0, 0x100
	ds_write_b64 v5, v[6:7] offset:24576
	v_and_b32_e32 v5, 7, v0
	v_and_b32_e32 v6, 8, v0
	v_cmp_gt_u32_e32 vcc, s0, v0
	v_lshrrev_b32_e32 v0, 1, v0
	v_mov_b32_e32 v7, 0xa000
	v_mov_b32_e32 v8, 0x8000
	v_lshlrev_b32_e32 v26, 3, v74
	v_and_b32_e32 v0, 24, v0
	v_cndmask_b32_e32 v19, v7, v8, vcc
	v_xor_b32_e32 v7, v26, v0
	v_or_b32_e32 v8, 0x440, v7
	v_cmp_eq_u32_e32 vcc, 0, v6
	v_lshlrev_b32_e32 v13, 3, v5
	v_lshlrev_b32_e32 v5, 7, v5
	v_cndmask_b32_e32 v6, v8, v7, vcc
	v_or_b32_e32 v6, v6, v27
	v_xad_u32 v32, v6, v13, v5
	v_add_u32_e32 v6, v19, v32
	s_waitcnt lgkmcnt(0)
	s_barrier
	ds_read_b64 v[10:11], v6
	ds_read2_b64 v[6:9], v12 offset1:16
	ds_read2_b64 v[14:17], v12 offset0:32 offset1:48
	v_or_b32_e32 v20, 32, v0
	v_xor_b32_e32 v20, v26, v20
	v_or_b32_e32 v21, 0x440, v20
	v_cndmask_b32_e32 v20, v21, v20, vcc
	s_waitcnt lgkmcnt(1)
	v_mfma_f32_16x16x16_bf16 a[0:3], v[10:11], v[6:7], 0
	v_or_b32_e32 v20, v20, v27
	v_xad_u32 v33, v20, v13, v5
	v_add_u32_e32 v20, v19, v33
	v_mfma_f32_16x16x16_bf16 a[4:7], v[10:11], v[8:9], 0
	ds_read_b64 v[24:25], v20
	ds_read2st64_b64 v[28:31], v4 offset0:4 offset1:8
	ds_read2st64_b64 v[66:69], v3 offset0:4 offset1:8
	s_waitcnt lgkmcnt(3)
	v_mfma_f32_16x16x16_bf16 a[8:11], v[10:11], v[14:15], 0
	ds_read2st64_b64 v[70:73], v2 offset0:4 offset1:8
	v_mfma_f32_16x16x16_bf16 a[12:15], v[10:11], v[16:17], 0
	v_or_b32_e32 v10, 64, v0
	v_xor_b32_e32 v10, v26, v10
	v_xor_b32_e32 v11, 0x440, v10
	v_cndmask_b32_e32 v10, v11, v10, vcc
	v_or_b32_e32 v10, v10, v27
	v_xad_u32 v74, v10, v13, v5
	v_add_u32_e32 v10, v19, v74
	ds_read_b64 v[10:11], v10
	ds_read2st64_b64 v[20:23], v12 offset0:4 offset1:8
	v_or_b32_e32 v0, 0x60, v0
	v_xor_b32_e32 v0, v26, v0
	s_waitcnt lgkmcnt(0)
	v_mfma_f32_16x16x16_bf16 a[0:3], v[24:25], v[20:21], a[0:3]
	v_mfma_f32_16x16x16_bf16 a[4:7], v[24:25], v[28:29], a[4:7]
	;; [unrolled: 1-line block ×4, first 2 shown]
	v_xor_b32_e32 v24, 0x440, v0
	v_cndmask_b32_e32 v0, v24, v0, vcc
	v_or_b32_e32 v0, v0, v27
	v_xad_u32 v26, v0, v13, v5
	v_add_u32_e32 v0, v19, v26
	v_mfma_f32_16x16x16_bf16 a[0:3], v[10:11], v[22:23], a[0:3]
	ds_read_b64 v[24:25], v0
	ds_read_b64 v[12:13], v12 offset:6144
	v_mov_b32_e32 v0, 0x3fb8aa3b
	v_mul_f32_e32 v0, s20, v0
	v_mfma_f32_16x16x16_bf16 a[4:7], v[10:11], v[30:31], a[4:7]
	v_exp_f32_e32 v0, v0
	v_mfma_f32_16x16x16_bf16 a[8:11], v[10:11], v[68:69], a[8:11]
	v_mfma_f32_16x16x16_bf16 a[12:15], v[10:11], v[72:73], a[12:15]
	ds_read_b64 v[4:5], v4 offset:6144
	ds_read_b64 v[10:11], v3 offset:6144
	;; [unrolled: 1-line block ×3, first 2 shown]
	s_waitcnt lgkmcnt(3)
	v_mfma_f32_16x16x16_bf16 a[0:3], v[24:25], v[12:13], a[0:3]
	s_waitcnt lgkmcnt(2)
	v_mfma_f32_16x16x16_bf16 a[4:7], v[24:25], v[4:5], a[4:7]
	;; [unrolled: 2-line block ×4, first 2 shown]
	ds_read_b64 v[24:25], v32 offset:40960
	s_waitcnt lgkmcnt(0)
	v_mfma_f32_16x16x16_bf16 a[16:19], v[24:25], v[6:7], 0
	ds_read_b64 v[6:7], v33 offset:40960
	v_mfma_f32_16x16x16_bf16 a[20:23], v[24:25], v[8:9], 0
	ds_read_b64 v[8:9], v74 offset:40960
	v_mfma_f32_16x16x16_bf16 a[24:27], v[24:25], v[14:15], 0
	v_accvgpr_read_b32 v15, a3
	v_accvgpr_read_b32 v14, a2
	v_pk_fma_f32 v[64:65], v[0:1], v[64:65], v[14:15] op_sel_hi:[0,1,1]
	v_mfma_f32_16x16x16_bf16 a[28:31], v[24:25], v[16:17], 0
	ds_read_b64 v[14:15], v26 offset:40960
	v_accvgpr_read_b32 v17, a7
	v_accvgpr_read_b32 v16, a6
	s_waitcnt lgkmcnt(2)
	v_mfma_f32_16x16x16_bf16 a[16:19], v[6:7], v[20:21], a[16:19]
	v_accvgpr_read_b32 v21, a15
	v_accvgpr_read_b32 v20, a14
	v_pk_fma_f32 v[56:57], v[0:1], v[56:57], v[16:17] op_sel_hi:[0,1,1]
	v_mfma_f32_16x16x16_bf16 a[20:23], v[6:7], v[28:29], a[20:23]
	v_pk_fma_f32 v[40:41], v[0:1], v[40:41], v[20:21] op_sel_hi:[0,1,1]
	v_mfma_f32_16x16x16_bf16 a[24:27], v[6:7], v[66:67], a[24:27]
	v_mfma_f32_16x16x16_bf16 a[28:31], v[6:7], v[70:71], a[28:31]
	v_accvgpr_read_b32 v7, a11
	v_accvgpr_read_b32 v6, a10
	v_pk_fma_f32 v[48:49], v[0:1], v[48:49], v[6:7] op_sel_hi:[0,1,1]
	s_waitcnt lgkmcnt(1)
	v_mfma_f32_16x16x16_bf16 a[16:19], v[8:9], v[22:23], a[16:19]
	v_accvgpr_read_b32 v23, a1
	v_accvgpr_read_b32 v22, a0
	v_pk_fma_f32 v[62:63], v[0:1], v[62:63], v[22:23] op_sel_hi:[0,1,1]
	v_mfma_f32_16x16x16_bf16 a[0:3], v[8:9], v[30:31], a[20:23]
	v_accvgpr_read_b32 v23, a5
	v_accvgpr_read_b32 v22, a4
	;; [unrolled: 1-line block ×3, first 2 shown]
	v_mfma_f32_16x16x16_bf16 a[20:23], v[8:9], v[68:69], a[24:27]
	v_accvgpr_read_b32 v7, a13
	v_pk_fma_f32 v[38:39], v[0:1], v[38:39], v[6:7] op_sel_hi:[0,1,1]
	v_pk_fma_f32 v[54:55], v[0:1], v[54:55], v[22:23] op_sel_hi:[0,1,1]
	v_mfma_f32_16x16x16_bf16 a[4:7], v[8:9], v[72:73], a[28:31]
	v_accvgpr_read_b32 v8, a8
	v_accvgpr_read_b32 v9, a9
	v_pk_fma_f32 v[46:47], v[0:1], v[46:47], v[8:9] op_sel_hi:[0,1,1]
	s_waitcnt lgkmcnt(0)
	v_mfma_f32_16x16x16_bf16 a[8:11], v[14:15], v[12:13], a[16:19]
	v_mfma_f32_16x16x16_bf16 a[0:3], v[14:15], v[4:5], a[0:3]
	s_nop 5
	v_accvgpr_read_b32 v5, a11
	v_accvgpr_read_b32 v4, a10
	v_mfma_f32_16x16x16_bf16 a[10:13], v[14:15], v[10:11], a[20:23]
	v_pk_fma_f32 v[60:61], v[0:1], v[60:61], v[4:5] op_sel_hi:[0,1,1]
	v_accvgpr_read_b32 v7, a3
	v_accvgpr_read_b32 v6, a2
	v_mfma_f32_16x16x16_bf16 a[2:5], v[14:15], v[2:3], a[4:7]
	v_accvgpr_read_b32 v5, a1
	v_accvgpr_read_b32 v4, a0
	v_pk_fma_f32 v[50:51], v[0:1], v[50:51], v[4:5] op_sel_hi:[0,1,1]
	v_accvgpr_read_b32 v4, a10
	v_accvgpr_read_b32 v5, a11
	;; [unrolled: 1-line block ×3, first 2 shown]
	v_pk_fma_f32 v[42:43], v[0:1], v[42:43], v[4:5] op_sel_hi:[0,1,1]
	v_accvgpr_read_b32 v5, a3
	v_accvgpr_read_b32 v9, a13
	;; [unrolled: 1-line block ×7, first 2 shown]
	v_pk_fma_f32 v[58:59], v[0:1], v[58:59], v[10:11] op_sel_hi:[0,1,1]
	v_pk_fma_f32 v[52:53], v[0:1], v[52:53], v[6:7] op_sel_hi:[0,1,1]
	;; [unrolled: 1-line block ×5, first 2 shown]
	v_mov_b32_e32 v2, v18
.LBB101_100:
	s_mul_i32 s0, s33, s35
	s_mul_hi_u32 s1, s33, s34
	s_add_i32 s0, s1, s0
	s_mul_i32 s1, s46, s34
	s_add_i32 s1, s0, s1
	s_mul_i32 s0, s33, s34
	s_add_u32 s0, s0, s47
	s_addc_u32 s1, s1, s37
	s_lshl_b64 s[0:1], s[0:1], 15
	s_add_u32 s0, s8, s0
	v_lshlrev_b32_e32 v2, 7, v2
	s_addc_u32 s1, s9, s1
	v_ashrrev_i32_e32 v3, 31, v2
	v_lshl_add_u64 v[4:5], v[2:3], 1, s[0:1]
	v_lshlrev_b32_e32 v0, 1, v1
	v_mov_b32_e32 v1, 0
	s_mov_b32 s2, 0x7060302
	v_lshl_add_u64 v[4:5], v[4:5], 0, v[0:1]
	v_perm_b32 v7, v65, v64, s2
	v_perm_b32 v6, v63, v62, s2
	global_store_dwordx2 v[4:5], v[6:7], off
	v_perm_b32 v7, v61, v60, s2
	v_perm_b32 v6, v59, v58, s2
	global_store_dwordx2 v[4:5], v[6:7], off offset:128
	v_or_b32_e32 v4, 0x800, v2
	v_ashrrev_i32_e32 v5, 31, v4
	v_lshl_add_u64 v[4:5], v[4:5], 1, s[0:1]
	v_lshl_add_u64 v[4:5], v[4:5], 0, v[0:1]
	v_perm_b32 v7, v57, v56, s2
	v_perm_b32 v6, v55, v54, s2
	global_store_dwordx2 v[4:5], v[6:7], off
	v_perm_b32 v7, v53, v52, s2
	v_perm_b32 v6, v51, v50, s2
	global_store_dwordx2 v[4:5], v[6:7], off offset:128
	v_or_b32_e32 v4, 0x1000, v2
	v_or_b32_e32 v2, 0x1800, v2
	v_ashrrev_i32_e32 v5, 31, v4
	v_ashrrev_i32_e32 v3, 31, v2
	v_lshl_add_u64 v[4:5], v[4:5], 1, s[0:1]
	v_lshl_add_u64 v[2:3], v[2:3], 1, s[0:1]
	;; [unrolled: 1-line block ×3, first 2 shown]
	v_perm_b32 v7, v49, v48, s2
	v_perm_b32 v6, v47, v46, s2
	v_lshl_add_u64 v[0:1], v[2:3], 0, v[0:1]
	v_perm_b32 v3, v41, v40, s2
	v_perm_b32 v2, v39, v38, s2
	global_store_dwordx2 v[4:5], v[6:7], off
	v_perm_b32 v7, v45, v44, s2
	v_perm_b32 v6, v43, v42, s2
	global_store_dwordx2 v[0:1], v[2:3], off
	v_perm_b32 v3, v35, v34, s2
	v_perm_b32 v2, v37, v36, s2
	global_store_dwordx2 v[4:5], v[6:7], off offset:128
	global_store_dwordx2 v[0:1], v[2:3], off offset:128
	s_endpgm
	.section	.rodata,"a",@progbits
	.p2align	6, 0x0
	.amdhsa_kernel _ZN12_GLOBAL__N_139chunk_gated_delta_rule_fwd_h_hip_kernelILi64ELb0ELb1ELb1ELb1ELb0ELb0ELb1ELb1EEEvPK12hip_bfloat16S3_S3_PKfS5_PKvPS1_S8_PvPKiSB_iiiiilll
		.amdhsa_group_segment_fixed_size 65536
		.amdhsa_private_segment_fixed_size 0
		.amdhsa_kernarg_size 136
		.amdhsa_user_sgpr_count 2
		.amdhsa_user_sgpr_dispatch_ptr 0
		.amdhsa_user_sgpr_queue_ptr 0
		.amdhsa_user_sgpr_kernarg_segment_ptr 1
		.amdhsa_user_sgpr_dispatch_id 0
		.amdhsa_user_sgpr_kernarg_preload_length 0
		.amdhsa_user_sgpr_kernarg_preload_offset 0
		.amdhsa_user_sgpr_private_segment_size 0
		.amdhsa_uses_dynamic_stack 0
		.amdhsa_enable_private_segment 0
		.amdhsa_system_sgpr_workgroup_id_x 1
		.amdhsa_system_sgpr_workgroup_id_y 1
		.amdhsa_system_sgpr_workgroup_id_z 0
		.amdhsa_system_sgpr_workgroup_info 0
		.amdhsa_system_vgpr_workitem_id 0
		.amdhsa_next_free_vgpr 216
		.amdhsa_next_free_sgpr 67
		.amdhsa_accum_offset 180
		.amdhsa_reserve_vcc 1
		.amdhsa_float_round_mode_32 0
		.amdhsa_float_round_mode_16_64 0
		.amdhsa_float_denorm_mode_32 3
		.amdhsa_float_denorm_mode_16_64 3
		.amdhsa_dx10_clamp 1
		.amdhsa_ieee_mode 1
		.amdhsa_fp16_overflow 0
		.amdhsa_tg_split 0
		.amdhsa_exception_fp_ieee_invalid_op 0
		.amdhsa_exception_fp_denorm_src 0
		.amdhsa_exception_fp_ieee_div_zero 0
		.amdhsa_exception_fp_ieee_overflow 0
		.amdhsa_exception_fp_ieee_underflow 0
		.amdhsa_exception_fp_ieee_inexact 0
		.amdhsa_exception_int_div_zero 0
	.end_amdhsa_kernel
	.section	.text._ZN12_GLOBAL__N_139chunk_gated_delta_rule_fwd_h_hip_kernelILi64ELb0ELb1ELb1ELb1ELb0ELb0ELb1ELb1EEEvPK12hip_bfloat16S3_S3_PKfS5_PKvPS1_S8_PvPKiSB_iiiiilll,"axG",@progbits,_ZN12_GLOBAL__N_139chunk_gated_delta_rule_fwd_h_hip_kernelILi64ELb0ELb1ELb1ELb1ELb0ELb0ELb1ELb1EEEvPK12hip_bfloat16S3_S3_PKfS5_PKvPS1_S8_PvPKiSB_iiiiilll,comdat
.Lfunc_end101:
	.size	_ZN12_GLOBAL__N_139chunk_gated_delta_rule_fwd_h_hip_kernelILi64ELb0ELb1ELb1ELb1ELb0ELb0ELb1ELb1EEEvPK12hip_bfloat16S3_S3_PKfS5_PKvPS1_S8_PvPKiSB_iiiiilll, .Lfunc_end101-_ZN12_GLOBAL__N_139chunk_gated_delta_rule_fwd_h_hip_kernelILi64ELb0ELb1ELb1ELb1ELb0ELb0ELb1ELb1EEEvPK12hip_bfloat16S3_S3_PKfS5_PKvPS1_S8_PvPKiSB_iiiiilll
                                        ; -- End function
	.section	.AMDGPU.csdata,"",@progbits
; Kernel info:
; codeLenInByte = 12596
; NumSgprs: 73
; NumVgprs: 180
; NumAgprs: 36
; TotalNumVgprs: 216
; ScratchSize: 0
; MemoryBound: 0
; FloatMode: 240
; IeeeMode: 1
; LDSByteSize: 65536 bytes/workgroup (compile time only)
; SGPRBlocks: 9
; VGPRBlocks: 26
; NumSGPRsForWavesPerEU: 73
; NumVGPRsForWavesPerEU: 216
; AccumOffset: 180
; Occupancy: 1
; WaveLimiterHint : 1
; COMPUTE_PGM_RSRC2:SCRATCH_EN: 0
; COMPUTE_PGM_RSRC2:USER_SGPR: 2
; COMPUTE_PGM_RSRC2:TRAP_HANDLER: 0
; COMPUTE_PGM_RSRC2:TGID_X_EN: 1
; COMPUTE_PGM_RSRC2:TGID_Y_EN: 1
; COMPUTE_PGM_RSRC2:TGID_Z_EN: 0
; COMPUTE_PGM_RSRC2:TIDIG_COMP_CNT: 0
; COMPUTE_PGM_RSRC3_GFX90A:ACCUM_OFFSET: 44
; COMPUTE_PGM_RSRC3_GFX90A:TG_SPLIT: 0
	.section	.text._ZN12_GLOBAL__N_139chunk_gated_delta_rule_fwd_h_hip_kernelILi64ELb0ELb1ELb0ELb1ELb0ELb0ELb1ELb1EEEvPK12hip_bfloat16S3_S3_PKfS5_PKvPS1_S8_PvPKiSB_iiiiilll,"axG",@progbits,_ZN12_GLOBAL__N_139chunk_gated_delta_rule_fwd_h_hip_kernelILi64ELb0ELb1ELb0ELb1ELb0ELb0ELb1ELb1EEEvPK12hip_bfloat16S3_S3_PKfS5_PKvPS1_S8_PvPKiSB_iiiiilll,comdat
	.globl	_ZN12_GLOBAL__N_139chunk_gated_delta_rule_fwd_h_hip_kernelILi64ELb0ELb1ELb0ELb1ELb0ELb0ELb1ELb1EEEvPK12hip_bfloat16S3_S3_PKfS5_PKvPS1_S8_PvPKiSB_iiiiilll ; -- Begin function _ZN12_GLOBAL__N_139chunk_gated_delta_rule_fwd_h_hip_kernelILi64ELb0ELb1ELb0ELb1ELb0ELb0ELb1ELb1EEEvPK12hip_bfloat16S3_S3_PKfS5_PKvPS1_S8_PvPKiSB_iiiiilll
	.p2align	8
	.type	_ZN12_GLOBAL__N_139chunk_gated_delta_rule_fwd_h_hip_kernelILi64ELb0ELb1ELb0ELb1ELb0ELb0ELb1ELb1EEEvPK12hip_bfloat16S3_S3_PKfS5_PKvPS1_S8_PvPKiSB_iiiiilll,@function
_ZN12_GLOBAL__N_139chunk_gated_delta_rule_fwd_h_hip_kernelILi64ELb0ELb1ELb0ELb1ELb0ELb0ELb1ELb1EEEvPK12hip_bfloat16S3_S3_PKfS5_PKvPS1_S8_PvPKiSB_iiiiilll: ; @_ZN12_GLOBAL__N_139chunk_gated_delta_rule_fwd_h_hip_kernelILi64ELb0ELb1ELb0ELb1ELb0ELb0ELb1ELb1EEEvPK12hip_bfloat16S3_S3_PKfS5_PKvPS1_S8_PvPKiSB_iiiiilll
; %bb.0:
	s_load_dwordx4 s[16:19], s[0:1], 0x5c
	s_load_dwordx2 s[20:21], s[0:1], 0x50
	s_abs_i32 s23, s3
	s_ashr_i32 s22, s3, 31
	s_load_dwordx8 s[4:11], s[0:1], 0x0
	s_load_dwordx4 s[12:15], s[0:1], 0x40
	s_load_dwordx2 s[38:39], s[0:1], 0x30
	s_waitcnt lgkmcnt(0)
	s_abs_i32 s26, s17
	v_cvt_f32_u32_e32 v1, s26
	s_sub_i32 s24, 0, s26
	s_ashr_i32 s44, s17, 31
	s_xor_b32 s22, s22, s44
	v_rcp_iflag_f32_e32 v1, v1
	v_lshrrev_b32_e32 v72, 6, v0
	v_bfe_u32 v75, v0, 4, 2
	v_lshlrev_b32_e32 v73, 4, v72
	v_mul_f32_e32 v1, 0x4f7ffffe, v1
	v_cvt_u32_f32_e32 v1, v1
	v_lshlrev_b32_e32 v2, 2, v75
	v_and_b32_e32 v74, 63, v0
	s_mov_b32 s33, s17
	v_readfirstlane_b32 s25, v1
	s_mul_i32 s24, s24, s25
	s_mul_hi_u32 s24, s25, s24
	s_add_i32 s25, s25, s24
	s_mul_hi_u32 s24, s23, s25
	s_mul_i32 s25, s24, s26
	s_sub_i32 s23, s23, s25
	s_add_i32 s25, s24, 1
	s_sub_i32 s27, s23, s26
	s_cmp_ge_u32 s23, s26
	s_cselect_b32 s24, s25, s24
	s_cselect_b32 s23, s27, s23
	s_add_i32 s25, s24, 1
	s_cmp_ge_u32 s23, s26
	s_cselect_b32 s23, s25, s24
	s_xor_b32 s23, s23, s22
	s_sub_i32 s34, s23, s22
	s_mul_i32 s22, s34, s17
	s_ashr_i32 s35, s34, 31
	s_sub_i32 s45, s3, s22
	s_lshl_b64 s[22:23], s[34:35], 2
	s_add_u32 s14, s14, s22
	s_addc_u32 s15, s15, s23
	s_add_u32 s24, s20, s22
	s_addc_u32 s25, s21, s23
	s_abs_i32 s3, s18
	v_cvt_f32_u32_e32 v1, s3
	s_load_dwordx2 s[36:37], s[14:15], 0x0
	s_nop 0
	s_load_dwordx2 s[14:15], s[0:1], 0x80
	s_load_dwordx4 s[20:23], s[0:1], 0x70
	s_sub_i32 s1, 0, s3
	v_rcp_iflag_f32_e32 v1, v1
	s_load_dword s50, s[24:25], 0x0
	s_waitcnt lgkmcnt(0)
	s_sub_i32 s54, s37, s36
	s_ashr_i32 s0, s54, 31
	v_mul_f32_e32 v1, 0x4f7ffffe, v1
	v_cvt_u32_f32_e32 v1, v1
	s_lshr_b32 s0, s0, 26
	s_add_i32 s0, s54, s0
	s_ashr_i32 s49, s0, 6
	v_readfirstlane_b32 s27, v1
	s_mul_i32 s1, s1, s27
	s_mul_hi_u32 s1, s27, s1
	s_add_i32 s27, s27, s1
	s_mul_hi_u32 s1, s26, s27
	s_mul_i32 s27, s1, s3
	s_ashr_i32 s0, s18, 31
	s_sub_i32 s26, s26, s27
	s_xor_b32 s0, s44, s0
	s_add_i32 s27, s1, 1
	s_sub_i32 s28, s26, s3
	s_cmp_ge_u32 s26, s3
	s_cselect_b32 s1, s27, s1
	s_cselect_b32 s26, s28, s26
	s_add_i32 s27, s1, 1
	s_cmp_ge_u32 s26, s3
	s_cselect_b32 s1, s27, s1
	s_xor_b32 s1, s1, s0
	s_sub_i32 s1, s1, s0
	s_abs_i32 s3, s1
	v_cvt_f32_u32_e32 v1, s3
	s_sub_i32 s25, 0, s3
	s_abs_i32 s24, s45
	s_xor_b32 s1, s45, s1
	v_rcp_iflag_f32_e32 v1, v1
	s_ashr_i32 s1, s1, 31
	s_mov_b32 s0, 0
	v_and_b32_e32 v76, 15, v0
	v_mul_f32_e32 v1, 0x4f7ffffe, v1
	v_cvt_u32_f32_e32 v1, v1
	s_mul_hi_i32 s51, s45, s16
	s_mul_i32 s52, s45, s16
	v_lshrrev_b32_e32 v78, 3, v74
	v_readfirstlane_b32 s26, v1
	s_mul_i32 s25, s25, s26
	s_mul_hi_u32 s25, s26, s25
	s_add_i32 s26, s26, s25
	s_mul_hi_u32 s25, s24, s26
	s_mul_i32 s26, s25, s3
	s_sub_i32 s24, s24, s26
	s_add_i32 s26, s25, 1
	s_sub_i32 s27, s24, s3
	s_cmp_ge_u32 s24, s3
	s_cselect_b32 s25, s26, s25
	s_cselect_b32 s24, s27, s24
	s_add_i32 s26, s25, 1
	s_cmp_ge_u32 s24, s3
	s_cselect_b32 s3, s26, s25
	s_xor_b32 s3, s3, s1
	s_sub_i32 s53, s3, s1
	v_or_b32_e32 v1, v2, v73
	s_lshl_b32 s2, s2, 6
	s_mov_b32 s1, s0
	v_or_b32_e32 v79, 64, v1
	s_cmp_lt_i32 s54, 64
	v_mov_b64_e32 v[34:35], s[0:1]
	v_lshlrev_b32_e32 v77, 3, v0
	s_mul_i32 s46, s34, s21
	s_mul_hi_u32 s47, s34, s20
	s_mul_i32 s48, s35, s20
	s_mul_i32 s20, s34, s20
	v_mov_b64_e32 v[36:37], s[0:1]
	v_mov_b64_e32 v[40:41], s[0:1]
	;; [unrolled: 1-line block ×15, first 2 shown]
	s_cbranch_scc1 .LBB102_17
; %bb.1:
	s_ashr_i32 s56, s45, 31
	s_ashr_i32 s1, s36, 31
	s_add_u32 s0, s52, s36
	s_addc_u32 s1, s51, s1
	s_lshl_b64 s[0:1], s[0:1], 8
	v_and_b32_e32 v81, 56, v77
	s_add_u32 s24, s6, s0
	v_lshl_or_b32 v80, v72, 3, v78
	v_lshlrev_b32_e32 v3, 1, v81
	s_addc_u32 s0, s7, s1
	v_lshl_or_b32 v82, v80, 8, v3
	s_and_b32 s25, s0, 0xffff
	s_mov_b32 s27, 0x20000
	s_movk_i32 s26, 0x4000
	s_movk_i32 s0, 0x80
	v_or_b32_e32 v83, 0x2000, v82
	buffer_load_dwordx4 v[4:7], v82, s[24:27], 0 offen
	buffer_load_dwordx4 v[8:11], v82, s[24:27], s0 offen
	;; [unrolled: 1-line block ×4, first 2 shown]
	v_lshlrev_b32_e32 v20, 3, v80
	v_and_or_b32 v22, v0, 7, v20
	v_and_b32_e32 v20, 0x78, v20
	v_lshlrev_b32_e32 v22, 4, v22
	v_xor_b32_e32 v84, v22, v20
	v_mul_lo_u32 v21, v80, s19
	v_or_b32_e32 v85, 0x1000, v84
	s_cmpk_eq_i32 s19, 0x80
	s_mov_b32 s55, s36
	v_xor_b32_e32 v20, 8, v84
	v_xor_b32_e32 v22, 8, v85
	s_cselect_b64 s[0:1], -1, 0
	s_cmpk_lg_i32 s19, 0x80
	s_waitcnt vmcnt(3)
	ds_write_b64 v84, v[4:5] offset:49152
	ds_write_b64 v20, v[6:7] offset:49152
	s_waitcnt vmcnt(2)
	ds_write_b64 v84, v[8:9] offset:57344
	ds_write_b64 v20, v[10:11] offset:57344
	s_waitcnt vmcnt(1)
	ds_write_b64 v84, v[12:13] offset:53248
	ds_write_b64 v22, v[14:15] offset:49152
	s_waitcnt vmcnt(0)
	ds_write_b64 v84, v[16:17] offset:61440
	ds_write_b64 v22, v[18:19] offset:57344
	v_lshl_add_u32 v4, v21, 1, v81
	s_cbranch_scc0 .LBB102_3
; %bb.2:
	v_lshlrev_b32_e32 v6, 1, v4
	v_add_lshl_u32 v5, v4, s19, 1
	s_lshl_b32 s26, s19, 7
	v_lshl_or_b32 v3, v80, 9, v3
	s_cbranch_execz .LBB102_4
	s_branch .LBB102_5
.LBB102_3:
                                        ; implicit-def: $vgpr5
                                        ; implicit-def: $vgpr6
                                        ; implicit-def: $sgpr26
	v_lshl_or_b32 v3, v80, 9, v3
.LBB102_4:
	v_or_b32_e32 v5, 0x100, v3
	s_movk_i32 s26, 0x4000
	v_mov_b32_e32 v6, v3
.LBB102_5:
	s_mul_i32 s21, s36, s18
	s_ashr_i32 s57, s53, 31
	s_mul_hi_i32 s3, s36, s18
	s_add_u32 s24, s21, s53
	s_addc_u32 s25, s3, s57
	s_lshl_b64 s[24:25], s[24:25], 8
	s_add_u32 s24, s4, s24
	s_addc_u32 s3, s5, s25
	s_and_b32 s25, s3, 0xffff
	s_movk_i32 s58, 0x80
	buffer_load_dwordx4 v[8:11], v6, s[24:27], 0 offen
	buffer_load_dwordx4 v[12:15], v6, s[24:27], s58 offen
	;; [unrolled: 1-line block ×4, first 2 shown]
	v_and_b32_e32 v5, 6, v0
	v_lshlrev_b32_e32 v6, 7, v1
	v_xor_b32_e32 v28, v80, v5
	v_and_b32_e32 v7, 1, v0
	v_lshl_or_b32 v31, v76, 3, v6
	v_lshlrev_b32_e32 v28, 2, v28
	v_lshlrev_b32_e32 v24, 2, v76
	v_or_b32_e32 v86, 0x4000, v31
	v_or_b32_e32 v87, 0x6000, v31
	v_xor_b32_e32 v31, 0x440, v28
	v_cmp_eq_u32_e32 vcc, 0, v7
	v_or_b32_e32 v26, 16, v76
	v_or_b32_e32 v27, 32, v76
	v_xor_b32_e32 v29, v1, v24
	v_xor_b32_e32 v30, v79, v24
	v_cndmask_b32_e32 v7, v31, v28, vcc
	s_add_i32 s3, s47, s46
	s_mov_b32 s59, 0x1000504
	v_lshl_or_b32 v32, v26, 3, v6
	v_lshlrev_b32_e32 v26, 8, v26
	v_lshl_or_b32 v33, v27, 3, v6
	v_lshlrev_b32_e32 v29, 1, v29
	v_lshlrev_b32_e32 v30, 1, v30
	v_lshl_or_b32 v5, v5, 10, v7
	s_add_i32 s21, s3, s48
	s_mul_i32 s3, s45, s23
	s_mul_hi_u32 s24, s45, s22
	s_mov_b32 s60, 0x3020706
	v_lshlrev_b32_e32 v25, 8, v76
	v_or_b32_e32 v90, 0x4000, v33
	v_or_b32_e32 v91, 0x6000, v33
	;; [unrolled: 1-line block ×4, first 2 shown]
	v_xor_b32_e32 v7, 8, v5
	v_xor_b32_e32 v26, 24, v5
	;; [unrolled: 1-line block ×4, first 2 shown]
	s_add_i32 s3, s24, s3
	s_mul_i32 s24, s56, s22
	v_or_b32_e32 v88, 0x4000, v32
	v_or_b32_e32 v89, 0x6000, v32
	;; [unrolled: 1-line block ×4, first 2 shown]
	v_xor_b32_e32 v25, 16, v5
	v_xor_b32_e32 v28, 32, v5
	;; [unrolled: 1-line block ×3, first 2 shown]
	v_add_u32_e32 v7, 0x80, v7
	v_add_u32_e32 v26, 0x80, v26
	;; [unrolled: 1-line block ×4, first 2 shown]
	s_add_i32 s25, s3, s24
	s_lshl_b64 s[28:29], s[20:21], 2
	s_mul_i32 s24, s45, s22
	s_add_u32 s3, s10, s28
	s_addc_u32 s21, s11, s29
	s_lshl_b64 s[24:25], s[24:25], 2
	s_add_u32 s40, s3, s24
	s_movk_i32 s3, 0xf8
	s_addc_u32 s41, s21, s25
	s_lshl_b32 s30, s19, 7
	s_movk_i32 s21, 0x100
	v_mov_b32_e32 v67, 0
	v_lshlrev_b32_e32 v66, 4, v76
	v_cmp_gt_u32_e32 vcc, s21, v0
	v_lshlrev_b32_e32 v27, 8, v27
	s_mov_b32 s61, 0
	s_movk_i32 s26, 0x4000
	v_or_b32_e32 v96, v27, v29
	v_or_b32_e32 v97, v27, v30
	v_add_u32_e32 v126, v73, v2
	s_movk_i32 s21, 0x2000
	s_movk_i32 s62, 0x3000
	v_mov_b32_e32 v131, 0x3fb8aa3b
	v_mov_b32_e32 v62, v67
	;; [unrolled: 1-line block ×6, first 2 shown]
	s_waitcnt vmcnt(1)
	v_perm_b32 v34, v8, v16, s59
	s_waitcnt vmcnt(0)
	v_perm_b32 v35, v12, v20, s59
	v_perm_b32 v8, v8, v16, s60
	;; [unrolled: 1-line block ×15, first 2 shown]
	ds_write2st64_b32 v5, v34, v35 offset0:128 offset1:160
	ds_write2st64_b32 v7, v8, v12 offset0:128 offset1:160
	;; [unrolled: 1-line block ×8, first 2 shown]
	v_or_b32_e32 v5, 48, v76
	v_lshl_or_b32 v7, v5, 3, v6
	v_lshlrev_b32_e32 v5, 8, v5
	v_or_b32_e32 v100, v5, v29
	v_or_b32_e32 v101, v5, v30
	;; [unrolled: 1-line block ×3, first 2 shown]
	v_lshlrev_b32_e32 v5, 3, v5
	v_lshrrev_b32_e32 v9, 5, v74
	v_and_or_b32 v9, v5, s3, v9
	v_lshlrev_b32_e32 v9, 4, v9
	v_or_b32_e32 v98, 0x4000, v7
	v_or_b32_e32 v99, 0x6000, v7
	v_lshlrev_b32_e32 v7, 11, v72
	v_and_b32_e32 v5, 0x78, v5
	v_or_b32_e32 v14, 32, v9
	v_and_b32_e32 v8, 0x1000, v7
	v_xor_b32_e32 v10, v9, v5
	v_lshrrev_b32_e32 v11, 1, v0
	v_xor_b32_e32 v14, v14, v5
	v_or_b32_e32 v10, v10, v8
	v_and_b32_e32 v12, 8, v11
	v_or_b32_e32 v14, v14, v8
	v_xor_b32_e32 v102, v10, v12
	v_lshlrev_b32_e32 v10, 8, v75
	v_xor_b32_e32 v104, v14, v12
	v_or_b32_e32 v14, 64, v9
	v_or_b32_e32 v9, 0x60, v9
	;; [unrolled: 1-line block ×3, first 2 shown]
	v_xor_b32_e32 v14, v14, v5
	v_xor_b32_e32 v5, v9, v5
	s_ashr_i32 s3, s2, 31
	v_lshlrev_b32_e32 v13, 1, v13
	v_or_b32_e32 v14, v14, v8
	v_or_b32_e32 v5, v5, v8
	s_lshl_b64 s[24:25], s[2:3], 8
	v_or_b32_e32 v103, 0x4000, v13
	v_or_b32_e32 v105, 0x4080, v13
	;; [unrolled: 1-line block ×4, first 2 shown]
	v_xor_b32_e32 v108, v14, v12
	v_xor_b32_e32 v109, v5, v12
	v_or_b32_e32 v110, 0x6000, v13
	v_or_b32_e32 v111, 0x6080, v13
	;; [unrolled: 1-line block ×4, first 2 shown]
	v_lshlrev_b32_e32 v12, 1, v4
	v_add_lshl_u32 v13, v4, s19, 1
	s_add_u32 s24, s38, s24
	v_lshlrev_b32_e32 v4, 1, v76
	v_lshrrev_b32_e32 v15, 4, v0
	s_addc_u32 s25, s39, s25
	v_or_b32_e32 v5, 1, v4
	v_mov_b32_e32 v19, 0xa000
	v_mov_b32_e32 v20, 0x8000
	v_xor_b32_e32 v16, v15, v4
	v_xor_b32_e32 v17, v5, v15
	v_lshl_add_u64 v[4:5], s[24:25], 0, v[66:67]
	v_lshlrev_b32_e32 v66, 8, v15
	v_cndmask_b32_e32 v19, v19, v20, vcc
	v_lshlrev_b32_e32 v20, 3, v72
	v_and_b32_e32 v11, 24, v11
	v_lshl_or_b32 v114, v16, 3, v66
	v_and_b32_e32 v16, 8, v0
	v_xor_b32_e32 v21, v20, v11
	v_or_b32_e32 v22, 0x440, v21
	v_cmp_eq_u32_e32 vcc, 0, v16
	v_and_b32_e32 v15, 7, v0
	v_lshl_or_b32 v115, v17, 3, v66
	v_cndmask_b32_e32 v16, v22, v21, vcc
	v_lshlrev_b32_e32 v17, 3, v15
	v_lshlrev_b32_e32 v15, 7, v15
	v_or_b32_e32 v16, v16, v7
	v_lshlrev_b32_e32 v18, 2, v0
	v_xad_u32 v116, v16, v17, v15
	v_or_b32_e32 v16, 32, v11
	v_and_or_b32 v10, v18, 60, v10
	v_xor_b32_e32 v16, v20, v16
	v_lshlrev_b32_e32 v10, 1, v10
	v_or_b32_e32 v18, 0x440, v16
	v_or_b32_e32 v117, 0x6000, v10
	v_cndmask_b32_e32 v16, v18, v16, vcc
	v_or_b32_e32 v119, 0x6080, v10
	v_or_b32_e32 v120, 0x6100, v10
	;; [unrolled: 1-line block ×5, first 2 shown]
	v_xor_b32_e32 v10, v20, v10
	v_xad_u32 v118, v16, v17, v15
	v_xor_b32_e32 v16, 0x440, v10
	v_cndmask_b32_e32 v10, v16, v10, vcc
	v_or_b32_e32 v10, v10, v7
	v_xad_u32 v122, v10, v17, v15
	v_or_b32_e32 v10, 0x60, v11
	v_xor_b32_e32 v10, v20, v10
	v_xor_b32_e32 v11, 0x440, v10
	v_cndmask_b32_e32 v10, v11, v10, vcc
	v_or_b32_e32 v8, s2, v76
	v_or_b32_e32 v7, v10, v7
	v_ashrrev_i32_e32 v9, 31, v8
	v_or_b32_e32 v14, 0x100, v3
	v_xad_u32 v123, v7, v17, v15
	v_cndmask_b32_e64 v124, v12, v3, s[0:1]
	v_cndmask_b32_e64 v125, v13, v14, s[0:1]
	v_lshl_add_u64 v[68:69], v[8:9], 1, s[8:9]
	v_lshl_add_u64 v[70:71], v[4:5], 0, v[66:67]
	s_mov_b32 s3, 0x7060302
	v_lshlrev_b32_e32 v66, 1, v6
	v_add_u32_e32 v127, v19, v116
	v_add_u32_e32 v128, v19, v118
	;; [unrolled: 1-line block ×4, first 2 shown]
	v_mov_b32_e32 v59, v67
	v_mov_b32_e32 v60, v67
	;; [unrolled: 1-line block ×27, first 2 shown]
	s_waitcnt lgkmcnt(0)
	s_barrier
	s_branch .LBB102_7
.LBB102_6:                              ;   in Loop: Header=BB102_7 Depth=1
	s_waitcnt vmcnt(6)
	v_mul_f32_e32 v22, s24, v131
	v_exp_f32_e32 v132, v22
	v_accvgpr_read_b32 v5, a3
	v_accvgpr_read_b32 v9, a7
	;; [unrolled: 1-line block ×4, first 2 shown]
	s_waitcnt vmcnt(4)
	v_accvgpr_read_b32 v18, a20
	v_accvgpr_read_b32 v25, a19
	;; [unrolled: 1-line block ×28, first 2 shown]
	s_add_i32 s55, s55, 64
	v_pk_fma_f32 v[62:63], v[132:133], v[62:63], v[2:3] op_sel_hi:[0,1,1]
	v_pk_fma_f32 v[64:65], v[132:133], v[64:65], v[4:5] op_sel_hi:[0,1,1]
	;; [unrolled: 1-line block ×16, first 2 shown]
	s_cmp_eq_u32 s49, s63
	s_mov_b32 s61, s63
	s_cbranch_scc1 .LBB102_17
.LBB102_7:                              ; =>This Inner Loop Header: Depth=1
	s_add_i32 s63, s61, 1
	s_cmp_lt_i32 s63, s49
	s_mov_b64 s[28:29], 0
	s_cselect_b64 s[42:43], -1, 0
	s_cmp_ge_i32 s63, s49
	s_mov_b64 s[24:25], 0
	s_cbranch_scc1 .LBB102_9
; %bb.8:                                ;   in Loop: Header=BB102_7 Depth=1
	s_add_i32 s0, s55, 64
	s_ashr_i32 s1, s0, 31
	s_add_u32 s0, s52, s0
	s_addc_u32 s1, s51, s1
	s_lshl_b64 s[0:1], s[0:1], 8
	s_add_u32 s24, s6, s0
	s_addc_u32 s25, s7, s1
.LBB102_9:                              ;   in Loop: Header=BB102_7 Depth=1
	v_cndmask_b32_e64 v2, 0, 1, s[42:43]
	v_cmp_ne_u32_e64 s[0:1], 1, v2
	s_andn2_b64 vcc, exec, s[42:43]
	s_cbranch_vccnz .LBB102_11
; %bb.10:                               ;   in Loop: Header=BB102_7 Depth=1
	s_add_i32 s28, s55, 64
	s_mul_hi_i32 s29, s28, s18
	s_mul_i32 s28, s28, s18
	s_add_u32 s28, s28, s53
	s_addc_u32 s29, s29, s57
	s_lshl_b64 s[28:29], s[28:29], 8
	s_add_u32 s28, s4, s28
	s_addc_u32 s29, s5, s29
.LBB102_11:                             ;   in Loop: Header=BB102_7 Depth=1
	v_perm_b32 v3, v65, v64, s3
	v_perm_b32 v2, v63, v62, s3
	v_perm_b32 v5, v61, v60, s3
	v_perm_b32 v4, v59, v58, s3
	ds_write_b64 v86, v[2:3]
	ds_write_b64 v87, v[4:5]
	ds_write_b64 v92, v[2:3]
	ds_write_b64 v93, v[4:5]
	v_perm_b32 v3, v57, v56, s3
	v_perm_b32 v2, v55, v54, s3
	v_perm_b32 v5, v53, v52, s3
	v_perm_b32 v4, v51, v50, s3
	ds_write_b64 v88, v[2:3]
	ds_write_b64 v89, v[4:5]
	ds_write_b64 v94, v[2:3]
	ds_write_b64 v95, v[4:5]
	;; [unrolled: 8-line block ×4, first 2 shown]
	s_waitcnt lgkmcnt(0)
	s_barrier
	ds_read_b64 v[6:7], v102 offset:49152
	ds_read2_b64 v[2:5], v103 offset1:16
	ds_read_b64 v[18:19], v105 offset:6144
	ds_read_b64 v[20:21], v103 offset:6144
	s_waitcnt lgkmcnt(2)
	v_mfma_f32_16x16x16_bf16 a[0:3], v[6:7], v[2:3], 0
	ds_read_b64 v[22:23], v104 offset:49152
	ds_read2st64_b64 v[10:13], v106 offset0:4 offset1:8
	ds_read2st64_b64 v[14:17], v107 offset0:4 offset1:8
	v_mfma_f32_16x16x16_bf16 a[4:7], v[6:7], v[4:5], 0
	ds_read2_b64 v[2:5], v103 offset0:32 offset1:48
	s_add_i32 s31, s55, 63
	s_ashr_i32 s42, s31, 31
	s_waitcnt lgkmcnt(0)
	v_mfma_f32_16x16x16_bf16 a[8:11], v[6:7], v[2:3], 0
	s_mul_i32 s43, s31, s15
	s_mul_hi_u32 s64, s31, s14
	s_add_i32 s43, s64, s43
	v_mfma_f32_16x16x16_bf16 a[12:15], v[6:7], v[4:5], 0
	ds_read2st64_b64 v[2:5], v103 offset0:4 offset1:8
	ds_read2st64_b64 v[6:9], v105 offset0:4 offset1:8
	s_mul_i32 s42, s42, s14
	s_waitcnt lgkmcnt(1)
	v_mfma_f32_16x16x16_bf16 a[0:3], v[22:23], v[2:3], a[0:3]
	s_add_i32 s43, s43, s42
	s_mul_i32 s42, s31, s14
	s_lshl_b64 s[42:43], s[42:43], 2
	s_waitcnt lgkmcnt(0)
	v_mfma_f32_16x16x16_bf16 a[4:7], v[22:23], v[6:7], a[4:7]
	s_add_u32 s42, s40, s42
	s_addc_u32 s43, s41, s43
	s_and_b64 vcc, exec, s[0:1]
	v_mfma_f32_16x16x16_bf16 a[8:11], v[22:23], v[10:11], a[8:11]
	ds_read_b64 v[2:3], v108 offset:49152
	ds_read_b64 v[6:7], v109 offset:49152
	;; [unrolled: 1-line block ×3, first 2 shown]
	v_mov_b32_e32 v134, 0
	v_mov_b32_e32 v133, 0
	v_mfma_f32_16x16x16_bf16 a[12:15], v[22:23], v[14:15], a[12:15]
	v_mov_b32_e32 v132, 0
	v_mov_b32_e32 v14, 0
	;; [unrolled: 1-line block ×3, first 2 shown]
	s_waitcnt lgkmcnt(2)
	v_mfma_f32_16x16x16_bf16 a[0:3], v[2:3], v[4:5], a[0:3]
	v_mov_b32_e32 v4, 0
	v_mov_b32_e32 v5, 0
	v_mfma_f32_16x16x16_bf16 a[16:19], v[2:3], v[8:9], a[4:7]
	v_mov_b32_e32 v8, 0
	v_mov_b32_e32 v9, 0
	;; [unrolled: 3-line block ×3, first 2 shown]
	v_mfma_f32_16x16x16_bf16 a[24:27], v[2:3], v[16:17], a[12:15]
	ds_read_b64 v[2:3], v106 offset:6144
	v_mov_b32_e32 v16, 0
	v_mov_b32_e32 v17, 0
	s_waitcnt lgkmcnt(2)
	v_mfma_f32_16x16x16_bf16 a[4:7], v[6:7], v[20:21], a[0:3]
	v_mfma_f32_16x16x16_bf16 a[8:11], v[6:7], v[18:19], a[16:19]
	s_waitcnt lgkmcnt(0)
	v_mfma_f32_16x16x16_bf16 a[12:15], v[6:7], v[2:3], a[20:23]
	v_mov_b32_e32 v2, 0
	v_mov_b32_e32 v3, 0
	v_mfma_f32_16x16x16_bf16 a[0:3], v[6:7], v[10:11], a[24:27]
	v_mov_b32_e32 v6, 0
	v_mov_b32_e32 v7, 0
	;; [unrolled: 1-line block ×4, first 2 shown]
	s_cbranch_vccnz .LBB102_13
; %bb.12:                               ;   in Loop: Header=BB102_7 Depth=1
	s_and_b32 s25, s25, 0xffff
	buffer_load_dwordx4 v[14:17], v82, s[24:27], 0 offen
	buffer_load_dwordx4 v[10:13], v82, s[24:27], s58 offen
	;; [unrolled: 1-line block ×4, first 2 shown]
	v_mov_b32_e32 v133, v84
	v_mov_b32_e32 v132, v85
.LBB102_13:                             ;   in Loop: Header=BB102_7 Depth=1
	ds_read_b64 v[136:137], v102 offset:57344
	ds_read2_b64 v[18:21], v110 offset1:16
	ds_read_b64 v[138:139], v104 offset:57344
	ds_read_b64 v[140:141], v108 offset:57344
	;; [unrolled: 1-line block ×3, first 2 shown]
	v_add_u32_e32 v135, s55, v126
	s_waitcnt lgkmcnt(3)
	v_mfma_f32_16x16x16_bf16 a[4:7], v[136:137], v[18:19], a[4:7]
	v_mfma_f32_16x16x16_bf16 a[8:11], v[136:137], v[20:21], a[8:11]
	ds_read2_b64 v[18:21], v110 offset0:32 offset1:48
	ds_read2st64_b64 v[22:25], v110 offset0:4 offset1:8
	ds_read2st64_b64 v[26:29], v111 offset0:4 offset1:8
	;; [unrolled: 1-line block ×3, first 2 shown]
	s_waitcnt lgkmcnt(3)
	v_mfma_f32_16x16x16_bf16 a[12:15], v[136:137], v[18:19], a[12:15]
	v_ashrrev_i32_e32 v18, 31, v135
	v_mfma_f32_16x16x16_bf16 a[0:3], v[136:137], v[20:21], a[0:3]
	v_mul_lo_u32 v20, v18, s14
	v_mul_lo_u32 v21, v135, s15
	v_mad_u64_u32 v[18:19], s[24:25], v135, s14, 0
	v_add3_u32 v19, v19, v21, v20
	v_add_u32_e32 v20, 1, v135
	v_ashrrev_i32_e32 v21, 31, v20
	s_waitcnt lgkmcnt(2)
	v_mfma_f32_16x16x16_bf16 a[4:7], v[138:139], v[22:23], a[4:7]
	v_mul_lo_u32 v22, v21, s14
	v_mul_lo_u32 v23, v20, s15
	v_mad_u64_u32 v[20:21], s[24:25], v20, s14, 0
	v_add3_u32 v21, v21, v23, v22
	v_add_u32_e32 v22, 2, v135
	v_ashrrev_i32_e32 v23, 31, v22
	s_waitcnt lgkmcnt(1)
	v_mfma_f32_16x16x16_bf16 a[8:11], v[138:139], v[26:27], a[8:11]
	v_mul_lo_u32 v26, v23, s14
	v_mul_lo_u32 v27, v22, s15
	v_mad_u64_u32 v[22:23], s[24:25], v22, s14, 0
	v_add3_u32 v23, v23, v27, v26
	v_add_u32_e32 v26, 3, v135
	v_ashrrev_i32_e32 v27, 31, v26
	v_mul_lo_u32 v135, v27, s14
	v_mul_lo_u32 v136, v26, s15
	v_mad_u64_u32 v[26:27], s[24:25], v26, s14, 0
	s_ashr_i32 s25, s55, 31
	s_add_u32 s24, s52, s55
	v_lshl_add_u64 v[18:19], v[18:19], 2, s[40:41]
	v_add3_u32 v27, v27, v136, v135
	s_addc_u32 s25, s51, s25
	v_lshl_add_u64 v[20:21], v[20:21], 2, s[40:41]
	global_load_dword v137, v[18:19], off
	v_lshl_add_u64 v[18:19], v[26:27], 2, s[40:41]
	s_lshl_b64 s[24:25], s[24:25], 8
	v_lshl_add_u64 v[22:23], v[22:23], 2, s[40:41]
	global_load_dword v135, v[20:21], off
	global_load_dword v136, v[22:23], off
	global_load_dword v144, v[18:19], off
	v_lshl_add_u64 v[18:19], v[68:69], 0, s[24:25]
	v_lshl_add_u64 v[22:23], v[18:19], 0, v[66:67]
	global_load_ushort v145, v[22:23], off offset:256
	global_load_ushort v146, v[22:23], off
	ds_read2st64_b64 v[18:21], v113 offset0:4 offset1:8
	global_load_ushort v147, v[22:23], off offset:768
	global_load_ushort v148, v[22:23], off offset:512
	s_waitcnt lgkmcnt(1)
	v_mfma_f32_16x16x16_bf16 a[12:15], v[138:139], v[30:31], a[12:15]
	s_and_b64 vcc, exec, s[0:1]
	s_waitcnt vmcnt(3)
	v_lshlrev_b32_e32 v31, 16, v145
	s_waitcnt lgkmcnt(0)
	v_mfma_f32_16x16x16_bf16 a[0:3], v[138:139], v[18:19], a[0:3]
	global_load_ushort v138, v[22:23], off offset:288
	global_load_ushort v139, v[22:23], off offset:32
	;; [unrolled: 1-line block ×8, first 2 shown]
	v_mfma_f32_16x16x16_bf16 a[4:7], v[140:141], v[24:25], a[4:7]
	ds_read_b64 v[18:19], v110 offset:6144
	s_waitcnt vmcnt(10)
	v_lshlrev_b32_e32 v30, 16, v146
	v_mfma_f32_16x16x16_bf16 a[8:11], v[140:141], v[28:29], a[8:11]
	v_mfma_f32_16x16x16_bf16 a[12:15], v[140:141], v[32:33], a[12:15]
	;; [unrolled: 1-line block ×3, first 2 shown]
	global_load_ushort v140, v[22:23], off offset:352
	global_load_ushort v141, v[22:23], off offset:96
	ds_read_b64 v[20:21], v111 offset:6144
	ds_read_b64 v[24:25], v112 offset:6144
	;; [unrolled: 1-line block ×3, first 2 shown]
	global_load_ushort v155, v[22:23], off offset:864
	global_load_ushort v156, v[22:23], off offset:608
	s_load_dword s24, s[42:43], 0x0
	s_waitcnt lgkmcnt(0)
	v_mfma_f32_16x16x16_bf16 a[4:7], v[142:143], v[18:19], a[4:7]
	v_sub_f32_e32 v28, s24, v136
	v_mfma_f32_16x16x16_bf16 a[0:3], v[142:143], v[26:27], a[0:3]
	v_sub_f32_e32 v26, s24, v137
	v_sub_f32_e32 v27, s24, v135
	;; [unrolled: 1-line block ×3, first 2 shown]
	v_mul_f32_e32 v26, 0x3fb8aa3b, v26
	v_mul_f32_e32 v27, 0x3fb8aa3b, v27
	;; [unrolled: 1-line block ×4, first 2 shown]
	v_mfma_f32_16x16x16_bf16 a[8:11], v[142:143], v[20:21], a[8:11]
	v_exp_f32_e32 v26, v26
	v_exp_f32_e32 v27, v27
	;; [unrolled: 1-line block ×4, first 2 shown]
	v_accvgpr_read_b32 v33, a5
	v_accvgpr_read_b32 v32, a4
	;; [unrolled: 1-line block ×4, first 2 shown]
	v_pk_add_f32 v[30:31], v[30:31], v[32:33] neg_lo:[0,1] neg_hi:[0,1]
	s_waitcnt vmcnt(13)
	v_lshlrev_b32_e32 v33, 16, v147
	s_waitcnt vmcnt(12)
	v_lshlrev_b32_e32 v32, 16, v148
	v_pk_add_f32 v[18:19], v[32:33], v[18:19] neg_lo:[0,1] neg_hi:[0,1]
	v_pk_mul_f32 v[30:31], v[26:27], v[30:31]
	v_pk_mul_f32 v[18:19], v[28:29], v[18:19]
	v_accvgpr_read_b32 v33, a9
	v_perm_b32 v19, v19, v18, s3
	v_perm_b32 v18, v31, v30, s3
	v_accvgpr_read_b32 v32, a8
	v_accvgpr_read_b32 v21, a11
	v_mfma_f32_16x16x16_bf16 a[12:15], v[142:143], v[24:25], a[12:15]
	v_accvgpr_read_b32 v20, a10
	v_accvgpr_read_b32 v25, a3
	;; [unrolled: 1-line block ×3, first 2 shown]
	v_mov_b32_e32 v135, 0
	s_waitcnt vmcnt(11)
	v_lshlrev_b32_e32 v31, 16, v138
	s_waitcnt vmcnt(10)
	v_lshlrev_b32_e32 v30, 16, v139
	v_pk_add_f32 v[30:31], v[30:31], v[32:33] neg_lo:[0,1] neg_hi:[0,1]
	s_waitcnt vmcnt(9)
	v_lshlrev_b32_e32 v33, 16, v149
	s_waitcnt vmcnt(8)
	v_lshlrev_b32_e32 v32, 16, v150
	v_pk_add_f32 v[20:21], v[32:33], v[20:21] neg_lo:[0,1] neg_hi:[0,1]
	v_pk_mul_f32 v[30:31], v[26:27], v[30:31]
	v_pk_mul_f32 v[20:21], v[28:29], v[20:21]
	v_accvgpr_read_b32 v23, a15
	v_perm_b32 v21, v21, v20, s3
	v_perm_b32 v20, v31, v30, s3
	ds_write2_b64 v87, v[18:19], v[20:21] offset1:16
	v_accvgpr_read_b32 v21, a13
	s_waitcnt vmcnt(7)
	v_lshlrev_b32_e32 v19, 16, v151
	s_waitcnt vmcnt(6)
	v_lshlrev_b32_e32 v18, 16, v152
	v_accvgpr_read_b32 v20, a12
	v_accvgpr_read_b32 v22, a14
	v_pk_add_f32 v[18:19], v[18:19], v[20:21] neg_lo:[0,1] neg_hi:[0,1]
	s_waitcnt vmcnt(5)
	v_lshlrev_b32_e32 v21, 16, v153
	s_waitcnt vmcnt(4)
	v_lshlrev_b32_e32 v20, 16, v154
	v_pk_add_f32 v[20:21], v[20:21], v[22:23] neg_lo:[0,1] neg_hi:[0,1]
	v_pk_mul_f32 v[18:19], v[26:27], v[18:19]
	v_pk_mul_f32 v[20:21], v[28:29], v[20:21]
	v_accvgpr_read_b32 v23, a1
	v_perm_b32 v21, v21, v20, s3
	v_perm_b32 v20, v19, v18, s3
	s_waitcnt vmcnt(3)
	v_lshlrev_b32_e32 v19, 16, v140
	s_waitcnt vmcnt(2)
	v_lshlrev_b32_e32 v18, 16, v141
	v_accvgpr_read_b32 v22, a0
	v_pk_add_f32 v[18:19], v[18:19], v[22:23] neg_lo:[0,1] neg_hi:[0,1]
	s_waitcnt vmcnt(1)
	v_lshlrev_b32_e32 v23, 16, v155
	s_waitcnt vmcnt(0)
	v_lshlrev_b32_e32 v22, 16, v156
	v_pk_add_f32 v[22:23], v[22:23], v[24:25] neg_lo:[0,1] neg_hi:[0,1]
	v_pk_mul_f32 v[18:19], v[26:27], v[18:19]
	v_pk_mul_f32 v[22:23], v[28:29], v[22:23]
	v_mov_b32_e32 v24, 0
	v_perm_b32 v23, v23, v22, s3
	v_perm_b32 v22, v19, v18, s3
	ds_write2_b64 v87, v[20:21], v[22:23] offset0:32 offset1:48
	v_mov_b32_e32 v18, 0
	v_mov_b32_e32 v19, 0
	;; [unrolled: 1-line block ×15, first 2 shown]
	s_cbranch_vccnz .LBB102_15
; %bb.14:                               ;   in Loop: Header=BB102_7 Depth=1
	s_and_b32 s29, s29, 0xffff
	s_mov_b32 s31, s27
	buffer_load_dwordx4 v[30:33], v124, s[28:31], 0 offen
	buffer_load_dwordx4 v[22:25], v124, s[28:31], s58 offen
	;; [unrolled: 1-line block ×4, first 2 shown]
	v_mov_b32_e32 v134, v81
	v_mov_b32_e32 v135, v80
.LBB102_15:                             ;   in Loop: Header=BB102_7 Depth=1
	s_waitcnt lgkmcnt(0)
	s_barrier
	ds_read_b64 v[144:145], v127
	ds_read2_b64 v[136:139], v117 offset1:16
	ds_read_b64 v[160:161], v128
	ds_read_b64 v[162:163], v129
	;; [unrolled: 1-line block ×3, first 2 shown]
	ds_read2_b64 v[140:143], v117 offset0:32 offset1:48
	s_waitcnt lgkmcnt(4)
	v_mfma_f32_16x16x16_bf16 a[0:3], v[144:145], v[136:137], 0
	ds_read2st64_b64 v[148:151], v119 offset0:4 offset1:8
	ds_read2st64_b64 v[152:155], v120 offset0:4 offset1:8
	;; [unrolled: 1-line block ×3, first 2 shown]
	v_mfma_f32_16x16x16_bf16 a[4:7], v[144:145], v[138:139], 0
	s_add_i32 s25, s50, s61
	s_mul_hi_i32 s29, s25, s33
	s_mul_i32 s25, s25, s33
	s_waitcnt lgkmcnt(3)
	v_mfma_f32_16x16x16_bf16 a[8:11], v[144:145], v[140:141], 0
	s_add_u32 s28, s25, s45
	s_addc_u32 s29, s29, s56
	s_lshl_b64 s[28:29], s[28:29], 15
	v_mfma_f32_16x16x16_bf16 a[12:15], v[144:145], v[142:143], 0
	ds_read2st64_b64 v[144:147], v117 offset0:4 offset1:8
	s_waitcnt lgkmcnt(0)
	v_mfma_f32_16x16x16_bf16 a[0:3], v[160:161], v[144:145], a[0:3]
	v_mfma_f32_16x16x16_bf16 a[4:7], v[160:161], v[148:149], a[4:7]
	;; [unrolled: 1-line block ×8, first 2 shown]
	ds_read_b64 v[160:161], v117 offset:6144
	ds_read_b64 v[162:163], v118 offset:40960
	;; [unrolled: 1-line block ×8, first 2 shown]
	s_waitcnt lgkmcnt(5)
	v_mfma_f32_16x16x16_bf16 a[16:19], v[166:167], v[136:137], 0
	v_mfma_f32_16x16x16_bf16 a[20:23], v[166:167], v[138:139], 0
	ds_read2st64_b64 v[136:139], v114 offset1:8
	v_mfma_f32_16x16x16_bf16 a[24:27], v[166:167], v[140:141], 0
	v_mfma_f32_16x16x16_bf16 a[28:31], v[166:167], v[142:143], 0
	ds_read2st64_b64 v[140:143], v115 offset1:8
	v_mfma_f32_16x16x16_bf16 a[16:19], v[162:163], v[144:145], a[16:19]
	s_waitcnt lgkmcnt(1)
	v_mov_b32_e32 v144, v136
	v_mov_b32_e32 v145, v137
	v_mfma_f32_16x16x16_bf16 a[20:23], v[162:163], v[148:149], a[20:23]
	v_lshl_add_u64 v[148:149], v[70:71], 0, s[28:29]
	v_mfma_f32_16x16x16_bf16 a[24:27], v[162:163], v[152:153], a[24:27]
	v_mfma_f32_16x16x16_bf16 a[28:31], v[162:163], v[156:157], a[28:31]
	;; [unrolled: 1-line block ×3, first 2 shown]
	s_waitcnt lgkmcnt(0)
	v_mov_b32_e32 v146, v140
	v_mov_b32_e32 v147, v141
	;; [unrolled: 1-line block ×3, first 2 shown]
	v_mfma_f32_16x16x16_bf16 a[32:35], v[174:175], v[150:151], a[20:23]
	v_mov_b32_e32 v141, v139
	ds_read2st64_b64 v[136:139], v114 offset0:16 offset1:24
	global_store_dwordx4 v[148:149], v[144:147], off
	v_mfma_f32_16x16x16_bf16 a[24:27], v[174:175], v[154:155], a[24:27]
	ds_read2st64_b64 v[144:147], v115 offset0:16 offset1:24
	v_add_co_u32_e32 v150, vcc, s21, v148
	v_mfma_f32_16x16x16_bf16 a[28:31], v[174:175], v[158:159], a[28:31]
	s_nop 0
	v_addc_co_u32_e32 v151, vcc, 0, v149, vcc
	global_store_dwordx4 v[150:151], v[140:143], off offset:-4096
	v_mfma_f32_16x16x16_bf16 a[0:3], v[164:165], v[160:161], a[0:3]
	s_waitcnt lgkmcnt(1)
	v_mov_b32_e32 v140, v136
	v_add_co_u32_e32 v136, vcc, s62, v148
	v_mfma_f32_16x16x16_bf16 a[4:7], v[164:165], v[168:169], a[4:7]
	v_mov_b32_e32 v141, v137
	v_addc_co_u32_e32 v137, vcc, 0, v149, vcc
	v_mfma_f32_16x16x16_bf16 a[8:11], v[164:165], v[170:171], a[8:11]
	s_waitcnt lgkmcnt(0)
	v_mov_b32_e32 v142, v144
	v_mov_b32_e32 v143, v145
	;; [unrolled: 1-line block ×3, first 2 shown]
	v_mfma_f32_16x16x16_bf16 a[12:15], v[164:165], v[172:173], a[12:15]
	v_mov_b32_e32 v145, v139
	s_and_b64 vcc, exec, s[0:1]
	global_store_dwordx4 v[150:151], v[140:143], off
	v_mfma_f32_16x16x16_bf16 a[20:23], v[176:177], v[160:161], a[16:19]
	global_store_dwordx4 v[136:137], v[144:147], off
	v_mfma_f32_16x16x16_bf16 a[16:19], v[176:177], v[168:169], a[32:35]
	v_mfma_f32_16x16x16_bf16 a[24:27], v[176:177], v[170:171], a[24:27]
	;; [unrolled: 1-line block ×3, first 2 shown]
	s_cbranch_vccnz .LBB102_6
; %bb.16:                               ;   in Loop: Header=BB102_7 Depth=1
	v_lshrrev_b32_e32 v136, 3, v134
	v_and_b32_e32 v136, 6, v136
	v_xor_b32_e32 v135, v136, v135
	v_lshlrev_b32_e32 v135, 2, v135
	v_and_b32_e32 v134, 8, v134
	v_xor_b32_e32 v137, 0x440, v135
	v_cmp_eq_u32_e32 vcc, 0, v134
	s_barrier
	s_nop 0
	v_cndmask_b32_e32 v134, v137, v135, vcc
	v_lshl_or_b32 v134, v136, 10, v134
	s_waitcnt vmcnt(5)
	v_perm_b32 v135, v30, v26, s59
	s_waitcnt vmcnt(4)
	v_perm_b32 v136, v22, v18, s59
	ds_write2st64_b32 v134, v135, v136 offset0:128 offset1:160
	v_xor_b32_e32 v135, 8, v134
	v_perm_b32 v26, v30, v26, s60
	v_perm_b32 v18, v22, v18, s60
	v_add_u32_e32 v22, 0x80, v135
	ds_write2st64_b32 v22, v26, v18 offset0:128 offset1:160
	v_xor_b32_e32 v18, 16, v134
	v_perm_b32 v22, v31, v27, s59
	v_perm_b32 v26, v23, v19, s59
	ds_write2st64_b32 v18, v22, v26 offset0:129 offset1:161
	v_xor_b32_e32 v18, 24, v134
	v_perm_b32 v22, v31, v27, s60
	v_perm_b32 v19, v23, v19, s60
	v_add_u32_e32 v18, 0x80, v18
	ds_write2st64_b32 v18, v22, v19 offset0:129 offset1:161
	v_xor_b32_e32 v18, 32, v134
	v_perm_b32 v19, v32, v28, s59
	;; [unrolled: 9-line block ×3, first 2 shown]
	v_perm_b32 v20, v25, v21, s59
	ds_write2st64_b32 v18, v19, v20 offset0:131 offset1:163
	v_xor_b32_e32 v18, 56, v134
	v_perm_b32 v19, v33, v29, s60
	v_perm_b32 v20, v25, v21, s60
	v_add_u32_e32 v18, 0x80, v18
	ds_write2st64_b32 v18, v19, v20 offset0:131 offset1:163
	ds_write_b64 v133, v[14:15] offset:49152
	v_xor_b32_e32 v14, 8, v133
	ds_write_b64 v14, v[16:17] offset:49152
	ds_write_b64 v133, v[10:11] offset:57344
	;; [unrolled: 1-line block ×4, first 2 shown]
	v_xor_b32_e32 v6, 8, v132
	ds_write_b64 v6, v[8:9] offset:49152
	ds_write_b64 v132, v[2:3] offset:57344
	;; [unrolled: 1-line block ×3, first 2 shown]
	s_branch .LBB102_6
.LBB102_17:
	s_lshl_b32 s3, s49, 6
	s_sub_i32 s54, s54, s3
	s_cmp_gt_i32 s54, 0
	v_or_b32_e32 v18, s2, v76
	s_cbranch_scc1 .LBB102_19
; %bb.18:
	s_ashr_i32 s29, s45, 31
	v_or_b32_e32 v2, s2, v76
	s_cbranch_execz .LBB102_20
	s_branch .LBB102_100
.LBB102_19:
                                        ; implicit-def: $vgpr2
                                        ; implicit-def: $sgpr28_sgpr29
.LBB102_20:
	s_add_i32 s28, s3, s36
	s_ashr_i32 s3, s28, 31
	s_cmpk_lg_i32 s19, 0x80
	s_cselect_b64 s[40:41], -1, 0
	s_and_b64 vcc, exec, s[40:41]
	s_cbranch_vccz .LBB102_22
; %bb.21:
	s_mul_hi_i32 s0, s28, s18
	s_mul_i32 s1, s28, s18
	s_ashr_i32 s18, s53, 31
	s_add_u32 s42, s1, s53
	s_addc_u32 s43, s0, s18
	s_cbranch_execz .LBB102_23
	s_branch .LBB102_24
.LBB102_22:
                                        ; implicit-def: $sgpr42_sgpr43
.LBB102_23:
	s_mul_i32 s1, s53, s16
	s_mul_hi_i32 s0, s53, s16
	s_add_u32 s42, s1, s28
	s_addc_u32 s43, s0, s3
.LBB102_24:
	s_add_i32 s16, s49, s50
	s_ashr_i32 s29, s45, 31
	s_add_u32 s0, s52, s28
	v_lshlrev_b32_e32 v6, 6, v1
	v_lshlrev_b32_e32 v26, 2, v76
	s_addc_u32 s1, s51, s3
	s_mov_b32 s3, 0x7060302
	v_or_b32_e32 v9, v6, v26
	v_xor_b32_e32 v7, v1, v26
	v_perm_b32 v3, v65, v64, s3
	v_perm_b32 v2, v63, v62, s3
	;; [unrolled: 1-line block ×4, first 2 shown]
	v_lshlrev_b32_e32 v9, 1, v9
	v_xor_b32_e32 v8, v79, v26
	ds_write2st64_b64 v9, v[2:3], v[4:5] offset0:32 offset1:48
	v_lshlrev_b32_e32 v7, 1, v7
	v_lshlrev_b32_e32 v9, 8, v76
	v_or_b32_e32 v10, v7, v9
	v_lshlrev_b32_e32 v8, 1, v8
	ds_write_b64 v10, v[2:3]
	v_or_b32_e32 v2, v8, v9
	v_or_b32_e32 v9, 16, v76
	v_lshlrev_b32_e32 v25, 2, v9
	v_or_b32_e32 v10, v6, v25
	ds_write_b64 v2, v[4:5]
	v_perm_b32 v3, v57, v56, s3
	v_perm_b32 v2, v55, v54, s3
	;; [unrolled: 1-line block ×4, first 2 shown]
	v_lshlrev_b32_e32 v10, 1, v10
	v_lshlrev_b32_e32 v9, 8, v9
	ds_write2st64_b64 v10, v[2:3], v[4:5] offset0:32 offset1:48
	v_or_b32_e32 v10, v7, v9
	ds_write_b64 v10, v[2:3]
	v_or_b32_e32 v2, v8, v9
	v_or_b32_e32 v9, 32, v76
	v_lshlrev_b32_e32 v24, 2, v9
	v_or_b32_e32 v10, v6, v24
	ds_write_b64 v2, v[4:5]
	v_perm_b32 v3, v49, v48, s3
	v_perm_b32 v2, v47, v46, s3
	;; [unrolled: 1-line block ×4, first 2 shown]
	v_lshlrev_b32_e32 v10, 1, v10
	v_lshlrev_b32_e32 v9, 8, v9
	s_lshl_b64 s[30:31], s[0:1], 8
	ds_write2st64_b64 v10, v[2:3], v[4:5] offset0:32 offset1:48
	v_or_b32_e32 v10, v7, v9
	s_add_u32 s0, s6, s30
	ds_write_b64 v10, v[2:3]
	v_or_b32_e32 v2, v8, v9
	s_addc_u32 s1, s7, s31
	ds_write_b64 v2, v[4:5]
	v_perm_b32 v3, v41, v40, s3
	v_perm_b32 v2, v39, v38, s3
	;; [unrolled: 1-line block ×4, first 2 shown]
	v_or_b32_e32 v9, 48, v76
	s_mul_hi_i32 s3, s16, s17
	s_mul_i32 s16, s16, s17
	v_lshlrev_b32_e32 v21, 2, v9
	s_add_u32 s6, s16, s45
	v_or_b32_e32 v6, v6, v21
	s_addc_u32 s7, s3, s29
	v_lshlrev_b32_e32 v6, 1, v6
	s_ashr_i32 s3, s2, 31
	s_lshl_b64 s[6:7], s[6:7], 15
	ds_write2st64_b64 v6, v[2:3], v[4:5] offset0:32 offset1:48
	v_lshlrev_b32_e32 v6, 8, v9
	s_add_u32 s6, s38, s6
	v_or_b32_e32 v7, v7, v6
	s_addc_u32 s7, s39, s7
	s_lshl_b64 s[2:3], s[2:3], 8
	ds_write_b64 v7, v[2:3]
	v_or_b32_e32 v2, v8, v6
	s_add_u32 s2, s6, s2
	v_lshlrev_b32_e32 v3, 1, v76
	ds_write_b64 v2, v[4:5]
	v_lshrrev_b32_e32 v2, 4, v0
	s_addc_u32 s3, s7, s3
	v_or_b32_e32 v4, 1, v3
	v_lshlrev_b32_e32 v10, 4, v76
	v_mov_b32_e32 v11, 0
	v_xor_b32_e32 v3, v2, v3
	v_xor_b32_e32 v6, v4, v2
	v_lshl_add_u64 v[12:13], s[2:3], 0, v[10:11]
	v_lshlrev_b32_e32 v10, 8, v2
	v_lshl_or_b32 v16, v3, 3, v10
	v_lshl_or_b32 v17, v6, 3, v10
	s_waitcnt lgkmcnt(0)
	s_barrier
	ds_read2st64_b64 v[2:5], v16 offset1:8
	ds_read2st64_b64 v[6:9], v17 offset1:8
	v_lshl_add_u64 v[14:15], v[12:13], 0, v[10:11]
	s_movk_i32 s2, 0x2000
	s_cmp_lg_u32 s54, 64
	s_waitcnt lgkmcnt(1)
	v_mov_b32_e32 v10, v2
	v_mov_b32_e32 v11, v3
	s_waitcnt lgkmcnt(0)
	v_mov_b32_e32 v12, v6
	v_mov_b32_e32 v13, v7
	global_store_dwordx4 v[14:15], v[10:13], off
	v_mov_b32_e32 v6, v4
	v_mov_b32_e32 v7, v5
	ds_read2st64_b64 v[2:5], v16 offset0:16 offset1:24
	ds_read2st64_b64 v[10:13], v17 offset0:16 offset1:24
	v_add_co_u32_e32 v16, vcc, s2, v14
	s_cselect_b64 s[6:7], -1, 0
	s_nop 0
	v_addc_co_u32_e32 v17, vcc, 0, v15, vcc
	global_store_dwordx4 v[16:17], v[6:9], off offset:-4096
	v_lshl_or_b32 v19, v72, 3, v78
	s_mov_b32 s24, 0
	s_waitcnt lgkmcnt(1)
	v_mov_b32_e32 v6, v2
	v_add_co_u32_e32 v2, vcc, 0x3000, v14
	v_mov_b32_e32 v7, v3
	s_nop 0
	v_addc_co_u32_e32 v3, vcc, 0, v15, vcc
	s_waitcnt lgkmcnt(0)
	v_mov_b32_e32 v8, v10
	v_mov_b32_e32 v9, v11
	;; [unrolled: 1-line block ×4, first 2 shown]
	v_or_b32_e32 v22, 32, v19
	v_and_b32_e32 v20, 56, v77
	s_and_b64 vcc, exec, s[6:7]
	global_store_dwordx4 v[16:17], v[6:9], off
	global_store_dwordx4 v[2:3], v[10:13], off
	s_cbranch_vccz .LBB102_30
; %bb.25:
	s_mov_b32 s25, s24
	s_mov_b32 s26, s24
	s_mov_b32 s27, s24
	v_mov_b64_e32 v[6:7], s[24:25]
	v_mov_b64_e32 v[8:9], s[26:27]
	;; [unrolled: 1-line block ×3, first 2 shown]
	v_cmp_gt_i32_e32 vcc, s54, v19
	v_mov_b64_e32 v[4:5], v[8:9]
	s_and_saveexec_b64 s[2:3], vcc
	s_cbranch_execz .LBB102_27
; %bb.26:
	v_lshlrev_b32_e32 v2, 8, v19
	v_mov_b32_e32 v3, 0
	v_lshl_add_u64 v[4:5], s[0:1], 0, v[2:3]
	v_lshlrev_b32_e32 v2, 1, v20
	v_lshl_add_u64 v[10:11], v[4:5], 0, v[2:3]
	global_load_dwordx4 v[6:9], v[10:11], off
	global_load_dwordx4 v[2:5], v[10:11], off offset:128
.LBB102_27:
	s_or_b64 exec, exec, s[2:3]
	s_mov_b32 s25, s24
	s_mov_b32 s26, s24
	;; [unrolled: 1-line block ×3, first 2 shown]
	v_mov_b64_e32 v[14:15], s[24:25]
	v_mov_b64_e32 v[16:17], s[26:27]
	;; [unrolled: 1-line block ×3, first 2 shown]
	v_cmp_gt_i32_e32 vcc, s54, v22
	v_lshlrev_b32_e32 v23, 7, v22
	v_mov_b64_e32 v[12:13], v[16:17]
	s_and_saveexec_b64 s[2:3], vcc
	s_cbranch_execz .LBB102_29
; %bb.28:
	v_lshlrev_b32_e32 v10, 1, v23
	v_mov_b32_e32 v11, 0
	v_lshl_add_u64 v[12:13], s[0:1], 0, v[10:11]
	v_lshlrev_b32_e32 v10, 1, v20
	v_lshl_add_u64 v[28:29], v[12:13], 0, v[10:11]
	global_load_dwordx4 v[14:17], v[28:29], off
	global_load_dwordx4 v[10:13], v[28:29], off offset:128
.LBB102_29:
	s_or_b64 exec, exec, s[2:3]
	v_lshrrev_b32_e32 v27, 3, v20
	v_lshlrev_b32_e32 v28, 3, v19
	v_or_b32_e32 v27, v28, v27
	v_lshlrev_b32_e32 v27, 4, v27
	v_and_b32_e32 v28, 0x78, v28
	v_xor_b32_e32 v27, v27, v28
	s_branch .LBB102_32
.LBB102_30:
                                        ; implicit-def: $vgpr27
                                        ; implicit-def: $vgpr23
                                        ; implicit-def: $vgpr6_vgpr7_vgpr8_vgpr9
                                        ; implicit-def: $vgpr2_vgpr3_vgpr4_vgpr5
                                        ; implicit-def: $vgpr14_vgpr15_vgpr16_vgpr17
                                        ; implicit-def: $vgpr10_vgpr11_vgpr12_vgpr13
	s_cbranch_execz .LBB102_32
; %bb.31:
	s_waitcnt vmcnt(0)
	v_lshlrev_b32_e32 v2, 1, v20
	v_lshl_or_b32 v23, v19, 8, v2
	s_and_b32 s1, s1, 0xffff
	s_mov_b32 s3, 0x20000
	s_movk_i32 s2, 0x4000
	v_lshl_or_b32 v27, v22, 8, v2
	s_movk_i32 s16, 0x80
	buffer_load_dwordx4 v[6:9], v23, s[0:3], 0 offen
	buffer_load_dwordx4 v[2:5], v23, s[0:3], s16 offen
	;; [unrolled: 1-line block ×4, first 2 shown]
	v_lshrrev_b32_e32 v23, 3, v20
	v_lshlrev_b32_e32 v27, 3, v19
	v_or_b32_e32 v23, v27, v23
	v_lshlrev_b32_e32 v23, 4, v23
	v_and_b32_e32 v27, 0x78, v27
	v_xor_b32_e32 v27, v23, v27
	v_lshlrev_b32_e32 v23, 7, v22
.LBB102_32:
	s_movk_i32 s0, 0x1000
	v_and_or_b32 v22, v23, s0, v27
	s_waitcnt vmcnt(1)
	ds_write_b64 v27, v[6:7] offset:49152
	v_xor_b32_e32 v6, 8, v27
	ds_write_b64 v6, v[8:9] offset:49152
	s_waitcnt vmcnt(0)
	ds_write_b64 v27, v[2:3] offset:57344
	ds_write_b64 v6, v[4:5] offset:57344
	;; [unrolled: 1-line block ×3, first 2 shown]
	v_xor_b32_e32 v2, 8, v22
	ds_write_b64 v2, v[16:17] offset:49152
	ds_write_b64 v22, v[10:11] offset:57344
	;; [unrolled: 1-line block ×3, first 2 shown]
	v_or_b32_e32 v2, v73, v76
	v_lshlrev_b32_e32 v2, 3, v2
	v_lshrrev_b32_e32 v3, 5, v74
	s_movk_i32 s0, 0xf8
	v_and_or_b32 v3, v2, s0, v3
	v_lshlrev_b32_e32 v7, 4, v3
	v_lshlrev_b32_e32 v27, 11, v72
	v_and_b32_e32 v8, 0x78, v2
	v_or_b32_e32 v10, 32, v7
	v_and_b32_e32 v6, 0x1000, v27
	v_lshrrev_b32_e32 v3, 1, v74
	v_xor_b32_e32 v10, v10, v8
	v_xor_b32_e32 v2, v7, v8
	v_and_b32_e32 v9, 8, v3
	v_or_b32_e32 v10, v10, v6
	v_or_b32_e32 v2, v2, v6
	v_xor_b32_e32 v33, v10, v9
	v_or_b32_e32 v10, 64, v7
	v_xor_b32_e32 v32, v2, v9
	v_xor_b32_e32 v10, v10, v8
	s_waitcnt lgkmcnt(0)
	s_barrier
	v_or_b32_e32 v13, v10, v6
	ds_read_b64 v[10:11], v32 offset:49152
	v_lshl_or_b32 v14, v75, 8, v26
	v_lshlrev_b32_e32 v28, 1, v14
	v_add_u32_e32 v12, 0x4000, v28
	ds_read2_b64 v[2:5], v12 offset1:16
	v_or_b32_e32 v7, 0x60, v7
	v_xor_b32_e32 v7, v7, v8
	v_or_b32_e32 v6, v7, v6
	v_xor_b32_e32 v66, v13, v9
	v_xor_b32_e32 v67, v6, v9
	ds_read_b64 v[22:23], v33 offset:49152
	ds_read_b64 v[68:69], v66 offset:49152
	;; [unrolled: 1-line block ×3, first 2 shown]
	s_waitcnt lgkmcnt(3)
	v_mfma_f32_16x16x16_bf16 a[0:3], v[10:11], v[2:3], 0
	ds_read2_b64 v[6:9], v12 offset0:32 offset1:48
	s_lshl_b64 s[0:1], s[42:43], 8
	s_add_u32 s4, s4, s0
	v_mfma_f32_16x16x16_bf16 a[4:7], v[10:11], v[4:5], 0
	ds_read2st64_b64 v[2:5], v28 offset0:36 offset1:40
	s_addc_u32 s5, s5, s1
	s_add_i32 s2, s37, -1
	s_waitcnt lgkmcnt(1)
	v_mfma_f32_16x16x16_bf16 a[8:11], v[10:11], v[6:7], 0
	v_or_b32_e32 v6, 64, v14
	v_lshlrev_b32_e32 v29, 1, v6
	s_add_i32 s0, s47, s46
	s_waitcnt lgkmcnt(0)
	v_mfma_f32_16x16x16_bf16 a[0:3], v[22:23], v[2:3], a[0:3]
	v_or_b32_e32 v2, 0x80, v14
	v_lshlrev_b32_e32 v30, 1, v2
	v_or_b32_e32 v2, 0xc0, v14
	v_mfma_f32_16x16x16_bf16 a[12:15], v[10:11], v[8:9], 0
	ds_read2st64_b64 v[6:9], v29 offset0:36 offset1:40
	v_lshlrev_b32_e32 v31, 1, v2
	ds_read2st64_b64 v[10:13], v30 offset0:36 offset1:40
	ds_read2st64_b64 v[14:17], v31 offset0:36 offset1:40
	s_add_i32 s21, s0, s48
	s_mul_i32 s0, s45, s23
	s_mul_hi_u32 s1, s45, s22
	s_ashr_i32 s3, s2, 31
	s_mul_i32 s16, s2, s15
	s_mul_hi_u32 s17, s2, s14
	s_waitcnt lgkmcnt(2)
	v_mfma_f32_16x16x16_bf16 a[4:7], v[22:23], v[6:7], a[4:7]
	s_add_i32 s0, s1, s0
	s_mul_i32 s1, s29, s22
	s_add_i32 s16, s17, s16
	s_mul_i32 s3, s3, s14
	s_waitcnt lgkmcnt(1)
	v_mfma_f32_16x16x16_bf16 a[8:11], v[22:23], v[10:11], a[8:11]
	s_add_i32 s1, s0, s1
	s_add_i32 s3, s16, s3
	s_lshl_b64 s[16:17], s[20:21], 2
	s_waitcnt lgkmcnt(0)
	v_mfma_f32_16x16x16_bf16 a[12:15], v[22:23], v[14:15], a[12:15]
	s_mul_i32 s0, s45, s22
	s_add_u32 s10, s10, s16
	s_addc_u32 s11, s11, s17
	s_lshl_b64 s[0:1], s[0:1], 2
	v_mfma_f32_16x16x16_bf16 a[0:3], v[68:69], v[4:5], a[0:3]
	s_mul_i32 s2, s2, s14
	ds_read_b64 v[2:3], v28 offset:22528
	s_add_u32 s10, s10, s0
	v_mfma_f32_16x16x16_bf16 a[4:7], v[68:69], v[8:9], a[4:7]
	ds_read_b64 v[4:5], v29 offset:22528
	ds_read_b64 v[6:7], v30 offset:22528
	;; [unrolled: 1-line block ×3, first 2 shown]
	s_addc_u32 s11, s11, s1
	s_lshl_b64 s[0:1], s[2:3], 2
	v_mfma_f32_16x16x16_bf16 a[8:11], v[68:69], v[12:13], a[8:11]
	s_add_u32 s0, s10, s0
	s_addc_u32 s1, s11, s1
	s_load_dword s16, s[0:1], 0x0
	v_mfma_f32_16x16x16_bf16 a[12:15], v[68:69], v[16:17], a[12:15]
	s_and_b64 vcc, exec, s[40:41]
	s_waitcnt lgkmcnt(0)
	v_mfma_f32_16x16x16_bf16 a[0:3], v[70:71], v[2:3], a[0:3]
	v_mfma_f32_16x16x16_bf16 a[4:7], v[70:71], v[4:5], a[4:7]
	;; [unrolled: 1-line block ×4, first 2 shown]
	s_cbranch_vccz .LBB102_43
; %bb.33:
	v_lshlrev_b32_e32 v22, 1, v19
	s_and_b64 vcc, exec, s[6:7]
	s_cbranch_vccz .LBB102_44
; %bb.34:
	v_cmp_gt_i32_e32 vcc, s54, v22
	v_mov_b32_e32 v6, 0
	v_mov_b32_e32 v2, 0
	v_mov_b32_e32 v3, 0
	v_mov_b32_e32 v4, 0
	v_mov_b32_e32 v5, 0
	s_and_saveexec_b64 s[0:1], vcc
	s_cbranch_execz .LBB102_36
; %bb.35:
	v_mad_i64_i32 v[2:3], s[2:3], s19, v22, 0
	v_lshl_add_u64 v[2:3], v[2:3], 1, s[4:5]
	v_lshlrev_b32_e32 v4, 1, v20
	v_mov_b32_e32 v5, 0
	v_lshl_add_u64 v[2:3], v[2:3], 0, v[4:5]
	global_load_dwordx4 v[2:5], v[2:3], off
.LBB102_36:
	s_or_b64 exec, exec, s[0:1]
	v_or_b32_e32 v23, 1, v22
	v_cmp_gt_i32_e64 s[0:1], s54, v23
	v_mov_b32_e32 v7, 0
	v_mov_b32_e32 v8, 0
	;; [unrolled: 1-line block ×3, first 2 shown]
	s_and_saveexec_b64 s[2:3], s[0:1]
	s_cbranch_execz .LBB102_38
; %bb.37:
	v_mad_i64_i32 v[6:7], s[20:21], s19, v23, 0
	v_lshl_add_u64 v[6:7], v[6:7], 1, s[4:5]
	v_lshlrev_b32_e32 v8, 1, v20
	v_mov_b32_e32 v9, 0
	v_lshl_add_u64 v[6:7], v[6:7], 0, v[8:9]
	global_load_dwordx4 v[6:9], v[6:7], off
.LBB102_38:
	s_or_b64 exec, exec, s[2:3]
	v_mov_b32_e32 v17, 0
	v_mov_b32_e32 v10, 0
	;; [unrolled: 1-line block ×5, first 2 shown]
	s_and_saveexec_b64 s[2:3], vcc
	s_cbranch_execz .LBB102_40
; %bb.39:
	v_mad_i64_i32 v[10:11], s[20:21], s19, v22, 0
	v_lshl_add_u64 v[10:11], v[10:11], 1, s[4:5]
	v_lshlrev_b32_e32 v12, 1, v20
	v_mov_b32_e32 v13, 0
	v_lshl_add_u64 v[10:11], v[10:11], 0, v[12:13]
	global_load_dwordx4 v[10:13], v[10:11], off offset:128
.LBB102_40:
	s_or_b64 exec, exec, s[2:3]
	v_mov_b32_e32 v16, 0
	v_mov_b32_e32 v15, 0
	;; [unrolled: 1-line block ×3, first 2 shown]
	s_and_saveexec_b64 s[2:3], s[0:1]
	s_cbranch_execz .LBB102_42
; %bb.41:
	v_mad_i64_i32 v[14:15], s[0:1], s19, v23, 0
	v_lshl_add_u64 v[14:15], v[14:15], 1, s[4:5]
	v_lshlrev_b32_e32 v16, 1, v20
	v_mov_b32_e32 v17, 0
	v_lshl_add_u64 v[14:15], v[14:15], 0, v[16:17]
	global_load_dwordx4 v[14:17], v[14:15], off offset:128
.LBB102_42:
	s_or_b64 exec, exec, s[2:3]
	s_branch .LBB102_46
.LBB102_43:
                                        ; implicit-def: $vgpr5
                                        ; implicit-def: $vgpr9
                                        ; implicit-def: $vgpr13
                                        ; implicit-def: $vgpr17
	v_lshrrev_b32_e32 v68, 2, v74
	s_branch .LBB102_47
.LBB102_44:
                                        ; implicit-def: $vgpr5
                                        ; implicit-def: $vgpr9
                                        ; implicit-def: $vgpr13
                                        ; implicit-def: $vgpr17
	s_cbranch_execz .LBB102_46
; %bb.45:
	s_waitcnt vmcnt(0)
	v_mad_u64_u32 v[2:3], s[0:1], v22, s19, v[20:21]
	v_lshlrev_b32_e32 v22, 1, v2
	s_lshl_b32 s2, s19, 7
	s_and_b32 s1, s5, 0xffff
	s_mov_b32 s3, 0x20000
	s_mov_b32 s0, s4
	v_add_lshl_u32 v23, v2, s19, 1
	s_movk_i32 s17, 0x80
	buffer_load_dwordx4 v[2:5], v22, s[0:3], 0 offen
	buffer_load_dwordx4 v[10:13], v22, s[0:3], s17 offen
	;; [unrolled: 1-line block ×4, first 2 shown]
.LBB102_46:
	v_lshrrev_b32_e32 v68, 2, v74
	s_cbranch_execnz .LBB102_59
.LBB102_47:
	s_and_b64 vcc, exec, s[6:7]
	s_cbranch_vccz .LBB102_57
; %bb.48:
	s_waitcnt vmcnt(0)
	v_lshlrev_b32_e32 v7, 1, v19
	v_cmp_gt_i32_e32 vcc, s54, v7
	v_mov_b32_e32 v6, 0
	v_lshlrev_b32_e32 v14, 9, v19
	v_mov_b32_e32 v2, 0
	v_mov_b32_e32 v3, 0
	;; [unrolled: 1-line block ×4, first 2 shown]
	s_and_saveexec_b64 s[0:1], vcc
	s_cbranch_execz .LBB102_50
; %bb.49:
	v_mov_b32_e32 v15, 0
	v_lshl_add_u64 v[2:3], s[4:5], 0, v[14:15]
	v_lshlrev_b32_e32 v4, 1, v20
	v_mov_b32_e32 v5, v15
	v_lshl_add_u64 v[2:3], v[2:3], 0, v[4:5]
	global_load_dwordx4 v[2:5], v[2:3], off
.LBB102_50:
	s_or_b64 exec, exec, s[0:1]
	v_or_b32_e32 v7, 1, v7
	v_cmp_gt_i32_e64 s[0:1], s54, v7
	v_lshlrev_b32_e32 v22, 8, v7
	v_mov_b32_e32 v7, 0
	v_mov_b32_e32 v8, 0
	;; [unrolled: 1-line block ×3, first 2 shown]
	s_and_saveexec_b64 s[2:3], s[0:1]
	s_cbranch_execz .LBB102_52
; %bb.51:
	v_mov_b32_e32 v23, 0
	v_lshl_add_u64 v[6:7], s[4:5], 0, v[22:23]
	v_lshlrev_b32_e32 v8, 1, v20
	v_mov_b32_e32 v9, v23
	v_lshl_add_u64 v[6:7], v[6:7], 0, v[8:9]
	global_load_dwordx4 v[6:9], v[6:7], off
.LBB102_52:
	s_or_b64 exec, exec, s[2:3]
	v_mov_b32_e32 v17, 0
	v_mov_b32_e32 v10, 0
	;; [unrolled: 1-line block ×5, first 2 shown]
	s_and_saveexec_b64 s[2:3], vcc
	s_cbranch_execz .LBB102_54
; %bb.53:
	v_mov_b32_e32 v15, 0
	v_lshl_add_u64 v[10:11], s[4:5], 0, v[14:15]
	v_lshlrev_b32_e32 v14, 1, v20
	v_lshl_add_u64 v[10:11], v[10:11], 0, v[14:15]
	global_load_dwordx4 v[10:13], v[10:11], off offset:128
.LBB102_54:
	s_or_b64 exec, exec, s[2:3]
	v_mov_b32_e32 v16, 0
	v_mov_b32_e32 v15, 0
	;; [unrolled: 1-line block ×3, first 2 shown]
	s_and_saveexec_b64 s[2:3], s[0:1]
	s_cbranch_execz .LBB102_56
; %bb.55:
	v_mov_b32_e32 v23, 0
	v_lshl_add_u64 v[14:15], s[4:5], 0, v[22:23]
	v_lshlrev_b32_e32 v22, 1, v20
	v_lshl_add_u64 v[14:15], v[14:15], 0, v[22:23]
	global_load_dwordx4 v[14:17], v[14:15], off offset:128
.LBB102_56:
	s_or_b64 exec, exec, s[2:3]
	s_branch .LBB102_59
.LBB102_57:
                                        ; implicit-def: $vgpr5
                                        ; implicit-def: $vgpr9
                                        ; implicit-def: $vgpr13
                                        ; implicit-def: $vgpr17
	s_cbranch_execz .LBB102_59
; %bb.58:
	s_waitcnt vmcnt(0)
	v_lshlrev_b32_e32 v2, 1, v20
	v_lshl_or_b32 v20, v19, 9, v2
	s_and_b32 s5, s5, 0xffff
	s_mov_b32 s7, 0x20000
	s_movk_i32 s6, 0x4000
	s_movk_i32 s0, 0x80
	buffer_load_dwordx4 v[2:5], v20, s[4:7], 0 offen
	buffer_load_dwordx4 v[6:9], v20, s[4:7], 0 offen offset:256
	buffer_load_dwordx4 v[10:13], v20, s[4:7], s0 offen
	buffer_load_dwordx4 v[14:17], v20, s[4:7], s0 offen offset:256
.LBB102_59:
	ds_read_b64 v[22:23], v32 offset:57344
	v_add_u32_e32 v20, 0x6000, v28
	ds_read2_b64 v[74:77], v20 offset1:16
	ds_read_b64 v[32:33], v33 offset:57344
	ds_read_b64 v[70:71], v66 offset:57344
	;; [unrolled: 1-line block ×3, first 2 shown]
	ds_read2st64_b64 v[78:81], v28 offset0:52 offset1:56
	v_and_b32_e32 v69, 1, v0
	v_cmp_eq_u32_e32 vcc, 0, v69
	s_mov_b32 s0, 0x1000504
	s_mov_b32 s1, 0x3020706
	s_waitcnt lgkmcnt(4)
	v_mfma_f32_16x16x16_bf16 a[0:3], v[22:23], v[74:75], a[0:3]
	v_mfma_f32_16x16x16_bf16 a[4:7], v[22:23], v[76:77], a[4:7]
	ds_read2_b64 v[74:77], v20 offset0:32 offset1:48
	v_and_b32_e32 v20, 6, v0
	v_xor_b32_e32 v19, v19, v20
	s_waitcnt lgkmcnt(0)
	v_mfma_f32_16x16x16_bf16 a[8:11], v[22:23], v[74:75], a[8:11]
	v_lshlrev_b32_e32 v19, 2, v19
	v_mfma_f32_16x16x16_bf16 a[12:15], v[22:23], v[76:77], a[12:15]
	ds_read2st64_b64 v[74:77], v29 offset0:52 offset1:56
	ds_read2st64_b64 v[82:85], v30 offset0:52 offset1:56
	;; [unrolled: 1-line block ×3, first 2 shown]
	s_waitcnt lgkmcnt(2)
	v_mfma_f32_16x16x16_bf16 a[4:7], v[32:33], v[74:75], a[4:7]
	v_xor_b32_e32 v74, 0x440, v19
	v_cndmask_b32_e32 v19, v74, v19, vcc
	v_lshl_or_b32 v19, v20, 10, v19
	v_mfma_f32_16x16x16_bf16 a[0:3], v[32:33], v[78:79], a[0:3]
	s_waitcnt vmcnt(0)
	v_perm_b32 v20, v2, v6, s0
	ds_read_b64 v[22:23], v28 offset:30720
	ds_read_b64 v[78:79], v29 offset:30720
	;; [unrolled: 1-line block ×4, first 2 shown]
	v_perm_b32 v2, v2, v6, s1
	s_waitcnt lgkmcnt(5)
	v_mfma_f32_16x16x16_bf16 a[8:11], v[32:33], v[82:83], a[8:11]
	v_perm_b32 v6, v10, v14, s1
	s_waitcnt lgkmcnt(4)
	v_mfma_f32_16x16x16_bf16 a[12:15], v[32:33], v[86:87], a[12:15]
	v_perm_b32 v32, v10, v14, s0
	ds_write2st64_b32 v19, v20, v32 offset0:128 offset1:160
	v_xor_b32_e32 v20, 8, v19
	v_add_u32_e32 v10, 0x80, v20
	ds_write2st64_b32 v10, v2, v6 offset0:128 offset1:160
	v_xor_b32_e32 v2, 16, v19
	v_perm_b32 v6, v3, v7, s0
	v_perm_b32 v10, v11, v15, s0
	v_mfma_f32_16x16x16_bf16 a[0:3], v[70:71], v[80:81], a[0:3]
	ds_write2st64_b32 v2, v6, v10 offset0:129 offset1:161
	v_xor_b32_e32 v2, 24, v19
	v_perm_b32 v3, v3, v7, s1
	v_mfma_f32_16x16x16_bf16 a[4:7], v[70:71], v[76:77], a[4:7]
	v_perm_b32 v6, v11, v15, s1
	v_add_u32_e32 v2, 0x80, v2
	ds_write2st64_b32 v2, v3, v6 offset0:129 offset1:161
	v_mfma_f32_16x16x16_bf16 a[16:19], v[70:71], v[84:85], a[8:11]
	v_xor_b32_e32 v2, 32, v19
	v_perm_b32 v3, v4, v8, s0
	v_perm_b32 v6, v12, v16, s0
	v_mfma_f32_16x16x16_bf16 a[20:23], v[70:71], v[88:89], a[12:15]
	ds_write2st64_b32 v2, v3, v6 offset0:130 offset1:162
	v_xor_b32_e32 v2, 40, v19
	v_perm_b32 v3, v4, v8, s1
	s_waitcnt lgkmcnt(8)
	v_mfma_f32_16x16x16_bf16 a[12:15], v[66:67], v[22:23], a[0:3]
	v_perm_b32 v4, v12, v16, s1
	v_add_u32_e32 v2, 0x80, v2
	ds_write2st64_b32 v2, v3, v4 offset0:130 offset1:162
	s_waitcnt lgkmcnt(8)
	v_mfma_f32_16x16x16_bf16 a[8:11], v[66:67], v[78:79], a[4:7]
	v_xor_b32_e32 v2, 48, v19
	v_perm_b32 v3, v5, v9, s0
	v_perm_b32 v4, v13, v17, s0
	s_waitcnt lgkmcnt(7)
	v_mfma_f32_16x16x16_bf16 a[4:7], v[66:67], v[90:91], a[16:19]
	ds_write2st64_b32 v2, v3, v4 offset0:131 offset1:163
	v_xor_b32_e32 v2, 56, v19
	v_and_or_b32 v23, v68, 12, v73
	s_waitcnt lgkmcnt(7)
	v_mfma_f32_16x16x16_bf16 a[0:3], v[66:67], v[92:93], a[20:23]
	v_perm_b32 v3, v5, v9, s1
	v_perm_b32 v4, v13, v17, s1
	v_add_u32_e32 v2, 0x80, v2
	v_cmp_gt_i32_e32 vcc, s54, v23
	v_mov_b32_e32 v16, 0
	v_mov_b32_e32 v20, 0
	ds_write2st64_b32 v2, v3, v4 offset0:131 offset1:163
	s_and_saveexec_b64 s[0:1], vcc
	s_cbranch_execz .LBB102_61
; %bb.60:
	v_add_u32_e32 v2, s28, v23
	v_ashrrev_i32_e32 v3, 31, v2
	v_mul_lo_u32 v4, v3, s14
	v_mul_lo_u32 v5, v2, s15
	v_mad_u64_u32 v[2:3], s[2:3], v2, s14, 0
	v_add3_u32 v3, v3, v5, v4
	v_lshl_add_u64 v[2:3], v[2:3], 2, s[10:11]
	global_load_dword v2, v[2:3], off
	s_waitcnt vmcnt(0)
	v_sub_f32_e32 v2, s16, v2
	v_mul_f32_e32 v2, 0x3fb8aa3b, v2
	v_exp_f32_e32 v20, v2
.LBB102_61:
	s_or_b64 exec, exec, s[0:1]
	v_or_b32_e32 v8, 1, v23
	v_cmp_gt_i32_e64 s[0:1], s54, v8
	s_and_saveexec_b64 s[2:3], s[0:1]
	s_cbranch_execz .LBB102_63
; %bb.62:
	v_add_u32_e32 v2, s28, v8
	v_ashrrev_i32_e32 v3, 31, v2
	v_mul_lo_u32 v4, v3, s14
	v_mul_lo_u32 v5, v2, s15
	v_mad_u64_u32 v[2:3], s[4:5], v2, s14, 0
	v_add3_u32 v3, v3, v5, v4
	v_lshl_add_u64 v[2:3], v[2:3], 2, s[10:11]
	global_load_dword v2, v[2:3], off
	s_waitcnt vmcnt(0)
	v_sub_f32_e32 v2, s16, v2
	v_mul_f32_e32 v2, 0x3fb8aa3b, v2
	v_exp_f32_e32 v16, v2
.LBB102_63:
	s_or_b64 exec, exec, s[2:3]
	v_or_b32_e32 v9, 2, v23
	v_cmp_gt_i32_e64 s[2:3], s54, v9
	v_mov_b32_e32 v17, 0
	v_mov_b32_e32 v22, 0
	s_and_saveexec_b64 s[4:5], s[2:3]
	s_cbranch_execz .LBB102_65
; %bb.64:
	v_add_u32_e32 v2, s28, v9
	v_ashrrev_i32_e32 v3, 31, v2
	v_mul_lo_u32 v4, v3, s14
	v_mul_lo_u32 v5, v2, s15
	v_mad_u64_u32 v[2:3], s[6:7], v2, s14, 0
	v_add3_u32 v3, v3, v5, v4
	v_lshl_add_u64 v[2:3], v[2:3], 2, s[10:11]
	global_load_dword v2, v[2:3], off
	s_waitcnt vmcnt(0)
	v_sub_f32_e32 v2, s16, v2
	v_mul_f32_e32 v2, 0x3fb8aa3b, v2
	v_exp_f32_e32 v22, v2
.LBB102_65:
	s_or_b64 exec, exec, s[4:5]
	v_or_b32_e32 v32, 3, v23
	v_cmp_gt_i32_e64 s[4:5], s54, v32
	s_and_saveexec_b64 s[6:7], s[4:5]
	s_cbranch_execz .LBB102_67
; %bb.66:
	v_add_u32_e32 v2, s28, v32
	v_ashrrev_i32_e32 v3, 31, v2
	v_mul_lo_u32 v4, v3, s14
	v_mul_lo_u32 v5, v2, s15
	v_mad_u64_u32 v[2:3], s[14:15], v2, s14, 0
	v_add3_u32 v3, v3, v5, v4
	v_lshl_add_u64 v[2:3], v[2:3], 2, s[10:11]
	global_load_dword v2, v[2:3], off
	s_waitcnt vmcnt(0)
	v_sub_f32_e32 v2, s16, v2
	v_mul_f32_e32 v2, 0x3fb8aa3b, v2
	v_exp_f32_e32 v17, v2
.LBB102_67:
	s_or_b64 exec, exec, s[6:7]
	s_add_u32 s6, s8, s30
	v_accvgpr_read_b32 v2, a12
	s_addc_u32 s7, s9, s31
	v_ashrrev_i32_e32 v19, 31, v18
	v_accvgpr_read_b32 v3, a13
	v_accvgpr_read_b32 v4, a14
	;; [unrolled: 1-line block ×3, first 2 shown]
	v_lshl_add_u64 v[6:7], v[18:19], 1, s[6:7]
	v_mov_b32_e32 v13, 0
	v_lshlrev_b32_e32 v10, 8, v23
	v_mov_b32_e32 v11, 0
	s_and_saveexec_b64 s[6:7], vcc
	s_cbranch_execz .LBB102_69
; %bb.68:
	v_mov_b32_e32 v11, 0
	v_lshl_add_u64 v[14:15], v[6:7], 0, v[10:11]
	global_load_ushort v11, v[14:15], off
	s_waitcnt vmcnt(0)
	v_lshlrev_b32_e32 v11, 16, v11
	v_sub_f32_e32 v2, v11, v2
	v_mul_f32_e32 v2, v20, v2
	v_lshrrev_b32_e32 v11, 16, v2
.LBB102_69:
	s_or_b64 exec, exec, s[6:7]
	v_lshlrev_b32_e32 v12, 8, v8
	s_and_saveexec_b64 s[6:7], s[0:1]
	s_cbranch_execz .LBB102_71
; %bb.70:
	v_mov_b32_e32 v13, 0
	v_lshl_add_u64 v[14:15], v[6:7], 0, v[12:13]
	global_load_ushort v2, v[14:15], off
	s_waitcnt vmcnt(0)
	v_lshlrev_b32_e32 v2, 16, v2
	v_sub_f32_e32 v2, v2, v3
	v_mul_f32_e32 v2, v16, v2
	v_lshrrev_b32_e32 v13, 16, v2
.LBB102_71:
	s_or_b64 exec, exec, s[6:7]
	v_mov_b32_e32 v33, 0
	v_lshlrev_b32_e32 v14, 8, v9
	v_mov_b32_e32 v15, 0
	s_and_saveexec_b64 s[6:7], s[2:3]
	s_cbranch_execz .LBB102_73
; %bb.72:
	v_mov_b32_e32 v15, 0
	v_lshl_add_u64 v[2:3], v[6:7], 0, v[14:15]
	global_load_ushort v2, v[2:3], off
	s_waitcnt vmcnt(0)
	v_lshlrev_b32_e32 v2, 16, v2
	v_sub_f32_e32 v2, v2, v4
	v_mul_f32_e32 v2, v22, v2
	v_lshrrev_b32_e32 v15, 16, v2
.LBB102_73:
	s_or_b64 exec, exec, s[6:7]
	v_lshlrev_b32_e32 v8, 8, v32
	s_and_saveexec_b64 s[6:7], s[4:5]
	s_cbranch_execz .LBB102_75
; %bb.74:
	v_mov_b32_e32 v9, 0
	v_lshl_add_u64 v[2:3], v[6:7], 0, v[8:9]
	global_load_ushort v2, v[2:3], off
	s_waitcnt vmcnt(0)
	v_lshlrev_b32_e32 v2, 16, v2
	v_sub_f32_e32 v2, v2, v5
	v_mul_f32_e32 v2, v17, v2
	v_lshrrev_b32_e32 v33, 16, v2
.LBB102_75:
	s_or_b64 exec, exec, s[6:7]
	v_lshlrev_b32_e32 v19, 6, v23
	v_accvgpr_read_b32 v2, a8
	s_mov_b32 s6, 0x5040100
	v_or_b32_e32 v9, v19, v26
	v_accvgpr_read_b32 v3, a9
	v_accvgpr_read_b32 v4, a10
	;; [unrolled: 1-line block ×3, first 2 shown]
	v_perm_b32 v33, v33, v15, s6
	v_perm_b32 v32, v13, v11, s6
	v_lshlrev_b32_e32 v9, 1, v9
	v_mov_b32_e32 v13, 0
	v_mov_b32_e32 v11, 0
	ds_write_b64 v9, v[32:33] offset:24576
	s_and_saveexec_b64 s[6:7], vcc
	s_cbranch_execz .LBB102_77
; %bb.76:
	v_mov_b32_e32 v11, 0
	v_lshl_add_u64 v[32:33], v[6:7], 0, v[10:11]
	global_load_ushort v9, v[32:33], off offset:32
	s_waitcnt vmcnt(0)
	v_lshlrev_b32_e32 v9, 16, v9
	v_sub_f32_e32 v2, v9, v2
	v_mul_f32_e32 v2, v20, v2
	v_lshrrev_b32_e32 v11, 16, v2
.LBB102_77:
	s_or_b64 exec, exec, s[6:7]
	s_and_saveexec_b64 s[6:7], s[0:1]
	s_cbranch_execz .LBB102_79
; %bb.78:
	v_mov_b32_e32 v13, 0
	v_lshl_add_u64 v[32:33], v[6:7], 0, v[12:13]
	global_load_ushort v2, v[32:33], off offset:32
	s_waitcnt vmcnt(0)
	v_lshlrev_b32_e32 v2, 16, v2
	v_sub_f32_e32 v2, v2, v3
	v_mul_f32_e32 v2, v16, v2
	v_lshrrev_b32_e32 v13, 16, v2
.LBB102_79:
	s_or_b64 exec, exec, s[6:7]
	v_mov_b32_e32 v9, 0
	v_mov_b32_e32 v15, 0
	s_and_saveexec_b64 s[6:7], s[2:3]
	s_cbranch_execz .LBB102_81
; %bb.80:
	v_mov_b32_e32 v15, 0
	v_lshl_add_u64 v[2:3], v[6:7], 0, v[14:15]
	global_load_ushort v2, v[2:3], off offset:32
	s_waitcnt vmcnt(0)
	v_lshlrev_b32_e32 v2, 16, v2
	v_sub_f32_e32 v2, v2, v4
	v_mul_f32_e32 v2, v22, v2
	v_lshrrev_b32_e32 v15, 16, v2
.LBB102_81:
	s_or_b64 exec, exec, s[6:7]
	s_and_saveexec_b64 s[6:7], s[4:5]
	s_cbranch_execz .LBB102_83
; %bb.82:
	v_mov_b32_e32 v9, 0
	v_lshl_add_u64 v[2:3], v[6:7], 0, v[8:9]
	global_load_ushort v2, v[2:3], off offset:32
	s_waitcnt vmcnt(0)
	v_lshlrev_b32_e32 v2, 16, v2
	v_sub_f32_e32 v2, v2, v5
	v_mul_f32_e32 v2, v17, v2
	v_lshrrev_b32_e32 v9, 16, v2
.LBB102_83:
	s_or_b64 exec, exec, s[6:7]
	s_mov_b32 s6, 0x5040100
	v_accvgpr_read_b32 v2, a4
	v_perm_b32 v33, v9, v15, s6
	v_or_b32_e32 v9, v19, v25
	v_accvgpr_read_b32 v3, a5
	v_accvgpr_read_b32 v4, a6
	;; [unrolled: 1-line block ×3, first 2 shown]
	v_perm_b32 v32, v13, v11, s6
	v_lshlrev_b32_e32 v9, 1, v9
	v_mov_b32_e32 v13, 0
	v_mov_b32_e32 v11, 0
	ds_write_b64 v9, v[32:33] offset:24576
	s_and_saveexec_b64 s[6:7], vcc
	s_cbranch_execz .LBB102_85
; %bb.84:
	v_mov_b32_e32 v11, 0
	v_lshl_add_u64 v[32:33], v[6:7], 0, v[10:11]
	global_load_ushort v9, v[32:33], off offset:64
	s_waitcnt vmcnt(0)
	v_lshlrev_b32_e32 v9, 16, v9
	v_sub_f32_e32 v2, v9, v2
	v_mul_f32_e32 v2, v20, v2
	v_lshrrev_b32_e32 v11, 16, v2
.LBB102_85:
	s_or_b64 exec, exec, s[6:7]
	s_and_saveexec_b64 s[6:7], s[0:1]
	s_cbranch_execz .LBB102_87
; %bb.86:
	v_mov_b32_e32 v13, 0
	v_lshl_add_u64 v[32:33], v[6:7], 0, v[12:13]
	global_load_ushort v2, v[32:33], off offset:64
	s_waitcnt vmcnt(0)
	v_lshlrev_b32_e32 v2, 16, v2
	v_sub_f32_e32 v2, v2, v3
	v_mul_f32_e32 v2, v16, v2
	v_lshrrev_b32_e32 v13, 16, v2
.LBB102_87:
	s_or_b64 exec, exec, s[6:7]
	v_mov_b32_e32 v9, 0
	v_mov_b32_e32 v15, 0
	s_and_saveexec_b64 s[6:7], s[2:3]
	s_cbranch_execz .LBB102_89
; %bb.88:
	v_mov_b32_e32 v15, 0
	v_lshl_add_u64 v[2:3], v[6:7], 0, v[14:15]
	global_load_ushort v2, v[2:3], off offset:64
	s_waitcnt vmcnt(0)
	v_lshlrev_b32_e32 v2, 16, v2
	v_sub_f32_e32 v2, v2, v4
	v_mul_f32_e32 v2, v22, v2
	v_lshrrev_b32_e32 v15, 16, v2
.LBB102_89:
	s_or_b64 exec, exec, s[6:7]
	s_and_saveexec_b64 s[6:7], s[4:5]
	s_cbranch_execz .LBB102_91
; %bb.90:
	v_mov_b32_e32 v9, 0
	v_lshl_add_u64 v[2:3], v[6:7], 0, v[8:9]
	global_load_ushort v2, v[2:3], off offset:64
	s_waitcnt vmcnt(0)
	v_lshlrev_b32_e32 v2, 16, v2
	v_sub_f32_e32 v2, v2, v5
	v_mul_f32_e32 v2, v17, v2
	v_lshrrev_b32_e32 v9, 16, v2
.LBB102_91:
	s_or_b64 exec, exec, s[6:7]
	s_mov_b32 s6, 0x5040100
	v_accvgpr_read_b32 v5, a3
	v_perm_b32 v33, v9, v15, s6
	v_or_b32_e32 v9, v19, v24
	v_accvgpr_read_b32 v4, a2
	v_accvgpr_read_b32 v3, a1
	;; [unrolled: 1-line block ×3, first 2 shown]
	v_perm_b32 v32, v13, v11, s6
	v_lshlrev_b32_e32 v9, 1, v9
	v_mov_b32_e32 v13, 0
	v_mov_b32_e32 v11, 0
	ds_write_b64 v9, v[32:33] offset:24576
	s_and_saveexec_b64 s[6:7], vcc
	s_cbranch_execz .LBB102_93
; %bb.92:
	v_mov_b32_e32 v11, 0
	v_lshl_add_u64 v[10:11], v[6:7], 0, v[10:11]
	global_load_ushort v9, v[10:11], off offset:96
	s_waitcnt vmcnt(0)
	v_lshlrev_b32_e32 v9, 16, v9
	v_sub_f32_e32 v2, v9, v2
	v_mul_f32_e32 v2, v20, v2
	v_lshrrev_b32_e32 v11, 16, v2
.LBB102_93:
	s_or_b64 exec, exec, s[6:7]
	s_and_saveexec_b64 s[6:7], s[0:1]
	s_cbranch_execz .LBB102_95
; %bb.94:
	v_mov_b32_e32 v13, 0
	v_lshl_add_u64 v[12:13], v[6:7], 0, v[12:13]
	global_load_ushort v2, v[12:13], off offset:96
	s_waitcnt vmcnt(0)
	v_lshlrev_b32_e32 v2, 16, v2
	v_sub_f32_e32 v2, v2, v3
	v_mul_f32_e32 v2, v16, v2
	v_lshrrev_b32_e32 v13, 16, v2
.LBB102_95:
	s_or_b64 exec, exec, s[6:7]
	v_mov_b32_e32 v9, 0
	v_mov_b32_e32 v12, 0
	s_and_saveexec_b64 s[0:1], s[2:3]
	s_cbranch_execz .LBB102_97
; %bb.96:
	v_mov_b32_e32 v15, 0
	v_lshl_add_u64 v[2:3], v[6:7], 0, v[14:15]
	global_load_ushort v2, v[2:3], off offset:96
	s_waitcnt vmcnt(0)
	v_lshlrev_b32_e32 v2, 16, v2
	v_sub_f32_e32 v2, v2, v4
	v_mul_f32_e32 v2, v22, v2
	v_lshrrev_b32_e32 v12, 16, v2
.LBB102_97:
	s_or_b64 exec, exec, s[0:1]
	v_or_b32_e32 v10, 0x6000, v28
	v_or_b32_e32 v4, 0x6000, v29
	;; [unrolled: 1-line block ×4, first 2 shown]
	s_and_saveexec_b64 s[0:1], s[4:5]
	s_cbranch_execz .LBB102_99
; %bb.98:
	v_mov_b32_e32 v9, 0
	v_lshl_add_u64 v[6:7], v[6:7], 0, v[8:9]
	global_load_ushort v6, v[6:7], off offset:96
	s_waitcnt vmcnt(0)
	v_lshlrev_b32_e32 v6, 16, v6
	v_sub_f32_e32 v5, v6, v5
	v_mul_f32_e32 v5, v17, v5
	v_lshrrev_b32_e32 v9, 16, v5
.LBB102_99:
	s_or_b64 exec, exec, s[0:1]
	s_mov_b32 s0, 0x5040100
	v_or_b32_e32 v5, v19, v21
	v_perm_b32 v7, v9, v12, s0
	v_perm_b32 v6, v13, v11, s0
	v_lshlrev_b32_e32 v5, 1, v5
	s_movk_i32 s0, 0x100
	ds_write_b64 v5, v[6:7] offset:24576
	v_and_b32_e32 v5, 7, v0
	v_and_b32_e32 v6, 8, v0
	v_cmp_gt_u32_e32 vcc, s0, v0
	v_lshrrev_b32_e32 v0, 1, v0
	v_mov_b32_e32 v7, 0xa000
	v_mov_b32_e32 v8, 0x8000
	v_lshlrev_b32_e32 v26, 3, v72
	v_and_b32_e32 v0, 24, v0
	v_cndmask_b32_e32 v19, v7, v8, vcc
	v_xor_b32_e32 v7, v26, v0
	v_or_b32_e32 v8, 0x440, v7
	v_cmp_eq_u32_e32 vcc, 0, v6
	v_lshlrev_b32_e32 v11, 3, v5
	v_lshlrev_b32_e32 v5, 7, v5
	v_cndmask_b32_e32 v6, v8, v7, vcc
	v_or_b32_e32 v6, v6, v27
	v_xad_u32 v32, v6, v11, v5
	v_add_u32_e32 v6, v19, v32
	s_waitcnt lgkmcnt(0)
	s_barrier
	ds_read_b64 v[16:17], v6
	ds_read2_b64 v[6:9], v10 offset1:16
	ds_read2_b64 v[12:15], v10 offset0:32 offset1:48
	v_or_b32_e32 v20, 32, v0
	v_xor_b32_e32 v20, v26, v20
	v_or_b32_e32 v21, 0x440, v20
	v_cndmask_b32_e32 v20, v21, v20, vcc
	s_waitcnt lgkmcnt(1)
	v_mfma_f32_16x16x16_bf16 a[0:3], v[16:17], v[6:7], 0
	v_or_b32_e32 v20, v20, v27
	v_xad_u32 v33, v20, v11, v5
	v_add_u32_e32 v20, v19, v33
	v_mfma_f32_16x16x16_bf16 a[4:7], v[16:17], v[8:9], 0
	ds_read_b64 v[24:25], v20
	ds_read2st64_b64 v[28:31], v4 offset0:4 offset1:8
	ds_read2st64_b64 v[66:69], v3 offset0:4 offset1:8
	s_waitcnt lgkmcnt(3)
	v_mfma_f32_16x16x16_bf16 a[8:11], v[16:17], v[12:13], 0
	ds_read2st64_b64 v[70:73], v2 offset0:4 offset1:8
	v_mfma_f32_16x16x16_bf16 a[12:15], v[16:17], v[14:15], 0
	v_or_b32_e32 v16, 64, v0
	v_xor_b32_e32 v16, v26, v16
	v_xor_b32_e32 v17, 0x440, v16
	v_cndmask_b32_e32 v16, v17, v16, vcc
	v_or_b32_e32 v16, v16, v27
	v_xad_u32 v74, v16, v11, v5
	v_add_u32_e32 v16, v19, v74
	ds_read_b64 v[16:17], v16
	ds_read2st64_b64 v[20:23], v10 offset0:4 offset1:8
	v_or_b32_e32 v0, 0x60, v0
	v_xor_b32_e32 v0, v26, v0
	s_waitcnt lgkmcnt(0)
	v_mfma_f32_16x16x16_bf16 a[0:3], v[24:25], v[20:21], a[0:3]
	v_mfma_f32_16x16x16_bf16 a[4:7], v[24:25], v[28:29], a[4:7]
	;; [unrolled: 1-line block ×4, first 2 shown]
	v_xor_b32_e32 v24, 0x440, v0
	v_cndmask_b32_e32 v0, v24, v0, vcc
	v_or_b32_e32 v0, v0, v27
	v_xad_u32 v26, v0, v11, v5
	v_add_u32_e32 v0, v19, v26
	v_mfma_f32_16x16x16_bf16 a[0:3], v[16:17], v[22:23], a[0:3]
	ds_read_b64 v[24:25], v0
	ds_read_b64 v[10:11], v10 offset:6144
	v_mov_b32_e32 v0, 0x3fb8aa3b
	v_mul_f32_e32 v0, s16, v0
	v_mfma_f32_16x16x16_bf16 a[4:7], v[16:17], v[30:31], a[4:7]
	v_exp_f32_e32 v0, v0
	v_mfma_f32_16x16x16_bf16 a[8:11], v[16:17], v[68:69], a[8:11]
	v_mfma_f32_16x16x16_bf16 a[12:15], v[16:17], v[72:73], a[12:15]
	ds_read_b64 v[4:5], v4 offset:6144
	ds_read_b64 v[16:17], v3 offset:6144
	;; [unrolled: 1-line block ×3, first 2 shown]
	s_waitcnt lgkmcnt(3)
	v_mfma_f32_16x16x16_bf16 a[0:3], v[24:25], v[10:11], a[0:3]
	s_waitcnt lgkmcnt(2)
	v_mfma_f32_16x16x16_bf16 a[4:7], v[24:25], v[4:5], a[4:7]
	;; [unrolled: 2-line block ×4, first 2 shown]
	ds_read_b64 v[24:25], v32 offset:40960
	s_waitcnt lgkmcnt(0)
	v_mfma_f32_16x16x16_bf16 a[16:19], v[24:25], v[6:7], 0
	ds_read_b64 v[6:7], v33 offset:40960
	v_mfma_f32_16x16x16_bf16 a[20:23], v[24:25], v[8:9], 0
	ds_read_b64 v[8:9], v74 offset:40960
	v_mfma_f32_16x16x16_bf16 a[24:27], v[24:25], v[12:13], 0
	v_accvgpr_read_b32 v13, a3
	v_accvgpr_read_b32 v12, a2
	v_pk_fma_f32 v[64:65], v[0:1], v[64:65], v[12:13] op_sel_hi:[0,1,1]
	v_mfma_f32_16x16x16_bf16 a[28:31], v[24:25], v[14:15], 0
	ds_read_b64 v[12:13], v26 offset:40960
	v_accvgpr_read_b32 v15, a7
	v_accvgpr_read_b32 v14, a6
	s_waitcnt lgkmcnt(2)
	v_mfma_f32_16x16x16_bf16 a[16:19], v[6:7], v[20:21], a[16:19]
	v_accvgpr_read_b32 v21, a15
	v_accvgpr_read_b32 v20, a14
	v_pk_fma_f32 v[56:57], v[0:1], v[56:57], v[14:15] op_sel_hi:[0,1,1]
	v_mfma_f32_16x16x16_bf16 a[20:23], v[6:7], v[28:29], a[20:23]
	v_pk_fma_f32 v[40:41], v[0:1], v[40:41], v[20:21] op_sel_hi:[0,1,1]
	v_mfma_f32_16x16x16_bf16 a[24:27], v[6:7], v[66:67], a[24:27]
	v_mfma_f32_16x16x16_bf16 a[28:31], v[6:7], v[70:71], a[28:31]
	v_accvgpr_read_b32 v7, a11
	v_accvgpr_read_b32 v6, a10
	v_pk_fma_f32 v[48:49], v[0:1], v[48:49], v[6:7] op_sel_hi:[0,1,1]
	s_waitcnt lgkmcnt(1)
	v_mfma_f32_16x16x16_bf16 a[16:19], v[8:9], v[22:23], a[16:19]
	v_accvgpr_read_b32 v23, a1
	v_accvgpr_read_b32 v22, a0
	v_pk_fma_f32 v[62:63], v[0:1], v[62:63], v[22:23] op_sel_hi:[0,1,1]
	v_mfma_f32_16x16x16_bf16 a[0:3], v[8:9], v[30:31], a[20:23]
	v_accvgpr_read_b32 v23, a5
	v_accvgpr_read_b32 v22, a4
	;; [unrolled: 1-line block ×3, first 2 shown]
	v_mfma_f32_16x16x16_bf16 a[20:23], v[8:9], v[68:69], a[24:27]
	v_accvgpr_read_b32 v7, a13
	v_pk_fma_f32 v[38:39], v[0:1], v[38:39], v[6:7] op_sel_hi:[0,1,1]
	v_pk_fma_f32 v[54:55], v[0:1], v[54:55], v[22:23] op_sel_hi:[0,1,1]
	v_mfma_f32_16x16x16_bf16 a[4:7], v[8:9], v[72:73], a[28:31]
	v_accvgpr_read_b32 v8, a8
	v_accvgpr_read_b32 v9, a9
	v_pk_fma_f32 v[46:47], v[0:1], v[46:47], v[8:9] op_sel_hi:[0,1,1]
	s_waitcnt lgkmcnt(0)
	v_mfma_f32_16x16x16_bf16 a[8:11], v[12:13], v[10:11], a[16:19]
	v_mfma_f32_16x16x16_bf16 a[0:3], v[12:13], v[4:5], a[0:3]
	s_nop 5
	v_accvgpr_read_b32 v5, a11
	v_accvgpr_read_b32 v4, a10
	v_mfma_f32_16x16x16_bf16 a[10:13], v[12:13], v[16:17], a[20:23]
	v_pk_fma_f32 v[60:61], v[0:1], v[60:61], v[4:5] op_sel_hi:[0,1,1]
	v_accvgpr_read_b32 v7, a3
	v_accvgpr_read_b32 v6, a2
	v_mfma_f32_16x16x16_bf16 a[2:5], v[12:13], v[2:3], a[4:7]
	v_accvgpr_read_b32 v5, a1
	v_accvgpr_read_b32 v4, a0
	v_pk_fma_f32 v[50:51], v[0:1], v[50:51], v[4:5] op_sel_hi:[0,1,1]
	v_accvgpr_read_b32 v4, a10
	v_accvgpr_read_b32 v5, a11
	;; [unrolled: 1-line block ×3, first 2 shown]
	v_pk_fma_f32 v[42:43], v[0:1], v[42:43], v[4:5] op_sel_hi:[0,1,1]
	v_accvgpr_read_b32 v5, a3
	v_accvgpr_read_b32 v9, a13
	;; [unrolled: 1-line block ×7, first 2 shown]
	v_pk_fma_f32 v[58:59], v[0:1], v[58:59], v[10:11] op_sel_hi:[0,1,1]
	v_pk_fma_f32 v[52:53], v[0:1], v[52:53], v[6:7] op_sel_hi:[0,1,1]
	;; [unrolled: 1-line block ×5, first 2 shown]
	v_mov_b32_e32 v2, v18
.LBB102_100:
	s_mul_i32 s0, s33, s35
	s_mul_hi_u32 s1, s33, s34
	s_add_i32 s0, s1, s0
	s_mul_i32 s1, s44, s34
	s_add_i32 s1, s0, s1
	s_mul_i32 s0, s33, s34
	s_add_u32 s0, s0, s45
	s_addc_u32 s1, s1, s29
	s_lshl_b64 s[0:1], s[0:1], 15
	s_add_u32 s0, s12, s0
	v_lshlrev_b32_e32 v2, 7, v2
	s_addc_u32 s1, s13, s1
	v_ashrrev_i32_e32 v3, 31, v2
	v_lshl_add_u64 v[4:5], v[2:3], 1, s[0:1]
	v_lshlrev_b32_e32 v0, 1, v1
	v_mov_b32_e32 v1, 0
	s_mov_b32 s2, 0x7060302
	v_lshl_add_u64 v[4:5], v[4:5], 0, v[0:1]
	v_perm_b32 v7, v65, v64, s2
	v_perm_b32 v6, v63, v62, s2
	global_store_dwordx2 v[4:5], v[6:7], off
	v_perm_b32 v7, v61, v60, s2
	v_perm_b32 v6, v59, v58, s2
	global_store_dwordx2 v[4:5], v[6:7], off offset:128
	v_or_b32_e32 v4, 0x800, v2
	v_ashrrev_i32_e32 v5, 31, v4
	v_lshl_add_u64 v[4:5], v[4:5], 1, s[0:1]
	v_lshl_add_u64 v[4:5], v[4:5], 0, v[0:1]
	v_perm_b32 v7, v57, v56, s2
	v_perm_b32 v6, v55, v54, s2
	global_store_dwordx2 v[4:5], v[6:7], off
	v_perm_b32 v7, v53, v52, s2
	v_perm_b32 v6, v51, v50, s2
	global_store_dwordx2 v[4:5], v[6:7], off offset:128
	v_or_b32_e32 v4, 0x1000, v2
	v_or_b32_e32 v2, 0x1800, v2
	v_ashrrev_i32_e32 v5, 31, v4
	v_ashrrev_i32_e32 v3, 31, v2
	v_lshl_add_u64 v[4:5], v[4:5], 1, s[0:1]
	v_lshl_add_u64 v[2:3], v[2:3], 1, s[0:1]
	;; [unrolled: 1-line block ×3, first 2 shown]
	v_perm_b32 v7, v49, v48, s2
	v_perm_b32 v6, v47, v46, s2
	v_lshl_add_u64 v[0:1], v[2:3], 0, v[0:1]
	v_perm_b32 v3, v41, v40, s2
	v_perm_b32 v2, v39, v38, s2
	global_store_dwordx2 v[4:5], v[6:7], off
	v_perm_b32 v7, v45, v44, s2
	v_perm_b32 v6, v43, v42, s2
	global_store_dwordx2 v[0:1], v[2:3], off
	v_perm_b32 v3, v35, v34, s2
	v_perm_b32 v2, v37, v36, s2
	global_store_dwordx2 v[4:5], v[6:7], off offset:128
	global_store_dwordx2 v[0:1], v[2:3], off offset:128
	s_endpgm
	.section	.rodata,"a",@progbits
	.p2align	6, 0x0
	.amdhsa_kernel _ZN12_GLOBAL__N_139chunk_gated_delta_rule_fwd_h_hip_kernelILi64ELb0ELb1ELb0ELb1ELb0ELb0ELb1ELb1EEEvPK12hip_bfloat16S3_S3_PKfS5_PKvPS1_S8_PvPKiSB_iiiiilll
		.amdhsa_group_segment_fixed_size 65536
		.amdhsa_private_segment_fixed_size 0
		.amdhsa_kernarg_size 136
		.amdhsa_user_sgpr_count 2
		.amdhsa_user_sgpr_dispatch_ptr 0
		.amdhsa_user_sgpr_queue_ptr 0
		.amdhsa_user_sgpr_kernarg_segment_ptr 1
		.amdhsa_user_sgpr_dispatch_id 0
		.amdhsa_user_sgpr_kernarg_preload_length 0
		.amdhsa_user_sgpr_kernarg_preload_offset 0
		.amdhsa_user_sgpr_private_segment_size 0
		.amdhsa_uses_dynamic_stack 0
		.amdhsa_enable_private_segment 0
		.amdhsa_system_sgpr_workgroup_id_x 1
		.amdhsa_system_sgpr_workgroup_id_y 1
		.amdhsa_system_sgpr_workgroup_id_z 0
		.amdhsa_system_sgpr_workgroup_info 0
		.amdhsa_system_vgpr_workitem_id 0
		.amdhsa_next_free_vgpr 216
		.amdhsa_next_free_sgpr 65
		.amdhsa_accum_offset 180
		.amdhsa_reserve_vcc 1
		.amdhsa_float_round_mode_32 0
		.amdhsa_float_round_mode_16_64 0
		.amdhsa_float_denorm_mode_32 3
		.amdhsa_float_denorm_mode_16_64 3
		.amdhsa_dx10_clamp 1
		.amdhsa_ieee_mode 1
		.amdhsa_fp16_overflow 0
		.amdhsa_tg_split 0
		.amdhsa_exception_fp_ieee_invalid_op 0
		.amdhsa_exception_fp_denorm_src 0
		.amdhsa_exception_fp_ieee_div_zero 0
		.amdhsa_exception_fp_ieee_overflow 0
		.amdhsa_exception_fp_ieee_underflow 0
		.amdhsa_exception_fp_ieee_inexact 0
		.amdhsa_exception_int_div_zero 0
	.end_amdhsa_kernel
	.section	.text._ZN12_GLOBAL__N_139chunk_gated_delta_rule_fwd_h_hip_kernelILi64ELb0ELb1ELb0ELb1ELb0ELb0ELb1ELb1EEEvPK12hip_bfloat16S3_S3_PKfS5_PKvPS1_S8_PvPKiSB_iiiiilll,"axG",@progbits,_ZN12_GLOBAL__N_139chunk_gated_delta_rule_fwd_h_hip_kernelILi64ELb0ELb1ELb0ELb1ELb0ELb0ELb1ELb1EEEvPK12hip_bfloat16S3_S3_PKfS5_PKvPS1_S8_PvPKiSB_iiiiilll,comdat
.Lfunc_end102:
	.size	_ZN12_GLOBAL__N_139chunk_gated_delta_rule_fwd_h_hip_kernelILi64ELb0ELb1ELb0ELb1ELb0ELb0ELb1ELb1EEEvPK12hip_bfloat16S3_S3_PKfS5_PKvPS1_S8_PvPKiSB_iiiiilll, .Lfunc_end102-_ZN12_GLOBAL__N_139chunk_gated_delta_rule_fwd_h_hip_kernelILi64ELb0ELb1ELb0ELb1ELb0ELb0ELb1ELb1EEEvPK12hip_bfloat16S3_S3_PKfS5_PKvPS1_S8_PvPKiSB_iiiiilll
                                        ; -- End function
	.section	.AMDGPU.csdata,"",@progbits
; Kernel info:
; codeLenInByte = 12160
; NumSgprs: 71
; NumVgprs: 178
; NumAgprs: 36
; TotalNumVgprs: 216
; ScratchSize: 0
; MemoryBound: 0
; FloatMode: 240
; IeeeMode: 1
; LDSByteSize: 65536 bytes/workgroup (compile time only)
; SGPRBlocks: 8
; VGPRBlocks: 26
; NumSGPRsForWavesPerEU: 71
; NumVGPRsForWavesPerEU: 216
; AccumOffset: 180
; Occupancy: 1
; WaveLimiterHint : 1
; COMPUTE_PGM_RSRC2:SCRATCH_EN: 0
; COMPUTE_PGM_RSRC2:USER_SGPR: 2
; COMPUTE_PGM_RSRC2:TRAP_HANDLER: 0
; COMPUTE_PGM_RSRC2:TGID_X_EN: 1
; COMPUTE_PGM_RSRC2:TGID_Y_EN: 1
; COMPUTE_PGM_RSRC2:TGID_Z_EN: 0
; COMPUTE_PGM_RSRC2:TIDIG_COMP_CNT: 0
; COMPUTE_PGM_RSRC3_GFX90A:ACCUM_OFFSET: 44
; COMPUTE_PGM_RSRC3_GFX90A:TG_SPLIT: 0
	.section	.text._ZN12_GLOBAL__N_139chunk_gated_delta_rule_fwd_h_hip_kernelILi64ELb0ELb0ELb1ELb1ELb0ELb0ELb1ELb1EEEvPK12hip_bfloat16S3_S3_PKfS5_PKvPS1_S8_PvPKiSB_iiiiilll,"axG",@progbits,_ZN12_GLOBAL__N_139chunk_gated_delta_rule_fwd_h_hip_kernelILi64ELb0ELb0ELb1ELb1ELb0ELb0ELb1ELb1EEEvPK12hip_bfloat16S3_S3_PKfS5_PKvPS1_S8_PvPKiSB_iiiiilll,comdat
	.globl	_ZN12_GLOBAL__N_139chunk_gated_delta_rule_fwd_h_hip_kernelILi64ELb0ELb0ELb1ELb1ELb0ELb0ELb1ELb1EEEvPK12hip_bfloat16S3_S3_PKfS5_PKvPS1_S8_PvPKiSB_iiiiilll ; -- Begin function _ZN12_GLOBAL__N_139chunk_gated_delta_rule_fwd_h_hip_kernelILi64ELb0ELb0ELb1ELb1ELb0ELb0ELb1ELb1EEEvPK12hip_bfloat16S3_S3_PKfS5_PKvPS1_S8_PvPKiSB_iiiiilll
	.p2align	8
	.type	_ZN12_GLOBAL__N_139chunk_gated_delta_rule_fwd_h_hip_kernelILi64ELb0ELb0ELb1ELb1ELb0ELb0ELb1ELb1EEEvPK12hip_bfloat16S3_S3_PKfS5_PKvPS1_S8_PvPKiSB_iiiiilll,@function
_ZN12_GLOBAL__N_139chunk_gated_delta_rule_fwd_h_hip_kernelILi64ELb0ELb0ELb1ELb1ELb0ELb0ELb1ELb1EEEvPK12hip_bfloat16S3_S3_PKfS5_PKvPS1_S8_PvPKiSB_iiiiilll: ; @_ZN12_GLOBAL__N_139chunk_gated_delta_rule_fwd_h_hip_kernelILi64ELb0ELb0ELb1ELb1ELb0ELb0ELb1ELb1EEEvPK12hip_bfloat16S3_S3_PKfS5_PKvPS1_S8_PvPKiSB_iiiiilll
; %bb.0:
	s_load_dwordx4 s[16:19], s[0:1], 0x5c
	s_load_dwordx4 s[20:23], s[0:1], 0x70
	s_abs_i32 s25, s3
	s_ashr_i32 s24, s3, 31
	s_load_dwordx4 s[12:15], s[0:1], 0x30
	s_load_dwordx4 s[28:31], s[0:1], 0x48
	s_waitcnt lgkmcnt(0)
	s_abs_i32 s34, s17
	v_cvt_f32_u32_e32 v1, s34
	s_sub_i32 s26, 0, s34
	s_ashr_i32 s35, s17, 31
	s_xor_b32 s24, s24, s35
	v_rcp_iflag_f32_e32 v1, v1
	s_load_dwordx8 s[4:11], s[0:1], 0x0
	v_lshrrev_b32_e32 v76, 6, v0
	v_bfe_u32 v77, v0, 4, 2
	v_mul_f32_e32 v1, 0x4f7ffffe, v1
	v_cvt_u32_f32_e32 v1, v1
	v_lshlrev_b32_e32 v2, 2, v77
	v_and_b32_e32 v75, 63, v0
	v_mov_b32_e32 v35, 0
	v_readfirstlane_b32 s27, v1
	s_mul_i32 s26, s26, s27
	s_mul_hi_u32 s26, s27, s26
	s_add_i32 s27, s27, s26
	s_mul_hi_u32 s26, s25, s27
	s_mul_i32 s27, s26, s34
	s_sub_i32 s25, s25, s27
	s_add_i32 s33, s26, 1
	s_sub_i32 s27, s25, s34
	s_cmp_ge_u32 s25, s34
	s_cselect_b32 s26, s33, s26
	s_cselect_b32 s25, s27, s25
	s_add_i32 s27, s26, 1
	s_cmp_ge_u32 s25, s34
	s_cselect_b32 s25, s27, s26
	s_xor_b32 s25, s25, s24
	s_sub_i32 s24, s25, s24
	s_mul_i32 s25, s24, s17
	s_sub_i32 s33, s3, s25
	s_ashr_i32 s25, s24, 31
	s_lshl_b64 s[26:27], s[24:25], 2
	s_add_u32 s28, s28, s26
	s_addc_u32 s29, s29, s27
	s_add_u32 s26, s30, s26
	s_addc_u32 s27, s31, s27
	s_abs_i32 s3, s18
	v_cvt_f32_u32_e32 v1, s3
	s_load_dwordx2 s[38:39], s[28:29], 0x0
	s_sub_i32 s29, 0, s3
	s_load_dword s46, s[26:27], 0x0
	v_rcp_iflag_f32_e32 v1, v1
	v_and_b32_e32 v74, 15, v0
	s_waitcnt lgkmcnt(0)
	s_sub_i32 s47, s39, s38
	s_ashr_i32 s28, s47, 31
	v_mul_f32_e32 v1, 0x4f7ffffe, v1
	v_cvt_u32_f32_e32 v1, v1
	s_lshr_b32 s28, s28, 26
	s_add_i32 s28, s47, s28
	s_ashr_i32 s45, s28, 6
	v_readfirstlane_b32 s30, v1
	s_mul_i32 s29, s29, s30
	s_mul_hi_u32 s29, s30, s29
	s_add_i32 s30, s30, s29
	s_mul_hi_u32 s29, s34, s30
	s_mul_i32 s30, s29, s3
	s_ashr_i32 s28, s18, 31
	s_sub_i32 s30, s34, s30
	s_xor_b32 s28, s35, s28
	s_add_i32 s31, s29, 1
	s_sub_i32 s34, s30, s3
	s_cmp_ge_u32 s30, s3
	s_cselect_b32 s29, s31, s29
	s_cselect_b32 s30, s34, s30
	s_add_i32 s31, s29, 1
	s_cmp_ge_u32 s30, s3
	s_cselect_b32 s3, s31, s29
	s_xor_b32 s3, s3, s28
	s_sub_i32 s3, s3, s28
	s_abs_i32 s28, s3
	v_cvt_f32_u32_e32 v1, s28
	s_load_dwordx2 s[34:35], s[0:1], 0x80
	s_xor_b32 s0, s33, s3
	s_sub_i32 s3, 0, s28
	v_rcp_iflag_f32_e32 v1, v1
	s_abs_i32 s1, s33
	s_ashr_i32 s0, s0, 31
	s_mul_hi_i32 s48, s33, s16
	v_mul_f32_e32 v1, 0x4f7ffffe, v1
	v_cvt_u32_f32_e32 v1, v1
	s_mul_i32 s49, s33, s16
	v_lshrrev_b32_e32 v79, 3, v75
	v_lshlrev_b32_e32 v78, 3, v0
	v_readfirstlane_b32 s26, v1
	s_mul_i32 s3, s3, s26
	s_mul_hi_u32 s3, s26, s3
	s_add_i32 s26, s26, s3
	s_mul_hi_u32 s3, s1, s26
	s_mul_i32 s26, s3, s28
	s_sub_i32 s1, s1, s26
	s_add_i32 s26, s3, 1
	s_sub_i32 s27, s1, s28
	s_cmp_ge_u32 s1, s28
	s_cselect_b32 s3, s26, s3
	s_cselect_b32 s1, s27, s1
	s_add_i32 s26, s3, 1
	s_cmp_ge_u32 s1, s28
	s_cselect_b32 s1, s26, s3
	s_xor_b32 s1, s1, s0
	v_lshlrev_b32_e32 v1, 4, v76
	s_sub_i32 s50, s1, s0
	v_or_b32_e32 v80, v2, v1
	s_lshl_b32 s36, s2, 6
	v_or_b32_e32 v81, 64, v80
	s_cmp_lt_i32 s47, 64
	s_mul_i32 s42, s24, s21
	s_mul_hi_u32 s43, s24, s20
	s_mul_i32 s44, s25, s20
	s_mul_i32 s20, s24, s20
	v_mov_b32_e32 v34, v35
	v_mov_b32_e32 v41, v35
	;; [unrolled: 1-line block ×31, first 2 shown]
	s_cbranch_scc1 .LBB103_18
; %bb.1:
	s_ashr_i32 s53, s33, 31
	s_ashr_i32 s1, s38, 31
	s_add_u32 s0, s49, s38
	s_addc_u32 s1, s48, s1
	s_lshl_b64 s[0:1], s[0:1], 8
	v_and_b32_e32 v83, 56, v78
	s_add_u32 s0, s6, s0
	v_lshl_or_b32 v82, v76, 3, v79
	v_lshlrev_b32_e32 v3, 1, v83
	s_addc_u32 s1, s7, s1
	v_lshl_or_b32 v84, v82, 8, v3
	s_and_b32 s1, s1, 0xffff
	s_mov_b32 s3, 0x20000
	s_movk_i32 s2, 0x4000
	s_movk_i32 s21, 0x80
	v_or_b32_e32 v85, 0x2000, v84
	buffer_load_dwordx4 v[4:7], v84, s[0:3], 0 offen
	buffer_load_dwordx4 v[8:11], v84, s[0:3], s21 offen
	;; [unrolled: 1-line block ×4, first 2 shown]
	v_lshlrev_b32_e32 v20, 3, v82
	v_and_or_b32 v22, v0, 7, v20
	v_and_b32_e32 v20, 0x78, v20
	v_lshlrev_b32_e32 v22, 4, v22
	v_xor_b32_e32 v86, v22, v20
	v_mul_lo_u32 v21, v82, s19
	v_or_b32_e32 v87, 0x1000, v86
	s_cmpk_eq_i32 s19, 0x80
	s_mov_b32 s51, s17
	s_mov_b32 s52, s38
	v_xor_b32_e32 v20, 8, v86
	v_xor_b32_e32 v22, 8, v87
	s_cselect_b64 s[0:1], -1, 0
	s_cmpk_lg_i32 s19, 0x80
	s_waitcnt vmcnt(3)
	ds_write_b64 v86, v[4:5] offset:49152
	ds_write_b64 v20, v[6:7] offset:49152
	s_waitcnt vmcnt(2)
	ds_write_b64 v86, v[8:9] offset:57344
	ds_write_b64 v20, v[10:11] offset:57344
	;; [unrolled: 3-line block ×4, first 2 shown]
	v_lshl_add_u32 v4, v21, 1, v83
	s_cbranch_scc0 .LBB103_3
; %bb.2:
	v_lshlrev_b32_e32 v6, 1, v4
	v_add_lshl_u32 v5, v4, s19, 1
	s_lshl_b32 s26, s19, 7
	v_lshl_or_b32 v3, v82, 9, v3
	s_cbranch_execz .LBB103_4
	s_branch .LBB103_5
.LBB103_3:
                                        ; implicit-def: $vgpr5
                                        ; implicit-def: $vgpr6
                                        ; implicit-def: $sgpr26
	v_lshl_or_b32 v3, v82, 9, v3
.LBB103_4:
	v_or_b32_e32 v5, 0x100, v3
	s_movk_i32 s26, 0x4000
	v_mov_b32_e32 v6, v3
.LBB103_5:
	s_mul_i32 s2, s38, s18
	s_ashr_i32 s54, s50, 31
	s_mul_hi_i32 s3, s38, s18
	s_add_u32 s2, s2, s50
	s_addc_u32 s3, s3, s54
	s_lshl_b64 s[2:3], s[2:3], 8
	s_add_u32 s24, s4, s2
	s_addc_u32 s2, s5, s3
	s_and_b32 s25, s2, 0xffff
	s_mov_b32 s27, 0x20000
	s_movk_i32 s55, 0x80
	buffer_load_dwordx4 v[8:11], v6, s[24:27], 0 offen
	buffer_load_dwordx4 v[12:15], v6, s[24:27], s55 offen
	;; [unrolled: 1-line block ×4, first 2 shown]
	v_and_b32_e32 v5, 6, v0
	v_lshlrev_b32_e32 v6, 7, v80
	v_xor_b32_e32 v28, v82, v5
	v_and_b32_e32 v7, 1, v0
	v_lshl_or_b32 v31, v74, 3, v6
	v_lshlrev_b32_e32 v28, 2, v28
	v_lshlrev_b32_e32 v24, 2, v74
	v_or_b32_e32 v88, 0x4000, v31
	v_or_b32_e32 v89, 0x6000, v31
	v_xor_b32_e32 v31, 0x440, v28
	v_cmp_eq_u32_e32 vcc, 0, v7
	v_or_b32_e32 v26, 16, v74
	v_or_b32_e32 v27, 32, v74
	v_xor_b32_e32 v29, v80, v24
	v_xor_b32_e32 v30, v81, v24
	v_cndmask_b32_e32 v7, v31, v28, vcc
	s_add_i32 s2, s43, s42
	s_mov_b32 s56, 0x1000504
	v_lshl_or_b32 v32, v26, 3, v6
	v_lshlrev_b32_e32 v26, 8, v26
	v_lshl_or_b32 v33, v27, 3, v6
	v_lshlrev_b32_e32 v29, 1, v29
	v_lshlrev_b32_e32 v30, 1, v30
	v_lshl_or_b32 v5, v5, 10, v7
	s_add_i32 s21, s2, s44
	s_mul_i32 s2, s33, s23
	s_mul_hi_u32 s3, s33, s22
	s_mov_b32 s57, 0x3020706
	v_lshlrev_b32_e32 v25, 8, v74
	v_or_b32_e32 v92, 0x4000, v33
	v_or_b32_e32 v93, 0x6000, v33
	;; [unrolled: 1-line block ×4, first 2 shown]
	v_xor_b32_e32 v7, 8, v5
	v_xor_b32_e32 v26, 24, v5
	;; [unrolled: 1-line block ×4, first 2 shown]
	s_add_i32 s2, s3, s2
	s_mul_i32 s3, s53, s22
	v_or_b32_e32 v90, 0x4000, v32
	v_or_b32_e32 v91, 0x6000, v32
	;; [unrolled: 1-line block ×4, first 2 shown]
	v_xor_b32_e32 v25, 16, v5
	v_xor_b32_e32 v28, 32, v5
	;; [unrolled: 1-line block ×3, first 2 shown]
	v_add_u32_e32 v7, 0x80, v7
	v_add_u32_e32 v26, 0x80, v26
	v_add_u32_e32 v31, 0x80, v31
	v_add_u32_e32 v33, 0x80, v33
	s_add_i32 s3, s2, s3
	s_lshl_b64 s[24:25], s[20:21], 2
	s_mul_i32 s2, s33, s22
	s_add_u32 s21, s10, s24
	s_addc_u32 s24, s11, s25
	s_lshl_b64 s[2:3], s[2:3], 2
	s_add_u32 s2, s21, s2
	s_movk_i32 s21, 0xf8
	s_addc_u32 s3, s24, s3
	s_ashr_i32 s37, s36, 31
	s_lshl_b32 s30, s19, 7
	s_lshl_b64 s[24:25], s[36:37], 8
	s_add_u32 s24, s12, s24
	v_mov_b32_e32 v67, 0
	s_addc_u32 s25, s13, s25
	v_lshlrev_b32_e32 v66, 4, v74
	v_lshlrev_b32_e32 v27, 8, v27
	s_mov_b32 s58, 0
	s_movk_i32 s26, 0x4000
	v_or_b32_e32 v98, v27, v29
	v_or_b32_e32 v99, v27, v30
	v_add_u32_e32 v128, v1, v2
	s_movk_i32 s37, 0x2000
	s_movk_i32 s59, 0x3000
	v_mov_b32_e32 v133, 0x3fb8aa3b
	v_mov_b32_e32 v58, v67
	v_mov_b32_e32 v59, v67
	v_mov_b32_e32 v60, v67
	s_waitcnt vmcnt(1)
	v_perm_b32 v34, v8, v16, s56
	s_waitcnt vmcnt(0)
	v_perm_b32 v35, v12, v20, s56
	v_perm_b32 v8, v8, v16, s57
	;; [unrolled: 1-line block ×15, first 2 shown]
	ds_write2st64_b32 v5, v34, v35 offset0:128 offset1:160
	ds_write2st64_b32 v7, v8, v12 offset0:128 offset1:160
	;; [unrolled: 1-line block ×8, first 2 shown]
	v_or_b32_e32 v5, 48, v74
	v_lshl_or_b32 v7, v5, 3, v6
	v_lshlrev_b32_e32 v5, 8, v5
	v_or_b32_e32 v102, v5, v29
	v_or_b32_e32 v103, v5, v30
	;; [unrolled: 1-line block ×3, first 2 shown]
	v_lshlrev_b32_e32 v5, 3, v5
	v_lshrrev_b32_e32 v9, 5, v75
	v_and_or_b32 v9, v5, s21, v9
	v_lshlrev_b32_e32 v9, 4, v9
	v_or_b32_e32 v100, 0x4000, v7
	v_or_b32_e32 v101, 0x6000, v7
	v_lshlrev_b32_e32 v7, 11, v76
	v_and_b32_e32 v5, 0x78, v5
	v_or_b32_e32 v14, 32, v9
	v_and_b32_e32 v8, 0x1000, v7
	v_xor_b32_e32 v10, v9, v5
	v_lshrrev_b32_e32 v11, 1, v0
	v_xor_b32_e32 v14, v14, v5
	v_or_b32_e32 v10, v10, v8
	v_and_b32_e32 v12, 8, v11
	v_or_b32_e32 v14, v14, v8
	v_xor_b32_e32 v104, v10, v12
	v_lshlrev_b32_e32 v10, 8, v77
	v_xor_b32_e32 v106, v14, v12
	v_or_b32_e32 v14, 64, v9
	v_or_b32_e32 v9, 0x60, v9
	;; [unrolled: 1-line block ×3, first 2 shown]
	v_xor_b32_e32 v14, v14, v5
	v_xor_b32_e32 v5, v9, v5
	v_lshlrev_b32_e32 v13, 1, v13
	v_or_b32_e32 v14, v14, v8
	v_or_b32_e32 v5, v5, v8
	;; [unrolled: 1-line block ×6, first 2 shown]
	v_xor_b32_e32 v110, v14, v12
	v_xor_b32_e32 v111, v5, v12
	v_or_b32_e32 v112, 0x6000, v13
	v_or_b32_e32 v113, 0x6080, v13
	;; [unrolled: 1-line block ×4, first 2 shown]
	v_lshlrev_b32_e32 v12, 1, v4
	v_add_lshl_u32 v13, v4, s19, 1
	s_movk_i32 s21, 0x100
	v_lshlrev_b32_e32 v4, 1, v74
	v_lshrrev_b32_e32 v15, 4, v0
	v_or_b32_e32 v5, 1, v4
	v_mov_b32_e32 v19, 0xa000
	v_mov_b32_e32 v20, 0x8000
	v_cmp_gt_u32_e32 vcc, s21, v0
	v_xor_b32_e32 v16, v15, v4
	v_xor_b32_e32 v17, v5, v15
	v_lshl_add_u64 v[4:5], s[24:25], 0, v[66:67]
	v_lshlrev_b32_e32 v66, 8, v15
	v_cndmask_b32_e32 v19, v19, v20, vcc
	v_lshlrev_b32_e32 v20, 3, v76
	v_and_b32_e32 v11, 24, v11
	v_lshl_or_b32 v116, v16, 3, v66
	v_and_b32_e32 v16, 8, v0
	v_xor_b32_e32 v21, v20, v11
	v_or_b32_e32 v22, 0x440, v21
	v_cmp_eq_u32_e32 vcc, 0, v16
	v_and_b32_e32 v15, 7, v0
	v_lshl_or_b32 v117, v17, 3, v66
	v_cndmask_b32_e32 v16, v22, v21, vcc
	v_lshlrev_b32_e32 v17, 3, v15
	v_lshlrev_b32_e32 v15, 7, v15
	v_or_b32_e32 v16, v16, v7
	v_lshlrev_b32_e32 v18, 2, v0
	v_xad_u32 v118, v16, v17, v15
	v_or_b32_e32 v16, 32, v11
	v_and_or_b32 v10, v18, 60, v10
	v_xor_b32_e32 v16, v20, v16
	v_lshlrev_b32_e32 v10, 1, v10
	v_or_b32_e32 v18, 0x440, v16
	v_or_b32_e32 v119, 0x6000, v10
	v_cndmask_b32_e32 v16, v18, v16, vcc
	v_or_b32_e32 v121, 0x6080, v10
	v_or_b32_e32 v122, 0x6100, v10
	;; [unrolled: 1-line block ×5, first 2 shown]
	v_xor_b32_e32 v10, v20, v10
	v_xad_u32 v120, v16, v17, v15
	v_xor_b32_e32 v16, 0x440, v10
	v_cndmask_b32_e32 v10, v16, v10, vcc
	v_or_b32_e32 v10, v10, v7
	v_xad_u32 v124, v10, v17, v15
	v_or_b32_e32 v10, 0x60, v11
	v_xor_b32_e32 v10, v20, v10
	v_xor_b32_e32 v11, 0x440, v10
	v_or_b32_e32 v8, s36, v74
	v_cndmask_b32_e32 v10, v11, v10, vcc
	v_ashrrev_i32_e32 v9, 31, v8
	v_or_b32_e32 v7, v10, v7
	v_or_b32_e32 v14, 0x100, v3
	v_xad_u32 v125, v7, v17, v15
	v_lshlrev_b64 v[8:9], 1, v[8:9]
	v_cndmask_b32_e64 v126, v12, v3, s[0:1]
	v_cndmask_b32_e64 v127, v13, v14, s[0:1]
	v_lshl_add_u64 v[68:69], s[8:9], 0, v[8:9]
	v_lshl_add_u64 v[70:71], s[14:15], 0, v[8:9]
	;; [unrolled: 1-line block ×3, first 2 shown]
	s_mov_b32 s21, 0x7060302
	v_lshlrev_b32_e32 v66, 1, v6
	v_add_u32_e32 v129, v19, v118
	v_add_u32_e32 v130, v19, v120
	;; [unrolled: 1-line block ×4, first 2 shown]
	v_mov_b32_e32 v61, v67
	v_mov_b32_e32 v62, v67
	;; [unrolled: 1-line block ×29, first 2 shown]
	s_waitcnt lgkmcnt(0)
	s_barrier
.LBB103_6:                              ; =>This Inner Loop Header: Depth=1
	s_add_i32 s60, s58, 1
	s_cmp_lt_i32 s60, s45
	s_mov_b64 s[28:29], 0
	s_cselect_b64 s[40:41], -1, 0
	s_cmp_ge_i32 s60, s45
	s_mov_b64 s[24:25], 0
	s_cbranch_scc1 .LBB103_8
; %bb.7:                                ;   in Loop: Header=BB103_6 Depth=1
	s_add_i32 s0, s52, 64
	s_ashr_i32 s1, s0, 31
	s_add_u32 s0, s49, s0
	s_addc_u32 s1, s48, s1
	s_lshl_b64 s[0:1], s[0:1], 8
	s_add_u32 s24, s6, s0
	s_addc_u32 s25, s7, s1
.LBB103_8:                              ;   in Loop: Header=BB103_6 Depth=1
	v_cndmask_b32_e64 v2, 0, 1, s[40:41]
	v_cmp_ne_u32_e64 s[0:1], 1, v2
	s_andn2_b64 vcc, exec, s[40:41]
	s_cbranch_vccnz .LBB103_10
; %bb.9:                                ;   in Loop: Header=BB103_6 Depth=1
	s_add_i32 s28, s52, 64
	s_mul_hi_i32 s29, s28, s18
	s_mul_i32 s28, s28, s18
	s_add_u32 s28, s28, s50
	s_addc_u32 s29, s29, s54
	s_lshl_b64 s[28:29], s[28:29], 8
	s_add_u32 s28, s4, s28
	s_addc_u32 s29, s5, s29
.LBB103_10:                             ;   in Loop: Header=BB103_6 Depth=1
	v_perm_b32 v3, v65, v64, s21
	v_perm_b32 v2, v63, v62, s21
	v_perm_b32 v5, v61, v60, s21
	v_perm_b32 v4, v59, v58, s21
	ds_write_b64 v88, v[2:3]
	ds_write_b64 v89, v[4:5]
	ds_write_b64 v94, v[2:3]
	ds_write_b64 v95, v[4:5]
	v_perm_b32 v3, v57, v56, s21
	v_perm_b32 v2, v55, v54, s21
	v_perm_b32 v5, v53, v52, s21
	v_perm_b32 v4, v51, v50, s21
	ds_write_b64 v90, v[2:3]
	ds_write_b64 v91, v[4:5]
	ds_write_b64 v96, v[2:3]
	ds_write_b64 v97, v[4:5]
	;; [unrolled: 8-line block ×4, first 2 shown]
	s_waitcnt lgkmcnt(0)
	s_barrier
	ds_read_b64 v[6:7], v104 offset:49152
	ds_read2_b64 v[2:5], v105 offset1:16
	ds_read_b64 v[18:19], v107 offset:6144
	ds_read_b64 v[20:21], v105 offset:6144
	s_waitcnt lgkmcnt(2)
	v_mfma_f32_16x16x16_bf16 a[0:3], v[6:7], v[2:3], 0
	ds_read_b64 v[22:23], v106 offset:49152
	ds_read2st64_b64 v[10:13], v108 offset0:4 offset1:8
	ds_read2st64_b64 v[14:17], v109 offset0:4 offset1:8
	v_mfma_f32_16x16x16_bf16 a[4:7], v[6:7], v[4:5], 0
	ds_read2_b64 v[2:5], v105 offset0:32 offset1:48
	s_add_i32 s31, s52, 63
	s_ashr_i32 s40, s31, 31
	s_waitcnt lgkmcnt(0)
	v_mfma_f32_16x16x16_bf16 a[8:11], v[6:7], v[2:3], 0
	s_mul_i32 s41, s31, s35
	s_mul_hi_u32 s61, s31, s34
	s_add_i32 s41, s61, s41
	v_mfma_f32_16x16x16_bf16 a[12:15], v[6:7], v[4:5], 0
	ds_read2st64_b64 v[2:5], v105 offset0:4 offset1:8
	ds_read2st64_b64 v[6:9], v107 offset0:4 offset1:8
	s_mul_i32 s40, s40, s34
	s_waitcnt lgkmcnt(1)
	v_mfma_f32_16x16x16_bf16 a[0:3], v[22:23], v[2:3], a[0:3]
	s_add_i32 s41, s41, s40
	s_mul_i32 s40, s31, s34
	s_lshl_b64 s[40:41], s[40:41], 2
	s_waitcnt lgkmcnt(0)
	v_mfma_f32_16x16x16_bf16 a[4:7], v[22:23], v[6:7], a[4:7]
	s_add_u32 s40, s2, s40
	s_addc_u32 s41, s3, s41
	s_and_b64 vcc, exec, s[0:1]
	v_mfma_f32_16x16x16_bf16 a[8:11], v[22:23], v[10:11], a[8:11]
	ds_read_b64 v[2:3], v110 offset:49152
	ds_read_b64 v[6:7], v111 offset:49152
	;; [unrolled: 1-line block ×3, first 2 shown]
	v_mov_b32_e32 v136, 0
	v_mov_b32_e32 v135, 0
	v_mfma_f32_16x16x16_bf16 a[12:15], v[22:23], v[14:15], a[12:15]
	v_mov_b32_e32 v134, 0
	v_mov_b32_e32 v14, 0
	;; [unrolled: 1-line block ×3, first 2 shown]
	s_waitcnt lgkmcnt(2)
	v_mfma_f32_16x16x16_bf16 a[0:3], v[2:3], v[4:5], a[0:3]
	v_mov_b32_e32 v4, 0
	v_mov_b32_e32 v5, 0
	v_mfma_f32_16x16x16_bf16 a[4:7], v[2:3], v[8:9], a[4:7]
	v_mov_b32_e32 v8, 0
	v_mov_b32_e32 v9, 0
	;; [unrolled: 3-line block ×3, first 2 shown]
	v_mfma_f32_16x16x16_bf16 a[12:15], v[2:3], v[16:17], a[12:15]
	ds_read_b64 v[2:3], v108 offset:6144
	v_mov_b32_e32 v16, 0
	v_mov_b32_e32 v17, 0
	s_waitcnt lgkmcnt(2)
	v_mfma_f32_16x16x16_bf16 a[0:3], v[6:7], v[20:21], a[0:3]
	v_mfma_f32_16x16x16_bf16 a[4:7], v[6:7], v[18:19], a[4:7]
	s_waitcnt lgkmcnt(0)
	v_mfma_f32_16x16x16_bf16 a[8:11], v[6:7], v[2:3], a[8:11]
	v_mov_b32_e32 v2, 0
	v_mov_b32_e32 v3, 0
	v_mfma_f32_16x16x16_bf16 a[12:15], v[6:7], v[10:11], a[12:15]
	v_mov_b32_e32 v6, 0
	v_mov_b32_e32 v7, 0
	;; [unrolled: 1-line block ×4, first 2 shown]
	s_cbranch_vccnz .LBB103_12
; %bb.11:                               ;   in Loop: Header=BB103_6 Depth=1
	s_and_b32 s25, s25, 0xffff
	buffer_load_dwordx4 v[14:17], v84, s[24:27], 0 offen
	buffer_load_dwordx4 v[10:13], v84, s[24:27], s55 offen
	;; [unrolled: 1-line block ×4, first 2 shown]
	v_mov_b32_e32 v135, v86
	v_mov_b32_e32 v134, v87
.LBB103_12:                             ;   in Loop: Header=BB103_6 Depth=1
	ds_read_b64 v[142:143], v104 offset:57344
	ds_read2_b64 v[18:21], v112 offset1:16
	ds_read_b64 v[144:145], v106 offset:57344
	ds_read_b64 v[146:147], v110 offset:57344
	;; [unrolled: 1-line block ×3, first 2 shown]
	v_add_u32_e32 v137, s52, v128
	s_waitcnt lgkmcnt(3)
	v_mfma_f32_16x16x16_bf16 a[0:3], v[142:143], v[18:19], a[0:3]
	v_mfma_f32_16x16x16_bf16 a[4:7], v[142:143], v[20:21], a[4:7]
	ds_read2_b64 v[18:21], v112 offset0:32 offset1:48
	ds_read2st64_b64 v[22:25], v112 offset0:4 offset1:8
	ds_read2st64_b64 v[26:29], v113 offset0:4 offset1:8
	;; [unrolled: 1-line block ×4, first 2 shown]
	s_waitcnt lgkmcnt(4)
	v_mfma_f32_16x16x16_bf16 a[8:11], v[142:143], v[18:19], a[8:11]
	v_ashrrev_i32_e32 v18, 31, v137
	v_mfma_f32_16x16x16_bf16 a[12:15], v[142:143], v[20:21], a[12:15]
	v_mul_lo_u32 v20, v18, s34
	v_mul_lo_u32 v21, v137, s35
	v_mad_u64_u32 v[18:19], s[24:25], v137, s34, 0
	v_add3_u32 v19, v19, v21, v20
	v_add_u32_e32 v20, 1, v137
	v_ashrrev_i32_e32 v21, 31, v20
	s_waitcnt lgkmcnt(3)
	v_mfma_f32_16x16x16_bf16 a[0:3], v[144:145], v[22:23], a[0:3]
	v_mul_lo_u32 v22, v21, s34
	v_mul_lo_u32 v23, v20, s35
	v_mad_u64_u32 v[20:21], s[24:25], v20, s34, 0
	v_add3_u32 v21, v21, v23, v22
	v_add_u32_e32 v22, 2, v137
	v_ashrrev_i32_e32 v23, 31, v22
	s_waitcnt lgkmcnt(2)
	v_mfma_f32_16x16x16_bf16 a[4:7], v[144:145], v[26:27], a[4:7]
	v_mul_lo_u32 v26, v23, s34
	v_mul_lo_u32 v27, v22, s35
	v_mad_u64_u32 v[22:23], s[24:25], v22, s34, 0
	v_lshl_add_u64 v[18:19], v[18:19], 2, s[2:3]
	v_lshl_add_u64 v[20:21], v[20:21], 2, s[2:3]
	v_add3_u32 v23, v23, v27, v26
	v_add_u32_e32 v26, 3, v137
	s_waitcnt lgkmcnt(1)
	v_mfma_f32_16x16x16_bf16 a[8:11], v[144:145], v[30:31], a[8:11]
	global_load_dword v31, v[18:19], off
	global_load_dword v137, v[20:21], off
	v_mad_u64_u32 v[18:19], s[24:25], v26, s34, 0
	v_ashrrev_i32_e32 v27, 31, v26
	s_ashr_i32 s25, s52, 31
	v_mul_lo_u32 v27, v27, s34
	v_mul_lo_u32 v30, v26, s35
	s_add_u32 s24, s49, s52
	v_lshl_add_u64 v[22:23], v[22:23], 2, s[2:3]
	v_add3_u32 v19, v19, v30, v27
	s_addc_u32 s25, s48, s25
	s_waitcnt lgkmcnt(0)
	v_mfma_f32_16x16x16_bf16 a[12:15], v[144:145], v[138:139], a[12:15]
	v_lshl_add_u64 v[18:19], v[18:19], 2, s[2:3]
	global_load_dword v30, v[22:23], off
	global_load_dword v138, v[18:19], off
	s_lshl_b64 s[24:25], s[24:25], 8
	v_lshl_add_u64 v[18:19], v[68:69], 0, s[24:25]
	v_lshl_add_u64 v[18:19], v[18:19], 0, v[66:67]
	global_load_ushort v139, v[18:19], off offset:256
	global_load_ushort v142, v[18:19], off
	global_load_ushort v143, v[18:19], off offset:768
	global_load_ushort v144, v[18:19], off offset:512
	;; [unrolled: 1-line block ×6, first 2 shown]
	s_load_dword s40, s[40:41], 0x0
	v_mfma_f32_16x16x16_bf16 a[12:15], v[146:147], v[140:141], a[12:15]
	global_load_ushort v140, v[18:19], off offset:320
	global_load_ushort v141, v[18:19], off offset:64
	s_and_b64 vcc, exec, s[0:1]
	v_mfma_f32_16x16x16_bf16 a[0:3], v[146:147], v[24:25], a[0:3]
	ds_read_b64 v[20:21], v112 offset:6144
	ds_read_b64 v[22:23], v113 offset:6144
	;; [unrolled: 1-line block ×4, first 2 shown]
	v_mfma_f32_16x16x16_bf16 a[4:7], v[146:147], v[28:29], a[4:7]
	s_waitcnt vmcnt(11) lgkmcnt(0)
	v_sub_f32_e32 v28, s40, v30
	v_mfma_f32_16x16x16_bf16 a[8:11], v[146:147], v[32:33], a[8:11]
	global_load_ushort v146, v[18:19], off offset:832
	global_load_ushort v147, v[18:19], off offset:576
	;; [unrolled: 1-line block ×6, first 2 shown]
	v_mfma_f32_16x16x16_bf16 a[0:3], v[148:149], v[20:21], a[0:3]
	s_waitcnt vmcnt(16)
	v_sub_f32_e32 v29, s40, v138
	v_mul_f32_e32 v28, 0x3fb8aa3b, v28
	v_mul_f32_e32 v29, 0x3fb8aa3b, v29
	v_exp_f32_e32 v28, v28
	v_exp_f32_e32 v29, v29
	s_waitcnt vmcnt(15)
	v_lshlrev_b32_e32 v33, 16, v139
	s_waitcnt vmcnt(14)
	v_lshlrev_b32_e32 v32, 16, v142
	v_accvgpr_read_b32 v21, a3
	v_accvgpr_read_b32 v20, a2
	v_mfma_f32_16x16x16_bf16 a[2:5], v[148:149], v[22:23], a[4:7]
	v_accvgpr_read_b32 v139, a1
	v_accvgpr_read_b32 v138, a0
	v_pk_add_f32 v[32:33], v[32:33], v[138:139] neg_lo:[0,1] neg_hi:[0,1]
	v_mfma_f32_16x16x16_bf16 a[6:9], v[148:149], v[24:25], a[8:11]
	s_waitcnt vmcnt(13)
	v_lshlrev_b32_e32 v139, 16, v143
	s_waitcnt vmcnt(12)
	v_lshlrev_b32_e32 v138, 16, v144
	v_pk_add_f32 v[20:21], v[138:139], v[20:21] neg_lo:[0,1] neg_hi:[0,1]
	v_accvgpr_read_b32 v139, a3
	v_accvgpr_read_b32 v138, a2
	;; [unrolled: 1-line block ×6, first 2 shown]
	v_mfma_f32_16x16x16_bf16 a[8:11], v[148:149], v[26:27], a[12:15]
	v_sub_f32_e32 v26, s40, v31
	v_sub_f32_e32 v27, s40, v137
	v_mul_f32_e32 v26, 0x3fb8aa3b, v26
	v_mul_f32_e32 v27, 0x3fb8aa3b, v27
	v_exp_f32_e32 v26, v26
	v_exp_f32_e32 v27, v27
	v_lshl_add_u64 v[30:31], v[70:71], 0, s[24:25]
	v_lshl_add_u64 v[30:31], v[30:31], 0, v[66:67]
	global_store_short_d16_hi v[30:31], v32, off
	global_store_short_d16_hi v[30:31], v33, off offset:256
	global_store_short_d16_hi v[30:31], v20, off offset:512
	;; [unrolled: 1-line block ×3, first 2 shown]
	v_pk_mul_f32 v[32:33], v[26:27], v[32:33]
	v_pk_mul_f32 v[20:21], v[28:29], v[20:21]
	v_accvgpr_read_b32 v25, a11
	v_perm_b32 v21, v21, v20, s21
	v_perm_b32 v20, v33, v32, s21
	s_waitcnt vmcnt(15)
	v_lshlrev_b32_e32 v33, 16, v145
	s_waitcnt vmcnt(14)
	v_lshlrev_b32_e32 v32, 16, v150
	v_pk_add_f32 v[32:33], v[32:33], v[138:139] neg_lo:[0,1] neg_hi:[0,1]
	s_waitcnt vmcnt(13)
	v_lshlrev_b32_e32 v139, 16, v151
	s_waitcnt vmcnt(12)
	v_lshlrev_b32_e32 v138, 16, v152
	v_pk_add_f32 v[22:23], v[138:139], v[22:23] neg_lo:[0,1] neg_hi:[0,1]
	global_store_short_d16_hi v[30:31], v32, off offset:32
	global_store_short_d16_hi v[30:31], v33, off offset:288
	;; [unrolled: 1-line block ×4, first 2 shown]
	v_pk_mul_f32 v[32:33], v[26:27], v[32:33]
	v_pk_mul_f32 v[22:23], v[28:29], v[22:23]
	v_accvgpr_read_b32 v24, a10
	v_perm_b32 v23, v23, v22, s21
	v_perm_b32 v22, v33, v32, s21
	ds_write2_b64 v89, v[20:21], v[22:23] offset1:16
	v_accvgpr_read_b32 v23, a7
	s_waitcnt vmcnt(15)
	v_lshlrev_b32_e32 v21, 16, v140
	s_waitcnt vmcnt(14)
	v_lshlrev_b32_e32 v20, 16, v141
	v_accvgpr_read_b32 v22, a6
	v_pk_add_f32 v[20:21], v[20:21], v[22:23] neg_lo:[0,1] neg_hi:[0,1]
	global_store_short_d16_hi v[30:31], v20, off offset:64
	global_store_short_d16_hi v[30:31], v21, off offset:320
	v_pk_mul_f32 v[20:21], v[26:27], v[20:21]
	v_mov_b32_e32 v137, 0
	v_perm_b32 v20, v21, v20, s21
	v_mov_b32_e32 v32, 0
	v_mov_b32_e32 v33, 0
	s_waitcnt vmcnt(15)
	v_lshlrev_b32_e32 v23, 16, v146
	s_waitcnt vmcnt(14)
	v_lshlrev_b32_e32 v22, 16, v147
	v_pk_add_f32 v[18:19], v[22:23], v[18:19] neg_lo:[0,1] neg_hi:[0,1]
	global_store_short_d16_hi v[30:31], v18, off offset:576
	global_store_short_d16_hi v[30:31], v19, off offset:832
	v_pk_mul_f32 v[18:19], v[28:29], v[18:19]
	v_accvgpr_read_b32 v23, a9
	v_perm_b32 v21, v19, v18, s21
	s_waitcnt vmcnt(15)
	v_lshlrev_b32_e32 v19, 16, v153
	s_waitcnt vmcnt(14)
	v_lshlrev_b32_e32 v18, 16, v154
	v_accvgpr_read_b32 v22, a8
	v_pk_add_f32 v[18:19], v[18:19], v[22:23] neg_lo:[0,1] neg_hi:[0,1]
	s_waitcnt vmcnt(13)
	v_lshlrev_b32_e32 v23, 16, v155
	s_waitcnt vmcnt(12)
	v_lshlrev_b32_e32 v22, 16, v156
	v_pk_add_f32 v[22:23], v[22:23], v[24:25] neg_lo:[0,1] neg_hi:[0,1]
	global_store_short_d16_hi v[30:31], v18, off offset:96
	global_store_short_d16_hi v[30:31], v19, off offset:352
	;; [unrolled: 1-line block ×4, first 2 shown]
	v_pk_mul_f32 v[18:19], v[26:27], v[18:19]
	v_pk_mul_f32 v[22:23], v[28:29], v[22:23]
	v_mov_b32_e32 v24, 0
	v_perm_b32 v23, v23, v22, s21
	v_perm_b32 v22, v19, v18, s21
	ds_write2_b64 v89, v[20:21], v[22:23] offset0:32 offset1:48
	v_mov_b32_e32 v18, 0
	v_mov_b32_e32 v19, 0
	;; [unrolled: 1-line block ×13, first 2 shown]
	s_cbranch_vccnz .LBB103_14
; %bb.13:                               ;   in Loop: Header=BB103_6 Depth=1
	s_and_b32 s29, s29, 0xffff
	s_mov_b32 s31, s27
	buffer_load_dwordx4 v[30:33], v126, s[28:31], 0 offen
	buffer_load_dwordx4 v[22:25], v126, s[28:31], s55 offen
	;; [unrolled: 1-line block ×4, first 2 shown]
	v_mov_b32_e32 v136, v83
	v_mov_b32_e32 v137, v82
.LBB103_14:                             ;   in Loop: Header=BB103_6 Depth=1
	s_waitcnt lgkmcnt(0)
	s_barrier
	ds_read_b64 v[146:147], v129
	ds_read2_b64 v[138:141], v119 offset1:16
	ds_read_b64 v[162:163], v130
	ds_read_b64 v[164:165], v131
	;; [unrolled: 1-line block ×3, first 2 shown]
	ds_read2_b64 v[142:145], v119 offset0:32 offset1:48
	s_waitcnt lgkmcnt(4)
	v_mfma_f32_16x16x16_bf16 a[0:3], v[146:147], v[138:139], 0
	ds_read2st64_b64 v[150:153], v121 offset0:4 offset1:8
	ds_read2st64_b64 v[154:157], v122 offset0:4 offset1:8
	;; [unrolled: 1-line block ×3, first 2 shown]
	v_mfma_f32_16x16x16_bf16 a[4:7], v[146:147], v[140:141], 0
	s_add_i32 s24, s46, s58
	s_mul_hi_i32 s25, s24, s51
	s_mul_i32 s24, s24, s51
	s_waitcnt lgkmcnt(3)
	v_mfma_f32_16x16x16_bf16 a[8:11], v[146:147], v[142:143], 0
	s_add_u32 s24, s24, s33
	s_addc_u32 s25, s25, s53
	s_lshl_b64 s[24:25], s[24:25], 15
	v_mfma_f32_16x16x16_bf16 a[12:15], v[146:147], v[144:145], 0
	ds_read2st64_b64 v[146:149], v119 offset0:4 offset1:8
	s_waitcnt lgkmcnt(0)
	v_mfma_f32_16x16x16_bf16 a[0:3], v[162:163], v[146:147], a[0:3]
	v_mfma_f32_16x16x16_bf16 a[4:7], v[162:163], v[150:151], a[4:7]
	v_mfma_f32_16x16x16_bf16 a[8:11], v[162:163], v[154:155], a[8:11]
	v_mfma_f32_16x16x16_bf16 a[12:15], v[162:163], v[158:159], a[12:15]
	v_mfma_f32_16x16x16_bf16 a[0:3], v[164:165], v[148:149], a[0:3]
	v_mfma_f32_16x16x16_bf16 a[4:7], v[164:165], v[152:153], a[4:7]
	v_mfma_f32_16x16x16_bf16 a[8:11], v[164:165], v[156:157], a[8:11]
	v_mfma_f32_16x16x16_bf16 a[12:15], v[164:165], v[160:161], a[12:15]
	ds_read_b64 v[162:163], v119 offset:6144
	ds_read_b64 v[164:165], v120 offset:40960
	;; [unrolled: 1-line block ×8, first 2 shown]
	s_waitcnt lgkmcnt(5)
	v_mfma_f32_16x16x16_bf16 a[16:19], v[168:169], v[138:139], 0
	v_mfma_f32_16x16x16_bf16 a[20:23], v[168:169], v[140:141], 0
	ds_read2st64_b64 v[138:141], v116 offset1:8
	v_mfma_f32_16x16x16_bf16 a[24:27], v[168:169], v[142:143], 0
	v_mfma_f32_16x16x16_bf16 a[28:31], v[168:169], v[144:145], 0
	ds_read2st64_b64 v[142:145], v117 offset1:8
	v_mfma_f32_16x16x16_bf16 a[16:19], v[164:165], v[146:147], a[16:19]
	s_waitcnt lgkmcnt(1)
	v_mov_b32_e32 v146, v138
	v_mov_b32_e32 v147, v139
	v_mfma_f32_16x16x16_bf16 a[20:23], v[164:165], v[150:151], a[20:23]
	v_lshl_add_u64 v[150:151], v[72:73], 0, s[24:25]
	v_mfma_f32_16x16x16_bf16 a[24:27], v[164:165], v[154:155], a[24:27]
	v_mfma_f32_16x16x16_bf16 a[28:31], v[164:165], v[158:159], a[28:31]
	v_mfma_f32_16x16x16_bf16 a[16:19], v[176:177], v[148:149], a[16:19]
	s_waitcnt lgkmcnt(0)
	v_mov_b32_e32 v148, v142
	v_mov_b32_e32 v149, v143
	;; [unrolled: 1-line block ×3, first 2 shown]
	v_mfma_f32_16x16x16_bf16 a[32:35], v[176:177], v[152:153], a[20:23]
	v_mov_b32_e32 v143, v141
	ds_read2st64_b64 v[138:141], v116 offset0:16 offset1:24
	global_store_dwordx4 v[150:151], v[146:149], off
	v_mfma_f32_16x16x16_bf16 a[24:27], v[176:177], v[156:157], a[24:27]
	ds_read2st64_b64 v[146:149], v117 offset0:16 offset1:24
	v_add_co_u32_e32 v152, vcc, s37, v150
	v_mfma_f32_16x16x16_bf16 a[28:31], v[176:177], v[160:161], a[28:31]
	s_nop 0
	v_addc_co_u32_e32 v153, vcc, 0, v151, vcc
	global_store_dwordx4 v[152:153], v[142:145], off offset:-4096
	v_mfma_f32_16x16x16_bf16 a[0:3], v[166:167], v[162:163], a[0:3]
	s_waitcnt lgkmcnt(1)
	v_mov_b32_e32 v142, v138
	v_add_co_u32_e32 v138, vcc, s59, v150
	v_mfma_f32_16x16x16_bf16 a[4:7], v[166:167], v[170:171], a[4:7]
	v_mov_b32_e32 v143, v139
	v_addc_co_u32_e32 v139, vcc, 0, v151, vcc
	v_mfma_f32_16x16x16_bf16 a[8:11], v[166:167], v[172:173], a[8:11]
	s_waitcnt lgkmcnt(0)
	v_mov_b32_e32 v144, v146
	v_mov_b32_e32 v145, v147
	;; [unrolled: 1-line block ×3, first 2 shown]
	v_mfma_f32_16x16x16_bf16 a[12:15], v[166:167], v[174:175], a[12:15]
	v_mov_b32_e32 v147, v141
	s_and_b64 vcc, exec, s[0:1]
	global_store_dwordx4 v[152:153], v[142:145], off
	v_mfma_f32_16x16x16_bf16 a[20:23], v[178:179], v[162:163], a[16:19]
	global_store_dwordx4 v[138:139], v[146:149], off
	v_mfma_f32_16x16x16_bf16 a[16:19], v[178:179], v[170:171], a[32:35]
	v_mfma_f32_16x16x16_bf16 a[24:27], v[178:179], v[172:173], a[24:27]
	;; [unrolled: 1-line block ×3, first 2 shown]
	s_cbranch_vccnz .LBB103_16
; %bb.15:                               ;   in Loop: Header=BB103_6 Depth=1
	v_lshrrev_b32_e32 v138, 3, v136
	v_and_b32_e32 v138, 6, v138
	v_xor_b32_e32 v137, v138, v137
	v_lshlrev_b32_e32 v137, 2, v137
	v_and_b32_e32 v136, 8, v136
	v_xor_b32_e32 v139, 0x440, v137
	v_cmp_eq_u32_e32 vcc, 0, v136
	s_barrier
	s_nop 0
	v_cndmask_b32_e32 v136, v139, v137, vcc
	v_lshl_or_b32 v136, v138, 10, v136
	s_waitcnt vmcnt(5)
	v_perm_b32 v137, v30, v26, s56
	s_waitcnt vmcnt(4)
	v_perm_b32 v138, v22, v18, s56
	ds_write2st64_b32 v136, v137, v138 offset0:128 offset1:160
	v_xor_b32_e32 v137, 8, v136
	v_perm_b32 v26, v30, v26, s57
	v_perm_b32 v18, v22, v18, s57
	v_add_u32_e32 v22, 0x80, v137
	ds_write2st64_b32 v22, v26, v18 offset0:128 offset1:160
	v_xor_b32_e32 v18, 16, v136
	v_perm_b32 v22, v31, v27, s56
	v_perm_b32 v26, v23, v19, s56
	ds_write2st64_b32 v18, v22, v26 offset0:129 offset1:161
	v_xor_b32_e32 v18, 24, v136
	v_perm_b32 v22, v31, v27, s57
	v_perm_b32 v19, v23, v19, s57
	v_add_u32_e32 v18, 0x80, v18
	ds_write2st64_b32 v18, v22, v19 offset0:129 offset1:161
	v_xor_b32_e32 v18, 32, v136
	v_perm_b32 v19, v32, v28, s56
	;; [unrolled: 9-line block ×3, first 2 shown]
	v_perm_b32 v20, v25, v21, s56
	ds_write2st64_b32 v18, v19, v20 offset0:131 offset1:163
	v_xor_b32_e32 v18, 56, v136
	v_perm_b32 v19, v33, v29, s57
	v_perm_b32 v20, v25, v21, s57
	v_add_u32_e32 v18, 0x80, v18
	ds_write2st64_b32 v18, v19, v20 offset0:131 offset1:163
	ds_write_b64 v135, v[14:15] offset:49152
	v_xor_b32_e32 v14, 8, v135
	ds_write_b64 v14, v[16:17] offset:49152
	ds_write_b64 v135, v[10:11] offset:57344
	;; [unrolled: 1-line block ×4, first 2 shown]
	v_xor_b32_e32 v6, 8, v134
	ds_write_b64 v6, v[8:9] offset:49152
	ds_write_b64 v134, v[2:3] offset:57344
	;; [unrolled: 1-line block ×3, first 2 shown]
.LBB103_16:                             ;   in Loop: Header=BB103_6 Depth=1
	s_waitcnt vmcnt(6)
	v_mul_f32_e32 v22, s40, v133
	v_exp_f32_e32 v134, v22
	v_accvgpr_read_b32 v5, a3
	v_accvgpr_read_b32 v9, a7
	;; [unrolled: 1-line block ×4, first 2 shown]
	s_waitcnt vmcnt(4)
	v_accvgpr_read_b32 v18, a20
	v_accvgpr_read_b32 v25, a19
	;; [unrolled: 1-line block ×28, first 2 shown]
	s_add_i32 s52, s52, 64
	v_pk_fma_f32 v[62:63], v[134:135], v[62:63], v[2:3] op_sel_hi:[0,1,1]
	v_pk_fma_f32 v[64:65], v[134:135], v[64:65], v[4:5] op_sel_hi:[0,1,1]
	;; [unrolled: 1-line block ×15, first 2 shown]
	s_cmp_eq_u32 s45, s60
	v_pk_fma_f32 v[38:39], v[134:135], v[38:39], v[32:33] op_sel_hi:[0,1,1]
	s_cbranch_scc1 .LBB103_18
; %bb.17:                               ;   in Loop: Header=BB103_6 Depth=1
	s_mov_b32 s58, s60
	s_branch .LBB103_6
.LBB103_18:
	s_lshl_b32 s0, s45, 6
	s_sub_i32 s47, s47, s0
	s_cmp_gt_i32 s47, 0
	s_cbranch_scc0 .LBB103_99
; %bb.19:
	s_add_i32 s38, s0, s38
	s_ashr_i32 s2, s38, 31
	s_cmpk_lg_i32 s19, 0x80
	s_cselect_b64 s[30:31], -1, 0
	s_and_b64 vcc, exec, s[30:31]
	s_cbranch_vccz .LBB103_21
; %bb.20:
	s_mul_i32 s1, s38, s18
	s_ashr_i32 s3, s50, 31
	s_mul_hi_i32 s0, s38, s18
	s_add_u32 s40, s1, s50
	s_addc_u32 s41, s0, s3
	s_cbranch_execz .LBB103_22
	s_branch .LBB103_23
.LBB103_21:
                                        ; implicit-def: $sgpr40_sgpr41
.LBB103_22:
	s_mul_i32 s1, s50, s16
	s_mul_hi_i32 s0, s50, s16
	s_add_u32 s40, s1, s38
	s_addc_u32 s41, s0, s2
.LBB103_23:
	s_add_i32 s3, s45, s46
	s_ashr_i32 s16, s33, 31
	s_add_u32 s0, s49, s38
	v_lshlrev_b32_e32 v6, 6, v80
	v_lshlrev_b32_e32 v24, 2, v74
	s_addc_u32 s1, s48, s2
	s_mov_b32 s2, 0x7060302
	v_or_b32_e32 v9, v6, v24
	v_xor_b32_e32 v7, v80, v24
	v_perm_b32 v3, v65, v64, s2
	v_perm_b32 v2, v63, v62, s2
	;; [unrolled: 1-line block ×4, first 2 shown]
	v_lshlrev_b32_e32 v9, 1, v9
	v_xor_b32_e32 v8, v81, v24
	ds_write2st64_b64 v9, v[2:3], v[4:5] offset0:32 offset1:48
	v_lshlrev_b32_e32 v7, 1, v7
	v_lshlrev_b32_e32 v9, 8, v74
	v_or_b32_e32 v10, v7, v9
	v_lshlrev_b32_e32 v8, 1, v8
	ds_write_b64 v10, v[2:3]
	v_or_b32_e32 v2, v8, v9
	v_or_b32_e32 v9, 16, v74
	v_lshlrev_b32_e32 v23, 2, v9
	v_or_b32_e32 v10, v6, v23
	ds_write_b64 v2, v[4:5]
	v_perm_b32 v3, v57, v56, s2
	v_perm_b32 v2, v55, v54, s2
	;; [unrolled: 1-line block ×4, first 2 shown]
	v_lshlrev_b32_e32 v10, 1, v10
	v_lshlrev_b32_e32 v9, 8, v9
	ds_write2st64_b64 v10, v[2:3], v[4:5] offset0:32 offset1:48
	v_or_b32_e32 v10, v7, v9
	ds_write_b64 v10, v[2:3]
	v_or_b32_e32 v2, v8, v9
	v_or_b32_e32 v9, 32, v74
	v_lshlrev_b32_e32 v22, 2, v9
	v_or_b32_e32 v10, v6, v22
	s_lshl_b64 s[28:29], s[0:1], 8
	ds_write_b64 v2, v[4:5]
	v_perm_b32 v3, v49, v48, s2
	v_perm_b32 v2, v47, v46, s2
	;; [unrolled: 1-line block ×4, first 2 shown]
	v_lshlrev_b32_e32 v10, 1, v10
	v_lshlrev_b32_e32 v9, 8, v9
	s_add_u32 s0, s6, s28
	ds_write2st64_b64 v10, v[2:3], v[4:5] offset0:32 offset1:48
	v_or_b32_e32 v10, v7, v9
	s_addc_u32 s1, s7, s29
	ds_write_b64 v10, v[2:3]
	v_or_b32_e32 v2, v8, v9
	v_or_b32_e32 v9, 48, v74
	s_mul_hi_i32 s6, s3, s17
	s_mul_i32 s3, s3, s17
	ds_write_b64 v2, v[4:5]
	v_perm_b32 v3, v35, v34, s2
	v_perm_b32 v2, v41, v40, s2
	;; [unrolled: 1-line block ×4, first 2 shown]
	v_lshlrev_b32_e32 v19, 2, v9
	s_add_u32 s2, s3, s33
	v_or_b32_e32 v6, v6, v19
	s_addc_u32 s3, s6, s16
	v_lshlrev_b32_e32 v6, 1, v6
	s_ashr_i32 s37, s36, 31
	s_lshl_b64 s[2:3], s[2:3], 15
	ds_write2st64_b64 v6, v[2:3], v[4:5] offset0:32 offset1:48
	v_lshlrev_b32_e32 v6, 8, v9
	s_add_u32 s6, s12, s2
	v_or_b32_e32 v7, v7, v6
	s_addc_u32 s7, s13, s3
	s_lshl_b64 s[2:3], s[36:37], 8
	ds_write_b64 v7, v[2:3]
	v_or_b32_e32 v2, v8, v6
	s_add_u32 s2, s6, s2
	v_lshlrev_b32_e32 v3, 1, v74
	ds_write_b64 v2, v[4:5]
	v_lshrrev_b32_e32 v2, 4, v0
	s_addc_u32 s3, s7, s3
	v_or_b32_e32 v4, 1, v3
	v_lshlrev_b32_e32 v10, 4, v74
	v_mov_b32_e32 v11, 0
	v_xor_b32_e32 v3, v2, v3
	v_xor_b32_e32 v6, v4, v2
	v_lshl_add_u64 v[12:13], s[2:3], 0, v[10:11]
	v_lshlrev_b32_e32 v10, 8, v2
	v_lshl_or_b32 v16, v3, 3, v10
	v_lshl_or_b32 v17, v6, 3, v10
	s_waitcnt lgkmcnt(0)
	s_barrier
	ds_read2st64_b64 v[2:5], v16 offset1:8
	ds_read2st64_b64 v[6:9], v17 offset1:8
	v_lshl_add_u64 v[14:15], v[12:13], 0, v[10:11]
	s_movk_i32 s2, 0x2000
	s_cmp_lg_u32 s47, 64
	s_waitcnt lgkmcnt(1)
	v_mov_b32_e32 v10, v2
	v_mov_b32_e32 v11, v3
	s_waitcnt lgkmcnt(0)
	v_mov_b32_e32 v12, v6
	v_mov_b32_e32 v13, v7
	global_store_dwordx4 v[14:15], v[10:13], off
	v_mov_b32_e32 v6, v4
	v_mov_b32_e32 v7, v5
	ds_read2st64_b64 v[2:5], v16 offset0:16 offset1:24
	ds_read2st64_b64 v[10:13], v17 offset0:16 offset1:24
	v_add_co_u32_e32 v16, vcc, s2, v14
	s_cselect_b64 s[6:7], -1, 0
	s_nop 0
	v_addc_co_u32_e32 v17, vcc, 0, v15, vcc
	global_store_dwordx4 v[16:17], v[6:9], off offset:-4096
	v_lshl_or_b32 v25, v76, 3, v79
	s_mov_b32 s24, 0
	s_waitcnt lgkmcnt(1)
	v_mov_b32_e32 v6, v2
	v_add_co_u32_e32 v2, vcc, 0x3000, v14
	v_mov_b32_e32 v7, v3
	s_nop 0
	v_addc_co_u32_e32 v3, vcc, 0, v15, vcc
	s_waitcnt lgkmcnt(0)
	v_mov_b32_e32 v8, v10
	v_mov_b32_e32 v9, v11
	;; [unrolled: 1-line block ×4, first 2 shown]
	v_or_b32_e32 v20, 32, v25
	v_and_b32_e32 v18, 56, v78
	s_and_b64 vcc, exec, s[6:7]
	global_store_dwordx4 v[16:17], v[6:9], off
	global_store_dwordx4 v[2:3], v[10:13], off
	s_cbranch_vccz .LBB103_29
; %bb.24:
	s_mov_b32 s25, s24
	s_mov_b32 s26, s24
	;; [unrolled: 1-line block ×3, first 2 shown]
	v_mov_b64_e32 v[6:7], s[24:25]
	v_mov_b64_e32 v[8:9], s[26:27]
	;; [unrolled: 1-line block ×3, first 2 shown]
	v_cmp_gt_i32_e32 vcc, s47, v25
	v_mov_b64_e32 v[4:5], v[8:9]
	s_and_saveexec_b64 s[2:3], vcc
	s_cbranch_execz .LBB103_26
; %bb.25:
	v_lshlrev_b32_e32 v2, 8, v25
	v_mov_b32_e32 v3, 0
	v_lshl_add_u64 v[4:5], s[0:1], 0, v[2:3]
	v_lshlrev_b32_e32 v2, 1, v18
	v_lshl_add_u64 v[10:11], v[4:5], 0, v[2:3]
	global_load_dwordx4 v[6:9], v[10:11], off
	global_load_dwordx4 v[2:5], v[10:11], off offset:128
.LBB103_26:
	s_or_b64 exec, exec, s[2:3]
	s_mov_b32 s25, s24
	s_mov_b32 s26, s24
	;; [unrolled: 1-line block ×3, first 2 shown]
	v_mov_b64_e32 v[14:15], s[24:25]
	v_mov_b64_e32 v[16:17], s[26:27]
	;; [unrolled: 1-line block ×3, first 2 shown]
	v_cmp_gt_i32_e32 vcc, s47, v20
	v_lshlrev_b32_e32 v21, 7, v20
	v_mov_b64_e32 v[12:13], v[16:17]
	s_and_saveexec_b64 s[2:3], vcc
	s_cbranch_execz .LBB103_28
; %bb.27:
	v_lshlrev_b32_e32 v10, 1, v21
	v_mov_b32_e32 v11, 0
	v_lshl_add_u64 v[12:13], s[0:1], 0, v[10:11]
	v_lshlrev_b32_e32 v10, 1, v18
	v_lshl_add_u64 v[26:27], v[12:13], 0, v[10:11]
	global_load_dwordx4 v[14:17], v[26:27], off
	global_load_dwordx4 v[10:13], v[26:27], off offset:128
.LBB103_28:
	s_or_b64 exec, exec, s[2:3]
	v_lshrrev_b32_e32 v26, 3, v18
	v_lshlrev_b32_e32 v27, 3, v25
	v_or_b32_e32 v26, v27, v26
	v_lshlrev_b32_e32 v26, 4, v26
	v_and_b32_e32 v27, 0x78, v27
	v_xor_b32_e32 v26, v26, v27
	s_branch .LBB103_31
.LBB103_29:
                                        ; implicit-def: $vgpr26
                                        ; implicit-def: $vgpr21
                                        ; implicit-def: $vgpr6_vgpr7_vgpr8_vgpr9
                                        ; implicit-def: $vgpr2_vgpr3_vgpr4_vgpr5
                                        ; implicit-def: $vgpr14_vgpr15_vgpr16_vgpr17
                                        ; implicit-def: $vgpr10_vgpr11_vgpr12_vgpr13
	s_cbranch_execz .LBB103_31
; %bb.30:
	s_waitcnt vmcnt(0)
	v_lshlrev_b32_e32 v2, 1, v18
	v_lshl_or_b32 v21, v25, 8, v2
	s_and_b32 s1, s1, 0xffff
	s_mov_b32 s3, 0x20000
	s_movk_i32 s2, 0x4000
	v_lshl_or_b32 v26, v20, 8, v2
	s_movk_i32 s12, 0x80
	buffer_load_dwordx4 v[6:9], v21, s[0:3], 0 offen
	buffer_load_dwordx4 v[2:5], v21, s[0:3], s12 offen
	;; [unrolled: 1-line block ×4, first 2 shown]
	v_lshrrev_b32_e32 v21, 3, v18
	v_lshlrev_b32_e32 v26, 3, v25
	v_or_b32_e32 v21, v26, v21
	v_lshlrev_b32_e32 v21, 4, v21
	v_and_b32_e32 v26, 0x78, v26
	v_xor_b32_e32 v26, v21, v26
	v_lshlrev_b32_e32 v21, 7, v20
.LBB103_31:
	s_movk_i32 s0, 0x1000
	v_and_or_b32 v20, v21, s0, v26
	s_waitcnt vmcnt(1)
	ds_write_b64 v26, v[6:7] offset:49152
	v_xor_b32_e32 v6, 8, v26
	ds_write_b64 v6, v[8:9] offset:49152
	s_waitcnt vmcnt(0)
	ds_write_b64 v26, v[2:3] offset:57344
	ds_write_b64 v6, v[4:5] offset:57344
	;; [unrolled: 1-line block ×3, first 2 shown]
	v_xor_b32_e32 v2, 8, v20
	ds_write_b64 v2, v[16:17] offset:49152
	ds_write_b64 v20, v[10:11] offset:57344
	;; [unrolled: 1-line block ×3, first 2 shown]
	v_or_b32_e32 v2, v1, v74
	v_lshlrev_b32_e32 v3, 11, v76
	v_lshlrev_b32_e32 v2, 3, v2
	v_and_b32_e32 v6, 0x1000, v3
	v_lshrrev_b32_e32 v3, 5, v75
	s_movk_i32 s0, 0xf8
	v_and_or_b32 v3, v2, s0, v3
	v_lshlrev_b32_e32 v7, 4, v3
	v_and_b32_e32 v8, 0x78, v2
	v_or_b32_e32 v10, 32, v7
	v_lshrrev_b32_e32 v3, 1, v75
	v_xor_b32_e32 v10, v10, v8
	v_xor_b32_e32 v2, v7, v8
	v_and_b32_e32 v9, 8, v3
	v_or_b32_e32 v10, v10, v6
	v_or_b32_e32 v2, v2, v6
	v_xor_b32_e32 v28, v10, v9
	v_or_b32_e32 v10, 64, v7
	v_xor_b32_e32 v27, v2, v9
	v_xor_b32_e32 v10, v10, v8
	s_waitcnt lgkmcnt(0)
	s_barrier
	v_or_b32_e32 v13, v10, v6
	ds_read_b64 v[10:11], v27 offset:49152
	v_lshl_or_b32 v14, v77, 8, v24
	v_lshlrev_b32_e32 v26, 1, v14
	v_add_u32_e32 v12, 0x4000, v26
	ds_read2_b64 v[2:5], v12 offset1:16
	v_or_b32_e32 v7, 0x60, v7
	v_xor_b32_e32 v7, v7, v8
	v_or_b32_e32 v6, v7, v6
	v_xor_b32_e32 v29, v13, v9
	v_xor_b32_e32 v30, v6, v9
	ds_read_b64 v[20:21], v28 offset:49152
	ds_read_b64 v[34:35], v29 offset:49152
	;; [unrolled: 1-line block ×3, first 2 shown]
	s_waitcnt lgkmcnt(3)
	v_mfma_f32_16x16x16_bf16 a[0:3], v[10:11], v[2:3], 0
	ds_read2_b64 v[6:9], v12 offset0:32 offset1:48
	s_lshl_b64 s[0:1], s[40:41], 8
	s_add_u32 s4, s4, s0
	v_mfma_f32_16x16x16_bf16 a[4:7], v[10:11], v[4:5], 0
	ds_read2st64_b64 v[2:5], v26 offset0:36 offset1:40
	s_addc_u32 s5, s5, s1
	s_add_i32 s2, s39, -1
	s_waitcnt lgkmcnt(1)
	v_mfma_f32_16x16x16_bf16 a[8:11], v[10:11], v[6:7], 0
	v_or_b32_e32 v6, 64, v14
	v_lshlrev_b32_e32 v31, 1, v6
	s_add_i32 s0, s43, s42
	s_waitcnt lgkmcnt(0)
	v_mfma_f32_16x16x16_bf16 a[0:3], v[20:21], v[2:3], a[0:3]
	v_or_b32_e32 v2, 0x80, v14
	v_lshlrev_b32_e32 v32, 1, v2
	v_or_b32_e32 v2, 0xc0, v14
	v_mfma_f32_16x16x16_bf16 a[12:15], v[10:11], v[8:9], 0
	ds_read2st64_b64 v[6:9], v31 offset0:36 offset1:40
	v_lshlrev_b32_e32 v33, 1, v2
	ds_read2st64_b64 v[10:13], v32 offset0:36 offset1:40
	ds_read2st64_b64 v[14:17], v33 offset0:36 offset1:40
	s_add_i32 s21, s0, s44
	s_mul_i32 s0, s33, s23
	s_mul_hi_u32 s1, s33, s22
	s_ashr_i32 s3, s2, 31
	s_mul_i32 s12, s2, s35
	s_mul_hi_u32 s13, s2, s34
	s_waitcnt lgkmcnt(2)
	v_mfma_f32_16x16x16_bf16 a[4:7], v[20:21], v[6:7], a[4:7]
	s_add_i32 s0, s1, s0
	s_mul_i32 s1, s16, s22
	s_add_i32 s12, s13, s12
	s_mul_i32 s3, s3, s34
	s_waitcnt lgkmcnt(1)
	v_mfma_f32_16x16x16_bf16 a[8:11], v[20:21], v[10:11], a[8:11]
	s_add_i32 s1, s0, s1
	s_add_i32 s3, s12, s3
	s_lshl_b64 s[12:13], s[20:21], 2
	s_waitcnt lgkmcnt(0)
	v_mfma_f32_16x16x16_bf16 a[12:15], v[20:21], v[14:15], a[12:15]
	s_mul_i32 s0, s33, s22
	s_add_u32 s10, s10, s12
	s_addc_u32 s11, s11, s13
	s_lshl_b64 s[0:1], s[0:1], 2
	v_mfma_f32_16x16x16_bf16 a[0:3], v[34:35], v[4:5], a[0:3]
	s_mul_i32 s2, s2, s34
	ds_read_b64 v[2:3], v26 offset:22528
	s_add_u32 s10, s10, s0
	v_mfma_f32_16x16x16_bf16 a[4:7], v[34:35], v[8:9], a[4:7]
	ds_read_b64 v[4:5], v31 offset:22528
	ds_read_b64 v[6:7], v32 offset:22528
	;; [unrolled: 1-line block ×3, first 2 shown]
	s_addc_u32 s11, s11, s1
	s_lshl_b64 s[0:1], s[2:3], 2
	v_mfma_f32_16x16x16_bf16 a[8:11], v[34:35], v[12:13], a[8:11]
	s_add_u32 s0, s10, s0
	s_addc_u32 s1, s11, s1
	s_load_dword s12, s[0:1], 0x0
	v_mfma_f32_16x16x16_bf16 a[12:15], v[34:35], v[16:17], a[12:15]
	s_and_b64 vcc, exec, s[30:31]
	s_waitcnt lgkmcnt(0)
	v_mfma_f32_16x16x16_bf16 a[0:3], v[36:37], v[2:3], a[0:3]
	v_mfma_f32_16x16x16_bf16 a[4:7], v[36:37], v[4:5], a[4:7]
	;; [unrolled: 1-line block ×4, first 2 shown]
	s_cbranch_vccz .LBB103_42
; %bb.32:
	v_lshlrev_b32_e32 v20, 1, v25
	s_and_b64 vcc, exec, s[6:7]
	s_cbranch_vccz .LBB103_43
; %bb.33:
	v_cmp_gt_i32_e32 vcc, s47, v20
	v_mov_b32_e32 v6, 0
	v_mov_b32_e32 v2, 0
	;; [unrolled: 1-line block ×5, first 2 shown]
	s_and_saveexec_b64 s[0:1], vcc
	s_cbranch_execz .LBB103_35
; %bb.34:
	v_mad_i64_i32 v[2:3], s[2:3], s19, v20, 0
	v_lshl_add_u64 v[2:3], v[2:3], 1, s[4:5]
	v_lshlrev_b32_e32 v4, 1, v18
	v_mov_b32_e32 v5, 0
	v_lshl_add_u64 v[2:3], v[2:3], 0, v[4:5]
	global_load_dwordx4 v[2:5], v[2:3], off
.LBB103_35:
	s_or_b64 exec, exec, s[0:1]
	v_or_b32_e32 v21, 1, v20
	v_cmp_gt_i32_e64 s[0:1], s47, v21
	v_mov_b32_e32 v7, 0
	v_mov_b32_e32 v8, 0
	;; [unrolled: 1-line block ×3, first 2 shown]
	s_and_saveexec_b64 s[2:3], s[0:1]
	s_cbranch_execz .LBB103_37
; %bb.36:
	v_mad_i64_i32 v[6:7], s[16:17], s19, v21, 0
	v_lshl_add_u64 v[6:7], v[6:7], 1, s[4:5]
	v_lshlrev_b32_e32 v8, 1, v18
	v_mov_b32_e32 v9, 0
	v_lshl_add_u64 v[6:7], v[6:7], 0, v[8:9]
	global_load_dwordx4 v[6:9], v[6:7], off
.LBB103_37:
	s_or_b64 exec, exec, s[2:3]
	v_mov_b32_e32 v17, 0
	v_mov_b32_e32 v10, 0
	;; [unrolled: 1-line block ×5, first 2 shown]
	s_and_saveexec_b64 s[2:3], vcc
	s_cbranch_execz .LBB103_39
; %bb.38:
	v_mad_i64_i32 v[10:11], s[16:17], s19, v20, 0
	v_lshl_add_u64 v[10:11], v[10:11], 1, s[4:5]
	v_lshlrev_b32_e32 v12, 1, v18
	v_mov_b32_e32 v13, 0
	v_lshl_add_u64 v[10:11], v[10:11], 0, v[12:13]
	global_load_dwordx4 v[10:13], v[10:11], off offset:128
.LBB103_39:
	s_or_b64 exec, exec, s[2:3]
	v_mov_b32_e32 v16, 0
	v_mov_b32_e32 v15, 0
	;; [unrolled: 1-line block ×3, first 2 shown]
	s_and_saveexec_b64 s[2:3], s[0:1]
	s_cbranch_execz .LBB103_41
; %bb.40:
	v_mad_i64_i32 v[14:15], s[0:1], s19, v21, 0
	v_lshl_add_u64 v[14:15], v[14:15], 1, s[4:5]
	v_lshlrev_b32_e32 v16, 1, v18
	v_mov_b32_e32 v17, 0
	v_lshl_add_u64 v[14:15], v[14:15], 0, v[16:17]
	global_load_dwordx4 v[14:17], v[14:15], off offset:128
.LBB103_41:
	s_or_b64 exec, exec, s[2:3]
	s_branch .LBB103_45
.LBB103_42:
                                        ; implicit-def: $vgpr5
                                        ; implicit-def: $vgpr9
                                        ; implicit-def: $vgpr13
                                        ; implicit-def: $vgpr17
	v_lshrrev_b32_e32 v34, 2, v75
	s_branch .LBB103_46
.LBB103_43:
                                        ; implicit-def: $vgpr5
                                        ; implicit-def: $vgpr9
                                        ; implicit-def: $vgpr13
                                        ; implicit-def: $vgpr17
	s_cbranch_execz .LBB103_45
; %bb.44:
	s_waitcnt vmcnt(0)
	v_mad_u64_u32 v[2:3], s[0:1], v20, s19, v[18:19]
	v_lshlrev_b32_e32 v20, 1, v2
	s_lshl_b32 s2, s19, 7
	s_and_b32 s1, s5, 0xffff
	s_mov_b32 s3, 0x20000
	s_mov_b32 s0, s4
	v_add_lshl_u32 v21, v2, s19, 1
	s_movk_i32 s13, 0x80
	buffer_load_dwordx4 v[2:5], v20, s[0:3], 0 offen
	buffer_load_dwordx4 v[10:13], v20, s[0:3], s13 offen
	;; [unrolled: 1-line block ×4, first 2 shown]
.LBB103_45:
	v_lshrrev_b32_e32 v34, 2, v75
	s_cbranch_execnz .LBB103_58
.LBB103_46:
	s_and_b64 vcc, exec, s[6:7]
	s_cbranch_vccz .LBB103_56
; %bb.47:
	s_waitcnt vmcnt(0)
	v_lshlrev_b32_e32 v7, 1, v25
	v_cmp_gt_i32_e32 vcc, s47, v7
	v_mov_b32_e32 v6, 0
	v_lshlrev_b32_e32 v14, 9, v25
	v_mov_b32_e32 v2, 0
	v_mov_b32_e32 v3, 0
	;; [unrolled: 1-line block ×4, first 2 shown]
	s_and_saveexec_b64 s[0:1], vcc
	s_cbranch_execz .LBB103_49
; %bb.48:
	v_mov_b32_e32 v15, 0
	v_lshl_add_u64 v[2:3], s[4:5], 0, v[14:15]
	v_lshlrev_b32_e32 v4, 1, v18
	v_mov_b32_e32 v5, v15
	v_lshl_add_u64 v[2:3], v[2:3], 0, v[4:5]
	global_load_dwordx4 v[2:5], v[2:3], off
.LBB103_49:
	s_or_b64 exec, exec, s[0:1]
	v_or_b32_e32 v7, 1, v7
	v_cmp_gt_i32_e64 s[0:1], s47, v7
	v_lshlrev_b32_e32 v20, 8, v7
	v_mov_b32_e32 v7, 0
	v_mov_b32_e32 v8, 0
	;; [unrolled: 1-line block ×3, first 2 shown]
	s_and_saveexec_b64 s[2:3], s[0:1]
	s_cbranch_execz .LBB103_51
; %bb.50:
	v_mov_b32_e32 v21, 0
	v_lshl_add_u64 v[6:7], s[4:5], 0, v[20:21]
	v_lshlrev_b32_e32 v8, 1, v18
	v_mov_b32_e32 v9, v21
	v_lshl_add_u64 v[6:7], v[6:7], 0, v[8:9]
	global_load_dwordx4 v[6:9], v[6:7], off
.LBB103_51:
	s_or_b64 exec, exec, s[2:3]
	v_mov_b32_e32 v17, 0
	v_mov_b32_e32 v10, 0
	;; [unrolled: 1-line block ×5, first 2 shown]
	s_and_saveexec_b64 s[2:3], vcc
	s_cbranch_execz .LBB103_53
; %bb.52:
	v_mov_b32_e32 v15, 0
	v_lshl_add_u64 v[10:11], s[4:5], 0, v[14:15]
	v_lshlrev_b32_e32 v14, 1, v18
	v_lshl_add_u64 v[10:11], v[10:11], 0, v[14:15]
	global_load_dwordx4 v[10:13], v[10:11], off offset:128
.LBB103_53:
	s_or_b64 exec, exec, s[2:3]
	v_mov_b32_e32 v16, 0
	v_mov_b32_e32 v15, 0
	;; [unrolled: 1-line block ×3, first 2 shown]
	s_and_saveexec_b64 s[2:3], s[0:1]
	s_cbranch_execz .LBB103_55
; %bb.54:
	v_mov_b32_e32 v21, 0
	v_lshl_add_u64 v[14:15], s[4:5], 0, v[20:21]
	v_lshlrev_b32_e32 v20, 1, v18
	v_lshl_add_u64 v[14:15], v[14:15], 0, v[20:21]
	global_load_dwordx4 v[14:17], v[14:15], off offset:128
.LBB103_55:
	s_or_b64 exec, exec, s[2:3]
	s_branch .LBB103_58
.LBB103_56:
                                        ; implicit-def: $vgpr5
                                        ; implicit-def: $vgpr9
                                        ; implicit-def: $vgpr13
                                        ; implicit-def: $vgpr17
	s_cbranch_execz .LBB103_58
; %bb.57:
	s_waitcnt vmcnt(0)
	v_lshlrev_b32_e32 v2, 1, v18
	v_lshl_or_b32 v18, v25, 9, v2
	s_and_b32 s5, s5, 0xffff
	s_mov_b32 s7, 0x20000
	s_movk_i32 s6, 0x4000
	s_movk_i32 s0, 0x80
	buffer_load_dwordx4 v[2:5], v18, s[4:7], 0 offen
	buffer_load_dwordx4 v[6:9], v18, s[4:7], 0 offen offset:256
	buffer_load_dwordx4 v[10:13], v18, s[4:7], s0 offen
	buffer_load_dwordx4 v[14:17], v18, s[4:7], s0 offen offset:256
.LBB103_58:
	ds_read_b64 v[20:21], v27 offset:57344
	v_add_u32_e32 v18, 0x6000, v26
	ds_read2_b64 v[36:39], v18 offset1:16
	ds_read_b64 v[52:53], v28 offset:57344
	ds_read_b64 v[28:29], v29 offset:57344
	ds_read_b64 v[54:55], v30 offset:57344
	ds_read2st64_b64 v[40:43], v26 offset0:52 offset1:56
	s_mov_b32 s0, 0x1000504
	s_mov_b32 s1, 0x3020706
	s_waitcnt lgkmcnt(4)
	v_mfma_f32_16x16x16_bf16 a[0:3], v[20:21], v[36:37], a[0:3]
	v_mfma_f32_16x16x16_bf16 a[4:7], v[20:21], v[38:39], a[4:7]
	ds_read2_b64 v[36:39], v18 offset0:32 offset1:48
	v_and_b32_e32 v18, 6, v0
	v_xor_b32_e32 v25, v25, v18
	s_waitcnt lgkmcnt(0)
	v_mfma_f32_16x16x16_bf16 a[8:11], v[20:21], v[36:37], a[8:11]
	v_lshlrev_b32_e32 v25, 2, v25
	v_and_b32_e32 v0, 1, v0
	v_xor_b32_e32 v35, 0x440, v25
	v_mfma_f32_16x16x16_bf16 a[12:15], v[20:21], v[38:39], a[12:15]
	ds_read2st64_b64 v[36:39], v31 offset0:52 offset1:56
	ds_read2st64_b64 v[44:47], v32 offset0:52 offset1:56
	;; [unrolled: 1-line block ×3, first 2 shown]
	v_cmp_eq_u32_e32 vcc, 0, v0
	ds_read_b64 v[20:21], v26 offset:30720
	ds_read_b64 v[26:27], v31 offset:30720
	;; [unrolled: 1-line block ×4, first 2 shown]
	v_mfma_f32_16x16x16_bf16 a[0:3], v[52:53], v[40:41], a[0:3]
	v_cndmask_b32_e32 v0, v35, v25, vcc
	v_lshl_or_b32 v0, v18, 10, v0
	s_waitcnt vmcnt(0)
	v_perm_b32 v18, v2, v6, s0
	s_waitcnt lgkmcnt(6)
	v_mfma_f32_16x16x16_bf16 a[4:7], v[52:53], v[36:37], a[4:7]
	v_perm_b32 v25, v10, v14, s0
	ds_write2st64_b32 v0, v18, v25 offset0:128 offset1:160
	v_xor_b32_e32 v18, 8, v0
	s_waitcnt lgkmcnt(6)
	v_mfma_f32_16x16x16_bf16 a[8:11], v[52:53], v[44:45], a[8:11]
	v_perm_b32 v2, v2, v6, s1
	v_perm_b32 v6, v10, v14, s1
	v_add_u32_e32 v10, 0x80, v18
	s_waitcnt lgkmcnt(5)
	v_mfma_f32_16x16x16_bf16 a[12:15], v[52:53], v[48:49], a[12:15]
	ds_write2st64_b32 v10, v2, v6 offset0:128 offset1:160
	v_xor_b32_e32 v2, 16, v0
	v_perm_b32 v6, v3, v7, s0
	v_mfma_f32_16x16x16_bf16 a[0:3], v[28:29], v[42:43], a[0:3]
	v_perm_b32 v10, v11, v15, s0
	ds_write2st64_b32 v2, v6, v10 offset0:129 offset1:161
	v_xor_b32_e32 v2, 24, v0
	v_mfma_f32_16x16x16_bf16 a[4:7], v[28:29], v[38:39], a[4:7]
	v_perm_b32 v3, v3, v7, s1
	v_perm_b32 v6, v11, v15, s1
	v_add_u32_e32 v2, 0x80, v2
	v_mfma_f32_16x16x16_bf16 a[16:19], v[28:29], v[46:47], a[8:11]
	ds_write2st64_b32 v2, v3, v6 offset0:129 offset1:161
	v_xor_b32_e32 v2, 32, v0
	v_perm_b32 v3, v4, v8, s0
	v_mfma_f32_16x16x16_bf16 a[20:23], v[28:29], v[50:51], a[12:15]
	v_perm_b32 v6, v12, v16, s0
	ds_write2st64_b32 v2, v3, v6 offset0:130 offset1:162
	v_xor_b32_e32 v2, 40, v0
	s_waitcnt lgkmcnt(8)
	v_mfma_f32_16x16x16_bf16 a[12:15], v[54:55], v[20:21], a[0:3]
	v_perm_b32 v3, v4, v8, s1
	v_perm_b32 v4, v12, v16, s1
	v_add_u32_e32 v2, 0x80, v2
	s_waitcnt lgkmcnt(7)
	v_mfma_f32_16x16x16_bf16 a[8:11], v[54:55], v[26:27], a[4:7]
	ds_write2st64_b32 v2, v3, v4 offset0:130 offset1:162
	v_xor_b32_e32 v2, 48, v0
	v_perm_b32 v3, v5, v9, s0
	s_waitcnt lgkmcnt(7)
	v_mfma_f32_16x16x16_bf16 a[4:7], v[54:55], v[30:31], a[16:19]
	v_perm_b32 v4, v13, v17, s0
	v_xor_b32_e32 v0, 56, v0
	v_and_or_b32 v21, v34, 12, v1
	s_waitcnt lgkmcnt(6)
	v_mfma_f32_16x16x16_bf16 a[0:3], v[54:55], v[32:33], a[20:23]
	ds_write2st64_b32 v2, v3, v4 offset0:131 offset1:163
	v_perm_b32 v2, v5, v9, s1
	v_perm_b32 v3, v13, v17, s1
	v_add_u32_e32 v0, 0x80, v0
	v_cmp_gt_i32_e32 vcc, s47, v21
	v_mov_b32_e32 v16, 0
	v_mov_b32_e32 v18, 0
	ds_write2st64_b32 v0, v2, v3 offset0:131 offset1:163
	s_and_saveexec_b64 s[0:1], vcc
	s_cbranch_execz .LBB103_60
; %bb.59:
	v_add_u32_e32 v0, s38, v21
	v_ashrrev_i32_e32 v1, 31, v0
	v_mul_lo_u32 v2, v1, s34
	v_mul_lo_u32 v3, v0, s35
	v_mad_u64_u32 v[0:1], s[2:3], v0, s34, 0
	v_add3_u32 v1, v1, v3, v2
	v_lshl_add_u64 v[0:1], v[0:1], 2, s[10:11]
	global_load_dword v0, v[0:1], off
	s_waitcnt vmcnt(0)
	v_sub_f32_e32 v0, s12, v0
	v_mul_f32_e32 v0, 0x3fb8aa3b, v0
	v_exp_f32_e32 v18, v0
.LBB103_60:
	s_or_b64 exec, exec, s[0:1]
	v_or_b32_e32 v10, 1, v21
	v_cmp_gt_i32_e64 s[0:1], s47, v10
	s_and_saveexec_b64 s[2:3], s[0:1]
	s_cbranch_execz .LBB103_62
; %bb.61:
	v_add_u32_e32 v0, s38, v10
	v_ashrrev_i32_e32 v1, 31, v0
	v_mul_lo_u32 v2, v1, s34
	v_mul_lo_u32 v3, v0, s35
	v_mad_u64_u32 v[0:1], s[4:5], v0, s34, 0
	v_add3_u32 v1, v1, v3, v2
	v_lshl_add_u64 v[0:1], v[0:1], 2, s[10:11]
	global_load_dword v0, v[0:1], off
	s_waitcnt vmcnt(0)
	v_sub_f32_e32 v0, s12, v0
	v_mul_f32_e32 v0, 0x3fb8aa3b, v0
	v_exp_f32_e32 v16, v0
.LBB103_62:
	s_or_b64 exec, exec, s[2:3]
	v_or_b32_e32 v12, 2, v21
	v_cmp_gt_i32_e64 s[2:3], s47, v12
	v_mov_b32_e32 v17, 0
	v_mov_b32_e32 v20, 0
	s_and_saveexec_b64 s[4:5], s[2:3]
	s_cbranch_execz .LBB103_64
; %bb.63:
	v_add_u32_e32 v0, s38, v12
	v_ashrrev_i32_e32 v1, 31, v0
	v_mul_lo_u32 v2, v1, s34
	v_mul_lo_u32 v3, v0, s35
	v_mad_u64_u32 v[0:1], s[6:7], v0, s34, 0
	v_add3_u32 v1, v1, v3, v2
	v_lshl_add_u64 v[0:1], v[0:1], 2, s[10:11]
	global_load_dword v0, v[0:1], off
	s_waitcnt vmcnt(0)
	v_sub_f32_e32 v0, s12, v0
	v_mul_f32_e32 v0, 0x3fb8aa3b, v0
	v_exp_f32_e32 v20, v0
.LBB103_64:
	s_or_b64 exec, exec, s[4:5]
	v_or_b32_e32 v14, 3, v21
	v_cmp_gt_i32_e64 s[4:5], s47, v14
	s_and_saveexec_b64 s[6:7], s[4:5]
	s_cbranch_execz .LBB103_66
; %bb.65:
	v_add_u32_e32 v0, s38, v14
	v_ashrrev_i32_e32 v1, 31, v0
	v_mul_lo_u32 v2, v1, s34
	v_mul_lo_u32 v3, v0, s35
	v_mad_u64_u32 v[0:1], s[16:17], v0, s34, 0
	v_add3_u32 v1, v1, v3, v2
	v_lshl_add_u64 v[0:1], v[0:1], 2, s[10:11]
	global_load_dword v0, v[0:1], off
	s_waitcnt vmcnt(0)
	v_sub_f32_e32 v0, s12, v0
	v_mul_f32_e32 v0, 0x3fb8aa3b, v0
	v_exp_f32_e32 v17, v0
.LBB103_66:
	s_or_b64 exec, exec, s[6:7]
	s_add_u32 s6, s8, s28
	v_or_b32_e32 v4, s36, v74
	s_addc_u32 s7, s9, s29
	s_add_u32 s8, s14, s28
	v_ashrrev_i32_e32 v5, 31, v4
	v_accvgpr_read_b32 v0, a12
	s_addc_u32 s9, s15, s29
	v_lshlrev_b64 v[4:5], 1, v[4:5]
	v_accvgpr_read_b32 v1, a13
	v_accvgpr_read_b32 v2, a14
	;; [unrolled: 1-line block ×3, first 2 shown]
	v_lshl_add_u64 v[6:7], s[6:7], 0, v[4:5]
	v_lshl_add_u64 v[4:5], s[8:9], 0, v[4:5]
	v_mov_b32_e32 v11, 0
	v_lshlrev_b32_e32 v8, 8, v21
	v_mov_b32_e32 v9, 0
	s_and_saveexec_b64 s[6:7], vcc
	s_cbranch_execz .LBB103_68
; %bb.67:
	v_mov_b32_e32 v9, 0
	v_lshl_add_u64 v[26:27], v[6:7], 0, v[8:9]
	global_load_ushort v13, v[26:27], off
	v_lshl_add_u64 v[26:27], v[4:5], 0, v[8:9]
	s_waitcnt vmcnt(0)
	v_lshlrev_b32_e32 v9, 16, v13
	v_sub_f32_e32 v0, v9, v0
	global_store_short_d16_hi v[26:27], v0, off
	v_mul_f32_e32 v0, v18, v0
	v_lshrrev_b32_e32 v9, 16, v0
.LBB103_68:
	s_or_b64 exec, exec, s[6:7]
	v_lshlrev_b32_e32 v10, 8, v10
	s_and_saveexec_b64 s[6:7], s[0:1]
	s_cbranch_execz .LBB103_70
; %bb.69:
	v_mov_b32_e32 v11, 0
	v_lshl_add_u64 v[26:27], v[6:7], 0, v[10:11]
	global_load_ushort v0, v[26:27], off
	v_lshl_add_u64 v[26:27], v[4:5], 0, v[10:11]
	s_waitcnt vmcnt(0)
	v_lshlrev_b32_e32 v0, 16, v0
	v_sub_f32_e32 v0, v0, v1
	global_store_short_d16_hi v[26:27], v0, off
	v_mul_f32_e32 v0, v16, v0
	v_lshrrev_b32_e32 v11, 16, v0
.LBB103_70:
	s_or_b64 exec, exec, s[6:7]
	v_mov_b32_e32 v15, 0
	v_lshlrev_b32_e32 v12, 8, v12
	v_mov_b32_e32 v13, 0
	s_and_saveexec_b64 s[6:7], s[2:3]
	s_cbranch_execz .LBB103_72
; %bb.71:
	v_mov_b32_e32 v13, 0
	v_lshl_add_u64 v[0:1], v[6:7], 0, v[12:13]
	global_load_ushort v25, v[0:1], off
	v_lshl_add_u64 v[0:1], v[4:5], 0, v[12:13]
	s_waitcnt vmcnt(0)
	v_lshlrev_b32_e32 v13, 16, v25
	v_sub_f32_e32 v2, v13, v2
	global_store_short_d16_hi v[0:1], v2, off
	v_mul_f32_e32 v0, v20, v2
	v_lshrrev_b32_e32 v13, 16, v0
.LBB103_72:
	s_or_b64 exec, exec, s[6:7]
	v_lshlrev_b32_e32 v14, 8, v14
	s_and_saveexec_b64 s[6:7], s[4:5]
	s_cbranch_execz .LBB103_74
; %bb.73:
	v_mov_b32_e32 v15, 0
	v_lshl_add_u64 v[0:1], v[6:7], 0, v[14:15]
	global_load_ushort v2, v[0:1], off
	v_lshl_add_u64 v[0:1], v[4:5], 0, v[14:15]
	s_waitcnt vmcnt(0)
	v_lshlrev_b32_e32 v2, 16, v2
	v_sub_f32_e32 v2, v2, v3
	global_store_short_d16_hi v[0:1], v2, off
	v_mul_f32_e32 v0, v17, v2
	v_lshrrev_b32_e32 v15, 16, v0
.LBB103_74:
	s_or_b64 exec, exec, s[6:7]
	v_lshlrev_b32_e32 v21, 6, v21
	s_mov_b32 s6, 0x5040100
	v_perm_b32 v26, v11, v9, s6
	v_or_b32_e32 v9, v21, v24
	v_accvgpr_read_b32 v0, a8
	v_perm_b32 v27, v15, v13, s6
	v_lshlrev_b32_e32 v9, 1, v9
	v_accvgpr_read_b32 v1, a9
	v_accvgpr_read_b32 v2, a10
	v_accvgpr_read_b32 v3, a11
	ds_write_b64 v9, v[26:27] offset:24576
	v_mov_b32_e32 v11, 0
	v_mov_b32_e32 v9, 0
	s_and_saveexec_b64 s[6:7], vcc
	s_cbranch_execz .LBB103_76
; %bb.75:
	v_mov_b32_e32 v9, 0
	v_lshl_add_u64 v[24:25], v[6:7], 0, v[8:9]
	global_load_ushort v13, v[24:25], off offset:32
	v_lshl_add_u64 v[24:25], v[4:5], 0, v[8:9]
	s_waitcnt vmcnt(0)
	v_lshlrev_b32_e32 v9, 16, v13
	v_sub_f32_e32 v0, v9, v0
	global_store_short_d16_hi v[24:25], v0, off offset:32
	v_mul_f32_e32 v0, v18, v0
	v_lshrrev_b32_e32 v9, 16, v0
.LBB103_76:
	s_or_b64 exec, exec, s[6:7]
	s_and_saveexec_b64 s[6:7], s[0:1]
	s_cbranch_execz .LBB103_78
; %bb.77:
	v_mov_b32_e32 v11, 0
	v_lshl_add_u64 v[24:25], v[6:7], 0, v[10:11]
	global_load_ushort v0, v[24:25], off offset:32
	v_lshl_add_u64 v[24:25], v[4:5], 0, v[10:11]
	s_waitcnt vmcnt(0)
	v_lshlrev_b32_e32 v0, 16, v0
	v_sub_f32_e32 v0, v0, v1
	global_store_short_d16_hi v[24:25], v0, off offset:32
	v_mul_f32_e32 v0, v16, v0
	v_lshrrev_b32_e32 v11, 16, v0
.LBB103_78:
	s_or_b64 exec, exec, s[6:7]
	v_mov_b32_e32 v15, 0
	v_mov_b32_e32 v13, 0
	s_and_saveexec_b64 s[6:7], s[2:3]
	s_cbranch_execz .LBB103_80
; %bb.79:
	v_mov_b32_e32 v13, 0
	v_lshl_add_u64 v[0:1], v[6:7], 0, v[12:13]
	global_load_ushort v24, v[0:1], off offset:32
	v_lshl_add_u64 v[0:1], v[4:5], 0, v[12:13]
	s_waitcnt vmcnt(0)
	v_lshlrev_b32_e32 v13, 16, v24
	v_sub_f32_e32 v2, v13, v2
	global_store_short_d16_hi v[0:1], v2, off offset:32
	v_mul_f32_e32 v0, v20, v2
	v_lshrrev_b32_e32 v13, 16, v0
.LBB103_80:
	s_or_b64 exec, exec, s[6:7]
	s_and_saveexec_b64 s[6:7], s[4:5]
	s_cbranch_execz .LBB103_82
; %bb.81:
	v_mov_b32_e32 v15, 0
	v_lshl_add_u64 v[0:1], v[6:7], 0, v[14:15]
	global_load_ushort v2, v[0:1], off offset:32
	v_lshl_add_u64 v[0:1], v[4:5], 0, v[14:15]
	s_waitcnt vmcnt(0)
	v_lshlrev_b32_e32 v2, 16, v2
	v_sub_f32_e32 v2, v2, v3
	global_store_short_d16_hi v[0:1], v2, off offset:32
	v_mul_f32_e32 v0, v17, v2
	v_lshrrev_b32_e32 v15, 16, v0
.LBB103_82:
	s_or_b64 exec, exec, s[6:7]
	s_mov_b32 s6, 0x5040100
	v_perm_b32 v24, v11, v9, s6
	v_or_b32_e32 v9, v21, v23
	v_accvgpr_read_b32 v0, a4
	v_perm_b32 v25, v15, v13, s6
	v_lshlrev_b32_e32 v9, 1, v9
	v_accvgpr_read_b32 v1, a5
	v_accvgpr_read_b32 v2, a6
	;; [unrolled: 1-line block ×3, first 2 shown]
	ds_write_b64 v9, v[24:25] offset:24576
	v_mov_b32_e32 v11, 0
	v_mov_b32_e32 v9, 0
	s_and_saveexec_b64 s[6:7], vcc
	s_cbranch_execz .LBB103_84
; %bb.83:
	v_mov_b32_e32 v9, 0
	v_lshl_add_u64 v[24:25], v[6:7], 0, v[8:9]
	global_load_ushort v13, v[24:25], off offset:64
	v_lshl_add_u64 v[24:25], v[4:5], 0, v[8:9]
	s_waitcnt vmcnt(0)
	v_lshlrev_b32_e32 v9, 16, v13
	v_sub_f32_e32 v0, v9, v0
	global_store_short_d16_hi v[24:25], v0, off offset:64
	v_mul_f32_e32 v0, v18, v0
	v_lshrrev_b32_e32 v9, 16, v0
.LBB103_84:
	s_or_b64 exec, exec, s[6:7]
	s_and_saveexec_b64 s[6:7], s[0:1]
	s_cbranch_execz .LBB103_86
; %bb.85:
	v_mov_b32_e32 v11, 0
	v_lshl_add_u64 v[24:25], v[6:7], 0, v[10:11]
	global_load_ushort v0, v[24:25], off offset:64
	v_lshl_add_u64 v[24:25], v[4:5], 0, v[10:11]
	s_waitcnt vmcnt(0)
	v_lshlrev_b32_e32 v0, 16, v0
	v_sub_f32_e32 v0, v0, v1
	global_store_short_d16_hi v[24:25], v0, off offset:64
	v_mul_f32_e32 v0, v16, v0
	v_lshrrev_b32_e32 v11, 16, v0
.LBB103_86:
	s_or_b64 exec, exec, s[6:7]
	v_mov_b32_e32 v15, 0
	v_mov_b32_e32 v13, 0
	s_and_saveexec_b64 s[6:7], s[2:3]
	s_cbranch_execz .LBB103_88
; %bb.87:
	v_mov_b32_e32 v13, 0
	v_lshl_add_u64 v[0:1], v[6:7], 0, v[12:13]
	global_load_ushort v23, v[0:1], off offset:64
	v_lshl_add_u64 v[0:1], v[4:5], 0, v[12:13]
	s_waitcnt vmcnt(0)
	v_lshlrev_b32_e32 v13, 16, v23
	v_sub_f32_e32 v2, v13, v2
	global_store_short_d16_hi v[0:1], v2, off offset:64
	v_mul_f32_e32 v0, v20, v2
	v_lshrrev_b32_e32 v13, 16, v0
.LBB103_88:
	s_or_b64 exec, exec, s[6:7]
	s_and_saveexec_b64 s[6:7], s[4:5]
	s_cbranch_execz .LBB103_90
; %bb.89:
	v_mov_b32_e32 v15, 0
	v_lshl_add_u64 v[0:1], v[6:7], 0, v[14:15]
	global_load_ushort v2, v[0:1], off offset:64
	v_lshl_add_u64 v[0:1], v[4:5], 0, v[14:15]
	s_waitcnt vmcnt(0)
	v_lshlrev_b32_e32 v2, 16, v2
	v_sub_f32_e32 v2, v2, v3
	global_store_short_d16_hi v[0:1], v2, off offset:64
	v_mul_f32_e32 v0, v17, v2
	v_lshrrev_b32_e32 v15, 16, v0
.LBB103_90:
	s_or_b64 exec, exec, s[6:7]
	s_mov_b32 s6, 0x5040100
	v_perm_b32 v24, v11, v9, s6
	v_or_b32_e32 v9, v21, v22
	v_accvgpr_read_b32 v0, a0
	v_perm_b32 v25, v15, v13, s6
	v_lshlrev_b32_e32 v9, 1, v9
	v_accvgpr_read_b32 v1, a1
	v_accvgpr_read_b32 v2, a2
	;; [unrolled: 1-line block ×3, first 2 shown]
	ds_write_b64 v9, v[24:25] offset:24576
	v_mov_b32_e32 v11, 0
	v_mov_b32_e32 v9, 0
	s_and_saveexec_b64 s[6:7], vcc
	s_cbranch_execz .LBB103_92
; %bb.91:
	v_mov_b32_e32 v9, 0
	v_lshl_add_u64 v[22:23], v[6:7], 0, v[8:9]
	global_load_ushort v13, v[22:23], off offset:96
	v_lshl_add_u64 v[8:9], v[4:5], 0, v[8:9]
	s_waitcnt vmcnt(0)
	v_lshlrev_b32_e32 v13, 16, v13
	v_sub_f32_e32 v0, v13, v0
	global_store_short_d16_hi v[8:9], v0, off offset:96
	v_mul_f32_e32 v0, v18, v0
	v_lshrrev_b32_e32 v9, 16, v0
.LBB103_92:
	s_or_b64 exec, exec, s[6:7]
	s_and_saveexec_b64 s[6:7], s[0:1]
	s_cbranch_execz .LBB103_94
; %bb.93:
	v_mov_b32_e32 v11, 0
	v_lshl_add_u64 v[22:23], v[6:7], 0, v[10:11]
	global_load_ushort v0, v[22:23], off offset:96
	v_lshl_add_u64 v[10:11], v[4:5], 0, v[10:11]
	s_waitcnt vmcnt(0)
	v_lshlrev_b32_e32 v0, 16, v0
	v_sub_f32_e32 v0, v0, v1
	global_store_short_d16_hi v[10:11], v0, off offset:96
	v_mul_f32_e32 v0, v16, v0
	v_lshrrev_b32_e32 v11, 16, v0
.LBB103_94:
	s_or_b64 exec, exec, s[6:7]
	v_mov_b32_e32 v0, 0
	v_mov_b32_e32 v1, 0
	s_and_saveexec_b64 s[0:1], s[2:3]
	s_cbranch_execz .LBB103_96
; %bb.95:
	v_mov_b32_e32 v13, 0
	v_lshl_add_u64 v[22:23], v[6:7], 0, v[12:13]
	global_load_ushort v1, v[22:23], off offset:96
	v_lshl_add_u64 v[12:13], v[4:5], 0, v[12:13]
	s_waitcnt vmcnt(0)
	v_lshlrev_b32_e32 v1, 16, v1
	v_sub_f32_e32 v1, v1, v2
	global_store_short_d16_hi v[12:13], v1, off offset:96
	v_mul_f32_e32 v1, v20, v1
	v_lshrrev_b32_e32 v1, 16, v1
.LBB103_96:
	s_or_b64 exec, exec, s[0:1]
	s_and_saveexec_b64 s[0:1], s[4:5]
	s_cbranch_execz .LBB103_98
; %bb.97:
	v_mov_b32_e32 v15, 0
	v_lshl_add_u64 v[6:7], v[6:7], 0, v[14:15]
	global_load_ushort v0, v[6:7], off offset:96
	v_lshl_add_u64 v[4:5], v[4:5], 0, v[14:15]
	s_waitcnt vmcnt(0)
	v_lshlrev_b32_e32 v0, 16, v0
	v_sub_f32_e32 v0, v0, v3
	global_store_short_d16_hi v[4:5], v0, off offset:96
	v_mul_f32_e32 v0, v17, v0
	v_lshrrev_b32_e32 v0, 16, v0
.LBB103_98:
	s_or_b64 exec, exec, s[0:1]
	s_mov_b32 s0, 0x5040100
	v_or_b32_e32 v2, v21, v19
	v_perm_b32 v1, v0, v1, s0
	v_perm_b32 v0, v11, v9, s0
	v_lshlrev_b32_e32 v2, 1, v2
	ds_write_b64 v2, v[0:1] offset:24576
	s_waitcnt lgkmcnt(0)
	s_barrier
.LBB103_99:
	s_endpgm
	.section	.rodata,"a",@progbits
	.p2align	6, 0x0
	.amdhsa_kernel _ZN12_GLOBAL__N_139chunk_gated_delta_rule_fwd_h_hip_kernelILi64ELb0ELb0ELb1ELb1ELb0ELb0ELb1ELb1EEEvPK12hip_bfloat16S3_S3_PKfS5_PKvPS1_S8_PvPKiSB_iiiiilll
		.amdhsa_group_segment_fixed_size 65536
		.amdhsa_private_segment_fixed_size 0
		.amdhsa_kernarg_size 136
		.amdhsa_user_sgpr_count 2
		.amdhsa_user_sgpr_dispatch_ptr 0
		.amdhsa_user_sgpr_queue_ptr 0
		.amdhsa_user_sgpr_kernarg_segment_ptr 1
		.amdhsa_user_sgpr_dispatch_id 0
		.amdhsa_user_sgpr_kernarg_preload_length 0
		.amdhsa_user_sgpr_kernarg_preload_offset 0
		.amdhsa_user_sgpr_private_segment_size 0
		.amdhsa_uses_dynamic_stack 0
		.amdhsa_enable_private_segment 0
		.amdhsa_system_sgpr_workgroup_id_x 1
		.amdhsa_system_sgpr_workgroup_id_y 1
		.amdhsa_system_sgpr_workgroup_id_z 0
		.amdhsa_system_sgpr_workgroup_info 0
		.amdhsa_system_vgpr_workitem_id 0
		.amdhsa_next_free_vgpr 216
		.amdhsa_next_free_sgpr 62
		.amdhsa_accum_offset 180
		.amdhsa_reserve_vcc 1
		.amdhsa_float_round_mode_32 0
		.amdhsa_float_round_mode_16_64 0
		.amdhsa_float_denorm_mode_32 3
		.amdhsa_float_denorm_mode_16_64 3
		.amdhsa_dx10_clamp 1
		.amdhsa_ieee_mode 1
		.amdhsa_fp16_overflow 0
		.amdhsa_tg_split 0
		.amdhsa_exception_fp_ieee_invalid_op 0
		.amdhsa_exception_fp_denorm_src 0
		.amdhsa_exception_fp_ieee_div_zero 0
		.amdhsa_exception_fp_ieee_overflow 0
		.amdhsa_exception_fp_ieee_underflow 0
		.amdhsa_exception_fp_ieee_inexact 0
		.amdhsa_exception_int_div_zero 0
	.end_amdhsa_kernel
	.section	.text._ZN12_GLOBAL__N_139chunk_gated_delta_rule_fwd_h_hip_kernelILi64ELb0ELb0ELb1ELb1ELb0ELb0ELb1ELb1EEEvPK12hip_bfloat16S3_S3_PKfS5_PKvPS1_S8_PvPKiSB_iiiiilll,"axG",@progbits,_ZN12_GLOBAL__N_139chunk_gated_delta_rule_fwd_h_hip_kernelILi64ELb0ELb0ELb1ELb1ELb0ELb0ELb1ELb1EEEvPK12hip_bfloat16S3_S3_PKfS5_PKvPS1_S8_PvPKiSB_iiiiilll,comdat
.Lfunc_end103:
	.size	_ZN12_GLOBAL__N_139chunk_gated_delta_rule_fwd_h_hip_kernelILi64ELb0ELb0ELb1ELb1ELb0ELb0ELb1ELb1EEEvPK12hip_bfloat16S3_S3_PKfS5_PKvPS1_S8_PvPKiSB_iiiiilll, .Lfunc_end103-_ZN12_GLOBAL__N_139chunk_gated_delta_rule_fwd_h_hip_kernelILi64ELb0ELb0ELb1ELb1ELb0ELb0ELb1ELb1EEEvPK12hip_bfloat16S3_S3_PKfS5_PKvPS1_S8_PvPKiSB_iiiiilll
                                        ; -- End function
	.section	.AMDGPU.csdata,"",@progbits
; Kernel info:
; codeLenInByte = 11188
; NumSgprs: 68
; NumVgprs: 180
; NumAgprs: 36
; TotalNumVgprs: 216
; ScratchSize: 0
; MemoryBound: 0
; FloatMode: 240
; IeeeMode: 1
; LDSByteSize: 65536 bytes/workgroup (compile time only)
; SGPRBlocks: 8
; VGPRBlocks: 26
; NumSGPRsForWavesPerEU: 68
; NumVGPRsForWavesPerEU: 216
; AccumOffset: 180
; Occupancy: 1
; WaveLimiterHint : 1
; COMPUTE_PGM_RSRC2:SCRATCH_EN: 0
; COMPUTE_PGM_RSRC2:USER_SGPR: 2
; COMPUTE_PGM_RSRC2:TRAP_HANDLER: 0
; COMPUTE_PGM_RSRC2:TGID_X_EN: 1
; COMPUTE_PGM_RSRC2:TGID_Y_EN: 1
; COMPUTE_PGM_RSRC2:TGID_Z_EN: 0
; COMPUTE_PGM_RSRC2:TIDIG_COMP_CNT: 0
; COMPUTE_PGM_RSRC3_GFX90A:ACCUM_OFFSET: 44
; COMPUTE_PGM_RSRC3_GFX90A:TG_SPLIT: 0
	.section	.text._ZN12_GLOBAL__N_139chunk_gated_delta_rule_fwd_h_hip_kernelILi64ELb0ELb0ELb0ELb1ELb0ELb0ELb1ELb1EEEvPK12hip_bfloat16S3_S3_PKfS5_PKvPS1_S8_PvPKiSB_iiiiilll,"axG",@progbits,_ZN12_GLOBAL__N_139chunk_gated_delta_rule_fwd_h_hip_kernelILi64ELb0ELb0ELb0ELb1ELb0ELb0ELb1ELb1EEEvPK12hip_bfloat16S3_S3_PKfS5_PKvPS1_S8_PvPKiSB_iiiiilll,comdat
	.globl	_ZN12_GLOBAL__N_139chunk_gated_delta_rule_fwd_h_hip_kernelILi64ELb0ELb0ELb0ELb1ELb0ELb0ELb1ELb1EEEvPK12hip_bfloat16S3_S3_PKfS5_PKvPS1_S8_PvPKiSB_iiiiilll ; -- Begin function _ZN12_GLOBAL__N_139chunk_gated_delta_rule_fwd_h_hip_kernelILi64ELb0ELb0ELb0ELb1ELb0ELb0ELb1ELb1EEEvPK12hip_bfloat16S3_S3_PKfS5_PKvPS1_S8_PvPKiSB_iiiiilll
	.p2align	8
	.type	_ZN12_GLOBAL__N_139chunk_gated_delta_rule_fwd_h_hip_kernelILi64ELb0ELb0ELb0ELb1ELb0ELb0ELb1ELb1EEEvPK12hip_bfloat16S3_S3_PKfS5_PKvPS1_S8_PvPKiSB_iiiiilll,@function
_ZN12_GLOBAL__N_139chunk_gated_delta_rule_fwd_h_hip_kernelILi64ELb0ELb0ELb0ELb1ELb0ELb0ELb1ELb1EEEvPK12hip_bfloat16S3_S3_PKfS5_PKvPS1_S8_PvPKiSB_iiiiilll: ; @_ZN12_GLOBAL__N_139chunk_gated_delta_rule_fwd_h_hip_kernelILi64ELb0ELb0ELb0ELb1ELb0ELb0ELb1ELb1EEEvPK12hip_bfloat16S3_S3_PKfS5_PKvPS1_S8_PvPKiSB_iiiiilll
; %bb.0:
	s_load_dwordx4 s[12:15], s[0:1], 0x5c
	s_load_dwordx4 s[16:19], s[0:1], 0x70
	s_abs_i32 s21, s3
	s_ashr_i32 s20, s3, 31
	s_load_dwordx2 s[36:37], s[0:1], 0x30
	s_load_dwordx4 s[24:27], s[0:1], 0x48
	s_waitcnt lgkmcnt(0)
	s_abs_i32 s28, s13
	v_cvt_f32_u32_e32 v1, s28
	s_sub_i32 s22, 0, s28
	s_ashr_i32 s29, s13, 31
	s_xor_b32 s20, s20, s29
	v_rcp_iflag_f32_e32 v1, v1
	s_load_dwordx8 s[4:11], s[0:1], 0x0
	v_lshrrev_b32_e32 v74, 6, v0
	v_bfe_u32 v75, v0, 4, 2
	v_mul_f32_e32 v1, 0x4f7ffffe, v1
	v_cvt_u32_f32_e32 v1, v1
	v_lshlrev_b32_e32 v2, 2, v75
	v_and_b32_e32 v73, 63, v0
	v_mov_b32_e32 v35, 0
	v_readfirstlane_b32 s23, v1
	s_mul_i32 s22, s22, s23
	s_mul_hi_u32 s22, s23, s22
	s_add_i32 s23, s23, s22
	s_mul_hi_u32 s22, s21, s23
	s_mul_i32 s23, s22, s28
	s_sub_i32 s21, s21, s23
	s_add_i32 s30, s22, 1
	s_sub_i32 s23, s21, s28
	s_cmp_ge_u32 s21, s28
	s_cselect_b32 s22, s30, s22
	s_cselect_b32 s21, s23, s21
	s_add_i32 s23, s22, 1
	s_cmp_ge_u32 s21, s28
	s_cselect_b32 s21, s23, s22
	s_xor_b32 s21, s21, s20
	s_sub_i32 s20, s21, s20
	s_mul_i32 s21, s20, s13
	s_sub_i32 s33, s3, s21
	s_ashr_i32 s21, s20, 31
	s_lshl_b64 s[22:23], s[20:21], 2
	s_add_u32 s24, s24, s22
	s_addc_u32 s25, s25, s23
	s_add_u32 s22, s26, s22
	s_addc_u32 s23, s27, s23
	s_abs_i32 s3, s14
	v_cvt_f32_u32_e32 v1, s3
	s_load_dwordx2 s[34:35], s[24:25], 0x0
	s_sub_i32 s25, 0, s3
	s_load_dword s44, s[22:23], 0x0
	v_rcp_iflag_f32_e32 v1, v1
	v_and_b32_e32 v72, 15, v0
	s_waitcnt lgkmcnt(0)
	s_sub_i32 s45, s35, s34
	s_ashr_i32 s24, s45, 31
	v_mul_f32_e32 v1, 0x4f7ffffe, v1
	v_cvt_u32_f32_e32 v1, v1
	s_lshr_b32 s24, s24, 26
	s_add_i32 s24, s45, s24
	s_ashr_i32 s43, s24, 6
	v_readfirstlane_b32 s26, v1
	s_mul_i32 s25, s25, s26
	s_mul_hi_u32 s25, s26, s25
	s_add_i32 s26, s26, s25
	s_mul_hi_u32 s25, s28, s26
	s_mul_i32 s26, s25, s3
	s_ashr_i32 s24, s14, 31
	s_sub_i32 s26, s28, s26
	s_xor_b32 s24, s29, s24
	s_add_i32 s27, s25, 1
	s_sub_i32 s28, s26, s3
	s_cmp_ge_u32 s26, s3
	s_cselect_b32 s25, s27, s25
	s_cselect_b32 s26, s28, s26
	s_add_i32 s27, s25, 1
	s_cmp_ge_u32 s26, s3
	s_cselect_b32 s3, s27, s25
	s_xor_b32 s3, s3, s24
	s_sub_i32 s3, s3, s24
	s_abs_i32 s24, s3
	v_cvt_f32_u32_e32 v1, s24
	s_load_dwordx2 s[28:29], s[0:1], 0x80
	s_xor_b32 s0, s33, s3
	s_sub_i32 s3, 0, s24
	v_rcp_iflag_f32_e32 v1, v1
	s_abs_i32 s1, s33
	s_ashr_i32 s0, s0, 31
	s_mul_hi_i32 s46, s33, s12
	v_mul_f32_e32 v1, 0x4f7ffffe, v1
	v_cvt_u32_f32_e32 v1, v1
	s_mul_i32 s47, s33, s12
	v_lshrrev_b32_e32 v77, 3, v73
	v_lshlrev_b32_e32 v76, 3, v0
	v_readfirstlane_b32 s22, v1
	s_mul_i32 s3, s3, s22
	s_mul_hi_u32 s3, s22, s3
	s_add_i32 s22, s22, s3
	s_mul_hi_u32 s3, s1, s22
	s_mul_i32 s22, s3, s24
	s_sub_i32 s1, s1, s22
	s_add_i32 s22, s3, 1
	s_sub_i32 s23, s1, s24
	s_cmp_ge_u32 s1, s24
	s_cselect_b32 s3, s22, s3
	s_cselect_b32 s1, s23, s1
	s_add_i32 s22, s3, 1
	s_cmp_ge_u32 s1, s24
	s_cselect_b32 s1, s22, s3
	s_xor_b32 s1, s1, s0
	v_lshlrev_b32_e32 v1, 4, v74
	s_sub_i32 s48, s1, s0
	v_or_b32_e32 v78, v2, v1
	s_lshl_b32 s30, s2, 6
	v_or_b32_e32 v79, 64, v78
	s_cmp_lt_i32 s45, 64
	s_mul_i32 s40, s20, s17
	s_mul_hi_u32 s41, s20, s16
	s_mul_i32 s42, s21, s16
	s_mul_i32 s16, s20, s16
	v_mov_b32_e32 v34, v35
	v_mov_b32_e32 v41, v35
	;; [unrolled: 1-line block ×31, first 2 shown]
	s_cbranch_scc1 .LBB104_18
; %bb.1:
	s_ashr_i32 s51, s33, 31
	s_ashr_i32 s1, s34, 31
	s_add_u32 s0, s47, s34
	s_addc_u32 s1, s46, s1
	s_lshl_b64 s[0:1], s[0:1], 8
	v_and_b32_e32 v81, 56, v76
	s_add_u32 s0, s6, s0
	v_lshl_or_b32 v80, v74, 3, v77
	v_lshlrev_b32_e32 v3, 1, v81
	s_addc_u32 s1, s7, s1
	v_lshl_or_b32 v82, v80, 8, v3
	s_and_b32 s1, s1, 0xffff
	s_mov_b32 s3, 0x20000
	s_movk_i32 s2, 0x4000
	s_movk_i32 s17, 0x80
	v_or_b32_e32 v83, 0x2000, v82
	buffer_load_dwordx4 v[4:7], v82, s[0:3], 0 offen
	buffer_load_dwordx4 v[8:11], v82, s[0:3], s17 offen
	;; [unrolled: 1-line block ×4, first 2 shown]
	v_lshlrev_b32_e32 v20, 3, v80
	v_and_or_b32 v22, v0, 7, v20
	v_and_b32_e32 v20, 0x78, v20
	v_lshlrev_b32_e32 v22, 4, v22
	v_xor_b32_e32 v84, v22, v20
	v_mul_lo_u32 v21, v80, s15
	v_or_b32_e32 v85, 0x1000, v84
	s_cmpk_eq_i32 s15, 0x80
	s_mov_b32 s49, s13
	s_mov_b32 s50, s34
	v_xor_b32_e32 v20, 8, v84
	v_xor_b32_e32 v22, 8, v85
	s_cselect_b64 s[0:1], -1, 0
	s_cmpk_lg_i32 s15, 0x80
	s_waitcnt vmcnt(3)
	ds_write_b64 v84, v[4:5] offset:49152
	ds_write_b64 v20, v[6:7] offset:49152
	s_waitcnt vmcnt(2)
	ds_write_b64 v84, v[8:9] offset:57344
	ds_write_b64 v20, v[10:11] offset:57344
	;; [unrolled: 3-line block ×4, first 2 shown]
	v_lshl_add_u32 v4, v21, 1, v81
	s_cbranch_scc0 .LBB104_3
; %bb.2:
	v_lshlrev_b32_e32 v6, 1, v4
	v_add_lshl_u32 v5, v4, s15, 1
	s_lshl_b32 s22, s15, 7
	v_lshl_or_b32 v3, v80, 9, v3
	s_cbranch_execz .LBB104_4
	s_branch .LBB104_5
.LBB104_3:
                                        ; implicit-def: $vgpr5
                                        ; implicit-def: $vgpr6
                                        ; implicit-def: $sgpr22
	v_lshl_or_b32 v3, v80, 9, v3
.LBB104_4:
	v_or_b32_e32 v5, 0x100, v3
	s_movk_i32 s22, 0x4000
	v_mov_b32_e32 v6, v3
.LBB104_5:
	s_mul_i32 s2, s34, s14
	s_ashr_i32 s52, s48, 31
	s_mul_hi_i32 s3, s34, s14
	s_add_u32 s2, s2, s48
	s_addc_u32 s3, s3, s52
	s_lshl_b64 s[2:3], s[2:3], 8
	s_add_u32 s20, s4, s2
	s_addc_u32 s2, s5, s3
	s_and_b32 s21, s2, 0xffff
	s_mov_b32 s23, 0x20000
	s_movk_i32 s53, 0x80
	buffer_load_dwordx4 v[8:11], v6, s[20:23], 0 offen
	buffer_load_dwordx4 v[12:15], v6, s[20:23], s53 offen
	;; [unrolled: 1-line block ×4, first 2 shown]
	v_and_b32_e32 v5, 6, v0
	v_lshlrev_b32_e32 v6, 7, v78
	v_xor_b32_e32 v28, v80, v5
	v_and_b32_e32 v7, 1, v0
	v_lshl_or_b32 v31, v72, 3, v6
	v_lshlrev_b32_e32 v28, 2, v28
	v_lshlrev_b32_e32 v24, 2, v72
	v_or_b32_e32 v86, 0x4000, v31
	v_or_b32_e32 v87, 0x6000, v31
	v_xor_b32_e32 v31, 0x440, v28
	v_cmp_eq_u32_e32 vcc, 0, v7
	v_or_b32_e32 v26, 16, v72
	v_or_b32_e32 v27, 32, v72
	v_xor_b32_e32 v29, v78, v24
	v_xor_b32_e32 v30, v79, v24
	v_cndmask_b32_e32 v7, v31, v28, vcc
	s_add_i32 s2, s41, s40
	s_mov_b32 s54, 0x1000504
	v_lshl_or_b32 v32, v26, 3, v6
	v_lshlrev_b32_e32 v26, 8, v26
	v_lshl_or_b32 v33, v27, 3, v6
	v_lshlrev_b32_e32 v29, 1, v29
	v_lshlrev_b32_e32 v30, 1, v30
	v_lshl_or_b32 v5, v5, 10, v7
	s_add_i32 s17, s2, s42
	s_mul_i32 s2, s33, s19
	s_mul_hi_u32 s3, s33, s18
	s_mov_b32 s55, 0x3020706
	v_lshlrev_b32_e32 v25, 8, v72
	v_or_b32_e32 v90, 0x4000, v33
	v_or_b32_e32 v91, 0x6000, v33
	;; [unrolled: 1-line block ×4, first 2 shown]
	v_xor_b32_e32 v7, 8, v5
	v_xor_b32_e32 v26, 24, v5
	;; [unrolled: 1-line block ×4, first 2 shown]
	s_add_i32 s2, s3, s2
	s_mul_i32 s3, s51, s18
	v_or_b32_e32 v88, 0x4000, v32
	v_or_b32_e32 v89, 0x6000, v32
	;; [unrolled: 1-line block ×4, first 2 shown]
	v_xor_b32_e32 v25, 16, v5
	v_xor_b32_e32 v28, 32, v5
	;; [unrolled: 1-line block ×3, first 2 shown]
	v_add_u32_e32 v7, 0x80, v7
	v_add_u32_e32 v26, 0x80, v26
	;; [unrolled: 1-line block ×4, first 2 shown]
	s_add_i32 s3, s2, s3
	s_lshl_b64 s[20:21], s[16:17], 2
	s_mul_i32 s2, s33, s18
	s_add_u32 s17, s10, s20
	s_addc_u32 s20, s11, s21
	s_lshl_b64 s[2:3], s[2:3], 2
	s_add_u32 s2, s17, s2
	s_movk_i32 s17, 0xf8
	s_addc_u32 s3, s20, s3
	s_ashr_i32 s31, s30, 31
	s_lshl_b32 s26, s15, 7
	s_lshl_b64 s[20:21], s[30:31], 8
	s_add_u32 s20, s36, s20
	v_mov_b32_e32 v67, 0
	s_addc_u32 s21, s37, s21
	v_lshlrev_b32_e32 v66, 4, v72
	v_lshlrev_b32_e32 v27, 8, v27
	s_mov_b32 s56, 0
	s_movk_i32 s22, 0x4000
	v_or_b32_e32 v96, v27, v29
	v_or_b32_e32 v97, v27, v30
	v_add_u32_e32 v126, v1, v2
	s_movk_i32 s31, 0x2000
	s_movk_i32 s57, 0x3000
	v_mov_b32_e32 v131, 0x3fb8aa3b
	v_mov_b32_e32 v58, v67
	;; [unrolled: 1-line block ×4, first 2 shown]
	s_waitcnt vmcnt(1)
	v_perm_b32 v34, v8, v16, s54
	s_waitcnt vmcnt(0)
	v_perm_b32 v35, v12, v20, s54
	v_perm_b32 v8, v8, v16, s55
	;; [unrolled: 1-line block ×15, first 2 shown]
	ds_write2st64_b32 v5, v34, v35 offset0:128 offset1:160
	ds_write2st64_b32 v7, v8, v12 offset0:128 offset1:160
	;; [unrolled: 1-line block ×8, first 2 shown]
	v_or_b32_e32 v5, 48, v72
	v_lshl_or_b32 v7, v5, 3, v6
	v_lshlrev_b32_e32 v5, 8, v5
	v_or_b32_e32 v100, v5, v29
	v_or_b32_e32 v101, v5, v30
	;; [unrolled: 1-line block ×3, first 2 shown]
	v_lshlrev_b32_e32 v5, 3, v5
	v_lshrrev_b32_e32 v9, 5, v73
	v_and_or_b32 v9, v5, s17, v9
	v_lshlrev_b32_e32 v9, 4, v9
	v_or_b32_e32 v98, 0x4000, v7
	v_or_b32_e32 v99, 0x6000, v7
	v_lshlrev_b32_e32 v7, 11, v74
	v_and_b32_e32 v5, 0x78, v5
	v_or_b32_e32 v14, 32, v9
	v_and_b32_e32 v8, 0x1000, v7
	v_xor_b32_e32 v10, v9, v5
	v_lshrrev_b32_e32 v11, 1, v0
	v_xor_b32_e32 v14, v14, v5
	v_or_b32_e32 v10, v10, v8
	v_and_b32_e32 v12, 8, v11
	v_or_b32_e32 v14, v14, v8
	v_xor_b32_e32 v102, v10, v12
	v_lshlrev_b32_e32 v10, 8, v75
	v_xor_b32_e32 v104, v14, v12
	v_or_b32_e32 v14, 64, v9
	v_or_b32_e32 v9, 0x60, v9
	;; [unrolled: 1-line block ×3, first 2 shown]
	v_xor_b32_e32 v14, v14, v5
	v_xor_b32_e32 v5, v9, v5
	v_lshlrev_b32_e32 v13, 1, v13
	v_or_b32_e32 v14, v14, v8
	v_or_b32_e32 v5, v5, v8
	;; [unrolled: 1-line block ×6, first 2 shown]
	v_xor_b32_e32 v108, v14, v12
	v_xor_b32_e32 v109, v5, v12
	v_or_b32_e32 v110, 0x6000, v13
	v_or_b32_e32 v111, 0x6080, v13
	;; [unrolled: 1-line block ×4, first 2 shown]
	v_lshlrev_b32_e32 v12, 1, v4
	v_add_lshl_u32 v13, v4, s15, 1
	s_movk_i32 s17, 0x100
	v_lshlrev_b32_e32 v4, 1, v72
	v_lshrrev_b32_e32 v15, 4, v0
	v_or_b32_e32 v5, 1, v4
	v_mov_b32_e32 v19, 0xa000
	v_mov_b32_e32 v20, 0x8000
	v_cmp_gt_u32_e32 vcc, s17, v0
	v_xor_b32_e32 v16, v15, v4
	v_xor_b32_e32 v17, v5, v15
	v_lshl_add_u64 v[4:5], s[20:21], 0, v[66:67]
	v_lshlrev_b32_e32 v66, 8, v15
	v_cndmask_b32_e32 v19, v19, v20, vcc
	v_lshlrev_b32_e32 v20, 3, v74
	v_and_b32_e32 v11, 24, v11
	v_lshl_or_b32 v114, v16, 3, v66
	v_and_b32_e32 v16, 8, v0
	v_xor_b32_e32 v21, v20, v11
	v_or_b32_e32 v22, 0x440, v21
	v_cmp_eq_u32_e32 vcc, 0, v16
	v_and_b32_e32 v15, 7, v0
	v_lshl_or_b32 v115, v17, 3, v66
	v_cndmask_b32_e32 v16, v22, v21, vcc
	v_lshlrev_b32_e32 v17, 3, v15
	v_lshlrev_b32_e32 v15, 7, v15
	v_or_b32_e32 v16, v16, v7
	v_lshlrev_b32_e32 v18, 2, v0
	v_xad_u32 v116, v16, v17, v15
	v_or_b32_e32 v16, 32, v11
	v_and_or_b32 v10, v18, 60, v10
	v_xor_b32_e32 v16, v20, v16
	v_lshlrev_b32_e32 v10, 1, v10
	v_or_b32_e32 v18, 0x440, v16
	v_or_b32_e32 v117, 0x6000, v10
	v_cndmask_b32_e32 v16, v18, v16, vcc
	v_or_b32_e32 v119, 0x6080, v10
	v_or_b32_e32 v120, 0x6100, v10
	;; [unrolled: 1-line block ×5, first 2 shown]
	v_xor_b32_e32 v10, v20, v10
	v_xad_u32 v118, v16, v17, v15
	v_xor_b32_e32 v16, 0x440, v10
	v_cndmask_b32_e32 v10, v16, v10, vcc
	v_or_b32_e32 v10, v10, v7
	v_xad_u32 v122, v10, v17, v15
	v_or_b32_e32 v10, 0x60, v11
	v_xor_b32_e32 v10, v20, v10
	v_xor_b32_e32 v11, 0x440, v10
	v_cndmask_b32_e32 v10, v11, v10, vcc
	v_or_b32_e32 v8, s30, v72
	v_or_b32_e32 v7, v10, v7
	v_ashrrev_i32_e32 v9, 31, v8
	v_or_b32_e32 v14, 0x100, v3
	v_xad_u32 v123, v7, v17, v15
	v_cndmask_b32_e64 v124, v12, v3, s[0:1]
	v_cndmask_b32_e64 v125, v13, v14, s[0:1]
	v_lshl_add_u64 v[68:69], v[8:9], 1, s[8:9]
	v_lshl_add_u64 v[70:71], v[4:5], 0, v[66:67]
	s_mov_b32 s17, 0x7060302
	v_lshlrev_b32_e32 v66, 1, v6
	v_add_u32_e32 v127, v19, v116
	v_add_u32_e32 v128, v19, v118
	;; [unrolled: 1-line block ×4, first 2 shown]
	v_mov_b32_e32 v61, v67
	v_mov_b32_e32 v62, v67
	v_mov_b32_e32 v63, v67
	v_mov_b32_e32 v64, v67
	v_mov_b32_e32 v65, v67
	v_mov_b32_e32 v50, v67
	v_mov_b32_e32 v51, v67
	v_mov_b32_e32 v52, v67
	v_mov_b32_e32 v53, v67
	v_mov_b32_e32 v54, v67
	v_mov_b32_e32 v55, v67
	v_mov_b32_e32 v56, v67
	v_mov_b32_e32 v57, v67
	v_mov_b32_e32 v42, v67
	v_mov_b32_e32 v43, v67
	v_mov_b32_e32 v44, v67
	v_mov_b32_e32 v45, v67
	v_mov_b32_e32 v46, v67
	v_mov_b32_e32 v47, v67
	v_mov_b32_e32 v48, v67
	v_mov_b32_e32 v49, v67
	v_mov_b32_e32 v36, v67
	v_mov_b32_e32 v37, v67
	v_mov_b32_e32 v38, v67
	v_mov_b32_e32 v39, v67
	v_mov_b32_e32 v40, v67
	v_mov_b32_e32 v41, v67
	v_mov_b32_e32 v34, v67
	v_mov_b32_e32 v35, v67
	s_waitcnt lgkmcnt(0)
	s_barrier
.LBB104_6:                              ; =>This Inner Loop Header: Depth=1
	s_add_i32 s58, s56, 1
	s_cmp_lt_i32 s58, s43
	s_mov_b64 s[24:25], 0
	s_cselect_b64 s[38:39], -1, 0
	s_cmp_ge_i32 s58, s43
	s_mov_b64 s[20:21], 0
	s_cbranch_scc1 .LBB104_8
; %bb.7:                                ;   in Loop: Header=BB104_6 Depth=1
	s_add_i32 s0, s50, 64
	s_ashr_i32 s1, s0, 31
	s_add_u32 s0, s47, s0
	s_addc_u32 s1, s46, s1
	s_lshl_b64 s[0:1], s[0:1], 8
	s_add_u32 s20, s6, s0
	s_addc_u32 s21, s7, s1
.LBB104_8:                              ;   in Loop: Header=BB104_6 Depth=1
	v_cndmask_b32_e64 v2, 0, 1, s[38:39]
	v_cmp_ne_u32_e64 s[0:1], 1, v2
	s_andn2_b64 vcc, exec, s[38:39]
	s_cbranch_vccnz .LBB104_10
; %bb.9:                                ;   in Loop: Header=BB104_6 Depth=1
	s_add_i32 s24, s50, 64
	s_mul_hi_i32 s25, s24, s14
	s_mul_i32 s24, s24, s14
	s_add_u32 s24, s24, s48
	s_addc_u32 s25, s25, s52
	s_lshl_b64 s[24:25], s[24:25], 8
	s_add_u32 s24, s4, s24
	s_addc_u32 s25, s5, s25
.LBB104_10:                             ;   in Loop: Header=BB104_6 Depth=1
	v_perm_b32 v3, v65, v64, s17
	v_perm_b32 v2, v63, v62, s17
	v_perm_b32 v5, v61, v60, s17
	v_perm_b32 v4, v59, v58, s17
	ds_write_b64 v86, v[2:3]
	ds_write_b64 v87, v[4:5]
	ds_write_b64 v92, v[2:3]
	ds_write_b64 v93, v[4:5]
	v_perm_b32 v3, v57, v56, s17
	v_perm_b32 v2, v55, v54, s17
	v_perm_b32 v5, v53, v52, s17
	v_perm_b32 v4, v51, v50, s17
	ds_write_b64 v88, v[2:3]
	ds_write_b64 v89, v[4:5]
	ds_write_b64 v94, v[2:3]
	ds_write_b64 v95, v[4:5]
	;; [unrolled: 8-line block ×4, first 2 shown]
	s_waitcnt lgkmcnt(0)
	s_barrier
	ds_read_b64 v[6:7], v102 offset:49152
	ds_read2_b64 v[2:5], v103 offset1:16
	ds_read_b64 v[18:19], v105 offset:6144
	ds_read_b64 v[20:21], v103 offset:6144
	s_waitcnt lgkmcnt(2)
	v_mfma_f32_16x16x16_bf16 a[0:3], v[6:7], v[2:3], 0
	ds_read_b64 v[22:23], v104 offset:49152
	ds_read2st64_b64 v[10:13], v106 offset0:4 offset1:8
	ds_read2st64_b64 v[14:17], v107 offset0:4 offset1:8
	v_mfma_f32_16x16x16_bf16 a[4:7], v[6:7], v[4:5], 0
	ds_read2_b64 v[2:5], v103 offset0:32 offset1:48
	s_add_i32 s27, s50, 63
	s_ashr_i32 s38, s27, 31
	s_waitcnt lgkmcnt(0)
	v_mfma_f32_16x16x16_bf16 a[8:11], v[6:7], v[2:3], 0
	s_mul_i32 s39, s27, s29
	s_mul_hi_u32 s59, s27, s28
	s_add_i32 s39, s59, s39
	v_mfma_f32_16x16x16_bf16 a[12:15], v[6:7], v[4:5], 0
	ds_read2st64_b64 v[2:5], v103 offset0:4 offset1:8
	ds_read2st64_b64 v[6:9], v105 offset0:4 offset1:8
	s_mul_i32 s38, s38, s28
	s_waitcnt lgkmcnt(1)
	v_mfma_f32_16x16x16_bf16 a[0:3], v[22:23], v[2:3], a[0:3]
	s_add_i32 s39, s39, s38
	s_mul_i32 s38, s27, s28
	s_lshl_b64 s[38:39], s[38:39], 2
	s_waitcnt lgkmcnt(0)
	v_mfma_f32_16x16x16_bf16 a[4:7], v[22:23], v[6:7], a[4:7]
	s_add_u32 s38, s2, s38
	s_addc_u32 s39, s3, s39
	s_and_b64 vcc, exec, s[0:1]
	v_mfma_f32_16x16x16_bf16 a[8:11], v[22:23], v[10:11], a[8:11]
	ds_read_b64 v[2:3], v108 offset:49152
	ds_read_b64 v[6:7], v109 offset:49152
	;; [unrolled: 1-line block ×3, first 2 shown]
	v_mov_b32_e32 v134, 0
	v_mov_b32_e32 v133, 0
	v_mfma_f32_16x16x16_bf16 a[12:15], v[22:23], v[14:15], a[12:15]
	v_mov_b32_e32 v132, 0
	v_mov_b32_e32 v14, 0
	;; [unrolled: 1-line block ×3, first 2 shown]
	s_waitcnt lgkmcnt(2)
	v_mfma_f32_16x16x16_bf16 a[0:3], v[2:3], v[4:5], a[0:3]
	v_mov_b32_e32 v4, 0
	v_mov_b32_e32 v5, 0
	v_mfma_f32_16x16x16_bf16 a[16:19], v[2:3], v[8:9], a[4:7]
	v_mov_b32_e32 v8, 0
	v_mov_b32_e32 v9, 0
	;; [unrolled: 3-line block ×3, first 2 shown]
	v_mfma_f32_16x16x16_bf16 a[24:27], v[2:3], v[16:17], a[12:15]
	ds_read_b64 v[2:3], v106 offset:6144
	v_mov_b32_e32 v16, 0
	v_mov_b32_e32 v17, 0
	s_waitcnt lgkmcnt(2)
	v_mfma_f32_16x16x16_bf16 a[4:7], v[6:7], v[20:21], a[0:3]
	v_mfma_f32_16x16x16_bf16 a[8:11], v[6:7], v[18:19], a[16:19]
	s_waitcnt lgkmcnt(0)
	v_mfma_f32_16x16x16_bf16 a[12:15], v[6:7], v[2:3], a[20:23]
	v_mov_b32_e32 v2, 0
	v_mov_b32_e32 v3, 0
	v_mfma_f32_16x16x16_bf16 a[0:3], v[6:7], v[10:11], a[24:27]
	v_mov_b32_e32 v6, 0
	v_mov_b32_e32 v7, 0
	;; [unrolled: 1-line block ×4, first 2 shown]
	s_cbranch_vccnz .LBB104_12
; %bb.11:                               ;   in Loop: Header=BB104_6 Depth=1
	s_and_b32 s21, s21, 0xffff
	buffer_load_dwordx4 v[14:17], v82, s[20:23], 0 offen
	buffer_load_dwordx4 v[10:13], v82, s[20:23], s53 offen
	;; [unrolled: 1-line block ×4, first 2 shown]
	v_mov_b32_e32 v133, v84
	v_mov_b32_e32 v132, v85
.LBB104_12:                             ;   in Loop: Header=BB104_6 Depth=1
	ds_read_b64 v[136:137], v102 offset:57344
	ds_read2_b64 v[18:21], v110 offset1:16
	ds_read_b64 v[138:139], v104 offset:57344
	ds_read_b64 v[140:141], v108 offset:57344
	;; [unrolled: 1-line block ×3, first 2 shown]
	v_add_u32_e32 v135, s50, v126
	s_waitcnt lgkmcnt(3)
	v_mfma_f32_16x16x16_bf16 a[4:7], v[136:137], v[18:19], a[4:7]
	v_mfma_f32_16x16x16_bf16 a[8:11], v[136:137], v[20:21], a[8:11]
	ds_read2_b64 v[18:21], v110 offset0:32 offset1:48
	ds_read2st64_b64 v[22:25], v110 offset0:4 offset1:8
	ds_read2st64_b64 v[26:29], v111 offset0:4 offset1:8
	;; [unrolled: 1-line block ×3, first 2 shown]
	s_waitcnt lgkmcnt(3)
	v_mfma_f32_16x16x16_bf16 a[12:15], v[136:137], v[18:19], a[12:15]
	v_ashrrev_i32_e32 v18, 31, v135
	v_mfma_f32_16x16x16_bf16 a[0:3], v[136:137], v[20:21], a[0:3]
	v_mul_lo_u32 v20, v18, s28
	v_mul_lo_u32 v21, v135, s29
	v_mad_u64_u32 v[18:19], s[20:21], v135, s28, 0
	v_add3_u32 v19, v19, v21, v20
	v_add_u32_e32 v20, 1, v135
	v_ashrrev_i32_e32 v21, 31, v20
	s_waitcnt lgkmcnt(2)
	v_mfma_f32_16x16x16_bf16 a[4:7], v[138:139], v[22:23], a[4:7]
	v_mul_lo_u32 v22, v21, s28
	v_mul_lo_u32 v23, v20, s29
	v_mad_u64_u32 v[20:21], s[20:21], v20, s28, 0
	v_add3_u32 v21, v21, v23, v22
	v_add_u32_e32 v22, 2, v135
	v_ashrrev_i32_e32 v23, 31, v22
	s_waitcnt lgkmcnt(1)
	v_mfma_f32_16x16x16_bf16 a[8:11], v[138:139], v[26:27], a[8:11]
	v_mul_lo_u32 v26, v23, s28
	v_mul_lo_u32 v27, v22, s29
	v_mad_u64_u32 v[22:23], s[20:21], v22, s28, 0
	v_add3_u32 v23, v23, v27, v26
	v_add_u32_e32 v26, 3, v135
	v_ashrrev_i32_e32 v27, 31, v26
	v_mul_lo_u32 v135, v27, s28
	v_mul_lo_u32 v136, v26, s29
	v_mad_u64_u32 v[26:27], s[20:21], v26, s28, 0
	s_ashr_i32 s21, s50, 31
	s_add_u32 s20, s47, s50
	v_lshl_add_u64 v[18:19], v[18:19], 2, s[2:3]
	v_add3_u32 v27, v27, v136, v135
	s_addc_u32 s21, s46, s21
	v_lshl_add_u64 v[20:21], v[20:21], 2, s[2:3]
	global_load_dword v137, v[18:19], off
	v_lshl_add_u64 v[18:19], v[26:27], 2, s[2:3]
	s_lshl_b64 s[20:21], s[20:21], 8
	v_lshl_add_u64 v[22:23], v[22:23], 2, s[2:3]
	global_load_dword v135, v[20:21], off
	global_load_dword v136, v[22:23], off
	global_load_dword v144, v[18:19], off
	v_lshl_add_u64 v[18:19], v[68:69], 0, s[20:21]
	v_lshl_add_u64 v[22:23], v[18:19], 0, v[66:67]
	global_load_ushort v145, v[22:23], off offset:256
	global_load_ushort v146, v[22:23], off
	ds_read2st64_b64 v[18:21], v113 offset0:4 offset1:8
	global_load_ushort v147, v[22:23], off offset:768
	global_load_ushort v148, v[22:23], off offset:512
	s_waitcnt lgkmcnt(1)
	v_mfma_f32_16x16x16_bf16 a[12:15], v[138:139], v[30:31], a[12:15]
	s_and_b64 vcc, exec, s[0:1]
	s_waitcnt vmcnt(3)
	v_lshlrev_b32_e32 v31, 16, v145
	s_waitcnt lgkmcnt(0)
	v_mfma_f32_16x16x16_bf16 a[0:3], v[138:139], v[18:19], a[0:3]
	global_load_ushort v138, v[22:23], off offset:288
	global_load_ushort v139, v[22:23], off offset:32
	;; [unrolled: 1-line block ×8, first 2 shown]
	v_mfma_f32_16x16x16_bf16 a[4:7], v[140:141], v[24:25], a[4:7]
	ds_read_b64 v[18:19], v110 offset:6144
	s_waitcnt vmcnt(10)
	v_lshlrev_b32_e32 v30, 16, v146
	v_mfma_f32_16x16x16_bf16 a[8:11], v[140:141], v[28:29], a[8:11]
	v_mfma_f32_16x16x16_bf16 a[12:15], v[140:141], v[32:33], a[12:15]
	;; [unrolled: 1-line block ×3, first 2 shown]
	global_load_ushort v140, v[22:23], off offset:352
	global_load_ushort v141, v[22:23], off offset:96
	ds_read_b64 v[20:21], v111 offset:6144
	ds_read_b64 v[24:25], v112 offset:6144
	;; [unrolled: 1-line block ×3, first 2 shown]
	global_load_ushort v155, v[22:23], off offset:864
	global_load_ushort v156, v[22:23], off offset:608
	s_load_dword s20, s[38:39], 0x0
	s_waitcnt lgkmcnt(0)
	v_mfma_f32_16x16x16_bf16 a[4:7], v[142:143], v[18:19], a[4:7]
	v_sub_f32_e32 v28, s20, v136
	v_mfma_f32_16x16x16_bf16 a[0:3], v[142:143], v[26:27], a[0:3]
	v_sub_f32_e32 v26, s20, v137
	v_sub_f32_e32 v27, s20, v135
	;; [unrolled: 1-line block ×3, first 2 shown]
	v_mul_f32_e32 v26, 0x3fb8aa3b, v26
	v_mul_f32_e32 v27, 0x3fb8aa3b, v27
	v_mul_f32_e32 v28, 0x3fb8aa3b, v28
	v_mul_f32_e32 v29, 0x3fb8aa3b, v29
	v_mfma_f32_16x16x16_bf16 a[8:11], v[142:143], v[20:21], a[8:11]
	v_exp_f32_e32 v26, v26
	v_exp_f32_e32 v27, v27
	;; [unrolled: 1-line block ×4, first 2 shown]
	v_accvgpr_read_b32 v33, a5
	v_accvgpr_read_b32 v32, a4
	v_accvgpr_read_b32 v19, a7
	v_accvgpr_read_b32 v18, a6
	v_pk_add_f32 v[30:31], v[30:31], v[32:33] neg_lo:[0,1] neg_hi:[0,1]
	s_waitcnt vmcnt(13)
	v_lshlrev_b32_e32 v33, 16, v147
	s_waitcnt vmcnt(12)
	v_lshlrev_b32_e32 v32, 16, v148
	v_pk_add_f32 v[18:19], v[32:33], v[18:19] neg_lo:[0,1] neg_hi:[0,1]
	v_pk_mul_f32 v[30:31], v[26:27], v[30:31]
	v_pk_mul_f32 v[18:19], v[28:29], v[18:19]
	v_accvgpr_read_b32 v33, a9
	v_perm_b32 v19, v19, v18, s17
	v_perm_b32 v18, v31, v30, s17
	v_accvgpr_read_b32 v32, a8
	v_accvgpr_read_b32 v21, a11
	v_mfma_f32_16x16x16_bf16 a[12:15], v[142:143], v[24:25], a[12:15]
	v_accvgpr_read_b32 v20, a10
	v_accvgpr_read_b32 v25, a3
	;; [unrolled: 1-line block ×3, first 2 shown]
	v_mov_b32_e32 v135, 0
	s_waitcnt vmcnt(11)
	v_lshlrev_b32_e32 v31, 16, v138
	s_waitcnt vmcnt(10)
	v_lshlrev_b32_e32 v30, 16, v139
	v_pk_add_f32 v[30:31], v[30:31], v[32:33] neg_lo:[0,1] neg_hi:[0,1]
	s_waitcnt vmcnt(9)
	v_lshlrev_b32_e32 v33, 16, v149
	s_waitcnt vmcnt(8)
	v_lshlrev_b32_e32 v32, 16, v150
	v_pk_add_f32 v[20:21], v[32:33], v[20:21] neg_lo:[0,1] neg_hi:[0,1]
	v_pk_mul_f32 v[30:31], v[26:27], v[30:31]
	v_pk_mul_f32 v[20:21], v[28:29], v[20:21]
	v_accvgpr_read_b32 v23, a15
	v_perm_b32 v21, v21, v20, s17
	v_perm_b32 v20, v31, v30, s17
	ds_write2_b64 v87, v[18:19], v[20:21] offset1:16
	v_accvgpr_read_b32 v21, a13
	s_waitcnt vmcnt(7)
	v_lshlrev_b32_e32 v19, 16, v151
	s_waitcnt vmcnt(6)
	v_lshlrev_b32_e32 v18, 16, v152
	v_accvgpr_read_b32 v20, a12
	v_accvgpr_read_b32 v22, a14
	v_pk_add_f32 v[18:19], v[18:19], v[20:21] neg_lo:[0,1] neg_hi:[0,1]
	s_waitcnt vmcnt(5)
	v_lshlrev_b32_e32 v21, 16, v153
	s_waitcnt vmcnt(4)
	v_lshlrev_b32_e32 v20, 16, v154
	v_pk_add_f32 v[20:21], v[20:21], v[22:23] neg_lo:[0,1] neg_hi:[0,1]
	v_pk_mul_f32 v[18:19], v[26:27], v[18:19]
	v_pk_mul_f32 v[20:21], v[28:29], v[20:21]
	v_accvgpr_read_b32 v23, a1
	v_perm_b32 v21, v21, v20, s17
	v_perm_b32 v20, v19, v18, s17
	s_waitcnt vmcnt(3)
	v_lshlrev_b32_e32 v19, 16, v140
	s_waitcnt vmcnt(2)
	v_lshlrev_b32_e32 v18, 16, v141
	v_accvgpr_read_b32 v22, a0
	v_pk_add_f32 v[18:19], v[18:19], v[22:23] neg_lo:[0,1] neg_hi:[0,1]
	s_waitcnt vmcnt(1)
	v_lshlrev_b32_e32 v23, 16, v155
	s_waitcnt vmcnt(0)
	v_lshlrev_b32_e32 v22, 16, v156
	v_pk_add_f32 v[22:23], v[22:23], v[24:25] neg_lo:[0,1] neg_hi:[0,1]
	v_pk_mul_f32 v[18:19], v[26:27], v[18:19]
	v_pk_mul_f32 v[22:23], v[28:29], v[22:23]
	v_mov_b32_e32 v24, 0
	v_perm_b32 v23, v23, v22, s17
	v_perm_b32 v22, v19, v18, s17
	ds_write2_b64 v87, v[20:21], v[22:23] offset0:32 offset1:48
	v_mov_b32_e32 v18, 0
	v_mov_b32_e32 v19, 0
	;; [unrolled: 1-line block ×15, first 2 shown]
	s_cbranch_vccnz .LBB104_14
; %bb.13:                               ;   in Loop: Header=BB104_6 Depth=1
	s_and_b32 s25, s25, 0xffff
	s_mov_b32 s27, s23
	buffer_load_dwordx4 v[30:33], v124, s[24:27], 0 offen
	buffer_load_dwordx4 v[22:25], v124, s[24:27], s53 offen
	;; [unrolled: 1-line block ×4, first 2 shown]
	v_mov_b32_e32 v134, v81
	v_mov_b32_e32 v135, v80
.LBB104_14:                             ;   in Loop: Header=BB104_6 Depth=1
	s_waitcnt lgkmcnt(0)
	s_barrier
	ds_read_b64 v[144:145], v127
	ds_read2_b64 v[136:139], v117 offset1:16
	ds_read_b64 v[160:161], v128
	ds_read_b64 v[162:163], v129
	;; [unrolled: 1-line block ×3, first 2 shown]
	ds_read2_b64 v[140:143], v117 offset0:32 offset1:48
	s_waitcnt lgkmcnt(4)
	v_mfma_f32_16x16x16_bf16 a[0:3], v[144:145], v[136:137], 0
	ds_read2st64_b64 v[148:151], v119 offset0:4 offset1:8
	ds_read2st64_b64 v[152:155], v120 offset0:4 offset1:8
	;; [unrolled: 1-line block ×3, first 2 shown]
	v_mfma_f32_16x16x16_bf16 a[4:7], v[144:145], v[138:139], 0
	s_add_i32 s21, s44, s56
	s_mul_hi_i32 s25, s21, s49
	s_mul_i32 s21, s21, s49
	s_waitcnt lgkmcnt(3)
	v_mfma_f32_16x16x16_bf16 a[8:11], v[144:145], v[140:141], 0
	s_add_u32 s24, s21, s33
	s_addc_u32 s25, s25, s51
	s_lshl_b64 s[24:25], s[24:25], 15
	v_mfma_f32_16x16x16_bf16 a[12:15], v[144:145], v[142:143], 0
	ds_read2st64_b64 v[144:147], v117 offset0:4 offset1:8
	s_waitcnt lgkmcnt(0)
	v_mfma_f32_16x16x16_bf16 a[0:3], v[160:161], v[144:145], a[0:3]
	v_mfma_f32_16x16x16_bf16 a[4:7], v[160:161], v[148:149], a[4:7]
	;; [unrolled: 1-line block ×8, first 2 shown]
	ds_read_b64 v[160:161], v117 offset:6144
	ds_read_b64 v[162:163], v118 offset:40960
	;; [unrolled: 1-line block ×8, first 2 shown]
	s_waitcnt lgkmcnt(5)
	v_mfma_f32_16x16x16_bf16 a[16:19], v[166:167], v[136:137], 0
	v_mfma_f32_16x16x16_bf16 a[20:23], v[166:167], v[138:139], 0
	ds_read2st64_b64 v[136:139], v114 offset1:8
	v_mfma_f32_16x16x16_bf16 a[24:27], v[166:167], v[140:141], 0
	v_mfma_f32_16x16x16_bf16 a[28:31], v[166:167], v[142:143], 0
	ds_read2st64_b64 v[140:143], v115 offset1:8
	v_mfma_f32_16x16x16_bf16 a[16:19], v[162:163], v[144:145], a[16:19]
	s_waitcnt lgkmcnt(1)
	v_mov_b32_e32 v144, v136
	v_mov_b32_e32 v145, v137
	v_mfma_f32_16x16x16_bf16 a[20:23], v[162:163], v[148:149], a[20:23]
	v_lshl_add_u64 v[148:149], v[70:71], 0, s[24:25]
	v_mfma_f32_16x16x16_bf16 a[24:27], v[162:163], v[152:153], a[24:27]
	v_mfma_f32_16x16x16_bf16 a[28:31], v[162:163], v[156:157], a[28:31]
	;; [unrolled: 1-line block ×3, first 2 shown]
	s_waitcnt lgkmcnt(0)
	v_mov_b32_e32 v146, v140
	v_mov_b32_e32 v147, v141
	;; [unrolled: 1-line block ×3, first 2 shown]
	v_mfma_f32_16x16x16_bf16 a[32:35], v[174:175], v[150:151], a[20:23]
	v_mov_b32_e32 v141, v139
	ds_read2st64_b64 v[136:139], v114 offset0:16 offset1:24
	global_store_dwordx4 v[148:149], v[144:147], off
	v_mfma_f32_16x16x16_bf16 a[24:27], v[174:175], v[154:155], a[24:27]
	ds_read2st64_b64 v[144:147], v115 offset0:16 offset1:24
	v_add_co_u32_e32 v150, vcc, s31, v148
	v_mfma_f32_16x16x16_bf16 a[28:31], v[174:175], v[158:159], a[28:31]
	s_nop 0
	v_addc_co_u32_e32 v151, vcc, 0, v149, vcc
	global_store_dwordx4 v[150:151], v[140:143], off offset:-4096
	v_mfma_f32_16x16x16_bf16 a[0:3], v[164:165], v[160:161], a[0:3]
	s_waitcnt lgkmcnt(1)
	v_mov_b32_e32 v140, v136
	v_add_co_u32_e32 v136, vcc, s57, v148
	v_mfma_f32_16x16x16_bf16 a[4:7], v[164:165], v[168:169], a[4:7]
	v_mov_b32_e32 v141, v137
	v_addc_co_u32_e32 v137, vcc, 0, v149, vcc
	v_mfma_f32_16x16x16_bf16 a[8:11], v[164:165], v[170:171], a[8:11]
	s_waitcnt lgkmcnt(0)
	v_mov_b32_e32 v142, v144
	v_mov_b32_e32 v143, v145
	;; [unrolled: 1-line block ×3, first 2 shown]
	v_mfma_f32_16x16x16_bf16 a[12:15], v[164:165], v[172:173], a[12:15]
	v_mov_b32_e32 v145, v139
	s_and_b64 vcc, exec, s[0:1]
	global_store_dwordx4 v[150:151], v[140:143], off
	v_mfma_f32_16x16x16_bf16 a[20:23], v[176:177], v[160:161], a[16:19]
	global_store_dwordx4 v[136:137], v[144:147], off
	v_mfma_f32_16x16x16_bf16 a[16:19], v[176:177], v[168:169], a[32:35]
	v_mfma_f32_16x16x16_bf16 a[24:27], v[176:177], v[170:171], a[24:27]
	;; [unrolled: 1-line block ×3, first 2 shown]
	s_cbranch_vccnz .LBB104_16
; %bb.15:                               ;   in Loop: Header=BB104_6 Depth=1
	v_lshrrev_b32_e32 v136, 3, v134
	v_and_b32_e32 v136, 6, v136
	v_xor_b32_e32 v135, v136, v135
	v_lshlrev_b32_e32 v135, 2, v135
	v_and_b32_e32 v134, 8, v134
	v_xor_b32_e32 v137, 0x440, v135
	v_cmp_eq_u32_e32 vcc, 0, v134
	s_barrier
	s_nop 0
	v_cndmask_b32_e32 v134, v137, v135, vcc
	v_lshl_or_b32 v134, v136, 10, v134
	s_waitcnt vmcnt(5)
	v_perm_b32 v135, v30, v26, s54
	s_waitcnt vmcnt(4)
	v_perm_b32 v136, v22, v18, s54
	ds_write2st64_b32 v134, v135, v136 offset0:128 offset1:160
	v_xor_b32_e32 v135, 8, v134
	v_perm_b32 v26, v30, v26, s55
	v_perm_b32 v18, v22, v18, s55
	v_add_u32_e32 v22, 0x80, v135
	ds_write2st64_b32 v22, v26, v18 offset0:128 offset1:160
	v_xor_b32_e32 v18, 16, v134
	v_perm_b32 v22, v31, v27, s54
	v_perm_b32 v26, v23, v19, s54
	ds_write2st64_b32 v18, v22, v26 offset0:129 offset1:161
	v_xor_b32_e32 v18, 24, v134
	v_perm_b32 v22, v31, v27, s55
	v_perm_b32 v19, v23, v19, s55
	v_add_u32_e32 v18, 0x80, v18
	ds_write2st64_b32 v18, v22, v19 offset0:129 offset1:161
	v_xor_b32_e32 v18, 32, v134
	v_perm_b32 v19, v32, v28, s54
	v_perm_b32 v22, v24, v20, s54
	ds_write2st64_b32 v18, v19, v22 offset0:130 offset1:162
	v_xor_b32_e32 v18, 40, v134
	v_perm_b32 v19, v32, v28, s55
	v_perm_b32 v20, v24, v20, s55
	v_add_u32_e32 v18, 0x80, v18
	ds_write2st64_b32 v18, v19, v20 offset0:130 offset1:162
	v_xor_b32_e32 v18, 48, v134
	v_perm_b32 v19, v33, v29, s54
	v_perm_b32 v20, v25, v21, s54
	ds_write2st64_b32 v18, v19, v20 offset0:131 offset1:163
	v_xor_b32_e32 v18, 56, v134
	v_perm_b32 v19, v33, v29, s55
	v_perm_b32 v20, v25, v21, s55
	v_add_u32_e32 v18, 0x80, v18
	ds_write2st64_b32 v18, v19, v20 offset0:131 offset1:163
	ds_write_b64 v133, v[14:15] offset:49152
	v_xor_b32_e32 v14, 8, v133
	ds_write_b64 v14, v[16:17] offset:49152
	ds_write_b64 v133, v[10:11] offset:57344
	;; [unrolled: 1-line block ×4, first 2 shown]
	v_xor_b32_e32 v6, 8, v132
	ds_write_b64 v6, v[8:9] offset:49152
	ds_write_b64 v132, v[2:3] offset:57344
	;; [unrolled: 1-line block ×3, first 2 shown]
.LBB104_16:                             ;   in Loop: Header=BB104_6 Depth=1
	s_waitcnt vmcnt(6)
	v_mul_f32_e32 v22, s20, v131
	v_exp_f32_e32 v132, v22
	v_accvgpr_read_b32 v5, a3
	v_accvgpr_read_b32 v9, a7
	;; [unrolled: 1-line block ×4, first 2 shown]
	s_waitcnt vmcnt(4)
	v_accvgpr_read_b32 v18, a20
	v_accvgpr_read_b32 v25, a19
	;; [unrolled: 1-line block ×28, first 2 shown]
	s_add_i32 s50, s50, 64
	v_pk_fma_f32 v[62:63], v[132:133], v[62:63], v[2:3] op_sel_hi:[0,1,1]
	v_pk_fma_f32 v[64:65], v[132:133], v[64:65], v[4:5] op_sel_hi:[0,1,1]
	;; [unrolled: 1-line block ×15, first 2 shown]
	s_cmp_eq_u32 s43, s58
	v_pk_fma_f32 v[38:39], v[132:133], v[38:39], v[32:33] op_sel_hi:[0,1,1]
	s_cbranch_scc1 .LBB104_18
; %bb.17:                               ;   in Loop: Header=BB104_6 Depth=1
	s_mov_b32 s56, s58
	s_branch .LBB104_6
.LBB104_18:
	s_lshl_b32 s0, s43, 6
	s_sub_i32 s45, s45, s0
	s_cmp_gt_i32 s45, 0
	s_cbranch_scc0 .LBB104_99
; %bb.19:
	s_add_i32 s34, s0, s34
	s_ashr_i32 s2, s34, 31
	s_cmpk_lg_i32 s15, 0x80
	s_cselect_b64 s[26:27], -1, 0
	s_and_b64 vcc, exec, s[26:27]
	s_cbranch_vccz .LBB104_21
; %bb.20:
	s_mul_i32 s1, s34, s14
	s_ashr_i32 s3, s48, 31
	s_mul_hi_i32 s0, s34, s14
	s_add_u32 s38, s1, s48
	s_addc_u32 s39, s0, s3
	s_cbranch_execz .LBB104_22
	s_branch .LBB104_23
.LBB104_21:
                                        ; implicit-def: $sgpr38_sgpr39
.LBB104_22:
	s_mul_i32 s1, s48, s12
	s_mul_hi_i32 s0, s48, s12
	s_add_u32 s38, s1, s34
	s_addc_u32 s39, s0, s2
.LBB104_23:
	s_add_i32 s3, s43, s44
	s_ashr_i32 s12, s33, 31
	s_add_u32 s0, s47, s34
	v_lshlrev_b32_e32 v6, 6, v78
	v_lshlrev_b32_e32 v24, 2, v72
	s_addc_u32 s1, s46, s2
	s_mov_b32 s2, 0x7060302
	v_or_b32_e32 v9, v6, v24
	v_xor_b32_e32 v7, v78, v24
	v_perm_b32 v3, v65, v64, s2
	v_perm_b32 v2, v63, v62, s2
	;; [unrolled: 1-line block ×4, first 2 shown]
	v_lshlrev_b32_e32 v9, 1, v9
	v_xor_b32_e32 v8, v79, v24
	ds_write2st64_b64 v9, v[2:3], v[4:5] offset0:32 offset1:48
	v_lshlrev_b32_e32 v7, 1, v7
	v_lshlrev_b32_e32 v9, 8, v72
	v_or_b32_e32 v10, v7, v9
	v_lshlrev_b32_e32 v8, 1, v8
	ds_write_b64 v10, v[2:3]
	v_or_b32_e32 v2, v8, v9
	v_or_b32_e32 v9, 16, v72
	v_lshlrev_b32_e32 v23, 2, v9
	v_or_b32_e32 v10, v6, v23
	ds_write_b64 v2, v[4:5]
	v_perm_b32 v3, v57, v56, s2
	v_perm_b32 v2, v55, v54, s2
	;; [unrolled: 1-line block ×4, first 2 shown]
	v_lshlrev_b32_e32 v10, 1, v10
	v_lshlrev_b32_e32 v9, 8, v9
	ds_write2st64_b64 v10, v[2:3], v[4:5] offset0:32 offset1:48
	v_or_b32_e32 v10, v7, v9
	ds_write_b64 v10, v[2:3]
	v_or_b32_e32 v2, v8, v9
	v_or_b32_e32 v9, 32, v72
	v_lshlrev_b32_e32 v22, 2, v9
	v_or_b32_e32 v10, v6, v22
	s_lshl_b64 s[24:25], s[0:1], 8
	ds_write_b64 v2, v[4:5]
	v_perm_b32 v3, v49, v48, s2
	v_perm_b32 v2, v47, v46, s2
	;; [unrolled: 1-line block ×4, first 2 shown]
	v_lshlrev_b32_e32 v10, 1, v10
	v_lshlrev_b32_e32 v9, 8, v9
	s_add_u32 s0, s6, s24
	ds_write2st64_b64 v10, v[2:3], v[4:5] offset0:32 offset1:48
	v_or_b32_e32 v10, v7, v9
	s_addc_u32 s1, s7, s25
	ds_write_b64 v10, v[2:3]
	v_or_b32_e32 v2, v8, v9
	v_or_b32_e32 v9, 48, v72
	s_mul_hi_i32 s6, s3, s13
	s_mul_i32 s3, s3, s13
	ds_write_b64 v2, v[4:5]
	v_perm_b32 v3, v35, v34, s2
	v_perm_b32 v2, v41, v40, s2
	;; [unrolled: 1-line block ×4, first 2 shown]
	v_lshlrev_b32_e32 v19, 2, v9
	s_add_u32 s2, s3, s33
	v_or_b32_e32 v6, v6, v19
	s_addc_u32 s3, s6, s12
	v_lshlrev_b32_e32 v6, 1, v6
	s_ashr_i32 s31, s30, 31
	s_lshl_b64 s[2:3], s[2:3], 15
	ds_write2st64_b64 v6, v[2:3], v[4:5] offset0:32 offset1:48
	v_lshlrev_b32_e32 v6, 8, v9
	s_add_u32 s6, s36, s2
	v_or_b32_e32 v7, v7, v6
	s_addc_u32 s7, s37, s3
	s_lshl_b64 s[2:3], s[30:31], 8
	ds_write_b64 v7, v[2:3]
	v_or_b32_e32 v2, v8, v6
	s_add_u32 s2, s6, s2
	v_lshlrev_b32_e32 v3, 1, v72
	ds_write_b64 v2, v[4:5]
	v_lshrrev_b32_e32 v2, 4, v0
	s_addc_u32 s3, s7, s3
	v_or_b32_e32 v4, 1, v3
	v_lshlrev_b32_e32 v10, 4, v72
	v_mov_b32_e32 v11, 0
	v_xor_b32_e32 v3, v2, v3
	v_xor_b32_e32 v6, v4, v2
	v_lshl_add_u64 v[12:13], s[2:3], 0, v[10:11]
	v_lshlrev_b32_e32 v10, 8, v2
	v_lshl_or_b32 v16, v3, 3, v10
	v_lshl_or_b32 v17, v6, 3, v10
	s_waitcnt lgkmcnt(0)
	s_barrier
	ds_read2st64_b64 v[2:5], v16 offset1:8
	ds_read2st64_b64 v[6:9], v17 offset1:8
	v_lshl_add_u64 v[14:15], v[12:13], 0, v[10:11]
	s_movk_i32 s2, 0x2000
	s_cmp_lg_u32 s45, 64
	s_waitcnt lgkmcnt(1)
	v_mov_b32_e32 v10, v2
	v_mov_b32_e32 v11, v3
	s_waitcnt lgkmcnt(0)
	v_mov_b32_e32 v12, v6
	v_mov_b32_e32 v13, v7
	global_store_dwordx4 v[14:15], v[10:13], off
	v_mov_b32_e32 v6, v4
	v_mov_b32_e32 v7, v5
	ds_read2st64_b64 v[2:5], v16 offset0:16 offset1:24
	ds_read2st64_b64 v[10:13], v17 offset0:16 offset1:24
	v_add_co_u32_e32 v16, vcc, s2, v14
	s_cselect_b64 s[6:7], -1, 0
	s_nop 0
	v_addc_co_u32_e32 v17, vcc, 0, v15, vcc
	global_store_dwordx4 v[16:17], v[6:9], off offset:-4096
	v_lshl_or_b32 v25, v74, 3, v77
	s_mov_b32 s20, 0
	s_waitcnt lgkmcnt(1)
	v_mov_b32_e32 v6, v2
	v_add_co_u32_e32 v2, vcc, 0x3000, v14
	v_mov_b32_e32 v7, v3
	s_nop 0
	v_addc_co_u32_e32 v3, vcc, 0, v15, vcc
	s_waitcnt lgkmcnt(0)
	v_mov_b32_e32 v8, v10
	v_mov_b32_e32 v9, v11
	;; [unrolled: 1-line block ×4, first 2 shown]
	v_or_b32_e32 v20, 32, v25
	v_and_b32_e32 v18, 56, v76
	s_and_b64 vcc, exec, s[6:7]
	global_store_dwordx4 v[16:17], v[6:9], off
	global_store_dwordx4 v[2:3], v[10:13], off
	s_cbranch_vccz .LBB104_29
; %bb.24:
	s_mov_b32 s21, s20
	s_mov_b32 s22, s20
	;; [unrolled: 1-line block ×3, first 2 shown]
	v_mov_b64_e32 v[6:7], s[20:21]
	v_mov_b64_e32 v[8:9], s[22:23]
	;; [unrolled: 1-line block ×3, first 2 shown]
	v_cmp_gt_i32_e32 vcc, s45, v25
	v_mov_b64_e32 v[4:5], v[8:9]
	s_and_saveexec_b64 s[2:3], vcc
	s_cbranch_execz .LBB104_26
; %bb.25:
	v_lshlrev_b32_e32 v2, 8, v25
	v_mov_b32_e32 v3, 0
	v_lshl_add_u64 v[4:5], s[0:1], 0, v[2:3]
	v_lshlrev_b32_e32 v2, 1, v18
	v_lshl_add_u64 v[10:11], v[4:5], 0, v[2:3]
	global_load_dwordx4 v[6:9], v[10:11], off
	global_load_dwordx4 v[2:5], v[10:11], off offset:128
.LBB104_26:
	s_or_b64 exec, exec, s[2:3]
	s_mov_b32 s21, s20
	s_mov_b32 s22, s20
	;; [unrolled: 1-line block ×3, first 2 shown]
	v_mov_b64_e32 v[14:15], s[20:21]
	v_mov_b64_e32 v[16:17], s[22:23]
	;; [unrolled: 1-line block ×3, first 2 shown]
	v_cmp_gt_i32_e32 vcc, s45, v20
	v_lshlrev_b32_e32 v21, 7, v20
	v_mov_b64_e32 v[12:13], v[16:17]
	s_and_saveexec_b64 s[2:3], vcc
	s_cbranch_execz .LBB104_28
; %bb.27:
	v_lshlrev_b32_e32 v10, 1, v21
	v_mov_b32_e32 v11, 0
	v_lshl_add_u64 v[12:13], s[0:1], 0, v[10:11]
	v_lshlrev_b32_e32 v10, 1, v18
	v_lshl_add_u64 v[26:27], v[12:13], 0, v[10:11]
	global_load_dwordx4 v[14:17], v[26:27], off
	global_load_dwordx4 v[10:13], v[26:27], off offset:128
.LBB104_28:
	s_or_b64 exec, exec, s[2:3]
	v_lshrrev_b32_e32 v26, 3, v18
	v_lshlrev_b32_e32 v27, 3, v25
	v_or_b32_e32 v26, v27, v26
	v_lshlrev_b32_e32 v26, 4, v26
	v_and_b32_e32 v27, 0x78, v27
	v_xor_b32_e32 v26, v26, v27
	s_branch .LBB104_31
.LBB104_29:
                                        ; implicit-def: $vgpr26
                                        ; implicit-def: $vgpr21
                                        ; implicit-def: $vgpr6_vgpr7_vgpr8_vgpr9
                                        ; implicit-def: $vgpr2_vgpr3_vgpr4_vgpr5
                                        ; implicit-def: $vgpr14_vgpr15_vgpr16_vgpr17
                                        ; implicit-def: $vgpr10_vgpr11_vgpr12_vgpr13
	s_cbranch_execz .LBB104_31
; %bb.30:
	s_waitcnt vmcnt(0)
	v_lshlrev_b32_e32 v2, 1, v18
	v_lshl_or_b32 v21, v25, 8, v2
	s_and_b32 s1, s1, 0xffff
	s_mov_b32 s3, 0x20000
	s_movk_i32 s2, 0x4000
	v_lshl_or_b32 v26, v20, 8, v2
	s_movk_i32 s13, 0x80
	buffer_load_dwordx4 v[6:9], v21, s[0:3], 0 offen
	buffer_load_dwordx4 v[2:5], v21, s[0:3], s13 offen
	;; [unrolled: 1-line block ×4, first 2 shown]
	v_lshrrev_b32_e32 v21, 3, v18
	v_lshlrev_b32_e32 v26, 3, v25
	v_or_b32_e32 v21, v26, v21
	v_lshlrev_b32_e32 v21, 4, v21
	v_and_b32_e32 v26, 0x78, v26
	v_xor_b32_e32 v26, v21, v26
	v_lshlrev_b32_e32 v21, 7, v20
.LBB104_31:
	s_movk_i32 s0, 0x1000
	v_and_or_b32 v20, v21, s0, v26
	s_waitcnt vmcnt(1)
	ds_write_b64 v26, v[6:7] offset:49152
	v_xor_b32_e32 v6, 8, v26
	ds_write_b64 v6, v[8:9] offset:49152
	s_waitcnt vmcnt(0)
	ds_write_b64 v26, v[2:3] offset:57344
	ds_write_b64 v6, v[4:5] offset:57344
	;; [unrolled: 1-line block ×3, first 2 shown]
	v_xor_b32_e32 v2, 8, v20
	ds_write_b64 v2, v[16:17] offset:49152
	ds_write_b64 v20, v[10:11] offset:57344
	;; [unrolled: 1-line block ×3, first 2 shown]
	v_or_b32_e32 v2, v1, v72
	v_lshlrev_b32_e32 v3, 11, v74
	v_lshlrev_b32_e32 v2, 3, v2
	v_and_b32_e32 v6, 0x1000, v3
	v_lshrrev_b32_e32 v3, 5, v73
	s_movk_i32 s0, 0xf8
	v_and_or_b32 v3, v2, s0, v3
	v_lshlrev_b32_e32 v7, 4, v3
	v_and_b32_e32 v8, 0x78, v2
	v_or_b32_e32 v10, 32, v7
	v_lshrrev_b32_e32 v3, 1, v73
	v_xor_b32_e32 v10, v10, v8
	v_xor_b32_e32 v2, v7, v8
	v_and_b32_e32 v9, 8, v3
	v_or_b32_e32 v10, v10, v6
	v_or_b32_e32 v2, v2, v6
	v_xor_b32_e32 v28, v10, v9
	v_or_b32_e32 v10, 64, v7
	v_xor_b32_e32 v27, v2, v9
	v_xor_b32_e32 v10, v10, v8
	s_waitcnt lgkmcnt(0)
	s_barrier
	v_or_b32_e32 v13, v10, v6
	ds_read_b64 v[10:11], v27 offset:49152
	v_lshl_or_b32 v14, v75, 8, v24
	v_lshlrev_b32_e32 v26, 1, v14
	v_add_u32_e32 v12, 0x4000, v26
	ds_read2_b64 v[2:5], v12 offset1:16
	v_or_b32_e32 v7, 0x60, v7
	v_xor_b32_e32 v7, v7, v8
	v_or_b32_e32 v6, v7, v6
	v_xor_b32_e32 v29, v13, v9
	v_xor_b32_e32 v30, v6, v9
	ds_read_b64 v[20:21], v28 offset:49152
	ds_read_b64 v[34:35], v29 offset:49152
	;; [unrolled: 1-line block ×3, first 2 shown]
	s_waitcnt lgkmcnt(3)
	v_mfma_f32_16x16x16_bf16 a[0:3], v[10:11], v[2:3], 0
	ds_read2_b64 v[6:9], v12 offset0:32 offset1:48
	s_lshl_b64 s[0:1], s[38:39], 8
	s_add_u32 s4, s4, s0
	v_mfma_f32_16x16x16_bf16 a[4:7], v[10:11], v[4:5], 0
	ds_read2st64_b64 v[2:5], v26 offset0:36 offset1:40
	s_addc_u32 s5, s5, s1
	s_add_i32 s0, s41, s40
	s_waitcnt lgkmcnt(1)
	v_mfma_f32_16x16x16_bf16 a[8:11], v[10:11], v[6:7], 0
	v_or_b32_e32 v6, 64, v14
	v_lshlrev_b32_e32 v31, 1, v6
	s_add_i32 s2, s35, -1
	s_waitcnt lgkmcnt(0)
	v_mfma_f32_16x16x16_bf16 a[0:3], v[20:21], v[2:3], a[0:3]
	v_or_b32_e32 v2, 0x80, v14
	v_lshlrev_b32_e32 v32, 1, v2
	v_or_b32_e32 v2, 0xc0, v14
	v_mfma_f32_16x16x16_bf16 a[12:15], v[10:11], v[8:9], 0
	ds_read2st64_b64 v[6:9], v31 offset0:36 offset1:40
	v_lshlrev_b32_e32 v33, 1, v2
	ds_read2st64_b64 v[10:13], v32 offset0:36 offset1:40
	ds_read2st64_b64 v[14:17], v33 offset0:36 offset1:40
	s_add_i32 s17, s0, s42
	s_mul_i32 s0, s33, s19
	s_mul_hi_u32 s1, s33, s18
	s_add_i32 s0, s1, s0
	s_mul_i32 s1, s12, s18
	s_ashr_i32 s3, s2, 31
	s_mul_i32 s12, s2, s29
	s_mul_hi_u32 s13, s2, s28
	s_waitcnt lgkmcnt(2)
	v_mfma_f32_16x16x16_bf16 a[4:7], v[20:21], v[6:7], a[4:7]
	s_add_i32 s12, s13, s12
	s_mul_i32 s3, s3, s28
	s_add_i32 s1, s0, s1
	s_waitcnt lgkmcnt(1)
	v_mfma_f32_16x16x16_bf16 a[8:11], v[20:21], v[10:11], a[8:11]
	s_add_i32 s3, s12, s3
	s_lshl_b64 s[12:13], s[16:17], 2
	s_mul_i32 s0, s33, s18
	s_waitcnt lgkmcnt(0)
	v_mfma_f32_16x16x16_bf16 a[12:15], v[20:21], v[14:15], a[12:15]
	s_add_u32 s10, s10, s12
	s_addc_u32 s11, s11, s13
	s_lshl_b64 s[0:1], s[0:1], 2
	v_mfma_f32_16x16x16_bf16 a[0:3], v[34:35], v[4:5], a[0:3]
	s_mul_i32 s2, s2, s28
	ds_read_b64 v[2:3], v26 offset:22528
	s_add_u32 s10, s10, s0
	v_mfma_f32_16x16x16_bf16 a[4:7], v[34:35], v[8:9], a[4:7]
	ds_read_b64 v[4:5], v31 offset:22528
	ds_read_b64 v[6:7], v32 offset:22528
	;; [unrolled: 1-line block ×3, first 2 shown]
	s_addc_u32 s11, s11, s1
	s_lshl_b64 s[0:1], s[2:3], 2
	v_mfma_f32_16x16x16_bf16 a[8:11], v[34:35], v[12:13], a[8:11]
	s_add_u32 s0, s10, s0
	s_addc_u32 s1, s11, s1
	s_load_dword s12, s[0:1], 0x0
	v_mfma_f32_16x16x16_bf16 a[12:15], v[34:35], v[16:17], a[12:15]
	s_and_b64 vcc, exec, s[26:27]
	s_waitcnt lgkmcnt(0)
	v_mfma_f32_16x16x16_bf16 a[0:3], v[36:37], v[2:3], a[0:3]
	v_mfma_f32_16x16x16_bf16 a[4:7], v[36:37], v[4:5], a[4:7]
	;; [unrolled: 1-line block ×4, first 2 shown]
	s_cbranch_vccz .LBB104_42
; %bb.32:
	v_lshlrev_b32_e32 v20, 1, v25
	s_and_b64 vcc, exec, s[6:7]
	s_cbranch_vccz .LBB104_43
; %bb.33:
	v_cmp_gt_i32_e32 vcc, s45, v20
	v_mov_b32_e32 v6, 0
	v_mov_b32_e32 v2, 0
	;; [unrolled: 1-line block ×5, first 2 shown]
	s_and_saveexec_b64 s[0:1], vcc
	s_cbranch_execz .LBB104_35
; %bb.34:
	v_mad_i64_i32 v[2:3], s[2:3], s15, v20, 0
	v_lshl_add_u64 v[2:3], v[2:3], 1, s[4:5]
	v_lshlrev_b32_e32 v4, 1, v18
	v_mov_b32_e32 v5, 0
	v_lshl_add_u64 v[2:3], v[2:3], 0, v[4:5]
	global_load_dwordx4 v[2:5], v[2:3], off
.LBB104_35:
	s_or_b64 exec, exec, s[0:1]
	v_or_b32_e32 v21, 1, v20
	v_cmp_gt_i32_e64 s[0:1], s45, v21
	v_mov_b32_e32 v7, 0
	v_mov_b32_e32 v8, 0
	;; [unrolled: 1-line block ×3, first 2 shown]
	s_and_saveexec_b64 s[2:3], s[0:1]
	s_cbranch_execz .LBB104_37
; %bb.36:
	v_mad_i64_i32 v[6:7], s[16:17], s15, v21, 0
	v_lshl_add_u64 v[6:7], v[6:7], 1, s[4:5]
	v_lshlrev_b32_e32 v8, 1, v18
	v_mov_b32_e32 v9, 0
	v_lshl_add_u64 v[6:7], v[6:7], 0, v[8:9]
	global_load_dwordx4 v[6:9], v[6:7], off
.LBB104_37:
	s_or_b64 exec, exec, s[2:3]
	v_mov_b32_e32 v17, 0
	v_mov_b32_e32 v10, 0
	;; [unrolled: 1-line block ×5, first 2 shown]
	s_and_saveexec_b64 s[2:3], vcc
	s_cbranch_execz .LBB104_39
; %bb.38:
	v_mad_i64_i32 v[10:11], s[16:17], s15, v20, 0
	v_lshl_add_u64 v[10:11], v[10:11], 1, s[4:5]
	v_lshlrev_b32_e32 v12, 1, v18
	v_mov_b32_e32 v13, 0
	v_lshl_add_u64 v[10:11], v[10:11], 0, v[12:13]
	global_load_dwordx4 v[10:13], v[10:11], off offset:128
.LBB104_39:
	s_or_b64 exec, exec, s[2:3]
	v_mov_b32_e32 v16, 0
	v_mov_b32_e32 v15, 0
	;; [unrolled: 1-line block ×3, first 2 shown]
	s_and_saveexec_b64 s[2:3], s[0:1]
	s_cbranch_execz .LBB104_41
; %bb.40:
	v_mad_i64_i32 v[14:15], s[0:1], s15, v21, 0
	v_lshl_add_u64 v[14:15], v[14:15], 1, s[4:5]
	v_lshlrev_b32_e32 v16, 1, v18
	v_mov_b32_e32 v17, 0
	v_lshl_add_u64 v[14:15], v[14:15], 0, v[16:17]
	global_load_dwordx4 v[14:17], v[14:15], off offset:128
.LBB104_41:
	s_or_b64 exec, exec, s[2:3]
	s_branch .LBB104_45
.LBB104_42:
                                        ; implicit-def: $vgpr5
                                        ; implicit-def: $vgpr9
                                        ; implicit-def: $vgpr13
                                        ; implicit-def: $vgpr17
	v_lshrrev_b32_e32 v34, 2, v73
	s_branch .LBB104_46
.LBB104_43:
                                        ; implicit-def: $vgpr5
                                        ; implicit-def: $vgpr9
                                        ; implicit-def: $vgpr13
                                        ; implicit-def: $vgpr17
	s_cbranch_execz .LBB104_45
; %bb.44:
	s_waitcnt vmcnt(0)
	v_mad_u64_u32 v[2:3], s[0:1], v20, s15, v[18:19]
	v_lshlrev_b32_e32 v20, 1, v2
	s_lshl_b32 s2, s15, 7
	s_and_b32 s1, s5, 0xffff
	s_mov_b32 s3, 0x20000
	s_mov_b32 s0, s4
	v_add_lshl_u32 v21, v2, s15, 1
	s_movk_i32 s13, 0x80
	buffer_load_dwordx4 v[2:5], v20, s[0:3], 0 offen
	buffer_load_dwordx4 v[10:13], v20, s[0:3], s13 offen
	;; [unrolled: 1-line block ×4, first 2 shown]
.LBB104_45:
	v_lshrrev_b32_e32 v34, 2, v73
	s_cbranch_execnz .LBB104_58
.LBB104_46:
	s_and_b64 vcc, exec, s[6:7]
	s_cbranch_vccz .LBB104_56
; %bb.47:
	s_waitcnt vmcnt(0)
	v_lshlrev_b32_e32 v7, 1, v25
	v_cmp_gt_i32_e32 vcc, s45, v7
	v_mov_b32_e32 v6, 0
	v_lshlrev_b32_e32 v14, 9, v25
	v_mov_b32_e32 v2, 0
	v_mov_b32_e32 v3, 0
	;; [unrolled: 1-line block ×4, first 2 shown]
	s_and_saveexec_b64 s[0:1], vcc
	s_cbranch_execz .LBB104_49
; %bb.48:
	v_mov_b32_e32 v15, 0
	v_lshl_add_u64 v[2:3], s[4:5], 0, v[14:15]
	v_lshlrev_b32_e32 v4, 1, v18
	v_mov_b32_e32 v5, v15
	v_lshl_add_u64 v[2:3], v[2:3], 0, v[4:5]
	global_load_dwordx4 v[2:5], v[2:3], off
.LBB104_49:
	s_or_b64 exec, exec, s[0:1]
	v_or_b32_e32 v7, 1, v7
	v_cmp_gt_i32_e64 s[0:1], s45, v7
	v_lshlrev_b32_e32 v20, 8, v7
	v_mov_b32_e32 v7, 0
	v_mov_b32_e32 v8, 0
	;; [unrolled: 1-line block ×3, first 2 shown]
	s_and_saveexec_b64 s[2:3], s[0:1]
	s_cbranch_execz .LBB104_51
; %bb.50:
	v_mov_b32_e32 v21, 0
	v_lshl_add_u64 v[6:7], s[4:5], 0, v[20:21]
	v_lshlrev_b32_e32 v8, 1, v18
	v_mov_b32_e32 v9, v21
	v_lshl_add_u64 v[6:7], v[6:7], 0, v[8:9]
	global_load_dwordx4 v[6:9], v[6:7], off
.LBB104_51:
	s_or_b64 exec, exec, s[2:3]
	v_mov_b32_e32 v17, 0
	v_mov_b32_e32 v10, 0
	;; [unrolled: 1-line block ×5, first 2 shown]
	s_and_saveexec_b64 s[2:3], vcc
	s_cbranch_execz .LBB104_53
; %bb.52:
	v_mov_b32_e32 v15, 0
	v_lshl_add_u64 v[10:11], s[4:5], 0, v[14:15]
	v_lshlrev_b32_e32 v14, 1, v18
	v_lshl_add_u64 v[10:11], v[10:11], 0, v[14:15]
	global_load_dwordx4 v[10:13], v[10:11], off offset:128
.LBB104_53:
	s_or_b64 exec, exec, s[2:3]
	v_mov_b32_e32 v16, 0
	v_mov_b32_e32 v15, 0
	;; [unrolled: 1-line block ×3, first 2 shown]
	s_and_saveexec_b64 s[2:3], s[0:1]
	s_cbranch_execz .LBB104_55
; %bb.54:
	v_mov_b32_e32 v21, 0
	v_lshl_add_u64 v[14:15], s[4:5], 0, v[20:21]
	v_lshlrev_b32_e32 v20, 1, v18
	v_lshl_add_u64 v[14:15], v[14:15], 0, v[20:21]
	global_load_dwordx4 v[14:17], v[14:15], off offset:128
.LBB104_55:
	s_or_b64 exec, exec, s[2:3]
	s_branch .LBB104_58
.LBB104_56:
                                        ; implicit-def: $vgpr5
                                        ; implicit-def: $vgpr9
                                        ; implicit-def: $vgpr13
                                        ; implicit-def: $vgpr17
	s_cbranch_execz .LBB104_58
; %bb.57:
	s_waitcnt vmcnt(0)
	v_lshlrev_b32_e32 v2, 1, v18
	v_lshl_or_b32 v18, v25, 9, v2
	s_and_b32 s5, s5, 0xffff
	s_mov_b32 s7, 0x20000
	s_movk_i32 s6, 0x4000
	s_movk_i32 s0, 0x80
	buffer_load_dwordx4 v[2:5], v18, s[4:7], 0 offen
	buffer_load_dwordx4 v[6:9], v18, s[4:7], 0 offen offset:256
	buffer_load_dwordx4 v[10:13], v18, s[4:7], s0 offen
	buffer_load_dwordx4 v[14:17], v18, s[4:7], s0 offen offset:256
.LBB104_58:
	ds_read_b64 v[20:21], v27 offset:57344
	v_add_u32_e32 v18, 0x6000, v26
	ds_read2_b64 v[36:39], v18 offset1:16
	ds_read_b64 v[52:53], v28 offset:57344
	ds_read_b64 v[28:29], v29 offset:57344
	;; [unrolled: 1-line block ×3, first 2 shown]
	ds_read2st64_b64 v[40:43], v26 offset0:52 offset1:56
	s_mov_b32 s0, 0x1000504
	s_mov_b32 s1, 0x3020706
	s_waitcnt lgkmcnt(4)
	v_mfma_f32_16x16x16_bf16 a[0:3], v[20:21], v[36:37], a[0:3]
	v_mfma_f32_16x16x16_bf16 a[4:7], v[20:21], v[38:39], a[4:7]
	ds_read2_b64 v[36:39], v18 offset0:32 offset1:48
	v_and_b32_e32 v18, 6, v0
	v_xor_b32_e32 v25, v25, v18
	s_waitcnt lgkmcnt(0)
	v_mfma_f32_16x16x16_bf16 a[8:11], v[20:21], v[36:37], a[8:11]
	v_lshlrev_b32_e32 v25, 2, v25
	v_and_b32_e32 v0, 1, v0
	v_xor_b32_e32 v35, 0x440, v25
	v_mfma_f32_16x16x16_bf16 a[12:15], v[20:21], v[38:39], a[12:15]
	ds_read2st64_b64 v[36:39], v31 offset0:52 offset1:56
	ds_read2st64_b64 v[44:47], v32 offset0:52 offset1:56
	ds_read2st64_b64 v[48:51], v33 offset0:52 offset1:56
	v_cmp_eq_u32_e32 vcc, 0, v0
	ds_read_b64 v[20:21], v26 offset:30720
	ds_read_b64 v[26:27], v31 offset:30720
	;; [unrolled: 1-line block ×4, first 2 shown]
	v_mfma_f32_16x16x16_bf16 a[0:3], v[52:53], v[40:41], a[0:3]
	v_cndmask_b32_e32 v0, v35, v25, vcc
	v_lshl_or_b32 v0, v18, 10, v0
	s_waitcnt vmcnt(0)
	v_perm_b32 v18, v2, v6, s0
	s_waitcnt lgkmcnt(6)
	v_mfma_f32_16x16x16_bf16 a[4:7], v[52:53], v[36:37], a[4:7]
	v_perm_b32 v25, v10, v14, s0
	ds_write2st64_b32 v0, v18, v25 offset0:128 offset1:160
	v_xor_b32_e32 v18, 8, v0
	s_waitcnt lgkmcnt(6)
	v_mfma_f32_16x16x16_bf16 a[8:11], v[52:53], v[44:45], a[8:11]
	v_perm_b32 v2, v2, v6, s1
	v_perm_b32 v6, v10, v14, s1
	v_add_u32_e32 v10, 0x80, v18
	s_waitcnt lgkmcnt(5)
	v_mfma_f32_16x16x16_bf16 a[12:15], v[52:53], v[48:49], a[12:15]
	ds_write2st64_b32 v10, v2, v6 offset0:128 offset1:160
	v_xor_b32_e32 v2, 16, v0
	v_perm_b32 v6, v3, v7, s0
	v_mfma_f32_16x16x16_bf16 a[0:3], v[28:29], v[42:43], a[0:3]
	v_perm_b32 v10, v11, v15, s0
	ds_write2st64_b32 v2, v6, v10 offset0:129 offset1:161
	v_xor_b32_e32 v2, 24, v0
	v_mfma_f32_16x16x16_bf16 a[4:7], v[28:29], v[38:39], a[4:7]
	v_perm_b32 v3, v3, v7, s1
	v_perm_b32 v6, v11, v15, s1
	v_add_u32_e32 v2, 0x80, v2
	v_mfma_f32_16x16x16_bf16 a[16:19], v[28:29], v[46:47], a[8:11]
	ds_write2st64_b32 v2, v3, v6 offset0:129 offset1:161
	v_xor_b32_e32 v2, 32, v0
	v_perm_b32 v3, v4, v8, s0
	v_mfma_f32_16x16x16_bf16 a[20:23], v[28:29], v[50:51], a[12:15]
	v_perm_b32 v6, v12, v16, s0
	ds_write2st64_b32 v2, v3, v6 offset0:130 offset1:162
	v_xor_b32_e32 v2, 40, v0
	s_waitcnt lgkmcnt(8)
	v_mfma_f32_16x16x16_bf16 a[12:15], v[54:55], v[20:21], a[0:3]
	v_perm_b32 v3, v4, v8, s1
	v_perm_b32 v4, v12, v16, s1
	v_add_u32_e32 v2, 0x80, v2
	s_waitcnt lgkmcnt(7)
	v_mfma_f32_16x16x16_bf16 a[8:11], v[54:55], v[26:27], a[4:7]
	ds_write2st64_b32 v2, v3, v4 offset0:130 offset1:162
	v_xor_b32_e32 v2, 48, v0
	v_perm_b32 v3, v5, v9, s0
	s_waitcnt lgkmcnt(7)
	v_mfma_f32_16x16x16_bf16 a[4:7], v[54:55], v[30:31], a[16:19]
	v_perm_b32 v4, v13, v17, s0
	v_xor_b32_e32 v0, 56, v0
	v_and_or_b32 v18, v34, 12, v1
	s_waitcnt lgkmcnt(6)
	v_mfma_f32_16x16x16_bf16 a[0:3], v[54:55], v[32:33], a[20:23]
	ds_write2st64_b32 v2, v3, v4 offset0:131 offset1:163
	v_perm_b32 v2, v5, v9, s1
	v_perm_b32 v3, v13, v17, s1
	v_add_u32_e32 v0, 0x80, v0
	v_cmp_gt_i32_e32 vcc, s45, v18
	v_mov_b32_e32 v14, 0
	v_mov_b32_e32 v16, 0
	ds_write2st64_b32 v0, v2, v3 offset0:131 offset1:163
	s_and_saveexec_b64 s[0:1], vcc
	s_cbranch_execz .LBB104_60
; %bb.59:
	v_add_u32_e32 v0, s34, v18
	v_ashrrev_i32_e32 v1, 31, v0
	v_mul_lo_u32 v2, v1, s28
	v_mul_lo_u32 v3, v0, s29
	v_mad_u64_u32 v[0:1], s[2:3], v0, s28, 0
	v_add3_u32 v1, v1, v3, v2
	v_lshl_add_u64 v[0:1], v[0:1], 2, s[10:11]
	global_load_dword v0, v[0:1], off
	s_waitcnt vmcnt(0)
	v_sub_f32_e32 v0, s12, v0
	v_mul_f32_e32 v0, 0x3fb8aa3b, v0
	v_exp_f32_e32 v16, v0
.LBB104_60:
	s_or_b64 exec, exec, s[0:1]
	v_or_b32_e32 v8, 1, v18
	v_cmp_gt_i32_e64 s[0:1], s45, v8
	s_and_saveexec_b64 s[2:3], s[0:1]
	s_cbranch_execz .LBB104_62
; %bb.61:
	v_add_u32_e32 v0, s34, v8
	v_ashrrev_i32_e32 v1, 31, v0
	v_mul_lo_u32 v2, v1, s28
	v_mul_lo_u32 v3, v0, s29
	v_mad_u64_u32 v[0:1], s[4:5], v0, s28, 0
	v_add3_u32 v1, v1, v3, v2
	v_lshl_add_u64 v[0:1], v[0:1], 2, s[10:11]
	global_load_dword v0, v[0:1], off
	s_waitcnt vmcnt(0)
	v_sub_f32_e32 v0, s12, v0
	v_mul_f32_e32 v0, 0x3fb8aa3b, v0
	v_exp_f32_e32 v14, v0
.LBB104_62:
	s_or_b64 exec, exec, s[2:3]
	v_or_b32_e32 v10, 2, v18
	v_cmp_gt_i32_e64 s[2:3], s45, v10
	v_mov_b32_e32 v15, 0
	v_mov_b32_e32 v17, 0
	s_and_saveexec_b64 s[4:5], s[2:3]
	s_cbranch_execz .LBB104_64
; %bb.63:
	v_add_u32_e32 v0, s34, v10
	v_ashrrev_i32_e32 v1, 31, v0
	v_mul_lo_u32 v2, v1, s28
	v_mul_lo_u32 v3, v0, s29
	v_mad_u64_u32 v[0:1], s[6:7], v0, s28, 0
	v_add3_u32 v1, v1, v3, v2
	v_lshl_add_u64 v[0:1], v[0:1], 2, s[10:11]
	global_load_dword v0, v[0:1], off
	s_waitcnt vmcnt(0)
	v_sub_f32_e32 v0, s12, v0
	v_mul_f32_e32 v0, 0x3fb8aa3b, v0
	v_exp_f32_e32 v17, v0
.LBB104_64:
	s_or_b64 exec, exec, s[4:5]
	v_or_b32_e32 v12, 3, v18
	v_cmp_gt_i32_e64 s[4:5], s45, v12
	s_and_saveexec_b64 s[6:7], s[4:5]
	s_cbranch_execz .LBB104_66
; %bb.65:
	v_add_u32_e32 v0, s34, v12
	v_ashrrev_i32_e32 v1, 31, v0
	v_mul_lo_u32 v2, v1, s28
	v_mul_lo_u32 v3, v0, s29
	v_mad_u64_u32 v[0:1], s[14:15], v0, s28, 0
	v_add3_u32 v1, v1, v3, v2
	v_lshl_add_u64 v[0:1], v[0:1], 2, s[10:11]
	global_load_dword v0, v[0:1], off
	s_waitcnt vmcnt(0)
	v_sub_f32_e32 v0, s12, v0
	v_mul_f32_e32 v0, 0x3fb8aa3b, v0
	v_exp_f32_e32 v15, v0
.LBB104_66:
	s_or_b64 exec, exec, s[6:7]
	v_or_b32_e32 v4, s30, v72
	s_add_u32 s6, s8, s24
	v_accvgpr_read_b32 v0, a12
	s_addc_u32 s7, s9, s25
	v_ashrrev_i32_e32 v5, 31, v4
	v_accvgpr_read_b32 v1, a13
	v_accvgpr_read_b32 v2, a14
	;; [unrolled: 1-line block ×3, first 2 shown]
	v_lshl_add_u64 v[4:5], v[4:5], 1, s[6:7]
	v_mov_b32_e32 v9, 0
	v_lshlrev_b32_e32 v6, 8, v18
	v_mov_b32_e32 v7, 0
	s_and_saveexec_b64 s[6:7], vcc
	s_cbranch_execz .LBB104_68
; %bb.67:
	v_mov_b32_e32 v7, 0
	v_lshl_add_u64 v[20:21], v[4:5], 0, v[6:7]
	global_load_ushort v7, v[20:21], off
	s_waitcnt vmcnt(0)
	v_lshlrev_b32_e32 v7, 16, v7
	v_sub_f32_e32 v0, v7, v0
	v_mul_f32_e32 v0, v16, v0
	v_lshrrev_b32_e32 v7, 16, v0
.LBB104_68:
	s_or_b64 exec, exec, s[6:7]
	v_lshlrev_b32_e32 v8, 8, v8
	s_and_saveexec_b64 s[6:7], s[0:1]
	s_cbranch_execz .LBB104_70
; %bb.69:
	v_mov_b32_e32 v9, 0
	v_lshl_add_u64 v[20:21], v[4:5], 0, v[8:9]
	global_load_ushort v0, v[20:21], off
	s_waitcnt vmcnt(0)
	v_lshlrev_b32_e32 v0, 16, v0
	v_sub_f32_e32 v0, v0, v1
	v_mul_f32_e32 v0, v14, v0
	v_lshrrev_b32_e32 v9, 16, v0
.LBB104_70:
	s_or_b64 exec, exec, s[6:7]
	v_mov_b32_e32 v13, 0
	v_lshlrev_b32_e32 v10, 8, v10
	v_mov_b32_e32 v11, 0
	s_and_saveexec_b64 s[6:7], s[2:3]
	s_cbranch_execz .LBB104_72
; %bb.71:
	v_mov_b32_e32 v11, 0
	v_lshl_add_u64 v[0:1], v[4:5], 0, v[10:11]
	global_load_ushort v0, v[0:1], off
	s_waitcnt vmcnt(0)
	v_lshlrev_b32_e32 v0, 16, v0
	v_sub_f32_e32 v0, v0, v2
	v_mul_f32_e32 v0, v17, v0
	v_lshrrev_b32_e32 v11, 16, v0
.LBB104_72:
	s_or_b64 exec, exec, s[6:7]
	v_lshlrev_b32_e32 v12, 8, v12
	s_and_saveexec_b64 s[6:7], s[4:5]
	s_cbranch_execz .LBB104_74
; %bb.73:
	v_mov_b32_e32 v13, 0
	v_lshl_add_u64 v[0:1], v[4:5], 0, v[12:13]
	global_load_ushort v0, v[0:1], off
	s_waitcnt vmcnt(0)
	v_lshlrev_b32_e32 v0, 16, v0
	v_sub_f32_e32 v0, v0, v3
	v_mul_f32_e32 v0, v15, v0
	v_lshrrev_b32_e32 v13, 16, v0
.LBB104_74:
	s_or_b64 exec, exec, s[6:7]
	v_lshlrev_b32_e32 v18, 6, v18
	s_mov_b32 s6, 0x5040100
	v_perm_b32 v20, v9, v7, s6
	v_or_b32_e32 v7, v18, v24
	v_accvgpr_read_b32 v0, a8
	v_perm_b32 v21, v13, v11, s6
	v_lshlrev_b32_e32 v7, 1, v7
	v_accvgpr_read_b32 v1, a9
	v_accvgpr_read_b32 v2, a10
	;; [unrolled: 1-line block ×3, first 2 shown]
	ds_write_b64 v7, v[20:21] offset:24576
	v_mov_b32_e32 v9, 0
	v_mov_b32_e32 v7, 0
	s_and_saveexec_b64 s[6:7], vcc
	s_cbranch_execz .LBB104_76
; %bb.75:
	v_mov_b32_e32 v7, 0
	v_lshl_add_u64 v[20:21], v[4:5], 0, v[6:7]
	global_load_ushort v7, v[20:21], off offset:32
	s_waitcnt vmcnt(0)
	v_lshlrev_b32_e32 v7, 16, v7
	v_sub_f32_e32 v0, v7, v0
	v_mul_f32_e32 v0, v16, v0
	v_lshrrev_b32_e32 v7, 16, v0
.LBB104_76:
	s_or_b64 exec, exec, s[6:7]
	s_and_saveexec_b64 s[6:7], s[0:1]
	s_cbranch_execz .LBB104_78
; %bb.77:
	v_mov_b32_e32 v9, 0
	v_lshl_add_u64 v[20:21], v[4:5], 0, v[8:9]
	global_load_ushort v0, v[20:21], off offset:32
	s_waitcnt vmcnt(0)
	v_lshlrev_b32_e32 v0, 16, v0
	v_sub_f32_e32 v0, v0, v1
	v_mul_f32_e32 v0, v14, v0
	v_lshrrev_b32_e32 v9, 16, v0
.LBB104_78:
	s_or_b64 exec, exec, s[6:7]
	v_mov_b32_e32 v13, 0
	v_mov_b32_e32 v11, 0
	s_and_saveexec_b64 s[6:7], s[2:3]
	s_cbranch_execz .LBB104_80
; %bb.79:
	v_mov_b32_e32 v11, 0
	v_lshl_add_u64 v[0:1], v[4:5], 0, v[10:11]
	global_load_ushort v0, v[0:1], off offset:32
	s_waitcnt vmcnt(0)
	v_lshlrev_b32_e32 v0, 16, v0
	v_sub_f32_e32 v0, v0, v2
	v_mul_f32_e32 v0, v17, v0
	v_lshrrev_b32_e32 v11, 16, v0
.LBB104_80:
	s_or_b64 exec, exec, s[6:7]
	s_and_saveexec_b64 s[6:7], s[4:5]
	s_cbranch_execz .LBB104_82
; %bb.81:
	v_mov_b32_e32 v13, 0
	v_lshl_add_u64 v[0:1], v[4:5], 0, v[12:13]
	global_load_ushort v0, v[0:1], off offset:32
	s_waitcnt vmcnt(0)
	v_lshlrev_b32_e32 v0, 16, v0
	v_sub_f32_e32 v0, v0, v3
	v_mul_f32_e32 v0, v15, v0
	v_lshrrev_b32_e32 v13, 16, v0
.LBB104_82:
	s_or_b64 exec, exec, s[6:7]
	s_mov_b32 s6, 0x5040100
	v_perm_b32 v20, v9, v7, s6
	v_or_b32_e32 v7, v18, v23
	v_accvgpr_read_b32 v0, a4
	v_perm_b32 v21, v13, v11, s6
	v_lshlrev_b32_e32 v7, 1, v7
	v_accvgpr_read_b32 v1, a5
	v_accvgpr_read_b32 v2, a6
	;; [unrolled: 1-line block ×3, first 2 shown]
	ds_write_b64 v7, v[20:21] offset:24576
	v_mov_b32_e32 v9, 0
	v_mov_b32_e32 v7, 0
	s_and_saveexec_b64 s[6:7], vcc
	s_cbranch_execz .LBB104_84
; %bb.83:
	v_mov_b32_e32 v7, 0
	v_lshl_add_u64 v[20:21], v[4:5], 0, v[6:7]
	global_load_ushort v7, v[20:21], off offset:64
	s_waitcnt vmcnt(0)
	v_lshlrev_b32_e32 v7, 16, v7
	v_sub_f32_e32 v0, v7, v0
	v_mul_f32_e32 v0, v16, v0
	v_lshrrev_b32_e32 v7, 16, v0
.LBB104_84:
	s_or_b64 exec, exec, s[6:7]
	s_and_saveexec_b64 s[6:7], s[0:1]
	s_cbranch_execz .LBB104_86
; %bb.85:
	v_mov_b32_e32 v9, 0
	v_lshl_add_u64 v[20:21], v[4:5], 0, v[8:9]
	global_load_ushort v0, v[20:21], off offset:64
	s_waitcnt vmcnt(0)
	v_lshlrev_b32_e32 v0, 16, v0
	v_sub_f32_e32 v0, v0, v1
	v_mul_f32_e32 v0, v14, v0
	v_lshrrev_b32_e32 v9, 16, v0
.LBB104_86:
	s_or_b64 exec, exec, s[6:7]
	v_mov_b32_e32 v13, 0
	v_mov_b32_e32 v11, 0
	s_and_saveexec_b64 s[6:7], s[2:3]
	s_cbranch_execz .LBB104_88
; %bb.87:
	v_mov_b32_e32 v11, 0
	v_lshl_add_u64 v[0:1], v[4:5], 0, v[10:11]
	global_load_ushort v0, v[0:1], off offset:64
	s_waitcnt vmcnt(0)
	v_lshlrev_b32_e32 v0, 16, v0
	v_sub_f32_e32 v0, v0, v2
	v_mul_f32_e32 v0, v17, v0
	v_lshrrev_b32_e32 v11, 16, v0
.LBB104_88:
	s_or_b64 exec, exec, s[6:7]
	s_and_saveexec_b64 s[6:7], s[4:5]
	s_cbranch_execz .LBB104_90
; %bb.89:
	v_mov_b32_e32 v13, 0
	v_lshl_add_u64 v[0:1], v[4:5], 0, v[12:13]
	global_load_ushort v0, v[0:1], off offset:64
	s_waitcnt vmcnt(0)
	v_lshlrev_b32_e32 v0, 16, v0
	v_sub_f32_e32 v0, v0, v3
	v_mul_f32_e32 v0, v15, v0
	v_lshrrev_b32_e32 v13, 16, v0
.LBB104_90:
	s_or_b64 exec, exec, s[6:7]
	s_mov_b32 s6, 0x5040100
	v_perm_b32 v20, v9, v7, s6
	v_or_b32_e32 v7, v18, v22
	v_accvgpr_read_b32 v0, a0
	v_perm_b32 v21, v13, v11, s6
	v_lshlrev_b32_e32 v7, 1, v7
	v_accvgpr_read_b32 v1, a1
	v_accvgpr_read_b32 v2, a2
	v_accvgpr_read_b32 v3, a3
	ds_write_b64 v7, v[20:21] offset:24576
	v_mov_b32_e32 v9, 0
	v_mov_b32_e32 v7, 0
	s_and_saveexec_b64 s[6:7], vcc
	s_cbranch_execz .LBB104_92
; %bb.91:
	v_mov_b32_e32 v7, 0
	v_lshl_add_u64 v[6:7], v[4:5], 0, v[6:7]
	global_load_ushort v6, v[6:7], off offset:96
	s_waitcnt vmcnt(0)
	v_lshlrev_b32_e32 v6, 16, v6
	v_sub_f32_e32 v0, v6, v0
	v_mul_f32_e32 v0, v16, v0
	v_lshrrev_b32_e32 v7, 16, v0
.LBB104_92:
	s_or_b64 exec, exec, s[6:7]
	s_and_saveexec_b64 s[6:7], s[0:1]
	s_cbranch_execz .LBB104_94
; %bb.93:
	v_mov_b32_e32 v9, 0
	v_lshl_add_u64 v[8:9], v[4:5], 0, v[8:9]
	global_load_ushort v0, v[8:9], off offset:96
	s_waitcnt vmcnt(0)
	v_lshlrev_b32_e32 v0, 16, v0
	v_sub_f32_e32 v0, v0, v1
	v_mul_f32_e32 v0, v14, v0
	v_lshrrev_b32_e32 v9, 16, v0
.LBB104_94:
	s_or_b64 exec, exec, s[6:7]
	v_mov_b32_e32 v0, 0
	v_mov_b32_e32 v1, 0
	s_and_saveexec_b64 s[0:1], s[2:3]
	s_cbranch_execz .LBB104_96
; %bb.95:
	v_mov_b32_e32 v11, 0
	v_lshl_add_u64 v[10:11], v[4:5], 0, v[10:11]
	global_load_ushort v1, v[10:11], off offset:96
	s_waitcnt vmcnt(0)
	v_lshlrev_b32_e32 v1, 16, v1
	v_sub_f32_e32 v1, v1, v2
	v_mul_f32_e32 v1, v17, v1
	v_lshrrev_b32_e32 v1, 16, v1
.LBB104_96:
	s_or_b64 exec, exec, s[0:1]
	s_and_saveexec_b64 s[0:1], s[4:5]
	s_cbranch_execz .LBB104_98
; %bb.97:
	v_mov_b32_e32 v13, 0
	v_lshl_add_u64 v[4:5], v[4:5], 0, v[12:13]
	global_load_ushort v0, v[4:5], off offset:96
	s_waitcnt vmcnt(0)
	v_lshlrev_b32_e32 v0, 16, v0
	v_sub_f32_e32 v0, v0, v3
	v_mul_f32_e32 v0, v15, v0
	v_lshrrev_b32_e32 v0, 16, v0
.LBB104_98:
	s_or_b64 exec, exec, s[0:1]
	s_mov_b32 s0, 0x5040100
	v_or_b32_e32 v2, v18, v19
	v_perm_b32 v1, v0, v1, s0
	v_perm_b32 v0, v9, v7, s0
	v_lshlrev_b32_e32 v2, 1, v2
	ds_write_b64 v2, v[0:1] offset:24576
	s_waitcnt lgkmcnt(0)
	s_barrier
.LBB104_99:
	s_endpgm
	.section	.rodata,"a",@progbits
	.p2align	6, 0x0
	.amdhsa_kernel _ZN12_GLOBAL__N_139chunk_gated_delta_rule_fwd_h_hip_kernelILi64ELb0ELb0ELb0ELb1ELb0ELb0ELb1ELb1EEEvPK12hip_bfloat16S3_S3_PKfS5_PKvPS1_S8_PvPKiSB_iiiiilll
		.amdhsa_group_segment_fixed_size 65536
		.amdhsa_private_segment_fixed_size 0
		.amdhsa_kernarg_size 136
		.amdhsa_user_sgpr_count 2
		.amdhsa_user_sgpr_dispatch_ptr 0
		.amdhsa_user_sgpr_queue_ptr 0
		.amdhsa_user_sgpr_kernarg_segment_ptr 1
		.amdhsa_user_sgpr_dispatch_id 0
		.amdhsa_user_sgpr_kernarg_preload_length 0
		.amdhsa_user_sgpr_kernarg_preload_offset 0
		.amdhsa_user_sgpr_private_segment_size 0
		.amdhsa_uses_dynamic_stack 0
		.amdhsa_enable_private_segment 0
		.amdhsa_system_sgpr_workgroup_id_x 1
		.amdhsa_system_sgpr_workgroup_id_y 1
		.amdhsa_system_sgpr_workgroup_id_z 0
		.amdhsa_system_sgpr_workgroup_info 0
		.amdhsa_system_vgpr_workitem_id 0
		.amdhsa_next_free_vgpr 216
		.amdhsa_next_free_sgpr 60
		.amdhsa_accum_offset 180
		.amdhsa_reserve_vcc 1
		.amdhsa_float_round_mode_32 0
		.amdhsa_float_round_mode_16_64 0
		.amdhsa_float_denorm_mode_32 3
		.amdhsa_float_denorm_mode_16_64 3
		.amdhsa_dx10_clamp 1
		.amdhsa_ieee_mode 1
		.amdhsa_fp16_overflow 0
		.amdhsa_tg_split 0
		.amdhsa_exception_fp_ieee_invalid_op 0
		.amdhsa_exception_fp_denorm_src 0
		.amdhsa_exception_fp_ieee_div_zero 0
		.amdhsa_exception_fp_ieee_overflow 0
		.amdhsa_exception_fp_ieee_underflow 0
		.amdhsa_exception_fp_ieee_inexact 0
		.amdhsa_exception_int_div_zero 0
	.end_amdhsa_kernel
	.section	.text._ZN12_GLOBAL__N_139chunk_gated_delta_rule_fwd_h_hip_kernelILi64ELb0ELb0ELb0ELb1ELb0ELb0ELb1ELb1EEEvPK12hip_bfloat16S3_S3_PKfS5_PKvPS1_S8_PvPKiSB_iiiiilll,"axG",@progbits,_ZN12_GLOBAL__N_139chunk_gated_delta_rule_fwd_h_hip_kernelILi64ELb0ELb0ELb0ELb1ELb0ELb0ELb1ELb1EEEvPK12hip_bfloat16S3_S3_PKfS5_PKvPS1_S8_PvPKiSB_iiiiilll,comdat
.Lfunc_end104:
	.size	_ZN12_GLOBAL__N_139chunk_gated_delta_rule_fwd_h_hip_kernelILi64ELb0ELb0ELb0ELb1ELb0ELb0ELb1ELb1EEEvPK12hip_bfloat16S3_S3_PKfS5_PKvPS1_S8_PvPKiSB_iiiiilll, .Lfunc_end104-_ZN12_GLOBAL__N_139chunk_gated_delta_rule_fwd_h_hip_kernelILi64ELb0ELb0ELb0ELb1ELb0ELb0ELb1ELb1EEEvPK12hip_bfloat16S3_S3_PKfS5_PKvPS1_S8_PvPKiSB_iiiiilll
                                        ; -- End function
	.section	.AMDGPU.csdata,"",@progbits
; Kernel info:
; codeLenInByte = 10744
; NumSgprs: 66
; NumVgprs: 178
; NumAgprs: 36
; TotalNumVgprs: 216
; ScratchSize: 0
; MemoryBound: 0
; FloatMode: 240
; IeeeMode: 1
; LDSByteSize: 65536 bytes/workgroup (compile time only)
; SGPRBlocks: 8
; VGPRBlocks: 26
; NumSGPRsForWavesPerEU: 66
; NumVGPRsForWavesPerEU: 216
; AccumOffset: 180
; Occupancy: 1
; WaveLimiterHint : 1
; COMPUTE_PGM_RSRC2:SCRATCH_EN: 0
; COMPUTE_PGM_RSRC2:USER_SGPR: 2
; COMPUTE_PGM_RSRC2:TRAP_HANDLER: 0
; COMPUTE_PGM_RSRC2:TGID_X_EN: 1
; COMPUTE_PGM_RSRC2:TGID_Y_EN: 1
; COMPUTE_PGM_RSRC2:TGID_Z_EN: 0
; COMPUTE_PGM_RSRC2:TIDIG_COMP_CNT: 0
; COMPUTE_PGM_RSRC3_GFX90A:ACCUM_OFFSET: 44
; COMPUTE_PGM_RSRC3_GFX90A:TG_SPLIT: 0
	.section	.text._ZN12_GLOBAL__N_139chunk_gated_delta_rule_fwd_h_hip_kernelILi64ELb1ELb1ELb1ELb0ELb0ELb0ELb1ELb1EEEvPK12hip_bfloat16S3_S3_PKfS5_PKvPS1_S8_PvPKiSB_iiiiilll,"axG",@progbits,_ZN12_GLOBAL__N_139chunk_gated_delta_rule_fwd_h_hip_kernelILi64ELb1ELb1ELb1ELb0ELb0ELb0ELb1ELb1EEEvPK12hip_bfloat16S3_S3_PKfS5_PKvPS1_S8_PvPKiSB_iiiiilll,comdat
	.globl	_ZN12_GLOBAL__N_139chunk_gated_delta_rule_fwd_h_hip_kernelILi64ELb1ELb1ELb1ELb0ELb0ELb0ELb1ELb1EEEvPK12hip_bfloat16S3_S3_PKfS5_PKvPS1_S8_PvPKiSB_iiiiilll ; -- Begin function _ZN12_GLOBAL__N_139chunk_gated_delta_rule_fwd_h_hip_kernelILi64ELb1ELb1ELb1ELb0ELb0ELb0ELb1ELb1EEEvPK12hip_bfloat16S3_S3_PKfS5_PKvPS1_S8_PvPKiSB_iiiiilll
	.p2align	8
	.type	_ZN12_GLOBAL__N_139chunk_gated_delta_rule_fwd_h_hip_kernelILi64ELb1ELb1ELb1ELb0ELb0ELb0ELb1ELb1EEEvPK12hip_bfloat16S3_S3_PKfS5_PKvPS1_S8_PvPKiSB_iiiiilll,@function
_ZN12_GLOBAL__N_139chunk_gated_delta_rule_fwd_h_hip_kernelILi64ELb1ELb1ELb1ELb0ELb0ELb0ELb1ELb1EEEvPK12hip_bfloat16S3_S3_PKfS5_PKvPS1_S8_PvPKiSB_iiiiilll: ; @_ZN12_GLOBAL__N_139chunk_gated_delta_rule_fwd_h_hip_kernelILi64ELb1ELb1ELb1ELb0ELb0ELb0ELb1ELb1EEEvPK12hip_bfloat16S3_S3_PKfS5_PKvPS1_S8_PvPKiSB_iiiiilll
; %bb.0:
	s_load_dwordx4 s[20:23], s[0:1], 0x5c
	s_load_dwordx4 s[24:27], s[0:1], 0x70
	s_abs_i32 s6, s3
	s_ashr_i32 s5, s3, 31
	v_and_b32_e32 v88, 15, v0
	s_waitcnt lgkmcnt(0)
	s_abs_i32 s4, s21
	v_cvt_f32_u32_e32 v1, s4
	s_sub_i32 s8, 0, s4
	s_ashr_i32 s7, s21, 31
	s_xor_b32 s5, s5, s7
	v_rcp_iflag_f32_e32 v1, v1
	v_bfe_u32 v87, v0, 4, 2
	v_mov_b32_e32 v35, 0
	v_lshlrev_b32_e32 v89, 3, v0
	v_mul_f32_e32 v1, 0x4f7ffffe, v1
	v_cvt_u32_f32_e32 v1, v1
	s_nop 0
	v_readfirstlane_b32 s9, v1
	s_mul_i32 s8, s8, s9
	s_mul_hi_u32 s8, s9, s8
	s_add_i32 s9, s9, s8
	s_mul_hi_u32 s8, s6, s9
	s_mul_i32 s9, s8, s4
	s_sub_i32 s6, s6, s9
	s_add_i32 s10, s8, 1
	s_sub_i32 s9, s6, s4
	s_cmp_ge_u32 s6, s4
	s_cselect_b32 s8, s10, s8
	s_cselect_b32 s6, s9, s6
	s_add_i32 s9, s8, 1
	s_cmp_ge_u32 s6, s4
	s_cselect_b32 s6, s9, s8
	s_xor_b32 s6, s6, s5
	s_add_i32 s8, s20, 63
	s_sub_i32 s55, s6, s5
	s_ashr_i32 s9, s8, 31
	s_mul_i32 s12, s55, s21
	s_sub_i32 s52, s3, s12
	s_lshr_b32 s3, s9, 26
	s_add_i32 s8, s8, s3
	s_abs_i32 s3, s22
	v_cvt_f32_u32_e32 v1, s3
	s_ashr_i32 s54, s20, 31
	s_lshr_b32 s5, s54, 26
	s_add_i32 s5, s20, s5
	v_rcp_iflag_f32_e32 v1, v1
	s_ashr_i32 s57, s22, 31
	s_ashr_i32 s56, s5, 6
	s_xor_b32 s5, s7, s57
	v_mul_f32_e32 v1, 0x4f7ffffe, v1
	v_cvt_u32_f32_e32 v1, v1
	s_sub_i32 s6, 0, s3
	s_ashr_i32 s28, s8, 6
	s_lshl_b32 s2, s2, 6
	v_readfirstlane_b32 s7, v1
	s_mul_i32 s6, s6, s7
	s_mul_hi_u32 s6, s7, s6
	s_add_i32 s7, s7, s6
	s_mul_hi_u32 s6, s4, s7
	s_mul_i32 s7, s6, s3
	s_sub_i32 s4, s4, s7
	s_add_i32 s7, s6, 1
	s_sub_i32 s8, s4, s3
	s_cmp_ge_u32 s4, s3
	s_cselect_b32 s6, s7, s6
	s_cselect_b32 s4, s8, s4
	s_add_i32 s7, s6, 1
	s_cmp_ge_u32 s4, s3
	s_cselect_b32 s3, s7, s6
	s_xor_b32 s3, s3, s5
	s_sub_i32 s3, s3, s5
	s_abs_i32 s13, s3
	v_cvt_f32_u32_e32 v1, s13
	s_sub_i32 s15, 0, s13
	s_abs_i32 s14, s52
	s_xor_b32 s3, s52, s3
	v_rcp_iflag_f32_e32 v2, v1
	s_ashr_i32 s3, s3, 31
	s_load_dwordx8 s[4:11], s[0:1], 0x28
	v_or_b32_e32 v76, s2, v88
	v_mul_f32_e32 v2, 0x4f7ffffe, v2
	v_cvt_u32_f32_e32 v2, v2
	v_lshrrev_b32_e32 v1, 6, v0
	v_lshlrev_b32_e32 v36, 7, v76
	v_lshlrev_b32_e32 v86, 4, v1
	v_readfirstlane_b32 s16, v2
	s_mul_i32 s15, s15, s16
	s_mul_hi_u32 s15, s16, s15
	s_add_i32 s16, s16, s15
	s_mul_hi_u32 s15, s14, s16
	s_mul_i32 s16, s15, s13
	s_sub_i32 s14, s14, s16
	s_add_i32 s16, s15, 1
	s_sub_i32 s17, s14, s13
	s_cmp_ge_u32 s14, s13
	s_cselect_b32 s15, s16, s15
	s_cselect_b32 s14, s17, s14
	s_add_i32 s16, s15, 1
	s_cmp_ge_u32 s14, s13
	s_cselect_b32 s13, s16, s15
	s_xor_b32 s13, s13, s3
	s_sub_i32 s58, s13, s3
	s_ashr_i32 s3, s55, 31
	s_ashr_i32 s53, s52, 31
	s_mul_hi_i32 s13, s55, s21
	s_add_u32 s42, s12, s52
	s_addc_u32 s43, s13, s53
	s_lshl_b64 s[34:35], s[42:43], 15
	s_waitcnt lgkmcnt(0)
	s_add_u32 s4, s4, s34
	v_or_b32_e32 v38, 0x800, v36
	v_lshl_or_b32 v91, v87, 2, v86
	s_addc_u32 s5, s5, s35
	v_ashrrev_i32_e32 v37, 31, v36
	v_ashrrev_i32_e32 v39, 31, v38
	v_lshl_add_u64 v[2:3], v[36:37], 1, s[4:5]
	v_lshlrev_b32_e32 v34, 1, v91
	v_lshl_add_u64 v[6:7], v[38:39], 1, s[4:5]
	v_or_b32_e32 v40, 0x1000, v36
	v_or_b32_e32 v42, 0x1800, v36
	v_lshl_add_u64 v[2:3], v[2:3], 0, v[34:35]
	v_lshl_add_u64 v[6:7], v[6:7], 0, v[34:35]
	v_ashrrev_i32_e32 v41, 31, v40
	v_ashrrev_i32_e32 v43, 31, v42
	global_load_dwordx2 v[4:5], v[2:3], off
	v_lshl_add_u64 v[14:15], v[42:43], 1, s[4:5]
	global_load_dwordx2 v[2:3], v[2:3], off offset:128
	s_nop 0
	global_load_dwordx2 v[8:9], v[6:7], off
	global_load_dwordx2 v[10:11], v[6:7], off offset:128
	v_lshl_add_u64 v[6:7], v[40:41], 1, s[4:5]
	v_lshl_add_u64 v[6:7], v[6:7], 0, v[34:35]
	;; [unrolled: 1-line block ×3, first 2 shown]
	global_load_dwordx2 v[12:13], v[6:7], off
	v_and_b32_e32 v35, 63, v0
	global_load_dwordx2 v[6:7], v[6:7], off offset:128
	s_nop 0
	global_load_dwordx2 v[16:17], v[14:15], off
	global_load_dwordx2 v[18:19], v[14:15], off offset:128
	s_load_dwordx8 s[12:19], s[0:1], 0x0
	s_load_dwordx2 s[36:37], s[0:1], 0x80
	v_lshrrev_b32_e32 v90, 3, v35
	v_or_b32_e32 v92, 64, v91
	s_mul_i32 s59, s55, s28
	s_cmp_lt_i32 s20, 64
	s_mul_i32 s60, s43, s20
	s_mul_hi_u32 s61, s42, s20
	s_mul_i32 s4, s42, s20
	s_mul_i32 s33, s55, s25
	s_mul_hi_u32 s48, s55, s24
	s_mul_i32 s43, s3, s24
	s_mul_i32 s40, s55, s24
	;; [unrolled: 1-line block ×3, first 2 shown]
	s_mul_hi_u32 s50, s52, s26
	s_mul_i32 s51, s53, s26
	s_mul_i32 s38, s52, s26
	s_waitcnt vmcnt(7)
	v_and_b32_e32 v71, 0xffff0000, v4
	v_lshlrev_b32_e32 v70, 16, v4
	v_and_b32_e32 v75, 0xffff0000, v5
	v_lshlrev_b32_e32 v74, 16, v5
	s_waitcnt vmcnt(6)
	v_and_b32_e32 v69, 0xffff0000, v2
	v_lshlrev_b32_e32 v68, 16, v2
	v_and_b32_e32 v73, 0xffff0000, v3
	v_lshlrev_b32_e32 v72, 16, v3
	;; [unrolled: 5-line block ×8, first 2 shown]
	s_cbranch_scc1 .LBB105_18
; %bb.1:
	s_add_i32 s5, s61, s60
	s_lshl_b64 s[0:1], s[4:5], 8
	v_and_b32_e32 v94, 56, v89
	s_waitcnt lgkmcnt(0)
	s_add_u32 s24, s14, s0
	v_lshl_or_b32 v93, v1, 3, v90
	v_lshlrev_b32_e32 v2, 1, v94
	s_addc_u32 s0, s15, s1
	v_lshl_or_b32 v95, v93, 8, v2
	s_and_b32 s25, s0, 0xffff
	s_mov_b32 s27, 0x20000
	s_movk_i32 s26, 0x4000
	s_movk_i32 s0, 0x80
	v_or_b32_e32 v96, 0x2000, v95
	buffer_load_dwordx4 v[4:7], v95, s[24:27], 0 offen
	buffer_load_dwordx4 v[8:11], v95, s[24:27], s0 offen
	buffer_load_dwordx4 v[12:15], v96, s[24:27], 0 offen
	buffer_load_dwordx4 v[16:19], v96, s[24:27], s0 offen
	v_lshlrev_b32_e32 v3, 3, v93
	v_and_or_b32 v21, v0, 7, v3
	v_and_b32_e32 v3, 0x78, v3
	v_lshlrev_b32_e32 v21, 4, v21
	v_xor_b32_e32 v97, v21, v3
	v_mul_lo_u32 v20, v93, s23
	v_or_b32_e32 v98, 0x1000, v97
	v_xor_b32_e32 v3, 8, v97
	s_cmpk_eq_i32 s23, 0x80
	s_mov_b32 s62, s22
	v_xor_b32_e32 v21, 8, v98
	s_cselect_b64 s[0:1], -1, 0
	s_cmpk_lg_i32 s23, 0x80
	s_waitcnt vmcnt(3)
	ds_write_b64 v97, v[4:5] offset:49152
	ds_write_b64 v3, v[6:7] offset:49152
	s_waitcnt vmcnt(2)
	ds_write_b64 v97, v[8:9] offset:57344
	ds_write_b64 v3, v[10:11] offset:57344
	;; [unrolled: 3-line block ×4, first 2 shown]
	v_lshl_add_u32 v3, v20, 1, v94
	s_cbranch_scc0 .LBB105_3
; %bb.2:
	v_lshlrev_b32_e32 v5, 1, v3
	v_add_lshl_u32 v4, v3, s23, 1
	s_lshl_b32 s26, s23, 7
	v_lshl_or_b32 v2, v93, 9, v2
	s_cbranch_execz .LBB105_4
	s_branch .LBB105_5
.LBB105_3:
                                        ; implicit-def: $vgpr4
                                        ; implicit-def: $vgpr5
                                        ; implicit-def: $sgpr26
	v_lshl_or_b32 v2, v93, 9, v2
.LBB105_4:
	v_or_b32_e32 v4, 0x100, v2
	s_movk_i32 s26, 0x4000
	v_mov_b32_e32 v5, v2
.LBB105_5:
	s_mul_hi_u32 s24, s22, s20
	s_mul_i32 s25, s57, s20
	s_add_i32 s24, s24, s25
	s_mul_i32 s25, s22, s20
	s_mul_i32 s27, s25, s3
	s_mul_hi_u32 s28, s25, s55
	s_add_i32 s27, s28, s27
	s_mul_i32 s24, s24, s55
	s_add_i32 s27, s27, s24
	s_mul_i32 s25, s25, s55
	s_ashr_i32 s63, s58, 31
	s_add_u32 s24, s25, s58
	s_addc_u32 s25, s27, s63
	s_lshl_b64 s[24:25], s[24:25], 8
	s_add_u32 s24, s12, s24
	s_addc_u32 s25, s13, s25
	s_and_b32 s25, s25, 0xffff
	s_mov_b32 s27, 0x20000
	s_movk_i32 s64, 0x80
	buffer_load_dwordx4 v[6:9], v5, s[24:27], 0 offen
	buffer_load_dwordx4 v[10:13], v5, s[24:27], s64 offen
	;; [unrolled: 1-line block ×4, first 2 shown]
	v_and_b32_e32 v5, 6, v0
	v_lshlrev_b32_e32 v4, 7, v91
	v_xor_b32_e32 v26, v93, v5
	v_and_b32_e32 v22, 1, v0
	v_lshl_or_b32 v29, v88, 3, v4
	v_lshlrev_b32_e32 v26, 2, v26
	v_or_b32_e32 v99, 0x4000, v29
	v_or_b32_e32 v100, 0x6000, v29
	v_xor_b32_e32 v29, 0x440, v26
	v_cmp_eq_u32_e32 vcc, 0, v22
	v_lshlrev_b32_e32 v23, 2, v88
	s_mov_b32 s66, 0x1000504
	v_cndmask_b32_e32 v22, v29, v26, vcc
	v_xor_b32_e32 v27, v91, v23
	v_xor_b32_e32 v28, v92, v23
	v_lshl_or_b32 v5, v5, 10, v22
	s_mov_b32 s67, 0x3020706
	v_lshlrev_b32_e32 v24, 8, v88
	v_or_b32_e32 v25, 16, v88
	v_lshlrev_b32_e32 v27, 1, v27
	v_lshlrev_b32_e32 v28, 1, v28
	v_xor_b32_e32 v22, 8, v5
	v_xor_b32_e32 v26, 24, v5
	;; [unrolled: 1-line block ×4, first 2 shown]
	s_mul_i32 s3, s3, s20
	s_mul_hi_u32 s24, s55, s20
	v_or_b32_e32 v102, v24, v27
	v_or_b32_e32 v103, v24, v28
	v_xor_b32_e32 v24, 16, v5
	v_xor_b32_e32 v29, 32, v5
	;; [unrolled: 1-line block ×3, first 2 shown]
	v_add_u32_e32 v22, 0x80, v22
	v_add_u32_e32 v26, 0x80, v26
	;; [unrolled: 1-line block ×4, first 2 shown]
	s_add_i32 s69, s24, s3
	s_add_i32 s3, s48, s33
	;; [unrolled: 1-line block ×5, first 2 shown]
	s_lshl_b64 s[24:25], s[40:41], 2
	s_add_u32 s3, s18, s24
	s_addc_u32 s28, s19, s25
	s_lshl_b64 s[24:25], s[38:39], 2
	s_add_u32 s44, s3, s24
	s_movk_i32 s3, 0xf8
	s_addc_u32 s45, s28, s25
	s_lshl_b32 s30, s23, 7
	s_movk_i32 s28, 0x100
	v_mov_b32_e32 v79, 0
	v_cmp_gt_u32_e32 vcc, s28, v0
	v_lshl_or_b32 v30, v25, 3, v4
	s_mov_b32 s65, 0
	s_mul_i32 s68, s55, s20
	v_or_b32_e32 v101, 0x4000, v30
	s_movk_i32 s26, 0x4000
	v_or_b32_e32 v104, 0x6000, v30
	s_movk_i32 s39, 0x2000
	s_movk_i32 s41, 0x3000
	v_mov_b32_e32 v142, 0x3fb8aa3b
	s_mov_b32 s71, 0
	s_waitcnt vmcnt(1)
	v_perm_b32 v77, v6, v14, s66
	s_waitcnt vmcnt(0)
	v_perm_b32 v78, v10, v18, s66
	v_perm_b32 v6, v6, v14, s67
	;; [unrolled: 1-line block ×15, first 2 shown]
	ds_write2st64_b32 v5, v77, v78 offset0:128 offset1:160
	ds_write2st64_b32 v22, v6, v10 offset0:128 offset1:160
	;; [unrolled: 1-line block ×8, first 2 shown]
	v_lshlrev_b32_e32 v5, 8, v25
	v_or_b32_e32 v105, v5, v27
	v_or_b32_e32 v106, v5, v28
	;; [unrolled: 1-line block ×3, first 2 shown]
	v_lshl_or_b32 v6, v5, 3, v4
	v_lshlrev_b32_e32 v5, 8, v5
	v_or_b32_e32 v109, v5, v27
	v_or_b32_e32 v110, v5, v28
	;; [unrolled: 1-line block ×5, first 2 shown]
	v_lshl_or_b32 v6, v5, 3, v4
	v_lshlrev_b32_e32 v5, 8, v5
	v_or_b32_e32 v113, v5, v27
	v_or_b32_e32 v114, v5, v28
	v_or_b32_e32 v5, v86, v88
	v_lshlrev_b32_e32 v5, 3, v5
	v_lshrrev_b32_e32 v7, 5, v35
	v_and_or_b32 v7, v5, s3, v7
	v_lshlrev_b32_e32 v7, 4, v7
	v_lshlrev_b32_e32 v8, 11, v1
	v_and_b32_e32 v5, 0x78, v5
	v_or_b32_e32 v13, 32, v7
	v_or_b32_e32 v111, 0x4000, v6
	;; [unrolled: 1-line block ×3, first 2 shown]
	v_and_b32_e32 v6, 0x1000, v8
	v_xor_b32_e32 v9, v7, v5
	v_lshrrev_b32_e32 v10, 1, v0
	v_xor_b32_e32 v13, v13, v5
	v_or_b32_e32 v9, v9, v6
	v_and_b32_e32 v11, 8, v10
	v_or_b32_e32 v13, v13, v6
	v_xor_b32_e32 v115, v9, v11
	v_lshlrev_b32_e32 v9, 8, v87
	v_xor_b32_e32 v117, v13, v11
	v_or_b32_e32 v13, 64, v7
	v_or_b32_e32 v7, 0x60, v7
	s_ashr_i32 s3, s2, 31
	v_or_b32_e32 v12, v9, v23
	v_xor_b32_e32 v13, v13, v5
	v_xor_b32_e32 v5, v7, v5
	s_lshl_b64 s[24:25], s[2:3], 8
	v_lshlrev_b32_e32 v12, 1, v12
	v_or_b32_e32 v13, v13, v6
	v_or_b32_e32 v5, v5, v6
	s_add_u32 s24, s6, s24
	v_lshlrev_b32_e32 v6, 1, v88
	v_or_b32_e32 v116, 0x4000, v12
	v_or_b32_e32 v118, 0x4080, v12
	;; [unrolled: 1-line block ×8, first 2 shown]
	v_lshrrev_b32_e32 v12, 4, v0
	s_addc_u32 s25, s7, s25
	v_or_b32_e32 v7, 1, v6
	v_lshlrev_b32_e32 v78, 4, v88
	v_mov_b32_e32 v16, 0xa000
	v_mov_b32_e32 v17, 0x8000
	v_xor_b32_e32 v121, v13, v11
	v_xor_b32_e32 v13, v12, v6
	;; [unrolled: 1-line block ×3, first 2 shown]
	v_lshl_add_u64 v[6:7], s[24:25], 0, v[78:79]
	v_lshlrev_b32_e32 v78, 8, v12
	v_cndmask_b32_e32 v16, v16, v17, vcc
	v_lshlrev_b32_e32 v17, 3, v1
	v_and_b32_e32 v10, 24, v10
	v_lshl_or_b32 v127, v13, 3, v78
	v_and_b32_e32 v13, 8, v0
	v_xor_b32_e32 v18, v17, v10
	v_or_b32_e32 v19, 0x440, v18
	v_cmp_eq_u32_e32 vcc, 0, v13
	v_and_b32_e32 v12, 7, v0
	v_lshl_or_b32 v128, v14, 3, v78
	v_cndmask_b32_e32 v13, v19, v18, vcc
	v_lshlrev_b32_e32 v14, 3, v12
	v_lshlrev_b32_e32 v12, 7, v12
	v_or_b32_e32 v13, v13, v8
	v_lshlrev_b32_e32 v15, 2, v0
	v_xad_u32 v129, v13, v14, v12
	v_or_b32_e32 v13, 32, v10
	v_and_or_b32 v9, v15, 60, v9
	v_xor_b32_e32 v13, v17, v13
	v_lshlrev_b32_e32 v9, 1, v9
	v_or_b32_e32 v15, 0x440, v13
	v_or_b32_e32 v130, 0x6000, v9
	v_cndmask_b32_e32 v13, v15, v13, vcc
	v_or_b32_e32 v132, 0x6080, v9
	v_or_b32_e32 v133, 0x6100, v9
	;; [unrolled: 1-line block ×5, first 2 shown]
	v_xor_b32_e32 v9, v17, v9
	v_xad_u32 v131, v13, v14, v12
	v_xor_b32_e32 v13, 0x440, v9
	v_cndmask_b32_e32 v9, v13, v9, vcc
	v_or_b32_e32 v9, v9, v8
	v_xad_u32 v135, v9, v14, v12
	v_or_b32_e32 v9, 0x60, v10
	v_xor_b32_e32 v9, v17, v9
	v_xor_b32_e32 v10, 0x440, v9
	v_cndmask_b32_e32 v9, v10, v9, vcc
	v_xor_b32_e32 v122, v5, v11
	v_ashrrev_i32_e32 v77, 31, v76
	v_lshlrev_b32_e32 v5, 1, v3
	v_add_lshl_u32 v3, v3, s23, 1
	v_or_b32_e32 v11, 0x100, v2
	v_or_b32_e32 v8, v9, v8
	v_xad_u32 v136, v8, v14, v12
	v_cndmask_b32_e64 v137, v5, v2, s[0:1]
	v_cndmask_b32_e64 v138, v3, v11, s[0:1]
	v_lshlrev_b64 v[2:3], 1, v[76:77]
	v_lshl_add_u64 v[80:81], s[16:17], 0, v[2:3]
	v_lshl_add_u64 v[82:83], s[8:9], 0, v[2:3]
	;; [unrolled: 1-line block ×3, first 2 shown]
	s_mov_b32 s3, 0x7060302
	v_lshlrev_b32_e32 v78, 1, v4
	v_add_u32_e32 v77, v16, v129
	v_add_u32_e32 v139, v16, v131
	;; [unrolled: 1-line block ×4, first 2 shown]
	s_waitcnt lgkmcnt(0)
	s_barrier
.LBB105_6:                              ; =>This Inner Loop Header: Depth=1
	s_add_i32 s70, s71, 1
	s_cmp_lt_i32 s70, s56
	s_mov_b64 s[28:29], 0
	s_cselect_b64 s[46:47], -1, 0
	s_cmp_ge_i32 s70, s56
	s_mov_b64 s[24:25], 0
	s_cbranch_scc1 .LBB105_8
; %bb.7:                                ;   in Loop: Header=BB105_6 Depth=1
	s_add_i32 s0, s65, 64
	s_add_u32 s0, s4, s0
	s_addc_u32 s1, s5, 0
	s_lshl_b64 s[0:1], s[0:1], 8
	s_add_u32 s24, s14, s0
	s_addc_u32 s25, s15, s1
.LBB105_8:                              ;   in Loop: Header=BB105_6 Depth=1
	v_cndmask_b32_e64 v2, 0, 1, s[46:47]
	v_cmp_ne_u32_e64 s[0:1], 1, v2
	s_andn2_b64 vcc, exec, s[46:47]
	s_cbranch_vccnz .LBB105_10
; %bb.9:                                ;   in Loop: Header=BB105_6 Depth=1
	s_add_i32 s28, s65, 64
	s_add_u32 s28, s68, s28
	s_addc_u32 s29, s69, 0
	s_mul_i32 s31, s28, s57
	s_mul_hi_u32 s46, s28, s62
	s_add_i32 s31, s46, s31
	s_mul_i32 s29, s29, s62
	s_add_i32 s31, s31, s29
	s_mul_i32 s28, s28, s62
	s_add_u32 s28, s28, s58
	s_addc_u32 s29, s31, s63
	s_lshl_b64 s[28:29], s[28:29], 8
	s_add_u32 s28, s12, s28
	s_addc_u32 s29, s13, s29
.LBB105_10:                             ;   in Loop: Header=BB105_6 Depth=1
	v_perm_b32 v3, v75, v74, s3
	v_perm_b32 v2, v71, v70, s3
	v_perm_b32 v5, v73, v72, s3
	v_perm_b32 v4, v69, v68, s3
	ds_write_b64 v99, v[2:3]
	ds_write_b64 v100, v[4:5]
	ds_write_b64 v102, v[2:3]
	ds_write_b64 v103, v[4:5]
	v_perm_b32 v3, v67, v66, s3
	v_perm_b32 v2, v63, v62, s3
	v_perm_b32 v5, v65, v64, s3
	v_perm_b32 v4, v61, v60, s3
	ds_write_b64 v101, v[2:3]
	ds_write_b64 v104, v[4:5]
	ds_write_b64 v105, v[2:3]
	ds_write_b64 v106, v[4:5]
	;; [unrolled: 8-line block ×4, first 2 shown]
	s_waitcnt lgkmcnt(0)
	s_barrier
	ds_read_b64 v[6:7], v115 offset:49152
	ds_read2_b64 v[2:5], v116 offset1:16
	ds_read_b64 v[18:19], v118 offset:6144
	ds_read_b64 v[20:21], v116 offset:6144
	s_waitcnt lgkmcnt(2)
	v_mfma_f32_16x16x16_bf16 a[0:3], v[6:7], v[2:3], 0
	ds_read_b64 v[22:23], v117 offset:49152
	ds_read2st64_b64 v[10:13], v119 offset0:4 offset1:8
	ds_read2st64_b64 v[14:17], v120 offset0:4 offset1:8
	v_mfma_f32_16x16x16_bf16 a[4:7], v[6:7], v[4:5], 0
	ds_read2_b64 v[2:5], v116 offset0:32 offset1:48
	s_add_i32 s31, s65, 63
	s_mul_i32 s46, s31, s37
	s_waitcnt lgkmcnt(0)
	v_mfma_f32_16x16x16_bf16 a[8:11], v[6:7], v[2:3], 0
	s_mul_hi_u32 s47, s31, s36
	s_add_i32 s47, s47, s46
	s_mul_i32 s46, s31, s36
	v_mfma_f32_16x16x16_bf16 a[12:15], v[6:7], v[4:5], 0
	ds_read2st64_b64 v[2:5], v116 offset0:4 offset1:8
	ds_read2st64_b64 v[6:9], v118 offset0:4 offset1:8
	s_lshl_b64 s[46:47], s[46:47], 2
	s_waitcnt lgkmcnt(1)
	v_mfma_f32_16x16x16_bf16 a[0:3], v[22:23], v[2:3], a[0:3]
	s_add_u32 s46, s44, s46
	s_addc_u32 s47, s45, s47
	s_and_b64 vcc, exec, s[0:1]
	s_waitcnt lgkmcnt(0)
	v_mfma_f32_16x16x16_bf16 a[4:7], v[22:23], v[6:7], a[4:7]
	v_mov_b32_e32 v145, 0
	v_mov_b32_e32 v144, 0
	;; [unrolled: 1-line block ×3, first 2 shown]
	v_mfma_f32_16x16x16_bf16 a[8:11], v[22:23], v[10:11], a[8:11]
	ds_read_b64 v[2:3], v121 offset:49152
	ds_read_b64 v[6:7], v122 offset:49152
	;; [unrolled: 1-line block ×3, first 2 shown]
	v_mfma_f32_16x16x16_bf16 a[12:15], v[22:23], v[14:15], a[12:15]
	v_mov_b32_e32 v14, 0
	v_mov_b32_e32 v15, 0
	s_waitcnt lgkmcnt(2)
	v_mfma_f32_16x16x16_bf16 a[0:3], v[2:3], v[4:5], a[0:3]
	v_mov_b32_e32 v4, 0
	v_mov_b32_e32 v5, 0
	v_mfma_f32_16x16x16_bf16 a[4:7], v[2:3], v[8:9], a[4:7]
	v_mov_b32_e32 v8, 0
	v_mov_b32_e32 v9, 0
	;; [unrolled: 3-line block ×3, first 2 shown]
	v_mfma_f32_16x16x16_bf16 a[12:15], v[2:3], v[16:17], a[12:15]
	ds_read_b64 v[2:3], v119 offset:6144
	v_mov_b32_e32 v16, 0
	v_mov_b32_e32 v17, 0
	s_waitcnt lgkmcnt(2)
	v_mfma_f32_16x16x16_bf16 a[0:3], v[6:7], v[20:21], a[0:3]
	v_mfma_f32_16x16x16_bf16 a[4:7], v[6:7], v[18:19], a[4:7]
	s_waitcnt lgkmcnt(0)
	v_mfma_f32_16x16x16_bf16 a[8:11], v[6:7], v[2:3], a[8:11]
	v_mov_b32_e32 v2, 0
	v_mov_b32_e32 v3, 0
	v_mfma_f32_16x16x16_bf16 a[12:15], v[6:7], v[10:11], a[12:15]
	v_mov_b32_e32 v6, 0
	v_mov_b32_e32 v7, 0
	;; [unrolled: 1-line block ×4, first 2 shown]
	s_cbranch_vccnz .LBB105_12
; %bb.11:                               ;   in Loop: Header=BB105_6 Depth=1
	s_and_b32 s25, s25, 0xffff
	buffer_load_dwordx4 v[14:17], v95, s[24:27], 0 offen
	buffer_load_dwordx4 v[10:13], v95, s[24:27], s64 offen
	;; [unrolled: 1-line block ×4, first 2 shown]
	v_mov_b32_e32 v144, v97
	v_mov_b32_e32 v143, v98
.LBB105_12:                             ;   in Loop: Header=BB105_6 Depth=1
	ds_read_b64 v[150:151], v115 offset:57344
	ds_read2_b64 v[18:21], v123 offset1:16
	ds_read_b64 v[152:153], v117 offset:57344
	ds_read_b64 v[154:155], v121 offset:57344
	;; [unrolled: 1-line block ×3, first 2 shown]
	s_waitcnt lgkmcnt(3)
	v_mfma_f32_16x16x16_bf16 a[0:3], v[150:151], v[18:19], a[0:3]
	v_mfma_f32_16x16x16_bf16 a[4:7], v[150:151], v[20:21], a[4:7]
	ds_read2_b64 v[18:21], v123 offset0:32 offset1:48
	ds_read2st64_b64 v[22:25], v123 offset0:4 offset1:8
	ds_read2st64_b64 v[26:29], v124 offset0:4 offset1:8
	;; [unrolled: 1-line block ×4, first 2 shown]
	s_waitcnt lgkmcnt(4)
	v_mfma_f32_16x16x16_bf16 a[8:11], v[150:151], v[18:19], a[8:11]
	v_mfma_f32_16x16x16_bf16 a[12:15], v[150:151], v[20:21], a[12:15]
	v_add_u32_e32 v150, s65, v91
	v_ashrrev_i32_e32 v18, 31, v150
	v_mul_lo_u32 v20, v18, s36
	v_mul_lo_u32 v21, v150, s37
	v_mad_u64_u32 v[18:19], s[24:25], v150, s36, 0
	v_add3_u32 v19, v19, v21, v20
	v_add_u32_e32 v20, 1, v150
	v_ashrrev_i32_e32 v21, 31, v20
	s_waitcnt lgkmcnt(3)
	v_mfma_f32_16x16x16_bf16 a[0:3], v[152:153], v[22:23], a[0:3]
	v_mul_lo_u32 v22, v21, s36
	v_mul_lo_u32 v23, v20, s37
	v_mad_u64_u32 v[20:21], s[24:25], v20, s36, 0
	v_add3_u32 v21, v21, v23, v22
	v_add_u32_e32 v22, 2, v150
	v_ashrrev_i32_e32 v23, 31, v22
	s_waitcnt lgkmcnt(2)
	v_mfma_f32_16x16x16_bf16 a[4:7], v[152:153], v[26:27], a[4:7]
	v_mul_lo_u32 v26, v23, s36
	v_mul_lo_u32 v27, v22, s37
	v_mad_u64_u32 v[22:23], s[24:25], v22, s36, 0
	v_add3_u32 v23, v23, v27, v26
	v_add_u32_e32 v26, 3, v150
	v_lshl_add_u64 v[18:19], v[18:19], 2, s[44:45]
	v_lshl_add_u64 v[20:21], v[20:21], 2, s[44:45]
	v_ashrrev_i32_e32 v27, 31, v26
	s_waitcnt lgkmcnt(1)
	v_mfma_f32_16x16x16_bf16 a[8:11], v[152:153], v[30:31], a[8:11]
	v_mul_lo_u32 v27, v27, s36
	global_load_dword v30, v[18:19], off
	v_mul_lo_u32 v31, v26, s37
	s_waitcnt lgkmcnt(0)
	v_mfma_f32_16x16x16_bf16 a[12:15], v[152:153], v[146:147], a[12:15]
	global_load_dword v146, v[20:21], off
	v_mad_u64_u32 v[18:19], s[24:25], v26, s36, 0
	v_add3_u32 v19, v19, v31, v27
	s_add_u32 s24, s4, s65
	v_lshl_add_u64 v[22:23], v[22:23], 2, s[44:45]
	v_lshl_add_u64 v[18:19], v[18:19], 2, s[44:45]
	s_addc_u32 s25, s5, 0
	global_load_dword v31, v[22:23], off
	global_load_dword v147, v[18:19], off
	s_lshl_b64 s[24:25], s[24:25], 8
	v_lshl_add_u64 v[18:19], v[80:81], 0, s[24:25]
	v_lshl_add_u64 v[18:19], v[18:19], 0, v[78:79]
	global_load_ushort v150, v[18:19], off offset:256
	global_load_ushort v151, v[18:19], off
	global_load_ushort v152, v[18:19], off offset:768
	global_load_ushort v153, v[18:19], off offset:512
	;; [unrolled: 1-line block ×6, first 2 shown]
	s_load_dword s46, s[46:47], 0x0
	v_mfma_f32_16x16x16_bf16 a[12:15], v[154:155], v[148:149], a[12:15]
	global_load_ushort v148, v[18:19], off offset:320
	global_load_ushort v149, v[18:19], off offset:64
	s_and_b64 vcc, exec, s[0:1]
	v_mfma_f32_16x16x16_bf16 a[0:3], v[154:155], v[24:25], a[0:3]
	ds_read_b64 v[20:21], v123 offset:6144
	ds_read_b64 v[22:23], v124 offset:6144
	;; [unrolled: 1-line block ×4, first 2 shown]
	v_mfma_f32_16x16x16_bf16 a[4:7], v[154:155], v[28:29], a[4:7]
	s_waitcnt vmcnt(11) lgkmcnt(0)
	v_sub_f32_e32 v28, s46, v31
	v_mfma_f32_16x16x16_bf16 a[8:11], v[154:155], v[32:33], a[8:11]
	global_load_ushort v154, v[18:19], off offset:832
	global_load_ushort v155, v[18:19], off offset:576
	;; [unrolled: 1-line block ×6, first 2 shown]
	v_mfma_f32_16x16x16_bf16 a[0:3], v[156:157], v[20:21], a[0:3]
	s_waitcnt vmcnt(16)
	v_sub_f32_e32 v29, s46, v147
	v_mul_f32_e32 v28, 0x3fb8aa3b, v28
	v_mul_f32_e32 v29, 0x3fb8aa3b, v29
	v_exp_f32_e32 v28, v28
	v_exp_f32_e32 v29, v29
	s_waitcnt vmcnt(15)
	v_lshlrev_b32_e32 v33, 16, v150
	s_waitcnt vmcnt(14)
	v_lshlrev_b32_e32 v32, 16, v151
	v_accvgpr_read_b32 v21, a3
	v_accvgpr_read_b32 v20, a2
	v_mfma_f32_16x16x16_bf16 a[2:5], v[156:157], v[22:23], a[4:7]
	v_mfma_f32_16x16x16_bf16 a[6:9], v[156:157], v[24:25], a[8:11]
	s_nop 5
	v_accvgpr_read_b32 v23, a5
	v_accvgpr_read_b32 v22, a4
	;; [unrolled: 1-line block ×4, first 2 shown]
	v_mfma_f32_16x16x16_bf16 a[8:11], v[156:157], v[26:27], a[12:15]
	v_sub_f32_e32 v26, s46, v30
	v_sub_f32_e32 v27, s46, v146
	v_mul_f32_e32 v26, 0x3fb8aa3b, v26
	v_mul_f32_e32 v27, 0x3fb8aa3b, v27
	v_exp_f32_e32 v26, v26
	v_exp_f32_e32 v27, v27
	v_accvgpr_read_b32 v147, a1
	v_accvgpr_read_b32 v146, a0
	v_lshl_add_u64 v[30:31], v[82:83], 0, s[24:25]
	v_pk_add_f32 v[32:33], v[32:33], v[146:147] neg_lo:[0,1] neg_hi:[0,1]
	s_waitcnt vmcnt(13)
	v_lshlrev_b32_e32 v147, 16, v152
	s_waitcnt vmcnt(12)
	v_lshlrev_b32_e32 v146, 16, v153
	v_lshl_add_u64 v[30:31], v[30:31], 0, v[78:79]
	v_pk_add_f32 v[20:21], v[146:147], v[20:21] neg_lo:[0,1] neg_hi:[0,1]
	global_store_short_d16_hi v[30:31], v32, off
	global_store_short_d16_hi v[30:31], v33, off offset:256
	global_store_short_d16_hi v[30:31], v20, off offset:512
	;; [unrolled: 1-line block ×3, first 2 shown]
	v_pk_mul_f32 v[32:33], v[26:27], v[32:33]
	v_pk_mul_f32 v[20:21], v[28:29], v[20:21]
	v_accvgpr_read_b32 v147, a3
	v_perm_b32 v21, v21, v20, s3
	v_perm_b32 v20, v33, v32, s3
	s_waitcnt vmcnt(15)
	v_lshlrev_b32_e32 v33, 16, v158
	s_waitcnt vmcnt(14)
	v_lshlrev_b32_e32 v32, 16, v159
	v_accvgpr_read_b32 v146, a2
	v_pk_add_f32 v[32:33], v[32:33], v[146:147] neg_lo:[0,1] neg_hi:[0,1]
	s_waitcnt vmcnt(13)
	v_lshlrev_b32_e32 v147, 16, v160
	s_waitcnt vmcnt(12)
	v_lshlrev_b32_e32 v146, 16, v161
	v_pk_add_f32 v[22:23], v[146:147], v[22:23] neg_lo:[0,1] neg_hi:[0,1]
	global_store_short_d16_hi v[30:31], v32, off offset:32
	global_store_short_d16_hi v[30:31], v33, off offset:288
	global_store_short_d16_hi v[30:31], v22, off offset:544
	global_store_short_d16_hi v[30:31], v23, off offset:800
	v_pk_mul_f32 v[32:33], v[26:27], v[32:33]
	v_pk_mul_f32 v[22:23], v[28:29], v[22:23]
	v_accvgpr_read_b32 v25, a11
	v_perm_b32 v23, v23, v22, s3
	v_perm_b32 v22, v33, v32, s3
	ds_write2_b64 v100, v[20:21], v[22:23] offset1:16
	v_accvgpr_read_b32 v23, a7
	s_waitcnt vmcnt(15)
	v_lshlrev_b32_e32 v21, 16, v148
	s_waitcnt vmcnt(14)
	v_lshlrev_b32_e32 v20, 16, v149
	v_accvgpr_read_b32 v22, a6
	v_pk_add_f32 v[20:21], v[20:21], v[22:23] neg_lo:[0,1] neg_hi:[0,1]
	global_store_short_d16_hi v[30:31], v20, off offset:64
	global_store_short_d16_hi v[30:31], v21, off offset:320
	v_pk_mul_f32 v[20:21], v[26:27], v[20:21]
	v_accvgpr_read_b32 v24, a10
	v_perm_b32 v20, v21, v20, s3
	v_mov_b32_e32 v146, 0
	v_mov_b32_e32 v32, 0
	;; [unrolled: 1-line block ×3, first 2 shown]
	s_waitcnt vmcnt(15)
	v_lshlrev_b32_e32 v23, 16, v154
	s_waitcnt vmcnt(14)
	v_lshlrev_b32_e32 v22, 16, v155
	v_pk_add_f32 v[18:19], v[22:23], v[18:19] neg_lo:[0,1] neg_hi:[0,1]
	global_store_short_d16_hi v[30:31], v18, off offset:576
	global_store_short_d16_hi v[30:31], v19, off offset:832
	v_pk_mul_f32 v[18:19], v[28:29], v[18:19]
	v_accvgpr_read_b32 v23, a9
	v_perm_b32 v21, v19, v18, s3
	s_waitcnt vmcnt(15)
	v_lshlrev_b32_e32 v19, 16, v162
	s_waitcnt vmcnt(14)
	v_lshlrev_b32_e32 v18, 16, v163
	v_accvgpr_read_b32 v22, a8
	v_pk_add_f32 v[18:19], v[18:19], v[22:23] neg_lo:[0,1] neg_hi:[0,1]
	s_waitcnt vmcnt(13)
	v_lshlrev_b32_e32 v23, 16, v164
	s_waitcnt vmcnt(12)
	v_lshlrev_b32_e32 v22, 16, v165
	v_pk_add_f32 v[22:23], v[22:23], v[24:25] neg_lo:[0,1] neg_hi:[0,1]
	global_store_short_d16_hi v[30:31], v18, off offset:96
	global_store_short_d16_hi v[30:31], v19, off offset:352
	;; [unrolled: 1-line block ×4, first 2 shown]
	v_pk_mul_f32 v[18:19], v[26:27], v[18:19]
	v_pk_mul_f32 v[22:23], v[28:29], v[22:23]
	v_mov_b32_e32 v24, 0
	v_perm_b32 v23, v23, v22, s3
	v_perm_b32 v22, v19, v18, s3
	ds_write2_b64 v100, v[20:21], v[22:23] offset0:32 offset1:48
	v_mov_b32_e32 v18, 0
	v_mov_b32_e32 v19, 0
	;; [unrolled: 1-line block ×13, first 2 shown]
	s_cbranch_vccnz .LBB105_14
; %bb.13:                               ;   in Loop: Header=BB105_6 Depth=1
	s_and_b32 s29, s29, 0xffff
	s_mov_b32 s31, s27
	buffer_load_dwordx4 v[30:33], v137, s[28:31], 0 offen
	buffer_load_dwordx4 v[22:25], v137, s[28:31], s64 offen
	;; [unrolled: 1-line block ×4, first 2 shown]
	v_mov_b32_e32 v145, v94
	v_mov_b32_e32 v146, v93
.LBB105_14:                             ;   in Loop: Header=BB105_6 Depth=1
	s_waitcnt lgkmcnt(0)
	s_barrier
	ds_read_b64 v[156:157], v77
	ds_read2_b64 v[148:151], v130 offset1:16
	ds_read_b64 v[172:173], v139
	ds_read_b64 v[174:175], v140
	;; [unrolled: 1-line block ×3, first 2 shown]
	ds_read2_b64 v[152:155], v130 offset0:32 offset1:48
	s_waitcnt lgkmcnt(4)
	v_mfma_f32_16x16x16_bf16 a[0:3], v[156:157], v[148:149], 0
	ds_read2st64_b64 v[160:163], v132 offset0:4 offset1:8
	ds_read2st64_b64 v[164:167], v133 offset0:4 offset1:8
	;; [unrolled: 1-line block ×3, first 2 shown]
	v_mfma_f32_16x16x16_bf16 a[4:7], v[156:157], v[150:151], 0
	s_add_i32 s24, s59, s71
	s_mul_hi_i32 s25, s24, s21
	s_mul_i32 s24, s24, s21
	s_waitcnt lgkmcnt(3)
	v_mfma_f32_16x16x16_bf16 a[8:11], v[156:157], v[152:153], 0
	s_add_u32 s24, s24, s52
	s_addc_u32 s25, s25, s53
	s_lshl_b64 s[24:25], s[24:25], 15
	v_mfma_f32_16x16x16_bf16 a[12:15], v[156:157], v[154:155], 0
	ds_read2st64_b64 v[156:159], v130 offset0:4 offset1:8
	s_waitcnt lgkmcnt(0)
	v_mfma_f32_16x16x16_bf16 a[0:3], v[172:173], v[156:157], a[0:3]
	v_mfma_f32_16x16x16_bf16 a[4:7], v[172:173], v[160:161], a[4:7]
	;; [unrolled: 1-line block ×8, first 2 shown]
	ds_read_b64 v[172:173], v130 offset:6144
	ds_read_b64 v[174:175], v131 offset:40960
	;; [unrolled: 1-line block ×8, first 2 shown]
	s_waitcnt lgkmcnt(5)
	v_mfma_f32_16x16x16_bf16 a[16:19], v[178:179], v[148:149], 0
	v_mfma_f32_16x16x16_bf16 a[20:23], v[178:179], v[150:151], 0
	ds_read2st64_b64 v[148:151], v127 offset1:8
	v_mfma_f32_16x16x16_bf16 a[24:27], v[178:179], v[152:153], 0
	v_mfma_f32_16x16x16_bf16 a[28:31], v[178:179], v[154:155], 0
	ds_read2st64_b64 v[152:155], v128 offset1:8
	v_mfma_f32_16x16x16_bf16 a[16:19], v[174:175], v[156:157], a[16:19]
	s_waitcnt lgkmcnt(1)
	v_mov_b32_e32 v156, v148
	v_mov_b32_e32 v157, v149
	v_mfma_f32_16x16x16_bf16 a[20:23], v[174:175], v[160:161], a[20:23]
	v_lshl_add_u64 v[160:161], v[84:85], 0, s[24:25]
	v_mfma_f32_16x16x16_bf16 a[24:27], v[174:175], v[164:165], a[24:27]
	v_mfma_f32_16x16x16_bf16 a[28:31], v[174:175], v[168:169], a[28:31]
	;; [unrolled: 1-line block ×3, first 2 shown]
	s_waitcnt lgkmcnt(0)
	v_mov_b32_e32 v158, v152
	v_mov_b32_e32 v159, v153
	;; [unrolled: 1-line block ×3, first 2 shown]
	v_mfma_f32_16x16x16_bf16 a[32:35], v[186:187], v[162:163], a[20:23]
	v_mov_b32_e32 v153, v151
	ds_read2st64_b64 v[148:151], v127 offset0:16 offset1:24
	global_store_dwordx4 v[160:161], v[156:159], off
	v_mfma_f32_16x16x16_bf16 a[24:27], v[186:187], v[166:167], a[24:27]
	ds_read2st64_b64 v[156:159], v128 offset0:16 offset1:24
	v_add_co_u32_e32 v162, vcc, s39, v160
	v_mfma_f32_16x16x16_bf16 a[28:31], v[186:187], v[170:171], a[28:31]
	s_nop 0
	v_addc_co_u32_e32 v163, vcc, 0, v161, vcc
	global_store_dwordx4 v[162:163], v[152:155], off offset:-4096
	v_mfma_f32_16x16x16_bf16 a[0:3], v[176:177], v[172:173], a[0:3]
	s_waitcnt lgkmcnt(1)
	v_mov_b32_e32 v152, v148
	v_add_co_u32_e32 v148, vcc, s41, v160
	v_mfma_f32_16x16x16_bf16 a[4:7], v[176:177], v[180:181], a[4:7]
	v_mov_b32_e32 v153, v149
	v_addc_co_u32_e32 v149, vcc, 0, v161, vcc
	v_mfma_f32_16x16x16_bf16 a[8:11], v[176:177], v[182:183], a[8:11]
	s_waitcnt lgkmcnt(0)
	v_mov_b32_e32 v154, v156
	v_mov_b32_e32 v155, v157
	;; [unrolled: 1-line block ×3, first 2 shown]
	v_mfma_f32_16x16x16_bf16 a[12:15], v[176:177], v[184:185], a[12:15]
	v_mov_b32_e32 v157, v151
	s_and_b64 vcc, exec, s[0:1]
	global_store_dwordx4 v[162:163], v[152:155], off
	v_mfma_f32_16x16x16_bf16 a[20:23], v[188:189], v[172:173], a[16:19]
	global_store_dwordx4 v[148:149], v[156:159], off
	v_mfma_f32_16x16x16_bf16 a[16:19], v[188:189], v[180:181], a[32:35]
	v_mfma_f32_16x16x16_bf16 a[24:27], v[188:189], v[182:183], a[24:27]
	;; [unrolled: 1-line block ×3, first 2 shown]
	s_cbranch_vccnz .LBB105_16
; %bb.15:                               ;   in Loop: Header=BB105_6 Depth=1
	v_lshrrev_b32_e32 v147, 3, v145
	v_and_b32_e32 v147, 6, v147
	v_xor_b32_e32 v146, v147, v146
	v_lshlrev_b32_e32 v146, 2, v146
	v_and_b32_e32 v145, 8, v145
	v_xor_b32_e32 v148, 0x440, v146
	v_cmp_eq_u32_e32 vcc, 0, v145
	s_barrier
	s_nop 0
	v_cndmask_b32_e32 v145, v148, v146, vcc
	v_lshl_or_b32 v145, v147, 10, v145
	s_waitcnt vmcnt(5)
	v_perm_b32 v146, v30, v26, s66
	s_waitcnt vmcnt(4)
	v_perm_b32 v147, v22, v18, s66
	ds_write2st64_b32 v145, v146, v147 offset0:128 offset1:160
	v_xor_b32_e32 v146, 8, v145
	v_perm_b32 v26, v30, v26, s67
	v_perm_b32 v18, v22, v18, s67
	v_add_u32_e32 v22, 0x80, v146
	ds_write2st64_b32 v22, v26, v18 offset0:128 offset1:160
	v_xor_b32_e32 v18, 16, v145
	v_perm_b32 v22, v31, v27, s66
	v_perm_b32 v26, v23, v19, s66
	ds_write2st64_b32 v18, v22, v26 offset0:129 offset1:161
	v_xor_b32_e32 v18, 24, v145
	v_perm_b32 v22, v31, v27, s67
	v_perm_b32 v19, v23, v19, s67
	v_add_u32_e32 v18, 0x80, v18
	ds_write2st64_b32 v18, v22, v19 offset0:129 offset1:161
	v_xor_b32_e32 v18, 32, v145
	v_perm_b32 v19, v32, v28, s66
	v_perm_b32 v22, v24, v20, s66
	ds_write2st64_b32 v18, v19, v22 offset0:130 offset1:162
	v_xor_b32_e32 v18, 40, v145
	v_perm_b32 v19, v32, v28, s67
	v_perm_b32 v20, v24, v20, s67
	v_add_u32_e32 v18, 0x80, v18
	ds_write2st64_b32 v18, v19, v20 offset0:130 offset1:162
	v_xor_b32_e32 v18, 48, v145
	v_perm_b32 v19, v33, v29, s66
	v_perm_b32 v20, v25, v21, s66
	ds_write2st64_b32 v18, v19, v20 offset0:131 offset1:163
	v_xor_b32_e32 v18, 56, v145
	v_perm_b32 v19, v33, v29, s67
	v_perm_b32 v20, v25, v21, s67
	v_add_u32_e32 v18, 0x80, v18
	ds_write2st64_b32 v18, v19, v20 offset0:131 offset1:163
	ds_write_b64 v144, v[14:15] offset:49152
	v_xor_b32_e32 v14, 8, v144
	ds_write_b64 v14, v[16:17] offset:49152
	ds_write_b64 v144, v[10:11] offset:57344
	;; [unrolled: 1-line block ×4, first 2 shown]
	v_xor_b32_e32 v6, 8, v143
	ds_write_b64 v6, v[8:9] offset:49152
	ds_write_b64 v143, v[2:3] offset:57344
	;; [unrolled: 1-line block ×3, first 2 shown]
.LBB105_16:                             ;   in Loop: Header=BB105_6 Depth=1
	s_waitcnt vmcnt(6)
	v_mul_f32_e32 v22, s46, v142
	v_exp_f32_e32 v144, v22
	v_accvgpr_read_b32 v5, a3
	v_accvgpr_read_b32 v9, a7
	;; [unrolled: 1-line block ×4, first 2 shown]
	s_waitcnt vmcnt(4)
	v_accvgpr_read_b32 v18, a20
	v_accvgpr_read_b32 v25, a19
	v_accvgpr_read_b32 v29, a27
	v_accvgpr_read_b32 v33, a31
	v_accvgpr_read_b32 v4, a2
	v_accvgpr_read_b32 v3, a1
	v_accvgpr_read_b32 v2, a0
	v_accvgpr_read_b32 v8, a6
	v_accvgpr_read_b32 v7, a5
	v_accvgpr_read_b32 v6, a4
	v_accvgpr_read_b32 v12, a10
	v_accvgpr_read_b32 v11, a9
	v_accvgpr_read_b32 v10, a8
	v_accvgpr_read_b32 v16, a14
	v_accvgpr_read_b32 v15, a13
	v_accvgpr_read_b32 v14, a12
	v_accvgpr_read_b32 v19, a21
	v_accvgpr_read_b32 v20, a22
	v_accvgpr_read_b32 v21, a23
	v_accvgpr_read_b32 v24, a18
	v_accvgpr_read_b32 v23, a17
	v_accvgpr_read_b32 v22, a16
	v_accvgpr_read_b32 v28, a26
	v_accvgpr_read_b32 v27, a25
	v_accvgpr_read_b32 v26, a24
	v_accvgpr_read_b32 v32, a30
	v_accvgpr_read_b32 v31, a29
	v_accvgpr_read_b32 v30, a28
	s_add_i32 s65, s65, 64
	v_pk_fma_f32 v[70:71], v[70:71], v[144:145], v[2:3] op_sel_hi:[1,0,1]
	v_pk_fma_f32 v[74:75], v[74:75], v[144:145], v[4:5] op_sel_hi:[1,0,1]
	;; [unrolled: 1-line block ×15, first 2 shown]
	s_cmp_eq_u32 s56, s70
	v_pk_fma_f32 v[48:49], v[48:49], v[144:145], v[32:33] op_sel_hi:[1,0,1]
	s_cbranch_scc1 .LBB105_18
; %bb.17:                               ;   in Loop: Header=BB105_6 Depth=1
	s_mov_b32 s71, s70
	s_branch .LBB105_6
.LBB105_18:
	s_lshl_b32 s30, s56, 6
	s_sub_i32 s31, s20, s30
	s_cmp_gt_i32 s31, 0
	s_cbranch_scc0 .LBB105_99
; %bb.19:
	s_ashr_i32 s3, s30, 31
	s_cmpk_lg_i32 s23, 0x80
	s_cselect_b64 s[26:27], -1, 0
	s_and_b64 vcc, exec, s[26:27]
	s_cbranch_vccz .LBB105_21
; %bb.20:
	s_mul_i32 s1, s55, s20
	s_mul_hi_i32 s0, s55, s20
	s_add_u32 s1, s1, s30
	s_addc_u32 s0, s0, s3
	s_mul_i32 s5, s1, s57
	s_mul_hi_u32 s24, s1, s22
	s_add_i32 s5, s24, s5
	s_mul_i32 s0, s0, s22
	s_add_i32 s5, s5, s0
	s_mul_i32 s1, s1, s22
	s_ashr_i32 s0, s58, 31
	s_add_u32 s28, s1, s58
	s_addc_u32 s29, s5, s0
	s_cbranch_execz .LBB105_22
	s_branch .LBB105_23
.LBB105_21:
                                        ; implicit-def: $sgpr28_sgpr29
.LBB105_22:
	s_mul_hi_i32 s0, s55, s22
	s_mul_i32 s55, s55, s22
	s_ashr_i32 s1, s58, 31
	s_add_u32 s5, s55, s58
	s_addc_u32 s0, s0, s1
	s_mul_i32 s1, s5, s54
	s_mul_hi_u32 s22, s5, s20
	s_add_i32 s1, s22, s1
	s_mul_i32 s0, s0, s20
	s_add_i32 s1, s1, s0
	s_mul_i32 s5, s5, s20
	s_add_u32 s28, s5, s30
	s_addc_u32 s29, s1, s3
.LBB105_23:
	s_mul_i32 s0, s42, s54
	s_add_i32 s0, s61, s0
	s_add_i32 s5, s59, s56
	;; [unrolled: 1-line block ×3, first 2 shown]
	s_add_u32 s0, s4, s30
	v_lshlrev_b32_e32 v6, 6, v91
	v_lshlrev_b32_e32 v24, 2, v88
	s_addc_u32 s1, s1, s3
	s_mov_b32 s3, 0x7060302
	v_or_b32_e32 v9, v6, v24
	v_xor_b32_e32 v7, v91, v24
	v_perm_b32 v3, v75, v74, s3
	v_perm_b32 v2, v71, v70, s3
	;; [unrolled: 1-line block ×4, first 2 shown]
	v_lshlrev_b32_e32 v9, 1, v9
	v_xor_b32_e32 v8, v92, v24
	ds_write2st64_b64 v9, v[2:3], v[4:5] offset0:32 offset1:48
	v_lshlrev_b32_e32 v7, 1, v7
	v_lshlrev_b32_e32 v9, 8, v88
	v_or_b32_e32 v10, v7, v9
	v_lshlrev_b32_e32 v8, 1, v8
	ds_write_b64 v10, v[2:3]
	v_or_b32_e32 v2, v8, v9
	v_or_b32_e32 v9, 16, v88
	v_lshlrev_b32_e32 v23, 2, v9
	v_or_b32_e32 v10, v6, v23
	ds_write_b64 v2, v[4:5]
	v_perm_b32 v3, v67, v66, s3
	v_perm_b32 v2, v63, v62, s3
	;; [unrolled: 1-line block ×4, first 2 shown]
	v_lshlrev_b32_e32 v10, 1, v10
	v_lshlrev_b32_e32 v9, 8, v9
	ds_write2st64_b64 v10, v[2:3], v[4:5] offset0:32 offset1:48
	v_or_b32_e32 v10, v7, v9
	ds_write_b64 v10, v[2:3]
	v_or_b32_e32 v2, v8, v9
	v_or_b32_e32 v9, 32, v88
	v_lshlrev_b32_e32 v22, 2, v9
	v_or_b32_e32 v10, v6, v22
	ds_write_b64 v2, v[4:5]
	v_perm_b32 v3, v59, v58, s3
	v_perm_b32 v2, v55, v54, s3
	;; [unrolled: 1-line block ×4, first 2 shown]
	v_lshlrev_b32_e32 v10, 1, v10
	v_lshlrev_b32_e32 v9, 8, v9
	s_lshl_b64 s[24:25], s[0:1], 8
	ds_write2st64_b64 v10, v[2:3], v[4:5] offset0:32 offset1:48
	v_or_b32_e32 v10, v7, v9
	s_waitcnt lgkmcnt(0)
	s_add_u32 s0, s14, s24
	ds_write_b64 v10, v[2:3]
	v_or_b32_e32 v2, v8, v9
	s_addc_u32 s1, s15, s25
	ds_write_b64 v2, v[4:5]
	v_perm_b32 v3, v53, v52, s3
	v_perm_b32 v2, v47, v46, s3
	;; [unrolled: 1-line block ×4, first 2 shown]
	v_or_b32_e32 v9, 48, v88
	s_mul_hi_i32 s3, s5, s21
	s_mul_i32 s5, s5, s21
	v_lshlrev_b32_e32 v19, 2, v9
	s_add_u32 s4, s5, s52
	v_or_b32_e32 v6, v6, v19
	s_addc_u32 s5, s3, s53
	v_lshlrev_b32_e32 v6, 1, v6
	s_ashr_i32 s3, s2, 31
	s_lshl_b64 s[4:5], s[4:5], 15
	ds_write2st64_b64 v6, v[2:3], v[4:5] offset0:32 offset1:48
	v_lshlrev_b32_e32 v6, 8, v9
	s_add_u32 s4, s6, s4
	v_or_b32_e32 v7, v7, v6
	s_addc_u32 s5, s7, s5
	s_lshl_b64 s[2:3], s[2:3], 8
	ds_write_b64 v7, v[2:3]
	v_or_b32_e32 v2, v8, v6
	s_add_u32 s2, s4, s2
	v_lshlrev_b32_e32 v3, 1, v88
	ds_write_b64 v2, v[4:5]
	v_lshrrev_b32_e32 v2, 4, v0
	s_addc_u32 s3, s5, s3
	v_or_b32_e32 v4, 1, v3
	v_lshlrev_b32_e32 v10, 4, v88
	v_mov_b32_e32 v11, 0
	v_xor_b32_e32 v3, v2, v3
	v_xor_b32_e32 v6, v4, v2
	v_lshl_add_u64 v[12:13], s[2:3], 0, v[10:11]
	v_lshlrev_b32_e32 v10, 8, v2
	v_lshl_or_b32 v16, v3, 3, v10
	v_lshl_or_b32 v17, v6, 3, v10
	s_waitcnt lgkmcnt(0)
	s_barrier
	ds_read2st64_b64 v[2:5], v16 offset1:8
	ds_read2st64_b64 v[6:9], v17 offset1:8
	v_lshl_add_u64 v[14:15], v[12:13], 0, v[10:11]
	s_movk_i32 s2, 0x2000
	s_cmp_lg_u32 s31, 64
	s_waitcnt lgkmcnt(1)
	v_mov_b32_e32 v10, v2
	v_mov_b32_e32 v11, v3
	s_waitcnt lgkmcnt(0)
	v_mov_b32_e32 v12, v6
	v_mov_b32_e32 v13, v7
	global_store_dwordx4 v[14:15], v[10:13], off
	v_mov_b32_e32 v6, v4
	v_mov_b32_e32 v7, v5
	ds_read2st64_b64 v[2:5], v16 offset0:16 offset1:24
	ds_read2st64_b64 v[10:13], v17 offset0:16 offset1:24
	v_add_co_u32_e32 v16, vcc, s2, v14
	s_cselect_b64 s[14:15], -1, 0
	s_nop 0
	v_addc_co_u32_e32 v17, vcc, 0, v15, vcc
	global_store_dwordx4 v[16:17], v[6:9], off offset:-4096
	v_lshl_or_b32 v30, v1, 3, v90
	s_mov_b32 s4, 0
	s_waitcnt lgkmcnt(1)
	v_mov_b32_e32 v6, v2
	v_add_co_u32_e32 v2, vcc, 0x3000, v14
	v_mov_b32_e32 v7, v3
	s_nop 0
	v_addc_co_u32_e32 v3, vcc, 0, v15, vcc
	s_waitcnt lgkmcnt(0)
	v_mov_b32_e32 v8, v10
	v_mov_b32_e32 v9, v11
	;; [unrolled: 1-line block ×4, first 2 shown]
	v_or_b32_e32 v20, 32, v30
	v_and_b32_e32 v18, 56, v89
	s_and_b64 vcc, exec, s[14:15]
	global_store_dwordx4 v[16:17], v[6:9], off
	global_store_dwordx4 v[2:3], v[10:13], off
	s_cbranch_vccz .LBB105_29
; %bb.24:
	s_mov_b32 s6, s4
	s_mov_b32 s7, s4
	;; [unrolled: 1-line block ×3, first 2 shown]
	v_mov_b64_e32 v[8:9], s[6:7]
	v_mov_b64_e32 v[6:7], s[4:5]
	;; [unrolled: 1-line block ×3, first 2 shown]
	v_cmp_gt_i32_e32 vcc, s31, v30
	v_mov_b64_e32 v[4:5], v[8:9]
	s_and_saveexec_b64 s[2:3], vcc
	s_cbranch_execz .LBB105_26
; %bb.25:
	v_lshlrev_b32_e32 v2, 8, v30
	v_mov_b32_e32 v3, 0
	v_lshl_add_u64 v[4:5], s[0:1], 0, v[2:3]
	v_lshlrev_b32_e32 v2, 1, v18
	v_lshl_add_u64 v[10:11], v[4:5], 0, v[2:3]
	global_load_dwordx4 v[6:9], v[10:11], off
	global_load_dwordx4 v[2:5], v[10:11], off offset:128
.LBB105_26:
	s_or_b64 exec, exec, s[2:3]
	s_mov_b32 s6, s4
	s_mov_b32 s7, s4
	;; [unrolled: 1-line block ×3, first 2 shown]
	v_mov_b64_e32 v[16:17], s[6:7]
	v_mov_b64_e32 v[14:15], s[4:5]
	;; [unrolled: 1-line block ×3, first 2 shown]
	v_cmp_gt_i32_e32 vcc, s31, v20
	v_lshlrev_b32_e32 v21, 7, v20
	v_mov_b64_e32 v[12:13], v[16:17]
	s_and_saveexec_b64 s[2:3], vcc
	s_cbranch_execz .LBB105_28
; %bb.27:
	v_lshlrev_b32_e32 v10, 1, v21
	v_mov_b32_e32 v11, 0
	v_lshl_add_u64 v[12:13], s[0:1], 0, v[10:11]
	v_lshlrev_b32_e32 v10, 1, v18
	v_lshl_add_u64 v[26:27], v[12:13], 0, v[10:11]
	global_load_dwordx4 v[14:17], v[26:27], off
	global_load_dwordx4 v[10:13], v[26:27], off offset:128
.LBB105_28:
	s_or_b64 exec, exec, s[2:3]
	v_lshrrev_b32_e32 v25, 3, v18
	v_lshlrev_b32_e32 v26, 3, v30
	v_or_b32_e32 v25, v26, v25
	v_lshlrev_b32_e32 v25, 4, v25
	v_and_b32_e32 v26, 0x78, v26
	v_xor_b32_e32 v25, v25, v26
	s_branch .LBB105_31
.LBB105_29:
                                        ; implicit-def: $vgpr25
                                        ; implicit-def: $vgpr21
                                        ; implicit-def: $vgpr6_vgpr7_vgpr8_vgpr9
                                        ; implicit-def: $vgpr2_vgpr3_vgpr4_vgpr5
                                        ; implicit-def: $vgpr14_vgpr15_vgpr16_vgpr17
                                        ; implicit-def: $vgpr10_vgpr11_vgpr12_vgpr13
	s_cbranch_execz .LBB105_31
; %bb.30:
	s_waitcnt vmcnt(0)
	v_lshlrev_b32_e32 v2, 1, v18
	v_lshl_or_b32 v21, v30, 8, v2
	s_and_b32 s1, s1, 0xffff
	s_mov_b32 s3, 0x20000
	s_movk_i32 s2, 0x4000
	v_lshl_or_b32 v25, v20, 8, v2
	s_movk_i32 s4, 0x80
	buffer_load_dwordx4 v[6:9], v21, s[0:3], 0 offen
	buffer_load_dwordx4 v[2:5], v21, s[0:3], s4 offen
	buffer_load_dwordx4 v[14:17], v25, s[0:3], 0 offen
	buffer_load_dwordx4 v[10:13], v25, s[0:3], s4 offen
	v_lshrrev_b32_e32 v21, 3, v18
	v_lshlrev_b32_e32 v25, 3, v30
	v_or_b32_e32 v21, v25, v21
	v_lshlrev_b32_e32 v21, 4, v21
	v_and_b32_e32 v25, 0x78, v25
	v_xor_b32_e32 v25, v21, v25
	v_lshlrev_b32_e32 v21, 7, v20
.LBB105_31:
	s_movk_i32 s0, 0x1000
	v_and_or_b32 v20, v21, s0, v25
	s_waitcnt vmcnt(1)
	ds_write_b64 v25, v[6:7] offset:49152
	v_xor_b32_e32 v6, 8, v25
	ds_write_b64 v6, v[8:9] offset:49152
	s_waitcnt vmcnt(0)
	ds_write_b64 v25, v[2:3] offset:57344
	ds_write_b64 v6, v[4:5] offset:57344
	;; [unrolled: 1-line block ×3, first 2 shown]
	v_xor_b32_e32 v2, 8, v20
	ds_write_b64 v2, v[16:17] offset:49152
	ds_write_b64 v20, v[10:11] offset:57344
	;; [unrolled: 1-line block ×3, first 2 shown]
	v_or_b32_e32 v2, v86, v88
	v_lshlrev_b32_e32 v2, 3, v2
	v_lshrrev_b32_e32 v3, 5, v35
	s_movk_i32 s0, 0xf8
	v_and_or_b32 v3, v2, s0, v3
	v_lshlrev_b32_e32 v7, 4, v3
	v_lshlrev_b32_e32 v25, 11, v1
	v_and_b32_e32 v8, 0x78, v2
	v_or_b32_e32 v10, 32, v7
	v_and_b32_e32 v6, 0x1000, v25
	v_lshrrev_b32_e32 v3, 1, v35
	v_xor_b32_e32 v10, v10, v8
	v_xor_b32_e32 v2, v7, v8
	v_and_b32_e32 v9, 8, v3
	v_or_b32_e32 v10, v10, v6
	v_or_b32_e32 v2, v2, v6
	v_xor_b32_e32 v32, v10, v9
	v_or_b32_e32 v10, 64, v7
	v_xor_b32_e32 v31, v2, v9
	v_xor_b32_e32 v10, v10, v8
	s_waitcnt lgkmcnt(0)
	s_barrier
	v_or_b32_e32 v13, v10, v6
	ds_read_b64 v[10:11], v31 offset:49152
	v_lshl_or_b32 v14, v87, 8, v24
	v_lshlrev_b32_e32 v26, 1, v14
	v_add_u32_e32 v12, 0x4000, v26
	ds_read2_b64 v[2:5], v12 offset1:16
	v_or_b32_e32 v7, 0x60, v7
	v_xor_b32_e32 v7, v7, v8
	v_or_b32_e32 v6, v7, v6
	v_xor_b32_e32 v33, v13, v9
	v_xor_b32_e32 v77, v6, v9
	ds_read_b64 v[20:21], v32 offset:49152
	ds_read_b64 v[78:79], v33 offset:49152
	;; [unrolled: 1-line block ×3, first 2 shown]
	s_waitcnt lgkmcnt(3)
	v_mfma_f32_16x16x16_bf16 a[0:3], v[10:11], v[2:3], 0
	ds_read2st64_b64 v[6:9], v26 offset0:36 offset1:40
	s_lshl_b64 s[0:1], s[28:29], 8
	s_add_u32 s4, s12, s0
	v_mfma_f32_16x16x16_bf16 a[4:7], v[10:11], v[4:5], 0
	ds_read2_b64 v[2:5], v12 offset0:32 offset1:48
	s_addc_u32 s5, s13, s1
	s_add_i32 s1, s48, s33
	s_waitcnt lgkmcnt(0)
	v_mfma_f32_16x16x16_bf16 a[8:11], v[10:11], v[2:3], 0
	v_or_b32_e32 v2, 64, v14
	v_lshlrev_b32_e32 v27, 1, v2
	s_add_i32 s0, s20, -1
	v_mfma_f32_16x16x16_bf16 a[12:15], v[10:11], v[4:5], 0
	ds_read2st64_b64 v[2:5], v27 offset0:36 offset1:40
	s_add_i32 s41, s1, s43
	s_add_i32 s1, s50, s49
	v_mfma_f32_16x16x16_bf16 a[0:3], v[20:21], v[6:7], a[0:3]
	v_or_b32_e32 v6, 0x80, v14
	v_lshlrev_b32_e32 v28, 1, v6
	ds_read2st64_b64 v[10:13], v28 offset0:36 offset1:40
	s_waitcnt lgkmcnt(1)
	v_mfma_f32_16x16x16_bf16 a[4:7], v[20:21], v[2:3], a[4:7]
	v_or_b32_e32 v2, 0xc0, v14
	v_lshlrev_b32_e32 v29, 1, v2
	ds_read2st64_b64 v[14:17], v29 offset0:36 offset1:40
	s_add_i32 s39, s1, s51
	s_ashr_i32 s1, s0, 31
	s_mul_i32 s2, s0, s37
	s_mul_hi_u32 s3, s0, s36
	s_add_i32 s2, s3, s2
	s_mul_i32 s1, s1, s36
	s_waitcnt lgkmcnt(1)
	v_mfma_f32_16x16x16_bf16 a[8:11], v[20:21], v[10:11], a[8:11]
	s_add_i32 s1, s2, s1
	s_lshl_b64 s[2:3], s[40:41], 2
	s_add_u32 s6, s18, s2
	s_waitcnt lgkmcnt(0)
	v_mfma_f32_16x16x16_bf16 a[12:15], v[20:21], v[14:15], a[12:15]
	s_addc_u32 s7, s19, s3
	s_lshl_b64 s[2:3], s[38:39], 2
	s_mul_i32 s0, s0, s36
	v_mfma_f32_16x16x16_bf16 a[0:3], v[78:79], v[8:9], a[0:3]
	ds_read_b64 v[2:3], v26 offset:22528
	s_add_u32 s12, s6, s2
	s_addc_u32 s13, s7, s3
	v_mfma_f32_16x16x16_bf16 a[4:7], v[78:79], v[4:5], a[4:7]
	ds_read_b64 v[4:5], v27 offset:22528
	ds_read_b64 v[6:7], v28 offset:22528
	;; [unrolled: 1-line block ×3, first 2 shown]
	s_lshl_b64 s[0:1], s[0:1], 2
	s_add_u32 s0, s12, s0
	v_mfma_f32_16x16x16_bf16 a[8:11], v[78:79], v[12:13], a[8:11]
	s_addc_u32 s1, s13, s1
	s_load_dword s18, s[0:1], 0x0
	s_and_b64 vcc, exec, s[26:27]
	v_mfma_f32_16x16x16_bf16 a[12:15], v[78:79], v[16:17], a[12:15]
	s_waitcnt lgkmcnt(0)
	v_mfma_f32_16x16x16_bf16 a[0:3], v[80:81], v[2:3], a[0:3]
	v_mfma_f32_16x16x16_bf16 a[4:7], v[80:81], v[4:5], a[4:7]
	;; [unrolled: 1-line block ×4, first 2 shown]
	s_cbranch_vccz .LBB105_42
; %bb.32:
	v_lshlrev_b32_e32 v20, 1, v30
	s_and_b64 vcc, exec, s[14:15]
	s_cbranch_vccz .LBB105_43
; %bb.33:
	v_cmp_gt_i32_e32 vcc, s31, v20
	v_mov_b32_e32 v6, 0
	v_mov_b32_e32 v2, 0
	;; [unrolled: 1-line block ×5, first 2 shown]
	s_and_saveexec_b64 s[0:1], vcc
	s_cbranch_execz .LBB105_35
; %bb.34:
	v_mad_i64_i32 v[2:3], s[2:3], s23, v20, 0
	v_lshl_add_u64 v[2:3], v[2:3], 1, s[4:5]
	v_lshlrev_b32_e32 v4, 1, v18
	v_mov_b32_e32 v5, 0
	v_lshl_add_u64 v[2:3], v[2:3], 0, v[4:5]
	global_load_dwordx4 v[2:5], v[2:3], off
.LBB105_35:
	s_or_b64 exec, exec, s[0:1]
	v_or_b32_e32 v21, 1, v20
	v_cmp_gt_i32_e64 s[0:1], s31, v21
	v_mov_b32_e32 v7, 0
	v_mov_b32_e32 v8, 0
	;; [unrolled: 1-line block ×3, first 2 shown]
	s_and_saveexec_b64 s[2:3], s[0:1]
	s_cbranch_execz .LBB105_37
; %bb.36:
	v_mad_i64_i32 v[6:7], s[6:7], s23, v21, 0
	v_lshl_add_u64 v[6:7], v[6:7], 1, s[4:5]
	v_lshlrev_b32_e32 v8, 1, v18
	v_mov_b32_e32 v9, 0
	v_lshl_add_u64 v[6:7], v[6:7], 0, v[8:9]
	global_load_dwordx4 v[6:9], v[6:7], off
.LBB105_37:
	s_or_b64 exec, exec, s[2:3]
	v_mov_b32_e32 v17, 0
	v_mov_b32_e32 v10, 0
	;; [unrolled: 1-line block ×5, first 2 shown]
	s_and_saveexec_b64 s[2:3], vcc
	s_cbranch_execz .LBB105_39
; %bb.38:
	v_mad_i64_i32 v[10:11], s[6:7], s23, v20, 0
	v_lshl_add_u64 v[10:11], v[10:11], 1, s[4:5]
	v_lshlrev_b32_e32 v12, 1, v18
	v_mov_b32_e32 v13, 0
	v_lshl_add_u64 v[10:11], v[10:11], 0, v[12:13]
	global_load_dwordx4 v[10:13], v[10:11], off offset:128
.LBB105_39:
	s_or_b64 exec, exec, s[2:3]
	v_mov_b32_e32 v16, 0
	v_mov_b32_e32 v15, 0
	;; [unrolled: 1-line block ×3, first 2 shown]
	s_and_saveexec_b64 s[2:3], s[0:1]
	s_cbranch_execz .LBB105_41
; %bb.40:
	v_mad_i64_i32 v[14:15], s[0:1], s23, v21, 0
	v_lshl_add_u64 v[14:15], v[14:15], 1, s[4:5]
	v_lshlrev_b32_e32 v16, 1, v18
	v_mov_b32_e32 v17, 0
	v_lshl_add_u64 v[14:15], v[14:15], 0, v[16:17]
	global_load_dwordx4 v[14:17], v[14:15], off offset:128
.LBB105_41:
	s_or_b64 exec, exec, s[2:3]
	s_branch .LBB105_45
.LBB105_42:
                                        ; implicit-def: $vgpr5
                                        ; implicit-def: $vgpr9
                                        ; implicit-def: $vgpr13
                                        ; implicit-def: $vgpr17
	v_lshrrev_b32_e32 v35, 2, v35
	s_branch .LBB105_46
.LBB105_43:
                                        ; implicit-def: $vgpr5
                                        ; implicit-def: $vgpr9
                                        ; implicit-def: $vgpr13
                                        ; implicit-def: $vgpr17
	s_cbranch_execz .LBB105_45
; %bb.44:
	s_waitcnt vmcnt(0)
	v_mad_u64_u32 v[2:3], s[0:1], v20, s23, v[18:19]
	v_lshlrev_b32_e32 v20, 1, v2
	s_lshl_b32 s2, s23, 7
	s_and_b32 s1, s5, 0xffff
	s_mov_b32 s3, 0x20000
	s_mov_b32 s0, s4
	v_add_lshl_u32 v21, v2, s23, 1
	s_movk_i32 s6, 0x80
	buffer_load_dwordx4 v[2:5], v20, s[0:3], 0 offen
	buffer_load_dwordx4 v[10:13], v20, s[0:3], s6 offen
	;; [unrolled: 1-line block ×4, first 2 shown]
.LBB105_45:
	v_lshrrev_b32_e32 v35, 2, v35
	s_cbranch_execnz .LBB105_58
.LBB105_46:
	s_and_b64 vcc, exec, s[14:15]
	s_cbranch_vccz .LBB105_56
; %bb.47:
	s_waitcnt vmcnt(0)
	v_lshlrev_b32_e32 v7, 1, v30
	v_cmp_gt_i32_e32 vcc, s31, v7
	v_mov_b32_e32 v6, 0
	v_lshlrev_b32_e32 v14, 9, v30
	v_mov_b32_e32 v2, 0
	v_mov_b32_e32 v3, 0
	;; [unrolled: 1-line block ×4, first 2 shown]
	s_and_saveexec_b64 s[0:1], vcc
	s_cbranch_execz .LBB105_49
; %bb.48:
	v_mov_b32_e32 v15, 0
	v_lshl_add_u64 v[2:3], s[4:5], 0, v[14:15]
	v_lshlrev_b32_e32 v4, 1, v18
	v_mov_b32_e32 v5, v15
	v_lshl_add_u64 v[2:3], v[2:3], 0, v[4:5]
	global_load_dwordx4 v[2:5], v[2:3], off
.LBB105_49:
	s_or_b64 exec, exec, s[0:1]
	v_or_b32_e32 v7, 1, v7
	v_cmp_gt_i32_e64 s[0:1], s31, v7
	v_lshlrev_b32_e32 v20, 8, v7
	v_mov_b32_e32 v7, 0
	v_mov_b32_e32 v8, 0
	;; [unrolled: 1-line block ×3, first 2 shown]
	s_and_saveexec_b64 s[2:3], s[0:1]
	s_cbranch_execz .LBB105_51
; %bb.50:
	v_mov_b32_e32 v21, 0
	v_lshl_add_u64 v[6:7], s[4:5], 0, v[20:21]
	v_lshlrev_b32_e32 v8, 1, v18
	v_mov_b32_e32 v9, v21
	v_lshl_add_u64 v[6:7], v[6:7], 0, v[8:9]
	global_load_dwordx4 v[6:9], v[6:7], off
.LBB105_51:
	s_or_b64 exec, exec, s[2:3]
	v_mov_b32_e32 v17, 0
	v_mov_b32_e32 v10, 0
	;; [unrolled: 1-line block ×5, first 2 shown]
	s_and_saveexec_b64 s[2:3], vcc
	s_cbranch_execz .LBB105_53
; %bb.52:
	v_mov_b32_e32 v15, 0
	v_lshl_add_u64 v[10:11], s[4:5], 0, v[14:15]
	v_lshlrev_b32_e32 v14, 1, v18
	v_lshl_add_u64 v[10:11], v[10:11], 0, v[14:15]
	global_load_dwordx4 v[10:13], v[10:11], off offset:128
.LBB105_53:
	s_or_b64 exec, exec, s[2:3]
	v_mov_b32_e32 v16, 0
	v_mov_b32_e32 v15, 0
	;; [unrolled: 1-line block ×3, first 2 shown]
	s_and_saveexec_b64 s[2:3], s[0:1]
	s_cbranch_execz .LBB105_55
; %bb.54:
	v_mov_b32_e32 v21, 0
	v_lshl_add_u64 v[14:15], s[4:5], 0, v[20:21]
	v_lshlrev_b32_e32 v20, 1, v18
	v_lshl_add_u64 v[14:15], v[14:15], 0, v[20:21]
	global_load_dwordx4 v[14:17], v[14:15], off offset:128
.LBB105_55:
	s_or_b64 exec, exec, s[2:3]
	s_branch .LBB105_58
.LBB105_56:
                                        ; implicit-def: $vgpr5
                                        ; implicit-def: $vgpr9
                                        ; implicit-def: $vgpr13
                                        ; implicit-def: $vgpr17
	s_cbranch_execz .LBB105_58
; %bb.57:
	s_waitcnt vmcnt(0)
	v_lshlrev_b32_e32 v2, 1, v18
	v_lshl_or_b32 v18, v30, 9, v2
	s_and_b32 s5, s5, 0xffff
	s_mov_b32 s7, 0x20000
	s_movk_i32 s6, 0x4000
	s_movk_i32 s0, 0x80
	buffer_load_dwordx4 v[2:5], v18, s[4:7], 0 offen
	buffer_load_dwordx4 v[6:9], v18, s[4:7], 0 offen offset:256
	buffer_load_dwordx4 v[10:13], v18, s[4:7], s0 offen
	buffer_load_dwordx4 v[14:17], v18, s[4:7], s0 offen offset:256
.LBB105_58:
	ds_read_b64 v[20:21], v31 offset:57344
	v_add_u32_e32 v18, 0x6000, v26
	ds_read2_b64 v[78:81], v18 offset1:16
	ds_read_b64 v[96:97], v32 offset:57344
	ds_read_b64 v[32:33], v33 offset:57344
	;; [unrolled: 1-line block ×3, first 2 shown]
	ds_read2st64_b64 v[82:85], v26 offset0:52 offset1:56
	v_and_b32_e32 v31, 1, v0
	v_cmp_eq_u32_e32 vcc, 0, v31
	s_mov_b32 s0, 0x1000504
	s_waitcnt vmcnt(0)
	v_perm_b32 v31, v10, v14, s0
	s_mov_b32 s1, 0x3020706
	s_waitcnt lgkmcnt(4)
	v_mfma_f32_16x16x16_bf16 a[0:3], v[20:21], v[78:79], a[0:3]
	v_mfma_f32_16x16x16_bf16 a[4:7], v[20:21], v[80:81], a[4:7]
	ds_read2_b64 v[78:81], v18 offset0:32 offset1:48
	v_and_b32_e32 v18, 6, v0
	v_xor_b32_e32 v30, v30, v18
	s_waitcnt lgkmcnt(0)
	v_mfma_f32_16x16x16_bf16 a[8:11], v[20:21], v[78:79], a[8:11]
	v_lshlrev_b32_e32 v30, 2, v30
	v_xor_b32_e32 v77, 0x440, v30
	v_cndmask_b32_e32 v30, v77, v30, vcc
	v_mfma_f32_16x16x16_bf16 a[12:15], v[20:21], v[80:81], a[12:15]
	ds_read2st64_b64 v[78:81], v27 offset0:52 offset1:56
	ds_read2st64_b64 v[88:91], v28 offset0:52 offset1:56
	;; [unrolled: 1-line block ×3, first 2 shown]
	v_lshl_or_b32 v18, v18, 10, v30
	v_perm_b32 v30, v2, v6, s0
	v_mfma_f32_16x16x16_bf16 a[0:3], v[96:97], v[82:83], a[0:3]
	ds_read_b64 v[20:21], v26 offset:30720
	ds_read_b64 v[82:83], v27 offset:30720
	ds_read_b64 v[100:101], v28 offset:30720
	ds_read_b64 v[102:103], v29 offset:30720
	ds_write2st64_b32 v18, v30, v31 offset0:128 offset1:160
	v_xor_b32_e32 v30, 8, v18
	s_waitcnt lgkmcnt(7)
	v_mfma_f32_16x16x16_bf16 a[4:7], v[96:97], v[78:79], a[4:7]
	v_perm_b32 v2, v2, v6, s1
	v_perm_b32 v6, v10, v14, s1
	v_add_u32_e32 v10, 0x80, v30
	s_waitcnt lgkmcnt(6)
	v_mfma_f32_16x16x16_bf16 a[8:11], v[96:97], v[88:89], a[8:11]
	ds_write2st64_b32 v10, v2, v6 offset0:128 offset1:160
	v_xor_b32_e32 v2, 16, v18
	v_perm_b32 v6, v3, v7, s0
	s_waitcnt lgkmcnt(6)
	v_mfma_f32_16x16x16_bf16 a[12:15], v[96:97], v[92:93], a[12:15]
	v_perm_b32 v10, v11, v15, s0
	ds_write2st64_b32 v2, v6, v10 offset0:129 offset1:161
	v_xor_b32_e32 v2, 24, v18
	v_mfma_f32_16x16x16_bf16 a[0:3], v[32:33], v[84:85], a[0:3]
	v_perm_b32 v3, v3, v7, s1
	v_perm_b32 v6, v11, v15, s1
	v_add_u32_e32 v2, 0x80, v2
	v_mfma_f32_16x16x16_bf16 a[4:7], v[32:33], v[80:81], a[4:7]
	ds_write2st64_b32 v2, v3, v6 offset0:129 offset1:161
	v_xor_b32_e32 v2, 32, v18
	v_perm_b32 v3, v4, v8, s0
	v_mfma_f32_16x16x16_bf16 a[16:19], v[32:33], v[90:91], a[8:11]
	v_perm_b32 v6, v12, v16, s0
	ds_write2st64_b32 v2, v3, v6 offset0:130 offset1:162
	v_xor_b32_e32 v2, 40, v18
	v_mfma_f32_16x16x16_bf16 a[20:23], v[32:33], v[94:95], a[12:15]
	v_perm_b32 v3, v4, v8, s1
	v_perm_b32 v4, v12, v16, s1
	v_add_u32_e32 v2, 0x80, v2
	s_waitcnt lgkmcnt(8)
	v_mfma_f32_16x16x16_bf16 a[12:15], v[98:99], v[20:21], a[0:3]
	ds_write2st64_b32 v2, v3, v4 offset0:130 offset1:162
	v_xor_b32_e32 v2, 48, v18
	v_perm_b32 v3, v5, v9, s0
	s_waitcnt lgkmcnt(8)
	v_mfma_f32_16x16x16_bf16 a[8:11], v[98:99], v[82:83], a[4:7]
	v_perm_b32 v4, v13, v17, s0
	ds_write2st64_b32 v2, v3, v4 offset0:131 offset1:163
	v_xor_b32_e32 v2, 56, v18
	s_waitcnt lgkmcnt(8)
	v_mfma_f32_16x16x16_bf16 a[4:7], v[98:99], v[100:101], a[16:19]
	v_and_or_b32 v31, v35, 12, v86
	v_perm_b32 v3, v5, v9, s1
	v_perm_b32 v4, v13, v17, s1
	s_waitcnt lgkmcnt(7)
	v_mfma_f32_16x16x16_bf16 a[0:3], v[98:99], v[102:103], a[20:23]
	v_add_u32_e32 v2, 0x80, v2
	v_cmp_gt_i32_e32 vcc, s31, v31
	v_mov_b32_e32 v20, 0
	v_mov_b32_e32 v21, 0
	ds_write2st64_b32 v2, v3, v4 offset0:131 offset1:163
	s_and_saveexec_b64 s[0:1], vcc
	s_cbranch_execz .LBB105_60
; %bb.59:
	v_add_u32_e32 v2, s30, v31
	v_ashrrev_i32_e32 v3, 31, v2
	v_mul_lo_u32 v4, v3, s36
	v_mul_lo_u32 v5, v2, s37
	v_mad_u64_u32 v[2:3], s[2:3], v2, s36, 0
	v_add3_u32 v3, v3, v5, v4
	v_lshl_add_u64 v[2:3], v[2:3], 2, s[12:13]
	global_load_dword v2, v[2:3], off
	s_waitcnt vmcnt(0)
	v_sub_f32_e32 v2, s18, v2
	v_mul_f32_e32 v2, 0x3fb8aa3b, v2
	v_exp_f32_e32 v21, v2
.LBB105_60:
	s_or_b64 exec, exec, s[0:1]
	v_or_b32_e32 v11, 1, v31
	v_cmp_gt_i32_e64 s[2:3], s31, v11
	s_and_saveexec_b64 s[0:1], s[2:3]
	s_cbranch_execz .LBB105_62
; %bb.61:
	v_add_u32_e32 v2, s30, v11
	v_ashrrev_i32_e32 v3, 31, v2
	v_mul_lo_u32 v4, v3, s36
	v_mul_lo_u32 v5, v2, s37
	v_mad_u64_u32 v[2:3], s[4:5], v2, s36, 0
	v_add3_u32 v3, v3, v5, v4
	v_lshl_add_u64 v[2:3], v[2:3], 2, s[12:13]
	global_load_dword v2, v[2:3], off
	s_waitcnt vmcnt(0)
	v_sub_f32_e32 v2, s18, v2
	v_mul_f32_e32 v2, 0x3fb8aa3b, v2
	v_exp_f32_e32 v20, v2
.LBB105_62:
	s_or_b64 exec, exec, s[0:1]
	v_or_b32_e32 v10, 2, v31
	v_cmp_gt_i32_e64 s[4:5], s31, v10
	v_mov_b32_e32 v18, 0
	v_mov_b32_e32 v30, 0
	s_and_saveexec_b64 s[0:1], s[4:5]
	s_cbranch_execz .LBB105_64
; %bb.63:
	v_add_u32_e32 v2, s30, v10
	v_ashrrev_i32_e32 v3, 31, v2
	v_mul_lo_u32 v4, v3, s36
	v_mul_lo_u32 v5, v2, s37
	v_mad_u64_u32 v[2:3], s[6:7], v2, s36, 0
	v_add3_u32 v3, v3, v5, v4
	v_lshl_add_u64 v[2:3], v[2:3], 2, s[12:13]
	global_load_dword v2, v[2:3], off
	s_waitcnt vmcnt(0)
	v_sub_f32_e32 v2, s18, v2
	v_mul_f32_e32 v2, 0x3fb8aa3b, v2
	v_exp_f32_e32 v30, v2
.LBB105_64:
	s_or_b64 exec, exec, s[0:1]
	v_or_b32_e32 v32, 3, v31
	v_cmp_gt_i32_e64 s[0:1], s31, v32
	s_and_saveexec_b64 s[6:7], s[0:1]
	s_cbranch_execz .LBB105_66
; %bb.65:
	v_add_u32_e32 v2, s30, v32
	v_ashrrev_i32_e32 v3, 31, v2
	v_mul_lo_u32 v4, v3, s36
	v_mul_lo_u32 v5, v2, s37
	v_mad_u64_u32 v[2:3], s[14:15], v2, s36, 0
	v_add3_u32 v3, v3, v5, v4
	v_lshl_add_u64 v[2:3], v[2:3], 2, s[12:13]
	global_load_dword v2, v[2:3], off
	s_waitcnt vmcnt(0)
	v_sub_f32_e32 v2, s18, v2
	v_mul_f32_e32 v2, 0x3fb8aa3b, v2
	v_exp_f32_e32 v18, v2
.LBB105_66:
	s_or_b64 exec, exec, s[6:7]
	s_add_u32 s6, s16, s24
	s_addc_u32 s7, s17, s25
	s_add_u32 s8, s8, s24
	v_ashrrev_i32_e32 v77, 31, v76
	v_accvgpr_read_b32 v2, a12
	s_addc_u32 s9, s9, s25
	v_lshlrev_b64 v[6:7], 1, v[76:77]
	v_accvgpr_read_b32 v3, a13
	v_accvgpr_read_b32 v4, a14
	;; [unrolled: 1-line block ×3, first 2 shown]
	v_lshl_add_u64 v[8:9], s[6:7], 0, v[6:7]
	v_lshl_add_u64 v[6:7], s[8:9], 0, v[6:7]
	v_mov_b32_e32 v15, 0
	v_lshlrev_b32_e32 v12, 8, v31
	v_mov_b32_e32 v13, 0
	s_and_saveexec_b64 s[6:7], vcc
	s_cbranch_execz .LBB105_68
; %bb.67:
	v_mov_b32_e32 v13, 0
	v_lshl_add_u64 v[16:17], v[8:9], 0, v[12:13]
	global_load_ushort v14, v[16:17], off
	v_lshl_add_u64 v[16:17], v[6:7], 0, v[12:13]
	s_waitcnt vmcnt(0)
	v_lshlrev_b32_e32 v13, 16, v14
	v_sub_f32_e32 v2, v13, v2
	global_store_short_d16_hi v[16:17], v2, off
	v_mul_f32_e32 v2, v21, v2
	v_lshrrev_b32_e32 v13, 16, v2
.LBB105_68:
	s_or_b64 exec, exec, s[6:7]
	v_lshlrev_b32_e32 v14, 8, v11
	s_and_saveexec_b64 s[6:7], s[2:3]
	s_cbranch_execz .LBB105_70
; %bb.69:
	v_mov_b32_e32 v15, 0
	v_lshl_add_u64 v[16:17], v[8:9], 0, v[14:15]
	global_load_ushort v2, v[16:17], off
	v_lshl_add_u64 v[16:17], v[6:7], 0, v[14:15]
	s_waitcnt vmcnt(0)
	v_lshlrev_b32_e32 v2, 16, v2
	v_sub_f32_e32 v2, v2, v3
	global_store_short_d16_hi v[16:17], v2, off
	v_mul_f32_e32 v2, v20, v2
	v_lshrrev_b32_e32 v15, 16, v2
.LBB105_70:
	s_or_b64 exec, exec, s[6:7]
	v_mov_b32_e32 v11, 0
	v_lshlrev_b32_e32 v16, 8, v10
	v_mov_b32_e32 v17, 0
	s_and_saveexec_b64 s[6:7], s[4:5]
	s_cbranch_execz .LBB105_72
; %bb.71:
	v_mov_b32_e32 v17, 0
	v_lshl_add_u64 v[2:3], v[8:9], 0, v[16:17]
	global_load_ushort v10, v[2:3], off
	v_lshl_add_u64 v[2:3], v[6:7], 0, v[16:17]
	s_waitcnt vmcnt(0)
	v_lshlrev_b32_e32 v10, 16, v10
	v_sub_f32_e32 v4, v10, v4
	global_store_short_d16_hi v[2:3], v4, off
	v_mul_f32_e32 v2, v30, v4
	v_lshrrev_b32_e32 v17, 16, v2
.LBB105_72:
	s_or_b64 exec, exec, s[6:7]
	v_lshlrev_b32_e32 v10, 8, v32
	s_and_saveexec_b64 s[6:7], s[0:1]
	s_cbranch_execz .LBB105_74
; %bb.73:
	v_mov_b32_e32 v11, 0
	v_lshl_add_u64 v[2:3], v[8:9], 0, v[10:11]
	global_load_ushort v4, v[2:3], off
	v_lshl_add_u64 v[2:3], v[6:7], 0, v[10:11]
	s_waitcnt vmcnt(0)
	v_lshlrev_b32_e32 v4, 16, v4
	v_sub_f32_e32 v4, v4, v5
	global_store_short_d16_hi v[2:3], v4, off
	v_mul_f32_e32 v2, v18, v4
	v_lshrrev_b32_e32 v11, 16, v2
.LBB105_74:
	s_or_b64 exec, exec, s[6:7]
	v_lshlrev_b32_e32 v31, 6, v31
	s_mov_b32 s6, 0x5040100
	v_accvgpr_read_b32 v2, a8
	v_perm_b32 v33, v11, v17, s6
	v_or_b32_e32 v11, v31, v24
	v_accvgpr_read_b32 v3, a9
	v_accvgpr_read_b32 v4, a10
	;; [unrolled: 1-line block ×3, first 2 shown]
	v_perm_b32 v32, v15, v13, s6
	v_lshlrev_b32_e32 v11, 1, v11
	v_mov_b32_e32 v15, 0
	v_mov_b32_e32 v13, 0
	ds_write_b64 v11, v[32:33] offset:24576
	s_and_saveexec_b64 s[6:7], vcc
	s_cbranch_execz .LBB105_76
; %bb.75:
	v_mov_b32_e32 v13, 0
	v_lshl_add_u64 v[32:33], v[8:9], 0, v[12:13]
	global_load_ushort v11, v[32:33], off offset:32
	v_lshl_add_u64 v[32:33], v[6:7], 0, v[12:13]
	s_waitcnt vmcnt(0)
	v_lshlrev_b32_e32 v11, 16, v11
	v_sub_f32_e32 v2, v11, v2
	global_store_short_d16_hi v[32:33], v2, off offset:32
	v_mul_f32_e32 v2, v21, v2
	v_lshrrev_b32_e32 v13, 16, v2
.LBB105_76:
	s_or_b64 exec, exec, s[6:7]
	s_and_saveexec_b64 s[6:7], s[2:3]
	s_cbranch_execz .LBB105_78
; %bb.77:
	v_mov_b32_e32 v15, 0
	v_lshl_add_u64 v[32:33], v[8:9], 0, v[14:15]
	global_load_ushort v2, v[32:33], off offset:32
	v_lshl_add_u64 v[32:33], v[6:7], 0, v[14:15]
	s_waitcnt vmcnt(0)
	v_lshlrev_b32_e32 v2, 16, v2
	v_sub_f32_e32 v2, v2, v3
	global_store_short_d16_hi v[32:33], v2, off offset:32
	v_mul_f32_e32 v2, v20, v2
	v_lshrrev_b32_e32 v15, 16, v2
.LBB105_78:
	s_or_b64 exec, exec, s[6:7]
	v_mov_b32_e32 v11, 0
	v_mov_b32_e32 v17, 0
	s_and_saveexec_b64 s[6:7], s[4:5]
	s_cbranch_execz .LBB105_80
; %bb.79:
	v_mov_b32_e32 v17, 0
	v_lshl_add_u64 v[2:3], v[8:9], 0, v[16:17]
	global_load_ushort v24, v[2:3], off offset:32
	v_lshl_add_u64 v[2:3], v[6:7], 0, v[16:17]
	s_waitcnt vmcnt(0)
	v_lshlrev_b32_e32 v17, 16, v24
	v_sub_f32_e32 v4, v17, v4
	global_store_short_d16_hi v[2:3], v4, off offset:32
	v_mul_f32_e32 v2, v30, v4
	v_lshrrev_b32_e32 v17, 16, v2
.LBB105_80:
	s_or_b64 exec, exec, s[6:7]
	s_and_saveexec_b64 s[6:7], s[0:1]
	s_cbranch_execz .LBB105_82
; %bb.81:
	v_mov_b32_e32 v11, 0
	v_lshl_add_u64 v[2:3], v[8:9], 0, v[10:11]
	global_load_ushort v4, v[2:3], off offset:32
	v_lshl_add_u64 v[2:3], v[6:7], 0, v[10:11]
	s_waitcnt vmcnt(0)
	v_lshlrev_b32_e32 v4, 16, v4
	v_sub_f32_e32 v4, v4, v5
	global_store_short_d16_hi v[2:3], v4, off offset:32
	v_mul_f32_e32 v2, v18, v4
	v_lshrrev_b32_e32 v11, 16, v2
.LBB105_82:
	s_or_b64 exec, exec, s[6:7]
	s_mov_b32 s6, 0x5040100
	v_accvgpr_read_b32 v2, a4
	v_perm_b32 v33, v11, v17, s6
	v_or_b32_e32 v11, v31, v23
	v_accvgpr_read_b32 v3, a5
	v_accvgpr_read_b32 v4, a6
	;; [unrolled: 1-line block ×3, first 2 shown]
	v_perm_b32 v32, v15, v13, s6
	v_lshlrev_b32_e32 v11, 1, v11
	v_mov_b32_e32 v15, 0
	v_mov_b32_e32 v13, 0
	ds_write_b64 v11, v[32:33] offset:24576
	s_and_saveexec_b64 s[6:7], vcc
	s_cbranch_execz .LBB105_84
; %bb.83:
	v_mov_b32_e32 v13, 0
	v_lshl_add_u64 v[32:33], v[8:9], 0, v[12:13]
	global_load_ushort v11, v[32:33], off offset:64
	v_lshl_add_u64 v[32:33], v[6:7], 0, v[12:13]
	s_waitcnt vmcnt(0)
	v_lshlrev_b32_e32 v11, 16, v11
	v_sub_f32_e32 v2, v11, v2
	global_store_short_d16_hi v[32:33], v2, off offset:64
	v_mul_f32_e32 v2, v21, v2
	v_lshrrev_b32_e32 v13, 16, v2
.LBB105_84:
	s_or_b64 exec, exec, s[6:7]
	s_and_saveexec_b64 s[6:7], s[2:3]
	s_cbranch_execz .LBB105_86
; %bb.85:
	v_mov_b32_e32 v15, 0
	v_lshl_add_u64 v[32:33], v[8:9], 0, v[14:15]
	global_load_ushort v2, v[32:33], off offset:64
	v_lshl_add_u64 v[32:33], v[6:7], 0, v[14:15]
	s_waitcnt vmcnt(0)
	v_lshlrev_b32_e32 v2, 16, v2
	v_sub_f32_e32 v2, v2, v3
	global_store_short_d16_hi v[32:33], v2, off offset:64
	v_mul_f32_e32 v2, v20, v2
	v_lshrrev_b32_e32 v15, 16, v2
.LBB105_86:
	s_or_b64 exec, exec, s[6:7]
	v_mov_b32_e32 v11, 0
	v_mov_b32_e32 v17, 0
	s_and_saveexec_b64 s[6:7], s[4:5]
	s_cbranch_execz .LBB105_88
; %bb.87:
	v_mov_b32_e32 v17, 0
	v_lshl_add_u64 v[2:3], v[8:9], 0, v[16:17]
	global_load_ushort v23, v[2:3], off offset:64
	v_lshl_add_u64 v[2:3], v[6:7], 0, v[16:17]
	s_waitcnt vmcnt(0)
	v_lshlrev_b32_e32 v17, 16, v23
	v_sub_f32_e32 v4, v17, v4
	global_store_short_d16_hi v[2:3], v4, off offset:64
	v_mul_f32_e32 v2, v30, v4
	v_lshrrev_b32_e32 v17, 16, v2
.LBB105_88:
	s_or_b64 exec, exec, s[6:7]
	s_and_saveexec_b64 s[6:7], s[0:1]
	s_cbranch_execz .LBB105_90
; %bb.89:
	v_mov_b32_e32 v11, 0
	v_lshl_add_u64 v[2:3], v[8:9], 0, v[10:11]
	global_load_ushort v4, v[2:3], off offset:64
	v_lshl_add_u64 v[2:3], v[6:7], 0, v[10:11]
	s_waitcnt vmcnt(0)
	v_lshlrev_b32_e32 v4, 16, v4
	v_sub_f32_e32 v4, v4, v5
	global_store_short_d16_hi v[2:3], v4, off offset:64
	v_mul_f32_e32 v2, v18, v4
	v_lshrrev_b32_e32 v11, 16, v2
.LBB105_90:
	s_or_b64 exec, exec, s[6:7]
	s_mov_b32 s6, 0x5040100
	v_accvgpr_read_b32 v5, a3
	v_perm_b32 v33, v11, v17, s6
	v_or_b32_e32 v11, v31, v22
	v_accvgpr_read_b32 v4, a2
	v_accvgpr_read_b32 v3, a1
	;; [unrolled: 1-line block ×3, first 2 shown]
	v_perm_b32 v32, v15, v13, s6
	v_lshlrev_b32_e32 v11, 1, v11
	v_mov_b32_e32 v15, 0
	v_mov_b32_e32 v13, 0
	ds_write_b64 v11, v[32:33] offset:24576
	s_and_saveexec_b64 s[6:7], vcc
	s_cbranch_execz .LBB105_92
; %bb.91:
	v_mov_b32_e32 v13, 0
	v_lshl_add_u64 v[22:23], v[8:9], 0, v[12:13]
	global_load_ushort v11, v[22:23], off offset:96
	v_lshl_add_u64 v[12:13], v[6:7], 0, v[12:13]
	s_waitcnt vmcnt(0)
	v_lshlrev_b32_e32 v11, 16, v11
	v_sub_f32_e32 v2, v11, v2
	global_store_short_d16_hi v[12:13], v2, off offset:96
	v_mul_f32_e32 v2, v21, v2
	v_lshrrev_b32_e32 v13, 16, v2
.LBB105_92:
	s_or_b64 exec, exec, s[6:7]
	s_and_saveexec_b64 s[6:7], s[2:3]
	s_cbranch_execz .LBB105_94
; %bb.93:
	v_mov_b32_e32 v15, 0
	v_lshl_add_u64 v[22:23], v[8:9], 0, v[14:15]
	global_load_ushort v2, v[22:23], off offset:96
	v_lshl_add_u64 v[14:15], v[6:7], 0, v[14:15]
	s_waitcnt vmcnt(0)
	v_lshlrev_b32_e32 v2, 16, v2
	v_sub_f32_e32 v2, v2, v3
	global_store_short_d16_hi v[14:15], v2, off offset:96
	v_mul_f32_e32 v2, v20, v2
	v_lshrrev_b32_e32 v15, 16, v2
.LBB105_94:
	s_or_b64 exec, exec, s[6:7]
	v_mov_b32_e32 v11, 0
	v_mov_b32_e32 v14, 0
	s_and_saveexec_b64 s[2:3], s[4:5]
	s_cbranch_execz .LBB105_96
; %bb.95:
	v_mov_b32_e32 v17, 0
	v_lshl_add_u64 v[2:3], v[8:9], 0, v[16:17]
	global_load_ushort v12, v[2:3], off offset:96
	v_lshl_add_u64 v[2:3], v[6:7], 0, v[16:17]
	s_waitcnt vmcnt(0)
	v_lshlrev_b32_e32 v12, 16, v12
	v_sub_f32_e32 v4, v12, v4
	global_store_short_d16_hi v[2:3], v4, off offset:96
	v_mul_f32_e32 v2, v30, v4
	v_lshrrev_b32_e32 v14, 16, v2
.LBB105_96:
	s_or_b64 exec, exec, s[2:3]
	v_or_b32_e32 v12, 0x6000, v26
	v_or_b32_e32 v4, 0x6000, v27
	v_or_b32_e32 v3, 0x6000, v28
	v_or_b32_e32 v2, 0x6000, v29
	s_and_saveexec_b64 s[2:3], s[0:1]
	s_cbranch_execz .LBB105_98
; %bb.97:
	v_mov_b32_e32 v11, 0
	v_lshl_add_u64 v[8:9], v[8:9], 0, v[10:11]
	global_load_ushort v8, v[8:9], off offset:96
	v_lshl_add_u64 v[6:7], v[6:7], 0, v[10:11]
	s_waitcnt vmcnt(0)
	v_lshlrev_b32_e32 v8, 16, v8
	v_sub_f32_e32 v5, v8, v5
	global_store_short_d16_hi v[6:7], v5, off offset:96
	v_mul_f32_e32 v5, v18, v5
	v_lshrrev_b32_e32 v11, 16, v5
.LBB105_98:
	s_or_b64 exec, exec, s[2:3]
	s_mov_b32 s0, 0x5040100
	v_or_b32_e32 v5, v31, v19
	v_perm_b32 v7, v11, v14, s0
	v_perm_b32 v6, v15, v13, s0
	v_lshlrev_b32_e32 v5, 1, v5
	s_movk_i32 s0, 0x100
	ds_write_b64 v5, v[6:7] offset:24576
	v_and_b32_e32 v5, 7, v0
	v_and_b32_e32 v6, 8, v0
	v_cmp_gt_u32_e32 vcc, s0, v0
	v_lshrrev_b32_e32 v0, 1, v0
	v_lshlrev_b32_e32 v23, 3, v1
	v_and_b32_e32 v24, 24, v0
	v_mov_b32_e32 v7, 0xa000
	v_mov_b32_e32 v8, 0x8000
	v_xor_b32_e32 v0, v23, v24
	v_cndmask_b32_e32 v22, v7, v8, vcc
	v_or_b32_e32 v1, 0x440, v0
	v_cmp_eq_u32_e32 vcc, 0, v6
	v_lshlrev_b32_e32 v13, 3, v5
	v_lshlrev_b32_e32 v5, 7, v5
	v_cndmask_b32_e32 v0, v1, v0, vcc
	v_or_b32_e32 v0, v0, v25
	v_xad_u32 v35, v0, v13, v5
	v_or_b32_e32 v10, 32, v24
	v_add_u32_e32 v0, v22, v35
	v_xor_b32_e32 v10, v23, v10
	s_waitcnt lgkmcnt(0)
	s_barrier
	ds_read_b64 v[0:1], v0
	ds_read2_b64 v[6:9], v12 offset1:16
	ds_read2_b64 v[14:17], v12 offset0:32 offset1:48
	v_or_b32_e32 v11, 0x440, v10
	v_cndmask_b32_e32 v10, v11, v10, vcc
	v_or_b32_e32 v10, v10, v25
	v_xad_u32 v80, v10, v13, v5
	v_add_u32_e32 v10, v22, v80
	s_waitcnt lgkmcnt(1)
	v_mfma_f32_16x16x16_bf16 a[0:3], v[0:1], v[6:7], 0
	ds_read_b64 v[10:11], v10
	ds_read2st64_b64 v[18:21], v12 offset0:4 offset1:8
	ds_read2st64_b64 v[26:29], v4 offset0:4 offset1:8
	v_mfma_f32_16x16x16_bf16 a[4:7], v[0:1], v[8:9], 0
	ds_read2st64_b64 v[30:33], v3 offset0:4 offset1:8
	ds_read2st64_b64 v[76:79], v2 offset0:4 offset1:8
	s_waitcnt lgkmcnt(5)
	v_mfma_f32_16x16x16_bf16 a[8:11], v[0:1], v[14:15], 0
	v_mfma_f32_16x16x16_bf16 a[12:15], v[0:1], v[16:17], 0
	v_or_b32_e32 v0, 64, v24
	v_xor_b32_e32 v0, v23, v0
	v_xor_b32_e32 v1, 0x440, v0
	v_cndmask_b32_e32 v0, v1, v0, vcc
	v_or_b32_e32 v0, v0, v25
	v_xad_u32 v81, v0, v13, v5
	v_add_u32_e32 v0, v22, v81
	ds_read_b64 v[0:1], v0
	s_waitcnt lgkmcnt(4)
	v_mfma_f32_16x16x16_bf16 a[0:3], v[10:11], v[18:19], a[0:3]
	s_waitcnt lgkmcnt(3)
	v_mfma_f32_16x16x16_bf16 a[4:7], v[10:11], v[26:27], a[4:7]
	;; [unrolled: 2-line block ×4, first 2 shown]
	v_or_b32_e32 v10, 0x60, v24
	v_xor_b32_e32 v10, v23, v10
	v_xor_b32_e32 v11, 0x440, v10
	v_cndmask_b32_e32 v10, v11, v10, vcc
	v_or_b32_e32 v10, v10, v25
	v_xad_u32 v23, v10, v13, v5
	v_add_u32_e32 v5, v22, v23
	s_waitcnt lgkmcnt(0)
	v_mfma_f32_16x16x16_bf16 a[0:3], v[0:1], v[20:21], a[0:3]
	ds_read_b64 v[10:11], v5
	ds_read_b64 v[12:13], v12 offset:6144
	v_mfma_f32_16x16x16_bf16 a[4:7], v[0:1], v[28:29], a[4:7]
	v_mfma_f32_16x16x16_bf16 a[8:11], v[0:1], v[32:33], a[8:11]
	;; [unrolled: 1-line block ×3, first 2 shown]
	ds_read_b64 v[0:1], v4 offset:6144
	ds_read_b64 v[4:5], v3 offset:6144
	;; [unrolled: 1-line block ×3, first 2 shown]
	s_waitcnt lgkmcnt(3)
	v_mfma_f32_16x16x16_bf16 a[0:3], v[10:11], v[12:13], a[0:3]
	s_waitcnt lgkmcnt(2)
	v_mfma_f32_16x16x16_bf16 a[4:7], v[10:11], v[0:1], a[4:7]
	;; [unrolled: 2-line block ×4, first 2 shown]
	ds_read_b64 v[10:11], v35 offset:40960
	s_waitcnt lgkmcnt(0)
	v_mfma_f32_16x16x16_bf16 a[16:19], v[10:11], v[6:7], 0
	ds_read_b64 v[6:7], v80 offset:40960
	v_mfma_f32_16x16x16_bf16 a[20:23], v[10:11], v[8:9], 0
	v_mov_b32_e32 v8, 0x3fb8aa3b
	v_mul_f32_e32 v8, s18, v8
	v_exp_f32_e32 v8, v8
	v_mfma_f32_16x16x16_bf16 a[24:27], v[10:11], v[14:15], 0
	v_accvgpr_read_b32 v15, a3
	v_accvgpr_read_b32 v14, a2
	v_pk_fma_f32 v[74:75], v[74:75], v[8:9], v[14:15] op_sel_hi:[1,0,1]
	v_mfma_f32_16x16x16_bf16 a[28:31], v[10:11], v[16:17], 0
	ds_read_b64 v[10:11], v81 offset:40960
	ds_read_b64 v[14:15], v23 offset:40960
	v_accvgpr_read_b32 v17, a7
	s_waitcnt lgkmcnt(2)
	v_mfma_f32_16x16x16_bf16 a[16:19], v[6:7], v[18:19], a[16:19]
	v_accvgpr_read_b32 v16, a6
	v_accvgpr_read_b32 v19, a15
	;; [unrolled: 1-line block ×3, first 2 shown]
	v_mfma_f32_16x16x16_bf16 a[20:23], v[6:7], v[26:27], a[20:23]
	v_pk_fma_f32 v[66:67], v[66:67], v[8:9], v[16:17] op_sel_hi:[1,0,1]
	v_pk_fma_f32 v[52:53], v[52:53], v[8:9], v[18:19] op_sel_hi:[1,0,1]
	v_mfma_f32_16x16x16_bf16 a[24:27], v[6:7], v[30:31], a[24:27]
	v_mfma_f32_16x16x16_bf16 a[28:31], v[6:7], v[76:77], a[28:31]
	v_accvgpr_read_b32 v7, a11
	v_accvgpr_read_b32 v6, a10
	v_pk_fma_f32 v[58:59], v[58:59], v[8:9], v[6:7] op_sel_hi:[1,0,1]
	s_waitcnt lgkmcnt(1)
	v_mfma_f32_16x16x16_bf16 a[16:19], v[10:11], v[20:21], a[16:19]
	v_accvgpr_read_b32 v21, a1
	v_accvgpr_read_b32 v20, a0
	v_pk_fma_f32 v[70:71], v[70:71], v[8:9], v[20:21] op_sel_hi:[1,0,1]
	v_mfma_f32_16x16x16_bf16 a[0:3], v[10:11], v[28:29], a[20:23]
	v_accvgpr_read_b32 v21, a5
	v_accvgpr_read_b32 v20, a4
	;; [unrolled: 1-line block ×3, first 2 shown]
	v_mfma_f32_16x16x16_bf16 a[20:23], v[10:11], v[32:33], a[24:27]
	v_accvgpr_read_b32 v7, a13
	v_pk_fma_f32 v[46:47], v[46:47], v[8:9], v[6:7] op_sel_hi:[1,0,1]
	v_pk_fma_f32 v[62:63], v[62:63], v[8:9], v[20:21] op_sel_hi:[1,0,1]
	v_mfma_f32_16x16x16_bf16 a[4:7], v[10:11], v[78:79], a[28:31]
	v_accvgpr_read_b32 v11, a9
	v_accvgpr_read_b32 v10, a8
	v_pk_fma_f32 v[54:55], v[54:55], v[8:9], v[10:11] op_sel_hi:[1,0,1]
	s_waitcnt lgkmcnt(0)
	v_mfma_f32_16x16x16_bf16 a[8:11], v[14:15], v[12:13], a[16:19]
	v_mfma_f32_16x16x16_bf16 a[0:3], v[14:15], v[0:1], a[0:3]
	s_nop 5
	v_accvgpr_read_b32 v1, a11
	v_accvgpr_read_b32 v0, a10
	v_mfma_f32_16x16x16_bf16 a[10:13], v[14:15], v[4:5], a[20:23]
	v_pk_fma_f32 v[72:73], v[72:73], v[8:9], v[0:1] op_sel_hi:[1,0,1]
	v_accvgpr_read_b32 v7, a3
	v_accvgpr_read_b32 v6, a2
	v_mfma_f32_16x16x16_bf16 a[2:5], v[14:15], v[2:3], a[4:7]
	v_accvgpr_read_b32 v0, a0
	v_accvgpr_read_b32 v1, a1
	v_pk_fma_f32 v[60:61], v[60:61], v[8:9], v[0:1] op_sel_hi:[1,0,1]
	v_accvgpr_read_b32 v0, a10
	v_accvgpr_read_b32 v1, a11
	;; [unrolled: 1-line block ×3, first 2 shown]
	v_pk_fma_f32 v[50:51], v[50:51], v[8:9], v[0:1] op_sel_hi:[1,0,1]
	v_accvgpr_read_b32 v0, a2
	v_accvgpr_read_b32 v5, a13
	;; [unrolled: 1-line block ×7, first 2 shown]
	v_pk_fma_f32 v[68:69], v[68:69], v[8:9], v[10:11] op_sel_hi:[1,0,1]
	v_pk_fma_f32 v[64:65], v[64:65], v[8:9], v[6:7] op_sel_hi:[1,0,1]
	;; [unrolled: 1-line block ×5, first 2 shown]
.LBB105_99:
	s_add_u32 s0, s10, s34
	s_addc_u32 s1, s11, s35
	v_lshl_add_u64 v[0:1], v[36:37], 1, s[0:1]
	v_mov_b32_e32 v35, 0
	s_mov_b32 s2, 0x7060302
	v_lshl_add_u64 v[0:1], v[0:1], 0, v[34:35]
	v_perm_b32 v3, v75, v74, s2
	v_perm_b32 v2, v71, v70, s2
	global_store_dwordx2 v[0:1], v[2:3], off
	v_perm_b32 v3, v73, v72, s2
	v_perm_b32 v2, v69, v68, s2
	global_store_dwordx2 v[0:1], v[2:3], off offset:128
	v_lshl_add_u64 v[0:1], v[38:39], 1, s[0:1]
	v_lshl_add_u64 v[0:1], v[0:1], 0, v[34:35]
	v_perm_b32 v3, v67, v66, s2
	v_perm_b32 v2, v63, v62, s2
	global_store_dwordx2 v[0:1], v[2:3], off
	v_perm_b32 v3, v65, v64, s2
	v_perm_b32 v2, v61, v60, s2
	global_store_dwordx2 v[0:1], v[2:3], off offset:128
	v_lshl_add_u64 v[0:1], v[40:41], 1, s[0:1]
	;; [unrolled: 8-line block ×3, first 2 shown]
	v_lshl_add_u64 v[0:1], v[0:1], 0, v[34:35]
	v_perm_b32 v3, v53, v52, s2
	v_perm_b32 v2, v47, v46, s2
	global_store_dwordx2 v[0:1], v[2:3], off
	v_perm_b32 v3, v49, v48, s2
	v_perm_b32 v2, v45, v44, s2
	global_store_dwordx2 v[0:1], v[2:3], off offset:128
	s_endpgm
	.section	.rodata,"a",@progbits
	.p2align	6, 0x0
	.amdhsa_kernel _ZN12_GLOBAL__N_139chunk_gated_delta_rule_fwd_h_hip_kernelILi64ELb1ELb1ELb1ELb0ELb0ELb0ELb1ELb1EEEvPK12hip_bfloat16S3_S3_PKfS5_PKvPS1_S8_PvPKiSB_iiiiilll
		.amdhsa_group_segment_fixed_size 65536
		.amdhsa_private_segment_fixed_size 0
		.amdhsa_kernarg_size 136
		.amdhsa_user_sgpr_count 2
		.amdhsa_user_sgpr_dispatch_ptr 0
		.amdhsa_user_sgpr_queue_ptr 0
		.amdhsa_user_sgpr_kernarg_segment_ptr 1
		.amdhsa_user_sgpr_dispatch_id 0
		.amdhsa_user_sgpr_kernarg_preload_length 0
		.amdhsa_user_sgpr_kernarg_preload_offset 0
		.amdhsa_user_sgpr_private_segment_size 0
		.amdhsa_uses_dynamic_stack 0
		.amdhsa_enable_private_segment 0
		.amdhsa_system_sgpr_workgroup_id_x 1
		.amdhsa_system_sgpr_workgroup_id_y 1
		.amdhsa_system_sgpr_workgroup_id_z 0
		.amdhsa_system_sgpr_workgroup_info 0
		.amdhsa_system_vgpr_workitem_id 0
		.amdhsa_next_free_vgpr 228
		.amdhsa_next_free_sgpr 72
		.amdhsa_accum_offset 192
		.amdhsa_reserve_vcc 1
		.amdhsa_float_round_mode_32 0
		.amdhsa_float_round_mode_16_64 0
		.amdhsa_float_denorm_mode_32 3
		.amdhsa_float_denorm_mode_16_64 3
		.amdhsa_dx10_clamp 1
		.amdhsa_ieee_mode 1
		.amdhsa_fp16_overflow 0
		.amdhsa_tg_split 0
		.amdhsa_exception_fp_ieee_invalid_op 0
		.amdhsa_exception_fp_denorm_src 0
		.amdhsa_exception_fp_ieee_div_zero 0
		.amdhsa_exception_fp_ieee_overflow 0
		.amdhsa_exception_fp_ieee_underflow 0
		.amdhsa_exception_fp_ieee_inexact 0
		.amdhsa_exception_int_div_zero 0
	.end_amdhsa_kernel
	.section	.text._ZN12_GLOBAL__N_139chunk_gated_delta_rule_fwd_h_hip_kernelILi64ELb1ELb1ELb1ELb0ELb0ELb0ELb1ELb1EEEvPK12hip_bfloat16S3_S3_PKfS5_PKvPS1_S8_PvPKiSB_iiiiilll,"axG",@progbits,_ZN12_GLOBAL__N_139chunk_gated_delta_rule_fwd_h_hip_kernelILi64ELb1ELb1ELb1ELb0ELb0ELb0ELb1ELb1EEEvPK12hip_bfloat16S3_S3_PKfS5_PKvPS1_S8_PvPKiSB_iiiiilll,comdat
.Lfunc_end105:
	.size	_ZN12_GLOBAL__N_139chunk_gated_delta_rule_fwd_h_hip_kernelILi64ELb1ELb1ELb1ELb0ELb0ELb0ELb1ELb1EEEvPK12hip_bfloat16S3_S3_PKfS5_PKvPS1_S8_PvPKiSB_iiiiilll, .Lfunc_end105-_ZN12_GLOBAL__N_139chunk_gated_delta_rule_fwd_h_hip_kernelILi64ELb1ELb1ELb1ELb0ELb0ELb0ELb1ELb1EEEvPK12hip_bfloat16S3_S3_PKfS5_PKvPS1_S8_PvPKiSB_iiiiilll
                                        ; -- End function
	.section	.AMDGPU.csdata,"",@progbits
; Kernel info:
; codeLenInByte = 12828
; NumSgprs: 78
; NumVgprs: 190
; NumAgprs: 36
; TotalNumVgprs: 228
; ScratchSize: 0
; MemoryBound: 0
; FloatMode: 240
; IeeeMode: 1
; LDSByteSize: 65536 bytes/workgroup (compile time only)
; SGPRBlocks: 9
; VGPRBlocks: 28
; NumSGPRsForWavesPerEU: 78
; NumVGPRsForWavesPerEU: 228
; AccumOffset: 192
; Occupancy: 1
; WaveLimiterHint : 1
; COMPUTE_PGM_RSRC2:SCRATCH_EN: 0
; COMPUTE_PGM_RSRC2:USER_SGPR: 2
; COMPUTE_PGM_RSRC2:TRAP_HANDLER: 0
; COMPUTE_PGM_RSRC2:TGID_X_EN: 1
; COMPUTE_PGM_RSRC2:TGID_Y_EN: 1
; COMPUTE_PGM_RSRC2:TGID_Z_EN: 0
; COMPUTE_PGM_RSRC2:TIDIG_COMP_CNT: 0
; COMPUTE_PGM_RSRC3_GFX90A:ACCUM_OFFSET: 47
; COMPUTE_PGM_RSRC3_GFX90A:TG_SPLIT: 0
	.section	.text._ZN12_GLOBAL__N_139chunk_gated_delta_rule_fwd_h_hip_kernelILi64ELb1ELb1ELb0ELb0ELb0ELb0ELb1ELb1EEEvPK12hip_bfloat16S3_S3_PKfS5_PKvPS1_S8_PvPKiSB_iiiiilll,"axG",@progbits,_ZN12_GLOBAL__N_139chunk_gated_delta_rule_fwd_h_hip_kernelILi64ELb1ELb1ELb0ELb0ELb0ELb0ELb1ELb1EEEvPK12hip_bfloat16S3_S3_PKfS5_PKvPS1_S8_PvPKiSB_iiiiilll,comdat
	.globl	_ZN12_GLOBAL__N_139chunk_gated_delta_rule_fwd_h_hip_kernelILi64ELb1ELb1ELb0ELb0ELb0ELb0ELb1ELb1EEEvPK12hip_bfloat16S3_S3_PKfS5_PKvPS1_S8_PvPKiSB_iiiiilll ; -- Begin function _ZN12_GLOBAL__N_139chunk_gated_delta_rule_fwd_h_hip_kernelILi64ELb1ELb1ELb0ELb0ELb0ELb0ELb1ELb1EEEvPK12hip_bfloat16S3_S3_PKfS5_PKvPS1_S8_PvPKiSB_iiiiilll
	.p2align	8
	.type	_ZN12_GLOBAL__N_139chunk_gated_delta_rule_fwd_h_hip_kernelILi64ELb1ELb1ELb0ELb0ELb0ELb0ELb1ELb1EEEvPK12hip_bfloat16S3_S3_PKfS5_PKvPS1_S8_PvPKiSB_iiiiilll,@function
_ZN12_GLOBAL__N_139chunk_gated_delta_rule_fwd_h_hip_kernelILi64ELb1ELb1ELb0ELb0ELb0ELb0ELb1ELb1EEEvPK12hip_bfloat16S3_S3_PKfS5_PKvPS1_S8_PvPKiSB_iiiiilll: ; @_ZN12_GLOBAL__N_139chunk_gated_delta_rule_fwd_h_hip_kernelILi64ELb1ELb1ELb0ELb0ELb0ELb0ELb1ELb1EEEvPK12hip_bfloat16S3_S3_PKfS5_PKvPS1_S8_PvPKiSB_iiiiilll
; %bb.0:
	s_load_dwordx4 s[12:15], s[0:1], 0x5c
	s_load_dwordx4 s[20:23], s[0:1], 0x70
	s_abs_i32 s6, s3
	s_ashr_i32 s5, s3, 31
	s_load_dwordx4 s[16:19], s[0:1], 0x28
	s_waitcnt lgkmcnt(0)
	s_abs_i32 s4, s13
	v_cvt_f32_u32_e32 v1, s4
	s_sub_i32 s8, 0, s4
	s_ashr_i32 s7, s13, 31
	s_xor_b32 s5, s5, s7
	v_rcp_iflag_f32_e32 v1, v1
	v_and_b32_e32 v86, 15, v0
	v_bfe_u32 v85, v0, 4, 2
	v_mov_b32_e32 v35, 0
	v_mul_f32_e32 v1, 0x4f7ffffe, v1
	v_cvt_u32_f32_e32 v1, v1
	v_lshlrev_b32_e32 v88, 3, v0
	v_readfirstlane_b32 s9, v1
	s_mul_i32 s8, s8, s9
	s_mul_hi_u32 s8, s9, s8
	s_add_i32 s9, s9, s8
	s_mul_hi_u32 s8, s6, s9
	s_mul_i32 s9, s8, s4
	s_sub_i32 s6, s6, s9
	s_add_i32 s10, s8, 1
	s_sub_i32 s9, s6, s4
	s_cmp_ge_u32 s6, s4
	s_cselect_b32 s8, s10, s8
	s_cselect_b32 s6, s9, s6
	s_add_i32 s9, s8, 1
	s_cmp_ge_u32 s6, s4
	s_cselect_b32 s6, s9, s8
	s_xor_b32 s6, s6, s5
	s_add_i32 s8, s12, 63
	s_sub_i32 s53, s6, s5
	s_ashr_i32 s9, s8, 31
	s_mul_i32 s5, s53, s13
	s_sub_i32 s50, s3, s5
	s_lshr_b32 s3, s9, 26
	s_add_i32 s8, s8, s3
	s_abs_i32 s3, s14
	v_cvt_f32_u32_e32 v1, s3
	s_ashr_i32 s52, s12, 31
	s_lshr_b32 s6, s52, 26
	s_add_i32 s6, s12, s6
	v_rcp_iflag_f32_e32 v1, v1
	s_ashr_i32 s55, s14, 31
	s_ashr_i32 s24, s8, 6
	;; [unrolled: 1-line block ×3, first 2 shown]
	v_mul_f32_e32 v1, 0x4f7ffffe, v1
	v_cvt_u32_f32_e32 v1, v1
	s_xor_b32 s6, s7, s55
	s_sub_i32 s7, 0, s3
	s_lshl_b32 s2, s2, 6
	v_readfirstlane_b32 s8, v1
	s_mul_i32 s7, s7, s8
	s_mul_hi_u32 s7, s8, s7
	s_add_i32 s8, s8, s7
	s_mul_hi_u32 s7, s4, s8
	s_mul_i32 s8, s7, s3
	s_sub_i32 s4, s4, s8
	s_add_i32 s8, s7, 1
	s_sub_i32 s9, s4, s3
	s_cmp_ge_u32 s4, s3
	s_cselect_b32 s7, s8, s7
	s_cselect_b32 s4, s9, s4
	s_add_i32 s8, s7, 1
	s_cmp_ge_u32 s4, s3
	s_cselect_b32 s3, s8, s7
	s_xor_b32 s3, s3, s6
	s_sub_i32 s3, s3, s6
	s_abs_i32 s4, s3
	v_cvt_f32_u32_e32 v1, s4
	s_sub_i32 s7, 0, s4
	s_abs_i32 s6, s50
	s_xor_b32 s3, s50, s3
	v_rcp_iflag_f32_e32 v2, v1
	s_ashr_i32 s3, s3, 31
	v_or_b32_e32 v76, s2, v86
	v_lshrrev_b32_e32 v1, 6, v0
	v_mul_f32_e32 v2, 0x4f7ffffe, v2
	v_cvt_u32_f32_e32 v2, v2
	v_lshlrev_b32_e32 v36, 7, v76
	v_lshlrev_b32_e32 v84, 4, v1
	v_or_b32_e32 v38, 0x800, v36
	v_readfirstlane_b32 s8, v2
	s_mul_i32 s7, s7, s8
	s_mul_hi_u32 s7, s8, s7
	s_add_i32 s8, s8, s7
	s_mul_hi_u32 s7, s6, s8
	s_mul_i32 s8, s7, s4
	s_sub_i32 s6, s6, s8
	s_add_i32 s8, s7, 1
	s_sub_i32 s9, s6, s4
	s_cmp_ge_u32 s6, s4
	s_cselect_b32 s7, s8, s7
	s_cselect_b32 s6, s9, s6
	s_add_i32 s8, s7, 1
	s_cmp_ge_u32 s6, s4
	s_cselect_b32 s4, s8, s7
	s_xor_b32 s4, s4, s3
	s_sub_i32 s56, s4, s3
	s_ashr_i32 s3, s53, 31
	s_ashr_i32 s51, s50, 31
	s_mul_hi_i32 s4, s53, s13
	s_add_u32 s40, s5, s50
	s_addc_u32 s41, s4, s51
	s_lshl_b64 s[28:29], s[40:41], 15
	s_add_u32 s4, s16, s28
	v_lshl_or_b32 v89, v85, 2, v84
	s_addc_u32 s5, s17, s29
	v_ashrrev_i32_e32 v37, 31, v36
	v_ashrrev_i32_e32 v39, 31, v38
	v_lshl_add_u64 v[2:3], v[36:37], 1, s[4:5]
	v_lshlrev_b32_e32 v34, 1, v89
	v_lshl_add_u64 v[6:7], v[38:39], 1, s[4:5]
	v_or_b32_e32 v40, 0x1000, v36
	v_or_b32_e32 v42, 0x1800, v36
	v_lshl_add_u64 v[2:3], v[2:3], 0, v[34:35]
	v_lshl_add_u64 v[6:7], v[6:7], 0, v[34:35]
	v_ashrrev_i32_e32 v41, 31, v40
	v_ashrrev_i32_e32 v43, 31, v42
	global_load_dwordx2 v[4:5], v[2:3], off
	v_lshl_add_u64 v[14:15], v[42:43], 1, s[4:5]
	global_load_dwordx2 v[2:3], v[2:3], off offset:128
	s_nop 0
	global_load_dwordx2 v[8:9], v[6:7], off
	global_load_dwordx2 v[10:11], v[6:7], off offset:128
	v_lshl_add_u64 v[6:7], v[40:41], 1, s[4:5]
	v_lshl_add_u64 v[6:7], v[6:7], 0, v[34:35]
	;; [unrolled: 1-line block ×3, first 2 shown]
	global_load_dwordx2 v[12:13], v[6:7], off
	v_and_b32_e32 v35, 63, v0
	global_load_dwordx2 v[6:7], v[6:7], off offset:128
	s_nop 0
	global_load_dwordx2 v[16:17], v[14:15], off
	global_load_dwordx2 v[18:19], v[14:15], off offset:128
	s_load_dwordx2 s[30:31], s[0:1], 0x40
	s_load_dwordx8 s[4:11], s[0:1], 0x0
	s_load_dwordx2 s[34:35], s[0:1], 0x80
	v_lshrrev_b32_e32 v87, 3, v35
	v_or_b32_e32 v90, 64, v89
	s_mul_i32 s57, s53, s24
	s_cmp_lt_i32 s12, 64
	s_mul_i32 s58, s41, s12
	s_mul_hi_u32 s59, s40, s12
	s_mul_i32 s16, s40, s12
	s_mul_i32 s33, s53, s21
	s_mul_hi_u32 s46, s53, s20
	s_mul_i32 s41, s3, s20
	s_mul_i32 s38, s53, s20
	;; [unrolled: 1-line block ×3, first 2 shown]
	s_mul_hi_u32 s48, s50, s22
	s_mul_i32 s49, s51, s22
	s_mul_i32 s36, s50, s22
	s_waitcnt vmcnt(7)
	v_and_b32_e32 v71, 0xffff0000, v4
	v_lshlrev_b32_e32 v70, 16, v4
	v_and_b32_e32 v75, 0xffff0000, v5
	v_lshlrev_b32_e32 v74, 16, v5
	s_waitcnt vmcnt(6)
	v_and_b32_e32 v69, 0xffff0000, v2
	v_lshlrev_b32_e32 v68, 16, v2
	v_and_b32_e32 v73, 0xffff0000, v3
	v_lshlrev_b32_e32 v72, 16, v3
	;; [unrolled: 5-line block ×8, first 2 shown]
	s_cbranch_scc1 .LBB106_18
; %bb.1:
	s_add_i32 s17, s59, s58
	s_lshl_b64 s[0:1], s[16:17], 8
	v_and_b32_e32 v92, 56, v88
	s_waitcnt lgkmcnt(0)
	s_add_u32 s20, s6, s0
	v_lshl_or_b32 v91, v1, 3, v87
	v_lshlrev_b32_e32 v2, 1, v92
	s_addc_u32 s0, s7, s1
	v_lshl_or_b32 v93, v91, 8, v2
	s_and_b32 s21, s0, 0xffff
	s_mov_b32 s23, 0x20000
	s_movk_i32 s22, 0x4000
	s_movk_i32 s0, 0x80
	v_or_b32_e32 v94, 0x2000, v93
	buffer_load_dwordx4 v[4:7], v93, s[20:23], 0 offen
	buffer_load_dwordx4 v[8:11], v93, s[20:23], s0 offen
	buffer_load_dwordx4 v[12:15], v94, s[20:23], 0 offen
	buffer_load_dwordx4 v[16:19], v94, s[20:23], s0 offen
	v_lshlrev_b32_e32 v3, 3, v91
	v_and_or_b32 v21, v0, 7, v3
	v_and_b32_e32 v3, 0x78, v3
	v_lshlrev_b32_e32 v21, 4, v21
	v_xor_b32_e32 v95, v21, v3
	v_mul_lo_u32 v20, v91, s15
	v_or_b32_e32 v96, 0x1000, v95
	v_xor_b32_e32 v3, 8, v95
	s_cmpk_eq_i32 s15, 0x80
	s_mov_b32 s60, s14
	v_xor_b32_e32 v21, 8, v96
	s_cselect_b64 s[0:1], -1, 0
	s_cmpk_lg_i32 s15, 0x80
	s_waitcnt vmcnt(3)
	ds_write_b64 v95, v[4:5] offset:49152
	ds_write_b64 v3, v[6:7] offset:49152
	s_waitcnt vmcnt(2)
	ds_write_b64 v95, v[8:9] offset:57344
	ds_write_b64 v3, v[10:11] offset:57344
	;; [unrolled: 3-line block ×4, first 2 shown]
	v_lshl_add_u32 v3, v20, 1, v92
	s_cbranch_scc0 .LBB106_3
; %bb.2:
	v_lshlrev_b32_e32 v5, 1, v3
	v_add_lshl_u32 v4, v3, s15, 1
	s_lshl_b32 s22, s15, 7
	v_lshl_or_b32 v2, v91, 9, v2
	s_cbranch_execz .LBB106_4
	s_branch .LBB106_5
.LBB106_3:
                                        ; implicit-def: $vgpr4
                                        ; implicit-def: $vgpr5
                                        ; implicit-def: $sgpr22
	v_lshl_or_b32 v2, v91, 9, v2
.LBB106_4:
	v_or_b32_e32 v4, 0x100, v2
	s_movk_i32 s22, 0x4000
	v_mov_b32_e32 v5, v2
.LBB106_5:
	s_mul_hi_u32 s20, s14, s12
	s_mul_i32 s21, s55, s12
	s_add_i32 s20, s20, s21
	s_mul_i32 s21, s14, s12
	s_mul_i32 s23, s21, s3
	s_mul_hi_u32 s24, s21, s53
	s_add_i32 s23, s24, s23
	s_mul_i32 s20, s20, s53
	s_add_i32 s23, s23, s20
	s_mul_i32 s21, s21, s53
	s_ashr_i32 s61, s56, 31
	s_add_u32 s20, s21, s56
	s_addc_u32 s21, s23, s61
	s_lshl_b64 s[20:21], s[20:21], 8
	s_add_u32 s20, s4, s20
	s_addc_u32 s21, s5, s21
	s_and_b32 s21, s21, 0xffff
	s_mov_b32 s23, 0x20000
	s_movk_i32 s62, 0x80
	buffer_load_dwordx4 v[6:9], v5, s[20:23], 0 offen
	buffer_load_dwordx4 v[10:13], v5, s[20:23], s62 offen
	;; [unrolled: 1-line block ×4, first 2 shown]
	v_and_b32_e32 v5, 6, v0
	v_lshlrev_b32_e32 v4, 7, v89
	v_xor_b32_e32 v26, v91, v5
	v_and_b32_e32 v22, 1, v0
	v_lshl_or_b32 v29, v86, 3, v4
	v_lshlrev_b32_e32 v26, 2, v26
	v_or_b32_e32 v97, 0x4000, v29
	v_or_b32_e32 v98, 0x6000, v29
	v_xor_b32_e32 v29, 0x440, v26
	v_cmp_eq_u32_e32 vcc, 0, v22
	v_lshlrev_b32_e32 v23, 2, v86
	s_mov_b32 s64, 0x1000504
	v_cndmask_b32_e32 v22, v29, v26, vcc
	v_xor_b32_e32 v27, v89, v23
	v_xor_b32_e32 v28, v90, v23
	v_lshl_or_b32 v5, v5, 10, v22
	s_mov_b32 s65, 0x3020706
	v_lshlrev_b32_e32 v24, 8, v86
	v_or_b32_e32 v25, 16, v86
	v_lshlrev_b32_e32 v27, 1, v27
	v_lshlrev_b32_e32 v28, 1, v28
	v_xor_b32_e32 v22, 8, v5
	v_xor_b32_e32 v26, 24, v5
	;; [unrolled: 1-line block ×4, first 2 shown]
	s_mul_i32 s3, s3, s12
	s_mul_hi_u32 s20, s53, s12
	v_or_b32_e32 v100, v24, v27
	v_or_b32_e32 v101, v24, v28
	v_xor_b32_e32 v24, 16, v5
	v_xor_b32_e32 v29, 32, v5
	v_xor_b32_e32 v32, 48, v5
	v_add_u32_e32 v22, 0x80, v22
	v_add_u32_e32 v26, 0x80, v26
	;; [unrolled: 1-line block ×4, first 2 shown]
	s_add_i32 s67, s20, s3
	s_add_i32 s3, s46, s33
	;; [unrolled: 1-line block ×5, first 2 shown]
	s_lshl_b64 s[20:21], s[38:39], 2
	s_add_u32 s3, s10, s20
	s_addc_u32 s24, s11, s21
	s_lshl_b64 s[20:21], s[36:37], 2
	s_add_u32 s42, s3, s20
	s_movk_i32 s3, 0xf8
	s_addc_u32 s43, s24, s21
	s_lshl_b32 s26, s15, 7
	s_movk_i32 s24, 0x100
	v_mov_b32_e32 v79, 0
	v_cmp_gt_u32_e32 vcc, s24, v0
	v_lshl_or_b32 v30, v25, 3, v4
	s_mov_b32 s63, 0
	s_mul_i32 s66, s53, s12
	v_or_b32_e32 v99, 0x4000, v30
	s_movk_i32 s22, 0x4000
	v_or_b32_e32 v102, 0x6000, v30
	s_movk_i32 s37, 0x2000
	s_movk_i32 s39, 0x3000
	v_mov_b32_e32 v140, 0x3fb8aa3b
	s_mov_b32 s69, 0
	s_waitcnt vmcnt(1)
	v_perm_b32 v77, v6, v14, s64
	s_waitcnt vmcnt(0)
	v_perm_b32 v78, v10, v18, s64
	v_perm_b32 v6, v6, v14, s65
	;; [unrolled: 1-line block ×15, first 2 shown]
	ds_write2st64_b32 v5, v77, v78 offset0:128 offset1:160
	ds_write2st64_b32 v22, v6, v10 offset0:128 offset1:160
	;; [unrolled: 1-line block ×8, first 2 shown]
	v_lshlrev_b32_e32 v5, 8, v25
	v_or_b32_e32 v103, v5, v27
	v_or_b32_e32 v104, v5, v28
	;; [unrolled: 1-line block ×3, first 2 shown]
	v_lshl_or_b32 v6, v5, 3, v4
	v_lshlrev_b32_e32 v5, 8, v5
	v_or_b32_e32 v107, v5, v27
	v_or_b32_e32 v108, v5, v28
	;; [unrolled: 1-line block ×5, first 2 shown]
	v_lshl_or_b32 v6, v5, 3, v4
	v_lshlrev_b32_e32 v5, 8, v5
	v_or_b32_e32 v111, v5, v27
	v_or_b32_e32 v112, v5, v28
	;; [unrolled: 1-line block ×3, first 2 shown]
	v_lshlrev_b32_e32 v5, 3, v5
	v_lshrrev_b32_e32 v7, 5, v35
	v_and_or_b32 v7, v5, s3, v7
	v_lshlrev_b32_e32 v7, 4, v7
	v_lshlrev_b32_e32 v8, 11, v1
	v_and_b32_e32 v5, 0x78, v5
	v_or_b32_e32 v13, 32, v7
	v_or_b32_e32 v109, 0x4000, v6
	;; [unrolled: 1-line block ×3, first 2 shown]
	v_and_b32_e32 v6, 0x1000, v8
	v_xor_b32_e32 v9, v7, v5
	v_lshrrev_b32_e32 v10, 1, v0
	v_xor_b32_e32 v13, v13, v5
	v_or_b32_e32 v9, v9, v6
	v_and_b32_e32 v11, 8, v10
	v_or_b32_e32 v13, v13, v6
	v_xor_b32_e32 v113, v9, v11
	v_lshlrev_b32_e32 v9, 8, v85
	v_xor_b32_e32 v115, v13, v11
	v_or_b32_e32 v13, 64, v7
	v_or_b32_e32 v7, 0x60, v7
	s_ashr_i32 s3, s2, 31
	v_or_b32_e32 v12, v9, v23
	v_xor_b32_e32 v13, v13, v5
	v_xor_b32_e32 v5, v7, v5
	s_lshl_b64 s[20:21], s[2:3], 8
	v_lshlrev_b32_e32 v12, 1, v12
	v_or_b32_e32 v13, v13, v6
	v_or_b32_e32 v5, v5, v6
	s_add_u32 s20, s18, s20
	v_lshlrev_b32_e32 v6, 1, v86
	v_or_b32_e32 v114, 0x4000, v12
	v_or_b32_e32 v116, 0x4080, v12
	;; [unrolled: 1-line block ×8, first 2 shown]
	v_lshrrev_b32_e32 v12, 4, v0
	s_addc_u32 s21, s19, s21
	v_or_b32_e32 v7, 1, v6
	v_lshlrev_b32_e32 v78, 4, v86
	v_mov_b32_e32 v16, 0xa000
	v_mov_b32_e32 v17, 0x8000
	v_xor_b32_e32 v119, v13, v11
	v_xor_b32_e32 v13, v12, v6
	;; [unrolled: 1-line block ×3, first 2 shown]
	v_lshl_add_u64 v[6:7], s[20:21], 0, v[78:79]
	v_lshlrev_b32_e32 v78, 8, v12
	v_cndmask_b32_e32 v16, v16, v17, vcc
	v_lshlrev_b32_e32 v17, 3, v1
	v_and_b32_e32 v10, 24, v10
	v_lshl_or_b32 v125, v13, 3, v78
	v_and_b32_e32 v13, 8, v0
	v_xor_b32_e32 v18, v17, v10
	v_or_b32_e32 v19, 0x440, v18
	v_cmp_eq_u32_e32 vcc, 0, v13
	v_and_b32_e32 v12, 7, v0
	v_lshl_or_b32 v126, v14, 3, v78
	v_cndmask_b32_e32 v13, v19, v18, vcc
	v_lshlrev_b32_e32 v14, 3, v12
	v_lshlrev_b32_e32 v12, 7, v12
	v_or_b32_e32 v13, v13, v8
	v_lshlrev_b32_e32 v15, 2, v0
	v_xad_u32 v127, v13, v14, v12
	v_or_b32_e32 v13, 32, v10
	v_and_or_b32 v9, v15, 60, v9
	v_xor_b32_e32 v13, v17, v13
	v_lshlrev_b32_e32 v9, 1, v9
	v_or_b32_e32 v15, 0x440, v13
	v_or_b32_e32 v128, 0x6000, v9
	v_cndmask_b32_e32 v13, v15, v13, vcc
	v_or_b32_e32 v130, 0x6080, v9
	v_or_b32_e32 v131, 0x6100, v9
	;; [unrolled: 1-line block ×5, first 2 shown]
	v_xor_b32_e32 v9, v17, v9
	v_xad_u32 v129, v13, v14, v12
	v_xor_b32_e32 v13, 0x440, v9
	v_cndmask_b32_e32 v9, v13, v9, vcc
	v_or_b32_e32 v9, v9, v8
	v_xad_u32 v133, v9, v14, v12
	v_or_b32_e32 v9, 0x60, v10
	v_xor_b32_e32 v9, v17, v9
	v_xor_b32_e32 v10, 0x440, v9
	v_cndmask_b32_e32 v9, v10, v9, vcc
	v_or_b32_e32 v8, v9, v8
	v_xor_b32_e32 v120, v5, v11
	v_ashrrev_i32_e32 v77, 31, v76
	v_lshlrev_b32_e32 v5, 1, v3
	v_add_lshl_u32 v3, v3, s15, 1
	v_or_b32_e32 v11, 0x100, v2
	v_xad_u32 v134, v8, v14, v12
	v_cndmask_b32_e64 v135, v5, v2, s[0:1]
	v_cndmask_b32_e64 v136, v3, v11, s[0:1]
	v_lshl_add_u64 v[80:81], v[76:77], 1, s[8:9]
	v_lshl_add_u64 v[82:83], v[6:7], 0, v[78:79]
	s_mov_b32 s3, 0x7060302
	v_lshlrev_b32_e32 v78, 1, v4
	v_add_u32_e32 v77, v16, v127
	v_add_u32_e32 v137, v16, v129
	;; [unrolled: 1-line block ×4, first 2 shown]
	s_waitcnt lgkmcnt(0)
	s_barrier
.LBB106_6:                              ; =>This Inner Loop Header: Depth=1
	s_add_i32 s68, s69, 1
	s_cmp_lt_i32 s68, s54
	s_mov_b64 s[24:25], 0
	s_cselect_b64 s[44:45], -1, 0
	s_cmp_ge_i32 s68, s54
	s_mov_b64 s[20:21], 0
	s_cbranch_scc1 .LBB106_8
; %bb.7:                                ;   in Loop: Header=BB106_6 Depth=1
	s_add_i32 s0, s63, 64
	s_add_u32 s0, s16, s0
	s_addc_u32 s1, s17, 0
	s_lshl_b64 s[0:1], s[0:1], 8
	s_add_u32 s20, s6, s0
	s_addc_u32 s21, s7, s1
.LBB106_8:                              ;   in Loop: Header=BB106_6 Depth=1
	v_cndmask_b32_e64 v2, 0, 1, s[44:45]
	v_cmp_ne_u32_e64 s[0:1], 1, v2
	s_andn2_b64 vcc, exec, s[44:45]
	s_cbranch_vccnz .LBB106_10
; %bb.9:                                ;   in Loop: Header=BB106_6 Depth=1
	s_add_i32 s24, s63, 64
	s_add_u32 s24, s66, s24
	s_addc_u32 s25, s67, 0
	s_mul_i32 s27, s24, s55
	s_mul_hi_u32 s44, s24, s60
	s_add_i32 s27, s44, s27
	s_mul_i32 s25, s25, s60
	s_add_i32 s27, s27, s25
	s_mul_i32 s24, s24, s60
	s_add_u32 s24, s24, s56
	s_addc_u32 s25, s27, s61
	s_lshl_b64 s[24:25], s[24:25], 8
	s_add_u32 s24, s4, s24
	s_addc_u32 s25, s5, s25
.LBB106_10:                             ;   in Loop: Header=BB106_6 Depth=1
	v_perm_b32 v3, v75, v74, s3
	v_perm_b32 v2, v71, v70, s3
	v_perm_b32 v5, v73, v72, s3
	v_perm_b32 v4, v69, v68, s3
	ds_write_b64 v97, v[2:3]
	ds_write_b64 v98, v[4:5]
	ds_write_b64 v100, v[2:3]
	ds_write_b64 v101, v[4:5]
	v_perm_b32 v3, v67, v66, s3
	v_perm_b32 v2, v63, v62, s3
	v_perm_b32 v5, v65, v64, s3
	v_perm_b32 v4, v61, v60, s3
	ds_write_b64 v99, v[2:3]
	ds_write_b64 v102, v[4:5]
	ds_write_b64 v103, v[2:3]
	ds_write_b64 v104, v[4:5]
	;; [unrolled: 8-line block ×4, first 2 shown]
	s_waitcnt lgkmcnt(0)
	s_barrier
	ds_read_b64 v[6:7], v113 offset:49152
	ds_read2_b64 v[2:5], v114 offset1:16
	ds_read_b64 v[18:19], v116 offset:6144
	ds_read_b64 v[20:21], v114 offset:6144
	s_waitcnt lgkmcnt(2)
	v_mfma_f32_16x16x16_bf16 a[0:3], v[6:7], v[2:3], 0
	ds_read_b64 v[22:23], v115 offset:49152
	ds_read2st64_b64 v[10:13], v117 offset0:4 offset1:8
	ds_read2st64_b64 v[14:17], v118 offset0:4 offset1:8
	v_mfma_f32_16x16x16_bf16 a[4:7], v[6:7], v[4:5], 0
	ds_read2_b64 v[2:5], v114 offset0:32 offset1:48
	s_add_i32 s27, s63, 63
	s_mul_i32 s44, s27, s35
	s_waitcnt lgkmcnt(0)
	v_mfma_f32_16x16x16_bf16 a[8:11], v[6:7], v[2:3], 0
	s_mul_hi_u32 s45, s27, s34
	s_add_i32 s45, s45, s44
	s_mul_i32 s44, s27, s34
	v_mfma_f32_16x16x16_bf16 a[12:15], v[6:7], v[4:5], 0
	ds_read2st64_b64 v[2:5], v114 offset0:4 offset1:8
	ds_read2st64_b64 v[6:9], v116 offset0:4 offset1:8
	s_lshl_b64 s[44:45], s[44:45], 2
	s_waitcnt lgkmcnt(1)
	v_mfma_f32_16x16x16_bf16 a[0:3], v[22:23], v[2:3], a[0:3]
	s_add_u32 s44, s42, s44
	s_addc_u32 s45, s43, s45
	s_and_b64 vcc, exec, s[0:1]
	s_waitcnt lgkmcnt(0)
	v_mfma_f32_16x16x16_bf16 a[4:7], v[22:23], v[6:7], a[4:7]
	v_mov_b32_e32 v143, 0
	v_mov_b32_e32 v142, 0
	;; [unrolled: 1-line block ×3, first 2 shown]
	v_mfma_f32_16x16x16_bf16 a[8:11], v[22:23], v[10:11], a[8:11]
	ds_read_b64 v[2:3], v119 offset:49152
	ds_read_b64 v[6:7], v120 offset:49152
	;; [unrolled: 1-line block ×3, first 2 shown]
	v_mfma_f32_16x16x16_bf16 a[12:15], v[22:23], v[14:15], a[12:15]
	v_mov_b32_e32 v14, 0
	v_mov_b32_e32 v15, 0
	s_waitcnt lgkmcnt(2)
	v_mfma_f32_16x16x16_bf16 a[0:3], v[2:3], v[4:5], a[0:3]
	v_mov_b32_e32 v4, 0
	v_mov_b32_e32 v5, 0
	v_mfma_f32_16x16x16_bf16 a[16:19], v[2:3], v[8:9], a[4:7]
	v_mov_b32_e32 v8, 0
	v_mov_b32_e32 v9, 0
	;; [unrolled: 3-line block ×3, first 2 shown]
	v_mfma_f32_16x16x16_bf16 a[24:27], v[2:3], v[16:17], a[12:15]
	ds_read_b64 v[2:3], v117 offset:6144
	v_mov_b32_e32 v16, 0
	v_mov_b32_e32 v17, 0
	s_waitcnt lgkmcnt(2)
	v_mfma_f32_16x16x16_bf16 a[4:7], v[6:7], v[20:21], a[0:3]
	v_mfma_f32_16x16x16_bf16 a[8:11], v[6:7], v[18:19], a[16:19]
	s_waitcnt lgkmcnt(0)
	v_mfma_f32_16x16x16_bf16 a[12:15], v[6:7], v[2:3], a[20:23]
	v_mov_b32_e32 v2, 0
	v_mov_b32_e32 v3, 0
	v_mfma_f32_16x16x16_bf16 a[0:3], v[6:7], v[10:11], a[24:27]
	v_mov_b32_e32 v6, 0
	v_mov_b32_e32 v7, 0
	;; [unrolled: 1-line block ×4, first 2 shown]
	s_cbranch_vccnz .LBB106_12
; %bb.11:                               ;   in Loop: Header=BB106_6 Depth=1
	s_and_b32 s21, s21, 0xffff
	buffer_load_dwordx4 v[14:17], v93, s[20:23], 0 offen
	buffer_load_dwordx4 v[10:13], v93, s[20:23], s62 offen
	;; [unrolled: 1-line block ×4, first 2 shown]
	v_mov_b32_e32 v142, v95
	v_mov_b32_e32 v141, v96
.LBB106_12:                             ;   in Loop: Header=BB106_6 Depth=1
	ds_read_b64 v[144:145], v113 offset:57344
	ds_read2_b64 v[18:21], v121 offset1:16
	ds_read_b64 v[146:147], v115 offset:57344
	ds_read_b64 v[148:149], v119 offset:57344
	;; [unrolled: 1-line block ×3, first 2 shown]
	v_add_u32_e32 v152, s63, v89
	s_waitcnt lgkmcnt(3)
	v_mfma_f32_16x16x16_bf16 a[4:7], v[144:145], v[18:19], a[4:7]
	v_mfma_f32_16x16x16_bf16 a[8:11], v[144:145], v[20:21], a[8:11]
	ds_read2_b64 v[18:21], v121 offset0:32 offset1:48
	ds_read2st64_b64 v[22:25], v121 offset0:4 offset1:8
	ds_read2st64_b64 v[26:29], v122 offset0:4 offset1:8
	;; [unrolled: 1-line block ×3, first 2 shown]
	s_waitcnt lgkmcnt(3)
	v_mfma_f32_16x16x16_bf16 a[12:15], v[144:145], v[18:19], a[12:15]
	v_ashrrev_i32_e32 v18, 31, v152
	v_mfma_f32_16x16x16_bf16 a[0:3], v[144:145], v[20:21], a[0:3]
	v_mul_lo_u32 v20, v18, s34
	v_mul_lo_u32 v21, v152, s35
	v_mad_u64_u32 v[18:19], s[20:21], v152, s34, 0
	v_add3_u32 v19, v19, v21, v20
	v_add_u32_e32 v20, 1, v152
	v_ashrrev_i32_e32 v21, 31, v20
	s_waitcnt lgkmcnt(2)
	v_mfma_f32_16x16x16_bf16 a[4:7], v[146:147], v[22:23], a[4:7]
	v_mul_lo_u32 v22, v21, s34
	v_mul_lo_u32 v23, v20, s35
	v_mad_u64_u32 v[20:21], s[20:21], v20, s34, 0
	v_add3_u32 v21, v21, v23, v22
	v_add_u32_e32 v22, 2, v152
	v_ashrrev_i32_e32 v23, 31, v22
	s_waitcnt lgkmcnt(1)
	v_mfma_f32_16x16x16_bf16 a[8:11], v[146:147], v[26:27], a[8:11]
	v_mul_lo_u32 v26, v23, s34
	v_mul_lo_u32 v27, v22, s35
	v_mad_u64_u32 v[22:23], s[20:21], v22, s34, 0
	v_lshl_add_u64 v[18:19], v[18:19], 2, s[42:43]
	v_add3_u32 v23, v23, v27, v26
	v_add_u32_e32 v26, 3, v152
	v_ashrrev_i32_e32 v27, 31, v26
	global_load_dword v145, v[18:19], off
	v_mad_u64_u32 v[18:19], s[20:21], v26, s34, 0
	v_mul_lo_u32 v27, v27, s34
	v_mul_lo_u32 v144, v26, s35
	s_add_u32 s20, s16, s63
	v_add3_u32 v19, v19, v144, v27
	s_addc_u32 s21, s17, 0
	v_lshl_add_u64 v[20:21], v[20:21], 2, s[42:43]
	v_lshl_add_u64 v[22:23], v[22:23], 2, s[42:43]
	;; [unrolled: 1-line block ×3, first 2 shown]
	s_lshl_b64 s[20:21], s[20:21], 8
	global_load_dword v144, v[20:21], off
	global_load_dword v152, v[22:23], off
	;; [unrolled: 1-line block ×3, first 2 shown]
	v_lshl_add_u64 v[18:19], v[80:81], 0, s[20:21]
	v_lshl_add_u64 v[22:23], v[18:19], 0, v[78:79]
	global_load_ushort v154, v[22:23], off offset:256
	global_load_ushort v155, v[22:23], off
	ds_read2st64_b64 v[18:21], v124 offset0:4 offset1:8
	global_load_ushort v156, v[22:23], off offset:768
	global_load_ushort v157, v[22:23], off offset:512
	s_waitcnt lgkmcnt(1)
	v_mfma_f32_16x16x16_bf16 a[12:15], v[146:147], v[30:31], a[12:15]
	s_and_b64 vcc, exec, s[0:1]
	s_waitcnt vmcnt(3)
	v_lshlrev_b32_e32 v31, 16, v154
	s_waitcnt lgkmcnt(0)
	v_mfma_f32_16x16x16_bf16 a[0:3], v[146:147], v[18:19], a[0:3]
	global_load_ushort v146, v[22:23], off offset:288
	global_load_ushort v147, v[22:23], off offset:32
	;; [unrolled: 1-line block ×8, first 2 shown]
	v_mfma_f32_16x16x16_bf16 a[4:7], v[148:149], v[24:25], a[4:7]
	ds_read_b64 v[18:19], v121 offset:6144
	s_waitcnt vmcnt(10)
	v_lshlrev_b32_e32 v30, 16, v155
	v_mfma_f32_16x16x16_bf16 a[8:11], v[148:149], v[28:29], a[8:11]
	v_mfma_f32_16x16x16_bf16 a[12:15], v[148:149], v[32:33], a[12:15]
	;; [unrolled: 1-line block ×3, first 2 shown]
	global_load_ushort v148, v[22:23], off offset:352
	global_load_ushort v149, v[22:23], off offset:96
	ds_read_b64 v[20:21], v122 offset:6144
	ds_read_b64 v[24:25], v123 offset:6144
	;; [unrolled: 1-line block ×3, first 2 shown]
	global_load_ushort v164, v[22:23], off offset:864
	global_load_ushort v165, v[22:23], off offset:608
	s_load_dword s20, s[44:45], 0x0
	s_waitcnt lgkmcnt(0)
	v_mfma_f32_16x16x16_bf16 a[4:7], v[150:151], v[18:19], a[4:7]
	v_sub_f32_e32 v28, s20, v152
	v_mfma_f32_16x16x16_bf16 a[0:3], v[150:151], v[26:27], a[0:3]
	v_sub_f32_e32 v26, s20, v145
	v_sub_f32_e32 v27, s20, v144
	;; [unrolled: 1-line block ×3, first 2 shown]
	v_mul_f32_e32 v26, 0x3fb8aa3b, v26
	v_mul_f32_e32 v27, 0x3fb8aa3b, v27
	;; [unrolled: 1-line block ×4, first 2 shown]
	v_mfma_f32_16x16x16_bf16 a[8:11], v[150:151], v[20:21], a[8:11]
	v_exp_f32_e32 v26, v26
	v_exp_f32_e32 v27, v27
	;; [unrolled: 1-line block ×4, first 2 shown]
	v_accvgpr_read_b32 v33, a5
	v_accvgpr_read_b32 v32, a4
	;; [unrolled: 1-line block ×4, first 2 shown]
	v_pk_add_f32 v[30:31], v[30:31], v[32:33] neg_lo:[0,1] neg_hi:[0,1]
	s_waitcnt vmcnt(13)
	v_lshlrev_b32_e32 v33, 16, v156
	s_waitcnt vmcnt(12)
	v_lshlrev_b32_e32 v32, 16, v157
	v_pk_add_f32 v[18:19], v[32:33], v[18:19] neg_lo:[0,1] neg_hi:[0,1]
	v_pk_mul_f32 v[30:31], v[26:27], v[30:31]
	v_pk_mul_f32 v[18:19], v[28:29], v[18:19]
	v_accvgpr_read_b32 v33, a9
	v_perm_b32 v19, v19, v18, s3
	v_perm_b32 v18, v31, v30, s3
	v_accvgpr_read_b32 v32, a8
	v_accvgpr_read_b32 v21, a11
	v_mfma_f32_16x16x16_bf16 a[12:15], v[150:151], v[24:25], a[12:15]
	v_accvgpr_read_b32 v20, a10
	v_accvgpr_read_b32 v25, a3
	;; [unrolled: 1-line block ×3, first 2 shown]
	v_mov_b32_e32 v144, 0
	s_waitcnt vmcnt(11)
	v_lshlrev_b32_e32 v31, 16, v146
	s_waitcnt vmcnt(10)
	v_lshlrev_b32_e32 v30, 16, v147
	v_pk_add_f32 v[30:31], v[30:31], v[32:33] neg_lo:[0,1] neg_hi:[0,1]
	s_waitcnt vmcnt(9)
	v_lshlrev_b32_e32 v33, 16, v158
	s_waitcnt vmcnt(8)
	v_lshlrev_b32_e32 v32, 16, v159
	v_pk_add_f32 v[20:21], v[32:33], v[20:21] neg_lo:[0,1] neg_hi:[0,1]
	v_pk_mul_f32 v[30:31], v[26:27], v[30:31]
	v_pk_mul_f32 v[20:21], v[28:29], v[20:21]
	v_accvgpr_read_b32 v23, a15
	v_perm_b32 v21, v21, v20, s3
	v_perm_b32 v20, v31, v30, s3
	ds_write2_b64 v98, v[18:19], v[20:21] offset1:16
	v_accvgpr_read_b32 v21, a13
	s_waitcnt vmcnt(7)
	v_lshlrev_b32_e32 v19, 16, v160
	s_waitcnt vmcnt(6)
	v_lshlrev_b32_e32 v18, 16, v161
	v_accvgpr_read_b32 v20, a12
	v_accvgpr_read_b32 v22, a14
	v_pk_add_f32 v[18:19], v[18:19], v[20:21] neg_lo:[0,1] neg_hi:[0,1]
	s_waitcnt vmcnt(5)
	v_lshlrev_b32_e32 v21, 16, v162
	s_waitcnt vmcnt(4)
	v_lshlrev_b32_e32 v20, 16, v163
	v_pk_add_f32 v[20:21], v[20:21], v[22:23] neg_lo:[0,1] neg_hi:[0,1]
	v_pk_mul_f32 v[18:19], v[26:27], v[18:19]
	v_pk_mul_f32 v[20:21], v[28:29], v[20:21]
	v_accvgpr_read_b32 v23, a1
	v_perm_b32 v21, v21, v20, s3
	v_perm_b32 v20, v19, v18, s3
	s_waitcnt vmcnt(3)
	v_lshlrev_b32_e32 v19, 16, v148
	s_waitcnt vmcnt(2)
	v_lshlrev_b32_e32 v18, 16, v149
	v_accvgpr_read_b32 v22, a0
	v_pk_add_f32 v[18:19], v[18:19], v[22:23] neg_lo:[0,1] neg_hi:[0,1]
	s_waitcnt vmcnt(1)
	v_lshlrev_b32_e32 v23, 16, v164
	s_waitcnt vmcnt(0)
	v_lshlrev_b32_e32 v22, 16, v165
	v_pk_add_f32 v[22:23], v[22:23], v[24:25] neg_lo:[0,1] neg_hi:[0,1]
	v_pk_mul_f32 v[18:19], v[26:27], v[18:19]
	v_pk_mul_f32 v[22:23], v[28:29], v[22:23]
	v_mov_b32_e32 v24, 0
	v_perm_b32 v23, v23, v22, s3
	v_perm_b32 v22, v19, v18, s3
	ds_write2_b64 v98, v[20:21], v[22:23] offset0:32 offset1:48
	v_mov_b32_e32 v18, 0
	v_mov_b32_e32 v19, 0
	;; [unrolled: 1-line block ×15, first 2 shown]
	s_cbranch_vccnz .LBB106_14
; %bb.13:                               ;   in Loop: Header=BB106_6 Depth=1
	s_and_b32 s25, s25, 0xffff
	s_mov_b32 s27, s23
	buffer_load_dwordx4 v[30:33], v135, s[24:27], 0 offen
	buffer_load_dwordx4 v[22:25], v135, s[24:27], s62 offen
	;; [unrolled: 1-line block ×4, first 2 shown]
	v_mov_b32_e32 v143, v92
	v_mov_b32_e32 v144, v91
.LBB106_14:                             ;   in Loop: Header=BB106_6 Depth=1
	s_waitcnt lgkmcnt(0)
	s_barrier
	ds_read_b64 v[154:155], v77
	ds_read2_b64 v[146:149], v128 offset1:16
	ds_read_b64 v[170:171], v137
	ds_read_b64 v[172:173], v138
	;; [unrolled: 1-line block ×3, first 2 shown]
	ds_read2_b64 v[150:153], v128 offset0:32 offset1:48
	s_waitcnt lgkmcnt(4)
	v_mfma_f32_16x16x16_bf16 a[0:3], v[154:155], v[146:147], 0
	ds_read2st64_b64 v[158:161], v130 offset0:4 offset1:8
	ds_read2st64_b64 v[162:165], v131 offset0:4 offset1:8
	;; [unrolled: 1-line block ×3, first 2 shown]
	v_mfma_f32_16x16x16_bf16 a[4:7], v[154:155], v[148:149], 0
	s_add_i32 s21, s57, s69
	s_mul_hi_i32 s25, s21, s13
	s_mul_i32 s21, s21, s13
	s_waitcnt lgkmcnt(3)
	v_mfma_f32_16x16x16_bf16 a[8:11], v[154:155], v[150:151], 0
	s_add_u32 s24, s21, s50
	s_addc_u32 s25, s25, s51
	s_lshl_b64 s[24:25], s[24:25], 15
	v_mfma_f32_16x16x16_bf16 a[12:15], v[154:155], v[152:153], 0
	ds_read2st64_b64 v[154:157], v128 offset0:4 offset1:8
	s_waitcnt lgkmcnt(0)
	v_mfma_f32_16x16x16_bf16 a[0:3], v[170:171], v[154:155], a[0:3]
	v_mfma_f32_16x16x16_bf16 a[4:7], v[170:171], v[158:159], a[4:7]
	;; [unrolled: 1-line block ×8, first 2 shown]
	ds_read_b64 v[170:171], v128 offset:6144
	ds_read_b64 v[172:173], v129 offset:40960
	;; [unrolled: 1-line block ×8, first 2 shown]
	s_waitcnt lgkmcnt(5)
	v_mfma_f32_16x16x16_bf16 a[16:19], v[176:177], v[146:147], 0
	v_mfma_f32_16x16x16_bf16 a[20:23], v[176:177], v[148:149], 0
	ds_read2st64_b64 v[146:149], v125 offset1:8
	v_mfma_f32_16x16x16_bf16 a[24:27], v[176:177], v[150:151], 0
	v_mfma_f32_16x16x16_bf16 a[28:31], v[176:177], v[152:153], 0
	ds_read2st64_b64 v[150:153], v126 offset1:8
	v_mfma_f32_16x16x16_bf16 a[16:19], v[172:173], v[154:155], a[16:19]
	s_waitcnt lgkmcnt(1)
	v_mov_b32_e32 v154, v146
	v_mov_b32_e32 v155, v147
	v_mfma_f32_16x16x16_bf16 a[20:23], v[172:173], v[158:159], a[20:23]
	v_lshl_add_u64 v[158:159], v[82:83], 0, s[24:25]
	v_mfma_f32_16x16x16_bf16 a[24:27], v[172:173], v[162:163], a[24:27]
	v_mfma_f32_16x16x16_bf16 a[28:31], v[172:173], v[166:167], a[28:31]
	;; [unrolled: 1-line block ×3, first 2 shown]
	s_waitcnt lgkmcnt(0)
	v_mov_b32_e32 v156, v150
	v_mov_b32_e32 v157, v151
	;; [unrolled: 1-line block ×3, first 2 shown]
	v_mfma_f32_16x16x16_bf16 a[32:35], v[184:185], v[160:161], a[20:23]
	v_mov_b32_e32 v151, v149
	ds_read2st64_b64 v[146:149], v125 offset0:16 offset1:24
	global_store_dwordx4 v[158:159], v[154:157], off
	v_mfma_f32_16x16x16_bf16 a[24:27], v[184:185], v[164:165], a[24:27]
	ds_read2st64_b64 v[154:157], v126 offset0:16 offset1:24
	v_add_co_u32_e32 v160, vcc, s37, v158
	v_mfma_f32_16x16x16_bf16 a[28:31], v[184:185], v[168:169], a[28:31]
	s_nop 0
	v_addc_co_u32_e32 v161, vcc, 0, v159, vcc
	global_store_dwordx4 v[160:161], v[150:153], off offset:-4096
	v_mfma_f32_16x16x16_bf16 a[0:3], v[174:175], v[170:171], a[0:3]
	s_waitcnt lgkmcnt(1)
	v_mov_b32_e32 v150, v146
	v_add_co_u32_e32 v146, vcc, s39, v158
	v_mfma_f32_16x16x16_bf16 a[4:7], v[174:175], v[178:179], a[4:7]
	v_mov_b32_e32 v151, v147
	v_addc_co_u32_e32 v147, vcc, 0, v159, vcc
	v_mfma_f32_16x16x16_bf16 a[8:11], v[174:175], v[180:181], a[8:11]
	s_waitcnt lgkmcnt(0)
	v_mov_b32_e32 v152, v154
	v_mov_b32_e32 v153, v155
	;; [unrolled: 1-line block ×3, first 2 shown]
	v_mfma_f32_16x16x16_bf16 a[12:15], v[174:175], v[182:183], a[12:15]
	v_mov_b32_e32 v155, v149
	s_and_b64 vcc, exec, s[0:1]
	global_store_dwordx4 v[160:161], v[150:153], off
	v_mfma_f32_16x16x16_bf16 a[20:23], v[186:187], v[170:171], a[16:19]
	global_store_dwordx4 v[146:147], v[154:157], off
	v_mfma_f32_16x16x16_bf16 a[16:19], v[186:187], v[178:179], a[32:35]
	v_mfma_f32_16x16x16_bf16 a[24:27], v[186:187], v[180:181], a[24:27]
	;; [unrolled: 1-line block ×3, first 2 shown]
	s_cbranch_vccnz .LBB106_16
; %bb.15:                               ;   in Loop: Header=BB106_6 Depth=1
	v_lshrrev_b32_e32 v145, 3, v143
	v_and_b32_e32 v145, 6, v145
	v_xor_b32_e32 v144, v145, v144
	v_lshlrev_b32_e32 v144, 2, v144
	v_and_b32_e32 v143, 8, v143
	v_xor_b32_e32 v146, 0x440, v144
	v_cmp_eq_u32_e32 vcc, 0, v143
	s_barrier
	s_nop 0
	v_cndmask_b32_e32 v143, v146, v144, vcc
	v_lshl_or_b32 v143, v145, 10, v143
	s_waitcnt vmcnt(5)
	v_perm_b32 v144, v30, v26, s64
	s_waitcnt vmcnt(4)
	v_perm_b32 v145, v22, v18, s64
	ds_write2st64_b32 v143, v144, v145 offset0:128 offset1:160
	v_xor_b32_e32 v144, 8, v143
	v_perm_b32 v26, v30, v26, s65
	v_perm_b32 v18, v22, v18, s65
	v_add_u32_e32 v22, 0x80, v144
	ds_write2st64_b32 v22, v26, v18 offset0:128 offset1:160
	v_xor_b32_e32 v18, 16, v143
	v_perm_b32 v22, v31, v27, s64
	v_perm_b32 v26, v23, v19, s64
	ds_write2st64_b32 v18, v22, v26 offset0:129 offset1:161
	v_xor_b32_e32 v18, 24, v143
	v_perm_b32 v22, v31, v27, s65
	v_perm_b32 v19, v23, v19, s65
	v_add_u32_e32 v18, 0x80, v18
	ds_write2st64_b32 v18, v22, v19 offset0:129 offset1:161
	v_xor_b32_e32 v18, 32, v143
	v_perm_b32 v19, v32, v28, s64
	;; [unrolled: 9-line block ×3, first 2 shown]
	v_perm_b32 v20, v25, v21, s64
	ds_write2st64_b32 v18, v19, v20 offset0:131 offset1:163
	v_xor_b32_e32 v18, 56, v143
	v_perm_b32 v19, v33, v29, s65
	v_perm_b32 v20, v25, v21, s65
	v_add_u32_e32 v18, 0x80, v18
	ds_write2st64_b32 v18, v19, v20 offset0:131 offset1:163
	ds_write_b64 v142, v[14:15] offset:49152
	v_xor_b32_e32 v14, 8, v142
	ds_write_b64 v14, v[16:17] offset:49152
	ds_write_b64 v142, v[10:11] offset:57344
	;; [unrolled: 1-line block ×4, first 2 shown]
	v_xor_b32_e32 v6, 8, v141
	ds_write_b64 v6, v[8:9] offset:49152
	ds_write_b64 v141, v[2:3] offset:57344
	;; [unrolled: 1-line block ×3, first 2 shown]
.LBB106_16:                             ;   in Loop: Header=BB106_6 Depth=1
	s_waitcnt vmcnt(6)
	v_mul_f32_e32 v22, s20, v140
	v_exp_f32_e32 v142, v22
	v_accvgpr_read_b32 v5, a3
	v_accvgpr_read_b32 v9, a7
	;; [unrolled: 1-line block ×4, first 2 shown]
	s_waitcnt vmcnt(4)
	v_accvgpr_read_b32 v18, a20
	v_accvgpr_read_b32 v25, a19
	;; [unrolled: 1-line block ×28, first 2 shown]
	s_add_i32 s63, s63, 64
	v_pk_fma_f32 v[70:71], v[70:71], v[142:143], v[2:3] op_sel_hi:[1,0,1]
	v_pk_fma_f32 v[74:75], v[74:75], v[142:143], v[4:5] op_sel_hi:[1,0,1]
	;; [unrolled: 1-line block ×15, first 2 shown]
	s_cmp_eq_u32 s54, s68
	v_pk_fma_f32 v[48:49], v[48:49], v[142:143], v[32:33] op_sel_hi:[1,0,1]
	s_cbranch_scc1 .LBB106_18
; %bb.17:                               ;   in Loop: Header=BB106_6 Depth=1
	s_mov_b32 s69, s68
	s_branch .LBB106_6
.LBB106_18:
	s_lshl_b32 s26, s54, 6
	s_sub_i32 s27, s12, s26
	s_cmp_gt_i32 s27, 0
	s_cbranch_scc0 .LBB106_99
; %bb.19:
	s_ashr_i32 s3, s26, 31
	s_cmpk_lg_i32 s15, 0x80
	s_cselect_b64 s[22:23], -1, 0
	s_and_b64 vcc, exec, s[22:23]
	s_cbranch_vccz .LBB106_21
; %bb.20:
	s_mul_i32 s1, s53, s12
	s_mul_hi_i32 s0, s53, s12
	s_add_u32 s1, s1, s26
	s_addc_u32 s0, s0, s3
	s_mul_i32 s17, s1, s55
	s_mul_hi_u32 s20, s1, s14
	s_add_i32 s17, s20, s17
	s_mul_i32 s0, s0, s14
	s_add_i32 s17, s17, s0
	s_mul_i32 s1, s1, s14
	s_ashr_i32 s0, s56, 31
	s_add_u32 s24, s1, s56
	s_addc_u32 s25, s17, s0
	s_cbranch_execz .LBB106_22
	s_branch .LBB106_23
.LBB106_21:
                                        ; implicit-def: $sgpr24_sgpr25
.LBB106_22:
	s_mul_hi_i32 s0, s53, s14
	s_mul_i32 s53, s53, s14
	s_ashr_i32 s1, s56, 31
	s_add_u32 s14, s53, s56
	s_addc_u32 s0, s0, s1
	s_mul_i32 s1, s14, s52
	s_mul_hi_u32 s17, s14, s12
	s_add_i32 s1, s17, s1
	s_mul_i32 s0, s0, s12
	s_add_i32 s1, s1, s0
	s_mul_i32 s14, s14, s12
	s_add_u32 s24, s14, s26
	s_addc_u32 s25, s1, s3
.LBB106_23:
	s_mul_i32 s0, s40, s52
	s_add_i32 s0, s59, s0
	s_add_i32 s14, s57, s54
	;; [unrolled: 1-line block ×3, first 2 shown]
	s_add_u32 s0, s16, s26
	v_lshlrev_b32_e32 v6, 6, v89
	v_lshlrev_b32_e32 v24, 2, v86
	s_addc_u32 s1, s1, s3
	s_mov_b32 s3, 0x7060302
	v_or_b32_e32 v9, v6, v24
	v_xor_b32_e32 v7, v89, v24
	v_perm_b32 v3, v75, v74, s3
	v_perm_b32 v2, v71, v70, s3
	;; [unrolled: 1-line block ×4, first 2 shown]
	v_lshlrev_b32_e32 v9, 1, v9
	v_xor_b32_e32 v8, v90, v24
	ds_write2st64_b64 v9, v[2:3], v[4:5] offset0:32 offset1:48
	v_lshlrev_b32_e32 v7, 1, v7
	v_lshlrev_b32_e32 v9, 8, v86
	v_or_b32_e32 v10, v7, v9
	v_lshlrev_b32_e32 v8, 1, v8
	ds_write_b64 v10, v[2:3]
	v_or_b32_e32 v2, v8, v9
	v_or_b32_e32 v9, 16, v86
	v_lshlrev_b32_e32 v23, 2, v9
	v_or_b32_e32 v10, v6, v23
	ds_write_b64 v2, v[4:5]
	v_perm_b32 v3, v67, v66, s3
	v_perm_b32 v2, v63, v62, s3
	;; [unrolled: 1-line block ×4, first 2 shown]
	v_lshlrev_b32_e32 v10, 1, v10
	v_lshlrev_b32_e32 v9, 8, v9
	ds_write2st64_b64 v10, v[2:3], v[4:5] offset0:32 offset1:48
	v_or_b32_e32 v10, v7, v9
	ds_write_b64 v10, v[2:3]
	v_or_b32_e32 v2, v8, v9
	v_or_b32_e32 v9, 32, v86
	v_lshlrev_b32_e32 v22, 2, v9
	v_or_b32_e32 v10, v6, v22
	ds_write_b64 v2, v[4:5]
	v_perm_b32 v3, v59, v58, s3
	v_perm_b32 v2, v55, v54, s3
	;; [unrolled: 1-line block ×4, first 2 shown]
	v_lshlrev_b32_e32 v10, 1, v10
	v_lshlrev_b32_e32 v9, 8, v9
	s_lshl_b64 s[20:21], s[0:1], 8
	ds_write2st64_b64 v10, v[2:3], v[4:5] offset0:32 offset1:48
	v_or_b32_e32 v10, v7, v9
	s_waitcnt lgkmcnt(0)
	s_add_u32 s0, s6, s20
	ds_write_b64 v10, v[2:3]
	v_or_b32_e32 v2, v8, v9
	s_addc_u32 s1, s7, s21
	ds_write_b64 v2, v[4:5]
	v_perm_b32 v3, v53, v52, s3
	v_perm_b32 v2, v47, v46, s3
	;; [unrolled: 1-line block ×4, first 2 shown]
	v_or_b32_e32 v9, 48, v86
	s_mul_hi_i32 s3, s14, s13
	s_mul_i32 s14, s14, s13
	v_lshlrev_b32_e32 v19, 2, v9
	s_add_u32 s6, s14, s50
	v_or_b32_e32 v6, v6, v19
	s_addc_u32 s7, s3, s51
	v_lshlrev_b32_e32 v6, 1, v6
	s_ashr_i32 s3, s2, 31
	s_lshl_b64 s[6:7], s[6:7], 15
	ds_write2st64_b64 v6, v[2:3], v[4:5] offset0:32 offset1:48
	v_lshlrev_b32_e32 v6, 8, v9
	s_add_u32 s6, s18, s6
	v_or_b32_e32 v7, v7, v6
	s_addc_u32 s7, s19, s7
	s_lshl_b64 s[2:3], s[2:3], 8
	ds_write_b64 v7, v[2:3]
	v_or_b32_e32 v2, v8, v6
	s_add_u32 s2, s6, s2
	v_lshlrev_b32_e32 v3, 1, v86
	ds_write_b64 v2, v[4:5]
	v_lshrrev_b32_e32 v2, 4, v0
	s_addc_u32 s3, s7, s3
	v_or_b32_e32 v4, 1, v3
	v_lshlrev_b32_e32 v10, 4, v86
	v_mov_b32_e32 v11, 0
	v_xor_b32_e32 v3, v2, v3
	v_xor_b32_e32 v6, v4, v2
	v_lshl_add_u64 v[12:13], s[2:3], 0, v[10:11]
	v_lshlrev_b32_e32 v10, 8, v2
	v_lshl_or_b32 v16, v3, 3, v10
	v_lshl_or_b32 v17, v6, 3, v10
	s_waitcnt lgkmcnt(0)
	s_barrier
	ds_read2st64_b64 v[2:5], v16 offset1:8
	ds_read2st64_b64 v[6:9], v17 offset1:8
	v_lshl_add_u64 v[14:15], v[12:13], 0, v[10:11]
	s_movk_i32 s2, 0x2000
	s_cmp_lg_u32 s27, 64
	s_waitcnt lgkmcnt(1)
	v_mov_b32_e32 v10, v2
	v_mov_b32_e32 v11, v3
	s_waitcnt lgkmcnt(0)
	v_mov_b32_e32 v12, v6
	v_mov_b32_e32 v13, v7
	global_store_dwordx4 v[14:15], v[10:13], off
	v_mov_b32_e32 v6, v4
	v_mov_b32_e32 v7, v5
	ds_read2st64_b64 v[2:5], v16 offset0:16 offset1:24
	ds_read2st64_b64 v[10:13], v17 offset0:16 offset1:24
	v_add_co_u32_e32 v16, vcc, s2, v14
	s_cselect_b64 s[6:7], -1, 0
	s_nop 0
	v_addc_co_u32_e32 v17, vcc, 0, v15, vcc
	global_store_dwordx4 v[16:17], v[6:9], off offset:-4096
	v_lshl_or_b32 v30, v1, 3, v87
	s_mov_b32 s16, 0
	s_waitcnt lgkmcnt(1)
	v_mov_b32_e32 v6, v2
	v_add_co_u32_e32 v2, vcc, 0x3000, v14
	v_mov_b32_e32 v7, v3
	s_nop 0
	v_addc_co_u32_e32 v3, vcc, 0, v15, vcc
	s_waitcnt lgkmcnt(0)
	v_mov_b32_e32 v8, v10
	v_mov_b32_e32 v9, v11
	;; [unrolled: 1-line block ×4, first 2 shown]
	v_or_b32_e32 v20, 32, v30
	v_and_b32_e32 v18, 56, v88
	s_and_b64 vcc, exec, s[6:7]
	global_store_dwordx4 v[16:17], v[6:9], off
	global_store_dwordx4 v[2:3], v[10:13], off
	s_cbranch_vccz .LBB106_29
; %bb.24:
	s_mov_b32 s17, s16
	s_mov_b32 s18, s16
	;; [unrolled: 1-line block ×3, first 2 shown]
	v_mov_b64_e32 v[6:7], s[16:17]
	v_mov_b64_e32 v[8:9], s[18:19]
	;; [unrolled: 1-line block ×3, first 2 shown]
	v_cmp_gt_i32_e32 vcc, s27, v30
	v_mov_b64_e32 v[4:5], v[8:9]
	s_and_saveexec_b64 s[2:3], vcc
	s_cbranch_execz .LBB106_26
; %bb.25:
	v_lshlrev_b32_e32 v2, 8, v30
	v_mov_b32_e32 v3, 0
	v_lshl_add_u64 v[4:5], s[0:1], 0, v[2:3]
	v_lshlrev_b32_e32 v2, 1, v18
	v_lshl_add_u64 v[10:11], v[4:5], 0, v[2:3]
	global_load_dwordx4 v[6:9], v[10:11], off
	global_load_dwordx4 v[2:5], v[10:11], off offset:128
.LBB106_26:
	s_or_b64 exec, exec, s[2:3]
	s_mov_b32 s17, s16
	s_mov_b32 s18, s16
	;; [unrolled: 1-line block ×3, first 2 shown]
	v_mov_b64_e32 v[14:15], s[16:17]
	v_mov_b64_e32 v[16:17], s[18:19]
	;; [unrolled: 1-line block ×3, first 2 shown]
	v_cmp_gt_i32_e32 vcc, s27, v20
	v_lshlrev_b32_e32 v21, 7, v20
	v_mov_b64_e32 v[12:13], v[16:17]
	s_and_saveexec_b64 s[2:3], vcc
	s_cbranch_execz .LBB106_28
; %bb.27:
	v_lshlrev_b32_e32 v10, 1, v21
	v_mov_b32_e32 v11, 0
	v_lshl_add_u64 v[12:13], s[0:1], 0, v[10:11]
	v_lshlrev_b32_e32 v10, 1, v18
	v_lshl_add_u64 v[26:27], v[12:13], 0, v[10:11]
	global_load_dwordx4 v[14:17], v[26:27], off
	global_load_dwordx4 v[10:13], v[26:27], off offset:128
.LBB106_28:
	s_or_b64 exec, exec, s[2:3]
	v_lshrrev_b32_e32 v25, 3, v18
	v_lshlrev_b32_e32 v26, 3, v30
	v_or_b32_e32 v25, v26, v25
	v_lshlrev_b32_e32 v25, 4, v25
	v_and_b32_e32 v26, 0x78, v26
	v_xor_b32_e32 v25, v25, v26
	s_branch .LBB106_31
.LBB106_29:
                                        ; implicit-def: $vgpr25
                                        ; implicit-def: $vgpr21
                                        ; implicit-def: $vgpr6_vgpr7_vgpr8_vgpr9
                                        ; implicit-def: $vgpr2_vgpr3_vgpr4_vgpr5
                                        ; implicit-def: $vgpr14_vgpr15_vgpr16_vgpr17
                                        ; implicit-def: $vgpr10_vgpr11_vgpr12_vgpr13
	s_cbranch_execz .LBB106_31
; %bb.30:
	s_waitcnt vmcnt(0)
	v_lshlrev_b32_e32 v2, 1, v18
	v_lshl_or_b32 v21, v30, 8, v2
	s_and_b32 s1, s1, 0xffff
	s_mov_b32 s3, 0x20000
	s_movk_i32 s2, 0x4000
	v_lshl_or_b32 v25, v20, 8, v2
	s_movk_i32 s13, 0x80
	buffer_load_dwordx4 v[6:9], v21, s[0:3], 0 offen
	buffer_load_dwordx4 v[2:5], v21, s[0:3], s13 offen
	;; [unrolled: 1-line block ×4, first 2 shown]
	v_lshrrev_b32_e32 v21, 3, v18
	v_lshlrev_b32_e32 v25, 3, v30
	v_or_b32_e32 v21, v25, v21
	v_lshlrev_b32_e32 v21, 4, v21
	v_and_b32_e32 v25, 0x78, v25
	v_xor_b32_e32 v25, v21, v25
	v_lshlrev_b32_e32 v21, 7, v20
.LBB106_31:
	s_movk_i32 s0, 0x1000
	v_and_or_b32 v20, v21, s0, v25
	s_waitcnt vmcnt(1)
	ds_write_b64 v25, v[6:7] offset:49152
	v_xor_b32_e32 v6, 8, v25
	ds_write_b64 v6, v[8:9] offset:49152
	s_waitcnt vmcnt(0)
	ds_write_b64 v25, v[2:3] offset:57344
	ds_write_b64 v6, v[4:5] offset:57344
	;; [unrolled: 1-line block ×3, first 2 shown]
	v_xor_b32_e32 v2, 8, v20
	ds_write_b64 v2, v[16:17] offset:49152
	ds_write_b64 v20, v[10:11] offset:57344
	;; [unrolled: 1-line block ×3, first 2 shown]
	v_or_b32_e32 v2, v84, v86
	v_lshlrev_b32_e32 v2, 3, v2
	v_lshrrev_b32_e32 v3, 5, v35
	s_movk_i32 s0, 0xf8
	v_and_or_b32 v3, v2, s0, v3
	v_lshlrev_b32_e32 v7, 4, v3
	v_lshlrev_b32_e32 v25, 11, v1
	v_and_b32_e32 v8, 0x78, v2
	v_or_b32_e32 v10, 32, v7
	v_and_b32_e32 v6, 0x1000, v25
	v_lshrrev_b32_e32 v3, 1, v35
	v_xor_b32_e32 v10, v10, v8
	v_xor_b32_e32 v2, v7, v8
	v_and_b32_e32 v9, 8, v3
	v_or_b32_e32 v10, v10, v6
	v_or_b32_e32 v2, v2, v6
	v_xor_b32_e32 v32, v10, v9
	v_or_b32_e32 v10, 64, v7
	v_xor_b32_e32 v31, v2, v9
	v_xor_b32_e32 v10, v10, v8
	s_waitcnt lgkmcnt(0)
	s_barrier
	v_or_b32_e32 v13, v10, v6
	ds_read_b64 v[10:11], v31 offset:49152
	v_lshl_or_b32 v14, v85, 8, v24
	v_lshlrev_b32_e32 v26, 1, v14
	v_add_u32_e32 v12, 0x4000, v26
	ds_read2_b64 v[2:5], v12 offset1:16
	v_or_b32_e32 v7, 0x60, v7
	v_xor_b32_e32 v7, v7, v8
	v_or_b32_e32 v6, v7, v6
	v_xor_b32_e32 v33, v13, v9
	v_xor_b32_e32 v77, v6, v9
	ds_read_b64 v[20:21], v32 offset:49152
	ds_read_b64 v[78:79], v33 offset:49152
	;; [unrolled: 1-line block ×3, first 2 shown]
	s_waitcnt lgkmcnt(3)
	v_mfma_f32_16x16x16_bf16 a[0:3], v[10:11], v[2:3], 0
	ds_read2st64_b64 v[6:9], v26 offset0:36 offset1:40
	s_lshl_b64 s[0:1], s[24:25], 8
	s_add_u32 s4, s4, s0
	v_mfma_f32_16x16x16_bf16 a[4:7], v[10:11], v[4:5], 0
	ds_read2_b64 v[2:5], v12 offset0:32 offset1:48
	s_addc_u32 s5, s5, s1
	s_add_i32 s1, s46, s33
	s_waitcnt lgkmcnt(0)
	v_mfma_f32_16x16x16_bf16 a[8:11], v[10:11], v[2:3], 0
	v_or_b32_e32 v2, 64, v14
	v_lshlrev_b32_e32 v27, 1, v2
	s_add_i32 s0, s12, -1
	v_mfma_f32_16x16x16_bf16 a[12:15], v[10:11], v[4:5], 0
	ds_read2st64_b64 v[2:5], v27 offset0:36 offset1:40
	s_add_i32 s39, s1, s41
	s_add_i32 s1, s48, s47
	v_mfma_f32_16x16x16_bf16 a[0:3], v[20:21], v[6:7], a[0:3]
	v_or_b32_e32 v6, 0x80, v14
	v_lshlrev_b32_e32 v28, 1, v6
	ds_read2st64_b64 v[10:13], v28 offset0:36 offset1:40
	s_waitcnt lgkmcnt(1)
	v_mfma_f32_16x16x16_bf16 a[4:7], v[20:21], v[2:3], a[4:7]
	v_or_b32_e32 v2, 0xc0, v14
	v_lshlrev_b32_e32 v29, 1, v2
	ds_read2st64_b64 v[14:17], v29 offset0:36 offset1:40
	s_add_i32 s37, s1, s49
	s_ashr_i32 s1, s0, 31
	s_mul_i32 s2, s0, s35
	s_mul_hi_u32 s3, s0, s34
	s_add_i32 s2, s3, s2
	s_mul_i32 s1, s1, s34
	s_waitcnt lgkmcnt(1)
	v_mfma_f32_16x16x16_bf16 a[8:11], v[20:21], v[10:11], a[8:11]
	s_add_i32 s1, s2, s1
	s_lshl_b64 s[2:3], s[38:39], 2
	s_add_u32 s10, s10, s2
	s_waitcnt lgkmcnt(0)
	v_mfma_f32_16x16x16_bf16 a[12:15], v[20:21], v[14:15], a[12:15]
	s_addc_u32 s11, s11, s3
	s_lshl_b64 s[2:3], s[36:37], 2
	s_mul_i32 s0, s0, s34
	v_mfma_f32_16x16x16_bf16 a[0:3], v[78:79], v[8:9], a[0:3]
	ds_read_b64 v[2:3], v26 offset:22528
	s_add_u32 s10, s10, s2
	s_addc_u32 s11, s11, s3
	v_mfma_f32_16x16x16_bf16 a[4:7], v[78:79], v[4:5], a[4:7]
	ds_read_b64 v[4:5], v27 offset:22528
	ds_read_b64 v[6:7], v28 offset:22528
	;; [unrolled: 1-line block ×3, first 2 shown]
	s_lshl_b64 s[0:1], s[0:1], 2
	s_add_u32 s0, s10, s0
	v_mfma_f32_16x16x16_bf16 a[8:11], v[78:79], v[12:13], a[8:11]
	s_addc_u32 s1, s11, s1
	s_load_dword s12, s[0:1], 0x0
	s_and_b64 vcc, exec, s[22:23]
	v_mfma_f32_16x16x16_bf16 a[12:15], v[78:79], v[16:17], a[12:15]
	s_waitcnt lgkmcnt(0)
	v_mfma_f32_16x16x16_bf16 a[0:3], v[80:81], v[2:3], a[0:3]
	v_mfma_f32_16x16x16_bf16 a[4:7], v[80:81], v[4:5], a[4:7]
	;; [unrolled: 1-line block ×4, first 2 shown]
	s_cbranch_vccz .LBB106_42
; %bb.32:
	v_lshlrev_b32_e32 v20, 1, v30
	s_and_b64 vcc, exec, s[6:7]
	s_cbranch_vccz .LBB106_43
; %bb.33:
	v_cmp_gt_i32_e32 vcc, s27, v20
	v_mov_b32_e32 v6, 0
	v_mov_b32_e32 v2, 0
	;; [unrolled: 1-line block ×5, first 2 shown]
	s_and_saveexec_b64 s[0:1], vcc
	s_cbranch_execz .LBB106_35
; %bb.34:
	v_mad_i64_i32 v[2:3], s[2:3], s15, v20, 0
	v_lshl_add_u64 v[2:3], v[2:3], 1, s[4:5]
	v_lshlrev_b32_e32 v4, 1, v18
	v_mov_b32_e32 v5, 0
	v_lshl_add_u64 v[2:3], v[2:3], 0, v[4:5]
	global_load_dwordx4 v[2:5], v[2:3], off
.LBB106_35:
	s_or_b64 exec, exec, s[0:1]
	v_or_b32_e32 v21, 1, v20
	v_cmp_gt_i32_e64 s[0:1], s27, v21
	v_mov_b32_e32 v7, 0
	v_mov_b32_e32 v8, 0
	;; [unrolled: 1-line block ×3, first 2 shown]
	s_and_saveexec_b64 s[2:3], s[0:1]
	s_cbranch_execz .LBB106_37
; %bb.36:
	v_mad_i64_i32 v[6:7], s[16:17], s15, v21, 0
	v_lshl_add_u64 v[6:7], v[6:7], 1, s[4:5]
	v_lshlrev_b32_e32 v8, 1, v18
	v_mov_b32_e32 v9, 0
	v_lshl_add_u64 v[6:7], v[6:7], 0, v[8:9]
	global_load_dwordx4 v[6:9], v[6:7], off
.LBB106_37:
	s_or_b64 exec, exec, s[2:3]
	v_mov_b32_e32 v17, 0
	v_mov_b32_e32 v10, 0
	;; [unrolled: 1-line block ×5, first 2 shown]
	s_and_saveexec_b64 s[2:3], vcc
	s_cbranch_execz .LBB106_39
; %bb.38:
	v_mad_i64_i32 v[10:11], s[16:17], s15, v20, 0
	v_lshl_add_u64 v[10:11], v[10:11], 1, s[4:5]
	v_lshlrev_b32_e32 v12, 1, v18
	v_mov_b32_e32 v13, 0
	v_lshl_add_u64 v[10:11], v[10:11], 0, v[12:13]
	global_load_dwordx4 v[10:13], v[10:11], off offset:128
.LBB106_39:
	s_or_b64 exec, exec, s[2:3]
	v_mov_b32_e32 v16, 0
	v_mov_b32_e32 v15, 0
	;; [unrolled: 1-line block ×3, first 2 shown]
	s_and_saveexec_b64 s[2:3], s[0:1]
	s_cbranch_execz .LBB106_41
; %bb.40:
	v_mad_i64_i32 v[14:15], s[0:1], s15, v21, 0
	v_lshl_add_u64 v[14:15], v[14:15], 1, s[4:5]
	v_lshlrev_b32_e32 v16, 1, v18
	v_mov_b32_e32 v17, 0
	v_lshl_add_u64 v[14:15], v[14:15], 0, v[16:17]
	global_load_dwordx4 v[14:17], v[14:15], off offset:128
.LBB106_41:
	s_or_b64 exec, exec, s[2:3]
	s_branch .LBB106_45
.LBB106_42:
                                        ; implicit-def: $vgpr5
                                        ; implicit-def: $vgpr9
                                        ; implicit-def: $vgpr13
                                        ; implicit-def: $vgpr17
	v_lshrrev_b32_e32 v35, 2, v35
	s_branch .LBB106_46
.LBB106_43:
                                        ; implicit-def: $vgpr5
                                        ; implicit-def: $vgpr9
                                        ; implicit-def: $vgpr13
                                        ; implicit-def: $vgpr17
	s_cbranch_execz .LBB106_45
; %bb.44:
	s_waitcnt vmcnt(0)
	v_mad_u64_u32 v[2:3], s[0:1], v20, s15, v[18:19]
	v_lshlrev_b32_e32 v20, 1, v2
	s_lshl_b32 s2, s15, 7
	s_and_b32 s1, s5, 0xffff
	s_mov_b32 s3, 0x20000
	s_mov_b32 s0, s4
	v_add_lshl_u32 v21, v2, s15, 1
	s_movk_i32 s13, 0x80
	buffer_load_dwordx4 v[2:5], v20, s[0:3], 0 offen
	buffer_load_dwordx4 v[10:13], v20, s[0:3], s13 offen
	;; [unrolled: 1-line block ×4, first 2 shown]
.LBB106_45:
	v_lshrrev_b32_e32 v35, 2, v35
	s_cbranch_execnz .LBB106_58
.LBB106_46:
	s_and_b64 vcc, exec, s[6:7]
	s_cbranch_vccz .LBB106_56
; %bb.47:
	s_waitcnt vmcnt(0)
	v_lshlrev_b32_e32 v7, 1, v30
	v_cmp_gt_i32_e32 vcc, s27, v7
	v_mov_b32_e32 v6, 0
	v_lshlrev_b32_e32 v14, 9, v30
	v_mov_b32_e32 v2, 0
	v_mov_b32_e32 v3, 0
	;; [unrolled: 1-line block ×4, first 2 shown]
	s_and_saveexec_b64 s[0:1], vcc
	s_cbranch_execz .LBB106_49
; %bb.48:
	v_mov_b32_e32 v15, 0
	v_lshl_add_u64 v[2:3], s[4:5], 0, v[14:15]
	v_lshlrev_b32_e32 v4, 1, v18
	v_mov_b32_e32 v5, v15
	v_lshl_add_u64 v[2:3], v[2:3], 0, v[4:5]
	global_load_dwordx4 v[2:5], v[2:3], off
.LBB106_49:
	s_or_b64 exec, exec, s[0:1]
	v_or_b32_e32 v7, 1, v7
	v_cmp_gt_i32_e64 s[0:1], s27, v7
	v_lshlrev_b32_e32 v20, 8, v7
	v_mov_b32_e32 v7, 0
	v_mov_b32_e32 v8, 0
	v_mov_b32_e32 v9, 0
	s_and_saveexec_b64 s[2:3], s[0:1]
	s_cbranch_execz .LBB106_51
; %bb.50:
	v_mov_b32_e32 v21, 0
	v_lshl_add_u64 v[6:7], s[4:5], 0, v[20:21]
	v_lshlrev_b32_e32 v8, 1, v18
	v_mov_b32_e32 v9, v21
	v_lshl_add_u64 v[6:7], v[6:7], 0, v[8:9]
	global_load_dwordx4 v[6:9], v[6:7], off
.LBB106_51:
	s_or_b64 exec, exec, s[2:3]
	v_mov_b32_e32 v17, 0
	v_mov_b32_e32 v10, 0
	;; [unrolled: 1-line block ×5, first 2 shown]
	s_and_saveexec_b64 s[2:3], vcc
	s_cbranch_execz .LBB106_53
; %bb.52:
	v_mov_b32_e32 v15, 0
	v_lshl_add_u64 v[10:11], s[4:5], 0, v[14:15]
	v_lshlrev_b32_e32 v14, 1, v18
	v_lshl_add_u64 v[10:11], v[10:11], 0, v[14:15]
	global_load_dwordx4 v[10:13], v[10:11], off offset:128
.LBB106_53:
	s_or_b64 exec, exec, s[2:3]
	v_mov_b32_e32 v16, 0
	v_mov_b32_e32 v15, 0
	;; [unrolled: 1-line block ×3, first 2 shown]
	s_and_saveexec_b64 s[2:3], s[0:1]
	s_cbranch_execz .LBB106_55
; %bb.54:
	v_mov_b32_e32 v21, 0
	v_lshl_add_u64 v[14:15], s[4:5], 0, v[20:21]
	v_lshlrev_b32_e32 v20, 1, v18
	v_lshl_add_u64 v[14:15], v[14:15], 0, v[20:21]
	global_load_dwordx4 v[14:17], v[14:15], off offset:128
.LBB106_55:
	s_or_b64 exec, exec, s[2:3]
	s_branch .LBB106_58
.LBB106_56:
                                        ; implicit-def: $vgpr5
                                        ; implicit-def: $vgpr9
                                        ; implicit-def: $vgpr13
                                        ; implicit-def: $vgpr17
	s_cbranch_execz .LBB106_58
; %bb.57:
	s_waitcnt vmcnt(0)
	v_lshlrev_b32_e32 v2, 1, v18
	v_lshl_or_b32 v18, v30, 9, v2
	s_and_b32 s5, s5, 0xffff
	s_mov_b32 s7, 0x20000
	s_movk_i32 s6, 0x4000
	s_movk_i32 s0, 0x80
	buffer_load_dwordx4 v[2:5], v18, s[4:7], 0 offen
	buffer_load_dwordx4 v[6:9], v18, s[4:7], 0 offen offset:256
	buffer_load_dwordx4 v[10:13], v18, s[4:7], s0 offen
	buffer_load_dwordx4 v[14:17], v18, s[4:7], s0 offen offset:256
.LBB106_58:
	ds_read_b64 v[20:21], v31 offset:57344
	v_add_u32_e32 v18, 0x6000, v26
	ds_read2_b64 v[78:81], v18 offset1:16
	ds_read_b64 v[82:83], v32 offset:57344
	ds_read_b64 v[32:33], v33 offset:57344
	;; [unrolled: 1-line block ×3, first 2 shown]
	ds_read2st64_b64 v[86:89], v26 offset0:52 offset1:56
	v_and_b32_e32 v31, 1, v0
	v_cmp_eq_u32_e32 vcc, 0, v31
	s_mov_b32 s0, 0x1000504
	s_waitcnt vmcnt(0)
	v_perm_b32 v31, v10, v14, s0
	s_mov_b32 s1, 0x3020706
	s_waitcnt lgkmcnt(4)
	v_mfma_f32_16x16x16_bf16 a[0:3], v[20:21], v[78:79], a[0:3]
	v_mfma_f32_16x16x16_bf16 a[4:7], v[20:21], v[80:81], a[4:7]
	ds_read2_b64 v[78:81], v18 offset0:32 offset1:48
	v_and_b32_e32 v18, 6, v0
	v_xor_b32_e32 v30, v30, v18
	s_waitcnt lgkmcnt(0)
	v_mfma_f32_16x16x16_bf16 a[8:11], v[20:21], v[78:79], a[8:11]
	v_lshlrev_b32_e32 v30, 2, v30
	v_xor_b32_e32 v77, 0x440, v30
	v_cndmask_b32_e32 v30, v77, v30, vcc
	v_mfma_f32_16x16x16_bf16 a[12:15], v[20:21], v[80:81], a[12:15]
	ds_read2st64_b64 v[78:81], v27 offset0:52 offset1:56
	ds_read2st64_b64 v[90:93], v28 offset0:52 offset1:56
	;; [unrolled: 1-line block ×3, first 2 shown]
	v_lshl_or_b32 v18, v18, 10, v30
	v_perm_b32 v30, v2, v6, s0
	v_mfma_f32_16x16x16_bf16 a[0:3], v[82:83], v[86:87], a[0:3]
	ds_read_b64 v[20:21], v26 offset:30720
	ds_read_b64 v[86:87], v27 offset:30720
	;; [unrolled: 1-line block ×4, first 2 shown]
	ds_write2st64_b32 v18, v30, v31 offset0:128 offset1:160
	v_xor_b32_e32 v30, 8, v18
	s_waitcnt lgkmcnt(7)
	v_mfma_f32_16x16x16_bf16 a[4:7], v[82:83], v[78:79], a[4:7]
	v_perm_b32 v2, v2, v6, s1
	v_perm_b32 v6, v10, v14, s1
	v_add_u32_e32 v10, 0x80, v30
	s_waitcnt lgkmcnt(6)
	v_mfma_f32_16x16x16_bf16 a[8:11], v[82:83], v[90:91], a[8:11]
	ds_write2st64_b32 v10, v2, v6 offset0:128 offset1:160
	v_xor_b32_e32 v2, 16, v18
	v_perm_b32 v6, v3, v7, s0
	s_waitcnt lgkmcnt(6)
	v_mfma_f32_16x16x16_bf16 a[12:15], v[82:83], v[94:95], a[12:15]
	v_perm_b32 v10, v11, v15, s0
	ds_write2st64_b32 v2, v6, v10 offset0:129 offset1:161
	v_xor_b32_e32 v2, 24, v18
	v_mfma_f32_16x16x16_bf16 a[0:3], v[32:33], v[88:89], a[0:3]
	v_perm_b32 v3, v3, v7, s1
	v_perm_b32 v6, v11, v15, s1
	v_add_u32_e32 v2, 0x80, v2
	v_mfma_f32_16x16x16_bf16 a[4:7], v[32:33], v[80:81], a[4:7]
	ds_write2st64_b32 v2, v3, v6 offset0:129 offset1:161
	v_xor_b32_e32 v2, 32, v18
	v_perm_b32 v3, v4, v8, s0
	v_mfma_f32_16x16x16_bf16 a[16:19], v[32:33], v[92:93], a[8:11]
	v_perm_b32 v6, v12, v16, s0
	ds_write2st64_b32 v2, v3, v6 offset0:130 offset1:162
	v_xor_b32_e32 v2, 40, v18
	v_mfma_f32_16x16x16_bf16 a[20:23], v[32:33], v[96:97], a[12:15]
	v_perm_b32 v3, v4, v8, s1
	v_perm_b32 v4, v12, v16, s1
	v_add_u32_e32 v2, 0x80, v2
	s_waitcnt lgkmcnt(8)
	v_mfma_f32_16x16x16_bf16 a[12:15], v[98:99], v[20:21], a[0:3]
	ds_write2st64_b32 v2, v3, v4 offset0:130 offset1:162
	v_xor_b32_e32 v2, 48, v18
	v_perm_b32 v3, v5, v9, s0
	s_waitcnt lgkmcnt(8)
	v_mfma_f32_16x16x16_bf16 a[8:11], v[98:99], v[86:87], a[4:7]
	v_perm_b32 v4, v13, v17, s0
	ds_write2st64_b32 v2, v3, v4 offset0:131 offset1:163
	v_xor_b32_e32 v2, 56, v18
	s_waitcnt lgkmcnt(8)
	v_mfma_f32_16x16x16_bf16 a[4:7], v[98:99], v[100:101], a[16:19]
	v_and_or_b32 v21, v35, 12, v84
	v_perm_b32 v3, v5, v9, s1
	v_perm_b32 v4, v13, v17, s1
	s_waitcnt lgkmcnt(7)
	v_mfma_f32_16x16x16_bf16 a[0:3], v[98:99], v[102:103], a[20:23]
	v_add_u32_e32 v2, 0x80, v2
	v_cmp_gt_i32_e32 vcc, s27, v21
	v_mov_b32_e32 v16, 0
	v_mov_b32_e32 v18, 0
	ds_write2st64_b32 v2, v3, v4 offset0:131 offset1:163
	s_and_saveexec_b64 s[0:1], vcc
	s_cbranch_execz .LBB106_60
; %bb.59:
	v_add_u32_e32 v2, s26, v21
	v_ashrrev_i32_e32 v3, 31, v2
	v_mul_lo_u32 v4, v3, s34
	v_mul_lo_u32 v5, v2, s35
	v_mad_u64_u32 v[2:3], s[2:3], v2, s34, 0
	v_add3_u32 v3, v3, v5, v4
	v_lshl_add_u64 v[2:3], v[2:3], 2, s[10:11]
	global_load_dword v2, v[2:3], off
	s_waitcnt vmcnt(0)
	v_sub_f32_e32 v2, s12, v2
	v_mul_f32_e32 v2, 0x3fb8aa3b, v2
	v_exp_f32_e32 v18, v2
.LBB106_60:
	s_or_b64 exec, exec, s[0:1]
	v_or_b32_e32 v8, 1, v21
	v_cmp_gt_i32_e64 s[0:1], s27, v8
	s_and_saveexec_b64 s[2:3], s[0:1]
	s_cbranch_execz .LBB106_62
; %bb.61:
	v_add_u32_e32 v2, s26, v8
	v_ashrrev_i32_e32 v3, 31, v2
	v_mul_lo_u32 v4, v3, s34
	v_mul_lo_u32 v5, v2, s35
	v_mad_u64_u32 v[2:3], s[4:5], v2, s34, 0
	v_add3_u32 v3, v3, v5, v4
	v_lshl_add_u64 v[2:3], v[2:3], 2, s[10:11]
	global_load_dword v2, v[2:3], off
	s_waitcnt vmcnt(0)
	v_sub_f32_e32 v2, s12, v2
	v_mul_f32_e32 v2, 0x3fb8aa3b, v2
	v_exp_f32_e32 v16, v2
.LBB106_62:
	s_or_b64 exec, exec, s[2:3]
	v_or_b32_e32 v9, 2, v21
	v_cmp_gt_i32_e64 s[2:3], s27, v9
	v_mov_b32_e32 v17, 0
	v_mov_b32_e32 v20, 0
	s_and_saveexec_b64 s[4:5], s[2:3]
	s_cbranch_execz .LBB106_64
; %bb.63:
	v_add_u32_e32 v2, s26, v9
	v_ashrrev_i32_e32 v3, 31, v2
	v_mul_lo_u32 v4, v3, s34
	v_mul_lo_u32 v5, v2, s35
	v_mad_u64_u32 v[2:3], s[6:7], v2, s34, 0
	v_add3_u32 v3, v3, v5, v4
	v_lshl_add_u64 v[2:3], v[2:3], 2, s[10:11]
	global_load_dword v2, v[2:3], off
	s_waitcnt vmcnt(0)
	v_sub_f32_e32 v2, s12, v2
	v_mul_f32_e32 v2, 0x3fb8aa3b, v2
	v_exp_f32_e32 v20, v2
.LBB106_64:
	s_or_b64 exec, exec, s[4:5]
	v_or_b32_e32 v30, 3, v21
	v_cmp_gt_i32_e64 s[4:5], s27, v30
	s_and_saveexec_b64 s[6:7], s[4:5]
	s_cbranch_execz .LBB106_66
; %bb.65:
	v_add_u32_e32 v2, s26, v30
	v_ashrrev_i32_e32 v3, 31, v2
	v_mul_lo_u32 v4, v3, s34
	v_mul_lo_u32 v5, v2, s35
	v_mad_u64_u32 v[2:3], s[14:15], v2, s34, 0
	v_add3_u32 v3, v3, v5, v4
	v_lshl_add_u64 v[2:3], v[2:3], 2, s[10:11]
	global_load_dword v2, v[2:3], off
	s_waitcnt vmcnt(0)
	v_sub_f32_e32 v2, s12, v2
	v_mul_f32_e32 v2, 0x3fb8aa3b, v2
	v_exp_f32_e32 v17, v2
.LBB106_66:
	s_or_b64 exec, exec, s[6:7]
	s_add_u32 s6, s8, s20
	v_accvgpr_read_b32 v2, a12
	s_addc_u32 s7, s9, s21
	v_ashrrev_i32_e32 v77, 31, v76
	v_accvgpr_read_b32 v3, a13
	v_accvgpr_read_b32 v4, a14
	;; [unrolled: 1-line block ×3, first 2 shown]
	v_lshl_add_u64 v[6:7], v[76:77], 1, s[6:7]
	v_mov_b32_e32 v13, 0
	v_lshlrev_b32_e32 v10, 8, v21
	v_mov_b32_e32 v11, 0
	s_and_saveexec_b64 s[6:7], vcc
	s_cbranch_execz .LBB106_68
; %bb.67:
	v_mov_b32_e32 v11, 0
	v_lshl_add_u64 v[14:15], v[6:7], 0, v[10:11]
	global_load_ushort v11, v[14:15], off
	s_waitcnt vmcnt(0)
	v_lshlrev_b32_e32 v11, 16, v11
	v_sub_f32_e32 v2, v11, v2
	v_mul_f32_e32 v2, v18, v2
	v_lshrrev_b32_e32 v11, 16, v2
.LBB106_68:
	s_or_b64 exec, exec, s[6:7]
	v_lshlrev_b32_e32 v12, 8, v8
	s_and_saveexec_b64 s[6:7], s[0:1]
	s_cbranch_execz .LBB106_70
; %bb.69:
	v_mov_b32_e32 v13, 0
	v_lshl_add_u64 v[14:15], v[6:7], 0, v[12:13]
	global_load_ushort v2, v[14:15], off
	s_waitcnt vmcnt(0)
	v_lshlrev_b32_e32 v2, 16, v2
	v_sub_f32_e32 v2, v2, v3
	v_mul_f32_e32 v2, v16, v2
	v_lshrrev_b32_e32 v13, 16, v2
.LBB106_70:
	s_or_b64 exec, exec, s[6:7]
	v_mov_b32_e32 v31, 0
	v_lshlrev_b32_e32 v14, 8, v9
	v_mov_b32_e32 v15, 0
	s_and_saveexec_b64 s[6:7], s[2:3]
	s_cbranch_execz .LBB106_72
; %bb.71:
	v_mov_b32_e32 v15, 0
	v_lshl_add_u64 v[2:3], v[6:7], 0, v[14:15]
	global_load_ushort v2, v[2:3], off
	s_waitcnt vmcnt(0)
	v_lshlrev_b32_e32 v2, 16, v2
	v_sub_f32_e32 v2, v2, v4
	v_mul_f32_e32 v2, v20, v2
	v_lshrrev_b32_e32 v15, 16, v2
.LBB106_72:
	s_or_b64 exec, exec, s[6:7]
	v_lshlrev_b32_e32 v8, 8, v30
	s_and_saveexec_b64 s[6:7], s[4:5]
	s_cbranch_execz .LBB106_74
; %bb.73:
	v_mov_b32_e32 v9, 0
	v_lshl_add_u64 v[2:3], v[6:7], 0, v[8:9]
	global_load_ushort v2, v[2:3], off
	s_waitcnt vmcnt(0)
	v_lshlrev_b32_e32 v2, 16, v2
	v_sub_f32_e32 v2, v2, v5
	v_mul_f32_e32 v2, v17, v2
	v_lshrrev_b32_e32 v31, 16, v2
.LBB106_74:
	s_or_b64 exec, exec, s[6:7]
	v_lshlrev_b32_e32 v21, 6, v21
	v_accvgpr_read_b32 v2, a8
	s_mov_b32 s6, 0x5040100
	v_or_b32_e32 v9, v21, v24
	v_accvgpr_read_b32 v3, a9
	v_accvgpr_read_b32 v4, a10
	;; [unrolled: 1-line block ×3, first 2 shown]
	v_perm_b32 v31, v31, v15, s6
	v_perm_b32 v30, v13, v11, s6
	v_lshlrev_b32_e32 v9, 1, v9
	v_mov_b32_e32 v13, 0
	v_mov_b32_e32 v11, 0
	ds_write_b64 v9, v[30:31] offset:24576
	s_and_saveexec_b64 s[6:7], vcc
	s_cbranch_execz .LBB106_76
; %bb.75:
	v_mov_b32_e32 v11, 0
	v_lshl_add_u64 v[30:31], v[6:7], 0, v[10:11]
	global_load_ushort v9, v[30:31], off offset:32
	s_waitcnt vmcnt(0)
	v_lshlrev_b32_e32 v9, 16, v9
	v_sub_f32_e32 v2, v9, v2
	v_mul_f32_e32 v2, v18, v2
	v_lshrrev_b32_e32 v11, 16, v2
.LBB106_76:
	s_or_b64 exec, exec, s[6:7]
	s_and_saveexec_b64 s[6:7], s[0:1]
	s_cbranch_execz .LBB106_78
; %bb.77:
	v_mov_b32_e32 v13, 0
	v_lshl_add_u64 v[30:31], v[6:7], 0, v[12:13]
	global_load_ushort v2, v[30:31], off offset:32
	s_waitcnt vmcnt(0)
	v_lshlrev_b32_e32 v2, 16, v2
	v_sub_f32_e32 v2, v2, v3
	v_mul_f32_e32 v2, v16, v2
	v_lshrrev_b32_e32 v13, 16, v2
.LBB106_78:
	s_or_b64 exec, exec, s[6:7]
	v_mov_b32_e32 v9, 0
	v_mov_b32_e32 v15, 0
	s_and_saveexec_b64 s[6:7], s[2:3]
	s_cbranch_execz .LBB106_80
; %bb.79:
	v_mov_b32_e32 v15, 0
	v_lshl_add_u64 v[2:3], v[6:7], 0, v[14:15]
	global_load_ushort v2, v[2:3], off offset:32
	s_waitcnt vmcnt(0)
	v_lshlrev_b32_e32 v2, 16, v2
	v_sub_f32_e32 v2, v2, v4
	v_mul_f32_e32 v2, v20, v2
	v_lshrrev_b32_e32 v15, 16, v2
.LBB106_80:
	s_or_b64 exec, exec, s[6:7]
	s_and_saveexec_b64 s[6:7], s[4:5]
	s_cbranch_execz .LBB106_82
; %bb.81:
	v_mov_b32_e32 v9, 0
	v_lshl_add_u64 v[2:3], v[6:7], 0, v[8:9]
	global_load_ushort v2, v[2:3], off offset:32
	s_waitcnt vmcnt(0)
	v_lshlrev_b32_e32 v2, 16, v2
	v_sub_f32_e32 v2, v2, v5
	v_mul_f32_e32 v2, v17, v2
	v_lshrrev_b32_e32 v9, 16, v2
.LBB106_82:
	s_or_b64 exec, exec, s[6:7]
	s_mov_b32 s6, 0x5040100
	v_accvgpr_read_b32 v2, a4
	v_perm_b32 v31, v9, v15, s6
	v_or_b32_e32 v9, v21, v23
	v_accvgpr_read_b32 v3, a5
	v_accvgpr_read_b32 v4, a6
	;; [unrolled: 1-line block ×3, first 2 shown]
	v_perm_b32 v30, v13, v11, s6
	v_lshlrev_b32_e32 v9, 1, v9
	v_mov_b32_e32 v13, 0
	v_mov_b32_e32 v11, 0
	ds_write_b64 v9, v[30:31] offset:24576
	s_and_saveexec_b64 s[6:7], vcc
	s_cbranch_execz .LBB106_84
; %bb.83:
	v_mov_b32_e32 v11, 0
	v_lshl_add_u64 v[30:31], v[6:7], 0, v[10:11]
	global_load_ushort v9, v[30:31], off offset:64
	s_waitcnt vmcnt(0)
	v_lshlrev_b32_e32 v9, 16, v9
	v_sub_f32_e32 v2, v9, v2
	v_mul_f32_e32 v2, v18, v2
	v_lshrrev_b32_e32 v11, 16, v2
.LBB106_84:
	s_or_b64 exec, exec, s[6:7]
	s_and_saveexec_b64 s[6:7], s[0:1]
	s_cbranch_execz .LBB106_86
; %bb.85:
	v_mov_b32_e32 v13, 0
	v_lshl_add_u64 v[30:31], v[6:7], 0, v[12:13]
	global_load_ushort v2, v[30:31], off offset:64
	s_waitcnt vmcnt(0)
	v_lshlrev_b32_e32 v2, 16, v2
	v_sub_f32_e32 v2, v2, v3
	v_mul_f32_e32 v2, v16, v2
	v_lshrrev_b32_e32 v13, 16, v2
.LBB106_86:
	s_or_b64 exec, exec, s[6:7]
	v_mov_b32_e32 v9, 0
	v_mov_b32_e32 v15, 0
	s_and_saveexec_b64 s[6:7], s[2:3]
	s_cbranch_execz .LBB106_88
; %bb.87:
	v_mov_b32_e32 v15, 0
	v_lshl_add_u64 v[2:3], v[6:7], 0, v[14:15]
	global_load_ushort v2, v[2:3], off offset:64
	s_waitcnt vmcnt(0)
	v_lshlrev_b32_e32 v2, 16, v2
	v_sub_f32_e32 v2, v2, v4
	v_mul_f32_e32 v2, v20, v2
	v_lshrrev_b32_e32 v15, 16, v2
.LBB106_88:
	s_or_b64 exec, exec, s[6:7]
	s_and_saveexec_b64 s[6:7], s[4:5]
	s_cbranch_execz .LBB106_90
; %bb.89:
	v_mov_b32_e32 v9, 0
	v_lshl_add_u64 v[2:3], v[6:7], 0, v[8:9]
	global_load_ushort v2, v[2:3], off offset:64
	s_waitcnt vmcnt(0)
	v_lshlrev_b32_e32 v2, 16, v2
	v_sub_f32_e32 v2, v2, v5
	v_mul_f32_e32 v2, v17, v2
	v_lshrrev_b32_e32 v9, 16, v2
.LBB106_90:
	s_or_b64 exec, exec, s[6:7]
	s_mov_b32 s6, 0x5040100
	v_accvgpr_read_b32 v5, a3
	v_perm_b32 v31, v9, v15, s6
	v_or_b32_e32 v9, v21, v22
	v_accvgpr_read_b32 v4, a2
	v_accvgpr_read_b32 v3, a1
	;; [unrolled: 1-line block ×3, first 2 shown]
	v_perm_b32 v30, v13, v11, s6
	v_lshlrev_b32_e32 v9, 1, v9
	v_mov_b32_e32 v13, 0
	v_mov_b32_e32 v11, 0
	ds_write_b64 v9, v[30:31] offset:24576
	s_and_saveexec_b64 s[6:7], vcc
	s_cbranch_execz .LBB106_92
; %bb.91:
	v_mov_b32_e32 v11, 0
	v_lshl_add_u64 v[10:11], v[6:7], 0, v[10:11]
	global_load_ushort v9, v[10:11], off offset:96
	s_waitcnt vmcnt(0)
	v_lshlrev_b32_e32 v9, 16, v9
	v_sub_f32_e32 v2, v9, v2
	v_mul_f32_e32 v2, v18, v2
	v_lshrrev_b32_e32 v11, 16, v2
.LBB106_92:
	s_or_b64 exec, exec, s[6:7]
	s_and_saveexec_b64 s[6:7], s[0:1]
	s_cbranch_execz .LBB106_94
; %bb.93:
	v_mov_b32_e32 v13, 0
	v_lshl_add_u64 v[12:13], v[6:7], 0, v[12:13]
	global_load_ushort v2, v[12:13], off offset:96
	s_waitcnt vmcnt(0)
	v_lshlrev_b32_e32 v2, 16, v2
	v_sub_f32_e32 v2, v2, v3
	v_mul_f32_e32 v2, v16, v2
	v_lshrrev_b32_e32 v13, 16, v2
.LBB106_94:
	s_or_b64 exec, exec, s[6:7]
	v_mov_b32_e32 v9, 0
	v_mov_b32_e32 v12, 0
	s_and_saveexec_b64 s[0:1], s[2:3]
	s_cbranch_execz .LBB106_96
; %bb.95:
	v_mov_b32_e32 v15, 0
	v_lshl_add_u64 v[2:3], v[6:7], 0, v[14:15]
	global_load_ushort v2, v[2:3], off offset:96
	s_waitcnt vmcnt(0)
	v_lshlrev_b32_e32 v2, 16, v2
	v_sub_f32_e32 v2, v2, v4
	v_mul_f32_e32 v2, v20, v2
	v_lshrrev_b32_e32 v12, 16, v2
.LBB106_96:
	s_or_b64 exec, exec, s[0:1]
	v_or_b32_e32 v10, 0x6000, v26
	v_or_b32_e32 v4, 0x6000, v27
	;; [unrolled: 1-line block ×4, first 2 shown]
	s_and_saveexec_b64 s[0:1], s[4:5]
	s_cbranch_execz .LBB106_98
; %bb.97:
	v_mov_b32_e32 v9, 0
	v_lshl_add_u64 v[6:7], v[6:7], 0, v[8:9]
	global_load_ushort v6, v[6:7], off offset:96
	s_waitcnt vmcnt(0)
	v_lshlrev_b32_e32 v6, 16, v6
	v_sub_f32_e32 v5, v6, v5
	v_mul_f32_e32 v5, v17, v5
	v_lshrrev_b32_e32 v9, 16, v5
.LBB106_98:
	s_or_b64 exec, exec, s[0:1]
	s_mov_b32 s0, 0x5040100
	v_or_b32_e32 v5, v21, v19
	v_perm_b32 v7, v9, v12, s0
	v_perm_b32 v6, v13, v11, s0
	v_lshlrev_b32_e32 v5, 1, v5
	s_movk_i32 s0, 0x100
	ds_write_b64 v5, v[6:7] offset:24576
	v_and_b32_e32 v5, 7, v0
	v_and_b32_e32 v6, 8, v0
	v_cmp_gt_u32_e32 vcc, s0, v0
	v_lshrrev_b32_e32 v0, 1, v0
	v_lshlrev_b32_e32 v35, 3, v1
	v_and_b32_e32 v78, 24, v0
	v_mov_b32_e32 v7, 0xa000
	v_mov_b32_e32 v8, 0x8000
	v_xor_b32_e32 v0, v35, v78
	v_or_b32_e32 v16, 32, v78
	v_cndmask_b32_e32 v24, v7, v8, vcc
	v_or_b32_e32 v1, 0x440, v0
	v_cmp_eq_u32_e32 vcc, 0, v6
	v_xor_b32_e32 v16, v35, v16
	v_or_b32_e32 v17, 0x440, v16
	v_cndmask_b32_e32 v0, v1, v0, vcc
	v_lshlrev_b32_e32 v11, 3, v5
	v_lshlrev_b32_e32 v5, 7, v5
	v_or_b32_e32 v0, v0, v25
	v_cndmask_b32_e32 v16, v17, v16, vcc
	v_xad_u32 v79, v0, v11, v5
	v_or_b32_e32 v16, v16, v25
	v_add_u32_e32 v0, v24, v79
	v_xad_u32 v80, v16, v11, v5
	s_waitcnt lgkmcnt(0)
	s_barrier
	ds_read_b64 v[0:1], v0
	ds_read2_b64 v[6:9], v10 offset1:16
	ds_read2_b64 v[12:15], v10 offset0:32 offset1:48
	v_add_u32_e32 v16, v24, v80
	ds_read_b64 v[76:77], v16
	s_waitcnt lgkmcnt(2)
	v_mfma_f32_16x16x16_bf16 a[0:3], v[0:1], v[6:7], 0
	ds_read2st64_b64 v[16:19], v10 offset0:4 offset1:8
	ds_read2st64_b64 v[20:23], v4 offset0:4 offset1:8
	;; [unrolled: 1-line block ×3, first 2 shown]
	v_mfma_f32_16x16x16_bf16 a[4:7], v[0:1], v[8:9], 0
	ds_read2st64_b64 v[30:33], v2 offset0:4 offset1:8
	s_waitcnt lgkmcnt(5)
	v_mfma_f32_16x16x16_bf16 a[8:11], v[0:1], v[12:13], 0
	v_mfma_f32_16x16x16_bf16 a[12:15], v[0:1], v[14:15], 0
	v_or_b32_e32 v0, 64, v78
	v_xor_b32_e32 v0, v35, v0
	v_xor_b32_e32 v1, 0x440, v0
	v_cndmask_b32_e32 v0, v1, v0, vcc
	v_or_b32_e32 v0, v0, v25
	s_waitcnt lgkmcnt(3)
	v_mfma_f32_16x16x16_bf16 a[0:3], v[76:77], v[16:17], a[0:3]
	s_waitcnt lgkmcnt(2)
	v_mfma_f32_16x16x16_bf16 a[4:7], v[76:77], v[20:21], a[4:7]
	;; [unrolled: 2-line block ×4, first 2 shown]
	v_xad_u32 v76, v0, v11, v5
	v_add_u32_e32 v0, v24, v76
	ds_read_b64 v[0:1], v0
	v_or_b32_e32 v77, 0x60, v78
	v_xor_b32_e32 v35, v35, v77
	v_xor_b32_e32 v77, 0x440, v35
	v_cndmask_b32_e32 v35, v77, v35, vcc
	v_or_b32_e32 v25, v35, v25
	v_xad_u32 v35, v25, v11, v5
	v_add_u32_e32 v5, v24, v35
	s_waitcnt lgkmcnt(0)
	v_mfma_f32_16x16x16_bf16 a[0:3], v[0:1], v[18:19], a[0:3]
	ds_read_b64 v[24:25], v5
	ds_read_b64 v[10:11], v10 offset:6144
	v_mfma_f32_16x16x16_bf16 a[4:7], v[0:1], v[22:23], a[4:7]
	v_mfma_f32_16x16x16_bf16 a[8:11], v[0:1], v[28:29], a[8:11]
	;; [unrolled: 1-line block ×3, first 2 shown]
	ds_read_b64 v[0:1], v4 offset:6144
	ds_read_b64 v[4:5], v3 offset:6144
	;; [unrolled: 1-line block ×3, first 2 shown]
	s_waitcnt lgkmcnt(3)
	v_mfma_f32_16x16x16_bf16 a[0:3], v[24:25], v[10:11], a[0:3]
	s_waitcnt lgkmcnt(2)
	v_mfma_f32_16x16x16_bf16 a[4:7], v[24:25], v[0:1], a[4:7]
	;; [unrolled: 2-line block ×4, first 2 shown]
	ds_read_b64 v[24:25], v79 offset:40960
	s_waitcnt lgkmcnt(0)
	v_mfma_f32_16x16x16_bf16 a[16:19], v[24:25], v[6:7], 0
	ds_read_b64 v[6:7], v80 offset:40960
	v_mfma_f32_16x16x16_bf16 a[20:23], v[24:25], v[8:9], 0
	v_mov_b32_e32 v8, 0x3fb8aa3b
	v_mul_f32_e32 v8, s12, v8
	v_exp_f32_e32 v8, v8
	v_mfma_f32_16x16x16_bf16 a[24:27], v[24:25], v[12:13], 0
	ds_read_b64 v[12:13], v76 offset:40960
	v_mfma_f32_16x16x16_bf16 a[28:31], v[24:25], v[14:15], 0
	v_accvgpr_read_b32 v15, a3
	v_accvgpr_read_b32 v14, a2
	v_pk_fma_f32 v[74:75], v[74:75], v[8:9], v[14:15] op_sel_hi:[1,0,1]
	ds_read_b64 v[14:15], v35 offset:40960
	s_waitcnt lgkmcnt(2)
	v_mfma_f32_16x16x16_bf16 a[16:19], v[6:7], v[16:17], a[16:19]
	v_accvgpr_read_b32 v17, a7
	v_accvgpr_read_b32 v16, a6
	v_pk_fma_f32 v[66:67], v[66:67], v[8:9], v[16:17] op_sel_hi:[1,0,1]
	v_mfma_f32_16x16x16_bf16 a[20:23], v[6:7], v[20:21], a[20:23]
	v_accvgpr_read_b32 v21, a1
	v_accvgpr_read_b32 v20, a0
	v_pk_fma_f32 v[70:71], v[70:71], v[8:9], v[20:21] op_sel_hi:[1,0,1]
	;; [unrolled: 4-line block ×4, first 2 shown]
	s_waitcnt lgkmcnt(1)
	v_mfma_f32_16x16x16_bf16 a[16:19], v[12:13], v[18:19], a[16:19]
	v_accvgpr_read_b32 v6, a12
	v_accvgpr_read_b32 v7, a13
	v_pk_fma_f32 v[46:47], v[46:47], v[8:9], v[6:7] op_sel_hi:[1,0,1]
	v_mfma_f32_16x16x16_bf16 a[0:3], v[12:13], v[22:23], a[20:23]
	v_accvgpr_read_b32 v19, a15
	v_accvgpr_read_b32 v18, a14
	v_pk_fma_f32 v[52:53], v[52:53], v[8:9], v[18:19] op_sel_hi:[1,0,1]
	v_mfma_f32_16x16x16_bf16 a[20:23], v[12:13], v[28:29], a[24:27]
	v_mfma_f32_16x16x16_bf16 a[4:7], v[12:13], v[32:33], a[28:31]
	v_accvgpr_read_b32 v13, a9
	v_accvgpr_read_b32 v12, a8
	v_pk_fma_f32 v[54:55], v[54:55], v[8:9], v[12:13] op_sel_hi:[1,0,1]
	s_waitcnt lgkmcnt(0)
	v_mfma_f32_16x16x16_bf16 a[8:11], v[14:15], v[10:11], a[16:19]
	v_mfma_f32_16x16x16_bf16 a[0:3], v[14:15], v[0:1], a[0:3]
	s_nop 5
	v_accvgpr_read_b32 v1, a11
	v_accvgpr_read_b32 v0, a10
	v_mfma_f32_16x16x16_bf16 a[10:13], v[14:15], v[4:5], a[20:23]
	v_pk_fma_f32 v[72:73], v[72:73], v[8:9], v[0:1] op_sel_hi:[1,0,1]
	v_accvgpr_read_b32 v7, a3
	v_accvgpr_read_b32 v6, a2
	v_mfma_f32_16x16x16_bf16 a[2:5], v[14:15], v[2:3], a[4:7]
	v_accvgpr_read_b32 v0, a0
	v_accvgpr_read_b32 v1, a1
	v_pk_fma_f32 v[60:61], v[60:61], v[8:9], v[0:1] op_sel_hi:[1,0,1]
	v_accvgpr_read_b32 v0, a10
	v_accvgpr_read_b32 v1, a11
	;; [unrolled: 1-line block ×3, first 2 shown]
	v_pk_fma_f32 v[50:51], v[50:51], v[8:9], v[0:1] op_sel_hi:[1,0,1]
	v_accvgpr_read_b32 v0, a2
	v_accvgpr_read_b32 v5, a13
	;; [unrolled: 1-line block ×7, first 2 shown]
	v_pk_fma_f32 v[68:69], v[68:69], v[8:9], v[10:11] op_sel_hi:[1,0,1]
	v_pk_fma_f32 v[64:65], v[64:65], v[8:9], v[6:7] op_sel_hi:[1,0,1]
	;; [unrolled: 1-line block ×5, first 2 shown]
.LBB106_99:
	s_waitcnt lgkmcnt(0)
	s_add_u32 s0, s30, s28
	s_addc_u32 s1, s31, s29
	v_lshl_add_u64 v[0:1], v[36:37], 1, s[0:1]
	v_mov_b32_e32 v35, 0
	s_mov_b32 s2, 0x7060302
	v_lshl_add_u64 v[0:1], v[0:1], 0, v[34:35]
	v_perm_b32 v3, v75, v74, s2
	v_perm_b32 v2, v71, v70, s2
	global_store_dwordx2 v[0:1], v[2:3], off
	v_perm_b32 v3, v73, v72, s2
	v_perm_b32 v2, v69, v68, s2
	global_store_dwordx2 v[0:1], v[2:3], off offset:128
	v_lshl_add_u64 v[0:1], v[38:39], 1, s[0:1]
	v_lshl_add_u64 v[0:1], v[0:1], 0, v[34:35]
	v_perm_b32 v3, v67, v66, s2
	v_perm_b32 v2, v63, v62, s2
	global_store_dwordx2 v[0:1], v[2:3], off
	v_perm_b32 v3, v65, v64, s2
	v_perm_b32 v2, v61, v60, s2
	global_store_dwordx2 v[0:1], v[2:3], off offset:128
	v_lshl_add_u64 v[0:1], v[40:41], 1, s[0:1]
	;; [unrolled: 8-line block ×3, first 2 shown]
	v_lshl_add_u64 v[0:1], v[0:1], 0, v[34:35]
	v_perm_b32 v3, v53, v52, s2
	v_perm_b32 v2, v47, v46, s2
	global_store_dwordx2 v[0:1], v[2:3], off
	v_perm_b32 v3, v49, v48, s2
	v_perm_b32 v2, v45, v44, s2
	global_store_dwordx2 v[0:1], v[2:3], off offset:128
	s_endpgm
	.section	.rodata,"a",@progbits
	.p2align	6, 0x0
	.amdhsa_kernel _ZN12_GLOBAL__N_139chunk_gated_delta_rule_fwd_h_hip_kernelILi64ELb1ELb1ELb0ELb0ELb0ELb0ELb1ELb1EEEvPK12hip_bfloat16S3_S3_PKfS5_PKvPS1_S8_PvPKiSB_iiiiilll
		.amdhsa_group_segment_fixed_size 65536
		.amdhsa_private_segment_fixed_size 0
		.amdhsa_kernarg_size 136
		.amdhsa_user_sgpr_count 2
		.amdhsa_user_sgpr_dispatch_ptr 0
		.amdhsa_user_sgpr_queue_ptr 0
		.amdhsa_user_sgpr_kernarg_segment_ptr 1
		.amdhsa_user_sgpr_dispatch_id 0
		.amdhsa_user_sgpr_kernarg_preload_length 0
		.amdhsa_user_sgpr_kernarg_preload_offset 0
		.amdhsa_user_sgpr_private_segment_size 0
		.amdhsa_uses_dynamic_stack 0
		.amdhsa_enable_private_segment 0
		.amdhsa_system_sgpr_workgroup_id_x 1
		.amdhsa_system_sgpr_workgroup_id_y 1
		.amdhsa_system_sgpr_workgroup_id_z 0
		.amdhsa_system_sgpr_workgroup_info 0
		.amdhsa_system_vgpr_workitem_id 0
		.amdhsa_next_free_vgpr 224
		.amdhsa_next_free_sgpr 70
		.amdhsa_accum_offset 188
		.amdhsa_reserve_vcc 1
		.amdhsa_float_round_mode_32 0
		.amdhsa_float_round_mode_16_64 0
		.amdhsa_float_denorm_mode_32 3
		.amdhsa_float_denorm_mode_16_64 3
		.amdhsa_dx10_clamp 1
		.amdhsa_ieee_mode 1
		.amdhsa_fp16_overflow 0
		.amdhsa_tg_split 0
		.amdhsa_exception_fp_ieee_invalid_op 0
		.amdhsa_exception_fp_denorm_src 0
		.amdhsa_exception_fp_ieee_div_zero 0
		.amdhsa_exception_fp_ieee_overflow 0
		.amdhsa_exception_fp_ieee_underflow 0
		.amdhsa_exception_fp_ieee_inexact 0
		.amdhsa_exception_int_div_zero 0
	.end_amdhsa_kernel
	.section	.text._ZN12_GLOBAL__N_139chunk_gated_delta_rule_fwd_h_hip_kernelILi64ELb1ELb1ELb0ELb0ELb0ELb0ELb1ELb1EEEvPK12hip_bfloat16S3_S3_PKfS5_PKvPS1_S8_PvPKiSB_iiiiilll,"axG",@progbits,_ZN12_GLOBAL__N_139chunk_gated_delta_rule_fwd_h_hip_kernelILi64ELb1ELb1ELb0ELb0ELb0ELb0ELb1ELb1EEEvPK12hip_bfloat16S3_S3_PKfS5_PKvPS1_S8_PvPKiSB_iiiiilll,comdat
.Lfunc_end106:
	.size	_ZN12_GLOBAL__N_139chunk_gated_delta_rule_fwd_h_hip_kernelILi64ELb1ELb1ELb0ELb0ELb0ELb0ELb1ELb1EEEvPK12hip_bfloat16S3_S3_PKfS5_PKvPS1_S8_PvPKiSB_iiiiilll, .Lfunc_end106-_ZN12_GLOBAL__N_139chunk_gated_delta_rule_fwd_h_hip_kernelILi64ELb1ELb1ELb0ELb0ELb0ELb0ELb1ELb1EEEvPK12hip_bfloat16S3_S3_PKfS5_PKvPS1_S8_PvPKiSB_iiiiilll
                                        ; -- End function
	.section	.AMDGPU.csdata,"",@progbits
; Kernel info:
; codeLenInByte = 12384
; NumSgprs: 76
; NumVgprs: 188
; NumAgprs: 36
; TotalNumVgprs: 224
; ScratchSize: 0
; MemoryBound: 0
; FloatMode: 240
; IeeeMode: 1
; LDSByteSize: 65536 bytes/workgroup (compile time only)
; SGPRBlocks: 9
; VGPRBlocks: 27
; NumSGPRsForWavesPerEU: 76
; NumVGPRsForWavesPerEU: 224
; AccumOffset: 188
; Occupancy: 1
; WaveLimiterHint : 1
; COMPUTE_PGM_RSRC2:SCRATCH_EN: 0
; COMPUTE_PGM_RSRC2:USER_SGPR: 2
; COMPUTE_PGM_RSRC2:TRAP_HANDLER: 0
; COMPUTE_PGM_RSRC2:TGID_X_EN: 1
; COMPUTE_PGM_RSRC2:TGID_Y_EN: 1
; COMPUTE_PGM_RSRC2:TGID_Z_EN: 0
; COMPUTE_PGM_RSRC2:TIDIG_COMP_CNT: 0
; COMPUTE_PGM_RSRC3_GFX90A:ACCUM_OFFSET: 46
; COMPUTE_PGM_RSRC3_GFX90A:TG_SPLIT: 0
	.section	.text._ZN12_GLOBAL__N_139chunk_gated_delta_rule_fwd_h_hip_kernelILi64ELb1ELb0ELb1ELb0ELb0ELb0ELb1ELb1EEEvPK12hip_bfloat16S3_S3_PKfS5_PKvPS1_S8_PvPKiSB_iiiiilll,"axG",@progbits,_ZN12_GLOBAL__N_139chunk_gated_delta_rule_fwd_h_hip_kernelILi64ELb1ELb0ELb1ELb0ELb0ELb0ELb1ELb1EEEvPK12hip_bfloat16S3_S3_PKfS5_PKvPS1_S8_PvPKiSB_iiiiilll,comdat
	.globl	_ZN12_GLOBAL__N_139chunk_gated_delta_rule_fwd_h_hip_kernelILi64ELb1ELb0ELb1ELb0ELb0ELb0ELb1ELb1EEEvPK12hip_bfloat16S3_S3_PKfS5_PKvPS1_S8_PvPKiSB_iiiiilll ; -- Begin function _ZN12_GLOBAL__N_139chunk_gated_delta_rule_fwd_h_hip_kernelILi64ELb1ELb0ELb1ELb0ELb0ELb0ELb1ELb1EEEvPK12hip_bfloat16S3_S3_PKfS5_PKvPS1_S8_PvPKiSB_iiiiilll
	.p2align	8
	.type	_ZN12_GLOBAL__N_139chunk_gated_delta_rule_fwd_h_hip_kernelILi64ELb1ELb0ELb1ELb0ELb0ELb0ELb1ELb1EEEvPK12hip_bfloat16S3_S3_PKfS5_PKvPS1_S8_PvPKiSB_iiiiilll,@function
_ZN12_GLOBAL__N_139chunk_gated_delta_rule_fwd_h_hip_kernelILi64ELb1ELb0ELb1ELb0ELb0ELb0ELb1ELb1EEEvPK12hip_bfloat16S3_S3_PKfS5_PKvPS1_S8_PvPKiSB_iiiiilll: ; @_ZN12_GLOBAL__N_139chunk_gated_delta_rule_fwd_h_hip_kernelILi64ELb1ELb0ELb1ELb0ELb0ELb0ELb1ELb1EEEvPK12hip_bfloat16S3_S3_PKfS5_PKvPS1_S8_PvPKiSB_iiiiilll
; %bb.0:
	s_load_dwordx4 s[12:15], s[0:1], 0x5c
	s_load_dwordx4 s[20:23], s[0:1], 0x70
	s_abs_i32 s6, s3
	s_ashr_i32 s5, s3, 31
	s_load_dwordx4 s[16:19], s[0:1], 0x28
	s_load_dwordx2 s[28:29], s[0:1], 0x38
	s_waitcnt lgkmcnt(0)
	s_abs_i32 s4, s13
	v_cvt_f32_u32_e32 v1, s4
	s_sub_i32 s8, 0, s4
	s_ashr_i32 s7, s13, 31
	s_xor_b32 s5, s5, s7
	v_rcp_iflag_f32_e32 v1, v1
	v_and_b32_e32 v79, 15, v0
	v_lshrrev_b32_e32 v77, 6, v0
	v_bfe_u32 v78, v0, 4, 2
	v_mul_f32_e32 v1, 0x4f7ffffe, v1
	v_cvt_u32_f32_e32 v1, v1
	v_mov_b32_e32 v7, 0
	v_and_b32_e32 v76, 63, v0
	v_lshrrev_b32_e32 v80, 3, v76
	v_readfirstlane_b32 s9, v1
	s_mul_i32 s8, s8, s9
	s_mul_hi_u32 s8, s9, s8
	s_add_i32 s9, s9, s8
	s_mul_hi_u32 s8, s6, s9
	s_mul_i32 s9, s8, s4
	s_sub_i32 s6, s6, s9
	s_add_i32 s10, s8, 1
	s_sub_i32 s9, s6, s4
	s_cmp_ge_u32 s6, s4
	s_cselect_b32 s8, s10, s8
	s_cselect_b32 s6, s9, s6
	s_add_i32 s9, s8, 1
	s_cmp_ge_u32 s6, s4
	s_cselect_b32 s6, s9, s8
	s_xor_b32 s6, s6, s5
	s_add_i32 s8, s12, 63
	s_sub_i32 s51, s6, s5
	s_ashr_i32 s9, s8, 31
	s_mul_i32 s5, s51, s13
	s_sub_i32 s48, s3, s5
	s_lshr_b32 s3, s9, 26
	s_add_i32 s8, s8, s3
	s_abs_i32 s3, s14
	v_cvt_f32_u32_e32 v1, s3
	s_ashr_i32 s50, s12, 31
	s_lshr_b32 s6, s50, 26
	s_add_i32 s6, s12, s6
	v_rcp_iflag_f32_e32 v1, v1
	s_ashr_i32 s53, s14, 31
	s_ashr_i32 s24, s8, 6
	;; [unrolled: 1-line block ×3, first 2 shown]
	v_mul_f32_e32 v1, 0x4f7ffffe, v1
	v_cvt_u32_f32_e32 v1, v1
	s_xor_b32 s6, s7, s53
	s_sub_i32 s7, 0, s3
	s_lshl_b32 s2, s2, 6
	v_readfirstlane_b32 s8, v1
	s_mul_i32 s7, s7, s8
	s_mul_hi_u32 s7, s8, s7
	s_add_i32 s8, s8, s7
	s_mul_hi_u32 s7, s4, s8
	s_mul_i32 s8, s7, s3
	s_sub_i32 s4, s4, s8
	s_add_i32 s8, s7, 1
	s_sub_i32 s9, s4, s3
	s_cmp_ge_u32 s4, s3
	s_cselect_b32 s7, s8, s7
	s_cselect_b32 s4, s9, s4
	s_add_i32 s8, s7, 1
	s_cmp_ge_u32 s4, s3
	s_cselect_b32 s3, s8, s7
	s_xor_b32 s3, s3, s6
	s_sub_i32 s3, s3, s6
	s_abs_i32 s4, s3
	v_cvt_f32_u32_e32 v1, s4
	s_sub_i32 s7, 0, s4
	s_abs_i32 s6, s48
	s_xor_b32 s3, s48, s3
	v_rcp_iflag_f32_e32 v1, v1
	s_ashr_i32 s3, s3, 31
	v_or_b32_e32 v34, s2, v79
	v_lshlrev_b32_e32 v2, 7, v34
	v_mul_f32_e32 v1, 0x4f7ffffe, v1
	v_cvt_u32_f32_e32 v1, v1
	v_or_b32_e32 v10, 0x800, v2
	v_ashrrev_i32_e32 v3, 31, v2
	v_ashrrev_i32_e32 v11, 31, v10
	v_readfirstlane_b32 s8, v1
	s_mul_i32 s7, s7, s8
	s_mul_hi_u32 s7, s8, s7
	s_add_i32 s8, s8, s7
	s_mul_hi_u32 s7, s6, s8
	s_mul_i32 s8, s7, s4
	s_sub_i32 s6, s6, s8
	s_add_i32 s8, s7, 1
	s_sub_i32 s9, s6, s4
	s_cmp_ge_u32 s6, s4
	s_cselect_b32 s7, s8, s7
	s_cselect_b32 s6, s9, s6
	s_add_i32 s8, s7, 1
	s_cmp_ge_u32 s6, s4
	s_cselect_b32 s4, s8, s7
	s_xor_b32 s4, s4, s3
	s_sub_i32 s54, s4, s3
	s_ashr_i32 s3, s51, 31
	s_ashr_i32 s49, s48, 31
	s_mul_hi_i32 s4, s51, s13
	s_add_u32 s38, s5, s48
	s_addc_u32 s39, s4, s49
	s_lshl_b64 s[4:5], s[38:39], 15
	v_lshlrev_b32_e32 v1, 4, v77
	s_add_u32 s4, s16, s4
	v_lshl_or_b32 v82, v78, 2, v1
	s_addc_u32 s5, s17, s5
	v_lshl_add_u64 v[4:5], v[2:3], 1, s[4:5]
	v_lshlrev_b32_e32 v6, 1, v82
	v_lshl_add_u64 v[10:11], v[10:11], 1, s[4:5]
	v_lshl_add_u64 v[4:5], v[4:5], 0, v[6:7]
	;; [unrolled: 1-line block ×3, first 2 shown]
	global_load_dwordx2 v[8:9], v[4:5], off
	v_or_b32_e32 v83, 64, v82
	global_load_dwordx2 v[4:5], v[4:5], off offset:128
	s_nop 0
	global_load_dwordx2 v[12:13], v[10:11], off
	global_load_dwordx2 v[14:15], v[10:11], off offset:128
	v_or_b32_e32 v10, 0x1000, v2
	v_or_b32_e32 v2, 0x1800, v2
	v_ashrrev_i32_e32 v11, 31, v10
	v_ashrrev_i32_e32 v3, 31, v2
	v_lshl_add_u64 v[10:11], v[10:11], 1, s[4:5]
	v_lshl_add_u64 v[2:3], v[2:3], 1, s[4:5]
	;; [unrolled: 1-line block ×4, first 2 shown]
	global_load_dwordx2 v[16:17], v[10:11], off
	s_mul_i32 s55, s51, s24
	global_load_dwordx2 v[10:11], v[10:11], off offset:128
	s_nop 0
	global_load_dwordx2 v[6:7], v[2:3], off
	global_load_dwordx2 v[18:19], v[2:3], off offset:128
	s_load_dwordx8 s[4:11], s[0:1], 0x0
	s_load_dwordx2 s[30:31], s[0:1], 0x80
	s_cmp_lt_i32 s12, 64
	v_lshlrev_b32_e32 v81, 3, v0
	s_mul_i32 s56, s39, s12
	s_mul_hi_u32 s57, s38, s12
	s_mul_i32 s16, s38, s12
	s_mul_i32 s33, s51, s21
	s_mul_hi_u32 s44, s51, s20
	s_mul_i32 s39, s3, s20
	s_mul_i32 s36, s51, s20
	;; [unrolled: 1-line block ×3, first 2 shown]
	s_mul_hi_u32 s46, s48, s22
	s_mul_i32 s47, s49, s22
	s_mul_i32 s34, s48, s22
	s_waitcnt vmcnt(7)
	v_and_b32_e32 v63, 0xffff0000, v8
	v_lshlrev_b32_e32 v62, 16, v8
	v_and_b32_e32 v67, 0xffff0000, v9
	v_lshlrev_b32_e32 v66, 16, v9
	s_waitcnt vmcnt(6)
	v_and_b32_e32 v61, 0xffff0000, v4
	v_lshlrev_b32_e32 v60, 16, v4
	v_and_b32_e32 v65, 0xffff0000, v5
	v_lshlrev_b32_e32 v64, 16, v5
	;; [unrolled: 5-line block ×8, first 2 shown]
	s_cbranch_scc1 .LBB107_18
; %bb.1:
	s_add_i32 s17, s57, s56
	s_lshl_b64 s[0:1], s[16:17], 8
	v_and_b32_e32 v85, 56, v81
	s_waitcnt lgkmcnt(0)
	s_add_u32 s20, s6, s0
	v_lshl_or_b32 v84, v77, 3, v80
	v_lshlrev_b32_e32 v2, 1, v85
	s_addc_u32 s0, s7, s1
	v_lshl_or_b32 v86, v84, 8, v2
	s_and_b32 s21, s0, 0xffff
	s_mov_b32 s23, 0x20000
	s_movk_i32 s22, 0x4000
	s_movk_i32 s0, 0x80
	v_or_b32_e32 v87, 0x2000, v86
	buffer_load_dwordx4 v[4:7], v86, s[20:23], 0 offen
	buffer_load_dwordx4 v[8:11], v86, s[20:23], s0 offen
	;; [unrolled: 1-line block ×4, first 2 shown]
	v_lshlrev_b32_e32 v3, 3, v84
	v_and_or_b32 v21, v0, 7, v3
	v_and_b32_e32 v3, 0x78, v3
	v_lshlrev_b32_e32 v21, 4, v21
	v_xor_b32_e32 v88, v21, v3
	v_mul_lo_u32 v20, v84, s15
	v_or_b32_e32 v89, 0x1000, v88
	v_xor_b32_e32 v3, 8, v88
	s_cmpk_eq_i32 s15, 0x80
	s_mov_b32 s58, s14
	v_xor_b32_e32 v21, 8, v89
	s_cselect_b64 s[0:1], -1, 0
	s_cmpk_lg_i32 s15, 0x80
	s_waitcnt vmcnt(3)
	ds_write_b64 v88, v[4:5] offset:49152
	ds_write_b64 v3, v[6:7] offset:49152
	s_waitcnt vmcnt(2)
	ds_write_b64 v88, v[8:9] offset:57344
	ds_write_b64 v3, v[10:11] offset:57344
	;; [unrolled: 3-line block ×4, first 2 shown]
	v_lshl_add_u32 v3, v20, 1, v85
	s_cbranch_scc0 .LBB107_3
; %bb.2:
	v_lshlrev_b32_e32 v5, 1, v3
	v_add_lshl_u32 v4, v3, s15, 1
	s_lshl_b32 s22, s15, 7
	v_lshl_or_b32 v2, v84, 9, v2
	s_cbranch_execz .LBB107_4
	s_branch .LBB107_5
.LBB107_3:
                                        ; implicit-def: $vgpr4
                                        ; implicit-def: $vgpr5
                                        ; implicit-def: $sgpr22
	v_lshl_or_b32 v2, v84, 9, v2
.LBB107_4:
	v_or_b32_e32 v4, 0x100, v2
	s_movk_i32 s22, 0x4000
	v_mov_b32_e32 v5, v2
.LBB107_5:
	s_mul_hi_u32 s20, s14, s12
	s_mul_i32 s21, s53, s12
	s_add_i32 s20, s20, s21
	s_mul_i32 s21, s14, s12
	s_mul_i32 s23, s21, s3
	s_mul_hi_u32 s24, s21, s51
	s_add_i32 s23, s24, s23
	s_mul_i32 s20, s20, s51
	s_add_i32 s23, s23, s20
	s_mul_i32 s21, s21, s51
	s_ashr_i32 s59, s54, 31
	s_add_u32 s20, s21, s54
	s_addc_u32 s21, s23, s59
	s_lshl_b64 s[20:21], s[20:21], 8
	s_add_u32 s20, s4, s20
	s_addc_u32 s21, s5, s21
	s_and_b32 s21, s21, 0xffff
	s_mov_b32 s23, 0x20000
	s_movk_i32 s60, 0x80
	buffer_load_dwordx4 v[6:9], v5, s[20:23], 0 offen
	buffer_load_dwordx4 v[10:13], v5, s[20:23], s60 offen
	;; [unrolled: 1-line block ×4, first 2 shown]
	v_and_b32_e32 v5, 6, v0
	v_lshlrev_b32_e32 v4, 7, v82
	v_xor_b32_e32 v26, v84, v5
	v_and_b32_e32 v22, 1, v0
	v_lshl_or_b32 v29, v79, 3, v4
	v_lshlrev_b32_e32 v26, 2, v26
	v_or_b32_e32 v90, 0x4000, v29
	v_or_b32_e32 v91, 0x6000, v29
	v_xor_b32_e32 v29, 0x440, v26
	v_cmp_eq_u32_e32 vcc, 0, v22
	v_lshlrev_b32_e32 v23, 2, v79
	s_mov_b32 s62, 0x1000504
	v_cndmask_b32_e32 v22, v29, v26, vcc
	v_xor_b32_e32 v27, v82, v23
	v_xor_b32_e32 v28, v83, v23
	v_lshl_or_b32 v5, v5, 10, v22
	s_mov_b32 s63, 0x3020706
	v_lshlrev_b32_e32 v24, 8, v79
	v_or_b32_e32 v25, 16, v79
	v_lshlrev_b32_e32 v27, 1, v27
	v_lshlrev_b32_e32 v28, 1, v28
	v_xor_b32_e32 v22, 8, v5
	v_xor_b32_e32 v26, 24, v5
	;; [unrolled: 1-line block ×4, first 2 shown]
	s_mul_i32 s3, s3, s12
	s_mul_hi_u32 s20, s51, s12
	v_or_b32_e32 v93, v24, v27
	v_or_b32_e32 v94, v24, v28
	v_xor_b32_e32 v24, 16, v5
	v_xor_b32_e32 v29, 32, v5
	;; [unrolled: 1-line block ×3, first 2 shown]
	v_add_u32_e32 v22, 0x80, v22
	v_add_u32_e32 v26, 0x80, v26
	;; [unrolled: 1-line block ×4, first 2 shown]
	s_add_i32 s65, s20, s3
	s_add_i32 s3, s44, s33
	;; [unrolled: 1-line block ×5, first 2 shown]
	s_lshl_b64 s[20:21], s[36:37], 2
	s_add_u32 s3, s10, s20
	s_addc_u32 s24, s11, s21
	s_lshl_b64 s[20:21], s[34:35], 2
	s_add_u32 s40, s3, s20
	s_movk_i32 s3, 0xf8
	s_addc_u32 s41, s24, s21
	s_lshl_b32 s26, s15, 7
	s_movk_i32 s24, 0x100
	v_mov_b32_e32 v69, 0
	v_cmp_gt_u32_e32 vcc, s24, v0
	v_lshl_or_b32 v30, v25, 3, v4
	s_mov_b32 s61, 0
	s_mul_i32 s64, s51, s12
	v_or_b32_e32 v92, 0x4000, v30
	s_movk_i32 s22, 0x4000
	v_or_b32_e32 v95, 0x6000, v30
	s_movk_i32 s35, 0x2000
	s_movk_i32 s37, 0x3000
	v_mov_b32_e32 v133, 0x3fb8aa3b
	s_mov_b32 s67, 0
	s_waitcnt vmcnt(1)
	v_perm_b32 v35, v6, v14, s62
	s_waitcnt vmcnt(0)
	v_perm_b32 v68, v10, v18, s62
	v_perm_b32 v6, v6, v14, s63
	;; [unrolled: 1-line block ×15, first 2 shown]
	ds_write2st64_b32 v5, v35, v68 offset0:128 offset1:160
	ds_write2st64_b32 v22, v6, v10 offset0:128 offset1:160
	;; [unrolled: 1-line block ×8, first 2 shown]
	v_lshlrev_b32_e32 v5, 8, v25
	v_or_b32_e32 v96, v5, v27
	v_or_b32_e32 v97, v5, v28
	;; [unrolled: 1-line block ×3, first 2 shown]
	v_lshl_or_b32 v6, v5, 3, v4
	v_lshlrev_b32_e32 v5, 8, v5
	v_or_b32_e32 v100, v5, v27
	v_or_b32_e32 v101, v5, v28
	;; [unrolled: 1-line block ×5, first 2 shown]
	v_lshl_or_b32 v6, v5, 3, v4
	v_lshlrev_b32_e32 v5, 8, v5
	v_or_b32_e32 v104, v5, v27
	v_or_b32_e32 v105, v5, v28
	;; [unrolled: 1-line block ×3, first 2 shown]
	v_lshlrev_b32_e32 v5, 3, v5
	v_lshrrev_b32_e32 v7, 5, v76
	v_and_or_b32 v7, v5, s3, v7
	v_lshlrev_b32_e32 v7, 4, v7
	v_lshlrev_b32_e32 v8, 11, v77
	v_and_b32_e32 v5, 0x78, v5
	v_or_b32_e32 v13, 32, v7
	v_or_b32_e32 v102, 0x4000, v6
	;; [unrolled: 1-line block ×3, first 2 shown]
	v_and_b32_e32 v6, 0x1000, v8
	v_xor_b32_e32 v9, v7, v5
	v_lshrrev_b32_e32 v10, 1, v0
	v_xor_b32_e32 v13, v13, v5
	v_or_b32_e32 v9, v9, v6
	v_and_b32_e32 v11, 8, v10
	v_or_b32_e32 v13, v13, v6
	v_xor_b32_e32 v106, v9, v11
	v_lshlrev_b32_e32 v9, 8, v78
	v_xor_b32_e32 v108, v13, v11
	v_or_b32_e32 v13, 64, v7
	v_or_b32_e32 v7, 0x60, v7
	s_ashr_i32 s3, s2, 31
	v_or_b32_e32 v12, v9, v23
	v_xor_b32_e32 v13, v13, v5
	v_xor_b32_e32 v5, v7, v5
	s_lshl_b64 s[20:21], s[2:3], 8
	v_lshlrev_b32_e32 v12, 1, v12
	v_or_b32_e32 v13, v13, v6
	v_or_b32_e32 v5, v5, v6
	s_add_u32 s20, s18, s20
	v_lshlrev_b32_e32 v6, 1, v79
	v_or_b32_e32 v107, 0x4000, v12
	v_or_b32_e32 v109, 0x4080, v12
	;; [unrolled: 1-line block ×8, first 2 shown]
	v_lshrrev_b32_e32 v12, 4, v0
	s_addc_u32 s21, s19, s21
	v_or_b32_e32 v7, 1, v6
	v_lshlrev_b32_e32 v68, 4, v79
	v_mov_b32_e32 v16, 0xa000
	v_mov_b32_e32 v17, 0x8000
	v_xor_b32_e32 v112, v13, v11
	v_xor_b32_e32 v13, v12, v6
	v_xor_b32_e32 v14, v7, v12
	v_lshl_add_u64 v[6:7], s[20:21], 0, v[68:69]
	v_lshlrev_b32_e32 v68, 8, v12
	v_cndmask_b32_e32 v16, v16, v17, vcc
	v_lshlrev_b32_e32 v17, 3, v77
	v_and_b32_e32 v10, 24, v10
	v_lshl_or_b32 v118, v13, 3, v68
	v_and_b32_e32 v13, 8, v0
	v_xor_b32_e32 v18, v17, v10
	v_or_b32_e32 v19, 0x440, v18
	v_cmp_eq_u32_e32 vcc, 0, v13
	v_and_b32_e32 v12, 7, v0
	v_lshl_or_b32 v119, v14, 3, v68
	v_cndmask_b32_e32 v13, v19, v18, vcc
	v_lshlrev_b32_e32 v14, 3, v12
	v_lshlrev_b32_e32 v12, 7, v12
	v_or_b32_e32 v13, v13, v8
	v_lshlrev_b32_e32 v15, 2, v0
	v_xad_u32 v120, v13, v14, v12
	v_or_b32_e32 v13, 32, v10
	v_and_or_b32 v9, v15, 60, v9
	v_xor_b32_e32 v13, v17, v13
	v_lshlrev_b32_e32 v9, 1, v9
	v_or_b32_e32 v15, 0x440, v13
	v_or_b32_e32 v121, 0x6000, v9
	v_cndmask_b32_e32 v13, v15, v13, vcc
	v_or_b32_e32 v123, 0x6080, v9
	v_or_b32_e32 v124, 0x6100, v9
	;; [unrolled: 1-line block ×5, first 2 shown]
	v_xor_b32_e32 v9, v17, v9
	v_xad_u32 v122, v13, v14, v12
	v_xor_b32_e32 v13, 0x440, v9
	v_cndmask_b32_e32 v9, v13, v9, vcc
	v_or_b32_e32 v9, v9, v8
	v_xad_u32 v126, v9, v14, v12
	v_or_b32_e32 v9, 0x60, v10
	v_xor_b32_e32 v9, v17, v9
	v_xor_b32_e32 v10, 0x440, v9
	v_cndmask_b32_e32 v9, v10, v9, vcc
	v_xor_b32_e32 v113, v5, v11
	v_ashrrev_i32_e32 v35, 31, v34
	v_lshlrev_b32_e32 v5, 1, v3
	v_add_lshl_u32 v3, v3, s15, 1
	v_or_b32_e32 v11, 0x100, v2
	v_or_b32_e32 v8, v9, v8
	v_xad_u32 v127, v8, v14, v12
	v_cndmask_b32_e64 v128, v5, v2, s[0:1]
	v_cndmask_b32_e64 v129, v3, v11, s[0:1]
	v_lshlrev_b64 v[2:3], 1, v[34:35]
	v_lshl_add_u64 v[70:71], s[8:9], 0, v[2:3]
	v_lshl_add_u64 v[72:73], s[28:29], 0, v[2:3]
	;; [unrolled: 1-line block ×3, first 2 shown]
	s_mov_b32 s3, 0x7060302
	v_lshlrev_b32_e32 v68, 1, v4
	v_add_u32_e32 v35, v16, v120
	v_add_u32_e32 v130, v16, v122
	;; [unrolled: 1-line block ×4, first 2 shown]
	s_waitcnt lgkmcnt(0)
	s_barrier
.LBB107_6:                              ; =>This Inner Loop Header: Depth=1
	s_add_i32 s66, s67, 1
	s_cmp_lt_i32 s66, s52
	s_mov_b64 s[24:25], 0
	s_cselect_b64 s[42:43], -1, 0
	s_cmp_ge_i32 s66, s52
	s_mov_b64 s[20:21], 0
	s_cbranch_scc1 .LBB107_8
; %bb.7:                                ;   in Loop: Header=BB107_6 Depth=1
	s_add_i32 s0, s61, 64
	s_add_u32 s0, s16, s0
	s_addc_u32 s1, s17, 0
	s_lshl_b64 s[0:1], s[0:1], 8
	s_add_u32 s20, s6, s0
	s_addc_u32 s21, s7, s1
.LBB107_8:                              ;   in Loop: Header=BB107_6 Depth=1
	v_cndmask_b32_e64 v2, 0, 1, s[42:43]
	v_cmp_ne_u32_e64 s[0:1], 1, v2
	s_andn2_b64 vcc, exec, s[42:43]
	s_cbranch_vccnz .LBB107_10
; %bb.9:                                ;   in Loop: Header=BB107_6 Depth=1
	s_add_i32 s24, s61, 64
	s_add_u32 s24, s64, s24
	s_addc_u32 s25, s65, 0
	s_mul_i32 s27, s24, s53
	s_mul_hi_u32 s42, s24, s58
	s_add_i32 s27, s42, s27
	s_mul_i32 s25, s25, s58
	s_add_i32 s27, s27, s25
	s_mul_i32 s24, s24, s58
	s_add_u32 s24, s24, s54
	s_addc_u32 s25, s27, s59
	s_lshl_b64 s[24:25], s[24:25], 8
	s_add_u32 s24, s4, s24
	s_addc_u32 s25, s5, s25
.LBB107_10:                             ;   in Loop: Header=BB107_6 Depth=1
	v_perm_b32 v3, v67, v66, s3
	v_perm_b32 v2, v63, v62, s3
	v_perm_b32 v5, v65, v64, s3
	v_perm_b32 v4, v61, v60, s3
	ds_write_b64 v90, v[2:3]
	ds_write_b64 v91, v[4:5]
	ds_write_b64 v93, v[2:3]
	ds_write_b64 v94, v[4:5]
	v_perm_b32 v3, v59, v58, s3
	v_perm_b32 v2, v55, v54, s3
	v_perm_b32 v5, v57, v56, s3
	v_perm_b32 v4, v53, v52, s3
	ds_write_b64 v92, v[2:3]
	ds_write_b64 v95, v[4:5]
	ds_write_b64 v96, v[2:3]
	ds_write_b64 v97, v[4:5]
	;; [unrolled: 8-line block ×4, first 2 shown]
	s_waitcnt lgkmcnt(0)
	s_barrier
	ds_read_b64 v[6:7], v106 offset:49152
	ds_read2_b64 v[2:5], v107 offset1:16
	ds_read_b64 v[18:19], v109 offset:6144
	ds_read_b64 v[20:21], v107 offset:6144
	s_waitcnt lgkmcnt(2)
	v_mfma_f32_16x16x16_bf16 a[0:3], v[6:7], v[2:3], 0
	ds_read_b64 v[22:23], v108 offset:49152
	ds_read2st64_b64 v[10:13], v110 offset0:4 offset1:8
	ds_read2st64_b64 v[14:17], v111 offset0:4 offset1:8
	v_mfma_f32_16x16x16_bf16 a[4:7], v[6:7], v[4:5], 0
	ds_read2_b64 v[2:5], v107 offset0:32 offset1:48
	s_add_i32 s27, s61, 63
	s_mul_i32 s42, s27, s31
	s_waitcnt lgkmcnt(0)
	v_mfma_f32_16x16x16_bf16 a[8:11], v[6:7], v[2:3], 0
	s_mul_hi_u32 s43, s27, s30
	s_add_i32 s43, s43, s42
	s_mul_i32 s42, s27, s30
	v_mfma_f32_16x16x16_bf16 a[12:15], v[6:7], v[4:5], 0
	ds_read2st64_b64 v[2:5], v107 offset0:4 offset1:8
	ds_read2st64_b64 v[6:9], v109 offset0:4 offset1:8
	s_lshl_b64 s[42:43], s[42:43], 2
	s_waitcnt lgkmcnt(1)
	v_mfma_f32_16x16x16_bf16 a[0:3], v[22:23], v[2:3], a[0:3]
	s_add_u32 s42, s40, s42
	s_addc_u32 s43, s41, s43
	s_and_b64 vcc, exec, s[0:1]
	s_waitcnt lgkmcnt(0)
	v_mfma_f32_16x16x16_bf16 a[4:7], v[22:23], v[6:7], a[4:7]
	v_mov_b32_e32 v136, 0
	v_mov_b32_e32 v135, 0
	;; [unrolled: 1-line block ×3, first 2 shown]
	v_mfma_f32_16x16x16_bf16 a[8:11], v[22:23], v[10:11], a[8:11]
	ds_read_b64 v[2:3], v112 offset:49152
	ds_read_b64 v[6:7], v113 offset:49152
	;; [unrolled: 1-line block ×3, first 2 shown]
	v_mfma_f32_16x16x16_bf16 a[12:15], v[22:23], v[14:15], a[12:15]
	v_mov_b32_e32 v14, 0
	v_mov_b32_e32 v15, 0
	s_waitcnt lgkmcnt(2)
	v_mfma_f32_16x16x16_bf16 a[0:3], v[2:3], v[4:5], a[0:3]
	v_mov_b32_e32 v4, 0
	v_mov_b32_e32 v5, 0
	v_mfma_f32_16x16x16_bf16 a[4:7], v[2:3], v[8:9], a[4:7]
	v_mov_b32_e32 v8, 0
	v_mov_b32_e32 v9, 0
	;; [unrolled: 3-line block ×3, first 2 shown]
	v_mfma_f32_16x16x16_bf16 a[12:15], v[2:3], v[16:17], a[12:15]
	ds_read_b64 v[2:3], v110 offset:6144
	v_mov_b32_e32 v16, 0
	v_mov_b32_e32 v17, 0
	s_waitcnt lgkmcnt(2)
	v_mfma_f32_16x16x16_bf16 a[0:3], v[6:7], v[20:21], a[0:3]
	v_mfma_f32_16x16x16_bf16 a[4:7], v[6:7], v[18:19], a[4:7]
	s_waitcnt lgkmcnt(0)
	v_mfma_f32_16x16x16_bf16 a[8:11], v[6:7], v[2:3], a[8:11]
	v_mov_b32_e32 v2, 0
	v_mov_b32_e32 v3, 0
	v_mfma_f32_16x16x16_bf16 a[12:15], v[6:7], v[10:11], a[12:15]
	v_mov_b32_e32 v6, 0
	v_mov_b32_e32 v7, 0
	v_mov_b32_e32 v10, 0
	v_mov_b32_e32 v11, 0
	s_cbranch_vccnz .LBB107_12
; %bb.11:                               ;   in Loop: Header=BB107_6 Depth=1
	s_and_b32 s21, s21, 0xffff
	buffer_load_dwordx4 v[14:17], v86, s[20:23], 0 offen
	buffer_load_dwordx4 v[10:13], v86, s[20:23], s60 offen
	;; [unrolled: 1-line block ×4, first 2 shown]
	v_mov_b32_e32 v135, v88
	v_mov_b32_e32 v134, v89
.LBB107_12:                             ;   in Loop: Header=BB107_6 Depth=1
	ds_read_b64 v[142:143], v106 offset:57344
	ds_read2_b64 v[18:21], v114 offset1:16
	ds_read_b64 v[144:145], v108 offset:57344
	ds_read_b64 v[146:147], v112 offset:57344
	;; [unrolled: 1-line block ×3, first 2 shown]
	v_add_u32_e32 v137, s61, v82
	s_waitcnt lgkmcnt(3)
	v_mfma_f32_16x16x16_bf16 a[0:3], v[142:143], v[18:19], a[0:3]
	v_mfma_f32_16x16x16_bf16 a[4:7], v[142:143], v[20:21], a[4:7]
	ds_read2_b64 v[18:21], v114 offset0:32 offset1:48
	ds_read2st64_b64 v[22:25], v114 offset0:4 offset1:8
	ds_read2st64_b64 v[26:29], v115 offset0:4 offset1:8
	;; [unrolled: 1-line block ×4, first 2 shown]
	s_waitcnt lgkmcnt(4)
	v_mfma_f32_16x16x16_bf16 a[8:11], v[142:143], v[18:19], a[8:11]
	v_ashrrev_i32_e32 v18, 31, v137
	v_mfma_f32_16x16x16_bf16 a[12:15], v[142:143], v[20:21], a[12:15]
	v_mul_lo_u32 v20, v18, s30
	v_mul_lo_u32 v21, v137, s31
	v_mad_u64_u32 v[18:19], s[20:21], v137, s30, 0
	v_add3_u32 v19, v19, v21, v20
	v_add_u32_e32 v20, 1, v137
	v_ashrrev_i32_e32 v21, 31, v20
	s_waitcnt lgkmcnt(3)
	v_mfma_f32_16x16x16_bf16 a[0:3], v[144:145], v[22:23], a[0:3]
	v_mul_lo_u32 v22, v21, s30
	v_mul_lo_u32 v23, v20, s31
	v_mad_u64_u32 v[20:21], s[20:21], v20, s30, 0
	v_add3_u32 v21, v21, v23, v22
	v_add_u32_e32 v22, 2, v137
	v_ashrrev_i32_e32 v23, 31, v22
	s_waitcnt lgkmcnt(2)
	v_mfma_f32_16x16x16_bf16 a[4:7], v[144:145], v[26:27], a[4:7]
	v_mul_lo_u32 v26, v23, s30
	v_mul_lo_u32 v27, v22, s31
	v_mad_u64_u32 v[22:23], s[20:21], v22, s30, 0
	v_add3_u32 v23, v23, v27, v26
	v_add_u32_e32 v26, 3, v137
	v_lshl_add_u64 v[18:19], v[18:19], 2, s[40:41]
	v_lshl_add_u64 v[20:21], v[20:21], 2, s[40:41]
	v_ashrrev_i32_e32 v27, 31, v26
	s_waitcnt lgkmcnt(1)
	v_mfma_f32_16x16x16_bf16 a[8:11], v[144:145], v[30:31], a[8:11]
	v_mul_lo_u32 v27, v27, s30
	global_load_dword v30, v[18:19], off
	global_load_dword v137, v[20:21], off
	v_mul_lo_u32 v31, v26, s31
	v_mad_u64_u32 v[18:19], s[20:21], v26, s30, 0
	v_add3_u32 v19, v19, v31, v27
	s_add_u32 s20, s16, s61
	v_lshl_add_u64 v[22:23], v[22:23], 2, s[40:41]
	v_lshl_add_u64 v[18:19], v[18:19], 2, s[40:41]
	s_addc_u32 s21, s17, 0
	s_waitcnt lgkmcnt(0)
	v_mfma_f32_16x16x16_bf16 a[12:15], v[144:145], v[138:139], a[12:15]
	global_load_dword v31, v[22:23], off
	global_load_dword v138, v[18:19], off
	s_lshl_b64 s[20:21], s[20:21], 8
	v_lshl_add_u64 v[18:19], v[70:71], 0, s[20:21]
	v_lshl_add_u64 v[18:19], v[18:19], 0, v[68:69]
	global_load_ushort v139, v[18:19], off offset:256
	global_load_ushort v142, v[18:19], off
	global_load_ushort v143, v[18:19], off offset:768
	global_load_ushort v144, v[18:19], off offset:512
	;; [unrolled: 1-line block ×6, first 2 shown]
	s_load_dword s42, s[42:43], 0x0
	v_mfma_f32_16x16x16_bf16 a[12:15], v[146:147], v[140:141], a[12:15]
	global_load_ushort v140, v[18:19], off offset:320
	global_load_ushort v141, v[18:19], off offset:64
	s_and_b64 vcc, exec, s[0:1]
	v_mfma_f32_16x16x16_bf16 a[0:3], v[146:147], v[24:25], a[0:3]
	ds_read_b64 v[20:21], v114 offset:6144
	ds_read_b64 v[22:23], v115 offset:6144
	;; [unrolled: 1-line block ×4, first 2 shown]
	v_mfma_f32_16x16x16_bf16 a[4:7], v[146:147], v[28:29], a[4:7]
	s_waitcnt vmcnt(11) lgkmcnt(0)
	v_sub_f32_e32 v28, s42, v31
	v_mfma_f32_16x16x16_bf16 a[8:11], v[146:147], v[32:33], a[8:11]
	global_load_ushort v146, v[18:19], off offset:832
	global_load_ushort v147, v[18:19], off offset:576
	;; [unrolled: 1-line block ×6, first 2 shown]
	v_mfma_f32_16x16x16_bf16 a[0:3], v[148:149], v[20:21], a[0:3]
	s_waitcnt vmcnt(16)
	v_sub_f32_e32 v29, s42, v138
	v_mul_f32_e32 v28, 0x3fb8aa3b, v28
	v_mul_f32_e32 v29, 0x3fb8aa3b, v29
	v_exp_f32_e32 v28, v28
	v_exp_f32_e32 v29, v29
	s_waitcnt vmcnt(15)
	v_lshlrev_b32_e32 v33, 16, v139
	s_waitcnt vmcnt(14)
	v_lshlrev_b32_e32 v32, 16, v142
	v_accvgpr_read_b32 v21, a3
	v_accvgpr_read_b32 v20, a2
	v_mfma_f32_16x16x16_bf16 a[2:5], v[148:149], v[22:23], a[4:7]
	v_accvgpr_read_b32 v139, a1
	v_accvgpr_read_b32 v138, a0
	v_pk_add_f32 v[32:33], v[32:33], v[138:139] neg_lo:[0,1] neg_hi:[0,1]
	v_mfma_f32_16x16x16_bf16 a[6:9], v[148:149], v[24:25], a[8:11]
	s_waitcnt vmcnt(13)
	v_lshlrev_b32_e32 v139, 16, v143
	s_waitcnt vmcnt(12)
	v_lshlrev_b32_e32 v138, 16, v144
	v_pk_add_f32 v[20:21], v[138:139], v[20:21] neg_lo:[0,1] neg_hi:[0,1]
	v_accvgpr_read_b32 v139, a3
	v_accvgpr_read_b32 v138, a2
	;; [unrolled: 1-line block ×6, first 2 shown]
	v_mfma_f32_16x16x16_bf16 a[8:11], v[148:149], v[26:27], a[12:15]
	v_sub_f32_e32 v26, s42, v30
	v_sub_f32_e32 v27, s42, v137
	v_mul_f32_e32 v26, 0x3fb8aa3b, v26
	v_mul_f32_e32 v27, 0x3fb8aa3b, v27
	v_exp_f32_e32 v26, v26
	v_exp_f32_e32 v27, v27
	v_lshl_add_u64 v[30:31], v[72:73], 0, s[20:21]
	v_lshl_add_u64 v[30:31], v[30:31], 0, v[68:69]
	global_store_short_d16_hi v[30:31], v32, off
	global_store_short_d16_hi v[30:31], v33, off offset:256
	global_store_short_d16_hi v[30:31], v20, off offset:512
	;; [unrolled: 1-line block ×3, first 2 shown]
	v_pk_mul_f32 v[32:33], v[26:27], v[32:33]
	v_pk_mul_f32 v[20:21], v[28:29], v[20:21]
	v_accvgpr_read_b32 v25, a11
	v_perm_b32 v21, v21, v20, s3
	v_perm_b32 v20, v33, v32, s3
	s_waitcnt vmcnt(15)
	v_lshlrev_b32_e32 v33, 16, v145
	s_waitcnt vmcnt(14)
	v_lshlrev_b32_e32 v32, 16, v150
	v_pk_add_f32 v[32:33], v[32:33], v[138:139] neg_lo:[0,1] neg_hi:[0,1]
	s_waitcnt vmcnt(13)
	v_lshlrev_b32_e32 v139, 16, v151
	s_waitcnt vmcnt(12)
	v_lshlrev_b32_e32 v138, 16, v152
	v_pk_add_f32 v[22:23], v[138:139], v[22:23] neg_lo:[0,1] neg_hi:[0,1]
	global_store_short_d16_hi v[30:31], v32, off offset:32
	global_store_short_d16_hi v[30:31], v33, off offset:288
	;; [unrolled: 1-line block ×4, first 2 shown]
	v_pk_mul_f32 v[32:33], v[26:27], v[32:33]
	v_pk_mul_f32 v[22:23], v[28:29], v[22:23]
	v_accvgpr_read_b32 v24, a10
	v_perm_b32 v23, v23, v22, s3
	v_perm_b32 v22, v33, v32, s3
	ds_write2_b64 v91, v[20:21], v[22:23] offset1:16
	v_accvgpr_read_b32 v23, a7
	s_waitcnt vmcnt(15)
	v_lshlrev_b32_e32 v21, 16, v140
	s_waitcnt vmcnt(14)
	v_lshlrev_b32_e32 v20, 16, v141
	v_accvgpr_read_b32 v22, a6
	v_pk_add_f32 v[20:21], v[20:21], v[22:23] neg_lo:[0,1] neg_hi:[0,1]
	global_store_short_d16_hi v[30:31], v20, off offset:64
	global_store_short_d16_hi v[30:31], v21, off offset:320
	v_pk_mul_f32 v[20:21], v[26:27], v[20:21]
	v_mov_b32_e32 v137, 0
	v_perm_b32 v20, v21, v20, s3
	v_mov_b32_e32 v32, 0
	v_mov_b32_e32 v33, 0
	s_waitcnt vmcnt(15)
	v_lshlrev_b32_e32 v23, 16, v146
	s_waitcnt vmcnt(14)
	v_lshlrev_b32_e32 v22, 16, v147
	v_pk_add_f32 v[18:19], v[22:23], v[18:19] neg_lo:[0,1] neg_hi:[0,1]
	global_store_short_d16_hi v[30:31], v18, off offset:576
	global_store_short_d16_hi v[30:31], v19, off offset:832
	v_pk_mul_f32 v[18:19], v[28:29], v[18:19]
	v_accvgpr_read_b32 v23, a9
	v_perm_b32 v21, v19, v18, s3
	s_waitcnt vmcnt(15)
	v_lshlrev_b32_e32 v19, 16, v153
	s_waitcnt vmcnt(14)
	v_lshlrev_b32_e32 v18, 16, v154
	v_accvgpr_read_b32 v22, a8
	v_pk_add_f32 v[18:19], v[18:19], v[22:23] neg_lo:[0,1] neg_hi:[0,1]
	s_waitcnt vmcnt(13)
	v_lshlrev_b32_e32 v23, 16, v155
	s_waitcnt vmcnt(12)
	v_lshlrev_b32_e32 v22, 16, v156
	v_pk_add_f32 v[22:23], v[22:23], v[24:25] neg_lo:[0,1] neg_hi:[0,1]
	global_store_short_d16_hi v[30:31], v18, off offset:96
	global_store_short_d16_hi v[30:31], v19, off offset:352
	global_store_short_d16_hi v[30:31], v22, off offset:608
	global_store_short_d16_hi v[30:31], v23, off offset:864
	v_pk_mul_f32 v[18:19], v[26:27], v[18:19]
	v_pk_mul_f32 v[22:23], v[28:29], v[22:23]
	v_mov_b32_e32 v24, 0
	v_perm_b32 v23, v23, v22, s3
	v_perm_b32 v22, v19, v18, s3
	ds_write2_b64 v91, v[20:21], v[22:23] offset0:32 offset1:48
	v_mov_b32_e32 v18, 0
	v_mov_b32_e32 v19, 0
	;; [unrolled: 1-line block ×13, first 2 shown]
	s_cbranch_vccnz .LBB107_14
; %bb.13:                               ;   in Loop: Header=BB107_6 Depth=1
	s_and_b32 s25, s25, 0xffff
	s_mov_b32 s27, s23
	buffer_load_dwordx4 v[30:33], v128, s[24:27], 0 offen
	buffer_load_dwordx4 v[22:25], v128, s[24:27], s60 offen
	;; [unrolled: 1-line block ×4, first 2 shown]
	v_mov_b32_e32 v136, v85
	v_mov_b32_e32 v137, v84
.LBB107_14:                             ;   in Loop: Header=BB107_6 Depth=1
	s_waitcnt lgkmcnt(0)
	s_barrier
	ds_read_b64 v[146:147], v35
	ds_read2_b64 v[138:141], v121 offset1:16
	ds_read_b64 v[162:163], v130
	ds_read_b64 v[164:165], v131
	;; [unrolled: 1-line block ×3, first 2 shown]
	ds_read2_b64 v[142:145], v121 offset0:32 offset1:48
	s_waitcnt lgkmcnt(4)
	v_mfma_f32_16x16x16_bf16 a[0:3], v[146:147], v[138:139], 0
	ds_read2st64_b64 v[150:153], v123 offset0:4 offset1:8
	ds_read2st64_b64 v[154:157], v124 offset0:4 offset1:8
	;; [unrolled: 1-line block ×3, first 2 shown]
	v_mfma_f32_16x16x16_bf16 a[4:7], v[146:147], v[140:141], 0
	s_add_i32 s20, s55, s67
	s_mul_hi_i32 s21, s20, s13
	s_mul_i32 s20, s20, s13
	s_waitcnt lgkmcnt(3)
	v_mfma_f32_16x16x16_bf16 a[8:11], v[146:147], v[142:143], 0
	s_add_u32 s20, s20, s48
	s_addc_u32 s21, s21, s49
	s_lshl_b64 s[20:21], s[20:21], 15
	v_mfma_f32_16x16x16_bf16 a[12:15], v[146:147], v[144:145], 0
	ds_read2st64_b64 v[146:149], v121 offset0:4 offset1:8
	s_waitcnt lgkmcnt(0)
	v_mfma_f32_16x16x16_bf16 a[0:3], v[162:163], v[146:147], a[0:3]
	v_mfma_f32_16x16x16_bf16 a[4:7], v[162:163], v[150:151], a[4:7]
	;; [unrolled: 1-line block ×8, first 2 shown]
	ds_read_b64 v[162:163], v121 offset:6144
	ds_read_b64 v[164:165], v122 offset:40960
	;; [unrolled: 1-line block ×8, first 2 shown]
	s_waitcnt lgkmcnt(5)
	v_mfma_f32_16x16x16_bf16 a[16:19], v[168:169], v[138:139], 0
	v_mfma_f32_16x16x16_bf16 a[20:23], v[168:169], v[140:141], 0
	ds_read2st64_b64 v[138:141], v118 offset1:8
	v_mfma_f32_16x16x16_bf16 a[24:27], v[168:169], v[142:143], 0
	v_mfma_f32_16x16x16_bf16 a[28:31], v[168:169], v[144:145], 0
	ds_read2st64_b64 v[142:145], v119 offset1:8
	v_mfma_f32_16x16x16_bf16 a[16:19], v[164:165], v[146:147], a[16:19]
	s_waitcnt lgkmcnt(1)
	v_mov_b32_e32 v146, v138
	v_mov_b32_e32 v147, v139
	v_mfma_f32_16x16x16_bf16 a[20:23], v[164:165], v[150:151], a[20:23]
	v_lshl_add_u64 v[150:151], v[74:75], 0, s[20:21]
	v_mfma_f32_16x16x16_bf16 a[24:27], v[164:165], v[154:155], a[24:27]
	v_mfma_f32_16x16x16_bf16 a[28:31], v[164:165], v[158:159], a[28:31]
	v_mfma_f32_16x16x16_bf16 a[16:19], v[176:177], v[148:149], a[16:19]
	s_waitcnt lgkmcnt(0)
	v_mov_b32_e32 v148, v142
	v_mov_b32_e32 v149, v143
	;; [unrolled: 1-line block ×3, first 2 shown]
	v_mfma_f32_16x16x16_bf16 a[32:35], v[176:177], v[152:153], a[20:23]
	v_mov_b32_e32 v143, v141
	ds_read2st64_b64 v[138:141], v118 offset0:16 offset1:24
	global_store_dwordx4 v[150:151], v[146:149], off
	v_mfma_f32_16x16x16_bf16 a[24:27], v[176:177], v[156:157], a[24:27]
	ds_read2st64_b64 v[146:149], v119 offset0:16 offset1:24
	v_add_co_u32_e32 v152, vcc, s35, v150
	v_mfma_f32_16x16x16_bf16 a[28:31], v[176:177], v[160:161], a[28:31]
	s_nop 0
	v_addc_co_u32_e32 v153, vcc, 0, v151, vcc
	global_store_dwordx4 v[152:153], v[142:145], off offset:-4096
	v_mfma_f32_16x16x16_bf16 a[0:3], v[166:167], v[162:163], a[0:3]
	s_waitcnt lgkmcnt(1)
	v_mov_b32_e32 v142, v138
	v_add_co_u32_e32 v138, vcc, s37, v150
	v_mfma_f32_16x16x16_bf16 a[4:7], v[166:167], v[170:171], a[4:7]
	v_mov_b32_e32 v143, v139
	v_addc_co_u32_e32 v139, vcc, 0, v151, vcc
	v_mfma_f32_16x16x16_bf16 a[8:11], v[166:167], v[172:173], a[8:11]
	s_waitcnt lgkmcnt(0)
	v_mov_b32_e32 v144, v146
	v_mov_b32_e32 v145, v147
	;; [unrolled: 1-line block ×3, first 2 shown]
	v_mfma_f32_16x16x16_bf16 a[12:15], v[166:167], v[174:175], a[12:15]
	v_mov_b32_e32 v147, v141
	s_and_b64 vcc, exec, s[0:1]
	global_store_dwordx4 v[152:153], v[142:145], off
	v_mfma_f32_16x16x16_bf16 a[20:23], v[178:179], v[162:163], a[16:19]
	global_store_dwordx4 v[138:139], v[146:149], off
	v_mfma_f32_16x16x16_bf16 a[16:19], v[178:179], v[170:171], a[32:35]
	v_mfma_f32_16x16x16_bf16 a[24:27], v[178:179], v[172:173], a[24:27]
	;; [unrolled: 1-line block ×3, first 2 shown]
	s_cbranch_vccnz .LBB107_16
; %bb.15:                               ;   in Loop: Header=BB107_6 Depth=1
	v_lshrrev_b32_e32 v138, 3, v136
	v_and_b32_e32 v138, 6, v138
	v_xor_b32_e32 v137, v138, v137
	v_lshlrev_b32_e32 v137, 2, v137
	v_and_b32_e32 v136, 8, v136
	v_xor_b32_e32 v139, 0x440, v137
	v_cmp_eq_u32_e32 vcc, 0, v136
	s_barrier
	s_nop 0
	v_cndmask_b32_e32 v136, v139, v137, vcc
	v_lshl_or_b32 v136, v138, 10, v136
	s_waitcnt vmcnt(5)
	v_perm_b32 v137, v30, v26, s62
	s_waitcnt vmcnt(4)
	v_perm_b32 v138, v22, v18, s62
	ds_write2st64_b32 v136, v137, v138 offset0:128 offset1:160
	v_xor_b32_e32 v137, 8, v136
	v_perm_b32 v26, v30, v26, s63
	v_perm_b32 v18, v22, v18, s63
	v_add_u32_e32 v22, 0x80, v137
	ds_write2st64_b32 v22, v26, v18 offset0:128 offset1:160
	v_xor_b32_e32 v18, 16, v136
	v_perm_b32 v22, v31, v27, s62
	v_perm_b32 v26, v23, v19, s62
	ds_write2st64_b32 v18, v22, v26 offset0:129 offset1:161
	v_xor_b32_e32 v18, 24, v136
	v_perm_b32 v22, v31, v27, s63
	v_perm_b32 v19, v23, v19, s63
	v_add_u32_e32 v18, 0x80, v18
	ds_write2st64_b32 v18, v22, v19 offset0:129 offset1:161
	v_xor_b32_e32 v18, 32, v136
	v_perm_b32 v19, v32, v28, s62
	;; [unrolled: 9-line block ×3, first 2 shown]
	v_perm_b32 v20, v25, v21, s62
	ds_write2st64_b32 v18, v19, v20 offset0:131 offset1:163
	v_xor_b32_e32 v18, 56, v136
	v_perm_b32 v19, v33, v29, s63
	v_perm_b32 v20, v25, v21, s63
	v_add_u32_e32 v18, 0x80, v18
	ds_write2st64_b32 v18, v19, v20 offset0:131 offset1:163
	ds_write_b64 v135, v[14:15] offset:49152
	v_xor_b32_e32 v14, 8, v135
	ds_write_b64 v14, v[16:17] offset:49152
	ds_write_b64 v135, v[10:11] offset:57344
	;; [unrolled: 1-line block ×4, first 2 shown]
	v_xor_b32_e32 v6, 8, v134
	ds_write_b64 v6, v[8:9] offset:49152
	ds_write_b64 v134, v[2:3] offset:57344
	;; [unrolled: 1-line block ×3, first 2 shown]
.LBB107_16:                             ;   in Loop: Header=BB107_6 Depth=1
	s_waitcnt vmcnt(6)
	v_mul_f32_e32 v22, s42, v133
	v_exp_f32_e32 v134, v22
	v_accvgpr_read_b32 v5, a3
	v_accvgpr_read_b32 v9, a7
	;; [unrolled: 1-line block ×4, first 2 shown]
	s_waitcnt vmcnt(4)
	v_accvgpr_read_b32 v18, a20
	v_accvgpr_read_b32 v25, a19
	v_accvgpr_read_b32 v29, a27
	v_accvgpr_read_b32 v33, a31
	v_accvgpr_read_b32 v4, a2
	v_accvgpr_read_b32 v3, a1
	v_accvgpr_read_b32 v2, a0
	v_accvgpr_read_b32 v8, a6
	v_accvgpr_read_b32 v7, a5
	v_accvgpr_read_b32 v6, a4
	v_accvgpr_read_b32 v12, a10
	v_accvgpr_read_b32 v11, a9
	v_accvgpr_read_b32 v10, a8
	v_accvgpr_read_b32 v16, a14
	v_accvgpr_read_b32 v15, a13
	v_accvgpr_read_b32 v14, a12
	v_accvgpr_read_b32 v19, a21
	v_accvgpr_read_b32 v20, a22
	v_accvgpr_read_b32 v21, a23
	v_accvgpr_read_b32 v24, a18
	v_accvgpr_read_b32 v23, a17
	v_accvgpr_read_b32 v22, a16
	v_accvgpr_read_b32 v28, a26
	v_accvgpr_read_b32 v27, a25
	v_accvgpr_read_b32 v26, a24
	v_accvgpr_read_b32 v32, a30
	v_accvgpr_read_b32 v31, a29
	v_accvgpr_read_b32 v30, a28
	s_add_i32 s61, s61, 64
	v_pk_fma_f32 v[62:63], v[62:63], v[134:135], v[2:3] op_sel_hi:[1,0,1]
	v_pk_fma_f32 v[66:67], v[66:67], v[134:135], v[4:5] op_sel_hi:[1,0,1]
	;; [unrolled: 1-line block ×15, first 2 shown]
	s_cmp_eq_u32 s52, s66
	v_pk_fma_f32 v[40:41], v[40:41], v[134:135], v[32:33] op_sel_hi:[1,0,1]
	s_cbranch_scc1 .LBB107_18
; %bb.17:                               ;   in Loop: Header=BB107_6 Depth=1
	s_mov_b32 s67, s66
	s_branch .LBB107_6
.LBB107_18:
	s_lshl_b32 s26, s52, 6
	s_sub_i32 s27, s12, s26
	s_cmp_gt_i32 s27, 0
	s_cbranch_scc0 .LBB107_99
; %bb.19:
	s_ashr_i32 s3, s26, 31
	s_cmpk_lg_i32 s15, 0x80
	s_cselect_b64 s[22:23], -1, 0
	s_and_b64 vcc, exec, s[22:23]
	s_cbranch_vccz .LBB107_21
; %bb.20:
	s_mul_i32 s1, s51, s12
	s_mul_hi_i32 s0, s51, s12
	s_add_u32 s1, s1, s26
	s_addc_u32 s0, s0, s3
	s_mul_i32 s17, s1, s53
	s_mul_hi_u32 s20, s1, s14
	s_add_i32 s17, s20, s17
	s_mul_i32 s0, s0, s14
	s_add_i32 s17, s17, s0
	s_mul_i32 s1, s1, s14
	s_ashr_i32 s0, s54, 31
	s_add_u32 s24, s1, s54
	s_addc_u32 s25, s17, s0
	s_cbranch_execz .LBB107_22
	s_branch .LBB107_23
.LBB107_21:
                                        ; implicit-def: $sgpr24_sgpr25
.LBB107_22:
	s_mul_hi_i32 s0, s51, s14
	s_mul_i32 s51, s51, s14
	s_ashr_i32 s1, s54, 31
	s_add_u32 s14, s51, s54
	s_addc_u32 s0, s0, s1
	s_mul_i32 s1, s14, s50
	s_mul_hi_u32 s17, s14, s12
	s_add_i32 s1, s17, s1
	s_mul_i32 s0, s0, s12
	s_add_i32 s1, s1, s0
	s_mul_i32 s14, s14, s12
	s_add_u32 s24, s14, s26
	s_addc_u32 s25, s1, s3
.LBB107_23:
	s_mul_i32 s0, s38, s50
	s_add_i32 s0, s57, s0
	s_add_i32 s14, s55, s52
	;; [unrolled: 1-line block ×3, first 2 shown]
	s_add_u32 s0, s16, s26
	v_lshlrev_b32_e32 v6, 6, v82
	v_lshlrev_b32_e32 v24, 2, v79
	s_addc_u32 s1, s1, s3
	s_mov_b32 s3, 0x7060302
	v_or_b32_e32 v9, v6, v24
	v_xor_b32_e32 v7, v82, v24
	v_perm_b32 v3, v67, v66, s3
	v_perm_b32 v2, v63, v62, s3
	;; [unrolled: 1-line block ×4, first 2 shown]
	v_lshlrev_b32_e32 v9, 1, v9
	v_xor_b32_e32 v8, v83, v24
	ds_write2st64_b64 v9, v[2:3], v[4:5] offset0:32 offset1:48
	v_lshlrev_b32_e32 v7, 1, v7
	v_lshlrev_b32_e32 v9, 8, v79
	v_or_b32_e32 v10, v7, v9
	v_lshlrev_b32_e32 v8, 1, v8
	ds_write_b64 v10, v[2:3]
	v_or_b32_e32 v2, v8, v9
	v_or_b32_e32 v9, 16, v79
	v_lshlrev_b32_e32 v23, 2, v9
	v_or_b32_e32 v10, v6, v23
	ds_write_b64 v2, v[4:5]
	v_perm_b32 v3, v59, v58, s3
	v_perm_b32 v2, v55, v54, s3
	;; [unrolled: 1-line block ×4, first 2 shown]
	v_lshlrev_b32_e32 v10, 1, v10
	v_lshlrev_b32_e32 v9, 8, v9
	ds_write2st64_b64 v10, v[2:3], v[4:5] offset0:32 offset1:48
	v_or_b32_e32 v10, v7, v9
	ds_write_b64 v10, v[2:3]
	v_or_b32_e32 v2, v8, v9
	v_or_b32_e32 v9, 32, v79
	v_lshlrev_b32_e32 v22, 2, v9
	v_or_b32_e32 v10, v6, v22
	ds_write_b64 v2, v[4:5]
	v_perm_b32 v3, v51, v50, s3
	v_perm_b32 v2, v47, v46, s3
	;; [unrolled: 1-line block ×4, first 2 shown]
	v_lshlrev_b32_e32 v10, 1, v10
	v_lshlrev_b32_e32 v9, 8, v9
	s_lshl_b64 s[20:21], s[0:1], 8
	ds_write2st64_b64 v10, v[2:3], v[4:5] offset0:32 offset1:48
	v_or_b32_e32 v10, v7, v9
	s_waitcnt lgkmcnt(0)
	s_add_u32 s0, s6, s20
	ds_write_b64 v10, v[2:3]
	v_or_b32_e32 v2, v8, v9
	s_addc_u32 s1, s7, s21
	ds_write_b64 v2, v[4:5]
	v_perm_b32 v3, v43, v42, s3
	v_perm_b32 v2, v39, v38, s3
	;; [unrolled: 1-line block ×4, first 2 shown]
	v_or_b32_e32 v9, 48, v79
	s_mul_hi_i32 s3, s14, s13
	s_mul_i32 s14, s14, s13
	v_lshlrev_b32_e32 v19, 2, v9
	s_add_u32 s6, s14, s48
	v_or_b32_e32 v6, v6, v19
	s_addc_u32 s7, s3, s49
	v_lshlrev_b32_e32 v6, 1, v6
	s_ashr_i32 s3, s2, 31
	s_lshl_b64 s[6:7], s[6:7], 15
	ds_write2st64_b64 v6, v[2:3], v[4:5] offset0:32 offset1:48
	v_lshlrev_b32_e32 v6, 8, v9
	s_add_u32 s6, s18, s6
	v_or_b32_e32 v7, v7, v6
	s_addc_u32 s7, s19, s7
	s_lshl_b64 s[2:3], s[2:3], 8
	ds_write_b64 v7, v[2:3]
	v_or_b32_e32 v2, v8, v6
	s_add_u32 s2, s6, s2
	v_lshlrev_b32_e32 v3, 1, v79
	ds_write_b64 v2, v[4:5]
	v_lshrrev_b32_e32 v2, 4, v0
	s_addc_u32 s3, s7, s3
	v_or_b32_e32 v4, 1, v3
	v_lshlrev_b32_e32 v10, 4, v79
	v_mov_b32_e32 v11, 0
	v_xor_b32_e32 v3, v2, v3
	v_xor_b32_e32 v6, v4, v2
	v_lshl_add_u64 v[12:13], s[2:3], 0, v[10:11]
	v_lshlrev_b32_e32 v10, 8, v2
	v_lshl_or_b32 v16, v3, 3, v10
	v_lshl_or_b32 v17, v6, 3, v10
	s_waitcnt lgkmcnt(0)
	s_barrier
	ds_read2st64_b64 v[2:5], v16 offset1:8
	ds_read2st64_b64 v[6:9], v17 offset1:8
	v_lshl_add_u64 v[14:15], v[12:13], 0, v[10:11]
	s_movk_i32 s2, 0x2000
	s_cmp_lg_u32 s27, 64
	s_waitcnt lgkmcnt(1)
	v_mov_b32_e32 v10, v2
	v_mov_b32_e32 v11, v3
	s_waitcnt lgkmcnt(0)
	v_mov_b32_e32 v12, v6
	v_mov_b32_e32 v13, v7
	global_store_dwordx4 v[14:15], v[10:13], off
	v_mov_b32_e32 v6, v4
	v_mov_b32_e32 v7, v5
	ds_read2st64_b64 v[2:5], v16 offset0:16 offset1:24
	ds_read2st64_b64 v[10:13], v17 offset0:16 offset1:24
	v_add_co_u32_e32 v16, vcc, s2, v14
	s_cselect_b64 s[6:7], -1, 0
	s_nop 0
	v_addc_co_u32_e32 v17, vcc, 0, v15, vcc
	global_store_dwordx4 v[16:17], v[6:9], off offset:-4096
	v_lshl_or_b32 v25, v77, 3, v80
	s_mov_b32 s16, 0
	s_waitcnt lgkmcnt(1)
	v_mov_b32_e32 v6, v2
	v_add_co_u32_e32 v2, vcc, 0x3000, v14
	v_mov_b32_e32 v7, v3
	s_nop 0
	v_addc_co_u32_e32 v3, vcc, 0, v15, vcc
	s_waitcnt lgkmcnt(0)
	v_mov_b32_e32 v8, v10
	v_mov_b32_e32 v9, v11
	;; [unrolled: 1-line block ×4, first 2 shown]
	v_or_b32_e32 v20, 32, v25
	v_and_b32_e32 v18, 56, v81
	s_and_b64 vcc, exec, s[6:7]
	global_store_dwordx4 v[16:17], v[6:9], off
	global_store_dwordx4 v[2:3], v[10:13], off
	s_cbranch_vccz .LBB107_29
; %bb.24:
	s_mov_b32 s17, s16
	s_mov_b32 s18, s16
	s_mov_b32 s19, s16
	v_mov_b64_e32 v[6:7], s[16:17]
	v_mov_b64_e32 v[8:9], s[18:19]
	;; [unrolled: 1-line block ×3, first 2 shown]
	v_cmp_gt_i32_e32 vcc, s27, v25
	v_mov_b64_e32 v[4:5], v[8:9]
	s_and_saveexec_b64 s[2:3], vcc
	s_cbranch_execz .LBB107_26
; %bb.25:
	v_lshlrev_b32_e32 v2, 8, v25
	v_mov_b32_e32 v3, 0
	v_lshl_add_u64 v[4:5], s[0:1], 0, v[2:3]
	v_lshlrev_b32_e32 v2, 1, v18
	v_lshl_add_u64 v[10:11], v[4:5], 0, v[2:3]
	global_load_dwordx4 v[6:9], v[10:11], off
	global_load_dwordx4 v[2:5], v[10:11], off offset:128
.LBB107_26:
	s_or_b64 exec, exec, s[2:3]
	s_mov_b32 s17, s16
	s_mov_b32 s18, s16
	;; [unrolled: 1-line block ×3, first 2 shown]
	v_mov_b64_e32 v[14:15], s[16:17]
	v_mov_b64_e32 v[16:17], s[18:19]
	;; [unrolled: 1-line block ×3, first 2 shown]
	v_cmp_gt_i32_e32 vcc, s27, v20
	v_lshlrev_b32_e32 v21, 7, v20
	v_mov_b64_e32 v[12:13], v[16:17]
	s_and_saveexec_b64 s[2:3], vcc
	s_cbranch_execz .LBB107_28
; %bb.27:
	v_lshlrev_b32_e32 v10, 1, v21
	v_mov_b32_e32 v11, 0
	v_lshl_add_u64 v[12:13], s[0:1], 0, v[10:11]
	v_lshlrev_b32_e32 v10, 1, v18
	v_lshl_add_u64 v[26:27], v[12:13], 0, v[10:11]
	global_load_dwordx4 v[14:17], v[26:27], off
	global_load_dwordx4 v[10:13], v[26:27], off offset:128
.LBB107_28:
	s_or_b64 exec, exec, s[2:3]
	v_lshrrev_b32_e32 v26, 3, v18
	v_lshlrev_b32_e32 v27, 3, v25
	v_or_b32_e32 v26, v27, v26
	v_lshlrev_b32_e32 v26, 4, v26
	v_and_b32_e32 v27, 0x78, v27
	v_xor_b32_e32 v26, v26, v27
	s_branch .LBB107_31
.LBB107_29:
                                        ; implicit-def: $vgpr26
                                        ; implicit-def: $vgpr21
                                        ; implicit-def: $vgpr6_vgpr7_vgpr8_vgpr9
                                        ; implicit-def: $vgpr2_vgpr3_vgpr4_vgpr5
                                        ; implicit-def: $vgpr14_vgpr15_vgpr16_vgpr17
                                        ; implicit-def: $vgpr10_vgpr11_vgpr12_vgpr13
	s_cbranch_execz .LBB107_31
; %bb.30:
	s_waitcnt vmcnt(0)
	v_lshlrev_b32_e32 v2, 1, v18
	v_lshl_or_b32 v21, v25, 8, v2
	s_and_b32 s1, s1, 0xffff
	s_mov_b32 s3, 0x20000
	s_movk_i32 s2, 0x4000
	v_lshl_or_b32 v26, v20, 8, v2
	s_movk_i32 s13, 0x80
	buffer_load_dwordx4 v[6:9], v21, s[0:3], 0 offen
	buffer_load_dwordx4 v[2:5], v21, s[0:3], s13 offen
	;; [unrolled: 1-line block ×4, first 2 shown]
	v_lshrrev_b32_e32 v21, 3, v18
	v_lshlrev_b32_e32 v26, 3, v25
	v_or_b32_e32 v21, v26, v21
	v_lshlrev_b32_e32 v21, 4, v21
	v_and_b32_e32 v26, 0x78, v26
	v_xor_b32_e32 v26, v21, v26
	v_lshlrev_b32_e32 v21, 7, v20
.LBB107_31:
	s_movk_i32 s0, 0x1000
	v_and_or_b32 v20, v21, s0, v26
	s_waitcnt vmcnt(1)
	ds_write_b64 v26, v[6:7] offset:49152
	v_xor_b32_e32 v6, 8, v26
	ds_write_b64 v6, v[8:9] offset:49152
	s_waitcnt vmcnt(0)
	ds_write_b64 v26, v[2:3] offset:57344
	ds_write_b64 v6, v[4:5] offset:57344
	ds_write_b64 v20, v[14:15] offset:49152
	v_xor_b32_e32 v2, 8, v20
	ds_write_b64 v2, v[16:17] offset:49152
	ds_write_b64 v20, v[10:11] offset:57344
	ds_write_b64 v2, v[12:13] offset:57344
	v_or_b32_e32 v2, v1, v79
	v_lshlrev_b32_e32 v3, 11, v77
	v_lshlrev_b32_e32 v2, 3, v2
	v_and_b32_e32 v6, 0x1000, v3
	v_lshrrev_b32_e32 v3, 5, v76
	s_movk_i32 s0, 0xf8
	v_and_or_b32 v3, v2, s0, v3
	v_lshlrev_b32_e32 v7, 4, v3
	v_and_b32_e32 v8, 0x78, v2
	v_or_b32_e32 v10, 32, v7
	v_lshrrev_b32_e32 v3, 1, v76
	v_xor_b32_e32 v10, v10, v8
	v_xor_b32_e32 v2, v7, v8
	v_and_b32_e32 v9, 8, v3
	v_or_b32_e32 v10, v10, v6
	v_or_b32_e32 v2, v2, v6
	v_xor_b32_e32 v28, v10, v9
	v_or_b32_e32 v10, 64, v7
	v_xor_b32_e32 v27, v2, v9
	v_xor_b32_e32 v10, v10, v8
	s_waitcnt lgkmcnt(0)
	s_barrier
	v_or_b32_e32 v13, v10, v6
	ds_read_b64 v[10:11], v27 offset:49152
	v_lshl_or_b32 v14, v78, 8, v24
	v_lshlrev_b32_e32 v26, 1, v14
	v_add_u32_e32 v12, 0x4000, v26
	ds_read2_b64 v[2:5], v12 offset1:16
	v_or_b32_e32 v7, 0x60, v7
	v_xor_b32_e32 v7, v7, v8
	v_or_b32_e32 v6, v7, v6
	v_xor_b32_e32 v29, v13, v9
	v_xor_b32_e32 v30, v6, v9
	ds_read_b64 v[20:21], v28 offset:49152
	ds_read_b64 v[36:37], v29 offset:49152
	;; [unrolled: 1-line block ×3, first 2 shown]
	s_waitcnt lgkmcnt(3)
	v_mfma_f32_16x16x16_bf16 a[0:3], v[10:11], v[2:3], 0
	ds_read2st64_b64 v[6:9], v26 offset0:36 offset1:40
	s_lshl_b64 s[0:1], s[24:25], 8
	s_add_u32 s4, s4, s0
	v_mfma_f32_16x16x16_bf16 a[4:7], v[10:11], v[4:5], 0
	ds_read2_b64 v[2:5], v12 offset0:32 offset1:48
	s_addc_u32 s5, s5, s1
	s_add_i32 s1, s44, s33
	s_waitcnt lgkmcnt(0)
	v_mfma_f32_16x16x16_bf16 a[8:11], v[10:11], v[2:3], 0
	v_or_b32_e32 v2, 64, v14
	v_lshlrev_b32_e32 v31, 1, v2
	s_add_i32 s0, s12, -1
	v_mfma_f32_16x16x16_bf16 a[12:15], v[10:11], v[4:5], 0
	ds_read2st64_b64 v[2:5], v31 offset0:36 offset1:40
	s_add_i32 s37, s1, s39
	s_add_i32 s1, s46, s45
	v_mfma_f32_16x16x16_bf16 a[0:3], v[20:21], v[6:7], a[0:3]
	v_or_b32_e32 v6, 0x80, v14
	v_lshlrev_b32_e32 v32, 1, v6
	ds_read2st64_b64 v[10:13], v32 offset0:36 offset1:40
	s_waitcnt lgkmcnt(1)
	v_mfma_f32_16x16x16_bf16 a[4:7], v[20:21], v[2:3], a[4:7]
	v_or_b32_e32 v2, 0xc0, v14
	v_lshlrev_b32_e32 v33, 1, v2
	ds_read2st64_b64 v[14:17], v33 offset0:36 offset1:40
	s_add_i32 s35, s1, s47
	s_ashr_i32 s1, s0, 31
	s_mul_i32 s2, s0, s31
	s_mul_hi_u32 s3, s0, s30
	s_add_i32 s2, s3, s2
	s_mul_i32 s1, s1, s30
	s_waitcnt lgkmcnt(1)
	v_mfma_f32_16x16x16_bf16 a[8:11], v[20:21], v[10:11], a[8:11]
	s_add_i32 s1, s2, s1
	s_lshl_b64 s[2:3], s[36:37], 2
	s_add_u32 s10, s10, s2
	s_waitcnt lgkmcnt(0)
	v_mfma_f32_16x16x16_bf16 a[12:15], v[20:21], v[14:15], a[12:15]
	s_addc_u32 s11, s11, s3
	s_lshl_b64 s[2:3], s[34:35], 2
	s_mul_i32 s0, s0, s30
	v_mfma_f32_16x16x16_bf16 a[0:3], v[36:37], v[8:9], a[0:3]
	ds_read_b64 v[2:3], v26 offset:22528
	s_add_u32 s10, s10, s2
	s_addc_u32 s11, s11, s3
	v_mfma_f32_16x16x16_bf16 a[4:7], v[36:37], v[4:5], a[4:7]
	ds_read_b64 v[4:5], v31 offset:22528
	ds_read_b64 v[6:7], v32 offset:22528
	;; [unrolled: 1-line block ×3, first 2 shown]
	s_lshl_b64 s[0:1], s[0:1], 2
	s_add_u32 s0, s10, s0
	v_mfma_f32_16x16x16_bf16 a[8:11], v[36:37], v[12:13], a[8:11]
	s_addc_u32 s1, s11, s1
	s_load_dword s12, s[0:1], 0x0
	s_and_b64 vcc, exec, s[22:23]
	v_mfma_f32_16x16x16_bf16 a[12:15], v[36:37], v[16:17], a[12:15]
	s_waitcnt lgkmcnt(0)
	v_mfma_f32_16x16x16_bf16 a[0:3], v[38:39], v[2:3], a[0:3]
	v_mfma_f32_16x16x16_bf16 a[4:7], v[38:39], v[4:5], a[4:7]
	;; [unrolled: 1-line block ×4, first 2 shown]
	s_cbranch_vccz .LBB107_42
; %bb.32:
	v_lshlrev_b32_e32 v20, 1, v25
	s_and_b64 vcc, exec, s[6:7]
	s_cbranch_vccz .LBB107_43
; %bb.33:
	v_cmp_gt_i32_e32 vcc, s27, v20
	v_mov_b32_e32 v6, 0
	v_mov_b32_e32 v2, 0
	;; [unrolled: 1-line block ×5, first 2 shown]
	s_and_saveexec_b64 s[0:1], vcc
	s_cbranch_execz .LBB107_35
; %bb.34:
	v_mad_i64_i32 v[2:3], s[2:3], s15, v20, 0
	v_lshl_add_u64 v[2:3], v[2:3], 1, s[4:5]
	v_lshlrev_b32_e32 v4, 1, v18
	v_mov_b32_e32 v5, 0
	v_lshl_add_u64 v[2:3], v[2:3], 0, v[4:5]
	global_load_dwordx4 v[2:5], v[2:3], off
.LBB107_35:
	s_or_b64 exec, exec, s[0:1]
	v_or_b32_e32 v21, 1, v20
	v_cmp_gt_i32_e64 s[0:1], s27, v21
	v_mov_b32_e32 v7, 0
	v_mov_b32_e32 v8, 0
	;; [unrolled: 1-line block ×3, first 2 shown]
	s_and_saveexec_b64 s[2:3], s[0:1]
	s_cbranch_execz .LBB107_37
; %bb.36:
	v_mad_i64_i32 v[6:7], s[16:17], s15, v21, 0
	v_lshl_add_u64 v[6:7], v[6:7], 1, s[4:5]
	v_lshlrev_b32_e32 v8, 1, v18
	v_mov_b32_e32 v9, 0
	v_lshl_add_u64 v[6:7], v[6:7], 0, v[8:9]
	global_load_dwordx4 v[6:9], v[6:7], off
.LBB107_37:
	s_or_b64 exec, exec, s[2:3]
	v_mov_b32_e32 v17, 0
	v_mov_b32_e32 v10, 0
	;; [unrolled: 1-line block ×5, first 2 shown]
	s_and_saveexec_b64 s[2:3], vcc
	s_cbranch_execz .LBB107_39
; %bb.38:
	v_mad_i64_i32 v[10:11], s[16:17], s15, v20, 0
	v_lshl_add_u64 v[10:11], v[10:11], 1, s[4:5]
	v_lshlrev_b32_e32 v12, 1, v18
	v_mov_b32_e32 v13, 0
	v_lshl_add_u64 v[10:11], v[10:11], 0, v[12:13]
	global_load_dwordx4 v[10:13], v[10:11], off offset:128
.LBB107_39:
	s_or_b64 exec, exec, s[2:3]
	v_mov_b32_e32 v16, 0
	v_mov_b32_e32 v15, 0
	;; [unrolled: 1-line block ×3, first 2 shown]
	s_and_saveexec_b64 s[2:3], s[0:1]
	s_cbranch_execz .LBB107_41
; %bb.40:
	v_mad_i64_i32 v[14:15], s[0:1], s15, v21, 0
	v_lshl_add_u64 v[14:15], v[14:15], 1, s[4:5]
	v_lshlrev_b32_e32 v16, 1, v18
	v_mov_b32_e32 v17, 0
	v_lshl_add_u64 v[14:15], v[14:15], 0, v[16:17]
	global_load_dwordx4 v[14:17], v[14:15], off offset:128
.LBB107_41:
	s_or_b64 exec, exec, s[2:3]
	s_branch .LBB107_45
.LBB107_42:
                                        ; implicit-def: $vgpr5
                                        ; implicit-def: $vgpr9
                                        ; implicit-def: $vgpr13
                                        ; implicit-def: $vgpr17
	v_lshrrev_b32_e32 v35, 2, v76
	s_branch .LBB107_46
.LBB107_43:
                                        ; implicit-def: $vgpr5
                                        ; implicit-def: $vgpr9
                                        ; implicit-def: $vgpr13
                                        ; implicit-def: $vgpr17
	s_cbranch_execz .LBB107_45
; %bb.44:
	s_waitcnt vmcnt(0)
	v_mad_u64_u32 v[2:3], s[0:1], v20, s15, v[18:19]
	v_lshlrev_b32_e32 v20, 1, v2
	s_lshl_b32 s2, s15, 7
	s_and_b32 s1, s5, 0xffff
	s_mov_b32 s3, 0x20000
	s_mov_b32 s0, s4
	v_add_lshl_u32 v21, v2, s15, 1
	s_movk_i32 s13, 0x80
	buffer_load_dwordx4 v[2:5], v20, s[0:3], 0 offen
	buffer_load_dwordx4 v[10:13], v20, s[0:3], s13 offen
	;; [unrolled: 1-line block ×4, first 2 shown]
.LBB107_45:
	v_lshrrev_b32_e32 v35, 2, v76
	s_cbranch_execnz .LBB107_58
.LBB107_46:
	s_and_b64 vcc, exec, s[6:7]
	s_cbranch_vccz .LBB107_56
; %bb.47:
	s_waitcnt vmcnt(0)
	v_lshlrev_b32_e32 v7, 1, v25
	v_cmp_gt_i32_e32 vcc, s27, v7
	v_mov_b32_e32 v6, 0
	v_lshlrev_b32_e32 v14, 9, v25
	v_mov_b32_e32 v2, 0
	v_mov_b32_e32 v3, 0
	;; [unrolled: 1-line block ×4, first 2 shown]
	s_and_saveexec_b64 s[0:1], vcc
	s_cbranch_execz .LBB107_49
; %bb.48:
	v_mov_b32_e32 v15, 0
	v_lshl_add_u64 v[2:3], s[4:5], 0, v[14:15]
	v_lshlrev_b32_e32 v4, 1, v18
	v_mov_b32_e32 v5, v15
	v_lshl_add_u64 v[2:3], v[2:3], 0, v[4:5]
	global_load_dwordx4 v[2:5], v[2:3], off
.LBB107_49:
	s_or_b64 exec, exec, s[0:1]
	v_or_b32_e32 v7, 1, v7
	v_cmp_gt_i32_e64 s[0:1], s27, v7
	v_lshlrev_b32_e32 v20, 8, v7
	v_mov_b32_e32 v7, 0
	v_mov_b32_e32 v8, 0
	;; [unrolled: 1-line block ×3, first 2 shown]
	s_and_saveexec_b64 s[2:3], s[0:1]
	s_cbranch_execz .LBB107_51
; %bb.50:
	v_mov_b32_e32 v21, 0
	v_lshl_add_u64 v[6:7], s[4:5], 0, v[20:21]
	v_lshlrev_b32_e32 v8, 1, v18
	v_mov_b32_e32 v9, v21
	v_lshl_add_u64 v[6:7], v[6:7], 0, v[8:9]
	global_load_dwordx4 v[6:9], v[6:7], off
.LBB107_51:
	s_or_b64 exec, exec, s[2:3]
	v_mov_b32_e32 v17, 0
	v_mov_b32_e32 v10, 0
	;; [unrolled: 1-line block ×5, first 2 shown]
	s_and_saveexec_b64 s[2:3], vcc
	s_cbranch_execz .LBB107_53
; %bb.52:
	v_mov_b32_e32 v15, 0
	v_lshl_add_u64 v[10:11], s[4:5], 0, v[14:15]
	v_lshlrev_b32_e32 v14, 1, v18
	v_lshl_add_u64 v[10:11], v[10:11], 0, v[14:15]
	global_load_dwordx4 v[10:13], v[10:11], off offset:128
.LBB107_53:
	s_or_b64 exec, exec, s[2:3]
	v_mov_b32_e32 v16, 0
	v_mov_b32_e32 v15, 0
	;; [unrolled: 1-line block ×3, first 2 shown]
	s_and_saveexec_b64 s[2:3], s[0:1]
	s_cbranch_execz .LBB107_55
; %bb.54:
	v_mov_b32_e32 v21, 0
	v_lshl_add_u64 v[14:15], s[4:5], 0, v[20:21]
	v_lshlrev_b32_e32 v20, 1, v18
	v_lshl_add_u64 v[14:15], v[14:15], 0, v[20:21]
	global_load_dwordx4 v[14:17], v[14:15], off offset:128
.LBB107_55:
	s_or_b64 exec, exec, s[2:3]
	s_branch .LBB107_58
.LBB107_56:
                                        ; implicit-def: $vgpr5
                                        ; implicit-def: $vgpr9
                                        ; implicit-def: $vgpr13
                                        ; implicit-def: $vgpr17
	s_cbranch_execz .LBB107_58
; %bb.57:
	s_waitcnt vmcnt(0)
	v_lshlrev_b32_e32 v2, 1, v18
	v_lshl_or_b32 v18, v25, 9, v2
	s_and_b32 s5, s5, 0xffff
	s_mov_b32 s7, 0x20000
	s_movk_i32 s6, 0x4000
	s_movk_i32 s0, 0x80
	buffer_load_dwordx4 v[2:5], v18, s[4:7], 0 offen
	buffer_load_dwordx4 v[6:9], v18, s[4:7], 0 offen offset:256
	buffer_load_dwordx4 v[10:13], v18, s[4:7], s0 offen
	buffer_load_dwordx4 v[14:17], v18, s[4:7], s0 offen offset:256
.LBB107_58:
	ds_read_b64 v[20:21], v27 offset:57344
	v_add_u32_e32 v18, 0x6000, v26
	ds_read2_b64 v[36:39], v18 offset1:16
	ds_read_b64 v[52:53], v28 offset:57344
	ds_read_b64 v[28:29], v29 offset:57344
	;; [unrolled: 1-line block ×3, first 2 shown]
	ds_read2st64_b64 v[40:43], v26 offset0:52 offset1:56
	s_mov_b32 s0, 0x1000504
	s_mov_b32 s1, 0x3020706
	s_waitcnt lgkmcnt(4)
	v_mfma_f32_16x16x16_bf16 a[0:3], v[20:21], v[36:37], a[0:3]
	v_mfma_f32_16x16x16_bf16 a[4:7], v[20:21], v[38:39], a[4:7]
	ds_read2_b64 v[36:39], v18 offset0:32 offset1:48
	v_and_b32_e32 v18, 6, v0
	v_xor_b32_e32 v25, v25, v18
	s_waitcnt lgkmcnt(0)
	v_mfma_f32_16x16x16_bf16 a[8:11], v[20:21], v[36:37], a[8:11]
	v_lshlrev_b32_e32 v25, 2, v25
	v_and_b32_e32 v0, 1, v0
	v_cmp_eq_u32_e32 vcc, 0, v0
	v_mfma_f32_16x16x16_bf16 a[12:15], v[20:21], v[38:39], a[12:15]
	ds_read2st64_b64 v[36:39], v31 offset0:52 offset1:56
	ds_read2st64_b64 v[44:47], v32 offset0:52 offset1:56
	;; [unrolled: 1-line block ×3, first 2 shown]
	ds_read_b64 v[20:21], v26 offset:30720
	ds_read_b64 v[26:27], v31 offset:30720
	;; [unrolled: 1-line block ×4, first 2 shown]
	s_waitcnt lgkmcnt(6)
	v_mfma_f32_16x16x16_bf16 a[4:7], v[52:53], v[36:37], a[4:7]
	v_xor_b32_e32 v36, 0x440, v25
	v_cndmask_b32_e32 v0, v36, v25, vcc
	v_lshl_or_b32 v0, v18, 10, v0
	v_mfma_f32_16x16x16_bf16 a[0:3], v[52:53], v[40:41], a[0:3]
	s_waitcnt vmcnt(0)
	v_perm_b32 v18, v2, v6, s0
	v_perm_b32 v25, v10, v14, s0
	ds_write2st64_b32 v0, v18, v25 offset0:128 offset1:160
	s_waitcnt lgkmcnt(6)
	v_mfma_f32_16x16x16_bf16 a[8:11], v[52:53], v[44:45], a[8:11]
	v_xor_b32_e32 v18, 8, v0
	v_perm_b32 v2, v2, v6, s1
	v_perm_b32 v6, v10, v14, s1
	s_waitcnt lgkmcnt(5)
	v_mfma_f32_16x16x16_bf16 a[12:15], v[52:53], v[48:49], a[12:15]
	v_add_u32_e32 v10, 0x80, v18
	ds_write2st64_b32 v10, v2, v6 offset0:128 offset1:160
	v_xor_b32_e32 v2, 16, v0
	v_mfma_f32_16x16x16_bf16 a[0:3], v[28:29], v[42:43], a[0:3]
	v_perm_b32 v6, v3, v7, s0
	v_perm_b32 v10, v11, v15, s0
	ds_write2st64_b32 v2, v6, v10 offset0:129 offset1:161
	v_mfma_f32_16x16x16_bf16 a[4:7], v[28:29], v[38:39], a[4:7]
	v_xor_b32_e32 v2, 24, v0
	v_perm_b32 v3, v3, v7, s1
	v_perm_b32 v6, v11, v15, s1
	v_mfma_f32_16x16x16_bf16 a[16:19], v[28:29], v[46:47], a[8:11]
	v_add_u32_e32 v2, 0x80, v2
	ds_write2st64_b32 v2, v3, v6 offset0:129 offset1:161
	v_xor_b32_e32 v2, 32, v0
	v_mfma_f32_16x16x16_bf16 a[20:23], v[28:29], v[50:51], a[12:15]
	v_perm_b32 v3, v4, v8, s0
	v_perm_b32 v6, v12, v16, s0
	ds_write2st64_b32 v2, v3, v6 offset0:130 offset1:162
	s_waitcnt lgkmcnt(8)
	v_mfma_f32_16x16x16_bf16 a[12:15], v[54:55], v[20:21], a[0:3]
	v_xor_b32_e32 v2, 40, v0
	v_perm_b32 v3, v4, v8, s1
	v_perm_b32 v4, v12, v16, s1
	s_waitcnt lgkmcnt(7)
	v_mfma_f32_16x16x16_bf16 a[8:11], v[54:55], v[26:27], a[4:7]
	v_add_u32_e32 v2, 0x80, v2
	ds_write2st64_b32 v2, v3, v4 offset0:130 offset1:162
	v_xor_b32_e32 v2, 48, v0
	s_waitcnt lgkmcnt(7)
	v_mfma_f32_16x16x16_bf16 a[4:7], v[54:55], v[30:31], a[16:19]
	v_perm_b32 v3, v5, v9, s0
	v_perm_b32 v4, v13, v17, s0
	v_xor_b32_e32 v0, 56, v0
	s_waitcnt lgkmcnt(6)
	v_mfma_f32_16x16x16_bf16 a[0:3], v[54:55], v[32:33], a[20:23]
	v_and_or_b32 v21, v35, 12, v1
	ds_write2st64_b32 v2, v3, v4 offset0:131 offset1:163
	v_perm_b32 v2, v5, v9, s1
	v_perm_b32 v3, v13, v17, s1
	v_add_u32_e32 v0, 0x80, v0
	v_cmp_gt_i32_e32 vcc, s27, v21
	v_mov_b32_e32 v16, 0
	v_mov_b32_e32 v18, 0
	ds_write2st64_b32 v0, v2, v3 offset0:131 offset1:163
	s_and_saveexec_b64 s[0:1], vcc
	s_cbranch_execz .LBB107_60
; %bb.59:
	v_add_u32_e32 v0, s26, v21
	v_ashrrev_i32_e32 v1, 31, v0
	v_mul_lo_u32 v2, v1, s30
	v_mul_lo_u32 v3, v0, s31
	v_mad_u64_u32 v[0:1], s[2:3], v0, s30, 0
	v_add3_u32 v1, v1, v3, v2
	v_lshl_add_u64 v[0:1], v[0:1], 2, s[10:11]
	global_load_dword v0, v[0:1], off
	s_waitcnt vmcnt(0)
	v_sub_f32_e32 v0, s12, v0
	v_mul_f32_e32 v0, 0x3fb8aa3b, v0
	v_exp_f32_e32 v18, v0
.LBB107_60:
	s_or_b64 exec, exec, s[0:1]
	v_or_b32_e32 v10, 1, v21
	v_cmp_gt_i32_e64 s[0:1], s27, v10
	s_and_saveexec_b64 s[2:3], s[0:1]
	s_cbranch_execz .LBB107_62
; %bb.61:
	v_add_u32_e32 v0, s26, v10
	v_ashrrev_i32_e32 v1, 31, v0
	v_mul_lo_u32 v2, v1, s30
	v_mul_lo_u32 v3, v0, s31
	v_mad_u64_u32 v[0:1], s[4:5], v0, s30, 0
	v_add3_u32 v1, v1, v3, v2
	v_lshl_add_u64 v[0:1], v[0:1], 2, s[10:11]
	global_load_dword v0, v[0:1], off
	s_waitcnt vmcnt(0)
	v_sub_f32_e32 v0, s12, v0
	v_mul_f32_e32 v0, 0x3fb8aa3b, v0
	v_exp_f32_e32 v16, v0
.LBB107_62:
	s_or_b64 exec, exec, s[2:3]
	v_or_b32_e32 v12, 2, v21
	v_cmp_gt_i32_e64 s[2:3], s27, v12
	v_mov_b32_e32 v17, 0
	v_mov_b32_e32 v20, 0
	s_and_saveexec_b64 s[4:5], s[2:3]
	s_cbranch_execz .LBB107_64
; %bb.63:
	v_add_u32_e32 v0, s26, v12
	v_ashrrev_i32_e32 v1, 31, v0
	v_mul_lo_u32 v2, v1, s30
	v_mul_lo_u32 v3, v0, s31
	v_mad_u64_u32 v[0:1], s[6:7], v0, s30, 0
	v_add3_u32 v1, v1, v3, v2
	v_lshl_add_u64 v[0:1], v[0:1], 2, s[10:11]
	global_load_dword v0, v[0:1], off
	s_waitcnt vmcnt(0)
	v_sub_f32_e32 v0, s12, v0
	v_mul_f32_e32 v0, 0x3fb8aa3b, v0
	v_exp_f32_e32 v20, v0
.LBB107_64:
	s_or_b64 exec, exec, s[4:5]
	v_or_b32_e32 v14, 3, v21
	v_cmp_gt_i32_e64 s[4:5], s27, v14
	s_and_saveexec_b64 s[6:7], s[4:5]
	s_cbranch_execz .LBB107_66
; %bb.65:
	v_add_u32_e32 v0, s26, v14
	v_ashrrev_i32_e32 v1, 31, v0
	v_mul_lo_u32 v2, v1, s30
	v_mul_lo_u32 v3, v0, s31
	v_mad_u64_u32 v[0:1], s[14:15], v0, s30, 0
	v_add3_u32 v1, v1, v3, v2
	v_lshl_add_u64 v[0:1], v[0:1], 2, s[10:11]
	global_load_dword v0, v[0:1], off
	s_waitcnt vmcnt(0)
	v_sub_f32_e32 v0, s12, v0
	v_mul_f32_e32 v0, 0x3fb8aa3b, v0
	v_exp_f32_e32 v17, v0
.LBB107_66:
	s_or_b64 exec, exec, s[6:7]
	s_add_u32 s6, s8, s20
	s_addc_u32 s7, s9, s21
	s_add_u32 s8, s28, s20
	v_ashrrev_i32_e32 v35, 31, v34
	v_accvgpr_read_b32 v0, a12
	s_addc_u32 s9, s29, s21
	v_lshlrev_b64 v[4:5], 1, v[34:35]
	v_accvgpr_read_b32 v1, a13
	v_accvgpr_read_b32 v2, a14
	v_accvgpr_read_b32 v3, a15
	v_lshl_add_u64 v[6:7], s[6:7], 0, v[4:5]
	v_lshl_add_u64 v[4:5], s[8:9], 0, v[4:5]
	v_mov_b32_e32 v11, 0
	v_lshlrev_b32_e32 v8, 8, v21
	v_mov_b32_e32 v9, 0
	s_and_saveexec_b64 s[6:7], vcc
	s_cbranch_execz .LBB107_68
; %bb.67:
	v_mov_b32_e32 v9, 0
	v_lshl_add_u64 v[26:27], v[6:7], 0, v[8:9]
	global_load_ushort v13, v[26:27], off
	v_lshl_add_u64 v[26:27], v[4:5], 0, v[8:9]
	s_waitcnt vmcnt(0)
	v_lshlrev_b32_e32 v9, 16, v13
	v_sub_f32_e32 v0, v9, v0
	global_store_short_d16_hi v[26:27], v0, off
	v_mul_f32_e32 v0, v18, v0
	v_lshrrev_b32_e32 v9, 16, v0
.LBB107_68:
	s_or_b64 exec, exec, s[6:7]
	v_lshlrev_b32_e32 v10, 8, v10
	s_and_saveexec_b64 s[6:7], s[0:1]
	s_cbranch_execz .LBB107_70
; %bb.69:
	v_mov_b32_e32 v11, 0
	v_lshl_add_u64 v[26:27], v[6:7], 0, v[10:11]
	global_load_ushort v0, v[26:27], off
	v_lshl_add_u64 v[26:27], v[4:5], 0, v[10:11]
	s_waitcnt vmcnt(0)
	v_lshlrev_b32_e32 v0, 16, v0
	v_sub_f32_e32 v0, v0, v1
	global_store_short_d16_hi v[26:27], v0, off
	v_mul_f32_e32 v0, v16, v0
	v_lshrrev_b32_e32 v11, 16, v0
.LBB107_70:
	s_or_b64 exec, exec, s[6:7]
	v_mov_b32_e32 v15, 0
	v_lshlrev_b32_e32 v12, 8, v12
	v_mov_b32_e32 v13, 0
	s_and_saveexec_b64 s[6:7], s[2:3]
	s_cbranch_execz .LBB107_72
; %bb.71:
	v_mov_b32_e32 v13, 0
	v_lshl_add_u64 v[0:1], v[6:7], 0, v[12:13]
	global_load_ushort v25, v[0:1], off
	v_lshl_add_u64 v[0:1], v[4:5], 0, v[12:13]
	s_waitcnt vmcnt(0)
	v_lshlrev_b32_e32 v13, 16, v25
	v_sub_f32_e32 v2, v13, v2
	global_store_short_d16_hi v[0:1], v2, off
	v_mul_f32_e32 v0, v20, v2
	v_lshrrev_b32_e32 v13, 16, v0
.LBB107_72:
	s_or_b64 exec, exec, s[6:7]
	v_lshlrev_b32_e32 v14, 8, v14
	s_and_saveexec_b64 s[6:7], s[4:5]
	s_cbranch_execz .LBB107_74
; %bb.73:
	v_mov_b32_e32 v15, 0
	v_lshl_add_u64 v[0:1], v[6:7], 0, v[14:15]
	global_load_ushort v2, v[0:1], off
	v_lshl_add_u64 v[0:1], v[4:5], 0, v[14:15]
	s_waitcnt vmcnt(0)
	v_lshlrev_b32_e32 v2, 16, v2
	v_sub_f32_e32 v2, v2, v3
	global_store_short_d16_hi v[0:1], v2, off
	v_mul_f32_e32 v0, v17, v2
	v_lshrrev_b32_e32 v15, 16, v0
.LBB107_74:
	s_or_b64 exec, exec, s[6:7]
	v_lshlrev_b32_e32 v21, 6, v21
	s_mov_b32 s6, 0x5040100
	v_perm_b32 v26, v11, v9, s6
	v_or_b32_e32 v9, v21, v24
	v_accvgpr_read_b32 v0, a8
	v_perm_b32 v27, v15, v13, s6
	v_lshlrev_b32_e32 v9, 1, v9
	v_accvgpr_read_b32 v1, a9
	v_accvgpr_read_b32 v2, a10
	;; [unrolled: 1-line block ×3, first 2 shown]
	ds_write_b64 v9, v[26:27] offset:24576
	v_mov_b32_e32 v11, 0
	v_mov_b32_e32 v9, 0
	s_and_saveexec_b64 s[6:7], vcc
	s_cbranch_execz .LBB107_76
; %bb.75:
	v_mov_b32_e32 v9, 0
	v_lshl_add_u64 v[24:25], v[6:7], 0, v[8:9]
	global_load_ushort v13, v[24:25], off offset:32
	v_lshl_add_u64 v[24:25], v[4:5], 0, v[8:9]
	s_waitcnt vmcnt(0)
	v_lshlrev_b32_e32 v9, 16, v13
	v_sub_f32_e32 v0, v9, v0
	global_store_short_d16_hi v[24:25], v0, off offset:32
	v_mul_f32_e32 v0, v18, v0
	v_lshrrev_b32_e32 v9, 16, v0
.LBB107_76:
	s_or_b64 exec, exec, s[6:7]
	s_and_saveexec_b64 s[6:7], s[0:1]
	s_cbranch_execz .LBB107_78
; %bb.77:
	v_mov_b32_e32 v11, 0
	v_lshl_add_u64 v[24:25], v[6:7], 0, v[10:11]
	global_load_ushort v0, v[24:25], off offset:32
	v_lshl_add_u64 v[24:25], v[4:5], 0, v[10:11]
	s_waitcnt vmcnt(0)
	v_lshlrev_b32_e32 v0, 16, v0
	v_sub_f32_e32 v0, v0, v1
	global_store_short_d16_hi v[24:25], v0, off offset:32
	v_mul_f32_e32 v0, v16, v0
	v_lshrrev_b32_e32 v11, 16, v0
.LBB107_78:
	s_or_b64 exec, exec, s[6:7]
	v_mov_b32_e32 v15, 0
	v_mov_b32_e32 v13, 0
	s_and_saveexec_b64 s[6:7], s[2:3]
	s_cbranch_execz .LBB107_80
; %bb.79:
	v_mov_b32_e32 v13, 0
	v_lshl_add_u64 v[0:1], v[6:7], 0, v[12:13]
	global_load_ushort v24, v[0:1], off offset:32
	v_lshl_add_u64 v[0:1], v[4:5], 0, v[12:13]
	s_waitcnt vmcnt(0)
	v_lshlrev_b32_e32 v13, 16, v24
	v_sub_f32_e32 v2, v13, v2
	global_store_short_d16_hi v[0:1], v2, off offset:32
	v_mul_f32_e32 v0, v20, v2
	v_lshrrev_b32_e32 v13, 16, v0
.LBB107_80:
	s_or_b64 exec, exec, s[6:7]
	s_and_saveexec_b64 s[6:7], s[4:5]
	s_cbranch_execz .LBB107_82
; %bb.81:
	v_mov_b32_e32 v15, 0
	v_lshl_add_u64 v[0:1], v[6:7], 0, v[14:15]
	global_load_ushort v2, v[0:1], off offset:32
	v_lshl_add_u64 v[0:1], v[4:5], 0, v[14:15]
	s_waitcnt vmcnt(0)
	v_lshlrev_b32_e32 v2, 16, v2
	v_sub_f32_e32 v2, v2, v3
	global_store_short_d16_hi v[0:1], v2, off offset:32
	v_mul_f32_e32 v0, v17, v2
	v_lshrrev_b32_e32 v15, 16, v0
.LBB107_82:
	s_or_b64 exec, exec, s[6:7]
	s_mov_b32 s6, 0x5040100
	v_perm_b32 v24, v11, v9, s6
	v_or_b32_e32 v9, v21, v23
	v_accvgpr_read_b32 v0, a4
	v_perm_b32 v25, v15, v13, s6
	v_lshlrev_b32_e32 v9, 1, v9
	v_accvgpr_read_b32 v1, a5
	v_accvgpr_read_b32 v2, a6
	;; [unrolled: 1-line block ×3, first 2 shown]
	ds_write_b64 v9, v[24:25] offset:24576
	v_mov_b32_e32 v11, 0
	v_mov_b32_e32 v9, 0
	s_and_saveexec_b64 s[6:7], vcc
	s_cbranch_execz .LBB107_84
; %bb.83:
	v_mov_b32_e32 v9, 0
	v_lshl_add_u64 v[24:25], v[6:7], 0, v[8:9]
	global_load_ushort v13, v[24:25], off offset:64
	v_lshl_add_u64 v[24:25], v[4:5], 0, v[8:9]
	s_waitcnt vmcnt(0)
	v_lshlrev_b32_e32 v9, 16, v13
	v_sub_f32_e32 v0, v9, v0
	global_store_short_d16_hi v[24:25], v0, off offset:64
	v_mul_f32_e32 v0, v18, v0
	v_lshrrev_b32_e32 v9, 16, v0
.LBB107_84:
	s_or_b64 exec, exec, s[6:7]
	s_and_saveexec_b64 s[6:7], s[0:1]
	s_cbranch_execz .LBB107_86
; %bb.85:
	v_mov_b32_e32 v11, 0
	v_lshl_add_u64 v[24:25], v[6:7], 0, v[10:11]
	global_load_ushort v0, v[24:25], off offset:64
	v_lshl_add_u64 v[24:25], v[4:5], 0, v[10:11]
	s_waitcnt vmcnt(0)
	v_lshlrev_b32_e32 v0, 16, v0
	v_sub_f32_e32 v0, v0, v1
	global_store_short_d16_hi v[24:25], v0, off offset:64
	v_mul_f32_e32 v0, v16, v0
	v_lshrrev_b32_e32 v11, 16, v0
.LBB107_86:
	s_or_b64 exec, exec, s[6:7]
	v_mov_b32_e32 v15, 0
	v_mov_b32_e32 v13, 0
	s_and_saveexec_b64 s[6:7], s[2:3]
	s_cbranch_execz .LBB107_88
; %bb.87:
	v_mov_b32_e32 v13, 0
	v_lshl_add_u64 v[0:1], v[6:7], 0, v[12:13]
	global_load_ushort v23, v[0:1], off offset:64
	v_lshl_add_u64 v[0:1], v[4:5], 0, v[12:13]
	s_waitcnt vmcnt(0)
	v_lshlrev_b32_e32 v13, 16, v23
	v_sub_f32_e32 v2, v13, v2
	global_store_short_d16_hi v[0:1], v2, off offset:64
	v_mul_f32_e32 v0, v20, v2
	v_lshrrev_b32_e32 v13, 16, v0
.LBB107_88:
	s_or_b64 exec, exec, s[6:7]
	s_and_saveexec_b64 s[6:7], s[4:5]
	s_cbranch_execz .LBB107_90
; %bb.89:
	v_mov_b32_e32 v15, 0
	v_lshl_add_u64 v[0:1], v[6:7], 0, v[14:15]
	global_load_ushort v2, v[0:1], off offset:64
	v_lshl_add_u64 v[0:1], v[4:5], 0, v[14:15]
	s_waitcnt vmcnt(0)
	v_lshlrev_b32_e32 v2, 16, v2
	v_sub_f32_e32 v2, v2, v3
	global_store_short_d16_hi v[0:1], v2, off offset:64
	v_mul_f32_e32 v0, v17, v2
	v_lshrrev_b32_e32 v15, 16, v0
.LBB107_90:
	s_or_b64 exec, exec, s[6:7]
	s_mov_b32 s6, 0x5040100
	v_perm_b32 v24, v11, v9, s6
	v_or_b32_e32 v9, v21, v22
	v_accvgpr_read_b32 v0, a0
	v_perm_b32 v25, v15, v13, s6
	v_lshlrev_b32_e32 v9, 1, v9
	v_accvgpr_read_b32 v1, a1
	v_accvgpr_read_b32 v2, a2
	;; [unrolled: 1-line block ×3, first 2 shown]
	ds_write_b64 v9, v[24:25] offset:24576
	v_mov_b32_e32 v11, 0
	v_mov_b32_e32 v9, 0
	s_and_saveexec_b64 s[6:7], vcc
	s_cbranch_execz .LBB107_92
; %bb.91:
	v_mov_b32_e32 v9, 0
	v_lshl_add_u64 v[22:23], v[6:7], 0, v[8:9]
	global_load_ushort v13, v[22:23], off offset:96
	v_lshl_add_u64 v[8:9], v[4:5], 0, v[8:9]
	s_waitcnt vmcnt(0)
	v_lshlrev_b32_e32 v13, 16, v13
	v_sub_f32_e32 v0, v13, v0
	global_store_short_d16_hi v[8:9], v0, off offset:96
	v_mul_f32_e32 v0, v18, v0
	v_lshrrev_b32_e32 v9, 16, v0
.LBB107_92:
	s_or_b64 exec, exec, s[6:7]
	s_and_saveexec_b64 s[6:7], s[0:1]
	s_cbranch_execz .LBB107_94
; %bb.93:
	v_mov_b32_e32 v11, 0
	v_lshl_add_u64 v[22:23], v[6:7], 0, v[10:11]
	global_load_ushort v0, v[22:23], off offset:96
	v_lshl_add_u64 v[10:11], v[4:5], 0, v[10:11]
	s_waitcnt vmcnt(0)
	v_lshlrev_b32_e32 v0, 16, v0
	v_sub_f32_e32 v0, v0, v1
	global_store_short_d16_hi v[10:11], v0, off offset:96
	v_mul_f32_e32 v0, v16, v0
	v_lshrrev_b32_e32 v11, 16, v0
.LBB107_94:
	s_or_b64 exec, exec, s[6:7]
	v_mov_b32_e32 v0, 0
	v_mov_b32_e32 v1, 0
	s_and_saveexec_b64 s[0:1], s[2:3]
	s_cbranch_execz .LBB107_96
; %bb.95:
	v_mov_b32_e32 v13, 0
	v_lshl_add_u64 v[22:23], v[6:7], 0, v[12:13]
	global_load_ushort v1, v[22:23], off offset:96
	v_lshl_add_u64 v[12:13], v[4:5], 0, v[12:13]
	s_waitcnt vmcnt(0)
	v_lshlrev_b32_e32 v1, 16, v1
	v_sub_f32_e32 v1, v1, v2
	global_store_short_d16_hi v[12:13], v1, off offset:96
	v_mul_f32_e32 v1, v20, v1
	v_lshrrev_b32_e32 v1, 16, v1
.LBB107_96:
	s_or_b64 exec, exec, s[0:1]
	s_and_saveexec_b64 s[0:1], s[4:5]
	s_cbranch_execz .LBB107_98
; %bb.97:
	v_mov_b32_e32 v15, 0
	v_lshl_add_u64 v[6:7], v[6:7], 0, v[14:15]
	global_load_ushort v0, v[6:7], off offset:96
	v_lshl_add_u64 v[4:5], v[4:5], 0, v[14:15]
	s_waitcnt vmcnt(0)
	v_lshlrev_b32_e32 v0, 16, v0
	v_sub_f32_e32 v0, v0, v3
	global_store_short_d16_hi v[4:5], v0, off offset:96
	v_mul_f32_e32 v0, v17, v0
	v_lshrrev_b32_e32 v0, 16, v0
.LBB107_98:
	s_or_b64 exec, exec, s[0:1]
	s_mov_b32 s0, 0x5040100
	v_or_b32_e32 v2, v21, v19
	v_perm_b32 v1, v0, v1, s0
	v_perm_b32 v0, v11, v9, s0
	v_lshlrev_b32_e32 v2, 1, v2
	ds_write_b64 v2, v[0:1] offset:24576
	s_waitcnt lgkmcnt(0)
	s_barrier
.LBB107_99:
	s_endpgm
	.section	.rodata,"a",@progbits
	.p2align	6, 0x0
	.amdhsa_kernel _ZN12_GLOBAL__N_139chunk_gated_delta_rule_fwd_h_hip_kernelILi64ELb1ELb0ELb1ELb0ELb0ELb0ELb1ELb1EEEvPK12hip_bfloat16S3_S3_PKfS5_PKvPS1_S8_PvPKiSB_iiiiilll
		.amdhsa_group_segment_fixed_size 65536
		.amdhsa_private_segment_fixed_size 0
		.amdhsa_kernarg_size 136
		.amdhsa_user_sgpr_count 2
		.amdhsa_user_sgpr_dispatch_ptr 0
		.amdhsa_user_sgpr_queue_ptr 0
		.amdhsa_user_sgpr_kernarg_segment_ptr 1
		.amdhsa_user_sgpr_dispatch_id 0
		.amdhsa_user_sgpr_kernarg_preload_length 0
		.amdhsa_user_sgpr_kernarg_preload_offset 0
		.amdhsa_user_sgpr_private_segment_size 0
		.amdhsa_uses_dynamic_stack 0
		.amdhsa_enable_private_segment 0
		.amdhsa_system_sgpr_workgroup_id_x 1
		.amdhsa_system_sgpr_workgroup_id_y 1
		.amdhsa_system_sgpr_workgroup_id_z 0
		.amdhsa_system_sgpr_workgroup_info 0
		.amdhsa_system_vgpr_workitem_id 0
		.amdhsa_next_free_vgpr 216
		.amdhsa_next_free_sgpr 68
		.amdhsa_accum_offset 180
		.amdhsa_reserve_vcc 1
		.amdhsa_float_round_mode_32 0
		.amdhsa_float_round_mode_16_64 0
		.amdhsa_float_denorm_mode_32 3
		.amdhsa_float_denorm_mode_16_64 3
		.amdhsa_dx10_clamp 1
		.amdhsa_ieee_mode 1
		.amdhsa_fp16_overflow 0
		.amdhsa_tg_split 0
		.amdhsa_exception_fp_ieee_invalid_op 0
		.amdhsa_exception_fp_denorm_src 0
		.amdhsa_exception_fp_ieee_div_zero 0
		.amdhsa_exception_fp_ieee_overflow 0
		.amdhsa_exception_fp_ieee_underflow 0
		.amdhsa_exception_fp_ieee_inexact 0
		.amdhsa_exception_int_div_zero 0
	.end_amdhsa_kernel
	.section	.text._ZN12_GLOBAL__N_139chunk_gated_delta_rule_fwd_h_hip_kernelILi64ELb1ELb0ELb1ELb0ELb0ELb0ELb1ELb1EEEvPK12hip_bfloat16S3_S3_PKfS5_PKvPS1_S8_PvPKiSB_iiiiilll,"axG",@progbits,_ZN12_GLOBAL__N_139chunk_gated_delta_rule_fwd_h_hip_kernelILi64ELb1ELb0ELb1ELb0ELb0ELb0ELb1ELb1EEEvPK12hip_bfloat16S3_S3_PKfS5_PKvPS1_S8_PvPKiSB_iiiiilll,comdat
.Lfunc_end107:
	.size	_ZN12_GLOBAL__N_139chunk_gated_delta_rule_fwd_h_hip_kernelILi64ELb1ELb0ELb1ELb0ELb0ELb0ELb1ELb1EEEvPK12hip_bfloat16S3_S3_PKfS5_PKvPS1_S8_PvPKiSB_iiiiilll, .Lfunc_end107-_ZN12_GLOBAL__N_139chunk_gated_delta_rule_fwd_h_hip_kernelILi64ELb1ELb0ELb1ELb0ELb0ELb0ELb1ELb1EEEvPK12hip_bfloat16S3_S3_PKfS5_PKvPS1_S8_PvPKiSB_iiiiilll
                                        ; -- End function
	.section	.AMDGPU.csdata,"",@progbits
; Kernel info:
; codeLenInByte = 11448
; NumSgprs: 74
; NumVgprs: 180
; NumAgprs: 36
; TotalNumVgprs: 216
; ScratchSize: 0
; MemoryBound: 0
; FloatMode: 240
; IeeeMode: 1
; LDSByteSize: 65536 bytes/workgroup (compile time only)
; SGPRBlocks: 9
; VGPRBlocks: 26
; NumSGPRsForWavesPerEU: 74
; NumVGPRsForWavesPerEU: 216
; AccumOffset: 180
; Occupancy: 1
; WaveLimiterHint : 1
; COMPUTE_PGM_RSRC2:SCRATCH_EN: 0
; COMPUTE_PGM_RSRC2:USER_SGPR: 2
; COMPUTE_PGM_RSRC2:TRAP_HANDLER: 0
; COMPUTE_PGM_RSRC2:TGID_X_EN: 1
; COMPUTE_PGM_RSRC2:TGID_Y_EN: 1
; COMPUTE_PGM_RSRC2:TGID_Z_EN: 0
; COMPUTE_PGM_RSRC2:TIDIG_COMP_CNT: 0
; COMPUTE_PGM_RSRC3_GFX90A:ACCUM_OFFSET: 44
; COMPUTE_PGM_RSRC3_GFX90A:TG_SPLIT: 0
	.section	.text._ZN12_GLOBAL__N_139chunk_gated_delta_rule_fwd_h_hip_kernelILi64ELb1ELb0ELb0ELb0ELb0ELb0ELb1ELb1EEEvPK12hip_bfloat16S3_S3_PKfS5_PKvPS1_S8_PvPKiSB_iiiiilll,"axG",@progbits,_ZN12_GLOBAL__N_139chunk_gated_delta_rule_fwd_h_hip_kernelILi64ELb1ELb0ELb0ELb0ELb0ELb0ELb1ELb1EEEvPK12hip_bfloat16S3_S3_PKfS5_PKvPS1_S8_PvPKiSB_iiiiilll,comdat
	.globl	_ZN12_GLOBAL__N_139chunk_gated_delta_rule_fwd_h_hip_kernelILi64ELb1ELb0ELb0ELb0ELb0ELb0ELb1ELb1EEEvPK12hip_bfloat16S3_S3_PKfS5_PKvPS1_S8_PvPKiSB_iiiiilll ; -- Begin function _ZN12_GLOBAL__N_139chunk_gated_delta_rule_fwd_h_hip_kernelILi64ELb1ELb0ELb0ELb0ELb0ELb0ELb1ELb1EEEvPK12hip_bfloat16S3_S3_PKfS5_PKvPS1_S8_PvPKiSB_iiiiilll
	.p2align	8
	.type	_ZN12_GLOBAL__N_139chunk_gated_delta_rule_fwd_h_hip_kernelILi64ELb1ELb0ELb0ELb0ELb0ELb0ELb1ELb1EEEvPK12hip_bfloat16S3_S3_PKfS5_PKvPS1_S8_PvPKiSB_iiiiilll,@function
_ZN12_GLOBAL__N_139chunk_gated_delta_rule_fwd_h_hip_kernelILi64ELb1ELb0ELb0ELb0ELb0ELb0ELb1ELb1EEEvPK12hip_bfloat16S3_S3_PKfS5_PKvPS1_S8_PvPKiSB_iiiiilll: ; @_ZN12_GLOBAL__N_139chunk_gated_delta_rule_fwd_h_hip_kernelILi64ELb1ELb0ELb0ELb0ELb0ELb0ELb1ELb1EEEvPK12hip_bfloat16S3_S3_PKfS5_PKvPS1_S8_PvPKiSB_iiiiilll
; %bb.0:
	s_load_dwordx4 s[12:15], s[0:1], 0x5c
	s_load_dwordx4 s[16:19], s[0:1], 0x28
	s_abs_i32 s6, s3
	s_ashr_i32 s5, s3, 31
	v_and_b32_e32 v77, 15, v0
	s_waitcnt lgkmcnt(0)
	s_abs_i32 s4, s13
	v_cvt_f32_u32_e32 v1, s4
	s_sub_i32 s8, 0, s4
	s_ashr_i32 s7, s13, 31
	s_xor_b32 s5, s5, s7
	v_rcp_iflag_f32_e32 v1, v1
	v_lshrrev_b32_e32 v75, 6, v0
	v_bfe_u32 v76, v0, 4, 2
	v_mov_b32_e32 v7, 0
	v_mul_f32_e32 v1, 0x4f7ffffe, v1
	v_cvt_u32_f32_e32 v1, v1
	v_and_b32_e32 v74, 63, v0
	v_lshlrev_b32_e32 v78, 3, v0
	v_lshrrev_b32_e32 v79, 3, v74
	v_readfirstlane_b32 s9, v1
	s_mul_i32 s8, s8, s9
	s_mul_hi_u32 s8, s9, s8
	s_add_i32 s9, s9, s8
	s_mul_hi_u32 s8, s6, s9
	s_mul_i32 s9, s8, s4
	s_sub_i32 s6, s6, s9
	s_add_i32 s10, s8, 1
	s_sub_i32 s9, s6, s4
	s_cmp_ge_u32 s6, s4
	s_cselect_b32 s8, s10, s8
	s_cselect_b32 s6, s9, s6
	s_add_i32 s9, s8, 1
	s_cmp_ge_u32 s6, s4
	s_cselect_b32 s6, s9, s8
	s_xor_b32 s6, s6, s5
	s_sub_i32 s49, s6, s5
	s_mul_i32 s6, s49, s13
	s_sub_i32 s46, s3, s6
	s_abs_i32 s3, s14
	v_cvt_f32_u32_e32 v1, s3
	s_add_i32 s8, s12, 63
	s_ashr_i32 s9, s8, 31
	s_lshr_b32 s5, s9, 26
	v_rcp_iflag_f32_e32 v1, v1
	s_ashr_i32 s48, s12, 31
	s_add_i32 s8, s8, s5
	s_lshr_b32 s5, s48, 26
	v_mul_f32_e32 v1, 0x4f7ffffe, v1
	v_cvt_u32_f32_e32 v1, v1
	s_add_i32 s5, s12, s5
	s_ashr_i32 s51, s14, 31
	s_ashr_i32 s24, s8, 6
	;; [unrolled: 1-line block ×3, first 2 shown]
	s_xor_b32 s5, s7, s51
	s_sub_i32 s7, 0, s3
	v_readfirstlane_b32 s8, v1
	s_mul_i32 s7, s7, s8
	s_mul_hi_u32 s7, s8, s7
	s_add_i32 s8, s8, s7
	s_mul_hi_u32 s7, s4, s8
	s_mul_i32 s8, s7, s3
	s_sub_i32 s4, s4, s8
	s_lshl_b32 s2, s2, 6
	s_add_i32 s8, s7, 1
	s_sub_i32 s9, s4, s3
	s_cmp_ge_u32 s4, s3
	s_cselect_b32 s7, s8, s7
	s_cselect_b32 s4, s9, s4
	s_add_i32 s8, s7, 1
	s_cmp_ge_u32 s4, s3
	s_cselect_b32 s3, s8, s7
	s_xor_b32 s3, s3, s5
	s_sub_i32 s3, s3, s5
	s_abs_i32 s4, s3
	v_cvt_f32_u32_e32 v1, s4
	s_sub_i32 s7, 0, s4
	s_abs_i32 s5, s46
	s_xor_b32 s3, s46, s3
	v_rcp_iflag_f32_e32 v1, v1
	s_ashr_i32 s3, s3, 31
	v_or_b32_e32 v34, s2, v77
	v_lshlrev_b32_e32 v2, 7, v34
	v_mul_f32_e32 v1, 0x4f7ffffe, v1
	v_cvt_u32_f32_e32 v1, v1
	v_or_b32_e32 v10, 0x800, v2
	v_ashrrev_i32_e32 v3, 31, v2
	v_ashrrev_i32_e32 v11, 31, v10
	v_readfirstlane_b32 s8, v1
	s_mul_i32 s7, s7, s8
	s_mul_hi_u32 s7, s8, s7
	s_add_i32 s8, s8, s7
	s_mul_hi_u32 s7, s5, s8
	s_mul_i32 s8, s7, s4
	s_sub_i32 s5, s5, s8
	s_add_i32 s8, s7, 1
	s_sub_i32 s9, s5, s4
	s_cmp_ge_u32 s5, s4
	s_cselect_b32 s7, s8, s7
	s_cselect_b32 s5, s9, s5
	s_add_i32 s8, s7, 1
	s_cmp_ge_u32 s5, s4
	s_cselect_b32 s4, s8, s7
	s_xor_b32 s4, s4, s3
	s_sub_i32 s52, s4, s3
	s_ashr_i32 s3, s49, 31
	s_ashr_i32 s47, s46, 31
	s_mul_hi_i32 s4, s49, s13
	s_add_u32 s36, s6, s46
	s_addc_u32 s37, s4, s47
	s_lshl_b64 s[4:5], s[36:37], 15
	v_lshlrev_b32_e32 v1, 4, v75
	s_add_u32 s4, s16, s4
	v_lshl_or_b32 v80, v76, 2, v1
	s_addc_u32 s5, s17, s5
	v_lshl_add_u64 v[4:5], v[2:3], 1, s[4:5]
	v_lshlrev_b32_e32 v6, 1, v80
	v_lshl_add_u64 v[10:11], v[10:11], 1, s[4:5]
	v_lshl_add_u64 v[4:5], v[4:5], 0, v[6:7]
	;; [unrolled: 1-line block ×3, first 2 shown]
	global_load_dwordx2 v[8:9], v[4:5], off
	v_or_b32_e32 v81, 64, v80
	global_load_dwordx2 v[4:5], v[4:5], off offset:128
	s_nop 0
	global_load_dwordx2 v[12:13], v[10:11], off
	global_load_dwordx2 v[14:15], v[10:11], off offset:128
	v_or_b32_e32 v10, 0x1000, v2
	v_or_b32_e32 v2, 0x1800, v2
	v_ashrrev_i32_e32 v11, 31, v10
	v_ashrrev_i32_e32 v3, 31, v2
	v_lshl_add_u64 v[10:11], v[10:11], 1, s[4:5]
	v_lshl_add_u64 v[2:3], v[2:3], 1, s[4:5]
	;; [unrolled: 1-line block ×4, first 2 shown]
	global_load_dwordx2 v[16:17], v[10:11], off
	s_mul_i32 s53, s49, s24
	global_load_dwordx2 v[10:11], v[10:11], off offset:128
	s_nop 0
	global_load_dwordx2 v[6:7], v[2:3], off
	global_load_dwordx2 v[18:19], v[2:3], off offset:128
	s_load_dwordx8 s[4:11], s[0:1], 0x0
	s_load_dwordx2 s[28:29], s[0:1], 0x80
	s_load_dwordx4 s[20:23], s[0:1], 0x70
	s_cmp_lt_i32 s12, 64
	s_mul_i32 s54, s37, s12
	s_mul_hi_u32 s55, s36, s12
	s_mul_i32 s16, s36, s12
	s_waitcnt lgkmcnt(0)
	s_mul_i32 s33, s49, s21
	s_mul_hi_u32 s42, s49, s20
	s_mul_i32 s37, s3, s20
	s_mul_i32 s34, s49, s20
	;; [unrolled: 1-line block ×3, first 2 shown]
	s_mul_hi_u32 s44, s46, s22
	s_mul_i32 s45, s47, s22
	s_mul_i32 s30, s46, s22
	s_waitcnt vmcnt(7)
	v_and_b32_e32 v63, 0xffff0000, v8
	v_lshlrev_b32_e32 v62, 16, v8
	v_and_b32_e32 v67, 0xffff0000, v9
	v_lshlrev_b32_e32 v66, 16, v9
	s_waitcnt vmcnt(6)
	v_and_b32_e32 v61, 0xffff0000, v4
	v_lshlrev_b32_e32 v60, 16, v4
	v_and_b32_e32 v65, 0xffff0000, v5
	v_lshlrev_b32_e32 v64, 16, v5
	;; [unrolled: 5-line block ×8, first 2 shown]
	s_cbranch_scc1 .LBB108_18
; %bb.1:
	s_add_i32 s17, s55, s54
	s_lshl_b64 s[0:1], s[16:17], 8
	v_and_b32_e32 v83, 56, v78
	s_add_u32 s20, s6, s0
	v_lshl_or_b32 v82, v75, 3, v79
	v_lshlrev_b32_e32 v2, 1, v83
	s_addc_u32 s0, s7, s1
	v_lshl_or_b32 v84, v82, 8, v2
	s_and_b32 s21, s0, 0xffff
	s_mov_b32 s23, 0x20000
	s_movk_i32 s22, 0x4000
	s_movk_i32 s0, 0x80
	v_or_b32_e32 v85, 0x2000, v84
	buffer_load_dwordx4 v[4:7], v84, s[20:23], 0 offen
	buffer_load_dwordx4 v[8:11], v84, s[20:23], s0 offen
	;; [unrolled: 1-line block ×4, first 2 shown]
	v_lshlrev_b32_e32 v3, 3, v82
	v_and_or_b32 v21, v0, 7, v3
	v_and_b32_e32 v3, 0x78, v3
	v_lshlrev_b32_e32 v21, 4, v21
	v_xor_b32_e32 v86, v21, v3
	v_mul_lo_u32 v20, v82, s15
	v_or_b32_e32 v87, 0x1000, v86
	v_xor_b32_e32 v3, 8, v86
	s_cmpk_eq_i32 s15, 0x80
	s_mov_b32 s56, s14
	v_xor_b32_e32 v21, 8, v87
	s_cselect_b64 s[0:1], -1, 0
	s_cmpk_lg_i32 s15, 0x80
	s_waitcnt vmcnt(3)
	ds_write_b64 v86, v[4:5] offset:49152
	ds_write_b64 v3, v[6:7] offset:49152
	s_waitcnt vmcnt(2)
	ds_write_b64 v86, v[8:9] offset:57344
	ds_write_b64 v3, v[10:11] offset:57344
	;; [unrolled: 3-line block ×4, first 2 shown]
	v_lshl_add_u32 v3, v20, 1, v83
	s_cbranch_scc0 .LBB108_3
; %bb.2:
	v_lshlrev_b32_e32 v5, 1, v3
	v_add_lshl_u32 v4, v3, s15, 1
	s_lshl_b32 s22, s15, 7
	v_lshl_or_b32 v2, v82, 9, v2
	s_cbranch_execz .LBB108_4
	s_branch .LBB108_5
.LBB108_3:
                                        ; implicit-def: $vgpr4
                                        ; implicit-def: $vgpr5
                                        ; implicit-def: $sgpr22
	v_lshl_or_b32 v2, v82, 9, v2
.LBB108_4:
	v_or_b32_e32 v4, 0x100, v2
	s_movk_i32 s22, 0x4000
	v_mov_b32_e32 v5, v2
.LBB108_5:
	s_mul_hi_u32 s20, s14, s12
	s_mul_i32 s21, s51, s12
	s_add_i32 s20, s20, s21
	s_mul_i32 s21, s14, s12
	s_mul_i32 s23, s21, s3
	s_mul_hi_u32 s24, s21, s49
	s_add_i32 s23, s24, s23
	s_mul_i32 s20, s20, s49
	s_add_i32 s23, s23, s20
	s_mul_i32 s21, s21, s49
	s_ashr_i32 s57, s52, 31
	s_add_u32 s20, s21, s52
	s_addc_u32 s21, s23, s57
	s_lshl_b64 s[20:21], s[20:21], 8
	s_add_u32 s20, s4, s20
	s_addc_u32 s21, s5, s21
	s_and_b32 s21, s21, 0xffff
	s_mov_b32 s23, 0x20000
	s_movk_i32 s58, 0x80
	buffer_load_dwordx4 v[6:9], v5, s[20:23], 0 offen
	buffer_load_dwordx4 v[10:13], v5, s[20:23], s58 offen
	buffer_load_dwordx4 v[14:17], v4, s[20:23], 0 offen
	buffer_load_dwordx4 v[18:21], v4, s[20:23], s58 offen
	v_and_b32_e32 v5, 6, v0
	v_lshlrev_b32_e32 v4, 7, v80
	v_xor_b32_e32 v26, v82, v5
	v_and_b32_e32 v22, 1, v0
	v_lshl_or_b32 v29, v77, 3, v4
	v_lshlrev_b32_e32 v26, 2, v26
	v_or_b32_e32 v88, 0x4000, v29
	v_or_b32_e32 v89, 0x6000, v29
	v_xor_b32_e32 v29, 0x440, v26
	v_cmp_eq_u32_e32 vcc, 0, v22
	v_lshlrev_b32_e32 v23, 2, v77
	s_mov_b32 s60, 0x1000504
	v_cndmask_b32_e32 v22, v29, v26, vcc
	v_xor_b32_e32 v27, v80, v23
	v_xor_b32_e32 v28, v81, v23
	v_lshl_or_b32 v5, v5, 10, v22
	s_mov_b32 s61, 0x3020706
	v_lshlrev_b32_e32 v24, 8, v77
	v_or_b32_e32 v25, 16, v77
	v_lshlrev_b32_e32 v27, 1, v27
	v_lshlrev_b32_e32 v28, 1, v28
	v_xor_b32_e32 v22, 8, v5
	v_xor_b32_e32 v26, 24, v5
	v_xor_b32_e32 v31, 40, v5
	v_xor_b32_e32 v33, 56, v5
	s_mul_i32 s3, s3, s12
	s_mul_hi_u32 s20, s49, s12
	v_or_b32_e32 v91, v24, v27
	v_or_b32_e32 v92, v24, v28
	v_xor_b32_e32 v24, 16, v5
	v_xor_b32_e32 v29, 32, v5
	;; [unrolled: 1-line block ×3, first 2 shown]
	v_add_u32_e32 v22, 0x80, v22
	v_add_u32_e32 v26, 0x80, v26
	;; [unrolled: 1-line block ×4, first 2 shown]
	s_add_i32 s63, s20, s3
	s_add_i32 s3, s42, s33
	;; [unrolled: 1-line block ×5, first 2 shown]
	s_lshl_b64 s[20:21], s[34:35], 2
	s_add_u32 s3, s10, s20
	s_addc_u32 s24, s11, s21
	s_lshl_b64 s[20:21], s[30:31], 2
	s_add_u32 s38, s3, s20
	s_movk_i32 s3, 0xf8
	s_addc_u32 s39, s24, s21
	s_lshl_b32 s26, s15, 7
	s_movk_i32 s24, 0x100
	v_mov_b32_e32 v69, 0
	v_cmp_gt_u32_e32 vcc, s24, v0
	v_lshl_or_b32 v30, v25, 3, v4
	s_mov_b32 s59, 0
	s_mul_i32 s62, s49, s12
	v_or_b32_e32 v90, 0x4000, v30
	s_movk_i32 s22, 0x4000
	v_or_b32_e32 v93, 0x6000, v30
	s_movk_i32 s31, 0x2000
	s_movk_i32 s35, 0x3000
	v_mov_b32_e32 v131, 0x3fb8aa3b
	s_mov_b32 s65, 0
	s_waitcnt vmcnt(1)
	v_perm_b32 v35, v6, v14, s60
	s_waitcnt vmcnt(0)
	v_perm_b32 v68, v10, v18, s60
	v_perm_b32 v6, v6, v14, s61
	;; [unrolled: 1-line block ×15, first 2 shown]
	ds_write2st64_b32 v5, v35, v68 offset0:128 offset1:160
	ds_write2st64_b32 v22, v6, v10 offset0:128 offset1:160
	ds_write2st64_b32 v24, v14, v18 offset0:129 offset1:161
	ds_write2st64_b32 v26, v7, v11 offset0:129 offset1:161
	ds_write2st64_b32 v29, v15, v19 offset0:130 offset1:162
	ds_write2st64_b32 v31, v8, v12 offset0:130 offset1:162
	ds_write2st64_b32 v32, v16, v20 offset0:131 offset1:163
	ds_write2st64_b32 v33, v9, v13 offset0:131 offset1:163
	v_lshlrev_b32_e32 v5, 8, v25
	v_or_b32_e32 v94, v5, v27
	v_or_b32_e32 v95, v5, v28
	;; [unrolled: 1-line block ×3, first 2 shown]
	v_lshl_or_b32 v6, v5, 3, v4
	v_lshlrev_b32_e32 v5, 8, v5
	v_or_b32_e32 v98, v5, v27
	v_or_b32_e32 v99, v5, v28
	;; [unrolled: 1-line block ×5, first 2 shown]
	v_lshl_or_b32 v6, v5, 3, v4
	v_lshlrev_b32_e32 v5, 8, v5
	v_or_b32_e32 v102, v5, v27
	v_or_b32_e32 v103, v5, v28
	v_or_b32_e32 v5, v1, v77
	v_lshlrev_b32_e32 v5, 3, v5
	v_lshrrev_b32_e32 v7, 5, v74
	v_and_or_b32 v7, v5, s3, v7
	v_lshlrev_b32_e32 v7, 4, v7
	v_lshlrev_b32_e32 v8, 11, v75
	v_and_b32_e32 v5, 0x78, v5
	v_or_b32_e32 v13, 32, v7
	v_or_b32_e32 v100, 0x4000, v6
	;; [unrolled: 1-line block ×3, first 2 shown]
	v_and_b32_e32 v6, 0x1000, v8
	v_xor_b32_e32 v9, v7, v5
	v_lshrrev_b32_e32 v10, 1, v0
	v_xor_b32_e32 v13, v13, v5
	v_or_b32_e32 v9, v9, v6
	v_and_b32_e32 v11, 8, v10
	v_or_b32_e32 v13, v13, v6
	v_xor_b32_e32 v104, v9, v11
	v_lshlrev_b32_e32 v9, 8, v76
	v_xor_b32_e32 v106, v13, v11
	v_or_b32_e32 v13, 64, v7
	v_or_b32_e32 v7, 0x60, v7
	s_ashr_i32 s3, s2, 31
	v_or_b32_e32 v12, v9, v23
	v_xor_b32_e32 v13, v13, v5
	v_xor_b32_e32 v5, v7, v5
	s_lshl_b64 s[20:21], s[2:3], 8
	v_lshlrev_b32_e32 v12, 1, v12
	v_or_b32_e32 v13, v13, v6
	v_or_b32_e32 v5, v5, v6
	s_add_u32 s20, s18, s20
	v_lshlrev_b32_e32 v6, 1, v77
	v_or_b32_e32 v105, 0x4000, v12
	v_or_b32_e32 v107, 0x4080, v12
	;; [unrolled: 1-line block ×8, first 2 shown]
	v_lshrrev_b32_e32 v12, 4, v0
	s_addc_u32 s21, s19, s21
	v_or_b32_e32 v7, 1, v6
	v_lshlrev_b32_e32 v68, 4, v77
	v_mov_b32_e32 v16, 0xa000
	v_mov_b32_e32 v17, 0x8000
	v_xor_b32_e32 v110, v13, v11
	v_xor_b32_e32 v13, v12, v6
	;; [unrolled: 1-line block ×3, first 2 shown]
	v_lshl_add_u64 v[6:7], s[20:21], 0, v[68:69]
	v_lshlrev_b32_e32 v68, 8, v12
	v_cndmask_b32_e32 v16, v16, v17, vcc
	v_lshlrev_b32_e32 v17, 3, v75
	v_and_b32_e32 v10, 24, v10
	v_lshl_or_b32 v116, v13, 3, v68
	v_and_b32_e32 v13, 8, v0
	v_xor_b32_e32 v18, v17, v10
	v_or_b32_e32 v19, 0x440, v18
	v_cmp_eq_u32_e32 vcc, 0, v13
	v_and_b32_e32 v12, 7, v0
	v_lshl_or_b32 v117, v14, 3, v68
	v_cndmask_b32_e32 v13, v19, v18, vcc
	v_lshlrev_b32_e32 v14, 3, v12
	v_lshlrev_b32_e32 v12, 7, v12
	v_or_b32_e32 v13, v13, v8
	v_lshlrev_b32_e32 v15, 2, v0
	v_xad_u32 v118, v13, v14, v12
	v_or_b32_e32 v13, 32, v10
	v_and_or_b32 v9, v15, 60, v9
	v_xor_b32_e32 v13, v17, v13
	v_lshlrev_b32_e32 v9, 1, v9
	v_or_b32_e32 v15, 0x440, v13
	v_or_b32_e32 v119, 0x6000, v9
	v_cndmask_b32_e32 v13, v15, v13, vcc
	v_or_b32_e32 v121, 0x6080, v9
	v_or_b32_e32 v122, 0x6100, v9
	;; [unrolled: 1-line block ×5, first 2 shown]
	v_xor_b32_e32 v9, v17, v9
	v_xad_u32 v120, v13, v14, v12
	v_xor_b32_e32 v13, 0x440, v9
	v_cndmask_b32_e32 v9, v13, v9, vcc
	v_or_b32_e32 v9, v9, v8
	v_xad_u32 v124, v9, v14, v12
	v_or_b32_e32 v9, 0x60, v10
	v_xor_b32_e32 v9, v17, v9
	v_xor_b32_e32 v10, 0x440, v9
	v_cndmask_b32_e32 v9, v10, v9, vcc
	v_or_b32_e32 v8, v9, v8
	v_xor_b32_e32 v111, v5, v11
	v_ashrrev_i32_e32 v35, 31, v34
	v_lshlrev_b32_e32 v5, 1, v3
	v_add_lshl_u32 v3, v3, s15, 1
	v_or_b32_e32 v11, 0x100, v2
	v_xad_u32 v125, v8, v14, v12
	v_cndmask_b32_e64 v126, v5, v2, s[0:1]
	v_cndmask_b32_e64 v127, v3, v11, s[0:1]
	v_lshl_add_u64 v[70:71], v[34:35], 1, s[8:9]
	v_lshl_add_u64 v[72:73], v[6:7], 0, v[68:69]
	s_mov_b32 s3, 0x7060302
	v_lshlrev_b32_e32 v68, 1, v4
	v_add_u32_e32 v35, v16, v118
	v_add_u32_e32 v128, v16, v120
	;; [unrolled: 1-line block ×4, first 2 shown]
	s_waitcnt lgkmcnt(0)
	s_barrier
.LBB108_6:                              ; =>This Inner Loop Header: Depth=1
	s_add_i32 s64, s65, 1
	s_cmp_lt_i32 s64, s50
	s_mov_b64 s[24:25], 0
	s_cselect_b64 s[40:41], -1, 0
	s_cmp_ge_i32 s64, s50
	s_mov_b64 s[20:21], 0
	s_cbranch_scc1 .LBB108_8
; %bb.7:                                ;   in Loop: Header=BB108_6 Depth=1
	s_add_i32 s0, s59, 64
	s_add_u32 s0, s16, s0
	s_addc_u32 s1, s17, 0
	s_lshl_b64 s[0:1], s[0:1], 8
	s_add_u32 s20, s6, s0
	s_addc_u32 s21, s7, s1
.LBB108_8:                              ;   in Loop: Header=BB108_6 Depth=1
	v_cndmask_b32_e64 v2, 0, 1, s[40:41]
	v_cmp_ne_u32_e64 s[0:1], 1, v2
	s_andn2_b64 vcc, exec, s[40:41]
	s_cbranch_vccnz .LBB108_10
; %bb.9:                                ;   in Loop: Header=BB108_6 Depth=1
	s_add_i32 s24, s59, 64
	s_add_u32 s24, s62, s24
	s_addc_u32 s25, s63, 0
	s_mul_i32 s27, s24, s51
	s_mul_hi_u32 s40, s24, s56
	s_add_i32 s27, s40, s27
	s_mul_i32 s25, s25, s56
	s_add_i32 s27, s27, s25
	s_mul_i32 s24, s24, s56
	s_add_u32 s24, s24, s52
	s_addc_u32 s25, s27, s57
	s_lshl_b64 s[24:25], s[24:25], 8
	s_add_u32 s24, s4, s24
	s_addc_u32 s25, s5, s25
.LBB108_10:                             ;   in Loop: Header=BB108_6 Depth=1
	v_perm_b32 v3, v67, v66, s3
	v_perm_b32 v2, v63, v62, s3
	v_perm_b32 v5, v65, v64, s3
	v_perm_b32 v4, v61, v60, s3
	ds_write_b64 v88, v[2:3]
	ds_write_b64 v89, v[4:5]
	ds_write_b64 v91, v[2:3]
	ds_write_b64 v92, v[4:5]
	v_perm_b32 v3, v59, v58, s3
	v_perm_b32 v2, v55, v54, s3
	v_perm_b32 v5, v57, v56, s3
	v_perm_b32 v4, v53, v52, s3
	ds_write_b64 v90, v[2:3]
	ds_write_b64 v93, v[4:5]
	ds_write_b64 v94, v[2:3]
	ds_write_b64 v95, v[4:5]
	;; [unrolled: 8-line block ×4, first 2 shown]
	s_waitcnt lgkmcnt(0)
	s_barrier
	ds_read_b64 v[6:7], v104 offset:49152
	ds_read2_b64 v[2:5], v105 offset1:16
	ds_read_b64 v[18:19], v107 offset:6144
	ds_read_b64 v[20:21], v105 offset:6144
	s_waitcnt lgkmcnt(2)
	v_mfma_f32_16x16x16_bf16 a[0:3], v[6:7], v[2:3], 0
	ds_read_b64 v[22:23], v106 offset:49152
	ds_read2st64_b64 v[10:13], v108 offset0:4 offset1:8
	ds_read2st64_b64 v[14:17], v109 offset0:4 offset1:8
	v_mfma_f32_16x16x16_bf16 a[4:7], v[6:7], v[4:5], 0
	ds_read2_b64 v[2:5], v105 offset0:32 offset1:48
	s_add_i32 s27, s59, 63
	s_mul_i32 s40, s27, s29
	s_waitcnt lgkmcnt(0)
	v_mfma_f32_16x16x16_bf16 a[8:11], v[6:7], v[2:3], 0
	s_mul_hi_u32 s41, s27, s28
	s_add_i32 s41, s41, s40
	s_mul_i32 s40, s27, s28
	v_mfma_f32_16x16x16_bf16 a[12:15], v[6:7], v[4:5], 0
	ds_read2st64_b64 v[2:5], v105 offset0:4 offset1:8
	ds_read2st64_b64 v[6:9], v107 offset0:4 offset1:8
	s_lshl_b64 s[40:41], s[40:41], 2
	s_waitcnt lgkmcnt(1)
	v_mfma_f32_16x16x16_bf16 a[0:3], v[22:23], v[2:3], a[0:3]
	s_add_u32 s40, s38, s40
	s_addc_u32 s41, s39, s41
	s_and_b64 vcc, exec, s[0:1]
	s_waitcnt lgkmcnt(0)
	v_mfma_f32_16x16x16_bf16 a[4:7], v[22:23], v[6:7], a[4:7]
	v_mov_b32_e32 v134, 0
	v_mov_b32_e32 v133, 0
	;; [unrolled: 1-line block ×3, first 2 shown]
	v_mfma_f32_16x16x16_bf16 a[8:11], v[22:23], v[10:11], a[8:11]
	ds_read_b64 v[2:3], v110 offset:49152
	ds_read_b64 v[6:7], v111 offset:49152
	;; [unrolled: 1-line block ×3, first 2 shown]
	v_mfma_f32_16x16x16_bf16 a[12:15], v[22:23], v[14:15], a[12:15]
	v_mov_b32_e32 v14, 0
	v_mov_b32_e32 v15, 0
	s_waitcnt lgkmcnt(2)
	v_mfma_f32_16x16x16_bf16 a[0:3], v[2:3], v[4:5], a[0:3]
	v_mov_b32_e32 v4, 0
	v_mov_b32_e32 v5, 0
	v_mfma_f32_16x16x16_bf16 a[16:19], v[2:3], v[8:9], a[4:7]
	v_mov_b32_e32 v8, 0
	v_mov_b32_e32 v9, 0
	;; [unrolled: 3-line block ×3, first 2 shown]
	v_mfma_f32_16x16x16_bf16 a[24:27], v[2:3], v[16:17], a[12:15]
	ds_read_b64 v[2:3], v108 offset:6144
	v_mov_b32_e32 v16, 0
	v_mov_b32_e32 v17, 0
	s_waitcnt lgkmcnt(2)
	v_mfma_f32_16x16x16_bf16 a[4:7], v[6:7], v[20:21], a[0:3]
	v_mfma_f32_16x16x16_bf16 a[8:11], v[6:7], v[18:19], a[16:19]
	s_waitcnt lgkmcnt(0)
	v_mfma_f32_16x16x16_bf16 a[12:15], v[6:7], v[2:3], a[20:23]
	v_mov_b32_e32 v2, 0
	v_mov_b32_e32 v3, 0
	v_mfma_f32_16x16x16_bf16 a[0:3], v[6:7], v[10:11], a[24:27]
	v_mov_b32_e32 v6, 0
	v_mov_b32_e32 v7, 0
	;; [unrolled: 1-line block ×4, first 2 shown]
	s_cbranch_vccnz .LBB108_12
; %bb.11:                               ;   in Loop: Header=BB108_6 Depth=1
	s_and_b32 s21, s21, 0xffff
	buffer_load_dwordx4 v[14:17], v84, s[20:23], 0 offen
	buffer_load_dwordx4 v[10:13], v84, s[20:23], s58 offen
	;; [unrolled: 1-line block ×4, first 2 shown]
	v_mov_b32_e32 v133, v86
	v_mov_b32_e32 v132, v87
.LBB108_12:                             ;   in Loop: Header=BB108_6 Depth=1
	ds_read_b64 v[136:137], v104 offset:57344
	ds_read2_b64 v[18:21], v112 offset1:16
	ds_read_b64 v[138:139], v106 offset:57344
	ds_read_b64 v[140:141], v110 offset:57344
	;; [unrolled: 1-line block ×3, first 2 shown]
	v_add_u32_e32 v135, s59, v80
	s_waitcnt lgkmcnt(3)
	v_mfma_f32_16x16x16_bf16 a[4:7], v[136:137], v[18:19], a[4:7]
	v_mfma_f32_16x16x16_bf16 a[8:11], v[136:137], v[20:21], a[8:11]
	ds_read2_b64 v[18:21], v112 offset0:32 offset1:48
	ds_read2st64_b64 v[22:25], v112 offset0:4 offset1:8
	ds_read2st64_b64 v[26:29], v113 offset0:4 offset1:8
	ds_read2st64_b64 v[30:33], v114 offset0:4 offset1:8
	s_waitcnt lgkmcnt(3)
	v_mfma_f32_16x16x16_bf16 a[12:15], v[136:137], v[18:19], a[12:15]
	v_ashrrev_i32_e32 v18, 31, v135
	v_mfma_f32_16x16x16_bf16 a[0:3], v[136:137], v[20:21], a[0:3]
	v_mul_lo_u32 v20, v18, s28
	v_mul_lo_u32 v21, v135, s29
	v_mad_u64_u32 v[18:19], s[20:21], v135, s28, 0
	v_add3_u32 v19, v19, v21, v20
	v_add_u32_e32 v20, 1, v135
	v_ashrrev_i32_e32 v21, 31, v20
	s_waitcnt lgkmcnt(2)
	v_mfma_f32_16x16x16_bf16 a[4:7], v[138:139], v[22:23], a[4:7]
	v_mul_lo_u32 v22, v21, s28
	v_mul_lo_u32 v23, v20, s29
	v_mad_u64_u32 v[20:21], s[20:21], v20, s28, 0
	v_add3_u32 v21, v21, v23, v22
	v_add_u32_e32 v22, 2, v135
	v_ashrrev_i32_e32 v23, 31, v22
	s_waitcnt lgkmcnt(1)
	v_mfma_f32_16x16x16_bf16 a[8:11], v[138:139], v[26:27], a[8:11]
	v_mul_lo_u32 v26, v23, s28
	v_mul_lo_u32 v27, v22, s29
	v_mad_u64_u32 v[22:23], s[20:21], v22, s28, 0
	v_lshl_add_u64 v[18:19], v[18:19], 2, s[38:39]
	v_add3_u32 v23, v23, v27, v26
	v_add_u32_e32 v26, 3, v135
	v_ashrrev_i32_e32 v27, 31, v26
	global_load_dword v136, v[18:19], off
	v_mad_u64_u32 v[18:19], s[20:21], v26, s28, 0
	v_mul_lo_u32 v27, v27, s28
	v_mul_lo_u32 v135, v26, s29
	s_add_u32 s20, s16, s59
	v_add3_u32 v19, v19, v135, v27
	s_addc_u32 s21, s17, 0
	v_lshl_add_u64 v[20:21], v[20:21], 2, s[38:39]
	v_lshl_add_u64 v[22:23], v[22:23], 2, s[38:39]
	;; [unrolled: 1-line block ×3, first 2 shown]
	s_lshl_b64 s[20:21], s[20:21], 8
	global_load_dword v135, v[20:21], off
	global_load_dword v137, v[22:23], off
	;; [unrolled: 1-line block ×3, first 2 shown]
	v_lshl_add_u64 v[18:19], v[70:71], 0, s[20:21]
	v_lshl_add_u64 v[22:23], v[18:19], 0, v[68:69]
	global_load_ushort v145, v[22:23], off offset:256
	global_load_ushort v146, v[22:23], off
	ds_read2st64_b64 v[18:21], v115 offset0:4 offset1:8
	global_load_ushort v147, v[22:23], off offset:768
	global_load_ushort v148, v[22:23], off offset:512
	s_waitcnt lgkmcnt(1)
	v_mfma_f32_16x16x16_bf16 a[12:15], v[138:139], v[30:31], a[12:15]
	s_and_b64 vcc, exec, s[0:1]
	s_waitcnt vmcnt(3)
	v_lshlrev_b32_e32 v31, 16, v145
	s_waitcnt lgkmcnt(0)
	v_mfma_f32_16x16x16_bf16 a[0:3], v[138:139], v[18:19], a[0:3]
	global_load_ushort v138, v[22:23], off offset:288
	global_load_ushort v139, v[22:23], off offset:32
	;; [unrolled: 1-line block ×8, first 2 shown]
	v_mfma_f32_16x16x16_bf16 a[4:7], v[140:141], v[24:25], a[4:7]
	ds_read_b64 v[18:19], v112 offset:6144
	s_waitcnt vmcnt(10)
	v_lshlrev_b32_e32 v30, 16, v146
	v_mfma_f32_16x16x16_bf16 a[8:11], v[140:141], v[28:29], a[8:11]
	v_mfma_f32_16x16x16_bf16 a[12:15], v[140:141], v[32:33], a[12:15]
	;; [unrolled: 1-line block ×3, first 2 shown]
	global_load_ushort v140, v[22:23], off offset:352
	global_load_ushort v141, v[22:23], off offset:96
	ds_read_b64 v[20:21], v113 offset:6144
	ds_read_b64 v[24:25], v114 offset:6144
	;; [unrolled: 1-line block ×3, first 2 shown]
	global_load_ushort v155, v[22:23], off offset:864
	global_load_ushort v156, v[22:23], off offset:608
	s_load_dword s20, s[40:41], 0x0
	s_waitcnt lgkmcnt(0)
	v_mfma_f32_16x16x16_bf16 a[4:7], v[142:143], v[18:19], a[4:7]
	v_sub_f32_e32 v28, s20, v137
	v_mfma_f32_16x16x16_bf16 a[0:3], v[142:143], v[26:27], a[0:3]
	v_sub_f32_e32 v26, s20, v136
	v_sub_f32_e32 v27, s20, v135
	;; [unrolled: 1-line block ×3, first 2 shown]
	v_mul_f32_e32 v26, 0x3fb8aa3b, v26
	v_mul_f32_e32 v27, 0x3fb8aa3b, v27
	v_mul_f32_e32 v28, 0x3fb8aa3b, v28
	v_mul_f32_e32 v29, 0x3fb8aa3b, v29
	v_mfma_f32_16x16x16_bf16 a[8:11], v[142:143], v[20:21], a[8:11]
	v_exp_f32_e32 v26, v26
	v_exp_f32_e32 v27, v27
	;; [unrolled: 1-line block ×4, first 2 shown]
	v_accvgpr_read_b32 v33, a5
	v_accvgpr_read_b32 v32, a4
	;; [unrolled: 1-line block ×4, first 2 shown]
	v_pk_add_f32 v[30:31], v[30:31], v[32:33] neg_lo:[0,1] neg_hi:[0,1]
	s_waitcnt vmcnt(13)
	v_lshlrev_b32_e32 v33, 16, v147
	s_waitcnt vmcnt(12)
	v_lshlrev_b32_e32 v32, 16, v148
	v_pk_add_f32 v[18:19], v[32:33], v[18:19] neg_lo:[0,1] neg_hi:[0,1]
	v_pk_mul_f32 v[30:31], v[26:27], v[30:31]
	v_pk_mul_f32 v[18:19], v[28:29], v[18:19]
	v_accvgpr_read_b32 v33, a9
	v_perm_b32 v19, v19, v18, s3
	v_perm_b32 v18, v31, v30, s3
	v_accvgpr_read_b32 v32, a8
	v_accvgpr_read_b32 v21, a11
	v_mfma_f32_16x16x16_bf16 a[12:15], v[142:143], v[24:25], a[12:15]
	v_accvgpr_read_b32 v20, a10
	v_accvgpr_read_b32 v25, a3
	;; [unrolled: 1-line block ×3, first 2 shown]
	v_mov_b32_e32 v135, 0
	s_waitcnt vmcnt(11)
	v_lshlrev_b32_e32 v31, 16, v138
	s_waitcnt vmcnt(10)
	v_lshlrev_b32_e32 v30, 16, v139
	v_pk_add_f32 v[30:31], v[30:31], v[32:33] neg_lo:[0,1] neg_hi:[0,1]
	s_waitcnt vmcnt(9)
	v_lshlrev_b32_e32 v33, 16, v149
	s_waitcnt vmcnt(8)
	v_lshlrev_b32_e32 v32, 16, v150
	v_pk_add_f32 v[20:21], v[32:33], v[20:21] neg_lo:[0,1] neg_hi:[0,1]
	v_pk_mul_f32 v[30:31], v[26:27], v[30:31]
	v_pk_mul_f32 v[20:21], v[28:29], v[20:21]
	v_accvgpr_read_b32 v23, a15
	v_perm_b32 v21, v21, v20, s3
	v_perm_b32 v20, v31, v30, s3
	ds_write2_b64 v89, v[18:19], v[20:21] offset1:16
	v_accvgpr_read_b32 v21, a13
	s_waitcnt vmcnt(7)
	v_lshlrev_b32_e32 v19, 16, v151
	s_waitcnt vmcnt(6)
	v_lshlrev_b32_e32 v18, 16, v152
	v_accvgpr_read_b32 v20, a12
	v_accvgpr_read_b32 v22, a14
	v_pk_add_f32 v[18:19], v[18:19], v[20:21] neg_lo:[0,1] neg_hi:[0,1]
	s_waitcnt vmcnt(5)
	v_lshlrev_b32_e32 v21, 16, v153
	s_waitcnt vmcnt(4)
	v_lshlrev_b32_e32 v20, 16, v154
	v_pk_add_f32 v[20:21], v[20:21], v[22:23] neg_lo:[0,1] neg_hi:[0,1]
	v_pk_mul_f32 v[18:19], v[26:27], v[18:19]
	v_pk_mul_f32 v[20:21], v[28:29], v[20:21]
	v_accvgpr_read_b32 v23, a1
	v_perm_b32 v21, v21, v20, s3
	v_perm_b32 v20, v19, v18, s3
	s_waitcnt vmcnt(3)
	v_lshlrev_b32_e32 v19, 16, v140
	s_waitcnt vmcnt(2)
	v_lshlrev_b32_e32 v18, 16, v141
	v_accvgpr_read_b32 v22, a0
	v_pk_add_f32 v[18:19], v[18:19], v[22:23] neg_lo:[0,1] neg_hi:[0,1]
	s_waitcnt vmcnt(1)
	v_lshlrev_b32_e32 v23, 16, v155
	s_waitcnt vmcnt(0)
	v_lshlrev_b32_e32 v22, 16, v156
	v_pk_add_f32 v[22:23], v[22:23], v[24:25] neg_lo:[0,1] neg_hi:[0,1]
	v_pk_mul_f32 v[18:19], v[26:27], v[18:19]
	v_pk_mul_f32 v[22:23], v[28:29], v[22:23]
	v_mov_b32_e32 v24, 0
	v_perm_b32 v23, v23, v22, s3
	v_perm_b32 v22, v19, v18, s3
	ds_write2_b64 v89, v[20:21], v[22:23] offset0:32 offset1:48
	v_mov_b32_e32 v18, 0
	v_mov_b32_e32 v19, 0
	;; [unrolled: 1-line block ×15, first 2 shown]
	s_cbranch_vccnz .LBB108_14
; %bb.13:                               ;   in Loop: Header=BB108_6 Depth=1
	s_and_b32 s25, s25, 0xffff
	s_mov_b32 s27, s23
	buffer_load_dwordx4 v[30:33], v126, s[24:27], 0 offen
	buffer_load_dwordx4 v[22:25], v126, s[24:27], s58 offen
	;; [unrolled: 1-line block ×4, first 2 shown]
	v_mov_b32_e32 v134, v83
	v_mov_b32_e32 v135, v82
.LBB108_14:                             ;   in Loop: Header=BB108_6 Depth=1
	s_waitcnt lgkmcnt(0)
	s_barrier
	ds_read_b64 v[144:145], v35
	ds_read2_b64 v[136:139], v119 offset1:16
	ds_read_b64 v[160:161], v128
	ds_read_b64 v[162:163], v129
	;; [unrolled: 1-line block ×3, first 2 shown]
	ds_read2_b64 v[140:143], v119 offset0:32 offset1:48
	s_waitcnt lgkmcnt(4)
	v_mfma_f32_16x16x16_bf16 a[0:3], v[144:145], v[136:137], 0
	ds_read2st64_b64 v[148:151], v121 offset0:4 offset1:8
	ds_read2st64_b64 v[152:155], v122 offset0:4 offset1:8
	;; [unrolled: 1-line block ×3, first 2 shown]
	v_mfma_f32_16x16x16_bf16 a[4:7], v[144:145], v[138:139], 0
	s_add_i32 s21, s53, s65
	s_mul_hi_i32 s25, s21, s13
	s_mul_i32 s21, s21, s13
	s_waitcnt lgkmcnt(3)
	v_mfma_f32_16x16x16_bf16 a[8:11], v[144:145], v[140:141], 0
	s_add_u32 s24, s21, s46
	s_addc_u32 s25, s25, s47
	s_lshl_b64 s[24:25], s[24:25], 15
	v_mfma_f32_16x16x16_bf16 a[12:15], v[144:145], v[142:143], 0
	ds_read2st64_b64 v[144:147], v119 offset0:4 offset1:8
	s_waitcnt lgkmcnt(0)
	v_mfma_f32_16x16x16_bf16 a[0:3], v[160:161], v[144:145], a[0:3]
	v_mfma_f32_16x16x16_bf16 a[4:7], v[160:161], v[148:149], a[4:7]
	;; [unrolled: 1-line block ×8, first 2 shown]
	ds_read_b64 v[160:161], v119 offset:6144
	ds_read_b64 v[162:163], v120 offset:40960
	;; [unrolled: 1-line block ×8, first 2 shown]
	s_waitcnt lgkmcnt(5)
	v_mfma_f32_16x16x16_bf16 a[16:19], v[166:167], v[136:137], 0
	v_mfma_f32_16x16x16_bf16 a[20:23], v[166:167], v[138:139], 0
	ds_read2st64_b64 v[136:139], v116 offset1:8
	v_mfma_f32_16x16x16_bf16 a[24:27], v[166:167], v[140:141], 0
	v_mfma_f32_16x16x16_bf16 a[28:31], v[166:167], v[142:143], 0
	ds_read2st64_b64 v[140:143], v117 offset1:8
	v_mfma_f32_16x16x16_bf16 a[16:19], v[162:163], v[144:145], a[16:19]
	s_waitcnt lgkmcnt(1)
	v_mov_b32_e32 v144, v136
	v_mov_b32_e32 v145, v137
	v_mfma_f32_16x16x16_bf16 a[20:23], v[162:163], v[148:149], a[20:23]
	v_lshl_add_u64 v[148:149], v[72:73], 0, s[24:25]
	v_mfma_f32_16x16x16_bf16 a[24:27], v[162:163], v[152:153], a[24:27]
	v_mfma_f32_16x16x16_bf16 a[28:31], v[162:163], v[156:157], a[28:31]
	;; [unrolled: 1-line block ×3, first 2 shown]
	s_waitcnt lgkmcnt(0)
	v_mov_b32_e32 v146, v140
	v_mov_b32_e32 v147, v141
	v_mov_b32_e32 v140, v138
	v_mfma_f32_16x16x16_bf16 a[32:35], v[174:175], v[150:151], a[20:23]
	v_mov_b32_e32 v141, v139
	ds_read2st64_b64 v[136:139], v116 offset0:16 offset1:24
	global_store_dwordx4 v[148:149], v[144:147], off
	v_mfma_f32_16x16x16_bf16 a[24:27], v[174:175], v[154:155], a[24:27]
	ds_read2st64_b64 v[144:147], v117 offset0:16 offset1:24
	v_add_co_u32_e32 v150, vcc, s31, v148
	v_mfma_f32_16x16x16_bf16 a[28:31], v[174:175], v[158:159], a[28:31]
	s_nop 0
	v_addc_co_u32_e32 v151, vcc, 0, v149, vcc
	global_store_dwordx4 v[150:151], v[140:143], off offset:-4096
	v_mfma_f32_16x16x16_bf16 a[0:3], v[164:165], v[160:161], a[0:3]
	s_waitcnt lgkmcnt(1)
	v_mov_b32_e32 v140, v136
	v_add_co_u32_e32 v136, vcc, s35, v148
	v_mfma_f32_16x16x16_bf16 a[4:7], v[164:165], v[168:169], a[4:7]
	v_mov_b32_e32 v141, v137
	v_addc_co_u32_e32 v137, vcc, 0, v149, vcc
	v_mfma_f32_16x16x16_bf16 a[8:11], v[164:165], v[170:171], a[8:11]
	s_waitcnt lgkmcnt(0)
	v_mov_b32_e32 v142, v144
	v_mov_b32_e32 v143, v145
	;; [unrolled: 1-line block ×3, first 2 shown]
	v_mfma_f32_16x16x16_bf16 a[12:15], v[164:165], v[172:173], a[12:15]
	v_mov_b32_e32 v145, v139
	s_and_b64 vcc, exec, s[0:1]
	global_store_dwordx4 v[150:151], v[140:143], off
	v_mfma_f32_16x16x16_bf16 a[20:23], v[176:177], v[160:161], a[16:19]
	global_store_dwordx4 v[136:137], v[144:147], off
	v_mfma_f32_16x16x16_bf16 a[16:19], v[176:177], v[168:169], a[32:35]
	v_mfma_f32_16x16x16_bf16 a[24:27], v[176:177], v[170:171], a[24:27]
	;; [unrolled: 1-line block ×3, first 2 shown]
	s_cbranch_vccnz .LBB108_16
; %bb.15:                               ;   in Loop: Header=BB108_6 Depth=1
	v_lshrrev_b32_e32 v136, 3, v134
	v_and_b32_e32 v136, 6, v136
	v_xor_b32_e32 v135, v136, v135
	v_lshlrev_b32_e32 v135, 2, v135
	v_and_b32_e32 v134, 8, v134
	v_xor_b32_e32 v137, 0x440, v135
	v_cmp_eq_u32_e32 vcc, 0, v134
	s_barrier
	s_nop 0
	v_cndmask_b32_e32 v134, v137, v135, vcc
	v_lshl_or_b32 v134, v136, 10, v134
	s_waitcnt vmcnt(5)
	v_perm_b32 v135, v30, v26, s60
	s_waitcnt vmcnt(4)
	v_perm_b32 v136, v22, v18, s60
	ds_write2st64_b32 v134, v135, v136 offset0:128 offset1:160
	v_xor_b32_e32 v135, 8, v134
	v_perm_b32 v26, v30, v26, s61
	v_perm_b32 v18, v22, v18, s61
	v_add_u32_e32 v22, 0x80, v135
	ds_write2st64_b32 v22, v26, v18 offset0:128 offset1:160
	v_xor_b32_e32 v18, 16, v134
	v_perm_b32 v22, v31, v27, s60
	v_perm_b32 v26, v23, v19, s60
	ds_write2st64_b32 v18, v22, v26 offset0:129 offset1:161
	v_xor_b32_e32 v18, 24, v134
	v_perm_b32 v22, v31, v27, s61
	v_perm_b32 v19, v23, v19, s61
	v_add_u32_e32 v18, 0x80, v18
	ds_write2st64_b32 v18, v22, v19 offset0:129 offset1:161
	v_xor_b32_e32 v18, 32, v134
	v_perm_b32 v19, v32, v28, s60
	;; [unrolled: 9-line block ×3, first 2 shown]
	v_perm_b32 v20, v25, v21, s60
	ds_write2st64_b32 v18, v19, v20 offset0:131 offset1:163
	v_xor_b32_e32 v18, 56, v134
	v_perm_b32 v19, v33, v29, s61
	v_perm_b32 v20, v25, v21, s61
	v_add_u32_e32 v18, 0x80, v18
	ds_write2st64_b32 v18, v19, v20 offset0:131 offset1:163
	ds_write_b64 v133, v[14:15] offset:49152
	v_xor_b32_e32 v14, 8, v133
	ds_write_b64 v14, v[16:17] offset:49152
	ds_write_b64 v133, v[10:11] offset:57344
	ds_write_b64 v14, v[12:13] offset:57344
	ds_write_b64 v132, v[6:7] offset:49152
	v_xor_b32_e32 v6, 8, v132
	ds_write_b64 v6, v[8:9] offset:49152
	ds_write_b64 v132, v[2:3] offset:57344
	;; [unrolled: 1-line block ×3, first 2 shown]
.LBB108_16:                             ;   in Loop: Header=BB108_6 Depth=1
	s_waitcnt vmcnt(6)
	v_mul_f32_e32 v22, s20, v131
	v_exp_f32_e32 v132, v22
	v_accvgpr_read_b32 v5, a3
	v_accvgpr_read_b32 v9, a7
	;; [unrolled: 1-line block ×4, first 2 shown]
	s_waitcnt vmcnt(4)
	v_accvgpr_read_b32 v18, a20
	v_accvgpr_read_b32 v25, a19
	;; [unrolled: 1-line block ×28, first 2 shown]
	s_add_i32 s59, s59, 64
	v_pk_fma_f32 v[62:63], v[62:63], v[132:133], v[2:3] op_sel_hi:[1,0,1]
	v_pk_fma_f32 v[66:67], v[66:67], v[132:133], v[4:5] op_sel_hi:[1,0,1]
	;; [unrolled: 1-line block ×15, first 2 shown]
	s_cmp_eq_u32 s50, s64
	v_pk_fma_f32 v[40:41], v[40:41], v[132:133], v[32:33] op_sel_hi:[1,0,1]
	s_cbranch_scc1 .LBB108_18
; %bb.17:                               ;   in Loop: Header=BB108_6 Depth=1
	s_mov_b32 s65, s64
	s_branch .LBB108_6
.LBB108_18:
	s_lshl_b32 s26, s50, 6
	s_sub_i32 s27, s12, s26
	s_cmp_gt_i32 s27, 0
	s_cbranch_scc0 .LBB108_99
; %bb.19:
	s_ashr_i32 s3, s26, 31
	s_cmpk_lg_i32 s15, 0x80
	s_cselect_b64 s[22:23], -1, 0
	s_and_b64 vcc, exec, s[22:23]
	s_cbranch_vccz .LBB108_21
; %bb.20:
	s_mul_i32 s1, s49, s12
	s_mul_hi_i32 s0, s49, s12
	s_add_u32 s1, s1, s26
	s_addc_u32 s0, s0, s3
	s_mul_i32 s17, s1, s51
	s_mul_hi_u32 s20, s1, s14
	s_add_i32 s17, s20, s17
	s_mul_i32 s0, s0, s14
	s_add_i32 s17, s17, s0
	s_mul_i32 s1, s1, s14
	s_ashr_i32 s0, s52, 31
	s_add_u32 s24, s1, s52
	s_addc_u32 s25, s17, s0
	s_cbranch_execz .LBB108_22
	s_branch .LBB108_23
.LBB108_21:
                                        ; implicit-def: $sgpr24_sgpr25
.LBB108_22:
	s_mul_hi_i32 s0, s49, s14
	s_mul_i32 s49, s49, s14
	s_ashr_i32 s1, s52, 31
	s_add_u32 s14, s49, s52
	s_addc_u32 s0, s0, s1
	s_mul_i32 s1, s14, s48
	s_mul_hi_u32 s17, s14, s12
	s_add_i32 s1, s17, s1
	s_mul_i32 s0, s0, s12
	s_add_i32 s1, s1, s0
	s_mul_i32 s14, s14, s12
	s_add_u32 s24, s14, s26
	s_addc_u32 s25, s1, s3
.LBB108_23:
	s_mul_i32 s0, s36, s48
	s_add_i32 s0, s55, s0
	s_add_i32 s14, s53, s50
	;; [unrolled: 1-line block ×3, first 2 shown]
	s_add_u32 s0, s16, s26
	v_lshlrev_b32_e32 v6, 6, v80
	v_lshlrev_b32_e32 v24, 2, v77
	s_addc_u32 s1, s1, s3
	s_mov_b32 s3, 0x7060302
	v_or_b32_e32 v9, v6, v24
	v_xor_b32_e32 v7, v80, v24
	v_perm_b32 v3, v67, v66, s3
	v_perm_b32 v2, v63, v62, s3
	;; [unrolled: 1-line block ×4, first 2 shown]
	v_lshlrev_b32_e32 v9, 1, v9
	v_xor_b32_e32 v8, v81, v24
	ds_write2st64_b64 v9, v[2:3], v[4:5] offset0:32 offset1:48
	v_lshlrev_b32_e32 v7, 1, v7
	v_lshlrev_b32_e32 v9, 8, v77
	v_or_b32_e32 v10, v7, v9
	v_lshlrev_b32_e32 v8, 1, v8
	ds_write_b64 v10, v[2:3]
	v_or_b32_e32 v2, v8, v9
	v_or_b32_e32 v9, 16, v77
	v_lshlrev_b32_e32 v23, 2, v9
	v_or_b32_e32 v10, v6, v23
	ds_write_b64 v2, v[4:5]
	v_perm_b32 v3, v59, v58, s3
	v_perm_b32 v2, v55, v54, s3
	;; [unrolled: 1-line block ×4, first 2 shown]
	v_lshlrev_b32_e32 v10, 1, v10
	v_lshlrev_b32_e32 v9, 8, v9
	ds_write2st64_b64 v10, v[2:3], v[4:5] offset0:32 offset1:48
	v_or_b32_e32 v10, v7, v9
	ds_write_b64 v10, v[2:3]
	v_or_b32_e32 v2, v8, v9
	v_or_b32_e32 v9, 32, v77
	v_lshlrev_b32_e32 v22, 2, v9
	v_or_b32_e32 v10, v6, v22
	ds_write_b64 v2, v[4:5]
	v_perm_b32 v3, v51, v50, s3
	v_perm_b32 v2, v47, v46, s3
	;; [unrolled: 1-line block ×4, first 2 shown]
	v_lshlrev_b32_e32 v10, 1, v10
	v_lshlrev_b32_e32 v9, 8, v9
	s_lshl_b64 s[20:21], s[0:1], 8
	ds_write2st64_b64 v10, v[2:3], v[4:5] offset0:32 offset1:48
	v_or_b32_e32 v10, v7, v9
	s_add_u32 s0, s6, s20
	ds_write_b64 v10, v[2:3]
	v_or_b32_e32 v2, v8, v9
	s_addc_u32 s1, s7, s21
	ds_write_b64 v2, v[4:5]
	v_perm_b32 v3, v43, v42, s3
	v_perm_b32 v2, v39, v38, s3
	;; [unrolled: 1-line block ×4, first 2 shown]
	v_or_b32_e32 v9, 48, v77
	s_mul_hi_i32 s3, s14, s13
	s_mul_i32 s14, s14, s13
	v_lshlrev_b32_e32 v19, 2, v9
	s_add_u32 s6, s14, s46
	v_or_b32_e32 v6, v6, v19
	s_addc_u32 s7, s3, s47
	v_lshlrev_b32_e32 v6, 1, v6
	s_ashr_i32 s3, s2, 31
	s_lshl_b64 s[6:7], s[6:7], 15
	ds_write2st64_b64 v6, v[2:3], v[4:5] offset0:32 offset1:48
	v_lshlrev_b32_e32 v6, 8, v9
	s_add_u32 s6, s18, s6
	v_or_b32_e32 v7, v7, v6
	s_addc_u32 s7, s19, s7
	s_lshl_b64 s[2:3], s[2:3], 8
	ds_write_b64 v7, v[2:3]
	v_or_b32_e32 v2, v8, v6
	s_add_u32 s2, s6, s2
	v_lshlrev_b32_e32 v3, 1, v77
	ds_write_b64 v2, v[4:5]
	v_lshrrev_b32_e32 v2, 4, v0
	s_addc_u32 s3, s7, s3
	v_or_b32_e32 v4, 1, v3
	v_lshlrev_b32_e32 v10, 4, v77
	v_mov_b32_e32 v11, 0
	v_xor_b32_e32 v3, v2, v3
	v_xor_b32_e32 v6, v4, v2
	v_lshl_add_u64 v[12:13], s[2:3], 0, v[10:11]
	v_lshlrev_b32_e32 v10, 8, v2
	v_lshl_or_b32 v16, v3, 3, v10
	v_lshl_or_b32 v17, v6, 3, v10
	s_waitcnt lgkmcnt(0)
	s_barrier
	ds_read2st64_b64 v[2:5], v16 offset1:8
	ds_read2st64_b64 v[6:9], v17 offset1:8
	v_lshl_add_u64 v[14:15], v[12:13], 0, v[10:11]
	s_movk_i32 s2, 0x2000
	s_cmp_lg_u32 s27, 64
	s_waitcnt lgkmcnt(1)
	v_mov_b32_e32 v10, v2
	v_mov_b32_e32 v11, v3
	s_waitcnt lgkmcnt(0)
	v_mov_b32_e32 v12, v6
	v_mov_b32_e32 v13, v7
	global_store_dwordx4 v[14:15], v[10:13], off
	v_mov_b32_e32 v6, v4
	v_mov_b32_e32 v7, v5
	ds_read2st64_b64 v[2:5], v16 offset0:16 offset1:24
	ds_read2st64_b64 v[10:13], v17 offset0:16 offset1:24
	v_add_co_u32_e32 v16, vcc, s2, v14
	s_cselect_b64 s[6:7], -1, 0
	s_nop 0
	v_addc_co_u32_e32 v17, vcc, 0, v15, vcc
	global_store_dwordx4 v[16:17], v[6:9], off offset:-4096
	v_lshl_or_b32 v25, v75, 3, v79
	s_mov_b32 s16, 0
	s_waitcnt lgkmcnt(1)
	v_mov_b32_e32 v6, v2
	v_add_co_u32_e32 v2, vcc, 0x3000, v14
	v_mov_b32_e32 v7, v3
	s_nop 0
	v_addc_co_u32_e32 v3, vcc, 0, v15, vcc
	s_waitcnt lgkmcnt(0)
	v_mov_b32_e32 v8, v10
	v_mov_b32_e32 v9, v11
	;; [unrolled: 1-line block ×4, first 2 shown]
	v_or_b32_e32 v20, 32, v25
	v_and_b32_e32 v18, 56, v78
	s_and_b64 vcc, exec, s[6:7]
	global_store_dwordx4 v[16:17], v[6:9], off
	global_store_dwordx4 v[2:3], v[10:13], off
	s_cbranch_vccz .LBB108_29
; %bb.24:
	s_mov_b32 s17, s16
	s_mov_b32 s18, s16
	;; [unrolled: 1-line block ×3, first 2 shown]
	v_mov_b64_e32 v[6:7], s[16:17]
	v_mov_b64_e32 v[8:9], s[18:19]
	;; [unrolled: 1-line block ×3, first 2 shown]
	v_cmp_gt_i32_e32 vcc, s27, v25
	v_mov_b64_e32 v[4:5], v[8:9]
	s_and_saveexec_b64 s[2:3], vcc
	s_cbranch_execz .LBB108_26
; %bb.25:
	v_lshlrev_b32_e32 v2, 8, v25
	v_mov_b32_e32 v3, 0
	v_lshl_add_u64 v[4:5], s[0:1], 0, v[2:3]
	v_lshlrev_b32_e32 v2, 1, v18
	v_lshl_add_u64 v[10:11], v[4:5], 0, v[2:3]
	global_load_dwordx4 v[6:9], v[10:11], off
	global_load_dwordx4 v[2:5], v[10:11], off offset:128
.LBB108_26:
	s_or_b64 exec, exec, s[2:3]
	s_mov_b32 s17, s16
	s_mov_b32 s18, s16
	;; [unrolled: 1-line block ×3, first 2 shown]
	v_mov_b64_e32 v[14:15], s[16:17]
	v_mov_b64_e32 v[16:17], s[18:19]
	;; [unrolled: 1-line block ×3, first 2 shown]
	v_cmp_gt_i32_e32 vcc, s27, v20
	v_lshlrev_b32_e32 v21, 7, v20
	v_mov_b64_e32 v[12:13], v[16:17]
	s_and_saveexec_b64 s[2:3], vcc
	s_cbranch_execz .LBB108_28
; %bb.27:
	v_lshlrev_b32_e32 v10, 1, v21
	v_mov_b32_e32 v11, 0
	v_lshl_add_u64 v[12:13], s[0:1], 0, v[10:11]
	v_lshlrev_b32_e32 v10, 1, v18
	v_lshl_add_u64 v[26:27], v[12:13], 0, v[10:11]
	global_load_dwordx4 v[14:17], v[26:27], off
	global_load_dwordx4 v[10:13], v[26:27], off offset:128
.LBB108_28:
	s_or_b64 exec, exec, s[2:3]
	v_lshrrev_b32_e32 v26, 3, v18
	v_lshlrev_b32_e32 v27, 3, v25
	v_or_b32_e32 v26, v27, v26
	v_lshlrev_b32_e32 v26, 4, v26
	v_and_b32_e32 v27, 0x78, v27
	v_xor_b32_e32 v26, v26, v27
	s_branch .LBB108_31
.LBB108_29:
                                        ; implicit-def: $vgpr26
                                        ; implicit-def: $vgpr21
                                        ; implicit-def: $vgpr6_vgpr7_vgpr8_vgpr9
                                        ; implicit-def: $vgpr2_vgpr3_vgpr4_vgpr5
                                        ; implicit-def: $vgpr14_vgpr15_vgpr16_vgpr17
                                        ; implicit-def: $vgpr10_vgpr11_vgpr12_vgpr13
	s_cbranch_execz .LBB108_31
; %bb.30:
	s_waitcnt vmcnt(0)
	v_lshlrev_b32_e32 v2, 1, v18
	v_lshl_or_b32 v21, v25, 8, v2
	s_and_b32 s1, s1, 0xffff
	s_mov_b32 s3, 0x20000
	s_movk_i32 s2, 0x4000
	v_lshl_or_b32 v26, v20, 8, v2
	s_movk_i32 s13, 0x80
	buffer_load_dwordx4 v[6:9], v21, s[0:3], 0 offen
	buffer_load_dwordx4 v[2:5], v21, s[0:3], s13 offen
	;; [unrolled: 1-line block ×4, first 2 shown]
	v_lshrrev_b32_e32 v21, 3, v18
	v_lshlrev_b32_e32 v26, 3, v25
	v_or_b32_e32 v21, v26, v21
	v_lshlrev_b32_e32 v21, 4, v21
	v_and_b32_e32 v26, 0x78, v26
	v_xor_b32_e32 v26, v21, v26
	v_lshlrev_b32_e32 v21, 7, v20
.LBB108_31:
	s_movk_i32 s0, 0x1000
	v_and_or_b32 v20, v21, s0, v26
	s_waitcnt vmcnt(1)
	ds_write_b64 v26, v[6:7] offset:49152
	v_xor_b32_e32 v6, 8, v26
	ds_write_b64 v6, v[8:9] offset:49152
	s_waitcnt vmcnt(0)
	ds_write_b64 v26, v[2:3] offset:57344
	ds_write_b64 v6, v[4:5] offset:57344
	;; [unrolled: 1-line block ×3, first 2 shown]
	v_xor_b32_e32 v2, 8, v20
	ds_write_b64 v2, v[16:17] offset:49152
	ds_write_b64 v20, v[10:11] offset:57344
	;; [unrolled: 1-line block ×3, first 2 shown]
	v_or_b32_e32 v2, v1, v77
	v_lshlrev_b32_e32 v3, 11, v75
	v_lshlrev_b32_e32 v2, 3, v2
	v_and_b32_e32 v6, 0x1000, v3
	v_lshrrev_b32_e32 v3, 5, v74
	s_movk_i32 s0, 0xf8
	v_and_or_b32 v3, v2, s0, v3
	v_lshlrev_b32_e32 v7, 4, v3
	v_and_b32_e32 v8, 0x78, v2
	v_or_b32_e32 v10, 32, v7
	v_lshrrev_b32_e32 v3, 1, v74
	v_xor_b32_e32 v10, v10, v8
	v_xor_b32_e32 v2, v7, v8
	v_and_b32_e32 v9, 8, v3
	v_or_b32_e32 v10, v10, v6
	v_or_b32_e32 v2, v2, v6
	v_xor_b32_e32 v28, v10, v9
	v_or_b32_e32 v10, 64, v7
	v_xor_b32_e32 v27, v2, v9
	v_xor_b32_e32 v10, v10, v8
	s_waitcnt lgkmcnt(0)
	s_barrier
	v_or_b32_e32 v13, v10, v6
	ds_read_b64 v[10:11], v27 offset:49152
	v_lshl_or_b32 v14, v76, 8, v24
	v_lshlrev_b32_e32 v26, 1, v14
	v_add_u32_e32 v12, 0x4000, v26
	ds_read2_b64 v[2:5], v12 offset1:16
	v_or_b32_e32 v7, 0x60, v7
	v_xor_b32_e32 v7, v7, v8
	v_or_b32_e32 v6, v7, v6
	v_xor_b32_e32 v29, v13, v9
	v_xor_b32_e32 v30, v6, v9
	ds_read_b64 v[20:21], v28 offset:49152
	ds_read_b64 v[36:37], v29 offset:49152
	;; [unrolled: 1-line block ×3, first 2 shown]
	s_waitcnt lgkmcnt(3)
	v_mfma_f32_16x16x16_bf16 a[0:3], v[10:11], v[2:3], 0
	ds_read2st64_b64 v[6:9], v26 offset0:36 offset1:40
	s_lshl_b64 s[0:1], s[24:25], 8
	s_add_u32 s4, s4, s0
	v_mfma_f32_16x16x16_bf16 a[4:7], v[10:11], v[4:5], 0
	ds_read2_b64 v[2:5], v12 offset0:32 offset1:48
	s_addc_u32 s5, s5, s1
	s_add_i32 s1, s42, s33
	s_waitcnt lgkmcnt(0)
	v_mfma_f32_16x16x16_bf16 a[8:11], v[10:11], v[2:3], 0
	v_or_b32_e32 v2, 64, v14
	v_lshlrev_b32_e32 v31, 1, v2
	s_add_i32 s0, s12, -1
	v_mfma_f32_16x16x16_bf16 a[12:15], v[10:11], v[4:5], 0
	ds_read2st64_b64 v[2:5], v31 offset0:36 offset1:40
	s_add_i32 s35, s1, s37
	s_add_i32 s1, s44, s43
	v_mfma_f32_16x16x16_bf16 a[0:3], v[20:21], v[6:7], a[0:3]
	v_or_b32_e32 v6, 0x80, v14
	v_lshlrev_b32_e32 v32, 1, v6
	ds_read2st64_b64 v[10:13], v32 offset0:36 offset1:40
	s_waitcnt lgkmcnt(1)
	v_mfma_f32_16x16x16_bf16 a[4:7], v[20:21], v[2:3], a[4:7]
	v_or_b32_e32 v2, 0xc0, v14
	v_lshlrev_b32_e32 v33, 1, v2
	ds_read2st64_b64 v[14:17], v33 offset0:36 offset1:40
	s_add_i32 s31, s1, s45
	s_ashr_i32 s1, s0, 31
	s_mul_i32 s2, s0, s29
	s_mul_hi_u32 s3, s0, s28
	s_add_i32 s2, s3, s2
	s_mul_i32 s1, s1, s28
	s_waitcnt lgkmcnt(1)
	v_mfma_f32_16x16x16_bf16 a[8:11], v[20:21], v[10:11], a[8:11]
	s_add_i32 s1, s2, s1
	s_lshl_b64 s[2:3], s[34:35], 2
	s_add_u32 s10, s10, s2
	s_waitcnt lgkmcnt(0)
	v_mfma_f32_16x16x16_bf16 a[12:15], v[20:21], v[14:15], a[12:15]
	s_addc_u32 s11, s11, s3
	s_lshl_b64 s[2:3], s[30:31], 2
	s_mul_i32 s0, s0, s28
	v_mfma_f32_16x16x16_bf16 a[0:3], v[36:37], v[8:9], a[0:3]
	ds_read_b64 v[2:3], v26 offset:22528
	s_add_u32 s10, s10, s2
	s_addc_u32 s11, s11, s3
	v_mfma_f32_16x16x16_bf16 a[4:7], v[36:37], v[4:5], a[4:7]
	ds_read_b64 v[4:5], v31 offset:22528
	ds_read_b64 v[6:7], v32 offset:22528
	;; [unrolled: 1-line block ×3, first 2 shown]
	s_lshl_b64 s[0:1], s[0:1], 2
	s_add_u32 s0, s10, s0
	v_mfma_f32_16x16x16_bf16 a[8:11], v[36:37], v[12:13], a[8:11]
	s_addc_u32 s1, s11, s1
	s_load_dword s12, s[0:1], 0x0
	s_and_b64 vcc, exec, s[22:23]
	v_mfma_f32_16x16x16_bf16 a[12:15], v[36:37], v[16:17], a[12:15]
	s_waitcnt lgkmcnt(0)
	v_mfma_f32_16x16x16_bf16 a[0:3], v[38:39], v[2:3], a[0:3]
	v_mfma_f32_16x16x16_bf16 a[4:7], v[38:39], v[4:5], a[4:7]
	;; [unrolled: 1-line block ×4, first 2 shown]
	s_cbranch_vccz .LBB108_42
; %bb.32:
	v_lshlrev_b32_e32 v20, 1, v25
	s_and_b64 vcc, exec, s[6:7]
	s_cbranch_vccz .LBB108_43
; %bb.33:
	v_cmp_gt_i32_e32 vcc, s27, v20
	v_mov_b32_e32 v6, 0
	v_mov_b32_e32 v2, 0
	;; [unrolled: 1-line block ×5, first 2 shown]
	s_and_saveexec_b64 s[0:1], vcc
	s_cbranch_execz .LBB108_35
; %bb.34:
	v_mad_i64_i32 v[2:3], s[2:3], s15, v20, 0
	v_lshl_add_u64 v[2:3], v[2:3], 1, s[4:5]
	v_lshlrev_b32_e32 v4, 1, v18
	v_mov_b32_e32 v5, 0
	v_lshl_add_u64 v[2:3], v[2:3], 0, v[4:5]
	global_load_dwordx4 v[2:5], v[2:3], off
.LBB108_35:
	s_or_b64 exec, exec, s[0:1]
	v_or_b32_e32 v21, 1, v20
	v_cmp_gt_i32_e64 s[0:1], s27, v21
	v_mov_b32_e32 v7, 0
	v_mov_b32_e32 v8, 0
	;; [unrolled: 1-line block ×3, first 2 shown]
	s_and_saveexec_b64 s[2:3], s[0:1]
	s_cbranch_execz .LBB108_37
; %bb.36:
	v_mad_i64_i32 v[6:7], s[16:17], s15, v21, 0
	v_lshl_add_u64 v[6:7], v[6:7], 1, s[4:5]
	v_lshlrev_b32_e32 v8, 1, v18
	v_mov_b32_e32 v9, 0
	v_lshl_add_u64 v[6:7], v[6:7], 0, v[8:9]
	global_load_dwordx4 v[6:9], v[6:7], off
.LBB108_37:
	s_or_b64 exec, exec, s[2:3]
	v_mov_b32_e32 v17, 0
	v_mov_b32_e32 v10, 0
	;; [unrolled: 1-line block ×5, first 2 shown]
	s_and_saveexec_b64 s[2:3], vcc
	s_cbranch_execz .LBB108_39
; %bb.38:
	v_mad_i64_i32 v[10:11], s[16:17], s15, v20, 0
	v_lshl_add_u64 v[10:11], v[10:11], 1, s[4:5]
	v_lshlrev_b32_e32 v12, 1, v18
	v_mov_b32_e32 v13, 0
	v_lshl_add_u64 v[10:11], v[10:11], 0, v[12:13]
	global_load_dwordx4 v[10:13], v[10:11], off offset:128
.LBB108_39:
	s_or_b64 exec, exec, s[2:3]
	v_mov_b32_e32 v16, 0
	v_mov_b32_e32 v15, 0
	;; [unrolled: 1-line block ×3, first 2 shown]
	s_and_saveexec_b64 s[2:3], s[0:1]
	s_cbranch_execz .LBB108_41
; %bb.40:
	v_mad_i64_i32 v[14:15], s[0:1], s15, v21, 0
	v_lshl_add_u64 v[14:15], v[14:15], 1, s[4:5]
	v_lshlrev_b32_e32 v16, 1, v18
	v_mov_b32_e32 v17, 0
	v_lshl_add_u64 v[14:15], v[14:15], 0, v[16:17]
	global_load_dwordx4 v[14:17], v[14:15], off offset:128
.LBB108_41:
	s_or_b64 exec, exec, s[2:3]
	s_branch .LBB108_45
.LBB108_42:
                                        ; implicit-def: $vgpr5
                                        ; implicit-def: $vgpr9
                                        ; implicit-def: $vgpr13
                                        ; implicit-def: $vgpr17
	v_lshrrev_b32_e32 v35, 2, v74
	s_branch .LBB108_46
.LBB108_43:
                                        ; implicit-def: $vgpr5
                                        ; implicit-def: $vgpr9
                                        ; implicit-def: $vgpr13
                                        ; implicit-def: $vgpr17
	s_cbranch_execz .LBB108_45
; %bb.44:
	s_waitcnt vmcnt(0)
	v_mad_u64_u32 v[2:3], s[0:1], v20, s15, v[18:19]
	v_lshlrev_b32_e32 v20, 1, v2
	s_lshl_b32 s2, s15, 7
	s_and_b32 s1, s5, 0xffff
	s_mov_b32 s3, 0x20000
	s_mov_b32 s0, s4
	v_add_lshl_u32 v21, v2, s15, 1
	s_movk_i32 s13, 0x80
	buffer_load_dwordx4 v[2:5], v20, s[0:3], 0 offen
	buffer_load_dwordx4 v[10:13], v20, s[0:3], s13 offen
	;; [unrolled: 1-line block ×4, first 2 shown]
.LBB108_45:
	v_lshrrev_b32_e32 v35, 2, v74
	s_cbranch_execnz .LBB108_58
.LBB108_46:
	s_and_b64 vcc, exec, s[6:7]
	s_cbranch_vccz .LBB108_56
; %bb.47:
	s_waitcnt vmcnt(0)
	v_lshlrev_b32_e32 v7, 1, v25
	v_cmp_gt_i32_e32 vcc, s27, v7
	v_mov_b32_e32 v6, 0
	v_lshlrev_b32_e32 v14, 9, v25
	v_mov_b32_e32 v2, 0
	v_mov_b32_e32 v3, 0
	;; [unrolled: 1-line block ×4, first 2 shown]
	s_and_saveexec_b64 s[0:1], vcc
	s_cbranch_execz .LBB108_49
; %bb.48:
	v_mov_b32_e32 v15, 0
	v_lshl_add_u64 v[2:3], s[4:5], 0, v[14:15]
	v_lshlrev_b32_e32 v4, 1, v18
	v_mov_b32_e32 v5, v15
	v_lshl_add_u64 v[2:3], v[2:3], 0, v[4:5]
	global_load_dwordx4 v[2:5], v[2:3], off
.LBB108_49:
	s_or_b64 exec, exec, s[0:1]
	v_or_b32_e32 v7, 1, v7
	v_cmp_gt_i32_e64 s[0:1], s27, v7
	v_lshlrev_b32_e32 v20, 8, v7
	v_mov_b32_e32 v7, 0
	v_mov_b32_e32 v8, 0
	;; [unrolled: 1-line block ×3, first 2 shown]
	s_and_saveexec_b64 s[2:3], s[0:1]
	s_cbranch_execz .LBB108_51
; %bb.50:
	v_mov_b32_e32 v21, 0
	v_lshl_add_u64 v[6:7], s[4:5], 0, v[20:21]
	v_lshlrev_b32_e32 v8, 1, v18
	v_mov_b32_e32 v9, v21
	v_lshl_add_u64 v[6:7], v[6:7], 0, v[8:9]
	global_load_dwordx4 v[6:9], v[6:7], off
.LBB108_51:
	s_or_b64 exec, exec, s[2:3]
	v_mov_b32_e32 v17, 0
	v_mov_b32_e32 v10, 0
	v_mov_b32_e32 v11, 0
	v_mov_b32_e32 v12, 0
	v_mov_b32_e32 v13, 0
	s_and_saveexec_b64 s[2:3], vcc
	s_cbranch_execz .LBB108_53
; %bb.52:
	v_mov_b32_e32 v15, 0
	v_lshl_add_u64 v[10:11], s[4:5], 0, v[14:15]
	v_lshlrev_b32_e32 v14, 1, v18
	v_lshl_add_u64 v[10:11], v[10:11], 0, v[14:15]
	global_load_dwordx4 v[10:13], v[10:11], off offset:128
.LBB108_53:
	s_or_b64 exec, exec, s[2:3]
	v_mov_b32_e32 v16, 0
	v_mov_b32_e32 v15, 0
	;; [unrolled: 1-line block ×3, first 2 shown]
	s_and_saveexec_b64 s[2:3], s[0:1]
	s_cbranch_execz .LBB108_55
; %bb.54:
	v_mov_b32_e32 v21, 0
	v_lshl_add_u64 v[14:15], s[4:5], 0, v[20:21]
	v_lshlrev_b32_e32 v20, 1, v18
	v_lshl_add_u64 v[14:15], v[14:15], 0, v[20:21]
	global_load_dwordx4 v[14:17], v[14:15], off offset:128
.LBB108_55:
	s_or_b64 exec, exec, s[2:3]
	s_branch .LBB108_58
.LBB108_56:
                                        ; implicit-def: $vgpr5
                                        ; implicit-def: $vgpr9
                                        ; implicit-def: $vgpr13
                                        ; implicit-def: $vgpr17
	s_cbranch_execz .LBB108_58
; %bb.57:
	s_waitcnt vmcnt(0)
	v_lshlrev_b32_e32 v2, 1, v18
	v_lshl_or_b32 v18, v25, 9, v2
	s_and_b32 s5, s5, 0xffff
	s_mov_b32 s7, 0x20000
	s_movk_i32 s6, 0x4000
	s_movk_i32 s0, 0x80
	buffer_load_dwordx4 v[2:5], v18, s[4:7], 0 offen
	buffer_load_dwordx4 v[6:9], v18, s[4:7], 0 offen offset:256
	buffer_load_dwordx4 v[10:13], v18, s[4:7], s0 offen
	buffer_load_dwordx4 v[14:17], v18, s[4:7], s0 offen offset:256
.LBB108_58:
	ds_read_b64 v[20:21], v27 offset:57344
	v_add_u32_e32 v18, 0x6000, v26
	ds_read2_b64 v[36:39], v18 offset1:16
	ds_read_b64 v[52:53], v28 offset:57344
	ds_read_b64 v[28:29], v29 offset:57344
	ds_read_b64 v[54:55], v30 offset:57344
	ds_read2st64_b64 v[40:43], v26 offset0:52 offset1:56
	s_mov_b32 s0, 0x1000504
	s_mov_b32 s1, 0x3020706
	s_waitcnt lgkmcnt(4)
	v_mfma_f32_16x16x16_bf16 a[0:3], v[20:21], v[36:37], a[0:3]
	v_mfma_f32_16x16x16_bf16 a[4:7], v[20:21], v[38:39], a[4:7]
	ds_read2_b64 v[36:39], v18 offset0:32 offset1:48
	v_and_b32_e32 v18, 6, v0
	v_xor_b32_e32 v25, v25, v18
	s_waitcnt lgkmcnt(0)
	v_mfma_f32_16x16x16_bf16 a[8:11], v[20:21], v[36:37], a[8:11]
	v_lshlrev_b32_e32 v25, 2, v25
	v_and_b32_e32 v0, 1, v0
	v_cmp_eq_u32_e32 vcc, 0, v0
	v_mfma_f32_16x16x16_bf16 a[12:15], v[20:21], v[38:39], a[12:15]
	ds_read2st64_b64 v[36:39], v31 offset0:52 offset1:56
	ds_read2st64_b64 v[44:47], v32 offset0:52 offset1:56
	;; [unrolled: 1-line block ×3, first 2 shown]
	ds_read_b64 v[20:21], v26 offset:30720
	ds_read_b64 v[26:27], v31 offset:30720
	;; [unrolled: 1-line block ×4, first 2 shown]
	s_waitcnt lgkmcnt(6)
	v_mfma_f32_16x16x16_bf16 a[4:7], v[52:53], v[36:37], a[4:7]
	v_xor_b32_e32 v36, 0x440, v25
	v_cndmask_b32_e32 v0, v36, v25, vcc
	v_lshl_or_b32 v0, v18, 10, v0
	v_mfma_f32_16x16x16_bf16 a[0:3], v[52:53], v[40:41], a[0:3]
	s_waitcnt vmcnt(0)
	v_perm_b32 v18, v2, v6, s0
	v_perm_b32 v25, v10, v14, s0
	ds_write2st64_b32 v0, v18, v25 offset0:128 offset1:160
	s_waitcnt lgkmcnt(6)
	v_mfma_f32_16x16x16_bf16 a[8:11], v[52:53], v[44:45], a[8:11]
	v_xor_b32_e32 v18, 8, v0
	v_perm_b32 v2, v2, v6, s1
	v_perm_b32 v6, v10, v14, s1
	s_waitcnt lgkmcnt(5)
	v_mfma_f32_16x16x16_bf16 a[12:15], v[52:53], v[48:49], a[12:15]
	v_add_u32_e32 v10, 0x80, v18
	ds_write2st64_b32 v10, v2, v6 offset0:128 offset1:160
	v_xor_b32_e32 v2, 16, v0
	v_mfma_f32_16x16x16_bf16 a[0:3], v[28:29], v[42:43], a[0:3]
	v_perm_b32 v6, v3, v7, s0
	v_perm_b32 v10, v11, v15, s0
	ds_write2st64_b32 v2, v6, v10 offset0:129 offset1:161
	v_mfma_f32_16x16x16_bf16 a[4:7], v[28:29], v[38:39], a[4:7]
	v_xor_b32_e32 v2, 24, v0
	v_perm_b32 v3, v3, v7, s1
	v_perm_b32 v6, v11, v15, s1
	v_mfma_f32_16x16x16_bf16 a[16:19], v[28:29], v[46:47], a[8:11]
	v_add_u32_e32 v2, 0x80, v2
	ds_write2st64_b32 v2, v3, v6 offset0:129 offset1:161
	v_xor_b32_e32 v2, 32, v0
	v_mfma_f32_16x16x16_bf16 a[20:23], v[28:29], v[50:51], a[12:15]
	v_perm_b32 v3, v4, v8, s0
	v_perm_b32 v6, v12, v16, s0
	ds_write2st64_b32 v2, v3, v6 offset0:130 offset1:162
	s_waitcnt lgkmcnt(8)
	v_mfma_f32_16x16x16_bf16 a[12:15], v[54:55], v[20:21], a[0:3]
	v_xor_b32_e32 v2, 40, v0
	v_perm_b32 v3, v4, v8, s1
	v_perm_b32 v4, v12, v16, s1
	s_waitcnt lgkmcnt(7)
	v_mfma_f32_16x16x16_bf16 a[8:11], v[54:55], v[26:27], a[4:7]
	v_add_u32_e32 v2, 0x80, v2
	ds_write2st64_b32 v2, v3, v4 offset0:130 offset1:162
	v_xor_b32_e32 v2, 48, v0
	s_waitcnt lgkmcnt(7)
	v_mfma_f32_16x16x16_bf16 a[4:7], v[54:55], v[30:31], a[16:19]
	v_perm_b32 v3, v5, v9, s0
	v_perm_b32 v4, v13, v17, s0
	v_xor_b32_e32 v0, 56, v0
	s_waitcnt lgkmcnt(6)
	v_mfma_f32_16x16x16_bf16 a[0:3], v[54:55], v[32:33], a[20:23]
	v_and_or_b32 v18, v35, 12, v1
	ds_write2st64_b32 v2, v3, v4 offset0:131 offset1:163
	v_perm_b32 v2, v5, v9, s1
	v_perm_b32 v3, v13, v17, s1
	v_add_u32_e32 v0, 0x80, v0
	v_cmp_gt_i32_e32 vcc, s27, v18
	v_mov_b32_e32 v14, 0
	v_mov_b32_e32 v16, 0
	ds_write2st64_b32 v0, v2, v3 offset0:131 offset1:163
	s_and_saveexec_b64 s[0:1], vcc
	s_cbranch_execz .LBB108_60
; %bb.59:
	v_add_u32_e32 v0, s26, v18
	v_ashrrev_i32_e32 v1, 31, v0
	v_mul_lo_u32 v2, v1, s28
	v_mul_lo_u32 v3, v0, s29
	v_mad_u64_u32 v[0:1], s[2:3], v0, s28, 0
	v_add3_u32 v1, v1, v3, v2
	v_lshl_add_u64 v[0:1], v[0:1], 2, s[10:11]
	global_load_dword v0, v[0:1], off
	s_waitcnt vmcnt(0)
	v_sub_f32_e32 v0, s12, v0
	v_mul_f32_e32 v0, 0x3fb8aa3b, v0
	v_exp_f32_e32 v16, v0
.LBB108_60:
	s_or_b64 exec, exec, s[0:1]
	v_or_b32_e32 v8, 1, v18
	v_cmp_gt_i32_e64 s[0:1], s27, v8
	s_and_saveexec_b64 s[2:3], s[0:1]
	s_cbranch_execz .LBB108_62
; %bb.61:
	v_add_u32_e32 v0, s26, v8
	v_ashrrev_i32_e32 v1, 31, v0
	v_mul_lo_u32 v2, v1, s28
	v_mul_lo_u32 v3, v0, s29
	v_mad_u64_u32 v[0:1], s[4:5], v0, s28, 0
	v_add3_u32 v1, v1, v3, v2
	v_lshl_add_u64 v[0:1], v[0:1], 2, s[10:11]
	global_load_dword v0, v[0:1], off
	s_waitcnt vmcnt(0)
	v_sub_f32_e32 v0, s12, v0
	v_mul_f32_e32 v0, 0x3fb8aa3b, v0
	v_exp_f32_e32 v14, v0
.LBB108_62:
	s_or_b64 exec, exec, s[2:3]
	v_or_b32_e32 v10, 2, v18
	v_cmp_gt_i32_e64 s[2:3], s27, v10
	v_mov_b32_e32 v15, 0
	v_mov_b32_e32 v17, 0
	s_and_saveexec_b64 s[4:5], s[2:3]
	s_cbranch_execz .LBB108_64
; %bb.63:
	v_add_u32_e32 v0, s26, v10
	v_ashrrev_i32_e32 v1, 31, v0
	v_mul_lo_u32 v2, v1, s28
	v_mul_lo_u32 v3, v0, s29
	v_mad_u64_u32 v[0:1], s[6:7], v0, s28, 0
	v_add3_u32 v1, v1, v3, v2
	v_lshl_add_u64 v[0:1], v[0:1], 2, s[10:11]
	global_load_dword v0, v[0:1], off
	s_waitcnt vmcnt(0)
	v_sub_f32_e32 v0, s12, v0
	v_mul_f32_e32 v0, 0x3fb8aa3b, v0
	v_exp_f32_e32 v17, v0
.LBB108_64:
	s_or_b64 exec, exec, s[4:5]
	v_or_b32_e32 v12, 3, v18
	v_cmp_gt_i32_e64 s[4:5], s27, v12
	s_and_saveexec_b64 s[6:7], s[4:5]
	s_cbranch_execz .LBB108_66
; %bb.65:
	v_add_u32_e32 v0, s26, v12
	v_ashrrev_i32_e32 v1, 31, v0
	v_mul_lo_u32 v2, v1, s28
	v_mul_lo_u32 v3, v0, s29
	v_mad_u64_u32 v[0:1], s[14:15], v0, s28, 0
	v_add3_u32 v1, v1, v3, v2
	v_lshl_add_u64 v[0:1], v[0:1], 2, s[10:11]
	global_load_dword v0, v[0:1], off
	s_waitcnt vmcnt(0)
	v_sub_f32_e32 v0, s12, v0
	v_mul_f32_e32 v0, 0x3fb8aa3b, v0
	v_exp_f32_e32 v15, v0
.LBB108_66:
	s_or_b64 exec, exec, s[6:7]
	s_add_u32 s6, s8, s20
	v_accvgpr_read_b32 v0, a12
	s_addc_u32 s7, s9, s21
	v_ashrrev_i32_e32 v35, 31, v34
	v_accvgpr_read_b32 v1, a13
	v_accvgpr_read_b32 v2, a14
	v_accvgpr_read_b32 v3, a15
	v_lshl_add_u64 v[4:5], v[34:35], 1, s[6:7]
	v_mov_b32_e32 v9, 0
	v_lshlrev_b32_e32 v6, 8, v18
	v_mov_b32_e32 v7, 0
	s_and_saveexec_b64 s[6:7], vcc
	s_cbranch_execz .LBB108_68
; %bb.67:
	v_mov_b32_e32 v7, 0
	v_lshl_add_u64 v[20:21], v[4:5], 0, v[6:7]
	global_load_ushort v7, v[20:21], off
	s_waitcnt vmcnt(0)
	v_lshlrev_b32_e32 v7, 16, v7
	v_sub_f32_e32 v0, v7, v0
	v_mul_f32_e32 v0, v16, v0
	v_lshrrev_b32_e32 v7, 16, v0
.LBB108_68:
	s_or_b64 exec, exec, s[6:7]
	v_lshlrev_b32_e32 v8, 8, v8
	s_and_saveexec_b64 s[6:7], s[0:1]
	s_cbranch_execz .LBB108_70
; %bb.69:
	v_mov_b32_e32 v9, 0
	v_lshl_add_u64 v[20:21], v[4:5], 0, v[8:9]
	global_load_ushort v0, v[20:21], off
	s_waitcnt vmcnt(0)
	v_lshlrev_b32_e32 v0, 16, v0
	v_sub_f32_e32 v0, v0, v1
	v_mul_f32_e32 v0, v14, v0
	v_lshrrev_b32_e32 v9, 16, v0
.LBB108_70:
	s_or_b64 exec, exec, s[6:7]
	v_mov_b32_e32 v13, 0
	v_lshlrev_b32_e32 v10, 8, v10
	v_mov_b32_e32 v11, 0
	s_and_saveexec_b64 s[6:7], s[2:3]
	s_cbranch_execz .LBB108_72
; %bb.71:
	v_mov_b32_e32 v11, 0
	v_lshl_add_u64 v[0:1], v[4:5], 0, v[10:11]
	global_load_ushort v0, v[0:1], off
	s_waitcnt vmcnt(0)
	v_lshlrev_b32_e32 v0, 16, v0
	v_sub_f32_e32 v0, v0, v2
	v_mul_f32_e32 v0, v17, v0
	v_lshrrev_b32_e32 v11, 16, v0
.LBB108_72:
	s_or_b64 exec, exec, s[6:7]
	v_lshlrev_b32_e32 v12, 8, v12
	s_and_saveexec_b64 s[6:7], s[4:5]
	s_cbranch_execz .LBB108_74
; %bb.73:
	v_mov_b32_e32 v13, 0
	v_lshl_add_u64 v[0:1], v[4:5], 0, v[12:13]
	global_load_ushort v0, v[0:1], off
	s_waitcnt vmcnt(0)
	v_lshlrev_b32_e32 v0, 16, v0
	v_sub_f32_e32 v0, v0, v3
	v_mul_f32_e32 v0, v15, v0
	v_lshrrev_b32_e32 v13, 16, v0
.LBB108_74:
	s_or_b64 exec, exec, s[6:7]
	v_lshlrev_b32_e32 v18, 6, v18
	s_mov_b32 s6, 0x5040100
	v_perm_b32 v20, v9, v7, s6
	v_or_b32_e32 v7, v18, v24
	v_accvgpr_read_b32 v0, a8
	v_perm_b32 v21, v13, v11, s6
	v_lshlrev_b32_e32 v7, 1, v7
	v_accvgpr_read_b32 v1, a9
	v_accvgpr_read_b32 v2, a10
	;; [unrolled: 1-line block ×3, first 2 shown]
	ds_write_b64 v7, v[20:21] offset:24576
	v_mov_b32_e32 v9, 0
	v_mov_b32_e32 v7, 0
	s_and_saveexec_b64 s[6:7], vcc
	s_cbranch_execz .LBB108_76
; %bb.75:
	v_mov_b32_e32 v7, 0
	v_lshl_add_u64 v[20:21], v[4:5], 0, v[6:7]
	global_load_ushort v7, v[20:21], off offset:32
	s_waitcnt vmcnt(0)
	v_lshlrev_b32_e32 v7, 16, v7
	v_sub_f32_e32 v0, v7, v0
	v_mul_f32_e32 v0, v16, v0
	v_lshrrev_b32_e32 v7, 16, v0
.LBB108_76:
	s_or_b64 exec, exec, s[6:7]
	s_and_saveexec_b64 s[6:7], s[0:1]
	s_cbranch_execz .LBB108_78
; %bb.77:
	v_mov_b32_e32 v9, 0
	v_lshl_add_u64 v[20:21], v[4:5], 0, v[8:9]
	global_load_ushort v0, v[20:21], off offset:32
	s_waitcnt vmcnt(0)
	v_lshlrev_b32_e32 v0, 16, v0
	v_sub_f32_e32 v0, v0, v1
	v_mul_f32_e32 v0, v14, v0
	v_lshrrev_b32_e32 v9, 16, v0
.LBB108_78:
	s_or_b64 exec, exec, s[6:7]
	v_mov_b32_e32 v13, 0
	v_mov_b32_e32 v11, 0
	s_and_saveexec_b64 s[6:7], s[2:3]
	s_cbranch_execz .LBB108_80
; %bb.79:
	v_mov_b32_e32 v11, 0
	v_lshl_add_u64 v[0:1], v[4:5], 0, v[10:11]
	global_load_ushort v0, v[0:1], off offset:32
	s_waitcnt vmcnt(0)
	v_lshlrev_b32_e32 v0, 16, v0
	v_sub_f32_e32 v0, v0, v2
	v_mul_f32_e32 v0, v17, v0
	v_lshrrev_b32_e32 v11, 16, v0
.LBB108_80:
	s_or_b64 exec, exec, s[6:7]
	s_and_saveexec_b64 s[6:7], s[4:5]
	s_cbranch_execz .LBB108_82
; %bb.81:
	v_mov_b32_e32 v13, 0
	v_lshl_add_u64 v[0:1], v[4:5], 0, v[12:13]
	global_load_ushort v0, v[0:1], off offset:32
	s_waitcnt vmcnt(0)
	v_lshlrev_b32_e32 v0, 16, v0
	v_sub_f32_e32 v0, v0, v3
	v_mul_f32_e32 v0, v15, v0
	v_lshrrev_b32_e32 v13, 16, v0
.LBB108_82:
	s_or_b64 exec, exec, s[6:7]
	s_mov_b32 s6, 0x5040100
	v_perm_b32 v20, v9, v7, s6
	v_or_b32_e32 v7, v18, v23
	v_accvgpr_read_b32 v0, a4
	v_perm_b32 v21, v13, v11, s6
	v_lshlrev_b32_e32 v7, 1, v7
	v_accvgpr_read_b32 v1, a5
	v_accvgpr_read_b32 v2, a6
	;; [unrolled: 1-line block ×3, first 2 shown]
	ds_write_b64 v7, v[20:21] offset:24576
	v_mov_b32_e32 v9, 0
	v_mov_b32_e32 v7, 0
	s_and_saveexec_b64 s[6:7], vcc
	s_cbranch_execz .LBB108_84
; %bb.83:
	v_mov_b32_e32 v7, 0
	v_lshl_add_u64 v[20:21], v[4:5], 0, v[6:7]
	global_load_ushort v7, v[20:21], off offset:64
	s_waitcnt vmcnt(0)
	v_lshlrev_b32_e32 v7, 16, v7
	v_sub_f32_e32 v0, v7, v0
	v_mul_f32_e32 v0, v16, v0
	v_lshrrev_b32_e32 v7, 16, v0
.LBB108_84:
	s_or_b64 exec, exec, s[6:7]
	s_and_saveexec_b64 s[6:7], s[0:1]
	s_cbranch_execz .LBB108_86
; %bb.85:
	v_mov_b32_e32 v9, 0
	v_lshl_add_u64 v[20:21], v[4:5], 0, v[8:9]
	global_load_ushort v0, v[20:21], off offset:64
	s_waitcnt vmcnt(0)
	v_lshlrev_b32_e32 v0, 16, v0
	v_sub_f32_e32 v0, v0, v1
	v_mul_f32_e32 v0, v14, v0
	v_lshrrev_b32_e32 v9, 16, v0
.LBB108_86:
	s_or_b64 exec, exec, s[6:7]
	v_mov_b32_e32 v13, 0
	v_mov_b32_e32 v11, 0
	s_and_saveexec_b64 s[6:7], s[2:3]
	s_cbranch_execz .LBB108_88
; %bb.87:
	v_mov_b32_e32 v11, 0
	v_lshl_add_u64 v[0:1], v[4:5], 0, v[10:11]
	global_load_ushort v0, v[0:1], off offset:64
	s_waitcnt vmcnt(0)
	v_lshlrev_b32_e32 v0, 16, v0
	v_sub_f32_e32 v0, v0, v2
	v_mul_f32_e32 v0, v17, v0
	v_lshrrev_b32_e32 v11, 16, v0
.LBB108_88:
	s_or_b64 exec, exec, s[6:7]
	s_and_saveexec_b64 s[6:7], s[4:5]
	s_cbranch_execz .LBB108_90
; %bb.89:
	v_mov_b32_e32 v13, 0
	v_lshl_add_u64 v[0:1], v[4:5], 0, v[12:13]
	global_load_ushort v0, v[0:1], off offset:64
	s_waitcnt vmcnt(0)
	v_lshlrev_b32_e32 v0, 16, v0
	v_sub_f32_e32 v0, v0, v3
	v_mul_f32_e32 v0, v15, v0
	v_lshrrev_b32_e32 v13, 16, v0
.LBB108_90:
	s_or_b64 exec, exec, s[6:7]
	s_mov_b32 s6, 0x5040100
	v_perm_b32 v20, v9, v7, s6
	v_or_b32_e32 v7, v18, v22
	v_accvgpr_read_b32 v0, a0
	v_perm_b32 v21, v13, v11, s6
	v_lshlrev_b32_e32 v7, 1, v7
	v_accvgpr_read_b32 v1, a1
	v_accvgpr_read_b32 v2, a2
	;; [unrolled: 1-line block ×3, first 2 shown]
	ds_write_b64 v7, v[20:21] offset:24576
	v_mov_b32_e32 v9, 0
	v_mov_b32_e32 v7, 0
	s_and_saveexec_b64 s[6:7], vcc
	s_cbranch_execz .LBB108_92
; %bb.91:
	v_mov_b32_e32 v7, 0
	v_lshl_add_u64 v[6:7], v[4:5], 0, v[6:7]
	global_load_ushort v6, v[6:7], off offset:96
	s_waitcnt vmcnt(0)
	v_lshlrev_b32_e32 v6, 16, v6
	v_sub_f32_e32 v0, v6, v0
	v_mul_f32_e32 v0, v16, v0
	v_lshrrev_b32_e32 v7, 16, v0
.LBB108_92:
	s_or_b64 exec, exec, s[6:7]
	s_and_saveexec_b64 s[6:7], s[0:1]
	s_cbranch_execz .LBB108_94
; %bb.93:
	v_mov_b32_e32 v9, 0
	v_lshl_add_u64 v[8:9], v[4:5], 0, v[8:9]
	global_load_ushort v0, v[8:9], off offset:96
	s_waitcnt vmcnt(0)
	v_lshlrev_b32_e32 v0, 16, v0
	v_sub_f32_e32 v0, v0, v1
	v_mul_f32_e32 v0, v14, v0
	v_lshrrev_b32_e32 v9, 16, v0
.LBB108_94:
	s_or_b64 exec, exec, s[6:7]
	v_mov_b32_e32 v0, 0
	v_mov_b32_e32 v1, 0
	s_and_saveexec_b64 s[0:1], s[2:3]
	s_cbranch_execz .LBB108_96
; %bb.95:
	v_mov_b32_e32 v11, 0
	v_lshl_add_u64 v[10:11], v[4:5], 0, v[10:11]
	global_load_ushort v1, v[10:11], off offset:96
	s_waitcnt vmcnt(0)
	v_lshlrev_b32_e32 v1, 16, v1
	v_sub_f32_e32 v1, v1, v2
	v_mul_f32_e32 v1, v17, v1
	v_lshrrev_b32_e32 v1, 16, v1
.LBB108_96:
	s_or_b64 exec, exec, s[0:1]
	s_and_saveexec_b64 s[0:1], s[4:5]
	s_cbranch_execz .LBB108_98
; %bb.97:
	v_mov_b32_e32 v13, 0
	v_lshl_add_u64 v[4:5], v[4:5], 0, v[12:13]
	global_load_ushort v0, v[4:5], off offset:96
	s_waitcnt vmcnt(0)
	v_lshlrev_b32_e32 v0, 16, v0
	v_sub_f32_e32 v0, v0, v3
	v_mul_f32_e32 v0, v15, v0
	v_lshrrev_b32_e32 v0, 16, v0
.LBB108_98:
	s_or_b64 exec, exec, s[0:1]
	s_mov_b32 s0, 0x5040100
	v_or_b32_e32 v2, v18, v19
	v_perm_b32 v1, v0, v1, s0
	v_perm_b32 v0, v9, v7, s0
	v_lshlrev_b32_e32 v2, 1, v2
	ds_write_b64 v2, v[0:1] offset:24576
	s_waitcnt lgkmcnt(0)
	s_barrier
.LBB108_99:
	s_endpgm
	.section	.rodata,"a",@progbits
	.p2align	6, 0x0
	.amdhsa_kernel _ZN12_GLOBAL__N_139chunk_gated_delta_rule_fwd_h_hip_kernelILi64ELb1ELb0ELb0ELb0ELb0ELb0ELb1ELb1EEEvPK12hip_bfloat16S3_S3_PKfS5_PKvPS1_S8_PvPKiSB_iiiiilll
		.amdhsa_group_segment_fixed_size 65536
		.amdhsa_private_segment_fixed_size 0
		.amdhsa_kernarg_size 136
		.amdhsa_user_sgpr_count 2
		.amdhsa_user_sgpr_dispatch_ptr 0
		.amdhsa_user_sgpr_queue_ptr 0
		.amdhsa_user_sgpr_kernarg_segment_ptr 1
		.amdhsa_user_sgpr_dispatch_id 0
		.amdhsa_user_sgpr_kernarg_preload_length 0
		.amdhsa_user_sgpr_kernarg_preload_offset 0
		.amdhsa_user_sgpr_private_segment_size 0
		.amdhsa_uses_dynamic_stack 0
		.amdhsa_enable_private_segment 0
		.amdhsa_system_sgpr_workgroup_id_x 1
		.amdhsa_system_sgpr_workgroup_id_y 1
		.amdhsa_system_sgpr_workgroup_id_z 0
		.amdhsa_system_sgpr_workgroup_info 0
		.amdhsa_system_vgpr_workitem_id 0
		.amdhsa_next_free_vgpr 216
		.amdhsa_next_free_sgpr 66
		.amdhsa_accum_offset 180
		.amdhsa_reserve_vcc 1
		.amdhsa_float_round_mode_32 0
		.amdhsa_float_round_mode_16_64 0
		.amdhsa_float_denorm_mode_32 3
		.amdhsa_float_denorm_mode_16_64 3
		.amdhsa_dx10_clamp 1
		.amdhsa_ieee_mode 1
		.amdhsa_fp16_overflow 0
		.amdhsa_tg_split 0
		.amdhsa_exception_fp_ieee_invalid_op 0
		.amdhsa_exception_fp_denorm_src 0
		.amdhsa_exception_fp_ieee_div_zero 0
		.amdhsa_exception_fp_ieee_overflow 0
		.amdhsa_exception_fp_ieee_underflow 0
		.amdhsa_exception_fp_ieee_inexact 0
		.amdhsa_exception_int_div_zero 0
	.end_amdhsa_kernel
	.section	.text._ZN12_GLOBAL__N_139chunk_gated_delta_rule_fwd_h_hip_kernelILi64ELb1ELb0ELb0ELb0ELb0ELb0ELb1ELb1EEEvPK12hip_bfloat16S3_S3_PKfS5_PKvPS1_S8_PvPKiSB_iiiiilll,"axG",@progbits,_ZN12_GLOBAL__N_139chunk_gated_delta_rule_fwd_h_hip_kernelILi64ELb1ELb0ELb0ELb0ELb0ELb0ELb1ELb1EEEvPK12hip_bfloat16S3_S3_PKfS5_PKvPS1_S8_PvPKiSB_iiiiilll,comdat
.Lfunc_end108:
	.size	_ZN12_GLOBAL__N_139chunk_gated_delta_rule_fwd_h_hip_kernelILi64ELb1ELb0ELb0ELb0ELb0ELb0ELb1ELb1EEEvPK12hip_bfloat16S3_S3_PKfS5_PKvPS1_S8_PvPKiSB_iiiiilll, .Lfunc_end108-_ZN12_GLOBAL__N_139chunk_gated_delta_rule_fwd_h_hip_kernelILi64ELb1ELb0ELb0ELb0ELb0ELb0ELb1ELb1EEEvPK12hip_bfloat16S3_S3_PKfS5_PKvPS1_S8_PvPKiSB_iiiiilll
                                        ; -- End function
	.section	.AMDGPU.csdata,"",@progbits
; Kernel info:
; codeLenInByte = 10992
; NumSgprs: 72
; NumVgprs: 178
; NumAgprs: 36
; TotalNumVgprs: 216
; ScratchSize: 0
; MemoryBound: 0
; FloatMode: 240
; IeeeMode: 1
; LDSByteSize: 65536 bytes/workgroup (compile time only)
; SGPRBlocks: 8
; VGPRBlocks: 26
; NumSGPRsForWavesPerEU: 72
; NumVGPRsForWavesPerEU: 216
; AccumOffset: 180
; Occupancy: 1
; WaveLimiterHint : 1
; COMPUTE_PGM_RSRC2:SCRATCH_EN: 0
; COMPUTE_PGM_RSRC2:USER_SGPR: 2
; COMPUTE_PGM_RSRC2:TRAP_HANDLER: 0
; COMPUTE_PGM_RSRC2:TGID_X_EN: 1
; COMPUTE_PGM_RSRC2:TGID_Y_EN: 1
; COMPUTE_PGM_RSRC2:TGID_Z_EN: 0
; COMPUTE_PGM_RSRC2:TIDIG_COMP_CNT: 0
; COMPUTE_PGM_RSRC3_GFX90A:ACCUM_OFFSET: 44
; COMPUTE_PGM_RSRC3_GFX90A:TG_SPLIT: 0
	.section	.text._ZN12_GLOBAL__N_139chunk_gated_delta_rule_fwd_h_hip_kernelILi64ELb0ELb1ELb1ELb0ELb0ELb0ELb1ELb1EEEvPK12hip_bfloat16S3_S3_PKfS5_PKvPS1_S8_PvPKiSB_iiiiilll,"axG",@progbits,_ZN12_GLOBAL__N_139chunk_gated_delta_rule_fwd_h_hip_kernelILi64ELb0ELb1ELb1ELb0ELb0ELb0ELb1ELb1EEEvPK12hip_bfloat16S3_S3_PKfS5_PKvPS1_S8_PvPKiSB_iiiiilll,comdat
	.globl	_ZN12_GLOBAL__N_139chunk_gated_delta_rule_fwd_h_hip_kernelILi64ELb0ELb1ELb1ELb0ELb0ELb0ELb1ELb1EEEvPK12hip_bfloat16S3_S3_PKfS5_PKvPS1_S8_PvPKiSB_iiiiilll ; -- Begin function _ZN12_GLOBAL__N_139chunk_gated_delta_rule_fwd_h_hip_kernelILi64ELb0ELb1ELb1ELb0ELb0ELb0ELb1ELb1EEEvPK12hip_bfloat16S3_S3_PKfS5_PKvPS1_S8_PvPKiSB_iiiiilll
	.p2align	8
	.type	_ZN12_GLOBAL__N_139chunk_gated_delta_rule_fwd_h_hip_kernelILi64ELb0ELb1ELb1ELb0ELb0ELb0ELb1ELb1EEEvPK12hip_bfloat16S3_S3_PKfS5_PKvPS1_S8_PvPKiSB_iiiiilll,@function
_ZN12_GLOBAL__N_139chunk_gated_delta_rule_fwd_h_hip_kernelILi64ELb0ELb1ELb1ELb0ELb0ELb0ELb1ELb1EEEvPK12hip_bfloat16S3_S3_PKfS5_PKvPS1_S8_PvPKiSB_iiiiilll: ; @_ZN12_GLOBAL__N_139chunk_gated_delta_rule_fwd_h_hip_kernelILi64ELb0ELb1ELb1ELb0ELb0ELb0ELb1ELb1EEEvPK12hip_bfloat16S3_S3_PKfS5_PKvPS1_S8_PvPKiSB_iiiiilll
; %bb.0:
	s_load_dwordx4 s[16:19], s[0:1], 0x5c
	s_load_dwordx4 s[20:23], s[0:1], 0x70
	s_abs_i32 s26, s3
	s_ashr_i32 s25, s3, 31
	s_load_dwordx8 s[4:11], s[0:1], 0x0
	s_waitcnt lgkmcnt(0)
	s_abs_i32 s24, s17
	v_cvt_f32_u32_e32 v1, s24
	s_sub_i32 s28, 0, s24
	s_ashr_i32 s27, s17, 31
	s_xor_b32 s25, s25, s27
	v_rcp_iflag_f32_e32 v1, v1
	s_load_dwordx2 s[34:35], s[0:1], 0x40
	s_load_dwordx4 s[12:15], s[0:1], 0x30
	s_load_dwordx2 s[36:37], s[0:1], 0x80
	v_lshrrev_b32_e32 v74, 6, v0
	v_mul_f32_e32 v1, 0x4f7ffffe, v1
	v_cvt_u32_f32_e32 v1, v1
	v_bfe_u32 v77, v0, 4, 2
	s_mov_b32 s0, 0
	v_lshlrev_b32_e32 v75, 4, v74
	v_readfirstlane_b32 s29, v1
	s_mul_i32 s28, s28, s29
	s_mul_hi_u32 s28, s29, s28
	s_add_i32 s29, s29, s28
	s_mul_hi_u32 s28, s26, s29
	s_mul_i32 s29, s28, s24
	s_sub_i32 s26, s26, s29
	s_add_i32 s30, s28, 1
	s_sub_i32 s29, s26, s24
	s_cmp_ge_u32 s26, s24
	s_cselect_b32 s28, s30, s28
	s_cselect_b32 s26, s29, s26
	s_add_i32 s29, s28, 1
	s_cmp_ge_u32 s26, s24
	s_cselect_b32 s26, s29, s28
	s_xor_b32 s26, s26, s25
	s_sub_i32 s49, s26, s25
	s_abs_i32 s26, s18
	v_cvt_f32_u32_e32 v1, s26
	s_mul_i32 s47, s49, s17
	s_sub_i32 s33, s3, s47
	s_add_i32 s3, s16, 63
	v_rcp_iflag_f32_e32 v1, v1
	s_ashr_i32 s25, s3, 31
	s_lshr_b32 s25, s25, 26
	s_ashr_i32 s48, s16, 31
	v_mul_f32_e32 v1, 0x4f7ffffe, v1
	v_cvt_u32_f32_e32 v1, v1
	s_add_i32 s3, s3, s25
	s_lshr_b32 s25, s48, 26
	s_add_i32 s25, s16, s25
	s_ashr_i32 s51, s18, 31
	s_ashr_i32 s50, s25, 6
	s_xor_b32 s25, s27, s51
	s_sub_i32 s27, 0, s26
	v_readfirstlane_b32 s28, v1
	s_mul_i32 s27, s27, s28
	s_mul_hi_u32 s27, s28, s27
	s_add_i32 s28, s28, s27
	s_mul_hi_u32 s27, s24, s28
	s_mul_i32 s28, s27, s26
	s_sub_i32 s24, s24, s28
	s_ashr_i32 s3, s3, 6
	s_add_i32 s28, s27, 1
	s_sub_i32 s29, s24, s26
	s_cmp_ge_u32 s24, s26
	s_cselect_b32 s27, s28, s27
	s_cselect_b32 s24, s29, s24
	s_add_i32 s28, s27, 1
	s_cmp_ge_u32 s24, s26
	s_cselect_b32 s24, s28, s27
	s_xor_b32 s24, s24, s25
	s_sub_i32 s24, s24, s25
	s_abs_i32 s25, s24
	v_cvt_f32_u32_e32 v1, s25
	s_sub_i32 s26, 0, s25
	s_xor_b32 s1, s33, s24
	s_abs_i32 s24, s33
	v_rcp_iflag_f32_e32 v1, v1
	s_ashr_i32 s1, s1, 31
	v_lshlrev_b32_e32 v2, 2, v77
	v_and_b32_e32 v76, 63, v0
	v_mul_f32_e32 v1, 0x4f7ffffe, v1
	v_cvt_u32_f32_e32 v1, v1
	s_mul_i32 s52, s49, s3
	v_and_b32_e32 v78, 15, v0
	s_mul_hi_i32 s53, s49, s17
	v_readfirstlane_b32 s27, v1
	s_mul_i32 s26, s26, s27
	s_mul_hi_u32 s26, s27, s26
	s_add_i32 s27, s27, s26
	s_mul_hi_u32 s26, s24, s27
	s_mul_i32 s27, s26, s25
	s_sub_i32 s24, s24, s27
	s_add_i32 s27, s26, 1
	s_sub_i32 s28, s24, s25
	s_cmp_ge_u32 s24, s25
	s_cselect_b32 s26, s27, s26
	s_cselect_b32 s24, s28, s24
	s_add_i32 s27, s26, 1
	s_cmp_ge_u32 s24, s25
	s_cselect_b32 s24, s27, s26
	s_xor_b32 s24, s24, s1
	s_sub_i32 s54, s24, s1
	v_or_b32_e32 v1, v2, v75
	s_lshl_b32 s2, s2, 6
	s_mov_b32 s1, s0
	v_or_b32_e32 v81, 64, v1
	s_cmp_lt_i32 s16, 64
	v_mov_b64_e32 v[34:35], s[0:1]
	v_lshrrev_b32_e32 v80, 3, v76
	v_lshlrev_b32_e32 v79, 3, v0
	s_mul_i32 s21, s49, s21
	s_mul_hi_u32 s46, s49, s20
	s_mul_i32 s38, s49, s20
	v_mov_b64_e32 v[36:37], s[0:1]
	v_mov_b64_e32 v[40:41], s[0:1]
	;; [unrolled: 1-line block ×15, first 2 shown]
	s_cbranch_scc1 .LBB109_17
; %bb.1:
	s_ashr_i32 s3, s49, 31
	s_ashr_i32 s56, s33, 31
	s_add_u32 s0, s47, s33
	s_addc_u32 s1, s53, s56
	s_mul_i32 s1, s16, s1
	s_mul_hi_u32 s24, s16, s0
	s_add_i32 s41, s24, s1
	s_mul_i32 s40, s16, s0
	s_lshl_b64 s[0:1], s[40:41], 8
	v_and_b32_e32 v83, 56, v79
	s_add_u32 s24, s6, s0
	v_lshl_or_b32 v82, v74, 3, v80
	v_lshlrev_b32_e32 v3, 1, v83
	s_addc_u32 s0, s7, s1
	v_lshl_or_b32 v84, v82, 8, v3
	s_and_b32 s25, s0, 0xffff
	s_mov_b32 s27, 0x20000
	s_movk_i32 s26, 0x4000
	s_movk_i32 s0, 0x80
	v_or_b32_e32 v85, 0x2000, v84
	buffer_load_dwordx4 v[4:7], v84, s[24:27], 0 offen
	buffer_load_dwordx4 v[8:11], v84, s[24:27], s0 offen
	;; [unrolled: 1-line block ×4, first 2 shown]
	v_lshlrev_b32_e32 v20, 3, v82
	v_and_or_b32 v22, v0, 7, v20
	v_and_b32_e32 v20, 0x78, v20
	v_lshlrev_b32_e32 v22, 4, v22
	v_xor_b32_e32 v86, v22, v20
	v_mul_lo_u32 v21, v82, s19
	v_or_b32_e32 v87, 0x1000, v86
	s_cmpk_eq_i32 s19, 0x80
	s_mov_b32 s55, s18
	v_xor_b32_e32 v20, 8, v86
	v_xor_b32_e32 v22, 8, v87
	s_cselect_b64 s[0:1], -1, 0
	s_cmpk_lg_i32 s19, 0x80
	s_waitcnt vmcnt(3)
	ds_write_b64 v86, v[4:5] offset:49152
	ds_write_b64 v20, v[6:7] offset:49152
	s_waitcnt vmcnt(2)
	ds_write_b64 v86, v[8:9] offset:57344
	ds_write_b64 v20, v[10:11] offset:57344
	;; [unrolled: 3-line block ×4, first 2 shown]
	v_lshl_add_u32 v4, v21, 1, v83
	s_cbranch_scc0 .LBB109_3
; %bb.2:
	v_lshlrev_b32_e32 v6, 1, v4
	v_add_lshl_u32 v5, v4, s19, 1
	s_lshl_b32 s26, s19, 7
	v_lshl_or_b32 v3, v82, 9, v3
	s_cbranch_execz .LBB109_4
	s_branch .LBB109_5
.LBB109_3:
                                        ; implicit-def: $vgpr5
                                        ; implicit-def: $vgpr6
                                        ; implicit-def: $sgpr26
	v_lshl_or_b32 v3, v82, 9, v3
.LBB109_4:
	v_or_b32_e32 v5, 0x100, v3
	s_movk_i32 s26, 0x4000
	v_mov_b32_e32 v6, v3
.LBB109_5:
	s_mul_hi_u32 s24, s18, s16
	s_mul_i32 s25, s51, s16
	s_add_i32 s24, s24, s25
	s_mul_i32 s25, s18, s16
	s_mul_i32 s27, s25, s3
	s_mul_hi_u32 s28, s25, s49
	s_add_i32 s27, s28, s27
	s_mul_i32 s24, s24, s49
	s_add_i32 s27, s27, s24
	s_mul_i32 s25, s25, s49
	s_ashr_i32 s57, s54, 31
	s_add_u32 s24, s25, s54
	s_addc_u32 s25, s27, s57
	s_lshl_b64 s[24:25], s[24:25], 8
	s_add_u32 s24, s4, s24
	s_addc_u32 s25, s5, s25
	s_and_b32 s25, s25, 0xffff
	s_mov_b32 s27, 0x20000
	s_movk_i32 s58, 0x80
	buffer_load_dwordx4 v[8:11], v6, s[24:27], 0 offen
	buffer_load_dwordx4 v[12:15], v6, s[24:27], s58 offen
	buffer_load_dwordx4 v[16:19], v5, s[24:27], 0 offen
	buffer_load_dwordx4 v[20:23], v5, s[24:27], s58 offen
	v_and_b32_e32 v5, 6, v0
	v_lshlrev_b32_e32 v6, 7, v1
	v_xor_b32_e32 v27, v82, v5
	v_and_b32_e32 v7, 1, v0
	v_lshl_or_b32 v30, v78, 3, v6
	v_lshlrev_b32_e32 v27, 2, v27
	v_or_b32_e32 v88, 0x4000, v30
	v_or_b32_e32 v89, 0x6000, v30
	v_xor_b32_e32 v30, 0x440, v27
	v_cmp_eq_u32_e32 vcc, 0, v7
	v_lshlrev_b32_e32 v24, 2, v78
	s_mov_b32 s60, 0x1000504
	v_cndmask_b32_e32 v7, v30, v27, vcc
	v_xor_b32_e32 v28, v1, v24
	v_xor_b32_e32 v29, v81, v24
	v_lshl_or_b32 v5, v5, 10, v7
	s_mov_b32 s61, 0x3020706
	s_mul_i32 s24, s3, s16
	s_mul_hi_u32 s25, s49, s16
	v_lshlrev_b32_e32 v25, 8, v78
	v_or_b32_e32 v26, 16, v78
	v_lshlrev_b32_e32 v28, 1, v28
	v_lshlrev_b32_e32 v29, 1, v29
	v_xor_b32_e32 v7, 8, v5
	v_xor_b32_e32 v27, 24, v5
	;; [unrolled: 1-line block ×4, first 2 shown]
	v_or_b32_e32 v91, v25, v28
	v_or_b32_e32 v92, v25, v29
	v_xor_b32_e32 v25, 16, v5
	v_xor_b32_e32 v30, 32, v5
	;; [unrolled: 1-line block ×3, first 2 shown]
	v_add_u32_e32 v7, 0x80, v7
	v_add_u32_e32 v27, 0x80, v27
	;; [unrolled: 1-line block ×4, first 2 shown]
	s_add_i32 s63, s25, s24
	s_add_i32 s24, s46, s21
	s_mul_i32 s3, s3, s20
	s_add_i32 s39, s24, s3
	s_mul_i32 s3, s33, s23
	s_mul_hi_u32 s24, s33, s22
	s_add_i32 s3, s24, s3
	s_mul_i32 s24, s56, s22
	s_add_i32 s25, s3, s24
	s_lshl_b64 s[28:29], s[38:39], 2
	s_mul_i32 s24, s33, s22
	s_add_u32 s3, s10, s28
	s_addc_u32 s28, s11, s29
	s_lshl_b64 s[24:25], s[24:25], 2
	s_add_u32 s42, s3, s24
	s_movk_i32 s3, 0xf8
	s_addc_u32 s43, s28, s25
	s_lshl_b32 s30, s19, 7
	s_movk_i32 s28, 0x100
	v_mov_b32_e32 v67, 0
	v_lshlrev_b32_e32 v66, 4, v78
	v_cmp_gt_u32_e32 vcc, s28, v0
	v_lshl_or_b32 v31, v26, 3, v6
	s_mov_b32 s59, 0
	s_mul_i32 s62, s49, s16
	v_or_b32_e32 v90, 0x4000, v31
	s_movk_i32 s26, 0x4000
	v_or_b32_e32 v93, 0x6000, v31
	v_add_u32_e32 v128, v75, v2
	s_movk_i32 s39, 0x2000
	s_movk_i32 s64, 0x3000
	v_mov_b32_e32 v133, 0x3fb8aa3b
	s_mov_b32 s66, 0
	v_mov_b32_e32 v62, v67
	v_mov_b32_e32 v63, v67
	;; [unrolled: 1-line block ×9, first 2 shown]
	s_waitcnt vmcnt(1)
	v_perm_b32 v35, v8, v16, s60
	s_waitcnt vmcnt(0)
	v_perm_b32 v36, v12, v20, s60
	v_perm_b32 v8, v8, v16, s61
	;; [unrolled: 1-line block ×15, first 2 shown]
	ds_write2st64_b32 v5, v35, v36 offset0:128 offset1:160
	ds_write2st64_b32 v7, v8, v12 offset0:128 offset1:160
	ds_write2st64_b32 v25, v16, v20 offset0:129 offset1:161
	ds_write2st64_b32 v27, v9, v13 offset0:129 offset1:161
	ds_write2st64_b32 v30, v17, v21 offset0:130 offset1:162
	ds_write2st64_b32 v32, v10, v14 offset0:130 offset1:162
	ds_write2st64_b32 v33, v18, v22 offset0:131 offset1:163
	ds_write2st64_b32 v34, v11, v15 offset0:131 offset1:163
	v_lshlrev_b32_e32 v5, 8, v26
	v_or_b32_e32 v94, v5, v28
	v_or_b32_e32 v95, v5, v29
	;; [unrolled: 1-line block ×3, first 2 shown]
	v_lshl_or_b32 v7, v5, 3, v6
	v_lshlrev_b32_e32 v5, 8, v5
	v_or_b32_e32 v98, v5, v28
	v_or_b32_e32 v99, v5, v29
	;; [unrolled: 1-line block ×5, first 2 shown]
	v_lshl_or_b32 v7, v5, 3, v6
	v_lshlrev_b32_e32 v5, 8, v5
	v_or_b32_e32 v102, v5, v28
	v_or_b32_e32 v103, v5, v29
	;; [unrolled: 1-line block ×3, first 2 shown]
	v_lshlrev_b32_e32 v5, 3, v5
	v_lshrrev_b32_e32 v9, 5, v76
	v_and_or_b32 v9, v5, s3, v9
	v_lshlrev_b32_e32 v9, 4, v9
	v_or_b32_e32 v100, 0x4000, v7
	v_or_b32_e32 v101, 0x6000, v7
	v_lshlrev_b32_e32 v7, 11, v74
	v_and_b32_e32 v5, 0x78, v5
	v_or_b32_e32 v14, 32, v9
	v_and_b32_e32 v8, 0x1000, v7
	v_xor_b32_e32 v10, v9, v5
	v_lshrrev_b32_e32 v11, 1, v0
	v_xor_b32_e32 v14, v14, v5
	v_or_b32_e32 v10, v10, v8
	v_and_b32_e32 v12, 8, v11
	v_or_b32_e32 v14, v14, v8
	v_xor_b32_e32 v104, v10, v12
	v_lshlrev_b32_e32 v10, 8, v77
	v_xor_b32_e32 v106, v14, v12
	v_or_b32_e32 v14, 64, v9
	v_or_b32_e32 v9, 0x60, v9
	;; [unrolled: 1-line block ×3, first 2 shown]
	v_xor_b32_e32 v14, v14, v5
	v_xor_b32_e32 v5, v9, v5
	s_ashr_i32 s3, s2, 31
	v_lshlrev_b32_e32 v13, 1, v13
	v_or_b32_e32 v14, v14, v8
	v_or_b32_e32 v5, v5, v8
	s_lshl_b64 s[24:25], s[2:3], 8
	v_or_b32_e32 v105, 0x4000, v13
	v_or_b32_e32 v107, 0x4080, v13
	;; [unrolled: 1-line block ×4, first 2 shown]
	v_xor_b32_e32 v110, v14, v12
	v_xor_b32_e32 v111, v5, v12
	v_or_b32_e32 v112, 0x6000, v13
	v_or_b32_e32 v113, 0x6080, v13
	v_or_b32_e32 v114, 0x6100, v13
	v_or_b32_e32 v115, 0x6180, v13
	v_lshlrev_b32_e32 v12, 1, v4
	v_add_lshl_u32 v13, v4, s19, 1
	s_waitcnt lgkmcnt(0)
	s_add_u32 s24, s12, s24
	v_lshlrev_b32_e32 v4, 1, v78
	v_lshrrev_b32_e32 v15, 4, v0
	s_addc_u32 s25, s13, s25
	v_or_b32_e32 v5, 1, v4
	v_mov_b32_e32 v19, 0xa000
	v_mov_b32_e32 v20, 0x8000
	v_xor_b32_e32 v16, v15, v4
	v_xor_b32_e32 v17, v5, v15
	v_lshl_add_u64 v[4:5], s[24:25], 0, v[66:67]
	v_lshlrev_b32_e32 v66, 8, v15
	v_cndmask_b32_e32 v19, v19, v20, vcc
	v_lshlrev_b32_e32 v20, 3, v74
	v_and_b32_e32 v11, 24, v11
	v_lshl_or_b32 v116, v16, 3, v66
	v_and_b32_e32 v16, 8, v0
	v_xor_b32_e32 v21, v20, v11
	v_or_b32_e32 v22, 0x440, v21
	v_cmp_eq_u32_e32 vcc, 0, v16
	v_and_b32_e32 v15, 7, v0
	v_lshl_or_b32 v117, v17, 3, v66
	v_cndmask_b32_e32 v16, v22, v21, vcc
	v_lshlrev_b32_e32 v17, 3, v15
	v_lshlrev_b32_e32 v15, 7, v15
	v_or_b32_e32 v16, v16, v7
	v_lshlrev_b32_e32 v18, 2, v0
	v_xad_u32 v118, v16, v17, v15
	v_or_b32_e32 v16, 32, v11
	v_and_or_b32 v10, v18, 60, v10
	v_xor_b32_e32 v16, v20, v16
	v_lshlrev_b32_e32 v10, 1, v10
	v_or_b32_e32 v18, 0x440, v16
	v_or_b32_e32 v119, 0x6000, v10
	v_cndmask_b32_e32 v16, v18, v16, vcc
	v_or_b32_e32 v121, 0x6080, v10
	v_or_b32_e32 v122, 0x6100, v10
	v_or_b32_e32 v123, 0x6180, v10
	v_or_b32_e32 v10, 64, v11
	v_or_b32_e32 v16, v16, v7
	v_xor_b32_e32 v10, v20, v10
	v_xad_u32 v120, v16, v17, v15
	v_xor_b32_e32 v16, 0x440, v10
	v_cndmask_b32_e32 v10, v16, v10, vcc
	v_or_b32_e32 v10, v10, v7
	v_xad_u32 v124, v10, v17, v15
	v_or_b32_e32 v10, 0x60, v11
	v_xor_b32_e32 v10, v20, v10
	v_xor_b32_e32 v11, 0x440, v10
	v_or_b32_e32 v8, s2, v78
	v_cndmask_b32_e32 v10, v11, v10, vcc
	v_ashrrev_i32_e32 v9, 31, v8
	v_or_b32_e32 v7, v10, v7
	v_or_b32_e32 v14, 0x100, v3
	v_xad_u32 v125, v7, v17, v15
	v_lshlrev_b64 v[8:9], 1, v[8:9]
	v_cndmask_b32_e64 v126, v12, v3, s[0:1]
	v_cndmask_b32_e64 v127, v13, v14, s[0:1]
	v_lshl_add_u64 v[68:69], s[8:9], 0, v[8:9]
	v_lshl_add_u64 v[70:71], s[14:15], 0, v[8:9]
	;; [unrolled: 1-line block ×3, first 2 shown]
	s_mov_b32 s3, 0x7060302
	v_lshlrev_b32_e32 v66, 1, v6
	v_add_u32_e32 v129, v19, v118
	v_add_u32_e32 v130, v19, v120
	;; [unrolled: 1-line block ×4, first 2 shown]
	v_mov_b32_e32 v55, v67
	v_mov_b32_e32 v56, v67
	;; [unrolled: 1-line block ×23, first 2 shown]
	s_barrier
	s_branch .LBB109_7
.LBB109_6:                              ;   in Loop: Header=BB109_7 Depth=1
	s_waitcnt vmcnt(6)
	v_mul_f32_e32 v22, s44, v133
	v_exp_f32_e32 v134, v22
	v_accvgpr_read_b32 v5, a3
	v_accvgpr_read_b32 v9, a7
	;; [unrolled: 1-line block ×4, first 2 shown]
	s_waitcnt vmcnt(4)
	v_accvgpr_read_b32 v18, a20
	v_accvgpr_read_b32 v25, a19
	;; [unrolled: 1-line block ×28, first 2 shown]
	s_add_i32 s59, s59, 64
	v_pk_fma_f32 v[62:63], v[134:135], v[62:63], v[2:3] op_sel_hi:[0,1,1]
	v_pk_fma_f32 v[64:65], v[134:135], v[64:65], v[4:5] op_sel_hi:[0,1,1]
	;; [unrolled: 1-line block ×16, first 2 shown]
	s_cmp_eq_u32 s50, s65
	s_mov_b32 s66, s65
	s_cbranch_scc1 .LBB109_17
.LBB109_7:                              ; =>This Inner Loop Header: Depth=1
	s_add_i32 s65, s66, 1
	s_cmp_lt_i32 s65, s50
	s_mov_b64 s[28:29], 0
	s_cselect_b64 s[44:45], -1, 0
	s_cmp_ge_i32 s65, s50
	s_mov_b64 s[24:25], 0
	s_cbranch_scc1 .LBB109_9
; %bb.8:                                ;   in Loop: Header=BB109_7 Depth=1
	s_add_i32 s0, s59, 64
	s_add_u32 s0, s40, s0
	s_addc_u32 s1, s41, 0
	s_lshl_b64 s[0:1], s[0:1], 8
	s_add_u32 s24, s6, s0
	s_addc_u32 s25, s7, s1
.LBB109_9:                              ;   in Loop: Header=BB109_7 Depth=1
	v_cndmask_b32_e64 v2, 0, 1, s[44:45]
	v_cmp_ne_u32_e64 s[0:1], 1, v2
	s_andn2_b64 vcc, exec, s[44:45]
	s_cbranch_vccnz .LBB109_11
; %bb.10:                               ;   in Loop: Header=BB109_7 Depth=1
	s_add_i32 s28, s59, 64
	s_add_u32 s28, s62, s28
	s_addc_u32 s29, s63, 0
	s_mul_i32 s31, s28, s51
	s_mul_hi_u32 s44, s28, s55
	s_add_i32 s31, s44, s31
	s_mul_i32 s29, s29, s55
	s_add_i32 s31, s31, s29
	s_mul_i32 s28, s28, s55
	s_add_u32 s28, s28, s54
	s_addc_u32 s29, s31, s57
	s_lshl_b64 s[28:29], s[28:29], 8
	s_add_u32 s28, s4, s28
	s_addc_u32 s29, s5, s29
.LBB109_11:                             ;   in Loop: Header=BB109_7 Depth=1
	v_perm_b32 v3, v65, v64, s3
	v_perm_b32 v2, v63, v62, s3
	v_perm_b32 v5, v61, v60, s3
	v_perm_b32 v4, v59, v58, s3
	ds_write_b64 v88, v[2:3]
	ds_write_b64 v89, v[4:5]
	ds_write_b64 v91, v[2:3]
	ds_write_b64 v92, v[4:5]
	v_perm_b32 v3, v57, v56, s3
	v_perm_b32 v2, v55, v54, s3
	v_perm_b32 v5, v53, v52, s3
	v_perm_b32 v4, v51, v50, s3
	ds_write_b64 v90, v[2:3]
	ds_write_b64 v93, v[4:5]
	ds_write_b64 v94, v[2:3]
	ds_write_b64 v95, v[4:5]
	;; [unrolled: 8-line block ×4, first 2 shown]
	s_waitcnt lgkmcnt(0)
	s_barrier
	ds_read_b64 v[6:7], v104 offset:49152
	ds_read2_b64 v[2:5], v105 offset1:16
	ds_read_b64 v[18:19], v107 offset:6144
	ds_read_b64 v[20:21], v105 offset:6144
	s_waitcnt lgkmcnt(2)
	v_mfma_f32_16x16x16_bf16 a[0:3], v[6:7], v[2:3], 0
	ds_read_b64 v[22:23], v106 offset:49152
	ds_read2st64_b64 v[10:13], v108 offset0:4 offset1:8
	ds_read2st64_b64 v[14:17], v109 offset0:4 offset1:8
	v_mfma_f32_16x16x16_bf16 a[4:7], v[6:7], v[4:5], 0
	ds_read2_b64 v[2:5], v105 offset0:32 offset1:48
	s_add_i32 s31, s59, 63
	s_mul_i32 s44, s31, s37
	s_waitcnt lgkmcnt(0)
	v_mfma_f32_16x16x16_bf16 a[8:11], v[6:7], v[2:3], 0
	s_mul_hi_u32 s45, s31, s36
	s_add_i32 s45, s45, s44
	s_mul_i32 s44, s31, s36
	v_mfma_f32_16x16x16_bf16 a[12:15], v[6:7], v[4:5], 0
	ds_read2st64_b64 v[2:5], v105 offset0:4 offset1:8
	ds_read2st64_b64 v[6:9], v107 offset0:4 offset1:8
	s_lshl_b64 s[44:45], s[44:45], 2
	s_waitcnt lgkmcnt(1)
	v_mfma_f32_16x16x16_bf16 a[0:3], v[22:23], v[2:3], a[0:3]
	s_add_u32 s44, s42, s44
	s_addc_u32 s45, s43, s45
	s_and_b64 vcc, exec, s[0:1]
	s_waitcnt lgkmcnt(0)
	v_mfma_f32_16x16x16_bf16 a[4:7], v[22:23], v[6:7], a[4:7]
	v_mov_b32_e32 v136, 0
	v_mov_b32_e32 v135, 0
	;; [unrolled: 1-line block ×3, first 2 shown]
	v_mfma_f32_16x16x16_bf16 a[8:11], v[22:23], v[10:11], a[8:11]
	ds_read_b64 v[2:3], v110 offset:49152
	ds_read_b64 v[6:7], v111 offset:49152
	;; [unrolled: 1-line block ×3, first 2 shown]
	v_mfma_f32_16x16x16_bf16 a[12:15], v[22:23], v[14:15], a[12:15]
	v_mov_b32_e32 v14, 0
	v_mov_b32_e32 v15, 0
	s_waitcnt lgkmcnt(2)
	v_mfma_f32_16x16x16_bf16 a[0:3], v[2:3], v[4:5], a[0:3]
	v_mov_b32_e32 v4, 0
	v_mov_b32_e32 v5, 0
	v_mfma_f32_16x16x16_bf16 a[4:7], v[2:3], v[8:9], a[4:7]
	v_mov_b32_e32 v8, 0
	v_mov_b32_e32 v9, 0
	;; [unrolled: 3-line block ×3, first 2 shown]
	v_mfma_f32_16x16x16_bf16 a[12:15], v[2:3], v[16:17], a[12:15]
	ds_read_b64 v[2:3], v108 offset:6144
	v_mov_b32_e32 v16, 0
	v_mov_b32_e32 v17, 0
	s_waitcnt lgkmcnt(2)
	v_mfma_f32_16x16x16_bf16 a[0:3], v[6:7], v[20:21], a[0:3]
	v_mfma_f32_16x16x16_bf16 a[4:7], v[6:7], v[18:19], a[4:7]
	s_waitcnt lgkmcnt(0)
	v_mfma_f32_16x16x16_bf16 a[8:11], v[6:7], v[2:3], a[8:11]
	v_mov_b32_e32 v2, 0
	v_mov_b32_e32 v3, 0
	v_mfma_f32_16x16x16_bf16 a[12:15], v[6:7], v[10:11], a[12:15]
	v_mov_b32_e32 v6, 0
	v_mov_b32_e32 v7, 0
	;; [unrolled: 1-line block ×4, first 2 shown]
	s_cbranch_vccnz .LBB109_13
; %bb.12:                               ;   in Loop: Header=BB109_7 Depth=1
	s_and_b32 s25, s25, 0xffff
	buffer_load_dwordx4 v[14:17], v84, s[24:27], 0 offen
	buffer_load_dwordx4 v[10:13], v84, s[24:27], s58 offen
	;; [unrolled: 1-line block ×4, first 2 shown]
	v_mov_b32_e32 v135, v86
	v_mov_b32_e32 v134, v87
.LBB109_13:                             ;   in Loop: Header=BB109_7 Depth=1
	ds_read_b64 v[142:143], v104 offset:57344
	ds_read2_b64 v[18:21], v112 offset1:16
	ds_read_b64 v[144:145], v106 offset:57344
	ds_read_b64 v[146:147], v110 offset:57344
	ds_read_b64 v[148:149], v111 offset:57344
	v_add_u32_e32 v137, s59, v128
	s_waitcnt lgkmcnt(3)
	v_mfma_f32_16x16x16_bf16 a[0:3], v[142:143], v[18:19], a[0:3]
	v_mfma_f32_16x16x16_bf16 a[4:7], v[142:143], v[20:21], a[4:7]
	ds_read2_b64 v[18:21], v112 offset0:32 offset1:48
	ds_read2st64_b64 v[22:25], v112 offset0:4 offset1:8
	ds_read2st64_b64 v[26:29], v113 offset0:4 offset1:8
	;; [unrolled: 1-line block ×4, first 2 shown]
	s_waitcnt lgkmcnt(4)
	v_mfma_f32_16x16x16_bf16 a[8:11], v[142:143], v[18:19], a[8:11]
	v_ashrrev_i32_e32 v18, 31, v137
	v_mfma_f32_16x16x16_bf16 a[12:15], v[142:143], v[20:21], a[12:15]
	v_mul_lo_u32 v20, v18, s36
	v_mul_lo_u32 v21, v137, s37
	v_mad_u64_u32 v[18:19], s[24:25], v137, s36, 0
	v_add3_u32 v19, v19, v21, v20
	v_add_u32_e32 v20, 1, v137
	v_ashrrev_i32_e32 v21, 31, v20
	s_waitcnt lgkmcnt(3)
	v_mfma_f32_16x16x16_bf16 a[0:3], v[144:145], v[22:23], a[0:3]
	v_mul_lo_u32 v22, v21, s36
	v_mul_lo_u32 v23, v20, s37
	v_mad_u64_u32 v[20:21], s[24:25], v20, s36, 0
	v_add3_u32 v21, v21, v23, v22
	v_add_u32_e32 v22, 2, v137
	v_ashrrev_i32_e32 v23, 31, v22
	s_waitcnt lgkmcnt(2)
	v_mfma_f32_16x16x16_bf16 a[4:7], v[144:145], v[26:27], a[4:7]
	v_mul_lo_u32 v26, v23, s36
	v_mul_lo_u32 v27, v22, s37
	v_mad_u64_u32 v[22:23], s[24:25], v22, s36, 0
	v_add3_u32 v23, v23, v27, v26
	v_add_u32_e32 v26, 3, v137
	v_lshl_add_u64 v[18:19], v[18:19], 2, s[42:43]
	v_lshl_add_u64 v[20:21], v[20:21], 2, s[42:43]
	v_ashrrev_i32_e32 v27, 31, v26
	s_waitcnt lgkmcnt(1)
	v_mfma_f32_16x16x16_bf16 a[8:11], v[144:145], v[30:31], a[8:11]
	v_mul_lo_u32 v27, v27, s36
	global_load_dword v30, v[18:19], off
	global_load_dword v137, v[20:21], off
	v_mul_lo_u32 v31, v26, s37
	v_mad_u64_u32 v[18:19], s[24:25], v26, s36, 0
	v_add3_u32 v19, v19, v31, v27
	s_add_u32 s24, s40, s59
	v_lshl_add_u64 v[22:23], v[22:23], 2, s[42:43]
	v_lshl_add_u64 v[18:19], v[18:19], 2, s[42:43]
	s_addc_u32 s25, s41, 0
	s_waitcnt lgkmcnt(0)
	v_mfma_f32_16x16x16_bf16 a[12:15], v[144:145], v[138:139], a[12:15]
	global_load_dword v31, v[22:23], off
	global_load_dword v138, v[18:19], off
	s_lshl_b64 s[24:25], s[24:25], 8
	v_lshl_add_u64 v[18:19], v[68:69], 0, s[24:25]
	v_lshl_add_u64 v[18:19], v[18:19], 0, v[66:67]
	global_load_ushort v139, v[18:19], off offset:256
	global_load_ushort v142, v[18:19], off
	global_load_ushort v143, v[18:19], off offset:768
	global_load_ushort v144, v[18:19], off offset:512
	global_load_ushort v145, v[18:19], off offset:288
	global_load_ushort v150, v[18:19], off offset:32
	global_load_ushort v151, v[18:19], off offset:800
	global_load_ushort v152, v[18:19], off offset:544
	s_load_dword s44, s[44:45], 0x0
	v_mfma_f32_16x16x16_bf16 a[12:15], v[146:147], v[140:141], a[12:15]
	global_load_ushort v140, v[18:19], off offset:320
	global_load_ushort v141, v[18:19], off offset:64
	s_and_b64 vcc, exec, s[0:1]
	v_mfma_f32_16x16x16_bf16 a[0:3], v[146:147], v[24:25], a[0:3]
	ds_read_b64 v[20:21], v112 offset:6144
	ds_read_b64 v[22:23], v113 offset:6144
	;; [unrolled: 1-line block ×4, first 2 shown]
	v_mfma_f32_16x16x16_bf16 a[4:7], v[146:147], v[28:29], a[4:7]
	s_waitcnt vmcnt(11) lgkmcnt(0)
	v_sub_f32_e32 v28, s44, v31
	v_mfma_f32_16x16x16_bf16 a[8:11], v[146:147], v[32:33], a[8:11]
	global_load_ushort v146, v[18:19], off offset:832
	global_load_ushort v147, v[18:19], off offset:576
	;; [unrolled: 1-line block ×6, first 2 shown]
	v_mfma_f32_16x16x16_bf16 a[0:3], v[148:149], v[20:21], a[0:3]
	s_waitcnt vmcnt(16)
	v_sub_f32_e32 v29, s44, v138
	v_mul_f32_e32 v28, 0x3fb8aa3b, v28
	v_mul_f32_e32 v29, 0x3fb8aa3b, v29
	v_exp_f32_e32 v28, v28
	v_exp_f32_e32 v29, v29
	s_waitcnt vmcnt(15)
	v_lshlrev_b32_e32 v33, 16, v139
	s_waitcnt vmcnt(14)
	v_lshlrev_b32_e32 v32, 16, v142
	v_accvgpr_read_b32 v21, a3
	v_accvgpr_read_b32 v20, a2
	v_mfma_f32_16x16x16_bf16 a[2:5], v[148:149], v[22:23], a[4:7]
	v_accvgpr_read_b32 v139, a1
	v_accvgpr_read_b32 v138, a0
	v_pk_add_f32 v[32:33], v[32:33], v[138:139] neg_lo:[0,1] neg_hi:[0,1]
	v_mfma_f32_16x16x16_bf16 a[6:9], v[148:149], v[24:25], a[8:11]
	s_waitcnt vmcnt(13)
	v_lshlrev_b32_e32 v139, 16, v143
	s_waitcnt vmcnt(12)
	v_lshlrev_b32_e32 v138, 16, v144
	v_pk_add_f32 v[20:21], v[138:139], v[20:21] neg_lo:[0,1] neg_hi:[0,1]
	v_accvgpr_read_b32 v139, a3
	v_accvgpr_read_b32 v138, a2
	;; [unrolled: 1-line block ×6, first 2 shown]
	v_mfma_f32_16x16x16_bf16 a[8:11], v[148:149], v[26:27], a[12:15]
	v_sub_f32_e32 v26, s44, v30
	v_sub_f32_e32 v27, s44, v137
	v_mul_f32_e32 v26, 0x3fb8aa3b, v26
	v_mul_f32_e32 v27, 0x3fb8aa3b, v27
	v_exp_f32_e32 v26, v26
	v_exp_f32_e32 v27, v27
	v_lshl_add_u64 v[30:31], v[70:71], 0, s[24:25]
	v_lshl_add_u64 v[30:31], v[30:31], 0, v[66:67]
	global_store_short_d16_hi v[30:31], v32, off
	global_store_short_d16_hi v[30:31], v33, off offset:256
	global_store_short_d16_hi v[30:31], v20, off offset:512
	;; [unrolled: 1-line block ×3, first 2 shown]
	v_pk_mul_f32 v[32:33], v[26:27], v[32:33]
	v_pk_mul_f32 v[20:21], v[28:29], v[20:21]
	v_accvgpr_read_b32 v25, a11
	v_perm_b32 v21, v21, v20, s3
	v_perm_b32 v20, v33, v32, s3
	s_waitcnt vmcnt(15)
	v_lshlrev_b32_e32 v33, 16, v145
	s_waitcnt vmcnt(14)
	v_lshlrev_b32_e32 v32, 16, v150
	v_pk_add_f32 v[32:33], v[32:33], v[138:139] neg_lo:[0,1] neg_hi:[0,1]
	s_waitcnt vmcnt(13)
	v_lshlrev_b32_e32 v139, 16, v151
	s_waitcnt vmcnt(12)
	v_lshlrev_b32_e32 v138, 16, v152
	v_pk_add_f32 v[22:23], v[138:139], v[22:23] neg_lo:[0,1] neg_hi:[0,1]
	global_store_short_d16_hi v[30:31], v32, off offset:32
	global_store_short_d16_hi v[30:31], v33, off offset:288
	;; [unrolled: 1-line block ×4, first 2 shown]
	v_pk_mul_f32 v[32:33], v[26:27], v[32:33]
	v_pk_mul_f32 v[22:23], v[28:29], v[22:23]
	v_accvgpr_read_b32 v24, a10
	v_perm_b32 v23, v23, v22, s3
	v_perm_b32 v22, v33, v32, s3
	ds_write2_b64 v89, v[20:21], v[22:23] offset1:16
	v_accvgpr_read_b32 v23, a7
	s_waitcnt vmcnt(15)
	v_lshlrev_b32_e32 v21, 16, v140
	s_waitcnt vmcnt(14)
	v_lshlrev_b32_e32 v20, 16, v141
	v_accvgpr_read_b32 v22, a6
	v_pk_add_f32 v[20:21], v[20:21], v[22:23] neg_lo:[0,1] neg_hi:[0,1]
	global_store_short_d16_hi v[30:31], v20, off offset:64
	global_store_short_d16_hi v[30:31], v21, off offset:320
	v_pk_mul_f32 v[20:21], v[26:27], v[20:21]
	v_mov_b32_e32 v137, 0
	v_perm_b32 v20, v21, v20, s3
	v_mov_b32_e32 v32, 0
	v_mov_b32_e32 v33, 0
	s_waitcnt vmcnt(15)
	v_lshlrev_b32_e32 v23, 16, v146
	s_waitcnt vmcnt(14)
	v_lshlrev_b32_e32 v22, 16, v147
	v_pk_add_f32 v[18:19], v[22:23], v[18:19] neg_lo:[0,1] neg_hi:[0,1]
	global_store_short_d16_hi v[30:31], v18, off offset:576
	global_store_short_d16_hi v[30:31], v19, off offset:832
	v_pk_mul_f32 v[18:19], v[28:29], v[18:19]
	v_accvgpr_read_b32 v23, a9
	v_perm_b32 v21, v19, v18, s3
	s_waitcnt vmcnt(15)
	v_lshlrev_b32_e32 v19, 16, v153
	s_waitcnt vmcnt(14)
	v_lshlrev_b32_e32 v18, 16, v154
	v_accvgpr_read_b32 v22, a8
	v_pk_add_f32 v[18:19], v[18:19], v[22:23] neg_lo:[0,1] neg_hi:[0,1]
	s_waitcnt vmcnt(13)
	v_lshlrev_b32_e32 v23, 16, v155
	s_waitcnt vmcnt(12)
	v_lshlrev_b32_e32 v22, 16, v156
	v_pk_add_f32 v[22:23], v[22:23], v[24:25] neg_lo:[0,1] neg_hi:[0,1]
	global_store_short_d16_hi v[30:31], v18, off offset:96
	global_store_short_d16_hi v[30:31], v19, off offset:352
	;; [unrolled: 1-line block ×4, first 2 shown]
	v_pk_mul_f32 v[18:19], v[26:27], v[18:19]
	v_pk_mul_f32 v[22:23], v[28:29], v[22:23]
	v_mov_b32_e32 v24, 0
	v_perm_b32 v23, v23, v22, s3
	v_perm_b32 v22, v19, v18, s3
	ds_write2_b64 v89, v[20:21], v[22:23] offset0:32 offset1:48
	v_mov_b32_e32 v18, 0
	v_mov_b32_e32 v19, 0
	;; [unrolled: 1-line block ×13, first 2 shown]
	s_cbranch_vccnz .LBB109_15
; %bb.14:                               ;   in Loop: Header=BB109_7 Depth=1
	s_and_b32 s29, s29, 0xffff
	s_mov_b32 s31, s27
	buffer_load_dwordx4 v[30:33], v126, s[28:31], 0 offen
	buffer_load_dwordx4 v[22:25], v126, s[28:31], s58 offen
	buffer_load_dwordx4 v[26:29], v127, s[28:31], 0 offen
	buffer_load_dwordx4 v[18:21], v127, s[28:31], s58 offen
	v_mov_b32_e32 v136, v83
	v_mov_b32_e32 v137, v82
.LBB109_15:                             ;   in Loop: Header=BB109_7 Depth=1
	s_waitcnt lgkmcnt(0)
	s_barrier
	ds_read_b64 v[146:147], v129
	ds_read2_b64 v[138:141], v119 offset1:16
	ds_read_b64 v[162:163], v130
	ds_read_b64 v[164:165], v131
	;; [unrolled: 1-line block ×3, first 2 shown]
	ds_read2_b64 v[142:145], v119 offset0:32 offset1:48
	s_waitcnt lgkmcnt(4)
	v_mfma_f32_16x16x16_bf16 a[0:3], v[146:147], v[138:139], 0
	ds_read2st64_b64 v[150:153], v121 offset0:4 offset1:8
	ds_read2st64_b64 v[154:157], v122 offset0:4 offset1:8
	;; [unrolled: 1-line block ×3, first 2 shown]
	v_mfma_f32_16x16x16_bf16 a[4:7], v[146:147], v[140:141], 0
	s_add_i32 s24, s52, s66
	s_mul_hi_i32 s25, s24, s17
	s_mul_i32 s24, s24, s17
	s_waitcnt lgkmcnt(3)
	v_mfma_f32_16x16x16_bf16 a[8:11], v[146:147], v[142:143], 0
	s_add_u32 s24, s24, s33
	s_addc_u32 s25, s25, s56
	s_lshl_b64 s[24:25], s[24:25], 15
	v_mfma_f32_16x16x16_bf16 a[12:15], v[146:147], v[144:145], 0
	ds_read2st64_b64 v[146:149], v119 offset0:4 offset1:8
	s_waitcnt lgkmcnt(0)
	v_mfma_f32_16x16x16_bf16 a[0:3], v[162:163], v[146:147], a[0:3]
	v_mfma_f32_16x16x16_bf16 a[4:7], v[162:163], v[150:151], a[4:7]
	;; [unrolled: 1-line block ×8, first 2 shown]
	ds_read_b64 v[162:163], v119 offset:6144
	ds_read_b64 v[164:165], v120 offset:40960
	;; [unrolled: 1-line block ×8, first 2 shown]
	s_waitcnt lgkmcnt(5)
	v_mfma_f32_16x16x16_bf16 a[16:19], v[168:169], v[138:139], 0
	v_mfma_f32_16x16x16_bf16 a[20:23], v[168:169], v[140:141], 0
	ds_read2st64_b64 v[138:141], v116 offset1:8
	v_mfma_f32_16x16x16_bf16 a[24:27], v[168:169], v[142:143], 0
	v_mfma_f32_16x16x16_bf16 a[28:31], v[168:169], v[144:145], 0
	ds_read2st64_b64 v[142:145], v117 offset1:8
	v_mfma_f32_16x16x16_bf16 a[16:19], v[164:165], v[146:147], a[16:19]
	s_waitcnt lgkmcnt(1)
	v_mov_b32_e32 v146, v138
	v_mov_b32_e32 v147, v139
	v_mfma_f32_16x16x16_bf16 a[20:23], v[164:165], v[150:151], a[20:23]
	v_lshl_add_u64 v[150:151], v[72:73], 0, s[24:25]
	v_mfma_f32_16x16x16_bf16 a[24:27], v[164:165], v[154:155], a[24:27]
	v_mfma_f32_16x16x16_bf16 a[28:31], v[164:165], v[158:159], a[28:31]
	;; [unrolled: 1-line block ×3, first 2 shown]
	s_waitcnt lgkmcnt(0)
	v_mov_b32_e32 v148, v142
	v_mov_b32_e32 v149, v143
	;; [unrolled: 1-line block ×3, first 2 shown]
	v_mfma_f32_16x16x16_bf16 a[32:35], v[176:177], v[152:153], a[20:23]
	v_mov_b32_e32 v143, v141
	ds_read2st64_b64 v[138:141], v116 offset0:16 offset1:24
	global_store_dwordx4 v[150:151], v[146:149], off
	v_mfma_f32_16x16x16_bf16 a[24:27], v[176:177], v[156:157], a[24:27]
	ds_read2st64_b64 v[146:149], v117 offset0:16 offset1:24
	v_add_co_u32_e32 v152, vcc, s39, v150
	v_mfma_f32_16x16x16_bf16 a[28:31], v[176:177], v[160:161], a[28:31]
	s_nop 0
	v_addc_co_u32_e32 v153, vcc, 0, v151, vcc
	global_store_dwordx4 v[152:153], v[142:145], off offset:-4096
	v_mfma_f32_16x16x16_bf16 a[0:3], v[166:167], v[162:163], a[0:3]
	s_waitcnt lgkmcnt(1)
	v_mov_b32_e32 v142, v138
	v_add_co_u32_e32 v138, vcc, s64, v150
	v_mfma_f32_16x16x16_bf16 a[4:7], v[166:167], v[170:171], a[4:7]
	v_mov_b32_e32 v143, v139
	v_addc_co_u32_e32 v139, vcc, 0, v151, vcc
	v_mfma_f32_16x16x16_bf16 a[8:11], v[166:167], v[172:173], a[8:11]
	s_waitcnt lgkmcnt(0)
	v_mov_b32_e32 v144, v146
	v_mov_b32_e32 v145, v147
	;; [unrolled: 1-line block ×3, first 2 shown]
	v_mfma_f32_16x16x16_bf16 a[12:15], v[166:167], v[174:175], a[12:15]
	v_mov_b32_e32 v147, v141
	s_and_b64 vcc, exec, s[0:1]
	global_store_dwordx4 v[152:153], v[142:145], off
	v_mfma_f32_16x16x16_bf16 a[20:23], v[178:179], v[162:163], a[16:19]
	global_store_dwordx4 v[138:139], v[146:149], off
	v_mfma_f32_16x16x16_bf16 a[16:19], v[178:179], v[170:171], a[32:35]
	v_mfma_f32_16x16x16_bf16 a[24:27], v[178:179], v[172:173], a[24:27]
	;; [unrolled: 1-line block ×3, first 2 shown]
	s_cbranch_vccnz .LBB109_6
; %bb.16:                               ;   in Loop: Header=BB109_7 Depth=1
	v_lshrrev_b32_e32 v138, 3, v136
	v_and_b32_e32 v138, 6, v138
	v_xor_b32_e32 v137, v138, v137
	v_lshlrev_b32_e32 v137, 2, v137
	v_and_b32_e32 v136, 8, v136
	v_xor_b32_e32 v139, 0x440, v137
	v_cmp_eq_u32_e32 vcc, 0, v136
	s_barrier
	s_nop 0
	v_cndmask_b32_e32 v136, v139, v137, vcc
	v_lshl_or_b32 v136, v138, 10, v136
	s_waitcnt vmcnt(5)
	v_perm_b32 v137, v30, v26, s60
	s_waitcnt vmcnt(4)
	v_perm_b32 v138, v22, v18, s60
	ds_write2st64_b32 v136, v137, v138 offset0:128 offset1:160
	v_xor_b32_e32 v137, 8, v136
	v_perm_b32 v26, v30, v26, s61
	v_perm_b32 v18, v22, v18, s61
	v_add_u32_e32 v22, 0x80, v137
	ds_write2st64_b32 v22, v26, v18 offset0:128 offset1:160
	v_xor_b32_e32 v18, 16, v136
	v_perm_b32 v22, v31, v27, s60
	v_perm_b32 v26, v23, v19, s60
	ds_write2st64_b32 v18, v22, v26 offset0:129 offset1:161
	v_xor_b32_e32 v18, 24, v136
	v_perm_b32 v22, v31, v27, s61
	v_perm_b32 v19, v23, v19, s61
	v_add_u32_e32 v18, 0x80, v18
	ds_write2st64_b32 v18, v22, v19 offset0:129 offset1:161
	v_xor_b32_e32 v18, 32, v136
	v_perm_b32 v19, v32, v28, s60
	;; [unrolled: 9-line block ×3, first 2 shown]
	v_perm_b32 v20, v25, v21, s60
	ds_write2st64_b32 v18, v19, v20 offset0:131 offset1:163
	v_xor_b32_e32 v18, 56, v136
	v_perm_b32 v19, v33, v29, s61
	v_perm_b32 v20, v25, v21, s61
	v_add_u32_e32 v18, 0x80, v18
	ds_write2st64_b32 v18, v19, v20 offset0:131 offset1:163
	ds_write_b64 v135, v[14:15] offset:49152
	v_xor_b32_e32 v14, 8, v135
	ds_write_b64 v14, v[16:17] offset:49152
	ds_write_b64 v135, v[10:11] offset:57344
	;; [unrolled: 1-line block ×4, first 2 shown]
	v_xor_b32_e32 v6, 8, v134
	ds_write_b64 v6, v[8:9] offset:49152
	ds_write_b64 v134, v[2:3] offset:57344
	;; [unrolled: 1-line block ×3, first 2 shown]
	s_branch .LBB109_6
.LBB109_17:
	s_lshl_b32 s44, s50, 6
	s_sub_i32 s45, s16, s44
	s_cmp_gt_i32 s45, 0
	v_or_b32_e32 v18, s2, v78
	s_cbranch_scc1 .LBB109_19
; %bb.18:
	s_ashr_i32 s0, s33, 31
	s_add_u32 s28, s47, s33
	s_addc_u32 s29, s53, s0
	v_or_b32_e32 v2, s2, v78
	s_cbranch_execz .LBB109_20
	s_branch .LBB109_100
.LBB109_19:
                                        ; implicit-def: $sgpr28_sgpr29
                                        ; implicit-def: $vgpr2
.LBB109_20:
	s_ashr_i32 s39, s49, 31
	s_ashr_i32 s3, s44, 31
	s_cmpk_lg_i32 s19, 0x80
	s_cselect_b64 s[40:41], -1, 0
	s_and_b64 vcc, exec, s[40:41]
	s_cbranch_vccz .LBB109_22
; %bb.21:
	s_mul_i32 s1, s49, s16
	s_mul_hi_i32 s0, s49, s16
	s_add_u32 s1, s1, s44
	s_addc_u32 s0, s0, s3
	s_mul_i32 s24, s1, s51
	s_mul_hi_u32 s25, s1, s18
	s_add_i32 s24, s25, s24
	s_mul_i32 s0, s0, s18
	s_add_i32 s24, s24, s0
	s_mul_i32 s1, s1, s18
	s_ashr_i32 s0, s54, 31
	s_add_u32 s42, s1, s54
	s_addc_u32 s43, s24, s0
	s_cbranch_execz .LBB109_23
	s_branch .LBB109_24
.LBB109_22:
                                        ; implicit-def: $sgpr42_sgpr43
.LBB109_23:
	s_mul_hi_i32 s0, s49, s18
	s_mul_i32 s49, s49, s18
	s_ashr_i32 s1, s54, 31
	s_add_u32 s18, s49, s54
	s_addc_u32 s0, s0, s1
	s_mul_i32 s1, s18, s48
	s_mul_hi_u32 s24, s18, s16
	s_add_i32 s1, s24, s1
	s_mul_i32 s0, s0, s16
	s_add_i32 s1, s1, s0
	s_mul_i32 s18, s18, s16
	s_add_u32 s42, s18, s44
	s_addc_u32 s43, s1, s3
.LBB109_24:
	s_add_i32 s24, s52, s50
	s_ashr_i32 s18, s33, 31
	s_add_u32 s28, s47, s33
	s_addc_u32 s29, s53, s18
	s_mul_i32 s0, s28, s48
	s_mul_hi_u32 s1, s28, s16
	s_add_i32 s0, s1, s0
	s_mul_i32 s1, s29, s16
	s_add_i32 s1, s0, s1
	s_mul_i32 s0, s28, s16
	s_add_u32 s0, s0, s44
	v_lshlrev_b32_e32 v6, 6, v1
	v_lshlrev_b32_e32 v26, 2, v78
	s_addc_u32 s1, s1, s3
	s_mov_b32 s3, 0x7060302
	v_or_b32_e32 v9, v6, v26
	v_xor_b32_e32 v7, v1, v26
	v_perm_b32 v3, v65, v64, s3
	v_perm_b32 v2, v63, v62, s3
	;; [unrolled: 1-line block ×4, first 2 shown]
	v_lshlrev_b32_e32 v9, 1, v9
	v_xor_b32_e32 v8, v81, v26
	ds_write2st64_b64 v9, v[2:3], v[4:5] offset0:32 offset1:48
	v_lshlrev_b32_e32 v7, 1, v7
	v_lshlrev_b32_e32 v9, 8, v78
	v_or_b32_e32 v10, v7, v9
	v_lshlrev_b32_e32 v8, 1, v8
	ds_write_b64 v10, v[2:3]
	v_or_b32_e32 v2, v8, v9
	v_or_b32_e32 v9, 16, v78
	v_lshlrev_b32_e32 v25, 2, v9
	v_or_b32_e32 v10, v6, v25
	ds_write_b64 v2, v[4:5]
	v_perm_b32 v3, v57, v56, s3
	v_perm_b32 v2, v55, v54, s3
	;; [unrolled: 1-line block ×4, first 2 shown]
	v_lshlrev_b32_e32 v10, 1, v10
	v_lshlrev_b32_e32 v9, 8, v9
	ds_write2st64_b64 v10, v[2:3], v[4:5] offset0:32 offset1:48
	v_or_b32_e32 v10, v7, v9
	ds_write_b64 v10, v[2:3]
	v_or_b32_e32 v2, v8, v9
	v_or_b32_e32 v9, 32, v78
	v_lshlrev_b32_e32 v24, 2, v9
	v_or_b32_e32 v10, v6, v24
	ds_write_b64 v2, v[4:5]
	v_perm_b32 v3, v49, v48, s3
	v_perm_b32 v2, v47, v46, s3
	;; [unrolled: 1-line block ×4, first 2 shown]
	v_lshlrev_b32_e32 v10, 1, v10
	v_lshlrev_b32_e32 v9, 8, v9
	s_lshl_b64 s[30:31], s[0:1], 8
	ds_write2st64_b64 v10, v[2:3], v[4:5] offset0:32 offset1:48
	v_or_b32_e32 v10, v7, v9
	s_add_u32 s0, s6, s30
	ds_write_b64 v10, v[2:3]
	v_or_b32_e32 v2, v8, v9
	s_addc_u32 s1, s7, s31
	ds_write_b64 v2, v[4:5]
	v_perm_b32 v3, v41, v40, s3
	v_perm_b32 v2, v39, v38, s3
	;; [unrolled: 1-line block ×4, first 2 shown]
	v_or_b32_e32 v9, 48, v78
	s_mul_hi_i32 s3, s24, s17
	s_mul_i32 s24, s24, s17
	v_lshlrev_b32_e32 v21, 2, v9
	s_add_u32 s6, s24, s33
	v_or_b32_e32 v6, v6, v21
	s_addc_u32 s7, s3, s18
	v_lshlrev_b32_e32 v6, 1, v6
	s_ashr_i32 s3, s2, 31
	s_lshl_b64 s[6:7], s[6:7], 15
	ds_write2st64_b64 v6, v[2:3], v[4:5] offset0:32 offset1:48
	v_lshlrev_b32_e32 v6, 8, v9
	s_waitcnt lgkmcnt(0)
	s_add_u32 s6, s12, s6
	v_or_b32_e32 v7, v7, v6
	s_addc_u32 s7, s13, s7
	s_lshl_b64 s[2:3], s[2:3], 8
	ds_write_b64 v7, v[2:3]
	v_or_b32_e32 v2, v8, v6
	s_add_u32 s2, s6, s2
	v_lshlrev_b32_e32 v3, 1, v78
	ds_write_b64 v2, v[4:5]
	v_lshrrev_b32_e32 v2, 4, v0
	s_addc_u32 s3, s7, s3
	v_or_b32_e32 v4, 1, v3
	v_lshlrev_b32_e32 v10, 4, v78
	v_mov_b32_e32 v11, 0
	v_xor_b32_e32 v3, v2, v3
	v_xor_b32_e32 v6, v4, v2
	v_lshl_add_u64 v[12:13], s[2:3], 0, v[10:11]
	v_lshlrev_b32_e32 v10, 8, v2
	v_lshl_or_b32 v16, v3, 3, v10
	v_lshl_or_b32 v17, v6, 3, v10
	s_waitcnt lgkmcnt(0)
	s_barrier
	ds_read2st64_b64 v[2:5], v16 offset1:8
	ds_read2st64_b64 v[6:9], v17 offset1:8
	v_lshl_add_u64 v[14:15], v[12:13], 0, v[10:11]
	s_movk_i32 s2, 0x2000
	s_cmp_lg_u32 s45, 64
	s_waitcnt lgkmcnt(1)
	v_mov_b32_e32 v10, v2
	v_mov_b32_e32 v11, v3
	s_waitcnt lgkmcnt(0)
	v_mov_b32_e32 v12, v6
	v_mov_b32_e32 v13, v7
	global_store_dwordx4 v[14:15], v[10:13], off
	v_mov_b32_e32 v6, v4
	v_mov_b32_e32 v7, v5
	ds_read2st64_b64 v[2:5], v16 offset0:16 offset1:24
	ds_read2st64_b64 v[10:13], v17 offset0:16 offset1:24
	v_add_co_u32_e32 v16, vcc, s2, v14
	s_cselect_b64 s[6:7], -1, 0
	s_nop 0
	v_addc_co_u32_e32 v17, vcc, 0, v15, vcc
	global_store_dwordx4 v[16:17], v[6:9], off offset:-4096
	v_lshl_or_b32 v19, v74, 3, v80
	s_mov_b32 s24, 0
	s_waitcnt lgkmcnt(1)
	v_mov_b32_e32 v6, v2
	v_add_co_u32_e32 v2, vcc, 0x3000, v14
	v_mov_b32_e32 v7, v3
	s_nop 0
	v_addc_co_u32_e32 v3, vcc, 0, v15, vcc
	s_waitcnt lgkmcnt(0)
	v_mov_b32_e32 v8, v10
	v_mov_b32_e32 v9, v11
	;; [unrolled: 1-line block ×4, first 2 shown]
	v_or_b32_e32 v22, 32, v19
	v_and_b32_e32 v20, 56, v79
	s_and_b64 vcc, exec, s[6:7]
	global_store_dwordx4 v[16:17], v[6:9], off
	global_store_dwordx4 v[2:3], v[10:13], off
	s_cbranch_vccz .LBB109_30
; %bb.25:
	s_mov_b32 s25, s24
	s_mov_b32 s26, s24
	;; [unrolled: 1-line block ×3, first 2 shown]
	v_mov_b64_e32 v[6:7], s[24:25]
	v_mov_b64_e32 v[8:9], s[26:27]
	;; [unrolled: 1-line block ×3, first 2 shown]
	v_cmp_gt_i32_e32 vcc, s45, v19
	v_mov_b64_e32 v[4:5], v[8:9]
	s_and_saveexec_b64 s[2:3], vcc
	s_cbranch_execz .LBB109_27
; %bb.26:
	v_lshlrev_b32_e32 v2, 8, v19
	v_mov_b32_e32 v3, 0
	v_lshl_add_u64 v[4:5], s[0:1], 0, v[2:3]
	v_lshlrev_b32_e32 v2, 1, v20
	v_lshl_add_u64 v[10:11], v[4:5], 0, v[2:3]
	global_load_dwordx4 v[6:9], v[10:11], off
	global_load_dwordx4 v[2:5], v[10:11], off offset:128
.LBB109_27:
	s_or_b64 exec, exec, s[2:3]
	s_mov_b32 s25, s24
	s_mov_b32 s26, s24
	;; [unrolled: 1-line block ×3, first 2 shown]
	v_mov_b64_e32 v[14:15], s[24:25]
	v_mov_b64_e32 v[16:17], s[26:27]
	;; [unrolled: 1-line block ×3, first 2 shown]
	v_cmp_gt_i32_e32 vcc, s45, v22
	v_lshlrev_b32_e32 v23, 7, v22
	v_mov_b64_e32 v[12:13], v[16:17]
	s_and_saveexec_b64 s[2:3], vcc
	s_cbranch_execz .LBB109_29
; %bb.28:
	v_lshlrev_b32_e32 v10, 1, v23
	v_mov_b32_e32 v11, 0
	v_lshl_add_u64 v[12:13], s[0:1], 0, v[10:11]
	v_lshlrev_b32_e32 v10, 1, v20
	v_lshl_add_u64 v[28:29], v[12:13], 0, v[10:11]
	global_load_dwordx4 v[14:17], v[28:29], off
	global_load_dwordx4 v[10:13], v[28:29], off offset:128
.LBB109_29:
	s_or_b64 exec, exec, s[2:3]
	v_lshrrev_b32_e32 v27, 3, v20
	v_lshlrev_b32_e32 v28, 3, v19
	v_or_b32_e32 v27, v28, v27
	v_lshlrev_b32_e32 v27, 4, v27
	v_and_b32_e32 v28, 0x78, v28
	v_xor_b32_e32 v27, v27, v28
	s_branch .LBB109_32
.LBB109_30:
                                        ; implicit-def: $vgpr27
                                        ; implicit-def: $vgpr23
                                        ; implicit-def: $vgpr6_vgpr7_vgpr8_vgpr9
                                        ; implicit-def: $vgpr2_vgpr3_vgpr4_vgpr5
                                        ; implicit-def: $vgpr14_vgpr15_vgpr16_vgpr17
                                        ; implicit-def: $vgpr10_vgpr11_vgpr12_vgpr13
	s_cbranch_execz .LBB109_32
; %bb.31:
	s_waitcnt vmcnt(0)
	v_lshlrev_b32_e32 v2, 1, v20
	v_lshl_or_b32 v23, v19, 8, v2
	s_and_b32 s1, s1, 0xffff
	s_mov_b32 s3, 0x20000
	s_movk_i32 s2, 0x4000
	v_lshl_or_b32 v27, v22, 8, v2
	s_movk_i32 s12, 0x80
	buffer_load_dwordx4 v[6:9], v23, s[0:3], 0 offen
	buffer_load_dwordx4 v[2:5], v23, s[0:3], s12 offen
	;; [unrolled: 1-line block ×4, first 2 shown]
	v_lshrrev_b32_e32 v23, 3, v20
	v_lshlrev_b32_e32 v27, 3, v19
	v_or_b32_e32 v23, v27, v23
	v_lshlrev_b32_e32 v23, 4, v23
	v_and_b32_e32 v27, 0x78, v27
	v_xor_b32_e32 v27, v23, v27
	v_lshlrev_b32_e32 v23, 7, v22
.LBB109_32:
	s_movk_i32 s0, 0x1000
	v_and_or_b32 v22, v23, s0, v27
	s_waitcnt vmcnt(1)
	ds_write_b64 v27, v[6:7] offset:49152
	v_xor_b32_e32 v6, 8, v27
	ds_write_b64 v6, v[8:9] offset:49152
	s_waitcnt vmcnt(0)
	ds_write_b64 v27, v[2:3] offset:57344
	ds_write_b64 v6, v[4:5] offset:57344
	;; [unrolled: 1-line block ×3, first 2 shown]
	v_xor_b32_e32 v2, 8, v22
	ds_write_b64 v2, v[16:17] offset:49152
	ds_write_b64 v22, v[10:11] offset:57344
	;; [unrolled: 1-line block ×3, first 2 shown]
	v_or_b32_e32 v2, v75, v78
	v_lshlrev_b32_e32 v2, 3, v2
	v_lshrrev_b32_e32 v3, 5, v76
	s_movk_i32 s0, 0xf8
	v_and_or_b32 v3, v2, s0, v3
	v_lshlrev_b32_e32 v7, 4, v3
	v_lshlrev_b32_e32 v27, 11, v74
	v_and_b32_e32 v8, 0x78, v2
	v_or_b32_e32 v10, 32, v7
	v_and_b32_e32 v6, 0x1000, v27
	v_lshrrev_b32_e32 v3, 1, v76
	v_xor_b32_e32 v10, v10, v8
	v_xor_b32_e32 v2, v7, v8
	v_and_b32_e32 v9, 8, v3
	v_or_b32_e32 v10, v10, v6
	v_or_b32_e32 v2, v2, v6
	v_xor_b32_e32 v33, v10, v9
	v_or_b32_e32 v10, 64, v7
	v_xor_b32_e32 v32, v2, v9
	v_xor_b32_e32 v10, v10, v8
	s_waitcnt lgkmcnt(0)
	s_barrier
	v_or_b32_e32 v13, v10, v6
	ds_read_b64 v[10:11], v32 offset:49152
	v_lshl_or_b32 v14, v77, 8, v26
	v_lshlrev_b32_e32 v28, 1, v14
	v_add_u32_e32 v12, 0x4000, v28
	ds_read2_b64 v[2:5], v12 offset1:16
	v_or_b32_e32 v7, 0x60, v7
	v_xor_b32_e32 v7, v7, v8
	v_or_b32_e32 v6, v7, v6
	v_xor_b32_e32 v66, v13, v9
	v_xor_b32_e32 v67, v6, v9
	ds_read_b64 v[22:23], v33 offset:49152
	ds_read_b64 v[68:69], v66 offset:49152
	;; [unrolled: 1-line block ×3, first 2 shown]
	s_waitcnt lgkmcnt(3)
	v_mfma_f32_16x16x16_bf16 a[0:3], v[10:11], v[2:3], 0
	ds_read2_b64 v[6:9], v12 offset0:32 offset1:48
	s_lshl_b64 s[0:1], s[42:43], 8
	s_add_u32 s4, s4, s0
	v_mfma_f32_16x16x16_bf16 a[4:7], v[10:11], v[4:5], 0
	ds_read2st64_b64 v[2:5], v28 offset0:36 offset1:40
	s_addc_u32 s5, s5, s1
	s_add_i32 s2, s16, -1
	s_waitcnt lgkmcnt(1)
	v_mfma_f32_16x16x16_bf16 a[8:11], v[10:11], v[6:7], 0
	v_or_b32_e32 v6, 64, v14
	v_lshlrev_b32_e32 v29, 1, v6
	s_add_i32 s0, s46, s21
	s_waitcnt lgkmcnt(0)
	v_mfma_f32_16x16x16_bf16 a[0:3], v[22:23], v[2:3], a[0:3]
	v_or_b32_e32 v2, 0x80, v14
	v_lshlrev_b32_e32 v30, 1, v2
	v_or_b32_e32 v2, 0xc0, v14
	v_mfma_f32_16x16x16_bf16 a[12:15], v[10:11], v[8:9], 0
	ds_read2st64_b64 v[6:9], v29 offset0:36 offset1:40
	v_lshlrev_b32_e32 v31, 1, v2
	ds_read2st64_b64 v[10:13], v30 offset0:36 offset1:40
	ds_read2st64_b64 v[14:17], v31 offset0:36 offset1:40
	s_mul_i32 s39, s39, s20
	s_add_i32 s39, s0, s39
	s_mul_i32 s0, s33, s23
	s_mul_hi_u32 s1, s33, s22
	s_ashr_i32 s3, s2, 31
	s_mul_i32 s12, s2, s37
	s_mul_hi_u32 s13, s2, s36
	s_waitcnt lgkmcnt(2)
	v_mfma_f32_16x16x16_bf16 a[4:7], v[22:23], v[6:7], a[4:7]
	s_add_i32 s0, s1, s0
	s_mul_i32 s1, s18, s22
	s_add_i32 s12, s13, s12
	s_mul_i32 s3, s3, s36
	s_waitcnt lgkmcnt(1)
	v_mfma_f32_16x16x16_bf16 a[8:11], v[22:23], v[10:11], a[8:11]
	s_add_i32 s1, s0, s1
	s_add_i32 s3, s12, s3
	s_lshl_b64 s[12:13], s[38:39], 2
	s_waitcnt lgkmcnt(0)
	v_mfma_f32_16x16x16_bf16 a[12:15], v[22:23], v[14:15], a[12:15]
	s_mul_i32 s0, s33, s22
	s_add_u32 s10, s10, s12
	s_addc_u32 s11, s11, s13
	s_lshl_b64 s[0:1], s[0:1], 2
	v_mfma_f32_16x16x16_bf16 a[0:3], v[68:69], v[4:5], a[0:3]
	s_mul_i32 s2, s2, s36
	ds_read_b64 v[2:3], v28 offset:22528
	s_add_u32 s10, s10, s0
	v_mfma_f32_16x16x16_bf16 a[4:7], v[68:69], v[8:9], a[4:7]
	ds_read_b64 v[4:5], v29 offset:22528
	ds_read_b64 v[6:7], v30 offset:22528
	;; [unrolled: 1-line block ×3, first 2 shown]
	s_addc_u32 s11, s11, s1
	s_lshl_b64 s[0:1], s[2:3], 2
	v_mfma_f32_16x16x16_bf16 a[8:11], v[68:69], v[12:13], a[8:11]
	s_add_u32 s0, s10, s0
	s_addc_u32 s1, s11, s1
	s_load_dword s12, s[0:1], 0x0
	v_mfma_f32_16x16x16_bf16 a[12:15], v[68:69], v[16:17], a[12:15]
	s_and_b64 vcc, exec, s[40:41]
	s_waitcnt lgkmcnt(0)
	v_mfma_f32_16x16x16_bf16 a[0:3], v[70:71], v[2:3], a[0:3]
	v_mfma_f32_16x16x16_bf16 a[4:7], v[70:71], v[4:5], a[4:7]
	;; [unrolled: 1-line block ×4, first 2 shown]
	s_cbranch_vccz .LBB109_43
; %bb.33:
	v_lshlrev_b32_e32 v22, 1, v19
	s_and_b64 vcc, exec, s[6:7]
	s_cbranch_vccz .LBB109_44
; %bb.34:
	v_cmp_gt_i32_e32 vcc, s45, v22
	v_mov_b32_e32 v6, 0
	v_mov_b32_e32 v2, 0
	;; [unrolled: 1-line block ×5, first 2 shown]
	s_and_saveexec_b64 s[0:1], vcc
	s_cbranch_execz .LBB109_36
; %bb.35:
	v_mad_i64_i32 v[2:3], s[2:3], s19, v22, 0
	v_lshl_add_u64 v[2:3], v[2:3], 1, s[4:5]
	v_lshlrev_b32_e32 v4, 1, v20
	v_mov_b32_e32 v5, 0
	v_lshl_add_u64 v[2:3], v[2:3], 0, v[4:5]
	global_load_dwordx4 v[2:5], v[2:3], off
.LBB109_36:
	s_or_b64 exec, exec, s[0:1]
	v_or_b32_e32 v23, 1, v22
	v_cmp_gt_i32_e64 s[0:1], s45, v23
	v_mov_b32_e32 v7, 0
	v_mov_b32_e32 v8, 0
	;; [unrolled: 1-line block ×3, first 2 shown]
	s_and_saveexec_b64 s[2:3], s[0:1]
	s_cbranch_execz .LBB109_38
; %bb.37:
	v_mad_i64_i32 v[6:7], s[16:17], s19, v23, 0
	v_lshl_add_u64 v[6:7], v[6:7], 1, s[4:5]
	v_lshlrev_b32_e32 v8, 1, v20
	v_mov_b32_e32 v9, 0
	v_lshl_add_u64 v[6:7], v[6:7], 0, v[8:9]
	global_load_dwordx4 v[6:9], v[6:7], off
.LBB109_38:
	s_or_b64 exec, exec, s[2:3]
	v_mov_b32_e32 v17, 0
	v_mov_b32_e32 v10, 0
	;; [unrolled: 1-line block ×5, first 2 shown]
	s_and_saveexec_b64 s[2:3], vcc
	s_cbranch_execz .LBB109_40
; %bb.39:
	v_mad_i64_i32 v[10:11], s[16:17], s19, v22, 0
	v_lshl_add_u64 v[10:11], v[10:11], 1, s[4:5]
	v_lshlrev_b32_e32 v12, 1, v20
	v_mov_b32_e32 v13, 0
	v_lshl_add_u64 v[10:11], v[10:11], 0, v[12:13]
	global_load_dwordx4 v[10:13], v[10:11], off offset:128
.LBB109_40:
	s_or_b64 exec, exec, s[2:3]
	v_mov_b32_e32 v16, 0
	v_mov_b32_e32 v15, 0
	;; [unrolled: 1-line block ×3, first 2 shown]
	s_and_saveexec_b64 s[2:3], s[0:1]
	s_cbranch_execz .LBB109_42
; %bb.41:
	v_mad_i64_i32 v[14:15], s[0:1], s19, v23, 0
	v_lshl_add_u64 v[14:15], v[14:15], 1, s[4:5]
	v_lshlrev_b32_e32 v16, 1, v20
	v_mov_b32_e32 v17, 0
	v_lshl_add_u64 v[14:15], v[14:15], 0, v[16:17]
	global_load_dwordx4 v[14:17], v[14:15], off offset:128
.LBB109_42:
	s_or_b64 exec, exec, s[2:3]
	s_branch .LBB109_46
.LBB109_43:
                                        ; implicit-def: $vgpr5
                                        ; implicit-def: $vgpr9
                                        ; implicit-def: $vgpr13
                                        ; implicit-def: $vgpr17
	v_lshrrev_b32_e32 v68, 2, v76
	s_branch .LBB109_47
.LBB109_44:
                                        ; implicit-def: $vgpr5
                                        ; implicit-def: $vgpr9
                                        ; implicit-def: $vgpr13
                                        ; implicit-def: $vgpr17
	s_cbranch_execz .LBB109_46
; %bb.45:
	s_waitcnt vmcnt(0)
	v_mad_u64_u32 v[2:3], s[0:1], v22, s19, v[20:21]
	v_lshlrev_b32_e32 v22, 1, v2
	s_lshl_b32 s2, s19, 7
	s_and_b32 s1, s5, 0xffff
	s_mov_b32 s3, 0x20000
	s_mov_b32 s0, s4
	v_add_lshl_u32 v23, v2, s19, 1
	s_movk_i32 s13, 0x80
	buffer_load_dwordx4 v[2:5], v22, s[0:3], 0 offen
	buffer_load_dwordx4 v[10:13], v22, s[0:3], s13 offen
	;; [unrolled: 1-line block ×4, first 2 shown]
.LBB109_46:
	v_lshrrev_b32_e32 v68, 2, v76
	s_cbranch_execnz .LBB109_59
.LBB109_47:
	s_and_b64 vcc, exec, s[6:7]
	s_cbranch_vccz .LBB109_57
; %bb.48:
	s_waitcnt vmcnt(0)
	v_lshlrev_b32_e32 v7, 1, v19
	v_cmp_gt_i32_e32 vcc, s45, v7
	v_mov_b32_e32 v6, 0
	v_lshlrev_b32_e32 v14, 9, v19
	v_mov_b32_e32 v2, 0
	v_mov_b32_e32 v3, 0
	;; [unrolled: 1-line block ×4, first 2 shown]
	s_and_saveexec_b64 s[0:1], vcc
	s_cbranch_execz .LBB109_50
; %bb.49:
	v_mov_b32_e32 v15, 0
	v_lshl_add_u64 v[2:3], s[4:5], 0, v[14:15]
	v_lshlrev_b32_e32 v4, 1, v20
	v_mov_b32_e32 v5, v15
	v_lshl_add_u64 v[2:3], v[2:3], 0, v[4:5]
	global_load_dwordx4 v[2:5], v[2:3], off
.LBB109_50:
	s_or_b64 exec, exec, s[0:1]
	v_or_b32_e32 v7, 1, v7
	v_cmp_gt_i32_e64 s[0:1], s45, v7
	v_lshlrev_b32_e32 v22, 8, v7
	v_mov_b32_e32 v7, 0
	v_mov_b32_e32 v8, 0
	;; [unrolled: 1-line block ×3, first 2 shown]
	s_and_saveexec_b64 s[2:3], s[0:1]
	s_cbranch_execz .LBB109_52
; %bb.51:
	v_mov_b32_e32 v23, 0
	v_lshl_add_u64 v[6:7], s[4:5], 0, v[22:23]
	v_lshlrev_b32_e32 v8, 1, v20
	v_mov_b32_e32 v9, v23
	v_lshl_add_u64 v[6:7], v[6:7], 0, v[8:9]
	global_load_dwordx4 v[6:9], v[6:7], off
.LBB109_52:
	s_or_b64 exec, exec, s[2:3]
	v_mov_b32_e32 v17, 0
	v_mov_b32_e32 v10, 0
	;; [unrolled: 1-line block ×5, first 2 shown]
	s_and_saveexec_b64 s[2:3], vcc
	s_cbranch_execz .LBB109_54
; %bb.53:
	v_mov_b32_e32 v15, 0
	v_lshl_add_u64 v[10:11], s[4:5], 0, v[14:15]
	v_lshlrev_b32_e32 v14, 1, v20
	v_lshl_add_u64 v[10:11], v[10:11], 0, v[14:15]
	global_load_dwordx4 v[10:13], v[10:11], off offset:128
.LBB109_54:
	s_or_b64 exec, exec, s[2:3]
	v_mov_b32_e32 v16, 0
	v_mov_b32_e32 v15, 0
	v_mov_b32_e32 v14, 0
	s_and_saveexec_b64 s[2:3], s[0:1]
	s_cbranch_execz .LBB109_56
; %bb.55:
	v_mov_b32_e32 v23, 0
	v_lshl_add_u64 v[14:15], s[4:5], 0, v[22:23]
	v_lshlrev_b32_e32 v22, 1, v20
	v_lshl_add_u64 v[14:15], v[14:15], 0, v[22:23]
	global_load_dwordx4 v[14:17], v[14:15], off offset:128
.LBB109_56:
	s_or_b64 exec, exec, s[2:3]
	s_branch .LBB109_59
.LBB109_57:
                                        ; implicit-def: $vgpr5
                                        ; implicit-def: $vgpr9
                                        ; implicit-def: $vgpr13
                                        ; implicit-def: $vgpr17
	s_cbranch_execz .LBB109_59
; %bb.58:
	s_waitcnt vmcnt(0)
	v_lshlrev_b32_e32 v2, 1, v20
	v_lshl_or_b32 v20, v19, 9, v2
	s_and_b32 s5, s5, 0xffff
	s_mov_b32 s7, 0x20000
	s_movk_i32 s6, 0x4000
	s_movk_i32 s0, 0x80
	buffer_load_dwordx4 v[2:5], v20, s[4:7], 0 offen
	buffer_load_dwordx4 v[6:9], v20, s[4:7], 0 offen offset:256
	buffer_load_dwordx4 v[10:13], v20, s[4:7], s0 offen
	buffer_load_dwordx4 v[14:17], v20, s[4:7], s0 offen offset:256
.LBB109_59:
	ds_read_b64 v[22:23], v32 offset:57344
	v_add_u32_e32 v20, 0x6000, v28
	ds_read2_b64 v[70:73], v20 offset1:16
	ds_read_b64 v[32:33], v33 offset:57344
	ds_read_b64 v[88:89], v66 offset:57344
	;; [unrolled: 1-line block ×3, first 2 shown]
	ds_read2st64_b64 v[76:79], v28 offset0:52 offset1:56
	v_and_b32_e32 v69, 1, v0
	v_cmp_eq_u32_e32 vcc, 0, v69
	s_mov_b32 s0, 0x1000504
	s_mov_b32 s1, 0x3020706
	s_waitcnt lgkmcnt(4)
	v_mfma_f32_16x16x16_bf16 a[0:3], v[22:23], v[70:71], a[0:3]
	v_mfma_f32_16x16x16_bf16 a[4:7], v[22:23], v[72:73], a[4:7]
	ds_read2_b64 v[70:73], v20 offset0:32 offset1:48
	v_and_b32_e32 v20, 6, v0
	v_xor_b32_e32 v19, v19, v20
	s_waitcnt lgkmcnt(0)
	v_mfma_f32_16x16x16_bf16 a[8:11], v[22:23], v[70:71], a[8:11]
	v_lshlrev_b32_e32 v19, 2, v19
	v_mfma_f32_16x16x16_bf16 a[12:15], v[22:23], v[72:73], a[12:15]
	ds_read2st64_b64 v[70:73], v29 offset0:52 offset1:56
	ds_read2st64_b64 v[80:83], v30 offset0:52 offset1:56
	;; [unrolled: 1-line block ×3, first 2 shown]
	s_waitcnt lgkmcnt(2)
	v_mfma_f32_16x16x16_bf16 a[4:7], v[32:33], v[70:71], a[4:7]
	v_xor_b32_e32 v70, 0x440, v19
	v_cndmask_b32_e32 v19, v70, v19, vcc
	v_lshl_or_b32 v19, v20, 10, v19
	v_mfma_f32_16x16x16_bf16 a[0:3], v[32:33], v[76:77], a[0:3]
	s_waitcnt vmcnt(0)
	v_perm_b32 v20, v2, v6, s0
	ds_read_b64 v[22:23], v28 offset:30720
	ds_read_b64 v[76:77], v29 offset:30720
	;; [unrolled: 1-line block ×4, first 2 shown]
	v_perm_b32 v2, v2, v6, s1
	s_waitcnt lgkmcnt(5)
	v_mfma_f32_16x16x16_bf16 a[8:11], v[32:33], v[80:81], a[8:11]
	v_perm_b32 v6, v10, v14, s1
	s_waitcnt lgkmcnt(4)
	v_mfma_f32_16x16x16_bf16 a[12:15], v[32:33], v[84:85], a[12:15]
	v_perm_b32 v32, v10, v14, s0
	ds_write2st64_b32 v19, v20, v32 offset0:128 offset1:160
	v_xor_b32_e32 v20, 8, v19
	v_add_u32_e32 v10, 0x80, v20
	ds_write2st64_b32 v10, v2, v6 offset0:128 offset1:160
	v_xor_b32_e32 v2, 16, v19
	v_perm_b32 v6, v3, v7, s0
	v_perm_b32 v10, v11, v15, s0
	v_mfma_f32_16x16x16_bf16 a[0:3], v[88:89], v[78:79], a[0:3]
	ds_write2st64_b32 v2, v6, v10 offset0:129 offset1:161
	v_xor_b32_e32 v2, 24, v19
	v_perm_b32 v3, v3, v7, s1
	v_mfma_f32_16x16x16_bf16 a[4:7], v[88:89], v[72:73], a[4:7]
	v_perm_b32 v6, v11, v15, s1
	v_add_u32_e32 v2, 0x80, v2
	ds_write2st64_b32 v2, v3, v6 offset0:129 offset1:161
	v_mfma_f32_16x16x16_bf16 a[16:19], v[88:89], v[82:83], a[8:11]
	v_xor_b32_e32 v2, 32, v19
	v_perm_b32 v3, v4, v8, s0
	v_perm_b32 v6, v12, v16, s0
	v_mfma_f32_16x16x16_bf16 a[20:23], v[88:89], v[86:87], a[12:15]
	ds_write2st64_b32 v2, v3, v6 offset0:130 offset1:162
	v_xor_b32_e32 v2, 40, v19
	v_perm_b32 v3, v4, v8, s1
	s_waitcnt lgkmcnt(8)
	v_mfma_f32_16x16x16_bf16 a[12:15], v[66:67], v[22:23], a[0:3]
	v_perm_b32 v4, v12, v16, s1
	v_add_u32_e32 v2, 0x80, v2
	ds_write2st64_b32 v2, v3, v4 offset0:130 offset1:162
	s_waitcnt lgkmcnt(8)
	v_mfma_f32_16x16x16_bf16 a[8:11], v[66:67], v[76:77], a[4:7]
	v_xor_b32_e32 v2, 48, v19
	v_perm_b32 v3, v5, v9, s0
	v_perm_b32 v4, v13, v17, s0
	s_waitcnt lgkmcnt(7)
	v_mfma_f32_16x16x16_bf16 a[4:7], v[66:67], v[90:91], a[16:19]
	ds_write2st64_b32 v2, v3, v4 offset0:131 offset1:163
	v_xor_b32_e32 v2, 56, v19
	v_and_or_b32 v33, v68, 12, v75
	s_waitcnt lgkmcnt(7)
	v_mfma_f32_16x16x16_bf16 a[0:3], v[66:67], v[92:93], a[20:23]
	v_perm_b32 v3, v5, v9, s1
	v_perm_b32 v4, v13, v17, s1
	v_add_u32_e32 v2, 0x80, v2
	v_cmp_gt_i32_e32 vcc, s45, v33
	v_mov_b32_e32 v22, 0
	v_mov_b32_e32 v23, 0
	ds_write2st64_b32 v2, v3, v4 offset0:131 offset1:163
	s_and_saveexec_b64 s[0:1], vcc
	s_cbranch_execz .LBB109_61
; %bb.60:
	v_add_u32_e32 v2, s44, v33
	v_ashrrev_i32_e32 v3, 31, v2
	v_mul_lo_u32 v4, v3, s36
	v_mul_lo_u32 v5, v2, s37
	v_mad_u64_u32 v[2:3], s[2:3], v2, s36, 0
	v_add3_u32 v3, v3, v5, v4
	v_lshl_add_u64 v[2:3], v[2:3], 2, s[10:11]
	global_load_dword v2, v[2:3], off
	s_waitcnt vmcnt(0)
	v_sub_f32_e32 v2, s12, v2
	v_mul_f32_e32 v2, 0x3fb8aa3b, v2
	v_exp_f32_e32 v23, v2
.LBB109_61:
	s_or_b64 exec, exec, s[0:1]
	v_or_b32_e32 v11, 1, v33
	v_cmp_gt_i32_e64 s[2:3], s45, v11
	s_and_saveexec_b64 s[0:1], s[2:3]
	s_cbranch_execz .LBB109_63
; %bb.62:
	v_add_u32_e32 v2, s44, v11
	v_ashrrev_i32_e32 v3, 31, v2
	v_mul_lo_u32 v4, v3, s36
	v_mul_lo_u32 v5, v2, s37
	v_mad_u64_u32 v[2:3], s[4:5], v2, s36, 0
	v_add3_u32 v3, v3, v5, v4
	v_lshl_add_u64 v[2:3], v[2:3], 2, s[10:11]
	global_load_dword v2, v[2:3], off
	s_waitcnt vmcnt(0)
	v_sub_f32_e32 v2, s12, v2
	v_mul_f32_e32 v2, 0x3fb8aa3b, v2
	v_exp_f32_e32 v22, v2
.LBB109_63:
	s_or_b64 exec, exec, s[0:1]
	v_or_b32_e32 v10, 2, v33
	v_cmp_gt_i32_e64 s[4:5], s45, v10
	v_mov_b32_e32 v20, 0
	v_mov_b32_e32 v32, 0
	s_and_saveexec_b64 s[0:1], s[4:5]
	s_cbranch_execz .LBB109_65
; %bb.64:
	v_add_u32_e32 v2, s44, v10
	v_ashrrev_i32_e32 v3, 31, v2
	v_mul_lo_u32 v4, v3, s36
	v_mul_lo_u32 v5, v2, s37
	v_mad_u64_u32 v[2:3], s[6:7], v2, s36, 0
	v_add3_u32 v3, v3, v5, v4
	v_lshl_add_u64 v[2:3], v[2:3], 2, s[10:11]
	global_load_dword v2, v[2:3], off
	s_waitcnt vmcnt(0)
	v_sub_f32_e32 v2, s12, v2
	v_mul_f32_e32 v2, 0x3fb8aa3b, v2
	v_exp_f32_e32 v32, v2
.LBB109_65:
	s_or_b64 exec, exec, s[0:1]
	v_or_b32_e32 v66, 3, v33
	v_cmp_gt_i32_e64 s[0:1], s45, v66
	s_and_saveexec_b64 s[6:7], s[0:1]
	s_cbranch_execz .LBB109_67
; %bb.66:
	v_add_u32_e32 v2, s44, v66
	v_ashrrev_i32_e32 v3, 31, v2
	v_mul_lo_u32 v4, v3, s36
	v_mul_lo_u32 v5, v2, s37
	v_mad_u64_u32 v[2:3], s[16:17], v2, s36, 0
	v_add3_u32 v3, v3, v5, v4
	v_lshl_add_u64 v[2:3], v[2:3], 2, s[10:11]
	global_load_dword v2, v[2:3], off
	s_waitcnt vmcnt(0)
	v_sub_f32_e32 v2, s12, v2
	v_mul_f32_e32 v2, 0x3fb8aa3b, v2
	v_exp_f32_e32 v20, v2
.LBB109_67:
	s_or_b64 exec, exec, s[6:7]
	s_add_u32 s6, s8, s30
	s_addc_u32 s7, s9, s31
	s_add_u32 s8, s14, s30
	v_ashrrev_i32_e32 v19, 31, v18
	v_accvgpr_read_b32 v2, a12
	s_addc_u32 s9, s15, s31
	v_lshlrev_b64 v[6:7], 1, v[18:19]
	v_accvgpr_read_b32 v3, a13
	v_accvgpr_read_b32 v4, a14
	;; [unrolled: 1-line block ×3, first 2 shown]
	v_lshl_add_u64 v[8:9], s[6:7], 0, v[6:7]
	v_lshl_add_u64 v[6:7], s[8:9], 0, v[6:7]
	v_mov_b32_e32 v15, 0
	v_lshlrev_b32_e32 v12, 8, v33
	v_mov_b32_e32 v13, 0
	s_and_saveexec_b64 s[6:7], vcc
	s_cbranch_execz .LBB109_69
; %bb.68:
	v_mov_b32_e32 v13, 0
	v_lshl_add_u64 v[16:17], v[8:9], 0, v[12:13]
	global_load_ushort v14, v[16:17], off
	v_lshl_add_u64 v[16:17], v[6:7], 0, v[12:13]
	s_waitcnt vmcnt(0)
	v_lshlrev_b32_e32 v13, 16, v14
	v_sub_f32_e32 v2, v13, v2
	global_store_short_d16_hi v[16:17], v2, off
	v_mul_f32_e32 v2, v23, v2
	v_lshrrev_b32_e32 v13, 16, v2
.LBB109_69:
	s_or_b64 exec, exec, s[6:7]
	v_lshlrev_b32_e32 v14, 8, v11
	s_and_saveexec_b64 s[6:7], s[2:3]
	s_cbranch_execz .LBB109_71
; %bb.70:
	v_mov_b32_e32 v15, 0
	v_lshl_add_u64 v[16:17], v[8:9], 0, v[14:15]
	global_load_ushort v2, v[16:17], off
	v_lshl_add_u64 v[16:17], v[6:7], 0, v[14:15]
	s_waitcnt vmcnt(0)
	v_lshlrev_b32_e32 v2, 16, v2
	v_sub_f32_e32 v2, v2, v3
	global_store_short_d16_hi v[16:17], v2, off
	v_mul_f32_e32 v2, v22, v2
	v_lshrrev_b32_e32 v15, 16, v2
.LBB109_71:
	s_or_b64 exec, exec, s[6:7]
	v_mov_b32_e32 v11, 0
	v_lshlrev_b32_e32 v16, 8, v10
	v_mov_b32_e32 v17, 0
	s_and_saveexec_b64 s[6:7], s[4:5]
	s_cbranch_execz .LBB109_73
; %bb.72:
	v_mov_b32_e32 v17, 0
	v_lshl_add_u64 v[2:3], v[8:9], 0, v[16:17]
	global_load_ushort v10, v[2:3], off
	v_lshl_add_u64 v[2:3], v[6:7], 0, v[16:17]
	s_waitcnt vmcnt(0)
	v_lshlrev_b32_e32 v10, 16, v10
	v_sub_f32_e32 v4, v10, v4
	global_store_short_d16_hi v[2:3], v4, off
	v_mul_f32_e32 v2, v32, v4
	v_lshrrev_b32_e32 v17, 16, v2
.LBB109_73:
	s_or_b64 exec, exec, s[6:7]
	v_lshlrev_b32_e32 v10, 8, v66
	s_and_saveexec_b64 s[6:7], s[0:1]
	s_cbranch_execz .LBB109_75
; %bb.74:
	v_mov_b32_e32 v11, 0
	v_lshl_add_u64 v[2:3], v[8:9], 0, v[10:11]
	global_load_ushort v4, v[2:3], off
	v_lshl_add_u64 v[2:3], v[6:7], 0, v[10:11]
	s_waitcnt vmcnt(0)
	v_lshlrev_b32_e32 v4, 16, v4
	v_sub_f32_e32 v4, v4, v5
	global_store_short_d16_hi v[2:3], v4, off
	v_mul_f32_e32 v2, v20, v4
	v_lshrrev_b32_e32 v11, 16, v2
.LBB109_75:
	s_or_b64 exec, exec, s[6:7]
	v_lshlrev_b32_e32 v19, 6, v33
	s_mov_b32 s6, 0x5040100
	v_accvgpr_read_b32 v2, a8
	v_perm_b32 v67, v11, v17, s6
	v_or_b32_e32 v11, v19, v26
	v_accvgpr_read_b32 v3, a9
	v_accvgpr_read_b32 v4, a10
	;; [unrolled: 1-line block ×3, first 2 shown]
	v_perm_b32 v66, v15, v13, s6
	v_lshlrev_b32_e32 v11, 1, v11
	v_mov_b32_e32 v15, 0
	v_mov_b32_e32 v13, 0
	ds_write_b64 v11, v[66:67] offset:24576
	s_and_saveexec_b64 s[6:7], vcc
	s_cbranch_execz .LBB109_77
; %bb.76:
	v_mov_b32_e32 v13, 0
	v_lshl_add_u64 v[66:67], v[8:9], 0, v[12:13]
	global_load_ushort v11, v[66:67], off offset:32
	v_lshl_add_u64 v[66:67], v[6:7], 0, v[12:13]
	s_waitcnt vmcnt(0)
	v_lshlrev_b32_e32 v11, 16, v11
	v_sub_f32_e32 v2, v11, v2
	global_store_short_d16_hi v[66:67], v2, off offset:32
	v_mul_f32_e32 v2, v23, v2
	v_lshrrev_b32_e32 v13, 16, v2
.LBB109_77:
	s_or_b64 exec, exec, s[6:7]
	s_and_saveexec_b64 s[6:7], s[2:3]
	s_cbranch_execz .LBB109_79
; %bb.78:
	v_mov_b32_e32 v15, 0
	v_lshl_add_u64 v[66:67], v[8:9], 0, v[14:15]
	global_load_ushort v2, v[66:67], off offset:32
	v_lshl_add_u64 v[66:67], v[6:7], 0, v[14:15]
	s_waitcnt vmcnt(0)
	v_lshlrev_b32_e32 v2, 16, v2
	v_sub_f32_e32 v2, v2, v3
	global_store_short_d16_hi v[66:67], v2, off offset:32
	v_mul_f32_e32 v2, v22, v2
	v_lshrrev_b32_e32 v15, 16, v2
.LBB109_79:
	s_or_b64 exec, exec, s[6:7]
	v_mov_b32_e32 v11, 0
	v_mov_b32_e32 v17, 0
	s_and_saveexec_b64 s[6:7], s[4:5]
	s_cbranch_execz .LBB109_81
; %bb.80:
	v_mov_b32_e32 v17, 0
	v_lshl_add_u64 v[2:3], v[8:9], 0, v[16:17]
	global_load_ushort v26, v[2:3], off offset:32
	v_lshl_add_u64 v[2:3], v[6:7], 0, v[16:17]
	s_waitcnt vmcnt(0)
	v_lshlrev_b32_e32 v17, 16, v26
	v_sub_f32_e32 v4, v17, v4
	global_store_short_d16_hi v[2:3], v4, off offset:32
	v_mul_f32_e32 v2, v32, v4
	v_lshrrev_b32_e32 v17, 16, v2
.LBB109_81:
	s_or_b64 exec, exec, s[6:7]
	s_and_saveexec_b64 s[6:7], s[0:1]
	s_cbranch_execz .LBB109_83
; %bb.82:
	v_mov_b32_e32 v11, 0
	v_lshl_add_u64 v[2:3], v[8:9], 0, v[10:11]
	global_load_ushort v4, v[2:3], off offset:32
	v_lshl_add_u64 v[2:3], v[6:7], 0, v[10:11]
	s_waitcnt vmcnt(0)
	v_lshlrev_b32_e32 v4, 16, v4
	v_sub_f32_e32 v4, v4, v5
	global_store_short_d16_hi v[2:3], v4, off offset:32
	v_mul_f32_e32 v2, v20, v4
	v_lshrrev_b32_e32 v11, 16, v2
.LBB109_83:
	s_or_b64 exec, exec, s[6:7]
	s_mov_b32 s6, 0x5040100
	v_accvgpr_read_b32 v2, a4
	v_perm_b32 v67, v11, v17, s6
	v_or_b32_e32 v11, v19, v25
	v_accvgpr_read_b32 v3, a5
	v_accvgpr_read_b32 v4, a6
	;; [unrolled: 1-line block ×3, first 2 shown]
	v_perm_b32 v66, v15, v13, s6
	v_lshlrev_b32_e32 v11, 1, v11
	v_mov_b32_e32 v15, 0
	v_mov_b32_e32 v13, 0
	ds_write_b64 v11, v[66:67] offset:24576
	s_and_saveexec_b64 s[6:7], vcc
	s_cbranch_execz .LBB109_85
; %bb.84:
	v_mov_b32_e32 v13, 0
	v_lshl_add_u64 v[66:67], v[8:9], 0, v[12:13]
	global_load_ushort v11, v[66:67], off offset:64
	v_lshl_add_u64 v[66:67], v[6:7], 0, v[12:13]
	s_waitcnt vmcnt(0)
	v_lshlrev_b32_e32 v11, 16, v11
	v_sub_f32_e32 v2, v11, v2
	global_store_short_d16_hi v[66:67], v2, off offset:64
	v_mul_f32_e32 v2, v23, v2
	v_lshrrev_b32_e32 v13, 16, v2
.LBB109_85:
	s_or_b64 exec, exec, s[6:7]
	s_and_saveexec_b64 s[6:7], s[2:3]
	s_cbranch_execz .LBB109_87
; %bb.86:
	v_mov_b32_e32 v15, 0
	v_lshl_add_u64 v[66:67], v[8:9], 0, v[14:15]
	global_load_ushort v2, v[66:67], off offset:64
	v_lshl_add_u64 v[66:67], v[6:7], 0, v[14:15]
	s_waitcnt vmcnt(0)
	v_lshlrev_b32_e32 v2, 16, v2
	v_sub_f32_e32 v2, v2, v3
	global_store_short_d16_hi v[66:67], v2, off offset:64
	v_mul_f32_e32 v2, v22, v2
	v_lshrrev_b32_e32 v15, 16, v2
.LBB109_87:
	s_or_b64 exec, exec, s[6:7]
	v_mov_b32_e32 v11, 0
	v_mov_b32_e32 v17, 0
	s_and_saveexec_b64 s[6:7], s[4:5]
	s_cbranch_execz .LBB109_89
; %bb.88:
	v_mov_b32_e32 v17, 0
	v_lshl_add_u64 v[2:3], v[8:9], 0, v[16:17]
	global_load_ushort v25, v[2:3], off offset:64
	v_lshl_add_u64 v[2:3], v[6:7], 0, v[16:17]
	s_waitcnt vmcnt(0)
	v_lshlrev_b32_e32 v17, 16, v25
	v_sub_f32_e32 v4, v17, v4
	global_store_short_d16_hi v[2:3], v4, off offset:64
	v_mul_f32_e32 v2, v32, v4
	v_lshrrev_b32_e32 v17, 16, v2
.LBB109_89:
	s_or_b64 exec, exec, s[6:7]
	s_and_saveexec_b64 s[6:7], s[0:1]
	s_cbranch_execz .LBB109_91
; %bb.90:
	v_mov_b32_e32 v11, 0
	v_lshl_add_u64 v[2:3], v[8:9], 0, v[10:11]
	global_load_ushort v4, v[2:3], off offset:64
	v_lshl_add_u64 v[2:3], v[6:7], 0, v[10:11]
	s_waitcnt vmcnt(0)
	v_lshlrev_b32_e32 v4, 16, v4
	v_sub_f32_e32 v4, v4, v5
	global_store_short_d16_hi v[2:3], v4, off offset:64
	v_mul_f32_e32 v2, v20, v4
	v_lshrrev_b32_e32 v11, 16, v2
.LBB109_91:
	s_or_b64 exec, exec, s[6:7]
	s_mov_b32 s6, 0x5040100
	v_accvgpr_read_b32 v5, a3
	v_perm_b32 v67, v11, v17, s6
	v_or_b32_e32 v11, v19, v24
	v_accvgpr_read_b32 v4, a2
	v_accvgpr_read_b32 v3, a1
	;; [unrolled: 1-line block ×3, first 2 shown]
	v_perm_b32 v66, v15, v13, s6
	v_lshlrev_b32_e32 v11, 1, v11
	v_mov_b32_e32 v15, 0
	v_mov_b32_e32 v13, 0
	ds_write_b64 v11, v[66:67] offset:24576
	s_and_saveexec_b64 s[6:7], vcc
	s_cbranch_execz .LBB109_93
; %bb.92:
	v_mov_b32_e32 v13, 0
	v_lshl_add_u64 v[24:25], v[8:9], 0, v[12:13]
	global_load_ushort v11, v[24:25], off offset:96
	v_lshl_add_u64 v[12:13], v[6:7], 0, v[12:13]
	s_waitcnt vmcnt(0)
	v_lshlrev_b32_e32 v11, 16, v11
	v_sub_f32_e32 v2, v11, v2
	global_store_short_d16_hi v[12:13], v2, off offset:96
	v_mul_f32_e32 v2, v23, v2
	v_lshrrev_b32_e32 v13, 16, v2
.LBB109_93:
	s_or_b64 exec, exec, s[6:7]
	s_and_saveexec_b64 s[6:7], s[2:3]
	s_cbranch_execz .LBB109_95
; %bb.94:
	v_mov_b32_e32 v15, 0
	v_lshl_add_u64 v[24:25], v[8:9], 0, v[14:15]
	global_load_ushort v2, v[24:25], off offset:96
	v_lshl_add_u64 v[14:15], v[6:7], 0, v[14:15]
	s_waitcnt vmcnt(0)
	v_lshlrev_b32_e32 v2, 16, v2
	v_sub_f32_e32 v2, v2, v3
	global_store_short_d16_hi v[14:15], v2, off offset:96
	v_mul_f32_e32 v2, v22, v2
	v_lshrrev_b32_e32 v15, 16, v2
.LBB109_95:
	s_or_b64 exec, exec, s[6:7]
	v_mov_b32_e32 v11, 0
	v_mov_b32_e32 v14, 0
	s_and_saveexec_b64 s[2:3], s[4:5]
	s_cbranch_execz .LBB109_97
; %bb.96:
	v_mov_b32_e32 v17, 0
	v_lshl_add_u64 v[2:3], v[8:9], 0, v[16:17]
	global_load_ushort v12, v[2:3], off offset:96
	v_lshl_add_u64 v[2:3], v[6:7], 0, v[16:17]
	s_waitcnt vmcnt(0)
	v_lshlrev_b32_e32 v12, 16, v12
	v_sub_f32_e32 v4, v12, v4
	global_store_short_d16_hi v[2:3], v4, off offset:96
	v_mul_f32_e32 v2, v32, v4
	v_lshrrev_b32_e32 v14, 16, v2
.LBB109_97:
	s_or_b64 exec, exec, s[2:3]
	v_or_b32_e32 v12, 0x6000, v28
	v_or_b32_e32 v4, 0x6000, v29
	;; [unrolled: 1-line block ×4, first 2 shown]
	s_and_saveexec_b64 s[2:3], s[0:1]
	s_cbranch_execz .LBB109_99
; %bb.98:
	v_mov_b32_e32 v11, 0
	v_lshl_add_u64 v[8:9], v[8:9], 0, v[10:11]
	global_load_ushort v8, v[8:9], off offset:96
	v_lshl_add_u64 v[6:7], v[6:7], 0, v[10:11]
	s_waitcnt vmcnt(0)
	v_lshlrev_b32_e32 v8, 16, v8
	v_sub_f32_e32 v5, v8, v5
	global_store_short_d16_hi v[6:7], v5, off offset:96
	v_mul_f32_e32 v5, v20, v5
	v_lshrrev_b32_e32 v11, 16, v5
.LBB109_99:
	s_or_b64 exec, exec, s[2:3]
	s_mov_b32 s0, 0x5040100
	v_or_b32_e32 v5, v19, v21
	v_perm_b32 v7, v11, v14, s0
	v_perm_b32 v6, v15, v13, s0
	v_lshlrev_b32_e32 v5, 1, v5
	s_movk_i32 s0, 0x100
	ds_write_b64 v5, v[6:7] offset:24576
	v_and_b32_e32 v5, 7, v0
	v_and_b32_e32 v6, 8, v0
	v_cmp_gt_u32_e32 vcc, s0, v0
	v_lshrrev_b32_e32 v0, 1, v0
	v_mov_b32_e32 v7, 0xa000
	v_mov_b32_e32 v8, 0x8000
	v_lshlrev_b32_e32 v26, 3, v74
	v_and_b32_e32 v0, 24, v0
	v_cndmask_b32_e32 v19, v7, v8, vcc
	v_xor_b32_e32 v7, v26, v0
	v_or_b32_e32 v8, 0x440, v7
	v_cmp_eq_u32_e32 vcc, 0, v6
	v_lshlrev_b32_e32 v13, 3, v5
	v_lshlrev_b32_e32 v5, 7, v5
	v_cndmask_b32_e32 v6, v8, v7, vcc
	v_or_b32_e32 v6, v6, v27
	v_xad_u32 v32, v6, v13, v5
	v_add_u32_e32 v6, v19, v32
	s_waitcnt lgkmcnt(0)
	s_barrier
	ds_read_b64 v[10:11], v6
	ds_read2_b64 v[6:9], v12 offset1:16
	ds_read2_b64 v[14:17], v12 offset0:32 offset1:48
	v_or_b32_e32 v20, 32, v0
	v_xor_b32_e32 v20, v26, v20
	v_or_b32_e32 v21, 0x440, v20
	v_cndmask_b32_e32 v20, v21, v20, vcc
	s_waitcnt lgkmcnt(1)
	v_mfma_f32_16x16x16_bf16 a[0:3], v[10:11], v[6:7], 0
	v_or_b32_e32 v20, v20, v27
	v_xad_u32 v33, v20, v13, v5
	v_add_u32_e32 v20, v19, v33
	v_mfma_f32_16x16x16_bf16 a[4:7], v[10:11], v[8:9], 0
	ds_read_b64 v[24:25], v20
	ds_read2st64_b64 v[28:31], v4 offset0:4 offset1:8
	ds_read2st64_b64 v[66:69], v3 offset0:4 offset1:8
	s_waitcnt lgkmcnt(3)
	v_mfma_f32_16x16x16_bf16 a[8:11], v[10:11], v[14:15], 0
	ds_read2st64_b64 v[70:73], v2 offset0:4 offset1:8
	v_mfma_f32_16x16x16_bf16 a[12:15], v[10:11], v[16:17], 0
	v_or_b32_e32 v10, 64, v0
	v_xor_b32_e32 v10, v26, v10
	v_xor_b32_e32 v11, 0x440, v10
	v_cndmask_b32_e32 v10, v11, v10, vcc
	v_or_b32_e32 v10, v10, v27
	v_xad_u32 v74, v10, v13, v5
	v_add_u32_e32 v10, v19, v74
	ds_read_b64 v[10:11], v10
	ds_read2st64_b64 v[20:23], v12 offset0:4 offset1:8
	v_or_b32_e32 v0, 0x60, v0
	v_xor_b32_e32 v0, v26, v0
	s_waitcnt lgkmcnt(0)
	v_mfma_f32_16x16x16_bf16 a[0:3], v[24:25], v[20:21], a[0:3]
	v_mfma_f32_16x16x16_bf16 a[4:7], v[24:25], v[28:29], a[4:7]
	;; [unrolled: 1-line block ×4, first 2 shown]
	v_xor_b32_e32 v24, 0x440, v0
	v_cndmask_b32_e32 v0, v24, v0, vcc
	v_or_b32_e32 v0, v0, v27
	v_xad_u32 v26, v0, v13, v5
	v_add_u32_e32 v0, v19, v26
	v_mfma_f32_16x16x16_bf16 a[0:3], v[10:11], v[22:23], a[0:3]
	ds_read_b64 v[24:25], v0
	ds_read_b64 v[12:13], v12 offset:6144
	v_mov_b32_e32 v0, 0x3fb8aa3b
	v_mul_f32_e32 v0, s12, v0
	v_mfma_f32_16x16x16_bf16 a[4:7], v[10:11], v[30:31], a[4:7]
	v_exp_f32_e32 v0, v0
	v_mfma_f32_16x16x16_bf16 a[8:11], v[10:11], v[68:69], a[8:11]
	v_mfma_f32_16x16x16_bf16 a[12:15], v[10:11], v[72:73], a[12:15]
	ds_read_b64 v[4:5], v4 offset:6144
	ds_read_b64 v[10:11], v3 offset:6144
	;; [unrolled: 1-line block ×3, first 2 shown]
	s_waitcnt lgkmcnt(3)
	v_mfma_f32_16x16x16_bf16 a[0:3], v[24:25], v[12:13], a[0:3]
	s_waitcnt lgkmcnt(2)
	v_mfma_f32_16x16x16_bf16 a[4:7], v[24:25], v[4:5], a[4:7]
	;; [unrolled: 2-line block ×4, first 2 shown]
	ds_read_b64 v[24:25], v32 offset:40960
	s_waitcnt lgkmcnt(0)
	v_mfma_f32_16x16x16_bf16 a[16:19], v[24:25], v[6:7], 0
	ds_read_b64 v[6:7], v33 offset:40960
	v_mfma_f32_16x16x16_bf16 a[20:23], v[24:25], v[8:9], 0
	ds_read_b64 v[8:9], v74 offset:40960
	v_mfma_f32_16x16x16_bf16 a[24:27], v[24:25], v[14:15], 0
	v_accvgpr_read_b32 v15, a3
	v_accvgpr_read_b32 v14, a2
	v_pk_fma_f32 v[64:65], v[0:1], v[64:65], v[14:15] op_sel_hi:[0,1,1]
	v_mfma_f32_16x16x16_bf16 a[28:31], v[24:25], v[16:17], 0
	ds_read_b64 v[14:15], v26 offset:40960
	v_accvgpr_read_b32 v17, a7
	v_accvgpr_read_b32 v16, a6
	s_waitcnt lgkmcnt(2)
	v_mfma_f32_16x16x16_bf16 a[16:19], v[6:7], v[20:21], a[16:19]
	v_accvgpr_read_b32 v21, a15
	v_accvgpr_read_b32 v20, a14
	v_pk_fma_f32 v[56:57], v[0:1], v[56:57], v[16:17] op_sel_hi:[0,1,1]
	v_mfma_f32_16x16x16_bf16 a[20:23], v[6:7], v[28:29], a[20:23]
	v_pk_fma_f32 v[40:41], v[0:1], v[40:41], v[20:21] op_sel_hi:[0,1,1]
	v_mfma_f32_16x16x16_bf16 a[24:27], v[6:7], v[66:67], a[24:27]
	v_mfma_f32_16x16x16_bf16 a[28:31], v[6:7], v[70:71], a[28:31]
	v_accvgpr_read_b32 v7, a11
	v_accvgpr_read_b32 v6, a10
	v_pk_fma_f32 v[48:49], v[0:1], v[48:49], v[6:7] op_sel_hi:[0,1,1]
	s_waitcnt lgkmcnt(1)
	v_mfma_f32_16x16x16_bf16 a[16:19], v[8:9], v[22:23], a[16:19]
	v_accvgpr_read_b32 v23, a1
	v_accvgpr_read_b32 v22, a0
	v_pk_fma_f32 v[62:63], v[0:1], v[62:63], v[22:23] op_sel_hi:[0,1,1]
	v_mfma_f32_16x16x16_bf16 a[0:3], v[8:9], v[30:31], a[20:23]
	v_accvgpr_read_b32 v23, a5
	v_accvgpr_read_b32 v22, a4
	;; [unrolled: 1-line block ×3, first 2 shown]
	v_mfma_f32_16x16x16_bf16 a[20:23], v[8:9], v[68:69], a[24:27]
	v_accvgpr_read_b32 v7, a13
	v_pk_fma_f32 v[38:39], v[0:1], v[38:39], v[6:7] op_sel_hi:[0,1,1]
	v_pk_fma_f32 v[54:55], v[0:1], v[54:55], v[22:23] op_sel_hi:[0,1,1]
	v_mfma_f32_16x16x16_bf16 a[4:7], v[8:9], v[72:73], a[28:31]
	v_accvgpr_read_b32 v8, a8
	v_accvgpr_read_b32 v9, a9
	v_pk_fma_f32 v[46:47], v[0:1], v[46:47], v[8:9] op_sel_hi:[0,1,1]
	s_waitcnt lgkmcnt(0)
	v_mfma_f32_16x16x16_bf16 a[8:11], v[14:15], v[12:13], a[16:19]
	v_mfma_f32_16x16x16_bf16 a[0:3], v[14:15], v[4:5], a[0:3]
	s_nop 5
	v_accvgpr_read_b32 v5, a11
	v_accvgpr_read_b32 v4, a10
	v_mfma_f32_16x16x16_bf16 a[10:13], v[14:15], v[10:11], a[20:23]
	v_pk_fma_f32 v[60:61], v[0:1], v[60:61], v[4:5] op_sel_hi:[0,1,1]
	v_accvgpr_read_b32 v7, a3
	v_accvgpr_read_b32 v6, a2
	v_mfma_f32_16x16x16_bf16 a[2:5], v[14:15], v[2:3], a[4:7]
	v_accvgpr_read_b32 v5, a1
	v_accvgpr_read_b32 v4, a0
	v_pk_fma_f32 v[50:51], v[0:1], v[50:51], v[4:5] op_sel_hi:[0,1,1]
	v_accvgpr_read_b32 v4, a10
	v_accvgpr_read_b32 v5, a11
	;; [unrolled: 1-line block ×3, first 2 shown]
	v_pk_fma_f32 v[42:43], v[0:1], v[42:43], v[4:5] op_sel_hi:[0,1,1]
	v_accvgpr_read_b32 v5, a3
	v_accvgpr_read_b32 v9, a13
	;; [unrolled: 1-line block ×7, first 2 shown]
	v_pk_fma_f32 v[58:59], v[0:1], v[58:59], v[10:11] op_sel_hi:[0,1,1]
	v_pk_fma_f32 v[52:53], v[0:1], v[52:53], v[6:7] op_sel_hi:[0,1,1]
	;; [unrolled: 1-line block ×5, first 2 shown]
	v_mov_b32_e32 v2, v18
.LBB109_100:
	s_lshl_b64 s[0:1], s[28:29], 15
	s_waitcnt lgkmcnt(0)
	s_add_u32 s0, s34, s0
	v_lshlrev_b32_e32 v2, 7, v2
	s_addc_u32 s1, s35, s1
	v_ashrrev_i32_e32 v3, 31, v2
	v_lshl_add_u64 v[4:5], v[2:3], 1, s[0:1]
	v_lshlrev_b32_e32 v0, 1, v1
	v_mov_b32_e32 v1, 0
	s_mov_b32 s2, 0x7060302
	v_lshl_add_u64 v[4:5], v[4:5], 0, v[0:1]
	v_perm_b32 v7, v65, v64, s2
	v_perm_b32 v6, v63, v62, s2
	global_store_dwordx2 v[4:5], v[6:7], off
	v_perm_b32 v7, v61, v60, s2
	v_perm_b32 v6, v59, v58, s2
	global_store_dwordx2 v[4:5], v[6:7], off offset:128
	v_or_b32_e32 v4, 0x800, v2
	v_ashrrev_i32_e32 v5, 31, v4
	v_lshl_add_u64 v[4:5], v[4:5], 1, s[0:1]
	v_lshl_add_u64 v[4:5], v[4:5], 0, v[0:1]
	v_perm_b32 v7, v57, v56, s2
	v_perm_b32 v6, v55, v54, s2
	global_store_dwordx2 v[4:5], v[6:7], off
	v_perm_b32 v7, v53, v52, s2
	v_perm_b32 v6, v51, v50, s2
	global_store_dwordx2 v[4:5], v[6:7], off offset:128
	v_or_b32_e32 v4, 0x1000, v2
	v_or_b32_e32 v2, 0x1800, v2
	v_ashrrev_i32_e32 v5, 31, v4
	v_ashrrev_i32_e32 v3, 31, v2
	v_lshl_add_u64 v[4:5], v[4:5], 1, s[0:1]
	v_lshl_add_u64 v[2:3], v[2:3], 1, s[0:1]
	;; [unrolled: 1-line block ×3, first 2 shown]
	v_perm_b32 v7, v49, v48, s2
	v_perm_b32 v6, v47, v46, s2
	v_lshl_add_u64 v[0:1], v[2:3], 0, v[0:1]
	v_perm_b32 v3, v41, v40, s2
	v_perm_b32 v2, v39, v38, s2
	global_store_dwordx2 v[4:5], v[6:7], off
	v_perm_b32 v7, v45, v44, s2
	v_perm_b32 v6, v43, v42, s2
	global_store_dwordx2 v[0:1], v[2:3], off
	v_perm_b32 v3, v35, v34, s2
	v_perm_b32 v2, v37, v36, s2
	global_store_dwordx2 v[4:5], v[6:7], off offset:128
	global_store_dwordx2 v[0:1], v[2:3], off offset:128
	s_endpgm
	.section	.rodata,"a",@progbits
	.p2align	6, 0x0
	.amdhsa_kernel _ZN12_GLOBAL__N_139chunk_gated_delta_rule_fwd_h_hip_kernelILi64ELb0ELb1ELb1ELb0ELb0ELb0ELb1ELb1EEEvPK12hip_bfloat16S3_S3_PKfS5_PKvPS1_S8_PvPKiSB_iiiiilll
		.amdhsa_group_segment_fixed_size 65536
		.amdhsa_private_segment_fixed_size 0
		.amdhsa_kernarg_size 136
		.amdhsa_user_sgpr_count 2
		.amdhsa_user_sgpr_dispatch_ptr 0
		.amdhsa_user_sgpr_queue_ptr 0
		.amdhsa_user_sgpr_kernarg_segment_ptr 1
		.amdhsa_user_sgpr_dispatch_id 0
		.amdhsa_user_sgpr_kernarg_preload_length 0
		.amdhsa_user_sgpr_kernarg_preload_offset 0
		.amdhsa_user_sgpr_private_segment_size 0
		.amdhsa_uses_dynamic_stack 0
		.amdhsa_enable_private_segment 0
		.amdhsa_system_sgpr_workgroup_id_x 1
		.amdhsa_system_sgpr_workgroup_id_y 1
		.amdhsa_system_sgpr_workgroup_id_z 0
		.amdhsa_system_sgpr_workgroup_info 0
		.amdhsa_system_vgpr_workitem_id 0
		.amdhsa_next_free_vgpr 216
		.amdhsa_next_free_sgpr 67
		.amdhsa_accum_offset 180
		.amdhsa_reserve_vcc 1
		.amdhsa_float_round_mode_32 0
		.amdhsa_float_round_mode_16_64 0
		.amdhsa_float_denorm_mode_32 3
		.amdhsa_float_denorm_mode_16_64 3
		.amdhsa_dx10_clamp 1
		.amdhsa_ieee_mode 1
		.amdhsa_fp16_overflow 0
		.amdhsa_tg_split 0
		.amdhsa_exception_fp_ieee_invalid_op 0
		.amdhsa_exception_fp_denorm_src 0
		.amdhsa_exception_fp_ieee_div_zero 0
		.amdhsa_exception_fp_ieee_overflow 0
		.amdhsa_exception_fp_ieee_underflow 0
		.amdhsa_exception_fp_ieee_inexact 0
		.amdhsa_exception_int_div_zero 0
	.end_amdhsa_kernel
	.section	.text._ZN12_GLOBAL__N_139chunk_gated_delta_rule_fwd_h_hip_kernelILi64ELb0ELb1ELb1ELb0ELb0ELb0ELb1ELb1EEEvPK12hip_bfloat16S3_S3_PKfS5_PKvPS1_S8_PvPKiSB_iiiiilll,"axG",@progbits,_ZN12_GLOBAL__N_139chunk_gated_delta_rule_fwd_h_hip_kernelILi64ELb0ELb1ELb1ELb0ELb0ELb0ELb1ELb1EEEvPK12hip_bfloat16S3_S3_PKfS5_PKvPS1_S8_PvPKiSB_iiiiilll,comdat
.Lfunc_end109:
	.size	_ZN12_GLOBAL__N_139chunk_gated_delta_rule_fwd_h_hip_kernelILi64ELb0ELb1ELb1ELb0ELb0ELb0ELb1ELb1EEEvPK12hip_bfloat16S3_S3_PKfS5_PKvPS1_S8_PvPKiSB_iiiiilll, .Lfunc_end109-_ZN12_GLOBAL__N_139chunk_gated_delta_rule_fwd_h_hip_kernelILi64ELb0ELb1ELb1ELb0ELb0ELb0ELb1ELb1EEEvPK12hip_bfloat16S3_S3_PKfS5_PKvPS1_S8_PvPKiSB_iiiiilll
                                        ; -- End function
	.section	.AMDGPU.csdata,"",@progbits
; Kernel info:
; codeLenInByte = 12728
; NumSgprs: 73
; NumVgprs: 180
; NumAgprs: 36
; TotalNumVgprs: 216
; ScratchSize: 0
; MemoryBound: 0
; FloatMode: 240
; IeeeMode: 1
; LDSByteSize: 65536 bytes/workgroup (compile time only)
; SGPRBlocks: 9
; VGPRBlocks: 26
; NumSGPRsForWavesPerEU: 73
; NumVGPRsForWavesPerEU: 216
; AccumOffset: 180
; Occupancy: 1
; WaveLimiterHint : 1
; COMPUTE_PGM_RSRC2:SCRATCH_EN: 0
; COMPUTE_PGM_RSRC2:USER_SGPR: 2
; COMPUTE_PGM_RSRC2:TRAP_HANDLER: 0
; COMPUTE_PGM_RSRC2:TGID_X_EN: 1
; COMPUTE_PGM_RSRC2:TGID_Y_EN: 1
; COMPUTE_PGM_RSRC2:TGID_Z_EN: 0
; COMPUTE_PGM_RSRC2:TIDIG_COMP_CNT: 0
; COMPUTE_PGM_RSRC3_GFX90A:ACCUM_OFFSET: 44
; COMPUTE_PGM_RSRC3_GFX90A:TG_SPLIT: 0
	.section	.text._ZN12_GLOBAL__N_139chunk_gated_delta_rule_fwd_h_hip_kernelILi64ELb0ELb1ELb0ELb0ELb0ELb0ELb1ELb1EEEvPK12hip_bfloat16S3_S3_PKfS5_PKvPS1_S8_PvPKiSB_iiiiilll,"axG",@progbits,_ZN12_GLOBAL__N_139chunk_gated_delta_rule_fwd_h_hip_kernelILi64ELb0ELb1ELb0ELb0ELb0ELb0ELb1ELb1EEEvPK12hip_bfloat16S3_S3_PKfS5_PKvPS1_S8_PvPKiSB_iiiiilll,comdat
	.globl	_ZN12_GLOBAL__N_139chunk_gated_delta_rule_fwd_h_hip_kernelILi64ELb0ELb1ELb0ELb0ELb0ELb0ELb1ELb1EEEvPK12hip_bfloat16S3_S3_PKfS5_PKvPS1_S8_PvPKiSB_iiiiilll ; -- Begin function _ZN12_GLOBAL__N_139chunk_gated_delta_rule_fwd_h_hip_kernelILi64ELb0ELb1ELb0ELb0ELb0ELb0ELb1ELb1EEEvPK12hip_bfloat16S3_S3_PKfS5_PKvPS1_S8_PvPKiSB_iiiiilll
	.p2align	8
	.type	_ZN12_GLOBAL__N_139chunk_gated_delta_rule_fwd_h_hip_kernelILi64ELb0ELb1ELb0ELb0ELb0ELb0ELb1ELb1EEEvPK12hip_bfloat16S3_S3_PKfS5_PKvPS1_S8_PvPKiSB_iiiiilll,@function
_ZN12_GLOBAL__N_139chunk_gated_delta_rule_fwd_h_hip_kernelILi64ELb0ELb1ELb0ELb0ELb0ELb0ELb1ELb1EEEvPK12hip_bfloat16S3_S3_PKfS5_PKvPS1_S8_PvPKiSB_iiiiilll: ; @_ZN12_GLOBAL__N_139chunk_gated_delta_rule_fwd_h_hip_kernelILi64ELb0ELb1ELb0ELb0ELb0ELb0ELb1ELb1EEEvPK12hip_bfloat16S3_S3_PKfS5_PKvPS1_S8_PvPKiSB_iiiiilll
; %bb.0:
	s_load_dwordx4 s[12:15], s[0:1], 0x5c
	s_load_dwordx4 s[16:19], s[0:1], 0x70
	s_abs_i32 s22, s3
	s_ashr_i32 s21, s3, 31
	s_load_dwordx8 s[4:11], s[0:1], 0x0
	s_waitcnt lgkmcnt(0)
	s_abs_i32 s20, s13
	v_cvt_f32_u32_e32 v1, s20
	s_sub_i32 s24, 0, s20
	s_ashr_i32 s23, s13, 31
	s_xor_b32 s21, s21, s23
	v_rcp_iflag_f32_e32 v1, v1
	s_load_dwordx2 s[28:29], s[0:1], 0x40
	s_load_dwordx2 s[36:37], s[0:1], 0x30
	;; [unrolled: 1-line block ×3, first 2 shown]
	v_lshrrev_b32_e32 v72, 6, v0
	v_mul_f32_e32 v1, 0x4f7ffffe, v1
	v_cvt_u32_f32_e32 v1, v1
	v_bfe_u32 v75, v0, 4, 2
	s_mov_b32 s0, 0
	v_lshlrev_b32_e32 v73, 4, v72
	v_readfirstlane_b32 s25, v1
	s_mul_i32 s24, s24, s25
	s_mul_hi_u32 s24, s25, s24
	s_add_i32 s25, s25, s24
	s_mul_hi_u32 s24, s22, s25
	s_mul_i32 s25, s24, s20
	s_sub_i32 s22, s22, s25
	s_add_i32 s26, s24, 1
	s_sub_i32 s25, s22, s20
	s_cmp_ge_u32 s22, s20
	s_cselect_b32 s24, s26, s24
	s_cselect_b32 s22, s25, s22
	s_add_i32 s25, s24, 1
	s_cmp_ge_u32 s22, s20
	s_cselect_b32 s22, s25, s24
	s_xor_b32 s22, s22, s21
	s_sub_i32 s47, s22, s21
	s_abs_i32 s22, s14
	v_cvt_f32_u32_e32 v1, s22
	s_mul_i32 s45, s47, s13
	s_sub_i32 s33, s3, s45
	s_add_i32 s3, s12, 63
	v_rcp_iflag_f32_e32 v1, v1
	s_ashr_i32 s21, s3, 31
	s_lshr_b32 s21, s21, 26
	s_ashr_i32 s46, s12, 31
	v_mul_f32_e32 v1, 0x4f7ffffe, v1
	v_cvt_u32_f32_e32 v1, v1
	s_add_i32 s3, s3, s21
	s_lshr_b32 s21, s46, 26
	s_add_i32 s21, s12, s21
	s_ashr_i32 s49, s14, 31
	s_ashr_i32 s48, s21, 6
	s_xor_b32 s21, s23, s49
	s_sub_i32 s23, 0, s22
	v_readfirstlane_b32 s24, v1
	s_mul_i32 s23, s23, s24
	s_mul_hi_u32 s23, s24, s23
	s_add_i32 s24, s24, s23
	s_mul_hi_u32 s23, s20, s24
	s_mul_i32 s24, s23, s22
	s_sub_i32 s20, s20, s24
	s_ashr_i32 s3, s3, 6
	s_add_i32 s24, s23, 1
	s_sub_i32 s25, s20, s22
	s_cmp_ge_u32 s20, s22
	s_cselect_b32 s23, s24, s23
	s_cselect_b32 s20, s25, s20
	s_add_i32 s24, s23, 1
	s_cmp_ge_u32 s20, s22
	s_cselect_b32 s20, s24, s23
	s_xor_b32 s20, s20, s21
	s_sub_i32 s20, s20, s21
	s_abs_i32 s21, s20
	v_cvt_f32_u32_e32 v1, s21
	s_sub_i32 s22, 0, s21
	s_xor_b32 s1, s33, s20
	s_abs_i32 s20, s33
	v_rcp_iflag_f32_e32 v1, v1
	s_ashr_i32 s1, s1, 31
	v_lshlrev_b32_e32 v2, 2, v75
	v_and_b32_e32 v74, 63, v0
	v_mul_f32_e32 v1, 0x4f7ffffe, v1
	v_cvt_u32_f32_e32 v1, v1
	s_mul_i32 s50, s47, s3
	v_and_b32_e32 v76, 15, v0
	s_mul_hi_i32 s51, s47, s13
	v_readfirstlane_b32 s23, v1
	s_mul_i32 s22, s22, s23
	s_mul_hi_u32 s22, s23, s22
	s_add_i32 s23, s23, s22
	s_mul_hi_u32 s22, s20, s23
	s_mul_i32 s23, s22, s21
	s_sub_i32 s20, s20, s23
	s_add_i32 s23, s22, 1
	s_sub_i32 s24, s20, s21
	s_cmp_ge_u32 s20, s21
	s_cselect_b32 s22, s23, s22
	s_cselect_b32 s20, s24, s20
	s_add_i32 s23, s22, 1
	s_cmp_ge_u32 s20, s21
	s_cselect_b32 s20, s23, s22
	s_xor_b32 s20, s20, s1
	s_sub_i32 s52, s20, s1
	v_or_b32_e32 v1, v2, v73
	s_lshl_b32 s2, s2, 6
	s_mov_b32 s1, s0
	v_or_b32_e32 v79, 64, v1
	s_cmp_lt_i32 s12, 64
	v_mov_b64_e32 v[34:35], s[0:1]
	v_lshrrev_b32_e32 v78, 3, v74
	v_lshlrev_b32_e32 v77, 3, v0
	s_mul_i32 s17, s47, s17
	s_mul_hi_u32 s44, s47, s16
	s_mul_i32 s34, s47, s16
	v_mov_b64_e32 v[36:37], s[0:1]
	v_mov_b64_e32 v[40:41], s[0:1]
	;; [unrolled: 1-line block ×15, first 2 shown]
	s_cbranch_scc1 .LBB110_17
; %bb.1:
	s_ashr_i32 s3, s47, 31
	s_ashr_i32 s54, s33, 31
	s_add_u32 s0, s45, s33
	s_addc_u32 s1, s51, s54
	s_mul_i32 s1, s12, s1
	s_mul_hi_u32 s20, s12, s0
	s_add_i32 s39, s20, s1
	s_mul_i32 s38, s12, s0
	s_lshl_b64 s[0:1], s[38:39], 8
	v_and_b32_e32 v81, 56, v77
	s_add_u32 s20, s6, s0
	v_lshl_or_b32 v80, v72, 3, v78
	v_lshlrev_b32_e32 v3, 1, v81
	s_addc_u32 s0, s7, s1
	v_lshl_or_b32 v82, v80, 8, v3
	s_and_b32 s21, s0, 0xffff
	s_mov_b32 s23, 0x20000
	s_movk_i32 s22, 0x4000
	s_movk_i32 s0, 0x80
	v_or_b32_e32 v83, 0x2000, v82
	buffer_load_dwordx4 v[4:7], v82, s[20:23], 0 offen
	buffer_load_dwordx4 v[8:11], v82, s[20:23], s0 offen
	;; [unrolled: 1-line block ×4, first 2 shown]
	v_lshlrev_b32_e32 v20, 3, v80
	v_and_or_b32 v22, v0, 7, v20
	v_and_b32_e32 v20, 0x78, v20
	v_lshlrev_b32_e32 v22, 4, v22
	v_xor_b32_e32 v84, v22, v20
	v_mul_lo_u32 v21, v80, s15
	v_or_b32_e32 v85, 0x1000, v84
	s_cmpk_eq_i32 s15, 0x80
	s_mov_b32 s53, s14
	v_xor_b32_e32 v20, 8, v84
	v_xor_b32_e32 v22, 8, v85
	s_cselect_b64 s[0:1], -1, 0
	s_cmpk_lg_i32 s15, 0x80
	s_waitcnt vmcnt(3)
	ds_write_b64 v84, v[4:5] offset:49152
	ds_write_b64 v20, v[6:7] offset:49152
	s_waitcnt vmcnt(2)
	ds_write_b64 v84, v[8:9] offset:57344
	ds_write_b64 v20, v[10:11] offset:57344
	;; [unrolled: 3-line block ×4, first 2 shown]
	v_lshl_add_u32 v4, v21, 1, v81
	s_cbranch_scc0 .LBB110_3
; %bb.2:
	v_lshlrev_b32_e32 v6, 1, v4
	v_add_lshl_u32 v5, v4, s15, 1
	s_lshl_b32 s22, s15, 7
	v_lshl_or_b32 v3, v80, 9, v3
	s_cbranch_execz .LBB110_4
	s_branch .LBB110_5
.LBB110_3:
                                        ; implicit-def: $vgpr5
                                        ; implicit-def: $vgpr6
                                        ; implicit-def: $sgpr22
	v_lshl_or_b32 v3, v80, 9, v3
.LBB110_4:
	v_or_b32_e32 v5, 0x100, v3
	s_movk_i32 s22, 0x4000
	v_mov_b32_e32 v6, v3
.LBB110_5:
	s_mul_hi_u32 s20, s14, s12
	s_mul_i32 s21, s49, s12
	s_add_i32 s20, s20, s21
	s_mul_i32 s21, s14, s12
	s_mul_i32 s23, s21, s3
	s_mul_hi_u32 s24, s21, s47
	s_add_i32 s23, s24, s23
	s_mul_i32 s20, s20, s47
	s_add_i32 s23, s23, s20
	s_mul_i32 s21, s21, s47
	s_ashr_i32 s55, s52, 31
	s_add_u32 s20, s21, s52
	s_addc_u32 s21, s23, s55
	s_lshl_b64 s[20:21], s[20:21], 8
	s_add_u32 s20, s4, s20
	s_addc_u32 s21, s5, s21
	s_and_b32 s21, s21, 0xffff
	s_mov_b32 s23, 0x20000
	s_movk_i32 s56, 0x80
	buffer_load_dwordx4 v[8:11], v6, s[20:23], 0 offen
	buffer_load_dwordx4 v[12:15], v6, s[20:23], s56 offen
	;; [unrolled: 1-line block ×4, first 2 shown]
	v_and_b32_e32 v5, 6, v0
	v_lshlrev_b32_e32 v6, 7, v1
	v_xor_b32_e32 v27, v80, v5
	v_and_b32_e32 v7, 1, v0
	v_lshl_or_b32 v30, v76, 3, v6
	v_lshlrev_b32_e32 v27, 2, v27
	v_or_b32_e32 v86, 0x4000, v30
	v_or_b32_e32 v87, 0x6000, v30
	v_xor_b32_e32 v30, 0x440, v27
	v_cmp_eq_u32_e32 vcc, 0, v7
	v_lshlrev_b32_e32 v24, 2, v76
	s_mov_b32 s58, 0x1000504
	v_cndmask_b32_e32 v7, v30, v27, vcc
	v_xor_b32_e32 v28, v1, v24
	v_xor_b32_e32 v29, v79, v24
	v_lshl_or_b32 v5, v5, 10, v7
	s_mov_b32 s59, 0x3020706
	s_mul_i32 s20, s3, s12
	s_mul_hi_u32 s21, s47, s12
	v_lshlrev_b32_e32 v25, 8, v76
	v_or_b32_e32 v26, 16, v76
	v_lshlrev_b32_e32 v28, 1, v28
	v_lshlrev_b32_e32 v29, 1, v29
	v_xor_b32_e32 v7, 8, v5
	v_xor_b32_e32 v27, 24, v5
	;; [unrolled: 1-line block ×4, first 2 shown]
	v_or_b32_e32 v89, v25, v28
	v_or_b32_e32 v90, v25, v29
	v_xor_b32_e32 v25, 16, v5
	v_xor_b32_e32 v30, 32, v5
	;; [unrolled: 1-line block ×3, first 2 shown]
	v_add_u32_e32 v7, 0x80, v7
	v_add_u32_e32 v27, 0x80, v27
	;; [unrolled: 1-line block ×4, first 2 shown]
	s_add_i32 s61, s21, s20
	s_add_i32 s20, s44, s17
	s_mul_i32 s3, s3, s16
	s_add_i32 s35, s20, s3
	s_mul_i32 s3, s33, s19
	s_mul_hi_u32 s20, s33, s18
	s_add_i32 s3, s20, s3
	s_mul_i32 s20, s54, s18
	s_add_i32 s21, s3, s20
	s_lshl_b64 s[24:25], s[34:35], 2
	s_mul_i32 s20, s33, s18
	s_add_u32 s3, s10, s24
	s_addc_u32 s24, s11, s25
	s_lshl_b64 s[20:21], s[20:21], 2
	s_add_u32 s40, s3, s20
	s_movk_i32 s3, 0xf8
	s_addc_u32 s41, s24, s21
	s_lshl_b32 s26, s15, 7
	s_movk_i32 s24, 0x100
	v_mov_b32_e32 v67, 0
	v_lshlrev_b32_e32 v66, 4, v76
	v_cmp_gt_u32_e32 vcc, s24, v0
	v_lshl_or_b32 v31, v26, 3, v6
	s_mov_b32 s57, 0
	s_mul_i32 s60, s47, s12
	v_or_b32_e32 v88, 0x4000, v31
	s_movk_i32 s22, 0x4000
	v_or_b32_e32 v91, 0x6000, v31
	v_add_u32_e32 v126, v73, v2
	s_movk_i32 s35, 0x2000
	s_movk_i32 s62, 0x3000
	v_mov_b32_e32 v131, 0x3fb8aa3b
	s_mov_b32 s64, 0
	v_mov_b32_e32 v62, v67
	v_mov_b32_e32 v63, v67
	v_mov_b32_e32 v64, v67
	v_mov_b32_e32 v65, v67
	v_mov_b32_e32 v58, v67
	v_mov_b32_e32 v59, v67
	v_mov_b32_e32 v60, v67
	v_mov_b32_e32 v61, v67
	v_mov_b32_e32 v54, v67
	s_waitcnt vmcnt(1)
	v_perm_b32 v35, v8, v16, s58
	s_waitcnt vmcnt(0)
	v_perm_b32 v36, v12, v20, s58
	v_perm_b32 v8, v8, v16, s59
	v_perm_b32 v12, v12, v20, s59
	v_perm_b32 v16, v9, v17, s58
	v_perm_b32 v20, v13, v21, s58
	v_perm_b32 v9, v9, v17, s59
	v_perm_b32 v13, v13, v21, s59
	v_perm_b32 v17, v10, v18, s58
	v_perm_b32 v21, v14, v22, s58
	v_perm_b32 v10, v10, v18, s59
	v_perm_b32 v14, v14, v22, s59
	v_perm_b32 v18, v11, v19, s58
	v_perm_b32 v22, v15, v23, s58
	v_perm_b32 v11, v11, v19, s59
	v_perm_b32 v15, v15, v23, s59
	ds_write2st64_b32 v5, v35, v36 offset0:128 offset1:160
	ds_write2st64_b32 v7, v8, v12 offset0:128 offset1:160
	;; [unrolled: 1-line block ×8, first 2 shown]
	v_lshlrev_b32_e32 v5, 8, v26
	v_or_b32_e32 v92, v5, v28
	v_or_b32_e32 v93, v5, v29
	;; [unrolled: 1-line block ×3, first 2 shown]
	v_lshl_or_b32 v7, v5, 3, v6
	v_lshlrev_b32_e32 v5, 8, v5
	v_or_b32_e32 v96, v5, v28
	v_or_b32_e32 v97, v5, v29
	v_or_b32_e32 v5, 48, v76
	v_or_b32_e32 v94, 0x4000, v7
	v_or_b32_e32 v95, 0x6000, v7
	v_lshl_or_b32 v7, v5, 3, v6
	v_lshlrev_b32_e32 v5, 8, v5
	v_or_b32_e32 v100, v5, v28
	v_or_b32_e32 v101, v5, v29
	;; [unrolled: 1-line block ×3, first 2 shown]
	v_lshlrev_b32_e32 v5, 3, v5
	v_lshrrev_b32_e32 v9, 5, v74
	v_and_or_b32 v9, v5, s3, v9
	v_lshlrev_b32_e32 v9, 4, v9
	v_or_b32_e32 v98, 0x4000, v7
	v_or_b32_e32 v99, 0x6000, v7
	v_lshlrev_b32_e32 v7, 11, v72
	v_and_b32_e32 v5, 0x78, v5
	v_or_b32_e32 v14, 32, v9
	v_and_b32_e32 v8, 0x1000, v7
	v_xor_b32_e32 v10, v9, v5
	v_lshrrev_b32_e32 v11, 1, v0
	v_xor_b32_e32 v14, v14, v5
	v_or_b32_e32 v10, v10, v8
	v_and_b32_e32 v12, 8, v11
	v_or_b32_e32 v14, v14, v8
	v_xor_b32_e32 v102, v10, v12
	v_lshlrev_b32_e32 v10, 8, v75
	v_xor_b32_e32 v104, v14, v12
	v_or_b32_e32 v14, 64, v9
	v_or_b32_e32 v9, 0x60, v9
	;; [unrolled: 1-line block ×3, first 2 shown]
	v_xor_b32_e32 v14, v14, v5
	v_xor_b32_e32 v5, v9, v5
	s_ashr_i32 s3, s2, 31
	v_lshlrev_b32_e32 v13, 1, v13
	v_or_b32_e32 v14, v14, v8
	v_or_b32_e32 v5, v5, v8
	s_lshl_b64 s[20:21], s[2:3], 8
	v_or_b32_e32 v103, 0x4000, v13
	v_or_b32_e32 v105, 0x4080, v13
	;; [unrolled: 1-line block ×4, first 2 shown]
	v_xor_b32_e32 v108, v14, v12
	v_xor_b32_e32 v109, v5, v12
	v_or_b32_e32 v110, 0x6000, v13
	v_or_b32_e32 v111, 0x6080, v13
	;; [unrolled: 1-line block ×4, first 2 shown]
	v_lshlrev_b32_e32 v12, 1, v4
	v_add_lshl_u32 v13, v4, s15, 1
	s_waitcnt lgkmcnt(0)
	s_add_u32 s20, s36, s20
	v_lshlrev_b32_e32 v4, 1, v76
	v_lshrrev_b32_e32 v15, 4, v0
	s_addc_u32 s21, s37, s21
	v_or_b32_e32 v5, 1, v4
	v_mov_b32_e32 v19, 0xa000
	v_mov_b32_e32 v20, 0x8000
	v_xor_b32_e32 v16, v15, v4
	v_xor_b32_e32 v17, v5, v15
	v_lshl_add_u64 v[4:5], s[20:21], 0, v[66:67]
	v_lshlrev_b32_e32 v66, 8, v15
	v_cndmask_b32_e32 v19, v19, v20, vcc
	v_lshlrev_b32_e32 v20, 3, v72
	v_and_b32_e32 v11, 24, v11
	v_lshl_or_b32 v114, v16, 3, v66
	v_and_b32_e32 v16, 8, v0
	v_xor_b32_e32 v21, v20, v11
	v_or_b32_e32 v22, 0x440, v21
	v_cmp_eq_u32_e32 vcc, 0, v16
	v_and_b32_e32 v15, 7, v0
	v_lshl_or_b32 v115, v17, 3, v66
	v_cndmask_b32_e32 v16, v22, v21, vcc
	v_lshlrev_b32_e32 v17, 3, v15
	v_lshlrev_b32_e32 v15, 7, v15
	v_or_b32_e32 v16, v16, v7
	v_lshlrev_b32_e32 v18, 2, v0
	v_xad_u32 v116, v16, v17, v15
	v_or_b32_e32 v16, 32, v11
	v_and_or_b32 v10, v18, 60, v10
	v_xor_b32_e32 v16, v20, v16
	v_lshlrev_b32_e32 v10, 1, v10
	v_or_b32_e32 v18, 0x440, v16
	v_or_b32_e32 v117, 0x6000, v10
	v_cndmask_b32_e32 v16, v18, v16, vcc
	v_or_b32_e32 v119, 0x6080, v10
	v_or_b32_e32 v120, 0x6100, v10
	v_or_b32_e32 v121, 0x6180, v10
	v_or_b32_e32 v10, 64, v11
	v_or_b32_e32 v16, v16, v7
	v_xor_b32_e32 v10, v20, v10
	v_xad_u32 v118, v16, v17, v15
	v_xor_b32_e32 v16, 0x440, v10
	v_cndmask_b32_e32 v10, v16, v10, vcc
	v_or_b32_e32 v10, v10, v7
	v_xad_u32 v122, v10, v17, v15
	v_or_b32_e32 v10, 0x60, v11
	v_xor_b32_e32 v10, v20, v10
	v_xor_b32_e32 v11, 0x440, v10
	v_cndmask_b32_e32 v10, v11, v10, vcc
	v_or_b32_e32 v8, s2, v76
	v_or_b32_e32 v7, v10, v7
	v_ashrrev_i32_e32 v9, 31, v8
	v_or_b32_e32 v14, 0x100, v3
	v_xad_u32 v123, v7, v17, v15
	v_cndmask_b32_e64 v124, v12, v3, s[0:1]
	v_cndmask_b32_e64 v125, v13, v14, s[0:1]
	v_lshl_add_u64 v[68:69], v[8:9], 1, s[8:9]
	v_lshl_add_u64 v[70:71], v[4:5], 0, v[66:67]
	s_mov_b32 s3, 0x7060302
	v_lshlrev_b32_e32 v66, 1, v6
	v_add_u32_e32 v127, v19, v116
	v_add_u32_e32 v128, v19, v118
	;; [unrolled: 1-line block ×4, first 2 shown]
	v_mov_b32_e32 v55, v67
	v_mov_b32_e32 v56, v67
	;; [unrolled: 1-line block ×23, first 2 shown]
	s_barrier
	s_branch .LBB110_7
.LBB110_6:                              ;   in Loop: Header=BB110_7 Depth=1
	s_waitcnt vmcnt(6)
	v_mul_f32_e32 v22, s20, v131
	v_exp_f32_e32 v132, v22
	v_accvgpr_read_b32 v5, a3
	v_accvgpr_read_b32 v9, a7
	v_accvgpr_read_b32 v13, a11
	v_accvgpr_read_b32 v17, a15
	s_waitcnt vmcnt(4)
	v_accvgpr_read_b32 v18, a20
	v_accvgpr_read_b32 v25, a19
	;; [unrolled: 1-line block ×28, first 2 shown]
	s_add_i32 s57, s57, 64
	v_pk_fma_f32 v[62:63], v[132:133], v[62:63], v[2:3] op_sel_hi:[0,1,1]
	v_pk_fma_f32 v[64:65], v[132:133], v[64:65], v[4:5] op_sel_hi:[0,1,1]
	;; [unrolled: 1-line block ×16, first 2 shown]
	s_cmp_eq_u32 s48, s63
	s_mov_b32 s64, s63
	s_cbranch_scc1 .LBB110_17
.LBB110_7:                              ; =>This Inner Loop Header: Depth=1
	s_add_i32 s63, s64, 1
	s_cmp_lt_i32 s63, s48
	s_mov_b64 s[24:25], 0
	s_cselect_b64 s[42:43], -1, 0
	s_cmp_ge_i32 s63, s48
	s_mov_b64 s[20:21], 0
	s_cbranch_scc1 .LBB110_9
; %bb.8:                                ;   in Loop: Header=BB110_7 Depth=1
	s_add_i32 s0, s57, 64
	s_add_u32 s0, s38, s0
	s_addc_u32 s1, s39, 0
	s_lshl_b64 s[0:1], s[0:1], 8
	s_add_u32 s20, s6, s0
	s_addc_u32 s21, s7, s1
.LBB110_9:                              ;   in Loop: Header=BB110_7 Depth=1
	v_cndmask_b32_e64 v2, 0, 1, s[42:43]
	v_cmp_ne_u32_e64 s[0:1], 1, v2
	s_andn2_b64 vcc, exec, s[42:43]
	s_cbranch_vccnz .LBB110_11
; %bb.10:                               ;   in Loop: Header=BB110_7 Depth=1
	s_add_i32 s24, s57, 64
	s_add_u32 s24, s60, s24
	s_addc_u32 s25, s61, 0
	s_mul_i32 s27, s24, s49
	s_mul_hi_u32 s42, s24, s53
	s_add_i32 s27, s42, s27
	s_mul_i32 s25, s25, s53
	s_add_i32 s27, s27, s25
	s_mul_i32 s24, s24, s53
	s_add_u32 s24, s24, s52
	s_addc_u32 s25, s27, s55
	s_lshl_b64 s[24:25], s[24:25], 8
	s_add_u32 s24, s4, s24
	s_addc_u32 s25, s5, s25
.LBB110_11:                             ;   in Loop: Header=BB110_7 Depth=1
	v_perm_b32 v3, v65, v64, s3
	v_perm_b32 v2, v63, v62, s3
	v_perm_b32 v5, v61, v60, s3
	v_perm_b32 v4, v59, v58, s3
	ds_write_b64 v86, v[2:3]
	ds_write_b64 v87, v[4:5]
	ds_write_b64 v89, v[2:3]
	ds_write_b64 v90, v[4:5]
	v_perm_b32 v3, v57, v56, s3
	v_perm_b32 v2, v55, v54, s3
	v_perm_b32 v5, v53, v52, s3
	v_perm_b32 v4, v51, v50, s3
	ds_write_b64 v88, v[2:3]
	ds_write_b64 v91, v[4:5]
	ds_write_b64 v92, v[2:3]
	ds_write_b64 v93, v[4:5]
	;; [unrolled: 8-line block ×4, first 2 shown]
	s_waitcnt lgkmcnt(0)
	s_barrier
	ds_read_b64 v[6:7], v102 offset:49152
	ds_read2_b64 v[2:5], v103 offset1:16
	ds_read_b64 v[18:19], v105 offset:6144
	ds_read_b64 v[20:21], v103 offset:6144
	s_waitcnt lgkmcnt(2)
	v_mfma_f32_16x16x16_bf16 a[0:3], v[6:7], v[2:3], 0
	ds_read_b64 v[22:23], v104 offset:49152
	ds_read2st64_b64 v[10:13], v106 offset0:4 offset1:8
	ds_read2st64_b64 v[14:17], v107 offset0:4 offset1:8
	v_mfma_f32_16x16x16_bf16 a[4:7], v[6:7], v[4:5], 0
	ds_read2_b64 v[2:5], v103 offset0:32 offset1:48
	s_add_i32 s27, s57, 63
	s_mul_i32 s42, s27, s31
	s_waitcnt lgkmcnt(0)
	v_mfma_f32_16x16x16_bf16 a[8:11], v[6:7], v[2:3], 0
	s_mul_hi_u32 s43, s27, s30
	s_add_i32 s43, s43, s42
	s_mul_i32 s42, s27, s30
	v_mfma_f32_16x16x16_bf16 a[12:15], v[6:7], v[4:5], 0
	ds_read2st64_b64 v[2:5], v103 offset0:4 offset1:8
	ds_read2st64_b64 v[6:9], v105 offset0:4 offset1:8
	s_lshl_b64 s[42:43], s[42:43], 2
	s_waitcnt lgkmcnt(1)
	v_mfma_f32_16x16x16_bf16 a[0:3], v[22:23], v[2:3], a[0:3]
	s_add_u32 s42, s40, s42
	s_addc_u32 s43, s41, s43
	s_and_b64 vcc, exec, s[0:1]
	s_waitcnt lgkmcnt(0)
	v_mfma_f32_16x16x16_bf16 a[4:7], v[22:23], v[6:7], a[4:7]
	v_mov_b32_e32 v134, 0
	v_mov_b32_e32 v133, 0
	;; [unrolled: 1-line block ×3, first 2 shown]
	v_mfma_f32_16x16x16_bf16 a[8:11], v[22:23], v[10:11], a[8:11]
	ds_read_b64 v[2:3], v108 offset:49152
	ds_read_b64 v[6:7], v109 offset:49152
	;; [unrolled: 1-line block ×3, first 2 shown]
	v_mfma_f32_16x16x16_bf16 a[12:15], v[22:23], v[14:15], a[12:15]
	v_mov_b32_e32 v14, 0
	v_mov_b32_e32 v15, 0
	s_waitcnt lgkmcnt(2)
	v_mfma_f32_16x16x16_bf16 a[0:3], v[2:3], v[4:5], a[0:3]
	v_mov_b32_e32 v4, 0
	v_mov_b32_e32 v5, 0
	v_mfma_f32_16x16x16_bf16 a[16:19], v[2:3], v[8:9], a[4:7]
	v_mov_b32_e32 v8, 0
	v_mov_b32_e32 v9, 0
	;; [unrolled: 3-line block ×3, first 2 shown]
	v_mfma_f32_16x16x16_bf16 a[24:27], v[2:3], v[16:17], a[12:15]
	ds_read_b64 v[2:3], v106 offset:6144
	v_mov_b32_e32 v16, 0
	v_mov_b32_e32 v17, 0
	s_waitcnt lgkmcnt(2)
	v_mfma_f32_16x16x16_bf16 a[4:7], v[6:7], v[20:21], a[0:3]
	v_mfma_f32_16x16x16_bf16 a[8:11], v[6:7], v[18:19], a[16:19]
	s_waitcnt lgkmcnt(0)
	v_mfma_f32_16x16x16_bf16 a[12:15], v[6:7], v[2:3], a[20:23]
	v_mov_b32_e32 v2, 0
	v_mov_b32_e32 v3, 0
	v_mfma_f32_16x16x16_bf16 a[0:3], v[6:7], v[10:11], a[24:27]
	v_mov_b32_e32 v6, 0
	v_mov_b32_e32 v7, 0
	;; [unrolled: 1-line block ×4, first 2 shown]
	s_cbranch_vccnz .LBB110_13
; %bb.12:                               ;   in Loop: Header=BB110_7 Depth=1
	s_and_b32 s21, s21, 0xffff
	buffer_load_dwordx4 v[14:17], v82, s[20:23], 0 offen
	buffer_load_dwordx4 v[10:13], v82, s[20:23], s56 offen
	;; [unrolled: 1-line block ×4, first 2 shown]
	v_mov_b32_e32 v133, v84
	v_mov_b32_e32 v132, v85
.LBB110_13:                             ;   in Loop: Header=BB110_7 Depth=1
	ds_read_b64 v[136:137], v102 offset:57344
	ds_read2_b64 v[18:21], v110 offset1:16
	ds_read_b64 v[138:139], v104 offset:57344
	ds_read_b64 v[140:141], v108 offset:57344
	ds_read_b64 v[142:143], v109 offset:57344
	v_add_u32_e32 v135, s57, v126
	s_waitcnt lgkmcnt(3)
	v_mfma_f32_16x16x16_bf16 a[4:7], v[136:137], v[18:19], a[4:7]
	v_mfma_f32_16x16x16_bf16 a[8:11], v[136:137], v[20:21], a[8:11]
	ds_read2_b64 v[18:21], v110 offset0:32 offset1:48
	ds_read2st64_b64 v[22:25], v110 offset0:4 offset1:8
	ds_read2st64_b64 v[26:29], v111 offset0:4 offset1:8
	;; [unrolled: 1-line block ×3, first 2 shown]
	s_waitcnt lgkmcnt(3)
	v_mfma_f32_16x16x16_bf16 a[12:15], v[136:137], v[18:19], a[12:15]
	v_ashrrev_i32_e32 v18, 31, v135
	v_mfma_f32_16x16x16_bf16 a[0:3], v[136:137], v[20:21], a[0:3]
	v_mul_lo_u32 v20, v18, s30
	v_mul_lo_u32 v21, v135, s31
	v_mad_u64_u32 v[18:19], s[20:21], v135, s30, 0
	v_add3_u32 v19, v19, v21, v20
	v_add_u32_e32 v20, 1, v135
	v_ashrrev_i32_e32 v21, 31, v20
	s_waitcnt lgkmcnt(2)
	v_mfma_f32_16x16x16_bf16 a[4:7], v[138:139], v[22:23], a[4:7]
	v_mul_lo_u32 v22, v21, s30
	v_mul_lo_u32 v23, v20, s31
	v_mad_u64_u32 v[20:21], s[20:21], v20, s30, 0
	v_add3_u32 v21, v21, v23, v22
	v_add_u32_e32 v22, 2, v135
	v_ashrrev_i32_e32 v23, 31, v22
	s_waitcnt lgkmcnt(1)
	v_mfma_f32_16x16x16_bf16 a[8:11], v[138:139], v[26:27], a[8:11]
	v_mul_lo_u32 v26, v23, s30
	v_mul_lo_u32 v27, v22, s31
	v_mad_u64_u32 v[22:23], s[20:21], v22, s30, 0
	v_lshl_add_u64 v[18:19], v[18:19], 2, s[40:41]
	v_add3_u32 v23, v23, v27, v26
	v_add_u32_e32 v26, 3, v135
	v_ashrrev_i32_e32 v27, 31, v26
	global_load_dword v136, v[18:19], off
	v_mad_u64_u32 v[18:19], s[20:21], v26, s30, 0
	v_mul_lo_u32 v27, v27, s30
	v_mul_lo_u32 v135, v26, s31
	s_add_u32 s20, s38, s57
	v_add3_u32 v19, v19, v135, v27
	s_addc_u32 s21, s39, 0
	v_lshl_add_u64 v[20:21], v[20:21], 2, s[40:41]
	v_lshl_add_u64 v[22:23], v[22:23], 2, s[40:41]
	;; [unrolled: 1-line block ×3, first 2 shown]
	s_lshl_b64 s[20:21], s[20:21], 8
	global_load_dword v135, v[20:21], off
	global_load_dword v137, v[22:23], off
	;; [unrolled: 1-line block ×3, first 2 shown]
	v_lshl_add_u64 v[18:19], v[68:69], 0, s[20:21]
	v_lshl_add_u64 v[22:23], v[18:19], 0, v[66:67]
	global_load_ushort v145, v[22:23], off offset:256
	global_load_ushort v146, v[22:23], off
	ds_read2st64_b64 v[18:21], v113 offset0:4 offset1:8
	global_load_ushort v147, v[22:23], off offset:768
	global_load_ushort v148, v[22:23], off offset:512
	s_waitcnt lgkmcnt(1)
	v_mfma_f32_16x16x16_bf16 a[12:15], v[138:139], v[30:31], a[12:15]
	s_and_b64 vcc, exec, s[0:1]
	s_waitcnt vmcnt(3)
	v_lshlrev_b32_e32 v31, 16, v145
	s_waitcnt lgkmcnt(0)
	v_mfma_f32_16x16x16_bf16 a[0:3], v[138:139], v[18:19], a[0:3]
	global_load_ushort v138, v[22:23], off offset:288
	global_load_ushort v139, v[22:23], off offset:32
	;; [unrolled: 1-line block ×8, first 2 shown]
	v_mfma_f32_16x16x16_bf16 a[4:7], v[140:141], v[24:25], a[4:7]
	ds_read_b64 v[18:19], v110 offset:6144
	s_waitcnt vmcnt(10)
	v_lshlrev_b32_e32 v30, 16, v146
	v_mfma_f32_16x16x16_bf16 a[8:11], v[140:141], v[28:29], a[8:11]
	v_mfma_f32_16x16x16_bf16 a[12:15], v[140:141], v[32:33], a[12:15]
	v_mfma_f32_16x16x16_bf16 a[0:3], v[140:141], v[20:21], a[0:3]
	global_load_ushort v140, v[22:23], off offset:352
	global_load_ushort v141, v[22:23], off offset:96
	ds_read_b64 v[20:21], v111 offset:6144
	ds_read_b64 v[24:25], v112 offset:6144
	ds_read_b64 v[26:27], v113 offset:6144
	global_load_ushort v155, v[22:23], off offset:864
	global_load_ushort v156, v[22:23], off offset:608
	s_load_dword s20, s[42:43], 0x0
	s_waitcnt lgkmcnt(0)
	v_mfma_f32_16x16x16_bf16 a[4:7], v[142:143], v[18:19], a[4:7]
	v_sub_f32_e32 v28, s20, v137
	v_mfma_f32_16x16x16_bf16 a[0:3], v[142:143], v[26:27], a[0:3]
	v_sub_f32_e32 v26, s20, v136
	v_sub_f32_e32 v27, s20, v135
	v_sub_f32_e32 v29, s20, v144
	v_mul_f32_e32 v26, 0x3fb8aa3b, v26
	v_mul_f32_e32 v27, 0x3fb8aa3b, v27
	;; [unrolled: 1-line block ×4, first 2 shown]
	v_mfma_f32_16x16x16_bf16 a[8:11], v[142:143], v[20:21], a[8:11]
	v_exp_f32_e32 v26, v26
	v_exp_f32_e32 v27, v27
	v_exp_f32_e32 v28, v28
	v_exp_f32_e32 v29, v29
	v_accvgpr_read_b32 v33, a5
	v_accvgpr_read_b32 v32, a4
	;; [unrolled: 1-line block ×4, first 2 shown]
	v_pk_add_f32 v[30:31], v[30:31], v[32:33] neg_lo:[0,1] neg_hi:[0,1]
	s_waitcnt vmcnt(13)
	v_lshlrev_b32_e32 v33, 16, v147
	s_waitcnt vmcnt(12)
	v_lshlrev_b32_e32 v32, 16, v148
	v_pk_add_f32 v[18:19], v[32:33], v[18:19] neg_lo:[0,1] neg_hi:[0,1]
	v_pk_mul_f32 v[30:31], v[26:27], v[30:31]
	v_pk_mul_f32 v[18:19], v[28:29], v[18:19]
	v_accvgpr_read_b32 v33, a9
	v_perm_b32 v19, v19, v18, s3
	v_perm_b32 v18, v31, v30, s3
	v_accvgpr_read_b32 v32, a8
	v_accvgpr_read_b32 v21, a11
	v_mfma_f32_16x16x16_bf16 a[12:15], v[142:143], v[24:25], a[12:15]
	v_accvgpr_read_b32 v20, a10
	v_accvgpr_read_b32 v25, a3
	;; [unrolled: 1-line block ×3, first 2 shown]
	v_mov_b32_e32 v135, 0
	s_waitcnt vmcnt(11)
	v_lshlrev_b32_e32 v31, 16, v138
	s_waitcnt vmcnt(10)
	v_lshlrev_b32_e32 v30, 16, v139
	v_pk_add_f32 v[30:31], v[30:31], v[32:33] neg_lo:[0,1] neg_hi:[0,1]
	s_waitcnt vmcnt(9)
	v_lshlrev_b32_e32 v33, 16, v149
	s_waitcnt vmcnt(8)
	v_lshlrev_b32_e32 v32, 16, v150
	v_pk_add_f32 v[20:21], v[32:33], v[20:21] neg_lo:[0,1] neg_hi:[0,1]
	v_pk_mul_f32 v[30:31], v[26:27], v[30:31]
	v_pk_mul_f32 v[20:21], v[28:29], v[20:21]
	v_accvgpr_read_b32 v23, a15
	v_perm_b32 v21, v21, v20, s3
	v_perm_b32 v20, v31, v30, s3
	ds_write2_b64 v87, v[18:19], v[20:21] offset1:16
	v_accvgpr_read_b32 v21, a13
	s_waitcnt vmcnt(7)
	v_lshlrev_b32_e32 v19, 16, v151
	s_waitcnt vmcnt(6)
	v_lshlrev_b32_e32 v18, 16, v152
	v_accvgpr_read_b32 v20, a12
	v_accvgpr_read_b32 v22, a14
	v_pk_add_f32 v[18:19], v[18:19], v[20:21] neg_lo:[0,1] neg_hi:[0,1]
	s_waitcnt vmcnt(5)
	v_lshlrev_b32_e32 v21, 16, v153
	s_waitcnt vmcnt(4)
	v_lshlrev_b32_e32 v20, 16, v154
	v_pk_add_f32 v[20:21], v[20:21], v[22:23] neg_lo:[0,1] neg_hi:[0,1]
	v_pk_mul_f32 v[18:19], v[26:27], v[18:19]
	v_pk_mul_f32 v[20:21], v[28:29], v[20:21]
	v_accvgpr_read_b32 v23, a1
	v_perm_b32 v21, v21, v20, s3
	v_perm_b32 v20, v19, v18, s3
	s_waitcnt vmcnt(3)
	v_lshlrev_b32_e32 v19, 16, v140
	s_waitcnt vmcnt(2)
	v_lshlrev_b32_e32 v18, 16, v141
	v_accvgpr_read_b32 v22, a0
	v_pk_add_f32 v[18:19], v[18:19], v[22:23] neg_lo:[0,1] neg_hi:[0,1]
	s_waitcnt vmcnt(1)
	v_lshlrev_b32_e32 v23, 16, v155
	s_waitcnt vmcnt(0)
	v_lshlrev_b32_e32 v22, 16, v156
	v_pk_add_f32 v[22:23], v[22:23], v[24:25] neg_lo:[0,1] neg_hi:[0,1]
	v_pk_mul_f32 v[18:19], v[26:27], v[18:19]
	v_pk_mul_f32 v[22:23], v[28:29], v[22:23]
	v_mov_b32_e32 v24, 0
	v_perm_b32 v23, v23, v22, s3
	v_perm_b32 v22, v19, v18, s3
	ds_write2_b64 v87, v[20:21], v[22:23] offset0:32 offset1:48
	v_mov_b32_e32 v18, 0
	v_mov_b32_e32 v19, 0
	;; [unrolled: 1-line block ×15, first 2 shown]
	s_cbranch_vccnz .LBB110_15
; %bb.14:                               ;   in Loop: Header=BB110_7 Depth=1
	s_and_b32 s25, s25, 0xffff
	s_mov_b32 s27, s23
	buffer_load_dwordx4 v[30:33], v124, s[24:27], 0 offen
	buffer_load_dwordx4 v[22:25], v124, s[24:27], s56 offen
	;; [unrolled: 1-line block ×4, first 2 shown]
	v_mov_b32_e32 v134, v81
	v_mov_b32_e32 v135, v80
.LBB110_15:                             ;   in Loop: Header=BB110_7 Depth=1
	s_waitcnt lgkmcnt(0)
	s_barrier
	ds_read_b64 v[144:145], v127
	ds_read2_b64 v[136:139], v117 offset1:16
	ds_read_b64 v[160:161], v128
	ds_read_b64 v[162:163], v129
	;; [unrolled: 1-line block ×3, first 2 shown]
	ds_read2_b64 v[140:143], v117 offset0:32 offset1:48
	s_waitcnt lgkmcnt(4)
	v_mfma_f32_16x16x16_bf16 a[0:3], v[144:145], v[136:137], 0
	ds_read2st64_b64 v[148:151], v119 offset0:4 offset1:8
	ds_read2st64_b64 v[152:155], v120 offset0:4 offset1:8
	;; [unrolled: 1-line block ×3, first 2 shown]
	v_mfma_f32_16x16x16_bf16 a[4:7], v[144:145], v[138:139], 0
	s_add_i32 s21, s50, s64
	s_mul_hi_i32 s25, s21, s13
	s_mul_i32 s21, s21, s13
	s_waitcnt lgkmcnt(3)
	v_mfma_f32_16x16x16_bf16 a[8:11], v[144:145], v[140:141], 0
	s_add_u32 s24, s21, s33
	s_addc_u32 s25, s25, s54
	s_lshl_b64 s[24:25], s[24:25], 15
	v_mfma_f32_16x16x16_bf16 a[12:15], v[144:145], v[142:143], 0
	ds_read2st64_b64 v[144:147], v117 offset0:4 offset1:8
	s_waitcnt lgkmcnt(0)
	v_mfma_f32_16x16x16_bf16 a[0:3], v[160:161], v[144:145], a[0:3]
	v_mfma_f32_16x16x16_bf16 a[4:7], v[160:161], v[148:149], a[4:7]
	;; [unrolled: 1-line block ×8, first 2 shown]
	ds_read_b64 v[160:161], v117 offset:6144
	ds_read_b64 v[162:163], v118 offset:40960
	;; [unrolled: 1-line block ×8, first 2 shown]
	s_waitcnt lgkmcnt(5)
	v_mfma_f32_16x16x16_bf16 a[16:19], v[166:167], v[136:137], 0
	v_mfma_f32_16x16x16_bf16 a[20:23], v[166:167], v[138:139], 0
	ds_read2st64_b64 v[136:139], v114 offset1:8
	v_mfma_f32_16x16x16_bf16 a[24:27], v[166:167], v[140:141], 0
	v_mfma_f32_16x16x16_bf16 a[28:31], v[166:167], v[142:143], 0
	ds_read2st64_b64 v[140:143], v115 offset1:8
	v_mfma_f32_16x16x16_bf16 a[16:19], v[162:163], v[144:145], a[16:19]
	s_waitcnt lgkmcnt(1)
	v_mov_b32_e32 v144, v136
	v_mov_b32_e32 v145, v137
	v_mfma_f32_16x16x16_bf16 a[20:23], v[162:163], v[148:149], a[20:23]
	v_lshl_add_u64 v[148:149], v[70:71], 0, s[24:25]
	v_mfma_f32_16x16x16_bf16 a[24:27], v[162:163], v[152:153], a[24:27]
	v_mfma_f32_16x16x16_bf16 a[28:31], v[162:163], v[156:157], a[28:31]
	;; [unrolled: 1-line block ×3, first 2 shown]
	s_waitcnt lgkmcnt(0)
	v_mov_b32_e32 v146, v140
	v_mov_b32_e32 v147, v141
	;; [unrolled: 1-line block ×3, first 2 shown]
	v_mfma_f32_16x16x16_bf16 a[32:35], v[174:175], v[150:151], a[20:23]
	v_mov_b32_e32 v141, v139
	ds_read2st64_b64 v[136:139], v114 offset0:16 offset1:24
	global_store_dwordx4 v[148:149], v[144:147], off
	v_mfma_f32_16x16x16_bf16 a[24:27], v[174:175], v[154:155], a[24:27]
	ds_read2st64_b64 v[144:147], v115 offset0:16 offset1:24
	v_add_co_u32_e32 v150, vcc, s35, v148
	v_mfma_f32_16x16x16_bf16 a[28:31], v[174:175], v[158:159], a[28:31]
	s_nop 0
	v_addc_co_u32_e32 v151, vcc, 0, v149, vcc
	global_store_dwordx4 v[150:151], v[140:143], off offset:-4096
	v_mfma_f32_16x16x16_bf16 a[0:3], v[164:165], v[160:161], a[0:3]
	s_waitcnt lgkmcnt(1)
	v_mov_b32_e32 v140, v136
	v_add_co_u32_e32 v136, vcc, s62, v148
	v_mfma_f32_16x16x16_bf16 a[4:7], v[164:165], v[168:169], a[4:7]
	v_mov_b32_e32 v141, v137
	v_addc_co_u32_e32 v137, vcc, 0, v149, vcc
	v_mfma_f32_16x16x16_bf16 a[8:11], v[164:165], v[170:171], a[8:11]
	s_waitcnt lgkmcnt(0)
	v_mov_b32_e32 v142, v144
	v_mov_b32_e32 v143, v145
	;; [unrolled: 1-line block ×3, first 2 shown]
	v_mfma_f32_16x16x16_bf16 a[12:15], v[164:165], v[172:173], a[12:15]
	v_mov_b32_e32 v145, v139
	s_and_b64 vcc, exec, s[0:1]
	global_store_dwordx4 v[150:151], v[140:143], off
	v_mfma_f32_16x16x16_bf16 a[20:23], v[176:177], v[160:161], a[16:19]
	global_store_dwordx4 v[136:137], v[144:147], off
	v_mfma_f32_16x16x16_bf16 a[16:19], v[176:177], v[168:169], a[32:35]
	v_mfma_f32_16x16x16_bf16 a[24:27], v[176:177], v[170:171], a[24:27]
	;; [unrolled: 1-line block ×3, first 2 shown]
	s_cbranch_vccnz .LBB110_6
; %bb.16:                               ;   in Loop: Header=BB110_7 Depth=1
	v_lshrrev_b32_e32 v136, 3, v134
	v_and_b32_e32 v136, 6, v136
	v_xor_b32_e32 v135, v136, v135
	v_lshlrev_b32_e32 v135, 2, v135
	v_and_b32_e32 v134, 8, v134
	v_xor_b32_e32 v137, 0x440, v135
	v_cmp_eq_u32_e32 vcc, 0, v134
	s_barrier
	s_nop 0
	v_cndmask_b32_e32 v134, v137, v135, vcc
	v_lshl_or_b32 v134, v136, 10, v134
	s_waitcnt vmcnt(5)
	v_perm_b32 v135, v30, v26, s58
	s_waitcnt vmcnt(4)
	v_perm_b32 v136, v22, v18, s58
	ds_write2st64_b32 v134, v135, v136 offset0:128 offset1:160
	v_xor_b32_e32 v135, 8, v134
	v_perm_b32 v26, v30, v26, s59
	v_perm_b32 v18, v22, v18, s59
	v_add_u32_e32 v22, 0x80, v135
	ds_write2st64_b32 v22, v26, v18 offset0:128 offset1:160
	v_xor_b32_e32 v18, 16, v134
	v_perm_b32 v22, v31, v27, s58
	v_perm_b32 v26, v23, v19, s58
	ds_write2st64_b32 v18, v22, v26 offset0:129 offset1:161
	v_xor_b32_e32 v18, 24, v134
	v_perm_b32 v22, v31, v27, s59
	v_perm_b32 v19, v23, v19, s59
	v_add_u32_e32 v18, 0x80, v18
	ds_write2st64_b32 v18, v22, v19 offset0:129 offset1:161
	v_xor_b32_e32 v18, 32, v134
	v_perm_b32 v19, v32, v28, s58
	v_perm_b32 v22, v24, v20, s58
	ds_write2st64_b32 v18, v19, v22 offset0:130 offset1:162
	v_xor_b32_e32 v18, 40, v134
	v_perm_b32 v19, v32, v28, s59
	v_perm_b32 v20, v24, v20, s59
	v_add_u32_e32 v18, 0x80, v18
	ds_write2st64_b32 v18, v19, v20 offset0:130 offset1:162
	v_xor_b32_e32 v18, 48, v134
	v_perm_b32 v19, v33, v29, s58
	v_perm_b32 v20, v25, v21, s58
	ds_write2st64_b32 v18, v19, v20 offset0:131 offset1:163
	v_xor_b32_e32 v18, 56, v134
	v_perm_b32 v19, v33, v29, s59
	v_perm_b32 v20, v25, v21, s59
	v_add_u32_e32 v18, 0x80, v18
	ds_write2st64_b32 v18, v19, v20 offset0:131 offset1:163
	ds_write_b64 v133, v[14:15] offset:49152
	v_xor_b32_e32 v14, 8, v133
	ds_write_b64 v14, v[16:17] offset:49152
	ds_write_b64 v133, v[10:11] offset:57344
	;; [unrolled: 1-line block ×4, first 2 shown]
	v_xor_b32_e32 v6, 8, v132
	ds_write_b64 v6, v[8:9] offset:49152
	ds_write_b64 v132, v[2:3] offset:57344
	ds_write_b64 v6, v[4:5] offset:57344
	s_branch .LBB110_6
.LBB110_17:
	s_lshl_b32 s42, s48, 6
	s_sub_i32 s43, s12, s42
	s_cmp_gt_i32 s43, 0
	v_or_b32_e32 v18, s2, v76
	s_cbranch_scc1 .LBB110_19
; %bb.18:
	s_ashr_i32 s0, s33, 31
	s_add_u32 s24, s45, s33
	s_addc_u32 s25, s51, s0
	v_or_b32_e32 v2, s2, v76
	s_cbranch_execz .LBB110_20
	s_branch .LBB110_100
.LBB110_19:
                                        ; implicit-def: $sgpr24_sgpr25
                                        ; implicit-def: $vgpr2
.LBB110_20:
	s_ashr_i32 s35, s47, 31
	s_ashr_i32 s3, s42, 31
	s_cmpk_lg_i32 s15, 0x80
	s_cselect_b64 s[38:39], -1, 0
	s_and_b64 vcc, exec, s[38:39]
	s_cbranch_vccz .LBB110_22
; %bb.21:
	s_mul_i32 s1, s47, s12
	s_mul_hi_i32 s0, s47, s12
	s_add_u32 s1, s1, s42
	s_addc_u32 s0, s0, s3
	s_mul_i32 s20, s1, s49
	s_mul_hi_u32 s21, s1, s14
	s_add_i32 s20, s21, s20
	s_mul_i32 s0, s0, s14
	s_add_i32 s20, s20, s0
	s_mul_i32 s1, s1, s14
	s_ashr_i32 s0, s52, 31
	s_add_u32 s40, s1, s52
	s_addc_u32 s41, s20, s0
	s_cbranch_execz .LBB110_23
	s_branch .LBB110_24
.LBB110_22:
                                        ; implicit-def: $sgpr40_sgpr41
.LBB110_23:
	s_mul_hi_i32 s0, s47, s14
	s_mul_i32 s47, s47, s14
	s_ashr_i32 s1, s52, 31
	s_add_u32 s14, s47, s52
	s_addc_u32 s0, s0, s1
	s_mul_i32 s1, s14, s46
	s_mul_hi_u32 s20, s14, s12
	s_add_i32 s1, s20, s1
	s_mul_i32 s0, s0, s12
	s_add_i32 s1, s1, s0
	s_mul_i32 s14, s14, s12
	s_add_u32 s40, s14, s42
	s_addc_u32 s41, s1, s3
.LBB110_24:
	s_add_i32 s20, s50, s48
	s_ashr_i32 s14, s33, 31
	s_add_u32 s24, s45, s33
	s_addc_u32 s25, s51, s14
	s_mul_i32 s0, s24, s46
	s_mul_hi_u32 s1, s24, s12
	s_add_i32 s0, s1, s0
	s_mul_i32 s1, s25, s12
	s_add_i32 s1, s0, s1
	s_mul_i32 s0, s24, s12
	s_add_u32 s0, s0, s42
	v_lshlrev_b32_e32 v6, 6, v1
	v_lshlrev_b32_e32 v26, 2, v76
	s_addc_u32 s1, s1, s3
	s_mov_b32 s3, 0x7060302
	v_or_b32_e32 v9, v6, v26
	v_xor_b32_e32 v7, v1, v26
	v_perm_b32 v3, v65, v64, s3
	v_perm_b32 v2, v63, v62, s3
	;; [unrolled: 1-line block ×4, first 2 shown]
	v_lshlrev_b32_e32 v9, 1, v9
	v_xor_b32_e32 v8, v79, v26
	ds_write2st64_b64 v9, v[2:3], v[4:5] offset0:32 offset1:48
	v_lshlrev_b32_e32 v7, 1, v7
	v_lshlrev_b32_e32 v9, 8, v76
	v_or_b32_e32 v10, v7, v9
	v_lshlrev_b32_e32 v8, 1, v8
	ds_write_b64 v10, v[2:3]
	v_or_b32_e32 v2, v8, v9
	v_or_b32_e32 v9, 16, v76
	v_lshlrev_b32_e32 v25, 2, v9
	v_or_b32_e32 v10, v6, v25
	ds_write_b64 v2, v[4:5]
	v_perm_b32 v3, v57, v56, s3
	v_perm_b32 v2, v55, v54, s3
	;; [unrolled: 1-line block ×4, first 2 shown]
	v_lshlrev_b32_e32 v10, 1, v10
	v_lshlrev_b32_e32 v9, 8, v9
	ds_write2st64_b64 v10, v[2:3], v[4:5] offset0:32 offset1:48
	v_or_b32_e32 v10, v7, v9
	ds_write_b64 v10, v[2:3]
	v_or_b32_e32 v2, v8, v9
	v_or_b32_e32 v9, 32, v76
	v_lshlrev_b32_e32 v24, 2, v9
	v_or_b32_e32 v10, v6, v24
	ds_write_b64 v2, v[4:5]
	v_perm_b32 v3, v49, v48, s3
	v_perm_b32 v2, v47, v46, s3
	;; [unrolled: 1-line block ×4, first 2 shown]
	v_lshlrev_b32_e32 v10, 1, v10
	v_lshlrev_b32_e32 v9, 8, v9
	s_lshl_b64 s[26:27], s[0:1], 8
	ds_write2st64_b64 v10, v[2:3], v[4:5] offset0:32 offset1:48
	v_or_b32_e32 v10, v7, v9
	s_add_u32 s0, s6, s26
	ds_write_b64 v10, v[2:3]
	v_or_b32_e32 v2, v8, v9
	s_addc_u32 s1, s7, s27
	ds_write_b64 v2, v[4:5]
	v_perm_b32 v3, v41, v40, s3
	v_perm_b32 v2, v39, v38, s3
	;; [unrolled: 1-line block ×4, first 2 shown]
	v_or_b32_e32 v9, 48, v76
	s_mul_hi_i32 s3, s20, s13
	s_mul_i32 s20, s20, s13
	v_lshlrev_b32_e32 v21, 2, v9
	s_add_u32 s6, s20, s33
	v_or_b32_e32 v6, v6, v21
	s_addc_u32 s7, s3, s14
	v_lshlrev_b32_e32 v6, 1, v6
	s_ashr_i32 s3, s2, 31
	s_lshl_b64 s[6:7], s[6:7], 15
	ds_write2st64_b64 v6, v[2:3], v[4:5] offset0:32 offset1:48
	v_lshlrev_b32_e32 v6, 8, v9
	s_waitcnt lgkmcnt(0)
	s_add_u32 s6, s36, s6
	v_or_b32_e32 v7, v7, v6
	s_addc_u32 s7, s37, s7
	s_lshl_b64 s[2:3], s[2:3], 8
	ds_write_b64 v7, v[2:3]
	v_or_b32_e32 v2, v8, v6
	s_add_u32 s2, s6, s2
	v_lshlrev_b32_e32 v3, 1, v76
	ds_write_b64 v2, v[4:5]
	v_lshrrev_b32_e32 v2, 4, v0
	s_addc_u32 s3, s7, s3
	v_or_b32_e32 v4, 1, v3
	v_lshlrev_b32_e32 v10, 4, v76
	v_mov_b32_e32 v11, 0
	v_xor_b32_e32 v3, v2, v3
	v_xor_b32_e32 v6, v4, v2
	v_lshl_add_u64 v[12:13], s[2:3], 0, v[10:11]
	v_lshlrev_b32_e32 v10, 8, v2
	v_lshl_or_b32 v16, v3, 3, v10
	v_lshl_or_b32 v17, v6, 3, v10
	s_waitcnt lgkmcnt(0)
	s_barrier
	ds_read2st64_b64 v[2:5], v16 offset1:8
	ds_read2st64_b64 v[6:9], v17 offset1:8
	v_lshl_add_u64 v[14:15], v[12:13], 0, v[10:11]
	s_movk_i32 s2, 0x2000
	s_cmp_lg_u32 s43, 64
	s_waitcnt lgkmcnt(1)
	v_mov_b32_e32 v10, v2
	v_mov_b32_e32 v11, v3
	s_waitcnt lgkmcnt(0)
	v_mov_b32_e32 v12, v6
	v_mov_b32_e32 v13, v7
	global_store_dwordx4 v[14:15], v[10:13], off
	v_mov_b32_e32 v6, v4
	v_mov_b32_e32 v7, v5
	ds_read2st64_b64 v[2:5], v16 offset0:16 offset1:24
	ds_read2st64_b64 v[10:13], v17 offset0:16 offset1:24
	v_add_co_u32_e32 v16, vcc, s2, v14
	s_cselect_b64 s[6:7], -1, 0
	s_nop 0
	v_addc_co_u32_e32 v17, vcc, 0, v15, vcc
	global_store_dwordx4 v[16:17], v[6:9], off offset:-4096
	v_lshl_or_b32 v19, v72, 3, v78
	s_mov_b32 s20, 0
	s_waitcnt lgkmcnt(1)
	v_mov_b32_e32 v6, v2
	v_add_co_u32_e32 v2, vcc, 0x3000, v14
	v_mov_b32_e32 v7, v3
	s_nop 0
	v_addc_co_u32_e32 v3, vcc, 0, v15, vcc
	s_waitcnt lgkmcnt(0)
	v_mov_b32_e32 v8, v10
	v_mov_b32_e32 v9, v11
	v_mov_b32_e32 v10, v4
	v_mov_b32_e32 v11, v5
	v_or_b32_e32 v22, 32, v19
	v_and_b32_e32 v20, 56, v77
	s_and_b64 vcc, exec, s[6:7]
	global_store_dwordx4 v[16:17], v[6:9], off
	global_store_dwordx4 v[2:3], v[10:13], off
	s_cbranch_vccz .LBB110_30
; %bb.25:
	s_mov_b32 s21, s20
	s_mov_b32 s22, s20
	;; [unrolled: 1-line block ×3, first 2 shown]
	v_mov_b64_e32 v[6:7], s[20:21]
	v_mov_b64_e32 v[8:9], s[22:23]
	;; [unrolled: 1-line block ×3, first 2 shown]
	v_cmp_gt_i32_e32 vcc, s43, v19
	v_mov_b64_e32 v[4:5], v[8:9]
	s_and_saveexec_b64 s[2:3], vcc
	s_cbranch_execz .LBB110_27
; %bb.26:
	v_lshlrev_b32_e32 v2, 8, v19
	v_mov_b32_e32 v3, 0
	v_lshl_add_u64 v[4:5], s[0:1], 0, v[2:3]
	v_lshlrev_b32_e32 v2, 1, v20
	v_lshl_add_u64 v[10:11], v[4:5], 0, v[2:3]
	global_load_dwordx4 v[6:9], v[10:11], off
	global_load_dwordx4 v[2:5], v[10:11], off offset:128
.LBB110_27:
	s_or_b64 exec, exec, s[2:3]
	s_mov_b32 s21, s20
	s_mov_b32 s22, s20
	;; [unrolled: 1-line block ×3, first 2 shown]
	v_mov_b64_e32 v[14:15], s[20:21]
	v_mov_b64_e32 v[16:17], s[22:23]
	;; [unrolled: 1-line block ×3, first 2 shown]
	v_cmp_gt_i32_e32 vcc, s43, v22
	v_lshlrev_b32_e32 v23, 7, v22
	v_mov_b64_e32 v[12:13], v[16:17]
	s_and_saveexec_b64 s[2:3], vcc
	s_cbranch_execz .LBB110_29
; %bb.28:
	v_lshlrev_b32_e32 v10, 1, v23
	v_mov_b32_e32 v11, 0
	v_lshl_add_u64 v[12:13], s[0:1], 0, v[10:11]
	v_lshlrev_b32_e32 v10, 1, v20
	v_lshl_add_u64 v[28:29], v[12:13], 0, v[10:11]
	global_load_dwordx4 v[14:17], v[28:29], off
	global_load_dwordx4 v[10:13], v[28:29], off offset:128
.LBB110_29:
	s_or_b64 exec, exec, s[2:3]
	v_lshrrev_b32_e32 v27, 3, v20
	v_lshlrev_b32_e32 v28, 3, v19
	v_or_b32_e32 v27, v28, v27
	v_lshlrev_b32_e32 v27, 4, v27
	v_and_b32_e32 v28, 0x78, v28
	v_xor_b32_e32 v27, v27, v28
	s_branch .LBB110_32
.LBB110_30:
                                        ; implicit-def: $vgpr27
                                        ; implicit-def: $vgpr23
                                        ; implicit-def: $vgpr6_vgpr7_vgpr8_vgpr9
                                        ; implicit-def: $vgpr2_vgpr3_vgpr4_vgpr5
                                        ; implicit-def: $vgpr14_vgpr15_vgpr16_vgpr17
                                        ; implicit-def: $vgpr10_vgpr11_vgpr12_vgpr13
	s_cbranch_execz .LBB110_32
; %bb.31:
	s_waitcnt vmcnt(0)
	v_lshlrev_b32_e32 v2, 1, v20
	v_lshl_or_b32 v23, v19, 8, v2
	s_and_b32 s1, s1, 0xffff
	s_mov_b32 s3, 0x20000
	s_movk_i32 s2, 0x4000
	v_lshl_or_b32 v27, v22, 8, v2
	s_movk_i32 s13, 0x80
	buffer_load_dwordx4 v[6:9], v23, s[0:3], 0 offen
	buffer_load_dwordx4 v[2:5], v23, s[0:3], s13 offen
	;; [unrolled: 1-line block ×4, first 2 shown]
	v_lshrrev_b32_e32 v23, 3, v20
	v_lshlrev_b32_e32 v27, 3, v19
	v_or_b32_e32 v23, v27, v23
	v_lshlrev_b32_e32 v23, 4, v23
	v_and_b32_e32 v27, 0x78, v27
	v_xor_b32_e32 v27, v23, v27
	v_lshlrev_b32_e32 v23, 7, v22
.LBB110_32:
	s_movk_i32 s0, 0x1000
	v_and_or_b32 v22, v23, s0, v27
	s_waitcnt vmcnt(1)
	ds_write_b64 v27, v[6:7] offset:49152
	v_xor_b32_e32 v6, 8, v27
	ds_write_b64 v6, v[8:9] offset:49152
	s_waitcnt vmcnt(0)
	ds_write_b64 v27, v[2:3] offset:57344
	ds_write_b64 v6, v[4:5] offset:57344
	;; [unrolled: 1-line block ×3, first 2 shown]
	v_xor_b32_e32 v2, 8, v22
	ds_write_b64 v2, v[16:17] offset:49152
	ds_write_b64 v22, v[10:11] offset:57344
	;; [unrolled: 1-line block ×3, first 2 shown]
	v_or_b32_e32 v2, v73, v76
	v_lshlrev_b32_e32 v2, 3, v2
	v_lshrrev_b32_e32 v3, 5, v74
	s_movk_i32 s0, 0xf8
	v_and_or_b32 v3, v2, s0, v3
	v_lshlrev_b32_e32 v7, 4, v3
	v_lshlrev_b32_e32 v27, 11, v72
	v_and_b32_e32 v8, 0x78, v2
	v_or_b32_e32 v10, 32, v7
	v_and_b32_e32 v6, 0x1000, v27
	v_lshrrev_b32_e32 v3, 1, v74
	v_xor_b32_e32 v10, v10, v8
	v_xor_b32_e32 v2, v7, v8
	v_and_b32_e32 v9, 8, v3
	v_or_b32_e32 v10, v10, v6
	v_or_b32_e32 v2, v2, v6
	v_xor_b32_e32 v33, v10, v9
	v_or_b32_e32 v10, 64, v7
	v_xor_b32_e32 v32, v2, v9
	v_xor_b32_e32 v10, v10, v8
	s_waitcnt lgkmcnt(0)
	s_barrier
	v_or_b32_e32 v13, v10, v6
	ds_read_b64 v[10:11], v32 offset:49152
	v_lshl_or_b32 v14, v75, 8, v26
	v_lshlrev_b32_e32 v28, 1, v14
	v_add_u32_e32 v12, 0x4000, v28
	ds_read2_b64 v[2:5], v12 offset1:16
	v_or_b32_e32 v7, 0x60, v7
	v_xor_b32_e32 v7, v7, v8
	v_or_b32_e32 v6, v7, v6
	v_xor_b32_e32 v66, v13, v9
	v_xor_b32_e32 v67, v6, v9
	ds_read_b64 v[22:23], v33 offset:49152
	ds_read_b64 v[68:69], v66 offset:49152
	;; [unrolled: 1-line block ×3, first 2 shown]
	s_waitcnt lgkmcnt(3)
	v_mfma_f32_16x16x16_bf16 a[0:3], v[10:11], v[2:3], 0
	ds_read2_b64 v[6:9], v12 offset0:32 offset1:48
	s_lshl_b64 s[0:1], s[40:41], 8
	s_add_u32 s4, s4, s0
	v_mfma_f32_16x16x16_bf16 a[4:7], v[10:11], v[4:5], 0
	ds_read2st64_b64 v[2:5], v28 offset0:36 offset1:40
	s_addc_u32 s5, s5, s1
	s_add_i32 s2, s12, -1
	s_waitcnt lgkmcnt(1)
	v_mfma_f32_16x16x16_bf16 a[8:11], v[10:11], v[6:7], 0
	v_or_b32_e32 v6, 64, v14
	v_lshlrev_b32_e32 v29, 1, v6
	s_add_i32 s0, s44, s17
	s_waitcnt lgkmcnt(0)
	v_mfma_f32_16x16x16_bf16 a[0:3], v[22:23], v[2:3], a[0:3]
	v_or_b32_e32 v2, 0x80, v14
	v_lshlrev_b32_e32 v30, 1, v2
	v_or_b32_e32 v2, 0xc0, v14
	v_mfma_f32_16x16x16_bf16 a[12:15], v[10:11], v[8:9], 0
	ds_read2st64_b64 v[6:9], v29 offset0:36 offset1:40
	v_lshlrev_b32_e32 v31, 1, v2
	ds_read2st64_b64 v[10:13], v30 offset0:36 offset1:40
	ds_read2st64_b64 v[14:17], v31 offset0:36 offset1:40
	s_mul_i32 s35, s35, s16
	s_add_i32 s35, s0, s35
	s_mul_i32 s0, s33, s19
	s_mul_hi_u32 s1, s33, s18
	s_ashr_i32 s3, s2, 31
	s_mul_i32 s12, s2, s31
	s_mul_hi_u32 s13, s2, s30
	s_waitcnt lgkmcnt(2)
	v_mfma_f32_16x16x16_bf16 a[4:7], v[22:23], v[6:7], a[4:7]
	s_add_i32 s0, s1, s0
	s_mul_i32 s1, s14, s18
	s_add_i32 s12, s13, s12
	s_mul_i32 s3, s3, s30
	s_waitcnt lgkmcnt(1)
	v_mfma_f32_16x16x16_bf16 a[8:11], v[22:23], v[10:11], a[8:11]
	s_add_i32 s1, s0, s1
	s_add_i32 s3, s12, s3
	s_lshl_b64 s[12:13], s[34:35], 2
	s_waitcnt lgkmcnt(0)
	v_mfma_f32_16x16x16_bf16 a[12:15], v[22:23], v[14:15], a[12:15]
	s_mul_i32 s0, s33, s18
	s_add_u32 s10, s10, s12
	s_addc_u32 s11, s11, s13
	s_lshl_b64 s[0:1], s[0:1], 2
	v_mfma_f32_16x16x16_bf16 a[0:3], v[68:69], v[4:5], a[0:3]
	s_mul_i32 s2, s2, s30
	ds_read_b64 v[2:3], v28 offset:22528
	s_add_u32 s10, s10, s0
	v_mfma_f32_16x16x16_bf16 a[4:7], v[68:69], v[8:9], a[4:7]
	ds_read_b64 v[4:5], v29 offset:22528
	ds_read_b64 v[6:7], v30 offset:22528
	;; [unrolled: 1-line block ×3, first 2 shown]
	s_addc_u32 s11, s11, s1
	s_lshl_b64 s[0:1], s[2:3], 2
	v_mfma_f32_16x16x16_bf16 a[8:11], v[68:69], v[12:13], a[8:11]
	s_add_u32 s0, s10, s0
	s_addc_u32 s1, s11, s1
	s_load_dword s12, s[0:1], 0x0
	v_mfma_f32_16x16x16_bf16 a[12:15], v[68:69], v[16:17], a[12:15]
	s_and_b64 vcc, exec, s[38:39]
	s_waitcnt lgkmcnt(0)
	v_mfma_f32_16x16x16_bf16 a[0:3], v[70:71], v[2:3], a[0:3]
	v_mfma_f32_16x16x16_bf16 a[4:7], v[70:71], v[4:5], a[4:7]
	;; [unrolled: 1-line block ×4, first 2 shown]
	s_cbranch_vccz .LBB110_43
; %bb.33:
	v_lshlrev_b32_e32 v22, 1, v19
	s_and_b64 vcc, exec, s[6:7]
	s_cbranch_vccz .LBB110_44
; %bb.34:
	v_cmp_gt_i32_e32 vcc, s43, v22
	v_mov_b32_e32 v6, 0
	v_mov_b32_e32 v2, 0
	;; [unrolled: 1-line block ×5, first 2 shown]
	s_and_saveexec_b64 s[0:1], vcc
	s_cbranch_execz .LBB110_36
; %bb.35:
	v_mad_i64_i32 v[2:3], s[2:3], s15, v22, 0
	v_lshl_add_u64 v[2:3], v[2:3], 1, s[4:5]
	v_lshlrev_b32_e32 v4, 1, v20
	v_mov_b32_e32 v5, 0
	v_lshl_add_u64 v[2:3], v[2:3], 0, v[4:5]
	global_load_dwordx4 v[2:5], v[2:3], off
.LBB110_36:
	s_or_b64 exec, exec, s[0:1]
	v_or_b32_e32 v23, 1, v22
	v_cmp_gt_i32_e64 s[0:1], s43, v23
	v_mov_b32_e32 v7, 0
	v_mov_b32_e32 v8, 0
	;; [unrolled: 1-line block ×3, first 2 shown]
	s_and_saveexec_b64 s[2:3], s[0:1]
	s_cbranch_execz .LBB110_38
; %bb.37:
	v_mad_i64_i32 v[6:7], s[16:17], s15, v23, 0
	v_lshl_add_u64 v[6:7], v[6:7], 1, s[4:5]
	v_lshlrev_b32_e32 v8, 1, v20
	v_mov_b32_e32 v9, 0
	v_lshl_add_u64 v[6:7], v[6:7], 0, v[8:9]
	global_load_dwordx4 v[6:9], v[6:7], off
.LBB110_38:
	s_or_b64 exec, exec, s[2:3]
	v_mov_b32_e32 v17, 0
	v_mov_b32_e32 v10, 0
	;; [unrolled: 1-line block ×5, first 2 shown]
	s_and_saveexec_b64 s[2:3], vcc
	s_cbranch_execz .LBB110_40
; %bb.39:
	v_mad_i64_i32 v[10:11], s[16:17], s15, v22, 0
	v_lshl_add_u64 v[10:11], v[10:11], 1, s[4:5]
	v_lshlrev_b32_e32 v12, 1, v20
	v_mov_b32_e32 v13, 0
	v_lshl_add_u64 v[10:11], v[10:11], 0, v[12:13]
	global_load_dwordx4 v[10:13], v[10:11], off offset:128
.LBB110_40:
	s_or_b64 exec, exec, s[2:3]
	v_mov_b32_e32 v16, 0
	v_mov_b32_e32 v15, 0
	;; [unrolled: 1-line block ×3, first 2 shown]
	s_and_saveexec_b64 s[2:3], s[0:1]
	s_cbranch_execz .LBB110_42
; %bb.41:
	v_mad_i64_i32 v[14:15], s[0:1], s15, v23, 0
	v_lshl_add_u64 v[14:15], v[14:15], 1, s[4:5]
	v_lshlrev_b32_e32 v16, 1, v20
	v_mov_b32_e32 v17, 0
	v_lshl_add_u64 v[14:15], v[14:15], 0, v[16:17]
	global_load_dwordx4 v[14:17], v[14:15], off offset:128
.LBB110_42:
	s_or_b64 exec, exec, s[2:3]
	s_branch .LBB110_46
.LBB110_43:
                                        ; implicit-def: $vgpr5
                                        ; implicit-def: $vgpr9
                                        ; implicit-def: $vgpr13
                                        ; implicit-def: $vgpr17
	v_lshrrev_b32_e32 v68, 2, v74
	s_branch .LBB110_47
.LBB110_44:
                                        ; implicit-def: $vgpr5
                                        ; implicit-def: $vgpr9
                                        ; implicit-def: $vgpr13
                                        ; implicit-def: $vgpr17
	s_cbranch_execz .LBB110_46
; %bb.45:
	s_waitcnt vmcnt(0)
	v_mad_u64_u32 v[2:3], s[0:1], v22, s15, v[20:21]
	v_lshlrev_b32_e32 v22, 1, v2
	s_lshl_b32 s2, s15, 7
	s_and_b32 s1, s5, 0xffff
	s_mov_b32 s3, 0x20000
	s_mov_b32 s0, s4
	v_add_lshl_u32 v23, v2, s15, 1
	s_movk_i32 s13, 0x80
	buffer_load_dwordx4 v[2:5], v22, s[0:3], 0 offen
	buffer_load_dwordx4 v[10:13], v22, s[0:3], s13 offen
	;; [unrolled: 1-line block ×4, first 2 shown]
.LBB110_46:
	v_lshrrev_b32_e32 v68, 2, v74
	s_cbranch_execnz .LBB110_59
.LBB110_47:
	s_and_b64 vcc, exec, s[6:7]
	s_cbranch_vccz .LBB110_57
; %bb.48:
	s_waitcnt vmcnt(0)
	v_lshlrev_b32_e32 v7, 1, v19
	v_cmp_gt_i32_e32 vcc, s43, v7
	v_mov_b32_e32 v6, 0
	v_lshlrev_b32_e32 v14, 9, v19
	v_mov_b32_e32 v2, 0
	v_mov_b32_e32 v3, 0
	;; [unrolled: 1-line block ×4, first 2 shown]
	s_and_saveexec_b64 s[0:1], vcc
	s_cbranch_execz .LBB110_50
; %bb.49:
	v_mov_b32_e32 v15, 0
	v_lshl_add_u64 v[2:3], s[4:5], 0, v[14:15]
	v_lshlrev_b32_e32 v4, 1, v20
	v_mov_b32_e32 v5, v15
	v_lshl_add_u64 v[2:3], v[2:3], 0, v[4:5]
	global_load_dwordx4 v[2:5], v[2:3], off
.LBB110_50:
	s_or_b64 exec, exec, s[0:1]
	v_or_b32_e32 v7, 1, v7
	v_cmp_gt_i32_e64 s[0:1], s43, v7
	v_lshlrev_b32_e32 v22, 8, v7
	v_mov_b32_e32 v7, 0
	v_mov_b32_e32 v8, 0
	v_mov_b32_e32 v9, 0
	s_and_saveexec_b64 s[2:3], s[0:1]
	s_cbranch_execz .LBB110_52
; %bb.51:
	v_mov_b32_e32 v23, 0
	v_lshl_add_u64 v[6:7], s[4:5], 0, v[22:23]
	v_lshlrev_b32_e32 v8, 1, v20
	v_mov_b32_e32 v9, v23
	v_lshl_add_u64 v[6:7], v[6:7], 0, v[8:9]
	global_load_dwordx4 v[6:9], v[6:7], off
.LBB110_52:
	s_or_b64 exec, exec, s[2:3]
	v_mov_b32_e32 v17, 0
	v_mov_b32_e32 v10, 0
	;; [unrolled: 1-line block ×5, first 2 shown]
	s_and_saveexec_b64 s[2:3], vcc
	s_cbranch_execz .LBB110_54
; %bb.53:
	v_mov_b32_e32 v15, 0
	v_lshl_add_u64 v[10:11], s[4:5], 0, v[14:15]
	v_lshlrev_b32_e32 v14, 1, v20
	v_lshl_add_u64 v[10:11], v[10:11], 0, v[14:15]
	global_load_dwordx4 v[10:13], v[10:11], off offset:128
.LBB110_54:
	s_or_b64 exec, exec, s[2:3]
	v_mov_b32_e32 v16, 0
	v_mov_b32_e32 v15, 0
	;; [unrolled: 1-line block ×3, first 2 shown]
	s_and_saveexec_b64 s[2:3], s[0:1]
	s_cbranch_execz .LBB110_56
; %bb.55:
	v_mov_b32_e32 v23, 0
	v_lshl_add_u64 v[14:15], s[4:5], 0, v[22:23]
	v_lshlrev_b32_e32 v22, 1, v20
	v_lshl_add_u64 v[14:15], v[14:15], 0, v[22:23]
	global_load_dwordx4 v[14:17], v[14:15], off offset:128
.LBB110_56:
	s_or_b64 exec, exec, s[2:3]
	s_branch .LBB110_59
.LBB110_57:
                                        ; implicit-def: $vgpr5
                                        ; implicit-def: $vgpr9
                                        ; implicit-def: $vgpr13
                                        ; implicit-def: $vgpr17
	s_cbranch_execz .LBB110_59
; %bb.58:
	s_waitcnt vmcnt(0)
	v_lshlrev_b32_e32 v2, 1, v20
	v_lshl_or_b32 v20, v19, 9, v2
	s_and_b32 s5, s5, 0xffff
	s_mov_b32 s7, 0x20000
	s_movk_i32 s6, 0x4000
	s_movk_i32 s0, 0x80
	buffer_load_dwordx4 v[2:5], v20, s[4:7], 0 offen
	buffer_load_dwordx4 v[6:9], v20, s[4:7], 0 offen offset:256
	buffer_load_dwordx4 v[10:13], v20, s[4:7], s0 offen
	buffer_load_dwordx4 v[14:17], v20, s[4:7], s0 offen offset:256
.LBB110_59:
	ds_read_b64 v[22:23], v32 offset:57344
	v_add_u32_e32 v20, 0x6000, v28
	ds_read2_b64 v[74:77], v20 offset1:16
	ds_read_b64 v[32:33], v33 offset:57344
	ds_read_b64 v[70:71], v66 offset:57344
	;; [unrolled: 1-line block ×3, first 2 shown]
	ds_read2st64_b64 v[78:81], v28 offset0:52 offset1:56
	v_and_b32_e32 v69, 1, v0
	v_cmp_eq_u32_e32 vcc, 0, v69
	s_mov_b32 s0, 0x1000504
	s_mov_b32 s1, 0x3020706
	s_waitcnt lgkmcnt(4)
	v_mfma_f32_16x16x16_bf16 a[0:3], v[22:23], v[74:75], a[0:3]
	v_mfma_f32_16x16x16_bf16 a[4:7], v[22:23], v[76:77], a[4:7]
	ds_read2_b64 v[74:77], v20 offset0:32 offset1:48
	v_and_b32_e32 v20, 6, v0
	v_xor_b32_e32 v19, v19, v20
	s_waitcnt lgkmcnt(0)
	v_mfma_f32_16x16x16_bf16 a[8:11], v[22:23], v[74:75], a[8:11]
	v_lshlrev_b32_e32 v19, 2, v19
	v_mfma_f32_16x16x16_bf16 a[12:15], v[22:23], v[76:77], a[12:15]
	ds_read2st64_b64 v[74:77], v29 offset0:52 offset1:56
	ds_read2st64_b64 v[82:85], v30 offset0:52 offset1:56
	;; [unrolled: 1-line block ×3, first 2 shown]
	s_waitcnt lgkmcnt(2)
	v_mfma_f32_16x16x16_bf16 a[4:7], v[32:33], v[74:75], a[4:7]
	v_xor_b32_e32 v74, 0x440, v19
	v_cndmask_b32_e32 v19, v74, v19, vcc
	v_lshl_or_b32 v19, v20, 10, v19
	v_mfma_f32_16x16x16_bf16 a[0:3], v[32:33], v[78:79], a[0:3]
	s_waitcnt vmcnt(0)
	v_perm_b32 v20, v2, v6, s0
	ds_read_b64 v[22:23], v28 offset:30720
	ds_read_b64 v[78:79], v29 offset:30720
	ds_read_b64 v[90:91], v30 offset:30720
	ds_read_b64 v[92:93], v31 offset:30720
	v_perm_b32 v2, v2, v6, s1
	s_waitcnt lgkmcnt(5)
	v_mfma_f32_16x16x16_bf16 a[8:11], v[32:33], v[82:83], a[8:11]
	v_perm_b32 v6, v10, v14, s1
	s_waitcnt lgkmcnt(4)
	v_mfma_f32_16x16x16_bf16 a[12:15], v[32:33], v[86:87], a[12:15]
	v_perm_b32 v32, v10, v14, s0
	ds_write2st64_b32 v19, v20, v32 offset0:128 offset1:160
	v_xor_b32_e32 v20, 8, v19
	v_add_u32_e32 v10, 0x80, v20
	ds_write2st64_b32 v10, v2, v6 offset0:128 offset1:160
	v_xor_b32_e32 v2, 16, v19
	v_perm_b32 v6, v3, v7, s0
	v_perm_b32 v10, v11, v15, s0
	v_mfma_f32_16x16x16_bf16 a[0:3], v[70:71], v[80:81], a[0:3]
	ds_write2st64_b32 v2, v6, v10 offset0:129 offset1:161
	v_xor_b32_e32 v2, 24, v19
	v_perm_b32 v3, v3, v7, s1
	v_mfma_f32_16x16x16_bf16 a[4:7], v[70:71], v[76:77], a[4:7]
	v_perm_b32 v6, v11, v15, s1
	v_add_u32_e32 v2, 0x80, v2
	ds_write2st64_b32 v2, v3, v6 offset0:129 offset1:161
	v_mfma_f32_16x16x16_bf16 a[16:19], v[70:71], v[84:85], a[8:11]
	v_xor_b32_e32 v2, 32, v19
	v_perm_b32 v3, v4, v8, s0
	v_perm_b32 v6, v12, v16, s0
	v_mfma_f32_16x16x16_bf16 a[20:23], v[70:71], v[88:89], a[12:15]
	ds_write2st64_b32 v2, v3, v6 offset0:130 offset1:162
	v_xor_b32_e32 v2, 40, v19
	v_perm_b32 v3, v4, v8, s1
	s_waitcnt lgkmcnt(8)
	v_mfma_f32_16x16x16_bf16 a[12:15], v[66:67], v[22:23], a[0:3]
	v_perm_b32 v4, v12, v16, s1
	v_add_u32_e32 v2, 0x80, v2
	ds_write2st64_b32 v2, v3, v4 offset0:130 offset1:162
	s_waitcnt lgkmcnt(8)
	v_mfma_f32_16x16x16_bf16 a[8:11], v[66:67], v[78:79], a[4:7]
	v_xor_b32_e32 v2, 48, v19
	v_perm_b32 v3, v5, v9, s0
	v_perm_b32 v4, v13, v17, s0
	s_waitcnt lgkmcnt(7)
	v_mfma_f32_16x16x16_bf16 a[4:7], v[66:67], v[90:91], a[16:19]
	ds_write2st64_b32 v2, v3, v4 offset0:131 offset1:163
	v_xor_b32_e32 v2, 56, v19
	v_and_or_b32 v23, v68, 12, v73
	s_waitcnt lgkmcnt(7)
	v_mfma_f32_16x16x16_bf16 a[0:3], v[66:67], v[92:93], a[20:23]
	v_perm_b32 v3, v5, v9, s1
	v_perm_b32 v4, v13, v17, s1
	v_add_u32_e32 v2, 0x80, v2
	v_cmp_gt_i32_e32 vcc, s43, v23
	v_mov_b32_e32 v16, 0
	v_mov_b32_e32 v20, 0
	ds_write2st64_b32 v2, v3, v4 offset0:131 offset1:163
	s_and_saveexec_b64 s[0:1], vcc
	s_cbranch_execz .LBB110_61
; %bb.60:
	v_add_u32_e32 v2, s42, v23
	v_ashrrev_i32_e32 v3, 31, v2
	v_mul_lo_u32 v4, v3, s30
	v_mul_lo_u32 v5, v2, s31
	v_mad_u64_u32 v[2:3], s[2:3], v2, s30, 0
	v_add3_u32 v3, v3, v5, v4
	v_lshl_add_u64 v[2:3], v[2:3], 2, s[10:11]
	global_load_dword v2, v[2:3], off
	s_waitcnt vmcnt(0)
	v_sub_f32_e32 v2, s12, v2
	v_mul_f32_e32 v2, 0x3fb8aa3b, v2
	v_exp_f32_e32 v20, v2
.LBB110_61:
	s_or_b64 exec, exec, s[0:1]
	v_or_b32_e32 v8, 1, v23
	v_cmp_gt_i32_e64 s[0:1], s43, v8
	s_and_saveexec_b64 s[2:3], s[0:1]
	s_cbranch_execz .LBB110_63
; %bb.62:
	v_add_u32_e32 v2, s42, v8
	v_ashrrev_i32_e32 v3, 31, v2
	v_mul_lo_u32 v4, v3, s30
	v_mul_lo_u32 v5, v2, s31
	v_mad_u64_u32 v[2:3], s[4:5], v2, s30, 0
	v_add3_u32 v3, v3, v5, v4
	v_lshl_add_u64 v[2:3], v[2:3], 2, s[10:11]
	global_load_dword v2, v[2:3], off
	s_waitcnt vmcnt(0)
	v_sub_f32_e32 v2, s12, v2
	v_mul_f32_e32 v2, 0x3fb8aa3b, v2
	v_exp_f32_e32 v16, v2
.LBB110_63:
	s_or_b64 exec, exec, s[2:3]
	v_or_b32_e32 v9, 2, v23
	v_cmp_gt_i32_e64 s[2:3], s43, v9
	v_mov_b32_e32 v17, 0
	v_mov_b32_e32 v22, 0
	s_and_saveexec_b64 s[4:5], s[2:3]
	s_cbranch_execz .LBB110_65
; %bb.64:
	v_add_u32_e32 v2, s42, v9
	v_ashrrev_i32_e32 v3, 31, v2
	v_mul_lo_u32 v4, v3, s30
	v_mul_lo_u32 v5, v2, s31
	v_mad_u64_u32 v[2:3], s[6:7], v2, s30, 0
	v_add3_u32 v3, v3, v5, v4
	v_lshl_add_u64 v[2:3], v[2:3], 2, s[10:11]
	global_load_dword v2, v[2:3], off
	s_waitcnt vmcnt(0)
	v_sub_f32_e32 v2, s12, v2
	v_mul_f32_e32 v2, 0x3fb8aa3b, v2
	v_exp_f32_e32 v22, v2
.LBB110_65:
	s_or_b64 exec, exec, s[4:5]
	v_or_b32_e32 v32, 3, v23
	v_cmp_gt_i32_e64 s[4:5], s43, v32
	s_and_saveexec_b64 s[6:7], s[4:5]
	s_cbranch_execz .LBB110_67
; %bb.66:
	v_add_u32_e32 v2, s42, v32
	v_ashrrev_i32_e32 v3, 31, v2
	v_mul_lo_u32 v4, v3, s30
	v_mul_lo_u32 v5, v2, s31
	v_mad_u64_u32 v[2:3], s[14:15], v2, s30, 0
	v_add3_u32 v3, v3, v5, v4
	v_lshl_add_u64 v[2:3], v[2:3], 2, s[10:11]
	global_load_dword v2, v[2:3], off
	s_waitcnt vmcnt(0)
	v_sub_f32_e32 v2, s12, v2
	v_mul_f32_e32 v2, 0x3fb8aa3b, v2
	v_exp_f32_e32 v17, v2
.LBB110_67:
	s_or_b64 exec, exec, s[6:7]
	s_add_u32 s6, s8, s26
	v_accvgpr_read_b32 v2, a12
	s_addc_u32 s7, s9, s27
	v_ashrrev_i32_e32 v19, 31, v18
	v_accvgpr_read_b32 v3, a13
	v_accvgpr_read_b32 v4, a14
	;; [unrolled: 1-line block ×3, first 2 shown]
	v_lshl_add_u64 v[6:7], v[18:19], 1, s[6:7]
	v_mov_b32_e32 v13, 0
	v_lshlrev_b32_e32 v10, 8, v23
	v_mov_b32_e32 v11, 0
	s_and_saveexec_b64 s[6:7], vcc
	s_cbranch_execz .LBB110_69
; %bb.68:
	v_mov_b32_e32 v11, 0
	v_lshl_add_u64 v[14:15], v[6:7], 0, v[10:11]
	global_load_ushort v11, v[14:15], off
	s_waitcnt vmcnt(0)
	v_lshlrev_b32_e32 v11, 16, v11
	v_sub_f32_e32 v2, v11, v2
	v_mul_f32_e32 v2, v20, v2
	v_lshrrev_b32_e32 v11, 16, v2
.LBB110_69:
	s_or_b64 exec, exec, s[6:7]
	v_lshlrev_b32_e32 v12, 8, v8
	s_and_saveexec_b64 s[6:7], s[0:1]
	s_cbranch_execz .LBB110_71
; %bb.70:
	v_mov_b32_e32 v13, 0
	v_lshl_add_u64 v[14:15], v[6:7], 0, v[12:13]
	global_load_ushort v2, v[14:15], off
	s_waitcnt vmcnt(0)
	v_lshlrev_b32_e32 v2, 16, v2
	v_sub_f32_e32 v2, v2, v3
	v_mul_f32_e32 v2, v16, v2
	v_lshrrev_b32_e32 v13, 16, v2
.LBB110_71:
	s_or_b64 exec, exec, s[6:7]
	v_mov_b32_e32 v33, 0
	v_lshlrev_b32_e32 v14, 8, v9
	v_mov_b32_e32 v15, 0
	s_and_saveexec_b64 s[6:7], s[2:3]
	s_cbranch_execz .LBB110_73
; %bb.72:
	v_mov_b32_e32 v15, 0
	v_lshl_add_u64 v[2:3], v[6:7], 0, v[14:15]
	global_load_ushort v2, v[2:3], off
	s_waitcnt vmcnt(0)
	v_lshlrev_b32_e32 v2, 16, v2
	v_sub_f32_e32 v2, v2, v4
	v_mul_f32_e32 v2, v22, v2
	v_lshrrev_b32_e32 v15, 16, v2
.LBB110_73:
	s_or_b64 exec, exec, s[6:7]
	v_lshlrev_b32_e32 v8, 8, v32
	s_and_saveexec_b64 s[6:7], s[4:5]
	s_cbranch_execz .LBB110_75
; %bb.74:
	v_mov_b32_e32 v9, 0
	v_lshl_add_u64 v[2:3], v[6:7], 0, v[8:9]
	global_load_ushort v2, v[2:3], off
	s_waitcnt vmcnt(0)
	v_lshlrev_b32_e32 v2, 16, v2
	v_sub_f32_e32 v2, v2, v5
	v_mul_f32_e32 v2, v17, v2
	v_lshrrev_b32_e32 v33, 16, v2
.LBB110_75:
	s_or_b64 exec, exec, s[6:7]
	v_lshlrev_b32_e32 v19, 6, v23
	v_accvgpr_read_b32 v2, a8
	s_mov_b32 s6, 0x5040100
	v_or_b32_e32 v9, v19, v26
	v_accvgpr_read_b32 v3, a9
	v_accvgpr_read_b32 v4, a10
	;; [unrolled: 1-line block ×3, first 2 shown]
	v_perm_b32 v33, v33, v15, s6
	v_perm_b32 v32, v13, v11, s6
	v_lshlrev_b32_e32 v9, 1, v9
	v_mov_b32_e32 v13, 0
	v_mov_b32_e32 v11, 0
	ds_write_b64 v9, v[32:33] offset:24576
	s_and_saveexec_b64 s[6:7], vcc
	s_cbranch_execz .LBB110_77
; %bb.76:
	v_mov_b32_e32 v11, 0
	v_lshl_add_u64 v[32:33], v[6:7], 0, v[10:11]
	global_load_ushort v9, v[32:33], off offset:32
	s_waitcnt vmcnt(0)
	v_lshlrev_b32_e32 v9, 16, v9
	v_sub_f32_e32 v2, v9, v2
	v_mul_f32_e32 v2, v20, v2
	v_lshrrev_b32_e32 v11, 16, v2
.LBB110_77:
	s_or_b64 exec, exec, s[6:7]
	s_and_saveexec_b64 s[6:7], s[0:1]
	s_cbranch_execz .LBB110_79
; %bb.78:
	v_mov_b32_e32 v13, 0
	v_lshl_add_u64 v[32:33], v[6:7], 0, v[12:13]
	global_load_ushort v2, v[32:33], off offset:32
	s_waitcnt vmcnt(0)
	v_lshlrev_b32_e32 v2, 16, v2
	v_sub_f32_e32 v2, v2, v3
	v_mul_f32_e32 v2, v16, v2
	v_lshrrev_b32_e32 v13, 16, v2
.LBB110_79:
	s_or_b64 exec, exec, s[6:7]
	v_mov_b32_e32 v9, 0
	v_mov_b32_e32 v15, 0
	s_and_saveexec_b64 s[6:7], s[2:3]
	s_cbranch_execz .LBB110_81
; %bb.80:
	v_mov_b32_e32 v15, 0
	v_lshl_add_u64 v[2:3], v[6:7], 0, v[14:15]
	global_load_ushort v2, v[2:3], off offset:32
	s_waitcnt vmcnt(0)
	v_lshlrev_b32_e32 v2, 16, v2
	v_sub_f32_e32 v2, v2, v4
	v_mul_f32_e32 v2, v22, v2
	v_lshrrev_b32_e32 v15, 16, v2
.LBB110_81:
	s_or_b64 exec, exec, s[6:7]
	s_and_saveexec_b64 s[6:7], s[4:5]
	s_cbranch_execz .LBB110_83
; %bb.82:
	v_mov_b32_e32 v9, 0
	v_lshl_add_u64 v[2:3], v[6:7], 0, v[8:9]
	global_load_ushort v2, v[2:3], off offset:32
	s_waitcnt vmcnt(0)
	v_lshlrev_b32_e32 v2, 16, v2
	v_sub_f32_e32 v2, v2, v5
	v_mul_f32_e32 v2, v17, v2
	v_lshrrev_b32_e32 v9, 16, v2
.LBB110_83:
	s_or_b64 exec, exec, s[6:7]
	s_mov_b32 s6, 0x5040100
	v_accvgpr_read_b32 v2, a4
	v_perm_b32 v33, v9, v15, s6
	v_or_b32_e32 v9, v19, v25
	v_accvgpr_read_b32 v3, a5
	v_accvgpr_read_b32 v4, a6
	;; [unrolled: 1-line block ×3, first 2 shown]
	v_perm_b32 v32, v13, v11, s6
	v_lshlrev_b32_e32 v9, 1, v9
	v_mov_b32_e32 v13, 0
	v_mov_b32_e32 v11, 0
	ds_write_b64 v9, v[32:33] offset:24576
	s_and_saveexec_b64 s[6:7], vcc
	s_cbranch_execz .LBB110_85
; %bb.84:
	v_mov_b32_e32 v11, 0
	v_lshl_add_u64 v[32:33], v[6:7], 0, v[10:11]
	global_load_ushort v9, v[32:33], off offset:64
	s_waitcnt vmcnt(0)
	v_lshlrev_b32_e32 v9, 16, v9
	v_sub_f32_e32 v2, v9, v2
	v_mul_f32_e32 v2, v20, v2
	v_lshrrev_b32_e32 v11, 16, v2
.LBB110_85:
	s_or_b64 exec, exec, s[6:7]
	s_and_saveexec_b64 s[6:7], s[0:1]
	s_cbranch_execz .LBB110_87
; %bb.86:
	v_mov_b32_e32 v13, 0
	v_lshl_add_u64 v[32:33], v[6:7], 0, v[12:13]
	global_load_ushort v2, v[32:33], off offset:64
	s_waitcnt vmcnt(0)
	v_lshlrev_b32_e32 v2, 16, v2
	v_sub_f32_e32 v2, v2, v3
	v_mul_f32_e32 v2, v16, v2
	v_lshrrev_b32_e32 v13, 16, v2
.LBB110_87:
	s_or_b64 exec, exec, s[6:7]
	v_mov_b32_e32 v9, 0
	v_mov_b32_e32 v15, 0
	s_and_saveexec_b64 s[6:7], s[2:3]
	s_cbranch_execz .LBB110_89
; %bb.88:
	v_mov_b32_e32 v15, 0
	v_lshl_add_u64 v[2:3], v[6:7], 0, v[14:15]
	global_load_ushort v2, v[2:3], off offset:64
	s_waitcnt vmcnt(0)
	v_lshlrev_b32_e32 v2, 16, v2
	v_sub_f32_e32 v2, v2, v4
	v_mul_f32_e32 v2, v22, v2
	v_lshrrev_b32_e32 v15, 16, v2
.LBB110_89:
	s_or_b64 exec, exec, s[6:7]
	s_and_saveexec_b64 s[6:7], s[4:5]
	s_cbranch_execz .LBB110_91
; %bb.90:
	v_mov_b32_e32 v9, 0
	v_lshl_add_u64 v[2:3], v[6:7], 0, v[8:9]
	global_load_ushort v2, v[2:3], off offset:64
	s_waitcnt vmcnt(0)
	v_lshlrev_b32_e32 v2, 16, v2
	v_sub_f32_e32 v2, v2, v5
	v_mul_f32_e32 v2, v17, v2
	v_lshrrev_b32_e32 v9, 16, v2
.LBB110_91:
	s_or_b64 exec, exec, s[6:7]
	s_mov_b32 s6, 0x5040100
	v_accvgpr_read_b32 v5, a3
	v_perm_b32 v33, v9, v15, s6
	v_or_b32_e32 v9, v19, v24
	v_accvgpr_read_b32 v4, a2
	v_accvgpr_read_b32 v3, a1
	;; [unrolled: 1-line block ×3, first 2 shown]
	v_perm_b32 v32, v13, v11, s6
	v_lshlrev_b32_e32 v9, 1, v9
	v_mov_b32_e32 v13, 0
	v_mov_b32_e32 v11, 0
	ds_write_b64 v9, v[32:33] offset:24576
	s_and_saveexec_b64 s[6:7], vcc
	s_cbranch_execz .LBB110_93
; %bb.92:
	v_mov_b32_e32 v11, 0
	v_lshl_add_u64 v[10:11], v[6:7], 0, v[10:11]
	global_load_ushort v9, v[10:11], off offset:96
	s_waitcnt vmcnt(0)
	v_lshlrev_b32_e32 v9, 16, v9
	v_sub_f32_e32 v2, v9, v2
	v_mul_f32_e32 v2, v20, v2
	v_lshrrev_b32_e32 v11, 16, v2
.LBB110_93:
	s_or_b64 exec, exec, s[6:7]
	s_and_saveexec_b64 s[6:7], s[0:1]
	s_cbranch_execz .LBB110_95
; %bb.94:
	v_mov_b32_e32 v13, 0
	v_lshl_add_u64 v[12:13], v[6:7], 0, v[12:13]
	global_load_ushort v2, v[12:13], off offset:96
	s_waitcnt vmcnt(0)
	v_lshlrev_b32_e32 v2, 16, v2
	v_sub_f32_e32 v2, v2, v3
	v_mul_f32_e32 v2, v16, v2
	v_lshrrev_b32_e32 v13, 16, v2
.LBB110_95:
	s_or_b64 exec, exec, s[6:7]
	v_mov_b32_e32 v9, 0
	v_mov_b32_e32 v12, 0
	s_and_saveexec_b64 s[0:1], s[2:3]
	s_cbranch_execz .LBB110_97
; %bb.96:
	v_mov_b32_e32 v15, 0
	v_lshl_add_u64 v[2:3], v[6:7], 0, v[14:15]
	global_load_ushort v2, v[2:3], off offset:96
	s_waitcnt vmcnt(0)
	v_lshlrev_b32_e32 v2, 16, v2
	v_sub_f32_e32 v2, v2, v4
	v_mul_f32_e32 v2, v22, v2
	v_lshrrev_b32_e32 v12, 16, v2
.LBB110_97:
	s_or_b64 exec, exec, s[0:1]
	v_or_b32_e32 v10, 0x6000, v28
	v_or_b32_e32 v4, 0x6000, v29
	;; [unrolled: 1-line block ×4, first 2 shown]
	s_and_saveexec_b64 s[0:1], s[4:5]
	s_cbranch_execz .LBB110_99
; %bb.98:
	v_mov_b32_e32 v9, 0
	v_lshl_add_u64 v[6:7], v[6:7], 0, v[8:9]
	global_load_ushort v6, v[6:7], off offset:96
	s_waitcnt vmcnt(0)
	v_lshlrev_b32_e32 v6, 16, v6
	v_sub_f32_e32 v5, v6, v5
	v_mul_f32_e32 v5, v17, v5
	v_lshrrev_b32_e32 v9, 16, v5
.LBB110_99:
	s_or_b64 exec, exec, s[0:1]
	s_mov_b32 s0, 0x5040100
	v_or_b32_e32 v5, v19, v21
	v_perm_b32 v7, v9, v12, s0
	v_perm_b32 v6, v13, v11, s0
	v_lshlrev_b32_e32 v5, 1, v5
	s_movk_i32 s0, 0x100
	ds_write_b64 v5, v[6:7] offset:24576
	v_and_b32_e32 v5, 7, v0
	v_and_b32_e32 v6, 8, v0
	v_cmp_gt_u32_e32 vcc, s0, v0
	v_lshrrev_b32_e32 v0, 1, v0
	v_mov_b32_e32 v7, 0xa000
	v_mov_b32_e32 v8, 0x8000
	v_lshlrev_b32_e32 v26, 3, v72
	v_and_b32_e32 v0, 24, v0
	v_cndmask_b32_e32 v19, v7, v8, vcc
	v_xor_b32_e32 v7, v26, v0
	v_or_b32_e32 v8, 0x440, v7
	v_cmp_eq_u32_e32 vcc, 0, v6
	v_lshlrev_b32_e32 v11, 3, v5
	v_lshlrev_b32_e32 v5, 7, v5
	v_cndmask_b32_e32 v6, v8, v7, vcc
	v_or_b32_e32 v6, v6, v27
	v_xad_u32 v32, v6, v11, v5
	v_add_u32_e32 v6, v19, v32
	s_waitcnt lgkmcnt(0)
	s_barrier
	ds_read_b64 v[16:17], v6
	ds_read2_b64 v[6:9], v10 offset1:16
	ds_read2_b64 v[12:15], v10 offset0:32 offset1:48
	v_or_b32_e32 v20, 32, v0
	v_xor_b32_e32 v20, v26, v20
	v_or_b32_e32 v21, 0x440, v20
	v_cndmask_b32_e32 v20, v21, v20, vcc
	s_waitcnt lgkmcnt(1)
	v_mfma_f32_16x16x16_bf16 a[0:3], v[16:17], v[6:7], 0
	v_or_b32_e32 v20, v20, v27
	v_xad_u32 v33, v20, v11, v5
	v_add_u32_e32 v20, v19, v33
	v_mfma_f32_16x16x16_bf16 a[4:7], v[16:17], v[8:9], 0
	ds_read_b64 v[24:25], v20
	ds_read2st64_b64 v[28:31], v4 offset0:4 offset1:8
	ds_read2st64_b64 v[66:69], v3 offset0:4 offset1:8
	s_waitcnt lgkmcnt(3)
	v_mfma_f32_16x16x16_bf16 a[8:11], v[16:17], v[12:13], 0
	ds_read2st64_b64 v[70:73], v2 offset0:4 offset1:8
	v_mfma_f32_16x16x16_bf16 a[12:15], v[16:17], v[14:15], 0
	v_or_b32_e32 v16, 64, v0
	v_xor_b32_e32 v16, v26, v16
	v_xor_b32_e32 v17, 0x440, v16
	v_cndmask_b32_e32 v16, v17, v16, vcc
	v_or_b32_e32 v16, v16, v27
	v_xad_u32 v74, v16, v11, v5
	v_add_u32_e32 v16, v19, v74
	ds_read_b64 v[16:17], v16
	ds_read2st64_b64 v[20:23], v10 offset0:4 offset1:8
	v_or_b32_e32 v0, 0x60, v0
	v_xor_b32_e32 v0, v26, v0
	s_waitcnt lgkmcnt(0)
	v_mfma_f32_16x16x16_bf16 a[0:3], v[24:25], v[20:21], a[0:3]
	v_mfma_f32_16x16x16_bf16 a[4:7], v[24:25], v[28:29], a[4:7]
	;; [unrolled: 1-line block ×4, first 2 shown]
	v_xor_b32_e32 v24, 0x440, v0
	v_cndmask_b32_e32 v0, v24, v0, vcc
	v_or_b32_e32 v0, v0, v27
	v_xad_u32 v26, v0, v11, v5
	v_add_u32_e32 v0, v19, v26
	v_mfma_f32_16x16x16_bf16 a[0:3], v[16:17], v[22:23], a[0:3]
	ds_read_b64 v[24:25], v0
	ds_read_b64 v[10:11], v10 offset:6144
	v_mov_b32_e32 v0, 0x3fb8aa3b
	v_mul_f32_e32 v0, s12, v0
	v_mfma_f32_16x16x16_bf16 a[4:7], v[16:17], v[30:31], a[4:7]
	v_exp_f32_e32 v0, v0
	v_mfma_f32_16x16x16_bf16 a[8:11], v[16:17], v[68:69], a[8:11]
	v_mfma_f32_16x16x16_bf16 a[12:15], v[16:17], v[72:73], a[12:15]
	ds_read_b64 v[4:5], v4 offset:6144
	ds_read_b64 v[16:17], v3 offset:6144
	;; [unrolled: 1-line block ×3, first 2 shown]
	s_waitcnt lgkmcnt(3)
	v_mfma_f32_16x16x16_bf16 a[0:3], v[24:25], v[10:11], a[0:3]
	s_waitcnt lgkmcnt(2)
	v_mfma_f32_16x16x16_bf16 a[4:7], v[24:25], v[4:5], a[4:7]
	;; [unrolled: 2-line block ×4, first 2 shown]
	ds_read_b64 v[24:25], v32 offset:40960
	s_waitcnt lgkmcnt(0)
	v_mfma_f32_16x16x16_bf16 a[16:19], v[24:25], v[6:7], 0
	ds_read_b64 v[6:7], v33 offset:40960
	v_mfma_f32_16x16x16_bf16 a[20:23], v[24:25], v[8:9], 0
	ds_read_b64 v[8:9], v74 offset:40960
	v_mfma_f32_16x16x16_bf16 a[24:27], v[24:25], v[12:13], 0
	v_accvgpr_read_b32 v13, a3
	v_accvgpr_read_b32 v12, a2
	v_pk_fma_f32 v[64:65], v[0:1], v[64:65], v[12:13] op_sel_hi:[0,1,1]
	v_mfma_f32_16x16x16_bf16 a[28:31], v[24:25], v[14:15], 0
	ds_read_b64 v[12:13], v26 offset:40960
	v_accvgpr_read_b32 v15, a7
	v_accvgpr_read_b32 v14, a6
	s_waitcnt lgkmcnt(2)
	v_mfma_f32_16x16x16_bf16 a[16:19], v[6:7], v[20:21], a[16:19]
	v_accvgpr_read_b32 v21, a15
	v_accvgpr_read_b32 v20, a14
	v_pk_fma_f32 v[56:57], v[0:1], v[56:57], v[14:15] op_sel_hi:[0,1,1]
	v_mfma_f32_16x16x16_bf16 a[20:23], v[6:7], v[28:29], a[20:23]
	v_pk_fma_f32 v[40:41], v[0:1], v[40:41], v[20:21] op_sel_hi:[0,1,1]
	v_mfma_f32_16x16x16_bf16 a[24:27], v[6:7], v[66:67], a[24:27]
	v_mfma_f32_16x16x16_bf16 a[28:31], v[6:7], v[70:71], a[28:31]
	v_accvgpr_read_b32 v7, a11
	v_accvgpr_read_b32 v6, a10
	v_pk_fma_f32 v[48:49], v[0:1], v[48:49], v[6:7] op_sel_hi:[0,1,1]
	s_waitcnt lgkmcnt(1)
	v_mfma_f32_16x16x16_bf16 a[16:19], v[8:9], v[22:23], a[16:19]
	v_accvgpr_read_b32 v23, a1
	v_accvgpr_read_b32 v22, a0
	v_pk_fma_f32 v[62:63], v[0:1], v[62:63], v[22:23] op_sel_hi:[0,1,1]
	v_mfma_f32_16x16x16_bf16 a[0:3], v[8:9], v[30:31], a[20:23]
	v_accvgpr_read_b32 v23, a5
	v_accvgpr_read_b32 v22, a4
	;; [unrolled: 1-line block ×3, first 2 shown]
	v_mfma_f32_16x16x16_bf16 a[20:23], v[8:9], v[68:69], a[24:27]
	v_accvgpr_read_b32 v7, a13
	v_pk_fma_f32 v[38:39], v[0:1], v[38:39], v[6:7] op_sel_hi:[0,1,1]
	v_pk_fma_f32 v[54:55], v[0:1], v[54:55], v[22:23] op_sel_hi:[0,1,1]
	v_mfma_f32_16x16x16_bf16 a[4:7], v[8:9], v[72:73], a[28:31]
	v_accvgpr_read_b32 v8, a8
	v_accvgpr_read_b32 v9, a9
	v_pk_fma_f32 v[46:47], v[0:1], v[46:47], v[8:9] op_sel_hi:[0,1,1]
	s_waitcnt lgkmcnt(0)
	v_mfma_f32_16x16x16_bf16 a[8:11], v[12:13], v[10:11], a[16:19]
	v_mfma_f32_16x16x16_bf16 a[0:3], v[12:13], v[4:5], a[0:3]
	s_nop 5
	v_accvgpr_read_b32 v5, a11
	v_accvgpr_read_b32 v4, a10
	v_mfma_f32_16x16x16_bf16 a[10:13], v[12:13], v[16:17], a[20:23]
	v_pk_fma_f32 v[60:61], v[0:1], v[60:61], v[4:5] op_sel_hi:[0,1,1]
	v_accvgpr_read_b32 v7, a3
	v_accvgpr_read_b32 v6, a2
	v_mfma_f32_16x16x16_bf16 a[2:5], v[12:13], v[2:3], a[4:7]
	v_accvgpr_read_b32 v5, a1
	v_accvgpr_read_b32 v4, a0
	v_pk_fma_f32 v[50:51], v[0:1], v[50:51], v[4:5] op_sel_hi:[0,1,1]
	v_accvgpr_read_b32 v4, a10
	v_accvgpr_read_b32 v5, a11
	;; [unrolled: 1-line block ×3, first 2 shown]
	v_pk_fma_f32 v[42:43], v[0:1], v[42:43], v[4:5] op_sel_hi:[0,1,1]
	v_accvgpr_read_b32 v5, a3
	v_accvgpr_read_b32 v9, a13
	;; [unrolled: 1-line block ×7, first 2 shown]
	v_pk_fma_f32 v[58:59], v[0:1], v[58:59], v[10:11] op_sel_hi:[0,1,1]
	v_pk_fma_f32 v[52:53], v[0:1], v[52:53], v[6:7] op_sel_hi:[0,1,1]
	;; [unrolled: 1-line block ×5, first 2 shown]
	v_mov_b32_e32 v2, v18
.LBB110_100:
	s_lshl_b64 s[0:1], s[24:25], 15
	s_waitcnt lgkmcnt(0)
	s_add_u32 s0, s28, s0
	v_lshlrev_b32_e32 v2, 7, v2
	s_addc_u32 s1, s29, s1
	v_ashrrev_i32_e32 v3, 31, v2
	v_lshl_add_u64 v[4:5], v[2:3], 1, s[0:1]
	v_lshlrev_b32_e32 v0, 1, v1
	v_mov_b32_e32 v1, 0
	s_mov_b32 s2, 0x7060302
	v_lshl_add_u64 v[4:5], v[4:5], 0, v[0:1]
	v_perm_b32 v7, v65, v64, s2
	v_perm_b32 v6, v63, v62, s2
	global_store_dwordx2 v[4:5], v[6:7], off
	v_perm_b32 v7, v61, v60, s2
	v_perm_b32 v6, v59, v58, s2
	global_store_dwordx2 v[4:5], v[6:7], off offset:128
	v_or_b32_e32 v4, 0x800, v2
	v_ashrrev_i32_e32 v5, 31, v4
	v_lshl_add_u64 v[4:5], v[4:5], 1, s[0:1]
	v_lshl_add_u64 v[4:5], v[4:5], 0, v[0:1]
	v_perm_b32 v7, v57, v56, s2
	v_perm_b32 v6, v55, v54, s2
	global_store_dwordx2 v[4:5], v[6:7], off
	v_perm_b32 v7, v53, v52, s2
	v_perm_b32 v6, v51, v50, s2
	global_store_dwordx2 v[4:5], v[6:7], off offset:128
	v_or_b32_e32 v4, 0x1000, v2
	v_or_b32_e32 v2, 0x1800, v2
	v_ashrrev_i32_e32 v5, 31, v4
	v_ashrrev_i32_e32 v3, 31, v2
	v_lshl_add_u64 v[4:5], v[4:5], 1, s[0:1]
	v_lshl_add_u64 v[2:3], v[2:3], 1, s[0:1]
	;; [unrolled: 1-line block ×3, first 2 shown]
	v_perm_b32 v7, v49, v48, s2
	v_perm_b32 v6, v47, v46, s2
	v_lshl_add_u64 v[0:1], v[2:3], 0, v[0:1]
	v_perm_b32 v3, v41, v40, s2
	v_perm_b32 v2, v39, v38, s2
	global_store_dwordx2 v[4:5], v[6:7], off
	v_perm_b32 v7, v45, v44, s2
	v_perm_b32 v6, v43, v42, s2
	global_store_dwordx2 v[0:1], v[2:3], off
	v_perm_b32 v3, v35, v34, s2
	v_perm_b32 v2, v37, v36, s2
	global_store_dwordx2 v[4:5], v[6:7], off offset:128
	global_store_dwordx2 v[0:1], v[2:3], off offset:128
	s_endpgm
	.section	.rodata,"a",@progbits
	.p2align	6, 0x0
	.amdhsa_kernel _ZN12_GLOBAL__N_139chunk_gated_delta_rule_fwd_h_hip_kernelILi64ELb0ELb1ELb0ELb0ELb0ELb0ELb1ELb1EEEvPK12hip_bfloat16S3_S3_PKfS5_PKvPS1_S8_PvPKiSB_iiiiilll
		.amdhsa_group_segment_fixed_size 65536
		.amdhsa_private_segment_fixed_size 0
		.amdhsa_kernarg_size 136
		.amdhsa_user_sgpr_count 2
		.amdhsa_user_sgpr_dispatch_ptr 0
		.amdhsa_user_sgpr_queue_ptr 0
		.amdhsa_user_sgpr_kernarg_segment_ptr 1
		.amdhsa_user_sgpr_dispatch_id 0
		.amdhsa_user_sgpr_kernarg_preload_length 0
		.amdhsa_user_sgpr_kernarg_preload_offset 0
		.amdhsa_user_sgpr_private_segment_size 0
		.amdhsa_uses_dynamic_stack 0
		.amdhsa_enable_private_segment 0
		.amdhsa_system_sgpr_workgroup_id_x 1
		.amdhsa_system_sgpr_workgroup_id_y 1
		.amdhsa_system_sgpr_workgroup_id_z 0
		.amdhsa_system_sgpr_workgroup_info 0
		.amdhsa_system_vgpr_workitem_id 0
		.amdhsa_next_free_vgpr 216
		.amdhsa_next_free_sgpr 65
		.amdhsa_accum_offset 180
		.amdhsa_reserve_vcc 1
		.amdhsa_float_round_mode_32 0
		.amdhsa_float_round_mode_16_64 0
		.amdhsa_float_denorm_mode_32 3
		.amdhsa_float_denorm_mode_16_64 3
		.amdhsa_dx10_clamp 1
		.amdhsa_ieee_mode 1
		.amdhsa_fp16_overflow 0
		.amdhsa_tg_split 0
		.amdhsa_exception_fp_ieee_invalid_op 0
		.amdhsa_exception_fp_denorm_src 0
		.amdhsa_exception_fp_ieee_div_zero 0
		.amdhsa_exception_fp_ieee_overflow 0
		.amdhsa_exception_fp_ieee_underflow 0
		.amdhsa_exception_fp_ieee_inexact 0
		.amdhsa_exception_int_div_zero 0
	.end_amdhsa_kernel
	.section	.text._ZN12_GLOBAL__N_139chunk_gated_delta_rule_fwd_h_hip_kernelILi64ELb0ELb1ELb0ELb0ELb0ELb0ELb1ELb1EEEvPK12hip_bfloat16S3_S3_PKfS5_PKvPS1_S8_PvPKiSB_iiiiilll,"axG",@progbits,_ZN12_GLOBAL__N_139chunk_gated_delta_rule_fwd_h_hip_kernelILi64ELb0ELb1ELb0ELb0ELb0ELb0ELb1ELb1EEEvPK12hip_bfloat16S3_S3_PKfS5_PKvPS1_S8_PvPKiSB_iiiiilll,comdat
.Lfunc_end110:
	.size	_ZN12_GLOBAL__N_139chunk_gated_delta_rule_fwd_h_hip_kernelILi64ELb0ELb1ELb0ELb0ELb0ELb0ELb1ELb1EEEvPK12hip_bfloat16S3_S3_PKfS5_PKvPS1_S8_PvPKiSB_iiiiilll, .Lfunc_end110-_ZN12_GLOBAL__N_139chunk_gated_delta_rule_fwd_h_hip_kernelILi64ELb0ELb1ELb0ELb0ELb0ELb0ELb1ELb1EEEvPK12hip_bfloat16S3_S3_PKfS5_PKvPS1_S8_PvPKiSB_iiiiilll
                                        ; -- End function
	.section	.AMDGPU.csdata,"",@progbits
; Kernel info:
; codeLenInByte = 12284
; NumSgprs: 71
; NumVgprs: 178
; NumAgprs: 36
; TotalNumVgprs: 216
; ScratchSize: 0
; MemoryBound: 0
; FloatMode: 240
; IeeeMode: 1
; LDSByteSize: 65536 bytes/workgroup (compile time only)
; SGPRBlocks: 8
; VGPRBlocks: 26
; NumSGPRsForWavesPerEU: 71
; NumVGPRsForWavesPerEU: 216
; AccumOffset: 180
; Occupancy: 1
; WaveLimiterHint : 1
; COMPUTE_PGM_RSRC2:SCRATCH_EN: 0
; COMPUTE_PGM_RSRC2:USER_SGPR: 2
; COMPUTE_PGM_RSRC2:TRAP_HANDLER: 0
; COMPUTE_PGM_RSRC2:TGID_X_EN: 1
; COMPUTE_PGM_RSRC2:TGID_Y_EN: 1
; COMPUTE_PGM_RSRC2:TGID_Z_EN: 0
; COMPUTE_PGM_RSRC2:TIDIG_COMP_CNT: 0
; COMPUTE_PGM_RSRC3_GFX90A:ACCUM_OFFSET: 44
; COMPUTE_PGM_RSRC3_GFX90A:TG_SPLIT: 0
	.section	.text._ZN12_GLOBAL__N_139chunk_gated_delta_rule_fwd_h_hip_kernelILi64ELb0ELb0ELb1ELb0ELb0ELb0ELb1ELb1EEEvPK12hip_bfloat16S3_S3_PKfS5_PKvPS1_S8_PvPKiSB_iiiiilll,"axG",@progbits,_ZN12_GLOBAL__N_139chunk_gated_delta_rule_fwd_h_hip_kernelILi64ELb0ELb0ELb1ELb0ELb0ELb0ELb1ELb1EEEvPK12hip_bfloat16S3_S3_PKfS5_PKvPS1_S8_PvPKiSB_iiiiilll,comdat
	.globl	_ZN12_GLOBAL__N_139chunk_gated_delta_rule_fwd_h_hip_kernelILi64ELb0ELb0ELb1ELb0ELb0ELb0ELb1ELb1EEEvPK12hip_bfloat16S3_S3_PKfS5_PKvPS1_S8_PvPKiSB_iiiiilll ; -- Begin function _ZN12_GLOBAL__N_139chunk_gated_delta_rule_fwd_h_hip_kernelILi64ELb0ELb0ELb1ELb0ELb0ELb0ELb1ELb1EEEvPK12hip_bfloat16S3_S3_PKfS5_PKvPS1_S8_PvPKiSB_iiiiilll
	.p2align	8
	.type	_ZN12_GLOBAL__N_139chunk_gated_delta_rule_fwd_h_hip_kernelILi64ELb0ELb0ELb1ELb0ELb0ELb0ELb1ELb1EEEvPK12hip_bfloat16S3_S3_PKfS5_PKvPS1_S8_PvPKiSB_iiiiilll,@function
_ZN12_GLOBAL__N_139chunk_gated_delta_rule_fwd_h_hip_kernelILi64ELb0ELb0ELb1ELb0ELb0ELb0ELb1ELb1EEEvPK12hip_bfloat16S3_S3_PKfS5_PKvPS1_S8_PvPKiSB_iiiiilll: ; @_ZN12_GLOBAL__N_139chunk_gated_delta_rule_fwd_h_hip_kernelILi64ELb0ELb0ELb1ELb0ELb0ELb0ELb1ELb1EEEvPK12hip_bfloat16S3_S3_PKfS5_PKvPS1_S8_PvPKiSB_iiiiilll
; %bb.0:
	s_load_dwordx4 s[16:19], s[0:1], 0x5c
	s_load_dwordx4 s[12:15], s[0:1], 0x30
	s_abs_i32 s22, s3
	s_ashr_i32 s21, s3, 31
	s_load_dwordx8 s[4:11], s[0:1], 0x0
	s_waitcnt lgkmcnt(0)
	s_abs_i32 s20, s17
	v_cvt_f32_u32_e32 v1, s20
	s_sub_i32 s24, 0, s20
	s_ashr_i32 s23, s17, 31
	s_xor_b32 s21, s21, s23
	v_rcp_iflag_f32_e32 v1, v1
	v_lshrrev_b32_e32 v76, 6, v0
	v_bfe_u32 v77, v0, 4, 2
	v_lshlrev_b32_e32 v2, 2, v77
	v_mul_f32_e32 v1, 0x4f7ffffe, v1
	v_cvt_u32_f32_e32 v1, v1
	v_and_b32_e32 v75, 63, v0
	v_mov_b32_e32 v35, 0
	v_and_b32_e32 v74, 15, v0
	v_readfirstlane_b32 s25, v1
	s_mul_i32 s24, s24, s25
	s_mul_hi_u32 s24, s25, s24
	s_add_i32 s25, s25, s24
	s_mul_hi_u32 s24, s22, s25
	s_mul_i32 s25, s24, s20
	s_sub_i32 s22, s22, s25
	s_add_i32 s26, s24, 1
	s_sub_i32 s25, s22, s20
	s_cmp_ge_u32 s22, s20
	s_cselect_b32 s24, s26, s24
	s_cselect_b32 s22, s25, s22
	s_add_i32 s25, s24, 1
	s_cmp_ge_u32 s22, s20
	s_cselect_b32 s22, s25, s24
	s_xor_b32 s22, s22, s21
	s_sub_i32 s47, s22, s21
	s_abs_i32 s21, s18
	v_cvt_f32_u32_e32 v1, s21
	s_add_i32 s24, s16, 63
	s_mul_i32 s45, s47, s17
	s_sub_i32 s33, s3, s45
	v_rcp_iflag_f32_e32 v1, v1
	s_ashr_i32 s3, s24, 31
	s_ashr_i32 s46, s16, 31
	s_lshr_b32 s3, s3, 26
	v_mul_f32_e32 v1, 0x4f7ffffe, v1
	v_cvt_u32_f32_e32 v1, v1
	s_lshr_b32 s22, s46, 26
	s_add_i32 s24, s24, s3
	s_add_i32 s22, s16, s22
	s_ashr_i32 s49, s18, 31
	s_ashr_i32 s3, s24, 6
	;; [unrolled: 1-line block ×3, first 2 shown]
	s_xor_b32 s22, s23, s49
	s_sub_i32 s23, 0, s21
	v_readfirstlane_b32 s24, v1
	s_mul_i32 s23, s23, s24
	s_mul_hi_u32 s23, s24, s23
	s_add_i32 s24, s24, s23
	s_mul_hi_u32 s23, s20, s24
	s_mul_i32 s24, s23, s21
	s_sub_i32 s20, s20, s24
	s_add_i32 s24, s23, 1
	s_sub_i32 s25, s20, s21
	s_cmp_ge_u32 s20, s21
	s_cselect_b32 s23, s24, s23
	s_cselect_b32 s20, s25, s20
	s_add_i32 s24, s23, 1
	s_cmp_ge_u32 s20, s21
	s_cselect_b32 s20, s24, s23
	s_xor_b32 s20, s20, s22
	s_sub_i32 s24, s20, s22
	s_abs_i32 s25, s24
	v_cvt_f32_u32_e32 v1, s25
	s_load_dwordx2 s[34:35], s[0:1], 0x80
	s_load_dwordx4 s[20:23], s[0:1], 0x70
	s_xor_b32 s0, s33, s24
	s_sub_i32 s24, 0, s25
	v_rcp_iflag_f32_e32 v1, v1
	s_abs_i32 s1, s33
	s_ashr_i32 s0, s0, 31
	s_mul_i32 s50, s47, s3
	v_mul_f32_e32 v1, 0x4f7ffffe, v1
	v_cvt_u32_f32_e32 v1, v1
	s_mul_hi_i32 s51, s47, s17
	v_lshrrev_b32_e32 v79, 3, v75
	v_lshlrev_b32_e32 v78, 3, v0
	v_readfirstlane_b32 s26, v1
	s_mul_i32 s24, s24, s26
	s_mul_hi_u32 s24, s26, s24
	s_add_i32 s26, s26, s24
	s_mul_hi_u32 s24, s1, s26
	s_mul_i32 s26, s24, s25
	s_sub_i32 s1, s1, s26
	s_add_i32 s26, s24, 1
	s_sub_i32 s27, s1, s25
	s_cmp_ge_u32 s1, s25
	s_cselect_b32 s24, s26, s24
	s_cselect_b32 s1, s27, s1
	s_add_i32 s26, s24, 1
	s_cmp_ge_u32 s1, s25
	s_cselect_b32 s1, s26, s24
	s_xor_b32 s1, s1, s0
	v_lshlrev_b32_e32 v1, 4, v76
	s_sub_i32 s52, s1, s0
	v_or_b32_e32 v80, v2, v1
	s_lshl_b32 s36, s2, 6
	v_or_b32_e32 v81, 64, v80
	s_cmp_lt_i32 s16, 64
	s_waitcnt lgkmcnt(0)
	s_mul_i32 s21, s47, s21
	s_mul_hi_u32 s44, s47, s20
	s_mul_i32 s38, s47, s20
	v_mov_b32_e32 v34, v35
	v_mov_b32_e32 v41, v35
	;; [unrolled: 1-line block ×31, first 2 shown]
	s_cbranch_scc1 .LBB111_18
; %bb.1:
	s_ashr_i32 s28, s47, 31
	s_ashr_i32 s54, s33, 31
	s_add_u32 s0, s45, s33
	s_addc_u32 s1, s51, s54
	s_mul_i32 s1, s16, s1
	s_mul_hi_u32 s2, s16, s0
	s_add_i32 s3, s2, s1
	s_mul_i32 s2, s16, s0
	s_lshl_b64 s[0:1], s[2:3], 8
	v_and_b32_e32 v83, 56, v78
	s_add_u32 s24, s6, s0
	v_lshl_or_b32 v82, v76, 3, v79
	v_lshlrev_b32_e32 v3, 1, v83
	s_addc_u32 s0, s7, s1
	v_lshl_or_b32 v84, v82, 8, v3
	s_and_b32 s25, s0, 0xffff
	s_mov_b32 s27, 0x20000
	s_movk_i32 s26, 0x4000
	s_movk_i32 s0, 0x80
	v_or_b32_e32 v85, 0x2000, v84
	buffer_load_dwordx4 v[4:7], v84, s[24:27], 0 offen
	buffer_load_dwordx4 v[8:11], v84, s[24:27], s0 offen
	;; [unrolled: 1-line block ×4, first 2 shown]
	v_lshlrev_b32_e32 v20, 3, v82
	v_and_or_b32 v22, v0, 7, v20
	v_and_b32_e32 v20, 0x78, v20
	v_lshlrev_b32_e32 v22, 4, v22
	v_xor_b32_e32 v86, v22, v20
	v_mul_lo_u32 v21, v82, s19
	v_or_b32_e32 v87, 0x1000, v86
	s_cmpk_eq_i32 s19, 0x80
	s_mov_b32 s53, s18
	v_xor_b32_e32 v20, 8, v86
	v_xor_b32_e32 v22, 8, v87
	s_cselect_b64 s[0:1], -1, 0
	s_cmpk_lg_i32 s19, 0x80
	s_waitcnt vmcnt(3)
	ds_write_b64 v86, v[4:5] offset:49152
	ds_write_b64 v20, v[6:7] offset:49152
	s_waitcnt vmcnt(2)
	ds_write_b64 v86, v[8:9] offset:57344
	ds_write_b64 v20, v[10:11] offset:57344
	;; [unrolled: 3-line block ×4, first 2 shown]
	v_lshl_add_u32 v4, v21, 1, v83
	s_cbranch_scc0 .LBB111_3
; %bb.2:
	v_lshlrev_b32_e32 v6, 1, v4
	v_add_lshl_u32 v5, v4, s19, 1
	s_lshl_b32 s26, s19, 7
	v_lshl_or_b32 v3, v82, 9, v3
	s_cbranch_execz .LBB111_4
	s_branch .LBB111_5
.LBB111_3:
                                        ; implicit-def: $vgpr5
                                        ; implicit-def: $vgpr6
                                        ; implicit-def: $sgpr26
	v_lshl_or_b32 v3, v82, 9, v3
.LBB111_4:
	v_or_b32_e32 v5, 0x100, v3
	s_movk_i32 s26, 0x4000
	v_mov_b32_e32 v6, v3
.LBB111_5:
	s_mul_hi_u32 s24, s18, s16
	s_mul_i32 s25, s49, s16
	s_add_i32 s24, s24, s25
	s_mul_i32 s25, s18, s16
	s_mul_i32 s27, s25, s28
	s_mul_hi_u32 s29, s25, s47
	s_add_i32 s27, s29, s27
	s_mul_i32 s24, s24, s47
	s_add_i32 s27, s27, s24
	s_mul_i32 s25, s25, s47
	s_ashr_i32 s55, s52, 31
	s_add_u32 s24, s25, s52
	s_addc_u32 s25, s27, s55
	s_lshl_b64 s[24:25], s[24:25], 8
	s_add_u32 s24, s4, s24
	s_addc_u32 s25, s5, s25
	s_and_b32 s25, s25, 0xffff
	s_mov_b32 s27, 0x20000
	s_movk_i32 s56, 0x80
	buffer_load_dwordx4 v[8:11], v6, s[24:27], 0 offen
	buffer_load_dwordx4 v[12:15], v6, s[24:27], s56 offen
	;; [unrolled: 1-line block ×4, first 2 shown]
	v_and_b32_e32 v5, 6, v0
	v_lshlrev_b32_e32 v6, 7, v80
	v_xor_b32_e32 v27, v82, v5
	v_and_b32_e32 v7, 1, v0
	v_lshl_or_b32 v30, v74, 3, v6
	v_lshlrev_b32_e32 v27, 2, v27
	v_or_b32_e32 v88, 0x4000, v30
	v_or_b32_e32 v89, 0x6000, v30
	v_xor_b32_e32 v30, 0x440, v27
	v_cmp_eq_u32_e32 vcc, 0, v7
	v_lshlrev_b32_e32 v24, 2, v74
	s_mov_b32 s58, 0x1000504
	v_cndmask_b32_e32 v7, v30, v27, vcc
	v_xor_b32_e32 v28, v80, v24
	v_xor_b32_e32 v29, v81, v24
	v_lshl_or_b32 v5, v5, 10, v7
	s_mov_b32 s59, 0x3020706
	s_mul_i32 s24, s28, s16
	s_mul_hi_u32 s25, s47, s16
	v_lshlrev_b32_e32 v25, 8, v74
	v_or_b32_e32 v26, 16, v74
	v_lshlrev_b32_e32 v28, 1, v28
	v_lshlrev_b32_e32 v29, 1, v29
	v_xor_b32_e32 v7, 8, v5
	v_xor_b32_e32 v27, 24, v5
	;; [unrolled: 1-line block ×4, first 2 shown]
	v_or_b32_e32 v91, v25, v28
	v_or_b32_e32 v92, v25, v29
	v_xor_b32_e32 v25, 16, v5
	v_xor_b32_e32 v30, 32, v5
	v_xor_b32_e32 v33, 48, v5
	v_add_u32_e32 v7, 0x80, v7
	v_add_u32_e32 v27, 0x80, v27
	;; [unrolled: 1-line block ×4, first 2 shown]
	s_add_i32 s61, s25, s24
	s_add_i32 s24, s44, s21
	s_mul_i32 s28, s28, s20
	s_add_i32 s39, s24, s28
	s_mul_i32 s24, s33, s23
	s_mul_hi_u32 s25, s33, s22
	s_add_i32 s24, s25, s24
	s_mul_i32 s25, s54, s22
	s_add_i32 s25, s24, s25
	s_lshl_b64 s[28:29], s[38:39], 2
	s_mul_i32 s24, s33, s22
	s_add_u32 s28, s10, s28
	s_addc_u32 s29, s11, s29
	s_lshl_b64 s[24:25], s[24:25], 2
	s_add_u32 s40, s28, s24
	s_movk_i32 s24, 0xf8
	s_addc_u32 s41, s29, s25
	s_ashr_i32 s37, s36, 31
	s_lshl_b32 s30, s19, 7
	s_movk_i32 s28, 0x100
	v_mov_b32_e32 v67, 0
	v_lshlrev_b32_e32 v66, 4, v74
	v_cmp_gt_u32_e32 vcc, s28, v0
	v_lshl_or_b32 v31, v26, 3, v6
	s_mov_b32 s57, 0
	s_mul_i32 s60, s47, s16
	v_or_b32_e32 v90, 0x4000, v31
	s_movk_i32 s26, 0x4000
	v_or_b32_e32 v93, 0x6000, v31
	v_add_u32_e32 v128, v1, v2
	s_movk_i32 s39, 0x2000
	s_movk_i32 s62, 0x3000
	v_mov_b32_e32 v133, 0x3fb8aa3b
	s_mov_b32 s64, 0
	v_mov_b32_e32 v58, v67
	v_mov_b32_e32 v59, v67
	;; [unrolled: 1-line block ×8, first 2 shown]
	s_waitcnt vmcnt(1)
	v_perm_b32 v35, v8, v16, s58
	s_waitcnt vmcnt(0)
	v_perm_b32 v36, v12, v20, s58
	v_perm_b32 v8, v8, v16, s59
	;; [unrolled: 1-line block ×15, first 2 shown]
	ds_write2st64_b32 v5, v35, v36 offset0:128 offset1:160
	ds_write2st64_b32 v7, v8, v12 offset0:128 offset1:160
	;; [unrolled: 1-line block ×8, first 2 shown]
	v_lshlrev_b32_e32 v5, 8, v26
	v_or_b32_e32 v94, v5, v28
	v_or_b32_e32 v95, v5, v29
	;; [unrolled: 1-line block ×3, first 2 shown]
	v_lshl_or_b32 v7, v5, 3, v6
	v_lshlrev_b32_e32 v5, 8, v5
	v_or_b32_e32 v98, v5, v28
	v_or_b32_e32 v99, v5, v29
	;; [unrolled: 1-line block ×5, first 2 shown]
	v_lshl_or_b32 v7, v5, 3, v6
	v_lshlrev_b32_e32 v5, 8, v5
	v_or_b32_e32 v102, v5, v28
	v_or_b32_e32 v103, v5, v29
	;; [unrolled: 1-line block ×3, first 2 shown]
	v_lshlrev_b32_e32 v5, 3, v5
	v_lshrrev_b32_e32 v9, 5, v75
	v_and_or_b32 v9, v5, s24, v9
	v_lshlrev_b32_e32 v9, 4, v9
	v_or_b32_e32 v100, 0x4000, v7
	v_or_b32_e32 v101, 0x6000, v7
	v_lshlrev_b32_e32 v7, 11, v76
	v_and_b32_e32 v5, 0x78, v5
	v_or_b32_e32 v14, 32, v9
	v_and_b32_e32 v8, 0x1000, v7
	v_xor_b32_e32 v10, v9, v5
	v_lshrrev_b32_e32 v11, 1, v0
	v_xor_b32_e32 v14, v14, v5
	v_or_b32_e32 v10, v10, v8
	v_and_b32_e32 v12, 8, v11
	v_or_b32_e32 v14, v14, v8
	v_xor_b32_e32 v104, v10, v12
	v_lshlrev_b32_e32 v10, 8, v77
	v_xor_b32_e32 v106, v14, v12
	v_or_b32_e32 v14, 64, v9
	v_or_b32_e32 v9, 0x60, v9
	;; [unrolled: 1-line block ×3, first 2 shown]
	v_xor_b32_e32 v14, v14, v5
	v_xor_b32_e32 v5, v9, v5
	v_lshlrev_b32_e32 v13, 1, v13
	v_or_b32_e32 v14, v14, v8
	v_or_b32_e32 v5, v5, v8
	s_lshl_b64 s[24:25], s[36:37], 8
	v_or_b32_e32 v105, 0x4000, v13
	v_or_b32_e32 v107, 0x4080, v13
	;; [unrolled: 1-line block ×4, first 2 shown]
	v_xor_b32_e32 v110, v14, v12
	v_xor_b32_e32 v111, v5, v12
	v_or_b32_e32 v112, 0x6000, v13
	v_or_b32_e32 v113, 0x6080, v13
	;; [unrolled: 1-line block ×4, first 2 shown]
	v_lshlrev_b32_e32 v12, 1, v4
	v_add_lshl_u32 v13, v4, s19, 1
	s_add_u32 s24, s12, s24
	v_lshlrev_b32_e32 v4, 1, v74
	v_lshrrev_b32_e32 v15, 4, v0
	s_addc_u32 s25, s13, s25
	v_or_b32_e32 v5, 1, v4
	v_mov_b32_e32 v19, 0xa000
	v_mov_b32_e32 v20, 0x8000
	v_xor_b32_e32 v16, v15, v4
	v_xor_b32_e32 v17, v5, v15
	v_lshl_add_u64 v[4:5], s[24:25], 0, v[66:67]
	v_lshlrev_b32_e32 v66, 8, v15
	v_cndmask_b32_e32 v19, v19, v20, vcc
	v_lshlrev_b32_e32 v20, 3, v76
	v_and_b32_e32 v11, 24, v11
	v_lshl_or_b32 v116, v16, 3, v66
	v_and_b32_e32 v16, 8, v0
	v_xor_b32_e32 v21, v20, v11
	v_or_b32_e32 v22, 0x440, v21
	v_cmp_eq_u32_e32 vcc, 0, v16
	v_and_b32_e32 v15, 7, v0
	v_lshl_or_b32 v117, v17, 3, v66
	v_cndmask_b32_e32 v16, v22, v21, vcc
	v_lshlrev_b32_e32 v17, 3, v15
	v_lshlrev_b32_e32 v15, 7, v15
	v_or_b32_e32 v16, v16, v7
	v_lshlrev_b32_e32 v18, 2, v0
	v_xad_u32 v118, v16, v17, v15
	v_or_b32_e32 v16, 32, v11
	v_and_or_b32 v10, v18, 60, v10
	v_xor_b32_e32 v16, v20, v16
	v_lshlrev_b32_e32 v10, 1, v10
	v_or_b32_e32 v18, 0x440, v16
	v_or_b32_e32 v119, 0x6000, v10
	v_cndmask_b32_e32 v16, v18, v16, vcc
	v_or_b32_e32 v121, 0x6080, v10
	v_or_b32_e32 v122, 0x6100, v10
	;; [unrolled: 1-line block ×5, first 2 shown]
	v_xor_b32_e32 v10, v20, v10
	v_xad_u32 v120, v16, v17, v15
	v_xor_b32_e32 v16, 0x440, v10
	v_cndmask_b32_e32 v10, v16, v10, vcc
	v_or_b32_e32 v10, v10, v7
	v_xad_u32 v124, v10, v17, v15
	v_or_b32_e32 v10, 0x60, v11
	v_xor_b32_e32 v10, v20, v10
	v_xor_b32_e32 v11, 0x440, v10
	v_or_b32_e32 v8, s36, v74
	v_cndmask_b32_e32 v10, v11, v10, vcc
	v_ashrrev_i32_e32 v9, 31, v8
	v_or_b32_e32 v7, v10, v7
	v_or_b32_e32 v14, 0x100, v3
	v_xad_u32 v125, v7, v17, v15
	v_lshlrev_b64 v[8:9], 1, v[8:9]
	v_cndmask_b32_e64 v126, v12, v3, s[0:1]
	v_cndmask_b32_e64 v127, v13, v14, s[0:1]
	v_lshl_add_u64 v[68:69], s[8:9], 0, v[8:9]
	v_lshl_add_u64 v[70:71], s[14:15], 0, v[8:9]
	;; [unrolled: 1-line block ×3, first 2 shown]
	s_mov_b32 s37, 0x7060302
	v_lshlrev_b32_e32 v66, 1, v6
	v_add_u32_e32 v129, v19, v118
	v_add_u32_e32 v130, v19, v120
	v_add_u32_e32 v131, v19, v124
	v_add_u32_e32 v132, v19, v125
	v_mov_b32_e32 v50, v67
	v_mov_b32_e32 v51, v67
	;; [unrolled: 1-line block ×24, first 2 shown]
	s_waitcnt lgkmcnt(0)
	s_barrier
.LBB111_6:                              ; =>This Inner Loop Header: Depth=1
	s_add_i32 s63, s64, 1
	s_cmp_lt_i32 s63, s48
	s_mov_b64 s[28:29], 0
	s_cselect_b64 s[42:43], -1, 0
	s_cmp_ge_i32 s63, s48
	s_mov_b64 s[24:25], 0
	s_cbranch_scc1 .LBB111_8
; %bb.7:                                ;   in Loop: Header=BB111_6 Depth=1
	s_add_i32 s0, s57, 64
	s_add_u32 s0, s2, s0
	s_addc_u32 s1, s3, 0
	s_lshl_b64 s[0:1], s[0:1], 8
	s_add_u32 s24, s6, s0
	s_addc_u32 s25, s7, s1
.LBB111_8:                              ;   in Loop: Header=BB111_6 Depth=1
	v_cndmask_b32_e64 v2, 0, 1, s[42:43]
	v_cmp_ne_u32_e64 s[0:1], 1, v2
	s_andn2_b64 vcc, exec, s[42:43]
	s_cbranch_vccnz .LBB111_10
; %bb.9:                                ;   in Loop: Header=BB111_6 Depth=1
	s_add_i32 s28, s57, 64
	s_add_u32 s28, s60, s28
	s_addc_u32 s29, s61, 0
	s_mul_i32 s31, s28, s49
	s_mul_hi_u32 s42, s28, s53
	s_add_i32 s31, s42, s31
	s_mul_i32 s29, s29, s53
	s_add_i32 s31, s31, s29
	s_mul_i32 s28, s28, s53
	s_add_u32 s28, s28, s52
	s_addc_u32 s29, s31, s55
	s_lshl_b64 s[28:29], s[28:29], 8
	s_add_u32 s28, s4, s28
	s_addc_u32 s29, s5, s29
.LBB111_10:                             ;   in Loop: Header=BB111_6 Depth=1
	v_perm_b32 v3, v65, v64, s37
	v_perm_b32 v2, v63, v62, s37
	v_perm_b32 v5, v61, v60, s37
	v_perm_b32 v4, v59, v58, s37
	ds_write_b64 v88, v[2:3]
	ds_write_b64 v89, v[4:5]
	ds_write_b64 v91, v[2:3]
	ds_write_b64 v92, v[4:5]
	v_perm_b32 v3, v57, v56, s37
	v_perm_b32 v2, v55, v54, s37
	v_perm_b32 v5, v53, v52, s37
	v_perm_b32 v4, v51, v50, s37
	ds_write_b64 v90, v[2:3]
	ds_write_b64 v93, v[4:5]
	ds_write_b64 v94, v[2:3]
	ds_write_b64 v95, v[4:5]
	;; [unrolled: 8-line block ×4, first 2 shown]
	s_waitcnt lgkmcnt(0)
	s_barrier
	ds_read_b64 v[6:7], v104 offset:49152
	ds_read2_b64 v[2:5], v105 offset1:16
	ds_read_b64 v[18:19], v107 offset:6144
	ds_read_b64 v[20:21], v105 offset:6144
	s_waitcnt lgkmcnt(2)
	v_mfma_f32_16x16x16_bf16 a[0:3], v[6:7], v[2:3], 0
	ds_read_b64 v[22:23], v106 offset:49152
	ds_read2st64_b64 v[10:13], v108 offset0:4 offset1:8
	ds_read2st64_b64 v[14:17], v109 offset0:4 offset1:8
	v_mfma_f32_16x16x16_bf16 a[4:7], v[6:7], v[4:5], 0
	ds_read2_b64 v[2:5], v105 offset0:32 offset1:48
	s_add_i32 s31, s57, 63
	s_mul_i32 s42, s31, s35
	s_waitcnt lgkmcnt(0)
	v_mfma_f32_16x16x16_bf16 a[8:11], v[6:7], v[2:3], 0
	s_mul_hi_u32 s43, s31, s34
	s_add_i32 s43, s43, s42
	s_mul_i32 s42, s31, s34
	v_mfma_f32_16x16x16_bf16 a[12:15], v[6:7], v[4:5], 0
	ds_read2st64_b64 v[2:5], v105 offset0:4 offset1:8
	ds_read2st64_b64 v[6:9], v107 offset0:4 offset1:8
	s_lshl_b64 s[42:43], s[42:43], 2
	s_waitcnt lgkmcnt(1)
	v_mfma_f32_16x16x16_bf16 a[0:3], v[22:23], v[2:3], a[0:3]
	s_add_u32 s42, s40, s42
	s_addc_u32 s43, s41, s43
	s_and_b64 vcc, exec, s[0:1]
	s_waitcnt lgkmcnt(0)
	v_mfma_f32_16x16x16_bf16 a[4:7], v[22:23], v[6:7], a[4:7]
	v_mov_b32_e32 v136, 0
	v_mov_b32_e32 v135, 0
	;; [unrolled: 1-line block ×3, first 2 shown]
	v_mfma_f32_16x16x16_bf16 a[8:11], v[22:23], v[10:11], a[8:11]
	ds_read_b64 v[2:3], v110 offset:49152
	ds_read_b64 v[6:7], v111 offset:49152
	;; [unrolled: 1-line block ×3, first 2 shown]
	v_mfma_f32_16x16x16_bf16 a[12:15], v[22:23], v[14:15], a[12:15]
	v_mov_b32_e32 v14, 0
	v_mov_b32_e32 v15, 0
	s_waitcnt lgkmcnt(2)
	v_mfma_f32_16x16x16_bf16 a[0:3], v[2:3], v[4:5], a[0:3]
	v_mov_b32_e32 v4, 0
	v_mov_b32_e32 v5, 0
	v_mfma_f32_16x16x16_bf16 a[4:7], v[2:3], v[8:9], a[4:7]
	v_mov_b32_e32 v8, 0
	v_mov_b32_e32 v9, 0
	;; [unrolled: 3-line block ×3, first 2 shown]
	v_mfma_f32_16x16x16_bf16 a[12:15], v[2:3], v[16:17], a[12:15]
	ds_read_b64 v[2:3], v108 offset:6144
	v_mov_b32_e32 v16, 0
	v_mov_b32_e32 v17, 0
	s_waitcnt lgkmcnt(2)
	v_mfma_f32_16x16x16_bf16 a[0:3], v[6:7], v[20:21], a[0:3]
	v_mfma_f32_16x16x16_bf16 a[4:7], v[6:7], v[18:19], a[4:7]
	s_waitcnt lgkmcnt(0)
	v_mfma_f32_16x16x16_bf16 a[8:11], v[6:7], v[2:3], a[8:11]
	v_mov_b32_e32 v2, 0
	v_mov_b32_e32 v3, 0
	v_mfma_f32_16x16x16_bf16 a[12:15], v[6:7], v[10:11], a[12:15]
	v_mov_b32_e32 v6, 0
	v_mov_b32_e32 v7, 0
	;; [unrolled: 1-line block ×4, first 2 shown]
	s_cbranch_vccnz .LBB111_12
; %bb.11:                               ;   in Loop: Header=BB111_6 Depth=1
	s_and_b32 s25, s25, 0xffff
	buffer_load_dwordx4 v[14:17], v84, s[24:27], 0 offen
	buffer_load_dwordx4 v[10:13], v84, s[24:27], s56 offen
	;; [unrolled: 1-line block ×4, first 2 shown]
	v_mov_b32_e32 v135, v86
	v_mov_b32_e32 v134, v87
.LBB111_12:                             ;   in Loop: Header=BB111_6 Depth=1
	ds_read_b64 v[142:143], v104 offset:57344
	ds_read2_b64 v[18:21], v112 offset1:16
	ds_read_b64 v[144:145], v106 offset:57344
	ds_read_b64 v[146:147], v110 offset:57344
	;; [unrolled: 1-line block ×3, first 2 shown]
	v_add_u32_e32 v137, s57, v128
	s_waitcnt lgkmcnt(3)
	v_mfma_f32_16x16x16_bf16 a[0:3], v[142:143], v[18:19], a[0:3]
	v_mfma_f32_16x16x16_bf16 a[4:7], v[142:143], v[20:21], a[4:7]
	ds_read2_b64 v[18:21], v112 offset0:32 offset1:48
	ds_read2st64_b64 v[22:25], v112 offset0:4 offset1:8
	ds_read2st64_b64 v[26:29], v113 offset0:4 offset1:8
	ds_read2st64_b64 v[30:33], v114 offset0:4 offset1:8
	ds_read2st64_b64 v[138:141], v115 offset0:4 offset1:8
	s_waitcnt lgkmcnt(4)
	v_mfma_f32_16x16x16_bf16 a[8:11], v[142:143], v[18:19], a[8:11]
	v_ashrrev_i32_e32 v18, 31, v137
	v_mfma_f32_16x16x16_bf16 a[12:15], v[142:143], v[20:21], a[12:15]
	v_mul_lo_u32 v20, v18, s34
	v_mul_lo_u32 v21, v137, s35
	v_mad_u64_u32 v[18:19], s[24:25], v137, s34, 0
	v_add3_u32 v19, v19, v21, v20
	v_add_u32_e32 v20, 1, v137
	v_ashrrev_i32_e32 v21, 31, v20
	s_waitcnt lgkmcnt(3)
	v_mfma_f32_16x16x16_bf16 a[0:3], v[144:145], v[22:23], a[0:3]
	v_mul_lo_u32 v22, v21, s34
	v_mul_lo_u32 v23, v20, s35
	v_mad_u64_u32 v[20:21], s[24:25], v20, s34, 0
	v_add3_u32 v21, v21, v23, v22
	v_add_u32_e32 v22, 2, v137
	v_ashrrev_i32_e32 v23, 31, v22
	s_waitcnt lgkmcnt(2)
	v_mfma_f32_16x16x16_bf16 a[4:7], v[144:145], v[26:27], a[4:7]
	v_mul_lo_u32 v26, v23, s34
	v_mul_lo_u32 v27, v22, s35
	v_mad_u64_u32 v[22:23], s[24:25], v22, s34, 0
	v_add3_u32 v23, v23, v27, v26
	v_add_u32_e32 v26, 3, v137
	v_lshl_add_u64 v[18:19], v[18:19], 2, s[40:41]
	v_lshl_add_u64 v[20:21], v[20:21], 2, s[40:41]
	v_ashrrev_i32_e32 v27, 31, v26
	s_waitcnt lgkmcnt(1)
	v_mfma_f32_16x16x16_bf16 a[8:11], v[144:145], v[30:31], a[8:11]
	v_mul_lo_u32 v27, v27, s34
	global_load_dword v30, v[18:19], off
	global_load_dword v137, v[20:21], off
	v_mul_lo_u32 v31, v26, s35
	v_mad_u64_u32 v[18:19], s[24:25], v26, s34, 0
	v_add3_u32 v19, v19, v31, v27
	s_add_u32 s24, s2, s57
	v_lshl_add_u64 v[22:23], v[22:23], 2, s[40:41]
	v_lshl_add_u64 v[18:19], v[18:19], 2, s[40:41]
	s_addc_u32 s25, s3, 0
	s_waitcnt lgkmcnt(0)
	v_mfma_f32_16x16x16_bf16 a[12:15], v[144:145], v[138:139], a[12:15]
	global_load_dword v31, v[22:23], off
	global_load_dword v138, v[18:19], off
	s_lshl_b64 s[24:25], s[24:25], 8
	v_lshl_add_u64 v[18:19], v[68:69], 0, s[24:25]
	v_lshl_add_u64 v[18:19], v[18:19], 0, v[66:67]
	global_load_ushort v139, v[18:19], off offset:256
	global_load_ushort v142, v[18:19], off
	global_load_ushort v143, v[18:19], off offset:768
	global_load_ushort v144, v[18:19], off offset:512
	;; [unrolled: 1-line block ×6, first 2 shown]
	s_load_dword s42, s[42:43], 0x0
	v_mfma_f32_16x16x16_bf16 a[12:15], v[146:147], v[140:141], a[12:15]
	global_load_ushort v140, v[18:19], off offset:320
	global_load_ushort v141, v[18:19], off offset:64
	s_and_b64 vcc, exec, s[0:1]
	v_mfma_f32_16x16x16_bf16 a[0:3], v[146:147], v[24:25], a[0:3]
	ds_read_b64 v[20:21], v112 offset:6144
	ds_read_b64 v[22:23], v113 offset:6144
	;; [unrolled: 1-line block ×4, first 2 shown]
	v_mfma_f32_16x16x16_bf16 a[4:7], v[146:147], v[28:29], a[4:7]
	s_waitcnt vmcnt(11) lgkmcnt(0)
	v_sub_f32_e32 v28, s42, v31
	v_mfma_f32_16x16x16_bf16 a[8:11], v[146:147], v[32:33], a[8:11]
	global_load_ushort v146, v[18:19], off offset:832
	global_load_ushort v147, v[18:19], off offset:576
	;; [unrolled: 1-line block ×6, first 2 shown]
	v_mfma_f32_16x16x16_bf16 a[0:3], v[148:149], v[20:21], a[0:3]
	s_waitcnt vmcnt(16)
	v_sub_f32_e32 v29, s42, v138
	v_mul_f32_e32 v28, 0x3fb8aa3b, v28
	v_mul_f32_e32 v29, 0x3fb8aa3b, v29
	v_exp_f32_e32 v28, v28
	v_exp_f32_e32 v29, v29
	s_waitcnt vmcnt(15)
	v_lshlrev_b32_e32 v33, 16, v139
	s_waitcnt vmcnt(14)
	v_lshlrev_b32_e32 v32, 16, v142
	v_accvgpr_read_b32 v21, a3
	v_accvgpr_read_b32 v20, a2
	v_mfma_f32_16x16x16_bf16 a[2:5], v[148:149], v[22:23], a[4:7]
	v_accvgpr_read_b32 v139, a1
	v_accvgpr_read_b32 v138, a0
	v_pk_add_f32 v[32:33], v[32:33], v[138:139] neg_lo:[0,1] neg_hi:[0,1]
	v_mfma_f32_16x16x16_bf16 a[6:9], v[148:149], v[24:25], a[8:11]
	s_waitcnt vmcnt(13)
	v_lshlrev_b32_e32 v139, 16, v143
	s_waitcnt vmcnt(12)
	v_lshlrev_b32_e32 v138, 16, v144
	v_pk_add_f32 v[20:21], v[138:139], v[20:21] neg_lo:[0,1] neg_hi:[0,1]
	v_accvgpr_read_b32 v139, a3
	v_accvgpr_read_b32 v138, a2
	;; [unrolled: 1-line block ×6, first 2 shown]
	v_mfma_f32_16x16x16_bf16 a[8:11], v[148:149], v[26:27], a[12:15]
	v_sub_f32_e32 v26, s42, v30
	v_sub_f32_e32 v27, s42, v137
	v_mul_f32_e32 v26, 0x3fb8aa3b, v26
	v_mul_f32_e32 v27, 0x3fb8aa3b, v27
	v_exp_f32_e32 v26, v26
	v_exp_f32_e32 v27, v27
	v_lshl_add_u64 v[30:31], v[70:71], 0, s[24:25]
	v_lshl_add_u64 v[30:31], v[30:31], 0, v[66:67]
	global_store_short_d16_hi v[30:31], v32, off
	global_store_short_d16_hi v[30:31], v33, off offset:256
	global_store_short_d16_hi v[30:31], v20, off offset:512
	;; [unrolled: 1-line block ×3, first 2 shown]
	v_pk_mul_f32 v[32:33], v[26:27], v[32:33]
	v_pk_mul_f32 v[20:21], v[28:29], v[20:21]
	v_accvgpr_read_b32 v25, a11
	v_perm_b32 v21, v21, v20, s37
	v_perm_b32 v20, v33, v32, s37
	s_waitcnt vmcnt(15)
	v_lshlrev_b32_e32 v33, 16, v145
	s_waitcnt vmcnt(14)
	v_lshlrev_b32_e32 v32, 16, v150
	v_pk_add_f32 v[32:33], v[32:33], v[138:139] neg_lo:[0,1] neg_hi:[0,1]
	s_waitcnt vmcnt(13)
	v_lshlrev_b32_e32 v139, 16, v151
	s_waitcnt vmcnt(12)
	v_lshlrev_b32_e32 v138, 16, v152
	v_pk_add_f32 v[22:23], v[138:139], v[22:23] neg_lo:[0,1] neg_hi:[0,1]
	global_store_short_d16_hi v[30:31], v32, off offset:32
	global_store_short_d16_hi v[30:31], v33, off offset:288
	;; [unrolled: 1-line block ×4, first 2 shown]
	v_pk_mul_f32 v[32:33], v[26:27], v[32:33]
	v_pk_mul_f32 v[22:23], v[28:29], v[22:23]
	v_accvgpr_read_b32 v24, a10
	v_perm_b32 v23, v23, v22, s37
	v_perm_b32 v22, v33, v32, s37
	ds_write2_b64 v89, v[20:21], v[22:23] offset1:16
	v_accvgpr_read_b32 v23, a7
	s_waitcnt vmcnt(15)
	v_lshlrev_b32_e32 v21, 16, v140
	s_waitcnt vmcnt(14)
	v_lshlrev_b32_e32 v20, 16, v141
	v_accvgpr_read_b32 v22, a6
	v_pk_add_f32 v[20:21], v[20:21], v[22:23] neg_lo:[0,1] neg_hi:[0,1]
	global_store_short_d16_hi v[30:31], v20, off offset:64
	global_store_short_d16_hi v[30:31], v21, off offset:320
	v_pk_mul_f32 v[20:21], v[26:27], v[20:21]
	v_mov_b32_e32 v137, 0
	v_perm_b32 v20, v21, v20, s37
	v_mov_b32_e32 v32, 0
	v_mov_b32_e32 v33, 0
	s_waitcnt vmcnt(15)
	v_lshlrev_b32_e32 v23, 16, v146
	s_waitcnt vmcnt(14)
	v_lshlrev_b32_e32 v22, 16, v147
	v_pk_add_f32 v[18:19], v[22:23], v[18:19] neg_lo:[0,1] neg_hi:[0,1]
	global_store_short_d16_hi v[30:31], v18, off offset:576
	global_store_short_d16_hi v[30:31], v19, off offset:832
	v_pk_mul_f32 v[18:19], v[28:29], v[18:19]
	v_accvgpr_read_b32 v23, a9
	v_perm_b32 v21, v19, v18, s37
	s_waitcnt vmcnt(15)
	v_lshlrev_b32_e32 v19, 16, v153
	s_waitcnt vmcnt(14)
	v_lshlrev_b32_e32 v18, 16, v154
	v_accvgpr_read_b32 v22, a8
	v_pk_add_f32 v[18:19], v[18:19], v[22:23] neg_lo:[0,1] neg_hi:[0,1]
	s_waitcnt vmcnt(13)
	v_lshlrev_b32_e32 v23, 16, v155
	s_waitcnt vmcnt(12)
	v_lshlrev_b32_e32 v22, 16, v156
	v_pk_add_f32 v[22:23], v[22:23], v[24:25] neg_lo:[0,1] neg_hi:[0,1]
	global_store_short_d16_hi v[30:31], v18, off offset:96
	global_store_short_d16_hi v[30:31], v19, off offset:352
	;; [unrolled: 1-line block ×4, first 2 shown]
	v_pk_mul_f32 v[18:19], v[26:27], v[18:19]
	v_pk_mul_f32 v[22:23], v[28:29], v[22:23]
	v_mov_b32_e32 v24, 0
	v_perm_b32 v23, v23, v22, s37
	v_perm_b32 v22, v19, v18, s37
	ds_write2_b64 v89, v[20:21], v[22:23] offset0:32 offset1:48
	v_mov_b32_e32 v18, 0
	v_mov_b32_e32 v19, 0
	v_mov_b32_e32 v20, 0
	v_mov_b32_e32 v21, 0
	v_mov_b32_e32 v22, 0
	v_mov_b32_e32 v23, 0
	v_mov_b32_e32 v25, 0
	v_mov_b32_e32 v26, 0
	v_mov_b32_e32 v27, 0
	v_mov_b32_e32 v28, 0
	v_mov_b32_e32 v29, 0
	v_mov_b32_e32 v30, 0
	v_mov_b32_e32 v31, 0
	s_cbranch_vccnz .LBB111_14
; %bb.13:                               ;   in Loop: Header=BB111_6 Depth=1
	s_and_b32 s29, s29, 0xffff
	s_mov_b32 s31, s27
	buffer_load_dwordx4 v[30:33], v126, s[28:31], 0 offen
	buffer_load_dwordx4 v[22:25], v126, s[28:31], s56 offen
	;; [unrolled: 1-line block ×4, first 2 shown]
	v_mov_b32_e32 v136, v83
	v_mov_b32_e32 v137, v82
.LBB111_14:                             ;   in Loop: Header=BB111_6 Depth=1
	s_waitcnt lgkmcnt(0)
	s_barrier
	ds_read_b64 v[146:147], v129
	ds_read2_b64 v[138:141], v119 offset1:16
	ds_read_b64 v[162:163], v130
	ds_read_b64 v[164:165], v131
	;; [unrolled: 1-line block ×3, first 2 shown]
	ds_read2_b64 v[142:145], v119 offset0:32 offset1:48
	s_waitcnt lgkmcnt(4)
	v_mfma_f32_16x16x16_bf16 a[0:3], v[146:147], v[138:139], 0
	ds_read2st64_b64 v[150:153], v121 offset0:4 offset1:8
	ds_read2st64_b64 v[154:157], v122 offset0:4 offset1:8
	;; [unrolled: 1-line block ×3, first 2 shown]
	v_mfma_f32_16x16x16_bf16 a[4:7], v[146:147], v[140:141], 0
	s_add_i32 s24, s50, s64
	s_mul_hi_i32 s25, s24, s17
	s_mul_i32 s24, s24, s17
	s_waitcnt lgkmcnt(3)
	v_mfma_f32_16x16x16_bf16 a[8:11], v[146:147], v[142:143], 0
	s_add_u32 s24, s24, s33
	s_addc_u32 s25, s25, s54
	s_lshl_b64 s[24:25], s[24:25], 15
	v_mfma_f32_16x16x16_bf16 a[12:15], v[146:147], v[144:145], 0
	ds_read2st64_b64 v[146:149], v119 offset0:4 offset1:8
	s_waitcnt lgkmcnt(0)
	v_mfma_f32_16x16x16_bf16 a[0:3], v[162:163], v[146:147], a[0:3]
	v_mfma_f32_16x16x16_bf16 a[4:7], v[162:163], v[150:151], a[4:7]
	;; [unrolled: 1-line block ×8, first 2 shown]
	ds_read_b64 v[162:163], v119 offset:6144
	ds_read_b64 v[164:165], v120 offset:40960
	;; [unrolled: 1-line block ×8, first 2 shown]
	s_waitcnt lgkmcnt(5)
	v_mfma_f32_16x16x16_bf16 a[16:19], v[168:169], v[138:139], 0
	v_mfma_f32_16x16x16_bf16 a[20:23], v[168:169], v[140:141], 0
	ds_read2st64_b64 v[138:141], v116 offset1:8
	v_mfma_f32_16x16x16_bf16 a[24:27], v[168:169], v[142:143], 0
	v_mfma_f32_16x16x16_bf16 a[28:31], v[168:169], v[144:145], 0
	ds_read2st64_b64 v[142:145], v117 offset1:8
	v_mfma_f32_16x16x16_bf16 a[16:19], v[164:165], v[146:147], a[16:19]
	s_waitcnt lgkmcnt(1)
	v_mov_b32_e32 v146, v138
	v_mov_b32_e32 v147, v139
	v_mfma_f32_16x16x16_bf16 a[20:23], v[164:165], v[150:151], a[20:23]
	v_lshl_add_u64 v[150:151], v[72:73], 0, s[24:25]
	v_mfma_f32_16x16x16_bf16 a[24:27], v[164:165], v[154:155], a[24:27]
	v_mfma_f32_16x16x16_bf16 a[28:31], v[164:165], v[158:159], a[28:31]
	;; [unrolled: 1-line block ×3, first 2 shown]
	s_waitcnt lgkmcnt(0)
	v_mov_b32_e32 v148, v142
	v_mov_b32_e32 v149, v143
	;; [unrolled: 1-line block ×3, first 2 shown]
	v_mfma_f32_16x16x16_bf16 a[32:35], v[176:177], v[152:153], a[20:23]
	v_mov_b32_e32 v143, v141
	ds_read2st64_b64 v[138:141], v116 offset0:16 offset1:24
	global_store_dwordx4 v[150:151], v[146:149], off
	v_mfma_f32_16x16x16_bf16 a[24:27], v[176:177], v[156:157], a[24:27]
	ds_read2st64_b64 v[146:149], v117 offset0:16 offset1:24
	v_add_co_u32_e32 v152, vcc, s39, v150
	v_mfma_f32_16x16x16_bf16 a[28:31], v[176:177], v[160:161], a[28:31]
	s_nop 0
	v_addc_co_u32_e32 v153, vcc, 0, v151, vcc
	global_store_dwordx4 v[152:153], v[142:145], off offset:-4096
	v_mfma_f32_16x16x16_bf16 a[0:3], v[166:167], v[162:163], a[0:3]
	s_waitcnt lgkmcnt(1)
	v_mov_b32_e32 v142, v138
	v_add_co_u32_e32 v138, vcc, s62, v150
	v_mfma_f32_16x16x16_bf16 a[4:7], v[166:167], v[170:171], a[4:7]
	v_mov_b32_e32 v143, v139
	v_addc_co_u32_e32 v139, vcc, 0, v151, vcc
	v_mfma_f32_16x16x16_bf16 a[8:11], v[166:167], v[172:173], a[8:11]
	s_waitcnt lgkmcnt(0)
	v_mov_b32_e32 v144, v146
	v_mov_b32_e32 v145, v147
	;; [unrolled: 1-line block ×3, first 2 shown]
	v_mfma_f32_16x16x16_bf16 a[12:15], v[166:167], v[174:175], a[12:15]
	v_mov_b32_e32 v147, v141
	s_and_b64 vcc, exec, s[0:1]
	global_store_dwordx4 v[152:153], v[142:145], off
	v_mfma_f32_16x16x16_bf16 a[20:23], v[178:179], v[162:163], a[16:19]
	global_store_dwordx4 v[138:139], v[146:149], off
	v_mfma_f32_16x16x16_bf16 a[16:19], v[178:179], v[170:171], a[32:35]
	v_mfma_f32_16x16x16_bf16 a[24:27], v[178:179], v[172:173], a[24:27]
	;; [unrolled: 1-line block ×3, first 2 shown]
	s_cbranch_vccnz .LBB111_16
; %bb.15:                               ;   in Loop: Header=BB111_6 Depth=1
	v_lshrrev_b32_e32 v138, 3, v136
	v_and_b32_e32 v138, 6, v138
	v_xor_b32_e32 v137, v138, v137
	v_lshlrev_b32_e32 v137, 2, v137
	v_and_b32_e32 v136, 8, v136
	v_xor_b32_e32 v139, 0x440, v137
	v_cmp_eq_u32_e32 vcc, 0, v136
	s_barrier
	s_nop 0
	v_cndmask_b32_e32 v136, v139, v137, vcc
	v_lshl_or_b32 v136, v138, 10, v136
	s_waitcnt vmcnt(5)
	v_perm_b32 v137, v30, v26, s58
	s_waitcnt vmcnt(4)
	v_perm_b32 v138, v22, v18, s58
	ds_write2st64_b32 v136, v137, v138 offset0:128 offset1:160
	v_xor_b32_e32 v137, 8, v136
	v_perm_b32 v26, v30, v26, s59
	v_perm_b32 v18, v22, v18, s59
	v_add_u32_e32 v22, 0x80, v137
	ds_write2st64_b32 v22, v26, v18 offset0:128 offset1:160
	v_xor_b32_e32 v18, 16, v136
	v_perm_b32 v22, v31, v27, s58
	v_perm_b32 v26, v23, v19, s58
	ds_write2st64_b32 v18, v22, v26 offset0:129 offset1:161
	v_xor_b32_e32 v18, 24, v136
	v_perm_b32 v22, v31, v27, s59
	v_perm_b32 v19, v23, v19, s59
	v_add_u32_e32 v18, 0x80, v18
	ds_write2st64_b32 v18, v22, v19 offset0:129 offset1:161
	v_xor_b32_e32 v18, 32, v136
	v_perm_b32 v19, v32, v28, s58
	;; [unrolled: 9-line block ×3, first 2 shown]
	v_perm_b32 v20, v25, v21, s58
	ds_write2st64_b32 v18, v19, v20 offset0:131 offset1:163
	v_xor_b32_e32 v18, 56, v136
	v_perm_b32 v19, v33, v29, s59
	v_perm_b32 v20, v25, v21, s59
	v_add_u32_e32 v18, 0x80, v18
	ds_write2st64_b32 v18, v19, v20 offset0:131 offset1:163
	ds_write_b64 v135, v[14:15] offset:49152
	v_xor_b32_e32 v14, 8, v135
	ds_write_b64 v14, v[16:17] offset:49152
	ds_write_b64 v135, v[10:11] offset:57344
	;; [unrolled: 1-line block ×4, first 2 shown]
	v_xor_b32_e32 v6, 8, v134
	ds_write_b64 v6, v[8:9] offset:49152
	ds_write_b64 v134, v[2:3] offset:57344
	;; [unrolled: 1-line block ×3, first 2 shown]
.LBB111_16:                             ;   in Loop: Header=BB111_6 Depth=1
	s_waitcnt vmcnt(6)
	v_mul_f32_e32 v22, s42, v133
	v_exp_f32_e32 v134, v22
	v_accvgpr_read_b32 v5, a3
	v_accvgpr_read_b32 v9, a7
	;; [unrolled: 1-line block ×4, first 2 shown]
	s_waitcnt vmcnt(4)
	v_accvgpr_read_b32 v18, a20
	v_accvgpr_read_b32 v25, a19
	;; [unrolled: 1-line block ×28, first 2 shown]
	s_add_i32 s57, s57, 64
	v_pk_fma_f32 v[62:63], v[134:135], v[62:63], v[2:3] op_sel_hi:[0,1,1]
	v_pk_fma_f32 v[64:65], v[134:135], v[64:65], v[4:5] op_sel_hi:[0,1,1]
	;; [unrolled: 1-line block ×15, first 2 shown]
	s_cmp_eq_u32 s48, s63
	v_pk_fma_f32 v[38:39], v[134:135], v[38:39], v[32:33] op_sel_hi:[0,1,1]
	s_cbranch_scc1 .LBB111_18
; %bb.17:                               ;   in Loop: Header=BB111_6 Depth=1
	s_mov_b32 s64, s63
	s_branch .LBB111_6
.LBB111_18:
	s_lshl_b32 s42, s48, 6
	s_sub_i32 s43, s16, s42
	s_cmp_gt_i32 s43, 0
	s_cbranch_scc0 .LBB111_99
; %bb.19:
	s_ashr_i32 s39, s47, 31
	s_ashr_i32 s2, s42, 31
	s_cmpk_lg_i32 s19, 0x80
	s_cselect_b64 s[30:31], -1, 0
	s_and_b64 vcc, exec, s[30:31]
	s_cbranch_vccz .LBB111_21
; %bb.20:
	s_mul_i32 s1, s47, s16
	s_mul_hi_i32 s0, s47, s16
	s_add_u32 s1, s1, s42
	s_addc_u32 s0, s0, s2
	s_mul_i32 s3, s1, s49
	s_mul_hi_u32 s24, s1, s18
	s_add_i32 s3, s24, s3
	s_mul_i32 s0, s0, s18
	s_add_i32 s3, s3, s0
	s_mul_i32 s1, s1, s18
	s_ashr_i32 s0, s52, 31
	s_add_u32 s40, s1, s52
	s_addc_u32 s41, s3, s0
	s_cbranch_execz .LBB111_22
	s_branch .LBB111_23
.LBB111_21:
                                        ; implicit-def: $sgpr40_sgpr41
.LBB111_22:
	s_mul_hi_i32 s0, s47, s18
	s_mul_i32 s47, s47, s18
	s_ashr_i32 s1, s52, 31
	s_add_u32 s3, s47, s52
	s_addc_u32 s0, s0, s1
	s_mul_i32 s1, s3, s46
	s_mul_hi_u32 s18, s3, s16
	s_add_i32 s1, s18, s1
	s_mul_i32 s0, s0, s16
	s_add_i32 s1, s1, s0
	s_mul_i32 s3, s3, s16
	s_add_u32 s40, s3, s42
	s_addc_u32 s41, s1, s2
.LBB111_23:
	s_add_i32 s3, s50, s48
	s_ashr_i32 s18, s33, 31
	s_add_u32 s0, s45, s33
	s_addc_u32 s1, s51, s18
	s_mul_i32 s24, s0, s46
	s_mul_hi_u32 s25, s0, s16
	s_add_i32 s24, s25, s24
	s_mul_i32 s1, s1, s16
	s_add_i32 s24, s24, s1
	s_mul_i32 s0, s0, s16
	s_add_u32 s0, s0, s42
	v_lshlrev_b32_e32 v6, 6, v80
	v_lshlrev_b32_e32 v24, 2, v74
	s_addc_u32 s1, s24, s2
	s_mov_b32 s2, 0x7060302
	v_or_b32_e32 v9, v6, v24
	v_xor_b32_e32 v7, v80, v24
	v_perm_b32 v3, v65, v64, s2
	v_perm_b32 v2, v63, v62, s2
	;; [unrolled: 1-line block ×4, first 2 shown]
	v_lshlrev_b32_e32 v9, 1, v9
	v_xor_b32_e32 v8, v81, v24
	ds_write2st64_b64 v9, v[2:3], v[4:5] offset0:32 offset1:48
	v_lshlrev_b32_e32 v7, 1, v7
	v_lshlrev_b32_e32 v9, 8, v74
	v_or_b32_e32 v10, v7, v9
	v_lshlrev_b32_e32 v8, 1, v8
	ds_write_b64 v10, v[2:3]
	v_or_b32_e32 v2, v8, v9
	v_or_b32_e32 v9, 16, v74
	v_lshlrev_b32_e32 v23, 2, v9
	v_or_b32_e32 v10, v6, v23
	ds_write_b64 v2, v[4:5]
	v_perm_b32 v3, v57, v56, s2
	v_perm_b32 v2, v55, v54, s2
	;; [unrolled: 1-line block ×4, first 2 shown]
	v_lshlrev_b32_e32 v10, 1, v10
	v_lshlrev_b32_e32 v9, 8, v9
	ds_write2st64_b64 v10, v[2:3], v[4:5] offset0:32 offset1:48
	v_or_b32_e32 v10, v7, v9
	ds_write_b64 v10, v[2:3]
	v_or_b32_e32 v2, v8, v9
	v_or_b32_e32 v9, 32, v74
	v_lshlrev_b32_e32 v22, 2, v9
	v_or_b32_e32 v10, v6, v22
	s_lshl_b64 s[28:29], s[0:1], 8
	ds_write_b64 v2, v[4:5]
	v_perm_b32 v3, v49, v48, s2
	v_perm_b32 v2, v47, v46, s2
	;; [unrolled: 1-line block ×4, first 2 shown]
	v_lshlrev_b32_e32 v10, 1, v10
	v_lshlrev_b32_e32 v9, 8, v9
	s_add_u32 s0, s6, s28
	ds_write2st64_b64 v10, v[2:3], v[4:5] offset0:32 offset1:48
	v_or_b32_e32 v10, v7, v9
	s_addc_u32 s1, s7, s29
	ds_write_b64 v10, v[2:3]
	v_or_b32_e32 v2, v8, v9
	v_or_b32_e32 v9, 48, v74
	s_mul_hi_i32 s6, s3, s17
	s_mul_i32 s3, s3, s17
	ds_write_b64 v2, v[4:5]
	v_perm_b32 v3, v35, v34, s2
	v_perm_b32 v2, v41, v40, s2
	;; [unrolled: 1-line block ×4, first 2 shown]
	v_lshlrev_b32_e32 v19, 2, v9
	s_add_u32 s2, s3, s33
	v_or_b32_e32 v6, v6, v19
	s_addc_u32 s3, s6, s18
	v_lshlrev_b32_e32 v6, 1, v6
	s_ashr_i32 s37, s36, 31
	s_lshl_b64 s[2:3], s[2:3], 15
	ds_write2st64_b64 v6, v[2:3], v[4:5] offset0:32 offset1:48
	v_lshlrev_b32_e32 v6, 8, v9
	s_add_u32 s6, s12, s2
	v_or_b32_e32 v7, v7, v6
	s_addc_u32 s7, s13, s3
	s_lshl_b64 s[2:3], s[36:37], 8
	ds_write_b64 v7, v[2:3]
	v_or_b32_e32 v2, v8, v6
	s_add_u32 s2, s6, s2
	v_lshlrev_b32_e32 v3, 1, v74
	ds_write_b64 v2, v[4:5]
	v_lshrrev_b32_e32 v2, 4, v0
	s_addc_u32 s3, s7, s3
	v_or_b32_e32 v4, 1, v3
	v_lshlrev_b32_e32 v10, 4, v74
	v_mov_b32_e32 v11, 0
	v_xor_b32_e32 v3, v2, v3
	v_xor_b32_e32 v6, v4, v2
	v_lshl_add_u64 v[12:13], s[2:3], 0, v[10:11]
	v_lshlrev_b32_e32 v10, 8, v2
	v_lshl_or_b32 v16, v3, 3, v10
	v_lshl_or_b32 v17, v6, 3, v10
	s_waitcnt lgkmcnt(0)
	s_barrier
	ds_read2st64_b64 v[2:5], v16 offset1:8
	ds_read2st64_b64 v[6:9], v17 offset1:8
	v_lshl_add_u64 v[14:15], v[12:13], 0, v[10:11]
	s_movk_i32 s2, 0x2000
	s_cmp_lg_u32 s43, 64
	s_waitcnt lgkmcnt(1)
	v_mov_b32_e32 v10, v2
	v_mov_b32_e32 v11, v3
	s_waitcnt lgkmcnt(0)
	v_mov_b32_e32 v12, v6
	v_mov_b32_e32 v13, v7
	global_store_dwordx4 v[14:15], v[10:13], off
	v_mov_b32_e32 v6, v4
	v_mov_b32_e32 v7, v5
	ds_read2st64_b64 v[2:5], v16 offset0:16 offset1:24
	ds_read2st64_b64 v[10:13], v17 offset0:16 offset1:24
	v_add_co_u32_e32 v16, vcc, s2, v14
	s_cselect_b64 s[6:7], -1, 0
	s_nop 0
	v_addc_co_u32_e32 v17, vcc, 0, v15, vcc
	global_store_dwordx4 v[16:17], v[6:9], off offset:-4096
	v_lshl_or_b32 v25, v76, 3, v79
	s_mov_b32 s24, 0
	s_waitcnt lgkmcnt(1)
	v_mov_b32_e32 v6, v2
	v_add_co_u32_e32 v2, vcc, 0x3000, v14
	v_mov_b32_e32 v7, v3
	s_nop 0
	v_addc_co_u32_e32 v3, vcc, 0, v15, vcc
	s_waitcnt lgkmcnt(0)
	v_mov_b32_e32 v8, v10
	v_mov_b32_e32 v9, v11
	;; [unrolled: 1-line block ×4, first 2 shown]
	v_or_b32_e32 v20, 32, v25
	v_and_b32_e32 v18, 56, v78
	s_and_b64 vcc, exec, s[6:7]
	global_store_dwordx4 v[16:17], v[6:9], off
	global_store_dwordx4 v[2:3], v[10:13], off
	s_cbranch_vccz .LBB111_29
; %bb.24:
	s_mov_b32 s25, s24
	s_mov_b32 s26, s24
	;; [unrolled: 1-line block ×3, first 2 shown]
	v_mov_b64_e32 v[6:7], s[24:25]
	v_mov_b64_e32 v[8:9], s[26:27]
	;; [unrolled: 1-line block ×3, first 2 shown]
	v_cmp_gt_i32_e32 vcc, s43, v25
	v_mov_b64_e32 v[4:5], v[8:9]
	s_and_saveexec_b64 s[2:3], vcc
	s_cbranch_execz .LBB111_26
; %bb.25:
	v_lshlrev_b32_e32 v2, 8, v25
	v_mov_b32_e32 v3, 0
	v_lshl_add_u64 v[4:5], s[0:1], 0, v[2:3]
	v_lshlrev_b32_e32 v2, 1, v18
	v_lshl_add_u64 v[10:11], v[4:5], 0, v[2:3]
	global_load_dwordx4 v[6:9], v[10:11], off
	global_load_dwordx4 v[2:5], v[10:11], off offset:128
.LBB111_26:
	s_or_b64 exec, exec, s[2:3]
	s_mov_b32 s25, s24
	s_mov_b32 s26, s24
	s_mov_b32 s27, s24
	v_mov_b64_e32 v[14:15], s[24:25]
	v_mov_b64_e32 v[16:17], s[26:27]
	;; [unrolled: 1-line block ×3, first 2 shown]
	v_cmp_gt_i32_e32 vcc, s43, v20
	v_lshlrev_b32_e32 v21, 7, v20
	v_mov_b64_e32 v[12:13], v[16:17]
	s_and_saveexec_b64 s[2:3], vcc
	s_cbranch_execz .LBB111_28
; %bb.27:
	v_lshlrev_b32_e32 v10, 1, v21
	v_mov_b32_e32 v11, 0
	v_lshl_add_u64 v[12:13], s[0:1], 0, v[10:11]
	v_lshlrev_b32_e32 v10, 1, v18
	v_lshl_add_u64 v[26:27], v[12:13], 0, v[10:11]
	global_load_dwordx4 v[14:17], v[26:27], off
	global_load_dwordx4 v[10:13], v[26:27], off offset:128
.LBB111_28:
	s_or_b64 exec, exec, s[2:3]
	v_lshrrev_b32_e32 v26, 3, v18
	v_lshlrev_b32_e32 v27, 3, v25
	v_or_b32_e32 v26, v27, v26
	v_lshlrev_b32_e32 v26, 4, v26
	v_and_b32_e32 v27, 0x78, v27
	v_xor_b32_e32 v26, v26, v27
	s_branch .LBB111_31
.LBB111_29:
                                        ; implicit-def: $vgpr26
                                        ; implicit-def: $vgpr21
                                        ; implicit-def: $vgpr6_vgpr7_vgpr8_vgpr9
                                        ; implicit-def: $vgpr2_vgpr3_vgpr4_vgpr5
                                        ; implicit-def: $vgpr14_vgpr15_vgpr16_vgpr17
                                        ; implicit-def: $vgpr10_vgpr11_vgpr12_vgpr13
	s_cbranch_execz .LBB111_31
; %bb.30:
	s_waitcnt vmcnt(0)
	v_lshlrev_b32_e32 v2, 1, v18
	v_lshl_or_b32 v21, v25, 8, v2
	s_and_b32 s1, s1, 0xffff
	s_mov_b32 s3, 0x20000
	s_movk_i32 s2, 0x4000
	v_lshl_or_b32 v26, v20, 8, v2
	s_movk_i32 s12, 0x80
	buffer_load_dwordx4 v[6:9], v21, s[0:3], 0 offen
	buffer_load_dwordx4 v[2:5], v21, s[0:3], s12 offen
	;; [unrolled: 1-line block ×4, first 2 shown]
	v_lshrrev_b32_e32 v21, 3, v18
	v_lshlrev_b32_e32 v26, 3, v25
	v_or_b32_e32 v21, v26, v21
	v_lshlrev_b32_e32 v21, 4, v21
	v_and_b32_e32 v26, 0x78, v26
	v_xor_b32_e32 v26, v21, v26
	v_lshlrev_b32_e32 v21, 7, v20
.LBB111_31:
	s_movk_i32 s0, 0x1000
	v_and_or_b32 v20, v21, s0, v26
	s_waitcnt vmcnt(1)
	ds_write_b64 v26, v[6:7] offset:49152
	v_xor_b32_e32 v6, 8, v26
	ds_write_b64 v6, v[8:9] offset:49152
	s_waitcnt vmcnt(0)
	ds_write_b64 v26, v[2:3] offset:57344
	ds_write_b64 v6, v[4:5] offset:57344
	;; [unrolled: 1-line block ×3, first 2 shown]
	v_xor_b32_e32 v2, 8, v20
	ds_write_b64 v2, v[16:17] offset:49152
	ds_write_b64 v20, v[10:11] offset:57344
	;; [unrolled: 1-line block ×3, first 2 shown]
	v_or_b32_e32 v2, v1, v74
	v_lshlrev_b32_e32 v3, 11, v76
	v_lshlrev_b32_e32 v2, 3, v2
	v_and_b32_e32 v6, 0x1000, v3
	v_lshrrev_b32_e32 v3, 5, v75
	s_movk_i32 s0, 0xf8
	v_and_or_b32 v3, v2, s0, v3
	v_lshlrev_b32_e32 v7, 4, v3
	v_and_b32_e32 v8, 0x78, v2
	v_or_b32_e32 v10, 32, v7
	v_lshrrev_b32_e32 v3, 1, v75
	v_xor_b32_e32 v10, v10, v8
	v_xor_b32_e32 v2, v7, v8
	v_and_b32_e32 v9, 8, v3
	v_or_b32_e32 v10, v10, v6
	v_or_b32_e32 v2, v2, v6
	v_xor_b32_e32 v28, v10, v9
	v_or_b32_e32 v10, 64, v7
	v_xor_b32_e32 v27, v2, v9
	v_xor_b32_e32 v10, v10, v8
	s_waitcnt lgkmcnt(0)
	s_barrier
	v_or_b32_e32 v13, v10, v6
	ds_read_b64 v[10:11], v27 offset:49152
	v_lshl_or_b32 v14, v77, 8, v24
	v_lshlrev_b32_e32 v26, 1, v14
	v_add_u32_e32 v12, 0x4000, v26
	ds_read2_b64 v[2:5], v12 offset1:16
	v_or_b32_e32 v7, 0x60, v7
	v_xor_b32_e32 v7, v7, v8
	v_or_b32_e32 v6, v7, v6
	v_xor_b32_e32 v29, v13, v9
	v_xor_b32_e32 v30, v6, v9
	ds_read_b64 v[20:21], v28 offset:49152
	ds_read_b64 v[34:35], v29 offset:49152
	ds_read_b64 v[36:37], v30 offset:49152
	s_waitcnt lgkmcnt(3)
	v_mfma_f32_16x16x16_bf16 a[0:3], v[10:11], v[2:3], 0
	ds_read2_b64 v[6:9], v12 offset0:32 offset1:48
	s_lshl_b64 s[0:1], s[40:41], 8
	s_add_u32 s4, s4, s0
	v_mfma_f32_16x16x16_bf16 a[4:7], v[10:11], v[4:5], 0
	ds_read2st64_b64 v[2:5], v26 offset0:36 offset1:40
	s_addc_u32 s5, s5, s1
	s_add_i32 s2, s16, -1
	s_waitcnt lgkmcnt(1)
	v_mfma_f32_16x16x16_bf16 a[8:11], v[10:11], v[6:7], 0
	v_or_b32_e32 v6, 64, v14
	v_lshlrev_b32_e32 v31, 1, v6
	s_add_i32 s0, s44, s21
	s_waitcnt lgkmcnt(0)
	v_mfma_f32_16x16x16_bf16 a[0:3], v[20:21], v[2:3], a[0:3]
	v_or_b32_e32 v2, 0x80, v14
	v_lshlrev_b32_e32 v32, 1, v2
	v_or_b32_e32 v2, 0xc0, v14
	v_mfma_f32_16x16x16_bf16 a[12:15], v[10:11], v[8:9], 0
	ds_read2st64_b64 v[6:9], v31 offset0:36 offset1:40
	v_lshlrev_b32_e32 v33, 1, v2
	ds_read2st64_b64 v[10:13], v32 offset0:36 offset1:40
	ds_read2st64_b64 v[14:17], v33 offset0:36 offset1:40
	s_mul_i32 s39, s39, s20
	s_add_i32 s39, s0, s39
	s_mul_i32 s0, s33, s23
	s_mul_hi_u32 s1, s33, s22
	s_ashr_i32 s3, s2, 31
	s_mul_i32 s12, s2, s35
	s_mul_hi_u32 s13, s2, s34
	s_waitcnt lgkmcnt(2)
	v_mfma_f32_16x16x16_bf16 a[4:7], v[20:21], v[6:7], a[4:7]
	s_add_i32 s0, s1, s0
	s_mul_i32 s1, s18, s22
	s_add_i32 s12, s13, s12
	s_mul_i32 s3, s3, s34
	s_waitcnt lgkmcnt(1)
	v_mfma_f32_16x16x16_bf16 a[8:11], v[20:21], v[10:11], a[8:11]
	s_add_i32 s1, s0, s1
	s_add_i32 s3, s12, s3
	s_lshl_b64 s[12:13], s[38:39], 2
	s_waitcnt lgkmcnt(0)
	v_mfma_f32_16x16x16_bf16 a[12:15], v[20:21], v[14:15], a[12:15]
	s_mul_i32 s0, s33, s22
	s_add_u32 s10, s10, s12
	s_addc_u32 s11, s11, s13
	s_lshl_b64 s[0:1], s[0:1], 2
	v_mfma_f32_16x16x16_bf16 a[0:3], v[34:35], v[4:5], a[0:3]
	s_mul_i32 s2, s2, s34
	ds_read_b64 v[2:3], v26 offset:22528
	s_add_u32 s10, s10, s0
	v_mfma_f32_16x16x16_bf16 a[4:7], v[34:35], v[8:9], a[4:7]
	ds_read_b64 v[4:5], v31 offset:22528
	ds_read_b64 v[6:7], v32 offset:22528
	;; [unrolled: 1-line block ×3, first 2 shown]
	s_addc_u32 s11, s11, s1
	s_lshl_b64 s[0:1], s[2:3], 2
	v_mfma_f32_16x16x16_bf16 a[8:11], v[34:35], v[12:13], a[8:11]
	s_add_u32 s0, s10, s0
	s_addc_u32 s1, s11, s1
	s_load_dword s12, s[0:1], 0x0
	v_mfma_f32_16x16x16_bf16 a[12:15], v[34:35], v[16:17], a[12:15]
	s_and_b64 vcc, exec, s[30:31]
	s_waitcnt lgkmcnt(0)
	v_mfma_f32_16x16x16_bf16 a[0:3], v[36:37], v[2:3], a[0:3]
	v_mfma_f32_16x16x16_bf16 a[4:7], v[36:37], v[4:5], a[4:7]
	;; [unrolled: 1-line block ×4, first 2 shown]
	s_cbranch_vccz .LBB111_42
; %bb.32:
	v_lshlrev_b32_e32 v20, 1, v25
	s_and_b64 vcc, exec, s[6:7]
	s_cbranch_vccz .LBB111_43
; %bb.33:
	v_cmp_gt_i32_e32 vcc, s43, v20
	v_mov_b32_e32 v6, 0
	v_mov_b32_e32 v2, 0
	;; [unrolled: 1-line block ×5, first 2 shown]
	s_and_saveexec_b64 s[0:1], vcc
	s_cbranch_execz .LBB111_35
; %bb.34:
	v_mad_i64_i32 v[2:3], s[2:3], s19, v20, 0
	v_lshl_add_u64 v[2:3], v[2:3], 1, s[4:5]
	v_lshlrev_b32_e32 v4, 1, v18
	v_mov_b32_e32 v5, 0
	v_lshl_add_u64 v[2:3], v[2:3], 0, v[4:5]
	global_load_dwordx4 v[2:5], v[2:3], off
.LBB111_35:
	s_or_b64 exec, exec, s[0:1]
	v_or_b32_e32 v21, 1, v20
	v_cmp_gt_i32_e64 s[0:1], s43, v21
	v_mov_b32_e32 v7, 0
	v_mov_b32_e32 v8, 0
	;; [unrolled: 1-line block ×3, first 2 shown]
	s_and_saveexec_b64 s[2:3], s[0:1]
	s_cbranch_execz .LBB111_37
; %bb.36:
	v_mad_i64_i32 v[6:7], s[16:17], s19, v21, 0
	v_lshl_add_u64 v[6:7], v[6:7], 1, s[4:5]
	v_lshlrev_b32_e32 v8, 1, v18
	v_mov_b32_e32 v9, 0
	v_lshl_add_u64 v[6:7], v[6:7], 0, v[8:9]
	global_load_dwordx4 v[6:9], v[6:7], off
.LBB111_37:
	s_or_b64 exec, exec, s[2:3]
	v_mov_b32_e32 v17, 0
	v_mov_b32_e32 v10, 0
	;; [unrolled: 1-line block ×5, first 2 shown]
	s_and_saveexec_b64 s[2:3], vcc
	s_cbranch_execz .LBB111_39
; %bb.38:
	v_mad_i64_i32 v[10:11], s[16:17], s19, v20, 0
	v_lshl_add_u64 v[10:11], v[10:11], 1, s[4:5]
	v_lshlrev_b32_e32 v12, 1, v18
	v_mov_b32_e32 v13, 0
	v_lshl_add_u64 v[10:11], v[10:11], 0, v[12:13]
	global_load_dwordx4 v[10:13], v[10:11], off offset:128
.LBB111_39:
	s_or_b64 exec, exec, s[2:3]
	v_mov_b32_e32 v16, 0
	v_mov_b32_e32 v15, 0
	;; [unrolled: 1-line block ×3, first 2 shown]
	s_and_saveexec_b64 s[2:3], s[0:1]
	s_cbranch_execz .LBB111_41
; %bb.40:
	v_mad_i64_i32 v[14:15], s[0:1], s19, v21, 0
	v_lshl_add_u64 v[14:15], v[14:15], 1, s[4:5]
	v_lshlrev_b32_e32 v16, 1, v18
	v_mov_b32_e32 v17, 0
	v_lshl_add_u64 v[14:15], v[14:15], 0, v[16:17]
	global_load_dwordx4 v[14:17], v[14:15], off offset:128
.LBB111_41:
	s_or_b64 exec, exec, s[2:3]
	s_branch .LBB111_45
.LBB111_42:
                                        ; implicit-def: $vgpr5
                                        ; implicit-def: $vgpr9
                                        ; implicit-def: $vgpr13
                                        ; implicit-def: $vgpr17
	v_lshrrev_b32_e32 v34, 2, v75
	s_branch .LBB111_46
.LBB111_43:
                                        ; implicit-def: $vgpr5
                                        ; implicit-def: $vgpr9
                                        ; implicit-def: $vgpr13
                                        ; implicit-def: $vgpr17
	s_cbranch_execz .LBB111_45
; %bb.44:
	s_waitcnt vmcnt(0)
	v_mad_u64_u32 v[2:3], s[0:1], v20, s19, v[18:19]
	v_lshlrev_b32_e32 v20, 1, v2
	s_lshl_b32 s2, s19, 7
	s_and_b32 s1, s5, 0xffff
	s_mov_b32 s3, 0x20000
	s_mov_b32 s0, s4
	v_add_lshl_u32 v21, v2, s19, 1
	s_movk_i32 s13, 0x80
	buffer_load_dwordx4 v[2:5], v20, s[0:3], 0 offen
	buffer_load_dwordx4 v[10:13], v20, s[0:3], s13 offen
	;; [unrolled: 1-line block ×4, first 2 shown]
.LBB111_45:
	v_lshrrev_b32_e32 v34, 2, v75
	s_cbranch_execnz .LBB111_58
.LBB111_46:
	s_and_b64 vcc, exec, s[6:7]
	s_cbranch_vccz .LBB111_56
; %bb.47:
	s_waitcnt vmcnt(0)
	v_lshlrev_b32_e32 v7, 1, v25
	v_cmp_gt_i32_e32 vcc, s43, v7
	v_mov_b32_e32 v6, 0
	v_lshlrev_b32_e32 v14, 9, v25
	v_mov_b32_e32 v2, 0
	v_mov_b32_e32 v3, 0
	;; [unrolled: 1-line block ×4, first 2 shown]
	s_and_saveexec_b64 s[0:1], vcc
	s_cbranch_execz .LBB111_49
; %bb.48:
	v_mov_b32_e32 v15, 0
	v_lshl_add_u64 v[2:3], s[4:5], 0, v[14:15]
	v_lshlrev_b32_e32 v4, 1, v18
	v_mov_b32_e32 v5, v15
	v_lshl_add_u64 v[2:3], v[2:3], 0, v[4:5]
	global_load_dwordx4 v[2:5], v[2:3], off
.LBB111_49:
	s_or_b64 exec, exec, s[0:1]
	v_or_b32_e32 v7, 1, v7
	v_cmp_gt_i32_e64 s[0:1], s43, v7
	v_lshlrev_b32_e32 v20, 8, v7
	v_mov_b32_e32 v7, 0
	v_mov_b32_e32 v8, 0
	;; [unrolled: 1-line block ×3, first 2 shown]
	s_and_saveexec_b64 s[2:3], s[0:1]
	s_cbranch_execz .LBB111_51
; %bb.50:
	v_mov_b32_e32 v21, 0
	v_lshl_add_u64 v[6:7], s[4:5], 0, v[20:21]
	v_lshlrev_b32_e32 v8, 1, v18
	v_mov_b32_e32 v9, v21
	v_lshl_add_u64 v[6:7], v[6:7], 0, v[8:9]
	global_load_dwordx4 v[6:9], v[6:7], off
.LBB111_51:
	s_or_b64 exec, exec, s[2:3]
	v_mov_b32_e32 v17, 0
	v_mov_b32_e32 v10, 0
	v_mov_b32_e32 v11, 0
	v_mov_b32_e32 v12, 0
	v_mov_b32_e32 v13, 0
	s_and_saveexec_b64 s[2:3], vcc
	s_cbranch_execz .LBB111_53
; %bb.52:
	v_mov_b32_e32 v15, 0
	v_lshl_add_u64 v[10:11], s[4:5], 0, v[14:15]
	v_lshlrev_b32_e32 v14, 1, v18
	v_lshl_add_u64 v[10:11], v[10:11], 0, v[14:15]
	global_load_dwordx4 v[10:13], v[10:11], off offset:128
.LBB111_53:
	s_or_b64 exec, exec, s[2:3]
	v_mov_b32_e32 v16, 0
	v_mov_b32_e32 v15, 0
	;; [unrolled: 1-line block ×3, first 2 shown]
	s_and_saveexec_b64 s[2:3], s[0:1]
	s_cbranch_execz .LBB111_55
; %bb.54:
	v_mov_b32_e32 v21, 0
	v_lshl_add_u64 v[14:15], s[4:5], 0, v[20:21]
	v_lshlrev_b32_e32 v20, 1, v18
	v_lshl_add_u64 v[14:15], v[14:15], 0, v[20:21]
	global_load_dwordx4 v[14:17], v[14:15], off offset:128
.LBB111_55:
	s_or_b64 exec, exec, s[2:3]
	s_branch .LBB111_58
.LBB111_56:
                                        ; implicit-def: $vgpr5
                                        ; implicit-def: $vgpr9
                                        ; implicit-def: $vgpr13
                                        ; implicit-def: $vgpr17
	s_cbranch_execz .LBB111_58
; %bb.57:
	s_waitcnt vmcnt(0)
	v_lshlrev_b32_e32 v2, 1, v18
	v_lshl_or_b32 v18, v25, 9, v2
	s_and_b32 s5, s5, 0xffff
	s_mov_b32 s7, 0x20000
	s_movk_i32 s6, 0x4000
	s_movk_i32 s0, 0x80
	buffer_load_dwordx4 v[2:5], v18, s[4:7], 0 offen
	buffer_load_dwordx4 v[6:9], v18, s[4:7], 0 offen offset:256
	buffer_load_dwordx4 v[10:13], v18, s[4:7], s0 offen
	buffer_load_dwordx4 v[14:17], v18, s[4:7], s0 offen offset:256
.LBB111_58:
	ds_read_b64 v[20:21], v27 offset:57344
	v_add_u32_e32 v18, 0x6000, v26
	ds_read2_b64 v[36:39], v18 offset1:16
	ds_read_b64 v[52:53], v28 offset:57344
	ds_read_b64 v[28:29], v29 offset:57344
	;; [unrolled: 1-line block ×3, first 2 shown]
	ds_read2st64_b64 v[40:43], v26 offset0:52 offset1:56
	s_mov_b32 s0, 0x1000504
	s_mov_b32 s1, 0x3020706
	s_waitcnt lgkmcnt(4)
	v_mfma_f32_16x16x16_bf16 a[0:3], v[20:21], v[36:37], a[0:3]
	v_mfma_f32_16x16x16_bf16 a[4:7], v[20:21], v[38:39], a[4:7]
	ds_read2_b64 v[36:39], v18 offset0:32 offset1:48
	v_and_b32_e32 v18, 6, v0
	v_xor_b32_e32 v25, v25, v18
	s_waitcnt lgkmcnt(0)
	v_mfma_f32_16x16x16_bf16 a[8:11], v[20:21], v[36:37], a[8:11]
	v_lshlrev_b32_e32 v25, 2, v25
	v_and_b32_e32 v0, 1, v0
	v_xor_b32_e32 v35, 0x440, v25
	v_mfma_f32_16x16x16_bf16 a[12:15], v[20:21], v[38:39], a[12:15]
	ds_read2st64_b64 v[36:39], v31 offset0:52 offset1:56
	ds_read2st64_b64 v[44:47], v32 offset0:52 offset1:56
	;; [unrolled: 1-line block ×3, first 2 shown]
	v_cmp_eq_u32_e32 vcc, 0, v0
	ds_read_b64 v[20:21], v26 offset:30720
	ds_read_b64 v[26:27], v31 offset:30720
	;; [unrolled: 1-line block ×4, first 2 shown]
	v_mfma_f32_16x16x16_bf16 a[0:3], v[52:53], v[40:41], a[0:3]
	v_cndmask_b32_e32 v0, v35, v25, vcc
	v_lshl_or_b32 v0, v18, 10, v0
	s_waitcnt vmcnt(0)
	v_perm_b32 v18, v2, v6, s0
	s_waitcnt lgkmcnt(6)
	v_mfma_f32_16x16x16_bf16 a[4:7], v[52:53], v[36:37], a[4:7]
	v_perm_b32 v25, v10, v14, s0
	ds_write2st64_b32 v0, v18, v25 offset0:128 offset1:160
	v_xor_b32_e32 v18, 8, v0
	s_waitcnt lgkmcnt(6)
	v_mfma_f32_16x16x16_bf16 a[8:11], v[52:53], v[44:45], a[8:11]
	v_perm_b32 v2, v2, v6, s1
	v_perm_b32 v6, v10, v14, s1
	v_add_u32_e32 v10, 0x80, v18
	s_waitcnt lgkmcnt(5)
	v_mfma_f32_16x16x16_bf16 a[12:15], v[52:53], v[48:49], a[12:15]
	ds_write2st64_b32 v10, v2, v6 offset0:128 offset1:160
	v_xor_b32_e32 v2, 16, v0
	v_perm_b32 v6, v3, v7, s0
	v_mfma_f32_16x16x16_bf16 a[0:3], v[28:29], v[42:43], a[0:3]
	v_perm_b32 v10, v11, v15, s0
	ds_write2st64_b32 v2, v6, v10 offset0:129 offset1:161
	v_xor_b32_e32 v2, 24, v0
	v_mfma_f32_16x16x16_bf16 a[4:7], v[28:29], v[38:39], a[4:7]
	v_perm_b32 v3, v3, v7, s1
	v_perm_b32 v6, v11, v15, s1
	v_add_u32_e32 v2, 0x80, v2
	v_mfma_f32_16x16x16_bf16 a[16:19], v[28:29], v[46:47], a[8:11]
	ds_write2st64_b32 v2, v3, v6 offset0:129 offset1:161
	v_xor_b32_e32 v2, 32, v0
	v_perm_b32 v3, v4, v8, s0
	v_mfma_f32_16x16x16_bf16 a[20:23], v[28:29], v[50:51], a[12:15]
	v_perm_b32 v6, v12, v16, s0
	ds_write2st64_b32 v2, v3, v6 offset0:130 offset1:162
	v_xor_b32_e32 v2, 40, v0
	s_waitcnt lgkmcnt(8)
	v_mfma_f32_16x16x16_bf16 a[12:15], v[54:55], v[20:21], a[0:3]
	v_perm_b32 v3, v4, v8, s1
	v_perm_b32 v4, v12, v16, s1
	v_add_u32_e32 v2, 0x80, v2
	s_waitcnt lgkmcnt(7)
	v_mfma_f32_16x16x16_bf16 a[8:11], v[54:55], v[26:27], a[4:7]
	ds_write2st64_b32 v2, v3, v4 offset0:130 offset1:162
	v_xor_b32_e32 v2, 48, v0
	v_perm_b32 v3, v5, v9, s0
	s_waitcnt lgkmcnt(7)
	v_mfma_f32_16x16x16_bf16 a[4:7], v[54:55], v[30:31], a[16:19]
	v_perm_b32 v4, v13, v17, s0
	v_xor_b32_e32 v0, 56, v0
	v_and_or_b32 v21, v34, 12, v1
	s_waitcnt lgkmcnt(6)
	v_mfma_f32_16x16x16_bf16 a[0:3], v[54:55], v[32:33], a[20:23]
	ds_write2st64_b32 v2, v3, v4 offset0:131 offset1:163
	v_perm_b32 v2, v5, v9, s1
	v_perm_b32 v3, v13, v17, s1
	v_add_u32_e32 v0, 0x80, v0
	v_cmp_gt_i32_e32 vcc, s43, v21
	v_mov_b32_e32 v16, 0
	v_mov_b32_e32 v18, 0
	ds_write2st64_b32 v0, v2, v3 offset0:131 offset1:163
	s_and_saveexec_b64 s[0:1], vcc
	s_cbranch_execz .LBB111_60
; %bb.59:
	v_add_u32_e32 v0, s42, v21
	v_ashrrev_i32_e32 v1, 31, v0
	v_mul_lo_u32 v2, v1, s34
	v_mul_lo_u32 v3, v0, s35
	v_mad_u64_u32 v[0:1], s[2:3], v0, s34, 0
	v_add3_u32 v1, v1, v3, v2
	v_lshl_add_u64 v[0:1], v[0:1], 2, s[10:11]
	global_load_dword v0, v[0:1], off
	s_waitcnt vmcnt(0)
	v_sub_f32_e32 v0, s12, v0
	v_mul_f32_e32 v0, 0x3fb8aa3b, v0
	v_exp_f32_e32 v18, v0
.LBB111_60:
	s_or_b64 exec, exec, s[0:1]
	v_or_b32_e32 v10, 1, v21
	v_cmp_gt_i32_e64 s[0:1], s43, v10
	s_and_saveexec_b64 s[2:3], s[0:1]
	s_cbranch_execz .LBB111_62
; %bb.61:
	v_add_u32_e32 v0, s42, v10
	v_ashrrev_i32_e32 v1, 31, v0
	v_mul_lo_u32 v2, v1, s34
	v_mul_lo_u32 v3, v0, s35
	v_mad_u64_u32 v[0:1], s[4:5], v0, s34, 0
	v_add3_u32 v1, v1, v3, v2
	v_lshl_add_u64 v[0:1], v[0:1], 2, s[10:11]
	global_load_dword v0, v[0:1], off
	s_waitcnt vmcnt(0)
	v_sub_f32_e32 v0, s12, v0
	v_mul_f32_e32 v0, 0x3fb8aa3b, v0
	v_exp_f32_e32 v16, v0
.LBB111_62:
	s_or_b64 exec, exec, s[2:3]
	v_or_b32_e32 v12, 2, v21
	v_cmp_gt_i32_e64 s[2:3], s43, v12
	v_mov_b32_e32 v17, 0
	v_mov_b32_e32 v20, 0
	s_and_saveexec_b64 s[4:5], s[2:3]
	s_cbranch_execz .LBB111_64
; %bb.63:
	v_add_u32_e32 v0, s42, v12
	v_ashrrev_i32_e32 v1, 31, v0
	v_mul_lo_u32 v2, v1, s34
	v_mul_lo_u32 v3, v0, s35
	v_mad_u64_u32 v[0:1], s[6:7], v0, s34, 0
	v_add3_u32 v1, v1, v3, v2
	v_lshl_add_u64 v[0:1], v[0:1], 2, s[10:11]
	global_load_dword v0, v[0:1], off
	s_waitcnt vmcnt(0)
	v_sub_f32_e32 v0, s12, v0
	v_mul_f32_e32 v0, 0x3fb8aa3b, v0
	v_exp_f32_e32 v20, v0
.LBB111_64:
	s_or_b64 exec, exec, s[4:5]
	v_or_b32_e32 v14, 3, v21
	v_cmp_gt_i32_e64 s[4:5], s43, v14
	s_and_saveexec_b64 s[6:7], s[4:5]
	s_cbranch_execz .LBB111_66
; %bb.65:
	v_add_u32_e32 v0, s42, v14
	v_ashrrev_i32_e32 v1, 31, v0
	v_mul_lo_u32 v2, v1, s34
	v_mul_lo_u32 v3, v0, s35
	v_mad_u64_u32 v[0:1], s[16:17], v0, s34, 0
	v_add3_u32 v1, v1, v3, v2
	v_lshl_add_u64 v[0:1], v[0:1], 2, s[10:11]
	global_load_dword v0, v[0:1], off
	s_waitcnt vmcnt(0)
	v_sub_f32_e32 v0, s12, v0
	v_mul_f32_e32 v0, 0x3fb8aa3b, v0
	v_exp_f32_e32 v17, v0
.LBB111_66:
	s_or_b64 exec, exec, s[6:7]
	s_add_u32 s6, s8, s28
	v_or_b32_e32 v4, s36, v74
	s_addc_u32 s7, s9, s29
	s_add_u32 s8, s14, s28
	v_ashrrev_i32_e32 v5, 31, v4
	v_accvgpr_read_b32 v0, a12
	s_addc_u32 s9, s15, s29
	v_lshlrev_b64 v[4:5], 1, v[4:5]
	v_accvgpr_read_b32 v1, a13
	v_accvgpr_read_b32 v2, a14
	;; [unrolled: 1-line block ×3, first 2 shown]
	v_lshl_add_u64 v[6:7], s[6:7], 0, v[4:5]
	v_lshl_add_u64 v[4:5], s[8:9], 0, v[4:5]
	v_mov_b32_e32 v11, 0
	v_lshlrev_b32_e32 v8, 8, v21
	v_mov_b32_e32 v9, 0
	s_and_saveexec_b64 s[6:7], vcc
	s_cbranch_execz .LBB111_68
; %bb.67:
	v_mov_b32_e32 v9, 0
	v_lshl_add_u64 v[26:27], v[6:7], 0, v[8:9]
	global_load_ushort v13, v[26:27], off
	v_lshl_add_u64 v[26:27], v[4:5], 0, v[8:9]
	s_waitcnt vmcnt(0)
	v_lshlrev_b32_e32 v9, 16, v13
	v_sub_f32_e32 v0, v9, v0
	global_store_short_d16_hi v[26:27], v0, off
	v_mul_f32_e32 v0, v18, v0
	v_lshrrev_b32_e32 v9, 16, v0
.LBB111_68:
	s_or_b64 exec, exec, s[6:7]
	v_lshlrev_b32_e32 v10, 8, v10
	s_and_saveexec_b64 s[6:7], s[0:1]
	s_cbranch_execz .LBB111_70
; %bb.69:
	v_mov_b32_e32 v11, 0
	v_lshl_add_u64 v[26:27], v[6:7], 0, v[10:11]
	global_load_ushort v0, v[26:27], off
	v_lshl_add_u64 v[26:27], v[4:5], 0, v[10:11]
	s_waitcnt vmcnt(0)
	v_lshlrev_b32_e32 v0, 16, v0
	v_sub_f32_e32 v0, v0, v1
	global_store_short_d16_hi v[26:27], v0, off
	v_mul_f32_e32 v0, v16, v0
	v_lshrrev_b32_e32 v11, 16, v0
.LBB111_70:
	s_or_b64 exec, exec, s[6:7]
	v_mov_b32_e32 v15, 0
	v_lshlrev_b32_e32 v12, 8, v12
	v_mov_b32_e32 v13, 0
	s_and_saveexec_b64 s[6:7], s[2:3]
	s_cbranch_execz .LBB111_72
; %bb.71:
	v_mov_b32_e32 v13, 0
	v_lshl_add_u64 v[0:1], v[6:7], 0, v[12:13]
	global_load_ushort v25, v[0:1], off
	v_lshl_add_u64 v[0:1], v[4:5], 0, v[12:13]
	s_waitcnt vmcnt(0)
	v_lshlrev_b32_e32 v13, 16, v25
	v_sub_f32_e32 v2, v13, v2
	global_store_short_d16_hi v[0:1], v2, off
	v_mul_f32_e32 v0, v20, v2
	v_lshrrev_b32_e32 v13, 16, v0
.LBB111_72:
	s_or_b64 exec, exec, s[6:7]
	v_lshlrev_b32_e32 v14, 8, v14
	s_and_saveexec_b64 s[6:7], s[4:5]
	s_cbranch_execz .LBB111_74
; %bb.73:
	v_mov_b32_e32 v15, 0
	v_lshl_add_u64 v[0:1], v[6:7], 0, v[14:15]
	global_load_ushort v2, v[0:1], off
	v_lshl_add_u64 v[0:1], v[4:5], 0, v[14:15]
	s_waitcnt vmcnt(0)
	v_lshlrev_b32_e32 v2, 16, v2
	v_sub_f32_e32 v2, v2, v3
	global_store_short_d16_hi v[0:1], v2, off
	v_mul_f32_e32 v0, v17, v2
	v_lshrrev_b32_e32 v15, 16, v0
.LBB111_74:
	s_or_b64 exec, exec, s[6:7]
	v_lshlrev_b32_e32 v21, 6, v21
	s_mov_b32 s6, 0x5040100
	v_perm_b32 v26, v11, v9, s6
	v_or_b32_e32 v9, v21, v24
	v_accvgpr_read_b32 v0, a8
	v_perm_b32 v27, v15, v13, s6
	v_lshlrev_b32_e32 v9, 1, v9
	v_accvgpr_read_b32 v1, a9
	v_accvgpr_read_b32 v2, a10
	;; [unrolled: 1-line block ×3, first 2 shown]
	ds_write_b64 v9, v[26:27] offset:24576
	v_mov_b32_e32 v11, 0
	v_mov_b32_e32 v9, 0
	s_and_saveexec_b64 s[6:7], vcc
	s_cbranch_execz .LBB111_76
; %bb.75:
	v_mov_b32_e32 v9, 0
	v_lshl_add_u64 v[24:25], v[6:7], 0, v[8:9]
	global_load_ushort v13, v[24:25], off offset:32
	v_lshl_add_u64 v[24:25], v[4:5], 0, v[8:9]
	s_waitcnt vmcnt(0)
	v_lshlrev_b32_e32 v9, 16, v13
	v_sub_f32_e32 v0, v9, v0
	global_store_short_d16_hi v[24:25], v0, off offset:32
	v_mul_f32_e32 v0, v18, v0
	v_lshrrev_b32_e32 v9, 16, v0
.LBB111_76:
	s_or_b64 exec, exec, s[6:7]
	s_and_saveexec_b64 s[6:7], s[0:1]
	s_cbranch_execz .LBB111_78
; %bb.77:
	v_mov_b32_e32 v11, 0
	v_lshl_add_u64 v[24:25], v[6:7], 0, v[10:11]
	global_load_ushort v0, v[24:25], off offset:32
	v_lshl_add_u64 v[24:25], v[4:5], 0, v[10:11]
	s_waitcnt vmcnt(0)
	v_lshlrev_b32_e32 v0, 16, v0
	v_sub_f32_e32 v0, v0, v1
	global_store_short_d16_hi v[24:25], v0, off offset:32
	v_mul_f32_e32 v0, v16, v0
	v_lshrrev_b32_e32 v11, 16, v0
.LBB111_78:
	s_or_b64 exec, exec, s[6:7]
	v_mov_b32_e32 v15, 0
	v_mov_b32_e32 v13, 0
	s_and_saveexec_b64 s[6:7], s[2:3]
	s_cbranch_execz .LBB111_80
; %bb.79:
	v_mov_b32_e32 v13, 0
	v_lshl_add_u64 v[0:1], v[6:7], 0, v[12:13]
	global_load_ushort v24, v[0:1], off offset:32
	v_lshl_add_u64 v[0:1], v[4:5], 0, v[12:13]
	s_waitcnt vmcnt(0)
	v_lshlrev_b32_e32 v13, 16, v24
	v_sub_f32_e32 v2, v13, v2
	global_store_short_d16_hi v[0:1], v2, off offset:32
	v_mul_f32_e32 v0, v20, v2
	v_lshrrev_b32_e32 v13, 16, v0
.LBB111_80:
	s_or_b64 exec, exec, s[6:7]
	s_and_saveexec_b64 s[6:7], s[4:5]
	s_cbranch_execz .LBB111_82
; %bb.81:
	v_mov_b32_e32 v15, 0
	v_lshl_add_u64 v[0:1], v[6:7], 0, v[14:15]
	global_load_ushort v2, v[0:1], off offset:32
	v_lshl_add_u64 v[0:1], v[4:5], 0, v[14:15]
	s_waitcnt vmcnt(0)
	v_lshlrev_b32_e32 v2, 16, v2
	v_sub_f32_e32 v2, v2, v3
	global_store_short_d16_hi v[0:1], v2, off offset:32
	v_mul_f32_e32 v0, v17, v2
	v_lshrrev_b32_e32 v15, 16, v0
.LBB111_82:
	s_or_b64 exec, exec, s[6:7]
	s_mov_b32 s6, 0x5040100
	v_perm_b32 v24, v11, v9, s6
	v_or_b32_e32 v9, v21, v23
	v_accvgpr_read_b32 v0, a4
	v_perm_b32 v25, v15, v13, s6
	v_lshlrev_b32_e32 v9, 1, v9
	v_accvgpr_read_b32 v1, a5
	v_accvgpr_read_b32 v2, a6
	;; [unrolled: 1-line block ×3, first 2 shown]
	ds_write_b64 v9, v[24:25] offset:24576
	v_mov_b32_e32 v11, 0
	v_mov_b32_e32 v9, 0
	s_and_saveexec_b64 s[6:7], vcc
	s_cbranch_execz .LBB111_84
; %bb.83:
	v_mov_b32_e32 v9, 0
	v_lshl_add_u64 v[24:25], v[6:7], 0, v[8:9]
	global_load_ushort v13, v[24:25], off offset:64
	v_lshl_add_u64 v[24:25], v[4:5], 0, v[8:9]
	s_waitcnt vmcnt(0)
	v_lshlrev_b32_e32 v9, 16, v13
	v_sub_f32_e32 v0, v9, v0
	global_store_short_d16_hi v[24:25], v0, off offset:64
	v_mul_f32_e32 v0, v18, v0
	v_lshrrev_b32_e32 v9, 16, v0
.LBB111_84:
	s_or_b64 exec, exec, s[6:7]
	s_and_saveexec_b64 s[6:7], s[0:1]
	s_cbranch_execz .LBB111_86
; %bb.85:
	v_mov_b32_e32 v11, 0
	v_lshl_add_u64 v[24:25], v[6:7], 0, v[10:11]
	global_load_ushort v0, v[24:25], off offset:64
	v_lshl_add_u64 v[24:25], v[4:5], 0, v[10:11]
	s_waitcnt vmcnt(0)
	v_lshlrev_b32_e32 v0, 16, v0
	v_sub_f32_e32 v0, v0, v1
	global_store_short_d16_hi v[24:25], v0, off offset:64
	v_mul_f32_e32 v0, v16, v0
	v_lshrrev_b32_e32 v11, 16, v0
.LBB111_86:
	s_or_b64 exec, exec, s[6:7]
	v_mov_b32_e32 v15, 0
	v_mov_b32_e32 v13, 0
	s_and_saveexec_b64 s[6:7], s[2:3]
	s_cbranch_execz .LBB111_88
; %bb.87:
	v_mov_b32_e32 v13, 0
	v_lshl_add_u64 v[0:1], v[6:7], 0, v[12:13]
	global_load_ushort v23, v[0:1], off offset:64
	v_lshl_add_u64 v[0:1], v[4:5], 0, v[12:13]
	s_waitcnt vmcnt(0)
	v_lshlrev_b32_e32 v13, 16, v23
	v_sub_f32_e32 v2, v13, v2
	global_store_short_d16_hi v[0:1], v2, off offset:64
	v_mul_f32_e32 v0, v20, v2
	v_lshrrev_b32_e32 v13, 16, v0
.LBB111_88:
	s_or_b64 exec, exec, s[6:7]
	s_and_saveexec_b64 s[6:7], s[4:5]
	s_cbranch_execz .LBB111_90
; %bb.89:
	v_mov_b32_e32 v15, 0
	v_lshl_add_u64 v[0:1], v[6:7], 0, v[14:15]
	global_load_ushort v2, v[0:1], off offset:64
	v_lshl_add_u64 v[0:1], v[4:5], 0, v[14:15]
	s_waitcnt vmcnt(0)
	v_lshlrev_b32_e32 v2, 16, v2
	v_sub_f32_e32 v2, v2, v3
	global_store_short_d16_hi v[0:1], v2, off offset:64
	v_mul_f32_e32 v0, v17, v2
	v_lshrrev_b32_e32 v15, 16, v0
.LBB111_90:
	s_or_b64 exec, exec, s[6:7]
	s_mov_b32 s6, 0x5040100
	v_perm_b32 v24, v11, v9, s6
	v_or_b32_e32 v9, v21, v22
	v_accvgpr_read_b32 v0, a0
	v_perm_b32 v25, v15, v13, s6
	v_lshlrev_b32_e32 v9, 1, v9
	v_accvgpr_read_b32 v1, a1
	v_accvgpr_read_b32 v2, a2
	;; [unrolled: 1-line block ×3, first 2 shown]
	ds_write_b64 v9, v[24:25] offset:24576
	v_mov_b32_e32 v11, 0
	v_mov_b32_e32 v9, 0
	s_and_saveexec_b64 s[6:7], vcc
	s_cbranch_execz .LBB111_92
; %bb.91:
	v_mov_b32_e32 v9, 0
	v_lshl_add_u64 v[22:23], v[6:7], 0, v[8:9]
	global_load_ushort v13, v[22:23], off offset:96
	v_lshl_add_u64 v[8:9], v[4:5], 0, v[8:9]
	s_waitcnt vmcnt(0)
	v_lshlrev_b32_e32 v13, 16, v13
	v_sub_f32_e32 v0, v13, v0
	global_store_short_d16_hi v[8:9], v0, off offset:96
	v_mul_f32_e32 v0, v18, v0
	v_lshrrev_b32_e32 v9, 16, v0
.LBB111_92:
	s_or_b64 exec, exec, s[6:7]
	s_and_saveexec_b64 s[6:7], s[0:1]
	s_cbranch_execz .LBB111_94
; %bb.93:
	v_mov_b32_e32 v11, 0
	v_lshl_add_u64 v[22:23], v[6:7], 0, v[10:11]
	global_load_ushort v0, v[22:23], off offset:96
	v_lshl_add_u64 v[10:11], v[4:5], 0, v[10:11]
	s_waitcnt vmcnt(0)
	v_lshlrev_b32_e32 v0, 16, v0
	v_sub_f32_e32 v0, v0, v1
	global_store_short_d16_hi v[10:11], v0, off offset:96
	v_mul_f32_e32 v0, v16, v0
	v_lshrrev_b32_e32 v11, 16, v0
.LBB111_94:
	s_or_b64 exec, exec, s[6:7]
	v_mov_b32_e32 v0, 0
	v_mov_b32_e32 v1, 0
	s_and_saveexec_b64 s[0:1], s[2:3]
	s_cbranch_execz .LBB111_96
; %bb.95:
	v_mov_b32_e32 v13, 0
	v_lshl_add_u64 v[22:23], v[6:7], 0, v[12:13]
	global_load_ushort v1, v[22:23], off offset:96
	v_lshl_add_u64 v[12:13], v[4:5], 0, v[12:13]
	s_waitcnt vmcnt(0)
	v_lshlrev_b32_e32 v1, 16, v1
	v_sub_f32_e32 v1, v1, v2
	global_store_short_d16_hi v[12:13], v1, off offset:96
	v_mul_f32_e32 v1, v20, v1
	v_lshrrev_b32_e32 v1, 16, v1
.LBB111_96:
	s_or_b64 exec, exec, s[0:1]
	s_and_saveexec_b64 s[0:1], s[4:5]
	s_cbranch_execz .LBB111_98
; %bb.97:
	v_mov_b32_e32 v15, 0
	v_lshl_add_u64 v[6:7], v[6:7], 0, v[14:15]
	global_load_ushort v0, v[6:7], off offset:96
	v_lshl_add_u64 v[4:5], v[4:5], 0, v[14:15]
	s_waitcnt vmcnt(0)
	v_lshlrev_b32_e32 v0, 16, v0
	v_sub_f32_e32 v0, v0, v3
	global_store_short_d16_hi v[4:5], v0, off offset:96
	v_mul_f32_e32 v0, v17, v0
	v_lshrrev_b32_e32 v0, 16, v0
.LBB111_98:
	s_or_b64 exec, exec, s[0:1]
	s_mov_b32 s0, 0x5040100
	v_or_b32_e32 v2, v21, v19
	v_perm_b32 v1, v0, v1, s0
	v_perm_b32 v0, v11, v9, s0
	v_lshlrev_b32_e32 v2, 1, v2
	ds_write_b64 v2, v[0:1] offset:24576
	s_waitcnt lgkmcnt(0)
	s_barrier
.LBB111_99:
	s_endpgm
	.section	.rodata,"a",@progbits
	.p2align	6, 0x0
	.amdhsa_kernel _ZN12_GLOBAL__N_139chunk_gated_delta_rule_fwd_h_hip_kernelILi64ELb0ELb0ELb1ELb0ELb0ELb0ELb1ELb1EEEvPK12hip_bfloat16S3_S3_PKfS5_PKvPS1_S8_PvPKiSB_iiiiilll
		.amdhsa_group_segment_fixed_size 65536
		.amdhsa_private_segment_fixed_size 0
		.amdhsa_kernarg_size 136
		.amdhsa_user_sgpr_count 2
		.amdhsa_user_sgpr_dispatch_ptr 0
		.amdhsa_user_sgpr_queue_ptr 0
		.amdhsa_user_sgpr_kernarg_segment_ptr 1
		.amdhsa_user_sgpr_dispatch_id 0
		.amdhsa_user_sgpr_kernarg_preload_length 0
		.amdhsa_user_sgpr_kernarg_preload_offset 0
		.amdhsa_user_sgpr_private_segment_size 0
		.amdhsa_uses_dynamic_stack 0
		.amdhsa_enable_private_segment 0
		.amdhsa_system_sgpr_workgroup_id_x 1
		.amdhsa_system_sgpr_workgroup_id_y 1
		.amdhsa_system_sgpr_workgroup_id_z 0
		.amdhsa_system_sgpr_workgroup_info 0
		.amdhsa_system_vgpr_workitem_id 0
		.amdhsa_next_free_vgpr 216
		.amdhsa_next_free_sgpr 65
		.amdhsa_accum_offset 180
		.amdhsa_reserve_vcc 1
		.amdhsa_float_round_mode_32 0
		.amdhsa_float_round_mode_16_64 0
		.amdhsa_float_denorm_mode_32 3
		.amdhsa_float_denorm_mode_16_64 3
		.amdhsa_dx10_clamp 1
		.amdhsa_ieee_mode 1
		.amdhsa_fp16_overflow 0
		.amdhsa_tg_split 0
		.amdhsa_exception_fp_ieee_invalid_op 0
		.amdhsa_exception_fp_denorm_src 0
		.amdhsa_exception_fp_ieee_div_zero 0
		.amdhsa_exception_fp_ieee_overflow 0
		.amdhsa_exception_fp_ieee_underflow 0
		.amdhsa_exception_fp_ieee_inexact 0
		.amdhsa_exception_int_div_zero 0
	.end_amdhsa_kernel
	.section	.text._ZN12_GLOBAL__N_139chunk_gated_delta_rule_fwd_h_hip_kernelILi64ELb0ELb0ELb1ELb0ELb0ELb0ELb1ELb1EEEvPK12hip_bfloat16S3_S3_PKfS5_PKvPS1_S8_PvPKiSB_iiiiilll,"axG",@progbits,_ZN12_GLOBAL__N_139chunk_gated_delta_rule_fwd_h_hip_kernelILi64ELb0ELb0ELb1ELb0ELb0ELb0ELb1ELb1EEEvPK12hip_bfloat16S3_S3_PKfS5_PKvPS1_S8_PvPKiSB_iiiiilll,comdat
.Lfunc_end111:
	.size	_ZN12_GLOBAL__N_139chunk_gated_delta_rule_fwd_h_hip_kernelILi64ELb0ELb0ELb1ELb0ELb0ELb0ELb1ELb1EEEvPK12hip_bfloat16S3_S3_PKfS5_PKvPS1_S8_PvPKiSB_iiiiilll, .Lfunc_end111-_ZN12_GLOBAL__N_139chunk_gated_delta_rule_fwd_h_hip_kernelILi64ELb0ELb0ELb1ELb0ELb0ELb0ELb1ELb1EEEvPK12hip_bfloat16S3_S3_PKfS5_PKvPS1_S8_PvPKiSB_iiiiilll
                                        ; -- End function
	.section	.AMDGPU.csdata,"",@progbits
; Kernel info:
; codeLenInByte = 11328
; NumSgprs: 71
; NumVgprs: 180
; NumAgprs: 36
; TotalNumVgprs: 216
; ScratchSize: 0
; MemoryBound: 0
; FloatMode: 240
; IeeeMode: 1
; LDSByteSize: 65536 bytes/workgroup (compile time only)
; SGPRBlocks: 8
; VGPRBlocks: 26
; NumSGPRsForWavesPerEU: 71
; NumVGPRsForWavesPerEU: 216
; AccumOffset: 180
; Occupancy: 1
; WaveLimiterHint : 1
; COMPUTE_PGM_RSRC2:SCRATCH_EN: 0
; COMPUTE_PGM_RSRC2:USER_SGPR: 2
; COMPUTE_PGM_RSRC2:TRAP_HANDLER: 0
; COMPUTE_PGM_RSRC2:TGID_X_EN: 1
; COMPUTE_PGM_RSRC2:TGID_Y_EN: 1
; COMPUTE_PGM_RSRC2:TGID_Z_EN: 0
; COMPUTE_PGM_RSRC2:TIDIG_COMP_CNT: 0
; COMPUTE_PGM_RSRC3_GFX90A:ACCUM_OFFSET: 44
; COMPUTE_PGM_RSRC3_GFX90A:TG_SPLIT: 0
	.section	.text._ZN12_GLOBAL__N_139chunk_gated_delta_rule_fwd_h_hip_kernelILi64ELb0ELb0ELb0ELb0ELb0ELb0ELb1ELb1EEEvPK12hip_bfloat16S3_S3_PKfS5_PKvPS1_S8_PvPKiSB_iiiiilll,"axG",@progbits,_ZN12_GLOBAL__N_139chunk_gated_delta_rule_fwd_h_hip_kernelILi64ELb0ELb0ELb0ELb0ELb0ELb0ELb1ELb1EEEvPK12hip_bfloat16S3_S3_PKfS5_PKvPS1_S8_PvPKiSB_iiiiilll,comdat
	.globl	_ZN12_GLOBAL__N_139chunk_gated_delta_rule_fwd_h_hip_kernelILi64ELb0ELb0ELb0ELb0ELb0ELb0ELb1ELb1EEEvPK12hip_bfloat16S3_S3_PKfS5_PKvPS1_S8_PvPKiSB_iiiiilll ; -- Begin function _ZN12_GLOBAL__N_139chunk_gated_delta_rule_fwd_h_hip_kernelILi64ELb0ELb0ELb0ELb0ELb0ELb0ELb1ELb1EEEvPK12hip_bfloat16S3_S3_PKfS5_PKvPS1_S8_PvPKiSB_iiiiilll
	.p2align	8
	.type	_ZN12_GLOBAL__N_139chunk_gated_delta_rule_fwd_h_hip_kernelILi64ELb0ELb0ELb0ELb0ELb0ELb0ELb1ELb1EEEvPK12hip_bfloat16S3_S3_PKfS5_PKvPS1_S8_PvPKiSB_iiiiilll,@function
_ZN12_GLOBAL__N_139chunk_gated_delta_rule_fwd_h_hip_kernelILi64ELb0ELb0ELb0ELb0ELb0ELb0ELb1ELb1EEEvPK12hip_bfloat16S3_S3_PKfS5_PKvPS1_S8_PvPKiSB_iiiiilll: ; @_ZN12_GLOBAL__N_139chunk_gated_delta_rule_fwd_h_hip_kernelILi64ELb0ELb0ELb0ELb0ELb0ELb0ELb1ELb1EEEvPK12hip_bfloat16S3_S3_PKfS5_PKvPS1_S8_PvPKiSB_iiiiilll
; %bb.0:
	s_load_dwordx4 s[12:15], s[0:1], 0x5c
	s_load_dwordx2 s[36:37], s[0:1], 0x30
	s_abs_i32 s18, s3
	s_ashr_i32 s17, s3, 31
	s_load_dwordx8 s[4:11], s[0:1], 0x0
	s_waitcnt lgkmcnt(0)
	s_abs_i32 s16, s13
	v_cvt_f32_u32_e32 v1, s16
	s_sub_i32 s20, 0, s16
	s_ashr_i32 s19, s13, 31
	s_xor_b32 s17, s17, s19
	v_rcp_iflag_f32_e32 v1, v1
	v_lshrrev_b32_e32 v74, 6, v0
	v_bfe_u32 v75, v0, 4, 2
	v_lshlrev_b32_e32 v2, 2, v75
	v_mul_f32_e32 v1, 0x4f7ffffe, v1
	v_cvt_u32_f32_e32 v1, v1
	v_and_b32_e32 v73, 63, v0
	v_mov_b32_e32 v35, 0
	v_and_b32_e32 v72, 15, v0
	v_readfirstlane_b32 s21, v1
	s_mul_i32 s20, s20, s21
	s_mul_hi_u32 s20, s21, s20
	s_add_i32 s21, s21, s20
	s_mul_hi_u32 s20, s18, s21
	s_mul_i32 s21, s20, s16
	s_sub_i32 s18, s18, s21
	s_add_i32 s22, s20, 1
	s_sub_i32 s21, s18, s16
	s_cmp_ge_u32 s18, s16
	s_cselect_b32 s20, s22, s20
	s_cselect_b32 s18, s21, s18
	s_add_i32 s21, s20, 1
	s_cmp_ge_u32 s18, s16
	s_cselect_b32 s18, s21, s20
	s_xor_b32 s18, s18, s17
	s_sub_i32 s45, s18, s17
	s_abs_i32 s17, s14
	v_cvt_f32_u32_e32 v1, s17
	s_add_i32 s20, s12, 63
	s_mul_i32 s43, s45, s13
	s_sub_i32 s33, s3, s43
	v_rcp_iflag_f32_e32 v1, v1
	s_ashr_i32 s3, s20, 31
	s_ashr_i32 s44, s12, 31
	s_lshr_b32 s3, s3, 26
	v_mul_f32_e32 v1, 0x4f7ffffe, v1
	v_cvt_u32_f32_e32 v1, v1
	s_lshr_b32 s18, s44, 26
	s_add_i32 s20, s20, s3
	s_add_i32 s18, s12, s18
	s_ashr_i32 s47, s14, 31
	s_ashr_i32 s3, s20, 6
	;; [unrolled: 1-line block ×3, first 2 shown]
	s_xor_b32 s18, s19, s47
	s_sub_i32 s19, 0, s17
	v_readfirstlane_b32 s20, v1
	s_mul_i32 s19, s19, s20
	s_mul_hi_u32 s19, s20, s19
	s_add_i32 s20, s20, s19
	s_mul_hi_u32 s19, s16, s20
	s_mul_i32 s20, s19, s17
	s_sub_i32 s16, s16, s20
	s_add_i32 s20, s19, 1
	s_sub_i32 s21, s16, s17
	s_cmp_ge_u32 s16, s17
	s_cselect_b32 s19, s20, s19
	s_cselect_b32 s16, s21, s16
	s_add_i32 s20, s19, 1
	s_cmp_ge_u32 s16, s17
	s_cselect_b32 s16, s20, s19
	s_xor_b32 s16, s16, s18
	s_sub_i32 s20, s16, s18
	s_abs_i32 s21, s20
	v_cvt_f32_u32_e32 v1, s21
	s_load_dwordx2 s[28:29], s[0:1], 0x80
	s_load_dwordx4 s[16:19], s[0:1], 0x70
	s_xor_b32 s0, s33, s20
	s_sub_i32 s20, 0, s21
	v_rcp_iflag_f32_e32 v1, v1
	s_abs_i32 s1, s33
	s_ashr_i32 s0, s0, 31
	s_mul_i32 s48, s45, s3
	v_mul_f32_e32 v1, 0x4f7ffffe, v1
	v_cvt_u32_f32_e32 v1, v1
	s_mul_hi_i32 s49, s45, s13
	v_lshrrev_b32_e32 v77, 3, v73
	v_lshlrev_b32_e32 v76, 3, v0
	v_readfirstlane_b32 s22, v1
	s_mul_i32 s20, s20, s22
	s_mul_hi_u32 s20, s22, s20
	s_add_i32 s22, s22, s20
	s_mul_hi_u32 s20, s1, s22
	s_mul_i32 s22, s20, s21
	s_sub_i32 s1, s1, s22
	s_add_i32 s22, s20, 1
	s_sub_i32 s23, s1, s21
	s_cmp_ge_u32 s1, s21
	s_cselect_b32 s20, s22, s20
	s_cselect_b32 s1, s23, s1
	s_add_i32 s22, s20, 1
	s_cmp_ge_u32 s1, s21
	s_cselect_b32 s1, s22, s20
	s_xor_b32 s1, s1, s0
	v_lshlrev_b32_e32 v1, 4, v74
	s_sub_i32 s50, s1, s0
	v_or_b32_e32 v78, v2, v1
	s_lshl_b32 s30, s2, 6
	v_or_b32_e32 v79, 64, v78
	s_cmp_lt_i32 s12, 64
	s_waitcnt lgkmcnt(0)
	s_mul_i32 s17, s45, s17
	s_mul_hi_u32 s42, s45, s16
	s_mul_i32 s34, s45, s16
	v_mov_b32_e32 v34, v35
	v_mov_b32_e32 v41, v35
	;; [unrolled: 1-line block ×31, first 2 shown]
	s_cbranch_scc1 .LBB112_18
; %bb.1:
	s_ashr_i32 s24, s45, 31
	s_ashr_i32 s52, s33, 31
	s_add_u32 s0, s43, s33
	s_addc_u32 s1, s49, s52
	s_mul_i32 s1, s12, s1
	s_mul_hi_u32 s2, s12, s0
	s_add_i32 s3, s2, s1
	s_mul_i32 s2, s12, s0
	s_lshl_b64 s[0:1], s[2:3], 8
	v_and_b32_e32 v81, 56, v76
	s_add_u32 s20, s6, s0
	v_lshl_or_b32 v80, v74, 3, v77
	v_lshlrev_b32_e32 v3, 1, v81
	s_addc_u32 s0, s7, s1
	v_lshl_or_b32 v82, v80, 8, v3
	s_and_b32 s21, s0, 0xffff
	s_mov_b32 s23, 0x20000
	s_movk_i32 s22, 0x4000
	s_movk_i32 s0, 0x80
	v_or_b32_e32 v83, 0x2000, v82
	buffer_load_dwordx4 v[4:7], v82, s[20:23], 0 offen
	buffer_load_dwordx4 v[8:11], v82, s[20:23], s0 offen
	;; [unrolled: 1-line block ×4, first 2 shown]
	v_lshlrev_b32_e32 v20, 3, v80
	v_and_or_b32 v22, v0, 7, v20
	v_and_b32_e32 v20, 0x78, v20
	v_lshlrev_b32_e32 v22, 4, v22
	v_xor_b32_e32 v84, v22, v20
	v_mul_lo_u32 v21, v80, s15
	v_or_b32_e32 v85, 0x1000, v84
	s_cmpk_eq_i32 s15, 0x80
	s_mov_b32 s51, s14
	v_xor_b32_e32 v20, 8, v84
	v_xor_b32_e32 v22, 8, v85
	s_cselect_b64 s[0:1], -1, 0
	s_cmpk_lg_i32 s15, 0x80
	s_waitcnt vmcnt(3)
	ds_write_b64 v84, v[4:5] offset:49152
	ds_write_b64 v20, v[6:7] offset:49152
	s_waitcnt vmcnt(2)
	ds_write_b64 v84, v[8:9] offset:57344
	ds_write_b64 v20, v[10:11] offset:57344
	s_waitcnt vmcnt(1)
	ds_write_b64 v84, v[12:13] offset:53248
	ds_write_b64 v22, v[14:15] offset:49152
	s_waitcnt vmcnt(0)
	ds_write_b64 v84, v[16:17] offset:61440
	ds_write_b64 v22, v[18:19] offset:57344
	v_lshl_add_u32 v4, v21, 1, v81
	s_cbranch_scc0 .LBB112_3
; %bb.2:
	v_lshlrev_b32_e32 v6, 1, v4
	v_add_lshl_u32 v5, v4, s15, 1
	s_lshl_b32 s22, s15, 7
	v_lshl_or_b32 v3, v80, 9, v3
	s_cbranch_execz .LBB112_4
	s_branch .LBB112_5
.LBB112_3:
                                        ; implicit-def: $vgpr5
                                        ; implicit-def: $vgpr6
                                        ; implicit-def: $sgpr22
	v_lshl_or_b32 v3, v80, 9, v3
.LBB112_4:
	v_or_b32_e32 v5, 0x100, v3
	s_movk_i32 s22, 0x4000
	v_mov_b32_e32 v6, v3
.LBB112_5:
	s_mul_hi_u32 s20, s14, s12
	s_mul_i32 s21, s47, s12
	s_add_i32 s20, s20, s21
	s_mul_i32 s21, s14, s12
	s_mul_i32 s23, s21, s24
	s_mul_hi_u32 s25, s21, s45
	s_add_i32 s23, s25, s23
	s_mul_i32 s20, s20, s45
	s_add_i32 s23, s23, s20
	s_mul_i32 s21, s21, s45
	s_ashr_i32 s53, s50, 31
	s_add_u32 s20, s21, s50
	s_addc_u32 s21, s23, s53
	s_lshl_b64 s[20:21], s[20:21], 8
	s_add_u32 s20, s4, s20
	s_addc_u32 s21, s5, s21
	s_and_b32 s21, s21, 0xffff
	s_mov_b32 s23, 0x20000
	s_movk_i32 s54, 0x80
	buffer_load_dwordx4 v[8:11], v6, s[20:23], 0 offen
	buffer_load_dwordx4 v[12:15], v6, s[20:23], s54 offen
	;; [unrolled: 1-line block ×4, first 2 shown]
	v_and_b32_e32 v5, 6, v0
	v_lshlrev_b32_e32 v6, 7, v78
	v_xor_b32_e32 v27, v80, v5
	v_and_b32_e32 v7, 1, v0
	v_lshl_or_b32 v30, v72, 3, v6
	v_lshlrev_b32_e32 v27, 2, v27
	v_or_b32_e32 v86, 0x4000, v30
	v_or_b32_e32 v87, 0x6000, v30
	v_xor_b32_e32 v30, 0x440, v27
	v_cmp_eq_u32_e32 vcc, 0, v7
	v_lshlrev_b32_e32 v24, 2, v72
	s_mov_b32 s56, 0x1000504
	v_cndmask_b32_e32 v7, v30, v27, vcc
	v_xor_b32_e32 v28, v78, v24
	v_xor_b32_e32 v29, v79, v24
	v_lshl_or_b32 v5, v5, 10, v7
	s_mov_b32 s57, 0x3020706
	s_mul_i32 s20, s24, s12
	s_mul_hi_u32 s21, s45, s12
	v_lshlrev_b32_e32 v25, 8, v72
	v_or_b32_e32 v26, 16, v72
	v_lshlrev_b32_e32 v28, 1, v28
	v_lshlrev_b32_e32 v29, 1, v29
	v_xor_b32_e32 v7, 8, v5
	v_xor_b32_e32 v27, 24, v5
	;; [unrolled: 1-line block ×4, first 2 shown]
	v_or_b32_e32 v89, v25, v28
	v_or_b32_e32 v90, v25, v29
	v_xor_b32_e32 v25, 16, v5
	v_xor_b32_e32 v30, 32, v5
	;; [unrolled: 1-line block ×3, first 2 shown]
	v_add_u32_e32 v7, 0x80, v7
	v_add_u32_e32 v27, 0x80, v27
	;; [unrolled: 1-line block ×4, first 2 shown]
	s_add_i32 s59, s21, s20
	s_add_i32 s20, s42, s17
	s_mul_i32 s24, s24, s16
	s_add_i32 s35, s20, s24
	s_mul_i32 s20, s33, s19
	s_mul_hi_u32 s21, s33, s18
	s_add_i32 s20, s21, s20
	s_mul_i32 s21, s52, s18
	s_add_i32 s21, s20, s21
	s_lshl_b64 s[24:25], s[34:35], 2
	s_mul_i32 s20, s33, s18
	s_add_u32 s24, s10, s24
	s_addc_u32 s25, s11, s25
	s_lshl_b64 s[20:21], s[20:21], 2
	s_add_u32 s38, s24, s20
	s_movk_i32 s20, 0xf8
	s_addc_u32 s39, s25, s21
	s_ashr_i32 s31, s30, 31
	s_lshl_b32 s26, s15, 7
	s_movk_i32 s24, 0x100
	v_mov_b32_e32 v67, 0
	v_lshlrev_b32_e32 v66, 4, v72
	v_cmp_gt_u32_e32 vcc, s24, v0
	v_lshl_or_b32 v31, v26, 3, v6
	s_mov_b32 s55, 0
	s_mul_i32 s58, s45, s12
	v_or_b32_e32 v88, 0x4000, v31
	s_movk_i32 s22, 0x4000
	v_or_b32_e32 v91, 0x6000, v31
	v_add_u32_e32 v126, v1, v2
	s_movk_i32 s35, 0x2000
	s_movk_i32 s60, 0x3000
	v_mov_b32_e32 v131, 0x3fb8aa3b
	s_mov_b32 s62, 0
	v_mov_b32_e32 v58, v67
	v_mov_b32_e32 v59, v67
	;; [unrolled: 1-line block ×8, first 2 shown]
	s_waitcnt vmcnt(1)
	v_perm_b32 v35, v8, v16, s56
	s_waitcnt vmcnt(0)
	v_perm_b32 v36, v12, v20, s56
	v_perm_b32 v8, v8, v16, s57
	;; [unrolled: 1-line block ×15, first 2 shown]
	ds_write2st64_b32 v5, v35, v36 offset0:128 offset1:160
	ds_write2st64_b32 v7, v8, v12 offset0:128 offset1:160
	ds_write2st64_b32 v25, v16, v20 offset0:129 offset1:161
	ds_write2st64_b32 v27, v9, v13 offset0:129 offset1:161
	ds_write2st64_b32 v30, v17, v21 offset0:130 offset1:162
	ds_write2st64_b32 v32, v10, v14 offset0:130 offset1:162
	ds_write2st64_b32 v33, v18, v22 offset0:131 offset1:163
	ds_write2st64_b32 v34, v11, v15 offset0:131 offset1:163
	v_lshlrev_b32_e32 v5, 8, v26
	v_or_b32_e32 v92, v5, v28
	v_or_b32_e32 v93, v5, v29
	;; [unrolled: 1-line block ×3, first 2 shown]
	v_lshl_or_b32 v7, v5, 3, v6
	v_lshlrev_b32_e32 v5, 8, v5
	v_or_b32_e32 v96, v5, v28
	v_or_b32_e32 v97, v5, v29
	;; [unrolled: 1-line block ×5, first 2 shown]
	v_lshl_or_b32 v7, v5, 3, v6
	v_lshlrev_b32_e32 v5, 8, v5
	v_or_b32_e32 v100, v5, v28
	v_or_b32_e32 v101, v5, v29
	;; [unrolled: 1-line block ×3, first 2 shown]
	v_lshlrev_b32_e32 v5, 3, v5
	v_lshrrev_b32_e32 v9, 5, v73
	v_and_or_b32 v9, v5, s20, v9
	v_lshlrev_b32_e32 v9, 4, v9
	v_or_b32_e32 v98, 0x4000, v7
	v_or_b32_e32 v99, 0x6000, v7
	v_lshlrev_b32_e32 v7, 11, v74
	v_and_b32_e32 v5, 0x78, v5
	v_or_b32_e32 v14, 32, v9
	v_and_b32_e32 v8, 0x1000, v7
	v_xor_b32_e32 v10, v9, v5
	v_lshrrev_b32_e32 v11, 1, v0
	v_xor_b32_e32 v14, v14, v5
	v_or_b32_e32 v10, v10, v8
	v_and_b32_e32 v12, 8, v11
	v_or_b32_e32 v14, v14, v8
	v_xor_b32_e32 v102, v10, v12
	v_lshlrev_b32_e32 v10, 8, v75
	v_xor_b32_e32 v104, v14, v12
	v_or_b32_e32 v14, 64, v9
	v_or_b32_e32 v9, 0x60, v9
	;; [unrolled: 1-line block ×3, first 2 shown]
	v_xor_b32_e32 v14, v14, v5
	v_xor_b32_e32 v5, v9, v5
	v_lshlrev_b32_e32 v13, 1, v13
	v_or_b32_e32 v14, v14, v8
	v_or_b32_e32 v5, v5, v8
	s_lshl_b64 s[20:21], s[30:31], 8
	v_or_b32_e32 v103, 0x4000, v13
	v_or_b32_e32 v105, 0x4080, v13
	;; [unrolled: 1-line block ×4, first 2 shown]
	v_xor_b32_e32 v108, v14, v12
	v_xor_b32_e32 v109, v5, v12
	v_or_b32_e32 v110, 0x6000, v13
	v_or_b32_e32 v111, 0x6080, v13
	;; [unrolled: 1-line block ×4, first 2 shown]
	v_lshlrev_b32_e32 v12, 1, v4
	v_add_lshl_u32 v13, v4, s15, 1
	s_add_u32 s20, s36, s20
	v_lshlrev_b32_e32 v4, 1, v72
	v_lshrrev_b32_e32 v15, 4, v0
	s_addc_u32 s21, s37, s21
	v_or_b32_e32 v5, 1, v4
	v_mov_b32_e32 v19, 0xa000
	v_mov_b32_e32 v20, 0x8000
	v_xor_b32_e32 v16, v15, v4
	v_xor_b32_e32 v17, v5, v15
	v_lshl_add_u64 v[4:5], s[20:21], 0, v[66:67]
	v_lshlrev_b32_e32 v66, 8, v15
	v_cndmask_b32_e32 v19, v19, v20, vcc
	v_lshlrev_b32_e32 v20, 3, v74
	v_and_b32_e32 v11, 24, v11
	v_lshl_or_b32 v114, v16, 3, v66
	v_and_b32_e32 v16, 8, v0
	v_xor_b32_e32 v21, v20, v11
	v_or_b32_e32 v22, 0x440, v21
	v_cmp_eq_u32_e32 vcc, 0, v16
	v_and_b32_e32 v15, 7, v0
	v_lshl_or_b32 v115, v17, 3, v66
	v_cndmask_b32_e32 v16, v22, v21, vcc
	v_lshlrev_b32_e32 v17, 3, v15
	v_lshlrev_b32_e32 v15, 7, v15
	v_or_b32_e32 v16, v16, v7
	v_lshlrev_b32_e32 v18, 2, v0
	v_xad_u32 v116, v16, v17, v15
	v_or_b32_e32 v16, 32, v11
	v_and_or_b32 v10, v18, 60, v10
	v_xor_b32_e32 v16, v20, v16
	v_lshlrev_b32_e32 v10, 1, v10
	v_or_b32_e32 v18, 0x440, v16
	v_or_b32_e32 v117, 0x6000, v10
	v_cndmask_b32_e32 v16, v18, v16, vcc
	v_or_b32_e32 v119, 0x6080, v10
	v_or_b32_e32 v120, 0x6100, v10
	;; [unrolled: 1-line block ×5, first 2 shown]
	v_xor_b32_e32 v10, v20, v10
	v_xad_u32 v118, v16, v17, v15
	v_xor_b32_e32 v16, 0x440, v10
	v_cndmask_b32_e32 v10, v16, v10, vcc
	v_or_b32_e32 v10, v10, v7
	v_xad_u32 v122, v10, v17, v15
	v_or_b32_e32 v10, 0x60, v11
	v_xor_b32_e32 v10, v20, v10
	v_xor_b32_e32 v11, 0x440, v10
	v_cndmask_b32_e32 v10, v11, v10, vcc
	v_or_b32_e32 v8, s30, v72
	v_or_b32_e32 v7, v10, v7
	v_ashrrev_i32_e32 v9, 31, v8
	v_or_b32_e32 v14, 0x100, v3
	v_xad_u32 v123, v7, v17, v15
	v_cndmask_b32_e64 v124, v12, v3, s[0:1]
	v_cndmask_b32_e64 v125, v13, v14, s[0:1]
	v_lshl_add_u64 v[68:69], v[8:9], 1, s[8:9]
	v_lshl_add_u64 v[70:71], v[4:5], 0, v[66:67]
	s_mov_b32 s31, 0x7060302
	v_lshlrev_b32_e32 v66, 1, v6
	v_add_u32_e32 v127, v19, v116
	v_add_u32_e32 v128, v19, v118
	;; [unrolled: 1-line block ×4, first 2 shown]
	v_mov_b32_e32 v50, v67
	v_mov_b32_e32 v51, v67
	;; [unrolled: 1-line block ×24, first 2 shown]
	s_waitcnt lgkmcnt(0)
	s_barrier
.LBB112_6:                              ; =>This Inner Loop Header: Depth=1
	s_add_i32 s61, s62, 1
	s_cmp_lt_i32 s61, s46
	s_mov_b64 s[24:25], 0
	s_cselect_b64 s[40:41], -1, 0
	s_cmp_ge_i32 s61, s46
	s_mov_b64 s[20:21], 0
	s_cbranch_scc1 .LBB112_8
; %bb.7:                                ;   in Loop: Header=BB112_6 Depth=1
	s_add_i32 s0, s55, 64
	s_add_u32 s0, s2, s0
	s_addc_u32 s1, s3, 0
	s_lshl_b64 s[0:1], s[0:1], 8
	s_add_u32 s20, s6, s0
	s_addc_u32 s21, s7, s1
.LBB112_8:                              ;   in Loop: Header=BB112_6 Depth=1
	v_cndmask_b32_e64 v2, 0, 1, s[40:41]
	v_cmp_ne_u32_e64 s[0:1], 1, v2
	s_andn2_b64 vcc, exec, s[40:41]
	s_cbranch_vccnz .LBB112_10
; %bb.9:                                ;   in Loop: Header=BB112_6 Depth=1
	s_add_i32 s24, s55, 64
	s_add_u32 s24, s58, s24
	s_addc_u32 s25, s59, 0
	s_mul_i32 s27, s24, s47
	s_mul_hi_u32 s40, s24, s51
	s_add_i32 s27, s40, s27
	s_mul_i32 s25, s25, s51
	s_add_i32 s27, s27, s25
	s_mul_i32 s24, s24, s51
	s_add_u32 s24, s24, s50
	s_addc_u32 s25, s27, s53
	s_lshl_b64 s[24:25], s[24:25], 8
	s_add_u32 s24, s4, s24
	s_addc_u32 s25, s5, s25
.LBB112_10:                             ;   in Loop: Header=BB112_6 Depth=1
	v_perm_b32 v3, v65, v64, s31
	v_perm_b32 v2, v63, v62, s31
	v_perm_b32 v5, v61, v60, s31
	v_perm_b32 v4, v59, v58, s31
	ds_write_b64 v86, v[2:3]
	ds_write_b64 v87, v[4:5]
	ds_write_b64 v89, v[2:3]
	ds_write_b64 v90, v[4:5]
	v_perm_b32 v3, v57, v56, s31
	v_perm_b32 v2, v55, v54, s31
	v_perm_b32 v5, v53, v52, s31
	v_perm_b32 v4, v51, v50, s31
	ds_write_b64 v88, v[2:3]
	ds_write_b64 v91, v[4:5]
	ds_write_b64 v92, v[2:3]
	ds_write_b64 v93, v[4:5]
	;; [unrolled: 8-line block ×4, first 2 shown]
	s_waitcnt lgkmcnt(0)
	s_barrier
	ds_read_b64 v[6:7], v102 offset:49152
	ds_read2_b64 v[2:5], v103 offset1:16
	ds_read_b64 v[18:19], v105 offset:6144
	ds_read_b64 v[20:21], v103 offset:6144
	s_waitcnt lgkmcnt(2)
	v_mfma_f32_16x16x16_bf16 a[0:3], v[6:7], v[2:3], 0
	ds_read_b64 v[22:23], v104 offset:49152
	ds_read2st64_b64 v[10:13], v106 offset0:4 offset1:8
	ds_read2st64_b64 v[14:17], v107 offset0:4 offset1:8
	v_mfma_f32_16x16x16_bf16 a[4:7], v[6:7], v[4:5], 0
	ds_read2_b64 v[2:5], v103 offset0:32 offset1:48
	s_add_i32 s27, s55, 63
	s_mul_i32 s40, s27, s29
	s_waitcnt lgkmcnt(0)
	v_mfma_f32_16x16x16_bf16 a[8:11], v[6:7], v[2:3], 0
	s_mul_hi_u32 s41, s27, s28
	s_add_i32 s41, s41, s40
	s_mul_i32 s40, s27, s28
	v_mfma_f32_16x16x16_bf16 a[12:15], v[6:7], v[4:5], 0
	ds_read2st64_b64 v[2:5], v103 offset0:4 offset1:8
	ds_read2st64_b64 v[6:9], v105 offset0:4 offset1:8
	s_lshl_b64 s[40:41], s[40:41], 2
	s_waitcnt lgkmcnt(1)
	v_mfma_f32_16x16x16_bf16 a[0:3], v[22:23], v[2:3], a[0:3]
	s_add_u32 s40, s38, s40
	s_addc_u32 s41, s39, s41
	s_and_b64 vcc, exec, s[0:1]
	s_waitcnt lgkmcnt(0)
	v_mfma_f32_16x16x16_bf16 a[4:7], v[22:23], v[6:7], a[4:7]
	v_mov_b32_e32 v134, 0
	v_mov_b32_e32 v133, 0
	v_mov_b32_e32 v132, 0
	v_mfma_f32_16x16x16_bf16 a[8:11], v[22:23], v[10:11], a[8:11]
	ds_read_b64 v[2:3], v108 offset:49152
	ds_read_b64 v[6:7], v109 offset:49152
	ds_read_b64 v[10:11], v107 offset:6144
	v_mfma_f32_16x16x16_bf16 a[12:15], v[22:23], v[14:15], a[12:15]
	v_mov_b32_e32 v14, 0
	v_mov_b32_e32 v15, 0
	s_waitcnt lgkmcnt(2)
	v_mfma_f32_16x16x16_bf16 a[0:3], v[2:3], v[4:5], a[0:3]
	v_mov_b32_e32 v4, 0
	v_mov_b32_e32 v5, 0
	v_mfma_f32_16x16x16_bf16 a[16:19], v[2:3], v[8:9], a[4:7]
	v_mov_b32_e32 v8, 0
	v_mov_b32_e32 v9, 0
	v_mfma_f32_16x16x16_bf16 a[20:23], v[2:3], v[12:13], a[8:11]
	v_mov_b32_e32 v12, 0
	v_mov_b32_e32 v13, 0
	v_mfma_f32_16x16x16_bf16 a[24:27], v[2:3], v[16:17], a[12:15]
	ds_read_b64 v[2:3], v106 offset:6144
	v_mov_b32_e32 v16, 0
	v_mov_b32_e32 v17, 0
	s_waitcnt lgkmcnt(2)
	v_mfma_f32_16x16x16_bf16 a[4:7], v[6:7], v[20:21], a[0:3]
	v_mfma_f32_16x16x16_bf16 a[8:11], v[6:7], v[18:19], a[16:19]
	s_waitcnt lgkmcnt(0)
	v_mfma_f32_16x16x16_bf16 a[12:15], v[6:7], v[2:3], a[20:23]
	v_mov_b32_e32 v2, 0
	v_mov_b32_e32 v3, 0
	v_mfma_f32_16x16x16_bf16 a[0:3], v[6:7], v[10:11], a[24:27]
	v_mov_b32_e32 v6, 0
	v_mov_b32_e32 v7, 0
	;; [unrolled: 1-line block ×4, first 2 shown]
	s_cbranch_vccnz .LBB112_12
; %bb.11:                               ;   in Loop: Header=BB112_6 Depth=1
	s_and_b32 s21, s21, 0xffff
	buffer_load_dwordx4 v[14:17], v82, s[20:23], 0 offen
	buffer_load_dwordx4 v[10:13], v82, s[20:23], s54 offen
	;; [unrolled: 1-line block ×4, first 2 shown]
	v_mov_b32_e32 v133, v84
	v_mov_b32_e32 v132, v85
.LBB112_12:                             ;   in Loop: Header=BB112_6 Depth=1
	ds_read_b64 v[136:137], v102 offset:57344
	ds_read2_b64 v[18:21], v110 offset1:16
	ds_read_b64 v[138:139], v104 offset:57344
	ds_read_b64 v[140:141], v108 offset:57344
	;; [unrolled: 1-line block ×3, first 2 shown]
	v_add_u32_e32 v135, s55, v126
	s_waitcnt lgkmcnt(3)
	v_mfma_f32_16x16x16_bf16 a[4:7], v[136:137], v[18:19], a[4:7]
	v_mfma_f32_16x16x16_bf16 a[8:11], v[136:137], v[20:21], a[8:11]
	ds_read2_b64 v[18:21], v110 offset0:32 offset1:48
	ds_read2st64_b64 v[22:25], v110 offset0:4 offset1:8
	ds_read2st64_b64 v[26:29], v111 offset0:4 offset1:8
	;; [unrolled: 1-line block ×3, first 2 shown]
	s_waitcnt lgkmcnt(3)
	v_mfma_f32_16x16x16_bf16 a[12:15], v[136:137], v[18:19], a[12:15]
	v_ashrrev_i32_e32 v18, 31, v135
	v_mfma_f32_16x16x16_bf16 a[0:3], v[136:137], v[20:21], a[0:3]
	v_mul_lo_u32 v20, v18, s28
	v_mul_lo_u32 v21, v135, s29
	v_mad_u64_u32 v[18:19], s[20:21], v135, s28, 0
	v_add3_u32 v19, v19, v21, v20
	v_add_u32_e32 v20, 1, v135
	v_ashrrev_i32_e32 v21, 31, v20
	s_waitcnt lgkmcnt(2)
	v_mfma_f32_16x16x16_bf16 a[4:7], v[138:139], v[22:23], a[4:7]
	v_mul_lo_u32 v22, v21, s28
	v_mul_lo_u32 v23, v20, s29
	v_mad_u64_u32 v[20:21], s[20:21], v20, s28, 0
	v_add3_u32 v21, v21, v23, v22
	v_add_u32_e32 v22, 2, v135
	v_ashrrev_i32_e32 v23, 31, v22
	s_waitcnt lgkmcnt(1)
	v_mfma_f32_16x16x16_bf16 a[8:11], v[138:139], v[26:27], a[8:11]
	v_mul_lo_u32 v26, v23, s28
	v_mul_lo_u32 v27, v22, s29
	v_mad_u64_u32 v[22:23], s[20:21], v22, s28, 0
	v_lshl_add_u64 v[18:19], v[18:19], 2, s[38:39]
	v_add3_u32 v23, v23, v27, v26
	v_add_u32_e32 v26, 3, v135
	v_ashrrev_i32_e32 v27, 31, v26
	global_load_dword v136, v[18:19], off
	v_mad_u64_u32 v[18:19], s[20:21], v26, s28, 0
	v_mul_lo_u32 v27, v27, s28
	v_mul_lo_u32 v135, v26, s29
	s_add_u32 s20, s2, s55
	v_add3_u32 v19, v19, v135, v27
	s_addc_u32 s21, s3, 0
	v_lshl_add_u64 v[20:21], v[20:21], 2, s[38:39]
	v_lshl_add_u64 v[22:23], v[22:23], 2, s[38:39]
	;; [unrolled: 1-line block ×3, first 2 shown]
	s_lshl_b64 s[20:21], s[20:21], 8
	global_load_dword v135, v[20:21], off
	global_load_dword v137, v[22:23], off
	;; [unrolled: 1-line block ×3, first 2 shown]
	v_lshl_add_u64 v[18:19], v[68:69], 0, s[20:21]
	v_lshl_add_u64 v[22:23], v[18:19], 0, v[66:67]
	global_load_ushort v145, v[22:23], off offset:256
	global_load_ushort v146, v[22:23], off
	ds_read2st64_b64 v[18:21], v113 offset0:4 offset1:8
	global_load_ushort v147, v[22:23], off offset:768
	global_load_ushort v148, v[22:23], off offset:512
	s_waitcnt lgkmcnt(1)
	v_mfma_f32_16x16x16_bf16 a[12:15], v[138:139], v[30:31], a[12:15]
	s_and_b64 vcc, exec, s[0:1]
	s_waitcnt vmcnt(3)
	v_lshlrev_b32_e32 v31, 16, v145
	s_waitcnt lgkmcnt(0)
	v_mfma_f32_16x16x16_bf16 a[0:3], v[138:139], v[18:19], a[0:3]
	global_load_ushort v138, v[22:23], off offset:288
	global_load_ushort v139, v[22:23], off offset:32
	;; [unrolled: 1-line block ×8, first 2 shown]
	v_mfma_f32_16x16x16_bf16 a[4:7], v[140:141], v[24:25], a[4:7]
	ds_read_b64 v[18:19], v110 offset:6144
	s_waitcnt vmcnt(10)
	v_lshlrev_b32_e32 v30, 16, v146
	v_mfma_f32_16x16x16_bf16 a[8:11], v[140:141], v[28:29], a[8:11]
	v_mfma_f32_16x16x16_bf16 a[12:15], v[140:141], v[32:33], a[12:15]
	v_mfma_f32_16x16x16_bf16 a[0:3], v[140:141], v[20:21], a[0:3]
	global_load_ushort v140, v[22:23], off offset:352
	global_load_ushort v141, v[22:23], off offset:96
	ds_read_b64 v[20:21], v111 offset:6144
	ds_read_b64 v[24:25], v112 offset:6144
	;; [unrolled: 1-line block ×3, first 2 shown]
	global_load_ushort v155, v[22:23], off offset:864
	global_load_ushort v156, v[22:23], off offset:608
	s_load_dword s20, s[40:41], 0x0
	s_waitcnt lgkmcnt(0)
	v_mfma_f32_16x16x16_bf16 a[4:7], v[142:143], v[18:19], a[4:7]
	v_sub_f32_e32 v28, s20, v137
	v_mfma_f32_16x16x16_bf16 a[0:3], v[142:143], v[26:27], a[0:3]
	v_sub_f32_e32 v26, s20, v136
	v_sub_f32_e32 v27, s20, v135
	;; [unrolled: 1-line block ×3, first 2 shown]
	v_mul_f32_e32 v26, 0x3fb8aa3b, v26
	v_mul_f32_e32 v27, 0x3fb8aa3b, v27
	;; [unrolled: 1-line block ×4, first 2 shown]
	v_mfma_f32_16x16x16_bf16 a[8:11], v[142:143], v[20:21], a[8:11]
	v_exp_f32_e32 v26, v26
	v_exp_f32_e32 v27, v27
	;; [unrolled: 1-line block ×4, first 2 shown]
	v_accvgpr_read_b32 v33, a5
	v_accvgpr_read_b32 v32, a4
	;; [unrolled: 1-line block ×4, first 2 shown]
	v_pk_add_f32 v[30:31], v[30:31], v[32:33] neg_lo:[0,1] neg_hi:[0,1]
	s_waitcnt vmcnt(13)
	v_lshlrev_b32_e32 v33, 16, v147
	s_waitcnt vmcnt(12)
	v_lshlrev_b32_e32 v32, 16, v148
	v_pk_add_f32 v[18:19], v[32:33], v[18:19] neg_lo:[0,1] neg_hi:[0,1]
	v_pk_mul_f32 v[30:31], v[26:27], v[30:31]
	v_pk_mul_f32 v[18:19], v[28:29], v[18:19]
	v_accvgpr_read_b32 v33, a9
	v_perm_b32 v19, v19, v18, s31
	v_perm_b32 v18, v31, v30, s31
	v_accvgpr_read_b32 v32, a8
	v_accvgpr_read_b32 v21, a11
	v_mfma_f32_16x16x16_bf16 a[12:15], v[142:143], v[24:25], a[12:15]
	v_accvgpr_read_b32 v20, a10
	v_accvgpr_read_b32 v25, a3
	;; [unrolled: 1-line block ×3, first 2 shown]
	v_mov_b32_e32 v135, 0
	s_waitcnt vmcnt(11)
	v_lshlrev_b32_e32 v31, 16, v138
	s_waitcnt vmcnt(10)
	v_lshlrev_b32_e32 v30, 16, v139
	v_pk_add_f32 v[30:31], v[30:31], v[32:33] neg_lo:[0,1] neg_hi:[0,1]
	s_waitcnt vmcnt(9)
	v_lshlrev_b32_e32 v33, 16, v149
	s_waitcnt vmcnt(8)
	v_lshlrev_b32_e32 v32, 16, v150
	v_pk_add_f32 v[20:21], v[32:33], v[20:21] neg_lo:[0,1] neg_hi:[0,1]
	v_pk_mul_f32 v[30:31], v[26:27], v[30:31]
	v_pk_mul_f32 v[20:21], v[28:29], v[20:21]
	v_accvgpr_read_b32 v23, a15
	v_perm_b32 v21, v21, v20, s31
	v_perm_b32 v20, v31, v30, s31
	ds_write2_b64 v87, v[18:19], v[20:21] offset1:16
	v_accvgpr_read_b32 v21, a13
	s_waitcnt vmcnt(7)
	v_lshlrev_b32_e32 v19, 16, v151
	s_waitcnt vmcnt(6)
	v_lshlrev_b32_e32 v18, 16, v152
	v_accvgpr_read_b32 v20, a12
	v_accvgpr_read_b32 v22, a14
	v_pk_add_f32 v[18:19], v[18:19], v[20:21] neg_lo:[0,1] neg_hi:[0,1]
	s_waitcnt vmcnt(5)
	v_lshlrev_b32_e32 v21, 16, v153
	s_waitcnt vmcnt(4)
	v_lshlrev_b32_e32 v20, 16, v154
	v_pk_add_f32 v[20:21], v[20:21], v[22:23] neg_lo:[0,1] neg_hi:[0,1]
	v_pk_mul_f32 v[18:19], v[26:27], v[18:19]
	v_pk_mul_f32 v[20:21], v[28:29], v[20:21]
	v_accvgpr_read_b32 v23, a1
	v_perm_b32 v21, v21, v20, s31
	v_perm_b32 v20, v19, v18, s31
	s_waitcnt vmcnt(3)
	v_lshlrev_b32_e32 v19, 16, v140
	s_waitcnt vmcnt(2)
	v_lshlrev_b32_e32 v18, 16, v141
	v_accvgpr_read_b32 v22, a0
	v_pk_add_f32 v[18:19], v[18:19], v[22:23] neg_lo:[0,1] neg_hi:[0,1]
	s_waitcnt vmcnt(1)
	v_lshlrev_b32_e32 v23, 16, v155
	s_waitcnt vmcnt(0)
	v_lshlrev_b32_e32 v22, 16, v156
	v_pk_add_f32 v[22:23], v[22:23], v[24:25] neg_lo:[0,1] neg_hi:[0,1]
	v_pk_mul_f32 v[18:19], v[26:27], v[18:19]
	v_pk_mul_f32 v[22:23], v[28:29], v[22:23]
	v_mov_b32_e32 v24, 0
	v_perm_b32 v23, v23, v22, s31
	v_perm_b32 v22, v19, v18, s31
	ds_write2_b64 v87, v[20:21], v[22:23] offset0:32 offset1:48
	v_mov_b32_e32 v18, 0
	v_mov_b32_e32 v19, 0
	;; [unrolled: 1-line block ×15, first 2 shown]
	s_cbranch_vccnz .LBB112_14
; %bb.13:                               ;   in Loop: Header=BB112_6 Depth=1
	s_and_b32 s25, s25, 0xffff
	s_mov_b32 s27, s23
	buffer_load_dwordx4 v[30:33], v124, s[24:27], 0 offen
	buffer_load_dwordx4 v[22:25], v124, s[24:27], s54 offen
	;; [unrolled: 1-line block ×4, first 2 shown]
	v_mov_b32_e32 v134, v81
	v_mov_b32_e32 v135, v80
.LBB112_14:                             ;   in Loop: Header=BB112_6 Depth=1
	s_waitcnt lgkmcnt(0)
	s_barrier
	ds_read_b64 v[144:145], v127
	ds_read2_b64 v[136:139], v117 offset1:16
	ds_read_b64 v[160:161], v128
	ds_read_b64 v[162:163], v129
	;; [unrolled: 1-line block ×3, first 2 shown]
	ds_read2_b64 v[140:143], v117 offset0:32 offset1:48
	s_waitcnt lgkmcnt(4)
	v_mfma_f32_16x16x16_bf16 a[0:3], v[144:145], v[136:137], 0
	ds_read2st64_b64 v[148:151], v119 offset0:4 offset1:8
	ds_read2st64_b64 v[152:155], v120 offset0:4 offset1:8
	ds_read2st64_b64 v[156:159], v121 offset0:4 offset1:8
	v_mfma_f32_16x16x16_bf16 a[4:7], v[144:145], v[138:139], 0
	s_add_i32 s21, s48, s62
	s_mul_hi_i32 s25, s21, s13
	s_mul_i32 s21, s21, s13
	s_waitcnt lgkmcnt(3)
	v_mfma_f32_16x16x16_bf16 a[8:11], v[144:145], v[140:141], 0
	s_add_u32 s24, s21, s33
	s_addc_u32 s25, s25, s52
	s_lshl_b64 s[24:25], s[24:25], 15
	v_mfma_f32_16x16x16_bf16 a[12:15], v[144:145], v[142:143], 0
	ds_read2st64_b64 v[144:147], v117 offset0:4 offset1:8
	s_waitcnt lgkmcnt(0)
	v_mfma_f32_16x16x16_bf16 a[0:3], v[160:161], v[144:145], a[0:3]
	v_mfma_f32_16x16x16_bf16 a[4:7], v[160:161], v[148:149], a[4:7]
	;; [unrolled: 1-line block ×8, first 2 shown]
	ds_read_b64 v[160:161], v117 offset:6144
	ds_read_b64 v[162:163], v118 offset:40960
	;; [unrolled: 1-line block ×8, first 2 shown]
	s_waitcnt lgkmcnt(5)
	v_mfma_f32_16x16x16_bf16 a[16:19], v[166:167], v[136:137], 0
	v_mfma_f32_16x16x16_bf16 a[20:23], v[166:167], v[138:139], 0
	ds_read2st64_b64 v[136:139], v114 offset1:8
	v_mfma_f32_16x16x16_bf16 a[24:27], v[166:167], v[140:141], 0
	v_mfma_f32_16x16x16_bf16 a[28:31], v[166:167], v[142:143], 0
	ds_read2st64_b64 v[140:143], v115 offset1:8
	v_mfma_f32_16x16x16_bf16 a[16:19], v[162:163], v[144:145], a[16:19]
	s_waitcnt lgkmcnt(1)
	v_mov_b32_e32 v144, v136
	v_mov_b32_e32 v145, v137
	v_mfma_f32_16x16x16_bf16 a[20:23], v[162:163], v[148:149], a[20:23]
	v_lshl_add_u64 v[148:149], v[70:71], 0, s[24:25]
	v_mfma_f32_16x16x16_bf16 a[24:27], v[162:163], v[152:153], a[24:27]
	v_mfma_f32_16x16x16_bf16 a[28:31], v[162:163], v[156:157], a[28:31]
	;; [unrolled: 1-line block ×3, first 2 shown]
	s_waitcnt lgkmcnt(0)
	v_mov_b32_e32 v146, v140
	v_mov_b32_e32 v147, v141
	;; [unrolled: 1-line block ×3, first 2 shown]
	v_mfma_f32_16x16x16_bf16 a[32:35], v[174:175], v[150:151], a[20:23]
	v_mov_b32_e32 v141, v139
	ds_read2st64_b64 v[136:139], v114 offset0:16 offset1:24
	global_store_dwordx4 v[148:149], v[144:147], off
	v_mfma_f32_16x16x16_bf16 a[24:27], v[174:175], v[154:155], a[24:27]
	ds_read2st64_b64 v[144:147], v115 offset0:16 offset1:24
	v_add_co_u32_e32 v150, vcc, s35, v148
	v_mfma_f32_16x16x16_bf16 a[28:31], v[174:175], v[158:159], a[28:31]
	s_nop 0
	v_addc_co_u32_e32 v151, vcc, 0, v149, vcc
	global_store_dwordx4 v[150:151], v[140:143], off offset:-4096
	v_mfma_f32_16x16x16_bf16 a[0:3], v[164:165], v[160:161], a[0:3]
	s_waitcnt lgkmcnt(1)
	v_mov_b32_e32 v140, v136
	v_add_co_u32_e32 v136, vcc, s60, v148
	v_mfma_f32_16x16x16_bf16 a[4:7], v[164:165], v[168:169], a[4:7]
	v_mov_b32_e32 v141, v137
	v_addc_co_u32_e32 v137, vcc, 0, v149, vcc
	v_mfma_f32_16x16x16_bf16 a[8:11], v[164:165], v[170:171], a[8:11]
	s_waitcnt lgkmcnt(0)
	v_mov_b32_e32 v142, v144
	v_mov_b32_e32 v143, v145
	;; [unrolled: 1-line block ×3, first 2 shown]
	v_mfma_f32_16x16x16_bf16 a[12:15], v[164:165], v[172:173], a[12:15]
	v_mov_b32_e32 v145, v139
	s_and_b64 vcc, exec, s[0:1]
	global_store_dwordx4 v[150:151], v[140:143], off
	v_mfma_f32_16x16x16_bf16 a[20:23], v[176:177], v[160:161], a[16:19]
	global_store_dwordx4 v[136:137], v[144:147], off
	v_mfma_f32_16x16x16_bf16 a[16:19], v[176:177], v[168:169], a[32:35]
	v_mfma_f32_16x16x16_bf16 a[24:27], v[176:177], v[170:171], a[24:27]
	;; [unrolled: 1-line block ×3, first 2 shown]
	s_cbranch_vccnz .LBB112_16
; %bb.15:                               ;   in Loop: Header=BB112_6 Depth=1
	v_lshrrev_b32_e32 v136, 3, v134
	v_and_b32_e32 v136, 6, v136
	v_xor_b32_e32 v135, v136, v135
	v_lshlrev_b32_e32 v135, 2, v135
	v_and_b32_e32 v134, 8, v134
	v_xor_b32_e32 v137, 0x440, v135
	v_cmp_eq_u32_e32 vcc, 0, v134
	s_barrier
	s_nop 0
	v_cndmask_b32_e32 v134, v137, v135, vcc
	v_lshl_or_b32 v134, v136, 10, v134
	s_waitcnt vmcnt(5)
	v_perm_b32 v135, v30, v26, s56
	s_waitcnt vmcnt(4)
	v_perm_b32 v136, v22, v18, s56
	ds_write2st64_b32 v134, v135, v136 offset0:128 offset1:160
	v_xor_b32_e32 v135, 8, v134
	v_perm_b32 v26, v30, v26, s57
	v_perm_b32 v18, v22, v18, s57
	v_add_u32_e32 v22, 0x80, v135
	ds_write2st64_b32 v22, v26, v18 offset0:128 offset1:160
	v_xor_b32_e32 v18, 16, v134
	v_perm_b32 v22, v31, v27, s56
	v_perm_b32 v26, v23, v19, s56
	ds_write2st64_b32 v18, v22, v26 offset0:129 offset1:161
	v_xor_b32_e32 v18, 24, v134
	v_perm_b32 v22, v31, v27, s57
	v_perm_b32 v19, v23, v19, s57
	v_add_u32_e32 v18, 0x80, v18
	ds_write2st64_b32 v18, v22, v19 offset0:129 offset1:161
	v_xor_b32_e32 v18, 32, v134
	v_perm_b32 v19, v32, v28, s56
	;; [unrolled: 9-line block ×3, first 2 shown]
	v_perm_b32 v20, v25, v21, s56
	ds_write2st64_b32 v18, v19, v20 offset0:131 offset1:163
	v_xor_b32_e32 v18, 56, v134
	v_perm_b32 v19, v33, v29, s57
	v_perm_b32 v20, v25, v21, s57
	v_add_u32_e32 v18, 0x80, v18
	ds_write2st64_b32 v18, v19, v20 offset0:131 offset1:163
	ds_write_b64 v133, v[14:15] offset:49152
	v_xor_b32_e32 v14, 8, v133
	ds_write_b64 v14, v[16:17] offset:49152
	ds_write_b64 v133, v[10:11] offset:57344
	;; [unrolled: 1-line block ×4, first 2 shown]
	v_xor_b32_e32 v6, 8, v132
	ds_write_b64 v6, v[8:9] offset:49152
	ds_write_b64 v132, v[2:3] offset:57344
	;; [unrolled: 1-line block ×3, first 2 shown]
.LBB112_16:                             ;   in Loop: Header=BB112_6 Depth=1
	s_waitcnt vmcnt(6)
	v_mul_f32_e32 v22, s20, v131
	v_exp_f32_e32 v132, v22
	v_accvgpr_read_b32 v5, a3
	v_accvgpr_read_b32 v9, a7
	;; [unrolled: 1-line block ×4, first 2 shown]
	s_waitcnt vmcnt(4)
	v_accvgpr_read_b32 v18, a20
	v_accvgpr_read_b32 v25, a19
	;; [unrolled: 1-line block ×28, first 2 shown]
	s_add_i32 s55, s55, 64
	v_pk_fma_f32 v[62:63], v[132:133], v[62:63], v[2:3] op_sel_hi:[0,1,1]
	v_pk_fma_f32 v[64:65], v[132:133], v[64:65], v[4:5] op_sel_hi:[0,1,1]
	;; [unrolled: 1-line block ×15, first 2 shown]
	s_cmp_eq_u32 s46, s61
	v_pk_fma_f32 v[38:39], v[132:133], v[38:39], v[32:33] op_sel_hi:[0,1,1]
	s_cbranch_scc1 .LBB112_18
; %bb.17:                               ;   in Loop: Header=BB112_6 Depth=1
	s_mov_b32 s62, s61
	s_branch .LBB112_6
.LBB112_18:
	s_lshl_b32 s40, s46, 6
	s_sub_i32 s41, s12, s40
	s_cmp_gt_i32 s41, 0
	s_cbranch_scc0 .LBB112_99
; %bb.19:
	s_ashr_i32 s35, s45, 31
	s_ashr_i32 s2, s40, 31
	s_cmpk_lg_i32 s15, 0x80
	s_cselect_b64 s[26:27], -1, 0
	s_and_b64 vcc, exec, s[26:27]
	s_cbranch_vccz .LBB112_21
; %bb.20:
	s_mul_i32 s1, s45, s12
	s_mul_hi_i32 s0, s45, s12
	s_add_u32 s1, s1, s40
	s_addc_u32 s0, s0, s2
	s_mul_i32 s3, s1, s47
	s_mul_hi_u32 s20, s1, s14
	s_add_i32 s3, s20, s3
	s_mul_i32 s0, s0, s14
	s_add_i32 s3, s3, s0
	s_mul_i32 s1, s1, s14
	s_ashr_i32 s0, s50, 31
	s_add_u32 s38, s1, s50
	s_addc_u32 s39, s3, s0
	s_cbranch_execz .LBB112_22
	s_branch .LBB112_23
.LBB112_21:
                                        ; implicit-def: $sgpr38_sgpr39
.LBB112_22:
	s_mul_hi_i32 s0, s45, s14
	s_mul_i32 s45, s45, s14
	s_ashr_i32 s1, s50, 31
	s_add_u32 s3, s45, s50
	s_addc_u32 s0, s0, s1
	s_mul_i32 s1, s3, s44
	s_mul_hi_u32 s14, s3, s12
	s_add_i32 s1, s14, s1
	s_mul_i32 s0, s0, s12
	s_add_i32 s1, s1, s0
	s_mul_i32 s3, s3, s12
	s_add_u32 s38, s3, s40
	s_addc_u32 s39, s1, s2
.LBB112_23:
	s_add_i32 s3, s48, s46
	s_ashr_i32 s14, s33, 31
	s_add_u32 s0, s43, s33
	s_addc_u32 s1, s49, s14
	s_mul_i32 s20, s0, s44
	s_mul_hi_u32 s21, s0, s12
	s_add_i32 s20, s21, s20
	s_mul_i32 s1, s1, s12
	s_add_i32 s20, s20, s1
	s_mul_i32 s0, s0, s12
	s_add_u32 s0, s0, s40
	v_lshlrev_b32_e32 v6, 6, v78
	v_lshlrev_b32_e32 v24, 2, v72
	s_addc_u32 s1, s20, s2
	s_mov_b32 s2, 0x7060302
	v_or_b32_e32 v9, v6, v24
	v_xor_b32_e32 v7, v78, v24
	v_perm_b32 v3, v65, v64, s2
	v_perm_b32 v2, v63, v62, s2
	;; [unrolled: 1-line block ×4, first 2 shown]
	v_lshlrev_b32_e32 v9, 1, v9
	v_xor_b32_e32 v8, v79, v24
	ds_write2st64_b64 v9, v[2:3], v[4:5] offset0:32 offset1:48
	v_lshlrev_b32_e32 v7, 1, v7
	v_lshlrev_b32_e32 v9, 8, v72
	v_or_b32_e32 v10, v7, v9
	v_lshlrev_b32_e32 v8, 1, v8
	ds_write_b64 v10, v[2:3]
	v_or_b32_e32 v2, v8, v9
	v_or_b32_e32 v9, 16, v72
	v_lshlrev_b32_e32 v23, 2, v9
	v_or_b32_e32 v10, v6, v23
	ds_write_b64 v2, v[4:5]
	v_perm_b32 v3, v57, v56, s2
	v_perm_b32 v2, v55, v54, s2
	v_perm_b32 v5, v53, v52, s2
	v_perm_b32 v4, v51, v50, s2
	v_lshlrev_b32_e32 v10, 1, v10
	v_lshlrev_b32_e32 v9, 8, v9
	ds_write2st64_b64 v10, v[2:3], v[4:5] offset0:32 offset1:48
	v_or_b32_e32 v10, v7, v9
	ds_write_b64 v10, v[2:3]
	v_or_b32_e32 v2, v8, v9
	v_or_b32_e32 v9, 32, v72
	v_lshlrev_b32_e32 v22, 2, v9
	v_or_b32_e32 v10, v6, v22
	s_lshl_b64 s[24:25], s[0:1], 8
	ds_write_b64 v2, v[4:5]
	v_perm_b32 v3, v49, v48, s2
	v_perm_b32 v2, v47, v46, s2
	;; [unrolled: 1-line block ×4, first 2 shown]
	v_lshlrev_b32_e32 v10, 1, v10
	v_lshlrev_b32_e32 v9, 8, v9
	s_add_u32 s0, s6, s24
	ds_write2st64_b64 v10, v[2:3], v[4:5] offset0:32 offset1:48
	v_or_b32_e32 v10, v7, v9
	s_addc_u32 s1, s7, s25
	ds_write_b64 v10, v[2:3]
	v_or_b32_e32 v2, v8, v9
	v_or_b32_e32 v9, 48, v72
	s_mul_hi_i32 s6, s3, s13
	s_mul_i32 s3, s3, s13
	ds_write_b64 v2, v[4:5]
	v_perm_b32 v3, v35, v34, s2
	v_perm_b32 v2, v41, v40, s2
	;; [unrolled: 1-line block ×4, first 2 shown]
	v_lshlrev_b32_e32 v19, 2, v9
	s_add_u32 s2, s3, s33
	v_or_b32_e32 v6, v6, v19
	s_addc_u32 s3, s6, s14
	v_lshlrev_b32_e32 v6, 1, v6
	s_ashr_i32 s31, s30, 31
	s_lshl_b64 s[2:3], s[2:3], 15
	ds_write2st64_b64 v6, v[2:3], v[4:5] offset0:32 offset1:48
	v_lshlrev_b32_e32 v6, 8, v9
	s_add_u32 s6, s36, s2
	v_or_b32_e32 v7, v7, v6
	s_addc_u32 s7, s37, s3
	s_lshl_b64 s[2:3], s[30:31], 8
	ds_write_b64 v7, v[2:3]
	v_or_b32_e32 v2, v8, v6
	s_add_u32 s2, s6, s2
	v_lshlrev_b32_e32 v3, 1, v72
	ds_write_b64 v2, v[4:5]
	v_lshrrev_b32_e32 v2, 4, v0
	s_addc_u32 s3, s7, s3
	v_or_b32_e32 v4, 1, v3
	v_lshlrev_b32_e32 v10, 4, v72
	v_mov_b32_e32 v11, 0
	v_xor_b32_e32 v3, v2, v3
	v_xor_b32_e32 v6, v4, v2
	v_lshl_add_u64 v[12:13], s[2:3], 0, v[10:11]
	v_lshlrev_b32_e32 v10, 8, v2
	v_lshl_or_b32 v16, v3, 3, v10
	v_lshl_or_b32 v17, v6, 3, v10
	s_waitcnt lgkmcnt(0)
	s_barrier
	ds_read2st64_b64 v[2:5], v16 offset1:8
	ds_read2st64_b64 v[6:9], v17 offset1:8
	v_lshl_add_u64 v[14:15], v[12:13], 0, v[10:11]
	s_movk_i32 s2, 0x2000
	s_cmp_lg_u32 s41, 64
	s_waitcnt lgkmcnt(1)
	v_mov_b32_e32 v10, v2
	v_mov_b32_e32 v11, v3
	s_waitcnt lgkmcnt(0)
	v_mov_b32_e32 v12, v6
	v_mov_b32_e32 v13, v7
	global_store_dwordx4 v[14:15], v[10:13], off
	v_mov_b32_e32 v6, v4
	v_mov_b32_e32 v7, v5
	ds_read2st64_b64 v[2:5], v16 offset0:16 offset1:24
	ds_read2st64_b64 v[10:13], v17 offset0:16 offset1:24
	v_add_co_u32_e32 v16, vcc, s2, v14
	s_cselect_b64 s[6:7], -1, 0
	s_nop 0
	v_addc_co_u32_e32 v17, vcc, 0, v15, vcc
	global_store_dwordx4 v[16:17], v[6:9], off offset:-4096
	v_lshl_or_b32 v25, v74, 3, v77
	s_mov_b32 s20, 0
	s_waitcnt lgkmcnt(1)
	v_mov_b32_e32 v6, v2
	v_add_co_u32_e32 v2, vcc, 0x3000, v14
	v_mov_b32_e32 v7, v3
	s_nop 0
	v_addc_co_u32_e32 v3, vcc, 0, v15, vcc
	s_waitcnt lgkmcnt(0)
	v_mov_b32_e32 v8, v10
	v_mov_b32_e32 v9, v11
	;; [unrolled: 1-line block ×4, first 2 shown]
	v_or_b32_e32 v20, 32, v25
	v_and_b32_e32 v18, 56, v76
	s_and_b64 vcc, exec, s[6:7]
	global_store_dwordx4 v[16:17], v[6:9], off
	global_store_dwordx4 v[2:3], v[10:13], off
	s_cbranch_vccz .LBB112_29
; %bb.24:
	s_mov_b32 s21, s20
	s_mov_b32 s22, s20
	;; [unrolled: 1-line block ×3, first 2 shown]
	v_mov_b64_e32 v[6:7], s[20:21]
	v_mov_b64_e32 v[8:9], s[22:23]
	;; [unrolled: 1-line block ×3, first 2 shown]
	v_cmp_gt_i32_e32 vcc, s41, v25
	v_mov_b64_e32 v[4:5], v[8:9]
	s_and_saveexec_b64 s[2:3], vcc
	s_cbranch_execz .LBB112_26
; %bb.25:
	v_lshlrev_b32_e32 v2, 8, v25
	v_mov_b32_e32 v3, 0
	v_lshl_add_u64 v[4:5], s[0:1], 0, v[2:3]
	v_lshlrev_b32_e32 v2, 1, v18
	v_lshl_add_u64 v[10:11], v[4:5], 0, v[2:3]
	global_load_dwordx4 v[6:9], v[10:11], off
	global_load_dwordx4 v[2:5], v[10:11], off offset:128
.LBB112_26:
	s_or_b64 exec, exec, s[2:3]
	s_mov_b32 s21, s20
	s_mov_b32 s22, s20
	;; [unrolled: 1-line block ×3, first 2 shown]
	v_mov_b64_e32 v[14:15], s[20:21]
	v_mov_b64_e32 v[16:17], s[22:23]
	;; [unrolled: 1-line block ×3, first 2 shown]
	v_cmp_gt_i32_e32 vcc, s41, v20
	v_lshlrev_b32_e32 v21, 7, v20
	v_mov_b64_e32 v[12:13], v[16:17]
	s_and_saveexec_b64 s[2:3], vcc
	s_cbranch_execz .LBB112_28
; %bb.27:
	v_lshlrev_b32_e32 v10, 1, v21
	v_mov_b32_e32 v11, 0
	v_lshl_add_u64 v[12:13], s[0:1], 0, v[10:11]
	v_lshlrev_b32_e32 v10, 1, v18
	v_lshl_add_u64 v[26:27], v[12:13], 0, v[10:11]
	global_load_dwordx4 v[14:17], v[26:27], off
	global_load_dwordx4 v[10:13], v[26:27], off offset:128
.LBB112_28:
	s_or_b64 exec, exec, s[2:3]
	v_lshrrev_b32_e32 v26, 3, v18
	v_lshlrev_b32_e32 v27, 3, v25
	v_or_b32_e32 v26, v27, v26
	v_lshlrev_b32_e32 v26, 4, v26
	v_and_b32_e32 v27, 0x78, v27
	v_xor_b32_e32 v26, v26, v27
	s_branch .LBB112_31
.LBB112_29:
                                        ; implicit-def: $vgpr26
                                        ; implicit-def: $vgpr21
                                        ; implicit-def: $vgpr6_vgpr7_vgpr8_vgpr9
                                        ; implicit-def: $vgpr2_vgpr3_vgpr4_vgpr5
                                        ; implicit-def: $vgpr14_vgpr15_vgpr16_vgpr17
                                        ; implicit-def: $vgpr10_vgpr11_vgpr12_vgpr13
	s_cbranch_execz .LBB112_31
; %bb.30:
	s_waitcnt vmcnt(0)
	v_lshlrev_b32_e32 v2, 1, v18
	v_lshl_or_b32 v21, v25, 8, v2
	s_and_b32 s1, s1, 0xffff
	s_mov_b32 s3, 0x20000
	s_movk_i32 s2, 0x4000
	v_lshl_or_b32 v26, v20, 8, v2
	s_movk_i32 s13, 0x80
	buffer_load_dwordx4 v[6:9], v21, s[0:3], 0 offen
	buffer_load_dwordx4 v[2:5], v21, s[0:3], s13 offen
	;; [unrolled: 1-line block ×4, first 2 shown]
	v_lshrrev_b32_e32 v21, 3, v18
	v_lshlrev_b32_e32 v26, 3, v25
	v_or_b32_e32 v21, v26, v21
	v_lshlrev_b32_e32 v21, 4, v21
	v_and_b32_e32 v26, 0x78, v26
	v_xor_b32_e32 v26, v21, v26
	v_lshlrev_b32_e32 v21, 7, v20
.LBB112_31:
	s_movk_i32 s0, 0x1000
	v_and_or_b32 v20, v21, s0, v26
	s_waitcnt vmcnt(1)
	ds_write_b64 v26, v[6:7] offset:49152
	v_xor_b32_e32 v6, 8, v26
	ds_write_b64 v6, v[8:9] offset:49152
	s_waitcnt vmcnt(0)
	ds_write_b64 v26, v[2:3] offset:57344
	ds_write_b64 v6, v[4:5] offset:57344
	;; [unrolled: 1-line block ×3, first 2 shown]
	v_xor_b32_e32 v2, 8, v20
	ds_write_b64 v2, v[16:17] offset:49152
	ds_write_b64 v20, v[10:11] offset:57344
	;; [unrolled: 1-line block ×3, first 2 shown]
	v_or_b32_e32 v2, v1, v72
	v_lshlrev_b32_e32 v3, 11, v74
	v_lshlrev_b32_e32 v2, 3, v2
	v_and_b32_e32 v6, 0x1000, v3
	v_lshrrev_b32_e32 v3, 5, v73
	s_movk_i32 s0, 0xf8
	v_and_or_b32 v3, v2, s0, v3
	v_lshlrev_b32_e32 v7, 4, v3
	v_and_b32_e32 v8, 0x78, v2
	v_or_b32_e32 v10, 32, v7
	v_lshrrev_b32_e32 v3, 1, v73
	v_xor_b32_e32 v10, v10, v8
	v_xor_b32_e32 v2, v7, v8
	v_and_b32_e32 v9, 8, v3
	v_or_b32_e32 v10, v10, v6
	v_or_b32_e32 v2, v2, v6
	v_xor_b32_e32 v28, v10, v9
	v_or_b32_e32 v10, 64, v7
	v_xor_b32_e32 v27, v2, v9
	v_xor_b32_e32 v10, v10, v8
	s_waitcnt lgkmcnt(0)
	s_barrier
	v_or_b32_e32 v13, v10, v6
	ds_read_b64 v[10:11], v27 offset:49152
	v_lshl_or_b32 v14, v75, 8, v24
	v_lshlrev_b32_e32 v26, 1, v14
	v_add_u32_e32 v12, 0x4000, v26
	ds_read2_b64 v[2:5], v12 offset1:16
	v_or_b32_e32 v7, 0x60, v7
	v_xor_b32_e32 v7, v7, v8
	v_or_b32_e32 v6, v7, v6
	v_xor_b32_e32 v29, v13, v9
	v_xor_b32_e32 v30, v6, v9
	ds_read_b64 v[20:21], v28 offset:49152
	ds_read_b64 v[34:35], v29 offset:49152
	;; [unrolled: 1-line block ×3, first 2 shown]
	s_waitcnt lgkmcnt(3)
	v_mfma_f32_16x16x16_bf16 a[0:3], v[10:11], v[2:3], 0
	ds_read2_b64 v[6:9], v12 offset0:32 offset1:48
	s_lshl_b64 s[0:1], s[38:39], 8
	s_add_u32 s4, s4, s0
	v_mfma_f32_16x16x16_bf16 a[4:7], v[10:11], v[4:5], 0
	ds_read2st64_b64 v[2:5], v26 offset0:36 offset1:40
	s_addc_u32 s5, s5, s1
	s_add_i32 s2, s12, -1
	s_waitcnt lgkmcnt(1)
	v_mfma_f32_16x16x16_bf16 a[8:11], v[10:11], v[6:7], 0
	v_or_b32_e32 v6, 64, v14
	v_lshlrev_b32_e32 v31, 1, v6
	s_add_i32 s0, s42, s17
	s_waitcnt lgkmcnt(0)
	v_mfma_f32_16x16x16_bf16 a[0:3], v[20:21], v[2:3], a[0:3]
	v_or_b32_e32 v2, 0x80, v14
	v_lshlrev_b32_e32 v32, 1, v2
	v_or_b32_e32 v2, 0xc0, v14
	v_mfma_f32_16x16x16_bf16 a[12:15], v[10:11], v[8:9], 0
	ds_read2st64_b64 v[6:9], v31 offset0:36 offset1:40
	v_lshlrev_b32_e32 v33, 1, v2
	ds_read2st64_b64 v[10:13], v32 offset0:36 offset1:40
	ds_read2st64_b64 v[14:17], v33 offset0:36 offset1:40
	s_mul_i32 s35, s35, s16
	s_add_i32 s35, s0, s35
	s_mul_i32 s0, s33, s19
	s_mul_hi_u32 s1, s33, s18
	s_ashr_i32 s3, s2, 31
	s_mul_i32 s12, s2, s29
	s_mul_hi_u32 s13, s2, s28
	s_waitcnt lgkmcnt(2)
	v_mfma_f32_16x16x16_bf16 a[4:7], v[20:21], v[6:7], a[4:7]
	s_add_i32 s0, s1, s0
	s_mul_i32 s1, s14, s18
	s_add_i32 s12, s13, s12
	s_mul_i32 s3, s3, s28
	s_waitcnt lgkmcnt(1)
	v_mfma_f32_16x16x16_bf16 a[8:11], v[20:21], v[10:11], a[8:11]
	s_add_i32 s1, s0, s1
	s_add_i32 s3, s12, s3
	s_lshl_b64 s[12:13], s[34:35], 2
	s_waitcnt lgkmcnt(0)
	v_mfma_f32_16x16x16_bf16 a[12:15], v[20:21], v[14:15], a[12:15]
	s_mul_i32 s0, s33, s18
	s_add_u32 s10, s10, s12
	s_addc_u32 s11, s11, s13
	s_lshl_b64 s[0:1], s[0:1], 2
	v_mfma_f32_16x16x16_bf16 a[0:3], v[34:35], v[4:5], a[0:3]
	s_mul_i32 s2, s2, s28
	ds_read_b64 v[2:3], v26 offset:22528
	s_add_u32 s10, s10, s0
	v_mfma_f32_16x16x16_bf16 a[4:7], v[34:35], v[8:9], a[4:7]
	ds_read_b64 v[4:5], v31 offset:22528
	ds_read_b64 v[6:7], v32 offset:22528
	;; [unrolled: 1-line block ×3, first 2 shown]
	s_addc_u32 s11, s11, s1
	s_lshl_b64 s[0:1], s[2:3], 2
	v_mfma_f32_16x16x16_bf16 a[8:11], v[34:35], v[12:13], a[8:11]
	s_add_u32 s0, s10, s0
	s_addc_u32 s1, s11, s1
	s_load_dword s12, s[0:1], 0x0
	v_mfma_f32_16x16x16_bf16 a[12:15], v[34:35], v[16:17], a[12:15]
	s_and_b64 vcc, exec, s[26:27]
	s_waitcnt lgkmcnt(0)
	v_mfma_f32_16x16x16_bf16 a[0:3], v[36:37], v[2:3], a[0:3]
	v_mfma_f32_16x16x16_bf16 a[4:7], v[36:37], v[4:5], a[4:7]
	;; [unrolled: 1-line block ×4, first 2 shown]
	s_cbranch_vccz .LBB112_42
; %bb.32:
	v_lshlrev_b32_e32 v20, 1, v25
	s_and_b64 vcc, exec, s[6:7]
	s_cbranch_vccz .LBB112_43
; %bb.33:
	v_cmp_gt_i32_e32 vcc, s41, v20
	v_mov_b32_e32 v6, 0
	v_mov_b32_e32 v2, 0
	;; [unrolled: 1-line block ×5, first 2 shown]
	s_and_saveexec_b64 s[0:1], vcc
	s_cbranch_execz .LBB112_35
; %bb.34:
	v_mad_i64_i32 v[2:3], s[2:3], s15, v20, 0
	v_lshl_add_u64 v[2:3], v[2:3], 1, s[4:5]
	v_lshlrev_b32_e32 v4, 1, v18
	v_mov_b32_e32 v5, 0
	v_lshl_add_u64 v[2:3], v[2:3], 0, v[4:5]
	global_load_dwordx4 v[2:5], v[2:3], off
.LBB112_35:
	s_or_b64 exec, exec, s[0:1]
	v_or_b32_e32 v21, 1, v20
	v_cmp_gt_i32_e64 s[0:1], s41, v21
	v_mov_b32_e32 v7, 0
	v_mov_b32_e32 v8, 0
	;; [unrolled: 1-line block ×3, first 2 shown]
	s_and_saveexec_b64 s[2:3], s[0:1]
	s_cbranch_execz .LBB112_37
; %bb.36:
	v_mad_i64_i32 v[6:7], s[16:17], s15, v21, 0
	v_lshl_add_u64 v[6:7], v[6:7], 1, s[4:5]
	v_lshlrev_b32_e32 v8, 1, v18
	v_mov_b32_e32 v9, 0
	v_lshl_add_u64 v[6:7], v[6:7], 0, v[8:9]
	global_load_dwordx4 v[6:9], v[6:7], off
.LBB112_37:
	s_or_b64 exec, exec, s[2:3]
	v_mov_b32_e32 v17, 0
	v_mov_b32_e32 v10, 0
	;; [unrolled: 1-line block ×5, first 2 shown]
	s_and_saveexec_b64 s[2:3], vcc
	s_cbranch_execz .LBB112_39
; %bb.38:
	v_mad_i64_i32 v[10:11], s[16:17], s15, v20, 0
	v_lshl_add_u64 v[10:11], v[10:11], 1, s[4:5]
	v_lshlrev_b32_e32 v12, 1, v18
	v_mov_b32_e32 v13, 0
	v_lshl_add_u64 v[10:11], v[10:11], 0, v[12:13]
	global_load_dwordx4 v[10:13], v[10:11], off offset:128
.LBB112_39:
	s_or_b64 exec, exec, s[2:3]
	v_mov_b32_e32 v16, 0
	v_mov_b32_e32 v15, 0
	;; [unrolled: 1-line block ×3, first 2 shown]
	s_and_saveexec_b64 s[2:3], s[0:1]
	s_cbranch_execz .LBB112_41
; %bb.40:
	v_mad_i64_i32 v[14:15], s[0:1], s15, v21, 0
	v_lshl_add_u64 v[14:15], v[14:15], 1, s[4:5]
	v_lshlrev_b32_e32 v16, 1, v18
	v_mov_b32_e32 v17, 0
	v_lshl_add_u64 v[14:15], v[14:15], 0, v[16:17]
	global_load_dwordx4 v[14:17], v[14:15], off offset:128
.LBB112_41:
	s_or_b64 exec, exec, s[2:3]
	s_branch .LBB112_45
.LBB112_42:
                                        ; implicit-def: $vgpr5
                                        ; implicit-def: $vgpr9
                                        ; implicit-def: $vgpr13
                                        ; implicit-def: $vgpr17
	v_lshrrev_b32_e32 v34, 2, v73
	s_branch .LBB112_46
.LBB112_43:
                                        ; implicit-def: $vgpr5
                                        ; implicit-def: $vgpr9
                                        ; implicit-def: $vgpr13
                                        ; implicit-def: $vgpr17
	s_cbranch_execz .LBB112_45
; %bb.44:
	s_waitcnt vmcnt(0)
	v_mad_u64_u32 v[2:3], s[0:1], v20, s15, v[18:19]
	v_lshlrev_b32_e32 v20, 1, v2
	s_lshl_b32 s2, s15, 7
	s_and_b32 s1, s5, 0xffff
	s_mov_b32 s3, 0x20000
	s_mov_b32 s0, s4
	v_add_lshl_u32 v21, v2, s15, 1
	s_movk_i32 s13, 0x80
	buffer_load_dwordx4 v[2:5], v20, s[0:3], 0 offen
	buffer_load_dwordx4 v[10:13], v20, s[0:3], s13 offen
	;; [unrolled: 1-line block ×4, first 2 shown]
.LBB112_45:
	v_lshrrev_b32_e32 v34, 2, v73
	s_cbranch_execnz .LBB112_58
.LBB112_46:
	s_and_b64 vcc, exec, s[6:7]
	s_cbranch_vccz .LBB112_56
; %bb.47:
	s_waitcnt vmcnt(0)
	v_lshlrev_b32_e32 v7, 1, v25
	v_cmp_gt_i32_e32 vcc, s41, v7
	v_mov_b32_e32 v6, 0
	v_lshlrev_b32_e32 v14, 9, v25
	v_mov_b32_e32 v2, 0
	v_mov_b32_e32 v3, 0
	;; [unrolled: 1-line block ×4, first 2 shown]
	s_and_saveexec_b64 s[0:1], vcc
	s_cbranch_execz .LBB112_49
; %bb.48:
	v_mov_b32_e32 v15, 0
	v_lshl_add_u64 v[2:3], s[4:5], 0, v[14:15]
	v_lshlrev_b32_e32 v4, 1, v18
	v_mov_b32_e32 v5, v15
	v_lshl_add_u64 v[2:3], v[2:3], 0, v[4:5]
	global_load_dwordx4 v[2:5], v[2:3], off
.LBB112_49:
	s_or_b64 exec, exec, s[0:1]
	v_or_b32_e32 v7, 1, v7
	v_cmp_gt_i32_e64 s[0:1], s41, v7
	v_lshlrev_b32_e32 v20, 8, v7
	v_mov_b32_e32 v7, 0
	v_mov_b32_e32 v8, 0
	;; [unrolled: 1-line block ×3, first 2 shown]
	s_and_saveexec_b64 s[2:3], s[0:1]
	s_cbranch_execz .LBB112_51
; %bb.50:
	v_mov_b32_e32 v21, 0
	v_lshl_add_u64 v[6:7], s[4:5], 0, v[20:21]
	v_lshlrev_b32_e32 v8, 1, v18
	v_mov_b32_e32 v9, v21
	v_lshl_add_u64 v[6:7], v[6:7], 0, v[8:9]
	global_load_dwordx4 v[6:9], v[6:7], off
.LBB112_51:
	s_or_b64 exec, exec, s[2:3]
	v_mov_b32_e32 v17, 0
	v_mov_b32_e32 v10, 0
	;; [unrolled: 1-line block ×5, first 2 shown]
	s_and_saveexec_b64 s[2:3], vcc
	s_cbranch_execz .LBB112_53
; %bb.52:
	v_mov_b32_e32 v15, 0
	v_lshl_add_u64 v[10:11], s[4:5], 0, v[14:15]
	v_lshlrev_b32_e32 v14, 1, v18
	v_lshl_add_u64 v[10:11], v[10:11], 0, v[14:15]
	global_load_dwordx4 v[10:13], v[10:11], off offset:128
.LBB112_53:
	s_or_b64 exec, exec, s[2:3]
	v_mov_b32_e32 v16, 0
	v_mov_b32_e32 v15, 0
	;; [unrolled: 1-line block ×3, first 2 shown]
	s_and_saveexec_b64 s[2:3], s[0:1]
	s_cbranch_execz .LBB112_55
; %bb.54:
	v_mov_b32_e32 v21, 0
	v_lshl_add_u64 v[14:15], s[4:5], 0, v[20:21]
	v_lshlrev_b32_e32 v20, 1, v18
	v_lshl_add_u64 v[14:15], v[14:15], 0, v[20:21]
	global_load_dwordx4 v[14:17], v[14:15], off offset:128
.LBB112_55:
	s_or_b64 exec, exec, s[2:3]
	s_branch .LBB112_58
.LBB112_56:
                                        ; implicit-def: $vgpr5
                                        ; implicit-def: $vgpr9
                                        ; implicit-def: $vgpr13
                                        ; implicit-def: $vgpr17
	s_cbranch_execz .LBB112_58
; %bb.57:
	s_waitcnt vmcnt(0)
	v_lshlrev_b32_e32 v2, 1, v18
	v_lshl_or_b32 v18, v25, 9, v2
	s_and_b32 s5, s5, 0xffff
	s_mov_b32 s7, 0x20000
	s_movk_i32 s6, 0x4000
	s_movk_i32 s0, 0x80
	buffer_load_dwordx4 v[2:5], v18, s[4:7], 0 offen
	buffer_load_dwordx4 v[6:9], v18, s[4:7], 0 offen offset:256
	buffer_load_dwordx4 v[10:13], v18, s[4:7], s0 offen
	buffer_load_dwordx4 v[14:17], v18, s[4:7], s0 offen offset:256
.LBB112_58:
	ds_read_b64 v[20:21], v27 offset:57344
	v_add_u32_e32 v18, 0x6000, v26
	ds_read2_b64 v[36:39], v18 offset1:16
	ds_read_b64 v[52:53], v28 offset:57344
	ds_read_b64 v[28:29], v29 offset:57344
	;; [unrolled: 1-line block ×3, first 2 shown]
	ds_read2st64_b64 v[40:43], v26 offset0:52 offset1:56
	s_mov_b32 s0, 0x1000504
	s_mov_b32 s1, 0x3020706
	s_waitcnt lgkmcnt(4)
	v_mfma_f32_16x16x16_bf16 a[0:3], v[20:21], v[36:37], a[0:3]
	v_mfma_f32_16x16x16_bf16 a[4:7], v[20:21], v[38:39], a[4:7]
	ds_read2_b64 v[36:39], v18 offset0:32 offset1:48
	v_and_b32_e32 v18, 6, v0
	v_xor_b32_e32 v25, v25, v18
	s_waitcnt lgkmcnt(0)
	v_mfma_f32_16x16x16_bf16 a[8:11], v[20:21], v[36:37], a[8:11]
	v_lshlrev_b32_e32 v25, 2, v25
	v_and_b32_e32 v0, 1, v0
	v_xor_b32_e32 v35, 0x440, v25
	v_mfma_f32_16x16x16_bf16 a[12:15], v[20:21], v[38:39], a[12:15]
	ds_read2st64_b64 v[36:39], v31 offset0:52 offset1:56
	ds_read2st64_b64 v[44:47], v32 offset0:52 offset1:56
	;; [unrolled: 1-line block ×3, first 2 shown]
	v_cmp_eq_u32_e32 vcc, 0, v0
	ds_read_b64 v[20:21], v26 offset:30720
	ds_read_b64 v[26:27], v31 offset:30720
	;; [unrolled: 1-line block ×4, first 2 shown]
	v_mfma_f32_16x16x16_bf16 a[0:3], v[52:53], v[40:41], a[0:3]
	v_cndmask_b32_e32 v0, v35, v25, vcc
	v_lshl_or_b32 v0, v18, 10, v0
	s_waitcnt vmcnt(0)
	v_perm_b32 v18, v2, v6, s0
	s_waitcnt lgkmcnt(6)
	v_mfma_f32_16x16x16_bf16 a[4:7], v[52:53], v[36:37], a[4:7]
	v_perm_b32 v25, v10, v14, s0
	ds_write2st64_b32 v0, v18, v25 offset0:128 offset1:160
	v_xor_b32_e32 v18, 8, v0
	s_waitcnt lgkmcnt(6)
	v_mfma_f32_16x16x16_bf16 a[8:11], v[52:53], v[44:45], a[8:11]
	v_perm_b32 v2, v2, v6, s1
	v_perm_b32 v6, v10, v14, s1
	v_add_u32_e32 v10, 0x80, v18
	s_waitcnt lgkmcnt(5)
	v_mfma_f32_16x16x16_bf16 a[12:15], v[52:53], v[48:49], a[12:15]
	ds_write2st64_b32 v10, v2, v6 offset0:128 offset1:160
	v_xor_b32_e32 v2, 16, v0
	v_perm_b32 v6, v3, v7, s0
	v_mfma_f32_16x16x16_bf16 a[0:3], v[28:29], v[42:43], a[0:3]
	v_perm_b32 v10, v11, v15, s0
	ds_write2st64_b32 v2, v6, v10 offset0:129 offset1:161
	v_xor_b32_e32 v2, 24, v0
	v_mfma_f32_16x16x16_bf16 a[4:7], v[28:29], v[38:39], a[4:7]
	v_perm_b32 v3, v3, v7, s1
	v_perm_b32 v6, v11, v15, s1
	v_add_u32_e32 v2, 0x80, v2
	v_mfma_f32_16x16x16_bf16 a[16:19], v[28:29], v[46:47], a[8:11]
	ds_write2st64_b32 v2, v3, v6 offset0:129 offset1:161
	v_xor_b32_e32 v2, 32, v0
	v_perm_b32 v3, v4, v8, s0
	v_mfma_f32_16x16x16_bf16 a[20:23], v[28:29], v[50:51], a[12:15]
	v_perm_b32 v6, v12, v16, s0
	ds_write2st64_b32 v2, v3, v6 offset0:130 offset1:162
	v_xor_b32_e32 v2, 40, v0
	s_waitcnt lgkmcnt(8)
	v_mfma_f32_16x16x16_bf16 a[12:15], v[54:55], v[20:21], a[0:3]
	v_perm_b32 v3, v4, v8, s1
	v_perm_b32 v4, v12, v16, s1
	v_add_u32_e32 v2, 0x80, v2
	s_waitcnt lgkmcnt(7)
	v_mfma_f32_16x16x16_bf16 a[8:11], v[54:55], v[26:27], a[4:7]
	ds_write2st64_b32 v2, v3, v4 offset0:130 offset1:162
	v_xor_b32_e32 v2, 48, v0
	v_perm_b32 v3, v5, v9, s0
	s_waitcnt lgkmcnt(7)
	v_mfma_f32_16x16x16_bf16 a[4:7], v[54:55], v[30:31], a[16:19]
	v_perm_b32 v4, v13, v17, s0
	v_xor_b32_e32 v0, 56, v0
	v_and_or_b32 v18, v34, 12, v1
	s_waitcnt lgkmcnt(6)
	v_mfma_f32_16x16x16_bf16 a[0:3], v[54:55], v[32:33], a[20:23]
	ds_write2st64_b32 v2, v3, v4 offset0:131 offset1:163
	v_perm_b32 v2, v5, v9, s1
	v_perm_b32 v3, v13, v17, s1
	v_add_u32_e32 v0, 0x80, v0
	v_cmp_gt_i32_e32 vcc, s41, v18
	v_mov_b32_e32 v14, 0
	v_mov_b32_e32 v16, 0
	ds_write2st64_b32 v0, v2, v3 offset0:131 offset1:163
	s_and_saveexec_b64 s[0:1], vcc
	s_cbranch_execz .LBB112_60
; %bb.59:
	v_add_u32_e32 v0, s40, v18
	v_ashrrev_i32_e32 v1, 31, v0
	v_mul_lo_u32 v2, v1, s28
	v_mul_lo_u32 v3, v0, s29
	v_mad_u64_u32 v[0:1], s[2:3], v0, s28, 0
	v_add3_u32 v1, v1, v3, v2
	v_lshl_add_u64 v[0:1], v[0:1], 2, s[10:11]
	global_load_dword v0, v[0:1], off
	s_waitcnt vmcnt(0)
	v_sub_f32_e32 v0, s12, v0
	v_mul_f32_e32 v0, 0x3fb8aa3b, v0
	v_exp_f32_e32 v16, v0
.LBB112_60:
	s_or_b64 exec, exec, s[0:1]
	v_or_b32_e32 v8, 1, v18
	v_cmp_gt_i32_e64 s[0:1], s41, v8
	s_and_saveexec_b64 s[2:3], s[0:1]
	s_cbranch_execz .LBB112_62
; %bb.61:
	v_add_u32_e32 v0, s40, v8
	v_ashrrev_i32_e32 v1, 31, v0
	v_mul_lo_u32 v2, v1, s28
	v_mul_lo_u32 v3, v0, s29
	v_mad_u64_u32 v[0:1], s[4:5], v0, s28, 0
	v_add3_u32 v1, v1, v3, v2
	v_lshl_add_u64 v[0:1], v[0:1], 2, s[10:11]
	global_load_dword v0, v[0:1], off
	s_waitcnt vmcnt(0)
	v_sub_f32_e32 v0, s12, v0
	v_mul_f32_e32 v0, 0x3fb8aa3b, v0
	v_exp_f32_e32 v14, v0
.LBB112_62:
	s_or_b64 exec, exec, s[2:3]
	v_or_b32_e32 v10, 2, v18
	v_cmp_gt_i32_e64 s[2:3], s41, v10
	v_mov_b32_e32 v15, 0
	v_mov_b32_e32 v17, 0
	s_and_saveexec_b64 s[4:5], s[2:3]
	s_cbranch_execz .LBB112_64
; %bb.63:
	v_add_u32_e32 v0, s40, v10
	v_ashrrev_i32_e32 v1, 31, v0
	v_mul_lo_u32 v2, v1, s28
	v_mul_lo_u32 v3, v0, s29
	v_mad_u64_u32 v[0:1], s[6:7], v0, s28, 0
	v_add3_u32 v1, v1, v3, v2
	v_lshl_add_u64 v[0:1], v[0:1], 2, s[10:11]
	global_load_dword v0, v[0:1], off
	s_waitcnt vmcnt(0)
	v_sub_f32_e32 v0, s12, v0
	v_mul_f32_e32 v0, 0x3fb8aa3b, v0
	v_exp_f32_e32 v17, v0
.LBB112_64:
	s_or_b64 exec, exec, s[4:5]
	v_or_b32_e32 v12, 3, v18
	v_cmp_gt_i32_e64 s[4:5], s41, v12
	s_and_saveexec_b64 s[6:7], s[4:5]
	s_cbranch_execz .LBB112_66
; %bb.65:
	v_add_u32_e32 v0, s40, v12
	v_ashrrev_i32_e32 v1, 31, v0
	v_mul_lo_u32 v2, v1, s28
	v_mul_lo_u32 v3, v0, s29
	v_mad_u64_u32 v[0:1], s[14:15], v0, s28, 0
	v_add3_u32 v1, v1, v3, v2
	v_lshl_add_u64 v[0:1], v[0:1], 2, s[10:11]
	global_load_dword v0, v[0:1], off
	s_waitcnt vmcnt(0)
	v_sub_f32_e32 v0, s12, v0
	v_mul_f32_e32 v0, 0x3fb8aa3b, v0
	v_exp_f32_e32 v15, v0
.LBB112_66:
	s_or_b64 exec, exec, s[6:7]
	v_or_b32_e32 v4, s30, v72
	s_add_u32 s6, s8, s24
	v_accvgpr_read_b32 v0, a12
	s_addc_u32 s7, s9, s25
	v_ashrrev_i32_e32 v5, 31, v4
	v_accvgpr_read_b32 v1, a13
	v_accvgpr_read_b32 v2, a14
	;; [unrolled: 1-line block ×3, first 2 shown]
	v_lshl_add_u64 v[4:5], v[4:5], 1, s[6:7]
	v_mov_b32_e32 v9, 0
	v_lshlrev_b32_e32 v6, 8, v18
	v_mov_b32_e32 v7, 0
	s_and_saveexec_b64 s[6:7], vcc
	s_cbranch_execz .LBB112_68
; %bb.67:
	v_mov_b32_e32 v7, 0
	v_lshl_add_u64 v[20:21], v[4:5], 0, v[6:7]
	global_load_ushort v7, v[20:21], off
	s_waitcnt vmcnt(0)
	v_lshlrev_b32_e32 v7, 16, v7
	v_sub_f32_e32 v0, v7, v0
	v_mul_f32_e32 v0, v16, v0
	v_lshrrev_b32_e32 v7, 16, v0
.LBB112_68:
	s_or_b64 exec, exec, s[6:7]
	v_lshlrev_b32_e32 v8, 8, v8
	s_and_saveexec_b64 s[6:7], s[0:1]
	s_cbranch_execz .LBB112_70
; %bb.69:
	v_mov_b32_e32 v9, 0
	v_lshl_add_u64 v[20:21], v[4:5], 0, v[8:9]
	global_load_ushort v0, v[20:21], off
	s_waitcnt vmcnt(0)
	v_lshlrev_b32_e32 v0, 16, v0
	v_sub_f32_e32 v0, v0, v1
	v_mul_f32_e32 v0, v14, v0
	v_lshrrev_b32_e32 v9, 16, v0
.LBB112_70:
	s_or_b64 exec, exec, s[6:7]
	v_mov_b32_e32 v13, 0
	v_lshlrev_b32_e32 v10, 8, v10
	v_mov_b32_e32 v11, 0
	s_and_saveexec_b64 s[6:7], s[2:3]
	s_cbranch_execz .LBB112_72
; %bb.71:
	v_mov_b32_e32 v11, 0
	v_lshl_add_u64 v[0:1], v[4:5], 0, v[10:11]
	global_load_ushort v0, v[0:1], off
	s_waitcnt vmcnt(0)
	v_lshlrev_b32_e32 v0, 16, v0
	v_sub_f32_e32 v0, v0, v2
	v_mul_f32_e32 v0, v17, v0
	v_lshrrev_b32_e32 v11, 16, v0
.LBB112_72:
	s_or_b64 exec, exec, s[6:7]
	v_lshlrev_b32_e32 v12, 8, v12
	s_and_saveexec_b64 s[6:7], s[4:5]
	s_cbranch_execz .LBB112_74
; %bb.73:
	v_mov_b32_e32 v13, 0
	v_lshl_add_u64 v[0:1], v[4:5], 0, v[12:13]
	global_load_ushort v0, v[0:1], off
	s_waitcnt vmcnt(0)
	v_lshlrev_b32_e32 v0, 16, v0
	v_sub_f32_e32 v0, v0, v3
	v_mul_f32_e32 v0, v15, v0
	v_lshrrev_b32_e32 v13, 16, v0
.LBB112_74:
	s_or_b64 exec, exec, s[6:7]
	v_lshlrev_b32_e32 v18, 6, v18
	s_mov_b32 s6, 0x5040100
	v_perm_b32 v20, v9, v7, s6
	v_or_b32_e32 v7, v18, v24
	v_accvgpr_read_b32 v0, a8
	v_perm_b32 v21, v13, v11, s6
	v_lshlrev_b32_e32 v7, 1, v7
	v_accvgpr_read_b32 v1, a9
	v_accvgpr_read_b32 v2, a10
	;; [unrolled: 1-line block ×3, first 2 shown]
	ds_write_b64 v7, v[20:21] offset:24576
	v_mov_b32_e32 v9, 0
	v_mov_b32_e32 v7, 0
	s_and_saveexec_b64 s[6:7], vcc
	s_cbranch_execz .LBB112_76
; %bb.75:
	v_mov_b32_e32 v7, 0
	v_lshl_add_u64 v[20:21], v[4:5], 0, v[6:7]
	global_load_ushort v7, v[20:21], off offset:32
	s_waitcnt vmcnt(0)
	v_lshlrev_b32_e32 v7, 16, v7
	v_sub_f32_e32 v0, v7, v0
	v_mul_f32_e32 v0, v16, v0
	v_lshrrev_b32_e32 v7, 16, v0
.LBB112_76:
	s_or_b64 exec, exec, s[6:7]
	s_and_saveexec_b64 s[6:7], s[0:1]
	s_cbranch_execz .LBB112_78
; %bb.77:
	v_mov_b32_e32 v9, 0
	v_lshl_add_u64 v[20:21], v[4:5], 0, v[8:9]
	global_load_ushort v0, v[20:21], off offset:32
	s_waitcnt vmcnt(0)
	v_lshlrev_b32_e32 v0, 16, v0
	v_sub_f32_e32 v0, v0, v1
	v_mul_f32_e32 v0, v14, v0
	v_lshrrev_b32_e32 v9, 16, v0
.LBB112_78:
	s_or_b64 exec, exec, s[6:7]
	v_mov_b32_e32 v13, 0
	v_mov_b32_e32 v11, 0
	s_and_saveexec_b64 s[6:7], s[2:3]
	s_cbranch_execz .LBB112_80
; %bb.79:
	v_mov_b32_e32 v11, 0
	v_lshl_add_u64 v[0:1], v[4:5], 0, v[10:11]
	global_load_ushort v0, v[0:1], off offset:32
	s_waitcnt vmcnt(0)
	v_lshlrev_b32_e32 v0, 16, v0
	v_sub_f32_e32 v0, v0, v2
	v_mul_f32_e32 v0, v17, v0
	v_lshrrev_b32_e32 v11, 16, v0
.LBB112_80:
	s_or_b64 exec, exec, s[6:7]
	s_and_saveexec_b64 s[6:7], s[4:5]
	s_cbranch_execz .LBB112_82
; %bb.81:
	v_mov_b32_e32 v13, 0
	v_lshl_add_u64 v[0:1], v[4:5], 0, v[12:13]
	global_load_ushort v0, v[0:1], off offset:32
	s_waitcnt vmcnt(0)
	v_lshlrev_b32_e32 v0, 16, v0
	v_sub_f32_e32 v0, v0, v3
	v_mul_f32_e32 v0, v15, v0
	v_lshrrev_b32_e32 v13, 16, v0
.LBB112_82:
	s_or_b64 exec, exec, s[6:7]
	s_mov_b32 s6, 0x5040100
	v_perm_b32 v20, v9, v7, s6
	v_or_b32_e32 v7, v18, v23
	v_accvgpr_read_b32 v0, a4
	v_perm_b32 v21, v13, v11, s6
	v_lshlrev_b32_e32 v7, 1, v7
	v_accvgpr_read_b32 v1, a5
	v_accvgpr_read_b32 v2, a6
	;; [unrolled: 1-line block ×3, first 2 shown]
	ds_write_b64 v7, v[20:21] offset:24576
	v_mov_b32_e32 v9, 0
	v_mov_b32_e32 v7, 0
	s_and_saveexec_b64 s[6:7], vcc
	s_cbranch_execz .LBB112_84
; %bb.83:
	v_mov_b32_e32 v7, 0
	v_lshl_add_u64 v[20:21], v[4:5], 0, v[6:7]
	global_load_ushort v7, v[20:21], off offset:64
	s_waitcnt vmcnt(0)
	v_lshlrev_b32_e32 v7, 16, v7
	v_sub_f32_e32 v0, v7, v0
	v_mul_f32_e32 v0, v16, v0
	v_lshrrev_b32_e32 v7, 16, v0
.LBB112_84:
	s_or_b64 exec, exec, s[6:7]
	s_and_saveexec_b64 s[6:7], s[0:1]
	s_cbranch_execz .LBB112_86
; %bb.85:
	v_mov_b32_e32 v9, 0
	v_lshl_add_u64 v[20:21], v[4:5], 0, v[8:9]
	global_load_ushort v0, v[20:21], off offset:64
	s_waitcnt vmcnt(0)
	v_lshlrev_b32_e32 v0, 16, v0
	v_sub_f32_e32 v0, v0, v1
	v_mul_f32_e32 v0, v14, v0
	v_lshrrev_b32_e32 v9, 16, v0
.LBB112_86:
	s_or_b64 exec, exec, s[6:7]
	v_mov_b32_e32 v13, 0
	v_mov_b32_e32 v11, 0
	s_and_saveexec_b64 s[6:7], s[2:3]
	s_cbranch_execz .LBB112_88
; %bb.87:
	v_mov_b32_e32 v11, 0
	v_lshl_add_u64 v[0:1], v[4:5], 0, v[10:11]
	global_load_ushort v0, v[0:1], off offset:64
	s_waitcnt vmcnt(0)
	v_lshlrev_b32_e32 v0, 16, v0
	v_sub_f32_e32 v0, v0, v2
	v_mul_f32_e32 v0, v17, v0
	v_lshrrev_b32_e32 v11, 16, v0
.LBB112_88:
	s_or_b64 exec, exec, s[6:7]
	s_and_saveexec_b64 s[6:7], s[4:5]
	s_cbranch_execz .LBB112_90
; %bb.89:
	v_mov_b32_e32 v13, 0
	v_lshl_add_u64 v[0:1], v[4:5], 0, v[12:13]
	global_load_ushort v0, v[0:1], off offset:64
	s_waitcnt vmcnt(0)
	v_lshlrev_b32_e32 v0, 16, v0
	v_sub_f32_e32 v0, v0, v3
	v_mul_f32_e32 v0, v15, v0
	v_lshrrev_b32_e32 v13, 16, v0
.LBB112_90:
	s_or_b64 exec, exec, s[6:7]
	s_mov_b32 s6, 0x5040100
	v_perm_b32 v20, v9, v7, s6
	v_or_b32_e32 v7, v18, v22
	v_accvgpr_read_b32 v0, a0
	v_perm_b32 v21, v13, v11, s6
	v_lshlrev_b32_e32 v7, 1, v7
	v_accvgpr_read_b32 v1, a1
	v_accvgpr_read_b32 v2, a2
	;; [unrolled: 1-line block ×3, first 2 shown]
	ds_write_b64 v7, v[20:21] offset:24576
	v_mov_b32_e32 v9, 0
	v_mov_b32_e32 v7, 0
	s_and_saveexec_b64 s[6:7], vcc
	s_cbranch_execz .LBB112_92
; %bb.91:
	v_mov_b32_e32 v7, 0
	v_lshl_add_u64 v[6:7], v[4:5], 0, v[6:7]
	global_load_ushort v6, v[6:7], off offset:96
	s_waitcnt vmcnt(0)
	v_lshlrev_b32_e32 v6, 16, v6
	v_sub_f32_e32 v0, v6, v0
	v_mul_f32_e32 v0, v16, v0
	v_lshrrev_b32_e32 v7, 16, v0
.LBB112_92:
	s_or_b64 exec, exec, s[6:7]
	s_and_saveexec_b64 s[6:7], s[0:1]
	s_cbranch_execz .LBB112_94
; %bb.93:
	v_mov_b32_e32 v9, 0
	v_lshl_add_u64 v[8:9], v[4:5], 0, v[8:9]
	global_load_ushort v0, v[8:9], off offset:96
	s_waitcnt vmcnt(0)
	v_lshlrev_b32_e32 v0, 16, v0
	v_sub_f32_e32 v0, v0, v1
	v_mul_f32_e32 v0, v14, v0
	v_lshrrev_b32_e32 v9, 16, v0
.LBB112_94:
	s_or_b64 exec, exec, s[6:7]
	v_mov_b32_e32 v0, 0
	v_mov_b32_e32 v1, 0
	s_and_saveexec_b64 s[0:1], s[2:3]
	s_cbranch_execz .LBB112_96
; %bb.95:
	v_mov_b32_e32 v11, 0
	v_lshl_add_u64 v[10:11], v[4:5], 0, v[10:11]
	global_load_ushort v1, v[10:11], off offset:96
	s_waitcnt vmcnt(0)
	v_lshlrev_b32_e32 v1, 16, v1
	v_sub_f32_e32 v1, v1, v2
	v_mul_f32_e32 v1, v17, v1
	v_lshrrev_b32_e32 v1, 16, v1
.LBB112_96:
	s_or_b64 exec, exec, s[0:1]
	s_and_saveexec_b64 s[0:1], s[4:5]
	s_cbranch_execz .LBB112_98
; %bb.97:
	v_mov_b32_e32 v13, 0
	v_lshl_add_u64 v[4:5], v[4:5], 0, v[12:13]
	global_load_ushort v0, v[4:5], off offset:96
	s_waitcnt vmcnt(0)
	v_lshlrev_b32_e32 v0, 16, v0
	v_sub_f32_e32 v0, v0, v3
	v_mul_f32_e32 v0, v15, v0
	v_lshrrev_b32_e32 v0, 16, v0
.LBB112_98:
	s_or_b64 exec, exec, s[0:1]
	s_mov_b32 s0, 0x5040100
	v_or_b32_e32 v2, v18, v19
	v_perm_b32 v1, v0, v1, s0
	v_perm_b32 v0, v9, v7, s0
	v_lshlrev_b32_e32 v2, 1, v2
	ds_write_b64 v2, v[0:1] offset:24576
	s_waitcnt lgkmcnt(0)
	s_barrier
.LBB112_99:
	s_endpgm
	.section	.rodata,"a",@progbits
	.p2align	6, 0x0
	.amdhsa_kernel _ZN12_GLOBAL__N_139chunk_gated_delta_rule_fwd_h_hip_kernelILi64ELb0ELb0ELb0ELb0ELb0ELb0ELb1ELb1EEEvPK12hip_bfloat16S3_S3_PKfS5_PKvPS1_S8_PvPKiSB_iiiiilll
		.amdhsa_group_segment_fixed_size 65536
		.amdhsa_private_segment_fixed_size 0
		.amdhsa_kernarg_size 136
		.amdhsa_user_sgpr_count 2
		.amdhsa_user_sgpr_dispatch_ptr 0
		.amdhsa_user_sgpr_queue_ptr 0
		.amdhsa_user_sgpr_kernarg_segment_ptr 1
		.amdhsa_user_sgpr_dispatch_id 0
		.amdhsa_user_sgpr_kernarg_preload_length 0
		.amdhsa_user_sgpr_kernarg_preload_offset 0
		.amdhsa_user_sgpr_private_segment_size 0
		.amdhsa_uses_dynamic_stack 0
		.amdhsa_enable_private_segment 0
		.amdhsa_system_sgpr_workgroup_id_x 1
		.amdhsa_system_sgpr_workgroup_id_y 1
		.amdhsa_system_sgpr_workgroup_id_z 0
		.amdhsa_system_sgpr_workgroup_info 0
		.amdhsa_system_vgpr_workitem_id 0
		.amdhsa_next_free_vgpr 216
		.amdhsa_next_free_sgpr 63
		.amdhsa_accum_offset 180
		.amdhsa_reserve_vcc 1
		.amdhsa_float_round_mode_32 0
		.amdhsa_float_round_mode_16_64 0
		.amdhsa_float_denorm_mode_32 3
		.amdhsa_float_denorm_mode_16_64 3
		.amdhsa_dx10_clamp 1
		.amdhsa_ieee_mode 1
		.amdhsa_fp16_overflow 0
		.amdhsa_tg_split 0
		.amdhsa_exception_fp_ieee_invalid_op 0
		.amdhsa_exception_fp_denorm_src 0
		.amdhsa_exception_fp_ieee_div_zero 0
		.amdhsa_exception_fp_ieee_overflow 0
		.amdhsa_exception_fp_ieee_underflow 0
		.amdhsa_exception_fp_ieee_inexact 0
		.amdhsa_exception_int_div_zero 0
	.end_amdhsa_kernel
	.section	.text._ZN12_GLOBAL__N_139chunk_gated_delta_rule_fwd_h_hip_kernelILi64ELb0ELb0ELb0ELb0ELb0ELb0ELb1ELb1EEEvPK12hip_bfloat16S3_S3_PKfS5_PKvPS1_S8_PvPKiSB_iiiiilll,"axG",@progbits,_ZN12_GLOBAL__N_139chunk_gated_delta_rule_fwd_h_hip_kernelILi64ELb0ELb0ELb0ELb0ELb0ELb0ELb1ELb1EEEvPK12hip_bfloat16S3_S3_PKfS5_PKvPS1_S8_PvPKiSB_iiiiilll,comdat
.Lfunc_end112:
	.size	_ZN12_GLOBAL__N_139chunk_gated_delta_rule_fwd_h_hip_kernelILi64ELb0ELb0ELb0ELb0ELb0ELb0ELb1ELb1EEEvPK12hip_bfloat16S3_S3_PKfS5_PKvPS1_S8_PvPKiSB_iiiiilll, .Lfunc_end112-_ZN12_GLOBAL__N_139chunk_gated_delta_rule_fwd_h_hip_kernelILi64ELb0ELb0ELb0ELb0ELb0ELb0ELb1ELb1EEEvPK12hip_bfloat16S3_S3_PKfS5_PKvPS1_S8_PvPKiSB_iiiiilll
                                        ; -- End function
	.section	.AMDGPU.csdata,"",@progbits
; Kernel info:
; codeLenInByte = 10884
; NumSgprs: 69
; NumVgprs: 178
; NumAgprs: 36
; TotalNumVgprs: 216
; ScratchSize: 0
; MemoryBound: 0
; FloatMode: 240
; IeeeMode: 1
; LDSByteSize: 65536 bytes/workgroup (compile time only)
; SGPRBlocks: 8
; VGPRBlocks: 26
; NumSGPRsForWavesPerEU: 69
; NumVGPRsForWavesPerEU: 216
; AccumOffset: 180
; Occupancy: 1
; WaveLimiterHint : 1
; COMPUTE_PGM_RSRC2:SCRATCH_EN: 0
; COMPUTE_PGM_RSRC2:USER_SGPR: 2
; COMPUTE_PGM_RSRC2:TRAP_HANDLER: 0
; COMPUTE_PGM_RSRC2:TGID_X_EN: 1
; COMPUTE_PGM_RSRC2:TGID_Y_EN: 1
; COMPUTE_PGM_RSRC2:TGID_Z_EN: 0
; COMPUTE_PGM_RSRC2:TIDIG_COMP_CNT: 0
; COMPUTE_PGM_RSRC3_GFX90A:ACCUM_OFFSET: 44
; COMPUTE_PGM_RSRC3_GFX90A:TG_SPLIT: 0
	.section	.text._ZN12_GLOBAL__N_139chunk_gated_delta_rule_fwd_h_hip_kernelILi64ELb1ELb1ELb1ELb1ELb0ELb0ELb0ELb1EEEvPK12hip_bfloat16S3_S3_PKfS5_PKvPS1_S8_PvPKiSB_iiiiilll,"axG",@progbits,_ZN12_GLOBAL__N_139chunk_gated_delta_rule_fwd_h_hip_kernelILi64ELb1ELb1ELb1ELb1ELb0ELb0ELb0ELb1EEEvPK12hip_bfloat16S3_S3_PKfS5_PKvPS1_S8_PvPKiSB_iiiiilll,comdat
	.globl	_ZN12_GLOBAL__N_139chunk_gated_delta_rule_fwd_h_hip_kernelILi64ELb1ELb1ELb1ELb1ELb0ELb0ELb0ELb1EEEvPK12hip_bfloat16S3_S3_PKfS5_PKvPS1_S8_PvPKiSB_iiiiilll ; -- Begin function _ZN12_GLOBAL__N_139chunk_gated_delta_rule_fwd_h_hip_kernelILi64ELb1ELb1ELb1ELb1ELb0ELb0ELb0ELb1EEEvPK12hip_bfloat16S3_S3_PKfS5_PKvPS1_S8_PvPKiSB_iiiiilll
	.p2align	8
	.type	_ZN12_GLOBAL__N_139chunk_gated_delta_rule_fwd_h_hip_kernelILi64ELb1ELb1ELb1ELb1ELb0ELb0ELb0ELb1EEEvPK12hip_bfloat16S3_S3_PKfS5_PKvPS1_S8_PvPKiSB_iiiiilll,@function
_ZN12_GLOBAL__N_139chunk_gated_delta_rule_fwd_h_hip_kernelILi64ELb1ELb1ELb1ELb1ELb0ELb0ELb0ELb1EEEvPK12hip_bfloat16S3_S3_PKfS5_PKvPS1_S8_PvPKiSB_iiiiilll: ; @_ZN12_GLOBAL__N_139chunk_gated_delta_rule_fwd_h_hip_kernelILi64ELb1ELb1ELb1ELb1ELb0ELb0ELb0ELb1EEEvPK12hip_bfloat16S3_S3_PKfS5_PKvPS1_S8_PvPKiSB_iiiiilll
; %bb.0:
	s_load_dwordx4 s[20:23], s[0:1], 0x5c
	s_load_dwordx4 s[4:7], s[0:1], 0x48
	s_abs_i32 s9, s3
	s_ashr_i32 s8, s3, 31
	v_and_b32_e32 v88, 15, v0
	s_waitcnt lgkmcnt(0)
	s_abs_i32 s10, s21
	v_cvt_f32_u32_e32 v1, s10
	s_sub_i32 s12, 0, s10
	s_ashr_i32 s11, s21, 31
	s_xor_b32 s8, s8, s11
	v_rcp_iflag_f32_e32 v1, v1
	v_bfe_u32 v87, v0, 4, 2
	v_mov_b32_e32 v35, 0
	v_lshlrev_b32_e32 v89, 3, v0
	v_mul_f32_e32 v1, 0x4f7ffffe, v1
	v_cvt_u32_f32_e32 v1, v1
	s_nop 0
	v_readfirstlane_b32 s13, v1
	s_mul_i32 s12, s12, s13
	s_mul_hi_u32 s12, s13, s12
	s_add_i32 s13, s13, s12
	s_mul_hi_u32 s12, s9, s13
	s_mul_i32 s13, s12, s10
	s_sub_i32 s9, s9, s13
	s_add_i32 s14, s12, 1
	s_sub_i32 s13, s9, s10
	s_cmp_ge_u32 s9, s10
	s_cselect_b32 s12, s14, s12
	s_cselect_b32 s9, s13, s9
	s_add_i32 s13, s12, 1
	s_cmp_ge_u32 s9, s10
	s_cselect_b32 s9, s13, s12
	s_xor_b32 s9, s9, s8
	s_sub_i32 s28, s9, s8
	s_mul_i32 s12, s28, s21
	s_ashr_i32 s29, s28, 31
	s_sub_i32 s51, s3, s12
	s_lshl_b64 s[8:9], s[28:29], 2
	s_add_u32 s4, s4, s8
	s_addc_u32 s5, s5, s9
	s_add_u32 s30, s6, s8
	s_addc_u32 s31, s7, s9
	s_abs_i32 s3, s22
	v_cvt_f32_u32_e32 v1, s3
	s_load_dwordx2 s[38:39], s[4:5], 0x0
	s_sub_i32 s5, 0, s3
	s_lshl_b32 s2, s2, 6
	v_rcp_iflag_f32_e32 v1, v1
	v_or_b32_e32 v76, s2, v88
	s_waitcnt lgkmcnt(0)
	s_sub_i32 s54, s39, s38
	s_ashr_i32 s4, s54, 31
	v_mul_f32_e32 v1, 0x4f7ffffe, v1
	v_cvt_u32_f32_e32 v1, v1
	s_lshr_b32 s4, s4, 26
	s_add_i32 s4, s54, s4
	s_ashr_i32 s53, s4, 6
	v_readfirstlane_b32 s6, v1
	s_mul_i32 s5, s5, s6
	s_mul_hi_u32 s5, s6, s5
	s_add_i32 s6, s6, s5
	s_mul_hi_u32 s5, s10, s6
	s_mul_i32 s6, s5, s3
	s_ashr_i32 s4, s22, 31
	s_sub_i32 s6, s10, s6
	s_xor_b32 s4, s11, s4
	s_add_i32 s7, s5, 1
	s_sub_i32 s8, s6, s3
	s_cmp_ge_u32 s6, s3
	s_cselect_b32 s5, s7, s5
	s_cselect_b32 s6, s8, s6
	s_add_i32 s7, s5, 1
	s_cmp_ge_u32 s6, s3
	s_cselect_b32 s3, s7, s5
	s_xor_b32 s3, s3, s4
	s_sub_i32 s3, s3, s4
	s_abs_i32 s13, s3
	v_cvt_f32_u32_e32 v1, s13
	s_sub_i32 s15, 0, s13
	s_abs_i32 s14, s51
	s_xor_b32 s3, s51, s3
	v_rcp_iflag_f32_e32 v2, v1
	s_ashr_i32 s3, s3, 31
	s_load_dwordx8 s[4:11], s[0:1], 0x28
	v_lshrrev_b32_e32 v1, 6, v0
	v_mul_f32_e32 v2, 0x4f7ffffe, v2
	v_cvt_u32_f32_e32 v2, v2
	v_lshlrev_b32_e32 v36, 7, v76
	v_lshlrev_b32_e32 v86, 4, v1
	v_or_b32_e32 v38, 0x800, v36
	v_readfirstlane_b32 s16, v2
	s_mul_i32 s15, s15, s16
	s_mul_hi_u32 s15, s16, s15
	s_add_i32 s16, s16, s15
	s_mul_hi_u32 s15, s14, s16
	s_mul_i32 s16, s15, s13
	s_sub_i32 s14, s14, s16
	s_add_i32 s16, s15, 1
	s_sub_i32 s17, s14, s13
	s_cmp_ge_u32 s14, s13
	s_cselect_b32 s15, s16, s15
	s_cselect_b32 s14, s17, s14
	s_add_i32 s16, s15, 1
	s_cmp_ge_u32 s14, s13
	s_cselect_b32 s13, s16, s15
	s_xor_b32 s13, s13, s3
	s_sub_i32 s55, s13, s3
	s_ashr_i32 s52, s51, 31
	s_mul_hi_i32 s3, s28, s21
	s_add_u32 s12, s12, s51
	s_addc_u32 s13, s3, s52
	s_lshl_b64 s[34:35], s[12:13], 15
	s_waitcnt lgkmcnt(0)
	s_add_u32 s4, s4, s34
	v_lshl_or_b32 v91, v87, 2, v86
	s_addc_u32 s5, s5, s35
	v_ashrrev_i32_e32 v37, 31, v36
	v_ashrrev_i32_e32 v39, 31, v38
	v_lshl_add_u64 v[2:3], v[36:37], 1, s[4:5]
	v_lshlrev_b32_e32 v34, 1, v91
	v_lshl_add_u64 v[6:7], v[38:39], 1, s[4:5]
	v_or_b32_e32 v40, 0x1000, v36
	v_or_b32_e32 v42, 0x1800, v36
	v_lshl_add_u64 v[2:3], v[2:3], 0, v[34:35]
	v_lshl_add_u64 v[6:7], v[6:7], 0, v[34:35]
	v_ashrrev_i32_e32 v41, 31, v40
	v_ashrrev_i32_e32 v43, 31, v42
	global_load_dwordx2 v[4:5], v[2:3], off
	v_lshl_add_u64 v[14:15], v[42:43], 1, s[4:5]
	global_load_dwordx2 v[2:3], v[2:3], off offset:128
	s_nop 0
	global_load_dwordx2 v[8:9], v[6:7], off
	global_load_dwordx2 v[10:11], v[6:7], off offset:128
	v_lshl_add_u64 v[6:7], v[40:41], 1, s[4:5]
	v_lshl_add_u64 v[6:7], v[6:7], 0, v[34:35]
	;; [unrolled: 1-line block ×3, first 2 shown]
	global_load_dwordx2 v[12:13], v[6:7], off
	v_and_b32_e32 v35, 63, v0
	global_load_dwordx2 v[6:7], v[6:7], off offset:128
	s_nop 0
	global_load_dwordx2 v[16:17], v[14:15], off
	global_load_dwordx2 v[18:19], v[14:15], off offset:128
	s_load_dwordx8 s[12:19], s[0:1], 0x0
	s_load_dwordx2 s[36:37], s[0:1], 0x80
	s_load_dwordx4 s[24:27], s[0:1], 0x70
	s_load_dword s58, s[30:31], 0x0
	v_lshrrev_b32_e32 v90, 3, v35
	v_or_b32_e32 v92, 64, v91
	s_mul_hi_i32 s56, s51, s20
	s_waitcnt lgkmcnt(0)
	s_mul_i32 s33, s28, s25
	s_mul_hi_u32 s47, s28, s24
	s_mul_i32 s46, s29, s24
	s_mul_i32 s57, s51, s20
	s_cmp_lt_i32 s54, 64
	s_mul_i32 s42, s28, s24
	s_mul_i32 s48, s51, s27
	s_mul_hi_u32 s49, s51, s26
	s_mul_i32 s50, s52, s26
	s_mul_i32 s40, s51, s26
	s_waitcnt vmcnt(7)
	v_and_b32_e32 v71, 0xffff0000, v4
	v_lshlrev_b32_e32 v70, 16, v4
	v_and_b32_e32 v75, 0xffff0000, v5
	v_lshlrev_b32_e32 v74, 16, v5
	s_waitcnt vmcnt(6)
	v_and_b32_e32 v69, 0xffff0000, v2
	v_lshlrev_b32_e32 v68, 16, v2
	v_and_b32_e32 v73, 0xffff0000, v3
	v_lshlrev_b32_e32 v72, 16, v3
	s_waitcnt vmcnt(5)
	v_and_b32_e32 v63, 0xffff0000, v8
	v_lshlrev_b32_e32 v62, 16, v8
	v_and_b32_e32 v67, 0xffff0000, v9
	v_lshlrev_b32_e32 v66, 16, v9
	s_waitcnt vmcnt(4)
	v_and_b32_e32 v61, 0xffff0000, v10
	v_lshlrev_b32_e32 v60, 16, v10
	v_and_b32_e32 v65, 0xffff0000, v11
	v_lshlrev_b32_e32 v64, 16, v11
	s_waitcnt vmcnt(3)
	v_and_b32_e32 v55, 0xffff0000, v12
	v_lshlrev_b32_e32 v54, 16, v12
	v_and_b32_e32 v59, 0xffff0000, v13
	v_lshlrev_b32_e32 v58, 16, v13
	s_waitcnt vmcnt(2)
	v_and_b32_e32 v51, 0xffff0000, v6
	v_lshlrev_b32_e32 v50, 16, v6
	v_and_b32_e32 v57, 0xffff0000, v7
	v_lshlrev_b32_e32 v56, 16, v7
	s_waitcnt vmcnt(1)
	v_and_b32_e32 v47, 0xffff0000, v16
	v_lshlrev_b32_e32 v46, 16, v16
	v_and_b32_e32 v53, 0xffff0000, v17
	v_lshlrev_b32_e32 v52, 16, v17
	s_waitcnt vmcnt(0)
	v_and_b32_e32 v45, 0xffff0000, v18
	v_lshlrev_b32_e32 v44, 16, v18
	v_and_b32_e32 v49, 0xffff0000, v19
	v_lshlrev_b32_e32 v48, 16, v19
	s_cbranch_scc1 .LBB113_18
; %bb.1:
	s_ashr_i32 s1, s38, 31
	s_add_u32 s0, s57, s38
	s_addc_u32 s1, s56, s1
	s_lshl_b64 s[0:1], s[0:1], 8
	v_and_b32_e32 v94, 56, v89
	s_add_u32 s24, s14, s0
	v_lshl_or_b32 v93, v1, 3, v90
	v_lshlrev_b32_e32 v2, 1, v94
	s_addc_u32 s0, s15, s1
	v_lshl_or_b32 v95, v93, 8, v2
	s_and_b32 s25, s0, 0xffff
	s_mov_b32 s27, 0x20000
	s_movk_i32 s26, 0x4000
	s_movk_i32 s0, 0x80
	v_or_b32_e32 v96, 0x2000, v95
	buffer_load_dwordx4 v[4:7], v95, s[24:27], 0 offen
	buffer_load_dwordx4 v[8:11], v95, s[24:27], s0 offen
	;; [unrolled: 1-line block ×4, first 2 shown]
	v_lshlrev_b32_e32 v3, 3, v93
	v_and_or_b32 v21, v0, 7, v3
	v_and_b32_e32 v3, 0x78, v3
	v_lshlrev_b32_e32 v21, 4, v21
	v_xor_b32_e32 v97, v21, v3
	v_mul_lo_u32 v20, v93, s23
	v_or_b32_e32 v98, 0x1000, v97
	v_xor_b32_e32 v3, 8, v97
	s_cmpk_eq_i32 s23, 0x80
	s_mov_b32 s59, s38
	v_xor_b32_e32 v21, 8, v98
	s_cselect_b64 s[0:1], -1, 0
	s_cmpk_lg_i32 s23, 0x80
	s_waitcnt vmcnt(3)
	ds_write_b64 v97, v[4:5] offset:49152
	ds_write_b64 v3, v[6:7] offset:49152
	s_waitcnt vmcnt(2)
	ds_write_b64 v97, v[8:9] offset:57344
	ds_write_b64 v3, v[10:11] offset:57344
	;; [unrolled: 3-line block ×4, first 2 shown]
	v_lshl_add_u32 v3, v20, 1, v94
	s_cbranch_scc0 .LBB113_3
; %bb.2:
	v_lshlrev_b32_e32 v5, 1, v3
	v_add_lshl_u32 v4, v3, s23, 1
	s_lshl_b32 s26, s23, 7
	v_lshl_or_b32 v2, v93, 9, v2
	s_cbranch_execz .LBB113_4
	s_branch .LBB113_5
.LBB113_3:
                                        ; implicit-def: $vgpr4
                                        ; implicit-def: $vgpr5
                                        ; implicit-def: $sgpr26
	v_lshl_or_b32 v2, v93, 9, v2
.LBB113_4:
	v_or_b32_e32 v4, 0x100, v2
	s_movk_i32 s26, 0x4000
	v_mov_b32_e32 v5, v2
.LBB113_5:
	s_mul_i32 s4, s38, s22
	s_ashr_i32 s60, s55, 31
	s_mul_hi_i32 s3, s38, s22
	s_add_u32 s4, s4, s55
	s_addc_u32 s5, s3, s60
	s_lshl_b64 s[4:5], s[4:5], 8
	s_add_u32 s24, s12, s4
	s_addc_u32 s3, s13, s5
	s_and_b32 s25, s3, 0xffff
	s_movk_i32 s61, 0x80
	buffer_load_dwordx4 v[6:9], v5, s[24:27], 0 offen
	buffer_load_dwordx4 v[10:13], v5, s[24:27], s61 offen
	;; [unrolled: 1-line block ×4, first 2 shown]
	v_and_b32_e32 v5, 6, v0
	v_lshlrev_b32_e32 v4, 7, v91
	v_xor_b32_e32 v27, v93, v5
	v_and_b32_e32 v22, 1, v0
	v_lshl_or_b32 v30, v88, 3, v4
	v_lshlrev_b32_e32 v27, 2, v27
	v_lshlrev_b32_e32 v23, 2, v88
	v_or_b32_e32 v99, 0x4000, v30
	v_or_b32_e32 v100, 0x6000, v30
	v_xor_b32_e32 v30, 0x440, v27
	v_cmp_eq_u32_e32 vcc, 0, v22
	v_or_b32_e32 v25, 16, v88
	v_or_b32_e32 v26, 32, v88
	v_xor_b32_e32 v28, v91, v23
	v_xor_b32_e32 v29, v92, v23
	v_cndmask_b32_e32 v22, v30, v27, vcc
	s_mov_b32 s62, 0x1000504
	v_lshl_or_b32 v31, v25, 3, v4
	v_lshlrev_b32_e32 v25, 8, v25
	v_lshl_or_b32 v32, v26, 3, v4
	v_lshlrev_b32_e32 v28, 1, v28
	v_lshlrev_b32_e32 v29, 1, v29
	v_lshl_or_b32 v5, v5, 10, v22
	s_add_i32 s3, s47, s33
	s_mov_b32 s63, 0x3020706
	v_lshlrev_b32_e32 v24, 8, v88
	v_or_b32_e32 v103, 0x4000, v32
	v_or_b32_e32 v104, 0x6000, v32
	;; [unrolled: 1-line block ×4, first 2 shown]
	v_xor_b32_e32 v22, 8, v5
	v_xor_b32_e32 v25, 24, v5
	;; [unrolled: 1-line block ×4, first 2 shown]
	s_add_i32 s43, s3, s46
	s_add_i32 s3, s49, s48
	v_or_b32_e32 v101, 0x4000, v31
	v_or_b32_e32 v102, 0x6000, v31
	;; [unrolled: 1-line block ×4, first 2 shown]
	v_xor_b32_e32 v24, 16, v5
	v_xor_b32_e32 v27, 32, v5
	;; [unrolled: 1-line block ×3, first 2 shown]
	v_add_u32_e32 v22, 0x80, v22
	v_add_u32_e32 v25, 0x80, v25
	;; [unrolled: 1-line block ×4, first 2 shown]
	s_add_i32 s41, s3, s50
	s_lshl_b64 s[4:5], s[42:43], 2
	s_add_u32 s3, s18, s4
	s_addc_u32 s24, s19, s5
	s_lshl_b64 s[4:5], s[40:41], 2
	s_add_u32 s4, s3, s4
	s_movk_i32 s3, 0xf8
	s_addc_u32 s5, s24, s5
	s_lshl_b32 s30, s23, 7
	s_movk_i32 s28, 0x100
	v_mov_b32_e32 v79, 0
	v_lshlrev_b32_e32 v78, 4, v88
	v_cmp_gt_u32_e32 vcc, s28, v0
	v_lshlrev_b32_e32 v26, 8, v26
	s_mov_b32 s64, 0
	s_movk_i32 s26, 0x4000
	v_or_b32_e32 v109, v26, v28
	v_or_b32_e32 v110, v26, v29
	s_movk_i32 s41, 0x2000
	s_movk_i32 s43, 0x3000
	v_mov_b32_e32 v142, 0x3fb8aa3b
	s_waitcnt vmcnt(1)
	v_perm_b32 v33, v6, v14, s62
	s_waitcnt vmcnt(0)
	v_perm_b32 v77, v10, v18, s62
	v_perm_b32 v6, v6, v14, s63
	v_perm_b32 v10, v10, v18, s63
	v_perm_b32 v14, v7, v15, s62
	v_perm_b32 v18, v11, v19, s62
	v_perm_b32 v7, v7, v15, s63
	v_perm_b32 v11, v11, v19, s63
	v_perm_b32 v15, v8, v16, s62
	v_perm_b32 v19, v12, v20, s62
	v_perm_b32 v8, v8, v16, s63
	v_perm_b32 v12, v12, v20, s63
	v_perm_b32 v16, v9, v17, s62
	v_perm_b32 v20, v13, v21, s62
	v_perm_b32 v9, v9, v17, s63
	v_perm_b32 v13, v13, v21, s63
	ds_write2st64_b32 v5, v33, v77 offset0:128 offset1:160
	ds_write2st64_b32 v22, v6, v10 offset0:128 offset1:160
	;; [unrolled: 1-line block ×8, first 2 shown]
	v_or_b32_e32 v5, 48, v88
	v_lshl_or_b32 v6, v5, 3, v4
	v_lshlrev_b32_e32 v5, 8, v5
	v_or_b32_e32 v113, v5, v28
	v_or_b32_e32 v114, v5, v29
	v_or_b32_e32 v5, v86, v88
	v_lshlrev_b32_e32 v5, 3, v5
	v_lshrrev_b32_e32 v7, 5, v35
	v_and_or_b32 v7, v5, s3, v7
	v_lshlrev_b32_e32 v7, 4, v7
	v_lshlrev_b32_e32 v8, 11, v1
	v_and_b32_e32 v5, 0x78, v5
	v_or_b32_e32 v13, 32, v7
	v_or_b32_e32 v111, 0x4000, v6
	;; [unrolled: 1-line block ×3, first 2 shown]
	v_and_b32_e32 v6, 0x1000, v8
	v_xor_b32_e32 v9, v7, v5
	v_lshrrev_b32_e32 v10, 1, v0
	v_xor_b32_e32 v13, v13, v5
	v_or_b32_e32 v9, v9, v6
	v_and_b32_e32 v11, 8, v10
	v_or_b32_e32 v13, v13, v6
	v_xor_b32_e32 v115, v9, v11
	v_lshlrev_b32_e32 v9, 8, v87
	v_xor_b32_e32 v117, v13, v11
	v_or_b32_e32 v13, 64, v7
	v_or_b32_e32 v7, 0x60, v7
	s_ashr_i32 s3, s2, 31
	v_or_b32_e32 v12, v9, v23
	v_xor_b32_e32 v13, v13, v5
	v_xor_b32_e32 v5, v7, v5
	s_lshl_b64 s[24:25], s[2:3], 8
	v_lshlrev_b32_e32 v12, 1, v12
	v_or_b32_e32 v13, v13, v6
	v_or_b32_e32 v5, v5, v6
	s_add_u32 s24, s6, s24
	v_lshlrev_b32_e32 v6, 1, v88
	v_or_b32_e32 v116, 0x4000, v12
	v_or_b32_e32 v118, 0x4080, v12
	;; [unrolled: 1-line block ×8, first 2 shown]
	v_lshrrev_b32_e32 v12, 4, v0
	s_addc_u32 s25, s7, s25
	v_or_b32_e32 v7, 1, v6
	v_mov_b32_e32 v16, 0xa000
	v_mov_b32_e32 v17, 0x8000
	v_xor_b32_e32 v121, v13, v11
	v_xor_b32_e32 v13, v12, v6
	;; [unrolled: 1-line block ×3, first 2 shown]
	v_lshl_add_u64 v[6:7], s[24:25], 0, v[78:79]
	v_lshlrev_b32_e32 v78, 8, v12
	v_cndmask_b32_e32 v16, v16, v17, vcc
	v_lshlrev_b32_e32 v17, 3, v1
	v_and_b32_e32 v10, 24, v10
	v_lshl_or_b32 v127, v13, 3, v78
	v_and_b32_e32 v13, 8, v0
	v_xor_b32_e32 v18, v17, v10
	v_or_b32_e32 v19, 0x440, v18
	v_cmp_eq_u32_e32 vcc, 0, v13
	v_and_b32_e32 v12, 7, v0
	v_lshl_or_b32 v128, v14, 3, v78
	v_cndmask_b32_e32 v13, v19, v18, vcc
	v_lshlrev_b32_e32 v14, 3, v12
	v_lshlrev_b32_e32 v12, 7, v12
	v_or_b32_e32 v13, v13, v8
	v_lshlrev_b32_e32 v15, 2, v0
	v_xad_u32 v129, v13, v14, v12
	v_or_b32_e32 v13, 32, v10
	v_and_or_b32 v9, v15, 60, v9
	v_xor_b32_e32 v13, v17, v13
	v_lshlrev_b32_e32 v9, 1, v9
	v_or_b32_e32 v15, 0x440, v13
	v_or_b32_e32 v130, 0x6000, v9
	v_cndmask_b32_e32 v13, v15, v13, vcc
	v_or_b32_e32 v132, 0x6080, v9
	v_or_b32_e32 v133, 0x6100, v9
	;; [unrolled: 1-line block ×5, first 2 shown]
	v_xor_b32_e32 v9, v17, v9
	v_xad_u32 v131, v13, v14, v12
	v_xor_b32_e32 v13, 0x440, v9
	v_cndmask_b32_e32 v9, v13, v9, vcc
	v_or_b32_e32 v9, v9, v8
	v_xad_u32 v135, v9, v14, v12
	v_or_b32_e32 v9, 0x60, v10
	v_xor_b32_e32 v9, v17, v9
	v_xor_b32_e32 v10, 0x440, v9
	v_cndmask_b32_e32 v9, v10, v9, vcc
	v_xor_b32_e32 v122, v5, v11
	v_ashrrev_i32_e32 v77, 31, v76
	v_lshlrev_b32_e32 v5, 1, v3
	v_add_lshl_u32 v3, v3, s23, 1
	v_or_b32_e32 v11, 0x100, v2
	v_or_b32_e32 v8, v9, v8
	v_xad_u32 v136, v8, v14, v12
	v_cndmask_b32_e64 v137, v5, v2, s[0:1]
	v_cndmask_b32_e64 v138, v3, v11, s[0:1]
	v_lshlrev_b64 v[2:3], 1, v[76:77]
	v_lshl_add_u64 v[80:81], s[16:17], 0, v[2:3]
	v_lshl_add_u64 v[82:83], s[8:9], 0, v[2:3]
	;; [unrolled: 1-line block ×3, first 2 shown]
	s_mov_b32 s3, 0x7060302
	v_lshlrev_b32_e32 v78, 1, v4
	v_add_u32_e32 v77, v16, v129
	v_add_u32_e32 v139, v16, v131
	;; [unrolled: 1-line block ×4, first 2 shown]
	s_waitcnt lgkmcnt(0)
	s_barrier
.LBB113_6:                              ; =>This Inner Loop Header: Depth=1
	s_add_i32 s65, s64, 1
	s_cmp_lt_i32 s65, s53
	s_mov_b64 s[28:29], 0
	s_cselect_b64 s[44:45], -1, 0
	s_cmp_ge_i32 s65, s53
	s_mov_b64 s[24:25], 0
	s_cbranch_scc1 .LBB113_8
; %bb.7:                                ;   in Loop: Header=BB113_6 Depth=1
	s_add_i32 s0, s59, 64
	s_ashr_i32 s1, s0, 31
	s_add_u32 s0, s57, s0
	s_addc_u32 s1, s56, s1
	s_lshl_b64 s[0:1], s[0:1], 8
	s_add_u32 s24, s14, s0
	s_addc_u32 s25, s15, s1
.LBB113_8:                              ;   in Loop: Header=BB113_6 Depth=1
	v_cndmask_b32_e64 v2, 0, 1, s[44:45]
	v_cmp_ne_u32_e64 s[0:1], 1, v2
	s_andn2_b64 vcc, exec, s[44:45]
	s_cbranch_vccnz .LBB113_10
; %bb.9:                                ;   in Loop: Header=BB113_6 Depth=1
	s_add_i32 s28, s59, 64
	s_mul_hi_i32 s29, s28, s22
	s_mul_i32 s28, s28, s22
	s_add_u32 s28, s28, s55
	s_addc_u32 s29, s29, s60
	s_lshl_b64 s[28:29], s[28:29], 8
	s_add_u32 s28, s12, s28
	s_addc_u32 s29, s13, s29
.LBB113_10:                             ;   in Loop: Header=BB113_6 Depth=1
	v_perm_b32 v3, v75, v74, s3
	v_perm_b32 v2, v71, v70, s3
	v_perm_b32 v5, v73, v72, s3
	v_perm_b32 v4, v69, v68, s3
	ds_write_b64 v99, v[2:3]
	ds_write_b64 v100, v[4:5]
	ds_write_b64 v105, v[2:3]
	ds_write_b64 v106, v[4:5]
	v_perm_b32 v3, v67, v66, s3
	v_perm_b32 v2, v63, v62, s3
	v_perm_b32 v5, v65, v64, s3
	v_perm_b32 v4, v61, v60, s3
	ds_write_b64 v101, v[2:3]
	ds_write_b64 v102, v[4:5]
	ds_write_b64 v107, v[2:3]
	ds_write_b64 v108, v[4:5]
	;; [unrolled: 8-line block ×4, first 2 shown]
	s_waitcnt lgkmcnt(0)
	s_barrier
	ds_read_b64 v[6:7], v115 offset:49152
	ds_read2_b64 v[2:5], v116 offset1:16
	ds_read_b64 v[18:19], v118 offset:6144
	ds_read_b64 v[20:21], v116 offset:6144
	s_waitcnt lgkmcnt(2)
	v_mfma_f32_16x16x16_bf16 a[0:3], v[6:7], v[2:3], 0
	ds_read_b64 v[22:23], v117 offset:49152
	ds_read2st64_b64 v[10:13], v119 offset0:4 offset1:8
	ds_read2st64_b64 v[14:17], v120 offset0:4 offset1:8
	v_mfma_f32_16x16x16_bf16 a[4:7], v[6:7], v[4:5], 0
	ds_read2_b64 v[2:5], v116 offset0:32 offset1:48
	s_add_i32 s31, s59, 63
	s_ashr_i32 s44, s31, 31
	s_waitcnt lgkmcnt(0)
	v_mfma_f32_16x16x16_bf16 a[8:11], v[6:7], v[2:3], 0
	s_mul_i32 s45, s31, s37
	s_mul_hi_u32 s66, s31, s36
	s_add_i32 s45, s66, s45
	v_mfma_f32_16x16x16_bf16 a[12:15], v[6:7], v[4:5], 0
	ds_read2st64_b64 v[2:5], v116 offset0:4 offset1:8
	ds_read2st64_b64 v[6:9], v118 offset0:4 offset1:8
	s_mul_i32 s44, s44, s36
	s_waitcnt lgkmcnt(1)
	v_mfma_f32_16x16x16_bf16 a[0:3], v[22:23], v[2:3], a[0:3]
	s_add_i32 s45, s45, s44
	s_mul_i32 s44, s31, s36
	s_lshl_b64 s[44:45], s[44:45], 2
	s_waitcnt lgkmcnt(0)
	v_mfma_f32_16x16x16_bf16 a[4:7], v[22:23], v[6:7], a[4:7]
	s_add_u32 s44, s4, s44
	s_addc_u32 s45, s5, s45
	s_and_b64 vcc, exec, s[0:1]
	v_mfma_f32_16x16x16_bf16 a[8:11], v[22:23], v[10:11], a[8:11]
	ds_read_b64 v[2:3], v121 offset:49152
	ds_read_b64 v[6:7], v122 offset:49152
	;; [unrolled: 1-line block ×3, first 2 shown]
	v_mov_b32_e32 v145, 0
	v_mov_b32_e32 v144, 0
	v_mfma_f32_16x16x16_bf16 a[12:15], v[22:23], v[14:15], a[12:15]
	v_mov_b32_e32 v143, 0
	v_mov_b32_e32 v14, 0
	;; [unrolled: 1-line block ×3, first 2 shown]
	s_waitcnt lgkmcnt(2)
	v_mfma_f32_16x16x16_bf16 a[0:3], v[2:3], v[4:5], a[0:3]
	v_mov_b32_e32 v4, 0
	v_mov_b32_e32 v5, 0
	v_mfma_f32_16x16x16_bf16 a[4:7], v[2:3], v[8:9], a[4:7]
	v_mov_b32_e32 v8, 0
	v_mov_b32_e32 v9, 0
	;; [unrolled: 3-line block ×3, first 2 shown]
	v_mfma_f32_16x16x16_bf16 a[12:15], v[2:3], v[16:17], a[12:15]
	ds_read_b64 v[2:3], v119 offset:6144
	v_mov_b32_e32 v16, 0
	v_mov_b32_e32 v17, 0
	s_waitcnt lgkmcnt(2)
	v_mfma_f32_16x16x16_bf16 a[0:3], v[6:7], v[20:21], a[0:3]
	v_mfma_f32_16x16x16_bf16 a[4:7], v[6:7], v[18:19], a[4:7]
	s_waitcnt lgkmcnt(0)
	v_mfma_f32_16x16x16_bf16 a[8:11], v[6:7], v[2:3], a[8:11]
	v_mov_b32_e32 v2, 0
	v_mov_b32_e32 v3, 0
	v_mfma_f32_16x16x16_bf16 a[12:15], v[6:7], v[10:11], a[12:15]
	v_mov_b32_e32 v6, 0
	v_mov_b32_e32 v7, 0
	;; [unrolled: 1-line block ×4, first 2 shown]
	s_cbranch_vccnz .LBB113_12
; %bb.11:                               ;   in Loop: Header=BB113_6 Depth=1
	s_and_b32 s25, s25, 0xffff
	buffer_load_dwordx4 v[14:17], v95, s[24:27], 0 offen
	buffer_load_dwordx4 v[10:13], v95, s[24:27], s61 offen
	;; [unrolled: 1-line block ×4, first 2 shown]
	v_mov_b32_e32 v144, v97
	v_mov_b32_e32 v143, v98
.LBB113_12:                             ;   in Loop: Header=BB113_6 Depth=1
	ds_read_b64 v[150:151], v115 offset:57344
	ds_read2_b64 v[18:21], v123 offset1:16
	ds_read_b64 v[152:153], v117 offset:57344
	ds_read_b64 v[154:155], v121 offset:57344
	;; [unrolled: 1-line block ×3, first 2 shown]
	s_waitcnt lgkmcnt(3)
	v_mfma_f32_16x16x16_bf16 a[0:3], v[150:151], v[18:19], a[0:3]
	v_mfma_f32_16x16x16_bf16 a[4:7], v[150:151], v[20:21], a[4:7]
	ds_read2_b64 v[18:21], v123 offset0:32 offset1:48
	ds_read2st64_b64 v[22:25], v123 offset0:4 offset1:8
	ds_read2st64_b64 v[26:29], v124 offset0:4 offset1:8
	;; [unrolled: 1-line block ×4, first 2 shown]
	s_waitcnt lgkmcnt(4)
	v_mfma_f32_16x16x16_bf16 a[8:11], v[150:151], v[18:19], a[8:11]
	v_mfma_f32_16x16x16_bf16 a[12:15], v[150:151], v[20:21], a[12:15]
	v_add_u32_e32 v150, s59, v91
	v_ashrrev_i32_e32 v18, 31, v150
	v_mul_lo_u32 v20, v18, s36
	v_mul_lo_u32 v21, v150, s37
	v_mad_u64_u32 v[18:19], s[24:25], v150, s36, 0
	v_add3_u32 v19, v19, v21, v20
	v_add_u32_e32 v20, 1, v150
	v_ashrrev_i32_e32 v21, 31, v20
	s_waitcnt lgkmcnt(3)
	v_mfma_f32_16x16x16_bf16 a[0:3], v[152:153], v[22:23], a[0:3]
	v_mul_lo_u32 v22, v21, s36
	v_mul_lo_u32 v23, v20, s37
	v_mad_u64_u32 v[20:21], s[24:25], v20, s36, 0
	v_add3_u32 v21, v21, v23, v22
	v_add_u32_e32 v22, 2, v150
	v_ashrrev_i32_e32 v23, 31, v22
	s_waitcnt lgkmcnt(2)
	v_mfma_f32_16x16x16_bf16 a[4:7], v[152:153], v[26:27], a[4:7]
	v_mul_lo_u32 v26, v23, s36
	v_mul_lo_u32 v27, v22, s37
	v_mad_u64_u32 v[22:23], s[24:25], v22, s36, 0
	v_lshl_add_u64 v[18:19], v[18:19], 2, s[4:5]
	v_lshl_add_u64 v[20:21], v[20:21], 2, s[4:5]
	v_add3_u32 v23, v23, v27, v26
	v_add_u32_e32 v26, 3, v150
	s_waitcnt lgkmcnt(1)
	v_mfma_f32_16x16x16_bf16 a[8:11], v[152:153], v[30:31], a[8:11]
	global_load_dword v31, v[18:19], off
	v_ashrrev_i32_e32 v27, 31, v26
	v_mul_lo_u32 v27, v27, s36
	s_waitcnt lgkmcnt(0)
	v_mfma_f32_16x16x16_bf16 a[12:15], v[152:153], v[146:147], a[12:15]
	global_load_dword v146, v[20:21], off
	v_mad_u64_u32 v[18:19], s[24:25], v26, s36, 0
	s_ashr_i32 s25, s59, 31
	v_mul_lo_u32 v30, v26, s37
	s_add_u32 s24, s57, s59
	v_lshl_add_u64 v[22:23], v[22:23], 2, s[4:5]
	v_add3_u32 v19, v19, v30, v27
	s_addc_u32 s25, s56, s25
	v_lshl_add_u64 v[18:19], v[18:19], 2, s[4:5]
	global_load_dword v30, v[22:23], off
	global_load_dword v147, v[18:19], off
	s_lshl_b64 s[24:25], s[24:25], 8
	v_lshl_add_u64 v[18:19], v[80:81], 0, s[24:25]
	v_lshl_add_u64 v[18:19], v[18:19], 0, v[78:79]
	global_load_ushort v150, v[18:19], off offset:256
	global_load_ushort v151, v[18:19], off
	global_load_ushort v152, v[18:19], off offset:768
	global_load_ushort v153, v[18:19], off offset:512
	;; [unrolled: 1-line block ×6, first 2 shown]
	s_load_dword s44, s[44:45], 0x0
	v_mfma_f32_16x16x16_bf16 a[12:15], v[154:155], v[148:149], a[12:15]
	global_load_ushort v148, v[18:19], off offset:320
	global_load_ushort v149, v[18:19], off offset:64
	s_and_b64 vcc, exec, s[0:1]
	v_mfma_f32_16x16x16_bf16 a[0:3], v[154:155], v[24:25], a[0:3]
	ds_read_b64 v[20:21], v123 offset:6144
	ds_read_b64 v[22:23], v124 offset:6144
	;; [unrolled: 1-line block ×4, first 2 shown]
	v_mfma_f32_16x16x16_bf16 a[4:7], v[154:155], v[28:29], a[4:7]
	s_waitcnt vmcnt(11) lgkmcnt(0)
	v_sub_f32_e32 v28, s44, v30
	v_mfma_f32_16x16x16_bf16 a[8:11], v[154:155], v[32:33], a[8:11]
	global_load_ushort v154, v[18:19], off offset:832
	global_load_ushort v155, v[18:19], off offset:576
	;; [unrolled: 1-line block ×6, first 2 shown]
	v_mfma_f32_16x16x16_bf16 a[0:3], v[156:157], v[20:21], a[0:3]
	s_waitcnt vmcnt(16)
	v_sub_f32_e32 v29, s44, v147
	v_mul_f32_e32 v28, 0x3fb8aa3b, v28
	v_mul_f32_e32 v29, 0x3fb8aa3b, v29
	v_exp_f32_e32 v28, v28
	v_exp_f32_e32 v29, v29
	s_waitcnt vmcnt(15)
	v_lshlrev_b32_e32 v33, 16, v150
	s_waitcnt vmcnt(14)
	v_lshlrev_b32_e32 v32, 16, v151
	v_accvgpr_read_b32 v21, a3
	v_accvgpr_read_b32 v20, a2
	v_mfma_f32_16x16x16_bf16 a[2:5], v[156:157], v[22:23], a[4:7]
	v_mfma_f32_16x16x16_bf16 a[6:9], v[156:157], v[24:25], a[8:11]
	s_nop 5
	v_accvgpr_read_b32 v23, a5
	v_accvgpr_read_b32 v22, a4
	;; [unrolled: 1-line block ×4, first 2 shown]
	v_mfma_f32_16x16x16_bf16 a[8:11], v[156:157], v[26:27], a[12:15]
	v_sub_f32_e32 v26, s44, v31
	v_sub_f32_e32 v27, s44, v146
	v_mul_f32_e32 v26, 0x3fb8aa3b, v26
	v_mul_f32_e32 v27, 0x3fb8aa3b, v27
	v_exp_f32_e32 v26, v26
	v_exp_f32_e32 v27, v27
	v_accvgpr_read_b32 v147, a1
	v_accvgpr_read_b32 v146, a0
	v_lshl_add_u64 v[30:31], v[82:83], 0, s[24:25]
	v_pk_add_f32 v[32:33], v[32:33], v[146:147] neg_lo:[0,1] neg_hi:[0,1]
	s_waitcnt vmcnt(13)
	v_lshlrev_b32_e32 v147, 16, v152
	s_waitcnt vmcnt(12)
	v_lshlrev_b32_e32 v146, 16, v153
	v_lshl_add_u64 v[30:31], v[30:31], 0, v[78:79]
	v_pk_add_f32 v[20:21], v[146:147], v[20:21] neg_lo:[0,1] neg_hi:[0,1]
	global_store_short_d16_hi v[30:31], v32, off
	global_store_short_d16_hi v[30:31], v33, off offset:256
	global_store_short_d16_hi v[30:31], v20, off offset:512
	;; [unrolled: 1-line block ×3, first 2 shown]
	v_pk_mul_f32 v[32:33], v[26:27], v[32:33]
	v_pk_mul_f32 v[20:21], v[28:29], v[20:21]
	v_accvgpr_read_b32 v147, a3
	v_perm_b32 v21, v21, v20, s3
	v_perm_b32 v20, v33, v32, s3
	s_waitcnt vmcnt(15)
	v_lshlrev_b32_e32 v33, 16, v158
	s_waitcnt vmcnt(14)
	v_lshlrev_b32_e32 v32, 16, v159
	v_accvgpr_read_b32 v146, a2
	v_pk_add_f32 v[32:33], v[32:33], v[146:147] neg_lo:[0,1] neg_hi:[0,1]
	s_waitcnt vmcnt(13)
	v_lshlrev_b32_e32 v147, 16, v160
	s_waitcnt vmcnt(12)
	v_lshlrev_b32_e32 v146, 16, v161
	v_pk_add_f32 v[22:23], v[146:147], v[22:23] neg_lo:[0,1] neg_hi:[0,1]
	global_store_short_d16_hi v[30:31], v32, off offset:32
	global_store_short_d16_hi v[30:31], v33, off offset:288
	;; [unrolled: 1-line block ×4, first 2 shown]
	v_pk_mul_f32 v[32:33], v[26:27], v[32:33]
	v_pk_mul_f32 v[22:23], v[28:29], v[22:23]
	v_accvgpr_read_b32 v25, a11
	v_perm_b32 v23, v23, v22, s3
	v_perm_b32 v22, v33, v32, s3
	ds_write2_b64 v100, v[20:21], v[22:23] offset1:16
	v_accvgpr_read_b32 v23, a7
	s_waitcnt vmcnt(15)
	v_lshlrev_b32_e32 v21, 16, v148
	s_waitcnt vmcnt(14)
	v_lshlrev_b32_e32 v20, 16, v149
	v_accvgpr_read_b32 v22, a6
	v_pk_add_f32 v[20:21], v[20:21], v[22:23] neg_lo:[0,1] neg_hi:[0,1]
	global_store_short_d16_hi v[30:31], v20, off offset:64
	global_store_short_d16_hi v[30:31], v21, off offset:320
	v_pk_mul_f32 v[20:21], v[26:27], v[20:21]
	v_accvgpr_read_b32 v24, a10
	v_perm_b32 v20, v21, v20, s3
	v_mov_b32_e32 v146, 0
	v_mov_b32_e32 v32, 0
	;; [unrolled: 1-line block ×3, first 2 shown]
	s_waitcnt vmcnt(15)
	v_lshlrev_b32_e32 v23, 16, v154
	s_waitcnt vmcnt(14)
	v_lshlrev_b32_e32 v22, 16, v155
	v_pk_add_f32 v[18:19], v[22:23], v[18:19] neg_lo:[0,1] neg_hi:[0,1]
	global_store_short_d16_hi v[30:31], v18, off offset:576
	global_store_short_d16_hi v[30:31], v19, off offset:832
	v_pk_mul_f32 v[18:19], v[28:29], v[18:19]
	v_accvgpr_read_b32 v23, a9
	v_perm_b32 v21, v19, v18, s3
	s_waitcnt vmcnt(15)
	v_lshlrev_b32_e32 v19, 16, v162
	s_waitcnt vmcnt(14)
	v_lshlrev_b32_e32 v18, 16, v163
	v_accvgpr_read_b32 v22, a8
	v_pk_add_f32 v[18:19], v[18:19], v[22:23] neg_lo:[0,1] neg_hi:[0,1]
	s_waitcnt vmcnt(13)
	v_lshlrev_b32_e32 v23, 16, v164
	s_waitcnt vmcnt(12)
	v_lshlrev_b32_e32 v22, 16, v165
	v_pk_add_f32 v[22:23], v[22:23], v[24:25] neg_lo:[0,1] neg_hi:[0,1]
	global_store_short_d16_hi v[30:31], v18, off offset:96
	global_store_short_d16_hi v[30:31], v19, off offset:352
	;; [unrolled: 1-line block ×4, first 2 shown]
	v_pk_mul_f32 v[18:19], v[26:27], v[18:19]
	v_pk_mul_f32 v[22:23], v[28:29], v[22:23]
	v_mov_b32_e32 v24, 0
	v_perm_b32 v23, v23, v22, s3
	v_perm_b32 v22, v19, v18, s3
	ds_write2_b64 v100, v[20:21], v[22:23] offset0:32 offset1:48
	v_mov_b32_e32 v18, 0
	v_mov_b32_e32 v19, 0
	;; [unrolled: 1-line block ×13, first 2 shown]
	s_cbranch_vccnz .LBB113_14
; %bb.13:                               ;   in Loop: Header=BB113_6 Depth=1
	s_and_b32 s29, s29, 0xffff
	s_mov_b32 s31, s27
	buffer_load_dwordx4 v[30:33], v137, s[28:31], 0 offen
	buffer_load_dwordx4 v[22:25], v137, s[28:31], s61 offen
	;; [unrolled: 1-line block ×4, first 2 shown]
	v_mov_b32_e32 v145, v94
	v_mov_b32_e32 v146, v93
.LBB113_14:                             ;   in Loop: Header=BB113_6 Depth=1
	s_waitcnt lgkmcnt(0)
	s_barrier
	ds_read_b64 v[156:157], v77
	ds_read2_b64 v[148:151], v130 offset1:16
	ds_read_b64 v[172:173], v139
	ds_read_b64 v[174:175], v140
	;; [unrolled: 1-line block ×3, first 2 shown]
	ds_read2_b64 v[152:155], v130 offset0:32 offset1:48
	s_waitcnt lgkmcnt(4)
	v_mfma_f32_16x16x16_bf16 a[0:3], v[156:157], v[148:149], 0
	ds_read2st64_b64 v[160:163], v132 offset0:4 offset1:8
	ds_read2st64_b64 v[164:167], v133 offset0:4 offset1:8
	;; [unrolled: 1-line block ×3, first 2 shown]
	v_mfma_f32_16x16x16_bf16 a[4:7], v[156:157], v[150:151], 0
	s_add_i32 s24, s58, s64
	s_mul_hi_i32 s25, s24, s21
	s_mul_i32 s24, s24, s21
	s_waitcnt lgkmcnt(3)
	v_mfma_f32_16x16x16_bf16 a[8:11], v[156:157], v[152:153], 0
	s_add_u32 s24, s24, s51
	s_addc_u32 s25, s25, s52
	s_lshl_b64 s[24:25], s[24:25], 15
	v_mfma_f32_16x16x16_bf16 a[12:15], v[156:157], v[154:155], 0
	ds_read2st64_b64 v[156:159], v130 offset0:4 offset1:8
	s_waitcnt lgkmcnt(0)
	v_mfma_f32_16x16x16_bf16 a[0:3], v[172:173], v[156:157], a[0:3]
	v_mfma_f32_16x16x16_bf16 a[4:7], v[172:173], v[160:161], a[4:7]
	;; [unrolled: 1-line block ×8, first 2 shown]
	ds_read_b64 v[172:173], v130 offset:6144
	ds_read_b64 v[174:175], v131 offset:40960
	ds_read_b64 v[178:179], v129 offset:40960
	ds_read_b64 v[180:181], v132 offset:6144
	ds_read_b64 v[182:183], v133 offset:6144
	ds_read_b64 v[184:185], v134 offset:6144
	ds_read_b64 v[186:187], v135 offset:40960
	ds_read_b64 v[188:189], v136 offset:40960
	s_waitcnt lgkmcnt(5)
	v_mfma_f32_16x16x16_bf16 a[16:19], v[178:179], v[148:149], 0
	v_mfma_f32_16x16x16_bf16 a[20:23], v[178:179], v[150:151], 0
	ds_read2st64_b64 v[148:151], v127 offset1:8
	v_mfma_f32_16x16x16_bf16 a[24:27], v[178:179], v[152:153], 0
	v_mfma_f32_16x16x16_bf16 a[28:31], v[178:179], v[154:155], 0
	ds_read2st64_b64 v[152:155], v128 offset1:8
	v_mfma_f32_16x16x16_bf16 a[16:19], v[174:175], v[156:157], a[16:19]
	s_waitcnt lgkmcnt(1)
	v_mov_b32_e32 v156, v148
	v_mov_b32_e32 v157, v149
	v_mfma_f32_16x16x16_bf16 a[20:23], v[174:175], v[160:161], a[20:23]
	v_lshl_add_u64 v[160:161], v[84:85], 0, s[24:25]
	v_mfma_f32_16x16x16_bf16 a[24:27], v[174:175], v[164:165], a[24:27]
	v_mfma_f32_16x16x16_bf16 a[28:31], v[174:175], v[168:169], a[28:31]
	;; [unrolled: 1-line block ×3, first 2 shown]
	s_waitcnt lgkmcnt(0)
	v_mov_b32_e32 v158, v152
	v_mov_b32_e32 v159, v153
	;; [unrolled: 1-line block ×3, first 2 shown]
	v_mfma_f32_16x16x16_bf16 a[32:35], v[186:187], v[162:163], a[20:23]
	v_mov_b32_e32 v153, v151
	ds_read2st64_b64 v[148:151], v127 offset0:16 offset1:24
	global_store_dwordx4 v[160:161], v[156:159], off
	v_mfma_f32_16x16x16_bf16 a[24:27], v[186:187], v[166:167], a[24:27]
	ds_read2st64_b64 v[156:159], v128 offset0:16 offset1:24
	v_add_co_u32_e32 v162, vcc, s41, v160
	v_mfma_f32_16x16x16_bf16 a[28:31], v[186:187], v[170:171], a[28:31]
	s_nop 0
	v_addc_co_u32_e32 v163, vcc, 0, v161, vcc
	global_store_dwordx4 v[162:163], v[152:155], off offset:-4096
	v_mfma_f32_16x16x16_bf16 a[0:3], v[176:177], v[172:173], a[0:3]
	s_waitcnt lgkmcnt(1)
	v_mov_b32_e32 v152, v148
	v_add_co_u32_e32 v148, vcc, s43, v160
	v_mfma_f32_16x16x16_bf16 a[4:7], v[176:177], v[180:181], a[4:7]
	v_mov_b32_e32 v153, v149
	v_addc_co_u32_e32 v149, vcc, 0, v161, vcc
	v_mfma_f32_16x16x16_bf16 a[8:11], v[176:177], v[182:183], a[8:11]
	s_waitcnt lgkmcnt(0)
	v_mov_b32_e32 v154, v156
	v_mov_b32_e32 v155, v157
	;; [unrolled: 1-line block ×3, first 2 shown]
	v_mfma_f32_16x16x16_bf16 a[12:15], v[176:177], v[184:185], a[12:15]
	v_mov_b32_e32 v157, v151
	s_and_b64 vcc, exec, s[0:1]
	global_store_dwordx4 v[162:163], v[152:155], off
	v_mfma_f32_16x16x16_bf16 a[20:23], v[188:189], v[172:173], a[16:19]
	global_store_dwordx4 v[148:149], v[156:159], off
	v_mfma_f32_16x16x16_bf16 a[16:19], v[188:189], v[180:181], a[32:35]
	v_mfma_f32_16x16x16_bf16 a[24:27], v[188:189], v[182:183], a[24:27]
	;; [unrolled: 1-line block ×3, first 2 shown]
	s_cbranch_vccnz .LBB113_16
; %bb.15:                               ;   in Loop: Header=BB113_6 Depth=1
	v_lshrrev_b32_e32 v147, 3, v145
	v_and_b32_e32 v147, 6, v147
	v_xor_b32_e32 v146, v147, v146
	v_lshlrev_b32_e32 v146, 2, v146
	v_and_b32_e32 v145, 8, v145
	v_xor_b32_e32 v148, 0x440, v146
	v_cmp_eq_u32_e32 vcc, 0, v145
	s_barrier
	s_nop 0
	v_cndmask_b32_e32 v145, v148, v146, vcc
	v_lshl_or_b32 v145, v147, 10, v145
	s_waitcnt vmcnt(5)
	v_perm_b32 v146, v30, v26, s62
	s_waitcnt vmcnt(4)
	v_perm_b32 v147, v22, v18, s62
	ds_write2st64_b32 v145, v146, v147 offset0:128 offset1:160
	v_xor_b32_e32 v146, 8, v145
	v_perm_b32 v26, v30, v26, s63
	v_perm_b32 v18, v22, v18, s63
	v_add_u32_e32 v22, 0x80, v146
	ds_write2st64_b32 v22, v26, v18 offset0:128 offset1:160
	v_xor_b32_e32 v18, 16, v145
	v_perm_b32 v22, v31, v27, s62
	v_perm_b32 v26, v23, v19, s62
	ds_write2st64_b32 v18, v22, v26 offset0:129 offset1:161
	v_xor_b32_e32 v18, 24, v145
	v_perm_b32 v22, v31, v27, s63
	v_perm_b32 v19, v23, v19, s63
	v_add_u32_e32 v18, 0x80, v18
	ds_write2st64_b32 v18, v22, v19 offset0:129 offset1:161
	v_xor_b32_e32 v18, 32, v145
	v_perm_b32 v19, v32, v28, s62
	;; [unrolled: 9-line block ×3, first 2 shown]
	v_perm_b32 v20, v25, v21, s62
	ds_write2st64_b32 v18, v19, v20 offset0:131 offset1:163
	v_xor_b32_e32 v18, 56, v145
	v_perm_b32 v19, v33, v29, s63
	v_perm_b32 v20, v25, v21, s63
	v_add_u32_e32 v18, 0x80, v18
	ds_write2st64_b32 v18, v19, v20 offset0:131 offset1:163
	ds_write_b64 v144, v[14:15] offset:49152
	v_xor_b32_e32 v14, 8, v144
	ds_write_b64 v14, v[16:17] offset:49152
	ds_write_b64 v144, v[10:11] offset:57344
	;; [unrolled: 1-line block ×4, first 2 shown]
	v_xor_b32_e32 v6, 8, v143
	ds_write_b64 v6, v[8:9] offset:49152
	ds_write_b64 v143, v[2:3] offset:57344
	;; [unrolled: 1-line block ×3, first 2 shown]
.LBB113_16:                             ;   in Loop: Header=BB113_6 Depth=1
	s_waitcnt vmcnt(6)
	v_mul_f32_e32 v22, s44, v142
	v_exp_f32_e32 v144, v22
	v_accvgpr_read_b32 v5, a3
	v_accvgpr_read_b32 v9, a7
	;; [unrolled: 1-line block ×4, first 2 shown]
	s_waitcnt vmcnt(4)
	v_accvgpr_read_b32 v18, a20
	v_accvgpr_read_b32 v25, a19
	;; [unrolled: 1-line block ×28, first 2 shown]
	s_add_i32 s59, s59, 64
	v_pk_fma_f32 v[70:71], v[70:71], v[144:145], v[2:3] op_sel_hi:[1,0,1]
	v_pk_fma_f32 v[74:75], v[74:75], v[144:145], v[4:5] op_sel_hi:[1,0,1]
	;; [unrolled: 1-line block ×15, first 2 shown]
	s_cmp_eq_u32 s53, s65
	v_pk_fma_f32 v[48:49], v[48:49], v[144:145], v[32:33] op_sel_hi:[1,0,1]
	s_cbranch_scc1 .LBB113_18
; %bb.17:                               ;   in Loop: Header=BB113_6 Depth=1
	s_mov_b32 s64, s65
	s_branch .LBB113_6
.LBB113_18:
	s_lshl_b32 s30, s53, 6
	s_sub_i32 s31, s54, s30
	s_cmp_gt_i32 s31, 0
	s_cbranch_scc0 .LBB113_99
; %bb.19:
	s_add_i32 s30, s30, s38
	s_ashr_i32 s3, s30, 31
	s_cmpk_lg_i32 s23, 0x80
	s_cselect_b64 s[26:27], -1, 0
	s_and_b64 vcc, exec, s[26:27]
	s_cbranch_vccz .LBB113_21
; %bb.20:
	s_mul_i32 s1, s30, s22
	s_ashr_i32 s4, s55, 31
	s_mul_hi_i32 s0, s30, s22
	s_add_u32 s28, s1, s55
	s_addc_u32 s29, s0, s4
	s_cbranch_execz .LBB113_22
	s_branch .LBB113_23
.LBB113_21:
                                        ; implicit-def: $sgpr28_sgpr29
.LBB113_22:
	s_mul_i32 s1, s55, s20
	s_mul_hi_i32 s0, s55, s20
	s_add_u32 s28, s1, s30
	s_addc_u32 s29, s0, s3
.LBB113_23:
	s_add_i32 s4, s53, s58
	s_add_u32 s0, s57, s30
	v_lshlrev_b32_e32 v6, 6, v91
	v_lshlrev_b32_e32 v24, 2, v88
	s_addc_u32 s1, s56, s3
	s_mov_b32 s3, 0x7060302
	v_or_b32_e32 v9, v6, v24
	v_xor_b32_e32 v7, v91, v24
	v_perm_b32 v3, v75, v74, s3
	v_perm_b32 v2, v71, v70, s3
	;; [unrolled: 1-line block ×4, first 2 shown]
	v_lshlrev_b32_e32 v9, 1, v9
	v_xor_b32_e32 v8, v92, v24
	ds_write2st64_b64 v9, v[2:3], v[4:5] offset0:32 offset1:48
	v_lshlrev_b32_e32 v7, 1, v7
	v_lshlrev_b32_e32 v9, 8, v88
	v_or_b32_e32 v10, v7, v9
	v_lshlrev_b32_e32 v8, 1, v8
	ds_write_b64 v10, v[2:3]
	v_or_b32_e32 v2, v8, v9
	v_or_b32_e32 v9, 16, v88
	v_lshlrev_b32_e32 v23, 2, v9
	v_or_b32_e32 v10, v6, v23
	ds_write_b64 v2, v[4:5]
	v_perm_b32 v3, v67, v66, s3
	v_perm_b32 v2, v63, v62, s3
	;; [unrolled: 1-line block ×4, first 2 shown]
	v_lshlrev_b32_e32 v10, 1, v10
	v_lshlrev_b32_e32 v9, 8, v9
	ds_write2st64_b64 v10, v[2:3], v[4:5] offset0:32 offset1:48
	v_or_b32_e32 v10, v7, v9
	ds_write_b64 v10, v[2:3]
	v_or_b32_e32 v2, v8, v9
	v_or_b32_e32 v9, 32, v88
	v_lshlrev_b32_e32 v22, 2, v9
	v_or_b32_e32 v10, v6, v22
	ds_write_b64 v2, v[4:5]
	v_perm_b32 v3, v59, v58, s3
	v_perm_b32 v2, v55, v54, s3
	;; [unrolled: 1-line block ×4, first 2 shown]
	v_lshlrev_b32_e32 v10, 1, v10
	v_lshlrev_b32_e32 v9, 8, v9
	s_lshl_b64 s[24:25], s[0:1], 8
	ds_write2st64_b64 v10, v[2:3], v[4:5] offset0:32 offset1:48
	v_or_b32_e32 v10, v7, v9
	s_add_u32 s0, s14, s24
	ds_write_b64 v10, v[2:3]
	v_or_b32_e32 v2, v8, v9
	s_addc_u32 s1, s15, s25
	ds_write_b64 v2, v[4:5]
	v_perm_b32 v3, v53, v52, s3
	v_perm_b32 v2, v47, v46, s3
	;; [unrolled: 1-line block ×4, first 2 shown]
	v_or_b32_e32 v9, 48, v88
	s_mul_hi_i32 s3, s4, s21
	s_mul_i32 s4, s4, s21
	v_lshlrev_b32_e32 v19, 2, v9
	s_add_u32 s4, s4, s51
	v_or_b32_e32 v6, v6, v19
	s_addc_u32 s5, s3, s52
	v_lshlrev_b32_e32 v6, 1, v6
	s_ashr_i32 s3, s2, 31
	s_lshl_b64 s[4:5], s[4:5], 15
	ds_write2st64_b64 v6, v[2:3], v[4:5] offset0:32 offset1:48
	v_lshlrev_b32_e32 v6, 8, v9
	s_add_u32 s4, s6, s4
	v_or_b32_e32 v7, v7, v6
	s_addc_u32 s5, s7, s5
	s_lshl_b64 s[2:3], s[2:3], 8
	ds_write_b64 v7, v[2:3]
	v_or_b32_e32 v2, v8, v6
	s_add_u32 s2, s4, s2
	v_lshlrev_b32_e32 v3, 1, v88
	ds_write_b64 v2, v[4:5]
	v_lshrrev_b32_e32 v2, 4, v0
	s_addc_u32 s3, s5, s3
	v_or_b32_e32 v4, 1, v3
	v_lshlrev_b32_e32 v10, 4, v88
	v_mov_b32_e32 v11, 0
	v_xor_b32_e32 v3, v2, v3
	v_xor_b32_e32 v6, v4, v2
	v_lshl_add_u64 v[12:13], s[2:3], 0, v[10:11]
	v_lshlrev_b32_e32 v10, 8, v2
	v_lshl_or_b32 v16, v3, 3, v10
	v_lshl_or_b32 v17, v6, 3, v10
	s_waitcnt lgkmcnt(0)
	s_barrier
	ds_read2st64_b64 v[2:5], v16 offset1:8
	ds_read2st64_b64 v[6:9], v17 offset1:8
	v_lshl_add_u64 v[14:15], v[12:13], 0, v[10:11]
	s_movk_i32 s2, 0x2000
	s_cmp_lg_u32 s31, 64
	s_waitcnt lgkmcnt(1)
	v_mov_b32_e32 v10, v2
	v_mov_b32_e32 v11, v3
	s_waitcnt lgkmcnt(0)
	v_mov_b32_e32 v12, v6
	v_mov_b32_e32 v13, v7
	global_store_dwordx4 v[14:15], v[10:13], off
	v_mov_b32_e32 v6, v4
	v_mov_b32_e32 v7, v5
	ds_read2st64_b64 v[2:5], v16 offset0:16 offset1:24
	ds_read2st64_b64 v[10:13], v17 offset0:16 offset1:24
	v_add_co_u32_e32 v16, vcc, s2, v14
	s_cselect_b64 s[14:15], -1, 0
	s_nop 0
	v_addc_co_u32_e32 v17, vcc, 0, v15, vcc
	global_store_dwordx4 v[16:17], v[6:9], off offset:-4096
	v_lshl_or_b32 v30, v1, 3, v90
	s_mov_b32 s4, 0
	s_waitcnt lgkmcnt(1)
	v_mov_b32_e32 v6, v2
	v_add_co_u32_e32 v2, vcc, 0x3000, v14
	v_mov_b32_e32 v7, v3
	s_nop 0
	v_addc_co_u32_e32 v3, vcc, 0, v15, vcc
	s_waitcnt lgkmcnt(0)
	v_mov_b32_e32 v8, v10
	v_mov_b32_e32 v9, v11
	v_mov_b32_e32 v10, v4
	v_mov_b32_e32 v11, v5
	v_or_b32_e32 v20, 32, v30
	v_and_b32_e32 v18, 56, v89
	s_and_b64 vcc, exec, s[14:15]
	global_store_dwordx4 v[16:17], v[6:9], off
	global_store_dwordx4 v[2:3], v[10:13], off
	s_cbranch_vccz .LBB113_29
; %bb.24:
	s_mov_b32 s6, s4
	s_mov_b32 s7, s4
	;; [unrolled: 1-line block ×3, first 2 shown]
	v_mov_b64_e32 v[8:9], s[6:7]
	v_mov_b64_e32 v[6:7], s[4:5]
	;; [unrolled: 1-line block ×3, first 2 shown]
	v_cmp_gt_i32_e32 vcc, s31, v30
	v_mov_b64_e32 v[4:5], v[8:9]
	s_and_saveexec_b64 s[2:3], vcc
	s_cbranch_execz .LBB113_26
; %bb.25:
	v_lshlrev_b32_e32 v2, 8, v30
	v_mov_b32_e32 v3, 0
	v_lshl_add_u64 v[4:5], s[0:1], 0, v[2:3]
	v_lshlrev_b32_e32 v2, 1, v18
	v_lshl_add_u64 v[10:11], v[4:5], 0, v[2:3]
	global_load_dwordx4 v[6:9], v[10:11], off
	global_load_dwordx4 v[2:5], v[10:11], off offset:128
.LBB113_26:
	s_or_b64 exec, exec, s[2:3]
	s_mov_b32 s6, s4
	s_mov_b32 s7, s4
	;; [unrolled: 1-line block ×3, first 2 shown]
	v_mov_b64_e32 v[16:17], s[6:7]
	v_mov_b64_e32 v[14:15], s[4:5]
	;; [unrolled: 1-line block ×3, first 2 shown]
	v_cmp_gt_i32_e32 vcc, s31, v20
	v_lshlrev_b32_e32 v21, 7, v20
	v_mov_b64_e32 v[12:13], v[16:17]
	s_and_saveexec_b64 s[2:3], vcc
	s_cbranch_execz .LBB113_28
; %bb.27:
	v_lshlrev_b32_e32 v10, 1, v21
	v_mov_b32_e32 v11, 0
	v_lshl_add_u64 v[12:13], s[0:1], 0, v[10:11]
	v_lshlrev_b32_e32 v10, 1, v18
	v_lshl_add_u64 v[26:27], v[12:13], 0, v[10:11]
	global_load_dwordx4 v[14:17], v[26:27], off
	global_load_dwordx4 v[10:13], v[26:27], off offset:128
.LBB113_28:
	s_or_b64 exec, exec, s[2:3]
	v_lshrrev_b32_e32 v25, 3, v18
	v_lshlrev_b32_e32 v26, 3, v30
	v_or_b32_e32 v25, v26, v25
	v_lshlrev_b32_e32 v25, 4, v25
	v_and_b32_e32 v26, 0x78, v26
	v_xor_b32_e32 v25, v25, v26
	s_branch .LBB113_31
.LBB113_29:
                                        ; implicit-def: $vgpr25
                                        ; implicit-def: $vgpr21
                                        ; implicit-def: $vgpr6_vgpr7_vgpr8_vgpr9
                                        ; implicit-def: $vgpr2_vgpr3_vgpr4_vgpr5
                                        ; implicit-def: $vgpr14_vgpr15_vgpr16_vgpr17
                                        ; implicit-def: $vgpr10_vgpr11_vgpr12_vgpr13
	s_cbranch_execz .LBB113_31
; %bb.30:
	s_waitcnt vmcnt(0)
	v_lshlrev_b32_e32 v2, 1, v18
	v_lshl_or_b32 v21, v30, 8, v2
	s_and_b32 s1, s1, 0xffff
	s_mov_b32 s3, 0x20000
	s_movk_i32 s2, 0x4000
	v_lshl_or_b32 v25, v20, 8, v2
	s_movk_i32 s4, 0x80
	buffer_load_dwordx4 v[6:9], v21, s[0:3], 0 offen
	buffer_load_dwordx4 v[2:5], v21, s[0:3], s4 offen
	;; [unrolled: 1-line block ×4, first 2 shown]
	v_lshrrev_b32_e32 v21, 3, v18
	v_lshlrev_b32_e32 v25, 3, v30
	v_or_b32_e32 v21, v25, v21
	v_lshlrev_b32_e32 v21, 4, v21
	v_and_b32_e32 v25, 0x78, v25
	v_xor_b32_e32 v25, v21, v25
	v_lshlrev_b32_e32 v21, 7, v20
.LBB113_31:
	s_movk_i32 s0, 0x1000
	v_and_or_b32 v20, v21, s0, v25
	s_waitcnt vmcnt(1)
	ds_write_b64 v25, v[6:7] offset:49152
	v_xor_b32_e32 v6, 8, v25
	ds_write_b64 v6, v[8:9] offset:49152
	s_waitcnt vmcnt(0)
	ds_write_b64 v25, v[2:3] offset:57344
	ds_write_b64 v6, v[4:5] offset:57344
	;; [unrolled: 1-line block ×3, first 2 shown]
	v_xor_b32_e32 v2, 8, v20
	ds_write_b64 v2, v[16:17] offset:49152
	ds_write_b64 v20, v[10:11] offset:57344
	;; [unrolled: 1-line block ×3, first 2 shown]
	v_or_b32_e32 v2, v86, v88
	v_lshlrev_b32_e32 v2, 3, v2
	v_lshrrev_b32_e32 v3, 5, v35
	s_movk_i32 s0, 0xf8
	v_and_or_b32 v3, v2, s0, v3
	v_lshlrev_b32_e32 v7, 4, v3
	v_lshlrev_b32_e32 v25, 11, v1
	v_and_b32_e32 v8, 0x78, v2
	v_or_b32_e32 v10, 32, v7
	v_and_b32_e32 v6, 0x1000, v25
	v_lshrrev_b32_e32 v3, 1, v35
	v_xor_b32_e32 v10, v10, v8
	v_xor_b32_e32 v2, v7, v8
	v_and_b32_e32 v9, 8, v3
	v_or_b32_e32 v10, v10, v6
	v_or_b32_e32 v2, v2, v6
	v_xor_b32_e32 v32, v10, v9
	v_or_b32_e32 v10, 64, v7
	v_xor_b32_e32 v31, v2, v9
	v_xor_b32_e32 v10, v10, v8
	s_waitcnt lgkmcnt(0)
	s_barrier
	v_or_b32_e32 v13, v10, v6
	ds_read_b64 v[10:11], v31 offset:49152
	v_lshl_or_b32 v14, v87, 8, v24
	v_lshlrev_b32_e32 v26, 1, v14
	v_add_u32_e32 v12, 0x4000, v26
	ds_read2_b64 v[2:5], v12 offset1:16
	v_or_b32_e32 v7, 0x60, v7
	v_xor_b32_e32 v7, v7, v8
	v_or_b32_e32 v6, v7, v6
	v_xor_b32_e32 v33, v13, v9
	v_xor_b32_e32 v77, v6, v9
	ds_read_b64 v[20:21], v32 offset:49152
	ds_read_b64 v[78:79], v33 offset:49152
	;; [unrolled: 1-line block ×3, first 2 shown]
	s_waitcnt lgkmcnt(3)
	v_mfma_f32_16x16x16_bf16 a[0:3], v[10:11], v[2:3], 0
	ds_read2st64_b64 v[6:9], v26 offset0:36 offset1:40
	s_lshl_b64 s[0:1], s[28:29], 8
	s_add_u32 s4, s12, s0
	v_mfma_f32_16x16x16_bf16 a[4:7], v[10:11], v[4:5], 0
	ds_read2_b64 v[2:5], v12 offset0:32 offset1:48
	s_addc_u32 s5, s13, s1
	s_add_i32 s1, s47, s33
	s_waitcnt lgkmcnt(0)
	v_mfma_f32_16x16x16_bf16 a[8:11], v[10:11], v[2:3], 0
	v_or_b32_e32 v2, 64, v14
	v_lshlrev_b32_e32 v27, 1, v2
	s_add_i32 s0, s39, -1
	v_mfma_f32_16x16x16_bf16 a[12:15], v[10:11], v[4:5], 0
	ds_read2st64_b64 v[2:5], v27 offset0:36 offset1:40
	s_add_i32 s43, s1, s46
	s_add_i32 s1, s49, s48
	v_mfma_f32_16x16x16_bf16 a[0:3], v[20:21], v[6:7], a[0:3]
	v_or_b32_e32 v6, 0x80, v14
	v_lshlrev_b32_e32 v28, 1, v6
	ds_read2st64_b64 v[10:13], v28 offset0:36 offset1:40
	s_waitcnt lgkmcnt(1)
	v_mfma_f32_16x16x16_bf16 a[4:7], v[20:21], v[2:3], a[4:7]
	v_or_b32_e32 v2, 0xc0, v14
	v_lshlrev_b32_e32 v29, 1, v2
	ds_read2st64_b64 v[14:17], v29 offset0:36 offset1:40
	s_add_i32 s41, s1, s50
	s_ashr_i32 s1, s0, 31
	s_mul_i32 s2, s0, s37
	s_mul_hi_u32 s3, s0, s36
	s_add_i32 s2, s3, s2
	s_mul_i32 s1, s1, s36
	s_waitcnt lgkmcnt(1)
	v_mfma_f32_16x16x16_bf16 a[8:11], v[20:21], v[10:11], a[8:11]
	s_add_i32 s1, s2, s1
	s_lshl_b64 s[2:3], s[42:43], 2
	s_add_u32 s6, s18, s2
	s_waitcnt lgkmcnt(0)
	v_mfma_f32_16x16x16_bf16 a[12:15], v[20:21], v[14:15], a[12:15]
	s_addc_u32 s7, s19, s3
	s_lshl_b64 s[2:3], s[40:41], 2
	s_mul_i32 s0, s0, s36
	v_mfma_f32_16x16x16_bf16 a[0:3], v[78:79], v[8:9], a[0:3]
	ds_read_b64 v[2:3], v26 offset:22528
	s_add_u32 s12, s6, s2
	s_addc_u32 s13, s7, s3
	v_mfma_f32_16x16x16_bf16 a[4:7], v[78:79], v[4:5], a[4:7]
	ds_read_b64 v[4:5], v27 offset:22528
	ds_read_b64 v[6:7], v28 offset:22528
	;; [unrolled: 1-line block ×3, first 2 shown]
	s_lshl_b64 s[0:1], s[0:1], 2
	s_add_u32 s0, s12, s0
	v_mfma_f32_16x16x16_bf16 a[8:11], v[78:79], v[12:13], a[8:11]
	s_addc_u32 s1, s13, s1
	s_load_dword s18, s[0:1], 0x0
	s_and_b64 vcc, exec, s[26:27]
	v_mfma_f32_16x16x16_bf16 a[12:15], v[78:79], v[16:17], a[12:15]
	s_waitcnt lgkmcnt(0)
	v_mfma_f32_16x16x16_bf16 a[0:3], v[80:81], v[2:3], a[0:3]
	v_mfma_f32_16x16x16_bf16 a[4:7], v[80:81], v[4:5], a[4:7]
	v_mfma_f32_16x16x16_bf16 a[8:11], v[80:81], v[6:7], a[8:11]
	v_mfma_f32_16x16x16_bf16 a[12:15], v[80:81], v[8:9], a[12:15]
	s_cbranch_vccz .LBB113_42
; %bb.32:
	v_lshlrev_b32_e32 v20, 1, v30
	s_and_b64 vcc, exec, s[14:15]
	s_cbranch_vccz .LBB113_43
; %bb.33:
	v_cmp_gt_i32_e32 vcc, s31, v20
	v_mov_b32_e32 v6, 0
	v_mov_b32_e32 v2, 0
	;; [unrolled: 1-line block ×5, first 2 shown]
	s_and_saveexec_b64 s[0:1], vcc
	s_cbranch_execz .LBB113_35
; %bb.34:
	v_mad_i64_i32 v[2:3], s[2:3], s23, v20, 0
	v_lshl_add_u64 v[2:3], v[2:3], 1, s[4:5]
	v_lshlrev_b32_e32 v4, 1, v18
	v_mov_b32_e32 v5, 0
	v_lshl_add_u64 v[2:3], v[2:3], 0, v[4:5]
	global_load_dwordx4 v[2:5], v[2:3], off
.LBB113_35:
	s_or_b64 exec, exec, s[0:1]
	v_or_b32_e32 v21, 1, v20
	v_cmp_gt_i32_e64 s[0:1], s31, v21
	v_mov_b32_e32 v7, 0
	v_mov_b32_e32 v8, 0
	;; [unrolled: 1-line block ×3, first 2 shown]
	s_and_saveexec_b64 s[2:3], s[0:1]
	s_cbranch_execz .LBB113_37
; %bb.36:
	v_mad_i64_i32 v[6:7], s[6:7], s23, v21, 0
	v_lshl_add_u64 v[6:7], v[6:7], 1, s[4:5]
	v_lshlrev_b32_e32 v8, 1, v18
	v_mov_b32_e32 v9, 0
	v_lshl_add_u64 v[6:7], v[6:7], 0, v[8:9]
	global_load_dwordx4 v[6:9], v[6:7], off
.LBB113_37:
	s_or_b64 exec, exec, s[2:3]
	v_mov_b32_e32 v17, 0
	v_mov_b32_e32 v10, 0
	;; [unrolled: 1-line block ×5, first 2 shown]
	s_and_saveexec_b64 s[2:3], vcc
	s_cbranch_execz .LBB113_39
; %bb.38:
	v_mad_i64_i32 v[10:11], s[6:7], s23, v20, 0
	v_lshl_add_u64 v[10:11], v[10:11], 1, s[4:5]
	v_lshlrev_b32_e32 v12, 1, v18
	v_mov_b32_e32 v13, 0
	v_lshl_add_u64 v[10:11], v[10:11], 0, v[12:13]
	global_load_dwordx4 v[10:13], v[10:11], off offset:128
.LBB113_39:
	s_or_b64 exec, exec, s[2:3]
	v_mov_b32_e32 v16, 0
	v_mov_b32_e32 v15, 0
	;; [unrolled: 1-line block ×3, first 2 shown]
	s_and_saveexec_b64 s[2:3], s[0:1]
	s_cbranch_execz .LBB113_41
; %bb.40:
	v_mad_i64_i32 v[14:15], s[0:1], s23, v21, 0
	v_lshl_add_u64 v[14:15], v[14:15], 1, s[4:5]
	v_lshlrev_b32_e32 v16, 1, v18
	v_mov_b32_e32 v17, 0
	v_lshl_add_u64 v[14:15], v[14:15], 0, v[16:17]
	global_load_dwordx4 v[14:17], v[14:15], off offset:128
.LBB113_41:
	s_or_b64 exec, exec, s[2:3]
	s_branch .LBB113_45
.LBB113_42:
                                        ; implicit-def: $vgpr5
                                        ; implicit-def: $vgpr9
                                        ; implicit-def: $vgpr13
                                        ; implicit-def: $vgpr17
	v_lshrrev_b32_e32 v35, 2, v35
	s_branch .LBB113_46
.LBB113_43:
                                        ; implicit-def: $vgpr5
                                        ; implicit-def: $vgpr9
                                        ; implicit-def: $vgpr13
                                        ; implicit-def: $vgpr17
	s_cbranch_execz .LBB113_45
; %bb.44:
	s_waitcnt vmcnt(0)
	v_mad_u64_u32 v[2:3], s[0:1], v20, s23, v[18:19]
	v_lshlrev_b32_e32 v20, 1, v2
	s_lshl_b32 s2, s23, 7
	s_and_b32 s1, s5, 0xffff
	s_mov_b32 s3, 0x20000
	s_mov_b32 s0, s4
	v_add_lshl_u32 v21, v2, s23, 1
	s_movk_i32 s6, 0x80
	buffer_load_dwordx4 v[2:5], v20, s[0:3], 0 offen
	buffer_load_dwordx4 v[10:13], v20, s[0:3], s6 offen
	;; [unrolled: 1-line block ×4, first 2 shown]
.LBB113_45:
	v_lshrrev_b32_e32 v35, 2, v35
	s_cbranch_execnz .LBB113_58
.LBB113_46:
	s_and_b64 vcc, exec, s[14:15]
	s_cbranch_vccz .LBB113_56
; %bb.47:
	s_waitcnt vmcnt(0)
	v_lshlrev_b32_e32 v7, 1, v30
	v_cmp_gt_i32_e32 vcc, s31, v7
	v_mov_b32_e32 v6, 0
	v_lshlrev_b32_e32 v14, 9, v30
	v_mov_b32_e32 v2, 0
	v_mov_b32_e32 v3, 0
	;; [unrolled: 1-line block ×4, first 2 shown]
	s_and_saveexec_b64 s[0:1], vcc
	s_cbranch_execz .LBB113_49
; %bb.48:
	v_mov_b32_e32 v15, 0
	v_lshl_add_u64 v[2:3], s[4:5], 0, v[14:15]
	v_lshlrev_b32_e32 v4, 1, v18
	v_mov_b32_e32 v5, v15
	v_lshl_add_u64 v[2:3], v[2:3], 0, v[4:5]
	global_load_dwordx4 v[2:5], v[2:3], off
.LBB113_49:
	s_or_b64 exec, exec, s[0:1]
	v_or_b32_e32 v7, 1, v7
	v_cmp_gt_i32_e64 s[0:1], s31, v7
	v_lshlrev_b32_e32 v20, 8, v7
	v_mov_b32_e32 v7, 0
	v_mov_b32_e32 v8, 0
	v_mov_b32_e32 v9, 0
	s_and_saveexec_b64 s[2:3], s[0:1]
	s_cbranch_execz .LBB113_51
; %bb.50:
	v_mov_b32_e32 v21, 0
	v_lshl_add_u64 v[6:7], s[4:5], 0, v[20:21]
	v_lshlrev_b32_e32 v8, 1, v18
	v_mov_b32_e32 v9, v21
	v_lshl_add_u64 v[6:7], v[6:7], 0, v[8:9]
	global_load_dwordx4 v[6:9], v[6:7], off
.LBB113_51:
	s_or_b64 exec, exec, s[2:3]
	v_mov_b32_e32 v17, 0
	v_mov_b32_e32 v10, 0
	;; [unrolled: 1-line block ×5, first 2 shown]
	s_and_saveexec_b64 s[2:3], vcc
	s_cbranch_execz .LBB113_53
; %bb.52:
	v_mov_b32_e32 v15, 0
	v_lshl_add_u64 v[10:11], s[4:5], 0, v[14:15]
	v_lshlrev_b32_e32 v14, 1, v18
	v_lshl_add_u64 v[10:11], v[10:11], 0, v[14:15]
	global_load_dwordx4 v[10:13], v[10:11], off offset:128
.LBB113_53:
	s_or_b64 exec, exec, s[2:3]
	v_mov_b32_e32 v16, 0
	v_mov_b32_e32 v15, 0
	;; [unrolled: 1-line block ×3, first 2 shown]
	s_and_saveexec_b64 s[2:3], s[0:1]
	s_cbranch_execz .LBB113_55
; %bb.54:
	v_mov_b32_e32 v21, 0
	v_lshl_add_u64 v[14:15], s[4:5], 0, v[20:21]
	v_lshlrev_b32_e32 v20, 1, v18
	v_lshl_add_u64 v[14:15], v[14:15], 0, v[20:21]
	global_load_dwordx4 v[14:17], v[14:15], off offset:128
.LBB113_55:
	s_or_b64 exec, exec, s[2:3]
	s_branch .LBB113_58
.LBB113_56:
                                        ; implicit-def: $vgpr5
                                        ; implicit-def: $vgpr9
                                        ; implicit-def: $vgpr13
                                        ; implicit-def: $vgpr17
	s_cbranch_execz .LBB113_58
; %bb.57:
	s_waitcnt vmcnt(0)
	v_lshlrev_b32_e32 v2, 1, v18
	v_lshl_or_b32 v18, v30, 9, v2
	s_and_b32 s5, s5, 0xffff
	s_mov_b32 s7, 0x20000
	s_movk_i32 s6, 0x4000
	s_movk_i32 s0, 0x80
	buffer_load_dwordx4 v[2:5], v18, s[4:7], 0 offen
	buffer_load_dwordx4 v[6:9], v18, s[4:7], 0 offen offset:256
	buffer_load_dwordx4 v[10:13], v18, s[4:7], s0 offen
	buffer_load_dwordx4 v[14:17], v18, s[4:7], s0 offen offset:256
.LBB113_58:
	ds_read_b64 v[20:21], v31 offset:57344
	v_add_u32_e32 v18, 0x6000, v26
	ds_read2_b64 v[78:81], v18 offset1:16
	ds_read_b64 v[96:97], v32 offset:57344
	ds_read_b64 v[32:33], v33 offset:57344
	;; [unrolled: 1-line block ×3, first 2 shown]
	ds_read2st64_b64 v[82:85], v26 offset0:52 offset1:56
	v_and_b32_e32 v31, 1, v0
	v_cmp_eq_u32_e32 vcc, 0, v31
	s_mov_b32 s0, 0x1000504
	s_waitcnt vmcnt(0)
	v_perm_b32 v31, v10, v14, s0
	s_mov_b32 s1, 0x3020706
	s_waitcnt lgkmcnt(4)
	v_mfma_f32_16x16x16_bf16 a[0:3], v[20:21], v[78:79], a[0:3]
	v_mfma_f32_16x16x16_bf16 a[4:7], v[20:21], v[80:81], a[4:7]
	ds_read2_b64 v[78:81], v18 offset0:32 offset1:48
	v_and_b32_e32 v18, 6, v0
	v_xor_b32_e32 v30, v30, v18
	s_waitcnt lgkmcnt(0)
	v_mfma_f32_16x16x16_bf16 a[8:11], v[20:21], v[78:79], a[8:11]
	v_lshlrev_b32_e32 v30, 2, v30
	v_xor_b32_e32 v77, 0x440, v30
	v_cndmask_b32_e32 v30, v77, v30, vcc
	v_mfma_f32_16x16x16_bf16 a[12:15], v[20:21], v[80:81], a[12:15]
	ds_read2st64_b64 v[78:81], v27 offset0:52 offset1:56
	ds_read2st64_b64 v[88:91], v28 offset0:52 offset1:56
	;; [unrolled: 1-line block ×3, first 2 shown]
	v_lshl_or_b32 v18, v18, 10, v30
	v_perm_b32 v30, v2, v6, s0
	v_mfma_f32_16x16x16_bf16 a[0:3], v[96:97], v[82:83], a[0:3]
	ds_read_b64 v[20:21], v26 offset:30720
	ds_read_b64 v[82:83], v27 offset:30720
	;; [unrolled: 1-line block ×4, first 2 shown]
	ds_write2st64_b32 v18, v30, v31 offset0:128 offset1:160
	v_xor_b32_e32 v30, 8, v18
	s_waitcnt lgkmcnt(7)
	v_mfma_f32_16x16x16_bf16 a[4:7], v[96:97], v[78:79], a[4:7]
	v_perm_b32 v2, v2, v6, s1
	v_perm_b32 v6, v10, v14, s1
	v_add_u32_e32 v10, 0x80, v30
	s_waitcnt lgkmcnt(6)
	v_mfma_f32_16x16x16_bf16 a[8:11], v[96:97], v[88:89], a[8:11]
	ds_write2st64_b32 v10, v2, v6 offset0:128 offset1:160
	v_xor_b32_e32 v2, 16, v18
	v_perm_b32 v6, v3, v7, s0
	s_waitcnt lgkmcnt(6)
	v_mfma_f32_16x16x16_bf16 a[12:15], v[96:97], v[92:93], a[12:15]
	v_perm_b32 v10, v11, v15, s0
	ds_write2st64_b32 v2, v6, v10 offset0:129 offset1:161
	v_xor_b32_e32 v2, 24, v18
	v_mfma_f32_16x16x16_bf16 a[0:3], v[32:33], v[84:85], a[0:3]
	v_perm_b32 v3, v3, v7, s1
	v_perm_b32 v6, v11, v15, s1
	v_add_u32_e32 v2, 0x80, v2
	v_mfma_f32_16x16x16_bf16 a[4:7], v[32:33], v[80:81], a[4:7]
	ds_write2st64_b32 v2, v3, v6 offset0:129 offset1:161
	v_xor_b32_e32 v2, 32, v18
	v_perm_b32 v3, v4, v8, s0
	v_mfma_f32_16x16x16_bf16 a[16:19], v[32:33], v[90:91], a[8:11]
	v_perm_b32 v6, v12, v16, s0
	ds_write2st64_b32 v2, v3, v6 offset0:130 offset1:162
	v_xor_b32_e32 v2, 40, v18
	v_mfma_f32_16x16x16_bf16 a[20:23], v[32:33], v[94:95], a[12:15]
	v_perm_b32 v3, v4, v8, s1
	v_perm_b32 v4, v12, v16, s1
	v_add_u32_e32 v2, 0x80, v2
	s_waitcnt lgkmcnt(8)
	v_mfma_f32_16x16x16_bf16 a[12:15], v[98:99], v[20:21], a[0:3]
	ds_write2st64_b32 v2, v3, v4 offset0:130 offset1:162
	v_xor_b32_e32 v2, 48, v18
	v_perm_b32 v3, v5, v9, s0
	s_waitcnt lgkmcnt(8)
	v_mfma_f32_16x16x16_bf16 a[8:11], v[98:99], v[82:83], a[4:7]
	v_perm_b32 v4, v13, v17, s0
	ds_write2st64_b32 v2, v3, v4 offset0:131 offset1:163
	v_xor_b32_e32 v2, 56, v18
	s_waitcnt lgkmcnt(8)
	v_mfma_f32_16x16x16_bf16 a[4:7], v[98:99], v[100:101], a[16:19]
	v_and_or_b32 v31, v35, 12, v86
	v_perm_b32 v3, v5, v9, s1
	v_perm_b32 v4, v13, v17, s1
	s_waitcnt lgkmcnt(7)
	v_mfma_f32_16x16x16_bf16 a[0:3], v[98:99], v[102:103], a[20:23]
	v_add_u32_e32 v2, 0x80, v2
	v_cmp_gt_i32_e32 vcc, s31, v31
	v_mov_b32_e32 v20, 0
	v_mov_b32_e32 v21, 0
	ds_write2st64_b32 v2, v3, v4 offset0:131 offset1:163
	s_and_saveexec_b64 s[0:1], vcc
	s_cbranch_execz .LBB113_60
; %bb.59:
	v_add_u32_e32 v2, s30, v31
	v_ashrrev_i32_e32 v3, 31, v2
	v_mul_lo_u32 v4, v3, s36
	v_mul_lo_u32 v5, v2, s37
	v_mad_u64_u32 v[2:3], s[2:3], v2, s36, 0
	v_add3_u32 v3, v3, v5, v4
	v_lshl_add_u64 v[2:3], v[2:3], 2, s[12:13]
	global_load_dword v2, v[2:3], off
	s_waitcnt vmcnt(0)
	v_sub_f32_e32 v2, s18, v2
	v_mul_f32_e32 v2, 0x3fb8aa3b, v2
	v_exp_f32_e32 v21, v2
.LBB113_60:
	s_or_b64 exec, exec, s[0:1]
	v_or_b32_e32 v11, 1, v31
	v_cmp_gt_i32_e64 s[2:3], s31, v11
	s_and_saveexec_b64 s[0:1], s[2:3]
	s_cbranch_execz .LBB113_62
; %bb.61:
	v_add_u32_e32 v2, s30, v11
	v_ashrrev_i32_e32 v3, 31, v2
	v_mul_lo_u32 v4, v3, s36
	v_mul_lo_u32 v5, v2, s37
	v_mad_u64_u32 v[2:3], s[4:5], v2, s36, 0
	v_add3_u32 v3, v3, v5, v4
	v_lshl_add_u64 v[2:3], v[2:3], 2, s[12:13]
	global_load_dword v2, v[2:3], off
	s_waitcnt vmcnt(0)
	v_sub_f32_e32 v2, s18, v2
	v_mul_f32_e32 v2, 0x3fb8aa3b, v2
	v_exp_f32_e32 v20, v2
.LBB113_62:
	s_or_b64 exec, exec, s[0:1]
	v_or_b32_e32 v10, 2, v31
	v_cmp_gt_i32_e64 s[4:5], s31, v10
	v_mov_b32_e32 v18, 0
	v_mov_b32_e32 v30, 0
	s_and_saveexec_b64 s[0:1], s[4:5]
	s_cbranch_execz .LBB113_64
; %bb.63:
	v_add_u32_e32 v2, s30, v10
	v_ashrrev_i32_e32 v3, 31, v2
	v_mul_lo_u32 v4, v3, s36
	v_mul_lo_u32 v5, v2, s37
	v_mad_u64_u32 v[2:3], s[6:7], v2, s36, 0
	v_add3_u32 v3, v3, v5, v4
	v_lshl_add_u64 v[2:3], v[2:3], 2, s[12:13]
	global_load_dword v2, v[2:3], off
	s_waitcnt vmcnt(0)
	v_sub_f32_e32 v2, s18, v2
	v_mul_f32_e32 v2, 0x3fb8aa3b, v2
	v_exp_f32_e32 v30, v2
.LBB113_64:
	s_or_b64 exec, exec, s[0:1]
	v_or_b32_e32 v32, 3, v31
	v_cmp_gt_i32_e64 s[0:1], s31, v32
	s_and_saveexec_b64 s[6:7], s[0:1]
	s_cbranch_execz .LBB113_66
; %bb.65:
	v_add_u32_e32 v2, s30, v32
	v_ashrrev_i32_e32 v3, 31, v2
	v_mul_lo_u32 v4, v3, s36
	v_mul_lo_u32 v5, v2, s37
	v_mad_u64_u32 v[2:3], s[14:15], v2, s36, 0
	v_add3_u32 v3, v3, v5, v4
	v_lshl_add_u64 v[2:3], v[2:3], 2, s[12:13]
	global_load_dword v2, v[2:3], off
	s_waitcnt vmcnt(0)
	v_sub_f32_e32 v2, s18, v2
	v_mul_f32_e32 v2, 0x3fb8aa3b, v2
	v_exp_f32_e32 v18, v2
.LBB113_66:
	s_or_b64 exec, exec, s[6:7]
	s_add_u32 s6, s16, s24
	s_addc_u32 s7, s17, s25
	s_add_u32 s8, s8, s24
	v_ashrrev_i32_e32 v77, 31, v76
	v_accvgpr_read_b32 v2, a12
	s_addc_u32 s9, s9, s25
	v_lshlrev_b64 v[6:7], 1, v[76:77]
	v_accvgpr_read_b32 v3, a13
	v_accvgpr_read_b32 v4, a14
	;; [unrolled: 1-line block ×3, first 2 shown]
	v_lshl_add_u64 v[8:9], s[6:7], 0, v[6:7]
	v_lshl_add_u64 v[6:7], s[8:9], 0, v[6:7]
	v_mov_b32_e32 v15, 0
	v_lshlrev_b32_e32 v12, 8, v31
	v_mov_b32_e32 v13, 0
	s_and_saveexec_b64 s[6:7], vcc
	s_cbranch_execz .LBB113_68
; %bb.67:
	v_mov_b32_e32 v13, 0
	v_lshl_add_u64 v[16:17], v[8:9], 0, v[12:13]
	global_load_ushort v14, v[16:17], off
	v_lshl_add_u64 v[16:17], v[6:7], 0, v[12:13]
	s_waitcnt vmcnt(0)
	v_lshlrev_b32_e32 v13, 16, v14
	v_sub_f32_e32 v2, v13, v2
	global_store_short_d16_hi v[16:17], v2, off
	v_mul_f32_e32 v2, v21, v2
	v_lshrrev_b32_e32 v13, 16, v2
.LBB113_68:
	s_or_b64 exec, exec, s[6:7]
	v_lshlrev_b32_e32 v14, 8, v11
	s_and_saveexec_b64 s[6:7], s[2:3]
	s_cbranch_execz .LBB113_70
; %bb.69:
	v_mov_b32_e32 v15, 0
	v_lshl_add_u64 v[16:17], v[8:9], 0, v[14:15]
	global_load_ushort v2, v[16:17], off
	v_lshl_add_u64 v[16:17], v[6:7], 0, v[14:15]
	s_waitcnt vmcnt(0)
	v_lshlrev_b32_e32 v2, 16, v2
	v_sub_f32_e32 v2, v2, v3
	global_store_short_d16_hi v[16:17], v2, off
	v_mul_f32_e32 v2, v20, v2
	v_lshrrev_b32_e32 v15, 16, v2
.LBB113_70:
	s_or_b64 exec, exec, s[6:7]
	v_mov_b32_e32 v11, 0
	v_lshlrev_b32_e32 v16, 8, v10
	v_mov_b32_e32 v17, 0
	s_and_saveexec_b64 s[6:7], s[4:5]
	s_cbranch_execz .LBB113_72
; %bb.71:
	v_mov_b32_e32 v17, 0
	v_lshl_add_u64 v[2:3], v[8:9], 0, v[16:17]
	global_load_ushort v10, v[2:3], off
	v_lshl_add_u64 v[2:3], v[6:7], 0, v[16:17]
	s_waitcnt vmcnt(0)
	v_lshlrev_b32_e32 v10, 16, v10
	v_sub_f32_e32 v4, v10, v4
	global_store_short_d16_hi v[2:3], v4, off
	v_mul_f32_e32 v2, v30, v4
	v_lshrrev_b32_e32 v17, 16, v2
.LBB113_72:
	s_or_b64 exec, exec, s[6:7]
	v_lshlrev_b32_e32 v10, 8, v32
	s_and_saveexec_b64 s[6:7], s[0:1]
	s_cbranch_execz .LBB113_74
; %bb.73:
	v_mov_b32_e32 v11, 0
	v_lshl_add_u64 v[2:3], v[8:9], 0, v[10:11]
	global_load_ushort v4, v[2:3], off
	v_lshl_add_u64 v[2:3], v[6:7], 0, v[10:11]
	s_waitcnt vmcnt(0)
	v_lshlrev_b32_e32 v4, 16, v4
	v_sub_f32_e32 v4, v4, v5
	global_store_short_d16_hi v[2:3], v4, off
	v_mul_f32_e32 v2, v18, v4
	v_lshrrev_b32_e32 v11, 16, v2
.LBB113_74:
	s_or_b64 exec, exec, s[6:7]
	v_lshlrev_b32_e32 v31, 6, v31
	s_mov_b32 s6, 0x5040100
	v_accvgpr_read_b32 v2, a8
	v_perm_b32 v33, v11, v17, s6
	v_or_b32_e32 v11, v31, v24
	v_accvgpr_read_b32 v3, a9
	v_accvgpr_read_b32 v4, a10
	;; [unrolled: 1-line block ×3, first 2 shown]
	v_perm_b32 v32, v15, v13, s6
	v_lshlrev_b32_e32 v11, 1, v11
	v_mov_b32_e32 v15, 0
	v_mov_b32_e32 v13, 0
	ds_write_b64 v11, v[32:33] offset:24576
	s_and_saveexec_b64 s[6:7], vcc
	s_cbranch_execz .LBB113_76
; %bb.75:
	v_mov_b32_e32 v13, 0
	v_lshl_add_u64 v[32:33], v[8:9], 0, v[12:13]
	global_load_ushort v11, v[32:33], off offset:32
	v_lshl_add_u64 v[32:33], v[6:7], 0, v[12:13]
	s_waitcnt vmcnt(0)
	v_lshlrev_b32_e32 v11, 16, v11
	v_sub_f32_e32 v2, v11, v2
	global_store_short_d16_hi v[32:33], v2, off offset:32
	v_mul_f32_e32 v2, v21, v2
	v_lshrrev_b32_e32 v13, 16, v2
.LBB113_76:
	s_or_b64 exec, exec, s[6:7]
	s_and_saveexec_b64 s[6:7], s[2:3]
	s_cbranch_execz .LBB113_78
; %bb.77:
	v_mov_b32_e32 v15, 0
	v_lshl_add_u64 v[32:33], v[8:9], 0, v[14:15]
	global_load_ushort v2, v[32:33], off offset:32
	v_lshl_add_u64 v[32:33], v[6:7], 0, v[14:15]
	s_waitcnt vmcnt(0)
	v_lshlrev_b32_e32 v2, 16, v2
	v_sub_f32_e32 v2, v2, v3
	global_store_short_d16_hi v[32:33], v2, off offset:32
	v_mul_f32_e32 v2, v20, v2
	v_lshrrev_b32_e32 v15, 16, v2
.LBB113_78:
	s_or_b64 exec, exec, s[6:7]
	v_mov_b32_e32 v11, 0
	v_mov_b32_e32 v17, 0
	s_and_saveexec_b64 s[6:7], s[4:5]
	s_cbranch_execz .LBB113_80
; %bb.79:
	v_mov_b32_e32 v17, 0
	v_lshl_add_u64 v[2:3], v[8:9], 0, v[16:17]
	global_load_ushort v24, v[2:3], off offset:32
	v_lshl_add_u64 v[2:3], v[6:7], 0, v[16:17]
	s_waitcnt vmcnt(0)
	v_lshlrev_b32_e32 v17, 16, v24
	v_sub_f32_e32 v4, v17, v4
	global_store_short_d16_hi v[2:3], v4, off offset:32
	v_mul_f32_e32 v2, v30, v4
	v_lshrrev_b32_e32 v17, 16, v2
.LBB113_80:
	s_or_b64 exec, exec, s[6:7]
	s_and_saveexec_b64 s[6:7], s[0:1]
	s_cbranch_execz .LBB113_82
; %bb.81:
	v_mov_b32_e32 v11, 0
	v_lshl_add_u64 v[2:3], v[8:9], 0, v[10:11]
	global_load_ushort v4, v[2:3], off offset:32
	v_lshl_add_u64 v[2:3], v[6:7], 0, v[10:11]
	s_waitcnt vmcnt(0)
	v_lshlrev_b32_e32 v4, 16, v4
	v_sub_f32_e32 v4, v4, v5
	global_store_short_d16_hi v[2:3], v4, off offset:32
	v_mul_f32_e32 v2, v18, v4
	v_lshrrev_b32_e32 v11, 16, v2
.LBB113_82:
	s_or_b64 exec, exec, s[6:7]
	s_mov_b32 s6, 0x5040100
	v_accvgpr_read_b32 v2, a4
	v_perm_b32 v33, v11, v17, s6
	v_or_b32_e32 v11, v31, v23
	v_accvgpr_read_b32 v3, a5
	v_accvgpr_read_b32 v4, a6
	;; [unrolled: 1-line block ×3, first 2 shown]
	v_perm_b32 v32, v15, v13, s6
	v_lshlrev_b32_e32 v11, 1, v11
	v_mov_b32_e32 v15, 0
	v_mov_b32_e32 v13, 0
	ds_write_b64 v11, v[32:33] offset:24576
	s_and_saveexec_b64 s[6:7], vcc
	s_cbranch_execz .LBB113_84
; %bb.83:
	v_mov_b32_e32 v13, 0
	v_lshl_add_u64 v[32:33], v[8:9], 0, v[12:13]
	global_load_ushort v11, v[32:33], off offset:64
	v_lshl_add_u64 v[32:33], v[6:7], 0, v[12:13]
	s_waitcnt vmcnt(0)
	v_lshlrev_b32_e32 v11, 16, v11
	v_sub_f32_e32 v2, v11, v2
	global_store_short_d16_hi v[32:33], v2, off offset:64
	v_mul_f32_e32 v2, v21, v2
	v_lshrrev_b32_e32 v13, 16, v2
.LBB113_84:
	s_or_b64 exec, exec, s[6:7]
	s_and_saveexec_b64 s[6:7], s[2:3]
	s_cbranch_execz .LBB113_86
; %bb.85:
	v_mov_b32_e32 v15, 0
	v_lshl_add_u64 v[32:33], v[8:9], 0, v[14:15]
	global_load_ushort v2, v[32:33], off offset:64
	v_lshl_add_u64 v[32:33], v[6:7], 0, v[14:15]
	s_waitcnt vmcnt(0)
	v_lshlrev_b32_e32 v2, 16, v2
	v_sub_f32_e32 v2, v2, v3
	global_store_short_d16_hi v[32:33], v2, off offset:64
	v_mul_f32_e32 v2, v20, v2
	v_lshrrev_b32_e32 v15, 16, v2
.LBB113_86:
	s_or_b64 exec, exec, s[6:7]
	v_mov_b32_e32 v11, 0
	v_mov_b32_e32 v17, 0
	s_and_saveexec_b64 s[6:7], s[4:5]
	s_cbranch_execz .LBB113_88
; %bb.87:
	v_mov_b32_e32 v17, 0
	v_lshl_add_u64 v[2:3], v[8:9], 0, v[16:17]
	global_load_ushort v23, v[2:3], off offset:64
	v_lshl_add_u64 v[2:3], v[6:7], 0, v[16:17]
	s_waitcnt vmcnt(0)
	v_lshlrev_b32_e32 v17, 16, v23
	v_sub_f32_e32 v4, v17, v4
	global_store_short_d16_hi v[2:3], v4, off offset:64
	v_mul_f32_e32 v2, v30, v4
	v_lshrrev_b32_e32 v17, 16, v2
.LBB113_88:
	s_or_b64 exec, exec, s[6:7]
	s_and_saveexec_b64 s[6:7], s[0:1]
	s_cbranch_execz .LBB113_90
; %bb.89:
	v_mov_b32_e32 v11, 0
	v_lshl_add_u64 v[2:3], v[8:9], 0, v[10:11]
	global_load_ushort v4, v[2:3], off offset:64
	v_lshl_add_u64 v[2:3], v[6:7], 0, v[10:11]
	s_waitcnt vmcnt(0)
	v_lshlrev_b32_e32 v4, 16, v4
	v_sub_f32_e32 v4, v4, v5
	global_store_short_d16_hi v[2:3], v4, off offset:64
	v_mul_f32_e32 v2, v18, v4
	v_lshrrev_b32_e32 v11, 16, v2
.LBB113_90:
	s_or_b64 exec, exec, s[6:7]
	s_mov_b32 s6, 0x5040100
	v_accvgpr_read_b32 v5, a3
	v_perm_b32 v33, v11, v17, s6
	v_or_b32_e32 v11, v31, v22
	v_accvgpr_read_b32 v4, a2
	v_accvgpr_read_b32 v3, a1
	;; [unrolled: 1-line block ×3, first 2 shown]
	v_perm_b32 v32, v15, v13, s6
	v_lshlrev_b32_e32 v11, 1, v11
	v_mov_b32_e32 v15, 0
	v_mov_b32_e32 v13, 0
	ds_write_b64 v11, v[32:33] offset:24576
	s_and_saveexec_b64 s[6:7], vcc
	s_cbranch_execz .LBB113_92
; %bb.91:
	v_mov_b32_e32 v13, 0
	v_lshl_add_u64 v[22:23], v[8:9], 0, v[12:13]
	global_load_ushort v11, v[22:23], off offset:96
	v_lshl_add_u64 v[12:13], v[6:7], 0, v[12:13]
	s_waitcnt vmcnt(0)
	v_lshlrev_b32_e32 v11, 16, v11
	v_sub_f32_e32 v2, v11, v2
	global_store_short_d16_hi v[12:13], v2, off offset:96
	v_mul_f32_e32 v2, v21, v2
	v_lshrrev_b32_e32 v13, 16, v2
.LBB113_92:
	s_or_b64 exec, exec, s[6:7]
	s_and_saveexec_b64 s[6:7], s[2:3]
	s_cbranch_execz .LBB113_94
; %bb.93:
	v_mov_b32_e32 v15, 0
	v_lshl_add_u64 v[22:23], v[8:9], 0, v[14:15]
	global_load_ushort v2, v[22:23], off offset:96
	v_lshl_add_u64 v[14:15], v[6:7], 0, v[14:15]
	s_waitcnt vmcnt(0)
	v_lshlrev_b32_e32 v2, 16, v2
	v_sub_f32_e32 v2, v2, v3
	global_store_short_d16_hi v[14:15], v2, off offset:96
	v_mul_f32_e32 v2, v20, v2
	v_lshrrev_b32_e32 v15, 16, v2
.LBB113_94:
	s_or_b64 exec, exec, s[6:7]
	v_mov_b32_e32 v11, 0
	v_mov_b32_e32 v14, 0
	s_and_saveexec_b64 s[2:3], s[4:5]
	s_cbranch_execz .LBB113_96
; %bb.95:
	v_mov_b32_e32 v17, 0
	v_lshl_add_u64 v[2:3], v[8:9], 0, v[16:17]
	global_load_ushort v12, v[2:3], off offset:96
	v_lshl_add_u64 v[2:3], v[6:7], 0, v[16:17]
	s_waitcnt vmcnt(0)
	v_lshlrev_b32_e32 v12, 16, v12
	v_sub_f32_e32 v4, v12, v4
	global_store_short_d16_hi v[2:3], v4, off offset:96
	v_mul_f32_e32 v2, v30, v4
	v_lshrrev_b32_e32 v14, 16, v2
.LBB113_96:
	s_or_b64 exec, exec, s[2:3]
	v_or_b32_e32 v12, 0x6000, v26
	v_or_b32_e32 v4, 0x6000, v27
	v_or_b32_e32 v3, 0x6000, v28
	v_or_b32_e32 v2, 0x6000, v29
	s_and_saveexec_b64 s[2:3], s[0:1]
	s_cbranch_execz .LBB113_98
; %bb.97:
	v_mov_b32_e32 v11, 0
	v_lshl_add_u64 v[8:9], v[8:9], 0, v[10:11]
	global_load_ushort v8, v[8:9], off offset:96
	v_lshl_add_u64 v[6:7], v[6:7], 0, v[10:11]
	s_waitcnt vmcnt(0)
	v_lshlrev_b32_e32 v8, 16, v8
	v_sub_f32_e32 v5, v8, v5
	global_store_short_d16_hi v[6:7], v5, off offset:96
	v_mul_f32_e32 v5, v18, v5
	v_lshrrev_b32_e32 v11, 16, v5
.LBB113_98:
	s_or_b64 exec, exec, s[2:3]
	s_mov_b32 s0, 0x5040100
	v_or_b32_e32 v5, v31, v19
	v_perm_b32 v7, v11, v14, s0
	v_perm_b32 v6, v15, v13, s0
	v_lshlrev_b32_e32 v5, 1, v5
	s_movk_i32 s0, 0x100
	ds_write_b64 v5, v[6:7] offset:24576
	v_and_b32_e32 v5, 7, v0
	v_and_b32_e32 v6, 8, v0
	v_cmp_gt_u32_e32 vcc, s0, v0
	v_lshrrev_b32_e32 v0, 1, v0
	v_lshlrev_b32_e32 v23, 3, v1
	v_and_b32_e32 v24, 24, v0
	v_mov_b32_e32 v7, 0xa000
	v_mov_b32_e32 v8, 0x8000
	v_xor_b32_e32 v0, v23, v24
	v_cndmask_b32_e32 v22, v7, v8, vcc
	v_or_b32_e32 v1, 0x440, v0
	v_cmp_eq_u32_e32 vcc, 0, v6
	v_lshlrev_b32_e32 v13, 3, v5
	v_lshlrev_b32_e32 v5, 7, v5
	v_cndmask_b32_e32 v0, v1, v0, vcc
	v_or_b32_e32 v0, v0, v25
	v_xad_u32 v35, v0, v13, v5
	v_or_b32_e32 v10, 32, v24
	v_add_u32_e32 v0, v22, v35
	v_xor_b32_e32 v10, v23, v10
	s_waitcnt lgkmcnt(0)
	s_barrier
	ds_read_b64 v[0:1], v0
	ds_read2_b64 v[6:9], v12 offset1:16
	ds_read2_b64 v[14:17], v12 offset0:32 offset1:48
	v_or_b32_e32 v11, 0x440, v10
	v_cndmask_b32_e32 v10, v11, v10, vcc
	v_or_b32_e32 v10, v10, v25
	v_xad_u32 v80, v10, v13, v5
	v_add_u32_e32 v10, v22, v80
	s_waitcnt lgkmcnt(1)
	v_mfma_f32_16x16x16_bf16 a[0:3], v[0:1], v[6:7], 0
	ds_read_b64 v[10:11], v10
	ds_read2st64_b64 v[18:21], v12 offset0:4 offset1:8
	ds_read2st64_b64 v[26:29], v4 offset0:4 offset1:8
	v_mfma_f32_16x16x16_bf16 a[4:7], v[0:1], v[8:9], 0
	ds_read2st64_b64 v[30:33], v3 offset0:4 offset1:8
	ds_read2st64_b64 v[76:79], v2 offset0:4 offset1:8
	s_waitcnt lgkmcnt(5)
	v_mfma_f32_16x16x16_bf16 a[8:11], v[0:1], v[14:15], 0
	v_mfma_f32_16x16x16_bf16 a[12:15], v[0:1], v[16:17], 0
	v_or_b32_e32 v0, 64, v24
	v_xor_b32_e32 v0, v23, v0
	v_xor_b32_e32 v1, 0x440, v0
	v_cndmask_b32_e32 v0, v1, v0, vcc
	v_or_b32_e32 v0, v0, v25
	v_xad_u32 v81, v0, v13, v5
	v_add_u32_e32 v0, v22, v81
	ds_read_b64 v[0:1], v0
	s_waitcnt lgkmcnt(4)
	v_mfma_f32_16x16x16_bf16 a[0:3], v[10:11], v[18:19], a[0:3]
	s_waitcnt lgkmcnt(3)
	v_mfma_f32_16x16x16_bf16 a[4:7], v[10:11], v[26:27], a[4:7]
	;; [unrolled: 2-line block ×4, first 2 shown]
	v_or_b32_e32 v10, 0x60, v24
	v_xor_b32_e32 v10, v23, v10
	v_xor_b32_e32 v11, 0x440, v10
	v_cndmask_b32_e32 v10, v11, v10, vcc
	v_or_b32_e32 v10, v10, v25
	v_xad_u32 v23, v10, v13, v5
	v_add_u32_e32 v5, v22, v23
	s_waitcnt lgkmcnt(0)
	v_mfma_f32_16x16x16_bf16 a[0:3], v[0:1], v[20:21], a[0:3]
	ds_read_b64 v[10:11], v5
	ds_read_b64 v[12:13], v12 offset:6144
	v_mfma_f32_16x16x16_bf16 a[4:7], v[0:1], v[28:29], a[4:7]
	v_mfma_f32_16x16x16_bf16 a[8:11], v[0:1], v[32:33], a[8:11]
	;; [unrolled: 1-line block ×3, first 2 shown]
	ds_read_b64 v[0:1], v4 offset:6144
	ds_read_b64 v[4:5], v3 offset:6144
	;; [unrolled: 1-line block ×3, first 2 shown]
	s_waitcnt lgkmcnt(3)
	v_mfma_f32_16x16x16_bf16 a[0:3], v[10:11], v[12:13], a[0:3]
	s_waitcnt lgkmcnt(2)
	v_mfma_f32_16x16x16_bf16 a[4:7], v[10:11], v[0:1], a[4:7]
	;; [unrolled: 2-line block ×4, first 2 shown]
	ds_read_b64 v[10:11], v35 offset:40960
	s_waitcnt lgkmcnt(0)
	v_mfma_f32_16x16x16_bf16 a[16:19], v[10:11], v[6:7], 0
	ds_read_b64 v[6:7], v80 offset:40960
	v_mfma_f32_16x16x16_bf16 a[20:23], v[10:11], v[8:9], 0
	v_mov_b32_e32 v8, 0x3fb8aa3b
	v_mul_f32_e32 v8, s18, v8
	v_exp_f32_e32 v8, v8
	v_mfma_f32_16x16x16_bf16 a[24:27], v[10:11], v[14:15], 0
	v_accvgpr_read_b32 v15, a3
	v_accvgpr_read_b32 v14, a2
	v_pk_fma_f32 v[74:75], v[74:75], v[8:9], v[14:15] op_sel_hi:[1,0,1]
	v_mfma_f32_16x16x16_bf16 a[28:31], v[10:11], v[16:17], 0
	ds_read_b64 v[10:11], v81 offset:40960
	ds_read_b64 v[14:15], v23 offset:40960
	v_accvgpr_read_b32 v17, a7
	s_waitcnt lgkmcnt(2)
	v_mfma_f32_16x16x16_bf16 a[16:19], v[6:7], v[18:19], a[16:19]
	v_accvgpr_read_b32 v16, a6
	v_accvgpr_read_b32 v19, a15
	;; [unrolled: 1-line block ×3, first 2 shown]
	v_mfma_f32_16x16x16_bf16 a[20:23], v[6:7], v[26:27], a[20:23]
	v_pk_fma_f32 v[66:67], v[66:67], v[8:9], v[16:17] op_sel_hi:[1,0,1]
	v_pk_fma_f32 v[52:53], v[52:53], v[8:9], v[18:19] op_sel_hi:[1,0,1]
	v_mfma_f32_16x16x16_bf16 a[24:27], v[6:7], v[30:31], a[24:27]
	v_mfma_f32_16x16x16_bf16 a[28:31], v[6:7], v[76:77], a[28:31]
	v_accvgpr_read_b32 v7, a11
	v_accvgpr_read_b32 v6, a10
	v_pk_fma_f32 v[58:59], v[58:59], v[8:9], v[6:7] op_sel_hi:[1,0,1]
	s_waitcnt lgkmcnt(1)
	v_mfma_f32_16x16x16_bf16 a[16:19], v[10:11], v[20:21], a[16:19]
	v_accvgpr_read_b32 v21, a1
	v_accvgpr_read_b32 v20, a0
	v_pk_fma_f32 v[70:71], v[70:71], v[8:9], v[20:21] op_sel_hi:[1,0,1]
	v_mfma_f32_16x16x16_bf16 a[0:3], v[10:11], v[28:29], a[20:23]
	v_accvgpr_read_b32 v21, a5
	v_accvgpr_read_b32 v20, a4
	;; [unrolled: 1-line block ×3, first 2 shown]
	v_mfma_f32_16x16x16_bf16 a[20:23], v[10:11], v[32:33], a[24:27]
	v_accvgpr_read_b32 v7, a13
	v_pk_fma_f32 v[46:47], v[46:47], v[8:9], v[6:7] op_sel_hi:[1,0,1]
	v_pk_fma_f32 v[62:63], v[62:63], v[8:9], v[20:21] op_sel_hi:[1,0,1]
	v_mfma_f32_16x16x16_bf16 a[4:7], v[10:11], v[78:79], a[28:31]
	v_accvgpr_read_b32 v11, a9
	v_accvgpr_read_b32 v10, a8
	v_pk_fma_f32 v[54:55], v[54:55], v[8:9], v[10:11] op_sel_hi:[1,0,1]
	s_waitcnt lgkmcnt(0)
	v_mfma_f32_16x16x16_bf16 a[8:11], v[14:15], v[12:13], a[16:19]
	v_mfma_f32_16x16x16_bf16 a[0:3], v[14:15], v[0:1], a[0:3]
	s_nop 5
	v_accvgpr_read_b32 v1, a11
	v_accvgpr_read_b32 v0, a10
	v_mfma_f32_16x16x16_bf16 a[10:13], v[14:15], v[4:5], a[20:23]
	v_pk_fma_f32 v[72:73], v[72:73], v[8:9], v[0:1] op_sel_hi:[1,0,1]
	v_accvgpr_read_b32 v7, a3
	v_accvgpr_read_b32 v6, a2
	v_mfma_f32_16x16x16_bf16 a[2:5], v[14:15], v[2:3], a[4:7]
	v_accvgpr_read_b32 v0, a0
	v_accvgpr_read_b32 v1, a1
	v_pk_fma_f32 v[60:61], v[60:61], v[8:9], v[0:1] op_sel_hi:[1,0,1]
	v_accvgpr_read_b32 v0, a10
	v_accvgpr_read_b32 v1, a11
	;; [unrolled: 1-line block ×3, first 2 shown]
	v_pk_fma_f32 v[50:51], v[50:51], v[8:9], v[0:1] op_sel_hi:[1,0,1]
	v_accvgpr_read_b32 v0, a2
	v_accvgpr_read_b32 v5, a13
	v_accvgpr_read_b32 v4, a12
	v_accvgpr_read_b32 v3, a5
	v_accvgpr_read_b32 v2, a4
	v_accvgpr_read_b32 v10, a8
	v_accvgpr_read_b32 v1, a3
	v_pk_fma_f32 v[68:69], v[68:69], v[8:9], v[10:11] op_sel_hi:[1,0,1]
	v_pk_fma_f32 v[64:65], v[64:65], v[8:9], v[6:7] op_sel_hi:[1,0,1]
	;; [unrolled: 1-line block ×5, first 2 shown]
.LBB113_99:
	s_add_u32 s0, s10, s34
	s_addc_u32 s1, s11, s35
	v_lshl_add_u64 v[0:1], v[36:37], 1, s[0:1]
	v_mov_b32_e32 v35, 0
	s_mov_b32 s2, 0x7060302
	v_lshl_add_u64 v[0:1], v[0:1], 0, v[34:35]
	v_perm_b32 v3, v75, v74, s2
	v_perm_b32 v2, v71, v70, s2
	global_store_dwordx2 v[0:1], v[2:3], off
	v_perm_b32 v3, v73, v72, s2
	v_perm_b32 v2, v69, v68, s2
	global_store_dwordx2 v[0:1], v[2:3], off offset:128
	v_lshl_add_u64 v[0:1], v[38:39], 1, s[0:1]
	v_lshl_add_u64 v[0:1], v[0:1], 0, v[34:35]
	v_perm_b32 v3, v67, v66, s2
	v_perm_b32 v2, v63, v62, s2
	global_store_dwordx2 v[0:1], v[2:3], off
	v_perm_b32 v3, v65, v64, s2
	v_perm_b32 v2, v61, v60, s2
	global_store_dwordx2 v[0:1], v[2:3], off offset:128
	v_lshl_add_u64 v[0:1], v[40:41], 1, s[0:1]
	;; [unrolled: 8-line block ×3, first 2 shown]
	v_lshl_add_u64 v[0:1], v[0:1], 0, v[34:35]
	v_perm_b32 v3, v53, v52, s2
	v_perm_b32 v2, v47, v46, s2
	global_store_dwordx2 v[0:1], v[2:3], off
	v_perm_b32 v3, v49, v48, s2
	v_perm_b32 v2, v45, v44, s2
	global_store_dwordx2 v[0:1], v[2:3], off offset:128
	s_endpgm
	.section	.rodata,"a",@progbits
	.p2align	6, 0x0
	.amdhsa_kernel _ZN12_GLOBAL__N_139chunk_gated_delta_rule_fwd_h_hip_kernelILi64ELb1ELb1ELb1ELb1ELb0ELb0ELb0ELb1EEEvPK12hip_bfloat16S3_S3_PKfS5_PKvPS1_S8_PvPKiSB_iiiiilll
		.amdhsa_group_segment_fixed_size 65536
		.amdhsa_private_segment_fixed_size 0
		.amdhsa_kernarg_size 136
		.amdhsa_user_sgpr_count 2
		.amdhsa_user_sgpr_dispatch_ptr 0
		.amdhsa_user_sgpr_queue_ptr 0
		.amdhsa_user_sgpr_kernarg_segment_ptr 1
		.amdhsa_user_sgpr_dispatch_id 0
		.amdhsa_user_sgpr_kernarg_preload_length 0
		.amdhsa_user_sgpr_kernarg_preload_offset 0
		.amdhsa_user_sgpr_private_segment_size 0
		.amdhsa_uses_dynamic_stack 0
		.amdhsa_enable_private_segment 0
		.amdhsa_system_sgpr_workgroup_id_x 1
		.amdhsa_system_sgpr_workgroup_id_y 1
		.amdhsa_system_sgpr_workgroup_id_z 0
		.amdhsa_system_sgpr_workgroup_info 0
		.amdhsa_system_vgpr_workitem_id 0
		.amdhsa_next_free_vgpr 228
		.amdhsa_next_free_sgpr 67
		.amdhsa_accum_offset 192
		.amdhsa_reserve_vcc 1
		.amdhsa_float_round_mode_32 0
		.amdhsa_float_round_mode_16_64 0
		.amdhsa_float_denorm_mode_32 3
		.amdhsa_float_denorm_mode_16_64 3
		.amdhsa_dx10_clamp 1
		.amdhsa_ieee_mode 1
		.amdhsa_fp16_overflow 0
		.amdhsa_tg_split 0
		.amdhsa_exception_fp_ieee_invalid_op 0
		.amdhsa_exception_fp_denorm_src 0
		.amdhsa_exception_fp_ieee_div_zero 0
		.amdhsa_exception_fp_ieee_overflow 0
		.amdhsa_exception_fp_ieee_underflow 0
		.amdhsa_exception_fp_ieee_inexact 0
		.amdhsa_exception_int_div_zero 0
	.end_amdhsa_kernel
	.section	.text._ZN12_GLOBAL__N_139chunk_gated_delta_rule_fwd_h_hip_kernelILi64ELb1ELb1ELb1ELb1ELb0ELb0ELb0ELb1EEEvPK12hip_bfloat16S3_S3_PKfS5_PKvPS1_S8_PvPKiSB_iiiiilll,"axG",@progbits,_ZN12_GLOBAL__N_139chunk_gated_delta_rule_fwd_h_hip_kernelILi64ELb1ELb1ELb1ELb1ELb0ELb0ELb0ELb1EEEvPK12hip_bfloat16S3_S3_PKfS5_PKvPS1_S8_PvPKiSB_iiiiilll,comdat
.Lfunc_end113:
	.size	_ZN12_GLOBAL__N_139chunk_gated_delta_rule_fwd_h_hip_kernelILi64ELb1ELb1ELb1ELb1ELb0ELb0ELb0ELb1EEEvPK12hip_bfloat16S3_S3_PKfS5_PKvPS1_S8_PvPKiSB_iiiiilll, .Lfunc_end113-_ZN12_GLOBAL__N_139chunk_gated_delta_rule_fwd_h_hip_kernelILi64ELb1ELb1ELb1ELb1ELb0ELb0ELb0ELb1EEEvPK12hip_bfloat16S3_S3_PKfS5_PKvPS1_S8_PvPKiSB_iiiiilll
                                        ; -- End function
	.section	.AMDGPU.csdata,"",@progbits
; Kernel info:
; codeLenInByte = 12716
; NumSgprs: 73
; NumVgprs: 190
; NumAgprs: 36
; TotalNumVgprs: 228
; ScratchSize: 0
; MemoryBound: 0
; FloatMode: 240
; IeeeMode: 1
; LDSByteSize: 65536 bytes/workgroup (compile time only)
; SGPRBlocks: 9
; VGPRBlocks: 28
; NumSGPRsForWavesPerEU: 73
; NumVGPRsForWavesPerEU: 228
; AccumOffset: 192
; Occupancy: 1
; WaveLimiterHint : 1
; COMPUTE_PGM_RSRC2:SCRATCH_EN: 0
; COMPUTE_PGM_RSRC2:USER_SGPR: 2
; COMPUTE_PGM_RSRC2:TRAP_HANDLER: 0
; COMPUTE_PGM_RSRC2:TGID_X_EN: 1
; COMPUTE_PGM_RSRC2:TGID_Y_EN: 1
; COMPUTE_PGM_RSRC2:TGID_Z_EN: 0
; COMPUTE_PGM_RSRC2:TIDIG_COMP_CNT: 0
; COMPUTE_PGM_RSRC3_GFX90A:ACCUM_OFFSET: 47
; COMPUTE_PGM_RSRC3_GFX90A:TG_SPLIT: 0
	.section	.text._ZN12_GLOBAL__N_139chunk_gated_delta_rule_fwd_h_hip_kernelILi64ELb1ELb1ELb0ELb1ELb0ELb0ELb0ELb1EEEvPK12hip_bfloat16S3_S3_PKfS5_PKvPS1_S8_PvPKiSB_iiiiilll,"axG",@progbits,_ZN12_GLOBAL__N_139chunk_gated_delta_rule_fwd_h_hip_kernelILi64ELb1ELb1ELb0ELb1ELb0ELb0ELb0ELb1EEEvPK12hip_bfloat16S3_S3_PKfS5_PKvPS1_S8_PvPKiSB_iiiiilll,comdat
	.globl	_ZN12_GLOBAL__N_139chunk_gated_delta_rule_fwd_h_hip_kernelILi64ELb1ELb1ELb0ELb1ELb0ELb0ELb0ELb1EEEvPK12hip_bfloat16S3_S3_PKfS5_PKvPS1_S8_PvPKiSB_iiiiilll ; -- Begin function _ZN12_GLOBAL__N_139chunk_gated_delta_rule_fwd_h_hip_kernelILi64ELb1ELb1ELb0ELb1ELb0ELb0ELb0ELb1EEEvPK12hip_bfloat16S3_S3_PKfS5_PKvPS1_S8_PvPKiSB_iiiiilll
	.p2align	8
	.type	_ZN12_GLOBAL__N_139chunk_gated_delta_rule_fwd_h_hip_kernelILi64ELb1ELb1ELb0ELb1ELb0ELb0ELb0ELb1EEEvPK12hip_bfloat16S3_S3_PKfS5_PKvPS1_S8_PvPKiSB_iiiiilll,@function
_ZN12_GLOBAL__N_139chunk_gated_delta_rule_fwd_h_hip_kernelILi64ELb1ELb1ELb0ELb1ELb0ELb0ELb0ELb1EEEvPK12hip_bfloat16S3_S3_PKfS5_PKvPS1_S8_PvPKiSB_iiiiilll: ; @_ZN12_GLOBAL__N_139chunk_gated_delta_rule_fwd_h_hip_kernelILi64ELb1ELb1ELb0ELb1ELb0ELb0ELb0ELb1EEEvPK12hip_bfloat16S3_S3_PKfS5_PKvPS1_S8_PvPKiSB_iiiiilll
; %bb.0:
	s_load_dwordx4 s[16:19], s[0:1], 0x5c
	s_load_dwordx2 s[4:5], s[0:1], 0x50
	s_abs_i32 s7, s3
	s_ashr_i32 s6, s3, 31
	s_load_dwordx4 s[12:15], s[0:1], 0x40
	s_load_dwordx4 s[20:23], s[0:1], 0x28
	s_waitcnt lgkmcnt(0)
	s_abs_i32 s10, s17
	v_cvt_f32_u32_e32 v1, s10
	s_sub_i32 s8, 0, s10
	s_ashr_i32 s11, s17, 31
	s_xor_b32 s6, s6, s11
	v_rcp_iflag_f32_e32 v1, v1
	v_and_b32_e32 v86, 15, v0
	v_bfe_u32 v85, v0, 4, 2
	v_mov_b32_e32 v35, 0
	v_mul_f32_e32 v1, 0x4f7ffffe, v1
	v_cvt_u32_f32_e32 v1, v1
	v_lshlrev_b32_e32 v87, 3, v0
	v_readfirstlane_b32 s9, v1
	s_mul_i32 s8, s8, s9
	s_mul_hi_u32 s8, s9, s8
	s_add_i32 s9, s9, s8
	s_mul_hi_u32 s8, s7, s9
	s_mul_i32 s9, s8, s10
	s_sub_i32 s7, s7, s9
	s_add_i32 s24, s8, 1
	s_sub_i32 s9, s7, s10
	s_cmp_ge_u32 s7, s10
	s_cselect_b32 s8, s24, s8
	s_cselect_b32 s7, s9, s7
	s_add_i32 s9, s8, 1
	s_cmp_ge_u32 s7, s10
	s_cselect_b32 s7, s9, s8
	s_xor_b32 s7, s7, s6
	s_sub_i32 s28, s7, s6
	s_mul_i32 s24, s28, s17
	s_ashr_i32 s29, s28, 31
	s_sub_i32 s49, s3, s24
	s_lshl_b64 s[6:7], s[28:29], 2
	s_add_u32 s8, s14, s6
	s_addc_u32 s9, s15, s7
	s_add_u32 s30, s4, s6
	s_addc_u32 s31, s5, s7
	s_abs_i32 s3, s18
	v_cvt_f32_u32_e32 v1, s3
	s_load_dwordx2 s[36:37], s[8:9], 0x0
	s_sub_i32 s5, 0, s3
	s_lshl_b32 s2, s2, 6
	v_rcp_iflag_f32_e32 v1, v1
	v_or_b32_e32 v76, s2, v86
	s_waitcnt lgkmcnt(0)
	s_sub_i32 s52, s37, s36
	s_ashr_i32 s4, s52, 31
	v_mul_f32_e32 v1, 0x4f7ffffe, v1
	v_cvt_u32_f32_e32 v1, v1
	s_lshr_b32 s4, s4, 26
	s_add_i32 s4, s52, s4
	s_ashr_i32 s51, s4, 6
	v_readfirstlane_b32 s6, v1
	s_mul_i32 s5, s5, s6
	s_mul_hi_u32 s5, s6, s5
	s_add_i32 s6, s6, s5
	s_mul_hi_u32 s5, s10, s6
	s_mul_i32 s6, s5, s3
	s_ashr_i32 s4, s18, 31
	s_sub_i32 s6, s10, s6
	s_xor_b32 s4, s11, s4
	s_add_i32 s7, s5, 1
	s_sub_i32 s8, s6, s3
	s_cmp_ge_u32 s6, s3
	s_cselect_b32 s5, s7, s5
	s_cselect_b32 s6, s8, s6
	s_add_i32 s7, s5, 1
	s_cmp_ge_u32 s6, s3
	s_cselect_b32 s3, s7, s5
	s_xor_b32 s3, s3, s4
	s_sub_i32 s3, s3, s4
	s_abs_i32 s4, s3
	v_cvt_f32_u32_e32 v1, s4
	s_sub_i32 s6, 0, s4
	s_abs_i32 s5, s49
	s_xor_b32 s3, s49, s3
	v_rcp_iflag_f32_e32 v2, v1
	s_ashr_i32 s3, s3, 31
	v_lshrrev_b32_e32 v1, 6, v0
	v_lshlrev_b32_e32 v36, 7, v76
	v_mul_f32_e32 v2, 0x4f7ffffe, v2
	v_cvt_u32_f32_e32 v2, v2
	v_lshlrev_b32_e32 v84, 4, v1
	v_or_b32_e32 v38, 0x800, v36
	v_lshl_or_b32 v89, v85, 2, v84
	v_readfirstlane_b32 s7, v2
	s_mul_i32 s6, s6, s7
	s_mul_hi_u32 s6, s7, s6
	s_add_i32 s7, s7, s6
	s_mul_hi_u32 s6, s5, s7
	s_mul_i32 s7, s6, s4
	s_sub_i32 s5, s5, s7
	s_add_i32 s7, s6, 1
	s_sub_i32 s8, s5, s4
	s_cmp_ge_u32 s5, s4
	s_cselect_b32 s6, s7, s6
	s_cselect_b32 s5, s8, s5
	s_add_i32 s7, s6, 1
	s_cmp_ge_u32 s5, s4
	s_cselect_b32 s4, s7, s6
	s_xor_b32 s4, s4, s3
	s_sub_i32 s53, s4, s3
	s_ashr_i32 s50, s49, 31
	s_mul_hi_i32 s3, s28, s17
	s_add_u32 s4, s24, s49
	s_addc_u32 s5, s3, s50
	s_lshl_b64 s[14:15], s[4:5], 15
	s_add_u32 s4, s20, s14
	s_addc_u32 s5, s21, s15
	v_ashrrev_i32_e32 v37, 31, v36
	v_ashrrev_i32_e32 v39, 31, v38
	v_lshl_add_u64 v[2:3], v[36:37], 1, s[4:5]
	v_lshlrev_b32_e32 v34, 1, v89
	v_lshl_add_u64 v[6:7], v[38:39], 1, s[4:5]
	v_or_b32_e32 v40, 0x1000, v36
	v_or_b32_e32 v42, 0x1800, v36
	v_lshl_add_u64 v[2:3], v[2:3], 0, v[34:35]
	v_lshl_add_u64 v[6:7], v[6:7], 0, v[34:35]
	v_ashrrev_i32_e32 v41, 31, v40
	v_ashrrev_i32_e32 v43, 31, v42
	global_load_dwordx2 v[4:5], v[2:3], off
	v_lshl_add_u64 v[14:15], v[42:43], 1, s[4:5]
	global_load_dwordx2 v[2:3], v[2:3], off offset:128
	s_nop 0
	global_load_dwordx2 v[8:9], v[6:7], off
	global_load_dwordx2 v[10:11], v[6:7], off offset:128
	v_lshl_add_u64 v[6:7], v[40:41], 1, s[4:5]
	v_lshl_add_u64 v[6:7], v[6:7], 0, v[34:35]
	;; [unrolled: 1-line block ×3, first 2 shown]
	global_load_dwordx2 v[12:13], v[6:7], off
	v_and_b32_e32 v35, 63, v0
	global_load_dwordx2 v[6:7], v[6:7], off offset:128
	s_nop 0
	global_load_dwordx2 v[16:17], v[14:15], off
	global_load_dwordx2 v[18:19], v[14:15], off offset:128
	s_load_dwordx8 s[4:11], s[0:1], 0x0
	s_load_dwordx2 s[34:35], s[0:1], 0x80
	s_load_dwordx4 s[24:27], s[0:1], 0x70
	s_load_dword s56, s[30:31], 0x0
	v_lshrrev_b32_e32 v88, 3, v35
	v_or_b32_e32 v90, 64, v89
	s_mul_hi_i32 s54, s49, s16
	s_waitcnt lgkmcnt(0)
	s_mul_i32 s33, s28, s25
	s_mul_hi_u32 s44, s28, s24
	s_mul_i32 s55, s49, s16
	s_cmp_lt_i32 s52, 64
	s_mul_i32 s45, s29, s24
	s_mul_i32 s40, s28, s24
	;; [unrolled: 1-line block ×3, first 2 shown]
	s_mul_hi_u32 s47, s49, s26
	s_mul_i32 s48, s50, s26
	s_mul_i32 s38, s49, s26
	s_waitcnt vmcnt(7)
	v_and_b32_e32 v71, 0xffff0000, v4
	v_lshlrev_b32_e32 v70, 16, v4
	v_and_b32_e32 v75, 0xffff0000, v5
	v_lshlrev_b32_e32 v74, 16, v5
	s_waitcnt vmcnt(6)
	v_and_b32_e32 v69, 0xffff0000, v2
	v_lshlrev_b32_e32 v68, 16, v2
	v_and_b32_e32 v73, 0xffff0000, v3
	v_lshlrev_b32_e32 v72, 16, v3
	;; [unrolled: 5-line block ×8, first 2 shown]
	s_cbranch_scc1 .LBB114_18
; %bb.1:
	s_ashr_i32 s1, s36, 31
	s_add_u32 s0, s55, s36
	s_addc_u32 s1, s54, s1
	s_lshl_b64 s[0:1], s[0:1], 8
	v_and_b32_e32 v92, 56, v87
	s_add_u32 s24, s6, s0
	v_lshl_or_b32 v91, v1, 3, v88
	v_lshlrev_b32_e32 v2, 1, v92
	s_addc_u32 s0, s7, s1
	v_lshl_or_b32 v93, v91, 8, v2
	s_and_b32 s25, s0, 0xffff
	s_mov_b32 s27, 0x20000
	s_movk_i32 s26, 0x4000
	s_movk_i32 s0, 0x80
	v_or_b32_e32 v94, 0x2000, v93
	buffer_load_dwordx4 v[4:7], v93, s[24:27], 0 offen
	buffer_load_dwordx4 v[8:11], v93, s[24:27], s0 offen
	;; [unrolled: 1-line block ×4, first 2 shown]
	v_lshlrev_b32_e32 v3, 3, v91
	v_and_or_b32 v21, v0, 7, v3
	v_and_b32_e32 v3, 0x78, v3
	v_lshlrev_b32_e32 v21, 4, v21
	v_xor_b32_e32 v95, v21, v3
	v_mul_lo_u32 v20, v91, s19
	v_or_b32_e32 v96, 0x1000, v95
	v_xor_b32_e32 v3, 8, v95
	s_cmpk_eq_i32 s19, 0x80
	s_mov_b32 s57, s36
	v_xor_b32_e32 v21, 8, v96
	s_cselect_b64 s[0:1], -1, 0
	s_cmpk_lg_i32 s19, 0x80
	s_waitcnt vmcnt(3)
	ds_write_b64 v95, v[4:5] offset:49152
	ds_write_b64 v3, v[6:7] offset:49152
	s_waitcnt vmcnt(2)
	ds_write_b64 v95, v[8:9] offset:57344
	ds_write_b64 v3, v[10:11] offset:57344
	;; [unrolled: 3-line block ×4, first 2 shown]
	v_lshl_add_u32 v3, v20, 1, v92
	s_cbranch_scc0 .LBB114_3
; %bb.2:
	v_lshlrev_b32_e32 v5, 1, v3
	v_add_lshl_u32 v4, v3, s19, 1
	s_lshl_b32 s26, s19, 7
	v_lshl_or_b32 v2, v91, 9, v2
	s_cbranch_execz .LBB114_4
	s_branch .LBB114_5
.LBB114_3:
                                        ; implicit-def: $vgpr4
                                        ; implicit-def: $vgpr5
                                        ; implicit-def: $sgpr26
	v_lshl_or_b32 v2, v91, 9, v2
.LBB114_4:
	v_or_b32_e32 v4, 0x100, v2
	s_movk_i32 s26, 0x4000
	v_mov_b32_e32 v5, v2
.LBB114_5:
	s_mul_i32 s20, s36, s18
	s_ashr_i32 s58, s53, 31
	s_mul_hi_i32 s3, s36, s18
	s_add_u32 s20, s20, s53
	s_addc_u32 s21, s3, s58
	s_lshl_b64 s[20:21], s[20:21], 8
	s_add_u32 s24, s4, s20
	s_addc_u32 s3, s5, s21
	s_and_b32 s25, s3, 0xffff
	s_movk_i32 s59, 0x80
	buffer_load_dwordx4 v[6:9], v5, s[24:27], 0 offen
	buffer_load_dwordx4 v[10:13], v5, s[24:27], s59 offen
	;; [unrolled: 1-line block ×4, first 2 shown]
	v_and_b32_e32 v5, 6, v0
	v_lshlrev_b32_e32 v4, 7, v89
	v_xor_b32_e32 v27, v91, v5
	v_and_b32_e32 v22, 1, v0
	v_lshl_or_b32 v30, v86, 3, v4
	v_lshlrev_b32_e32 v27, 2, v27
	v_lshlrev_b32_e32 v23, 2, v86
	v_or_b32_e32 v97, 0x4000, v30
	v_or_b32_e32 v98, 0x6000, v30
	v_xor_b32_e32 v30, 0x440, v27
	v_cmp_eq_u32_e32 vcc, 0, v22
	v_or_b32_e32 v25, 16, v86
	v_or_b32_e32 v26, 32, v86
	v_xor_b32_e32 v28, v89, v23
	v_xor_b32_e32 v29, v90, v23
	v_cndmask_b32_e32 v22, v30, v27, vcc
	s_mov_b32 s60, 0x1000504
	v_lshl_or_b32 v31, v25, 3, v4
	v_lshlrev_b32_e32 v25, 8, v25
	v_lshl_or_b32 v32, v26, 3, v4
	v_lshlrev_b32_e32 v28, 1, v28
	v_lshlrev_b32_e32 v29, 1, v29
	v_lshl_or_b32 v5, v5, 10, v22
	s_add_i32 s3, s44, s33
	s_mov_b32 s61, 0x3020706
	v_lshlrev_b32_e32 v24, 8, v86
	v_or_b32_e32 v101, 0x4000, v32
	v_or_b32_e32 v102, 0x6000, v32
	;; [unrolled: 1-line block ×4, first 2 shown]
	v_xor_b32_e32 v22, 8, v5
	v_xor_b32_e32 v25, 24, v5
	v_xor_b32_e32 v30, 40, v5
	v_xor_b32_e32 v32, 56, v5
	s_add_i32 s41, s3, s45
	s_add_i32 s3, s47, s46
	v_or_b32_e32 v99, 0x4000, v31
	v_or_b32_e32 v100, 0x6000, v31
	;; [unrolled: 1-line block ×4, first 2 shown]
	v_xor_b32_e32 v24, 16, v5
	v_xor_b32_e32 v27, 32, v5
	;; [unrolled: 1-line block ×3, first 2 shown]
	v_add_u32_e32 v22, 0x80, v22
	v_add_u32_e32 v25, 0x80, v25
	;; [unrolled: 1-line block ×4, first 2 shown]
	s_add_i32 s39, s3, s48
	s_lshl_b64 s[20:21], s[40:41], 2
	s_add_u32 s3, s10, s20
	s_addc_u32 s24, s11, s21
	s_lshl_b64 s[20:21], s[38:39], 2
	s_add_u32 s20, s3, s20
	s_movk_i32 s3, 0xf8
	s_addc_u32 s21, s24, s21
	s_lshl_b32 s30, s19, 7
	s_movk_i32 s28, 0x100
	v_mov_b32_e32 v79, 0
	v_lshlrev_b32_e32 v78, 4, v86
	v_cmp_gt_u32_e32 vcc, s28, v0
	v_lshlrev_b32_e32 v26, 8, v26
	s_mov_b32 s62, 0
	s_movk_i32 s26, 0x4000
	v_or_b32_e32 v107, v26, v28
	v_or_b32_e32 v108, v26, v29
	s_movk_i32 s39, 0x2000
	s_movk_i32 s41, 0x3000
	v_mov_b32_e32 v140, 0x3fb8aa3b
	s_waitcnt vmcnt(1)
	v_perm_b32 v33, v6, v14, s60
	s_waitcnt vmcnt(0)
	v_perm_b32 v77, v10, v18, s60
	v_perm_b32 v6, v6, v14, s61
	;; [unrolled: 1-line block ×15, first 2 shown]
	ds_write2st64_b32 v5, v33, v77 offset0:128 offset1:160
	ds_write2st64_b32 v22, v6, v10 offset0:128 offset1:160
	;; [unrolled: 1-line block ×8, first 2 shown]
	v_or_b32_e32 v5, 48, v86
	v_lshl_or_b32 v6, v5, 3, v4
	v_lshlrev_b32_e32 v5, 8, v5
	v_or_b32_e32 v111, v5, v28
	v_or_b32_e32 v112, v5, v29
	;; [unrolled: 1-line block ×3, first 2 shown]
	v_lshlrev_b32_e32 v5, 3, v5
	v_lshrrev_b32_e32 v7, 5, v35
	v_and_or_b32 v7, v5, s3, v7
	v_lshlrev_b32_e32 v7, 4, v7
	v_lshlrev_b32_e32 v8, 11, v1
	v_and_b32_e32 v5, 0x78, v5
	v_or_b32_e32 v13, 32, v7
	v_or_b32_e32 v109, 0x4000, v6
	;; [unrolled: 1-line block ×3, first 2 shown]
	v_and_b32_e32 v6, 0x1000, v8
	v_xor_b32_e32 v9, v7, v5
	v_lshrrev_b32_e32 v10, 1, v0
	v_xor_b32_e32 v13, v13, v5
	v_or_b32_e32 v9, v9, v6
	v_and_b32_e32 v11, 8, v10
	v_or_b32_e32 v13, v13, v6
	v_xor_b32_e32 v113, v9, v11
	v_lshlrev_b32_e32 v9, 8, v85
	v_xor_b32_e32 v115, v13, v11
	v_or_b32_e32 v13, 64, v7
	v_or_b32_e32 v7, 0x60, v7
	s_ashr_i32 s3, s2, 31
	v_or_b32_e32 v12, v9, v23
	v_xor_b32_e32 v13, v13, v5
	v_xor_b32_e32 v5, v7, v5
	s_lshl_b64 s[24:25], s[2:3], 8
	v_lshlrev_b32_e32 v12, 1, v12
	v_or_b32_e32 v13, v13, v6
	v_or_b32_e32 v5, v5, v6
	s_add_u32 s24, s22, s24
	v_lshlrev_b32_e32 v6, 1, v86
	v_or_b32_e32 v114, 0x4000, v12
	v_or_b32_e32 v116, 0x4080, v12
	;; [unrolled: 1-line block ×8, first 2 shown]
	v_lshrrev_b32_e32 v12, 4, v0
	s_addc_u32 s25, s23, s25
	v_or_b32_e32 v7, 1, v6
	v_mov_b32_e32 v16, 0xa000
	v_mov_b32_e32 v17, 0x8000
	v_xor_b32_e32 v119, v13, v11
	v_xor_b32_e32 v13, v12, v6
	v_xor_b32_e32 v14, v7, v12
	v_lshl_add_u64 v[6:7], s[24:25], 0, v[78:79]
	v_lshlrev_b32_e32 v78, 8, v12
	v_cndmask_b32_e32 v16, v16, v17, vcc
	v_lshlrev_b32_e32 v17, 3, v1
	v_and_b32_e32 v10, 24, v10
	v_lshl_or_b32 v125, v13, 3, v78
	v_and_b32_e32 v13, 8, v0
	v_xor_b32_e32 v18, v17, v10
	v_or_b32_e32 v19, 0x440, v18
	v_cmp_eq_u32_e32 vcc, 0, v13
	v_and_b32_e32 v12, 7, v0
	v_lshl_or_b32 v126, v14, 3, v78
	v_cndmask_b32_e32 v13, v19, v18, vcc
	v_lshlrev_b32_e32 v14, 3, v12
	v_lshlrev_b32_e32 v12, 7, v12
	v_or_b32_e32 v13, v13, v8
	v_lshlrev_b32_e32 v15, 2, v0
	v_xad_u32 v127, v13, v14, v12
	v_or_b32_e32 v13, 32, v10
	v_and_or_b32 v9, v15, 60, v9
	v_xor_b32_e32 v13, v17, v13
	v_lshlrev_b32_e32 v9, 1, v9
	v_or_b32_e32 v15, 0x440, v13
	v_or_b32_e32 v128, 0x6000, v9
	v_cndmask_b32_e32 v13, v15, v13, vcc
	v_or_b32_e32 v130, 0x6080, v9
	v_or_b32_e32 v131, 0x6100, v9
	;; [unrolled: 1-line block ×5, first 2 shown]
	v_xor_b32_e32 v9, v17, v9
	v_xad_u32 v129, v13, v14, v12
	v_xor_b32_e32 v13, 0x440, v9
	v_cndmask_b32_e32 v9, v13, v9, vcc
	v_or_b32_e32 v9, v9, v8
	v_xad_u32 v133, v9, v14, v12
	v_or_b32_e32 v9, 0x60, v10
	v_xor_b32_e32 v9, v17, v9
	v_xor_b32_e32 v10, 0x440, v9
	v_cndmask_b32_e32 v9, v10, v9, vcc
	v_or_b32_e32 v8, v9, v8
	v_xor_b32_e32 v120, v5, v11
	v_ashrrev_i32_e32 v77, 31, v76
	v_lshlrev_b32_e32 v5, 1, v3
	v_add_lshl_u32 v3, v3, s19, 1
	v_or_b32_e32 v11, 0x100, v2
	v_xad_u32 v134, v8, v14, v12
	v_cndmask_b32_e64 v135, v5, v2, s[0:1]
	v_cndmask_b32_e64 v136, v3, v11, s[0:1]
	v_lshl_add_u64 v[80:81], v[76:77], 1, s[8:9]
	v_lshl_add_u64 v[82:83], v[6:7], 0, v[78:79]
	s_mov_b32 s3, 0x7060302
	v_lshlrev_b32_e32 v78, 1, v4
	v_add_u32_e32 v77, v16, v127
	v_add_u32_e32 v137, v16, v129
	;; [unrolled: 1-line block ×4, first 2 shown]
	s_waitcnt lgkmcnt(0)
	s_barrier
.LBB114_6:                              ; =>This Inner Loop Header: Depth=1
	s_add_i32 s63, s62, 1
	s_cmp_lt_i32 s63, s51
	s_mov_b64 s[28:29], 0
	s_cselect_b64 s[42:43], -1, 0
	s_cmp_ge_i32 s63, s51
	s_mov_b64 s[24:25], 0
	s_cbranch_scc1 .LBB114_8
; %bb.7:                                ;   in Loop: Header=BB114_6 Depth=1
	s_add_i32 s0, s57, 64
	s_ashr_i32 s1, s0, 31
	s_add_u32 s0, s55, s0
	s_addc_u32 s1, s54, s1
	s_lshl_b64 s[0:1], s[0:1], 8
	s_add_u32 s24, s6, s0
	s_addc_u32 s25, s7, s1
.LBB114_8:                              ;   in Loop: Header=BB114_6 Depth=1
	v_cndmask_b32_e64 v2, 0, 1, s[42:43]
	v_cmp_ne_u32_e64 s[0:1], 1, v2
	s_andn2_b64 vcc, exec, s[42:43]
	s_cbranch_vccnz .LBB114_10
; %bb.9:                                ;   in Loop: Header=BB114_6 Depth=1
	s_add_i32 s28, s57, 64
	s_mul_hi_i32 s29, s28, s18
	s_mul_i32 s28, s28, s18
	s_add_u32 s28, s28, s53
	s_addc_u32 s29, s29, s58
	s_lshl_b64 s[28:29], s[28:29], 8
	s_add_u32 s28, s4, s28
	s_addc_u32 s29, s5, s29
.LBB114_10:                             ;   in Loop: Header=BB114_6 Depth=1
	v_perm_b32 v3, v75, v74, s3
	v_perm_b32 v2, v71, v70, s3
	v_perm_b32 v5, v73, v72, s3
	v_perm_b32 v4, v69, v68, s3
	ds_write_b64 v97, v[2:3]
	ds_write_b64 v98, v[4:5]
	ds_write_b64 v103, v[2:3]
	ds_write_b64 v104, v[4:5]
	v_perm_b32 v3, v67, v66, s3
	v_perm_b32 v2, v63, v62, s3
	v_perm_b32 v5, v65, v64, s3
	v_perm_b32 v4, v61, v60, s3
	ds_write_b64 v99, v[2:3]
	ds_write_b64 v100, v[4:5]
	ds_write_b64 v105, v[2:3]
	ds_write_b64 v106, v[4:5]
	;; [unrolled: 8-line block ×4, first 2 shown]
	s_waitcnt lgkmcnt(0)
	s_barrier
	ds_read_b64 v[6:7], v113 offset:49152
	ds_read2_b64 v[2:5], v114 offset1:16
	ds_read_b64 v[18:19], v116 offset:6144
	ds_read_b64 v[20:21], v114 offset:6144
	s_waitcnt lgkmcnt(2)
	v_mfma_f32_16x16x16_bf16 a[0:3], v[6:7], v[2:3], 0
	ds_read_b64 v[22:23], v115 offset:49152
	ds_read2st64_b64 v[10:13], v117 offset0:4 offset1:8
	ds_read2st64_b64 v[14:17], v118 offset0:4 offset1:8
	v_mfma_f32_16x16x16_bf16 a[4:7], v[6:7], v[4:5], 0
	ds_read2_b64 v[2:5], v114 offset0:32 offset1:48
	s_add_i32 s31, s57, 63
	s_ashr_i32 s42, s31, 31
	s_waitcnt lgkmcnt(0)
	v_mfma_f32_16x16x16_bf16 a[8:11], v[6:7], v[2:3], 0
	s_mul_i32 s43, s31, s35
	s_mul_hi_u32 s64, s31, s34
	s_add_i32 s43, s64, s43
	v_mfma_f32_16x16x16_bf16 a[12:15], v[6:7], v[4:5], 0
	ds_read2st64_b64 v[2:5], v114 offset0:4 offset1:8
	ds_read2st64_b64 v[6:9], v116 offset0:4 offset1:8
	s_mul_i32 s42, s42, s34
	s_waitcnt lgkmcnt(1)
	v_mfma_f32_16x16x16_bf16 a[0:3], v[22:23], v[2:3], a[0:3]
	s_add_i32 s43, s43, s42
	s_mul_i32 s42, s31, s34
	s_lshl_b64 s[42:43], s[42:43], 2
	s_waitcnt lgkmcnt(0)
	v_mfma_f32_16x16x16_bf16 a[4:7], v[22:23], v[6:7], a[4:7]
	s_add_u32 s42, s20, s42
	s_addc_u32 s43, s21, s43
	s_and_b64 vcc, exec, s[0:1]
	v_mfma_f32_16x16x16_bf16 a[8:11], v[22:23], v[10:11], a[8:11]
	ds_read_b64 v[2:3], v119 offset:49152
	ds_read_b64 v[6:7], v120 offset:49152
	;; [unrolled: 1-line block ×3, first 2 shown]
	v_mov_b32_e32 v143, 0
	v_mov_b32_e32 v142, 0
	v_mfma_f32_16x16x16_bf16 a[12:15], v[22:23], v[14:15], a[12:15]
	v_mov_b32_e32 v141, 0
	v_mov_b32_e32 v14, 0
	;; [unrolled: 1-line block ×3, first 2 shown]
	s_waitcnt lgkmcnt(2)
	v_mfma_f32_16x16x16_bf16 a[0:3], v[2:3], v[4:5], a[0:3]
	v_mov_b32_e32 v4, 0
	v_mov_b32_e32 v5, 0
	v_mfma_f32_16x16x16_bf16 a[16:19], v[2:3], v[8:9], a[4:7]
	v_mov_b32_e32 v8, 0
	v_mov_b32_e32 v9, 0
	;; [unrolled: 3-line block ×3, first 2 shown]
	v_mfma_f32_16x16x16_bf16 a[24:27], v[2:3], v[16:17], a[12:15]
	ds_read_b64 v[2:3], v117 offset:6144
	v_mov_b32_e32 v16, 0
	v_mov_b32_e32 v17, 0
	s_waitcnt lgkmcnt(2)
	v_mfma_f32_16x16x16_bf16 a[4:7], v[6:7], v[20:21], a[0:3]
	v_mfma_f32_16x16x16_bf16 a[8:11], v[6:7], v[18:19], a[16:19]
	s_waitcnt lgkmcnt(0)
	v_mfma_f32_16x16x16_bf16 a[12:15], v[6:7], v[2:3], a[20:23]
	v_mov_b32_e32 v2, 0
	v_mov_b32_e32 v3, 0
	v_mfma_f32_16x16x16_bf16 a[0:3], v[6:7], v[10:11], a[24:27]
	v_mov_b32_e32 v6, 0
	v_mov_b32_e32 v7, 0
	;; [unrolled: 1-line block ×4, first 2 shown]
	s_cbranch_vccnz .LBB114_12
; %bb.11:                               ;   in Loop: Header=BB114_6 Depth=1
	s_and_b32 s25, s25, 0xffff
	buffer_load_dwordx4 v[14:17], v93, s[24:27], 0 offen
	buffer_load_dwordx4 v[10:13], v93, s[24:27], s59 offen
	;; [unrolled: 1-line block ×4, first 2 shown]
	v_mov_b32_e32 v142, v95
	v_mov_b32_e32 v141, v96
.LBB114_12:                             ;   in Loop: Header=BB114_6 Depth=1
	ds_read_b64 v[144:145], v113 offset:57344
	ds_read2_b64 v[18:21], v121 offset1:16
	ds_read_b64 v[146:147], v115 offset:57344
	ds_read_b64 v[148:149], v119 offset:57344
	;; [unrolled: 1-line block ×3, first 2 shown]
	v_add_u32_e32 v152, s57, v89
	s_waitcnt lgkmcnt(3)
	v_mfma_f32_16x16x16_bf16 a[4:7], v[144:145], v[18:19], a[4:7]
	v_mfma_f32_16x16x16_bf16 a[8:11], v[144:145], v[20:21], a[8:11]
	ds_read2_b64 v[18:21], v121 offset0:32 offset1:48
	ds_read2st64_b64 v[22:25], v121 offset0:4 offset1:8
	ds_read2st64_b64 v[26:29], v122 offset0:4 offset1:8
	;; [unrolled: 1-line block ×3, first 2 shown]
	s_waitcnt lgkmcnt(3)
	v_mfma_f32_16x16x16_bf16 a[12:15], v[144:145], v[18:19], a[12:15]
	v_ashrrev_i32_e32 v18, 31, v152
	v_mfma_f32_16x16x16_bf16 a[0:3], v[144:145], v[20:21], a[0:3]
	v_mul_lo_u32 v20, v18, s34
	v_mul_lo_u32 v21, v152, s35
	v_mad_u64_u32 v[18:19], s[24:25], v152, s34, 0
	v_add3_u32 v19, v19, v21, v20
	v_add_u32_e32 v20, 1, v152
	v_ashrrev_i32_e32 v21, 31, v20
	s_waitcnt lgkmcnt(2)
	v_mfma_f32_16x16x16_bf16 a[4:7], v[146:147], v[22:23], a[4:7]
	v_mul_lo_u32 v22, v21, s34
	v_mul_lo_u32 v23, v20, s35
	v_mad_u64_u32 v[20:21], s[24:25], v20, s34, 0
	v_add3_u32 v21, v21, v23, v22
	v_add_u32_e32 v22, 2, v152
	v_ashrrev_i32_e32 v23, 31, v22
	s_waitcnt lgkmcnt(1)
	v_mfma_f32_16x16x16_bf16 a[8:11], v[146:147], v[26:27], a[8:11]
	v_mul_lo_u32 v26, v23, s34
	v_mul_lo_u32 v27, v22, s35
	v_mad_u64_u32 v[22:23], s[24:25], v22, s34, 0
	v_add3_u32 v23, v23, v27, v26
	v_add_u32_e32 v26, 3, v152
	v_ashrrev_i32_e32 v27, 31, v26
	v_mul_lo_u32 v144, v27, s34
	v_mul_lo_u32 v145, v26, s35
	v_mad_u64_u32 v[26:27], s[24:25], v26, s34, 0
	s_ashr_i32 s25, s57, 31
	s_add_u32 s24, s55, s57
	v_lshl_add_u64 v[18:19], v[18:19], 2, s[20:21]
	v_add3_u32 v27, v27, v145, v144
	s_addc_u32 s25, s54, s25
	v_lshl_add_u64 v[20:21], v[20:21], 2, s[20:21]
	global_load_dword v152, v[18:19], off
	v_lshl_add_u64 v[18:19], v[26:27], 2, s[20:21]
	s_lshl_b64 s[24:25], s[24:25], 8
	v_lshl_add_u64 v[22:23], v[22:23], 2, s[20:21]
	global_load_dword v144, v[20:21], off
	global_load_dword v145, v[22:23], off
	;; [unrolled: 1-line block ×3, first 2 shown]
	v_lshl_add_u64 v[18:19], v[80:81], 0, s[24:25]
	v_lshl_add_u64 v[22:23], v[18:19], 0, v[78:79]
	global_load_ushort v154, v[22:23], off offset:256
	global_load_ushort v155, v[22:23], off
	ds_read2st64_b64 v[18:21], v124 offset0:4 offset1:8
	global_load_ushort v156, v[22:23], off offset:768
	global_load_ushort v157, v[22:23], off offset:512
	s_waitcnt lgkmcnt(1)
	v_mfma_f32_16x16x16_bf16 a[12:15], v[146:147], v[30:31], a[12:15]
	s_and_b64 vcc, exec, s[0:1]
	s_waitcnt vmcnt(3)
	v_lshlrev_b32_e32 v31, 16, v154
	s_waitcnt lgkmcnt(0)
	v_mfma_f32_16x16x16_bf16 a[0:3], v[146:147], v[18:19], a[0:3]
	global_load_ushort v146, v[22:23], off offset:288
	global_load_ushort v147, v[22:23], off offset:32
	;; [unrolled: 1-line block ×8, first 2 shown]
	v_mfma_f32_16x16x16_bf16 a[4:7], v[148:149], v[24:25], a[4:7]
	ds_read_b64 v[18:19], v121 offset:6144
	s_waitcnt vmcnt(10)
	v_lshlrev_b32_e32 v30, 16, v155
	v_mfma_f32_16x16x16_bf16 a[8:11], v[148:149], v[28:29], a[8:11]
	v_mfma_f32_16x16x16_bf16 a[12:15], v[148:149], v[32:33], a[12:15]
	;; [unrolled: 1-line block ×3, first 2 shown]
	global_load_ushort v148, v[22:23], off offset:352
	global_load_ushort v149, v[22:23], off offset:96
	ds_read_b64 v[20:21], v122 offset:6144
	ds_read_b64 v[24:25], v123 offset:6144
	;; [unrolled: 1-line block ×3, first 2 shown]
	global_load_ushort v164, v[22:23], off offset:864
	global_load_ushort v165, v[22:23], off offset:608
	s_load_dword s24, s[42:43], 0x0
	s_waitcnt lgkmcnt(0)
	v_mfma_f32_16x16x16_bf16 a[4:7], v[150:151], v[18:19], a[4:7]
	v_sub_f32_e32 v28, s24, v145
	v_mfma_f32_16x16x16_bf16 a[0:3], v[150:151], v[26:27], a[0:3]
	v_sub_f32_e32 v26, s24, v152
	v_sub_f32_e32 v27, s24, v144
	;; [unrolled: 1-line block ×3, first 2 shown]
	v_mul_f32_e32 v26, 0x3fb8aa3b, v26
	v_mul_f32_e32 v27, 0x3fb8aa3b, v27
	v_mul_f32_e32 v28, 0x3fb8aa3b, v28
	v_mul_f32_e32 v29, 0x3fb8aa3b, v29
	v_mfma_f32_16x16x16_bf16 a[8:11], v[150:151], v[20:21], a[8:11]
	v_exp_f32_e32 v26, v26
	v_exp_f32_e32 v27, v27
	;; [unrolled: 1-line block ×4, first 2 shown]
	v_accvgpr_read_b32 v33, a5
	v_accvgpr_read_b32 v32, a4
	;; [unrolled: 1-line block ×4, first 2 shown]
	v_pk_add_f32 v[30:31], v[30:31], v[32:33] neg_lo:[0,1] neg_hi:[0,1]
	s_waitcnt vmcnt(13)
	v_lshlrev_b32_e32 v33, 16, v156
	s_waitcnt vmcnt(12)
	v_lshlrev_b32_e32 v32, 16, v157
	v_pk_add_f32 v[18:19], v[32:33], v[18:19] neg_lo:[0,1] neg_hi:[0,1]
	v_pk_mul_f32 v[30:31], v[26:27], v[30:31]
	v_pk_mul_f32 v[18:19], v[28:29], v[18:19]
	v_accvgpr_read_b32 v33, a9
	v_perm_b32 v19, v19, v18, s3
	v_perm_b32 v18, v31, v30, s3
	v_accvgpr_read_b32 v32, a8
	v_accvgpr_read_b32 v21, a11
	v_mfma_f32_16x16x16_bf16 a[12:15], v[150:151], v[24:25], a[12:15]
	v_accvgpr_read_b32 v20, a10
	v_accvgpr_read_b32 v25, a3
	;; [unrolled: 1-line block ×3, first 2 shown]
	v_mov_b32_e32 v144, 0
	s_waitcnt vmcnt(11)
	v_lshlrev_b32_e32 v31, 16, v146
	s_waitcnt vmcnt(10)
	v_lshlrev_b32_e32 v30, 16, v147
	v_pk_add_f32 v[30:31], v[30:31], v[32:33] neg_lo:[0,1] neg_hi:[0,1]
	s_waitcnt vmcnt(9)
	v_lshlrev_b32_e32 v33, 16, v158
	s_waitcnt vmcnt(8)
	v_lshlrev_b32_e32 v32, 16, v159
	v_pk_add_f32 v[20:21], v[32:33], v[20:21] neg_lo:[0,1] neg_hi:[0,1]
	v_pk_mul_f32 v[30:31], v[26:27], v[30:31]
	v_pk_mul_f32 v[20:21], v[28:29], v[20:21]
	v_accvgpr_read_b32 v23, a15
	v_perm_b32 v21, v21, v20, s3
	v_perm_b32 v20, v31, v30, s3
	ds_write2_b64 v98, v[18:19], v[20:21] offset1:16
	v_accvgpr_read_b32 v21, a13
	s_waitcnt vmcnt(7)
	v_lshlrev_b32_e32 v19, 16, v160
	s_waitcnt vmcnt(6)
	v_lshlrev_b32_e32 v18, 16, v161
	v_accvgpr_read_b32 v20, a12
	v_accvgpr_read_b32 v22, a14
	v_pk_add_f32 v[18:19], v[18:19], v[20:21] neg_lo:[0,1] neg_hi:[0,1]
	s_waitcnt vmcnt(5)
	v_lshlrev_b32_e32 v21, 16, v162
	s_waitcnt vmcnt(4)
	v_lshlrev_b32_e32 v20, 16, v163
	v_pk_add_f32 v[20:21], v[20:21], v[22:23] neg_lo:[0,1] neg_hi:[0,1]
	v_pk_mul_f32 v[18:19], v[26:27], v[18:19]
	v_pk_mul_f32 v[20:21], v[28:29], v[20:21]
	v_accvgpr_read_b32 v23, a1
	v_perm_b32 v21, v21, v20, s3
	v_perm_b32 v20, v19, v18, s3
	s_waitcnt vmcnt(3)
	v_lshlrev_b32_e32 v19, 16, v148
	s_waitcnt vmcnt(2)
	v_lshlrev_b32_e32 v18, 16, v149
	v_accvgpr_read_b32 v22, a0
	v_pk_add_f32 v[18:19], v[18:19], v[22:23] neg_lo:[0,1] neg_hi:[0,1]
	s_waitcnt vmcnt(1)
	v_lshlrev_b32_e32 v23, 16, v164
	s_waitcnt vmcnt(0)
	v_lshlrev_b32_e32 v22, 16, v165
	v_pk_add_f32 v[22:23], v[22:23], v[24:25] neg_lo:[0,1] neg_hi:[0,1]
	v_pk_mul_f32 v[18:19], v[26:27], v[18:19]
	v_pk_mul_f32 v[22:23], v[28:29], v[22:23]
	v_mov_b32_e32 v24, 0
	v_perm_b32 v23, v23, v22, s3
	v_perm_b32 v22, v19, v18, s3
	ds_write2_b64 v98, v[20:21], v[22:23] offset0:32 offset1:48
	v_mov_b32_e32 v18, 0
	v_mov_b32_e32 v19, 0
	;; [unrolled: 1-line block ×15, first 2 shown]
	s_cbranch_vccnz .LBB114_14
; %bb.13:                               ;   in Loop: Header=BB114_6 Depth=1
	s_and_b32 s29, s29, 0xffff
	s_mov_b32 s31, s27
	buffer_load_dwordx4 v[30:33], v135, s[28:31], 0 offen
	buffer_load_dwordx4 v[22:25], v135, s[28:31], s59 offen
	;; [unrolled: 1-line block ×4, first 2 shown]
	v_mov_b32_e32 v143, v92
	v_mov_b32_e32 v144, v91
.LBB114_14:                             ;   in Loop: Header=BB114_6 Depth=1
	s_waitcnt lgkmcnt(0)
	s_barrier
	ds_read_b64 v[154:155], v77
	ds_read2_b64 v[146:149], v128 offset1:16
	ds_read_b64 v[170:171], v137
	ds_read_b64 v[172:173], v138
	;; [unrolled: 1-line block ×3, first 2 shown]
	ds_read2_b64 v[150:153], v128 offset0:32 offset1:48
	s_waitcnt lgkmcnt(4)
	v_mfma_f32_16x16x16_bf16 a[0:3], v[154:155], v[146:147], 0
	ds_read2st64_b64 v[158:161], v130 offset0:4 offset1:8
	ds_read2st64_b64 v[162:165], v131 offset0:4 offset1:8
	;; [unrolled: 1-line block ×3, first 2 shown]
	v_mfma_f32_16x16x16_bf16 a[4:7], v[154:155], v[148:149], 0
	s_add_i32 s25, s56, s62
	s_mul_hi_i32 s29, s25, s17
	s_mul_i32 s25, s25, s17
	s_waitcnt lgkmcnt(3)
	v_mfma_f32_16x16x16_bf16 a[8:11], v[154:155], v[150:151], 0
	s_add_u32 s28, s25, s49
	s_addc_u32 s29, s29, s50
	s_lshl_b64 s[28:29], s[28:29], 15
	v_mfma_f32_16x16x16_bf16 a[12:15], v[154:155], v[152:153], 0
	ds_read2st64_b64 v[154:157], v128 offset0:4 offset1:8
	s_waitcnt lgkmcnt(0)
	v_mfma_f32_16x16x16_bf16 a[0:3], v[170:171], v[154:155], a[0:3]
	v_mfma_f32_16x16x16_bf16 a[4:7], v[170:171], v[158:159], a[4:7]
	;; [unrolled: 1-line block ×8, first 2 shown]
	ds_read_b64 v[170:171], v128 offset:6144
	ds_read_b64 v[172:173], v129 offset:40960
	;; [unrolled: 1-line block ×8, first 2 shown]
	s_waitcnt lgkmcnt(5)
	v_mfma_f32_16x16x16_bf16 a[16:19], v[176:177], v[146:147], 0
	v_mfma_f32_16x16x16_bf16 a[20:23], v[176:177], v[148:149], 0
	ds_read2st64_b64 v[146:149], v125 offset1:8
	v_mfma_f32_16x16x16_bf16 a[24:27], v[176:177], v[150:151], 0
	v_mfma_f32_16x16x16_bf16 a[28:31], v[176:177], v[152:153], 0
	ds_read2st64_b64 v[150:153], v126 offset1:8
	v_mfma_f32_16x16x16_bf16 a[16:19], v[172:173], v[154:155], a[16:19]
	s_waitcnt lgkmcnt(1)
	v_mov_b32_e32 v154, v146
	v_mov_b32_e32 v155, v147
	v_mfma_f32_16x16x16_bf16 a[20:23], v[172:173], v[158:159], a[20:23]
	v_lshl_add_u64 v[158:159], v[82:83], 0, s[28:29]
	v_mfma_f32_16x16x16_bf16 a[24:27], v[172:173], v[162:163], a[24:27]
	v_mfma_f32_16x16x16_bf16 a[28:31], v[172:173], v[166:167], a[28:31]
	v_mfma_f32_16x16x16_bf16 a[16:19], v[184:185], v[156:157], a[16:19]
	s_waitcnt lgkmcnt(0)
	v_mov_b32_e32 v156, v150
	v_mov_b32_e32 v157, v151
	;; [unrolled: 1-line block ×3, first 2 shown]
	v_mfma_f32_16x16x16_bf16 a[32:35], v[184:185], v[160:161], a[20:23]
	v_mov_b32_e32 v151, v149
	ds_read2st64_b64 v[146:149], v125 offset0:16 offset1:24
	global_store_dwordx4 v[158:159], v[154:157], off
	v_mfma_f32_16x16x16_bf16 a[24:27], v[184:185], v[164:165], a[24:27]
	ds_read2st64_b64 v[154:157], v126 offset0:16 offset1:24
	v_add_co_u32_e32 v160, vcc, s39, v158
	v_mfma_f32_16x16x16_bf16 a[28:31], v[184:185], v[168:169], a[28:31]
	s_nop 0
	v_addc_co_u32_e32 v161, vcc, 0, v159, vcc
	global_store_dwordx4 v[160:161], v[150:153], off offset:-4096
	v_mfma_f32_16x16x16_bf16 a[0:3], v[174:175], v[170:171], a[0:3]
	s_waitcnt lgkmcnt(1)
	v_mov_b32_e32 v150, v146
	v_add_co_u32_e32 v146, vcc, s41, v158
	v_mfma_f32_16x16x16_bf16 a[4:7], v[174:175], v[178:179], a[4:7]
	v_mov_b32_e32 v151, v147
	v_addc_co_u32_e32 v147, vcc, 0, v159, vcc
	v_mfma_f32_16x16x16_bf16 a[8:11], v[174:175], v[180:181], a[8:11]
	s_waitcnt lgkmcnt(0)
	v_mov_b32_e32 v152, v154
	v_mov_b32_e32 v153, v155
	;; [unrolled: 1-line block ×3, first 2 shown]
	v_mfma_f32_16x16x16_bf16 a[12:15], v[174:175], v[182:183], a[12:15]
	v_mov_b32_e32 v155, v149
	s_and_b64 vcc, exec, s[0:1]
	global_store_dwordx4 v[160:161], v[150:153], off
	v_mfma_f32_16x16x16_bf16 a[20:23], v[186:187], v[170:171], a[16:19]
	global_store_dwordx4 v[146:147], v[154:157], off
	v_mfma_f32_16x16x16_bf16 a[16:19], v[186:187], v[178:179], a[32:35]
	v_mfma_f32_16x16x16_bf16 a[24:27], v[186:187], v[180:181], a[24:27]
	;; [unrolled: 1-line block ×3, first 2 shown]
	s_cbranch_vccnz .LBB114_16
; %bb.15:                               ;   in Loop: Header=BB114_6 Depth=1
	v_lshrrev_b32_e32 v145, 3, v143
	v_and_b32_e32 v145, 6, v145
	v_xor_b32_e32 v144, v145, v144
	v_lshlrev_b32_e32 v144, 2, v144
	v_and_b32_e32 v143, 8, v143
	v_xor_b32_e32 v146, 0x440, v144
	v_cmp_eq_u32_e32 vcc, 0, v143
	s_barrier
	s_nop 0
	v_cndmask_b32_e32 v143, v146, v144, vcc
	v_lshl_or_b32 v143, v145, 10, v143
	s_waitcnt vmcnt(5)
	v_perm_b32 v144, v30, v26, s60
	s_waitcnt vmcnt(4)
	v_perm_b32 v145, v22, v18, s60
	ds_write2st64_b32 v143, v144, v145 offset0:128 offset1:160
	v_xor_b32_e32 v144, 8, v143
	v_perm_b32 v26, v30, v26, s61
	v_perm_b32 v18, v22, v18, s61
	v_add_u32_e32 v22, 0x80, v144
	ds_write2st64_b32 v22, v26, v18 offset0:128 offset1:160
	v_xor_b32_e32 v18, 16, v143
	v_perm_b32 v22, v31, v27, s60
	v_perm_b32 v26, v23, v19, s60
	ds_write2st64_b32 v18, v22, v26 offset0:129 offset1:161
	v_xor_b32_e32 v18, 24, v143
	v_perm_b32 v22, v31, v27, s61
	v_perm_b32 v19, v23, v19, s61
	v_add_u32_e32 v18, 0x80, v18
	ds_write2st64_b32 v18, v22, v19 offset0:129 offset1:161
	v_xor_b32_e32 v18, 32, v143
	v_perm_b32 v19, v32, v28, s60
	v_perm_b32 v22, v24, v20, s60
	ds_write2st64_b32 v18, v19, v22 offset0:130 offset1:162
	v_xor_b32_e32 v18, 40, v143
	v_perm_b32 v19, v32, v28, s61
	v_perm_b32 v20, v24, v20, s61
	v_add_u32_e32 v18, 0x80, v18
	ds_write2st64_b32 v18, v19, v20 offset0:130 offset1:162
	v_xor_b32_e32 v18, 48, v143
	v_perm_b32 v19, v33, v29, s60
	v_perm_b32 v20, v25, v21, s60
	ds_write2st64_b32 v18, v19, v20 offset0:131 offset1:163
	v_xor_b32_e32 v18, 56, v143
	v_perm_b32 v19, v33, v29, s61
	v_perm_b32 v20, v25, v21, s61
	v_add_u32_e32 v18, 0x80, v18
	ds_write2st64_b32 v18, v19, v20 offset0:131 offset1:163
	ds_write_b64 v142, v[14:15] offset:49152
	v_xor_b32_e32 v14, 8, v142
	ds_write_b64 v14, v[16:17] offset:49152
	ds_write_b64 v142, v[10:11] offset:57344
	;; [unrolled: 1-line block ×4, first 2 shown]
	v_xor_b32_e32 v6, 8, v141
	ds_write_b64 v6, v[8:9] offset:49152
	ds_write_b64 v141, v[2:3] offset:57344
	ds_write_b64 v6, v[4:5] offset:57344
.LBB114_16:                             ;   in Loop: Header=BB114_6 Depth=1
	s_waitcnt vmcnt(6)
	v_mul_f32_e32 v22, s24, v140
	v_exp_f32_e32 v142, v22
	v_accvgpr_read_b32 v5, a3
	v_accvgpr_read_b32 v9, a7
	;; [unrolled: 1-line block ×4, first 2 shown]
	s_waitcnt vmcnt(4)
	v_accvgpr_read_b32 v18, a20
	v_accvgpr_read_b32 v25, a19
	;; [unrolled: 1-line block ×28, first 2 shown]
	s_add_i32 s57, s57, 64
	v_pk_fma_f32 v[70:71], v[70:71], v[142:143], v[2:3] op_sel_hi:[1,0,1]
	v_pk_fma_f32 v[74:75], v[74:75], v[142:143], v[4:5] op_sel_hi:[1,0,1]
	;; [unrolled: 1-line block ×15, first 2 shown]
	s_cmp_eq_u32 s51, s63
	v_pk_fma_f32 v[48:49], v[48:49], v[142:143], v[32:33] op_sel_hi:[1,0,1]
	s_cbranch_scc1 .LBB114_18
; %bb.17:                               ;   in Loop: Header=BB114_6 Depth=1
	s_mov_b32 s62, s63
	s_branch .LBB114_6
.LBB114_18:
	s_lshl_b32 s30, s51, 6
	s_sub_i32 s31, s52, s30
	s_cmp_gt_i32 s31, 0
	s_cbranch_scc0 .LBB114_99
; %bb.19:
	s_add_i32 s30, s30, s36
	s_ashr_i32 s3, s30, 31
	s_cmpk_lg_i32 s19, 0x80
	s_cselect_b64 s[26:27], -1, 0
	s_and_b64 vcc, exec, s[26:27]
	s_cbranch_vccz .LBB114_21
; %bb.20:
	s_mul_hi_i32 s0, s30, s18
	s_mul_i32 s1, s30, s18
	s_ashr_i32 s18, s53, 31
	s_add_u32 s28, s1, s53
	s_addc_u32 s29, s0, s18
	s_cbranch_execz .LBB114_22
	s_branch .LBB114_23
.LBB114_21:
                                        ; implicit-def: $sgpr28_sgpr29
.LBB114_22:
	s_mul_i32 s1, s53, s16
	s_mul_hi_i32 s0, s53, s16
	s_add_u32 s28, s1, s30
	s_addc_u32 s29, s0, s3
.LBB114_23:
	s_add_i32 s16, s51, s56
	s_add_u32 s0, s55, s30
	v_lshlrev_b32_e32 v6, 6, v89
	v_lshlrev_b32_e32 v24, 2, v86
	s_addc_u32 s1, s54, s3
	s_mov_b32 s3, 0x7060302
	v_or_b32_e32 v9, v6, v24
	v_xor_b32_e32 v7, v89, v24
	v_perm_b32 v3, v75, v74, s3
	v_perm_b32 v2, v71, v70, s3
	;; [unrolled: 1-line block ×4, first 2 shown]
	v_lshlrev_b32_e32 v9, 1, v9
	v_xor_b32_e32 v8, v90, v24
	ds_write2st64_b64 v9, v[2:3], v[4:5] offset0:32 offset1:48
	v_lshlrev_b32_e32 v7, 1, v7
	v_lshlrev_b32_e32 v9, 8, v86
	v_or_b32_e32 v10, v7, v9
	v_lshlrev_b32_e32 v8, 1, v8
	ds_write_b64 v10, v[2:3]
	v_or_b32_e32 v2, v8, v9
	v_or_b32_e32 v9, 16, v86
	v_lshlrev_b32_e32 v23, 2, v9
	v_or_b32_e32 v10, v6, v23
	ds_write_b64 v2, v[4:5]
	v_perm_b32 v3, v67, v66, s3
	v_perm_b32 v2, v63, v62, s3
	;; [unrolled: 1-line block ×4, first 2 shown]
	v_lshlrev_b32_e32 v10, 1, v10
	v_lshlrev_b32_e32 v9, 8, v9
	ds_write2st64_b64 v10, v[2:3], v[4:5] offset0:32 offset1:48
	v_or_b32_e32 v10, v7, v9
	ds_write_b64 v10, v[2:3]
	v_or_b32_e32 v2, v8, v9
	v_or_b32_e32 v9, 32, v86
	v_lshlrev_b32_e32 v22, 2, v9
	v_or_b32_e32 v10, v6, v22
	ds_write_b64 v2, v[4:5]
	v_perm_b32 v3, v59, v58, s3
	v_perm_b32 v2, v55, v54, s3
	;; [unrolled: 1-line block ×4, first 2 shown]
	v_lshlrev_b32_e32 v10, 1, v10
	v_lshlrev_b32_e32 v9, 8, v9
	s_lshl_b64 s[24:25], s[0:1], 8
	ds_write2st64_b64 v10, v[2:3], v[4:5] offset0:32 offset1:48
	v_or_b32_e32 v10, v7, v9
	s_add_u32 s0, s6, s24
	ds_write_b64 v10, v[2:3]
	v_or_b32_e32 v2, v8, v9
	s_addc_u32 s1, s7, s25
	ds_write_b64 v2, v[4:5]
	v_perm_b32 v3, v53, v52, s3
	v_perm_b32 v2, v47, v46, s3
	;; [unrolled: 1-line block ×4, first 2 shown]
	v_or_b32_e32 v9, 48, v86
	s_mul_hi_i32 s3, s16, s17
	s_mul_i32 s16, s16, s17
	v_lshlrev_b32_e32 v19, 2, v9
	s_add_u32 s6, s16, s49
	v_or_b32_e32 v6, v6, v19
	s_addc_u32 s7, s3, s50
	v_lshlrev_b32_e32 v6, 1, v6
	s_ashr_i32 s3, s2, 31
	s_lshl_b64 s[6:7], s[6:7], 15
	ds_write2st64_b64 v6, v[2:3], v[4:5] offset0:32 offset1:48
	v_lshlrev_b32_e32 v6, 8, v9
	s_add_u32 s6, s22, s6
	v_or_b32_e32 v7, v7, v6
	s_addc_u32 s7, s23, s7
	s_lshl_b64 s[2:3], s[2:3], 8
	ds_write_b64 v7, v[2:3]
	v_or_b32_e32 v2, v8, v6
	s_add_u32 s2, s6, s2
	v_lshlrev_b32_e32 v3, 1, v86
	ds_write_b64 v2, v[4:5]
	v_lshrrev_b32_e32 v2, 4, v0
	s_addc_u32 s3, s7, s3
	v_or_b32_e32 v4, 1, v3
	v_lshlrev_b32_e32 v10, 4, v86
	v_mov_b32_e32 v11, 0
	v_xor_b32_e32 v3, v2, v3
	v_xor_b32_e32 v6, v4, v2
	v_lshl_add_u64 v[12:13], s[2:3], 0, v[10:11]
	v_lshlrev_b32_e32 v10, 8, v2
	v_lshl_or_b32 v16, v3, 3, v10
	v_lshl_or_b32 v17, v6, 3, v10
	s_waitcnt lgkmcnt(0)
	s_barrier
	ds_read2st64_b64 v[2:5], v16 offset1:8
	ds_read2st64_b64 v[6:9], v17 offset1:8
	v_lshl_add_u64 v[14:15], v[12:13], 0, v[10:11]
	s_movk_i32 s2, 0x2000
	s_cmp_lg_u32 s31, 64
	s_waitcnt lgkmcnt(1)
	v_mov_b32_e32 v10, v2
	v_mov_b32_e32 v11, v3
	s_waitcnt lgkmcnt(0)
	v_mov_b32_e32 v12, v6
	v_mov_b32_e32 v13, v7
	global_store_dwordx4 v[14:15], v[10:13], off
	v_mov_b32_e32 v6, v4
	v_mov_b32_e32 v7, v5
	ds_read2st64_b64 v[2:5], v16 offset0:16 offset1:24
	ds_read2st64_b64 v[10:13], v17 offset0:16 offset1:24
	v_add_co_u32_e32 v16, vcc, s2, v14
	s_cselect_b64 s[6:7], -1, 0
	s_nop 0
	v_addc_co_u32_e32 v17, vcc, 0, v15, vcc
	global_store_dwordx4 v[16:17], v[6:9], off offset:-4096
	v_lshl_or_b32 v30, v1, 3, v88
	s_mov_b32 s20, 0
	s_waitcnt lgkmcnt(1)
	v_mov_b32_e32 v6, v2
	v_add_co_u32_e32 v2, vcc, 0x3000, v14
	v_mov_b32_e32 v7, v3
	s_nop 0
	v_addc_co_u32_e32 v3, vcc, 0, v15, vcc
	s_waitcnt lgkmcnt(0)
	v_mov_b32_e32 v8, v10
	v_mov_b32_e32 v9, v11
	;; [unrolled: 1-line block ×4, first 2 shown]
	v_or_b32_e32 v20, 32, v30
	v_and_b32_e32 v18, 56, v87
	s_and_b64 vcc, exec, s[6:7]
	global_store_dwordx4 v[16:17], v[6:9], off
	global_store_dwordx4 v[2:3], v[10:13], off
	s_cbranch_vccz .LBB114_29
; %bb.24:
	s_mov_b32 s21, s20
	s_mov_b32 s22, s20
	;; [unrolled: 1-line block ×3, first 2 shown]
	v_mov_b64_e32 v[6:7], s[20:21]
	v_mov_b64_e32 v[8:9], s[22:23]
	;; [unrolled: 1-line block ×3, first 2 shown]
	v_cmp_gt_i32_e32 vcc, s31, v30
	v_mov_b64_e32 v[4:5], v[8:9]
	s_and_saveexec_b64 s[2:3], vcc
	s_cbranch_execz .LBB114_26
; %bb.25:
	v_lshlrev_b32_e32 v2, 8, v30
	v_mov_b32_e32 v3, 0
	v_lshl_add_u64 v[4:5], s[0:1], 0, v[2:3]
	v_lshlrev_b32_e32 v2, 1, v18
	v_lshl_add_u64 v[10:11], v[4:5], 0, v[2:3]
	global_load_dwordx4 v[6:9], v[10:11], off
	global_load_dwordx4 v[2:5], v[10:11], off offset:128
.LBB114_26:
	s_or_b64 exec, exec, s[2:3]
	s_mov_b32 s21, s20
	s_mov_b32 s22, s20
	s_mov_b32 s23, s20
	v_mov_b64_e32 v[14:15], s[20:21]
	v_mov_b64_e32 v[16:17], s[22:23]
	;; [unrolled: 1-line block ×3, first 2 shown]
	v_cmp_gt_i32_e32 vcc, s31, v20
	v_lshlrev_b32_e32 v21, 7, v20
	v_mov_b64_e32 v[12:13], v[16:17]
	s_and_saveexec_b64 s[2:3], vcc
	s_cbranch_execz .LBB114_28
; %bb.27:
	v_lshlrev_b32_e32 v10, 1, v21
	v_mov_b32_e32 v11, 0
	v_lshl_add_u64 v[12:13], s[0:1], 0, v[10:11]
	v_lshlrev_b32_e32 v10, 1, v18
	v_lshl_add_u64 v[26:27], v[12:13], 0, v[10:11]
	global_load_dwordx4 v[14:17], v[26:27], off
	global_load_dwordx4 v[10:13], v[26:27], off offset:128
.LBB114_28:
	s_or_b64 exec, exec, s[2:3]
	v_lshrrev_b32_e32 v25, 3, v18
	v_lshlrev_b32_e32 v26, 3, v30
	v_or_b32_e32 v25, v26, v25
	v_lshlrev_b32_e32 v25, 4, v25
	v_and_b32_e32 v26, 0x78, v26
	v_xor_b32_e32 v25, v25, v26
	s_branch .LBB114_31
.LBB114_29:
                                        ; implicit-def: $vgpr25
                                        ; implicit-def: $vgpr21
                                        ; implicit-def: $vgpr6_vgpr7_vgpr8_vgpr9
                                        ; implicit-def: $vgpr2_vgpr3_vgpr4_vgpr5
                                        ; implicit-def: $vgpr14_vgpr15_vgpr16_vgpr17
                                        ; implicit-def: $vgpr10_vgpr11_vgpr12_vgpr13
	s_cbranch_execz .LBB114_31
; %bb.30:
	s_waitcnt vmcnt(0)
	v_lshlrev_b32_e32 v2, 1, v18
	v_lshl_or_b32 v21, v30, 8, v2
	s_and_b32 s1, s1, 0xffff
	s_mov_b32 s3, 0x20000
	s_movk_i32 s2, 0x4000
	v_lshl_or_b32 v25, v20, 8, v2
	s_movk_i32 s16, 0x80
	buffer_load_dwordx4 v[6:9], v21, s[0:3], 0 offen
	buffer_load_dwordx4 v[2:5], v21, s[0:3], s16 offen
	;; [unrolled: 1-line block ×4, first 2 shown]
	v_lshrrev_b32_e32 v21, 3, v18
	v_lshlrev_b32_e32 v25, 3, v30
	v_or_b32_e32 v21, v25, v21
	v_lshlrev_b32_e32 v21, 4, v21
	v_and_b32_e32 v25, 0x78, v25
	v_xor_b32_e32 v25, v21, v25
	v_lshlrev_b32_e32 v21, 7, v20
.LBB114_31:
	s_movk_i32 s0, 0x1000
	v_and_or_b32 v20, v21, s0, v25
	s_waitcnt vmcnt(1)
	ds_write_b64 v25, v[6:7] offset:49152
	v_xor_b32_e32 v6, 8, v25
	ds_write_b64 v6, v[8:9] offset:49152
	s_waitcnt vmcnt(0)
	ds_write_b64 v25, v[2:3] offset:57344
	ds_write_b64 v6, v[4:5] offset:57344
	;; [unrolled: 1-line block ×3, first 2 shown]
	v_xor_b32_e32 v2, 8, v20
	ds_write_b64 v2, v[16:17] offset:49152
	ds_write_b64 v20, v[10:11] offset:57344
	;; [unrolled: 1-line block ×3, first 2 shown]
	v_or_b32_e32 v2, v84, v86
	v_lshlrev_b32_e32 v2, 3, v2
	v_lshrrev_b32_e32 v3, 5, v35
	s_movk_i32 s0, 0xf8
	v_and_or_b32 v3, v2, s0, v3
	v_lshlrev_b32_e32 v7, 4, v3
	v_lshlrev_b32_e32 v25, 11, v1
	v_and_b32_e32 v8, 0x78, v2
	v_or_b32_e32 v10, 32, v7
	v_and_b32_e32 v6, 0x1000, v25
	v_lshrrev_b32_e32 v3, 1, v35
	v_xor_b32_e32 v10, v10, v8
	v_xor_b32_e32 v2, v7, v8
	v_and_b32_e32 v9, 8, v3
	v_or_b32_e32 v10, v10, v6
	v_or_b32_e32 v2, v2, v6
	v_xor_b32_e32 v32, v10, v9
	v_or_b32_e32 v10, 64, v7
	v_xor_b32_e32 v31, v2, v9
	v_xor_b32_e32 v10, v10, v8
	s_waitcnt lgkmcnt(0)
	s_barrier
	v_or_b32_e32 v13, v10, v6
	ds_read_b64 v[10:11], v31 offset:49152
	v_lshl_or_b32 v14, v85, 8, v24
	v_lshlrev_b32_e32 v26, 1, v14
	v_add_u32_e32 v12, 0x4000, v26
	ds_read2_b64 v[2:5], v12 offset1:16
	v_or_b32_e32 v7, 0x60, v7
	v_xor_b32_e32 v7, v7, v8
	v_or_b32_e32 v6, v7, v6
	v_xor_b32_e32 v33, v13, v9
	v_xor_b32_e32 v77, v6, v9
	ds_read_b64 v[20:21], v32 offset:49152
	ds_read_b64 v[78:79], v33 offset:49152
	;; [unrolled: 1-line block ×3, first 2 shown]
	s_waitcnt lgkmcnt(3)
	v_mfma_f32_16x16x16_bf16 a[0:3], v[10:11], v[2:3], 0
	ds_read2st64_b64 v[6:9], v26 offset0:36 offset1:40
	s_lshl_b64 s[0:1], s[28:29], 8
	s_add_u32 s4, s4, s0
	v_mfma_f32_16x16x16_bf16 a[4:7], v[10:11], v[4:5], 0
	ds_read2_b64 v[2:5], v12 offset0:32 offset1:48
	s_addc_u32 s5, s5, s1
	s_add_i32 s1, s44, s33
	s_waitcnt lgkmcnt(0)
	v_mfma_f32_16x16x16_bf16 a[8:11], v[10:11], v[2:3], 0
	v_or_b32_e32 v2, 64, v14
	v_lshlrev_b32_e32 v27, 1, v2
	s_add_i32 s0, s37, -1
	v_mfma_f32_16x16x16_bf16 a[12:15], v[10:11], v[4:5], 0
	ds_read2st64_b64 v[2:5], v27 offset0:36 offset1:40
	s_add_i32 s41, s1, s45
	s_add_i32 s1, s47, s46
	v_mfma_f32_16x16x16_bf16 a[0:3], v[20:21], v[6:7], a[0:3]
	v_or_b32_e32 v6, 0x80, v14
	v_lshlrev_b32_e32 v28, 1, v6
	ds_read2st64_b64 v[10:13], v28 offset0:36 offset1:40
	s_waitcnt lgkmcnt(1)
	v_mfma_f32_16x16x16_bf16 a[4:7], v[20:21], v[2:3], a[4:7]
	v_or_b32_e32 v2, 0xc0, v14
	v_lshlrev_b32_e32 v29, 1, v2
	ds_read2st64_b64 v[14:17], v29 offset0:36 offset1:40
	s_add_i32 s39, s1, s48
	s_ashr_i32 s1, s0, 31
	s_mul_i32 s2, s0, s35
	s_mul_hi_u32 s3, s0, s34
	s_add_i32 s2, s3, s2
	s_mul_i32 s1, s1, s34
	s_waitcnt lgkmcnt(1)
	v_mfma_f32_16x16x16_bf16 a[8:11], v[20:21], v[10:11], a[8:11]
	s_add_i32 s1, s2, s1
	s_lshl_b64 s[2:3], s[40:41], 2
	s_add_u32 s10, s10, s2
	s_waitcnt lgkmcnt(0)
	v_mfma_f32_16x16x16_bf16 a[12:15], v[20:21], v[14:15], a[12:15]
	s_addc_u32 s11, s11, s3
	s_lshl_b64 s[2:3], s[38:39], 2
	s_mul_i32 s0, s0, s34
	v_mfma_f32_16x16x16_bf16 a[0:3], v[78:79], v[8:9], a[0:3]
	ds_read_b64 v[2:3], v26 offset:22528
	s_add_u32 s10, s10, s2
	s_addc_u32 s11, s11, s3
	v_mfma_f32_16x16x16_bf16 a[4:7], v[78:79], v[4:5], a[4:7]
	ds_read_b64 v[4:5], v27 offset:22528
	ds_read_b64 v[6:7], v28 offset:22528
	;; [unrolled: 1-line block ×3, first 2 shown]
	s_lshl_b64 s[0:1], s[0:1], 2
	s_add_u32 s0, s10, s0
	v_mfma_f32_16x16x16_bf16 a[8:11], v[78:79], v[12:13], a[8:11]
	s_addc_u32 s1, s11, s1
	s_load_dword s16, s[0:1], 0x0
	s_and_b64 vcc, exec, s[26:27]
	v_mfma_f32_16x16x16_bf16 a[12:15], v[78:79], v[16:17], a[12:15]
	s_waitcnt lgkmcnt(0)
	v_mfma_f32_16x16x16_bf16 a[0:3], v[80:81], v[2:3], a[0:3]
	v_mfma_f32_16x16x16_bf16 a[4:7], v[80:81], v[4:5], a[4:7]
	;; [unrolled: 1-line block ×4, first 2 shown]
	s_cbranch_vccz .LBB114_42
; %bb.32:
	v_lshlrev_b32_e32 v20, 1, v30
	s_and_b64 vcc, exec, s[6:7]
	s_cbranch_vccz .LBB114_43
; %bb.33:
	v_cmp_gt_i32_e32 vcc, s31, v20
	v_mov_b32_e32 v6, 0
	v_mov_b32_e32 v2, 0
	;; [unrolled: 1-line block ×5, first 2 shown]
	s_and_saveexec_b64 s[0:1], vcc
	s_cbranch_execz .LBB114_35
; %bb.34:
	v_mad_i64_i32 v[2:3], s[2:3], s19, v20, 0
	v_lshl_add_u64 v[2:3], v[2:3], 1, s[4:5]
	v_lshlrev_b32_e32 v4, 1, v18
	v_mov_b32_e32 v5, 0
	v_lshl_add_u64 v[2:3], v[2:3], 0, v[4:5]
	global_load_dwordx4 v[2:5], v[2:3], off
.LBB114_35:
	s_or_b64 exec, exec, s[0:1]
	v_or_b32_e32 v21, 1, v20
	v_cmp_gt_i32_e64 s[0:1], s31, v21
	v_mov_b32_e32 v7, 0
	v_mov_b32_e32 v8, 0
	;; [unrolled: 1-line block ×3, first 2 shown]
	s_and_saveexec_b64 s[2:3], s[0:1]
	s_cbranch_execz .LBB114_37
; %bb.36:
	v_mad_i64_i32 v[6:7], s[20:21], s19, v21, 0
	v_lshl_add_u64 v[6:7], v[6:7], 1, s[4:5]
	v_lshlrev_b32_e32 v8, 1, v18
	v_mov_b32_e32 v9, 0
	v_lshl_add_u64 v[6:7], v[6:7], 0, v[8:9]
	global_load_dwordx4 v[6:9], v[6:7], off
.LBB114_37:
	s_or_b64 exec, exec, s[2:3]
	v_mov_b32_e32 v17, 0
	v_mov_b32_e32 v10, 0
	v_mov_b32_e32 v11, 0
	v_mov_b32_e32 v12, 0
	v_mov_b32_e32 v13, 0
	s_and_saveexec_b64 s[2:3], vcc
	s_cbranch_execz .LBB114_39
; %bb.38:
	v_mad_i64_i32 v[10:11], s[20:21], s19, v20, 0
	v_lshl_add_u64 v[10:11], v[10:11], 1, s[4:5]
	v_lshlrev_b32_e32 v12, 1, v18
	v_mov_b32_e32 v13, 0
	v_lshl_add_u64 v[10:11], v[10:11], 0, v[12:13]
	global_load_dwordx4 v[10:13], v[10:11], off offset:128
.LBB114_39:
	s_or_b64 exec, exec, s[2:3]
	v_mov_b32_e32 v16, 0
	v_mov_b32_e32 v15, 0
	;; [unrolled: 1-line block ×3, first 2 shown]
	s_and_saveexec_b64 s[2:3], s[0:1]
	s_cbranch_execz .LBB114_41
; %bb.40:
	v_mad_i64_i32 v[14:15], s[0:1], s19, v21, 0
	v_lshl_add_u64 v[14:15], v[14:15], 1, s[4:5]
	v_lshlrev_b32_e32 v16, 1, v18
	v_mov_b32_e32 v17, 0
	v_lshl_add_u64 v[14:15], v[14:15], 0, v[16:17]
	global_load_dwordx4 v[14:17], v[14:15], off offset:128
.LBB114_41:
	s_or_b64 exec, exec, s[2:3]
	s_branch .LBB114_45
.LBB114_42:
                                        ; implicit-def: $vgpr5
                                        ; implicit-def: $vgpr9
                                        ; implicit-def: $vgpr13
                                        ; implicit-def: $vgpr17
	v_lshrrev_b32_e32 v35, 2, v35
	s_branch .LBB114_46
.LBB114_43:
                                        ; implicit-def: $vgpr5
                                        ; implicit-def: $vgpr9
                                        ; implicit-def: $vgpr13
                                        ; implicit-def: $vgpr17
	s_cbranch_execz .LBB114_45
; %bb.44:
	s_waitcnt vmcnt(0)
	v_mad_u64_u32 v[2:3], s[0:1], v20, s19, v[18:19]
	v_lshlrev_b32_e32 v20, 1, v2
	s_lshl_b32 s2, s19, 7
	s_and_b32 s1, s5, 0xffff
	s_mov_b32 s3, 0x20000
	s_mov_b32 s0, s4
	v_add_lshl_u32 v21, v2, s19, 1
	s_movk_i32 s17, 0x80
	buffer_load_dwordx4 v[2:5], v20, s[0:3], 0 offen
	buffer_load_dwordx4 v[10:13], v20, s[0:3], s17 offen
	buffer_load_dwordx4 v[6:9], v21, s[0:3], 0 offen
	buffer_load_dwordx4 v[14:17], v21, s[0:3], s17 offen
.LBB114_45:
	v_lshrrev_b32_e32 v35, 2, v35
	s_cbranch_execnz .LBB114_58
.LBB114_46:
	s_and_b64 vcc, exec, s[6:7]
	s_cbranch_vccz .LBB114_56
; %bb.47:
	s_waitcnt vmcnt(0)
	v_lshlrev_b32_e32 v7, 1, v30
	v_cmp_gt_i32_e32 vcc, s31, v7
	v_mov_b32_e32 v6, 0
	v_lshlrev_b32_e32 v14, 9, v30
	v_mov_b32_e32 v2, 0
	v_mov_b32_e32 v3, 0
	;; [unrolled: 1-line block ×4, first 2 shown]
	s_and_saveexec_b64 s[0:1], vcc
	s_cbranch_execz .LBB114_49
; %bb.48:
	v_mov_b32_e32 v15, 0
	v_lshl_add_u64 v[2:3], s[4:5], 0, v[14:15]
	v_lshlrev_b32_e32 v4, 1, v18
	v_mov_b32_e32 v5, v15
	v_lshl_add_u64 v[2:3], v[2:3], 0, v[4:5]
	global_load_dwordx4 v[2:5], v[2:3], off
.LBB114_49:
	s_or_b64 exec, exec, s[0:1]
	v_or_b32_e32 v7, 1, v7
	v_cmp_gt_i32_e64 s[0:1], s31, v7
	v_lshlrev_b32_e32 v20, 8, v7
	v_mov_b32_e32 v7, 0
	v_mov_b32_e32 v8, 0
	v_mov_b32_e32 v9, 0
	s_and_saveexec_b64 s[2:3], s[0:1]
	s_cbranch_execz .LBB114_51
; %bb.50:
	v_mov_b32_e32 v21, 0
	v_lshl_add_u64 v[6:7], s[4:5], 0, v[20:21]
	v_lshlrev_b32_e32 v8, 1, v18
	v_mov_b32_e32 v9, v21
	v_lshl_add_u64 v[6:7], v[6:7], 0, v[8:9]
	global_load_dwordx4 v[6:9], v[6:7], off
.LBB114_51:
	s_or_b64 exec, exec, s[2:3]
	v_mov_b32_e32 v17, 0
	v_mov_b32_e32 v10, 0
	;; [unrolled: 1-line block ×5, first 2 shown]
	s_and_saveexec_b64 s[2:3], vcc
	s_cbranch_execz .LBB114_53
; %bb.52:
	v_mov_b32_e32 v15, 0
	v_lshl_add_u64 v[10:11], s[4:5], 0, v[14:15]
	v_lshlrev_b32_e32 v14, 1, v18
	v_lshl_add_u64 v[10:11], v[10:11], 0, v[14:15]
	global_load_dwordx4 v[10:13], v[10:11], off offset:128
.LBB114_53:
	s_or_b64 exec, exec, s[2:3]
	v_mov_b32_e32 v16, 0
	v_mov_b32_e32 v15, 0
	;; [unrolled: 1-line block ×3, first 2 shown]
	s_and_saveexec_b64 s[2:3], s[0:1]
	s_cbranch_execz .LBB114_55
; %bb.54:
	v_mov_b32_e32 v21, 0
	v_lshl_add_u64 v[14:15], s[4:5], 0, v[20:21]
	v_lshlrev_b32_e32 v20, 1, v18
	v_lshl_add_u64 v[14:15], v[14:15], 0, v[20:21]
	global_load_dwordx4 v[14:17], v[14:15], off offset:128
.LBB114_55:
	s_or_b64 exec, exec, s[2:3]
	s_branch .LBB114_58
.LBB114_56:
                                        ; implicit-def: $vgpr5
                                        ; implicit-def: $vgpr9
                                        ; implicit-def: $vgpr13
                                        ; implicit-def: $vgpr17
	s_cbranch_execz .LBB114_58
; %bb.57:
	s_waitcnt vmcnt(0)
	v_lshlrev_b32_e32 v2, 1, v18
	v_lshl_or_b32 v18, v30, 9, v2
	s_and_b32 s5, s5, 0xffff
	s_mov_b32 s7, 0x20000
	s_movk_i32 s6, 0x4000
	s_movk_i32 s0, 0x80
	buffer_load_dwordx4 v[2:5], v18, s[4:7], 0 offen
	buffer_load_dwordx4 v[6:9], v18, s[4:7], 0 offen offset:256
	buffer_load_dwordx4 v[10:13], v18, s[4:7], s0 offen
	buffer_load_dwordx4 v[14:17], v18, s[4:7], s0 offen offset:256
.LBB114_58:
	ds_read_b64 v[20:21], v31 offset:57344
	v_add_u32_e32 v18, 0x6000, v26
	ds_read2_b64 v[78:81], v18 offset1:16
	ds_read_b64 v[82:83], v32 offset:57344
	ds_read_b64 v[32:33], v33 offset:57344
	;; [unrolled: 1-line block ×3, first 2 shown]
	ds_read2st64_b64 v[86:89], v26 offset0:52 offset1:56
	v_and_b32_e32 v31, 1, v0
	v_cmp_eq_u32_e32 vcc, 0, v31
	s_mov_b32 s0, 0x1000504
	s_waitcnt vmcnt(0)
	v_perm_b32 v31, v10, v14, s0
	s_mov_b32 s1, 0x3020706
	s_waitcnt lgkmcnt(4)
	v_mfma_f32_16x16x16_bf16 a[0:3], v[20:21], v[78:79], a[0:3]
	v_mfma_f32_16x16x16_bf16 a[4:7], v[20:21], v[80:81], a[4:7]
	ds_read2_b64 v[78:81], v18 offset0:32 offset1:48
	v_and_b32_e32 v18, 6, v0
	v_xor_b32_e32 v30, v30, v18
	s_waitcnt lgkmcnt(0)
	v_mfma_f32_16x16x16_bf16 a[8:11], v[20:21], v[78:79], a[8:11]
	v_lshlrev_b32_e32 v30, 2, v30
	v_xor_b32_e32 v77, 0x440, v30
	v_cndmask_b32_e32 v30, v77, v30, vcc
	v_mfma_f32_16x16x16_bf16 a[12:15], v[20:21], v[80:81], a[12:15]
	ds_read2st64_b64 v[78:81], v27 offset0:52 offset1:56
	ds_read2st64_b64 v[90:93], v28 offset0:52 offset1:56
	;; [unrolled: 1-line block ×3, first 2 shown]
	v_lshl_or_b32 v18, v18, 10, v30
	v_perm_b32 v30, v2, v6, s0
	v_mfma_f32_16x16x16_bf16 a[0:3], v[82:83], v[86:87], a[0:3]
	ds_read_b64 v[20:21], v26 offset:30720
	ds_read_b64 v[86:87], v27 offset:30720
	;; [unrolled: 1-line block ×4, first 2 shown]
	ds_write2st64_b32 v18, v30, v31 offset0:128 offset1:160
	v_xor_b32_e32 v30, 8, v18
	s_waitcnt lgkmcnt(7)
	v_mfma_f32_16x16x16_bf16 a[4:7], v[82:83], v[78:79], a[4:7]
	v_perm_b32 v2, v2, v6, s1
	v_perm_b32 v6, v10, v14, s1
	v_add_u32_e32 v10, 0x80, v30
	s_waitcnt lgkmcnt(6)
	v_mfma_f32_16x16x16_bf16 a[8:11], v[82:83], v[90:91], a[8:11]
	ds_write2st64_b32 v10, v2, v6 offset0:128 offset1:160
	v_xor_b32_e32 v2, 16, v18
	v_perm_b32 v6, v3, v7, s0
	s_waitcnt lgkmcnt(6)
	v_mfma_f32_16x16x16_bf16 a[12:15], v[82:83], v[94:95], a[12:15]
	v_perm_b32 v10, v11, v15, s0
	ds_write2st64_b32 v2, v6, v10 offset0:129 offset1:161
	v_xor_b32_e32 v2, 24, v18
	v_mfma_f32_16x16x16_bf16 a[0:3], v[32:33], v[88:89], a[0:3]
	v_perm_b32 v3, v3, v7, s1
	v_perm_b32 v6, v11, v15, s1
	v_add_u32_e32 v2, 0x80, v2
	v_mfma_f32_16x16x16_bf16 a[4:7], v[32:33], v[80:81], a[4:7]
	ds_write2st64_b32 v2, v3, v6 offset0:129 offset1:161
	v_xor_b32_e32 v2, 32, v18
	v_perm_b32 v3, v4, v8, s0
	v_mfma_f32_16x16x16_bf16 a[16:19], v[32:33], v[92:93], a[8:11]
	v_perm_b32 v6, v12, v16, s0
	ds_write2st64_b32 v2, v3, v6 offset0:130 offset1:162
	v_xor_b32_e32 v2, 40, v18
	v_mfma_f32_16x16x16_bf16 a[20:23], v[32:33], v[96:97], a[12:15]
	v_perm_b32 v3, v4, v8, s1
	v_perm_b32 v4, v12, v16, s1
	v_add_u32_e32 v2, 0x80, v2
	s_waitcnt lgkmcnt(8)
	v_mfma_f32_16x16x16_bf16 a[12:15], v[98:99], v[20:21], a[0:3]
	ds_write2st64_b32 v2, v3, v4 offset0:130 offset1:162
	v_xor_b32_e32 v2, 48, v18
	v_perm_b32 v3, v5, v9, s0
	s_waitcnt lgkmcnt(8)
	v_mfma_f32_16x16x16_bf16 a[8:11], v[98:99], v[86:87], a[4:7]
	v_perm_b32 v4, v13, v17, s0
	ds_write2st64_b32 v2, v3, v4 offset0:131 offset1:163
	v_xor_b32_e32 v2, 56, v18
	s_waitcnt lgkmcnt(8)
	v_mfma_f32_16x16x16_bf16 a[4:7], v[98:99], v[100:101], a[16:19]
	v_and_or_b32 v21, v35, 12, v84
	v_perm_b32 v3, v5, v9, s1
	v_perm_b32 v4, v13, v17, s1
	s_waitcnt lgkmcnt(7)
	v_mfma_f32_16x16x16_bf16 a[0:3], v[98:99], v[102:103], a[20:23]
	v_add_u32_e32 v2, 0x80, v2
	v_cmp_gt_i32_e32 vcc, s31, v21
	v_mov_b32_e32 v16, 0
	v_mov_b32_e32 v18, 0
	ds_write2st64_b32 v2, v3, v4 offset0:131 offset1:163
	s_and_saveexec_b64 s[0:1], vcc
	s_cbranch_execz .LBB114_60
; %bb.59:
	v_add_u32_e32 v2, s30, v21
	v_ashrrev_i32_e32 v3, 31, v2
	v_mul_lo_u32 v4, v3, s34
	v_mul_lo_u32 v5, v2, s35
	v_mad_u64_u32 v[2:3], s[2:3], v2, s34, 0
	v_add3_u32 v3, v3, v5, v4
	v_lshl_add_u64 v[2:3], v[2:3], 2, s[10:11]
	global_load_dword v2, v[2:3], off
	s_waitcnt vmcnt(0)
	v_sub_f32_e32 v2, s16, v2
	v_mul_f32_e32 v2, 0x3fb8aa3b, v2
	v_exp_f32_e32 v18, v2
.LBB114_60:
	s_or_b64 exec, exec, s[0:1]
	v_or_b32_e32 v8, 1, v21
	v_cmp_gt_i32_e64 s[0:1], s31, v8
	s_and_saveexec_b64 s[2:3], s[0:1]
	s_cbranch_execz .LBB114_62
; %bb.61:
	v_add_u32_e32 v2, s30, v8
	v_ashrrev_i32_e32 v3, 31, v2
	v_mul_lo_u32 v4, v3, s34
	v_mul_lo_u32 v5, v2, s35
	v_mad_u64_u32 v[2:3], s[4:5], v2, s34, 0
	v_add3_u32 v3, v3, v5, v4
	v_lshl_add_u64 v[2:3], v[2:3], 2, s[10:11]
	global_load_dword v2, v[2:3], off
	s_waitcnt vmcnt(0)
	v_sub_f32_e32 v2, s16, v2
	v_mul_f32_e32 v2, 0x3fb8aa3b, v2
	v_exp_f32_e32 v16, v2
.LBB114_62:
	s_or_b64 exec, exec, s[2:3]
	v_or_b32_e32 v9, 2, v21
	v_cmp_gt_i32_e64 s[2:3], s31, v9
	v_mov_b32_e32 v17, 0
	v_mov_b32_e32 v20, 0
	s_and_saveexec_b64 s[4:5], s[2:3]
	s_cbranch_execz .LBB114_64
; %bb.63:
	v_add_u32_e32 v2, s30, v9
	v_ashrrev_i32_e32 v3, 31, v2
	v_mul_lo_u32 v4, v3, s34
	v_mul_lo_u32 v5, v2, s35
	v_mad_u64_u32 v[2:3], s[6:7], v2, s34, 0
	v_add3_u32 v3, v3, v5, v4
	v_lshl_add_u64 v[2:3], v[2:3], 2, s[10:11]
	global_load_dword v2, v[2:3], off
	s_waitcnt vmcnt(0)
	v_sub_f32_e32 v2, s16, v2
	v_mul_f32_e32 v2, 0x3fb8aa3b, v2
	v_exp_f32_e32 v20, v2
.LBB114_64:
	s_or_b64 exec, exec, s[4:5]
	v_or_b32_e32 v30, 3, v21
	v_cmp_gt_i32_e64 s[4:5], s31, v30
	s_and_saveexec_b64 s[6:7], s[4:5]
	s_cbranch_execz .LBB114_66
; %bb.65:
	v_add_u32_e32 v2, s30, v30
	v_ashrrev_i32_e32 v3, 31, v2
	v_mul_lo_u32 v4, v3, s34
	v_mul_lo_u32 v5, v2, s35
	v_mad_u64_u32 v[2:3], s[18:19], v2, s34, 0
	v_add3_u32 v3, v3, v5, v4
	v_lshl_add_u64 v[2:3], v[2:3], 2, s[10:11]
	global_load_dword v2, v[2:3], off
	s_waitcnt vmcnt(0)
	v_sub_f32_e32 v2, s16, v2
	v_mul_f32_e32 v2, 0x3fb8aa3b, v2
	v_exp_f32_e32 v17, v2
.LBB114_66:
	s_or_b64 exec, exec, s[6:7]
	s_add_u32 s6, s8, s24
	v_accvgpr_read_b32 v2, a12
	s_addc_u32 s7, s9, s25
	v_ashrrev_i32_e32 v77, 31, v76
	v_accvgpr_read_b32 v3, a13
	v_accvgpr_read_b32 v4, a14
	;; [unrolled: 1-line block ×3, first 2 shown]
	v_lshl_add_u64 v[6:7], v[76:77], 1, s[6:7]
	v_mov_b32_e32 v13, 0
	v_lshlrev_b32_e32 v10, 8, v21
	v_mov_b32_e32 v11, 0
	s_and_saveexec_b64 s[6:7], vcc
	s_cbranch_execz .LBB114_68
; %bb.67:
	v_mov_b32_e32 v11, 0
	v_lshl_add_u64 v[14:15], v[6:7], 0, v[10:11]
	global_load_ushort v11, v[14:15], off
	s_waitcnt vmcnt(0)
	v_lshlrev_b32_e32 v11, 16, v11
	v_sub_f32_e32 v2, v11, v2
	v_mul_f32_e32 v2, v18, v2
	v_lshrrev_b32_e32 v11, 16, v2
.LBB114_68:
	s_or_b64 exec, exec, s[6:7]
	v_lshlrev_b32_e32 v12, 8, v8
	s_and_saveexec_b64 s[6:7], s[0:1]
	s_cbranch_execz .LBB114_70
; %bb.69:
	v_mov_b32_e32 v13, 0
	v_lshl_add_u64 v[14:15], v[6:7], 0, v[12:13]
	global_load_ushort v2, v[14:15], off
	s_waitcnt vmcnt(0)
	v_lshlrev_b32_e32 v2, 16, v2
	v_sub_f32_e32 v2, v2, v3
	v_mul_f32_e32 v2, v16, v2
	v_lshrrev_b32_e32 v13, 16, v2
.LBB114_70:
	s_or_b64 exec, exec, s[6:7]
	v_mov_b32_e32 v31, 0
	v_lshlrev_b32_e32 v14, 8, v9
	v_mov_b32_e32 v15, 0
	s_and_saveexec_b64 s[6:7], s[2:3]
	s_cbranch_execz .LBB114_72
; %bb.71:
	v_mov_b32_e32 v15, 0
	v_lshl_add_u64 v[2:3], v[6:7], 0, v[14:15]
	global_load_ushort v2, v[2:3], off
	s_waitcnt vmcnt(0)
	v_lshlrev_b32_e32 v2, 16, v2
	v_sub_f32_e32 v2, v2, v4
	v_mul_f32_e32 v2, v20, v2
	v_lshrrev_b32_e32 v15, 16, v2
.LBB114_72:
	s_or_b64 exec, exec, s[6:7]
	v_lshlrev_b32_e32 v8, 8, v30
	s_and_saveexec_b64 s[6:7], s[4:5]
	s_cbranch_execz .LBB114_74
; %bb.73:
	v_mov_b32_e32 v9, 0
	v_lshl_add_u64 v[2:3], v[6:7], 0, v[8:9]
	global_load_ushort v2, v[2:3], off
	s_waitcnt vmcnt(0)
	v_lshlrev_b32_e32 v2, 16, v2
	v_sub_f32_e32 v2, v2, v5
	v_mul_f32_e32 v2, v17, v2
	v_lshrrev_b32_e32 v31, 16, v2
.LBB114_74:
	s_or_b64 exec, exec, s[6:7]
	v_lshlrev_b32_e32 v21, 6, v21
	v_accvgpr_read_b32 v2, a8
	s_mov_b32 s6, 0x5040100
	v_or_b32_e32 v9, v21, v24
	v_accvgpr_read_b32 v3, a9
	v_accvgpr_read_b32 v4, a10
	;; [unrolled: 1-line block ×3, first 2 shown]
	v_perm_b32 v31, v31, v15, s6
	v_perm_b32 v30, v13, v11, s6
	v_lshlrev_b32_e32 v9, 1, v9
	v_mov_b32_e32 v13, 0
	v_mov_b32_e32 v11, 0
	ds_write_b64 v9, v[30:31] offset:24576
	s_and_saveexec_b64 s[6:7], vcc
	s_cbranch_execz .LBB114_76
; %bb.75:
	v_mov_b32_e32 v11, 0
	v_lshl_add_u64 v[30:31], v[6:7], 0, v[10:11]
	global_load_ushort v9, v[30:31], off offset:32
	s_waitcnt vmcnt(0)
	v_lshlrev_b32_e32 v9, 16, v9
	v_sub_f32_e32 v2, v9, v2
	v_mul_f32_e32 v2, v18, v2
	v_lshrrev_b32_e32 v11, 16, v2
.LBB114_76:
	s_or_b64 exec, exec, s[6:7]
	s_and_saveexec_b64 s[6:7], s[0:1]
	s_cbranch_execz .LBB114_78
; %bb.77:
	v_mov_b32_e32 v13, 0
	v_lshl_add_u64 v[30:31], v[6:7], 0, v[12:13]
	global_load_ushort v2, v[30:31], off offset:32
	s_waitcnt vmcnt(0)
	v_lshlrev_b32_e32 v2, 16, v2
	v_sub_f32_e32 v2, v2, v3
	v_mul_f32_e32 v2, v16, v2
	v_lshrrev_b32_e32 v13, 16, v2
.LBB114_78:
	s_or_b64 exec, exec, s[6:7]
	v_mov_b32_e32 v9, 0
	v_mov_b32_e32 v15, 0
	s_and_saveexec_b64 s[6:7], s[2:3]
	s_cbranch_execz .LBB114_80
; %bb.79:
	v_mov_b32_e32 v15, 0
	v_lshl_add_u64 v[2:3], v[6:7], 0, v[14:15]
	global_load_ushort v2, v[2:3], off offset:32
	s_waitcnt vmcnt(0)
	v_lshlrev_b32_e32 v2, 16, v2
	v_sub_f32_e32 v2, v2, v4
	v_mul_f32_e32 v2, v20, v2
	v_lshrrev_b32_e32 v15, 16, v2
.LBB114_80:
	s_or_b64 exec, exec, s[6:7]
	s_and_saveexec_b64 s[6:7], s[4:5]
	s_cbranch_execz .LBB114_82
; %bb.81:
	v_mov_b32_e32 v9, 0
	v_lshl_add_u64 v[2:3], v[6:7], 0, v[8:9]
	global_load_ushort v2, v[2:3], off offset:32
	s_waitcnt vmcnt(0)
	v_lshlrev_b32_e32 v2, 16, v2
	v_sub_f32_e32 v2, v2, v5
	v_mul_f32_e32 v2, v17, v2
	v_lshrrev_b32_e32 v9, 16, v2
.LBB114_82:
	s_or_b64 exec, exec, s[6:7]
	s_mov_b32 s6, 0x5040100
	v_accvgpr_read_b32 v2, a4
	v_perm_b32 v31, v9, v15, s6
	v_or_b32_e32 v9, v21, v23
	v_accvgpr_read_b32 v3, a5
	v_accvgpr_read_b32 v4, a6
	;; [unrolled: 1-line block ×3, first 2 shown]
	v_perm_b32 v30, v13, v11, s6
	v_lshlrev_b32_e32 v9, 1, v9
	v_mov_b32_e32 v13, 0
	v_mov_b32_e32 v11, 0
	ds_write_b64 v9, v[30:31] offset:24576
	s_and_saveexec_b64 s[6:7], vcc
	s_cbranch_execz .LBB114_84
; %bb.83:
	v_mov_b32_e32 v11, 0
	v_lshl_add_u64 v[30:31], v[6:7], 0, v[10:11]
	global_load_ushort v9, v[30:31], off offset:64
	s_waitcnt vmcnt(0)
	v_lshlrev_b32_e32 v9, 16, v9
	v_sub_f32_e32 v2, v9, v2
	v_mul_f32_e32 v2, v18, v2
	v_lshrrev_b32_e32 v11, 16, v2
.LBB114_84:
	s_or_b64 exec, exec, s[6:7]
	s_and_saveexec_b64 s[6:7], s[0:1]
	s_cbranch_execz .LBB114_86
; %bb.85:
	v_mov_b32_e32 v13, 0
	v_lshl_add_u64 v[30:31], v[6:7], 0, v[12:13]
	global_load_ushort v2, v[30:31], off offset:64
	s_waitcnt vmcnt(0)
	v_lshlrev_b32_e32 v2, 16, v2
	v_sub_f32_e32 v2, v2, v3
	v_mul_f32_e32 v2, v16, v2
	v_lshrrev_b32_e32 v13, 16, v2
.LBB114_86:
	s_or_b64 exec, exec, s[6:7]
	v_mov_b32_e32 v9, 0
	v_mov_b32_e32 v15, 0
	s_and_saveexec_b64 s[6:7], s[2:3]
	s_cbranch_execz .LBB114_88
; %bb.87:
	v_mov_b32_e32 v15, 0
	v_lshl_add_u64 v[2:3], v[6:7], 0, v[14:15]
	global_load_ushort v2, v[2:3], off offset:64
	s_waitcnt vmcnt(0)
	v_lshlrev_b32_e32 v2, 16, v2
	v_sub_f32_e32 v2, v2, v4
	v_mul_f32_e32 v2, v20, v2
	v_lshrrev_b32_e32 v15, 16, v2
.LBB114_88:
	s_or_b64 exec, exec, s[6:7]
	s_and_saveexec_b64 s[6:7], s[4:5]
	s_cbranch_execz .LBB114_90
; %bb.89:
	v_mov_b32_e32 v9, 0
	v_lshl_add_u64 v[2:3], v[6:7], 0, v[8:9]
	global_load_ushort v2, v[2:3], off offset:64
	s_waitcnt vmcnt(0)
	v_lshlrev_b32_e32 v2, 16, v2
	v_sub_f32_e32 v2, v2, v5
	v_mul_f32_e32 v2, v17, v2
	v_lshrrev_b32_e32 v9, 16, v2
.LBB114_90:
	s_or_b64 exec, exec, s[6:7]
	s_mov_b32 s6, 0x5040100
	v_accvgpr_read_b32 v5, a3
	v_perm_b32 v31, v9, v15, s6
	v_or_b32_e32 v9, v21, v22
	v_accvgpr_read_b32 v4, a2
	v_accvgpr_read_b32 v3, a1
	;; [unrolled: 1-line block ×3, first 2 shown]
	v_perm_b32 v30, v13, v11, s6
	v_lshlrev_b32_e32 v9, 1, v9
	v_mov_b32_e32 v13, 0
	v_mov_b32_e32 v11, 0
	ds_write_b64 v9, v[30:31] offset:24576
	s_and_saveexec_b64 s[6:7], vcc
	s_cbranch_execz .LBB114_92
; %bb.91:
	v_mov_b32_e32 v11, 0
	v_lshl_add_u64 v[10:11], v[6:7], 0, v[10:11]
	global_load_ushort v9, v[10:11], off offset:96
	s_waitcnt vmcnt(0)
	v_lshlrev_b32_e32 v9, 16, v9
	v_sub_f32_e32 v2, v9, v2
	v_mul_f32_e32 v2, v18, v2
	v_lshrrev_b32_e32 v11, 16, v2
.LBB114_92:
	s_or_b64 exec, exec, s[6:7]
	s_and_saveexec_b64 s[6:7], s[0:1]
	s_cbranch_execz .LBB114_94
; %bb.93:
	v_mov_b32_e32 v13, 0
	v_lshl_add_u64 v[12:13], v[6:7], 0, v[12:13]
	global_load_ushort v2, v[12:13], off offset:96
	s_waitcnt vmcnt(0)
	v_lshlrev_b32_e32 v2, 16, v2
	v_sub_f32_e32 v2, v2, v3
	v_mul_f32_e32 v2, v16, v2
	v_lshrrev_b32_e32 v13, 16, v2
.LBB114_94:
	s_or_b64 exec, exec, s[6:7]
	v_mov_b32_e32 v9, 0
	v_mov_b32_e32 v12, 0
	s_and_saveexec_b64 s[0:1], s[2:3]
	s_cbranch_execz .LBB114_96
; %bb.95:
	v_mov_b32_e32 v15, 0
	v_lshl_add_u64 v[2:3], v[6:7], 0, v[14:15]
	global_load_ushort v2, v[2:3], off offset:96
	s_waitcnt vmcnt(0)
	v_lshlrev_b32_e32 v2, 16, v2
	v_sub_f32_e32 v2, v2, v4
	v_mul_f32_e32 v2, v20, v2
	v_lshrrev_b32_e32 v12, 16, v2
.LBB114_96:
	s_or_b64 exec, exec, s[0:1]
	v_or_b32_e32 v10, 0x6000, v26
	v_or_b32_e32 v4, 0x6000, v27
	;; [unrolled: 1-line block ×4, first 2 shown]
	s_and_saveexec_b64 s[0:1], s[4:5]
	s_cbranch_execz .LBB114_98
; %bb.97:
	v_mov_b32_e32 v9, 0
	v_lshl_add_u64 v[6:7], v[6:7], 0, v[8:9]
	global_load_ushort v6, v[6:7], off offset:96
	s_waitcnt vmcnt(0)
	v_lshlrev_b32_e32 v6, 16, v6
	v_sub_f32_e32 v5, v6, v5
	v_mul_f32_e32 v5, v17, v5
	v_lshrrev_b32_e32 v9, 16, v5
.LBB114_98:
	s_or_b64 exec, exec, s[0:1]
	s_mov_b32 s0, 0x5040100
	v_or_b32_e32 v5, v21, v19
	v_perm_b32 v7, v9, v12, s0
	v_perm_b32 v6, v13, v11, s0
	v_lshlrev_b32_e32 v5, 1, v5
	s_movk_i32 s0, 0x100
	ds_write_b64 v5, v[6:7] offset:24576
	v_and_b32_e32 v5, 7, v0
	v_and_b32_e32 v6, 8, v0
	v_cmp_gt_u32_e32 vcc, s0, v0
	v_lshrrev_b32_e32 v0, 1, v0
	v_lshlrev_b32_e32 v35, 3, v1
	v_and_b32_e32 v78, 24, v0
	v_mov_b32_e32 v7, 0xa000
	v_mov_b32_e32 v8, 0x8000
	v_xor_b32_e32 v0, v35, v78
	v_or_b32_e32 v16, 32, v78
	v_cndmask_b32_e32 v24, v7, v8, vcc
	v_or_b32_e32 v1, 0x440, v0
	v_cmp_eq_u32_e32 vcc, 0, v6
	v_xor_b32_e32 v16, v35, v16
	v_or_b32_e32 v17, 0x440, v16
	v_cndmask_b32_e32 v0, v1, v0, vcc
	v_lshlrev_b32_e32 v11, 3, v5
	v_lshlrev_b32_e32 v5, 7, v5
	v_or_b32_e32 v0, v0, v25
	v_cndmask_b32_e32 v16, v17, v16, vcc
	v_xad_u32 v79, v0, v11, v5
	v_or_b32_e32 v16, v16, v25
	v_add_u32_e32 v0, v24, v79
	v_xad_u32 v80, v16, v11, v5
	s_waitcnt lgkmcnt(0)
	s_barrier
	ds_read_b64 v[0:1], v0
	ds_read2_b64 v[6:9], v10 offset1:16
	ds_read2_b64 v[12:15], v10 offset0:32 offset1:48
	v_add_u32_e32 v16, v24, v80
	ds_read_b64 v[76:77], v16
	s_waitcnt lgkmcnt(2)
	v_mfma_f32_16x16x16_bf16 a[0:3], v[0:1], v[6:7], 0
	ds_read2st64_b64 v[16:19], v10 offset0:4 offset1:8
	ds_read2st64_b64 v[20:23], v4 offset0:4 offset1:8
	;; [unrolled: 1-line block ×3, first 2 shown]
	v_mfma_f32_16x16x16_bf16 a[4:7], v[0:1], v[8:9], 0
	ds_read2st64_b64 v[30:33], v2 offset0:4 offset1:8
	s_waitcnt lgkmcnt(5)
	v_mfma_f32_16x16x16_bf16 a[8:11], v[0:1], v[12:13], 0
	v_mfma_f32_16x16x16_bf16 a[12:15], v[0:1], v[14:15], 0
	v_or_b32_e32 v0, 64, v78
	v_xor_b32_e32 v0, v35, v0
	v_xor_b32_e32 v1, 0x440, v0
	v_cndmask_b32_e32 v0, v1, v0, vcc
	v_or_b32_e32 v0, v0, v25
	s_waitcnt lgkmcnt(3)
	v_mfma_f32_16x16x16_bf16 a[0:3], v[76:77], v[16:17], a[0:3]
	s_waitcnt lgkmcnt(2)
	v_mfma_f32_16x16x16_bf16 a[4:7], v[76:77], v[20:21], a[4:7]
	;; [unrolled: 2-line block ×4, first 2 shown]
	v_xad_u32 v76, v0, v11, v5
	v_add_u32_e32 v0, v24, v76
	ds_read_b64 v[0:1], v0
	v_or_b32_e32 v77, 0x60, v78
	v_xor_b32_e32 v35, v35, v77
	v_xor_b32_e32 v77, 0x440, v35
	v_cndmask_b32_e32 v35, v77, v35, vcc
	v_or_b32_e32 v25, v35, v25
	v_xad_u32 v35, v25, v11, v5
	v_add_u32_e32 v5, v24, v35
	s_waitcnt lgkmcnt(0)
	v_mfma_f32_16x16x16_bf16 a[0:3], v[0:1], v[18:19], a[0:3]
	ds_read_b64 v[24:25], v5
	ds_read_b64 v[10:11], v10 offset:6144
	v_mfma_f32_16x16x16_bf16 a[4:7], v[0:1], v[22:23], a[4:7]
	v_mfma_f32_16x16x16_bf16 a[8:11], v[0:1], v[28:29], a[8:11]
	;; [unrolled: 1-line block ×3, first 2 shown]
	ds_read_b64 v[0:1], v4 offset:6144
	ds_read_b64 v[4:5], v3 offset:6144
	;; [unrolled: 1-line block ×3, first 2 shown]
	s_waitcnt lgkmcnt(3)
	v_mfma_f32_16x16x16_bf16 a[0:3], v[24:25], v[10:11], a[0:3]
	s_waitcnt lgkmcnt(2)
	v_mfma_f32_16x16x16_bf16 a[4:7], v[24:25], v[0:1], a[4:7]
	;; [unrolled: 2-line block ×4, first 2 shown]
	ds_read_b64 v[24:25], v79 offset:40960
	s_waitcnt lgkmcnt(0)
	v_mfma_f32_16x16x16_bf16 a[16:19], v[24:25], v[6:7], 0
	ds_read_b64 v[6:7], v80 offset:40960
	v_mfma_f32_16x16x16_bf16 a[20:23], v[24:25], v[8:9], 0
	v_mov_b32_e32 v8, 0x3fb8aa3b
	v_mul_f32_e32 v8, s16, v8
	v_exp_f32_e32 v8, v8
	v_mfma_f32_16x16x16_bf16 a[24:27], v[24:25], v[12:13], 0
	ds_read_b64 v[12:13], v76 offset:40960
	v_mfma_f32_16x16x16_bf16 a[28:31], v[24:25], v[14:15], 0
	v_accvgpr_read_b32 v15, a3
	v_accvgpr_read_b32 v14, a2
	v_pk_fma_f32 v[74:75], v[74:75], v[8:9], v[14:15] op_sel_hi:[1,0,1]
	ds_read_b64 v[14:15], v35 offset:40960
	s_waitcnt lgkmcnt(2)
	v_mfma_f32_16x16x16_bf16 a[16:19], v[6:7], v[16:17], a[16:19]
	v_accvgpr_read_b32 v17, a7
	v_accvgpr_read_b32 v16, a6
	v_pk_fma_f32 v[66:67], v[66:67], v[8:9], v[16:17] op_sel_hi:[1,0,1]
	v_mfma_f32_16x16x16_bf16 a[20:23], v[6:7], v[20:21], a[20:23]
	v_accvgpr_read_b32 v21, a1
	v_accvgpr_read_b32 v20, a0
	v_pk_fma_f32 v[70:71], v[70:71], v[8:9], v[20:21] op_sel_hi:[1,0,1]
	;; [unrolled: 4-line block ×4, first 2 shown]
	s_waitcnt lgkmcnt(1)
	v_mfma_f32_16x16x16_bf16 a[16:19], v[12:13], v[18:19], a[16:19]
	v_accvgpr_read_b32 v6, a12
	v_accvgpr_read_b32 v7, a13
	v_pk_fma_f32 v[46:47], v[46:47], v[8:9], v[6:7] op_sel_hi:[1,0,1]
	v_mfma_f32_16x16x16_bf16 a[0:3], v[12:13], v[22:23], a[20:23]
	v_accvgpr_read_b32 v19, a15
	v_accvgpr_read_b32 v18, a14
	v_pk_fma_f32 v[52:53], v[52:53], v[8:9], v[18:19] op_sel_hi:[1,0,1]
	v_mfma_f32_16x16x16_bf16 a[20:23], v[12:13], v[28:29], a[24:27]
	v_mfma_f32_16x16x16_bf16 a[4:7], v[12:13], v[32:33], a[28:31]
	v_accvgpr_read_b32 v13, a9
	v_accvgpr_read_b32 v12, a8
	v_pk_fma_f32 v[54:55], v[54:55], v[8:9], v[12:13] op_sel_hi:[1,0,1]
	s_waitcnt lgkmcnt(0)
	v_mfma_f32_16x16x16_bf16 a[8:11], v[14:15], v[10:11], a[16:19]
	v_mfma_f32_16x16x16_bf16 a[0:3], v[14:15], v[0:1], a[0:3]
	s_nop 5
	v_accvgpr_read_b32 v1, a11
	v_accvgpr_read_b32 v0, a10
	v_mfma_f32_16x16x16_bf16 a[10:13], v[14:15], v[4:5], a[20:23]
	v_pk_fma_f32 v[72:73], v[72:73], v[8:9], v[0:1] op_sel_hi:[1,0,1]
	v_accvgpr_read_b32 v7, a3
	v_accvgpr_read_b32 v6, a2
	v_mfma_f32_16x16x16_bf16 a[2:5], v[14:15], v[2:3], a[4:7]
	v_accvgpr_read_b32 v0, a0
	v_accvgpr_read_b32 v1, a1
	v_pk_fma_f32 v[60:61], v[60:61], v[8:9], v[0:1] op_sel_hi:[1,0,1]
	v_accvgpr_read_b32 v0, a10
	v_accvgpr_read_b32 v1, a11
	;; [unrolled: 1-line block ×3, first 2 shown]
	v_pk_fma_f32 v[50:51], v[50:51], v[8:9], v[0:1] op_sel_hi:[1,0,1]
	v_accvgpr_read_b32 v0, a2
	v_accvgpr_read_b32 v5, a13
	;; [unrolled: 1-line block ×7, first 2 shown]
	v_pk_fma_f32 v[68:69], v[68:69], v[8:9], v[10:11] op_sel_hi:[1,0,1]
	v_pk_fma_f32 v[64:65], v[64:65], v[8:9], v[6:7] op_sel_hi:[1,0,1]
	;; [unrolled: 1-line block ×5, first 2 shown]
.LBB114_99:
	s_add_u32 s0, s12, s14
	s_addc_u32 s1, s13, s15
	v_lshl_add_u64 v[0:1], v[36:37], 1, s[0:1]
	v_mov_b32_e32 v35, 0
	s_mov_b32 s2, 0x7060302
	v_lshl_add_u64 v[0:1], v[0:1], 0, v[34:35]
	v_perm_b32 v3, v75, v74, s2
	v_perm_b32 v2, v71, v70, s2
	global_store_dwordx2 v[0:1], v[2:3], off
	v_perm_b32 v3, v73, v72, s2
	v_perm_b32 v2, v69, v68, s2
	global_store_dwordx2 v[0:1], v[2:3], off offset:128
	v_lshl_add_u64 v[0:1], v[38:39], 1, s[0:1]
	v_lshl_add_u64 v[0:1], v[0:1], 0, v[34:35]
	v_perm_b32 v3, v67, v66, s2
	v_perm_b32 v2, v63, v62, s2
	global_store_dwordx2 v[0:1], v[2:3], off
	v_perm_b32 v3, v65, v64, s2
	v_perm_b32 v2, v61, v60, s2
	global_store_dwordx2 v[0:1], v[2:3], off offset:128
	v_lshl_add_u64 v[0:1], v[40:41], 1, s[0:1]
	v_lshl_add_u64 v[0:1], v[0:1], 0, v[34:35]
	v_perm_b32 v3, v59, v58, s2
	v_perm_b32 v2, v55, v54, s2
	global_store_dwordx2 v[0:1], v[2:3], off
	v_perm_b32 v3, v57, v56, s2
	v_perm_b32 v2, v51, v50, s2
	global_store_dwordx2 v[0:1], v[2:3], off offset:128
	v_lshl_add_u64 v[0:1], v[42:43], 1, s[0:1]
	v_lshl_add_u64 v[0:1], v[0:1], 0, v[34:35]
	v_perm_b32 v3, v53, v52, s2
	v_perm_b32 v2, v47, v46, s2
	global_store_dwordx2 v[0:1], v[2:3], off
	v_perm_b32 v3, v49, v48, s2
	v_perm_b32 v2, v45, v44, s2
	global_store_dwordx2 v[0:1], v[2:3], off offset:128
	s_endpgm
	.section	.rodata,"a",@progbits
	.p2align	6, 0x0
	.amdhsa_kernel _ZN12_GLOBAL__N_139chunk_gated_delta_rule_fwd_h_hip_kernelILi64ELb1ELb1ELb0ELb1ELb0ELb0ELb0ELb1EEEvPK12hip_bfloat16S3_S3_PKfS5_PKvPS1_S8_PvPKiSB_iiiiilll
		.amdhsa_group_segment_fixed_size 65536
		.amdhsa_private_segment_fixed_size 0
		.amdhsa_kernarg_size 136
		.amdhsa_user_sgpr_count 2
		.amdhsa_user_sgpr_dispatch_ptr 0
		.amdhsa_user_sgpr_queue_ptr 0
		.amdhsa_user_sgpr_kernarg_segment_ptr 1
		.amdhsa_user_sgpr_dispatch_id 0
		.amdhsa_user_sgpr_kernarg_preload_length 0
		.amdhsa_user_sgpr_kernarg_preload_offset 0
		.amdhsa_user_sgpr_private_segment_size 0
		.amdhsa_uses_dynamic_stack 0
		.amdhsa_enable_private_segment 0
		.amdhsa_system_sgpr_workgroup_id_x 1
		.amdhsa_system_sgpr_workgroup_id_y 1
		.amdhsa_system_sgpr_workgroup_id_z 0
		.amdhsa_system_sgpr_workgroup_info 0
		.amdhsa_system_vgpr_workitem_id 0
		.amdhsa_next_free_vgpr 224
		.amdhsa_next_free_sgpr 65
		.amdhsa_accum_offset 188
		.amdhsa_reserve_vcc 1
		.amdhsa_float_round_mode_32 0
		.amdhsa_float_round_mode_16_64 0
		.amdhsa_float_denorm_mode_32 3
		.amdhsa_float_denorm_mode_16_64 3
		.amdhsa_dx10_clamp 1
		.amdhsa_ieee_mode 1
		.amdhsa_fp16_overflow 0
		.amdhsa_tg_split 0
		.amdhsa_exception_fp_ieee_invalid_op 0
		.amdhsa_exception_fp_denorm_src 0
		.amdhsa_exception_fp_ieee_div_zero 0
		.amdhsa_exception_fp_ieee_overflow 0
		.amdhsa_exception_fp_ieee_underflow 0
		.amdhsa_exception_fp_ieee_inexact 0
		.amdhsa_exception_int_div_zero 0
	.end_amdhsa_kernel
	.section	.text._ZN12_GLOBAL__N_139chunk_gated_delta_rule_fwd_h_hip_kernelILi64ELb1ELb1ELb0ELb1ELb0ELb0ELb0ELb1EEEvPK12hip_bfloat16S3_S3_PKfS5_PKvPS1_S8_PvPKiSB_iiiiilll,"axG",@progbits,_ZN12_GLOBAL__N_139chunk_gated_delta_rule_fwd_h_hip_kernelILi64ELb1ELb1ELb0ELb1ELb0ELb0ELb0ELb1EEEvPK12hip_bfloat16S3_S3_PKfS5_PKvPS1_S8_PvPKiSB_iiiiilll,comdat
.Lfunc_end114:
	.size	_ZN12_GLOBAL__N_139chunk_gated_delta_rule_fwd_h_hip_kernelILi64ELb1ELb1ELb0ELb1ELb0ELb0ELb0ELb1EEEvPK12hip_bfloat16S3_S3_PKfS5_PKvPS1_S8_PvPKiSB_iiiiilll, .Lfunc_end114-_ZN12_GLOBAL__N_139chunk_gated_delta_rule_fwd_h_hip_kernelILi64ELb1ELb1ELb0ELb1ELb0ELb0ELb0ELb1EEEvPK12hip_bfloat16S3_S3_PKfS5_PKvPS1_S8_PvPKiSB_iiiiilll
                                        ; -- End function
	.section	.AMDGPU.csdata,"",@progbits
; Kernel info:
; codeLenInByte = 12268
; NumSgprs: 71
; NumVgprs: 188
; NumAgprs: 36
; TotalNumVgprs: 224
; ScratchSize: 0
; MemoryBound: 0
; FloatMode: 240
; IeeeMode: 1
; LDSByteSize: 65536 bytes/workgroup (compile time only)
; SGPRBlocks: 8
; VGPRBlocks: 27
; NumSGPRsForWavesPerEU: 71
; NumVGPRsForWavesPerEU: 224
; AccumOffset: 188
; Occupancy: 1
; WaveLimiterHint : 1
; COMPUTE_PGM_RSRC2:SCRATCH_EN: 0
; COMPUTE_PGM_RSRC2:USER_SGPR: 2
; COMPUTE_PGM_RSRC2:TRAP_HANDLER: 0
; COMPUTE_PGM_RSRC2:TGID_X_EN: 1
; COMPUTE_PGM_RSRC2:TGID_Y_EN: 1
; COMPUTE_PGM_RSRC2:TGID_Z_EN: 0
; COMPUTE_PGM_RSRC2:TIDIG_COMP_CNT: 0
; COMPUTE_PGM_RSRC3_GFX90A:ACCUM_OFFSET: 46
; COMPUTE_PGM_RSRC3_GFX90A:TG_SPLIT: 0
	.section	.text._ZN12_GLOBAL__N_139chunk_gated_delta_rule_fwd_h_hip_kernelILi64ELb1ELb0ELb1ELb1ELb0ELb0ELb0ELb1EEEvPK12hip_bfloat16S3_S3_PKfS5_PKvPS1_S8_PvPKiSB_iiiiilll,"axG",@progbits,_ZN12_GLOBAL__N_139chunk_gated_delta_rule_fwd_h_hip_kernelILi64ELb1ELb0ELb1ELb1ELb0ELb0ELb0ELb1EEEvPK12hip_bfloat16S3_S3_PKfS5_PKvPS1_S8_PvPKiSB_iiiiilll,comdat
	.globl	_ZN12_GLOBAL__N_139chunk_gated_delta_rule_fwd_h_hip_kernelILi64ELb1ELb0ELb1ELb1ELb0ELb0ELb0ELb1EEEvPK12hip_bfloat16S3_S3_PKfS5_PKvPS1_S8_PvPKiSB_iiiiilll ; -- Begin function _ZN12_GLOBAL__N_139chunk_gated_delta_rule_fwd_h_hip_kernelILi64ELb1ELb0ELb1ELb1ELb0ELb0ELb0ELb1EEEvPK12hip_bfloat16S3_S3_PKfS5_PKvPS1_S8_PvPKiSB_iiiiilll
	.p2align	8
	.type	_ZN12_GLOBAL__N_139chunk_gated_delta_rule_fwd_h_hip_kernelILi64ELb1ELb0ELb1ELb1ELb0ELb0ELb0ELb1EEEvPK12hip_bfloat16S3_S3_PKfS5_PKvPS1_S8_PvPKiSB_iiiiilll,@function
_ZN12_GLOBAL__N_139chunk_gated_delta_rule_fwd_h_hip_kernelILi64ELb1ELb0ELb1ELb1ELb0ELb0ELb0ELb1EEEvPK12hip_bfloat16S3_S3_PKfS5_PKvPS1_S8_PvPKiSB_iiiiilll: ; @_ZN12_GLOBAL__N_139chunk_gated_delta_rule_fwd_h_hip_kernelILi64ELb1ELb0ELb1ELb1ELb0ELb0ELb0ELb1EEEvPK12hip_bfloat16S3_S3_PKfS5_PKvPS1_S8_PvPKiSB_iiiiilll
; %bb.0:
	s_load_dwordx4 s[12:15], s[0:1], 0x5c
	s_load_dwordx4 s[4:7], s[0:1], 0x48
	s_abs_i32 s9, s3
	s_ashr_i32 s8, s3, 31
	v_and_b32_e32 v79, 15, v0
	s_waitcnt lgkmcnt(0)
	s_abs_i32 s10, s13
	v_cvt_f32_u32_e32 v1, s10
	s_sub_i32 s16, 0, s10
	s_ashr_i32 s11, s13, 31
	s_xor_b32 s8, s8, s11
	v_rcp_iflag_f32_e32 v1, v1
	v_lshrrev_b32_e32 v77, 6, v0
	v_bfe_u32 v78, v0, 4, 2
	v_mov_b32_e32 v7, 0
	v_mul_f32_e32 v1, 0x4f7ffffe, v1
	v_cvt_u32_f32_e32 v1, v1
	v_and_b32_e32 v76, 63, v0
	v_lshlrev_b32_e32 v80, 3, v0
	v_lshrrev_b32_e32 v81, 3, v76
	v_readfirstlane_b32 s17, v1
	s_mul_i32 s16, s16, s17
	s_mul_hi_u32 s16, s17, s16
	s_add_i32 s17, s17, s16
	s_mul_hi_u32 s16, s9, s17
	s_mul_i32 s17, s16, s10
	s_sub_i32 s9, s9, s17
	s_add_i32 s18, s16, 1
	s_sub_i32 s17, s9, s10
	s_cmp_ge_u32 s9, s10
	s_cselect_b32 s16, s18, s16
	s_cselect_b32 s9, s17, s9
	s_add_i32 s17, s16, 1
	s_cmp_ge_u32 s9, s10
	s_cselect_b32 s9, s17, s16
	s_xor_b32 s9, s9, s8
	s_sub_i32 s24, s9, s8
	s_mul_i32 s20, s24, s13
	s_ashr_i32 s25, s24, 31
	s_sub_i32 s47, s3, s20
	s_lshl_b64 s[8:9], s[24:25], 2
	s_add_u32 s4, s4, s8
	s_addc_u32 s5, s5, s9
	s_add_u32 s26, s6, s8
	s_addc_u32 s27, s7, s9
	s_abs_i32 s3, s14
	v_cvt_f32_u32_e32 v1, s3
	s_load_dwordx2 s[34:35], s[4:5], 0x0
	s_sub_i32 s5, 0, s3
	s_lshl_b32 s2, s2, 6
	v_rcp_iflag_f32_e32 v1, v1
	s_load_dwordx4 s[16:19], s[0:1], 0x28
	s_load_dwordx2 s[28:29], s[0:1], 0x38
	s_waitcnt lgkmcnt(0)
	s_sub_i32 s50, s35, s34
	s_ashr_i32 s4, s50, 31
	v_mul_f32_e32 v1, 0x4f7ffffe, v1
	v_cvt_u32_f32_e32 v1, v1
	s_lshr_b32 s4, s4, 26
	s_add_i32 s4, s50, s4
	s_ashr_i32 s49, s4, 6
	v_readfirstlane_b32 s6, v1
	s_mul_i32 s5, s5, s6
	s_mul_hi_u32 s5, s6, s5
	s_add_i32 s6, s6, s5
	s_mul_hi_u32 s5, s10, s6
	s_mul_i32 s6, s5, s3
	s_ashr_i32 s4, s14, 31
	s_sub_i32 s6, s10, s6
	s_xor_b32 s4, s11, s4
	s_add_i32 s7, s5, 1
	s_sub_i32 s8, s6, s3
	s_cmp_ge_u32 s6, s3
	s_cselect_b32 s5, s7, s5
	s_cselect_b32 s6, s8, s6
	s_add_i32 s7, s5, 1
	s_cmp_ge_u32 s6, s3
	s_cselect_b32 s3, s7, s5
	s_xor_b32 s3, s3, s4
	s_sub_i32 s3, s3, s4
	s_abs_i32 s4, s3
	v_cvt_f32_u32_e32 v1, s4
	s_sub_i32 s6, 0, s4
	s_abs_i32 s5, s47
	s_xor_b32 s3, s47, s3
	v_rcp_iflag_f32_e32 v1, v1
	s_ashr_i32 s3, s3, 31
	v_or_b32_e32 v34, s2, v79
	v_lshlrev_b32_e32 v2, 7, v34
	v_mul_f32_e32 v1, 0x4f7ffffe, v1
	v_cvt_u32_f32_e32 v1, v1
	v_or_b32_e32 v10, 0x800, v2
	v_ashrrev_i32_e32 v3, 31, v2
	v_ashrrev_i32_e32 v11, 31, v10
	v_readfirstlane_b32 s7, v1
	s_mul_i32 s6, s6, s7
	s_mul_hi_u32 s6, s7, s6
	s_add_i32 s7, s7, s6
	s_mul_hi_u32 s6, s5, s7
	s_mul_i32 s7, s6, s4
	s_sub_i32 s5, s5, s7
	s_add_i32 s7, s6, 1
	s_sub_i32 s8, s5, s4
	s_cmp_ge_u32 s5, s4
	s_cselect_b32 s6, s7, s6
	s_cselect_b32 s5, s8, s5
	s_add_i32 s7, s6, 1
	s_cmp_ge_u32 s5, s4
	s_cselect_b32 s4, s7, s6
	s_xor_b32 s4, s4, s3
	s_sub_i32 s51, s4, s3
	s_ashr_i32 s48, s47, 31
	s_mul_hi_i32 s3, s24, s13
	s_add_u32 s4, s20, s47
	s_addc_u32 s5, s3, s48
	s_lshl_b64 s[4:5], s[4:5], 15
	v_lshlrev_b32_e32 v1, 4, v77
	s_add_u32 s4, s16, s4
	v_lshl_or_b32 v82, v78, 2, v1
	s_addc_u32 s5, s17, s5
	v_lshl_add_u64 v[4:5], v[2:3], 1, s[4:5]
	v_lshlrev_b32_e32 v6, 1, v82
	v_lshl_add_u64 v[10:11], v[10:11], 1, s[4:5]
	v_lshl_add_u64 v[4:5], v[4:5], 0, v[6:7]
	;; [unrolled: 1-line block ×3, first 2 shown]
	global_load_dwordx2 v[8:9], v[4:5], off
	v_or_b32_e32 v83, 64, v82
	global_load_dwordx2 v[4:5], v[4:5], off offset:128
	s_nop 0
	global_load_dwordx2 v[12:13], v[10:11], off
	global_load_dwordx2 v[14:15], v[10:11], off offset:128
	v_or_b32_e32 v10, 0x1000, v2
	v_or_b32_e32 v2, 0x1800, v2
	v_ashrrev_i32_e32 v11, 31, v10
	v_ashrrev_i32_e32 v3, 31, v2
	v_lshl_add_u64 v[10:11], v[10:11], 1, s[4:5]
	v_lshl_add_u64 v[2:3], v[2:3], 1, s[4:5]
	;; [unrolled: 1-line block ×4, first 2 shown]
	global_load_dwordx2 v[16:17], v[10:11], off
	s_mul_hi_i32 s52, s47, s12
	global_load_dwordx2 v[10:11], v[10:11], off offset:128
	s_nop 0
	global_load_dwordx2 v[6:7], v[2:3], off
	global_load_dwordx2 v[18:19], v[2:3], off offset:128
	s_load_dwordx8 s[4:11], s[0:1], 0x0
	s_load_dwordx2 s[30:31], s[0:1], 0x80
	s_load_dwordx4 s[20:23], s[0:1], 0x70
	s_load_dword s54, s[26:27], 0x0
	s_mul_i32 s53, s47, s12
	s_cmp_lt_i32 s50, 64
	s_waitcnt lgkmcnt(0)
	s_mul_i32 s33, s24, s21
	s_mul_hi_u32 s42, s24, s20
	s_mul_i32 s43, s25, s20
	s_mul_i32 s38, s24, s20
	;; [unrolled: 1-line block ×3, first 2 shown]
	s_mul_hi_u32 s45, s47, s22
	s_mul_i32 s46, s48, s22
	s_mul_i32 s36, s47, s22
	s_waitcnt vmcnt(7)
	v_and_b32_e32 v63, 0xffff0000, v8
	v_lshlrev_b32_e32 v62, 16, v8
	v_and_b32_e32 v67, 0xffff0000, v9
	v_lshlrev_b32_e32 v66, 16, v9
	s_waitcnt vmcnt(6)
	v_and_b32_e32 v61, 0xffff0000, v4
	v_lshlrev_b32_e32 v60, 16, v4
	v_and_b32_e32 v65, 0xffff0000, v5
	v_lshlrev_b32_e32 v64, 16, v5
	;; [unrolled: 5-line block ×8, first 2 shown]
	s_cbranch_scc1 .LBB115_18
; %bb.1:
	s_ashr_i32 s1, s34, 31
	s_add_u32 s0, s53, s34
	s_addc_u32 s1, s52, s1
	s_lshl_b64 s[0:1], s[0:1], 8
	v_and_b32_e32 v85, 56, v80
	s_add_u32 s20, s6, s0
	v_lshl_or_b32 v84, v77, 3, v81
	v_lshlrev_b32_e32 v2, 1, v85
	s_addc_u32 s0, s7, s1
	v_lshl_or_b32 v86, v84, 8, v2
	s_and_b32 s21, s0, 0xffff
	s_mov_b32 s23, 0x20000
	s_movk_i32 s22, 0x4000
	s_movk_i32 s0, 0x80
	v_or_b32_e32 v87, 0x2000, v86
	buffer_load_dwordx4 v[4:7], v86, s[20:23], 0 offen
	buffer_load_dwordx4 v[8:11], v86, s[20:23], s0 offen
	buffer_load_dwordx4 v[12:15], v87, s[20:23], 0 offen
	buffer_load_dwordx4 v[16:19], v87, s[20:23], s0 offen
	v_lshlrev_b32_e32 v3, 3, v84
	v_and_or_b32 v21, v0, 7, v3
	v_and_b32_e32 v3, 0x78, v3
	v_lshlrev_b32_e32 v21, 4, v21
	v_xor_b32_e32 v88, v21, v3
	v_mul_lo_u32 v20, v84, s15
	v_or_b32_e32 v89, 0x1000, v88
	v_xor_b32_e32 v3, 8, v88
	s_cmpk_eq_i32 s15, 0x80
	s_mov_b32 s55, s34
	v_xor_b32_e32 v21, 8, v89
	s_cselect_b64 s[0:1], -1, 0
	s_cmpk_lg_i32 s15, 0x80
	s_waitcnt vmcnt(3)
	ds_write_b64 v88, v[4:5] offset:49152
	ds_write_b64 v3, v[6:7] offset:49152
	s_waitcnt vmcnt(2)
	ds_write_b64 v88, v[8:9] offset:57344
	ds_write_b64 v3, v[10:11] offset:57344
	;; [unrolled: 3-line block ×4, first 2 shown]
	v_lshl_add_u32 v3, v20, 1, v85
	s_cbranch_scc0 .LBB115_3
; %bb.2:
	v_lshlrev_b32_e32 v5, 1, v3
	v_add_lshl_u32 v4, v3, s15, 1
	s_lshl_b32 s22, s15, 7
	v_lshl_or_b32 v2, v84, 9, v2
	s_cbranch_execz .LBB115_4
	s_branch .LBB115_5
.LBB115_3:
                                        ; implicit-def: $vgpr4
                                        ; implicit-def: $vgpr5
                                        ; implicit-def: $sgpr22
	v_lshl_or_b32 v2, v84, 9, v2
.LBB115_4:
	v_or_b32_e32 v4, 0x100, v2
	s_movk_i32 s22, 0x4000
	v_mov_b32_e32 v5, v2
.LBB115_5:
	s_mul_i32 s16, s34, s14
	s_ashr_i32 s56, s51, 31
	s_mul_hi_i32 s3, s34, s14
	s_add_u32 s16, s16, s51
	s_addc_u32 s17, s3, s56
	s_lshl_b64 s[16:17], s[16:17], 8
	s_add_u32 s20, s4, s16
	s_addc_u32 s3, s5, s17
	s_and_b32 s21, s3, 0xffff
	s_movk_i32 s57, 0x80
	buffer_load_dwordx4 v[6:9], v5, s[20:23], 0 offen
	buffer_load_dwordx4 v[10:13], v5, s[20:23], s57 offen
	;; [unrolled: 1-line block ×4, first 2 shown]
	v_and_b32_e32 v5, 6, v0
	v_lshlrev_b32_e32 v4, 7, v82
	v_xor_b32_e32 v27, v84, v5
	v_and_b32_e32 v22, 1, v0
	v_lshl_or_b32 v30, v79, 3, v4
	v_lshlrev_b32_e32 v27, 2, v27
	v_lshlrev_b32_e32 v23, 2, v79
	v_or_b32_e32 v90, 0x4000, v30
	v_or_b32_e32 v91, 0x6000, v30
	v_xor_b32_e32 v30, 0x440, v27
	v_cmp_eq_u32_e32 vcc, 0, v22
	v_or_b32_e32 v25, 16, v79
	v_or_b32_e32 v26, 32, v79
	v_xor_b32_e32 v28, v82, v23
	v_xor_b32_e32 v29, v83, v23
	v_cndmask_b32_e32 v22, v30, v27, vcc
	s_mov_b32 s58, 0x1000504
	v_lshl_or_b32 v31, v25, 3, v4
	v_lshlrev_b32_e32 v25, 8, v25
	v_lshl_or_b32 v32, v26, 3, v4
	v_lshlrev_b32_e32 v28, 1, v28
	v_lshlrev_b32_e32 v29, 1, v29
	v_lshl_or_b32 v5, v5, 10, v22
	s_add_i32 s3, s42, s33
	s_mov_b32 s59, 0x3020706
	v_lshlrev_b32_e32 v24, 8, v79
	v_or_b32_e32 v94, 0x4000, v32
	v_or_b32_e32 v95, 0x6000, v32
	;; [unrolled: 1-line block ×4, first 2 shown]
	v_xor_b32_e32 v22, 8, v5
	v_xor_b32_e32 v25, 24, v5
	;; [unrolled: 1-line block ×4, first 2 shown]
	s_add_i32 s39, s3, s43
	s_add_i32 s3, s45, s44
	v_or_b32_e32 v92, 0x4000, v31
	v_or_b32_e32 v93, 0x6000, v31
	;; [unrolled: 1-line block ×4, first 2 shown]
	v_xor_b32_e32 v24, 16, v5
	v_xor_b32_e32 v27, 32, v5
	;; [unrolled: 1-line block ×3, first 2 shown]
	v_add_u32_e32 v22, 0x80, v22
	v_add_u32_e32 v25, 0x80, v25
	;; [unrolled: 1-line block ×4, first 2 shown]
	s_add_i32 s37, s3, s46
	s_lshl_b64 s[16:17], s[38:39], 2
	s_add_u32 s3, s10, s16
	s_addc_u32 s20, s11, s17
	s_lshl_b64 s[16:17], s[36:37], 2
	s_add_u32 s16, s3, s16
	s_movk_i32 s3, 0xf8
	s_addc_u32 s17, s20, s17
	s_lshl_b32 s26, s15, 7
	s_movk_i32 s24, 0x100
	v_mov_b32_e32 v69, 0
	v_lshlrev_b32_e32 v68, 4, v79
	v_cmp_gt_u32_e32 vcc, s24, v0
	v_lshlrev_b32_e32 v26, 8, v26
	s_mov_b32 s60, 0
	s_movk_i32 s22, 0x4000
	v_or_b32_e32 v100, v26, v28
	v_or_b32_e32 v101, v26, v29
	s_movk_i32 s37, 0x2000
	s_movk_i32 s39, 0x3000
	v_mov_b32_e32 v133, 0x3fb8aa3b
	s_waitcnt vmcnt(1)
	v_perm_b32 v33, v6, v14, s58
	s_waitcnt vmcnt(0)
	v_perm_b32 v35, v10, v18, s58
	v_perm_b32 v6, v6, v14, s59
	v_perm_b32 v10, v10, v18, s59
	v_perm_b32 v14, v7, v15, s58
	v_perm_b32 v18, v11, v19, s58
	v_perm_b32 v7, v7, v15, s59
	v_perm_b32 v11, v11, v19, s59
	v_perm_b32 v15, v8, v16, s58
	v_perm_b32 v19, v12, v20, s58
	v_perm_b32 v8, v8, v16, s59
	v_perm_b32 v12, v12, v20, s59
	v_perm_b32 v16, v9, v17, s58
	v_perm_b32 v20, v13, v21, s58
	v_perm_b32 v9, v9, v17, s59
	v_perm_b32 v13, v13, v21, s59
	ds_write2st64_b32 v5, v33, v35 offset0:128 offset1:160
	ds_write2st64_b32 v22, v6, v10 offset0:128 offset1:160
	;; [unrolled: 1-line block ×8, first 2 shown]
	v_or_b32_e32 v5, 48, v79
	v_lshl_or_b32 v6, v5, 3, v4
	v_lshlrev_b32_e32 v5, 8, v5
	v_or_b32_e32 v104, v5, v28
	v_or_b32_e32 v105, v5, v29
	;; [unrolled: 1-line block ×3, first 2 shown]
	v_lshlrev_b32_e32 v5, 3, v5
	v_lshrrev_b32_e32 v7, 5, v76
	v_and_or_b32 v7, v5, s3, v7
	v_lshlrev_b32_e32 v7, 4, v7
	v_lshlrev_b32_e32 v8, 11, v77
	v_and_b32_e32 v5, 0x78, v5
	v_or_b32_e32 v13, 32, v7
	v_or_b32_e32 v102, 0x4000, v6
	;; [unrolled: 1-line block ×3, first 2 shown]
	v_and_b32_e32 v6, 0x1000, v8
	v_xor_b32_e32 v9, v7, v5
	v_lshrrev_b32_e32 v10, 1, v0
	v_xor_b32_e32 v13, v13, v5
	v_or_b32_e32 v9, v9, v6
	v_and_b32_e32 v11, 8, v10
	v_or_b32_e32 v13, v13, v6
	v_xor_b32_e32 v106, v9, v11
	v_lshlrev_b32_e32 v9, 8, v78
	v_xor_b32_e32 v108, v13, v11
	v_or_b32_e32 v13, 64, v7
	v_or_b32_e32 v7, 0x60, v7
	s_ashr_i32 s3, s2, 31
	v_or_b32_e32 v12, v9, v23
	v_xor_b32_e32 v13, v13, v5
	v_xor_b32_e32 v5, v7, v5
	s_lshl_b64 s[20:21], s[2:3], 8
	v_lshlrev_b32_e32 v12, 1, v12
	v_or_b32_e32 v13, v13, v6
	v_or_b32_e32 v5, v5, v6
	s_add_u32 s20, s18, s20
	v_lshlrev_b32_e32 v6, 1, v79
	v_or_b32_e32 v107, 0x4000, v12
	v_or_b32_e32 v109, 0x4080, v12
	;; [unrolled: 1-line block ×8, first 2 shown]
	v_lshrrev_b32_e32 v12, 4, v0
	s_addc_u32 s21, s19, s21
	v_or_b32_e32 v7, 1, v6
	v_mov_b32_e32 v16, 0xa000
	v_mov_b32_e32 v17, 0x8000
	v_xor_b32_e32 v112, v13, v11
	v_xor_b32_e32 v13, v12, v6
	;; [unrolled: 1-line block ×3, first 2 shown]
	v_lshl_add_u64 v[6:7], s[20:21], 0, v[68:69]
	v_lshlrev_b32_e32 v68, 8, v12
	v_cndmask_b32_e32 v16, v16, v17, vcc
	v_lshlrev_b32_e32 v17, 3, v77
	v_and_b32_e32 v10, 24, v10
	v_lshl_or_b32 v118, v13, 3, v68
	v_and_b32_e32 v13, 8, v0
	v_xor_b32_e32 v18, v17, v10
	v_or_b32_e32 v19, 0x440, v18
	v_cmp_eq_u32_e32 vcc, 0, v13
	v_and_b32_e32 v12, 7, v0
	v_lshl_or_b32 v119, v14, 3, v68
	v_cndmask_b32_e32 v13, v19, v18, vcc
	v_lshlrev_b32_e32 v14, 3, v12
	v_lshlrev_b32_e32 v12, 7, v12
	v_or_b32_e32 v13, v13, v8
	v_lshlrev_b32_e32 v15, 2, v0
	v_xad_u32 v120, v13, v14, v12
	v_or_b32_e32 v13, 32, v10
	v_and_or_b32 v9, v15, 60, v9
	v_xor_b32_e32 v13, v17, v13
	v_lshlrev_b32_e32 v9, 1, v9
	v_or_b32_e32 v15, 0x440, v13
	v_or_b32_e32 v121, 0x6000, v9
	v_cndmask_b32_e32 v13, v15, v13, vcc
	v_or_b32_e32 v123, 0x6080, v9
	v_or_b32_e32 v124, 0x6100, v9
	;; [unrolled: 1-line block ×5, first 2 shown]
	v_xor_b32_e32 v9, v17, v9
	v_xad_u32 v122, v13, v14, v12
	v_xor_b32_e32 v13, 0x440, v9
	v_cndmask_b32_e32 v9, v13, v9, vcc
	v_or_b32_e32 v9, v9, v8
	v_xad_u32 v126, v9, v14, v12
	v_or_b32_e32 v9, 0x60, v10
	v_xor_b32_e32 v9, v17, v9
	v_xor_b32_e32 v10, 0x440, v9
	v_cndmask_b32_e32 v9, v10, v9, vcc
	v_xor_b32_e32 v113, v5, v11
	v_ashrrev_i32_e32 v35, 31, v34
	v_lshlrev_b32_e32 v5, 1, v3
	v_add_lshl_u32 v3, v3, s15, 1
	v_or_b32_e32 v11, 0x100, v2
	v_or_b32_e32 v8, v9, v8
	v_xad_u32 v127, v8, v14, v12
	v_cndmask_b32_e64 v128, v5, v2, s[0:1]
	v_cndmask_b32_e64 v129, v3, v11, s[0:1]
	v_lshlrev_b64 v[2:3], 1, v[34:35]
	v_lshl_add_u64 v[70:71], s[8:9], 0, v[2:3]
	v_lshl_add_u64 v[72:73], s[28:29], 0, v[2:3]
	;; [unrolled: 1-line block ×3, first 2 shown]
	s_mov_b32 s3, 0x7060302
	v_lshlrev_b32_e32 v68, 1, v4
	v_add_u32_e32 v35, v16, v120
	v_add_u32_e32 v130, v16, v122
	;; [unrolled: 1-line block ×4, first 2 shown]
	s_waitcnt lgkmcnt(0)
	s_barrier
.LBB115_6:                              ; =>This Inner Loop Header: Depth=1
	s_add_i32 s61, s60, 1
	s_cmp_lt_i32 s61, s49
	s_mov_b64 s[24:25], 0
	s_cselect_b64 s[40:41], -1, 0
	s_cmp_ge_i32 s61, s49
	s_mov_b64 s[20:21], 0
	s_cbranch_scc1 .LBB115_8
; %bb.7:                                ;   in Loop: Header=BB115_6 Depth=1
	s_add_i32 s0, s55, 64
	s_ashr_i32 s1, s0, 31
	s_add_u32 s0, s53, s0
	s_addc_u32 s1, s52, s1
	s_lshl_b64 s[0:1], s[0:1], 8
	s_add_u32 s20, s6, s0
	s_addc_u32 s21, s7, s1
.LBB115_8:                              ;   in Loop: Header=BB115_6 Depth=1
	v_cndmask_b32_e64 v2, 0, 1, s[40:41]
	v_cmp_ne_u32_e64 s[0:1], 1, v2
	s_andn2_b64 vcc, exec, s[40:41]
	s_cbranch_vccnz .LBB115_10
; %bb.9:                                ;   in Loop: Header=BB115_6 Depth=1
	s_add_i32 s24, s55, 64
	s_mul_hi_i32 s25, s24, s14
	s_mul_i32 s24, s24, s14
	s_add_u32 s24, s24, s51
	s_addc_u32 s25, s25, s56
	s_lshl_b64 s[24:25], s[24:25], 8
	s_add_u32 s24, s4, s24
	s_addc_u32 s25, s5, s25
.LBB115_10:                             ;   in Loop: Header=BB115_6 Depth=1
	v_perm_b32 v3, v67, v66, s3
	v_perm_b32 v2, v63, v62, s3
	v_perm_b32 v5, v65, v64, s3
	v_perm_b32 v4, v61, v60, s3
	ds_write_b64 v90, v[2:3]
	ds_write_b64 v91, v[4:5]
	ds_write_b64 v96, v[2:3]
	ds_write_b64 v97, v[4:5]
	v_perm_b32 v3, v59, v58, s3
	v_perm_b32 v2, v55, v54, s3
	v_perm_b32 v5, v57, v56, s3
	v_perm_b32 v4, v53, v52, s3
	ds_write_b64 v92, v[2:3]
	ds_write_b64 v93, v[4:5]
	ds_write_b64 v98, v[2:3]
	ds_write_b64 v99, v[4:5]
	v_perm_b32 v3, v51, v50, s3
	v_perm_b32 v2, v47, v46, s3
	v_perm_b32 v5, v49, v48, s3
	v_perm_b32 v4, v45, v44, s3
	ds_write_b64 v94, v[2:3]
	ds_write_b64 v95, v[4:5]
	ds_write_b64 v100, v[2:3]
	ds_write_b64 v101, v[4:5]
	v_perm_b32 v3, v43, v42, s3
	v_perm_b32 v2, v39, v38, s3
	v_perm_b32 v5, v41, v40, s3
	v_perm_b32 v4, v37, v36, s3
	ds_write_b64 v102, v[2:3]
	ds_write_b64 v103, v[4:5]
	ds_write_b64 v104, v[2:3]
	ds_write_b64 v105, v[4:5]
	s_waitcnt lgkmcnt(0)
	s_barrier
	ds_read_b64 v[6:7], v106 offset:49152
	ds_read2_b64 v[2:5], v107 offset1:16
	ds_read_b64 v[18:19], v109 offset:6144
	ds_read_b64 v[20:21], v107 offset:6144
	s_waitcnt lgkmcnt(2)
	v_mfma_f32_16x16x16_bf16 a[0:3], v[6:7], v[2:3], 0
	ds_read_b64 v[22:23], v108 offset:49152
	ds_read2st64_b64 v[10:13], v110 offset0:4 offset1:8
	ds_read2st64_b64 v[14:17], v111 offset0:4 offset1:8
	v_mfma_f32_16x16x16_bf16 a[4:7], v[6:7], v[4:5], 0
	ds_read2_b64 v[2:5], v107 offset0:32 offset1:48
	s_add_i32 s27, s55, 63
	s_ashr_i32 s40, s27, 31
	s_waitcnt lgkmcnt(0)
	v_mfma_f32_16x16x16_bf16 a[8:11], v[6:7], v[2:3], 0
	s_mul_i32 s41, s27, s31
	s_mul_hi_u32 s62, s27, s30
	s_add_i32 s41, s62, s41
	v_mfma_f32_16x16x16_bf16 a[12:15], v[6:7], v[4:5], 0
	ds_read2st64_b64 v[2:5], v107 offset0:4 offset1:8
	ds_read2st64_b64 v[6:9], v109 offset0:4 offset1:8
	s_mul_i32 s40, s40, s30
	s_waitcnt lgkmcnt(1)
	v_mfma_f32_16x16x16_bf16 a[0:3], v[22:23], v[2:3], a[0:3]
	s_add_i32 s41, s41, s40
	s_mul_i32 s40, s27, s30
	s_lshl_b64 s[40:41], s[40:41], 2
	s_waitcnt lgkmcnt(0)
	v_mfma_f32_16x16x16_bf16 a[4:7], v[22:23], v[6:7], a[4:7]
	s_add_u32 s40, s16, s40
	s_addc_u32 s41, s17, s41
	s_and_b64 vcc, exec, s[0:1]
	v_mfma_f32_16x16x16_bf16 a[8:11], v[22:23], v[10:11], a[8:11]
	ds_read_b64 v[2:3], v112 offset:49152
	ds_read_b64 v[6:7], v113 offset:49152
	;; [unrolled: 1-line block ×3, first 2 shown]
	v_mov_b32_e32 v136, 0
	v_mov_b32_e32 v135, 0
	v_mfma_f32_16x16x16_bf16 a[12:15], v[22:23], v[14:15], a[12:15]
	v_mov_b32_e32 v134, 0
	v_mov_b32_e32 v14, 0
	;; [unrolled: 1-line block ×3, first 2 shown]
	s_waitcnt lgkmcnt(2)
	v_mfma_f32_16x16x16_bf16 a[0:3], v[2:3], v[4:5], a[0:3]
	v_mov_b32_e32 v4, 0
	v_mov_b32_e32 v5, 0
	v_mfma_f32_16x16x16_bf16 a[4:7], v[2:3], v[8:9], a[4:7]
	v_mov_b32_e32 v8, 0
	v_mov_b32_e32 v9, 0
	;; [unrolled: 3-line block ×3, first 2 shown]
	v_mfma_f32_16x16x16_bf16 a[12:15], v[2:3], v[16:17], a[12:15]
	ds_read_b64 v[2:3], v110 offset:6144
	v_mov_b32_e32 v16, 0
	v_mov_b32_e32 v17, 0
	s_waitcnt lgkmcnt(2)
	v_mfma_f32_16x16x16_bf16 a[0:3], v[6:7], v[20:21], a[0:3]
	v_mfma_f32_16x16x16_bf16 a[4:7], v[6:7], v[18:19], a[4:7]
	s_waitcnt lgkmcnt(0)
	v_mfma_f32_16x16x16_bf16 a[8:11], v[6:7], v[2:3], a[8:11]
	v_mov_b32_e32 v2, 0
	v_mov_b32_e32 v3, 0
	v_mfma_f32_16x16x16_bf16 a[12:15], v[6:7], v[10:11], a[12:15]
	v_mov_b32_e32 v6, 0
	v_mov_b32_e32 v7, 0
	;; [unrolled: 1-line block ×4, first 2 shown]
	s_cbranch_vccnz .LBB115_12
; %bb.11:                               ;   in Loop: Header=BB115_6 Depth=1
	s_and_b32 s21, s21, 0xffff
	buffer_load_dwordx4 v[14:17], v86, s[20:23], 0 offen
	buffer_load_dwordx4 v[10:13], v86, s[20:23], s57 offen
	;; [unrolled: 1-line block ×4, first 2 shown]
	v_mov_b32_e32 v135, v88
	v_mov_b32_e32 v134, v89
.LBB115_12:                             ;   in Loop: Header=BB115_6 Depth=1
	ds_read_b64 v[142:143], v106 offset:57344
	ds_read2_b64 v[18:21], v114 offset1:16
	ds_read_b64 v[144:145], v108 offset:57344
	ds_read_b64 v[146:147], v112 offset:57344
	;; [unrolled: 1-line block ×3, first 2 shown]
	v_add_u32_e32 v137, s55, v82
	s_waitcnt lgkmcnt(3)
	v_mfma_f32_16x16x16_bf16 a[0:3], v[142:143], v[18:19], a[0:3]
	v_mfma_f32_16x16x16_bf16 a[4:7], v[142:143], v[20:21], a[4:7]
	ds_read2_b64 v[18:21], v114 offset0:32 offset1:48
	ds_read2st64_b64 v[22:25], v114 offset0:4 offset1:8
	ds_read2st64_b64 v[26:29], v115 offset0:4 offset1:8
	;; [unrolled: 1-line block ×4, first 2 shown]
	s_waitcnt lgkmcnt(4)
	v_mfma_f32_16x16x16_bf16 a[8:11], v[142:143], v[18:19], a[8:11]
	v_ashrrev_i32_e32 v18, 31, v137
	v_mfma_f32_16x16x16_bf16 a[12:15], v[142:143], v[20:21], a[12:15]
	v_mul_lo_u32 v20, v18, s30
	v_mul_lo_u32 v21, v137, s31
	v_mad_u64_u32 v[18:19], s[20:21], v137, s30, 0
	v_add3_u32 v19, v19, v21, v20
	v_add_u32_e32 v20, 1, v137
	v_ashrrev_i32_e32 v21, 31, v20
	s_waitcnt lgkmcnt(3)
	v_mfma_f32_16x16x16_bf16 a[0:3], v[144:145], v[22:23], a[0:3]
	v_mul_lo_u32 v22, v21, s30
	v_mul_lo_u32 v23, v20, s31
	v_mad_u64_u32 v[20:21], s[20:21], v20, s30, 0
	v_add3_u32 v21, v21, v23, v22
	v_add_u32_e32 v22, 2, v137
	v_ashrrev_i32_e32 v23, 31, v22
	s_waitcnt lgkmcnt(2)
	v_mfma_f32_16x16x16_bf16 a[4:7], v[144:145], v[26:27], a[4:7]
	v_mul_lo_u32 v26, v23, s30
	v_mul_lo_u32 v27, v22, s31
	v_mad_u64_u32 v[22:23], s[20:21], v22, s30, 0
	v_lshl_add_u64 v[18:19], v[18:19], 2, s[16:17]
	v_lshl_add_u64 v[20:21], v[20:21], 2, s[16:17]
	v_add3_u32 v23, v23, v27, v26
	v_add_u32_e32 v26, 3, v137
	s_waitcnt lgkmcnt(1)
	v_mfma_f32_16x16x16_bf16 a[8:11], v[144:145], v[30:31], a[8:11]
	global_load_dword v31, v[18:19], off
	global_load_dword v137, v[20:21], off
	v_mad_u64_u32 v[18:19], s[20:21], v26, s30, 0
	v_ashrrev_i32_e32 v27, 31, v26
	s_ashr_i32 s21, s55, 31
	v_mul_lo_u32 v27, v27, s30
	v_mul_lo_u32 v30, v26, s31
	s_add_u32 s20, s53, s55
	v_lshl_add_u64 v[22:23], v[22:23], 2, s[16:17]
	v_add3_u32 v19, v19, v30, v27
	s_addc_u32 s21, s52, s21
	s_waitcnt lgkmcnt(0)
	v_mfma_f32_16x16x16_bf16 a[12:15], v[144:145], v[138:139], a[12:15]
	v_lshl_add_u64 v[18:19], v[18:19], 2, s[16:17]
	global_load_dword v30, v[22:23], off
	global_load_dword v138, v[18:19], off
	s_lshl_b64 s[20:21], s[20:21], 8
	v_lshl_add_u64 v[18:19], v[70:71], 0, s[20:21]
	v_lshl_add_u64 v[18:19], v[18:19], 0, v[68:69]
	global_load_ushort v139, v[18:19], off offset:256
	global_load_ushort v142, v[18:19], off
	global_load_ushort v143, v[18:19], off offset:768
	global_load_ushort v144, v[18:19], off offset:512
	;; [unrolled: 1-line block ×6, first 2 shown]
	s_load_dword s40, s[40:41], 0x0
	v_mfma_f32_16x16x16_bf16 a[12:15], v[146:147], v[140:141], a[12:15]
	global_load_ushort v140, v[18:19], off offset:320
	global_load_ushort v141, v[18:19], off offset:64
	s_and_b64 vcc, exec, s[0:1]
	v_mfma_f32_16x16x16_bf16 a[0:3], v[146:147], v[24:25], a[0:3]
	ds_read_b64 v[20:21], v114 offset:6144
	ds_read_b64 v[22:23], v115 offset:6144
	;; [unrolled: 1-line block ×4, first 2 shown]
	v_mfma_f32_16x16x16_bf16 a[4:7], v[146:147], v[28:29], a[4:7]
	s_waitcnt vmcnt(11) lgkmcnt(0)
	v_sub_f32_e32 v28, s40, v30
	v_mfma_f32_16x16x16_bf16 a[8:11], v[146:147], v[32:33], a[8:11]
	global_load_ushort v146, v[18:19], off offset:832
	global_load_ushort v147, v[18:19], off offset:576
	;; [unrolled: 1-line block ×6, first 2 shown]
	v_mfma_f32_16x16x16_bf16 a[0:3], v[148:149], v[20:21], a[0:3]
	s_waitcnt vmcnt(16)
	v_sub_f32_e32 v29, s40, v138
	v_mul_f32_e32 v28, 0x3fb8aa3b, v28
	v_mul_f32_e32 v29, 0x3fb8aa3b, v29
	v_exp_f32_e32 v28, v28
	v_exp_f32_e32 v29, v29
	s_waitcnt vmcnt(15)
	v_lshlrev_b32_e32 v33, 16, v139
	s_waitcnt vmcnt(14)
	v_lshlrev_b32_e32 v32, 16, v142
	v_accvgpr_read_b32 v21, a3
	v_accvgpr_read_b32 v20, a2
	v_mfma_f32_16x16x16_bf16 a[2:5], v[148:149], v[22:23], a[4:7]
	v_accvgpr_read_b32 v139, a1
	v_accvgpr_read_b32 v138, a0
	v_pk_add_f32 v[32:33], v[32:33], v[138:139] neg_lo:[0,1] neg_hi:[0,1]
	v_mfma_f32_16x16x16_bf16 a[6:9], v[148:149], v[24:25], a[8:11]
	s_waitcnt vmcnt(13)
	v_lshlrev_b32_e32 v139, 16, v143
	s_waitcnt vmcnt(12)
	v_lshlrev_b32_e32 v138, 16, v144
	v_pk_add_f32 v[20:21], v[138:139], v[20:21] neg_lo:[0,1] neg_hi:[0,1]
	v_accvgpr_read_b32 v139, a3
	v_accvgpr_read_b32 v138, a2
	;; [unrolled: 1-line block ×6, first 2 shown]
	v_mfma_f32_16x16x16_bf16 a[8:11], v[148:149], v[26:27], a[12:15]
	v_sub_f32_e32 v26, s40, v31
	v_sub_f32_e32 v27, s40, v137
	v_mul_f32_e32 v26, 0x3fb8aa3b, v26
	v_mul_f32_e32 v27, 0x3fb8aa3b, v27
	v_exp_f32_e32 v26, v26
	v_exp_f32_e32 v27, v27
	v_lshl_add_u64 v[30:31], v[72:73], 0, s[20:21]
	v_lshl_add_u64 v[30:31], v[30:31], 0, v[68:69]
	global_store_short_d16_hi v[30:31], v32, off
	global_store_short_d16_hi v[30:31], v33, off offset:256
	global_store_short_d16_hi v[30:31], v20, off offset:512
	;; [unrolled: 1-line block ×3, first 2 shown]
	v_pk_mul_f32 v[32:33], v[26:27], v[32:33]
	v_pk_mul_f32 v[20:21], v[28:29], v[20:21]
	v_accvgpr_read_b32 v25, a11
	v_perm_b32 v21, v21, v20, s3
	v_perm_b32 v20, v33, v32, s3
	s_waitcnt vmcnt(15)
	v_lshlrev_b32_e32 v33, 16, v145
	s_waitcnt vmcnt(14)
	v_lshlrev_b32_e32 v32, 16, v150
	v_pk_add_f32 v[32:33], v[32:33], v[138:139] neg_lo:[0,1] neg_hi:[0,1]
	s_waitcnt vmcnt(13)
	v_lshlrev_b32_e32 v139, 16, v151
	s_waitcnt vmcnt(12)
	v_lshlrev_b32_e32 v138, 16, v152
	v_pk_add_f32 v[22:23], v[138:139], v[22:23] neg_lo:[0,1] neg_hi:[0,1]
	global_store_short_d16_hi v[30:31], v32, off offset:32
	global_store_short_d16_hi v[30:31], v33, off offset:288
	;; [unrolled: 1-line block ×4, first 2 shown]
	v_pk_mul_f32 v[32:33], v[26:27], v[32:33]
	v_pk_mul_f32 v[22:23], v[28:29], v[22:23]
	v_accvgpr_read_b32 v24, a10
	v_perm_b32 v23, v23, v22, s3
	v_perm_b32 v22, v33, v32, s3
	ds_write2_b64 v91, v[20:21], v[22:23] offset1:16
	v_accvgpr_read_b32 v23, a7
	s_waitcnt vmcnt(15)
	v_lshlrev_b32_e32 v21, 16, v140
	s_waitcnt vmcnt(14)
	v_lshlrev_b32_e32 v20, 16, v141
	v_accvgpr_read_b32 v22, a6
	v_pk_add_f32 v[20:21], v[20:21], v[22:23] neg_lo:[0,1] neg_hi:[0,1]
	global_store_short_d16_hi v[30:31], v20, off offset:64
	global_store_short_d16_hi v[30:31], v21, off offset:320
	v_pk_mul_f32 v[20:21], v[26:27], v[20:21]
	v_mov_b32_e32 v137, 0
	v_perm_b32 v20, v21, v20, s3
	v_mov_b32_e32 v32, 0
	v_mov_b32_e32 v33, 0
	s_waitcnt vmcnt(15)
	v_lshlrev_b32_e32 v23, 16, v146
	s_waitcnt vmcnt(14)
	v_lshlrev_b32_e32 v22, 16, v147
	v_pk_add_f32 v[18:19], v[22:23], v[18:19] neg_lo:[0,1] neg_hi:[0,1]
	global_store_short_d16_hi v[30:31], v18, off offset:576
	global_store_short_d16_hi v[30:31], v19, off offset:832
	v_pk_mul_f32 v[18:19], v[28:29], v[18:19]
	v_accvgpr_read_b32 v23, a9
	v_perm_b32 v21, v19, v18, s3
	s_waitcnt vmcnt(15)
	v_lshlrev_b32_e32 v19, 16, v153
	s_waitcnt vmcnt(14)
	v_lshlrev_b32_e32 v18, 16, v154
	v_accvgpr_read_b32 v22, a8
	v_pk_add_f32 v[18:19], v[18:19], v[22:23] neg_lo:[0,1] neg_hi:[0,1]
	s_waitcnt vmcnt(13)
	v_lshlrev_b32_e32 v23, 16, v155
	s_waitcnt vmcnt(12)
	v_lshlrev_b32_e32 v22, 16, v156
	v_pk_add_f32 v[22:23], v[22:23], v[24:25] neg_lo:[0,1] neg_hi:[0,1]
	global_store_short_d16_hi v[30:31], v18, off offset:96
	global_store_short_d16_hi v[30:31], v19, off offset:352
	;; [unrolled: 1-line block ×4, first 2 shown]
	v_pk_mul_f32 v[18:19], v[26:27], v[18:19]
	v_pk_mul_f32 v[22:23], v[28:29], v[22:23]
	v_mov_b32_e32 v24, 0
	v_perm_b32 v23, v23, v22, s3
	v_perm_b32 v22, v19, v18, s3
	ds_write2_b64 v91, v[20:21], v[22:23] offset0:32 offset1:48
	v_mov_b32_e32 v18, 0
	v_mov_b32_e32 v19, 0
	;; [unrolled: 1-line block ×13, first 2 shown]
	s_cbranch_vccnz .LBB115_14
; %bb.13:                               ;   in Loop: Header=BB115_6 Depth=1
	s_and_b32 s25, s25, 0xffff
	s_mov_b32 s27, s23
	buffer_load_dwordx4 v[30:33], v128, s[24:27], 0 offen
	buffer_load_dwordx4 v[22:25], v128, s[24:27], s57 offen
	;; [unrolled: 1-line block ×4, first 2 shown]
	v_mov_b32_e32 v136, v85
	v_mov_b32_e32 v137, v84
.LBB115_14:                             ;   in Loop: Header=BB115_6 Depth=1
	s_waitcnt lgkmcnt(0)
	s_barrier
	ds_read_b64 v[146:147], v35
	ds_read2_b64 v[138:141], v121 offset1:16
	ds_read_b64 v[162:163], v130
	ds_read_b64 v[164:165], v131
	;; [unrolled: 1-line block ×3, first 2 shown]
	ds_read2_b64 v[142:145], v121 offset0:32 offset1:48
	s_waitcnt lgkmcnt(4)
	v_mfma_f32_16x16x16_bf16 a[0:3], v[146:147], v[138:139], 0
	ds_read2st64_b64 v[150:153], v123 offset0:4 offset1:8
	ds_read2st64_b64 v[154:157], v124 offset0:4 offset1:8
	ds_read2st64_b64 v[158:161], v125 offset0:4 offset1:8
	v_mfma_f32_16x16x16_bf16 a[4:7], v[146:147], v[140:141], 0
	s_add_i32 s20, s54, s60
	s_mul_hi_i32 s21, s20, s13
	s_mul_i32 s20, s20, s13
	s_waitcnt lgkmcnt(3)
	v_mfma_f32_16x16x16_bf16 a[8:11], v[146:147], v[142:143], 0
	s_add_u32 s20, s20, s47
	s_addc_u32 s21, s21, s48
	s_lshl_b64 s[20:21], s[20:21], 15
	v_mfma_f32_16x16x16_bf16 a[12:15], v[146:147], v[144:145], 0
	ds_read2st64_b64 v[146:149], v121 offset0:4 offset1:8
	s_waitcnt lgkmcnt(0)
	v_mfma_f32_16x16x16_bf16 a[0:3], v[162:163], v[146:147], a[0:3]
	v_mfma_f32_16x16x16_bf16 a[4:7], v[162:163], v[150:151], a[4:7]
	;; [unrolled: 1-line block ×8, first 2 shown]
	ds_read_b64 v[162:163], v121 offset:6144
	ds_read_b64 v[164:165], v122 offset:40960
	;; [unrolled: 1-line block ×8, first 2 shown]
	s_waitcnt lgkmcnt(5)
	v_mfma_f32_16x16x16_bf16 a[16:19], v[168:169], v[138:139], 0
	v_mfma_f32_16x16x16_bf16 a[20:23], v[168:169], v[140:141], 0
	ds_read2st64_b64 v[138:141], v118 offset1:8
	v_mfma_f32_16x16x16_bf16 a[24:27], v[168:169], v[142:143], 0
	v_mfma_f32_16x16x16_bf16 a[28:31], v[168:169], v[144:145], 0
	ds_read2st64_b64 v[142:145], v119 offset1:8
	v_mfma_f32_16x16x16_bf16 a[16:19], v[164:165], v[146:147], a[16:19]
	s_waitcnt lgkmcnt(1)
	v_mov_b32_e32 v146, v138
	v_mov_b32_e32 v147, v139
	v_mfma_f32_16x16x16_bf16 a[20:23], v[164:165], v[150:151], a[20:23]
	v_lshl_add_u64 v[150:151], v[74:75], 0, s[20:21]
	v_mfma_f32_16x16x16_bf16 a[24:27], v[164:165], v[154:155], a[24:27]
	v_mfma_f32_16x16x16_bf16 a[28:31], v[164:165], v[158:159], a[28:31]
	;; [unrolled: 1-line block ×3, first 2 shown]
	s_waitcnt lgkmcnt(0)
	v_mov_b32_e32 v148, v142
	v_mov_b32_e32 v149, v143
	;; [unrolled: 1-line block ×3, first 2 shown]
	v_mfma_f32_16x16x16_bf16 a[32:35], v[176:177], v[152:153], a[20:23]
	v_mov_b32_e32 v143, v141
	ds_read2st64_b64 v[138:141], v118 offset0:16 offset1:24
	global_store_dwordx4 v[150:151], v[146:149], off
	v_mfma_f32_16x16x16_bf16 a[24:27], v[176:177], v[156:157], a[24:27]
	ds_read2st64_b64 v[146:149], v119 offset0:16 offset1:24
	v_add_co_u32_e32 v152, vcc, s37, v150
	v_mfma_f32_16x16x16_bf16 a[28:31], v[176:177], v[160:161], a[28:31]
	s_nop 0
	v_addc_co_u32_e32 v153, vcc, 0, v151, vcc
	global_store_dwordx4 v[152:153], v[142:145], off offset:-4096
	v_mfma_f32_16x16x16_bf16 a[0:3], v[166:167], v[162:163], a[0:3]
	s_waitcnt lgkmcnt(1)
	v_mov_b32_e32 v142, v138
	v_add_co_u32_e32 v138, vcc, s39, v150
	v_mfma_f32_16x16x16_bf16 a[4:7], v[166:167], v[170:171], a[4:7]
	v_mov_b32_e32 v143, v139
	v_addc_co_u32_e32 v139, vcc, 0, v151, vcc
	v_mfma_f32_16x16x16_bf16 a[8:11], v[166:167], v[172:173], a[8:11]
	s_waitcnt lgkmcnt(0)
	v_mov_b32_e32 v144, v146
	v_mov_b32_e32 v145, v147
	;; [unrolled: 1-line block ×3, first 2 shown]
	v_mfma_f32_16x16x16_bf16 a[12:15], v[166:167], v[174:175], a[12:15]
	v_mov_b32_e32 v147, v141
	s_and_b64 vcc, exec, s[0:1]
	global_store_dwordx4 v[152:153], v[142:145], off
	v_mfma_f32_16x16x16_bf16 a[20:23], v[178:179], v[162:163], a[16:19]
	global_store_dwordx4 v[138:139], v[146:149], off
	v_mfma_f32_16x16x16_bf16 a[16:19], v[178:179], v[170:171], a[32:35]
	v_mfma_f32_16x16x16_bf16 a[24:27], v[178:179], v[172:173], a[24:27]
	;; [unrolled: 1-line block ×3, first 2 shown]
	s_cbranch_vccnz .LBB115_16
; %bb.15:                               ;   in Loop: Header=BB115_6 Depth=1
	v_lshrrev_b32_e32 v138, 3, v136
	v_and_b32_e32 v138, 6, v138
	v_xor_b32_e32 v137, v138, v137
	v_lshlrev_b32_e32 v137, 2, v137
	v_and_b32_e32 v136, 8, v136
	v_xor_b32_e32 v139, 0x440, v137
	v_cmp_eq_u32_e32 vcc, 0, v136
	s_barrier
	s_nop 0
	v_cndmask_b32_e32 v136, v139, v137, vcc
	v_lshl_or_b32 v136, v138, 10, v136
	s_waitcnt vmcnt(5)
	v_perm_b32 v137, v30, v26, s58
	s_waitcnt vmcnt(4)
	v_perm_b32 v138, v22, v18, s58
	ds_write2st64_b32 v136, v137, v138 offset0:128 offset1:160
	v_xor_b32_e32 v137, 8, v136
	v_perm_b32 v26, v30, v26, s59
	v_perm_b32 v18, v22, v18, s59
	v_add_u32_e32 v22, 0x80, v137
	ds_write2st64_b32 v22, v26, v18 offset0:128 offset1:160
	v_xor_b32_e32 v18, 16, v136
	v_perm_b32 v22, v31, v27, s58
	v_perm_b32 v26, v23, v19, s58
	ds_write2st64_b32 v18, v22, v26 offset0:129 offset1:161
	v_xor_b32_e32 v18, 24, v136
	v_perm_b32 v22, v31, v27, s59
	v_perm_b32 v19, v23, v19, s59
	v_add_u32_e32 v18, 0x80, v18
	ds_write2st64_b32 v18, v22, v19 offset0:129 offset1:161
	v_xor_b32_e32 v18, 32, v136
	v_perm_b32 v19, v32, v28, s58
	;; [unrolled: 9-line block ×3, first 2 shown]
	v_perm_b32 v20, v25, v21, s58
	ds_write2st64_b32 v18, v19, v20 offset0:131 offset1:163
	v_xor_b32_e32 v18, 56, v136
	v_perm_b32 v19, v33, v29, s59
	v_perm_b32 v20, v25, v21, s59
	v_add_u32_e32 v18, 0x80, v18
	ds_write2st64_b32 v18, v19, v20 offset0:131 offset1:163
	ds_write_b64 v135, v[14:15] offset:49152
	v_xor_b32_e32 v14, 8, v135
	ds_write_b64 v14, v[16:17] offset:49152
	ds_write_b64 v135, v[10:11] offset:57344
	;; [unrolled: 1-line block ×4, first 2 shown]
	v_xor_b32_e32 v6, 8, v134
	ds_write_b64 v6, v[8:9] offset:49152
	ds_write_b64 v134, v[2:3] offset:57344
	;; [unrolled: 1-line block ×3, first 2 shown]
.LBB115_16:                             ;   in Loop: Header=BB115_6 Depth=1
	s_waitcnt vmcnt(6)
	v_mul_f32_e32 v22, s40, v133
	v_exp_f32_e32 v134, v22
	v_accvgpr_read_b32 v5, a3
	v_accvgpr_read_b32 v9, a7
	;; [unrolled: 1-line block ×4, first 2 shown]
	s_waitcnt vmcnt(4)
	v_accvgpr_read_b32 v18, a20
	v_accvgpr_read_b32 v25, a19
	;; [unrolled: 1-line block ×28, first 2 shown]
	s_add_i32 s55, s55, 64
	v_pk_fma_f32 v[62:63], v[62:63], v[134:135], v[2:3] op_sel_hi:[1,0,1]
	v_pk_fma_f32 v[66:67], v[66:67], v[134:135], v[4:5] op_sel_hi:[1,0,1]
	;; [unrolled: 1-line block ×15, first 2 shown]
	s_cmp_eq_u32 s49, s61
	v_pk_fma_f32 v[40:41], v[40:41], v[134:135], v[32:33] op_sel_hi:[1,0,1]
	s_cbranch_scc1 .LBB115_18
; %bb.17:                               ;   in Loop: Header=BB115_6 Depth=1
	s_mov_b32 s60, s61
	s_branch .LBB115_6
.LBB115_18:
	s_lshl_b32 s26, s49, 6
	s_sub_i32 s27, s50, s26
	s_cmp_gt_i32 s27, 0
	s_cbranch_scc0 .LBB115_99
; %bb.19:
	s_add_i32 s26, s26, s34
	s_ashr_i32 s3, s26, 31
	s_cmpk_lg_i32 s15, 0x80
	s_cselect_b64 s[22:23], -1, 0
	s_and_b64 vcc, exec, s[22:23]
	s_cbranch_vccz .LBB115_21
; %bb.20:
	s_mul_hi_i32 s0, s26, s14
	s_mul_i32 s1, s26, s14
	s_ashr_i32 s14, s51, 31
	s_add_u32 s24, s1, s51
	s_addc_u32 s25, s0, s14
	s_cbranch_execz .LBB115_22
	s_branch .LBB115_23
.LBB115_21:
                                        ; implicit-def: $sgpr24_sgpr25
.LBB115_22:
	s_mul_i32 s1, s51, s12
	s_mul_hi_i32 s0, s51, s12
	s_add_u32 s24, s1, s26
	s_addc_u32 s25, s0, s3
.LBB115_23:
	s_add_i32 s12, s49, s54
	s_add_u32 s0, s53, s26
	v_lshlrev_b32_e32 v6, 6, v82
	v_lshlrev_b32_e32 v24, 2, v79
	s_addc_u32 s1, s52, s3
	s_mov_b32 s3, 0x7060302
	v_or_b32_e32 v9, v6, v24
	v_xor_b32_e32 v7, v82, v24
	v_perm_b32 v3, v67, v66, s3
	v_perm_b32 v2, v63, v62, s3
	;; [unrolled: 1-line block ×4, first 2 shown]
	v_lshlrev_b32_e32 v9, 1, v9
	v_xor_b32_e32 v8, v83, v24
	ds_write2st64_b64 v9, v[2:3], v[4:5] offset0:32 offset1:48
	v_lshlrev_b32_e32 v7, 1, v7
	v_lshlrev_b32_e32 v9, 8, v79
	v_or_b32_e32 v10, v7, v9
	v_lshlrev_b32_e32 v8, 1, v8
	ds_write_b64 v10, v[2:3]
	v_or_b32_e32 v2, v8, v9
	v_or_b32_e32 v9, 16, v79
	v_lshlrev_b32_e32 v23, 2, v9
	v_or_b32_e32 v10, v6, v23
	ds_write_b64 v2, v[4:5]
	v_perm_b32 v3, v59, v58, s3
	v_perm_b32 v2, v55, v54, s3
	;; [unrolled: 1-line block ×4, first 2 shown]
	v_lshlrev_b32_e32 v10, 1, v10
	v_lshlrev_b32_e32 v9, 8, v9
	ds_write2st64_b64 v10, v[2:3], v[4:5] offset0:32 offset1:48
	v_or_b32_e32 v10, v7, v9
	ds_write_b64 v10, v[2:3]
	v_or_b32_e32 v2, v8, v9
	v_or_b32_e32 v9, 32, v79
	v_lshlrev_b32_e32 v22, 2, v9
	v_or_b32_e32 v10, v6, v22
	ds_write_b64 v2, v[4:5]
	v_perm_b32 v3, v51, v50, s3
	v_perm_b32 v2, v47, v46, s3
	;; [unrolled: 1-line block ×4, first 2 shown]
	v_lshlrev_b32_e32 v10, 1, v10
	v_lshlrev_b32_e32 v9, 8, v9
	s_lshl_b64 s[20:21], s[0:1], 8
	ds_write2st64_b64 v10, v[2:3], v[4:5] offset0:32 offset1:48
	v_or_b32_e32 v10, v7, v9
	s_add_u32 s0, s6, s20
	ds_write_b64 v10, v[2:3]
	v_or_b32_e32 v2, v8, v9
	s_addc_u32 s1, s7, s21
	ds_write_b64 v2, v[4:5]
	v_perm_b32 v3, v43, v42, s3
	v_perm_b32 v2, v39, v38, s3
	;; [unrolled: 1-line block ×4, first 2 shown]
	v_or_b32_e32 v9, 48, v79
	s_mul_hi_i32 s3, s12, s13
	s_mul_i32 s12, s12, s13
	v_lshlrev_b32_e32 v19, 2, v9
	s_add_u32 s6, s12, s47
	v_or_b32_e32 v6, v6, v19
	s_addc_u32 s7, s3, s48
	v_lshlrev_b32_e32 v6, 1, v6
	s_ashr_i32 s3, s2, 31
	s_lshl_b64 s[6:7], s[6:7], 15
	ds_write2st64_b64 v6, v[2:3], v[4:5] offset0:32 offset1:48
	v_lshlrev_b32_e32 v6, 8, v9
	s_add_u32 s6, s18, s6
	v_or_b32_e32 v7, v7, v6
	s_addc_u32 s7, s19, s7
	s_lshl_b64 s[2:3], s[2:3], 8
	ds_write_b64 v7, v[2:3]
	v_or_b32_e32 v2, v8, v6
	s_add_u32 s2, s6, s2
	v_lshlrev_b32_e32 v3, 1, v79
	ds_write_b64 v2, v[4:5]
	v_lshrrev_b32_e32 v2, 4, v0
	s_addc_u32 s3, s7, s3
	v_or_b32_e32 v4, 1, v3
	v_lshlrev_b32_e32 v10, 4, v79
	v_mov_b32_e32 v11, 0
	v_xor_b32_e32 v3, v2, v3
	v_xor_b32_e32 v6, v4, v2
	v_lshl_add_u64 v[12:13], s[2:3], 0, v[10:11]
	v_lshlrev_b32_e32 v10, 8, v2
	v_lshl_or_b32 v16, v3, 3, v10
	v_lshl_or_b32 v17, v6, 3, v10
	s_waitcnt lgkmcnt(0)
	s_barrier
	ds_read2st64_b64 v[2:5], v16 offset1:8
	ds_read2st64_b64 v[6:9], v17 offset1:8
	v_lshl_add_u64 v[14:15], v[12:13], 0, v[10:11]
	s_movk_i32 s2, 0x2000
	s_cmp_lg_u32 s27, 64
	s_waitcnt lgkmcnt(1)
	v_mov_b32_e32 v10, v2
	v_mov_b32_e32 v11, v3
	s_waitcnt lgkmcnt(0)
	v_mov_b32_e32 v12, v6
	v_mov_b32_e32 v13, v7
	global_store_dwordx4 v[14:15], v[10:13], off
	v_mov_b32_e32 v6, v4
	v_mov_b32_e32 v7, v5
	ds_read2st64_b64 v[2:5], v16 offset0:16 offset1:24
	ds_read2st64_b64 v[10:13], v17 offset0:16 offset1:24
	v_add_co_u32_e32 v16, vcc, s2, v14
	s_cselect_b64 s[6:7], -1, 0
	s_nop 0
	v_addc_co_u32_e32 v17, vcc, 0, v15, vcc
	global_store_dwordx4 v[16:17], v[6:9], off offset:-4096
	v_lshl_or_b32 v25, v77, 3, v81
	s_mov_b32 s16, 0
	s_waitcnt lgkmcnt(1)
	v_mov_b32_e32 v6, v2
	v_add_co_u32_e32 v2, vcc, 0x3000, v14
	v_mov_b32_e32 v7, v3
	s_nop 0
	v_addc_co_u32_e32 v3, vcc, 0, v15, vcc
	s_waitcnt lgkmcnt(0)
	v_mov_b32_e32 v8, v10
	v_mov_b32_e32 v9, v11
	;; [unrolled: 1-line block ×4, first 2 shown]
	v_or_b32_e32 v20, 32, v25
	v_and_b32_e32 v18, 56, v80
	s_and_b64 vcc, exec, s[6:7]
	global_store_dwordx4 v[16:17], v[6:9], off
	global_store_dwordx4 v[2:3], v[10:13], off
	s_cbranch_vccz .LBB115_29
; %bb.24:
	s_mov_b32 s17, s16
	s_mov_b32 s18, s16
	;; [unrolled: 1-line block ×3, first 2 shown]
	v_mov_b64_e32 v[6:7], s[16:17]
	v_mov_b64_e32 v[8:9], s[18:19]
	;; [unrolled: 1-line block ×3, first 2 shown]
	v_cmp_gt_i32_e32 vcc, s27, v25
	v_mov_b64_e32 v[4:5], v[8:9]
	s_and_saveexec_b64 s[2:3], vcc
	s_cbranch_execz .LBB115_26
; %bb.25:
	v_lshlrev_b32_e32 v2, 8, v25
	v_mov_b32_e32 v3, 0
	v_lshl_add_u64 v[4:5], s[0:1], 0, v[2:3]
	v_lshlrev_b32_e32 v2, 1, v18
	v_lshl_add_u64 v[10:11], v[4:5], 0, v[2:3]
	global_load_dwordx4 v[6:9], v[10:11], off
	global_load_dwordx4 v[2:5], v[10:11], off offset:128
.LBB115_26:
	s_or_b64 exec, exec, s[2:3]
	s_mov_b32 s17, s16
	s_mov_b32 s18, s16
	;; [unrolled: 1-line block ×3, first 2 shown]
	v_mov_b64_e32 v[14:15], s[16:17]
	v_mov_b64_e32 v[16:17], s[18:19]
	;; [unrolled: 1-line block ×3, first 2 shown]
	v_cmp_gt_i32_e32 vcc, s27, v20
	v_lshlrev_b32_e32 v21, 7, v20
	v_mov_b64_e32 v[12:13], v[16:17]
	s_and_saveexec_b64 s[2:3], vcc
	s_cbranch_execz .LBB115_28
; %bb.27:
	v_lshlrev_b32_e32 v10, 1, v21
	v_mov_b32_e32 v11, 0
	v_lshl_add_u64 v[12:13], s[0:1], 0, v[10:11]
	v_lshlrev_b32_e32 v10, 1, v18
	v_lshl_add_u64 v[26:27], v[12:13], 0, v[10:11]
	global_load_dwordx4 v[14:17], v[26:27], off
	global_load_dwordx4 v[10:13], v[26:27], off offset:128
.LBB115_28:
	s_or_b64 exec, exec, s[2:3]
	v_lshrrev_b32_e32 v26, 3, v18
	v_lshlrev_b32_e32 v27, 3, v25
	v_or_b32_e32 v26, v27, v26
	v_lshlrev_b32_e32 v26, 4, v26
	v_and_b32_e32 v27, 0x78, v27
	v_xor_b32_e32 v26, v26, v27
	s_branch .LBB115_31
.LBB115_29:
                                        ; implicit-def: $vgpr26
                                        ; implicit-def: $vgpr21
                                        ; implicit-def: $vgpr6_vgpr7_vgpr8_vgpr9
                                        ; implicit-def: $vgpr2_vgpr3_vgpr4_vgpr5
                                        ; implicit-def: $vgpr14_vgpr15_vgpr16_vgpr17
                                        ; implicit-def: $vgpr10_vgpr11_vgpr12_vgpr13
	s_cbranch_execz .LBB115_31
; %bb.30:
	s_waitcnt vmcnt(0)
	v_lshlrev_b32_e32 v2, 1, v18
	v_lshl_or_b32 v21, v25, 8, v2
	s_and_b32 s1, s1, 0xffff
	s_mov_b32 s3, 0x20000
	s_movk_i32 s2, 0x4000
	v_lshl_or_b32 v26, v20, 8, v2
	s_movk_i32 s12, 0x80
	buffer_load_dwordx4 v[6:9], v21, s[0:3], 0 offen
	buffer_load_dwordx4 v[2:5], v21, s[0:3], s12 offen
	;; [unrolled: 1-line block ×4, first 2 shown]
	v_lshrrev_b32_e32 v21, 3, v18
	v_lshlrev_b32_e32 v26, 3, v25
	v_or_b32_e32 v21, v26, v21
	v_lshlrev_b32_e32 v21, 4, v21
	v_and_b32_e32 v26, 0x78, v26
	v_xor_b32_e32 v26, v21, v26
	v_lshlrev_b32_e32 v21, 7, v20
.LBB115_31:
	s_movk_i32 s0, 0x1000
	v_and_or_b32 v20, v21, s0, v26
	s_waitcnt vmcnt(1)
	ds_write_b64 v26, v[6:7] offset:49152
	v_xor_b32_e32 v6, 8, v26
	ds_write_b64 v6, v[8:9] offset:49152
	s_waitcnt vmcnt(0)
	ds_write_b64 v26, v[2:3] offset:57344
	ds_write_b64 v6, v[4:5] offset:57344
	;; [unrolled: 1-line block ×3, first 2 shown]
	v_xor_b32_e32 v2, 8, v20
	ds_write_b64 v2, v[16:17] offset:49152
	ds_write_b64 v20, v[10:11] offset:57344
	;; [unrolled: 1-line block ×3, first 2 shown]
	v_or_b32_e32 v2, v1, v79
	v_lshlrev_b32_e32 v3, 11, v77
	v_lshlrev_b32_e32 v2, 3, v2
	v_and_b32_e32 v6, 0x1000, v3
	v_lshrrev_b32_e32 v3, 5, v76
	s_movk_i32 s0, 0xf8
	v_and_or_b32 v3, v2, s0, v3
	v_lshlrev_b32_e32 v7, 4, v3
	v_and_b32_e32 v8, 0x78, v2
	v_or_b32_e32 v10, 32, v7
	v_lshrrev_b32_e32 v3, 1, v76
	v_xor_b32_e32 v10, v10, v8
	v_xor_b32_e32 v2, v7, v8
	v_and_b32_e32 v9, 8, v3
	v_or_b32_e32 v10, v10, v6
	v_or_b32_e32 v2, v2, v6
	v_xor_b32_e32 v28, v10, v9
	v_or_b32_e32 v10, 64, v7
	v_xor_b32_e32 v27, v2, v9
	v_xor_b32_e32 v10, v10, v8
	s_waitcnt lgkmcnt(0)
	s_barrier
	v_or_b32_e32 v13, v10, v6
	ds_read_b64 v[10:11], v27 offset:49152
	v_lshl_or_b32 v14, v78, 8, v24
	v_lshlrev_b32_e32 v26, 1, v14
	v_add_u32_e32 v12, 0x4000, v26
	ds_read2_b64 v[2:5], v12 offset1:16
	v_or_b32_e32 v7, 0x60, v7
	v_xor_b32_e32 v7, v7, v8
	v_or_b32_e32 v6, v7, v6
	v_xor_b32_e32 v29, v13, v9
	v_xor_b32_e32 v30, v6, v9
	ds_read_b64 v[20:21], v28 offset:49152
	ds_read_b64 v[36:37], v29 offset:49152
	;; [unrolled: 1-line block ×3, first 2 shown]
	s_waitcnt lgkmcnt(3)
	v_mfma_f32_16x16x16_bf16 a[0:3], v[10:11], v[2:3], 0
	ds_read2st64_b64 v[6:9], v26 offset0:36 offset1:40
	s_lshl_b64 s[0:1], s[24:25], 8
	s_add_u32 s4, s4, s0
	v_mfma_f32_16x16x16_bf16 a[4:7], v[10:11], v[4:5], 0
	ds_read2_b64 v[2:5], v12 offset0:32 offset1:48
	s_addc_u32 s5, s5, s1
	s_add_i32 s1, s42, s33
	s_waitcnt lgkmcnt(0)
	v_mfma_f32_16x16x16_bf16 a[8:11], v[10:11], v[2:3], 0
	v_or_b32_e32 v2, 64, v14
	v_lshlrev_b32_e32 v31, 1, v2
	s_add_i32 s0, s35, -1
	v_mfma_f32_16x16x16_bf16 a[12:15], v[10:11], v[4:5], 0
	ds_read2st64_b64 v[2:5], v31 offset0:36 offset1:40
	s_add_i32 s39, s1, s43
	s_add_i32 s1, s45, s44
	v_mfma_f32_16x16x16_bf16 a[0:3], v[20:21], v[6:7], a[0:3]
	v_or_b32_e32 v6, 0x80, v14
	v_lshlrev_b32_e32 v32, 1, v6
	ds_read2st64_b64 v[10:13], v32 offset0:36 offset1:40
	s_waitcnt lgkmcnt(1)
	v_mfma_f32_16x16x16_bf16 a[4:7], v[20:21], v[2:3], a[4:7]
	v_or_b32_e32 v2, 0xc0, v14
	v_lshlrev_b32_e32 v33, 1, v2
	ds_read2st64_b64 v[14:17], v33 offset0:36 offset1:40
	s_add_i32 s37, s1, s46
	s_ashr_i32 s1, s0, 31
	s_mul_i32 s2, s0, s31
	s_mul_hi_u32 s3, s0, s30
	s_add_i32 s2, s3, s2
	s_mul_i32 s1, s1, s30
	s_waitcnt lgkmcnt(1)
	v_mfma_f32_16x16x16_bf16 a[8:11], v[20:21], v[10:11], a[8:11]
	s_add_i32 s1, s2, s1
	s_lshl_b64 s[2:3], s[38:39], 2
	s_add_u32 s10, s10, s2
	s_waitcnt lgkmcnt(0)
	v_mfma_f32_16x16x16_bf16 a[12:15], v[20:21], v[14:15], a[12:15]
	s_addc_u32 s11, s11, s3
	s_lshl_b64 s[2:3], s[36:37], 2
	s_mul_i32 s0, s0, s30
	v_mfma_f32_16x16x16_bf16 a[0:3], v[36:37], v[8:9], a[0:3]
	ds_read_b64 v[2:3], v26 offset:22528
	s_add_u32 s10, s10, s2
	s_addc_u32 s11, s11, s3
	v_mfma_f32_16x16x16_bf16 a[4:7], v[36:37], v[4:5], a[4:7]
	ds_read_b64 v[4:5], v31 offset:22528
	ds_read_b64 v[6:7], v32 offset:22528
	;; [unrolled: 1-line block ×3, first 2 shown]
	s_lshl_b64 s[0:1], s[0:1], 2
	s_add_u32 s0, s10, s0
	v_mfma_f32_16x16x16_bf16 a[8:11], v[36:37], v[12:13], a[8:11]
	s_addc_u32 s1, s11, s1
	s_load_dword s12, s[0:1], 0x0
	s_and_b64 vcc, exec, s[22:23]
	v_mfma_f32_16x16x16_bf16 a[12:15], v[36:37], v[16:17], a[12:15]
	s_waitcnt lgkmcnt(0)
	v_mfma_f32_16x16x16_bf16 a[0:3], v[38:39], v[2:3], a[0:3]
	v_mfma_f32_16x16x16_bf16 a[4:7], v[38:39], v[4:5], a[4:7]
	;; [unrolled: 1-line block ×4, first 2 shown]
	s_cbranch_vccz .LBB115_42
; %bb.32:
	v_lshlrev_b32_e32 v20, 1, v25
	s_and_b64 vcc, exec, s[6:7]
	s_cbranch_vccz .LBB115_43
; %bb.33:
	v_cmp_gt_i32_e32 vcc, s27, v20
	v_mov_b32_e32 v6, 0
	v_mov_b32_e32 v2, 0
	v_mov_b32_e32 v3, 0
	v_mov_b32_e32 v4, 0
	v_mov_b32_e32 v5, 0
	s_and_saveexec_b64 s[0:1], vcc
	s_cbranch_execz .LBB115_35
; %bb.34:
	v_mad_i64_i32 v[2:3], s[2:3], s15, v20, 0
	v_lshl_add_u64 v[2:3], v[2:3], 1, s[4:5]
	v_lshlrev_b32_e32 v4, 1, v18
	v_mov_b32_e32 v5, 0
	v_lshl_add_u64 v[2:3], v[2:3], 0, v[4:5]
	global_load_dwordx4 v[2:5], v[2:3], off
.LBB115_35:
	s_or_b64 exec, exec, s[0:1]
	v_or_b32_e32 v21, 1, v20
	v_cmp_gt_i32_e64 s[0:1], s27, v21
	v_mov_b32_e32 v7, 0
	v_mov_b32_e32 v8, 0
	;; [unrolled: 1-line block ×3, first 2 shown]
	s_and_saveexec_b64 s[2:3], s[0:1]
	s_cbranch_execz .LBB115_37
; %bb.36:
	v_mad_i64_i32 v[6:7], s[16:17], s15, v21, 0
	v_lshl_add_u64 v[6:7], v[6:7], 1, s[4:5]
	v_lshlrev_b32_e32 v8, 1, v18
	v_mov_b32_e32 v9, 0
	v_lshl_add_u64 v[6:7], v[6:7], 0, v[8:9]
	global_load_dwordx4 v[6:9], v[6:7], off
.LBB115_37:
	s_or_b64 exec, exec, s[2:3]
	v_mov_b32_e32 v17, 0
	v_mov_b32_e32 v10, 0
	;; [unrolled: 1-line block ×5, first 2 shown]
	s_and_saveexec_b64 s[2:3], vcc
	s_cbranch_execz .LBB115_39
; %bb.38:
	v_mad_i64_i32 v[10:11], s[16:17], s15, v20, 0
	v_lshl_add_u64 v[10:11], v[10:11], 1, s[4:5]
	v_lshlrev_b32_e32 v12, 1, v18
	v_mov_b32_e32 v13, 0
	v_lshl_add_u64 v[10:11], v[10:11], 0, v[12:13]
	global_load_dwordx4 v[10:13], v[10:11], off offset:128
.LBB115_39:
	s_or_b64 exec, exec, s[2:3]
	v_mov_b32_e32 v16, 0
	v_mov_b32_e32 v15, 0
	;; [unrolled: 1-line block ×3, first 2 shown]
	s_and_saveexec_b64 s[2:3], s[0:1]
	s_cbranch_execz .LBB115_41
; %bb.40:
	v_mad_i64_i32 v[14:15], s[0:1], s15, v21, 0
	v_lshl_add_u64 v[14:15], v[14:15], 1, s[4:5]
	v_lshlrev_b32_e32 v16, 1, v18
	v_mov_b32_e32 v17, 0
	v_lshl_add_u64 v[14:15], v[14:15], 0, v[16:17]
	global_load_dwordx4 v[14:17], v[14:15], off offset:128
.LBB115_41:
	s_or_b64 exec, exec, s[2:3]
	s_branch .LBB115_45
.LBB115_42:
                                        ; implicit-def: $vgpr5
                                        ; implicit-def: $vgpr9
                                        ; implicit-def: $vgpr13
                                        ; implicit-def: $vgpr17
	v_lshrrev_b32_e32 v35, 2, v76
	s_branch .LBB115_46
.LBB115_43:
                                        ; implicit-def: $vgpr5
                                        ; implicit-def: $vgpr9
                                        ; implicit-def: $vgpr13
                                        ; implicit-def: $vgpr17
	s_cbranch_execz .LBB115_45
; %bb.44:
	s_waitcnt vmcnt(0)
	v_mad_u64_u32 v[2:3], s[0:1], v20, s15, v[18:19]
	v_lshlrev_b32_e32 v20, 1, v2
	s_lshl_b32 s2, s15, 7
	s_and_b32 s1, s5, 0xffff
	s_mov_b32 s3, 0x20000
	s_mov_b32 s0, s4
	v_add_lshl_u32 v21, v2, s15, 1
	s_movk_i32 s13, 0x80
	buffer_load_dwordx4 v[2:5], v20, s[0:3], 0 offen
	buffer_load_dwordx4 v[10:13], v20, s[0:3], s13 offen
	;; [unrolled: 1-line block ×4, first 2 shown]
.LBB115_45:
	v_lshrrev_b32_e32 v35, 2, v76
	s_cbranch_execnz .LBB115_58
.LBB115_46:
	s_and_b64 vcc, exec, s[6:7]
	s_cbranch_vccz .LBB115_56
; %bb.47:
	s_waitcnt vmcnt(0)
	v_lshlrev_b32_e32 v7, 1, v25
	v_cmp_gt_i32_e32 vcc, s27, v7
	v_mov_b32_e32 v6, 0
	v_lshlrev_b32_e32 v14, 9, v25
	v_mov_b32_e32 v2, 0
	v_mov_b32_e32 v3, 0
	;; [unrolled: 1-line block ×4, first 2 shown]
	s_and_saveexec_b64 s[0:1], vcc
	s_cbranch_execz .LBB115_49
; %bb.48:
	v_mov_b32_e32 v15, 0
	v_lshl_add_u64 v[2:3], s[4:5], 0, v[14:15]
	v_lshlrev_b32_e32 v4, 1, v18
	v_mov_b32_e32 v5, v15
	v_lshl_add_u64 v[2:3], v[2:3], 0, v[4:5]
	global_load_dwordx4 v[2:5], v[2:3], off
.LBB115_49:
	s_or_b64 exec, exec, s[0:1]
	v_or_b32_e32 v7, 1, v7
	v_cmp_gt_i32_e64 s[0:1], s27, v7
	v_lshlrev_b32_e32 v20, 8, v7
	v_mov_b32_e32 v7, 0
	v_mov_b32_e32 v8, 0
	;; [unrolled: 1-line block ×3, first 2 shown]
	s_and_saveexec_b64 s[2:3], s[0:1]
	s_cbranch_execz .LBB115_51
; %bb.50:
	v_mov_b32_e32 v21, 0
	v_lshl_add_u64 v[6:7], s[4:5], 0, v[20:21]
	v_lshlrev_b32_e32 v8, 1, v18
	v_mov_b32_e32 v9, v21
	v_lshl_add_u64 v[6:7], v[6:7], 0, v[8:9]
	global_load_dwordx4 v[6:9], v[6:7], off
.LBB115_51:
	s_or_b64 exec, exec, s[2:3]
	v_mov_b32_e32 v17, 0
	v_mov_b32_e32 v10, 0
	;; [unrolled: 1-line block ×5, first 2 shown]
	s_and_saveexec_b64 s[2:3], vcc
	s_cbranch_execz .LBB115_53
; %bb.52:
	v_mov_b32_e32 v15, 0
	v_lshl_add_u64 v[10:11], s[4:5], 0, v[14:15]
	v_lshlrev_b32_e32 v14, 1, v18
	v_lshl_add_u64 v[10:11], v[10:11], 0, v[14:15]
	global_load_dwordx4 v[10:13], v[10:11], off offset:128
.LBB115_53:
	s_or_b64 exec, exec, s[2:3]
	v_mov_b32_e32 v16, 0
	v_mov_b32_e32 v15, 0
	;; [unrolled: 1-line block ×3, first 2 shown]
	s_and_saveexec_b64 s[2:3], s[0:1]
	s_cbranch_execz .LBB115_55
; %bb.54:
	v_mov_b32_e32 v21, 0
	v_lshl_add_u64 v[14:15], s[4:5], 0, v[20:21]
	v_lshlrev_b32_e32 v20, 1, v18
	v_lshl_add_u64 v[14:15], v[14:15], 0, v[20:21]
	global_load_dwordx4 v[14:17], v[14:15], off offset:128
.LBB115_55:
	s_or_b64 exec, exec, s[2:3]
	s_branch .LBB115_58
.LBB115_56:
                                        ; implicit-def: $vgpr5
                                        ; implicit-def: $vgpr9
                                        ; implicit-def: $vgpr13
                                        ; implicit-def: $vgpr17
	s_cbranch_execz .LBB115_58
; %bb.57:
	s_waitcnt vmcnt(0)
	v_lshlrev_b32_e32 v2, 1, v18
	v_lshl_or_b32 v18, v25, 9, v2
	s_and_b32 s5, s5, 0xffff
	s_mov_b32 s7, 0x20000
	s_movk_i32 s6, 0x4000
	s_movk_i32 s0, 0x80
	buffer_load_dwordx4 v[2:5], v18, s[4:7], 0 offen
	buffer_load_dwordx4 v[6:9], v18, s[4:7], 0 offen offset:256
	buffer_load_dwordx4 v[10:13], v18, s[4:7], s0 offen
	buffer_load_dwordx4 v[14:17], v18, s[4:7], s0 offen offset:256
.LBB115_58:
	ds_read_b64 v[20:21], v27 offset:57344
	v_add_u32_e32 v18, 0x6000, v26
	ds_read2_b64 v[36:39], v18 offset1:16
	ds_read_b64 v[52:53], v28 offset:57344
	ds_read_b64 v[28:29], v29 offset:57344
	;; [unrolled: 1-line block ×3, first 2 shown]
	ds_read2st64_b64 v[40:43], v26 offset0:52 offset1:56
	s_mov_b32 s0, 0x1000504
	s_mov_b32 s1, 0x3020706
	s_waitcnt lgkmcnt(4)
	v_mfma_f32_16x16x16_bf16 a[0:3], v[20:21], v[36:37], a[0:3]
	v_mfma_f32_16x16x16_bf16 a[4:7], v[20:21], v[38:39], a[4:7]
	ds_read2_b64 v[36:39], v18 offset0:32 offset1:48
	v_and_b32_e32 v18, 6, v0
	v_xor_b32_e32 v25, v25, v18
	s_waitcnt lgkmcnt(0)
	v_mfma_f32_16x16x16_bf16 a[8:11], v[20:21], v[36:37], a[8:11]
	v_lshlrev_b32_e32 v25, 2, v25
	v_and_b32_e32 v0, 1, v0
	v_cmp_eq_u32_e32 vcc, 0, v0
	v_mfma_f32_16x16x16_bf16 a[12:15], v[20:21], v[38:39], a[12:15]
	ds_read2st64_b64 v[36:39], v31 offset0:52 offset1:56
	ds_read2st64_b64 v[44:47], v32 offset0:52 offset1:56
	;; [unrolled: 1-line block ×3, first 2 shown]
	ds_read_b64 v[20:21], v26 offset:30720
	ds_read_b64 v[26:27], v31 offset:30720
	;; [unrolled: 1-line block ×4, first 2 shown]
	s_waitcnt lgkmcnt(6)
	v_mfma_f32_16x16x16_bf16 a[4:7], v[52:53], v[36:37], a[4:7]
	v_xor_b32_e32 v36, 0x440, v25
	v_cndmask_b32_e32 v0, v36, v25, vcc
	v_lshl_or_b32 v0, v18, 10, v0
	v_mfma_f32_16x16x16_bf16 a[0:3], v[52:53], v[40:41], a[0:3]
	s_waitcnt vmcnt(0)
	v_perm_b32 v18, v2, v6, s0
	v_perm_b32 v25, v10, v14, s0
	ds_write2st64_b32 v0, v18, v25 offset0:128 offset1:160
	s_waitcnt lgkmcnt(6)
	v_mfma_f32_16x16x16_bf16 a[8:11], v[52:53], v[44:45], a[8:11]
	v_xor_b32_e32 v18, 8, v0
	v_perm_b32 v2, v2, v6, s1
	v_perm_b32 v6, v10, v14, s1
	s_waitcnt lgkmcnt(5)
	v_mfma_f32_16x16x16_bf16 a[12:15], v[52:53], v[48:49], a[12:15]
	v_add_u32_e32 v10, 0x80, v18
	ds_write2st64_b32 v10, v2, v6 offset0:128 offset1:160
	v_xor_b32_e32 v2, 16, v0
	v_mfma_f32_16x16x16_bf16 a[0:3], v[28:29], v[42:43], a[0:3]
	v_perm_b32 v6, v3, v7, s0
	v_perm_b32 v10, v11, v15, s0
	ds_write2st64_b32 v2, v6, v10 offset0:129 offset1:161
	v_mfma_f32_16x16x16_bf16 a[4:7], v[28:29], v[38:39], a[4:7]
	v_xor_b32_e32 v2, 24, v0
	v_perm_b32 v3, v3, v7, s1
	v_perm_b32 v6, v11, v15, s1
	v_mfma_f32_16x16x16_bf16 a[16:19], v[28:29], v[46:47], a[8:11]
	v_add_u32_e32 v2, 0x80, v2
	ds_write2st64_b32 v2, v3, v6 offset0:129 offset1:161
	v_xor_b32_e32 v2, 32, v0
	v_mfma_f32_16x16x16_bf16 a[20:23], v[28:29], v[50:51], a[12:15]
	v_perm_b32 v3, v4, v8, s0
	v_perm_b32 v6, v12, v16, s0
	ds_write2st64_b32 v2, v3, v6 offset0:130 offset1:162
	s_waitcnt lgkmcnt(8)
	v_mfma_f32_16x16x16_bf16 a[12:15], v[54:55], v[20:21], a[0:3]
	v_xor_b32_e32 v2, 40, v0
	v_perm_b32 v3, v4, v8, s1
	v_perm_b32 v4, v12, v16, s1
	s_waitcnt lgkmcnt(7)
	v_mfma_f32_16x16x16_bf16 a[8:11], v[54:55], v[26:27], a[4:7]
	v_add_u32_e32 v2, 0x80, v2
	ds_write2st64_b32 v2, v3, v4 offset0:130 offset1:162
	v_xor_b32_e32 v2, 48, v0
	s_waitcnt lgkmcnt(7)
	v_mfma_f32_16x16x16_bf16 a[4:7], v[54:55], v[30:31], a[16:19]
	v_perm_b32 v3, v5, v9, s0
	v_perm_b32 v4, v13, v17, s0
	v_xor_b32_e32 v0, 56, v0
	s_waitcnt lgkmcnt(6)
	v_mfma_f32_16x16x16_bf16 a[0:3], v[54:55], v[32:33], a[20:23]
	v_and_or_b32 v21, v35, 12, v1
	ds_write2st64_b32 v2, v3, v4 offset0:131 offset1:163
	v_perm_b32 v2, v5, v9, s1
	v_perm_b32 v3, v13, v17, s1
	v_add_u32_e32 v0, 0x80, v0
	v_cmp_gt_i32_e32 vcc, s27, v21
	v_mov_b32_e32 v16, 0
	v_mov_b32_e32 v18, 0
	ds_write2st64_b32 v0, v2, v3 offset0:131 offset1:163
	s_and_saveexec_b64 s[0:1], vcc
	s_cbranch_execz .LBB115_60
; %bb.59:
	v_add_u32_e32 v0, s26, v21
	v_ashrrev_i32_e32 v1, 31, v0
	v_mul_lo_u32 v2, v1, s30
	v_mul_lo_u32 v3, v0, s31
	v_mad_u64_u32 v[0:1], s[2:3], v0, s30, 0
	v_add3_u32 v1, v1, v3, v2
	v_lshl_add_u64 v[0:1], v[0:1], 2, s[10:11]
	global_load_dword v0, v[0:1], off
	s_waitcnt vmcnt(0)
	v_sub_f32_e32 v0, s12, v0
	v_mul_f32_e32 v0, 0x3fb8aa3b, v0
	v_exp_f32_e32 v18, v0
.LBB115_60:
	s_or_b64 exec, exec, s[0:1]
	v_or_b32_e32 v10, 1, v21
	v_cmp_gt_i32_e64 s[0:1], s27, v10
	s_and_saveexec_b64 s[2:3], s[0:1]
	s_cbranch_execz .LBB115_62
; %bb.61:
	v_add_u32_e32 v0, s26, v10
	v_ashrrev_i32_e32 v1, 31, v0
	v_mul_lo_u32 v2, v1, s30
	v_mul_lo_u32 v3, v0, s31
	v_mad_u64_u32 v[0:1], s[4:5], v0, s30, 0
	v_add3_u32 v1, v1, v3, v2
	v_lshl_add_u64 v[0:1], v[0:1], 2, s[10:11]
	global_load_dword v0, v[0:1], off
	s_waitcnt vmcnt(0)
	v_sub_f32_e32 v0, s12, v0
	v_mul_f32_e32 v0, 0x3fb8aa3b, v0
	v_exp_f32_e32 v16, v0
.LBB115_62:
	s_or_b64 exec, exec, s[2:3]
	v_or_b32_e32 v12, 2, v21
	v_cmp_gt_i32_e64 s[2:3], s27, v12
	v_mov_b32_e32 v17, 0
	v_mov_b32_e32 v20, 0
	s_and_saveexec_b64 s[4:5], s[2:3]
	s_cbranch_execz .LBB115_64
; %bb.63:
	v_add_u32_e32 v0, s26, v12
	v_ashrrev_i32_e32 v1, 31, v0
	v_mul_lo_u32 v2, v1, s30
	v_mul_lo_u32 v3, v0, s31
	v_mad_u64_u32 v[0:1], s[6:7], v0, s30, 0
	v_add3_u32 v1, v1, v3, v2
	v_lshl_add_u64 v[0:1], v[0:1], 2, s[10:11]
	global_load_dword v0, v[0:1], off
	s_waitcnt vmcnt(0)
	v_sub_f32_e32 v0, s12, v0
	v_mul_f32_e32 v0, 0x3fb8aa3b, v0
	v_exp_f32_e32 v20, v0
.LBB115_64:
	s_or_b64 exec, exec, s[4:5]
	v_or_b32_e32 v14, 3, v21
	v_cmp_gt_i32_e64 s[4:5], s27, v14
	s_and_saveexec_b64 s[6:7], s[4:5]
	s_cbranch_execz .LBB115_66
; %bb.65:
	v_add_u32_e32 v0, s26, v14
	v_ashrrev_i32_e32 v1, 31, v0
	v_mul_lo_u32 v2, v1, s30
	v_mul_lo_u32 v3, v0, s31
	v_mad_u64_u32 v[0:1], s[14:15], v0, s30, 0
	v_add3_u32 v1, v1, v3, v2
	v_lshl_add_u64 v[0:1], v[0:1], 2, s[10:11]
	global_load_dword v0, v[0:1], off
	s_waitcnt vmcnt(0)
	v_sub_f32_e32 v0, s12, v0
	v_mul_f32_e32 v0, 0x3fb8aa3b, v0
	v_exp_f32_e32 v17, v0
.LBB115_66:
	s_or_b64 exec, exec, s[6:7]
	s_add_u32 s6, s8, s20
	s_addc_u32 s7, s9, s21
	s_add_u32 s8, s28, s20
	v_ashrrev_i32_e32 v35, 31, v34
	v_accvgpr_read_b32 v0, a12
	s_addc_u32 s9, s29, s21
	v_lshlrev_b64 v[4:5], 1, v[34:35]
	v_accvgpr_read_b32 v1, a13
	v_accvgpr_read_b32 v2, a14
	v_accvgpr_read_b32 v3, a15
	v_lshl_add_u64 v[6:7], s[6:7], 0, v[4:5]
	v_lshl_add_u64 v[4:5], s[8:9], 0, v[4:5]
	v_mov_b32_e32 v11, 0
	v_lshlrev_b32_e32 v8, 8, v21
	v_mov_b32_e32 v9, 0
	s_and_saveexec_b64 s[6:7], vcc
	s_cbranch_execz .LBB115_68
; %bb.67:
	v_mov_b32_e32 v9, 0
	v_lshl_add_u64 v[26:27], v[6:7], 0, v[8:9]
	global_load_ushort v13, v[26:27], off
	v_lshl_add_u64 v[26:27], v[4:5], 0, v[8:9]
	s_waitcnt vmcnt(0)
	v_lshlrev_b32_e32 v9, 16, v13
	v_sub_f32_e32 v0, v9, v0
	global_store_short_d16_hi v[26:27], v0, off
	v_mul_f32_e32 v0, v18, v0
	v_lshrrev_b32_e32 v9, 16, v0
.LBB115_68:
	s_or_b64 exec, exec, s[6:7]
	v_lshlrev_b32_e32 v10, 8, v10
	s_and_saveexec_b64 s[6:7], s[0:1]
	s_cbranch_execz .LBB115_70
; %bb.69:
	v_mov_b32_e32 v11, 0
	v_lshl_add_u64 v[26:27], v[6:7], 0, v[10:11]
	global_load_ushort v0, v[26:27], off
	v_lshl_add_u64 v[26:27], v[4:5], 0, v[10:11]
	s_waitcnt vmcnt(0)
	v_lshlrev_b32_e32 v0, 16, v0
	v_sub_f32_e32 v0, v0, v1
	global_store_short_d16_hi v[26:27], v0, off
	v_mul_f32_e32 v0, v16, v0
	v_lshrrev_b32_e32 v11, 16, v0
.LBB115_70:
	s_or_b64 exec, exec, s[6:7]
	v_mov_b32_e32 v15, 0
	v_lshlrev_b32_e32 v12, 8, v12
	v_mov_b32_e32 v13, 0
	s_and_saveexec_b64 s[6:7], s[2:3]
	s_cbranch_execz .LBB115_72
; %bb.71:
	v_mov_b32_e32 v13, 0
	v_lshl_add_u64 v[0:1], v[6:7], 0, v[12:13]
	global_load_ushort v25, v[0:1], off
	v_lshl_add_u64 v[0:1], v[4:5], 0, v[12:13]
	s_waitcnt vmcnt(0)
	v_lshlrev_b32_e32 v13, 16, v25
	v_sub_f32_e32 v2, v13, v2
	global_store_short_d16_hi v[0:1], v2, off
	v_mul_f32_e32 v0, v20, v2
	v_lshrrev_b32_e32 v13, 16, v0
.LBB115_72:
	s_or_b64 exec, exec, s[6:7]
	v_lshlrev_b32_e32 v14, 8, v14
	s_and_saveexec_b64 s[6:7], s[4:5]
	s_cbranch_execz .LBB115_74
; %bb.73:
	v_mov_b32_e32 v15, 0
	v_lshl_add_u64 v[0:1], v[6:7], 0, v[14:15]
	global_load_ushort v2, v[0:1], off
	v_lshl_add_u64 v[0:1], v[4:5], 0, v[14:15]
	s_waitcnt vmcnt(0)
	v_lshlrev_b32_e32 v2, 16, v2
	v_sub_f32_e32 v2, v2, v3
	global_store_short_d16_hi v[0:1], v2, off
	v_mul_f32_e32 v0, v17, v2
	v_lshrrev_b32_e32 v15, 16, v0
.LBB115_74:
	s_or_b64 exec, exec, s[6:7]
	v_lshlrev_b32_e32 v21, 6, v21
	s_mov_b32 s6, 0x5040100
	v_perm_b32 v26, v11, v9, s6
	v_or_b32_e32 v9, v21, v24
	v_accvgpr_read_b32 v0, a8
	v_perm_b32 v27, v15, v13, s6
	v_lshlrev_b32_e32 v9, 1, v9
	v_accvgpr_read_b32 v1, a9
	v_accvgpr_read_b32 v2, a10
	;; [unrolled: 1-line block ×3, first 2 shown]
	ds_write_b64 v9, v[26:27] offset:24576
	v_mov_b32_e32 v11, 0
	v_mov_b32_e32 v9, 0
	s_and_saveexec_b64 s[6:7], vcc
	s_cbranch_execz .LBB115_76
; %bb.75:
	v_mov_b32_e32 v9, 0
	v_lshl_add_u64 v[24:25], v[6:7], 0, v[8:9]
	global_load_ushort v13, v[24:25], off offset:32
	v_lshl_add_u64 v[24:25], v[4:5], 0, v[8:9]
	s_waitcnt vmcnt(0)
	v_lshlrev_b32_e32 v9, 16, v13
	v_sub_f32_e32 v0, v9, v0
	global_store_short_d16_hi v[24:25], v0, off offset:32
	v_mul_f32_e32 v0, v18, v0
	v_lshrrev_b32_e32 v9, 16, v0
.LBB115_76:
	s_or_b64 exec, exec, s[6:7]
	s_and_saveexec_b64 s[6:7], s[0:1]
	s_cbranch_execz .LBB115_78
; %bb.77:
	v_mov_b32_e32 v11, 0
	v_lshl_add_u64 v[24:25], v[6:7], 0, v[10:11]
	global_load_ushort v0, v[24:25], off offset:32
	v_lshl_add_u64 v[24:25], v[4:5], 0, v[10:11]
	s_waitcnt vmcnt(0)
	v_lshlrev_b32_e32 v0, 16, v0
	v_sub_f32_e32 v0, v0, v1
	global_store_short_d16_hi v[24:25], v0, off offset:32
	v_mul_f32_e32 v0, v16, v0
	v_lshrrev_b32_e32 v11, 16, v0
.LBB115_78:
	s_or_b64 exec, exec, s[6:7]
	v_mov_b32_e32 v15, 0
	v_mov_b32_e32 v13, 0
	s_and_saveexec_b64 s[6:7], s[2:3]
	s_cbranch_execz .LBB115_80
; %bb.79:
	v_mov_b32_e32 v13, 0
	v_lshl_add_u64 v[0:1], v[6:7], 0, v[12:13]
	global_load_ushort v24, v[0:1], off offset:32
	v_lshl_add_u64 v[0:1], v[4:5], 0, v[12:13]
	s_waitcnt vmcnt(0)
	v_lshlrev_b32_e32 v13, 16, v24
	v_sub_f32_e32 v2, v13, v2
	global_store_short_d16_hi v[0:1], v2, off offset:32
	v_mul_f32_e32 v0, v20, v2
	v_lshrrev_b32_e32 v13, 16, v0
.LBB115_80:
	s_or_b64 exec, exec, s[6:7]
	s_and_saveexec_b64 s[6:7], s[4:5]
	s_cbranch_execz .LBB115_82
; %bb.81:
	v_mov_b32_e32 v15, 0
	v_lshl_add_u64 v[0:1], v[6:7], 0, v[14:15]
	global_load_ushort v2, v[0:1], off offset:32
	v_lshl_add_u64 v[0:1], v[4:5], 0, v[14:15]
	s_waitcnt vmcnt(0)
	v_lshlrev_b32_e32 v2, 16, v2
	v_sub_f32_e32 v2, v2, v3
	global_store_short_d16_hi v[0:1], v2, off offset:32
	v_mul_f32_e32 v0, v17, v2
	v_lshrrev_b32_e32 v15, 16, v0
.LBB115_82:
	s_or_b64 exec, exec, s[6:7]
	s_mov_b32 s6, 0x5040100
	v_perm_b32 v24, v11, v9, s6
	v_or_b32_e32 v9, v21, v23
	v_accvgpr_read_b32 v0, a4
	v_perm_b32 v25, v15, v13, s6
	v_lshlrev_b32_e32 v9, 1, v9
	v_accvgpr_read_b32 v1, a5
	v_accvgpr_read_b32 v2, a6
	;; [unrolled: 1-line block ×3, first 2 shown]
	ds_write_b64 v9, v[24:25] offset:24576
	v_mov_b32_e32 v11, 0
	v_mov_b32_e32 v9, 0
	s_and_saveexec_b64 s[6:7], vcc
	s_cbranch_execz .LBB115_84
; %bb.83:
	v_mov_b32_e32 v9, 0
	v_lshl_add_u64 v[24:25], v[6:7], 0, v[8:9]
	global_load_ushort v13, v[24:25], off offset:64
	v_lshl_add_u64 v[24:25], v[4:5], 0, v[8:9]
	s_waitcnt vmcnt(0)
	v_lshlrev_b32_e32 v9, 16, v13
	v_sub_f32_e32 v0, v9, v0
	global_store_short_d16_hi v[24:25], v0, off offset:64
	v_mul_f32_e32 v0, v18, v0
	v_lshrrev_b32_e32 v9, 16, v0
.LBB115_84:
	s_or_b64 exec, exec, s[6:7]
	s_and_saveexec_b64 s[6:7], s[0:1]
	s_cbranch_execz .LBB115_86
; %bb.85:
	v_mov_b32_e32 v11, 0
	v_lshl_add_u64 v[24:25], v[6:7], 0, v[10:11]
	global_load_ushort v0, v[24:25], off offset:64
	v_lshl_add_u64 v[24:25], v[4:5], 0, v[10:11]
	s_waitcnt vmcnt(0)
	v_lshlrev_b32_e32 v0, 16, v0
	v_sub_f32_e32 v0, v0, v1
	global_store_short_d16_hi v[24:25], v0, off offset:64
	v_mul_f32_e32 v0, v16, v0
	v_lshrrev_b32_e32 v11, 16, v0
.LBB115_86:
	s_or_b64 exec, exec, s[6:7]
	v_mov_b32_e32 v15, 0
	v_mov_b32_e32 v13, 0
	s_and_saveexec_b64 s[6:7], s[2:3]
	s_cbranch_execz .LBB115_88
; %bb.87:
	v_mov_b32_e32 v13, 0
	v_lshl_add_u64 v[0:1], v[6:7], 0, v[12:13]
	global_load_ushort v23, v[0:1], off offset:64
	v_lshl_add_u64 v[0:1], v[4:5], 0, v[12:13]
	s_waitcnt vmcnt(0)
	v_lshlrev_b32_e32 v13, 16, v23
	v_sub_f32_e32 v2, v13, v2
	global_store_short_d16_hi v[0:1], v2, off offset:64
	v_mul_f32_e32 v0, v20, v2
	v_lshrrev_b32_e32 v13, 16, v0
.LBB115_88:
	s_or_b64 exec, exec, s[6:7]
	s_and_saveexec_b64 s[6:7], s[4:5]
	s_cbranch_execz .LBB115_90
; %bb.89:
	v_mov_b32_e32 v15, 0
	v_lshl_add_u64 v[0:1], v[6:7], 0, v[14:15]
	global_load_ushort v2, v[0:1], off offset:64
	v_lshl_add_u64 v[0:1], v[4:5], 0, v[14:15]
	s_waitcnt vmcnt(0)
	v_lshlrev_b32_e32 v2, 16, v2
	v_sub_f32_e32 v2, v2, v3
	global_store_short_d16_hi v[0:1], v2, off offset:64
	v_mul_f32_e32 v0, v17, v2
	v_lshrrev_b32_e32 v15, 16, v0
.LBB115_90:
	s_or_b64 exec, exec, s[6:7]
	s_mov_b32 s6, 0x5040100
	v_perm_b32 v24, v11, v9, s6
	v_or_b32_e32 v9, v21, v22
	v_accvgpr_read_b32 v0, a0
	v_perm_b32 v25, v15, v13, s6
	v_lshlrev_b32_e32 v9, 1, v9
	v_accvgpr_read_b32 v1, a1
	v_accvgpr_read_b32 v2, a2
	;; [unrolled: 1-line block ×3, first 2 shown]
	ds_write_b64 v9, v[24:25] offset:24576
	v_mov_b32_e32 v11, 0
	v_mov_b32_e32 v9, 0
	s_and_saveexec_b64 s[6:7], vcc
	s_cbranch_execz .LBB115_92
; %bb.91:
	v_mov_b32_e32 v9, 0
	v_lshl_add_u64 v[22:23], v[6:7], 0, v[8:9]
	global_load_ushort v13, v[22:23], off offset:96
	v_lshl_add_u64 v[8:9], v[4:5], 0, v[8:9]
	s_waitcnt vmcnt(0)
	v_lshlrev_b32_e32 v13, 16, v13
	v_sub_f32_e32 v0, v13, v0
	global_store_short_d16_hi v[8:9], v0, off offset:96
	v_mul_f32_e32 v0, v18, v0
	v_lshrrev_b32_e32 v9, 16, v0
.LBB115_92:
	s_or_b64 exec, exec, s[6:7]
	s_and_saveexec_b64 s[6:7], s[0:1]
	s_cbranch_execz .LBB115_94
; %bb.93:
	v_mov_b32_e32 v11, 0
	v_lshl_add_u64 v[22:23], v[6:7], 0, v[10:11]
	global_load_ushort v0, v[22:23], off offset:96
	v_lshl_add_u64 v[10:11], v[4:5], 0, v[10:11]
	s_waitcnt vmcnt(0)
	v_lshlrev_b32_e32 v0, 16, v0
	v_sub_f32_e32 v0, v0, v1
	global_store_short_d16_hi v[10:11], v0, off offset:96
	v_mul_f32_e32 v0, v16, v0
	v_lshrrev_b32_e32 v11, 16, v0
.LBB115_94:
	s_or_b64 exec, exec, s[6:7]
	v_mov_b32_e32 v0, 0
	v_mov_b32_e32 v1, 0
	s_and_saveexec_b64 s[0:1], s[2:3]
	s_cbranch_execz .LBB115_96
; %bb.95:
	v_mov_b32_e32 v13, 0
	v_lshl_add_u64 v[22:23], v[6:7], 0, v[12:13]
	global_load_ushort v1, v[22:23], off offset:96
	v_lshl_add_u64 v[12:13], v[4:5], 0, v[12:13]
	s_waitcnt vmcnt(0)
	v_lshlrev_b32_e32 v1, 16, v1
	v_sub_f32_e32 v1, v1, v2
	global_store_short_d16_hi v[12:13], v1, off offset:96
	v_mul_f32_e32 v1, v20, v1
	v_lshrrev_b32_e32 v1, 16, v1
.LBB115_96:
	s_or_b64 exec, exec, s[0:1]
	s_and_saveexec_b64 s[0:1], s[4:5]
	s_cbranch_execz .LBB115_98
; %bb.97:
	v_mov_b32_e32 v15, 0
	v_lshl_add_u64 v[6:7], v[6:7], 0, v[14:15]
	global_load_ushort v0, v[6:7], off offset:96
	v_lshl_add_u64 v[4:5], v[4:5], 0, v[14:15]
	s_waitcnt vmcnt(0)
	v_lshlrev_b32_e32 v0, 16, v0
	v_sub_f32_e32 v0, v0, v3
	global_store_short_d16_hi v[4:5], v0, off offset:96
	v_mul_f32_e32 v0, v17, v0
	v_lshrrev_b32_e32 v0, 16, v0
.LBB115_98:
	s_or_b64 exec, exec, s[0:1]
	s_mov_b32 s0, 0x5040100
	v_or_b32_e32 v2, v21, v19
	v_perm_b32 v1, v0, v1, s0
	v_perm_b32 v0, v11, v9, s0
	v_lshlrev_b32_e32 v2, 1, v2
	ds_write_b64 v2, v[0:1] offset:24576
	s_waitcnt lgkmcnt(0)
	s_barrier
.LBB115_99:
	s_endpgm
	.section	.rodata,"a",@progbits
	.p2align	6, 0x0
	.amdhsa_kernel _ZN12_GLOBAL__N_139chunk_gated_delta_rule_fwd_h_hip_kernelILi64ELb1ELb0ELb1ELb1ELb0ELb0ELb0ELb1EEEvPK12hip_bfloat16S3_S3_PKfS5_PKvPS1_S8_PvPKiSB_iiiiilll
		.amdhsa_group_segment_fixed_size 65536
		.amdhsa_private_segment_fixed_size 0
		.amdhsa_kernarg_size 136
		.amdhsa_user_sgpr_count 2
		.amdhsa_user_sgpr_dispatch_ptr 0
		.amdhsa_user_sgpr_queue_ptr 0
		.amdhsa_user_sgpr_kernarg_segment_ptr 1
		.amdhsa_user_sgpr_dispatch_id 0
		.amdhsa_user_sgpr_kernarg_preload_length 0
		.amdhsa_user_sgpr_kernarg_preload_offset 0
		.amdhsa_user_sgpr_private_segment_size 0
		.amdhsa_uses_dynamic_stack 0
		.amdhsa_enable_private_segment 0
		.amdhsa_system_sgpr_workgroup_id_x 1
		.amdhsa_system_sgpr_workgroup_id_y 1
		.amdhsa_system_sgpr_workgroup_id_z 0
		.amdhsa_system_sgpr_workgroup_info 0
		.amdhsa_system_vgpr_workitem_id 0
		.amdhsa_next_free_vgpr 216
		.amdhsa_next_free_sgpr 63
		.amdhsa_accum_offset 180
		.amdhsa_reserve_vcc 1
		.amdhsa_float_round_mode_32 0
		.amdhsa_float_round_mode_16_64 0
		.amdhsa_float_denorm_mode_32 3
		.amdhsa_float_denorm_mode_16_64 3
		.amdhsa_dx10_clamp 1
		.amdhsa_ieee_mode 1
		.amdhsa_fp16_overflow 0
		.amdhsa_tg_split 0
		.amdhsa_exception_fp_ieee_invalid_op 0
		.amdhsa_exception_fp_denorm_src 0
		.amdhsa_exception_fp_ieee_div_zero 0
		.amdhsa_exception_fp_ieee_overflow 0
		.amdhsa_exception_fp_ieee_underflow 0
		.amdhsa_exception_fp_ieee_inexact 0
		.amdhsa_exception_int_div_zero 0
	.end_amdhsa_kernel
	.section	.text._ZN12_GLOBAL__N_139chunk_gated_delta_rule_fwd_h_hip_kernelILi64ELb1ELb0ELb1ELb1ELb0ELb0ELb0ELb1EEEvPK12hip_bfloat16S3_S3_PKfS5_PKvPS1_S8_PvPKiSB_iiiiilll,"axG",@progbits,_ZN12_GLOBAL__N_139chunk_gated_delta_rule_fwd_h_hip_kernelILi64ELb1ELb0ELb1ELb1ELb0ELb0ELb0ELb1EEEvPK12hip_bfloat16S3_S3_PKfS5_PKvPS1_S8_PvPKiSB_iiiiilll,comdat
.Lfunc_end115:
	.size	_ZN12_GLOBAL__N_139chunk_gated_delta_rule_fwd_h_hip_kernelILi64ELb1ELb0ELb1ELb1ELb0ELb0ELb0ELb1EEEvPK12hip_bfloat16S3_S3_PKfS5_PKvPS1_S8_PvPKiSB_iiiiilll, .Lfunc_end115-_ZN12_GLOBAL__N_139chunk_gated_delta_rule_fwd_h_hip_kernelILi64ELb1ELb0ELb1ELb1ELb0ELb0ELb0ELb1EEEvPK12hip_bfloat16S3_S3_PKfS5_PKvPS1_S8_PvPKiSB_iiiiilll
                                        ; -- End function
	.section	.AMDGPU.csdata,"",@progbits
; Kernel info:
; codeLenInByte = 11336
; NumSgprs: 69
; NumVgprs: 180
; NumAgprs: 36
; TotalNumVgprs: 216
; ScratchSize: 0
; MemoryBound: 0
; FloatMode: 240
; IeeeMode: 1
; LDSByteSize: 65536 bytes/workgroup (compile time only)
; SGPRBlocks: 8
; VGPRBlocks: 26
; NumSGPRsForWavesPerEU: 69
; NumVGPRsForWavesPerEU: 216
; AccumOffset: 180
; Occupancy: 1
; WaveLimiterHint : 1
; COMPUTE_PGM_RSRC2:SCRATCH_EN: 0
; COMPUTE_PGM_RSRC2:USER_SGPR: 2
; COMPUTE_PGM_RSRC2:TRAP_HANDLER: 0
; COMPUTE_PGM_RSRC2:TGID_X_EN: 1
; COMPUTE_PGM_RSRC2:TGID_Y_EN: 1
; COMPUTE_PGM_RSRC2:TGID_Z_EN: 0
; COMPUTE_PGM_RSRC2:TIDIG_COMP_CNT: 0
; COMPUTE_PGM_RSRC3_GFX90A:ACCUM_OFFSET: 44
; COMPUTE_PGM_RSRC3_GFX90A:TG_SPLIT: 0
	.section	.text._ZN12_GLOBAL__N_139chunk_gated_delta_rule_fwd_h_hip_kernelILi64ELb1ELb0ELb0ELb1ELb0ELb0ELb0ELb1EEEvPK12hip_bfloat16S3_S3_PKfS5_PKvPS1_S8_PvPKiSB_iiiiilll,"axG",@progbits,_ZN12_GLOBAL__N_139chunk_gated_delta_rule_fwd_h_hip_kernelILi64ELb1ELb0ELb0ELb1ELb0ELb0ELb0ELb1EEEvPK12hip_bfloat16S3_S3_PKfS5_PKvPS1_S8_PvPKiSB_iiiiilll,comdat
	.globl	_ZN12_GLOBAL__N_139chunk_gated_delta_rule_fwd_h_hip_kernelILi64ELb1ELb0ELb0ELb1ELb0ELb0ELb0ELb1EEEvPK12hip_bfloat16S3_S3_PKfS5_PKvPS1_S8_PvPKiSB_iiiiilll ; -- Begin function _ZN12_GLOBAL__N_139chunk_gated_delta_rule_fwd_h_hip_kernelILi64ELb1ELb0ELb0ELb1ELb0ELb0ELb0ELb1EEEvPK12hip_bfloat16S3_S3_PKfS5_PKvPS1_S8_PvPKiSB_iiiiilll
	.p2align	8
	.type	_ZN12_GLOBAL__N_139chunk_gated_delta_rule_fwd_h_hip_kernelILi64ELb1ELb0ELb0ELb1ELb0ELb0ELb0ELb1EEEvPK12hip_bfloat16S3_S3_PKfS5_PKvPS1_S8_PvPKiSB_iiiiilll,@function
_ZN12_GLOBAL__N_139chunk_gated_delta_rule_fwd_h_hip_kernelILi64ELb1ELb0ELb0ELb1ELb0ELb0ELb0ELb1EEEvPK12hip_bfloat16S3_S3_PKfS5_PKvPS1_S8_PvPKiSB_iiiiilll: ; @_ZN12_GLOBAL__N_139chunk_gated_delta_rule_fwd_h_hip_kernelILi64ELb1ELb0ELb0ELb1ELb0ELb0ELb0ELb1EEEvPK12hip_bfloat16S3_S3_PKfS5_PKvPS1_S8_PvPKiSB_iiiiilll
; %bb.0:
	s_load_dwordx4 s[12:15], s[0:1], 0x5c
	s_load_dwordx4 s[20:23], s[0:1], 0x70
	s_abs_i32 s9, s3
	s_ashr_i32 s8, s3, 31
	s_load_dwordx4 s[4:7], s[0:1], 0x48
	s_waitcnt lgkmcnt(0)
	s_abs_i32 s10, s13
	v_cvt_f32_u32_e32 v1, s10
	s_sub_i32 s16, 0, s10
	s_ashr_i32 s11, s13, 31
	s_xor_b32 s8, s8, s11
	v_rcp_iflag_f32_e32 v1, v1
	v_and_b32_e32 v77, 15, v0
	v_lshrrev_b32_e32 v75, 6, v0
	v_bfe_u32 v76, v0, 4, 2
	v_mul_f32_e32 v1, 0x4f7ffffe, v1
	v_cvt_u32_f32_e32 v1, v1
	v_mov_b32_e32 v7, 0
	v_and_b32_e32 v74, 63, v0
	v_lshlrev_b32_e32 v78, 3, v0
	v_readfirstlane_b32 s17, v1
	s_mul_i32 s16, s16, s17
	s_mul_hi_u32 s16, s17, s16
	s_add_i32 s17, s17, s16
	s_mul_hi_u32 s16, s9, s17
	s_mul_i32 s17, s16, s10
	s_sub_i32 s9, s9, s17
	s_add_i32 s18, s16, 1
	s_sub_i32 s17, s9, s10
	s_cmp_ge_u32 s9, s10
	s_cselect_b32 s16, s18, s16
	s_cselect_b32 s9, s17, s9
	s_add_i32 s17, s16, 1
	s_cmp_ge_u32 s9, s10
	s_cselect_b32 s9, s17, s16
	s_load_dwordx4 s[16:19], s[0:1], 0x28
	s_xor_b32 s9, s9, s8
	s_sub_i32 s24, s9, s8
	s_mul_i32 s28, s24, s13
	s_ashr_i32 s25, s24, 31
	s_sub_i32 s45, s3, s28
	s_lshl_b64 s[8:9], s[24:25], 2
	s_add_u32 s4, s4, s8
	s_addc_u32 s5, s5, s9
	s_add_u32 s26, s6, s8
	s_addc_u32 s27, s7, s9
	s_abs_i32 s3, s14
	v_cvt_f32_u32_e32 v1, s3
	s_load_dwordx2 s[30:31], s[4:5], 0x0
	s_sub_i32 s5, 0, s3
	s_lshl_b32 s2, s2, 6
	v_rcp_iflag_f32_e32 v1, v1
	v_or_b32_e32 v34, s2, v77
	s_waitcnt lgkmcnt(0)
	s_sub_i32 s48, s31, s30
	s_ashr_i32 s4, s48, 31
	v_mul_f32_e32 v1, 0x4f7ffffe, v1
	v_cvt_u32_f32_e32 v1, v1
	s_lshr_b32 s4, s4, 26
	s_add_i32 s4, s48, s4
	s_ashr_i32 s47, s4, 6
	v_readfirstlane_b32 s6, v1
	s_mul_i32 s5, s5, s6
	s_mul_hi_u32 s5, s6, s5
	s_add_i32 s6, s6, s5
	s_mul_hi_u32 s5, s10, s6
	s_mul_i32 s6, s5, s3
	s_ashr_i32 s4, s14, 31
	s_sub_i32 s6, s10, s6
	s_xor_b32 s4, s11, s4
	s_add_i32 s7, s5, 1
	s_sub_i32 s8, s6, s3
	s_cmp_ge_u32 s6, s3
	s_cselect_b32 s5, s7, s5
	s_cselect_b32 s6, s8, s6
	s_add_i32 s7, s5, 1
	s_cmp_ge_u32 s6, s3
	s_cselect_b32 s3, s7, s5
	s_xor_b32 s3, s3, s4
	s_sub_i32 s3, s3, s4
	s_abs_i32 s4, s3
	v_cvt_f32_u32_e32 v1, s4
	s_sub_i32 s6, 0, s4
	s_abs_i32 s5, s45
	s_xor_b32 s3, s45, s3
	v_rcp_iflag_f32_e32 v1, v1
	s_ashr_i32 s3, s3, 31
	v_lshlrev_b32_e32 v2, 7, v34
	v_or_b32_e32 v10, 0x800, v2
	v_mul_f32_e32 v1, 0x4f7ffffe, v1
	v_cvt_u32_f32_e32 v1, v1
	v_ashrrev_i32_e32 v3, 31, v2
	v_ashrrev_i32_e32 v11, 31, v10
	v_lshrrev_b32_e32 v79, 3, v74
	v_readfirstlane_b32 s7, v1
	s_mul_i32 s6, s6, s7
	s_mul_hi_u32 s6, s7, s6
	s_add_i32 s7, s7, s6
	s_mul_hi_u32 s6, s5, s7
	s_mul_i32 s7, s6, s4
	s_sub_i32 s5, s5, s7
	s_add_i32 s7, s6, 1
	s_sub_i32 s8, s5, s4
	s_cmp_ge_u32 s5, s4
	s_cselect_b32 s6, s7, s6
	s_cselect_b32 s5, s8, s5
	s_add_i32 s7, s6, 1
	s_cmp_ge_u32 s5, s4
	s_cselect_b32 s4, s7, s6
	s_xor_b32 s4, s4, s3
	s_sub_i32 s49, s4, s3
	s_ashr_i32 s46, s45, 31
	s_mul_hi_i32 s3, s24, s13
	s_add_u32 s4, s28, s45
	s_addc_u32 s5, s3, s46
	s_lshl_b64 s[4:5], s[4:5], 15
	v_lshlrev_b32_e32 v1, 4, v75
	s_add_u32 s4, s16, s4
	v_lshl_or_b32 v80, v76, 2, v1
	s_addc_u32 s5, s17, s5
	v_lshl_add_u64 v[4:5], v[2:3], 1, s[4:5]
	v_lshlrev_b32_e32 v6, 1, v80
	v_lshl_add_u64 v[10:11], v[10:11], 1, s[4:5]
	v_lshl_add_u64 v[4:5], v[4:5], 0, v[6:7]
	;; [unrolled: 1-line block ×3, first 2 shown]
	global_load_dwordx2 v[8:9], v[4:5], off
	v_or_b32_e32 v81, 64, v80
	global_load_dwordx2 v[4:5], v[4:5], off offset:128
	s_nop 0
	global_load_dwordx2 v[12:13], v[10:11], off
	global_load_dwordx2 v[14:15], v[10:11], off offset:128
	v_or_b32_e32 v10, 0x1000, v2
	v_or_b32_e32 v2, 0x1800, v2
	v_ashrrev_i32_e32 v11, 31, v10
	v_ashrrev_i32_e32 v3, 31, v2
	v_lshl_add_u64 v[10:11], v[10:11], 1, s[4:5]
	v_lshl_add_u64 v[2:3], v[2:3], 1, s[4:5]
	;; [unrolled: 1-line block ×4, first 2 shown]
	global_load_dwordx2 v[16:17], v[10:11], off
	s_mul_i32 s33, s24, s21
	global_load_dwordx2 v[10:11], v[10:11], off offset:128
	s_nop 0
	global_load_dwordx2 v[6:7], v[2:3], off
	global_load_dwordx2 v[18:19], v[2:3], off offset:128
	s_load_dwordx8 s[4:11], s[0:1], 0x0
	s_load_dwordx2 s[28:29], s[0:1], 0x80
	s_load_dword s52, s[26:27], 0x0
	s_mul_hi_u32 s41, s24, s20
	s_mul_i32 s40, s25, s20
	s_mul_hi_i32 s50, s45, s12
	s_mul_i32 s51, s45, s12
	s_cmp_lt_i32 s48, 64
	s_mul_i32 s36, s24, s20
	s_mul_i32 s42, s45, s23
	s_mul_hi_u32 s43, s45, s22
	s_mul_i32 s44, s46, s22
	s_mul_i32 s34, s45, s22
	s_waitcnt vmcnt(7)
	v_and_b32_e32 v63, 0xffff0000, v8
	v_lshlrev_b32_e32 v62, 16, v8
	v_and_b32_e32 v67, 0xffff0000, v9
	v_lshlrev_b32_e32 v66, 16, v9
	s_waitcnt vmcnt(6)
	v_and_b32_e32 v61, 0xffff0000, v4
	v_lshlrev_b32_e32 v60, 16, v4
	v_and_b32_e32 v65, 0xffff0000, v5
	v_lshlrev_b32_e32 v64, 16, v5
	;; [unrolled: 5-line block ×8, first 2 shown]
	s_cbranch_scc1 .LBB116_18
; %bb.1:
	s_ashr_i32 s1, s30, 31
	s_add_u32 s0, s51, s30
	s_addc_u32 s1, s50, s1
	s_lshl_b64 s[0:1], s[0:1], 8
	v_and_b32_e32 v83, 56, v78
	s_waitcnt lgkmcnt(0)
	s_add_u32 s20, s6, s0
	v_lshl_or_b32 v82, v75, 3, v79
	v_lshlrev_b32_e32 v2, 1, v83
	s_addc_u32 s0, s7, s1
	v_lshl_or_b32 v84, v82, 8, v2
	s_and_b32 s21, s0, 0xffff
	s_mov_b32 s23, 0x20000
	s_movk_i32 s22, 0x4000
	s_movk_i32 s0, 0x80
	v_or_b32_e32 v85, 0x2000, v84
	buffer_load_dwordx4 v[4:7], v84, s[20:23], 0 offen
	buffer_load_dwordx4 v[8:11], v84, s[20:23], s0 offen
	;; [unrolled: 1-line block ×4, first 2 shown]
	v_lshlrev_b32_e32 v3, 3, v82
	v_and_or_b32 v21, v0, 7, v3
	v_and_b32_e32 v3, 0x78, v3
	v_lshlrev_b32_e32 v21, 4, v21
	v_xor_b32_e32 v86, v21, v3
	v_mul_lo_u32 v20, v82, s15
	v_or_b32_e32 v87, 0x1000, v86
	v_xor_b32_e32 v3, 8, v86
	s_cmpk_eq_i32 s15, 0x80
	s_mov_b32 s53, s30
	v_xor_b32_e32 v21, 8, v87
	s_cselect_b64 s[0:1], -1, 0
	s_cmpk_lg_i32 s15, 0x80
	s_waitcnt vmcnt(3)
	ds_write_b64 v86, v[4:5] offset:49152
	ds_write_b64 v3, v[6:7] offset:49152
	s_waitcnt vmcnt(2)
	ds_write_b64 v86, v[8:9] offset:57344
	ds_write_b64 v3, v[10:11] offset:57344
	;; [unrolled: 3-line block ×4, first 2 shown]
	v_lshl_add_u32 v3, v20, 1, v83
	s_cbranch_scc0 .LBB116_3
; %bb.2:
	v_lshlrev_b32_e32 v5, 1, v3
	v_add_lshl_u32 v4, v3, s15, 1
	s_lshl_b32 s22, s15, 7
	v_lshl_or_b32 v2, v82, 9, v2
	s_cbranch_execz .LBB116_4
	s_branch .LBB116_5
.LBB116_3:
                                        ; implicit-def: $vgpr4
                                        ; implicit-def: $vgpr5
                                        ; implicit-def: $sgpr22
	v_lshl_or_b32 v2, v82, 9, v2
.LBB116_4:
	v_or_b32_e32 v4, 0x100, v2
	s_movk_i32 s22, 0x4000
	v_mov_b32_e32 v5, v2
.LBB116_5:
	s_mul_i32 s16, s30, s14
	s_ashr_i32 s54, s49, 31
	s_mul_hi_i32 s3, s30, s14
	s_add_u32 s16, s16, s49
	s_addc_u32 s17, s3, s54
	s_lshl_b64 s[16:17], s[16:17], 8
	s_add_u32 s20, s4, s16
	s_addc_u32 s3, s5, s17
	s_and_b32 s21, s3, 0xffff
	s_movk_i32 s55, 0x80
	buffer_load_dwordx4 v[6:9], v5, s[20:23], 0 offen
	buffer_load_dwordx4 v[10:13], v5, s[20:23], s55 offen
	buffer_load_dwordx4 v[14:17], v4, s[20:23], 0 offen
	buffer_load_dwordx4 v[18:21], v4, s[20:23], s55 offen
	v_and_b32_e32 v5, 6, v0
	v_lshlrev_b32_e32 v4, 7, v80
	v_xor_b32_e32 v27, v82, v5
	v_and_b32_e32 v22, 1, v0
	v_lshl_or_b32 v30, v77, 3, v4
	v_lshlrev_b32_e32 v27, 2, v27
	v_lshlrev_b32_e32 v23, 2, v77
	v_or_b32_e32 v88, 0x4000, v30
	v_or_b32_e32 v89, 0x6000, v30
	v_xor_b32_e32 v30, 0x440, v27
	v_cmp_eq_u32_e32 vcc, 0, v22
	v_or_b32_e32 v25, 16, v77
	v_or_b32_e32 v26, 32, v77
	v_xor_b32_e32 v28, v80, v23
	v_xor_b32_e32 v29, v81, v23
	v_cndmask_b32_e32 v22, v30, v27, vcc
	s_mov_b32 s56, 0x1000504
	v_lshl_or_b32 v31, v25, 3, v4
	v_lshlrev_b32_e32 v25, 8, v25
	v_lshl_or_b32 v32, v26, 3, v4
	v_lshlrev_b32_e32 v28, 1, v28
	v_lshlrev_b32_e32 v29, 1, v29
	v_lshl_or_b32 v5, v5, 10, v22
	s_add_i32 s3, s41, s33
	s_mov_b32 s57, 0x3020706
	v_lshlrev_b32_e32 v24, 8, v77
	v_or_b32_e32 v92, 0x4000, v32
	v_or_b32_e32 v93, 0x6000, v32
	;; [unrolled: 1-line block ×4, first 2 shown]
	v_xor_b32_e32 v22, 8, v5
	v_xor_b32_e32 v25, 24, v5
	;; [unrolled: 1-line block ×4, first 2 shown]
	s_add_i32 s37, s3, s40
	s_add_i32 s3, s43, s42
	v_or_b32_e32 v90, 0x4000, v31
	v_or_b32_e32 v91, 0x6000, v31
	;; [unrolled: 1-line block ×4, first 2 shown]
	v_xor_b32_e32 v24, 16, v5
	v_xor_b32_e32 v27, 32, v5
	v_xor_b32_e32 v31, 48, v5
	v_add_u32_e32 v22, 0x80, v22
	v_add_u32_e32 v25, 0x80, v25
	;; [unrolled: 1-line block ×4, first 2 shown]
	s_add_i32 s35, s3, s44
	s_lshl_b64 s[16:17], s[36:37], 2
	s_add_u32 s3, s10, s16
	s_addc_u32 s20, s11, s17
	s_lshl_b64 s[16:17], s[34:35], 2
	s_add_u32 s16, s3, s16
	s_movk_i32 s3, 0xf8
	s_addc_u32 s17, s20, s17
	s_lshl_b32 s26, s15, 7
	s_movk_i32 s24, 0x100
	v_mov_b32_e32 v69, 0
	v_lshlrev_b32_e32 v68, 4, v77
	v_cmp_gt_u32_e32 vcc, s24, v0
	v_lshlrev_b32_e32 v26, 8, v26
	s_mov_b32 s58, 0
	s_movk_i32 s22, 0x4000
	v_or_b32_e32 v98, v26, v28
	v_or_b32_e32 v99, v26, v29
	s_movk_i32 s35, 0x2000
	s_movk_i32 s37, 0x3000
	v_mov_b32_e32 v131, 0x3fb8aa3b
	s_waitcnt vmcnt(1)
	v_perm_b32 v33, v6, v14, s56
	s_waitcnt vmcnt(0)
	v_perm_b32 v35, v10, v18, s56
	v_perm_b32 v6, v6, v14, s57
	;; [unrolled: 1-line block ×15, first 2 shown]
	ds_write2st64_b32 v5, v33, v35 offset0:128 offset1:160
	ds_write2st64_b32 v22, v6, v10 offset0:128 offset1:160
	;; [unrolled: 1-line block ×8, first 2 shown]
	v_or_b32_e32 v5, 48, v77
	v_lshl_or_b32 v6, v5, 3, v4
	v_lshlrev_b32_e32 v5, 8, v5
	v_or_b32_e32 v102, v5, v28
	v_or_b32_e32 v103, v5, v29
	;; [unrolled: 1-line block ×3, first 2 shown]
	v_lshlrev_b32_e32 v5, 3, v5
	v_lshrrev_b32_e32 v7, 5, v74
	v_and_or_b32 v7, v5, s3, v7
	v_lshlrev_b32_e32 v7, 4, v7
	v_lshlrev_b32_e32 v8, 11, v75
	v_and_b32_e32 v5, 0x78, v5
	v_or_b32_e32 v13, 32, v7
	v_or_b32_e32 v100, 0x4000, v6
	v_or_b32_e32 v101, 0x6000, v6
	v_and_b32_e32 v6, 0x1000, v8
	v_xor_b32_e32 v9, v7, v5
	v_lshrrev_b32_e32 v10, 1, v0
	v_xor_b32_e32 v13, v13, v5
	v_or_b32_e32 v9, v9, v6
	v_and_b32_e32 v11, 8, v10
	v_or_b32_e32 v13, v13, v6
	v_xor_b32_e32 v104, v9, v11
	v_lshlrev_b32_e32 v9, 8, v76
	v_xor_b32_e32 v106, v13, v11
	v_or_b32_e32 v13, 64, v7
	v_or_b32_e32 v7, 0x60, v7
	s_ashr_i32 s3, s2, 31
	v_or_b32_e32 v12, v9, v23
	v_xor_b32_e32 v13, v13, v5
	v_xor_b32_e32 v5, v7, v5
	s_lshl_b64 s[20:21], s[2:3], 8
	v_lshlrev_b32_e32 v12, 1, v12
	v_or_b32_e32 v13, v13, v6
	v_or_b32_e32 v5, v5, v6
	s_add_u32 s20, s18, s20
	v_lshlrev_b32_e32 v6, 1, v77
	v_or_b32_e32 v105, 0x4000, v12
	v_or_b32_e32 v107, 0x4080, v12
	;; [unrolled: 1-line block ×8, first 2 shown]
	v_lshrrev_b32_e32 v12, 4, v0
	s_addc_u32 s21, s19, s21
	v_or_b32_e32 v7, 1, v6
	v_mov_b32_e32 v16, 0xa000
	v_mov_b32_e32 v17, 0x8000
	v_xor_b32_e32 v110, v13, v11
	v_xor_b32_e32 v13, v12, v6
	v_xor_b32_e32 v14, v7, v12
	v_lshl_add_u64 v[6:7], s[20:21], 0, v[68:69]
	v_lshlrev_b32_e32 v68, 8, v12
	v_cndmask_b32_e32 v16, v16, v17, vcc
	v_lshlrev_b32_e32 v17, 3, v75
	v_and_b32_e32 v10, 24, v10
	v_lshl_or_b32 v116, v13, 3, v68
	v_and_b32_e32 v13, 8, v0
	v_xor_b32_e32 v18, v17, v10
	v_or_b32_e32 v19, 0x440, v18
	v_cmp_eq_u32_e32 vcc, 0, v13
	v_and_b32_e32 v12, 7, v0
	v_lshl_or_b32 v117, v14, 3, v68
	v_cndmask_b32_e32 v13, v19, v18, vcc
	v_lshlrev_b32_e32 v14, 3, v12
	v_lshlrev_b32_e32 v12, 7, v12
	v_or_b32_e32 v13, v13, v8
	v_lshlrev_b32_e32 v15, 2, v0
	v_xad_u32 v118, v13, v14, v12
	v_or_b32_e32 v13, 32, v10
	v_and_or_b32 v9, v15, 60, v9
	v_xor_b32_e32 v13, v17, v13
	v_lshlrev_b32_e32 v9, 1, v9
	v_or_b32_e32 v15, 0x440, v13
	v_or_b32_e32 v119, 0x6000, v9
	v_cndmask_b32_e32 v13, v15, v13, vcc
	v_or_b32_e32 v121, 0x6080, v9
	v_or_b32_e32 v122, 0x6100, v9
	;; [unrolled: 1-line block ×5, first 2 shown]
	v_xor_b32_e32 v9, v17, v9
	v_xad_u32 v120, v13, v14, v12
	v_xor_b32_e32 v13, 0x440, v9
	v_cndmask_b32_e32 v9, v13, v9, vcc
	v_or_b32_e32 v9, v9, v8
	v_xad_u32 v124, v9, v14, v12
	v_or_b32_e32 v9, 0x60, v10
	v_xor_b32_e32 v9, v17, v9
	v_xor_b32_e32 v10, 0x440, v9
	v_cndmask_b32_e32 v9, v10, v9, vcc
	v_or_b32_e32 v8, v9, v8
	v_xor_b32_e32 v111, v5, v11
	v_ashrrev_i32_e32 v35, 31, v34
	v_lshlrev_b32_e32 v5, 1, v3
	v_add_lshl_u32 v3, v3, s15, 1
	v_or_b32_e32 v11, 0x100, v2
	v_xad_u32 v125, v8, v14, v12
	v_cndmask_b32_e64 v126, v5, v2, s[0:1]
	v_cndmask_b32_e64 v127, v3, v11, s[0:1]
	v_lshl_add_u64 v[70:71], v[34:35], 1, s[8:9]
	v_lshl_add_u64 v[72:73], v[6:7], 0, v[68:69]
	s_mov_b32 s3, 0x7060302
	v_lshlrev_b32_e32 v68, 1, v4
	v_add_u32_e32 v35, v16, v118
	v_add_u32_e32 v128, v16, v120
	;; [unrolled: 1-line block ×4, first 2 shown]
	s_waitcnt lgkmcnt(0)
	s_barrier
.LBB116_6:                              ; =>This Inner Loop Header: Depth=1
	s_add_i32 s59, s58, 1
	s_cmp_lt_i32 s59, s47
	s_mov_b64 s[24:25], 0
	s_cselect_b64 s[38:39], -1, 0
	s_cmp_ge_i32 s59, s47
	s_mov_b64 s[20:21], 0
	s_cbranch_scc1 .LBB116_8
; %bb.7:                                ;   in Loop: Header=BB116_6 Depth=1
	s_add_i32 s0, s53, 64
	s_ashr_i32 s1, s0, 31
	s_add_u32 s0, s51, s0
	s_addc_u32 s1, s50, s1
	s_lshl_b64 s[0:1], s[0:1], 8
	s_add_u32 s20, s6, s0
	s_addc_u32 s21, s7, s1
.LBB116_8:                              ;   in Loop: Header=BB116_6 Depth=1
	v_cndmask_b32_e64 v2, 0, 1, s[38:39]
	v_cmp_ne_u32_e64 s[0:1], 1, v2
	s_andn2_b64 vcc, exec, s[38:39]
	s_cbranch_vccnz .LBB116_10
; %bb.9:                                ;   in Loop: Header=BB116_6 Depth=1
	s_add_i32 s24, s53, 64
	s_mul_hi_i32 s25, s24, s14
	s_mul_i32 s24, s24, s14
	s_add_u32 s24, s24, s49
	s_addc_u32 s25, s25, s54
	s_lshl_b64 s[24:25], s[24:25], 8
	s_add_u32 s24, s4, s24
	s_addc_u32 s25, s5, s25
.LBB116_10:                             ;   in Loop: Header=BB116_6 Depth=1
	v_perm_b32 v3, v67, v66, s3
	v_perm_b32 v2, v63, v62, s3
	v_perm_b32 v5, v65, v64, s3
	v_perm_b32 v4, v61, v60, s3
	ds_write_b64 v88, v[2:3]
	ds_write_b64 v89, v[4:5]
	ds_write_b64 v94, v[2:3]
	ds_write_b64 v95, v[4:5]
	v_perm_b32 v3, v59, v58, s3
	v_perm_b32 v2, v55, v54, s3
	v_perm_b32 v5, v57, v56, s3
	v_perm_b32 v4, v53, v52, s3
	ds_write_b64 v90, v[2:3]
	ds_write_b64 v91, v[4:5]
	ds_write_b64 v96, v[2:3]
	ds_write_b64 v97, v[4:5]
	;; [unrolled: 8-line block ×4, first 2 shown]
	s_waitcnt lgkmcnt(0)
	s_barrier
	ds_read_b64 v[6:7], v104 offset:49152
	ds_read2_b64 v[2:5], v105 offset1:16
	ds_read_b64 v[18:19], v107 offset:6144
	ds_read_b64 v[20:21], v105 offset:6144
	s_waitcnt lgkmcnt(2)
	v_mfma_f32_16x16x16_bf16 a[0:3], v[6:7], v[2:3], 0
	ds_read_b64 v[22:23], v106 offset:49152
	ds_read2st64_b64 v[10:13], v108 offset0:4 offset1:8
	ds_read2st64_b64 v[14:17], v109 offset0:4 offset1:8
	v_mfma_f32_16x16x16_bf16 a[4:7], v[6:7], v[4:5], 0
	ds_read2_b64 v[2:5], v105 offset0:32 offset1:48
	s_add_i32 s27, s53, 63
	s_ashr_i32 s38, s27, 31
	s_waitcnt lgkmcnt(0)
	v_mfma_f32_16x16x16_bf16 a[8:11], v[6:7], v[2:3], 0
	s_mul_i32 s39, s27, s29
	s_mul_hi_u32 s60, s27, s28
	s_add_i32 s39, s60, s39
	v_mfma_f32_16x16x16_bf16 a[12:15], v[6:7], v[4:5], 0
	ds_read2st64_b64 v[2:5], v105 offset0:4 offset1:8
	ds_read2st64_b64 v[6:9], v107 offset0:4 offset1:8
	s_mul_i32 s38, s38, s28
	s_waitcnt lgkmcnt(1)
	v_mfma_f32_16x16x16_bf16 a[0:3], v[22:23], v[2:3], a[0:3]
	s_add_i32 s39, s39, s38
	s_mul_i32 s38, s27, s28
	s_lshl_b64 s[38:39], s[38:39], 2
	s_waitcnt lgkmcnt(0)
	v_mfma_f32_16x16x16_bf16 a[4:7], v[22:23], v[6:7], a[4:7]
	s_add_u32 s38, s16, s38
	s_addc_u32 s39, s17, s39
	s_and_b64 vcc, exec, s[0:1]
	v_mfma_f32_16x16x16_bf16 a[8:11], v[22:23], v[10:11], a[8:11]
	ds_read_b64 v[2:3], v110 offset:49152
	ds_read_b64 v[6:7], v111 offset:49152
	;; [unrolled: 1-line block ×3, first 2 shown]
	v_mov_b32_e32 v134, 0
	v_mov_b32_e32 v133, 0
	v_mfma_f32_16x16x16_bf16 a[12:15], v[22:23], v[14:15], a[12:15]
	v_mov_b32_e32 v132, 0
	v_mov_b32_e32 v14, 0
	;; [unrolled: 1-line block ×3, first 2 shown]
	s_waitcnt lgkmcnt(2)
	v_mfma_f32_16x16x16_bf16 a[0:3], v[2:3], v[4:5], a[0:3]
	v_mov_b32_e32 v4, 0
	v_mov_b32_e32 v5, 0
	v_mfma_f32_16x16x16_bf16 a[16:19], v[2:3], v[8:9], a[4:7]
	v_mov_b32_e32 v8, 0
	v_mov_b32_e32 v9, 0
	;; [unrolled: 3-line block ×3, first 2 shown]
	v_mfma_f32_16x16x16_bf16 a[24:27], v[2:3], v[16:17], a[12:15]
	ds_read_b64 v[2:3], v108 offset:6144
	v_mov_b32_e32 v16, 0
	v_mov_b32_e32 v17, 0
	s_waitcnt lgkmcnt(2)
	v_mfma_f32_16x16x16_bf16 a[4:7], v[6:7], v[20:21], a[0:3]
	v_mfma_f32_16x16x16_bf16 a[8:11], v[6:7], v[18:19], a[16:19]
	s_waitcnt lgkmcnt(0)
	v_mfma_f32_16x16x16_bf16 a[12:15], v[6:7], v[2:3], a[20:23]
	v_mov_b32_e32 v2, 0
	v_mov_b32_e32 v3, 0
	v_mfma_f32_16x16x16_bf16 a[0:3], v[6:7], v[10:11], a[24:27]
	v_mov_b32_e32 v6, 0
	v_mov_b32_e32 v7, 0
	;; [unrolled: 1-line block ×4, first 2 shown]
	s_cbranch_vccnz .LBB116_12
; %bb.11:                               ;   in Loop: Header=BB116_6 Depth=1
	s_and_b32 s21, s21, 0xffff
	buffer_load_dwordx4 v[14:17], v84, s[20:23], 0 offen
	buffer_load_dwordx4 v[10:13], v84, s[20:23], s55 offen
	;; [unrolled: 1-line block ×4, first 2 shown]
	v_mov_b32_e32 v133, v86
	v_mov_b32_e32 v132, v87
.LBB116_12:                             ;   in Loop: Header=BB116_6 Depth=1
	ds_read_b64 v[136:137], v104 offset:57344
	ds_read2_b64 v[18:21], v112 offset1:16
	ds_read_b64 v[138:139], v106 offset:57344
	ds_read_b64 v[140:141], v110 offset:57344
	;; [unrolled: 1-line block ×3, first 2 shown]
	v_add_u32_e32 v135, s53, v80
	s_waitcnt lgkmcnt(3)
	v_mfma_f32_16x16x16_bf16 a[4:7], v[136:137], v[18:19], a[4:7]
	v_mfma_f32_16x16x16_bf16 a[8:11], v[136:137], v[20:21], a[8:11]
	ds_read2_b64 v[18:21], v112 offset0:32 offset1:48
	ds_read2st64_b64 v[22:25], v112 offset0:4 offset1:8
	ds_read2st64_b64 v[26:29], v113 offset0:4 offset1:8
	ds_read2st64_b64 v[30:33], v114 offset0:4 offset1:8
	s_waitcnt lgkmcnt(3)
	v_mfma_f32_16x16x16_bf16 a[12:15], v[136:137], v[18:19], a[12:15]
	v_ashrrev_i32_e32 v18, 31, v135
	v_mfma_f32_16x16x16_bf16 a[0:3], v[136:137], v[20:21], a[0:3]
	v_mul_lo_u32 v20, v18, s28
	v_mul_lo_u32 v21, v135, s29
	v_mad_u64_u32 v[18:19], s[20:21], v135, s28, 0
	v_add3_u32 v19, v19, v21, v20
	v_add_u32_e32 v20, 1, v135
	v_ashrrev_i32_e32 v21, 31, v20
	s_waitcnt lgkmcnt(2)
	v_mfma_f32_16x16x16_bf16 a[4:7], v[138:139], v[22:23], a[4:7]
	v_mul_lo_u32 v22, v21, s28
	v_mul_lo_u32 v23, v20, s29
	v_mad_u64_u32 v[20:21], s[20:21], v20, s28, 0
	v_add3_u32 v21, v21, v23, v22
	v_add_u32_e32 v22, 2, v135
	v_ashrrev_i32_e32 v23, 31, v22
	s_waitcnt lgkmcnt(1)
	v_mfma_f32_16x16x16_bf16 a[8:11], v[138:139], v[26:27], a[8:11]
	v_mul_lo_u32 v26, v23, s28
	v_mul_lo_u32 v27, v22, s29
	v_mad_u64_u32 v[22:23], s[20:21], v22, s28, 0
	v_add3_u32 v23, v23, v27, v26
	v_add_u32_e32 v26, 3, v135
	v_ashrrev_i32_e32 v27, 31, v26
	v_mul_lo_u32 v135, v27, s28
	v_mul_lo_u32 v136, v26, s29
	v_mad_u64_u32 v[26:27], s[20:21], v26, s28, 0
	s_ashr_i32 s21, s53, 31
	s_add_u32 s20, s51, s53
	v_lshl_add_u64 v[18:19], v[18:19], 2, s[16:17]
	v_add3_u32 v27, v27, v136, v135
	s_addc_u32 s21, s50, s21
	v_lshl_add_u64 v[20:21], v[20:21], 2, s[16:17]
	global_load_dword v137, v[18:19], off
	v_lshl_add_u64 v[18:19], v[26:27], 2, s[16:17]
	s_lshl_b64 s[20:21], s[20:21], 8
	v_lshl_add_u64 v[22:23], v[22:23], 2, s[16:17]
	global_load_dword v135, v[20:21], off
	global_load_dword v136, v[22:23], off
	;; [unrolled: 1-line block ×3, first 2 shown]
	v_lshl_add_u64 v[18:19], v[70:71], 0, s[20:21]
	v_lshl_add_u64 v[22:23], v[18:19], 0, v[68:69]
	global_load_ushort v145, v[22:23], off offset:256
	global_load_ushort v146, v[22:23], off
	ds_read2st64_b64 v[18:21], v115 offset0:4 offset1:8
	global_load_ushort v147, v[22:23], off offset:768
	global_load_ushort v148, v[22:23], off offset:512
	s_waitcnt lgkmcnt(1)
	v_mfma_f32_16x16x16_bf16 a[12:15], v[138:139], v[30:31], a[12:15]
	s_and_b64 vcc, exec, s[0:1]
	s_waitcnt vmcnt(3)
	v_lshlrev_b32_e32 v31, 16, v145
	s_waitcnt lgkmcnt(0)
	v_mfma_f32_16x16x16_bf16 a[0:3], v[138:139], v[18:19], a[0:3]
	global_load_ushort v138, v[22:23], off offset:288
	global_load_ushort v139, v[22:23], off offset:32
	;; [unrolled: 1-line block ×8, first 2 shown]
	v_mfma_f32_16x16x16_bf16 a[4:7], v[140:141], v[24:25], a[4:7]
	ds_read_b64 v[18:19], v112 offset:6144
	s_waitcnt vmcnt(10)
	v_lshlrev_b32_e32 v30, 16, v146
	v_mfma_f32_16x16x16_bf16 a[8:11], v[140:141], v[28:29], a[8:11]
	v_mfma_f32_16x16x16_bf16 a[12:15], v[140:141], v[32:33], a[12:15]
	;; [unrolled: 1-line block ×3, first 2 shown]
	global_load_ushort v140, v[22:23], off offset:352
	global_load_ushort v141, v[22:23], off offset:96
	ds_read_b64 v[20:21], v113 offset:6144
	ds_read_b64 v[24:25], v114 offset:6144
	;; [unrolled: 1-line block ×3, first 2 shown]
	global_load_ushort v155, v[22:23], off offset:864
	global_load_ushort v156, v[22:23], off offset:608
	s_load_dword s20, s[38:39], 0x0
	s_waitcnt lgkmcnt(0)
	v_mfma_f32_16x16x16_bf16 a[4:7], v[142:143], v[18:19], a[4:7]
	v_sub_f32_e32 v28, s20, v136
	v_mfma_f32_16x16x16_bf16 a[0:3], v[142:143], v[26:27], a[0:3]
	v_sub_f32_e32 v26, s20, v137
	v_sub_f32_e32 v27, s20, v135
	v_sub_f32_e32 v29, s20, v144
	v_mul_f32_e32 v26, 0x3fb8aa3b, v26
	v_mul_f32_e32 v27, 0x3fb8aa3b, v27
	;; [unrolled: 1-line block ×4, first 2 shown]
	v_mfma_f32_16x16x16_bf16 a[8:11], v[142:143], v[20:21], a[8:11]
	v_exp_f32_e32 v26, v26
	v_exp_f32_e32 v27, v27
	;; [unrolled: 1-line block ×4, first 2 shown]
	v_accvgpr_read_b32 v33, a5
	v_accvgpr_read_b32 v32, a4
	;; [unrolled: 1-line block ×4, first 2 shown]
	v_pk_add_f32 v[30:31], v[30:31], v[32:33] neg_lo:[0,1] neg_hi:[0,1]
	s_waitcnt vmcnt(13)
	v_lshlrev_b32_e32 v33, 16, v147
	s_waitcnt vmcnt(12)
	v_lshlrev_b32_e32 v32, 16, v148
	v_pk_add_f32 v[18:19], v[32:33], v[18:19] neg_lo:[0,1] neg_hi:[0,1]
	v_pk_mul_f32 v[30:31], v[26:27], v[30:31]
	v_pk_mul_f32 v[18:19], v[28:29], v[18:19]
	v_accvgpr_read_b32 v33, a9
	v_perm_b32 v19, v19, v18, s3
	v_perm_b32 v18, v31, v30, s3
	v_accvgpr_read_b32 v32, a8
	v_accvgpr_read_b32 v21, a11
	v_mfma_f32_16x16x16_bf16 a[12:15], v[142:143], v[24:25], a[12:15]
	v_accvgpr_read_b32 v20, a10
	v_accvgpr_read_b32 v25, a3
	;; [unrolled: 1-line block ×3, first 2 shown]
	v_mov_b32_e32 v135, 0
	s_waitcnt vmcnt(11)
	v_lshlrev_b32_e32 v31, 16, v138
	s_waitcnt vmcnt(10)
	v_lshlrev_b32_e32 v30, 16, v139
	v_pk_add_f32 v[30:31], v[30:31], v[32:33] neg_lo:[0,1] neg_hi:[0,1]
	s_waitcnt vmcnt(9)
	v_lshlrev_b32_e32 v33, 16, v149
	s_waitcnt vmcnt(8)
	v_lshlrev_b32_e32 v32, 16, v150
	v_pk_add_f32 v[20:21], v[32:33], v[20:21] neg_lo:[0,1] neg_hi:[0,1]
	v_pk_mul_f32 v[30:31], v[26:27], v[30:31]
	v_pk_mul_f32 v[20:21], v[28:29], v[20:21]
	v_accvgpr_read_b32 v23, a15
	v_perm_b32 v21, v21, v20, s3
	v_perm_b32 v20, v31, v30, s3
	ds_write2_b64 v89, v[18:19], v[20:21] offset1:16
	v_accvgpr_read_b32 v21, a13
	s_waitcnt vmcnt(7)
	v_lshlrev_b32_e32 v19, 16, v151
	s_waitcnt vmcnt(6)
	v_lshlrev_b32_e32 v18, 16, v152
	v_accvgpr_read_b32 v20, a12
	v_accvgpr_read_b32 v22, a14
	v_pk_add_f32 v[18:19], v[18:19], v[20:21] neg_lo:[0,1] neg_hi:[0,1]
	s_waitcnt vmcnt(5)
	v_lshlrev_b32_e32 v21, 16, v153
	s_waitcnt vmcnt(4)
	v_lshlrev_b32_e32 v20, 16, v154
	v_pk_add_f32 v[20:21], v[20:21], v[22:23] neg_lo:[0,1] neg_hi:[0,1]
	v_pk_mul_f32 v[18:19], v[26:27], v[18:19]
	v_pk_mul_f32 v[20:21], v[28:29], v[20:21]
	v_accvgpr_read_b32 v23, a1
	v_perm_b32 v21, v21, v20, s3
	v_perm_b32 v20, v19, v18, s3
	s_waitcnt vmcnt(3)
	v_lshlrev_b32_e32 v19, 16, v140
	s_waitcnt vmcnt(2)
	v_lshlrev_b32_e32 v18, 16, v141
	v_accvgpr_read_b32 v22, a0
	v_pk_add_f32 v[18:19], v[18:19], v[22:23] neg_lo:[0,1] neg_hi:[0,1]
	s_waitcnt vmcnt(1)
	v_lshlrev_b32_e32 v23, 16, v155
	s_waitcnt vmcnt(0)
	v_lshlrev_b32_e32 v22, 16, v156
	v_pk_add_f32 v[22:23], v[22:23], v[24:25] neg_lo:[0,1] neg_hi:[0,1]
	v_pk_mul_f32 v[18:19], v[26:27], v[18:19]
	v_pk_mul_f32 v[22:23], v[28:29], v[22:23]
	v_mov_b32_e32 v24, 0
	v_perm_b32 v23, v23, v22, s3
	v_perm_b32 v22, v19, v18, s3
	ds_write2_b64 v89, v[20:21], v[22:23] offset0:32 offset1:48
	v_mov_b32_e32 v18, 0
	v_mov_b32_e32 v19, 0
	;; [unrolled: 1-line block ×15, first 2 shown]
	s_cbranch_vccnz .LBB116_14
; %bb.13:                               ;   in Loop: Header=BB116_6 Depth=1
	s_and_b32 s25, s25, 0xffff
	s_mov_b32 s27, s23
	buffer_load_dwordx4 v[30:33], v126, s[24:27], 0 offen
	buffer_load_dwordx4 v[22:25], v126, s[24:27], s55 offen
	;; [unrolled: 1-line block ×4, first 2 shown]
	v_mov_b32_e32 v134, v83
	v_mov_b32_e32 v135, v82
.LBB116_14:                             ;   in Loop: Header=BB116_6 Depth=1
	s_waitcnt lgkmcnt(0)
	s_barrier
	ds_read_b64 v[144:145], v35
	ds_read2_b64 v[136:139], v119 offset1:16
	ds_read_b64 v[160:161], v128
	ds_read_b64 v[162:163], v129
	;; [unrolled: 1-line block ×3, first 2 shown]
	ds_read2_b64 v[140:143], v119 offset0:32 offset1:48
	s_waitcnt lgkmcnt(4)
	v_mfma_f32_16x16x16_bf16 a[0:3], v[144:145], v[136:137], 0
	ds_read2st64_b64 v[148:151], v121 offset0:4 offset1:8
	ds_read2st64_b64 v[152:155], v122 offset0:4 offset1:8
	;; [unrolled: 1-line block ×3, first 2 shown]
	v_mfma_f32_16x16x16_bf16 a[4:7], v[144:145], v[138:139], 0
	s_add_i32 s21, s52, s58
	s_mul_hi_i32 s25, s21, s13
	s_mul_i32 s21, s21, s13
	s_waitcnt lgkmcnt(3)
	v_mfma_f32_16x16x16_bf16 a[8:11], v[144:145], v[140:141], 0
	s_add_u32 s24, s21, s45
	s_addc_u32 s25, s25, s46
	s_lshl_b64 s[24:25], s[24:25], 15
	v_mfma_f32_16x16x16_bf16 a[12:15], v[144:145], v[142:143], 0
	ds_read2st64_b64 v[144:147], v119 offset0:4 offset1:8
	s_waitcnt lgkmcnt(0)
	v_mfma_f32_16x16x16_bf16 a[0:3], v[160:161], v[144:145], a[0:3]
	v_mfma_f32_16x16x16_bf16 a[4:7], v[160:161], v[148:149], a[4:7]
	;; [unrolled: 1-line block ×8, first 2 shown]
	ds_read_b64 v[160:161], v119 offset:6144
	ds_read_b64 v[162:163], v120 offset:40960
	;; [unrolled: 1-line block ×8, first 2 shown]
	s_waitcnt lgkmcnt(5)
	v_mfma_f32_16x16x16_bf16 a[16:19], v[166:167], v[136:137], 0
	v_mfma_f32_16x16x16_bf16 a[20:23], v[166:167], v[138:139], 0
	ds_read2st64_b64 v[136:139], v116 offset1:8
	v_mfma_f32_16x16x16_bf16 a[24:27], v[166:167], v[140:141], 0
	v_mfma_f32_16x16x16_bf16 a[28:31], v[166:167], v[142:143], 0
	ds_read2st64_b64 v[140:143], v117 offset1:8
	v_mfma_f32_16x16x16_bf16 a[16:19], v[162:163], v[144:145], a[16:19]
	s_waitcnt lgkmcnt(1)
	v_mov_b32_e32 v144, v136
	v_mov_b32_e32 v145, v137
	v_mfma_f32_16x16x16_bf16 a[20:23], v[162:163], v[148:149], a[20:23]
	v_lshl_add_u64 v[148:149], v[72:73], 0, s[24:25]
	v_mfma_f32_16x16x16_bf16 a[24:27], v[162:163], v[152:153], a[24:27]
	v_mfma_f32_16x16x16_bf16 a[28:31], v[162:163], v[156:157], a[28:31]
	;; [unrolled: 1-line block ×3, first 2 shown]
	s_waitcnt lgkmcnt(0)
	v_mov_b32_e32 v146, v140
	v_mov_b32_e32 v147, v141
	;; [unrolled: 1-line block ×3, first 2 shown]
	v_mfma_f32_16x16x16_bf16 a[32:35], v[174:175], v[150:151], a[20:23]
	v_mov_b32_e32 v141, v139
	ds_read2st64_b64 v[136:139], v116 offset0:16 offset1:24
	global_store_dwordx4 v[148:149], v[144:147], off
	v_mfma_f32_16x16x16_bf16 a[24:27], v[174:175], v[154:155], a[24:27]
	ds_read2st64_b64 v[144:147], v117 offset0:16 offset1:24
	v_add_co_u32_e32 v150, vcc, s35, v148
	v_mfma_f32_16x16x16_bf16 a[28:31], v[174:175], v[158:159], a[28:31]
	s_nop 0
	v_addc_co_u32_e32 v151, vcc, 0, v149, vcc
	global_store_dwordx4 v[150:151], v[140:143], off offset:-4096
	v_mfma_f32_16x16x16_bf16 a[0:3], v[164:165], v[160:161], a[0:3]
	s_waitcnt lgkmcnt(1)
	v_mov_b32_e32 v140, v136
	v_add_co_u32_e32 v136, vcc, s37, v148
	v_mfma_f32_16x16x16_bf16 a[4:7], v[164:165], v[168:169], a[4:7]
	v_mov_b32_e32 v141, v137
	v_addc_co_u32_e32 v137, vcc, 0, v149, vcc
	v_mfma_f32_16x16x16_bf16 a[8:11], v[164:165], v[170:171], a[8:11]
	s_waitcnt lgkmcnt(0)
	v_mov_b32_e32 v142, v144
	v_mov_b32_e32 v143, v145
	v_mov_b32_e32 v144, v138
	v_mfma_f32_16x16x16_bf16 a[12:15], v[164:165], v[172:173], a[12:15]
	v_mov_b32_e32 v145, v139
	s_and_b64 vcc, exec, s[0:1]
	global_store_dwordx4 v[150:151], v[140:143], off
	v_mfma_f32_16x16x16_bf16 a[20:23], v[176:177], v[160:161], a[16:19]
	global_store_dwordx4 v[136:137], v[144:147], off
	v_mfma_f32_16x16x16_bf16 a[16:19], v[176:177], v[168:169], a[32:35]
	v_mfma_f32_16x16x16_bf16 a[24:27], v[176:177], v[170:171], a[24:27]
	;; [unrolled: 1-line block ×3, first 2 shown]
	s_cbranch_vccnz .LBB116_16
; %bb.15:                               ;   in Loop: Header=BB116_6 Depth=1
	v_lshrrev_b32_e32 v136, 3, v134
	v_and_b32_e32 v136, 6, v136
	v_xor_b32_e32 v135, v136, v135
	v_lshlrev_b32_e32 v135, 2, v135
	v_and_b32_e32 v134, 8, v134
	v_xor_b32_e32 v137, 0x440, v135
	v_cmp_eq_u32_e32 vcc, 0, v134
	s_barrier
	s_nop 0
	v_cndmask_b32_e32 v134, v137, v135, vcc
	v_lshl_or_b32 v134, v136, 10, v134
	s_waitcnt vmcnt(5)
	v_perm_b32 v135, v30, v26, s56
	s_waitcnt vmcnt(4)
	v_perm_b32 v136, v22, v18, s56
	ds_write2st64_b32 v134, v135, v136 offset0:128 offset1:160
	v_xor_b32_e32 v135, 8, v134
	v_perm_b32 v26, v30, v26, s57
	v_perm_b32 v18, v22, v18, s57
	v_add_u32_e32 v22, 0x80, v135
	ds_write2st64_b32 v22, v26, v18 offset0:128 offset1:160
	v_xor_b32_e32 v18, 16, v134
	v_perm_b32 v22, v31, v27, s56
	v_perm_b32 v26, v23, v19, s56
	ds_write2st64_b32 v18, v22, v26 offset0:129 offset1:161
	v_xor_b32_e32 v18, 24, v134
	v_perm_b32 v22, v31, v27, s57
	v_perm_b32 v19, v23, v19, s57
	v_add_u32_e32 v18, 0x80, v18
	ds_write2st64_b32 v18, v22, v19 offset0:129 offset1:161
	v_xor_b32_e32 v18, 32, v134
	v_perm_b32 v19, v32, v28, s56
	;; [unrolled: 9-line block ×3, first 2 shown]
	v_perm_b32 v20, v25, v21, s56
	ds_write2st64_b32 v18, v19, v20 offset0:131 offset1:163
	v_xor_b32_e32 v18, 56, v134
	v_perm_b32 v19, v33, v29, s57
	v_perm_b32 v20, v25, v21, s57
	v_add_u32_e32 v18, 0x80, v18
	ds_write2st64_b32 v18, v19, v20 offset0:131 offset1:163
	ds_write_b64 v133, v[14:15] offset:49152
	v_xor_b32_e32 v14, 8, v133
	ds_write_b64 v14, v[16:17] offset:49152
	ds_write_b64 v133, v[10:11] offset:57344
	;; [unrolled: 1-line block ×4, first 2 shown]
	v_xor_b32_e32 v6, 8, v132
	ds_write_b64 v6, v[8:9] offset:49152
	ds_write_b64 v132, v[2:3] offset:57344
	;; [unrolled: 1-line block ×3, first 2 shown]
.LBB116_16:                             ;   in Loop: Header=BB116_6 Depth=1
	s_waitcnt vmcnt(6)
	v_mul_f32_e32 v22, s20, v131
	v_exp_f32_e32 v132, v22
	v_accvgpr_read_b32 v5, a3
	v_accvgpr_read_b32 v9, a7
	;; [unrolled: 1-line block ×4, first 2 shown]
	s_waitcnt vmcnt(4)
	v_accvgpr_read_b32 v18, a20
	v_accvgpr_read_b32 v25, a19
	;; [unrolled: 1-line block ×28, first 2 shown]
	s_add_i32 s53, s53, 64
	v_pk_fma_f32 v[62:63], v[62:63], v[132:133], v[2:3] op_sel_hi:[1,0,1]
	v_pk_fma_f32 v[66:67], v[66:67], v[132:133], v[4:5] op_sel_hi:[1,0,1]
	;; [unrolled: 1-line block ×15, first 2 shown]
	s_cmp_eq_u32 s47, s59
	v_pk_fma_f32 v[40:41], v[40:41], v[132:133], v[32:33] op_sel_hi:[1,0,1]
	s_cbranch_scc1 .LBB116_18
; %bb.17:                               ;   in Loop: Header=BB116_6 Depth=1
	s_mov_b32 s58, s59
	s_branch .LBB116_6
.LBB116_18:
	s_lshl_b32 s26, s47, 6
	s_sub_i32 s27, s48, s26
	s_cmp_gt_i32 s27, 0
	s_cbranch_scc0 .LBB116_99
; %bb.19:
	s_add_i32 s26, s26, s30
	s_ashr_i32 s3, s26, 31
	s_cmpk_lg_i32 s15, 0x80
	s_cselect_b64 s[22:23], -1, 0
	s_and_b64 vcc, exec, s[22:23]
	s_cbranch_vccz .LBB116_21
; %bb.20:
	s_mul_hi_i32 s0, s26, s14
	s_mul_i32 s1, s26, s14
	s_ashr_i32 s14, s49, 31
	s_add_u32 s24, s1, s49
	s_addc_u32 s25, s0, s14
	s_cbranch_execz .LBB116_22
	s_branch .LBB116_23
.LBB116_21:
                                        ; implicit-def: $sgpr24_sgpr25
.LBB116_22:
	s_mul_i32 s1, s49, s12
	s_mul_hi_i32 s0, s49, s12
	s_add_u32 s24, s1, s26
	s_addc_u32 s25, s0, s3
.LBB116_23:
	s_waitcnt lgkmcnt(0)
	s_add_i32 s12, s47, s52
	s_add_u32 s0, s51, s26
	v_lshlrev_b32_e32 v6, 6, v80
	v_lshlrev_b32_e32 v24, 2, v77
	s_addc_u32 s1, s50, s3
	s_mov_b32 s3, 0x7060302
	v_or_b32_e32 v9, v6, v24
	v_xor_b32_e32 v7, v80, v24
	v_perm_b32 v3, v67, v66, s3
	v_perm_b32 v2, v63, v62, s3
	;; [unrolled: 1-line block ×4, first 2 shown]
	v_lshlrev_b32_e32 v9, 1, v9
	v_xor_b32_e32 v8, v81, v24
	ds_write2st64_b64 v9, v[2:3], v[4:5] offset0:32 offset1:48
	v_lshlrev_b32_e32 v7, 1, v7
	v_lshlrev_b32_e32 v9, 8, v77
	v_or_b32_e32 v10, v7, v9
	v_lshlrev_b32_e32 v8, 1, v8
	ds_write_b64 v10, v[2:3]
	v_or_b32_e32 v2, v8, v9
	v_or_b32_e32 v9, 16, v77
	v_lshlrev_b32_e32 v23, 2, v9
	v_or_b32_e32 v10, v6, v23
	ds_write_b64 v2, v[4:5]
	v_perm_b32 v3, v59, v58, s3
	v_perm_b32 v2, v55, v54, s3
	;; [unrolled: 1-line block ×4, first 2 shown]
	v_lshlrev_b32_e32 v10, 1, v10
	v_lshlrev_b32_e32 v9, 8, v9
	ds_write2st64_b64 v10, v[2:3], v[4:5] offset0:32 offset1:48
	v_or_b32_e32 v10, v7, v9
	ds_write_b64 v10, v[2:3]
	v_or_b32_e32 v2, v8, v9
	v_or_b32_e32 v9, 32, v77
	v_lshlrev_b32_e32 v22, 2, v9
	v_or_b32_e32 v10, v6, v22
	ds_write_b64 v2, v[4:5]
	v_perm_b32 v3, v51, v50, s3
	v_perm_b32 v2, v47, v46, s3
	;; [unrolled: 1-line block ×4, first 2 shown]
	v_lshlrev_b32_e32 v10, 1, v10
	v_lshlrev_b32_e32 v9, 8, v9
	s_lshl_b64 s[20:21], s[0:1], 8
	ds_write2st64_b64 v10, v[2:3], v[4:5] offset0:32 offset1:48
	v_or_b32_e32 v10, v7, v9
	s_add_u32 s0, s6, s20
	ds_write_b64 v10, v[2:3]
	v_or_b32_e32 v2, v8, v9
	s_addc_u32 s1, s7, s21
	ds_write_b64 v2, v[4:5]
	v_perm_b32 v3, v43, v42, s3
	v_perm_b32 v2, v39, v38, s3
	;; [unrolled: 1-line block ×4, first 2 shown]
	v_or_b32_e32 v9, 48, v77
	s_mul_hi_i32 s3, s12, s13
	s_mul_i32 s12, s12, s13
	v_lshlrev_b32_e32 v19, 2, v9
	s_add_u32 s6, s12, s45
	v_or_b32_e32 v6, v6, v19
	s_addc_u32 s7, s3, s46
	v_lshlrev_b32_e32 v6, 1, v6
	s_ashr_i32 s3, s2, 31
	s_lshl_b64 s[6:7], s[6:7], 15
	ds_write2st64_b64 v6, v[2:3], v[4:5] offset0:32 offset1:48
	v_lshlrev_b32_e32 v6, 8, v9
	s_add_u32 s6, s18, s6
	v_or_b32_e32 v7, v7, v6
	s_addc_u32 s7, s19, s7
	s_lshl_b64 s[2:3], s[2:3], 8
	ds_write_b64 v7, v[2:3]
	v_or_b32_e32 v2, v8, v6
	s_add_u32 s2, s6, s2
	v_lshlrev_b32_e32 v3, 1, v77
	ds_write_b64 v2, v[4:5]
	v_lshrrev_b32_e32 v2, 4, v0
	s_addc_u32 s3, s7, s3
	v_or_b32_e32 v4, 1, v3
	v_lshlrev_b32_e32 v10, 4, v77
	v_mov_b32_e32 v11, 0
	v_xor_b32_e32 v3, v2, v3
	v_xor_b32_e32 v6, v4, v2
	v_lshl_add_u64 v[12:13], s[2:3], 0, v[10:11]
	v_lshlrev_b32_e32 v10, 8, v2
	v_lshl_or_b32 v16, v3, 3, v10
	v_lshl_or_b32 v17, v6, 3, v10
	s_waitcnt lgkmcnt(0)
	s_barrier
	ds_read2st64_b64 v[2:5], v16 offset1:8
	ds_read2st64_b64 v[6:9], v17 offset1:8
	v_lshl_add_u64 v[14:15], v[12:13], 0, v[10:11]
	s_movk_i32 s2, 0x2000
	s_cmp_lg_u32 s27, 64
	s_waitcnt lgkmcnt(1)
	v_mov_b32_e32 v10, v2
	v_mov_b32_e32 v11, v3
	s_waitcnt lgkmcnt(0)
	v_mov_b32_e32 v12, v6
	v_mov_b32_e32 v13, v7
	global_store_dwordx4 v[14:15], v[10:13], off
	v_mov_b32_e32 v6, v4
	v_mov_b32_e32 v7, v5
	ds_read2st64_b64 v[2:5], v16 offset0:16 offset1:24
	ds_read2st64_b64 v[10:13], v17 offset0:16 offset1:24
	v_add_co_u32_e32 v16, vcc, s2, v14
	s_cselect_b64 s[6:7], -1, 0
	s_nop 0
	v_addc_co_u32_e32 v17, vcc, 0, v15, vcc
	global_store_dwordx4 v[16:17], v[6:9], off offset:-4096
	v_lshl_or_b32 v25, v75, 3, v79
	s_mov_b32 s16, 0
	s_waitcnt lgkmcnt(1)
	v_mov_b32_e32 v6, v2
	v_add_co_u32_e32 v2, vcc, 0x3000, v14
	v_mov_b32_e32 v7, v3
	s_nop 0
	v_addc_co_u32_e32 v3, vcc, 0, v15, vcc
	s_waitcnt lgkmcnt(0)
	v_mov_b32_e32 v8, v10
	v_mov_b32_e32 v9, v11
	;; [unrolled: 1-line block ×4, first 2 shown]
	v_or_b32_e32 v20, 32, v25
	v_and_b32_e32 v18, 56, v78
	s_and_b64 vcc, exec, s[6:7]
	global_store_dwordx4 v[16:17], v[6:9], off
	global_store_dwordx4 v[2:3], v[10:13], off
	s_cbranch_vccz .LBB116_29
; %bb.24:
	s_mov_b32 s17, s16
	s_mov_b32 s18, s16
	;; [unrolled: 1-line block ×3, first 2 shown]
	v_mov_b64_e32 v[6:7], s[16:17]
	v_mov_b64_e32 v[8:9], s[18:19]
	;; [unrolled: 1-line block ×3, first 2 shown]
	v_cmp_gt_i32_e32 vcc, s27, v25
	v_mov_b64_e32 v[4:5], v[8:9]
	s_and_saveexec_b64 s[2:3], vcc
	s_cbranch_execz .LBB116_26
; %bb.25:
	v_lshlrev_b32_e32 v2, 8, v25
	v_mov_b32_e32 v3, 0
	v_lshl_add_u64 v[4:5], s[0:1], 0, v[2:3]
	v_lshlrev_b32_e32 v2, 1, v18
	v_lshl_add_u64 v[10:11], v[4:5], 0, v[2:3]
	global_load_dwordx4 v[6:9], v[10:11], off
	global_load_dwordx4 v[2:5], v[10:11], off offset:128
.LBB116_26:
	s_or_b64 exec, exec, s[2:3]
	s_mov_b32 s17, s16
	s_mov_b32 s18, s16
	;; [unrolled: 1-line block ×3, first 2 shown]
	v_mov_b64_e32 v[14:15], s[16:17]
	v_mov_b64_e32 v[16:17], s[18:19]
	;; [unrolled: 1-line block ×3, first 2 shown]
	v_cmp_gt_i32_e32 vcc, s27, v20
	v_lshlrev_b32_e32 v21, 7, v20
	v_mov_b64_e32 v[12:13], v[16:17]
	s_and_saveexec_b64 s[2:3], vcc
	s_cbranch_execz .LBB116_28
; %bb.27:
	v_lshlrev_b32_e32 v10, 1, v21
	v_mov_b32_e32 v11, 0
	v_lshl_add_u64 v[12:13], s[0:1], 0, v[10:11]
	v_lshlrev_b32_e32 v10, 1, v18
	v_lshl_add_u64 v[26:27], v[12:13], 0, v[10:11]
	global_load_dwordx4 v[14:17], v[26:27], off
	global_load_dwordx4 v[10:13], v[26:27], off offset:128
.LBB116_28:
	s_or_b64 exec, exec, s[2:3]
	v_lshrrev_b32_e32 v26, 3, v18
	v_lshlrev_b32_e32 v27, 3, v25
	v_or_b32_e32 v26, v27, v26
	v_lshlrev_b32_e32 v26, 4, v26
	v_and_b32_e32 v27, 0x78, v27
	v_xor_b32_e32 v26, v26, v27
	s_branch .LBB116_31
.LBB116_29:
                                        ; implicit-def: $vgpr26
                                        ; implicit-def: $vgpr21
                                        ; implicit-def: $vgpr6_vgpr7_vgpr8_vgpr9
                                        ; implicit-def: $vgpr2_vgpr3_vgpr4_vgpr5
                                        ; implicit-def: $vgpr14_vgpr15_vgpr16_vgpr17
                                        ; implicit-def: $vgpr10_vgpr11_vgpr12_vgpr13
	s_cbranch_execz .LBB116_31
; %bb.30:
	s_waitcnt vmcnt(0)
	v_lshlrev_b32_e32 v2, 1, v18
	v_lshl_or_b32 v21, v25, 8, v2
	s_and_b32 s1, s1, 0xffff
	s_mov_b32 s3, 0x20000
	s_movk_i32 s2, 0x4000
	v_lshl_or_b32 v26, v20, 8, v2
	s_movk_i32 s12, 0x80
	buffer_load_dwordx4 v[6:9], v21, s[0:3], 0 offen
	buffer_load_dwordx4 v[2:5], v21, s[0:3], s12 offen
	;; [unrolled: 1-line block ×4, first 2 shown]
	v_lshrrev_b32_e32 v21, 3, v18
	v_lshlrev_b32_e32 v26, 3, v25
	v_or_b32_e32 v21, v26, v21
	v_lshlrev_b32_e32 v21, 4, v21
	v_and_b32_e32 v26, 0x78, v26
	v_xor_b32_e32 v26, v21, v26
	v_lshlrev_b32_e32 v21, 7, v20
.LBB116_31:
	s_movk_i32 s0, 0x1000
	v_and_or_b32 v20, v21, s0, v26
	s_waitcnt vmcnt(1)
	ds_write_b64 v26, v[6:7] offset:49152
	v_xor_b32_e32 v6, 8, v26
	ds_write_b64 v6, v[8:9] offset:49152
	s_waitcnt vmcnt(0)
	ds_write_b64 v26, v[2:3] offset:57344
	ds_write_b64 v6, v[4:5] offset:57344
	;; [unrolled: 1-line block ×3, first 2 shown]
	v_xor_b32_e32 v2, 8, v20
	ds_write_b64 v2, v[16:17] offset:49152
	ds_write_b64 v20, v[10:11] offset:57344
	ds_write_b64 v2, v[12:13] offset:57344
	v_or_b32_e32 v2, v1, v77
	v_lshlrev_b32_e32 v3, 11, v75
	v_lshlrev_b32_e32 v2, 3, v2
	v_and_b32_e32 v6, 0x1000, v3
	v_lshrrev_b32_e32 v3, 5, v74
	s_movk_i32 s0, 0xf8
	v_and_or_b32 v3, v2, s0, v3
	v_lshlrev_b32_e32 v7, 4, v3
	v_and_b32_e32 v8, 0x78, v2
	v_or_b32_e32 v10, 32, v7
	v_lshrrev_b32_e32 v3, 1, v74
	v_xor_b32_e32 v10, v10, v8
	v_xor_b32_e32 v2, v7, v8
	v_and_b32_e32 v9, 8, v3
	v_or_b32_e32 v10, v10, v6
	v_or_b32_e32 v2, v2, v6
	v_xor_b32_e32 v28, v10, v9
	v_or_b32_e32 v10, 64, v7
	v_xor_b32_e32 v27, v2, v9
	v_xor_b32_e32 v10, v10, v8
	s_waitcnt lgkmcnt(0)
	s_barrier
	v_or_b32_e32 v13, v10, v6
	ds_read_b64 v[10:11], v27 offset:49152
	v_lshl_or_b32 v14, v76, 8, v24
	v_lshlrev_b32_e32 v26, 1, v14
	v_add_u32_e32 v12, 0x4000, v26
	ds_read2_b64 v[2:5], v12 offset1:16
	v_or_b32_e32 v7, 0x60, v7
	v_xor_b32_e32 v7, v7, v8
	v_or_b32_e32 v6, v7, v6
	v_xor_b32_e32 v29, v13, v9
	v_xor_b32_e32 v30, v6, v9
	ds_read_b64 v[20:21], v28 offset:49152
	ds_read_b64 v[36:37], v29 offset:49152
	;; [unrolled: 1-line block ×3, first 2 shown]
	s_waitcnt lgkmcnt(3)
	v_mfma_f32_16x16x16_bf16 a[0:3], v[10:11], v[2:3], 0
	ds_read2st64_b64 v[6:9], v26 offset0:36 offset1:40
	s_lshl_b64 s[0:1], s[24:25], 8
	s_add_u32 s4, s4, s0
	v_mfma_f32_16x16x16_bf16 a[4:7], v[10:11], v[4:5], 0
	ds_read2_b64 v[2:5], v12 offset0:32 offset1:48
	s_addc_u32 s5, s5, s1
	s_add_i32 s1, s41, s33
	s_waitcnt lgkmcnt(0)
	v_mfma_f32_16x16x16_bf16 a[8:11], v[10:11], v[2:3], 0
	v_or_b32_e32 v2, 64, v14
	v_lshlrev_b32_e32 v31, 1, v2
	s_add_i32 s0, s31, -1
	v_mfma_f32_16x16x16_bf16 a[12:15], v[10:11], v[4:5], 0
	ds_read2st64_b64 v[2:5], v31 offset0:36 offset1:40
	s_add_i32 s37, s1, s40
	s_add_i32 s1, s43, s42
	v_mfma_f32_16x16x16_bf16 a[0:3], v[20:21], v[6:7], a[0:3]
	v_or_b32_e32 v6, 0x80, v14
	v_lshlrev_b32_e32 v32, 1, v6
	ds_read2st64_b64 v[10:13], v32 offset0:36 offset1:40
	s_waitcnt lgkmcnt(1)
	v_mfma_f32_16x16x16_bf16 a[4:7], v[20:21], v[2:3], a[4:7]
	v_or_b32_e32 v2, 0xc0, v14
	v_lshlrev_b32_e32 v33, 1, v2
	ds_read2st64_b64 v[14:17], v33 offset0:36 offset1:40
	s_add_i32 s35, s1, s44
	s_ashr_i32 s1, s0, 31
	s_mul_i32 s2, s0, s29
	s_mul_hi_u32 s3, s0, s28
	s_add_i32 s2, s3, s2
	s_mul_i32 s1, s1, s28
	s_waitcnt lgkmcnt(1)
	v_mfma_f32_16x16x16_bf16 a[8:11], v[20:21], v[10:11], a[8:11]
	s_add_i32 s1, s2, s1
	s_lshl_b64 s[2:3], s[36:37], 2
	s_add_u32 s10, s10, s2
	s_waitcnt lgkmcnt(0)
	v_mfma_f32_16x16x16_bf16 a[12:15], v[20:21], v[14:15], a[12:15]
	s_addc_u32 s11, s11, s3
	s_lshl_b64 s[2:3], s[34:35], 2
	s_mul_i32 s0, s0, s28
	v_mfma_f32_16x16x16_bf16 a[0:3], v[36:37], v[8:9], a[0:3]
	ds_read_b64 v[2:3], v26 offset:22528
	s_add_u32 s10, s10, s2
	s_addc_u32 s11, s11, s3
	v_mfma_f32_16x16x16_bf16 a[4:7], v[36:37], v[4:5], a[4:7]
	ds_read_b64 v[4:5], v31 offset:22528
	ds_read_b64 v[6:7], v32 offset:22528
	ds_read_b64 v[8:9], v33 offset:22528
	s_lshl_b64 s[0:1], s[0:1], 2
	s_add_u32 s0, s10, s0
	v_mfma_f32_16x16x16_bf16 a[8:11], v[36:37], v[12:13], a[8:11]
	s_addc_u32 s1, s11, s1
	s_load_dword s12, s[0:1], 0x0
	s_and_b64 vcc, exec, s[22:23]
	v_mfma_f32_16x16x16_bf16 a[12:15], v[36:37], v[16:17], a[12:15]
	s_waitcnt lgkmcnt(0)
	v_mfma_f32_16x16x16_bf16 a[0:3], v[38:39], v[2:3], a[0:3]
	v_mfma_f32_16x16x16_bf16 a[4:7], v[38:39], v[4:5], a[4:7]
	;; [unrolled: 1-line block ×4, first 2 shown]
	s_cbranch_vccz .LBB116_42
; %bb.32:
	v_lshlrev_b32_e32 v20, 1, v25
	s_and_b64 vcc, exec, s[6:7]
	s_cbranch_vccz .LBB116_43
; %bb.33:
	v_cmp_gt_i32_e32 vcc, s27, v20
	v_mov_b32_e32 v6, 0
	v_mov_b32_e32 v2, 0
	;; [unrolled: 1-line block ×5, first 2 shown]
	s_and_saveexec_b64 s[0:1], vcc
	s_cbranch_execz .LBB116_35
; %bb.34:
	v_mad_i64_i32 v[2:3], s[2:3], s15, v20, 0
	v_lshl_add_u64 v[2:3], v[2:3], 1, s[4:5]
	v_lshlrev_b32_e32 v4, 1, v18
	v_mov_b32_e32 v5, 0
	v_lshl_add_u64 v[2:3], v[2:3], 0, v[4:5]
	global_load_dwordx4 v[2:5], v[2:3], off
.LBB116_35:
	s_or_b64 exec, exec, s[0:1]
	v_or_b32_e32 v21, 1, v20
	v_cmp_gt_i32_e64 s[0:1], s27, v21
	v_mov_b32_e32 v7, 0
	v_mov_b32_e32 v8, 0
	;; [unrolled: 1-line block ×3, first 2 shown]
	s_and_saveexec_b64 s[2:3], s[0:1]
	s_cbranch_execz .LBB116_37
; %bb.36:
	v_mad_i64_i32 v[6:7], s[16:17], s15, v21, 0
	v_lshl_add_u64 v[6:7], v[6:7], 1, s[4:5]
	v_lshlrev_b32_e32 v8, 1, v18
	v_mov_b32_e32 v9, 0
	v_lshl_add_u64 v[6:7], v[6:7], 0, v[8:9]
	global_load_dwordx4 v[6:9], v[6:7], off
.LBB116_37:
	s_or_b64 exec, exec, s[2:3]
	v_mov_b32_e32 v17, 0
	v_mov_b32_e32 v10, 0
	;; [unrolled: 1-line block ×5, first 2 shown]
	s_and_saveexec_b64 s[2:3], vcc
	s_cbranch_execz .LBB116_39
; %bb.38:
	v_mad_i64_i32 v[10:11], s[16:17], s15, v20, 0
	v_lshl_add_u64 v[10:11], v[10:11], 1, s[4:5]
	v_lshlrev_b32_e32 v12, 1, v18
	v_mov_b32_e32 v13, 0
	v_lshl_add_u64 v[10:11], v[10:11], 0, v[12:13]
	global_load_dwordx4 v[10:13], v[10:11], off offset:128
.LBB116_39:
	s_or_b64 exec, exec, s[2:3]
	v_mov_b32_e32 v16, 0
	v_mov_b32_e32 v15, 0
	;; [unrolled: 1-line block ×3, first 2 shown]
	s_and_saveexec_b64 s[2:3], s[0:1]
	s_cbranch_execz .LBB116_41
; %bb.40:
	v_mad_i64_i32 v[14:15], s[0:1], s15, v21, 0
	v_lshl_add_u64 v[14:15], v[14:15], 1, s[4:5]
	v_lshlrev_b32_e32 v16, 1, v18
	v_mov_b32_e32 v17, 0
	v_lshl_add_u64 v[14:15], v[14:15], 0, v[16:17]
	global_load_dwordx4 v[14:17], v[14:15], off offset:128
.LBB116_41:
	s_or_b64 exec, exec, s[2:3]
	s_branch .LBB116_45
.LBB116_42:
                                        ; implicit-def: $vgpr5
                                        ; implicit-def: $vgpr9
                                        ; implicit-def: $vgpr13
                                        ; implicit-def: $vgpr17
	v_lshrrev_b32_e32 v35, 2, v74
	s_branch .LBB116_46
.LBB116_43:
                                        ; implicit-def: $vgpr5
                                        ; implicit-def: $vgpr9
                                        ; implicit-def: $vgpr13
                                        ; implicit-def: $vgpr17
	s_cbranch_execz .LBB116_45
; %bb.44:
	s_waitcnt vmcnt(0)
	v_mad_u64_u32 v[2:3], s[0:1], v20, s15, v[18:19]
	v_lshlrev_b32_e32 v20, 1, v2
	s_lshl_b32 s2, s15, 7
	s_and_b32 s1, s5, 0xffff
	s_mov_b32 s3, 0x20000
	s_mov_b32 s0, s4
	v_add_lshl_u32 v21, v2, s15, 1
	s_movk_i32 s13, 0x80
	buffer_load_dwordx4 v[2:5], v20, s[0:3], 0 offen
	buffer_load_dwordx4 v[10:13], v20, s[0:3], s13 offen
	;; [unrolled: 1-line block ×4, first 2 shown]
.LBB116_45:
	v_lshrrev_b32_e32 v35, 2, v74
	s_cbranch_execnz .LBB116_58
.LBB116_46:
	s_and_b64 vcc, exec, s[6:7]
	s_cbranch_vccz .LBB116_56
; %bb.47:
	s_waitcnt vmcnt(0)
	v_lshlrev_b32_e32 v7, 1, v25
	v_cmp_gt_i32_e32 vcc, s27, v7
	v_mov_b32_e32 v6, 0
	v_lshlrev_b32_e32 v14, 9, v25
	v_mov_b32_e32 v2, 0
	v_mov_b32_e32 v3, 0
	;; [unrolled: 1-line block ×4, first 2 shown]
	s_and_saveexec_b64 s[0:1], vcc
	s_cbranch_execz .LBB116_49
; %bb.48:
	v_mov_b32_e32 v15, 0
	v_lshl_add_u64 v[2:3], s[4:5], 0, v[14:15]
	v_lshlrev_b32_e32 v4, 1, v18
	v_mov_b32_e32 v5, v15
	v_lshl_add_u64 v[2:3], v[2:3], 0, v[4:5]
	global_load_dwordx4 v[2:5], v[2:3], off
.LBB116_49:
	s_or_b64 exec, exec, s[0:1]
	v_or_b32_e32 v7, 1, v7
	v_cmp_gt_i32_e64 s[0:1], s27, v7
	v_lshlrev_b32_e32 v20, 8, v7
	v_mov_b32_e32 v7, 0
	v_mov_b32_e32 v8, 0
	v_mov_b32_e32 v9, 0
	s_and_saveexec_b64 s[2:3], s[0:1]
	s_cbranch_execz .LBB116_51
; %bb.50:
	v_mov_b32_e32 v21, 0
	v_lshl_add_u64 v[6:7], s[4:5], 0, v[20:21]
	v_lshlrev_b32_e32 v8, 1, v18
	v_mov_b32_e32 v9, v21
	v_lshl_add_u64 v[6:7], v[6:7], 0, v[8:9]
	global_load_dwordx4 v[6:9], v[6:7], off
.LBB116_51:
	s_or_b64 exec, exec, s[2:3]
	v_mov_b32_e32 v17, 0
	v_mov_b32_e32 v10, 0
	;; [unrolled: 1-line block ×5, first 2 shown]
	s_and_saveexec_b64 s[2:3], vcc
	s_cbranch_execz .LBB116_53
; %bb.52:
	v_mov_b32_e32 v15, 0
	v_lshl_add_u64 v[10:11], s[4:5], 0, v[14:15]
	v_lshlrev_b32_e32 v14, 1, v18
	v_lshl_add_u64 v[10:11], v[10:11], 0, v[14:15]
	global_load_dwordx4 v[10:13], v[10:11], off offset:128
.LBB116_53:
	s_or_b64 exec, exec, s[2:3]
	v_mov_b32_e32 v16, 0
	v_mov_b32_e32 v15, 0
	v_mov_b32_e32 v14, 0
	s_and_saveexec_b64 s[2:3], s[0:1]
	s_cbranch_execz .LBB116_55
; %bb.54:
	v_mov_b32_e32 v21, 0
	v_lshl_add_u64 v[14:15], s[4:5], 0, v[20:21]
	v_lshlrev_b32_e32 v20, 1, v18
	v_lshl_add_u64 v[14:15], v[14:15], 0, v[20:21]
	global_load_dwordx4 v[14:17], v[14:15], off offset:128
.LBB116_55:
	s_or_b64 exec, exec, s[2:3]
	s_branch .LBB116_58
.LBB116_56:
                                        ; implicit-def: $vgpr5
                                        ; implicit-def: $vgpr9
                                        ; implicit-def: $vgpr13
                                        ; implicit-def: $vgpr17
	s_cbranch_execz .LBB116_58
; %bb.57:
	s_waitcnt vmcnt(0)
	v_lshlrev_b32_e32 v2, 1, v18
	v_lshl_or_b32 v18, v25, 9, v2
	s_and_b32 s5, s5, 0xffff
	s_mov_b32 s7, 0x20000
	s_movk_i32 s6, 0x4000
	s_movk_i32 s0, 0x80
	buffer_load_dwordx4 v[2:5], v18, s[4:7], 0 offen
	buffer_load_dwordx4 v[6:9], v18, s[4:7], 0 offen offset:256
	buffer_load_dwordx4 v[10:13], v18, s[4:7], s0 offen
	buffer_load_dwordx4 v[14:17], v18, s[4:7], s0 offen offset:256
.LBB116_58:
	ds_read_b64 v[20:21], v27 offset:57344
	v_add_u32_e32 v18, 0x6000, v26
	ds_read2_b64 v[36:39], v18 offset1:16
	ds_read_b64 v[52:53], v28 offset:57344
	ds_read_b64 v[28:29], v29 offset:57344
	;; [unrolled: 1-line block ×3, first 2 shown]
	ds_read2st64_b64 v[40:43], v26 offset0:52 offset1:56
	s_mov_b32 s0, 0x1000504
	s_mov_b32 s1, 0x3020706
	s_waitcnt lgkmcnt(4)
	v_mfma_f32_16x16x16_bf16 a[0:3], v[20:21], v[36:37], a[0:3]
	v_mfma_f32_16x16x16_bf16 a[4:7], v[20:21], v[38:39], a[4:7]
	ds_read2_b64 v[36:39], v18 offset0:32 offset1:48
	v_and_b32_e32 v18, 6, v0
	v_xor_b32_e32 v25, v25, v18
	s_waitcnt lgkmcnt(0)
	v_mfma_f32_16x16x16_bf16 a[8:11], v[20:21], v[36:37], a[8:11]
	v_lshlrev_b32_e32 v25, 2, v25
	v_and_b32_e32 v0, 1, v0
	v_cmp_eq_u32_e32 vcc, 0, v0
	v_mfma_f32_16x16x16_bf16 a[12:15], v[20:21], v[38:39], a[12:15]
	ds_read2st64_b64 v[36:39], v31 offset0:52 offset1:56
	ds_read2st64_b64 v[44:47], v32 offset0:52 offset1:56
	;; [unrolled: 1-line block ×3, first 2 shown]
	ds_read_b64 v[20:21], v26 offset:30720
	ds_read_b64 v[26:27], v31 offset:30720
	;; [unrolled: 1-line block ×4, first 2 shown]
	s_waitcnt lgkmcnt(6)
	v_mfma_f32_16x16x16_bf16 a[4:7], v[52:53], v[36:37], a[4:7]
	v_xor_b32_e32 v36, 0x440, v25
	v_cndmask_b32_e32 v0, v36, v25, vcc
	v_lshl_or_b32 v0, v18, 10, v0
	v_mfma_f32_16x16x16_bf16 a[0:3], v[52:53], v[40:41], a[0:3]
	s_waitcnt vmcnt(0)
	v_perm_b32 v18, v2, v6, s0
	v_perm_b32 v25, v10, v14, s0
	ds_write2st64_b32 v0, v18, v25 offset0:128 offset1:160
	s_waitcnt lgkmcnt(6)
	v_mfma_f32_16x16x16_bf16 a[8:11], v[52:53], v[44:45], a[8:11]
	v_xor_b32_e32 v18, 8, v0
	v_perm_b32 v2, v2, v6, s1
	v_perm_b32 v6, v10, v14, s1
	s_waitcnt lgkmcnt(5)
	v_mfma_f32_16x16x16_bf16 a[12:15], v[52:53], v[48:49], a[12:15]
	v_add_u32_e32 v10, 0x80, v18
	ds_write2st64_b32 v10, v2, v6 offset0:128 offset1:160
	v_xor_b32_e32 v2, 16, v0
	v_mfma_f32_16x16x16_bf16 a[0:3], v[28:29], v[42:43], a[0:3]
	v_perm_b32 v6, v3, v7, s0
	v_perm_b32 v10, v11, v15, s0
	ds_write2st64_b32 v2, v6, v10 offset0:129 offset1:161
	v_mfma_f32_16x16x16_bf16 a[4:7], v[28:29], v[38:39], a[4:7]
	v_xor_b32_e32 v2, 24, v0
	v_perm_b32 v3, v3, v7, s1
	v_perm_b32 v6, v11, v15, s1
	v_mfma_f32_16x16x16_bf16 a[16:19], v[28:29], v[46:47], a[8:11]
	v_add_u32_e32 v2, 0x80, v2
	ds_write2st64_b32 v2, v3, v6 offset0:129 offset1:161
	v_xor_b32_e32 v2, 32, v0
	v_mfma_f32_16x16x16_bf16 a[20:23], v[28:29], v[50:51], a[12:15]
	v_perm_b32 v3, v4, v8, s0
	v_perm_b32 v6, v12, v16, s0
	ds_write2st64_b32 v2, v3, v6 offset0:130 offset1:162
	s_waitcnt lgkmcnt(8)
	v_mfma_f32_16x16x16_bf16 a[12:15], v[54:55], v[20:21], a[0:3]
	v_xor_b32_e32 v2, 40, v0
	v_perm_b32 v3, v4, v8, s1
	v_perm_b32 v4, v12, v16, s1
	s_waitcnt lgkmcnt(7)
	v_mfma_f32_16x16x16_bf16 a[8:11], v[54:55], v[26:27], a[4:7]
	v_add_u32_e32 v2, 0x80, v2
	ds_write2st64_b32 v2, v3, v4 offset0:130 offset1:162
	v_xor_b32_e32 v2, 48, v0
	s_waitcnt lgkmcnt(7)
	v_mfma_f32_16x16x16_bf16 a[4:7], v[54:55], v[30:31], a[16:19]
	v_perm_b32 v3, v5, v9, s0
	v_perm_b32 v4, v13, v17, s0
	v_xor_b32_e32 v0, 56, v0
	s_waitcnt lgkmcnt(6)
	v_mfma_f32_16x16x16_bf16 a[0:3], v[54:55], v[32:33], a[20:23]
	v_and_or_b32 v18, v35, 12, v1
	ds_write2st64_b32 v2, v3, v4 offset0:131 offset1:163
	v_perm_b32 v2, v5, v9, s1
	v_perm_b32 v3, v13, v17, s1
	v_add_u32_e32 v0, 0x80, v0
	v_cmp_gt_i32_e32 vcc, s27, v18
	v_mov_b32_e32 v14, 0
	v_mov_b32_e32 v16, 0
	ds_write2st64_b32 v0, v2, v3 offset0:131 offset1:163
	s_and_saveexec_b64 s[0:1], vcc
	s_cbranch_execz .LBB116_60
; %bb.59:
	v_add_u32_e32 v0, s26, v18
	v_ashrrev_i32_e32 v1, 31, v0
	v_mul_lo_u32 v2, v1, s28
	v_mul_lo_u32 v3, v0, s29
	v_mad_u64_u32 v[0:1], s[2:3], v0, s28, 0
	v_add3_u32 v1, v1, v3, v2
	v_lshl_add_u64 v[0:1], v[0:1], 2, s[10:11]
	global_load_dword v0, v[0:1], off
	s_waitcnt vmcnt(0)
	v_sub_f32_e32 v0, s12, v0
	v_mul_f32_e32 v0, 0x3fb8aa3b, v0
	v_exp_f32_e32 v16, v0
.LBB116_60:
	s_or_b64 exec, exec, s[0:1]
	v_or_b32_e32 v8, 1, v18
	v_cmp_gt_i32_e64 s[0:1], s27, v8
	s_and_saveexec_b64 s[2:3], s[0:1]
	s_cbranch_execz .LBB116_62
; %bb.61:
	v_add_u32_e32 v0, s26, v8
	v_ashrrev_i32_e32 v1, 31, v0
	v_mul_lo_u32 v2, v1, s28
	v_mul_lo_u32 v3, v0, s29
	v_mad_u64_u32 v[0:1], s[4:5], v0, s28, 0
	v_add3_u32 v1, v1, v3, v2
	v_lshl_add_u64 v[0:1], v[0:1], 2, s[10:11]
	global_load_dword v0, v[0:1], off
	s_waitcnt vmcnt(0)
	v_sub_f32_e32 v0, s12, v0
	v_mul_f32_e32 v0, 0x3fb8aa3b, v0
	v_exp_f32_e32 v14, v0
.LBB116_62:
	s_or_b64 exec, exec, s[2:3]
	v_or_b32_e32 v10, 2, v18
	v_cmp_gt_i32_e64 s[2:3], s27, v10
	v_mov_b32_e32 v15, 0
	v_mov_b32_e32 v17, 0
	s_and_saveexec_b64 s[4:5], s[2:3]
	s_cbranch_execz .LBB116_64
; %bb.63:
	v_add_u32_e32 v0, s26, v10
	v_ashrrev_i32_e32 v1, 31, v0
	v_mul_lo_u32 v2, v1, s28
	v_mul_lo_u32 v3, v0, s29
	v_mad_u64_u32 v[0:1], s[6:7], v0, s28, 0
	v_add3_u32 v1, v1, v3, v2
	v_lshl_add_u64 v[0:1], v[0:1], 2, s[10:11]
	global_load_dword v0, v[0:1], off
	s_waitcnt vmcnt(0)
	v_sub_f32_e32 v0, s12, v0
	v_mul_f32_e32 v0, 0x3fb8aa3b, v0
	v_exp_f32_e32 v17, v0
.LBB116_64:
	s_or_b64 exec, exec, s[4:5]
	v_or_b32_e32 v12, 3, v18
	v_cmp_gt_i32_e64 s[4:5], s27, v12
	s_and_saveexec_b64 s[6:7], s[4:5]
	s_cbranch_execz .LBB116_66
; %bb.65:
	v_add_u32_e32 v0, s26, v12
	v_ashrrev_i32_e32 v1, 31, v0
	v_mul_lo_u32 v2, v1, s28
	v_mul_lo_u32 v3, v0, s29
	v_mad_u64_u32 v[0:1], s[14:15], v0, s28, 0
	v_add3_u32 v1, v1, v3, v2
	v_lshl_add_u64 v[0:1], v[0:1], 2, s[10:11]
	global_load_dword v0, v[0:1], off
	s_waitcnt vmcnt(0)
	v_sub_f32_e32 v0, s12, v0
	v_mul_f32_e32 v0, 0x3fb8aa3b, v0
	v_exp_f32_e32 v15, v0
.LBB116_66:
	s_or_b64 exec, exec, s[6:7]
	s_add_u32 s6, s8, s20
	v_accvgpr_read_b32 v0, a12
	s_addc_u32 s7, s9, s21
	v_ashrrev_i32_e32 v35, 31, v34
	v_accvgpr_read_b32 v1, a13
	v_accvgpr_read_b32 v2, a14
	v_accvgpr_read_b32 v3, a15
	v_lshl_add_u64 v[4:5], v[34:35], 1, s[6:7]
	v_mov_b32_e32 v9, 0
	v_lshlrev_b32_e32 v6, 8, v18
	v_mov_b32_e32 v7, 0
	s_and_saveexec_b64 s[6:7], vcc
	s_cbranch_execz .LBB116_68
; %bb.67:
	v_mov_b32_e32 v7, 0
	v_lshl_add_u64 v[20:21], v[4:5], 0, v[6:7]
	global_load_ushort v7, v[20:21], off
	s_waitcnt vmcnt(0)
	v_lshlrev_b32_e32 v7, 16, v7
	v_sub_f32_e32 v0, v7, v0
	v_mul_f32_e32 v0, v16, v0
	v_lshrrev_b32_e32 v7, 16, v0
.LBB116_68:
	s_or_b64 exec, exec, s[6:7]
	v_lshlrev_b32_e32 v8, 8, v8
	s_and_saveexec_b64 s[6:7], s[0:1]
	s_cbranch_execz .LBB116_70
; %bb.69:
	v_mov_b32_e32 v9, 0
	v_lshl_add_u64 v[20:21], v[4:5], 0, v[8:9]
	global_load_ushort v0, v[20:21], off
	s_waitcnt vmcnt(0)
	v_lshlrev_b32_e32 v0, 16, v0
	v_sub_f32_e32 v0, v0, v1
	v_mul_f32_e32 v0, v14, v0
	v_lshrrev_b32_e32 v9, 16, v0
.LBB116_70:
	s_or_b64 exec, exec, s[6:7]
	v_mov_b32_e32 v13, 0
	v_lshlrev_b32_e32 v10, 8, v10
	v_mov_b32_e32 v11, 0
	s_and_saveexec_b64 s[6:7], s[2:3]
	s_cbranch_execz .LBB116_72
; %bb.71:
	v_mov_b32_e32 v11, 0
	v_lshl_add_u64 v[0:1], v[4:5], 0, v[10:11]
	global_load_ushort v0, v[0:1], off
	s_waitcnt vmcnt(0)
	v_lshlrev_b32_e32 v0, 16, v0
	v_sub_f32_e32 v0, v0, v2
	v_mul_f32_e32 v0, v17, v0
	v_lshrrev_b32_e32 v11, 16, v0
.LBB116_72:
	s_or_b64 exec, exec, s[6:7]
	v_lshlrev_b32_e32 v12, 8, v12
	s_and_saveexec_b64 s[6:7], s[4:5]
	s_cbranch_execz .LBB116_74
; %bb.73:
	v_mov_b32_e32 v13, 0
	v_lshl_add_u64 v[0:1], v[4:5], 0, v[12:13]
	global_load_ushort v0, v[0:1], off
	s_waitcnt vmcnt(0)
	v_lshlrev_b32_e32 v0, 16, v0
	v_sub_f32_e32 v0, v0, v3
	v_mul_f32_e32 v0, v15, v0
	v_lshrrev_b32_e32 v13, 16, v0
.LBB116_74:
	s_or_b64 exec, exec, s[6:7]
	v_lshlrev_b32_e32 v18, 6, v18
	s_mov_b32 s6, 0x5040100
	v_perm_b32 v20, v9, v7, s6
	v_or_b32_e32 v7, v18, v24
	v_accvgpr_read_b32 v0, a8
	v_perm_b32 v21, v13, v11, s6
	v_lshlrev_b32_e32 v7, 1, v7
	v_accvgpr_read_b32 v1, a9
	v_accvgpr_read_b32 v2, a10
	;; [unrolled: 1-line block ×3, first 2 shown]
	ds_write_b64 v7, v[20:21] offset:24576
	v_mov_b32_e32 v9, 0
	v_mov_b32_e32 v7, 0
	s_and_saveexec_b64 s[6:7], vcc
	s_cbranch_execz .LBB116_76
; %bb.75:
	v_mov_b32_e32 v7, 0
	v_lshl_add_u64 v[20:21], v[4:5], 0, v[6:7]
	global_load_ushort v7, v[20:21], off offset:32
	s_waitcnt vmcnt(0)
	v_lshlrev_b32_e32 v7, 16, v7
	v_sub_f32_e32 v0, v7, v0
	v_mul_f32_e32 v0, v16, v0
	v_lshrrev_b32_e32 v7, 16, v0
.LBB116_76:
	s_or_b64 exec, exec, s[6:7]
	s_and_saveexec_b64 s[6:7], s[0:1]
	s_cbranch_execz .LBB116_78
; %bb.77:
	v_mov_b32_e32 v9, 0
	v_lshl_add_u64 v[20:21], v[4:5], 0, v[8:9]
	global_load_ushort v0, v[20:21], off offset:32
	s_waitcnt vmcnt(0)
	v_lshlrev_b32_e32 v0, 16, v0
	v_sub_f32_e32 v0, v0, v1
	v_mul_f32_e32 v0, v14, v0
	v_lshrrev_b32_e32 v9, 16, v0
.LBB116_78:
	s_or_b64 exec, exec, s[6:7]
	v_mov_b32_e32 v13, 0
	v_mov_b32_e32 v11, 0
	s_and_saveexec_b64 s[6:7], s[2:3]
	s_cbranch_execz .LBB116_80
; %bb.79:
	v_mov_b32_e32 v11, 0
	v_lshl_add_u64 v[0:1], v[4:5], 0, v[10:11]
	global_load_ushort v0, v[0:1], off offset:32
	s_waitcnt vmcnt(0)
	v_lshlrev_b32_e32 v0, 16, v0
	v_sub_f32_e32 v0, v0, v2
	v_mul_f32_e32 v0, v17, v0
	v_lshrrev_b32_e32 v11, 16, v0
.LBB116_80:
	s_or_b64 exec, exec, s[6:7]
	s_and_saveexec_b64 s[6:7], s[4:5]
	s_cbranch_execz .LBB116_82
; %bb.81:
	v_mov_b32_e32 v13, 0
	v_lshl_add_u64 v[0:1], v[4:5], 0, v[12:13]
	global_load_ushort v0, v[0:1], off offset:32
	s_waitcnt vmcnt(0)
	v_lshlrev_b32_e32 v0, 16, v0
	v_sub_f32_e32 v0, v0, v3
	v_mul_f32_e32 v0, v15, v0
	v_lshrrev_b32_e32 v13, 16, v0
.LBB116_82:
	s_or_b64 exec, exec, s[6:7]
	s_mov_b32 s6, 0x5040100
	v_perm_b32 v20, v9, v7, s6
	v_or_b32_e32 v7, v18, v23
	v_accvgpr_read_b32 v0, a4
	v_perm_b32 v21, v13, v11, s6
	v_lshlrev_b32_e32 v7, 1, v7
	v_accvgpr_read_b32 v1, a5
	v_accvgpr_read_b32 v2, a6
	;; [unrolled: 1-line block ×3, first 2 shown]
	ds_write_b64 v7, v[20:21] offset:24576
	v_mov_b32_e32 v9, 0
	v_mov_b32_e32 v7, 0
	s_and_saveexec_b64 s[6:7], vcc
	s_cbranch_execz .LBB116_84
; %bb.83:
	v_mov_b32_e32 v7, 0
	v_lshl_add_u64 v[20:21], v[4:5], 0, v[6:7]
	global_load_ushort v7, v[20:21], off offset:64
	s_waitcnt vmcnt(0)
	v_lshlrev_b32_e32 v7, 16, v7
	v_sub_f32_e32 v0, v7, v0
	v_mul_f32_e32 v0, v16, v0
	v_lshrrev_b32_e32 v7, 16, v0
.LBB116_84:
	s_or_b64 exec, exec, s[6:7]
	s_and_saveexec_b64 s[6:7], s[0:1]
	s_cbranch_execz .LBB116_86
; %bb.85:
	v_mov_b32_e32 v9, 0
	v_lshl_add_u64 v[20:21], v[4:5], 0, v[8:9]
	global_load_ushort v0, v[20:21], off offset:64
	s_waitcnt vmcnt(0)
	v_lshlrev_b32_e32 v0, 16, v0
	v_sub_f32_e32 v0, v0, v1
	v_mul_f32_e32 v0, v14, v0
	v_lshrrev_b32_e32 v9, 16, v0
.LBB116_86:
	s_or_b64 exec, exec, s[6:7]
	v_mov_b32_e32 v13, 0
	v_mov_b32_e32 v11, 0
	s_and_saveexec_b64 s[6:7], s[2:3]
	s_cbranch_execz .LBB116_88
; %bb.87:
	v_mov_b32_e32 v11, 0
	v_lshl_add_u64 v[0:1], v[4:5], 0, v[10:11]
	global_load_ushort v0, v[0:1], off offset:64
	s_waitcnt vmcnt(0)
	v_lshlrev_b32_e32 v0, 16, v0
	v_sub_f32_e32 v0, v0, v2
	v_mul_f32_e32 v0, v17, v0
	v_lshrrev_b32_e32 v11, 16, v0
.LBB116_88:
	s_or_b64 exec, exec, s[6:7]
	s_and_saveexec_b64 s[6:7], s[4:5]
	s_cbranch_execz .LBB116_90
; %bb.89:
	v_mov_b32_e32 v13, 0
	v_lshl_add_u64 v[0:1], v[4:5], 0, v[12:13]
	global_load_ushort v0, v[0:1], off offset:64
	s_waitcnt vmcnt(0)
	v_lshlrev_b32_e32 v0, 16, v0
	v_sub_f32_e32 v0, v0, v3
	v_mul_f32_e32 v0, v15, v0
	v_lshrrev_b32_e32 v13, 16, v0
.LBB116_90:
	s_or_b64 exec, exec, s[6:7]
	s_mov_b32 s6, 0x5040100
	v_perm_b32 v20, v9, v7, s6
	v_or_b32_e32 v7, v18, v22
	v_accvgpr_read_b32 v0, a0
	v_perm_b32 v21, v13, v11, s6
	v_lshlrev_b32_e32 v7, 1, v7
	v_accvgpr_read_b32 v1, a1
	v_accvgpr_read_b32 v2, a2
	v_accvgpr_read_b32 v3, a3
	ds_write_b64 v7, v[20:21] offset:24576
	v_mov_b32_e32 v9, 0
	v_mov_b32_e32 v7, 0
	s_and_saveexec_b64 s[6:7], vcc
	s_cbranch_execz .LBB116_92
; %bb.91:
	v_mov_b32_e32 v7, 0
	v_lshl_add_u64 v[6:7], v[4:5], 0, v[6:7]
	global_load_ushort v6, v[6:7], off offset:96
	s_waitcnt vmcnt(0)
	v_lshlrev_b32_e32 v6, 16, v6
	v_sub_f32_e32 v0, v6, v0
	v_mul_f32_e32 v0, v16, v0
	v_lshrrev_b32_e32 v7, 16, v0
.LBB116_92:
	s_or_b64 exec, exec, s[6:7]
	s_and_saveexec_b64 s[6:7], s[0:1]
	s_cbranch_execz .LBB116_94
; %bb.93:
	v_mov_b32_e32 v9, 0
	v_lshl_add_u64 v[8:9], v[4:5], 0, v[8:9]
	global_load_ushort v0, v[8:9], off offset:96
	s_waitcnt vmcnt(0)
	v_lshlrev_b32_e32 v0, 16, v0
	v_sub_f32_e32 v0, v0, v1
	v_mul_f32_e32 v0, v14, v0
	v_lshrrev_b32_e32 v9, 16, v0
.LBB116_94:
	s_or_b64 exec, exec, s[6:7]
	v_mov_b32_e32 v0, 0
	v_mov_b32_e32 v1, 0
	s_and_saveexec_b64 s[0:1], s[2:3]
	s_cbranch_execz .LBB116_96
; %bb.95:
	v_mov_b32_e32 v11, 0
	v_lshl_add_u64 v[10:11], v[4:5], 0, v[10:11]
	global_load_ushort v1, v[10:11], off offset:96
	s_waitcnt vmcnt(0)
	v_lshlrev_b32_e32 v1, 16, v1
	v_sub_f32_e32 v1, v1, v2
	v_mul_f32_e32 v1, v17, v1
	v_lshrrev_b32_e32 v1, 16, v1
.LBB116_96:
	s_or_b64 exec, exec, s[0:1]
	s_and_saveexec_b64 s[0:1], s[4:5]
	s_cbranch_execz .LBB116_98
; %bb.97:
	v_mov_b32_e32 v13, 0
	v_lshl_add_u64 v[4:5], v[4:5], 0, v[12:13]
	global_load_ushort v0, v[4:5], off offset:96
	s_waitcnt vmcnt(0)
	v_lshlrev_b32_e32 v0, 16, v0
	v_sub_f32_e32 v0, v0, v3
	v_mul_f32_e32 v0, v15, v0
	v_lshrrev_b32_e32 v0, 16, v0
.LBB116_98:
	s_or_b64 exec, exec, s[0:1]
	s_mov_b32 s0, 0x5040100
	v_or_b32_e32 v2, v18, v19
	v_perm_b32 v1, v0, v1, s0
	v_perm_b32 v0, v9, v7, s0
	v_lshlrev_b32_e32 v2, 1, v2
	ds_write_b64 v2, v[0:1] offset:24576
	s_waitcnt lgkmcnt(0)
	s_barrier
.LBB116_99:
	s_endpgm
	.section	.rodata,"a",@progbits
	.p2align	6, 0x0
	.amdhsa_kernel _ZN12_GLOBAL__N_139chunk_gated_delta_rule_fwd_h_hip_kernelILi64ELb1ELb0ELb0ELb1ELb0ELb0ELb0ELb1EEEvPK12hip_bfloat16S3_S3_PKfS5_PKvPS1_S8_PvPKiSB_iiiiilll
		.amdhsa_group_segment_fixed_size 65536
		.amdhsa_private_segment_fixed_size 0
		.amdhsa_kernarg_size 136
		.amdhsa_user_sgpr_count 2
		.amdhsa_user_sgpr_dispatch_ptr 0
		.amdhsa_user_sgpr_queue_ptr 0
		.amdhsa_user_sgpr_kernarg_segment_ptr 1
		.amdhsa_user_sgpr_dispatch_id 0
		.amdhsa_user_sgpr_kernarg_preload_length 0
		.amdhsa_user_sgpr_kernarg_preload_offset 0
		.amdhsa_user_sgpr_private_segment_size 0
		.amdhsa_uses_dynamic_stack 0
		.amdhsa_enable_private_segment 0
		.amdhsa_system_sgpr_workgroup_id_x 1
		.amdhsa_system_sgpr_workgroup_id_y 1
		.amdhsa_system_sgpr_workgroup_id_z 0
		.amdhsa_system_sgpr_workgroup_info 0
		.amdhsa_system_vgpr_workitem_id 0
		.amdhsa_next_free_vgpr 216
		.amdhsa_next_free_sgpr 61
		.amdhsa_accum_offset 180
		.amdhsa_reserve_vcc 1
		.amdhsa_float_round_mode_32 0
		.amdhsa_float_round_mode_16_64 0
		.amdhsa_float_denorm_mode_32 3
		.amdhsa_float_denorm_mode_16_64 3
		.amdhsa_dx10_clamp 1
		.amdhsa_ieee_mode 1
		.amdhsa_fp16_overflow 0
		.amdhsa_tg_split 0
		.amdhsa_exception_fp_ieee_invalid_op 0
		.amdhsa_exception_fp_denorm_src 0
		.amdhsa_exception_fp_ieee_div_zero 0
		.amdhsa_exception_fp_ieee_overflow 0
		.amdhsa_exception_fp_ieee_underflow 0
		.amdhsa_exception_fp_ieee_inexact 0
		.amdhsa_exception_int_div_zero 0
	.end_amdhsa_kernel
	.section	.text._ZN12_GLOBAL__N_139chunk_gated_delta_rule_fwd_h_hip_kernelILi64ELb1ELb0ELb0ELb1ELb0ELb0ELb0ELb1EEEvPK12hip_bfloat16S3_S3_PKfS5_PKvPS1_S8_PvPKiSB_iiiiilll,"axG",@progbits,_ZN12_GLOBAL__N_139chunk_gated_delta_rule_fwd_h_hip_kernelILi64ELb1ELb0ELb0ELb1ELb0ELb0ELb0ELb1EEEvPK12hip_bfloat16S3_S3_PKfS5_PKvPS1_S8_PvPKiSB_iiiiilll,comdat
.Lfunc_end116:
	.size	_ZN12_GLOBAL__N_139chunk_gated_delta_rule_fwd_h_hip_kernelILi64ELb1ELb0ELb0ELb1ELb0ELb0ELb0ELb1EEEvPK12hip_bfloat16S3_S3_PKfS5_PKvPS1_S8_PvPKiSB_iiiiilll, .Lfunc_end116-_ZN12_GLOBAL__N_139chunk_gated_delta_rule_fwd_h_hip_kernelILi64ELb1ELb0ELb0ELb1ELb0ELb0ELb0ELb1EEEvPK12hip_bfloat16S3_S3_PKfS5_PKvPS1_S8_PvPKiSB_iiiiilll
                                        ; -- End function
	.section	.AMDGPU.csdata,"",@progbits
; Kernel info:
; codeLenInByte = 10888
; NumSgprs: 67
; NumVgprs: 178
; NumAgprs: 36
; TotalNumVgprs: 216
; ScratchSize: 0
; MemoryBound: 0
; FloatMode: 240
; IeeeMode: 1
; LDSByteSize: 65536 bytes/workgroup (compile time only)
; SGPRBlocks: 8
; VGPRBlocks: 26
; NumSGPRsForWavesPerEU: 67
; NumVGPRsForWavesPerEU: 216
; AccumOffset: 180
; Occupancy: 1
; WaveLimiterHint : 1
; COMPUTE_PGM_RSRC2:SCRATCH_EN: 0
; COMPUTE_PGM_RSRC2:USER_SGPR: 2
; COMPUTE_PGM_RSRC2:TRAP_HANDLER: 0
; COMPUTE_PGM_RSRC2:TGID_X_EN: 1
; COMPUTE_PGM_RSRC2:TGID_Y_EN: 1
; COMPUTE_PGM_RSRC2:TGID_Z_EN: 0
; COMPUTE_PGM_RSRC2:TIDIG_COMP_CNT: 0
; COMPUTE_PGM_RSRC3_GFX90A:ACCUM_OFFSET: 44
; COMPUTE_PGM_RSRC3_GFX90A:TG_SPLIT: 0
	.section	.text._ZN12_GLOBAL__N_139chunk_gated_delta_rule_fwd_h_hip_kernelILi64ELb0ELb1ELb1ELb1ELb0ELb0ELb0ELb1EEEvPK12hip_bfloat16S3_S3_PKfS5_PKvPS1_S8_PvPKiSB_iiiiilll,"axG",@progbits,_ZN12_GLOBAL__N_139chunk_gated_delta_rule_fwd_h_hip_kernelILi64ELb0ELb1ELb1ELb1ELb0ELb0ELb0ELb1EEEvPK12hip_bfloat16S3_S3_PKfS5_PKvPS1_S8_PvPKiSB_iiiiilll,comdat
	.globl	_ZN12_GLOBAL__N_139chunk_gated_delta_rule_fwd_h_hip_kernelILi64ELb0ELb1ELb1ELb1ELb0ELb0ELb0ELb1EEEvPK12hip_bfloat16S3_S3_PKfS5_PKvPS1_S8_PvPKiSB_iiiiilll ; -- Begin function _ZN12_GLOBAL__N_139chunk_gated_delta_rule_fwd_h_hip_kernelILi64ELb0ELb1ELb1ELb1ELb0ELb0ELb0ELb1EEEvPK12hip_bfloat16S3_S3_PKfS5_PKvPS1_S8_PvPKiSB_iiiiilll
	.p2align	8
	.type	_ZN12_GLOBAL__N_139chunk_gated_delta_rule_fwd_h_hip_kernelILi64ELb0ELb1ELb1ELb1ELb0ELb0ELb0ELb1EEEvPK12hip_bfloat16S3_S3_PKfS5_PKvPS1_S8_PvPKiSB_iiiiilll,@function
_ZN12_GLOBAL__N_139chunk_gated_delta_rule_fwd_h_hip_kernelILi64ELb0ELb1ELb1ELb1ELb0ELb0ELb0ELb1EEEvPK12hip_bfloat16S3_S3_PKfS5_PKvPS1_S8_PvPKiSB_iiiiilll: ; @_ZN12_GLOBAL__N_139chunk_gated_delta_rule_fwd_h_hip_kernelILi64ELb0ELb1ELb1ELb1ELb0ELb0ELb0ELb1EEEvPK12hip_bfloat16S3_S3_PKfS5_PKvPS1_S8_PvPKiSB_iiiiilll
; %bb.0:
	s_load_dwordx4 s[20:23], s[0:1], 0x5c
	s_abs_i32 s27, s3
	s_ashr_i32 s26, s3, 31
	s_load_dwordx2 s[24:25], s[0:1], 0x50
	s_load_dwordx8 s[4:11], s[0:1], 0x30
	s_load_dwordx8 s[12:19], s[0:1], 0x0
	v_lshrrev_b32_e32 v74, 6, v0
	s_waitcnt lgkmcnt(0)
	s_abs_i32 s30, s21
	v_cvt_f32_u32_e32 v1, s30
	s_sub_i32 s28, 0, s30
	s_ashr_i32 s46, s21, 31
	s_xor_b32 s26, s26, s46
	v_rcp_iflag_f32_e32 v1, v1
	v_bfe_u32 v77, v0, 4, 2
	v_lshlrev_b32_e32 v75, 4, v74
	v_lshlrev_b32_e32 v2, 2, v77
	v_mul_f32_e32 v1, 0x4f7ffffe, v1
	v_cvt_u32_f32_e32 v1, v1
	v_and_b32_e32 v76, 63, v0
	s_mov_b32 s33, s21
	v_and_b32_e32 v78, 15, v0
	v_readfirstlane_b32 s29, v1
	s_mul_i32 s28, s28, s29
	s_mul_hi_u32 s28, s29, s28
	s_add_i32 s29, s29, s28
	s_mul_hi_u32 s28, s27, s29
	s_mul_i32 s29, s28, s30
	s_sub_i32 s27, s27, s29
	s_add_i32 s31, s28, 1
	s_sub_i32 s29, s27, s30
	s_cmp_ge_u32 s27, s30
	s_cselect_b32 s28, s31, s28
	s_cselect_b32 s27, s29, s27
	s_add_i32 s29, s28, 1
	s_cmp_ge_u32 s27, s30
	s_cselect_b32 s27, s29, s28
	s_xor_b32 s27, s27, s26
	s_sub_i32 s34, s27, s26
	s_mul_i32 s26, s34, s21
	s_ashr_i32 s35, s34, 31
	s_sub_i32 s47, s3, s26
	s_lshl_b64 s[26:27], s[34:35], 2
	s_add_u32 s10, s10, s26
	s_addc_u32 s11, s11, s27
	s_add_u32 s28, s24, s26
	s_addc_u32 s29, s25, s27
	s_abs_i32 s3, s22
	v_cvt_f32_u32_e32 v1, s3
	s_load_dwordx2 s[40:41], s[10:11], 0x0
	s_nop 0
	s_load_dwordx2 s[10:11], s[0:1], 0x80
	s_load_dwordx4 s[24:27], s[0:1], 0x70
	s_sub_i32 s1, 0, s3
	v_rcp_iflag_f32_e32 v1, v1
	s_load_dword s52, s[28:29], 0x0
	s_waitcnt lgkmcnt(0)
	s_sub_i32 s56, s41, s40
	s_ashr_i32 s0, s56, 31
	v_mul_f32_e32 v1, 0x4f7ffffe, v1
	v_cvt_u32_f32_e32 v1, v1
	s_lshr_b32 s0, s0, 26
	s_add_i32 s0, s56, s0
	s_ashr_i32 s51, s0, 6
	v_readfirstlane_b32 s31, v1
	s_mul_i32 s1, s1, s31
	s_mul_hi_u32 s1, s31, s1
	s_add_i32 s31, s31, s1
	s_mul_hi_u32 s1, s30, s31
	s_mul_i32 s31, s1, s3
	s_ashr_i32 s0, s22, 31
	s_sub_i32 s30, s30, s31
	s_xor_b32 s0, s46, s0
	s_add_i32 s31, s1, 1
	s_sub_i32 s36, s30, s3
	s_cmp_ge_u32 s30, s3
	s_cselect_b32 s1, s31, s1
	s_cselect_b32 s30, s36, s30
	s_add_i32 s31, s1, 1
	s_cmp_ge_u32 s30, s3
	s_cselect_b32 s1, s31, s1
	s_xor_b32 s1, s1, s0
	s_sub_i32 s1, s1, s0
	s_abs_i32 s3, s1
	v_cvt_f32_u32_e32 v1, s3
	s_sub_i32 s29, 0, s3
	s_abs_i32 s28, s47
	s_xor_b32 s1, s47, s1
	v_rcp_iflag_f32_e32 v1, v1
	s_ashr_i32 s1, s1, 31
	s_mov_b32 s0, 0
	s_mul_hi_i32 s53, s47, s20
	v_mul_f32_e32 v1, 0x4f7ffffe, v1
	v_cvt_u32_f32_e32 v1, v1
	s_mul_i32 s54, s47, s20
	v_lshrrev_b32_e32 v80, 3, v76
	v_lshlrev_b32_e32 v79, 3, v0
	v_readfirstlane_b32 s30, v1
	s_mul_i32 s29, s29, s30
	s_mul_hi_u32 s29, s30, s29
	s_add_i32 s30, s30, s29
	s_mul_hi_u32 s29, s28, s30
	s_mul_i32 s30, s29, s3
	s_sub_i32 s28, s28, s30
	s_add_i32 s30, s29, 1
	s_sub_i32 s31, s28, s3
	s_cmp_ge_u32 s28, s3
	s_cselect_b32 s29, s30, s29
	s_cselect_b32 s28, s31, s28
	s_add_i32 s30, s29, 1
	s_cmp_ge_u32 s28, s3
	s_cselect_b32 s3, s30, s29
	s_xor_b32 s3, s3, s1
	s_sub_i32 s55, s3, s1
	v_or_b32_e32 v1, v2, v75
	s_lshl_b32 s2, s2, 6
	s_mov_b32 s1, s0
	v_or_b32_e32 v81, 64, v1
	s_cmp_lt_i32 s56, 64
	v_mov_b64_e32 v[34:35], s[0:1]
	s_mul_i32 s48, s34, s25
	s_mul_hi_u32 s49, s34, s24
	s_mul_i32 s50, s35, s24
	s_mul_i32 s24, s34, s24
	v_mov_b64_e32 v[36:37], s[0:1]
	v_mov_b64_e32 v[40:41], s[0:1]
	;; [unrolled: 1-line block ×15, first 2 shown]
	s_cbranch_scc1 .LBB117_17
; %bb.1:
	s_ashr_i32 s58, s47, 31
	s_ashr_i32 s1, s40, 31
	s_add_u32 s0, s54, s40
	s_addc_u32 s1, s53, s1
	s_lshl_b64 s[0:1], s[0:1], 8
	v_and_b32_e32 v83, 56, v79
	s_add_u32 s28, s14, s0
	v_lshl_or_b32 v82, v74, 3, v80
	v_lshlrev_b32_e32 v3, 1, v83
	s_addc_u32 s0, s15, s1
	v_lshl_or_b32 v84, v82, 8, v3
	s_and_b32 s29, s0, 0xffff
	s_mov_b32 s31, 0x20000
	s_movk_i32 s30, 0x4000
	s_movk_i32 s0, 0x80
	v_or_b32_e32 v85, 0x2000, v84
	buffer_load_dwordx4 v[4:7], v84, s[28:31], 0 offen
	buffer_load_dwordx4 v[8:11], v84, s[28:31], s0 offen
	;; [unrolled: 1-line block ×4, first 2 shown]
	v_lshlrev_b32_e32 v20, 3, v82
	v_and_or_b32 v22, v0, 7, v20
	v_and_b32_e32 v20, 0x78, v20
	v_lshlrev_b32_e32 v22, 4, v22
	v_xor_b32_e32 v86, v22, v20
	v_mul_lo_u32 v21, v82, s23
	v_or_b32_e32 v87, 0x1000, v86
	s_cmpk_eq_i32 s23, 0x80
	s_mov_b32 s57, s40
	v_xor_b32_e32 v20, 8, v86
	v_xor_b32_e32 v22, 8, v87
	s_cselect_b64 s[0:1], -1, 0
	s_cmpk_lg_i32 s23, 0x80
	s_waitcnt vmcnt(3)
	ds_write_b64 v86, v[4:5] offset:49152
	ds_write_b64 v20, v[6:7] offset:49152
	s_waitcnt vmcnt(2)
	ds_write_b64 v86, v[8:9] offset:57344
	ds_write_b64 v20, v[10:11] offset:57344
	;; [unrolled: 3-line block ×4, first 2 shown]
	v_lshl_add_u32 v4, v21, 1, v83
	s_cbranch_scc0 .LBB117_3
; %bb.2:
	v_lshlrev_b32_e32 v6, 1, v4
	v_add_lshl_u32 v5, v4, s23, 1
	s_lshl_b32 s30, s23, 7
	v_lshl_or_b32 v3, v82, 9, v3
	s_cbranch_execz .LBB117_4
	s_branch .LBB117_5
.LBB117_3:
                                        ; implicit-def: $vgpr5
                                        ; implicit-def: $vgpr6
                                        ; implicit-def: $sgpr30
	v_lshl_or_b32 v3, v82, 9, v3
.LBB117_4:
	v_or_b32_e32 v5, 0x100, v3
	s_movk_i32 s30, 0x4000
	v_mov_b32_e32 v6, v3
.LBB117_5:
	s_mul_i32 s25, s40, s22
	s_ashr_i32 s59, s55, 31
	s_mul_hi_i32 s3, s40, s22
	s_add_u32 s28, s25, s55
	s_addc_u32 s29, s3, s59
	s_lshl_b64 s[28:29], s[28:29], 8
	s_add_u32 s28, s12, s28
	s_addc_u32 s3, s13, s29
	s_and_b32 s29, s3, 0xffff
	s_movk_i32 s60, 0x80
	buffer_load_dwordx4 v[8:11], v6, s[28:31], 0 offen
	buffer_load_dwordx4 v[12:15], v6, s[28:31], s60 offen
	;; [unrolled: 1-line block ×4, first 2 shown]
	v_and_b32_e32 v5, 6, v0
	v_lshlrev_b32_e32 v6, 7, v1
	v_xor_b32_e32 v28, v82, v5
	v_and_b32_e32 v7, 1, v0
	v_lshl_or_b32 v31, v78, 3, v6
	v_lshlrev_b32_e32 v28, 2, v28
	v_lshlrev_b32_e32 v24, 2, v78
	v_or_b32_e32 v88, 0x4000, v31
	v_or_b32_e32 v89, 0x6000, v31
	v_xor_b32_e32 v31, 0x440, v28
	v_cmp_eq_u32_e32 vcc, 0, v7
	v_or_b32_e32 v26, 16, v78
	v_or_b32_e32 v27, 32, v78
	v_xor_b32_e32 v29, v1, v24
	v_xor_b32_e32 v30, v81, v24
	v_cndmask_b32_e32 v7, v31, v28, vcc
	s_add_i32 s3, s49, s48
	s_mov_b32 s61, 0x1000504
	v_lshl_or_b32 v32, v26, 3, v6
	v_lshlrev_b32_e32 v26, 8, v26
	v_lshl_or_b32 v33, v27, 3, v6
	v_lshlrev_b32_e32 v29, 1, v29
	v_lshlrev_b32_e32 v30, 1, v30
	v_lshl_or_b32 v5, v5, 10, v7
	s_add_i32 s25, s3, s50
	s_mul_i32 s3, s47, s27
	s_mul_hi_u32 s28, s47, s26
	s_mov_b32 s62, 0x3020706
	v_lshlrev_b32_e32 v25, 8, v78
	v_or_b32_e32 v92, 0x4000, v33
	v_or_b32_e32 v93, 0x6000, v33
	;; [unrolled: 1-line block ×4, first 2 shown]
	v_xor_b32_e32 v7, 8, v5
	v_xor_b32_e32 v26, 24, v5
	;; [unrolled: 1-line block ×4, first 2 shown]
	s_add_i32 s3, s28, s3
	s_mul_i32 s28, s58, s26
	v_or_b32_e32 v90, 0x4000, v32
	v_or_b32_e32 v91, 0x6000, v32
	v_or_b32_e32 v94, v25, v29
	v_or_b32_e32 v95, v25, v30
	v_xor_b32_e32 v25, 16, v5
	v_xor_b32_e32 v28, 32, v5
	;; [unrolled: 1-line block ×3, first 2 shown]
	v_add_u32_e32 v7, 0x80, v7
	v_add_u32_e32 v26, 0x80, v26
	;; [unrolled: 1-line block ×4, first 2 shown]
	s_add_i32 s29, s3, s28
	s_lshl_b64 s[36:37], s[24:25], 2
	s_mul_i32 s28, s47, s26
	s_add_u32 s3, s18, s36
	s_addc_u32 s25, s19, s37
	s_lshl_b64 s[28:29], s[28:29], 2
	s_add_u32 s42, s3, s28
	s_movk_i32 s3, 0xf8
	s_addc_u32 s43, s25, s29
	s_lshl_b32 s38, s23, 7
	s_movk_i32 s25, 0x100
	v_mov_b32_e32 v67, 0
	v_lshlrev_b32_e32 v66, 4, v78
	v_cmp_gt_u32_e32 vcc, s25, v0
	v_lshlrev_b32_e32 v27, 8, v27
	s_mov_b32 s63, 0
	s_movk_i32 s30, 0x4000
	v_or_b32_e32 v98, v27, v29
	v_or_b32_e32 v99, v27, v30
	v_add_u32_e32 v128, v75, v2
	s_movk_i32 s25, 0x2000
	s_movk_i32 s64, 0x3000
	v_mov_b32_e32 v133, 0x3fb8aa3b
	v_mov_b32_e32 v62, v67
	;; [unrolled: 1-line block ×6, first 2 shown]
	s_waitcnt vmcnt(1)
	v_perm_b32 v34, v8, v16, s61
	s_waitcnt vmcnt(0)
	v_perm_b32 v35, v12, v20, s61
	v_perm_b32 v8, v8, v16, s62
	;; [unrolled: 1-line block ×15, first 2 shown]
	ds_write2st64_b32 v5, v34, v35 offset0:128 offset1:160
	ds_write2st64_b32 v7, v8, v12 offset0:128 offset1:160
	;; [unrolled: 1-line block ×8, first 2 shown]
	v_or_b32_e32 v5, 48, v78
	v_lshl_or_b32 v7, v5, 3, v6
	v_lshlrev_b32_e32 v5, 8, v5
	v_or_b32_e32 v102, v5, v29
	v_or_b32_e32 v103, v5, v30
	v_or_b32_e32 v5, v75, v78
	v_lshlrev_b32_e32 v5, 3, v5
	v_lshrrev_b32_e32 v9, 5, v76
	v_and_or_b32 v9, v5, s3, v9
	v_lshlrev_b32_e32 v9, 4, v9
	v_or_b32_e32 v100, 0x4000, v7
	v_or_b32_e32 v101, 0x6000, v7
	v_lshlrev_b32_e32 v7, 11, v74
	v_and_b32_e32 v5, 0x78, v5
	v_or_b32_e32 v14, 32, v9
	v_and_b32_e32 v8, 0x1000, v7
	v_xor_b32_e32 v10, v9, v5
	v_lshrrev_b32_e32 v11, 1, v0
	v_xor_b32_e32 v14, v14, v5
	v_or_b32_e32 v10, v10, v8
	v_and_b32_e32 v12, 8, v11
	v_or_b32_e32 v14, v14, v8
	v_xor_b32_e32 v104, v10, v12
	v_lshlrev_b32_e32 v10, 8, v77
	v_xor_b32_e32 v106, v14, v12
	v_or_b32_e32 v14, 64, v9
	v_or_b32_e32 v9, 0x60, v9
	;; [unrolled: 1-line block ×3, first 2 shown]
	v_xor_b32_e32 v14, v14, v5
	v_xor_b32_e32 v5, v9, v5
	s_ashr_i32 s3, s2, 31
	v_lshlrev_b32_e32 v13, 1, v13
	v_or_b32_e32 v14, v14, v8
	v_or_b32_e32 v5, v5, v8
	s_lshl_b64 s[28:29], s[2:3], 8
	v_or_b32_e32 v105, 0x4000, v13
	v_or_b32_e32 v107, 0x4080, v13
	;; [unrolled: 1-line block ×4, first 2 shown]
	v_xor_b32_e32 v110, v14, v12
	v_xor_b32_e32 v111, v5, v12
	v_or_b32_e32 v112, 0x6000, v13
	v_or_b32_e32 v113, 0x6080, v13
	v_or_b32_e32 v114, 0x6100, v13
	v_or_b32_e32 v115, 0x6180, v13
	v_lshlrev_b32_e32 v12, 1, v4
	v_add_lshl_u32 v13, v4, s23, 1
	s_add_u32 s28, s4, s28
	v_lshlrev_b32_e32 v4, 1, v78
	v_lshrrev_b32_e32 v15, 4, v0
	s_addc_u32 s29, s5, s29
	v_or_b32_e32 v5, 1, v4
	v_mov_b32_e32 v19, 0xa000
	v_mov_b32_e32 v20, 0x8000
	v_xor_b32_e32 v16, v15, v4
	v_xor_b32_e32 v17, v5, v15
	v_lshl_add_u64 v[4:5], s[28:29], 0, v[66:67]
	v_lshlrev_b32_e32 v66, 8, v15
	v_cndmask_b32_e32 v19, v19, v20, vcc
	v_lshlrev_b32_e32 v20, 3, v74
	v_and_b32_e32 v11, 24, v11
	v_lshl_or_b32 v116, v16, 3, v66
	v_and_b32_e32 v16, 8, v0
	v_xor_b32_e32 v21, v20, v11
	v_or_b32_e32 v22, 0x440, v21
	v_cmp_eq_u32_e32 vcc, 0, v16
	v_and_b32_e32 v15, 7, v0
	v_lshl_or_b32 v117, v17, 3, v66
	v_cndmask_b32_e32 v16, v22, v21, vcc
	v_lshlrev_b32_e32 v17, 3, v15
	v_lshlrev_b32_e32 v15, 7, v15
	v_or_b32_e32 v16, v16, v7
	v_lshlrev_b32_e32 v18, 2, v0
	v_xad_u32 v118, v16, v17, v15
	v_or_b32_e32 v16, 32, v11
	v_and_or_b32 v10, v18, 60, v10
	v_xor_b32_e32 v16, v20, v16
	v_lshlrev_b32_e32 v10, 1, v10
	v_or_b32_e32 v18, 0x440, v16
	v_or_b32_e32 v119, 0x6000, v10
	v_cndmask_b32_e32 v16, v18, v16, vcc
	v_or_b32_e32 v121, 0x6080, v10
	v_or_b32_e32 v122, 0x6100, v10
	;; [unrolled: 1-line block ×5, first 2 shown]
	v_xor_b32_e32 v10, v20, v10
	v_xad_u32 v120, v16, v17, v15
	v_xor_b32_e32 v16, 0x440, v10
	v_cndmask_b32_e32 v10, v16, v10, vcc
	v_or_b32_e32 v10, v10, v7
	v_xad_u32 v124, v10, v17, v15
	v_or_b32_e32 v10, 0x60, v11
	v_xor_b32_e32 v10, v20, v10
	v_xor_b32_e32 v11, 0x440, v10
	v_or_b32_e32 v8, s2, v78
	v_cndmask_b32_e32 v10, v11, v10, vcc
	v_ashrrev_i32_e32 v9, 31, v8
	v_or_b32_e32 v7, v10, v7
	v_or_b32_e32 v14, 0x100, v3
	v_xad_u32 v125, v7, v17, v15
	v_lshlrev_b64 v[8:9], 1, v[8:9]
	v_cndmask_b32_e64 v126, v12, v3, s[0:1]
	v_cndmask_b32_e64 v127, v13, v14, s[0:1]
	v_lshl_add_u64 v[68:69], s[16:17], 0, v[8:9]
	v_lshl_add_u64 v[70:71], s[6:7], 0, v[8:9]
	;; [unrolled: 1-line block ×3, first 2 shown]
	s_mov_b32 s3, 0x7060302
	v_lshlrev_b32_e32 v66, 1, v6
	v_add_u32_e32 v129, v19, v118
	v_add_u32_e32 v130, v19, v120
	;; [unrolled: 1-line block ×4, first 2 shown]
	v_mov_b32_e32 v59, v67
	v_mov_b32_e32 v60, v67
	;; [unrolled: 1-line block ×27, first 2 shown]
	s_waitcnt lgkmcnt(0)
	s_barrier
	s_branch .LBB117_7
.LBB117_6:                              ;   in Loop: Header=BB117_7 Depth=1
	s_waitcnt vmcnt(6)
	v_mul_f32_e32 v22, s44, v133
	v_exp_f32_e32 v134, v22
	v_accvgpr_read_b32 v5, a3
	v_accvgpr_read_b32 v9, a7
	;; [unrolled: 1-line block ×4, first 2 shown]
	s_waitcnt vmcnt(4)
	v_accvgpr_read_b32 v18, a20
	v_accvgpr_read_b32 v25, a19
	;; [unrolled: 1-line block ×28, first 2 shown]
	s_add_i32 s57, s57, 64
	v_pk_fma_f32 v[62:63], v[134:135], v[62:63], v[2:3] op_sel_hi:[0,1,1]
	v_pk_fma_f32 v[64:65], v[134:135], v[64:65], v[4:5] op_sel_hi:[0,1,1]
	;; [unrolled: 1-line block ×16, first 2 shown]
	s_cmp_eq_u32 s51, s65
	s_mov_b32 s63, s65
	s_cbranch_scc1 .LBB117_17
.LBB117_7:                              ; =>This Inner Loop Header: Depth=1
	s_add_i32 s65, s63, 1
	s_cmp_lt_i32 s65, s51
	s_mov_b64 s[36:37], 0
	s_cselect_b64 s[44:45], -1, 0
	s_cmp_ge_i32 s65, s51
	s_mov_b64 s[28:29], 0
	s_cbranch_scc1 .LBB117_9
; %bb.8:                                ;   in Loop: Header=BB117_7 Depth=1
	s_add_i32 s0, s57, 64
	s_ashr_i32 s1, s0, 31
	s_add_u32 s0, s54, s0
	s_addc_u32 s1, s53, s1
	s_lshl_b64 s[0:1], s[0:1], 8
	s_add_u32 s28, s14, s0
	s_addc_u32 s29, s15, s1
.LBB117_9:                              ;   in Loop: Header=BB117_7 Depth=1
	v_cndmask_b32_e64 v2, 0, 1, s[44:45]
	v_cmp_ne_u32_e64 s[0:1], 1, v2
	s_andn2_b64 vcc, exec, s[44:45]
	s_cbranch_vccnz .LBB117_11
; %bb.10:                               ;   in Loop: Header=BB117_7 Depth=1
	s_add_i32 s36, s57, 64
	s_mul_hi_i32 s37, s36, s22
	s_mul_i32 s36, s36, s22
	s_add_u32 s36, s36, s55
	s_addc_u32 s37, s37, s59
	s_lshl_b64 s[36:37], s[36:37], 8
	s_add_u32 s36, s12, s36
	s_addc_u32 s37, s13, s37
.LBB117_11:                             ;   in Loop: Header=BB117_7 Depth=1
	v_perm_b32 v3, v65, v64, s3
	v_perm_b32 v2, v63, v62, s3
	v_perm_b32 v5, v61, v60, s3
	v_perm_b32 v4, v59, v58, s3
	ds_write_b64 v88, v[2:3]
	ds_write_b64 v89, v[4:5]
	ds_write_b64 v94, v[2:3]
	ds_write_b64 v95, v[4:5]
	v_perm_b32 v3, v57, v56, s3
	v_perm_b32 v2, v55, v54, s3
	v_perm_b32 v5, v53, v52, s3
	v_perm_b32 v4, v51, v50, s3
	ds_write_b64 v90, v[2:3]
	ds_write_b64 v91, v[4:5]
	ds_write_b64 v96, v[2:3]
	ds_write_b64 v97, v[4:5]
	;; [unrolled: 8-line block ×4, first 2 shown]
	s_waitcnt lgkmcnt(0)
	s_barrier
	ds_read_b64 v[6:7], v104 offset:49152
	ds_read2_b64 v[2:5], v105 offset1:16
	ds_read_b64 v[18:19], v107 offset:6144
	ds_read_b64 v[20:21], v105 offset:6144
	s_waitcnt lgkmcnt(2)
	v_mfma_f32_16x16x16_bf16 a[0:3], v[6:7], v[2:3], 0
	ds_read_b64 v[22:23], v106 offset:49152
	ds_read2st64_b64 v[10:13], v108 offset0:4 offset1:8
	ds_read2st64_b64 v[14:17], v109 offset0:4 offset1:8
	v_mfma_f32_16x16x16_bf16 a[4:7], v[6:7], v[4:5], 0
	ds_read2_b64 v[2:5], v105 offset0:32 offset1:48
	s_add_i32 s39, s57, 63
	s_ashr_i32 s44, s39, 31
	s_waitcnt lgkmcnt(0)
	v_mfma_f32_16x16x16_bf16 a[8:11], v[6:7], v[2:3], 0
	s_mul_i32 s45, s39, s11
	s_mul_hi_u32 s66, s39, s10
	s_add_i32 s45, s66, s45
	v_mfma_f32_16x16x16_bf16 a[12:15], v[6:7], v[4:5], 0
	ds_read2st64_b64 v[2:5], v105 offset0:4 offset1:8
	ds_read2st64_b64 v[6:9], v107 offset0:4 offset1:8
	s_mul_i32 s44, s44, s10
	s_waitcnt lgkmcnt(1)
	v_mfma_f32_16x16x16_bf16 a[0:3], v[22:23], v[2:3], a[0:3]
	s_add_i32 s45, s45, s44
	s_mul_i32 s44, s39, s10
	s_lshl_b64 s[44:45], s[44:45], 2
	s_waitcnt lgkmcnt(0)
	v_mfma_f32_16x16x16_bf16 a[4:7], v[22:23], v[6:7], a[4:7]
	s_add_u32 s44, s42, s44
	s_addc_u32 s45, s43, s45
	s_and_b64 vcc, exec, s[0:1]
	v_mfma_f32_16x16x16_bf16 a[8:11], v[22:23], v[10:11], a[8:11]
	ds_read_b64 v[2:3], v110 offset:49152
	ds_read_b64 v[6:7], v111 offset:49152
	ds_read_b64 v[10:11], v109 offset:6144
	v_mov_b32_e32 v136, 0
	v_mov_b32_e32 v135, 0
	v_mfma_f32_16x16x16_bf16 a[12:15], v[22:23], v[14:15], a[12:15]
	v_mov_b32_e32 v134, 0
	v_mov_b32_e32 v14, 0
	;; [unrolled: 1-line block ×3, first 2 shown]
	s_waitcnt lgkmcnt(2)
	v_mfma_f32_16x16x16_bf16 a[0:3], v[2:3], v[4:5], a[0:3]
	v_mov_b32_e32 v4, 0
	v_mov_b32_e32 v5, 0
	v_mfma_f32_16x16x16_bf16 a[4:7], v[2:3], v[8:9], a[4:7]
	v_mov_b32_e32 v8, 0
	v_mov_b32_e32 v9, 0
	;; [unrolled: 3-line block ×3, first 2 shown]
	v_mfma_f32_16x16x16_bf16 a[12:15], v[2:3], v[16:17], a[12:15]
	ds_read_b64 v[2:3], v108 offset:6144
	v_mov_b32_e32 v16, 0
	v_mov_b32_e32 v17, 0
	s_waitcnt lgkmcnt(2)
	v_mfma_f32_16x16x16_bf16 a[0:3], v[6:7], v[20:21], a[0:3]
	v_mfma_f32_16x16x16_bf16 a[4:7], v[6:7], v[18:19], a[4:7]
	s_waitcnt lgkmcnt(0)
	v_mfma_f32_16x16x16_bf16 a[8:11], v[6:7], v[2:3], a[8:11]
	v_mov_b32_e32 v2, 0
	v_mov_b32_e32 v3, 0
	v_mfma_f32_16x16x16_bf16 a[12:15], v[6:7], v[10:11], a[12:15]
	v_mov_b32_e32 v6, 0
	v_mov_b32_e32 v7, 0
	;; [unrolled: 1-line block ×4, first 2 shown]
	s_cbranch_vccnz .LBB117_13
; %bb.12:                               ;   in Loop: Header=BB117_7 Depth=1
	s_and_b32 s29, s29, 0xffff
	buffer_load_dwordx4 v[14:17], v84, s[28:31], 0 offen
	buffer_load_dwordx4 v[10:13], v84, s[28:31], s60 offen
	;; [unrolled: 1-line block ×4, first 2 shown]
	v_mov_b32_e32 v135, v86
	v_mov_b32_e32 v134, v87
.LBB117_13:                             ;   in Loop: Header=BB117_7 Depth=1
	ds_read_b64 v[142:143], v104 offset:57344
	ds_read2_b64 v[18:21], v112 offset1:16
	ds_read_b64 v[144:145], v106 offset:57344
	ds_read_b64 v[146:147], v110 offset:57344
	;; [unrolled: 1-line block ×3, first 2 shown]
	v_add_u32_e32 v137, s57, v128
	s_waitcnt lgkmcnt(3)
	v_mfma_f32_16x16x16_bf16 a[0:3], v[142:143], v[18:19], a[0:3]
	v_mfma_f32_16x16x16_bf16 a[4:7], v[142:143], v[20:21], a[4:7]
	ds_read2_b64 v[18:21], v112 offset0:32 offset1:48
	ds_read2st64_b64 v[22:25], v112 offset0:4 offset1:8
	ds_read2st64_b64 v[26:29], v113 offset0:4 offset1:8
	;; [unrolled: 1-line block ×4, first 2 shown]
	s_waitcnt lgkmcnt(4)
	v_mfma_f32_16x16x16_bf16 a[8:11], v[142:143], v[18:19], a[8:11]
	v_ashrrev_i32_e32 v18, 31, v137
	v_mfma_f32_16x16x16_bf16 a[12:15], v[142:143], v[20:21], a[12:15]
	v_mul_lo_u32 v20, v18, s10
	v_mul_lo_u32 v21, v137, s11
	v_mad_u64_u32 v[18:19], s[28:29], v137, s10, 0
	v_add3_u32 v19, v19, v21, v20
	v_add_u32_e32 v20, 1, v137
	v_ashrrev_i32_e32 v21, 31, v20
	s_waitcnt lgkmcnt(3)
	v_mfma_f32_16x16x16_bf16 a[0:3], v[144:145], v[22:23], a[0:3]
	v_mul_lo_u32 v22, v21, s10
	v_mul_lo_u32 v23, v20, s11
	v_mad_u64_u32 v[20:21], s[28:29], v20, s10, 0
	v_add3_u32 v21, v21, v23, v22
	v_add_u32_e32 v22, 2, v137
	v_ashrrev_i32_e32 v23, 31, v22
	s_waitcnt lgkmcnt(2)
	v_mfma_f32_16x16x16_bf16 a[4:7], v[144:145], v[26:27], a[4:7]
	v_mul_lo_u32 v26, v23, s10
	v_mul_lo_u32 v27, v22, s11
	v_mad_u64_u32 v[22:23], s[28:29], v22, s10, 0
	v_lshl_add_u64 v[18:19], v[18:19], 2, s[42:43]
	v_lshl_add_u64 v[20:21], v[20:21], 2, s[42:43]
	v_add3_u32 v23, v23, v27, v26
	v_add_u32_e32 v26, 3, v137
	s_waitcnt lgkmcnt(1)
	v_mfma_f32_16x16x16_bf16 a[8:11], v[144:145], v[30:31], a[8:11]
	global_load_dword v31, v[18:19], off
	global_load_dword v137, v[20:21], off
	v_mad_u64_u32 v[18:19], s[28:29], v26, s10, 0
	v_ashrrev_i32_e32 v27, 31, v26
	s_ashr_i32 s29, s57, 31
	v_mul_lo_u32 v27, v27, s10
	v_mul_lo_u32 v30, v26, s11
	s_add_u32 s28, s54, s57
	v_lshl_add_u64 v[22:23], v[22:23], 2, s[42:43]
	v_add3_u32 v19, v19, v30, v27
	s_addc_u32 s29, s53, s29
	s_waitcnt lgkmcnt(0)
	v_mfma_f32_16x16x16_bf16 a[12:15], v[144:145], v[138:139], a[12:15]
	v_lshl_add_u64 v[18:19], v[18:19], 2, s[42:43]
	global_load_dword v30, v[22:23], off
	global_load_dword v138, v[18:19], off
	s_lshl_b64 s[28:29], s[28:29], 8
	v_lshl_add_u64 v[18:19], v[68:69], 0, s[28:29]
	v_lshl_add_u64 v[18:19], v[18:19], 0, v[66:67]
	global_load_ushort v139, v[18:19], off offset:256
	global_load_ushort v142, v[18:19], off
	global_load_ushort v143, v[18:19], off offset:768
	global_load_ushort v144, v[18:19], off offset:512
	;; [unrolled: 1-line block ×6, first 2 shown]
	s_load_dword s44, s[44:45], 0x0
	v_mfma_f32_16x16x16_bf16 a[12:15], v[146:147], v[140:141], a[12:15]
	global_load_ushort v140, v[18:19], off offset:320
	global_load_ushort v141, v[18:19], off offset:64
	s_and_b64 vcc, exec, s[0:1]
	v_mfma_f32_16x16x16_bf16 a[0:3], v[146:147], v[24:25], a[0:3]
	ds_read_b64 v[20:21], v112 offset:6144
	ds_read_b64 v[22:23], v113 offset:6144
	;; [unrolled: 1-line block ×4, first 2 shown]
	v_mfma_f32_16x16x16_bf16 a[4:7], v[146:147], v[28:29], a[4:7]
	s_waitcnt vmcnt(11) lgkmcnt(0)
	v_sub_f32_e32 v28, s44, v30
	v_mfma_f32_16x16x16_bf16 a[8:11], v[146:147], v[32:33], a[8:11]
	global_load_ushort v146, v[18:19], off offset:832
	global_load_ushort v147, v[18:19], off offset:576
	;; [unrolled: 1-line block ×6, first 2 shown]
	v_mfma_f32_16x16x16_bf16 a[0:3], v[148:149], v[20:21], a[0:3]
	s_waitcnt vmcnt(16)
	v_sub_f32_e32 v29, s44, v138
	v_mul_f32_e32 v28, 0x3fb8aa3b, v28
	v_mul_f32_e32 v29, 0x3fb8aa3b, v29
	v_exp_f32_e32 v28, v28
	v_exp_f32_e32 v29, v29
	s_waitcnt vmcnt(15)
	v_lshlrev_b32_e32 v33, 16, v139
	s_waitcnt vmcnt(14)
	v_lshlrev_b32_e32 v32, 16, v142
	v_accvgpr_read_b32 v21, a3
	v_accvgpr_read_b32 v20, a2
	v_mfma_f32_16x16x16_bf16 a[2:5], v[148:149], v[22:23], a[4:7]
	v_accvgpr_read_b32 v139, a1
	v_accvgpr_read_b32 v138, a0
	v_pk_add_f32 v[32:33], v[32:33], v[138:139] neg_lo:[0,1] neg_hi:[0,1]
	v_mfma_f32_16x16x16_bf16 a[6:9], v[148:149], v[24:25], a[8:11]
	s_waitcnt vmcnt(13)
	v_lshlrev_b32_e32 v139, 16, v143
	s_waitcnt vmcnt(12)
	v_lshlrev_b32_e32 v138, 16, v144
	v_pk_add_f32 v[20:21], v[138:139], v[20:21] neg_lo:[0,1] neg_hi:[0,1]
	v_accvgpr_read_b32 v139, a3
	v_accvgpr_read_b32 v138, a2
	;; [unrolled: 1-line block ×6, first 2 shown]
	v_mfma_f32_16x16x16_bf16 a[8:11], v[148:149], v[26:27], a[12:15]
	v_sub_f32_e32 v26, s44, v31
	v_sub_f32_e32 v27, s44, v137
	v_mul_f32_e32 v26, 0x3fb8aa3b, v26
	v_mul_f32_e32 v27, 0x3fb8aa3b, v27
	v_exp_f32_e32 v26, v26
	v_exp_f32_e32 v27, v27
	v_lshl_add_u64 v[30:31], v[70:71], 0, s[28:29]
	v_lshl_add_u64 v[30:31], v[30:31], 0, v[66:67]
	global_store_short_d16_hi v[30:31], v32, off
	global_store_short_d16_hi v[30:31], v33, off offset:256
	global_store_short_d16_hi v[30:31], v20, off offset:512
	global_store_short_d16_hi v[30:31], v21, off offset:768
	v_pk_mul_f32 v[32:33], v[26:27], v[32:33]
	v_pk_mul_f32 v[20:21], v[28:29], v[20:21]
	v_accvgpr_read_b32 v25, a11
	v_perm_b32 v21, v21, v20, s3
	v_perm_b32 v20, v33, v32, s3
	s_waitcnt vmcnt(15)
	v_lshlrev_b32_e32 v33, 16, v145
	s_waitcnt vmcnt(14)
	v_lshlrev_b32_e32 v32, 16, v150
	v_pk_add_f32 v[32:33], v[32:33], v[138:139] neg_lo:[0,1] neg_hi:[0,1]
	s_waitcnt vmcnt(13)
	v_lshlrev_b32_e32 v139, 16, v151
	s_waitcnt vmcnt(12)
	v_lshlrev_b32_e32 v138, 16, v152
	v_pk_add_f32 v[22:23], v[138:139], v[22:23] neg_lo:[0,1] neg_hi:[0,1]
	global_store_short_d16_hi v[30:31], v32, off offset:32
	global_store_short_d16_hi v[30:31], v33, off offset:288
	;; [unrolled: 1-line block ×4, first 2 shown]
	v_pk_mul_f32 v[32:33], v[26:27], v[32:33]
	v_pk_mul_f32 v[22:23], v[28:29], v[22:23]
	v_accvgpr_read_b32 v24, a10
	v_perm_b32 v23, v23, v22, s3
	v_perm_b32 v22, v33, v32, s3
	ds_write2_b64 v89, v[20:21], v[22:23] offset1:16
	v_accvgpr_read_b32 v23, a7
	s_waitcnt vmcnt(15)
	v_lshlrev_b32_e32 v21, 16, v140
	s_waitcnt vmcnt(14)
	v_lshlrev_b32_e32 v20, 16, v141
	v_accvgpr_read_b32 v22, a6
	v_pk_add_f32 v[20:21], v[20:21], v[22:23] neg_lo:[0,1] neg_hi:[0,1]
	global_store_short_d16_hi v[30:31], v20, off offset:64
	global_store_short_d16_hi v[30:31], v21, off offset:320
	v_pk_mul_f32 v[20:21], v[26:27], v[20:21]
	v_mov_b32_e32 v137, 0
	v_perm_b32 v20, v21, v20, s3
	v_mov_b32_e32 v32, 0
	v_mov_b32_e32 v33, 0
	s_waitcnt vmcnt(15)
	v_lshlrev_b32_e32 v23, 16, v146
	s_waitcnt vmcnt(14)
	v_lshlrev_b32_e32 v22, 16, v147
	v_pk_add_f32 v[18:19], v[22:23], v[18:19] neg_lo:[0,1] neg_hi:[0,1]
	global_store_short_d16_hi v[30:31], v18, off offset:576
	global_store_short_d16_hi v[30:31], v19, off offset:832
	v_pk_mul_f32 v[18:19], v[28:29], v[18:19]
	v_accvgpr_read_b32 v23, a9
	v_perm_b32 v21, v19, v18, s3
	s_waitcnt vmcnt(15)
	v_lshlrev_b32_e32 v19, 16, v153
	s_waitcnt vmcnt(14)
	v_lshlrev_b32_e32 v18, 16, v154
	v_accvgpr_read_b32 v22, a8
	v_pk_add_f32 v[18:19], v[18:19], v[22:23] neg_lo:[0,1] neg_hi:[0,1]
	s_waitcnt vmcnt(13)
	v_lshlrev_b32_e32 v23, 16, v155
	s_waitcnt vmcnt(12)
	v_lshlrev_b32_e32 v22, 16, v156
	v_pk_add_f32 v[22:23], v[22:23], v[24:25] neg_lo:[0,1] neg_hi:[0,1]
	global_store_short_d16_hi v[30:31], v18, off offset:96
	global_store_short_d16_hi v[30:31], v19, off offset:352
	global_store_short_d16_hi v[30:31], v22, off offset:608
	global_store_short_d16_hi v[30:31], v23, off offset:864
	v_pk_mul_f32 v[18:19], v[26:27], v[18:19]
	v_pk_mul_f32 v[22:23], v[28:29], v[22:23]
	v_mov_b32_e32 v24, 0
	v_perm_b32 v23, v23, v22, s3
	v_perm_b32 v22, v19, v18, s3
	ds_write2_b64 v89, v[20:21], v[22:23] offset0:32 offset1:48
	v_mov_b32_e32 v18, 0
	v_mov_b32_e32 v19, 0
	;; [unrolled: 1-line block ×13, first 2 shown]
	s_cbranch_vccnz .LBB117_15
; %bb.14:                               ;   in Loop: Header=BB117_7 Depth=1
	s_and_b32 s37, s37, 0xffff
	s_mov_b32 s39, s31
	buffer_load_dwordx4 v[30:33], v126, s[36:39], 0 offen
	buffer_load_dwordx4 v[22:25], v126, s[36:39], s60 offen
	;; [unrolled: 1-line block ×4, first 2 shown]
	v_mov_b32_e32 v136, v83
	v_mov_b32_e32 v137, v82
.LBB117_15:                             ;   in Loop: Header=BB117_7 Depth=1
	s_waitcnt lgkmcnt(0)
	s_barrier
	ds_read_b64 v[146:147], v129
	ds_read2_b64 v[138:141], v119 offset1:16
	ds_read_b64 v[162:163], v130
	ds_read_b64 v[164:165], v131
	;; [unrolled: 1-line block ×3, first 2 shown]
	ds_read2_b64 v[142:145], v119 offset0:32 offset1:48
	s_waitcnt lgkmcnt(4)
	v_mfma_f32_16x16x16_bf16 a[0:3], v[146:147], v[138:139], 0
	ds_read2st64_b64 v[150:153], v121 offset0:4 offset1:8
	ds_read2st64_b64 v[154:157], v122 offset0:4 offset1:8
	;; [unrolled: 1-line block ×3, first 2 shown]
	v_mfma_f32_16x16x16_bf16 a[4:7], v[146:147], v[140:141], 0
	s_add_i32 s28, s52, s63
	s_mul_hi_i32 s29, s28, s33
	s_mul_i32 s28, s28, s33
	s_waitcnt lgkmcnt(3)
	v_mfma_f32_16x16x16_bf16 a[8:11], v[146:147], v[142:143], 0
	s_add_u32 s28, s28, s47
	s_addc_u32 s29, s29, s58
	s_lshl_b64 s[28:29], s[28:29], 15
	v_mfma_f32_16x16x16_bf16 a[12:15], v[146:147], v[144:145], 0
	ds_read2st64_b64 v[146:149], v119 offset0:4 offset1:8
	s_waitcnt lgkmcnt(0)
	v_mfma_f32_16x16x16_bf16 a[0:3], v[162:163], v[146:147], a[0:3]
	v_mfma_f32_16x16x16_bf16 a[4:7], v[162:163], v[150:151], a[4:7]
	;; [unrolled: 1-line block ×8, first 2 shown]
	ds_read_b64 v[162:163], v119 offset:6144
	ds_read_b64 v[164:165], v120 offset:40960
	;; [unrolled: 1-line block ×8, first 2 shown]
	s_waitcnt lgkmcnt(5)
	v_mfma_f32_16x16x16_bf16 a[16:19], v[168:169], v[138:139], 0
	v_mfma_f32_16x16x16_bf16 a[20:23], v[168:169], v[140:141], 0
	ds_read2st64_b64 v[138:141], v116 offset1:8
	v_mfma_f32_16x16x16_bf16 a[24:27], v[168:169], v[142:143], 0
	v_mfma_f32_16x16x16_bf16 a[28:31], v[168:169], v[144:145], 0
	ds_read2st64_b64 v[142:145], v117 offset1:8
	v_mfma_f32_16x16x16_bf16 a[16:19], v[164:165], v[146:147], a[16:19]
	s_waitcnt lgkmcnt(1)
	v_mov_b32_e32 v146, v138
	v_mov_b32_e32 v147, v139
	v_mfma_f32_16x16x16_bf16 a[20:23], v[164:165], v[150:151], a[20:23]
	v_lshl_add_u64 v[150:151], v[72:73], 0, s[28:29]
	v_mfma_f32_16x16x16_bf16 a[24:27], v[164:165], v[154:155], a[24:27]
	v_mfma_f32_16x16x16_bf16 a[28:31], v[164:165], v[158:159], a[28:31]
	;; [unrolled: 1-line block ×3, first 2 shown]
	s_waitcnt lgkmcnt(0)
	v_mov_b32_e32 v148, v142
	v_mov_b32_e32 v149, v143
	;; [unrolled: 1-line block ×3, first 2 shown]
	v_mfma_f32_16x16x16_bf16 a[32:35], v[176:177], v[152:153], a[20:23]
	v_mov_b32_e32 v143, v141
	ds_read2st64_b64 v[138:141], v116 offset0:16 offset1:24
	global_store_dwordx4 v[150:151], v[146:149], off
	v_mfma_f32_16x16x16_bf16 a[24:27], v[176:177], v[156:157], a[24:27]
	ds_read2st64_b64 v[146:149], v117 offset0:16 offset1:24
	v_add_co_u32_e32 v152, vcc, s25, v150
	v_mfma_f32_16x16x16_bf16 a[28:31], v[176:177], v[160:161], a[28:31]
	s_nop 0
	v_addc_co_u32_e32 v153, vcc, 0, v151, vcc
	global_store_dwordx4 v[152:153], v[142:145], off offset:-4096
	v_mfma_f32_16x16x16_bf16 a[0:3], v[166:167], v[162:163], a[0:3]
	s_waitcnt lgkmcnt(1)
	v_mov_b32_e32 v142, v138
	v_add_co_u32_e32 v138, vcc, s64, v150
	v_mfma_f32_16x16x16_bf16 a[4:7], v[166:167], v[170:171], a[4:7]
	v_mov_b32_e32 v143, v139
	v_addc_co_u32_e32 v139, vcc, 0, v151, vcc
	v_mfma_f32_16x16x16_bf16 a[8:11], v[166:167], v[172:173], a[8:11]
	s_waitcnt lgkmcnt(0)
	v_mov_b32_e32 v144, v146
	v_mov_b32_e32 v145, v147
	;; [unrolled: 1-line block ×3, first 2 shown]
	v_mfma_f32_16x16x16_bf16 a[12:15], v[166:167], v[174:175], a[12:15]
	v_mov_b32_e32 v147, v141
	s_and_b64 vcc, exec, s[0:1]
	global_store_dwordx4 v[152:153], v[142:145], off
	v_mfma_f32_16x16x16_bf16 a[20:23], v[178:179], v[162:163], a[16:19]
	global_store_dwordx4 v[138:139], v[146:149], off
	v_mfma_f32_16x16x16_bf16 a[16:19], v[178:179], v[170:171], a[32:35]
	v_mfma_f32_16x16x16_bf16 a[24:27], v[178:179], v[172:173], a[24:27]
	;; [unrolled: 1-line block ×3, first 2 shown]
	s_cbranch_vccnz .LBB117_6
; %bb.16:                               ;   in Loop: Header=BB117_7 Depth=1
	v_lshrrev_b32_e32 v138, 3, v136
	v_and_b32_e32 v138, 6, v138
	v_xor_b32_e32 v137, v138, v137
	v_lshlrev_b32_e32 v137, 2, v137
	v_and_b32_e32 v136, 8, v136
	v_xor_b32_e32 v139, 0x440, v137
	v_cmp_eq_u32_e32 vcc, 0, v136
	s_barrier
	s_nop 0
	v_cndmask_b32_e32 v136, v139, v137, vcc
	v_lshl_or_b32 v136, v138, 10, v136
	s_waitcnt vmcnt(5)
	v_perm_b32 v137, v30, v26, s61
	s_waitcnt vmcnt(4)
	v_perm_b32 v138, v22, v18, s61
	ds_write2st64_b32 v136, v137, v138 offset0:128 offset1:160
	v_xor_b32_e32 v137, 8, v136
	v_perm_b32 v26, v30, v26, s62
	v_perm_b32 v18, v22, v18, s62
	v_add_u32_e32 v22, 0x80, v137
	ds_write2st64_b32 v22, v26, v18 offset0:128 offset1:160
	v_xor_b32_e32 v18, 16, v136
	v_perm_b32 v22, v31, v27, s61
	v_perm_b32 v26, v23, v19, s61
	ds_write2st64_b32 v18, v22, v26 offset0:129 offset1:161
	v_xor_b32_e32 v18, 24, v136
	v_perm_b32 v22, v31, v27, s62
	v_perm_b32 v19, v23, v19, s62
	v_add_u32_e32 v18, 0x80, v18
	ds_write2st64_b32 v18, v22, v19 offset0:129 offset1:161
	v_xor_b32_e32 v18, 32, v136
	v_perm_b32 v19, v32, v28, s61
	;; [unrolled: 9-line block ×3, first 2 shown]
	v_perm_b32 v20, v25, v21, s61
	ds_write2st64_b32 v18, v19, v20 offset0:131 offset1:163
	v_xor_b32_e32 v18, 56, v136
	v_perm_b32 v19, v33, v29, s62
	v_perm_b32 v20, v25, v21, s62
	v_add_u32_e32 v18, 0x80, v18
	ds_write2st64_b32 v18, v19, v20 offset0:131 offset1:163
	ds_write_b64 v135, v[14:15] offset:49152
	v_xor_b32_e32 v14, 8, v135
	ds_write_b64 v14, v[16:17] offset:49152
	ds_write_b64 v135, v[10:11] offset:57344
	;; [unrolled: 1-line block ×4, first 2 shown]
	v_xor_b32_e32 v6, 8, v134
	ds_write_b64 v6, v[8:9] offset:49152
	ds_write_b64 v134, v[2:3] offset:57344
	;; [unrolled: 1-line block ×3, first 2 shown]
	s_branch .LBB117_6
.LBB117_17:
	s_lshl_b32 s3, s51, 6
	s_sub_i32 s56, s56, s3
	s_cmp_gt_i32 s56, 0
	v_or_b32_e32 v18, s2, v78
	s_cbranch_scc1 .LBB117_19
; %bb.18:
	s_ashr_i32 s37, s47, 31
	v_or_b32_e32 v2, s2, v78
	s_cbranch_execz .LBB117_20
	s_branch .LBB117_100
.LBB117_19:
                                        ; implicit-def: $vgpr2
                                        ; implicit-def: $sgpr36_sgpr37
.LBB117_20:
	s_add_i32 s36, s3, s40
	s_ashr_i32 s3, s36, 31
	s_cmpk_lg_i32 s23, 0x80
	s_cselect_b64 s[42:43], -1, 0
	s_and_b64 vcc, exec, s[42:43]
	s_cbranch_vccz .LBB117_22
; %bb.21:
	s_mul_hi_i32 s0, s36, s22
	s_mul_i32 s1, s36, s22
	s_ashr_i32 s22, s55, 31
	s_add_u32 s44, s1, s55
	s_addc_u32 s45, s0, s22
	s_cbranch_execz .LBB117_23
	s_branch .LBB117_24
.LBB117_22:
                                        ; implicit-def: $sgpr44_sgpr45
.LBB117_23:
	s_mul_i32 s1, s55, s20
	s_mul_hi_i32 s0, s55, s20
	s_add_u32 s44, s1, s36
	s_addc_u32 s45, s0, s3
.LBB117_24:
	s_add_i32 s20, s51, s52
	s_ashr_i32 s37, s47, 31
	s_add_u32 s0, s54, s36
	v_lshlrev_b32_e32 v6, 6, v1
	v_lshlrev_b32_e32 v26, 2, v78
	s_addc_u32 s1, s53, s3
	s_mov_b32 s3, 0x7060302
	v_or_b32_e32 v9, v6, v26
	v_xor_b32_e32 v7, v1, v26
	v_perm_b32 v3, v65, v64, s3
	v_perm_b32 v2, v63, v62, s3
	;; [unrolled: 1-line block ×4, first 2 shown]
	v_lshlrev_b32_e32 v9, 1, v9
	v_xor_b32_e32 v8, v81, v26
	ds_write2st64_b64 v9, v[2:3], v[4:5] offset0:32 offset1:48
	v_lshlrev_b32_e32 v7, 1, v7
	v_lshlrev_b32_e32 v9, 8, v78
	v_or_b32_e32 v10, v7, v9
	v_lshlrev_b32_e32 v8, 1, v8
	ds_write_b64 v10, v[2:3]
	v_or_b32_e32 v2, v8, v9
	v_or_b32_e32 v9, 16, v78
	v_lshlrev_b32_e32 v25, 2, v9
	v_or_b32_e32 v10, v6, v25
	ds_write_b64 v2, v[4:5]
	v_perm_b32 v3, v57, v56, s3
	v_perm_b32 v2, v55, v54, s3
	v_perm_b32 v5, v53, v52, s3
	v_perm_b32 v4, v51, v50, s3
	v_lshlrev_b32_e32 v10, 1, v10
	v_lshlrev_b32_e32 v9, 8, v9
	ds_write2st64_b64 v10, v[2:3], v[4:5] offset0:32 offset1:48
	v_or_b32_e32 v10, v7, v9
	ds_write_b64 v10, v[2:3]
	v_or_b32_e32 v2, v8, v9
	v_or_b32_e32 v9, 32, v78
	v_lshlrev_b32_e32 v24, 2, v9
	v_or_b32_e32 v10, v6, v24
	ds_write_b64 v2, v[4:5]
	v_perm_b32 v3, v49, v48, s3
	v_perm_b32 v2, v47, v46, s3
	;; [unrolled: 1-line block ×4, first 2 shown]
	v_lshlrev_b32_e32 v10, 1, v10
	v_lshlrev_b32_e32 v9, 8, v9
	s_lshl_b64 s[38:39], s[0:1], 8
	ds_write2st64_b64 v10, v[2:3], v[4:5] offset0:32 offset1:48
	v_or_b32_e32 v10, v7, v9
	s_add_u32 s0, s14, s38
	ds_write_b64 v10, v[2:3]
	v_or_b32_e32 v2, v8, v9
	s_addc_u32 s1, s15, s39
	ds_write_b64 v2, v[4:5]
	v_perm_b32 v3, v41, v40, s3
	v_perm_b32 v2, v39, v38, s3
	;; [unrolled: 1-line block ×4, first 2 shown]
	v_or_b32_e32 v9, 48, v78
	s_mul_hi_i32 s3, s20, s21
	s_mul_i32 s20, s20, s21
	v_lshlrev_b32_e32 v21, 2, v9
	s_add_u32 s14, s20, s47
	v_or_b32_e32 v6, v6, v21
	s_addc_u32 s15, s3, s37
	v_lshlrev_b32_e32 v6, 1, v6
	s_ashr_i32 s3, s2, 31
	s_lshl_b64 s[14:15], s[14:15], 15
	ds_write2st64_b64 v6, v[2:3], v[4:5] offset0:32 offset1:48
	v_lshlrev_b32_e32 v6, 8, v9
	s_add_u32 s4, s4, s14
	v_or_b32_e32 v7, v7, v6
	s_addc_u32 s5, s5, s15
	s_lshl_b64 s[2:3], s[2:3], 8
	ds_write_b64 v7, v[2:3]
	v_or_b32_e32 v2, v8, v6
	s_add_u32 s2, s4, s2
	v_lshlrev_b32_e32 v3, 1, v78
	ds_write_b64 v2, v[4:5]
	v_lshrrev_b32_e32 v2, 4, v0
	s_addc_u32 s3, s5, s3
	v_or_b32_e32 v4, 1, v3
	v_lshlrev_b32_e32 v10, 4, v78
	v_mov_b32_e32 v11, 0
	v_xor_b32_e32 v3, v2, v3
	v_xor_b32_e32 v6, v4, v2
	v_lshl_add_u64 v[12:13], s[2:3], 0, v[10:11]
	v_lshlrev_b32_e32 v10, 8, v2
	v_lshl_or_b32 v16, v3, 3, v10
	v_lshl_or_b32 v17, v6, 3, v10
	s_waitcnt lgkmcnt(0)
	s_barrier
	ds_read2st64_b64 v[2:5], v16 offset1:8
	ds_read2st64_b64 v[6:9], v17 offset1:8
	v_lshl_add_u64 v[14:15], v[12:13], 0, v[10:11]
	s_movk_i32 s2, 0x2000
	s_cmp_lg_u32 s56, 64
	s_waitcnt lgkmcnt(1)
	v_mov_b32_e32 v10, v2
	v_mov_b32_e32 v11, v3
	s_waitcnt lgkmcnt(0)
	v_mov_b32_e32 v12, v6
	v_mov_b32_e32 v13, v7
	global_store_dwordx4 v[14:15], v[10:13], off
	v_mov_b32_e32 v6, v4
	v_mov_b32_e32 v7, v5
	ds_read2st64_b64 v[2:5], v16 offset0:16 offset1:24
	ds_read2st64_b64 v[10:13], v17 offset0:16 offset1:24
	v_add_co_u32_e32 v16, vcc, s2, v14
	s_cselect_b64 s[4:5], -1, 0
	s_nop 0
	v_addc_co_u32_e32 v17, vcc, 0, v15, vcc
	global_store_dwordx4 v[16:17], v[6:9], off offset:-4096
	v_lshl_or_b32 v19, v74, 3, v80
	s_mov_b32 s28, 0
	s_waitcnt lgkmcnt(1)
	v_mov_b32_e32 v6, v2
	v_add_co_u32_e32 v2, vcc, 0x3000, v14
	v_mov_b32_e32 v7, v3
	s_nop 0
	v_addc_co_u32_e32 v3, vcc, 0, v15, vcc
	s_waitcnt lgkmcnt(0)
	v_mov_b32_e32 v8, v10
	v_mov_b32_e32 v9, v11
	;; [unrolled: 1-line block ×4, first 2 shown]
	v_or_b32_e32 v22, 32, v19
	v_and_b32_e32 v20, 56, v79
	s_and_b64 vcc, exec, s[4:5]
	global_store_dwordx4 v[16:17], v[6:9], off
	global_store_dwordx4 v[2:3], v[10:13], off
	s_cbranch_vccz .LBB117_30
; %bb.25:
	s_mov_b32 s29, s28
	s_mov_b32 s30, s28
	;; [unrolled: 1-line block ×3, first 2 shown]
	v_mov_b64_e32 v[6:7], s[28:29]
	v_mov_b64_e32 v[8:9], s[30:31]
	v_mov_b64_e32 v[2:3], v[6:7]
	v_cmp_gt_i32_e32 vcc, s56, v19
	v_mov_b64_e32 v[4:5], v[8:9]
	s_and_saveexec_b64 s[2:3], vcc
	s_cbranch_execz .LBB117_27
; %bb.26:
	v_lshlrev_b32_e32 v2, 8, v19
	v_mov_b32_e32 v3, 0
	v_lshl_add_u64 v[4:5], s[0:1], 0, v[2:3]
	v_lshlrev_b32_e32 v2, 1, v20
	v_lshl_add_u64 v[10:11], v[4:5], 0, v[2:3]
	global_load_dwordx4 v[6:9], v[10:11], off
	global_load_dwordx4 v[2:5], v[10:11], off offset:128
.LBB117_27:
	s_or_b64 exec, exec, s[2:3]
	s_mov_b32 s29, s28
	s_mov_b32 s30, s28
	s_mov_b32 s31, s28
	v_mov_b64_e32 v[14:15], s[28:29]
	v_mov_b64_e32 v[16:17], s[30:31]
	;; [unrolled: 1-line block ×3, first 2 shown]
	v_cmp_gt_i32_e32 vcc, s56, v22
	v_lshlrev_b32_e32 v23, 7, v22
	v_mov_b64_e32 v[12:13], v[16:17]
	s_and_saveexec_b64 s[2:3], vcc
	s_cbranch_execz .LBB117_29
; %bb.28:
	v_lshlrev_b32_e32 v10, 1, v23
	v_mov_b32_e32 v11, 0
	v_lshl_add_u64 v[12:13], s[0:1], 0, v[10:11]
	v_lshlrev_b32_e32 v10, 1, v20
	v_lshl_add_u64 v[28:29], v[12:13], 0, v[10:11]
	global_load_dwordx4 v[14:17], v[28:29], off
	global_load_dwordx4 v[10:13], v[28:29], off offset:128
.LBB117_29:
	s_or_b64 exec, exec, s[2:3]
	v_lshrrev_b32_e32 v27, 3, v20
	v_lshlrev_b32_e32 v28, 3, v19
	v_or_b32_e32 v27, v28, v27
	v_lshlrev_b32_e32 v27, 4, v27
	v_and_b32_e32 v28, 0x78, v28
	v_xor_b32_e32 v27, v27, v28
	s_branch .LBB117_32
.LBB117_30:
                                        ; implicit-def: $vgpr27
                                        ; implicit-def: $vgpr23
                                        ; implicit-def: $vgpr6_vgpr7_vgpr8_vgpr9
                                        ; implicit-def: $vgpr2_vgpr3_vgpr4_vgpr5
                                        ; implicit-def: $vgpr14_vgpr15_vgpr16_vgpr17
                                        ; implicit-def: $vgpr10_vgpr11_vgpr12_vgpr13
	s_cbranch_execz .LBB117_32
; %bb.31:
	s_waitcnt vmcnt(0)
	v_lshlrev_b32_e32 v2, 1, v20
	v_lshl_or_b32 v23, v19, 8, v2
	s_and_b32 s1, s1, 0xffff
	s_mov_b32 s3, 0x20000
	s_movk_i32 s2, 0x4000
	v_lshl_or_b32 v27, v22, 8, v2
	s_movk_i32 s14, 0x80
	buffer_load_dwordx4 v[6:9], v23, s[0:3], 0 offen
	buffer_load_dwordx4 v[2:5], v23, s[0:3], s14 offen
	;; [unrolled: 1-line block ×4, first 2 shown]
	v_lshrrev_b32_e32 v23, 3, v20
	v_lshlrev_b32_e32 v27, 3, v19
	v_or_b32_e32 v23, v27, v23
	v_lshlrev_b32_e32 v23, 4, v23
	v_and_b32_e32 v27, 0x78, v27
	v_xor_b32_e32 v27, v23, v27
	v_lshlrev_b32_e32 v23, 7, v22
.LBB117_32:
	s_movk_i32 s0, 0x1000
	v_and_or_b32 v22, v23, s0, v27
	s_waitcnt vmcnt(1)
	ds_write_b64 v27, v[6:7] offset:49152
	v_xor_b32_e32 v6, 8, v27
	ds_write_b64 v6, v[8:9] offset:49152
	s_waitcnt vmcnt(0)
	ds_write_b64 v27, v[2:3] offset:57344
	ds_write_b64 v6, v[4:5] offset:57344
	ds_write_b64 v22, v[14:15] offset:49152
	v_xor_b32_e32 v2, 8, v22
	ds_write_b64 v2, v[16:17] offset:49152
	ds_write_b64 v22, v[10:11] offset:57344
	;; [unrolled: 1-line block ×3, first 2 shown]
	v_or_b32_e32 v2, v75, v78
	v_lshlrev_b32_e32 v2, 3, v2
	v_lshrrev_b32_e32 v3, 5, v76
	s_movk_i32 s0, 0xf8
	v_and_or_b32 v3, v2, s0, v3
	v_lshlrev_b32_e32 v7, 4, v3
	v_lshlrev_b32_e32 v27, 11, v74
	v_and_b32_e32 v8, 0x78, v2
	v_or_b32_e32 v10, 32, v7
	v_and_b32_e32 v6, 0x1000, v27
	v_lshrrev_b32_e32 v3, 1, v76
	v_xor_b32_e32 v10, v10, v8
	v_xor_b32_e32 v2, v7, v8
	v_and_b32_e32 v9, 8, v3
	v_or_b32_e32 v10, v10, v6
	v_or_b32_e32 v2, v2, v6
	v_xor_b32_e32 v33, v10, v9
	v_or_b32_e32 v10, 64, v7
	v_xor_b32_e32 v32, v2, v9
	v_xor_b32_e32 v10, v10, v8
	s_waitcnt lgkmcnt(0)
	s_barrier
	v_or_b32_e32 v13, v10, v6
	ds_read_b64 v[10:11], v32 offset:49152
	v_lshl_or_b32 v14, v77, 8, v26
	v_lshlrev_b32_e32 v28, 1, v14
	v_add_u32_e32 v12, 0x4000, v28
	ds_read2_b64 v[2:5], v12 offset1:16
	v_or_b32_e32 v7, 0x60, v7
	v_xor_b32_e32 v7, v7, v8
	v_or_b32_e32 v6, v7, v6
	v_xor_b32_e32 v66, v13, v9
	v_xor_b32_e32 v67, v6, v9
	ds_read_b64 v[22:23], v33 offset:49152
	ds_read_b64 v[68:69], v66 offset:49152
	;; [unrolled: 1-line block ×3, first 2 shown]
	s_waitcnt lgkmcnt(3)
	v_mfma_f32_16x16x16_bf16 a[0:3], v[10:11], v[2:3], 0
	ds_read2_b64 v[6:9], v12 offset0:32 offset1:48
	s_lshl_b64 s[0:1], s[44:45], 8
	s_add_u32 s12, s12, s0
	v_mfma_f32_16x16x16_bf16 a[4:7], v[10:11], v[4:5], 0
	ds_read2st64_b64 v[2:5], v28 offset0:36 offset1:40
	s_addc_u32 s13, s13, s1
	s_add_i32 s2, s41, -1
	s_waitcnt lgkmcnt(1)
	v_mfma_f32_16x16x16_bf16 a[8:11], v[10:11], v[6:7], 0
	v_or_b32_e32 v6, 64, v14
	v_lshlrev_b32_e32 v29, 1, v6
	s_add_i32 s0, s49, s48
	s_waitcnt lgkmcnt(0)
	v_mfma_f32_16x16x16_bf16 a[0:3], v[22:23], v[2:3], a[0:3]
	v_or_b32_e32 v2, 0x80, v14
	v_lshlrev_b32_e32 v30, 1, v2
	v_or_b32_e32 v2, 0xc0, v14
	v_mfma_f32_16x16x16_bf16 a[12:15], v[10:11], v[8:9], 0
	ds_read2st64_b64 v[6:9], v29 offset0:36 offset1:40
	v_lshlrev_b32_e32 v31, 1, v2
	ds_read2st64_b64 v[10:13], v30 offset0:36 offset1:40
	ds_read2st64_b64 v[14:17], v31 offset0:36 offset1:40
	s_add_i32 s25, s0, s50
	s_mul_i32 s0, s47, s27
	s_mul_hi_u32 s1, s47, s26
	s_ashr_i32 s3, s2, 31
	s_mul_i32 s14, s2, s11
	s_mul_hi_u32 s15, s2, s10
	s_waitcnt lgkmcnt(2)
	v_mfma_f32_16x16x16_bf16 a[4:7], v[22:23], v[6:7], a[4:7]
	s_add_i32 s0, s1, s0
	s_mul_i32 s1, s37, s26
	s_add_i32 s14, s15, s14
	s_mul_i32 s3, s3, s10
	s_waitcnt lgkmcnt(1)
	v_mfma_f32_16x16x16_bf16 a[8:11], v[22:23], v[10:11], a[8:11]
	s_add_i32 s1, s0, s1
	s_add_i32 s3, s14, s3
	s_lshl_b64 s[14:15], s[24:25], 2
	s_waitcnt lgkmcnt(0)
	v_mfma_f32_16x16x16_bf16 a[12:15], v[22:23], v[14:15], a[12:15]
	s_mul_i32 s0, s47, s26
	s_add_u32 s14, s18, s14
	s_addc_u32 s15, s19, s15
	s_lshl_b64 s[0:1], s[0:1], 2
	v_mfma_f32_16x16x16_bf16 a[0:3], v[68:69], v[4:5], a[0:3]
	s_mul_i32 s2, s2, s10
	ds_read_b64 v[2:3], v28 offset:22528
	s_add_u32 s18, s14, s0
	v_mfma_f32_16x16x16_bf16 a[4:7], v[68:69], v[8:9], a[4:7]
	ds_read_b64 v[4:5], v29 offset:22528
	ds_read_b64 v[6:7], v30 offset:22528
	;; [unrolled: 1-line block ×3, first 2 shown]
	s_addc_u32 s19, s15, s1
	s_lshl_b64 s[0:1], s[2:3], 2
	v_mfma_f32_16x16x16_bf16 a[8:11], v[68:69], v[12:13], a[8:11]
	s_add_u32 s0, s18, s0
	s_addc_u32 s1, s19, s1
	s_load_dword s20, s[0:1], 0x0
	v_mfma_f32_16x16x16_bf16 a[12:15], v[68:69], v[16:17], a[12:15]
	s_and_b64 vcc, exec, s[42:43]
	s_waitcnt lgkmcnt(0)
	v_mfma_f32_16x16x16_bf16 a[0:3], v[70:71], v[2:3], a[0:3]
	v_mfma_f32_16x16x16_bf16 a[4:7], v[70:71], v[4:5], a[4:7]
	;; [unrolled: 1-line block ×4, first 2 shown]
	s_cbranch_vccz .LBB117_43
; %bb.33:
	v_lshlrev_b32_e32 v22, 1, v19
	s_and_b64 vcc, exec, s[4:5]
	s_cbranch_vccz .LBB117_44
; %bb.34:
	v_cmp_gt_i32_e32 vcc, s56, v22
	v_mov_b32_e32 v6, 0
	v_mov_b32_e32 v2, 0
	;; [unrolled: 1-line block ×5, first 2 shown]
	s_and_saveexec_b64 s[0:1], vcc
	s_cbranch_execz .LBB117_36
; %bb.35:
	v_mad_i64_i32 v[2:3], s[2:3], s23, v22, 0
	v_lshl_add_u64 v[2:3], v[2:3], 1, s[12:13]
	v_lshlrev_b32_e32 v4, 1, v20
	v_mov_b32_e32 v5, 0
	v_lshl_add_u64 v[2:3], v[2:3], 0, v[4:5]
	global_load_dwordx4 v[2:5], v[2:3], off
.LBB117_36:
	s_or_b64 exec, exec, s[0:1]
	v_or_b32_e32 v23, 1, v22
	v_cmp_gt_i32_e64 s[0:1], s56, v23
	v_mov_b32_e32 v7, 0
	v_mov_b32_e32 v8, 0
	v_mov_b32_e32 v9, 0
	s_and_saveexec_b64 s[2:3], s[0:1]
	s_cbranch_execz .LBB117_38
; %bb.37:
	v_mad_i64_i32 v[6:7], s[14:15], s23, v23, 0
	v_lshl_add_u64 v[6:7], v[6:7], 1, s[12:13]
	v_lshlrev_b32_e32 v8, 1, v20
	v_mov_b32_e32 v9, 0
	v_lshl_add_u64 v[6:7], v[6:7], 0, v[8:9]
	global_load_dwordx4 v[6:9], v[6:7], off
.LBB117_38:
	s_or_b64 exec, exec, s[2:3]
	v_mov_b32_e32 v17, 0
	v_mov_b32_e32 v10, 0
	;; [unrolled: 1-line block ×5, first 2 shown]
	s_and_saveexec_b64 s[2:3], vcc
	s_cbranch_execz .LBB117_40
; %bb.39:
	v_mad_i64_i32 v[10:11], s[14:15], s23, v22, 0
	v_lshl_add_u64 v[10:11], v[10:11], 1, s[12:13]
	v_lshlrev_b32_e32 v12, 1, v20
	v_mov_b32_e32 v13, 0
	v_lshl_add_u64 v[10:11], v[10:11], 0, v[12:13]
	global_load_dwordx4 v[10:13], v[10:11], off offset:128
.LBB117_40:
	s_or_b64 exec, exec, s[2:3]
	v_mov_b32_e32 v16, 0
	v_mov_b32_e32 v15, 0
	;; [unrolled: 1-line block ×3, first 2 shown]
	s_and_saveexec_b64 s[2:3], s[0:1]
	s_cbranch_execz .LBB117_42
; %bb.41:
	v_mad_i64_i32 v[14:15], s[0:1], s23, v23, 0
	v_lshl_add_u64 v[14:15], v[14:15], 1, s[12:13]
	v_lshlrev_b32_e32 v16, 1, v20
	v_mov_b32_e32 v17, 0
	v_lshl_add_u64 v[14:15], v[14:15], 0, v[16:17]
	global_load_dwordx4 v[14:17], v[14:15], off offset:128
.LBB117_42:
	s_or_b64 exec, exec, s[2:3]
	s_branch .LBB117_46
.LBB117_43:
                                        ; implicit-def: $vgpr5
                                        ; implicit-def: $vgpr9
                                        ; implicit-def: $vgpr13
                                        ; implicit-def: $vgpr17
	v_lshrrev_b32_e32 v68, 2, v76
	s_branch .LBB117_47
.LBB117_44:
                                        ; implicit-def: $vgpr5
                                        ; implicit-def: $vgpr9
                                        ; implicit-def: $vgpr13
                                        ; implicit-def: $vgpr17
	s_cbranch_execz .LBB117_46
; %bb.45:
	s_waitcnt vmcnt(0)
	v_mad_u64_u32 v[2:3], s[0:1], v22, s23, v[20:21]
	v_lshlrev_b32_e32 v22, 1, v2
	s_lshl_b32 s2, s23, 7
	s_and_b32 s1, s13, 0xffff
	s_mov_b32 s3, 0x20000
	s_mov_b32 s0, s12
	v_add_lshl_u32 v23, v2, s23, 1
	s_movk_i32 s14, 0x80
	buffer_load_dwordx4 v[2:5], v22, s[0:3], 0 offen
	buffer_load_dwordx4 v[10:13], v22, s[0:3], s14 offen
	;; [unrolled: 1-line block ×4, first 2 shown]
.LBB117_46:
	v_lshrrev_b32_e32 v68, 2, v76
	s_cbranch_execnz .LBB117_59
.LBB117_47:
	s_and_b64 vcc, exec, s[4:5]
	s_cbranch_vccz .LBB117_57
; %bb.48:
	s_waitcnt vmcnt(0)
	v_lshlrev_b32_e32 v7, 1, v19
	v_cmp_gt_i32_e32 vcc, s56, v7
	v_mov_b32_e32 v6, 0
	v_lshlrev_b32_e32 v14, 9, v19
	v_mov_b32_e32 v2, 0
	v_mov_b32_e32 v3, 0
	;; [unrolled: 1-line block ×4, first 2 shown]
	s_and_saveexec_b64 s[0:1], vcc
	s_cbranch_execz .LBB117_50
; %bb.49:
	v_mov_b32_e32 v15, 0
	v_lshl_add_u64 v[2:3], s[12:13], 0, v[14:15]
	v_lshlrev_b32_e32 v4, 1, v20
	v_mov_b32_e32 v5, v15
	v_lshl_add_u64 v[2:3], v[2:3], 0, v[4:5]
	global_load_dwordx4 v[2:5], v[2:3], off
.LBB117_50:
	s_or_b64 exec, exec, s[0:1]
	v_or_b32_e32 v7, 1, v7
	v_cmp_gt_i32_e64 s[0:1], s56, v7
	v_lshlrev_b32_e32 v22, 8, v7
	v_mov_b32_e32 v7, 0
	v_mov_b32_e32 v8, 0
	;; [unrolled: 1-line block ×3, first 2 shown]
	s_and_saveexec_b64 s[2:3], s[0:1]
	s_cbranch_execz .LBB117_52
; %bb.51:
	v_mov_b32_e32 v23, 0
	v_lshl_add_u64 v[6:7], s[12:13], 0, v[22:23]
	v_lshlrev_b32_e32 v8, 1, v20
	v_mov_b32_e32 v9, v23
	v_lshl_add_u64 v[6:7], v[6:7], 0, v[8:9]
	global_load_dwordx4 v[6:9], v[6:7], off
.LBB117_52:
	s_or_b64 exec, exec, s[2:3]
	v_mov_b32_e32 v17, 0
	v_mov_b32_e32 v10, 0
	;; [unrolled: 1-line block ×5, first 2 shown]
	s_and_saveexec_b64 s[2:3], vcc
	s_cbranch_execz .LBB117_54
; %bb.53:
	v_mov_b32_e32 v15, 0
	v_lshl_add_u64 v[10:11], s[12:13], 0, v[14:15]
	v_lshlrev_b32_e32 v14, 1, v20
	v_lshl_add_u64 v[10:11], v[10:11], 0, v[14:15]
	global_load_dwordx4 v[10:13], v[10:11], off offset:128
.LBB117_54:
	s_or_b64 exec, exec, s[2:3]
	v_mov_b32_e32 v16, 0
	v_mov_b32_e32 v15, 0
	;; [unrolled: 1-line block ×3, first 2 shown]
	s_and_saveexec_b64 s[2:3], s[0:1]
	s_cbranch_execz .LBB117_56
; %bb.55:
	v_mov_b32_e32 v23, 0
	v_lshl_add_u64 v[14:15], s[12:13], 0, v[22:23]
	v_lshlrev_b32_e32 v22, 1, v20
	v_lshl_add_u64 v[14:15], v[14:15], 0, v[22:23]
	global_load_dwordx4 v[14:17], v[14:15], off offset:128
.LBB117_56:
	s_or_b64 exec, exec, s[2:3]
	s_branch .LBB117_59
.LBB117_57:
                                        ; implicit-def: $vgpr5
                                        ; implicit-def: $vgpr9
                                        ; implicit-def: $vgpr13
                                        ; implicit-def: $vgpr17
	s_cbranch_execz .LBB117_59
; %bb.58:
	s_waitcnt vmcnt(0)
	v_lshlrev_b32_e32 v2, 1, v20
	v_lshl_or_b32 v20, v19, 9, v2
	s_and_b32 s13, s13, 0xffff
	s_mov_b32 s15, 0x20000
	s_movk_i32 s14, 0x4000
	s_movk_i32 s0, 0x80
	buffer_load_dwordx4 v[2:5], v20, s[12:15], 0 offen
	buffer_load_dwordx4 v[6:9], v20, s[12:15], 0 offen offset:256
	buffer_load_dwordx4 v[10:13], v20, s[12:15], s0 offen
	buffer_load_dwordx4 v[14:17], v20, s[12:15], s0 offen offset:256
.LBB117_59:
	ds_read_b64 v[22:23], v32 offset:57344
	v_add_u32_e32 v20, 0x6000, v28
	ds_read2_b64 v[70:73], v20 offset1:16
	ds_read_b64 v[32:33], v33 offset:57344
	ds_read_b64 v[88:89], v66 offset:57344
	;; [unrolled: 1-line block ×3, first 2 shown]
	ds_read2st64_b64 v[76:79], v28 offset0:52 offset1:56
	v_and_b32_e32 v69, 1, v0
	v_cmp_eq_u32_e32 vcc, 0, v69
	s_mov_b32 s0, 0x1000504
	s_mov_b32 s1, 0x3020706
	s_waitcnt lgkmcnt(4)
	v_mfma_f32_16x16x16_bf16 a[0:3], v[22:23], v[70:71], a[0:3]
	v_mfma_f32_16x16x16_bf16 a[4:7], v[22:23], v[72:73], a[4:7]
	ds_read2_b64 v[70:73], v20 offset0:32 offset1:48
	v_and_b32_e32 v20, 6, v0
	v_xor_b32_e32 v19, v19, v20
	s_waitcnt lgkmcnt(0)
	v_mfma_f32_16x16x16_bf16 a[8:11], v[22:23], v[70:71], a[8:11]
	v_lshlrev_b32_e32 v19, 2, v19
	v_mfma_f32_16x16x16_bf16 a[12:15], v[22:23], v[72:73], a[12:15]
	ds_read2st64_b64 v[70:73], v29 offset0:52 offset1:56
	ds_read2st64_b64 v[80:83], v30 offset0:52 offset1:56
	;; [unrolled: 1-line block ×3, first 2 shown]
	s_waitcnt lgkmcnt(2)
	v_mfma_f32_16x16x16_bf16 a[4:7], v[32:33], v[70:71], a[4:7]
	v_xor_b32_e32 v70, 0x440, v19
	v_cndmask_b32_e32 v19, v70, v19, vcc
	v_lshl_or_b32 v19, v20, 10, v19
	v_mfma_f32_16x16x16_bf16 a[0:3], v[32:33], v[76:77], a[0:3]
	s_waitcnt vmcnt(0)
	v_perm_b32 v20, v2, v6, s0
	ds_read_b64 v[22:23], v28 offset:30720
	ds_read_b64 v[76:77], v29 offset:30720
	;; [unrolled: 1-line block ×4, first 2 shown]
	v_perm_b32 v2, v2, v6, s1
	s_waitcnt lgkmcnt(5)
	v_mfma_f32_16x16x16_bf16 a[8:11], v[32:33], v[80:81], a[8:11]
	v_perm_b32 v6, v10, v14, s1
	s_waitcnt lgkmcnt(4)
	v_mfma_f32_16x16x16_bf16 a[12:15], v[32:33], v[84:85], a[12:15]
	v_perm_b32 v32, v10, v14, s0
	ds_write2st64_b32 v19, v20, v32 offset0:128 offset1:160
	v_xor_b32_e32 v20, 8, v19
	v_add_u32_e32 v10, 0x80, v20
	ds_write2st64_b32 v10, v2, v6 offset0:128 offset1:160
	v_xor_b32_e32 v2, 16, v19
	v_perm_b32 v6, v3, v7, s0
	v_perm_b32 v10, v11, v15, s0
	v_mfma_f32_16x16x16_bf16 a[0:3], v[88:89], v[78:79], a[0:3]
	ds_write2st64_b32 v2, v6, v10 offset0:129 offset1:161
	v_xor_b32_e32 v2, 24, v19
	v_perm_b32 v3, v3, v7, s1
	v_mfma_f32_16x16x16_bf16 a[4:7], v[88:89], v[72:73], a[4:7]
	v_perm_b32 v6, v11, v15, s1
	v_add_u32_e32 v2, 0x80, v2
	ds_write2st64_b32 v2, v3, v6 offset0:129 offset1:161
	v_mfma_f32_16x16x16_bf16 a[16:19], v[88:89], v[82:83], a[8:11]
	v_xor_b32_e32 v2, 32, v19
	v_perm_b32 v3, v4, v8, s0
	v_perm_b32 v6, v12, v16, s0
	v_mfma_f32_16x16x16_bf16 a[20:23], v[88:89], v[86:87], a[12:15]
	ds_write2st64_b32 v2, v3, v6 offset0:130 offset1:162
	v_xor_b32_e32 v2, 40, v19
	v_perm_b32 v3, v4, v8, s1
	s_waitcnt lgkmcnt(8)
	v_mfma_f32_16x16x16_bf16 a[12:15], v[66:67], v[22:23], a[0:3]
	v_perm_b32 v4, v12, v16, s1
	v_add_u32_e32 v2, 0x80, v2
	ds_write2st64_b32 v2, v3, v4 offset0:130 offset1:162
	s_waitcnt lgkmcnt(8)
	v_mfma_f32_16x16x16_bf16 a[8:11], v[66:67], v[76:77], a[4:7]
	v_xor_b32_e32 v2, 48, v19
	v_perm_b32 v3, v5, v9, s0
	v_perm_b32 v4, v13, v17, s0
	s_waitcnt lgkmcnt(7)
	v_mfma_f32_16x16x16_bf16 a[4:7], v[66:67], v[90:91], a[16:19]
	ds_write2st64_b32 v2, v3, v4 offset0:131 offset1:163
	v_xor_b32_e32 v2, 56, v19
	v_and_or_b32 v33, v68, 12, v75
	s_waitcnt lgkmcnt(7)
	v_mfma_f32_16x16x16_bf16 a[0:3], v[66:67], v[92:93], a[20:23]
	v_perm_b32 v3, v5, v9, s1
	v_perm_b32 v4, v13, v17, s1
	v_add_u32_e32 v2, 0x80, v2
	v_cmp_gt_i32_e32 vcc, s56, v33
	v_mov_b32_e32 v22, 0
	v_mov_b32_e32 v23, 0
	ds_write2st64_b32 v2, v3, v4 offset0:131 offset1:163
	s_and_saveexec_b64 s[0:1], vcc
	s_cbranch_execz .LBB117_61
; %bb.60:
	v_add_u32_e32 v2, s36, v33
	v_ashrrev_i32_e32 v3, 31, v2
	v_mul_lo_u32 v4, v3, s10
	v_mul_lo_u32 v5, v2, s11
	v_mad_u64_u32 v[2:3], s[2:3], v2, s10, 0
	v_add3_u32 v3, v3, v5, v4
	v_lshl_add_u64 v[2:3], v[2:3], 2, s[18:19]
	global_load_dword v2, v[2:3], off
	s_waitcnt vmcnt(0)
	v_sub_f32_e32 v2, s20, v2
	v_mul_f32_e32 v2, 0x3fb8aa3b, v2
	v_exp_f32_e32 v23, v2
.LBB117_61:
	s_or_b64 exec, exec, s[0:1]
	v_or_b32_e32 v11, 1, v33
	v_cmp_gt_i32_e64 s[2:3], s56, v11
	s_and_saveexec_b64 s[0:1], s[2:3]
	s_cbranch_execz .LBB117_63
; %bb.62:
	v_add_u32_e32 v2, s36, v11
	v_ashrrev_i32_e32 v3, 31, v2
	v_mul_lo_u32 v4, v3, s10
	v_mul_lo_u32 v5, v2, s11
	v_mad_u64_u32 v[2:3], s[4:5], v2, s10, 0
	v_add3_u32 v3, v3, v5, v4
	v_lshl_add_u64 v[2:3], v[2:3], 2, s[18:19]
	global_load_dword v2, v[2:3], off
	s_waitcnt vmcnt(0)
	v_sub_f32_e32 v2, s20, v2
	v_mul_f32_e32 v2, 0x3fb8aa3b, v2
	v_exp_f32_e32 v22, v2
.LBB117_63:
	s_or_b64 exec, exec, s[0:1]
	v_or_b32_e32 v10, 2, v33
	v_cmp_gt_i32_e64 s[4:5], s56, v10
	v_mov_b32_e32 v20, 0
	v_mov_b32_e32 v32, 0
	s_and_saveexec_b64 s[0:1], s[4:5]
	s_cbranch_execz .LBB117_65
; %bb.64:
	v_add_u32_e32 v2, s36, v10
	v_ashrrev_i32_e32 v3, 31, v2
	v_mul_lo_u32 v4, v3, s10
	v_mul_lo_u32 v5, v2, s11
	v_mad_u64_u32 v[2:3], s[12:13], v2, s10, 0
	v_add3_u32 v3, v3, v5, v4
	v_lshl_add_u64 v[2:3], v[2:3], 2, s[18:19]
	global_load_dword v2, v[2:3], off
	s_waitcnt vmcnt(0)
	v_sub_f32_e32 v2, s20, v2
	v_mul_f32_e32 v2, 0x3fb8aa3b, v2
	v_exp_f32_e32 v32, v2
.LBB117_65:
	s_or_b64 exec, exec, s[0:1]
	v_or_b32_e32 v66, 3, v33
	v_cmp_gt_i32_e64 s[0:1], s56, v66
	s_and_saveexec_b64 s[12:13], s[0:1]
	s_cbranch_execz .LBB117_67
; %bb.66:
	v_add_u32_e32 v2, s36, v66
	v_ashrrev_i32_e32 v3, 31, v2
	v_mul_lo_u32 v4, v3, s10
	v_mul_lo_u32 v5, v2, s11
	v_mad_u64_u32 v[2:3], s[10:11], v2, s10, 0
	v_add3_u32 v3, v3, v5, v4
	v_lshl_add_u64 v[2:3], v[2:3], 2, s[18:19]
	global_load_dword v2, v[2:3], off
	s_waitcnt vmcnt(0)
	v_sub_f32_e32 v2, s20, v2
	v_mul_f32_e32 v2, 0x3fb8aa3b, v2
	v_exp_f32_e32 v20, v2
.LBB117_67:
	s_or_b64 exec, exec, s[12:13]
	s_add_u32 s10, s16, s38
	s_addc_u32 s11, s17, s39
	s_add_u32 s6, s6, s38
	v_ashrrev_i32_e32 v19, 31, v18
	v_accvgpr_read_b32 v2, a12
	s_addc_u32 s7, s7, s39
	v_lshlrev_b64 v[6:7], 1, v[18:19]
	v_accvgpr_read_b32 v3, a13
	v_accvgpr_read_b32 v4, a14
	;; [unrolled: 1-line block ×3, first 2 shown]
	v_lshl_add_u64 v[8:9], s[10:11], 0, v[6:7]
	v_lshl_add_u64 v[6:7], s[6:7], 0, v[6:7]
	v_mov_b32_e32 v15, 0
	v_lshlrev_b32_e32 v12, 8, v33
	v_mov_b32_e32 v13, 0
	s_and_saveexec_b64 s[6:7], vcc
	s_cbranch_execz .LBB117_69
; %bb.68:
	v_mov_b32_e32 v13, 0
	v_lshl_add_u64 v[16:17], v[8:9], 0, v[12:13]
	global_load_ushort v14, v[16:17], off
	v_lshl_add_u64 v[16:17], v[6:7], 0, v[12:13]
	s_waitcnt vmcnt(0)
	v_lshlrev_b32_e32 v13, 16, v14
	v_sub_f32_e32 v2, v13, v2
	global_store_short_d16_hi v[16:17], v2, off
	v_mul_f32_e32 v2, v23, v2
	v_lshrrev_b32_e32 v13, 16, v2
.LBB117_69:
	s_or_b64 exec, exec, s[6:7]
	v_lshlrev_b32_e32 v14, 8, v11
	s_and_saveexec_b64 s[6:7], s[2:3]
	s_cbranch_execz .LBB117_71
; %bb.70:
	v_mov_b32_e32 v15, 0
	v_lshl_add_u64 v[16:17], v[8:9], 0, v[14:15]
	global_load_ushort v2, v[16:17], off
	v_lshl_add_u64 v[16:17], v[6:7], 0, v[14:15]
	s_waitcnt vmcnt(0)
	v_lshlrev_b32_e32 v2, 16, v2
	v_sub_f32_e32 v2, v2, v3
	global_store_short_d16_hi v[16:17], v2, off
	v_mul_f32_e32 v2, v22, v2
	v_lshrrev_b32_e32 v15, 16, v2
.LBB117_71:
	s_or_b64 exec, exec, s[6:7]
	v_mov_b32_e32 v11, 0
	v_lshlrev_b32_e32 v16, 8, v10
	v_mov_b32_e32 v17, 0
	s_and_saveexec_b64 s[6:7], s[4:5]
	s_cbranch_execz .LBB117_73
; %bb.72:
	v_mov_b32_e32 v17, 0
	v_lshl_add_u64 v[2:3], v[8:9], 0, v[16:17]
	global_load_ushort v10, v[2:3], off
	v_lshl_add_u64 v[2:3], v[6:7], 0, v[16:17]
	s_waitcnt vmcnt(0)
	v_lshlrev_b32_e32 v10, 16, v10
	v_sub_f32_e32 v4, v10, v4
	global_store_short_d16_hi v[2:3], v4, off
	v_mul_f32_e32 v2, v32, v4
	v_lshrrev_b32_e32 v17, 16, v2
.LBB117_73:
	s_or_b64 exec, exec, s[6:7]
	v_lshlrev_b32_e32 v10, 8, v66
	s_and_saveexec_b64 s[6:7], s[0:1]
	s_cbranch_execz .LBB117_75
; %bb.74:
	v_mov_b32_e32 v11, 0
	v_lshl_add_u64 v[2:3], v[8:9], 0, v[10:11]
	global_load_ushort v4, v[2:3], off
	v_lshl_add_u64 v[2:3], v[6:7], 0, v[10:11]
	s_waitcnt vmcnt(0)
	v_lshlrev_b32_e32 v4, 16, v4
	v_sub_f32_e32 v4, v4, v5
	global_store_short_d16_hi v[2:3], v4, off
	v_mul_f32_e32 v2, v20, v4
	v_lshrrev_b32_e32 v11, 16, v2
.LBB117_75:
	s_or_b64 exec, exec, s[6:7]
	v_lshlrev_b32_e32 v19, 6, v33
	s_mov_b32 s6, 0x5040100
	v_accvgpr_read_b32 v2, a8
	v_perm_b32 v67, v11, v17, s6
	v_or_b32_e32 v11, v19, v26
	v_accvgpr_read_b32 v3, a9
	v_accvgpr_read_b32 v4, a10
	;; [unrolled: 1-line block ×3, first 2 shown]
	v_perm_b32 v66, v15, v13, s6
	v_lshlrev_b32_e32 v11, 1, v11
	v_mov_b32_e32 v15, 0
	v_mov_b32_e32 v13, 0
	ds_write_b64 v11, v[66:67] offset:24576
	s_and_saveexec_b64 s[6:7], vcc
	s_cbranch_execz .LBB117_77
; %bb.76:
	v_mov_b32_e32 v13, 0
	v_lshl_add_u64 v[66:67], v[8:9], 0, v[12:13]
	global_load_ushort v11, v[66:67], off offset:32
	v_lshl_add_u64 v[66:67], v[6:7], 0, v[12:13]
	s_waitcnt vmcnt(0)
	v_lshlrev_b32_e32 v11, 16, v11
	v_sub_f32_e32 v2, v11, v2
	global_store_short_d16_hi v[66:67], v2, off offset:32
	v_mul_f32_e32 v2, v23, v2
	v_lshrrev_b32_e32 v13, 16, v2
.LBB117_77:
	s_or_b64 exec, exec, s[6:7]
	s_and_saveexec_b64 s[6:7], s[2:3]
	s_cbranch_execz .LBB117_79
; %bb.78:
	v_mov_b32_e32 v15, 0
	v_lshl_add_u64 v[66:67], v[8:9], 0, v[14:15]
	global_load_ushort v2, v[66:67], off offset:32
	v_lshl_add_u64 v[66:67], v[6:7], 0, v[14:15]
	s_waitcnt vmcnt(0)
	v_lshlrev_b32_e32 v2, 16, v2
	v_sub_f32_e32 v2, v2, v3
	global_store_short_d16_hi v[66:67], v2, off offset:32
	v_mul_f32_e32 v2, v22, v2
	v_lshrrev_b32_e32 v15, 16, v2
.LBB117_79:
	s_or_b64 exec, exec, s[6:7]
	v_mov_b32_e32 v11, 0
	v_mov_b32_e32 v17, 0
	s_and_saveexec_b64 s[6:7], s[4:5]
	s_cbranch_execz .LBB117_81
; %bb.80:
	v_mov_b32_e32 v17, 0
	v_lshl_add_u64 v[2:3], v[8:9], 0, v[16:17]
	global_load_ushort v26, v[2:3], off offset:32
	v_lshl_add_u64 v[2:3], v[6:7], 0, v[16:17]
	s_waitcnt vmcnt(0)
	v_lshlrev_b32_e32 v17, 16, v26
	v_sub_f32_e32 v4, v17, v4
	global_store_short_d16_hi v[2:3], v4, off offset:32
	v_mul_f32_e32 v2, v32, v4
	v_lshrrev_b32_e32 v17, 16, v2
.LBB117_81:
	s_or_b64 exec, exec, s[6:7]
	s_and_saveexec_b64 s[6:7], s[0:1]
	s_cbranch_execz .LBB117_83
; %bb.82:
	v_mov_b32_e32 v11, 0
	v_lshl_add_u64 v[2:3], v[8:9], 0, v[10:11]
	global_load_ushort v4, v[2:3], off offset:32
	v_lshl_add_u64 v[2:3], v[6:7], 0, v[10:11]
	s_waitcnt vmcnt(0)
	v_lshlrev_b32_e32 v4, 16, v4
	v_sub_f32_e32 v4, v4, v5
	global_store_short_d16_hi v[2:3], v4, off offset:32
	v_mul_f32_e32 v2, v20, v4
	v_lshrrev_b32_e32 v11, 16, v2
.LBB117_83:
	s_or_b64 exec, exec, s[6:7]
	s_mov_b32 s6, 0x5040100
	v_accvgpr_read_b32 v2, a4
	v_perm_b32 v67, v11, v17, s6
	v_or_b32_e32 v11, v19, v25
	v_accvgpr_read_b32 v3, a5
	v_accvgpr_read_b32 v4, a6
	;; [unrolled: 1-line block ×3, first 2 shown]
	v_perm_b32 v66, v15, v13, s6
	v_lshlrev_b32_e32 v11, 1, v11
	v_mov_b32_e32 v15, 0
	v_mov_b32_e32 v13, 0
	ds_write_b64 v11, v[66:67] offset:24576
	s_and_saveexec_b64 s[6:7], vcc
	s_cbranch_execz .LBB117_85
; %bb.84:
	v_mov_b32_e32 v13, 0
	v_lshl_add_u64 v[66:67], v[8:9], 0, v[12:13]
	global_load_ushort v11, v[66:67], off offset:64
	v_lshl_add_u64 v[66:67], v[6:7], 0, v[12:13]
	s_waitcnt vmcnt(0)
	v_lshlrev_b32_e32 v11, 16, v11
	v_sub_f32_e32 v2, v11, v2
	global_store_short_d16_hi v[66:67], v2, off offset:64
	v_mul_f32_e32 v2, v23, v2
	v_lshrrev_b32_e32 v13, 16, v2
.LBB117_85:
	s_or_b64 exec, exec, s[6:7]
	s_and_saveexec_b64 s[6:7], s[2:3]
	s_cbranch_execz .LBB117_87
; %bb.86:
	v_mov_b32_e32 v15, 0
	v_lshl_add_u64 v[66:67], v[8:9], 0, v[14:15]
	global_load_ushort v2, v[66:67], off offset:64
	v_lshl_add_u64 v[66:67], v[6:7], 0, v[14:15]
	s_waitcnt vmcnt(0)
	v_lshlrev_b32_e32 v2, 16, v2
	v_sub_f32_e32 v2, v2, v3
	global_store_short_d16_hi v[66:67], v2, off offset:64
	v_mul_f32_e32 v2, v22, v2
	v_lshrrev_b32_e32 v15, 16, v2
.LBB117_87:
	s_or_b64 exec, exec, s[6:7]
	v_mov_b32_e32 v11, 0
	v_mov_b32_e32 v17, 0
	s_and_saveexec_b64 s[6:7], s[4:5]
	s_cbranch_execz .LBB117_89
; %bb.88:
	v_mov_b32_e32 v17, 0
	v_lshl_add_u64 v[2:3], v[8:9], 0, v[16:17]
	global_load_ushort v25, v[2:3], off offset:64
	v_lshl_add_u64 v[2:3], v[6:7], 0, v[16:17]
	s_waitcnt vmcnt(0)
	v_lshlrev_b32_e32 v17, 16, v25
	v_sub_f32_e32 v4, v17, v4
	global_store_short_d16_hi v[2:3], v4, off offset:64
	v_mul_f32_e32 v2, v32, v4
	v_lshrrev_b32_e32 v17, 16, v2
.LBB117_89:
	s_or_b64 exec, exec, s[6:7]
	s_and_saveexec_b64 s[6:7], s[0:1]
	s_cbranch_execz .LBB117_91
; %bb.90:
	v_mov_b32_e32 v11, 0
	v_lshl_add_u64 v[2:3], v[8:9], 0, v[10:11]
	global_load_ushort v4, v[2:3], off offset:64
	v_lshl_add_u64 v[2:3], v[6:7], 0, v[10:11]
	s_waitcnt vmcnt(0)
	v_lshlrev_b32_e32 v4, 16, v4
	v_sub_f32_e32 v4, v4, v5
	global_store_short_d16_hi v[2:3], v4, off offset:64
	v_mul_f32_e32 v2, v20, v4
	v_lshrrev_b32_e32 v11, 16, v2
.LBB117_91:
	s_or_b64 exec, exec, s[6:7]
	s_mov_b32 s6, 0x5040100
	v_accvgpr_read_b32 v5, a3
	v_perm_b32 v67, v11, v17, s6
	v_or_b32_e32 v11, v19, v24
	v_accvgpr_read_b32 v4, a2
	v_accvgpr_read_b32 v3, a1
	;; [unrolled: 1-line block ×3, first 2 shown]
	v_perm_b32 v66, v15, v13, s6
	v_lshlrev_b32_e32 v11, 1, v11
	v_mov_b32_e32 v15, 0
	v_mov_b32_e32 v13, 0
	ds_write_b64 v11, v[66:67] offset:24576
	s_and_saveexec_b64 s[6:7], vcc
	s_cbranch_execz .LBB117_93
; %bb.92:
	v_mov_b32_e32 v13, 0
	v_lshl_add_u64 v[24:25], v[8:9], 0, v[12:13]
	global_load_ushort v11, v[24:25], off offset:96
	v_lshl_add_u64 v[12:13], v[6:7], 0, v[12:13]
	s_waitcnt vmcnt(0)
	v_lshlrev_b32_e32 v11, 16, v11
	v_sub_f32_e32 v2, v11, v2
	global_store_short_d16_hi v[12:13], v2, off offset:96
	v_mul_f32_e32 v2, v23, v2
	v_lshrrev_b32_e32 v13, 16, v2
.LBB117_93:
	s_or_b64 exec, exec, s[6:7]
	s_and_saveexec_b64 s[6:7], s[2:3]
	s_cbranch_execz .LBB117_95
; %bb.94:
	v_mov_b32_e32 v15, 0
	v_lshl_add_u64 v[24:25], v[8:9], 0, v[14:15]
	global_load_ushort v2, v[24:25], off offset:96
	v_lshl_add_u64 v[14:15], v[6:7], 0, v[14:15]
	s_waitcnt vmcnt(0)
	v_lshlrev_b32_e32 v2, 16, v2
	v_sub_f32_e32 v2, v2, v3
	global_store_short_d16_hi v[14:15], v2, off offset:96
	v_mul_f32_e32 v2, v22, v2
	v_lshrrev_b32_e32 v15, 16, v2
.LBB117_95:
	s_or_b64 exec, exec, s[6:7]
	v_mov_b32_e32 v11, 0
	v_mov_b32_e32 v14, 0
	s_and_saveexec_b64 s[2:3], s[4:5]
	s_cbranch_execz .LBB117_97
; %bb.96:
	v_mov_b32_e32 v17, 0
	v_lshl_add_u64 v[2:3], v[8:9], 0, v[16:17]
	global_load_ushort v12, v[2:3], off offset:96
	v_lshl_add_u64 v[2:3], v[6:7], 0, v[16:17]
	s_waitcnt vmcnt(0)
	v_lshlrev_b32_e32 v12, 16, v12
	v_sub_f32_e32 v4, v12, v4
	global_store_short_d16_hi v[2:3], v4, off offset:96
	v_mul_f32_e32 v2, v32, v4
	v_lshrrev_b32_e32 v14, 16, v2
.LBB117_97:
	s_or_b64 exec, exec, s[2:3]
	v_or_b32_e32 v12, 0x6000, v28
	v_or_b32_e32 v4, 0x6000, v29
	;; [unrolled: 1-line block ×4, first 2 shown]
	s_and_saveexec_b64 s[2:3], s[0:1]
	s_cbranch_execz .LBB117_99
; %bb.98:
	v_mov_b32_e32 v11, 0
	v_lshl_add_u64 v[8:9], v[8:9], 0, v[10:11]
	global_load_ushort v8, v[8:9], off offset:96
	v_lshl_add_u64 v[6:7], v[6:7], 0, v[10:11]
	s_waitcnt vmcnt(0)
	v_lshlrev_b32_e32 v8, 16, v8
	v_sub_f32_e32 v5, v8, v5
	global_store_short_d16_hi v[6:7], v5, off offset:96
	v_mul_f32_e32 v5, v20, v5
	v_lshrrev_b32_e32 v11, 16, v5
.LBB117_99:
	s_or_b64 exec, exec, s[2:3]
	s_mov_b32 s0, 0x5040100
	v_or_b32_e32 v5, v19, v21
	v_perm_b32 v7, v11, v14, s0
	v_perm_b32 v6, v15, v13, s0
	v_lshlrev_b32_e32 v5, 1, v5
	s_movk_i32 s0, 0x100
	ds_write_b64 v5, v[6:7] offset:24576
	v_and_b32_e32 v5, 7, v0
	v_and_b32_e32 v6, 8, v0
	v_cmp_gt_u32_e32 vcc, s0, v0
	v_lshrrev_b32_e32 v0, 1, v0
	v_mov_b32_e32 v7, 0xa000
	v_mov_b32_e32 v8, 0x8000
	v_lshlrev_b32_e32 v26, 3, v74
	v_and_b32_e32 v0, 24, v0
	v_cndmask_b32_e32 v19, v7, v8, vcc
	v_xor_b32_e32 v7, v26, v0
	v_or_b32_e32 v8, 0x440, v7
	v_cmp_eq_u32_e32 vcc, 0, v6
	v_lshlrev_b32_e32 v13, 3, v5
	v_lshlrev_b32_e32 v5, 7, v5
	v_cndmask_b32_e32 v6, v8, v7, vcc
	v_or_b32_e32 v6, v6, v27
	v_xad_u32 v32, v6, v13, v5
	v_add_u32_e32 v6, v19, v32
	s_waitcnt lgkmcnt(0)
	s_barrier
	ds_read_b64 v[10:11], v6
	ds_read2_b64 v[6:9], v12 offset1:16
	ds_read2_b64 v[14:17], v12 offset0:32 offset1:48
	v_or_b32_e32 v20, 32, v0
	v_xor_b32_e32 v20, v26, v20
	v_or_b32_e32 v21, 0x440, v20
	v_cndmask_b32_e32 v20, v21, v20, vcc
	s_waitcnt lgkmcnt(1)
	v_mfma_f32_16x16x16_bf16 a[0:3], v[10:11], v[6:7], 0
	v_or_b32_e32 v20, v20, v27
	v_xad_u32 v33, v20, v13, v5
	v_add_u32_e32 v20, v19, v33
	v_mfma_f32_16x16x16_bf16 a[4:7], v[10:11], v[8:9], 0
	ds_read_b64 v[24:25], v20
	ds_read2st64_b64 v[28:31], v4 offset0:4 offset1:8
	ds_read2st64_b64 v[66:69], v3 offset0:4 offset1:8
	s_waitcnt lgkmcnt(3)
	v_mfma_f32_16x16x16_bf16 a[8:11], v[10:11], v[14:15], 0
	ds_read2st64_b64 v[70:73], v2 offset0:4 offset1:8
	v_mfma_f32_16x16x16_bf16 a[12:15], v[10:11], v[16:17], 0
	v_or_b32_e32 v10, 64, v0
	v_xor_b32_e32 v10, v26, v10
	v_xor_b32_e32 v11, 0x440, v10
	v_cndmask_b32_e32 v10, v11, v10, vcc
	v_or_b32_e32 v10, v10, v27
	v_xad_u32 v74, v10, v13, v5
	v_add_u32_e32 v10, v19, v74
	ds_read_b64 v[10:11], v10
	ds_read2st64_b64 v[20:23], v12 offset0:4 offset1:8
	v_or_b32_e32 v0, 0x60, v0
	v_xor_b32_e32 v0, v26, v0
	s_waitcnt lgkmcnt(0)
	v_mfma_f32_16x16x16_bf16 a[0:3], v[24:25], v[20:21], a[0:3]
	v_mfma_f32_16x16x16_bf16 a[4:7], v[24:25], v[28:29], a[4:7]
	;; [unrolled: 1-line block ×4, first 2 shown]
	v_xor_b32_e32 v24, 0x440, v0
	v_cndmask_b32_e32 v0, v24, v0, vcc
	v_or_b32_e32 v0, v0, v27
	v_xad_u32 v26, v0, v13, v5
	v_add_u32_e32 v0, v19, v26
	v_mfma_f32_16x16x16_bf16 a[0:3], v[10:11], v[22:23], a[0:3]
	ds_read_b64 v[24:25], v0
	ds_read_b64 v[12:13], v12 offset:6144
	v_mov_b32_e32 v0, 0x3fb8aa3b
	v_mul_f32_e32 v0, s20, v0
	v_mfma_f32_16x16x16_bf16 a[4:7], v[10:11], v[30:31], a[4:7]
	v_exp_f32_e32 v0, v0
	v_mfma_f32_16x16x16_bf16 a[8:11], v[10:11], v[68:69], a[8:11]
	v_mfma_f32_16x16x16_bf16 a[12:15], v[10:11], v[72:73], a[12:15]
	ds_read_b64 v[4:5], v4 offset:6144
	ds_read_b64 v[10:11], v3 offset:6144
	;; [unrolled: 1-line block ×3, first 2 shown]
	s_waitcnt lgkmcnt(3)
	v_mfma_f32_16x16x16_bf16 a[0:3], v[24:25], v[12:13], a[0:3]
	s_waitcnt lgkmcnt(2)
	v_mfma_f32_16x16x16_bf16 a[4:7], v[24:25], v[4:5], a[4:7]
	;; [unrolled: 2-line block ×4, first 2 shown]
	ds_read_b64 v[24:25], v32 offset:40960
	s_waitcnt lgkmcnt(0)
	v_mfma_f32_16x16x16_bf16 a[16:19], v[24:25], v[6:7], 0
	ds_read_b64 v[6:7], v33 offset:40960
	v_mfma_f32_16x16x16_bf16 a[20:23], v[24:25], v[8:9], 0
	ds_read_b64 v[8:9], v74 offset:40960
	v_mfma_f32_16x16x16_bf16 a[24:27], v[24:25], v[14:15], 0
	v_accvgpr_read_b32 v15, a3
	v_accvgpr_read_b32 v14, a2
	v_pk_fma_f32 v[64:65], v[0:1], v[64:65], v[14:15] op_sel_hi:[0,1,1]
	v_mfma_f32_16x16x16_bf16 a[28:31], v[24:25], v[16:17], 0
	ds_read_b64 v[14:15], v26 offset:40960
	v_accvgpr_read_b32 v17, a7
	v_accvgpr_read_b32 v16, a6
	s_waitcnt lgkmcnt(2)
	v_mfma_f32_16x16x16_bf16 a[16:19], v[6:7], v[20:21], a[16:19]
	v_accvgpr_read_b32 v21, a15
	v_accvgpr_read_b32 v20, a14
	v_pk_fma_f32 v[56:57], v[0:1], v[56:57], v[16:17] op_sel_hi:[0,1,1]
	v_mfma_f32_16x16x16_bf16 a[20:23], v[6:7], v[28:29], a[20:23]
	v_pk_fma_f32 v[40:41], v[0:1], v[40:41], v[20:21] op_sel_hi:[0,1,1]
	v_mfma_f32_16x16x16_bf16 a[24:27], v[6:7], v[66:67], a[24:27]
	v_mfma_f32_16x16x16_bf16 a[28:31], v[6:7], v[70:71], a[28:31]
	v_accvgpr_read_b32 v7, a11
	v_accvgpr_read_b32 v6, a10
	v_pk_fma_f32 v[48:49], v[0:1], v[48:49], v[6:7] op_sel_hi:[0,1,1]
	s_waitcnt lgkmcnt(1)
	v_mfma_f32_16x16x16_bf16 a[16:19], v[8:9], v[22:23], a[16:19]
	v_accvgpr_read_b32 v23, a1
	v_accvgpr_read_b32 v22, a0
	v_pk_fma_f32 v[62:63], v[0:1], v[62:63], v[22:23] op_sel_hi:[0,1,1]
	v_mfma_f32_16x16x16_bf16 a[0:3], v[8:9], v[30:31], a[20:23]
	v_accvgpr_read_b32 v23, a5
	v_accvgpr_read_b32 v22, a4
	;; [unrolled: 1-line block ×3, first 2 shown]
	v_mfma_f32_16x16x16_bf16 a[20:23], v[8:9], v[68:69], a[24:27]
	v_accvgpr_read_b32 v7, a13
	v_pk_fma_f32 v[38:39], v[0:1], v[38:39], v[6:7] op_sel_hi:[0,1,1]
	v_pk_fma_f32 v[54:55], v[0:1], v[54:55], v[22:23] op_sel_hi:[0,1,1]
	v_mfma_f32_16x16x16_bf16 a[4:7], v[8:9], v[72:73], a[28:31]
	v_accvgpr_read_b32 v8, a8
	v_accvgpr_read_b32 v9, a9
	v_pk_fma_f32 v[46:47], v[0:1], v[46:47], v[8:9] op_sel_hi:[0,1,1]
	s_waitcnt lgkmcnt(0)
	v_mfma_f32_16x16x16_bf16 a[8:11], v[14:15], v[12:13], a[16:19]
	v_mfma_f32_16x16x16_bf16 a[0:3], v[14:15], v[4:5], a[0:3]
	s_nop 5
	v_accvgpr_read_b32 v5, a11
	v_accvgpr_read_b32 v4, a10
	v_mfma_f32_16x16x16_bf16 a[10:13], v[14:15], v[10:11], a[20:23]
	v_pk_fma_f32 v[60:61], v[0:1], v[60:61], v[4:5] op_sel_hi:[0,1,1]
	v_accvgpr_read_b32 v7, a3
	v_accvgpr_read_b32 v6, a2
	v_mfma_f32_16x16x16_bf16 a[2:5], v[14:15], v[2:3], a[4:7]
	v_accvgpr_read_b32 v5, a1
	v_accvgpr_read_b32 v4, a0
	v_pk_fma_f32 v[50:51], v[0:1], v[50:51], v[4:5] op_sel_hi:[0,1,1]
	v_accvgpr_read_b32 v4, a10
	v_accvgpr_read_b32 v5, a11
	;; [unrolled: 1-line block ×3, first 2 shown]
	v_pk_fma_f32 v[42:43], v[0:1], v[42:43], v[4:5] op_sel_hi:[0,1,1]
	v_accvgpr_read_b32 v5, a3
	v_accvgpr_read_b32 v9, a13
	v_accvgpr_read_b32 v8, a12
	v_accvgpr_read_b32 v3, a5
	v_accvgpr_read_b32 v2, a4
	v_accvgpr_read_b32 v10, a8
	v_accvgpr_read_b32 v4, a2
	v_pk_fma_f32 v[58:59], v[0:1], v[58:59], v[10:11] op_sel_hi:[0,1,1]
	v_pk_fma_f32 v[52:53], v[0:1], v[52:53], v[6:7] op_sel_hi:[0,1,1]
	;; [unrolled: 1-line block ×5, first 2 shown]
	v_mov_b32_e32 v2, v18
.LBB117_100:
	s_mul_i32 s0, s33, s35
	s_mul_hi_u32 s1, s33, s34
	s_add_i32 s0, s1, s0
	s_mul_i32 s1, s46, s34
	s_add_i32 s1, s0, s1
	s_mul_i32 s0, s33, s34
	s_add_u32 s0, s0, s47
	s_addc_u32 s1, s1, s37
	s_lshl_b64 s[0:1], s[0:1], 15
	s_add_u32 s0, s8, s0
	v_lshlrev_b32_e32 v2, 7, v2
	s_addc_u32 s1, s9, s1
	v_ashrrev_i32_e32 v3, 31, v2
	v_lshl_add_u64 v[4:5], v[2:3], 1, s[0:1]
	v_lshlrev_b32_e32 v0, 1, v1
	v_mov_b32_e32 v1, 0
	s_mov_b32 s2, 0x7060302
	v_lshl_add_u64 v[4:5], v[4:5], 0, v[0:1]
	v_perm_b32 v7, v65, v64, s2
	v_perm_b32 v6, v63, v62, s2
	global_store_dwordx2 v[4:5], v[6:7], off
	v_perm_b32 v7, v61, v60, s2
	v_perm_b32 v6, v59, v58, s2
	global_store_dwordx2 v[4:5], v[6:7], off offset:128
	v_or_b32_e32 v4, 0x800, v2
	v_ashrrev_i32_e32 v5, 31, v4
	v_lshl_add_u64 v[4:5], v[4:5], 1, s[0:1]
	v_lshl_add_u64 v[4:5], v[4:5], 0, v[0:1]
	v_perm_b32 v7, v57, v56, s2
	v_perm_b32 v6, v55, v54, s2
	global_store_dwordx2 v[4:5], v[6:7], off
	v_perm_b32 v7, v53, v52, s2
	v_perm_b32 v6, v51, v50, s2
	global_store_dwordx2 v[4:5], v[6:7], off offset:128
	v_or_b32_e32 v4, 0x1000, v2
	v_or_b32_e32 v2, 0x1800, v2
	v_ashrrev_i32_e32 v5, 31, v4
	v_ashrrev_i32_e32 v3, 31, v2
	v_lshl_add_u64 v[4:5], v[4:5], 1, s[0:1]
	v_lshl_add_u64 v[2:3], v[2:3], 1, s[0:1]
	;; [unrolled: 1-line block ×3, first 2 shown]
	v_perm_b32 v7, v49, v48, s2
	v_perm_b32 v6, v47, v46, s2
	v_lshl_add_u64 v[0:1], v[2:3], 0, v[0:1]
	v_perm_b32 v3, v41, v40, s2
	v_perm_b32 v2, v39, v38, s2
	global_store_dwordx2 v[4:5], v[6:7], off
	v_perm_b32 v7, v45, v44, s2
	v_perm_b32 v6, v43, v42, s2
	global_store_dwordx2 v[0:1], v[2:3], off
	v_perm_b32 v3, v35, v34, s2
	v_perm_b32 v2, v37, v36, s2
	global_store_dwordx2 v[4:5], v[6:7], off offset:128
	global_store_dwordx2 v[0:1], v[2:3], off offset:128
	s_endpgm
	.section	.rodata,"a",@progbits
	.p2align	6, 0x0
	.amdhsa_kernel _ZN12_GLOBAL__N_139chunk_gated_delta_rule_fwd_h_hip_kernelILi64ELb0ELb1ELb1ELb1ELb0ELb0ELb0ELb1EEEvPK12hip_bfloat16S3_S3_PKfS5_PKvPS1_S8_PvPKiSB_iiiiilll
		.amdhsa_group_segment_fixed_size 65536
		.amdhsa_private_segment_fixed_size 0
		.amdhsa_kernarg_size 136
		.amdhsa_user_sgpr_count 2
		.amdhsa_user_sgpr_dispatch_ptr 0
		.amdhsa_user_sgpr_queue_ptr 0
		.amdhsa_user_sgpr_kernarg_segment_ptr 1
		.amdhsa_user_sgpr_dispatch_id 0
		.amdhsa_user_sgpr_kernarg_preload_length 0
		.amdhsa_user_sgpr_kernarg_preload_offset 0
		.amdhsa_user_sgpr_private_segment_size 0
		.amdhsa_uses_dynamic_stack 0
		.amdhsa_enable_private_segment 0
		.amdhsa_system_sgpr_workgroup_id_x 1
		.amdhsa_system_sgpr_workgroup_id_y 1
		.amdhsa_system_sgpr_workgroup_id_z 0
		.amdhsa_system_sgpr_workgroup_info 0
		.amdhsa_system_vgpr_workitem_id 0
		.amdhsa_next_free_vgpr 216
		.amdhsa_next_free_sgpr 67
		.amdhsa_accum_offset 180
		.amdhsa_reserve_vcc 1
		.amdhsa_float_round_mode_32 0
		.amdhsa_float_round_mode_16_64 0
		.amdhsa_float_denorm_mode_32 3
		.amdhsa_float_denorm_mode_16_64 3
		.amdhsa_dx10_clamp 1
		.amdhsa_ieee_mode 1
		.amdhsa_fp16_overflow 0
		.amdhsa_tg_split 0
		.amdhsa_exception_fp_ieee_invalid_op 0
		.amdhsa_exception_fp_denorm_src 0
		.amdhsa_exception_fp_ieee_div_zero 0
		.amdhsa_exception_fp_ieee_overflow 0
		.amdhsa_exception_fp_ieee_underflow 0
		.amdhsa_exception_fp_ieee_inexact 0
		.amdhsa_exception_int_div_zero 0
	.end_amdhsa_kernel
	.section	.text._ZN12_GLOBAL__N_139chunk_gated_delta_rule_fwd_h_hip_kernelILi64ELb0ELb1ELb1ELb1ELb0ELb0ELb0ELb1EEEvPK12hip_bfloat16S3_S3_PKfS5_PKvPS1_S8_PvPKiSB_iiiiilll,"axG",@progbits,_ZN12_GLOBAL__N_139chunk_gated_delta_rule_fwd_h_hip_kernelILi64ELb0ELb1ELb1ELb1ELb0ELb0ELb0ELb1EEEvPK12hip_bfloat16S3_S3_PKfS5_PKvPS1_S8_PvPKiSB_iiiiilll,comdat
.Lfunc_end117:
	.size	_ZN12_GLOBAL__N_139chunk_gated_delta_rule_fwd_h_hip_kernelILi64ELb0ELb1ELb1ELb1ELb0ELb0ELb0ELb1EEEvPK12hip_bfloat16S3_S3_PKfS5_PKvPS1_S8_PvPKiSB_iiiiilll, .Lfunc_end117-_ZN12_GLOBAL__N_139chunk_gated_delta_rule_fwd_h_hip_kernelILi64ELb0ELb1ELb1ELb1ELb0ELb0ELb0ELb1EEEvPK12hip_bfloat16S3_S3_PKfS5_PKvPS1_S8_PvPKiSB_iiiiilll
                                        ; -- End function
	.section	.AMDGPU.csdata,"",@progbits
; Kernel info:
; codeLenInByte = 12596
; NumSgprs: 73
; NumVgprs: 180
; NumAgprs: 36
; TotalNumVgprs: 216
; ScratchSize: 0
; MemoryBound: 0
; FloatMode: 240
; IeeeMode: 1
; LDSByteSize: 65536 bytes/workgroup (compile time only)
; SGPRBlocks: 9
; VGPRBlocks: 26
; NumSGPRsForWavesPerEU: 73
; NumVGPRsForWavesPerEU: 216
; AccumOffset: 180
; Occupancy: 1
; WaveLimiterHint : 1
; COMPUTE_PGM_RSRC2:SCRATCH_EN: 0
; COMPUTE_PGM_RSRC2:USER_SGPR: 2
; COMPUTE_PGM_RSRC2:TRAP_HANDLER: 0
; COMPUTE_PGM_RSRC2:TGID_X_EN: 1
; COMPUTE_PGM_RSRC2:TGID_Y_EN: 1
; COMPUTE_PGM_RSRC2:TGID_Z_EN: 0
; COMPUTE_PGM_RSRC2:TIDIG_COMP_CNT: 0
; COMPUTE_PGM_RSRC3_GFX90A:ACCUM_OFFSET: 44
; COMPUTE_PGM_RSRC3_GFX90A:TG_SPLIT: 0
	.section	.text._ZN12_GLOBAL__N_139chunk_gated_delta_rule_fwd_h_hip_kernelILi64ELb0ELb1ELb0ELb1ELb0ELb0ELb0ELb1EEEvPK12hip_bfloat16S3_S3_PKfS5_PKvPS1_S8_PvPKiSB_iiiiilll,"axG",@progbits,_ZN12_GLOBAL__N_139chunk_gated_delta_rule_fwd_h_hip_kernelILi64ELb0ELb1ELb0ELb1ELb0ELb0ELb0ELb1EEEvPK12hip_bfloat16S3_S3_PKfS5_PKvPS1_S8_PvPKiSB_iiiiilll,comdat
	.globl	_ZN12_GLOBAL__N_139chunk_gated_delta_rule_fwd_h_hip_kernelILi64ELb0ELb1ELb0ELb1ELb0ELb0ELb0ELb1EEEvPK12hip_bfloat16S3_S3_PKfS5_PKvPS1_S8_PvPKiSB_iiiiilll ; -- Begin function _ZN12_GLOBAL__N_139chunk_gated_delta_rule_fwd_h_hip_kernelILi64ELb0ELb1ELb0ELb1ELb0ELb0ELb0ELb1EEEvPK12hip_bfloat16S3_S3_PKfS5_PKvPS1_S8_PvPKiSB_iiiiilll
	.p2align	8
	.type	_ZN12_GLOBAL__N_139chunk_gated_delta_rule_fwd_h_hip_kernelILi64ELb0ELb1ELb0ELb1ELb0ELb0ELb0ELb1EEEvPK12hip_bfloat16S3_S3_PKfS5_PKvPS1_S8_PvPKiSB_iiiiilll,@function
_ZN12_GLOBAL__N_139chunk_gated_delta_rule_fwd_h_hip_kernelILi64ELb0ELb1ELb0ELb1ELb0ELb0ELb0ELb1EEEvPK12hip_bfloat16S3_S3_PKfS5_PKvPS1_S8_PvPKiSB_iiiiilll: ; @_ZN12_GLOBAL__N_139chunk_gated_delta_rule_fwd_h_hip_kernelILi64ELb0ELb1ELb0ELb1ELb0ELb0ELb0ELb1EEEvPK12hip_bfloat16S3_S3_PKfS5_PKvPS1_S8_PvPKiSB_iiiiilll
; %bb.0:
	s_load_dwordx4 s[16:19], s[0:1], 0x5c
	s_load_dwordx2 s[20:21], s[0:1], 0x50
	s_abs_i32 s23, s3
	s_ashr_i32 s22, s3, 31
	s_load_dwordx8 s[4:11], s[0:1], 0x0
	s_load_dwordx4 s[12:15], s[0:1], 0x40
	s_load_dwordx2 s[38:39], s[0:1], 0x30
	s_waitcnt lgkmcnt(0)
	s_abs_i32 s26, s17
	v_cvt_f32_u32_e32 v1, s26
	s_sub_i32 s24, 0, s26
	s_ashr_i32 s44, s17, 31
	s_xor_b32 s22, s22, s44
	v_rcp_iflag_f32_e32 v1, v1
	v_lshrrev_b32_e32 v72, 6, v0
	v_bfe_u32 v75, v0, 4, 2
	v_lshlrev_b32_e32 v73, 4, v72
	v_mul_f32_e32 v1, 0x4f7ffffe, v1
	v_cvt_u32_f32_e32 v1, v1
	v_lshlrev_b32_e32 v2, 2, v75
	v_and_b32_e32 v74, 63, v0
	s_mov_b32 s33, s17
	v_readfirstlane_b32 s25, v1
	s_mul_i32 s24, s24, s25
	s_mul_hi_u32 s24, s25, s24
	s_add_i32 s25, s25, s24
	s_mul_hi_u32 s24, s23, s25
	s_mul_i32 s25, s24, s26
	s_sub_i32 s23, s23, s25
	s_add_i32 s25, s24, 1
	s_sub_i32 s27, s23, s26
	s_cmp_ge_u32 s23, s26
	s_cselect_b32 s24, s25, s24
	s_cselect_b32 s23, s27, s23
	s_add_i32 s25, s24, 1
	s_cmp_ge_u32 s23, s26
	s_cselect_b32 s23, s25, s24
	s_xor_b32 s23, s23, s22
	s_sub_i32 s34, s23, s22
	s_mul_i32 s22, s34, s17
	s_ashr_i32 s35, s34, 31
	s_sub_i32 s45, s3, s22
	s_lshl_b64 s[22:23], s[34:35], 2
	s_add_u32 s14, s14, s22
	s_addc_u32 s15, s15, s23
	s_add_u32 s24, s20, s22
	s_addc_u32 s25, s21, s23
	s_abs_i32 s3, s18
	v_cvt_f32_u32_e32 v1, s3
	s_load_dwordx2 s[36:37], s[14:15], 0x0
	s_nop 0
	s_load_dwordx2 s[14:15], s[0:1], 0x80
	s_load_dwordx4 s[20:23], s[0:1], 0x70
	s_sub_i32 s1, 0, s3
	v_rcp_iflag_f32_e32 v1, v1
	s_load_dword s50, s[24:25], 0x0
	s_waitcnt lgkmcnt(0)
	s_sub_i32 s54, s37, s36
	s_ashr_i32 s0, s54, 31
	v_mul_f32_e32 v1, 0x4f7ffffe, v1
	v_cvt_u32_f32_e32 v1, v1
	s_lshr_b32 s0, s0, 26
	s_add_i32 s0, s54, s0
	s_ashr_i32 s49, s0, 6
	v_readfirstlane_b32 s27, v1
	s_mul_i32 s1, s1, s27
	s_mul_hi_u32 s1, s27, s1
	s_add_i32 s27, s27, s1
	s_mul_hi_u32 s1, s26, s27
	s_mul_i32 s27, s1, s3
	s_ashr_i32 s0, s18, 31
	s_sub_i32 s26, s26, s27
	s_xor_b32 s0, s44, s0
	s_add_i32 s27, s1, 1
	s_sub_i32 s28, s26, s3
	s_cmp_ge_u32 s26, s3
	s_cselect_b32 s1, s27, s1
	s_cselect_b32 s26, s28, s26
	s_add_i32 s27, s1, 1
	s_cmp_ge_u32 s26, s3
	s_cselect_b32 s1, s27, s1
	s_xor_b32 s1, s1, s0
	s_sub_i32 s1, s1, s0
	s_abs_i32 s3, s1
	v_cvt_f32_u32_e32 v1, s3
	s_sub_i32 s25, 0, s3
	s_abs_i32 s24, s45
	s_xor_b32 s1, s45, s1
	v_rcp_iflag_f32_e32 v1, v1
	s_ashr_i32 s1, s1, 31
	s_mov_b32 s0, 0
	v_and_b32_e32 v76, 15, v0
	v_mul_f32_e32 v1, 0x4f7ffffe, v1
	v_cvt_u32_f32_e32 v1, v1
	s_mul_hi_i32 s51, s45, s16
	s_mul_i32 s52, s45, s16
	v_lshrrev_b32_e32 v78, 3, v74
	v_readfirstlane_b32 s26, v1
	s_mul_i32 s25, s25, s26
	s_mul_hi_u32 s25, s26, s25
	s_add_i32 s26, s26, s25
	s_mul_hi_u32 s25, s24, s26
	s_mul_i32 s26, s25, s3
	s_sub_i32 s24, s24, s26
	s_add_i32 s26, s25, 1
	s_sub_i32 s27, s24, s3
	s_cmp_ge_u32 s24, s3
	s_cselect_b32 s25, s26, s25
	s_cselect_b32 s24, s27, s24
	s_add_i32 s26, s25, 1
	s_cmp_ge_u32 s24, s3
	s_cselect_b32 s3, s26, s25
	s_xor_b32 s3, s3, s1
	s_sub_i32 s53, s3, s1
	v_or_b32_e32 v1, v2, v73
	s_lshl_b32 s2, s2, 6
	s_mov_b32 s1, s0
	v_or_b32_e32 v79, 64, v1
	s_cmp_lt_i32 s54, 64
	v_mov_b64_e32 v[34:35], s[0:1]
	v_lshlrev_b32_e32 v77, 3, v0
	s_mul_i32 s46, s34, s21
	s_mul_hi_u32 s47, s34, s20
	s_mul_i32 s48, s35, s20
	s_mul_i32 s20, s34, s20
	v_mov_b64_e32 v[36:37], s[0:1]
	v_mov_b64_e32 v[40:41], s[0:1]
	;; [unrolled: 1-line block ×15, first 2 shown]
	s_cbranch_scc1 .LBB118_17
; %bb.1:
	s_ashr_i32 s56, s45, 31
	s_ashr_i32 s1, s36, 31
	s_add_u32 s0, s52, s36
	s_addc_u32 s1, s51, s1
	s_lshl_b64 s[0:1], s[0:1], 8
	v_and_b32_e32 v81, 56, v77
	s_add_u32 s24, s6, s0
	v_lshl_or_b32 v80, v72, 3, v78
	v_lshlrev_b32_e32 v3, 1, v81
	s_addc_u32 s0, s7, s1
	v_lshl_or_b32 v82, v80, 8, v3
	s_and_b32 s25, s0, 0xffff
	s_mov_b32 s27, 0x20000
	s_movk_i32 s26, 0x4000
	s_movk_i32 s0, 0x80
	v_or_b32_e32 v83, 0x2000, v82
	buffer_load_dwordx4 v[4:7], v82, s[24:27], 0 offen
	buffer_load_dwordx4 v[8:11], v82, s[24:27], s0 offen
	;; [unrolled: 1-line block ×4, first 2 shown]
	v_lshlrev_b32_e32 v20, 3, v80
	v_and_or_b32 v22, v0, 7, v20
	v_and_b32_e32 v20, 0x78, v20
	v_lshlrev_b32_e32 v22, 4, v22
	v_xor_b32_e32 v84, v22, v20
	v_mul_lo_u32 v21, v80, s19
	v_or_b32_e32 v85, 0x1000, v84
	s_cmpk_eq_i32 s19, 0x80
	s_mov_b32 s55, s36
	v_xor_b32_e32 v20, 8, v84
	v_xor_b32_e32 v22, 8, v85
	s_cselect_b64 s[0:1], -1, 0
	s_cmpk_lg_i32 s19, 0x80
	s_waitcnt vmcnt(3)
	ds_write_b64 v84, v[4:5] offset:49152
	ds_write_b64 v20, v[6:7] offset:49152
	s_waitcnt vmcnt(2)
	ds_write_b64 v84, v[8:9] offset:57344
	ds_write_b64 v20, v[10:11] offset:57344
	;; [unrolled: 3-line block ×4, first 2 shown]
	v_lshl_add_u32 v4, v21, 1, v81
	s_cbranch_scc0 .LBB118_3
; %bb.2:
	v_lshlrev_b32_e32 v6, 1, v4
	v_add_lshl_u32 v5, v4, s19, 1
	s_lshl_b32 s26, s19, 7
	v_lshl_or_b32 v3, v80, 9, v3
	s_cbranch_execz .LBB118_4
	s_branch .LBB118_5
.LBB118_3:
                                        ; implicit-def: $vgpr5
                                        ; implicit-def: $vgpr6
                                        ; implicit-def: $sgpr26
	v_lshl_or_b32 v3, v80, 9, v3
.LBB118_4:
	v_or_b32_e32 v5, 0x100, v3
	s_movk_i32 s26, 0x4000
	v_mov_b32_e32 v6, v3
.LBB118_5:
	s_mul_i32 s21, s36, s18
	s_ashr_i32 s57, s53, 31
	s_mul_hi_i32 s3, s36, s18
	s_add_u32 s24, s21, s53
	s_addc_u32 s25, s3, s57
	s_lshl_b64 s[24:25], s[24:25], 8
	s_add_u32 s24, s4, s24
	s_addc_u32 s3, s5, s25
	s_and_b32 s25, s3, 0xffff
	s_movk_i32 s58, 0x80
	buffer_load_dwordx4 v[8:11], v6, s[24:27], 0 offen
	buffer_load_dwordx4 v[12:15], v6, s[24:27], s58 offen
	;; [unrolled: 1-line block ×4, first 2 shown]
	v_and_b32_e32 v5, 6, v0
	v_lshlrev_b32_e32 v6, 7, v1
	v_xor_b32_e32 v28, v80, v5
	v_and_b32_e32 v7, 1, v0
	v_lshl_or_b32 v31, v76, 3, v6
	v_lshlrev_b32_e32 v28, 2, v28
	v_lshlrev_b32_e32 v24, 2, v76
	v_or_b32_e32 v86, 0x4000, v31
	v_or_b32_e32 v87, 0x6000, v31
	v_xor_b32_e32 v31, 0x440, v28
	v_cmp_eq_u32_e32 vcc, 0, v7
	v_or_b32_e32 v26, 16, v76
	v_or_b32_e32 v27, 32, v76
	v_xor_b32_e32 v29, v1, v24
	v_xor_b32_e32 v30, v79, v24
	v_cndmask_b32_e32 v7, v31, v28, vcc
	s_add_i32 s3, s47, s46
	s_mov_b32 s59, 0x1000504
	v_lshl_or_b32 v32, v26, 3, v6
	v_lshlrev_b32_e32 v26, 8, v26
	v_lshl_or_b32 v33, v27, 3, v6
	v_lshlrev_b32_e32 v29, 1, v29
	v_lshlrev_b32_e32 v30, 1, v30
	v_lshl_or_b32 v5, v5, 10, v7
	s_add_i32 s21, s3, s48
	s_mul_i32 s3, s45, s23
	s_mul_hi_u32 s24, s45, s22
	s_mov_b32 s60, 0x3020706
	v_lshlrev_b32_e32 v25, 8, v76
	v_or_b32_e32 v90, 0x4000, v33
	v_or_b32_e32 v91, 0x6000, v33
	;; [unrolled: 1-line block ×4, first 2 shown]
	v_xor_b32_e32 v7, 8, v5
	v_xor_b32_e32 v26, 24, v5
	;; [unrolled: 1-line block ×4, first 2 shown]
	s_add_i32 s3, s24, s3
	s_mul_i32 s24, s56, s22
	v_or_b32_e32 v88, 0x4000, v32
	v_or_b32_e32 v89, 0x6000, v32
	;; [unrolled: 1-line block ×4, first 2 shown]
	v_xor_b32_e32 v25, 16, v5
	v_xor_b32_e32 v28, 32, v5
	;; [unrolled: 1-line block ×3, first 2 shown]
	v_add_u32_e32 v7, 0x80, v7
	v_add_u32_e32 v26, 0x80, v26
	;; [unrolled: 1-line block ×4, first 2 shown]
	s_add_i32 s25, s3, s24
	s_lshl_b64 s[28:29], s[20:21], 2
	s_mul_i32 s24, s45, s22
	s_add_u32 s3, s10, s28
	s_addc_u32 s21, s11, s29
	s_lshl_b64 s[24:25], s[24:25], 2
	s_add_u32 s40, s3, s24
	s_movk_i32 s3, 0xf8
	s_addc_u32 s41, s21, s25
	s_lshl_b32 s30, s19, 7
	s_movk_i32 s21, 0x100
	v_mov_b32_e32 v67, 0
	v_lshlrev_b32_e32 v66, 4, v76
	v_cmp_gt_u32_e32 vcc, s21, v0
	v_lshlrev_b32_e32 v27, 8, v27
	s_mov_b32 s61, 0
	s_movk_i32 s26, 0x4000
	v_or_b32_e32 v96, v27, v29
	v_or_b32_e32 v97, v27, v30
	v_add_u32_e32 v126, v73, v2
	s_movk_i32 s21, 0x2000
	s_movk_i32 s62, 0x3000
	v_mov_b32_e32 v131, 0x3fb8aa3b
	v_mov_b32_e32 v62, v67
	;; [unrolled: 1-line block ×6, first 2 shown]
	s_waitcnt vmcnt(1)
	v_perm_b32 v34, v8, v16, s59
	s_waitcnt vmcnt(0)
	v_perm_b32 v35, v12, v20, s59
	v_perm_b32 v8, v8, v16, s60
	;; [unrolled: 1-line block ×15, first 2 shown]
	ds_write2st64_b32 v5, v34, v35 offset0:128 offset1:160
	ds_write2st64_b32 v7, v8, v12 offset0:128 offset1:160
	;; [unrolled: 1-line block ×8, first 2 shown]
	v_or_b32_e32 v5, 48, v76
	v_lshl_or_b32 v7, v5, 3, v6
	v_lshlrev_b32_e32 v5, 8, v5
	v_or_b32_e32 v100, v5, v29
	v_or_b32_e32 v101, v5, v30
	;; [unrolled: 1-line block ×3, first 2 shown]
	v_lshlrev_b32_e32 v5, 3, v5
	v_lshrrev_b32_e32 v9, 5, v74
	v_and_or_b32 v9, v5, s3, v9
	v_lshlrev_b32_e32 v9, 4, v9
	v_or_b32_e32 v98, 0x4000, v7
	v_or_b32_e32 v99, 0x6000, v7
	v_lshlrev_b32_e32 v7, 11, v72
	v_and_b32_e32 v5, 0x78, v5
	v_or_b32_e32 v14, 32, v9
	v_and_b32_e32 v8, 0x1000, v7
	v_xor_b32_e32 v10, v9, v5
	v_lshrrev_b32_e32 v11, 1, v0
	v_xor_b32_e32 v14, v14, v5
	v_or_b32_e32 v10, v10, v8
	v_and_b32_e32 v12, 8, v11
	v_or_b32_e32 v14, v14, v8
	v_xor_b32_e32 v102, v10, v12
	v_lshlrev_b32_e32 v10, 8, v75
	v_xor_b32_e32 v104, v14, v12
	v_or_b32_e32 v14, 64, v9
	v_or_b32_e32 v9, 0x60, v9
	;; [unrolled: 1-line block ×3, first 2 shown]
	v_xor_b32_e32 v14, v14, v5
	v_xor_b32_e32 v5, v9, v5
	s_ashr_i32 s3, s2, 31
	v_lshlrev_b32_e32 v13, 1, v13
	v_or_b32_e32 v14, v14, v8
	v_or_b32_e32 v5, v5, v8
	s_lshl_b64 s[24:25], s[2:3], 8
	v_or_b32_e32 v103, 0x4000, v13
	v_or_b32_e32 v105, 0x4080, v13
	;; [unrolled: 1-line block ×4, first 2 shown]
	v_xor_b32_e32 v108, v14, v12
	v_xor_b32_e32 v109, v5, v12
	v_or_b32_e32 v110, 0x6000, v13
	v_or_b32_e32 v111, 0x6080, v13
	;; [unrolled: 1-line block ×4, first 2 shown]
	v_lshlrev_b32_e32 v12, 1, v4
	v_add_lshl_u32 v13, v4, s19, 1
	s_add_u32 s24, s38, s24
	v_lshlrev_b32_e32 v4, 1, v76
	v_lshrrev_b32_e32 v15, 4, v0
	s_addc_u32 s25, s39, s25
	v_or_b32_e32 v5, 1, v4
	v_mov_b32_e32 v19, 0xa000
	v_mov_b32_e32 v20, 0x8000
	v_xor_b32_e32 v16, v15, v4
	v_xor_b32_e32 v17, v5, v15
	v_lshl_add_u64 v[4:5], s[24:25], 0, v[66:67]
	v_lshlrev_b32_e32 v66, 8, v15
	v_cndmask_b32_e32 v19, v19, v20, vcc
	v_lshlrev_b32_e32 v20, 3, v72
	v_and_b32_e32 v11, 24, v11
	v_lshl_or_b32 v114, v16, 3, v66
	v_and_b32_e32 v16, 8, v0
	v_xor_b32_e32 v21, v20, v11
	v_or_b32_e32 v22, 0x440, v21
	v_cmp_eq_u32_e32 vcc, 0, v16
	v_and_b32_e32 v15, 7, v0
	v_lshl_or_b32 v115, v17, 3, v66
	v_cndmask_b32_e32 v16, v22, v21, vcc
	v_lshlrev_b32_e32 v17, 3, v15
	v_lshlrev_b32_e32 v15, 7, v15
	v_or_b32_e32 v16, v16, v7
	v_lshlrev_b32_e32 v18, 2, v0
	v_xad_u32 v116, v16, v17, v15
	v_or_b32_e32 v16, 32, v11
	v_and_or_b32 v10, v18, 60, v10
	v_xor_b32_e32 v16, v20, v16
	v_lshlrev_b32_e32 v10, 1, v10
	v_or_b32_e32 v18, 0x440, v16
	v_or_b32_e32 v117, 0x6000, v10
	v_cndmask_b32_e32 v16, v18, v16, vcc
	v_or_b32_e32 v119, 0x6080, v10
	v_or_b32_e32 v120, 0x6100, v10
	;; [unrolled: 1-line block ×5, first 2 shown]
	v_xor_b32_e32 v10, v20, v10
	v_xad_u32 v118, v16, v17, v15
	v_xor_b32_e32 v16, 0x440, v10
	v_cndmask_b32_e32 v10, v16, v10, vcc
	v_or_b32_e32 v10, v10, v7
	v_xad_u32 v122, v10, v17, v15
	v_or_b32_e32 v10, 0x60, v11
	v_xor_b32_e32 v10, v20, v10
	v_xor_b32_e32 v11, 0x440, v10
	v_cndmask_b32_e32 v10, v11, v10, vcc
	v_or_b32_e32 v8, s2, v76
	v_or_b32_e32 v7, v10, v7
	v_ashrrev_i32_e32 v9, 31, v8
	v_or_b32_e32 v14, 0x100, v3
	v_xad_u32 v123, v7, v17, v15
	v_cndmask_b32_e64 v124, v12, v3, s[0:1]
	v_cndmask_b32_e64 v125, v13, v14, s[0:1]
	v_lshl_add_u64 v[68:69], v[8:9], 1, s[8:9]
	v_lshl_add_u64 v[70:71], v[4:5], 0, v[66:67]
	s_mov_b32 s3, 0x7060302
	v_lshlrev_b32_e32 v66, 1, v6
	v_add_u32_e32 v127, v19, v116
	v_add_u32_e32 v128, v19, v118
	;; [unrolled: 1-line block ×4, first 2 shown]
	v_mov_b32_e32 v59, v67
	v_mov_b32_e32 v60, v67
	;; [unrolled: 1-line block ×27, first 2 shown]
	s_waitcnt lgkmcnt(0)
	s_barrier
	s_branch .LBB118_7
.LBB118_6:                              ;   in Loop: Header=BB118_7 Depth=1
	s_waitcnt vmcnt(6)
	v_mul_f32_e32 v22, s24, v131
	v_exp_f32_e32 v132, v22
	v_accvgpr_read_b32 v5, a3
	v_accvgpr_read_b32 v9, a7
	;; [unrolled: 1-line block ×4, first 2 shown]
	s_waitcnt vmcnt(4)
	v_accvgpr_read_b32 v18, a20
	v_accvgpr_read_b32 v25, a19
	;; [unrolled: 1-line block ×28, first 2 shown]
	s_add_i32 s55, s55, 64
	v_pk_fma_f32 v[62:63], v[132:133], v[62:63], v[2:3] op_sel_hi:[0,1,1]
	v_pk_fma_f32 v[64:65], v[132:133], v[64:65], v[4:5] op_sel_hi:[0,1,1]
	;; [unrolled: 1-line block ×16, first 2 shown]
	s_cmp_eq_u32 s49, s63
	s_mov_b32 s61, s63
	s_cbranch_scc1 .LBB118_17
.LBB118_7:                              ; =>This Inner Loop Header: Depth=1
	s_add_i32 s63, s61, 1
	s_cmp_lt_i32 s63, s49
	s_mov_b64 s[28:29], 0
	s_cselect_b64 s[42:43], -1, 0
	s_cmp_ge_i32 s63, s49
	s_mov_b64 s[24:25], 0
	s_cbranch_scc1 .LBB118_9
; %bb.8:                                ;   in Loop: Header=BB118_7 Depth=1
	s_add_i32 s0, s55, 64
	s_ashr_i32 s1, s0, 31
	s_add_u32 s0, s52, s0
	s_addc_u32 s1, s51, s1
	s_lshl_b64 s[0:1], s[0:1], 8
	s_add_u32 s24, s6, s0
	s_addc_u32 s25, s7, s1
.LBB118_9:                              ;   in Loop: Header=BB118_7 Depth=1
	v_cndmask_b32_e64 v2, 0, 1, s[42:43]
	v_cmp_ne_u32_e64 s[0:1], 1, v2
	s_andn2_b64 vcc, exec, s[42:43]
	s_cbranch_vccnz .LBB118_11
; %bb.10:                               ;   in Loop: Header=BB118_7 Depth=1
	s_add_i32 s28, s55, 64
	s_mul_hi_i32 s29, s28, s18
	s_mul_i32 s28, s28, s18
	s_add_u32 s28, s28, s53
	s_addc_u32 s29, s29, s57
	s_lshl_b64 s[28:29], s[28:29], 8
	s_add_u32 s28, s4, s28
	s_addc_u32 s29, s5, s29
.LBB118_11:                             ;   in Loop: Header=BB118_7 Depth=1
	v_perm_b32 v3, v65, v64, s3
	v_perm_b32 v2, v63, v62, s3
	v_perm_b32 v5, v61, v60, s3
	v_perm_b32 v4, v59, v58, s3
	ds_write_b64 v86, v[2:3]
	ds_write_b64 v87, v[4:5]
	ds_write_b64 v92, v[2:3]
	ds_write_b64 v93, v[4:5]
	v_perm_b32 v3, v57, v56, s3
	v_perm_b32 v2, v55, v54, s3
	v_perm_b32 v5, v53, v52, s3
	v_perm_b32 v4, v51, v50, s3
	ds_write_b64 v88, v[2:3]
	ds_write_b64 v89, v[4:5]
	ds_write_b64 v94, v[2:3]
	ds_write_b64 v95, v[4:5]
	;; [unrolled: 8-line block ×4, first 2 shown]
	s_waitcnt lgkmcnt(0)
	s_barrier
	ds_read_b64 v[6:7], v102 offset:49152
	ds_read2_b64 v[2:5], v103 offset1:16
	ds_read_b64 v[18:19], v105 offset:6144
	ds_read_b64 v[20:21], v103 offset:6144
	s_waitcnt lgkmcnt(2)
	v_mfma_f32_16x16x16_bf16 a[0:3], v[6:7], v[2:3], 0
	ds_read_b64 v[22:23], v104 offset:49152
	ds_read2st64_b64 v[10:13], v106 offset0:4 offset1:8
	ds_read2st64_b64 v[14:17], v107 offset0:4 offset1:8
	v_mfma_f32_16x16x16_bf16 a[4:7], v[6:7], v[4:5], 0
	ds_read2_b64 v[2:5], v103 offset0:32 offset1:48
	s_add_i32 s31, s55, 63
	s_ashr_i32 s42, s31, 31
	s_waitcnt lgkmcnt(0)
	v_mfma_f32_16x16x16_bf16 a[8:11], v[6:7], v[2:3], 0
	s_mul_i32 s43, s31, s15
	s_mul_hi_u32 s64, s31, s14
	s_add_i32 s43, s64, s43
	v_mfma_f32_16x16x16_bf16 a[12:15], v[6:7], v[4:5], 0
	ds_read2st64_b64 v[2:5], v103 offset0:4 offset1:8
	ds_read2st64_b64 v[6:9], v105 offset0:4 offset1:8
	s_mul_i32 s42, s42, s14
	s_waitcnt lgkmcnt(1)
	v_mfma_f32_16x16x16_bf16 a[0:3], v[22:23], v[2:3], a[0:3]
	s_add_i32 s43, s43, s42
	s_mul_i32 s42, s31, s14
	s_lshl_b64 s[42:43], s[42:43], 2
	s_waitcnt lgkmcnt(0)
	v_mfma_f32_16x16x16_bf16 a[4:7], v[22:23], v[6:7], a[4:7]
	s_add_u32 s42, s40, s42
	s_addc_u32 s43, s41, s43
	s_and_b64 vcc, exec, s[0:1]
	v_mfma_f32_16x16x16_bf16 a[8:11], v[22:23], v[10:11], a[8:11]
	ds_read_b64 v[2:3], v108 offset:49152
	ds_read_b64 v[6:7], v109 offset:49152
	;; [unrolled: 1-line block ×3, first 2 shown]
	v_mov_b32_e32 v134, 0
	v_mov_b32_e32 v133, 0
	v_mfma_f32_16x16x16_bf16 a[12:15], v[22:23], v[14:15], a[12:15]
	v_mov_b32_e32 v132, 0
	v_mov_b32_e32 v14, 0
	;; [unrolled: 1-line block ×3, first 2 shown]
	s_waitcnt lgkmcnt(2)
	v_mfma_f32_16x16x16_bf16 a[0:3], v[2:3], v[4:5], a[0:3]
	v_mov_b32_e32 v4, 0
	v_mov_b32_e32 v5, 0
	v_mfma_f32_16x16x16_bf16 a[16:19], v[2:3], v[8:9], a[4:7]
	v_mov_b32_e32 v8, 0
	v_mov_b32_e32 v9, 0
	;; [unrolled: 3-line block ×3, first 2 shown]
	v_mfma_f32_16x16x16_bf16 a[24:27], v[2:3], v[16:17], a[12:15]
	ds_read_b64 v[2:3], v106 offset:6144
	v_mov_b32_e32 v16, 0
	v_mov_b32_e32 v17, 0
	s_waitcnt lgkmcnt(2)
	v_mfma_f32_16x16x16_bf16 a[4:7], v[6:7], v[20:21], a[0:3]
	v_mfma_f32_16x16x16_bf16 a[8:11], v[6:7], v[18:19], a[16:19]
	s_waitcnt lgkmcnt(0)
	v_mfma_f32_16x16x16_bf16 a[12:15], v[6:7], v[2:3], a[20:23]
	v_mov_b32_e32 v2, 0
	v_mov_b32_e32 v3, 0
	v_mfma_f32_16x16x16_bf16 a[0:3], v[6:7], v[10:11], a[24:27]
	v_mov_b32_e32 v6, 0
	v_mov_b32_e32 v7, 0
	;; [unrolled: 1-line block ×4, first 2 shown]
	s_cbranch_vccnz .LBB118_13
; %bb.12:                               ;   in Loop: Header=BB118_7 Depth=1
	s_and_b32 s25, s25, 0xffff
	buffer_load_dwordx4 v[14:17], v82, s[24:27], 0 offen
	buffer_load_dwordx4 v[10:13], v82, s[24:27], s58 offen
	;; [unrolled: 1-line block ×4, first 2 shown]
	v_mov_b32_e32 v133, v84
	v_mov_b32_e32 v132, v85
.LBB118_13:                             ;   in Loop: Header=BB118_7 Depth=1
	ds_read_b64 v[136:137], v102 offset:57344
	ds_read2_b64 v[18:21], v110 offset1:16
	ds_read_b64 v[138:139], v104 offset:57344
	ds_read_b64 v[140:141], v108 offset:57344
	;; [unrolled: 1-line block ×3, first 2 shown]
	v_add_u32_e32 v135, s55, v126
	s_waitcnt lgkmcnt(3)
	v_mfma_f32_16x16x16_bf16 a[4:7], v[136:137], v[18:19], a[4:7]
	v_mfma_f32_16x16x16_bf16 a[8:11], v[136:137], v[20:21], a[8:11]
	ds_read2_b64 v[18:21], v110 offset0:32 offset1:48
	ds_read2st64_b64 v[22:25], v110 offset0:4 offset1:8
	ds_read2st64_b64 v[26:29], v111 offset0:4 offset1:8
	;; [unrolled: 1-line block ×3, first 2 shown]
	s_waitcnt lgkmcnt(3)
	v_mfma_f32_16x16x16_bf16 a[12:15], v[136:137], v[18:19], a[12:15]
	v_ashrrev_i32_e32 v18, 31, v135
	v_mfma_f32_16x16x16_bf16 a[0:3], v[136:137], v[20:21], a[0:3]
	v_mul_lo_u32 v20, v18, s14
	v_mul_lo_u32 v21, v135, s15
	v_mad_u64_u32 v[18:19], s[24:25], v135, s14, 0
	v_add3_u32 v19, v19, v21, v20
	v_add_u32_e32 v20, 1, v135
	v_ashrrev_i32_e32 v21, 31, v20
	s_waitcnt lgkmcnt(2)
	v_mfma_f32_16x16x16_bf16 a[4:7], v[138:139], v[22:23], a[4:7]
	v_mul_lo_u32 v22, v21, s14
	v_mul_lo_u32 v23, v20, s15
	v_mad_u64_u32 v[20:21], s[24:25], v20, s14, 0
	v_add3_u32 v21, v21, v23, v22
	v_add_u32_e32 v22, 2, v135
	v_ashrrev_i32_e32 v23, 31, v22
	s_waitcnt lgkmcnt(1)
	v_mfma_f32_16x16x16_bf16 a[8:11], v[138:139], v[26:27], a[8:11]
	v_mul_lo_u32 v26, v23, s14
	v_mul_lo_u32 v27, v22, s15
	v_mad_u64_u32 v[22:23], s[24:25], v22, s14, 0
	v_add3_u32 v23, v23, v27, v26
	v_add_u32_e32 v26, 3, v135
	v_ashrrev_i32_e32 v27, 31, v26
	v_mul_lo_u32 v135, v27, s14
	v_mul_lo_u32 v136, v26, s15
	v_mad_u64_u32 v[26:27], s[24:25], v26, s14, 0
	s_ashr_i32 s25, s55, 31
	s_add_u32 s24, s52, s55
	v_lshl_add_u64 v[18:19], v[18:19], 2, s[40:41]
	v_add3_u32 v27, v27, v136, v135
	s_addc_u32 s25, s51, s25
	v_lshl_add_u64 v[20:21], v[20:21], 2, s[40:41]
	global_load_dword v137, v[18:19], off
	v_lshl_add_u64 v[18:19], v[26:27], 2, s[40:41]
	s_lshl_b64 s[24:25], s[24:25], 8
	v_lshl_add_u64 v[22:23], v[22:23], 2, s[40:41]
	global_load_dword v135, v[20:21], off
	global_load_dword v136, v[22:23], off
	;; [unrolled: 1-line block ×3, first 2 shown]
	v_lshl_add_u64 v[18:19], v[68:69], 0, s[24:25]
	v_lshl_add_u64 v[22:23], v[18:19], 0, v[66:67]
	global_load_ushort v145, v[22:23], off offset:256
	global_load_ushort v146, v[22:23], off
	ds_read2st64_b64 v[18:21], v113 offset0:4 offset1:8
	global_load_ushort v147, v[22:23], off offset:768
	global_load_ushort v148, v[22:23], off offset:512
	s_waitcnt lgkmcnt(1)
	v_mfma_f32_16x16x16_bf16 a[12:15], v[138:139], v[30:31], a[12:15]
	s_and_b64 vcc, exec, s[0:1]
	s_waitcnt vmcnt(3)
	v_lshlrev_b32_e32 v31, 16, v145
	s_waitcnt lgkmcnt(0)
	v_mfma_f32_16x16x16_bf16 a[0:3], v[138:139], v[18:19], a[0:3]
	global_load_ushort v138, v[22:23], off offset:288
	global_load_ushort v139, v[22:23], off offset:32
	;; [unrolled: 1-line block ×8, first 2 shown]
	v_mfma_f32_16x16x16_bf16 a[4:7], v[140:141], v[24:25], a[4:7]
	ds_read_b64 v[18:19], v110 offset:6144
	s_waitcnt vmcnt(10)
	v_lshlrev_b32_e32 v30, 16, v146
	v_mfma_f32_16x16x16_bf16 a[8:11], v[140:141], v[28:29], a[8:11]
	v_mfma_f32_16x16x16_bf16 a[12:15], v[140:141], v[32:33], a[12:15]
	;; [unrolled: 1-line block ×3, first 2 shown]
	global_load_ushort v140, v[22:23], off offset:352
	global_load_ushort v141, v[22:23], off offset:96
	ds_read_b64 v[20:21], v111 offset:6144
	ds_read_b64 v[24:25], v112 offset:6144
	;; [unrolled: 1-line block ×3, first 2 shown]
	global_load_ushort v155, v[22:23], off offset:864
	global_load_ushort v156, v[22:23], off offset:608
	s_load_dword s24, s[42:43], 0x0
	s_waitcnt lgkmcnt(0)
	v_mfma_f32_16x16x16_bf16 a[4:7], v[142:143], v[18:19], a[4:7]
	v_sub_f32_e32 v28, s24, v136
	v_mfma_f32_16x16x16_bf16 a[0:3], v[142:143], v[26:27], a[0:3]
	v_sub_f32_e32 v26, s24, v137
	v_sub_f32_e32 v27, s24, v135
	;; [unrolled: 1-line block ×3, first 2 shown]
	v_mul_f32_e32 v26, 0x3fb8aa3b, v26
	v_mul_f32_e32 v27, 0x3fb8aa3b, v27
	;; [unrolled: 1-line block ×4, first 2 shown]
	v_mfma_f32_16x16x16_bf16 a[8:11], v[142:143], v[20:21], a[8:11]
	v_exp_f32_e32 v26, v26
	v_exp_f32_e32 v27, v27
	;; [unrolled: 1-line block ×4, first 2 shown]
	v_accvgpr_read_b32 v33, a5
	v_accvgpr_read_b32 v32, a4
	v_accvgpr_read_b32 v19, a7
	v_accvgpr_read_b32 v18, a6
	v_pk_add_f32 v[30:31], v[30:31], v[32:33] neg_lo:[0,1] neg_hi:[0,1]
	s_waitcnt vmcnt(13)
	v_lshlrev_b32_e32 v33, 16, v147
	s_waitcnt vmcnt(12)
	v_lshlrev_b32_e32 v32, 16, v148
	v_pk_add_f32 v[18:19], v[32:33], v[18:19] neg_lo:[0,1] neg_hi:[0,1]
	v_pk_mul_f32 v[30:31], v[26:27], v[30:31]
	v_pk_mul_f32 v[18:19], v[28:29], v[18:19]
	v_accvgpr_read_b32 v33, a9
	v_perm_b32 v19, v19, v18, s3
	v_perm_b32 v18, v31, v30, s3
	v_accvgpr_read_b32 v32, a8
	v_accvgpr_read_b32 v21, a11
	v_mfma_f32_16x16x16_bf16 a[12:15], v[142:143], v[24:25], a[12:15]
	v_accvgpr_read_b32 v20, a10
	v_accvgpr_read_b32 v25, a3
	;; [unrolled: 1-line block ×3, first 2 shown]
	v_mov_b32_e32 v135, 0
	s_waitcnt vmcnt(11)
	v_lshlrev_b32_e32 v31, 16, v138
	s_waitcnt vmcnt(10)
	v_lshlrev_b32_e32 v30, 16, v139
	v_pk_add_f32 v[30:31], v[30:31], v[32:33] neg_lo:[0,1] neg_hi:[0,1]
	s_waitcnt vmcnt(9)
	v_lshlrev_b32_e32 v33, 16, v149
	s_waitcnt vmcnt(8)
	v_lshlrev_b32_e32 v32, 16, v150
	v_pk_add_f32 v[20:21], v[32:33], v[20:21] neg_lo:[0,1] neg_hi:[0,1]
	v_pk_mul_f32 v[30:31], v[26:27], v[30:31]
	v_pk_mul_f32 v[20:21], v[28:29], v[20:21]
	v_accvgpr_read_b32 v23, a15
	v_perm_b32 v21, v21, v20, s3
	v_perm_b32 v20, v31, v30, s3
	ds_write2_b64 v87, v[18:19], v[20:21] offset1:16
	v_accvgpr_read_b32 v21, a13
	s_waitcnt vmcnt(7)
	v_lshlrev_b32_e32 v19, 16, v151
	s_waitcnt vmcnt(6)
	v_lshlrev_b32_e32 v18, 16, v152
	v_accvgpr_read_b32 v20, a12
	v_accvgpr_read_b32 v22, a14
	v_pk_add_f32 v[18:19], v[18:19], v[20:21] neg_lo:[0,1] neg_hi:[0,1]
	s_waitcnt vmcnt(5)
	v_lshlrev_b32_e32 v21, 16, v153
	s_waitcnt vmcnt(4)
	v_lshlrev_b32_e32 v20, 16, v154
	v_pk_add_f32 v[20:21], v[20:21], v[22:23] neg_lo:[0,1] neg_hi:[0,1]
	v_pk_mul_f32 v[18:19], v[26:27], v[18:19]
	v_pk_mul_f32 v[20:21], v[28:29], v[20:21]
	v_accvgpr_read_b32 v23, a1
	v_perm_b32 v21, v21, v20, s3
	v_perm_b32 v20, v19, v18, s3
	s_waitcnt vmcnt(3)
	v_lshlrev_b32_e32 v19, 16, v140
	s_waitcnt vmcnt(2)
	v_lshlrev_b32_e32 v18, 16, v141
	v_accvgpr_read_b32 v22, a0
	v_pk_add_f32 v[18:19], v[18:19], v[22:23] neg_lo:[0,1] neg_hi:[0,1]
	s_waitcnt vmcnt(1)
	v_lshlrev_b32_e32 v23, 16, v155
	s_waitcnt vmcnt(0)
	v_lshlrev_b32_e32 v22, 16, v156
	v_pk_add_f32 v[22:23], v[22:23], v[24:25] neg_lo:[0,1] neg_hi:[0,1]
	v_pk_mul_f32 v[18:19], v[26:27], v[18:19]
	v_pk_mul_f32 v[22:23], v[28:29], v[22:23]
	v_mov_b32_e32 v24, 0
	v_perm_b32 v23, v23, v22, s3
	v_perm_b32 v22, v19, v18, s3
	ds_write2_b64 v87, v[20:21], v[22:23] offset0:32 offset1:48
	v_mov_b32_e32 v18, 0
	v_mov_b32_e32 v19, 0
	;; [unrolled: 1-line block ×15, first 2 shown]
	s_cbranch_vccnz .LBB118_15
; %bb.14:                               ;   in Loop: Header=BB118_7 Depth=1
	s_and_b32 s29, s29, 0xffff
	s_mov_b32 s31, s27
	buffer_load_dwordx4 v[30:33], v124, s[28:31], 0 offen
	buffer_load_dwordx4 v[22:25], v124, s[28:31], s58 offen
	;; [unrolled: 1-line block ×4, first 2 shown]
	v_mov_b32_e32 v134, v81
	v_mov_b32_e32 v135, v80
.LBB118_15:                             ;   in Loop: Header=BB118_7 Depth=1
	s_waitcnt lgkmcnt(0)
	s_barrier
	ds_read_b64 v[144:145], v127
	ds_read2_b64 v[136:139], v117 offset1:16
	ds_read_b64 v[160:161], v128
	ds_read_b64 v[162:163], v129
	;; [unrolled: 1-line block ×3, first 2 shown]
	ds_read2_b64 v[140:143], v117 offset0:32 offset1:48
	s_waitcnt lgkmcnt(4)
	v_mfma_f32_16x16x16_bf16 a[0:3], v[144:145], v[136:137], 0
	ds_read2st64_b64 v[148:151], v119 offset0:4 offset1:8
	ds_read2st64_b64 v[152:155], v120 offset0:4 offset1:8
	;; [unrolled: 1-line block ×3, first 2 shown]
	v_mfma_f32_16x16x16_bf16 a[4:7], v[144:145], v[138:139], 0
	s_add_i32 s25, s50, s61
	s_mul_hi_i32 s29, s25, s33
	s_mul_i32 s25, s25, s33
	s_waitcnt lgkmcnt(3)
	v_mfma_f32_16x16x16_bf16 a[8:11], v[144:145], v[140:141], 0
	s_add_u32 s28, s25, s45
	s_addc_u32 s29, s29, s56
	s_lshl_b64 s[28:29], s[28:29], 15
	v_mfma_f32_16x16x16_bf16 a[12:15], v[144:145], v[142:143], 0
	ds_read2st64_b64 v[144:147], v117 offset0:4 offset1:8
	s_waitcnt lgkmcnt(0)
	v_mfma_f32_16x16x16_bf16 a[0:3], v[160:161], v[144:145], a[0:3]
	v_mfma_f32_16x16x16_bf16 a[4:7], v[160:161], v[148:149], a[4:7]
	;; [unrolled: 1-line block ×8, first 2 shown]
	ds_read_b64 v[160:161], v117 offset:6144
	ds_read_b64 v[162:163], v118 offset:40960
	ds_read_b64 v[166:167], v116 offset:40960
	ds_read_b64 v[168:169], v119 offset:6144
	ds_read_b64 v[170:171], v120 offset:6144
	ds_read_b64 v[172:173], v121 offset:6144
	ds_read_b64 v[174:175], v122 offset:40960
	ds_read_b64 v[176:177], v123 offset:40960
	s_waitcnt lgkmcnt(5)
	v_mfma_f32_16x16x16_bf16 a[16:19], v[166:167], v[136:137], 0
	v_mfma_f32_16x16x16_bf16 a[20:23], v[166:167], v[138:139], 0
	ds_read2st64_b64 v[136:139], v114 offset1:8
	v_mfma_f32_16x16x16_bf16 a[24:27], v[166:167], v[140:141], 0
	v_mfma_f32_16x16x16_bf16 a[28:31], v[166:167], v[142:143], 0
	ds_read2st64_b64 v[140:143], v115 offset1:8
	v_mfma_f32_16x16x16_bf16 a[16:19], v[162:163], v[144:145], a[16:19]
	s_waitcnt lgkmcnt(1)
	v_mov_b32_e32 v144, v136
	v_mov_b32_e32 v145, v137
	v_mfma_f32_16x16x16_bf16 a[20:23], v[162:163], v[148:149], a[20:23]
	v_lshl_add_u64 v[148:149], v[70:71], 0, s[28:29]
	v_mfma_f32_16x16x16_bf16 a[24:27], v[162:163], v[152:153], a[24:27]
	v_mfma_f32_16x16x16_bf16 a[28:31], v[162:163], v[156:157], a[28:31]
	v_mfma_f32_16x16x16_bf16 a[16:19], v[174:175], v[146:147], a[16:19]
	s_waitcnt lgkmcnt(0)
	v_mov_b32_e32 v146, v140
	v_mov_b32_e32 v147, v141
	;; [unrolled: 1-line block ×3, first 2 shown]
	v_mfma_f32_16x16x16_bf16 a[32:35], v[174:175], v[150:151], a[20:23]
	v_mov_b32_e32 v141, v139
	ds_read2st64_b64 v[136:139], v114 offset0:16 offset1:24
	global_store_dwordx4 v[148:149], v[144:147], off
	v_mfma_f32_16x16x16_bf16 a[24:27], v[174:175], v[154:155], a[24:27]
	ds_read2st64_b64 v[144:147], v115 offset0:16 offset1:24
	v_add_co_u32_e32 v150, vcc, s21, v148
	v_mfma_f32_16x16x16_bf16 a[28:31], v[174:175], v[158:159], a[28:31]
	s_nop 0
	v_addc_co_u32_e32 v151, vcc, 0, v149, vcc
	global_store_dwordx4 v[150:151], v[140:143], off offset:-4096
	v_mfma_f32_16x16x16_bf16 a[0:3], v[164:165], v[160:161], a[0:3]
	s_waitcnt lgkmcnt(1)
	v_mov_b32_e32 v140, v136
	v_add_co_u32_e32 v136, vcc, s62, v148
	v_mfma_f32_16x16x16_bf16 a[4:7], v[164:165], v[168:169], a[4:7]
	v_mov_b32_e32 v141, v137
	v_addc_co_u32_e32 v137, vcc, 0, v149, vcc
	v_mfma_f32_16x16x16_bf16 a[8:11], v[164:165], v[170:171], a[8:11]
	s_waitcnt lgkmcnt(0)
	v_mov_b32_e32 v142, v144
	v_mov_b32_e32 v143, v145
	;; [unrolled: 1-line block ×3, first 2 shown]
	v_mfma_f32_16x16x16_bf16 a[12:15], v[164:165], v[172:173], a[12:15]
	v_mov_b32_e32 v145, v139
	s_and_b64 vcc, exec, s[0:1]
	global_store_dwordx4 v[150:151], v[140:143], off
	v_mfma_f32_16x16x16_bf16 a[20:23], v[176:177], v[160:161], a[16:19]
	global_store_dwordx4 v[136:137], v[144:147], off
	v_mfma_f32_16x16x16_bf16 a[16:19], v[176:177], v[168:169], a[32:35]
	v_mfma_f32_16x16x16_bf16 a[24:27], v[176:177], v[170:171], a[24:27]
	v_mfma_f32_16x16x16_bf16 a[28:31], v[176:177], v[172:173], a[28:31]
	s_cbranch_vccnz .LBB118_6
; %bb.16:                               ;   in Loop: Header=BB118_7 Depth=1
	v_lshrrev_b32_e32 v136, 3, v134
	v_and_b32_e32 v136, 6, v136
	v_xor_b32_e32 v135, v136, v135
	v_lshlrev_b32_e32 v135, 2, v135
	v_and_b32_e32 v134, 8, v134
	v_xor_b32_e32 v137, 0x440, v135
	v_cmp_eq_u32_e32 vcc, 0, v134
	s_barrier
	s_nop 0
	v_cndmask_b32_e32 v134, v137, v135, vcc
	v_lshl_or_b32 v134, v136, 10, v134
	s_waitcnt vmcnt(5)
	v_perm_b32 v135, v30, v26, s59
	s_waitcnt vmcnt(4)
	v_perm_b32 v136, v22, v18, s59
	ds_write2st64_b32 v134, v135, v136 offset0:128 offset1:160
	v_xor_b32_e32 v135, 8, v134
	v_perm_b32 v26, v30, v26, s60
	v_perm_b32 v18, v22, v18, s60
	v_add_u32_e32 v22, 0x80, v135
	ds_write2st64_b32 v22, v26, v18 offset0:128 offset1:160
	v_xor_b32_e32 v18, 16, v134
	v_perm_b32 v22, v31, v27, s59
	v_perm_b32 v26, v23, v19, s59
	ds_write2st64_b32 v18, v22, v26 offset0:129 offset1:161
	v_xor_b32_e32 v18, 24, v134
	v_perm_b32 v22, v31, v27, s60
	v_perm_b32 v19, v23, v19, s60
	v_add_u32_e32 v18, 0x80, v18
	ds_write2st64_b32 v18, v22, v19 offset0:129 offset1:161
	v_xor_b32_e32 v18, 32, v134
	v_perm_b32 v19, v32, v28, s59
	;; [unrolled: 9-line block ×3, first 2 shown]
	v_perm_b32 v20, v25, v21, s59
	ds_write2st64_b32 v18, v19, v20 offset0:131 offset1:163
	v_xor_b32_e32 v18, 56, v134
	v_perm_b32 v19, v33, v29, s60
	v_perm_b32 v20, v25, v21, s60
	v_add_u32_e32 v18, 0x80, v18
	ds_write2st64_b32 v18, v19, v20 offset0:131 offset1:163
	ds_write_b64 v133, v[14:15] offset:49152
	v_xor_b32_e32 v14, 8, v133
	ds_write_b64 v14, v[16:17] offset:49152
	ds_write_b64 v133, v[10:11] offset:57344
	;; [unrolled: 1-line block ×4, first 2 shown]
	v_xor_b32_e32 v6, 8, v132
	ds_write_b64 v6, v[8:9] offset:49152
	ds_write_b64 v132, v[2:3] offset:57344
	;; [unrolled: 1-line block ×3, first 2 shown]
	s_branch .LBB118_6
.LBB118_17:
	s_lshl_b32 s3, s49, 6
	s_sub_i32 s54, s54, s3
	s_cmp_gt_i32 s54, 0
	v_or_b32_e32 v18, s2, v76
	s_cbranch_scc1 .LBB118_19
; %bb.18:
	s_ashr_i32 s29, s45, 31
	v_or_b32_e32 v2, s2, v76
	s_cbranch_execz .LBB118_20
	s_branch .LBB118_100
.LBB118_19:
                                        ; implicit-def: $vgpr2
                                        ; implicit-def: $sgpr28_sgpr29
.LBB118_20:
	s_add_i32 s28, s3, s36
	s_ashr_i32 s3, s28, 31
	s_cmpk_lg_i32 s19, 0x80
	s_cselect_b64 s[40:41], -1, 0
	s_and_b64 vcc, exec, s[40:41]
	s_cbranch_vccz .LBB118_22
; %bb.21:
	s_mul_hi_i32 s0, s28, s18
	s_mul_i32 s1, s28, s18
	s_ashr_i32 s18, s53, 31
	s_add_u32 s42, s1, s53
	s_addc_u32 s43, s0, s18
	s_cbranch_execz .LBB118_23
	s_branch .LBB118_24
.LBB118_22:
                                        ; implicit-def: $sgpr42_sgpr43
.LBB118_23:
	s_mul_i32 s1, s53, s16
	s_mul_hi_i32 s0, s53, s16
	s_add_u32 s42, s1, s28
	s_addc_u32 s43, s0, s3
.LBB118_24:
	s_add_i32 s16, s49, s50
	s_ashr_i32 s29, s45, 31
	s_add_u32 s0, s52, s28
	v_lshlrev_b32_e32 v6, 6, v1
	v_lshlrev_b32_e32 v26, 2, v76
	s_addc_u32 s1, s51, s3
	s_mov_b32 s3, 0x7060302
	v_or_b32_e32 v9, v6, v26
	v_xor_b32_e32 v7, v1, v26
	v_perm_b32 v3, v65, v64, s3
	v_perm_b32 v2, v63, v62, s3
	;; [unrolled: 1-line block ×4, first 2 shown]
	v_lshlrev_b32_e32 v9, 1, v9
	v_xor_b32_e32 v8, v79, v26
	ds_write2st64_b64 v9, v[2:3], v[4:5] offset0:32 offset1:48
	v_lshlrev_b32_e32 v7, 1, v7
	v_lshlrev_b32_e32 v9, 8, v76
	v_or_b32_e32 v10, v7, v9
	v_lshlrev_b32_e32 v8, 1, v8
	ds_write_b64 v10, v[2:3]
	v_or_b32_e32 v2, v8, v9
	v_or_b32_e32 v9, 16, v76
	v_lshlrev_b32_e32 v25, 2, v9
	v_or_b32_e32 v10, v6, v25
	ds_write_b64 v2, v[4:5]
	v_perm_b32 v3, v57, v56, s3
	v_perm_b32 v2, v55, v54, s3
	;; [unrolled: 1-line block ×4, first 2 shown]
	v_lshlrev_b32_e32 v10, 1, v10
	v_lshlrev_b32_e32 v9, 8, v9
	ds_write2st64_b64 v10, v[2:3], v[4:5] offset0:32 offset1:48
	v_or_b32_e32 v10, v7, v9
	ds_write_b64 v10, v[2:3]
	v_or_b32_e32 v2, v8, v9
	v_or_b32_e32 v9, 32, v76
	v_lshlrev_b32_e32 v24, 2, v9
	v_or_b32_e32 v10, v6, v24
	ds_write_b64 v2, v[4:5]
	v_perm_b32 v3, v49, v48, s3
	v_perm_b32 v2, v47, v46, s3
	;; [unrolled: 1-line block ×4, first 2 shown]
	v_lshlrev_b32_e32 v10, 1, v10
	v_lshlrev_b32_e32 v9, 8, v9
	s_lshl_b64 s[30:31], s[0:1], 8
	ds_write2st64_b64 v10, v[2:3], v[4:5] offset0:32 offset1:48
	v_or_b32_e32 v10, v7, v9
	s_add_u32 s0, s6, s30
	ds_write_b64 v10, v[2:3]
	v_or_b32_e32 v2, v8, v9
	s_addc_u32 s1, s7, s31
	ds_write_b64 v2, v[4:5]
	v_perm_b32 v3, v41, v40, s3
	v_perm_b32 v2, v39, v38, s3
	v_perm_b32 v5, v35, v34, s3
	v_perm_b32 v4, v37, v36, s3
	v_or_b32_e32 v9, 48, v76
	s_mul_hi_i32 s3, s16, s17
	s_mul_i32 s16, s16, s17
	v_lshlrev_b32_e32 v21, 2, v9
	s_add_u32 s6, s16, s45
	v_or_b32_e32 v6, v6, v21
	s_addc_u32 s7, s3, s29
	v_lshlrev_b32_e32 v6, 1, v6
	s_ashr_i32 s3, s2, 31
	s_lshl_b64 s[6:7], s[6:7], 15
	ds_write2st64_b64 v6, v[2:3], v[4:5] offset0:32 offset1:48
	v_lshlrev_b32_e32 v6, 8, v9
	s_add_u32 s6, s38, s6
	v_or_b32_e32 v7, v7, v6
	s_addc_u32 s7, s39, s7
	s_lshl_b64 s[2:3], s[2:3], 8
	ds_write_b64 v7, v[2:3]
	v_or_b32_e32 v2, v8, v6
	s_add_u32 s2, s6, s2
	v_lshlrev_b32_e32 v3, 1, v76
	ds_write_b64 v2, v[4:5]
	v_lshrrev_b32_e32 v2, 4, v0
	s_addc_u32 s3, s7, s3
	v_or_b32_e32 v4, 1, v3
	v_lshlrev_b32_e32 v10, 4, v76
	v_mov_b32_e32 v11, 0
	v_xor_b32_e32 v3, v2, v3
	v_xor_b32_e32 v6, v4, v2
	v_lshl_add_u64 v[12:13], s[2:3], 0, v[10:11]
	v_lshlrev_b32_e32 v10, 8, v2
	v_lshl_or_b32 v16, v3, 3, v10
	v_lshl_or_b32 v17, v6, 3, v10
	s_waitcnt lgkmcnt(0)
	s_barrier
	ds_read2st64_b64 v[2:5], v16 offset1:8
	ds_read2st64_b64 v[6:9], v17 offset1:8
	v_lshl_add_u64 v[14:15], v[12:13], 0, v[10:11]
	s_movk_i32 s2, 0x2000
	s_cmp_lg_u32 s54, 64
	s_waitcnt lgkmcnt(1)
	v_mov_b32_e32 v10, v2
	v_mov_b32_e32 v11, v3
	s_waitcnt lgkmcnt(0)
	v_mov_b32_e32 v12, v6
	v_mov_b32_e32 v13, v7
	global_store_dwordx4 v[14:15], v[10:13], off
	v_mov_b32_e32 v6, v4
	v_mov_b32_e32 v7, v5
	ds_read2st64_b64 v[2:5], v16 offset0:16 offset1:24
	ds_read2st64_b64 v[10:13], v17 offset0:16 offset1:24
	v_add_co_u32_e32 v16, vcc, s2, v14
	s_cselect_b64 s[6:7], -1, 0
	s_nop 0
	v_addc_co_u32_e32 v17, vcc, 0, v15, vcc
	global_store_dwordx4 v[16:17], v[6:9], off offset:-4096
	v_lshl_or_b32 v19, v72, 3, v78
	s_mov_b32 s24, 0
	s_waitcnt lgkmcnt(1)
	v_mov_b32_e32 v6, v2
	v_add_co_u32_e32 v2, vcc, 0x3000, v14
	v_mov_b32_e32 v7, v3
	s_nop 0
	v_addc_co_u32_e32 v3, vcc, 0, v15, vcc
	s_waitcnt lgkmcnt(0)
	v_mov_b32_e32 v8, v10
	v_mov_b32_e32 v9, v11
	;; [unrolled: 1-line block ×4, first 2 shown]
	v_or_b32_e32 v22, 32, v19
	v_and_b32_e32 v20, 56, v77
	s_and_b64 vcc, exec, s[6:7]
	global_store_dwordx4 v[16:17], v[6:9], off
	global_store_dwordx4 v[2:3], v[10:13], off
	s_cbranch_vccz .LBB118_30
; %bb.25:
	s_mov_b32 s25, s24
	s_mov_b32 s26, s24
	;; [unrolled: 1-line block ×3, first 2 shown]
	v_mov_b64_e32 v[6:7], s[24:25]
	v_mov_b64_e32 v[8:9], s[26:27]
	;; [unrolled: 1-line block ×3, first 2 shown]
	v_cmp_gt_i32_e32 vcc, s54, v19
	v_mov_b64_e32 v[4:5], v[8:9]
	s_and_saveexec_b64 s[2:3], vcc
	s_cbranch_execz .LBB118_27
; %bb.26:
	v_lshlrev_b32_e32 v2, 8, v19
	v_mov_b32_e32 v3, 0
	v_lshl_add_u64 v[4:5], s[0:1], 0, v[2:3]
	v_lshlrev_b32_e32 v2, 1, v20
	v_lshl_add_u64 v[10:11], v[4:5], 0, v[2:3]
	global_load_dwordx4 v[6:9], v[10:11], off
	global_load_dwordx4 v[2:5], v[10:11], off offset:128
.LBB118_27:
	s_or_b64 exec, exec, s[2:3]
	s_mov_b32 s25, s24
	s_mov_b32 s26, s24
	;; [unrolled: 1-line block ×3, first 2 shown]
	v_mov_b64_e32 v[14:15], s[24:25]
	v_mov_b64_e32 v[16:17], s[26:27]
	;; [unrolled: 1-line block ×3, first 2 shown]
	v_cmp_gt_i32_e32 vcc, s54, v22
	v_lshlrev_b32_e32 v23, 7, v22
	v_mov_b64_e32 v[12:13], v[16:17]
	s_and_saveexec_b64 s[2:3], vcc
	s_cbranch_execz .LBB118_29
; %bb.28:
	v_lshlrev_b32_e32 v10, 1, v23
	v_mov_b32_e32 v11, 0
	v_lshl_add_u64 v[12:13], s[0:1], 0, v[10:11]
	v_lshlrev_b32_e32 v10, 1, v20
	v_lshl_add_u64 v[28:29], v[12:13], 0, v[10:11]
	global_load_dwordx4 v[14:17], v[28:29], off
	global_load_dwordx4 v[10:13], v[28:29], off offset:128
.LBB118_29:
	s_or_b64 exec, exec, s[2:3]
	v_lshrrev_b32_e32 v27, 3, v20
	v_lshlrev_b32_e32 v28, 3, v19
	v_or_b32_e32 v27, v28, v27
	v_lshlrev_b32_e32 v27, 4, v27
	v_and_b32_e32 v28, 0x78, v28
	v_xor_b32_e32 v27, v27, v28
	s_branch .LBB118_32
.LBB118_30:
                                        ; implicit-def: $vgpr27
                                        ; implicit-def: $vgpr23
                                        ; implicit-def: $vgpr6_vgpr7_vgpr8_vgpr9
                                        ; implicit-def: $vgpr2_vgpr3_vgpr4_vgpr5
                                        ; implicit-def: $vgpr14_vgpr15_vgpr16_vgpr17
                                        ; implicit-def: $vgpr10_vgpr11_vgpr12_vgpr13
	s_cbranch_execz .LBB118_32
; %bb.31:
	s_waitcnt vmcnt(0)
	v_lshlrev_b32_e32 v2, 1, v20
	v_lshl_or_b32 v23, v19, 8, v2
	s_and_b32 s1, s1, 0xffff
	s_mov_b32 s3, 0x20000
	s_movk_i32 s2, 0x4000
	v_lshl_or_b32 v27, v22, 8, v2
	s_movk_i32 s16, 0x80
	buffer_load_dwordx4 v[6:9], v23, s[0:3], 0 offen
	buffer_load_dwordx4 v[2:5], v23, s[0:3], s16 offen
	buffer_load_dwordx4 v[14:17], v27, s[0:3], 0 offen
	buffer_load_dwordx4 v[10:13], v27, s[0:3], s16 offen
	v_lshrrev_b32_e32 v23, 3, v20
	v_lshlrev_b32_e32 v27, 3, v19
	v_or_b32_e32 v23, v27, v23
	v_lshlrev_b32_e32 v23, 4, v23
	v_and_b32_e32 v27, 0x78, v27
	v_xor_b32_e32 v27, v23, v27
	v_lshlrev_b32_e32 v23, 7, v22
.LBB118_32:
	s_movk_i32 s0, 0x1000
	v_and_or_b32 v22, v23, s0, v27
	s_waitcnt vmcnt(1)
	ds_write_b64 v27, v[6:7] offset:49152
	v_xor_b32_e32 v6, 8, v27
	ds_write_b64 v6, v[8:9] offset:49152
	s_waitcnt vmcnt(0)
	ds_write_b64 v27, v[2:3] offset:57344
	ds_write_b64 v6, v[4:5] offset:57344
	;; [unrolled: 1-line block ×3, first 2 shown]
	v_xor_b32_e32 v2, 8, v22
	ds_write_b64 v2, v[16:17] offset:49152
	ds_write_b64 v22, v[10:11] offset:57344
	;; [unrolled: 1-line block ×3, first 2 shown]
	v_or_b32_e32 v2, v73, v76
	v_lshlrev_b32_e32 v2, 3, v2
	v_lshrrev_b32_e32 v3, 5, v74
	s_movk_i32 s0, 0xf8
	v_and_or_b32 v3, v2, s0, v3
	v_lshlrev_b32_e32 v7, 4, v3
	v_lshlrev_b32_e32 v27, 11, v72
	v_and_b32_e32 v8, 0x78, v2
	v_or_b32_e32 v10, 32, v7
	v_and_b32_e32 v6, 0x1000, v27
	v_lshrrev_b32_e32 v3, 1, v74
	v_xor_b32_e32 v10, v10, v8
	v_xor_b32_e32 v2, v7, v8
	v_and_b32_e32 v9, 8, v3
	v_or_b32_e32 v10, v10, v6
	v_or_b32_e32 v2, v2, v6
	v_xor_b32_e32 v33, v10, v9
	v_or_b32_e32 v10, 64, v7
	v_xor_b32_e32 v32, v2, v9
	v_xor_b32_e32 v10, v10, v8
	s_waitcnt lgkmcnt(0)
	s_barrier
	v_or_b32_e32 v13, v10, v6
	ds_read_b64 v[10:11], v32 offset:49152
	v_lshl_or_b32 v14, v75, 8, v26
	v_lshlrev_b32_e32 v28, 1, v14
	v_add_u32_e32 v12, 0x4000, v28
	ds_read2_b64 v[2:5], v12 offset1:16
	v_or_b32_e32 v7, 0x60, v7
	v_xor_b32_e32 v7, v7, v8
	v_or_b32_e32 v6, v7, v6
	v_xor_b32_e32 v66, v13, v9
	v_xor_b32_e32 v67, v6, v9
	ds_read_b64 v[22:23], v33 offset:49152
	ds_read_b64 v[68:69], v66 offset:49152
	;; [unrolled: 1-line block ×3, first 2 shown]
	s_waitcnt lgkmcnt(3)
	v_mfma_f32_16x16x16_bf16 a[0:3], v[10:11], v[2:3], 0
	ds_read2_b64 v[6:9], v12 offset0:32 offset1:48
	s_lshl_b64 s[0:1], s[42:43], 8
	s_add_u32 s4, s4, s0
	v_mfma_f32_16x16x16_bf16 a[4:7], v[10:11], v[4:5], 0
	ds_read2st64_b64 v[2:5], v28 offset0:36 offset1:40
	s_addc_u32 s5, s5, s1
	s_add_i32 s2, s37, -1
	s_waitcnt lgkmcnt(1)
	v_mfma_f32_16x16x16_bf16 a[8:11], v[10:11], v[6:7], 0
	v_or_b32_e32 v6, 64, v14
	v_lshlrev_b32_e32 v29, 1, v6
	s_add_i32 s0, s47, s46
	s_waitcnt lgkmcnt(0)
	v_mfma_f32_16x16x16_bf16 a[0:3], v[22:23], v[2:3], a[0:3]
	v_or_b32_e32 v2, 0x80, v14
	v_lshlrev_b32_e32 v30, 1, v2
	v_or_b32_e32 v2, 0xc0, v14
	v_mfma_f32_16x16x16_bf16 a[12:15], v[10:11], v[8:9], 0
	ds_read2st64_b64 v[6:9], v29 offset0:36 offset1:40
	v_lshlrev_b32_e32 v31, 1, v2
	ds_read2st64_b64 v[10:13], v30 offset0:36 offset1:40
	ds_read2st64_b64 v[14:17], v31 offset0:36 offset1:40
	s_add_i32 s21, s0, s48
	s_mul_i32 s0, s45, s23
	s_mul_hi_u32 s1, s45, s22
	s_ashr_i32 s3, s2, 31
	s_mul_i32 s16, s2, s15
	s_mul_hi_u32 s17, s2, s14
	s_waitcnt lgkmcnt(2)
	v_mfma_f32_16x16x16_bf16 a[4:7], v[22:23], v[6:7], a[4:7]
	s_add_i32 s0, s1, s0
	s_mul_i32 s1, s29, s22
	s_add_i32 s16, s17, s16
	s_mul_i32 s3, s3, s14
	s_waitcnt lgkmcnt(1)
	v_mfma_f32_16x16x16_bf16 a[8:11], v[22:23], v[10:11], a[8:11]
	s_add_i32 s1, s0, s1
	s_add_i32 s3, s16, s3
	s_lshl_b64 s[16:17], s[20:21], 2
	s_waitcnt lgkmcnt(0)
	v_mfma_f32_16x16x16_bf16 a[12:15], v[22:23], v[14:15], a[12:15]
	s_mul_i32 s0, s45, s22
	s_add_u32 s10, s10, s16
	s_addc_u32 s11, s11, s17
	s_lshl_b64 s[0:1], s[0:1], 2
	v_mfma_f32_16x16x16_bf16 a[0:3], v[68:69], v[4:5], a[0:3]
	s_mul_i32 s2, s2, s14
	ds_read_b64 v[2:3], v28 offset:22528
	s_add_u32 s10, s10, s0
	v_mfma_f32_16x16x16_bf16 a[4:7], v[68:69], v[8:9], a[4:7]
	ds_read_b64 v[4:5], v29 offset:22528
	ds_read_b64 v[6:7], v30 offset:22528
	;; [unrolled: 1-line block ×3, first 2 shown]
	s_addc_u32 s11, s11, s1
	s_lshl_b64 s[0:1], s[2:3], 2
	v_mfma_f32_16x16x16_bf16 a[8:11], v[68:69], v[12:13], a[8:11]
	s_add_u32 s0, s10, s0
	s_addc_u32 s1, s11, s1
	s_load_dword s16, s[0:1], 0x0
	v_mfma_f32_16x16x16_bf16 a[12:15], v[68:69], v[16:17], a[12:15]
	s_and_b64 vcc, exec, s[40:41]
	s_waitcnt lgkmcnt(0)
	v_mfma_f32_16x16x16_bf16 a[0:3], v[70:71], v[2:3], a[0:3]
	v_mfma_f32_16x16x16_bf16 a[4:7], v[70:71], v[4:5], a[4:7]
	;; [unrolled: 1-line block ×4, first 2 shown]
	s_cbranch_vccz .LBB118_43
; %bb.33:
	v_lshlrev_b32_e32 v22, 1, v19
	s_and_b64 vcc, exec, s[6:7]
	s_cbranch_vccz .LBB118_44
; %bb.34:
	v_cmp_gt_i32_e32 vcc, s54, v22
	v_mov_b32_e32 v6, 0
	v_mov_b32_e32 v2, 0
	v_mov_b32_e32 v3, 0
	v_mov_b32_e32 v4, 0
	v_mov_b32_e32 v5, 0
	s_and_saveexec_b64 s[0:1], vcc
	s_cbranch_execz .LBB118_36
; %bb.35:
	v_mad_i64_i32 v[2:3], s[2:3], s19, v22, 0
	v_lshl_add_u64 v[2:3], v[2:3], 1, s[4:5]
	v_lshlrev_b32_e32 v4, 1, v20
	v_mov_b32_e32 v5, 0
	v_lshl_add_u64 v[2:3], v[2:3], 0, v[4:5]
	global_load_dwordx4 v[2:5], v[2:3], off
.LBB118_36:
	s_or_b64 exec, exec, s[0:1]
	v_or_b32_e32 v23, 1, v22
	v_cmp_gt_i32_e64 s[0:1], s54, v23
	v_mov_b32_e32 v7, 0
	v_mov_b32_e32 v8, 0
	;; [unrolled: 1-line block ×3, first 2 shown]
	s_and_saveexec_b64 s[2:3], s[0:1]
	s_cbranch_execz .LBB118_38
; %bb.37:
	v_mad_i64_i32 v[6:7], s[20:21], s19, v23, 0
	v_lshl_add_u64 v[6:7], v[6:7], 1, s[4:5]
	v_lshlrev_b32_e32 v8, 1, v20
	v_mov_b32_e32 v9, 0
	v_lshl_add_u64 v[6:7], v[6:7], 0, v[8:9]
	global_load_dwordx4 v[6:9], v[6:7], off
.LBB118_38:
	s_or_b64 exec, exec, s[2:3]
	v_mov_b32_e32 v17, 0
	v_mov_b32_e32 v10, 0
	;; [unrolled: 1-line block ×5, first 2 shown]
	s_and_saveexec_b64 s[2:3], vcc
	s_cbranch_execz .LBB118_40
; %bb.39:
	v_mad_i64_i32 v[10:11], s[20:21], s19, v22, 0
	v_lshl_add_u64 v[10:11], v[10:11], 1, s[4:5]
	v_lshlrev_b32_e32 v12, 1, v20
	v_mov_b32_e32 v13, 0
	v_lshl_add_u64 v[10:11], v[10:11], 0, v[12:13]
	global_load_dwordx4 v[10:13], v[10:11], off offset:128
.LBB118_40:
	s_or_b64 exec, exec, s[2:3]
	v_mov_b32_e32 v16, 0
	v_mov_b32_e32 v15, 0
	;; [unrolled: 1-line block ×3, first 2 shown]
	s_and_saveexec_b64 s[2:3], s[0:1]
	s_cbranch_execz .LBB118_42
; %bb.41:
	v_mad_i64_i32 v[14:15], s[0:1], s19, v23, 0
	v_lshl_add_u64 v[14:15], v[14:15], 1, s[4:5]
	v_lshlrev_b32_e32 v16, 1, v20
	v_mov_b32_e32 v17, 0
	v_lshl_add_u64 v[14:15], v[14:15], 0, v[16:17]
	global_load_dwordx4 v[14:17], v[14:15], off offset:128
.LBB118_42:
	s_or_b64 exec, exec, s[2:3]
	s_branch .LBB118_46
.LBB118_43:
                                        ; implicit-def: $vgpr5
                                        ; implicit-def: $vgpr9
                                        ; implicit-def: $vgpr13
                                        ; implicit-def: $vgpr17
	v_lshrrev_b32_e32 v68, 2, v74
	s_branch .LBB118_47
.LBB118_44:
                                        ; implicit-def: $vgpr5
                                        ; implicit-def: $vgpr9
                                        ; implicit-def: $vgpr13
                                        ; implicit-def: $vgpr17
	s_cbranch_execz .LBB118_46
; %bb.45:
	s_waitcnt vmcnt(0)
	v_mad_u64_u32 v[2:3], s[0:1], v22, s19, v[20:21]
	v_lshlrev_b32_e32 v22, 1, v2
	s_lshl_b32 s2, s19, 7
	s_and_b32 s1, s5, 0xffff
	s_mov_b32 s3, 0x20000
	s_mov_b32 s0, s4
	v_add_lshl_u32 v23, v2, s19, 1
	s_movk_i32 s17, 0x80
	buffer_load_dwordx4 v[2:5], v22, s[0:3], 0 offen
	buffer_load_dwordx4 v[10:13], v22, s[0:3], s17 offen
	;; [unrolled: 1-line block ×4, first 2 shown]
.LBB118_46:
	v_lshrrev_b32_e32 v68, 2, v74
	s_cbranch_execnz .LBB118_59
.LBB118_47:
	s_and_b64 vcc, exec, s[6:7]
	s_cbranch_vccz .LBB118_57
; %bb.48:
	s_waitcnt vmcnt(0)
	v_lshlrev_b32_e32 v7, 1, v19
	v_cmp_gt_i32_e32 vcc, s54, v7
	v_mov_b32_e32 v6, 0
	v_lshlrev_b32_e32 v14, 9, v19
	v_mov_b32_e32 v2, 0
	v_mov_b32_e32 v3, 0
	;; [unrolled: 1-line block ×4, first 2 shown]
	s_and_saveexec_b64 s[0:1], vcc
	s_cbranch_execz .LBB118_50
; %bb.49:
	v_mov_b32_e32 v15, 0
	v_lshl_add_u64 v[2:3], s[4:5], 0, v[14:15]
	v_lshlrev_b32_e32 v4, 1, v20
	v_mov_b32_e32 v5, v15
	v_lshl_add_u64 v[2:3], v[2:3], 0, v[4:5]
	global_load_dwordx4 v[2:5], v[2:3], off
.LBB118_50:
	s_or_b64 exec, exec, s[0:1]
	v_or_b32_e32 v7, 1, v7
	v_cmp_gt_i32_e64 s[0:1], s54, v7
	v_lshlrev_b32_e32 v22, 8, v7
	v_mov_b32_e32 v7, 0
	v_mov_b32_e32 v8, 0
	v_mov_b32_e32 v9, 0
	s_and_saveexec_b64 s[2:3], s[0:1]
	s_cbranch_execz .LBB118_52
; %bb.51:
	v_mov_b32_e32 v23, 0
	v_lshl_add_u64 v[6:7], s[4:5], 0, v[22:23]
	v_lshlrev_b32_e32 v8, 1, v20
	v_mov_b32_e32 v9, v23
	v_lshl_add_u64 v[6:7], v[6:7], 0, v[8:9]
	global_load_dwordx4 v[6:9], v[6:7], off
.LBB118_52:
	s_or_b64 exec, exec, s[2:3]
	v_mov_b32_e32 v17, 0
	v_mov_b32_e32 v10, 0
	;; [unrolled: 1-line block ×5, first 2 shown]
	s_and_saveexec_b64 s[2:3], vcc
	s_cbranch_execz .LBB118_54
; %bb.53:
	v_mov_b32_e32 v15, 0
	v_lshl_add_u64 v[10:11], s[4:5], 0, v[14:15]
	v_lshlrev_b32_e32 v14, 1, v20
	v_lshl_add_u64 v[10:11], v[10:11], 0, v[14:15]
	global_load_dwordx4 v[10:13], v[10:11], off offset:128
.LBB118_54:
	s_or_b64 exec, exec, s[2:3]
	v_mov_b32_e32 v16, 0
	v_mov_b32_e32 v15, 0
	;; [unrolled: 1-line block ×3, first 2 shown]
	s_and_saveexec_b64 s[2:3], s[0:1]
	s_cbranch_execz .LBB118_56
; %bb.55:
	v_mov_b32_e32 v23, 0
	v_lshl_add_u64 v[14:15], s[4:5], 0, v[22:23]
	v_lshlrev_b32_e32 v22, 1, v20
	v_lshl_add_u64 v[14:15], v[14:15], 0, v[22:23]
	global_load_dwordx4 v[14:17], v[14:15], off offset:128
.LBB118_56:
	s_or_b64 exec, exec, s[2:3]
	s_branch .LBB118_59
.LBB118_57:
                                        ; implicit-def: $vgpr5
                                        ; implicit-def: $vgpr9
                                        ; implicit-def: $vgpr13
                                        ; implicit-def: $vgpr17
	s_cbranch_execz .LBB118_59
; %bb.58:
	s_waitcnt vmcnt(0)
	v_lshlrev_b32_e32 v2, 1, v20
	v_lshl_or_b32 v20, v19, 9, v2
	s_and_b32 s5, s5, 0xffff
	s_mov_b32 s7, 0x20000
	s_movk_i32 s6, 0x4000
	s_movk_i32 s0, 0x80
	buffer_load_dwordx4 v[2:5], v20, s[4:7], 0 offen
	buffer_load_dwordx4 v[6:9], v20, s[4:7], 0 offen offset:256
	buffer_load_dwordx4 v[10:13], v20, s[4:7], s0 offen
	buffer_load_dwordx4 v[14:17], v20, s[4:7], s0 offen offset:256
.LBB118_59:
	ds_read_b64 v[22:23], v32 offset:57344
	v_add_u32_e32 v20, 0x6000, v28
	ds_read2_b64 v[74:77], v20 offset1:16
	ds_read_b64 v[32:33], v33 offset:57344
	ds_read_b64 v[70:71], v66 offset:57344
	;; [unrolled: 1-line block ×3, first 2 shown]
	ds_read2st64_b64 v[78:81], v28 offset0:52 offset1:56
	v_and_b32_e32 v69, 1, v0
	v_cmp_eq_u32_e32 vcc, 0, v69
	s_mov_b32 s0, 0x1000504
	s_mov_b32 s1, 0x3020706
	s_waitcnt lgkmcnt(4)
	v_mfma_f32_16x16x16_bf16 a[0:3], v[22:23], v[74:75], a[0:3]
	v_mfma_f32_16x16x16_bf16 a[4:7], v[22:23], v[76:77], a[4:7]
	ds_read2_b64 v[74:77], v20 offset0:32 offset1:48
	v_and_b32_e32 v20, 6, v0
	v_xor_b32_e32 v19, v19, v20
	s_waitcnt lgkmcnt(0)
	v_mfma_f32_16x16x16_bf16 a[8:11], v[22:23], v[74:75], a[8:11]
	v_lshlrev_b32_e32 v19, 2, v19
	v_mfma_f32_16x16x16_bf16 a[12:15], v[22:23], v[76:77], a[12:15]
	ds_read2st64_b64 v[74:77], v29 offset0:52 offset1:56
	ds_read2st64_b64 v[82:85], v30 offset0:52 offset1:56
	;; [unrolled: 1-line block ×3, first 2 shown]
	s_waitcnt lgkmcnt(2)
	v_mfma_f32_16x16x16_bf16 a[4:7], v[32:33], v[74:75], a[4:7]
	v_xor_b32_e32 v74, 0x440, v19
	v_cndmask_b32_e32 v19, v74, v19, vcc
	v_lshl_or_b32 v19, v20, 10, v19
	v_mfma_f32_16x16x16_bf16 a[0:3], v[32:33], v[78:79], a[0:3]
	s_waitcnt vmcnt(0)
	v_perm_b32 v20, v2, v6, s0
	ds_read_b64 v[22:23], v28 offset:30720
	ds_read_b64 v[78:79], v29 offset:30720
	;; [unrolled: 1-line block ×4, first 2 shown]
	v_perm_b32 v2, v2, v6, s1
	s_waitcnt lgkmcnt(5)
	v_mfma_f32_16x16x16_bf16 a[8:11], v[32:33], v[82:83], a[8:11]
	v_perm_b32 v6, v10, v14, s1
	s_waitcnt lgkmcnt(4)
	v_mfma_f32_16x16x16_bf16 a[12:15], v[32:33], v[86:87], a[12:15]
	v_perm_b32 v32, v10, v14, s0
	ds_write2st64_b32 v19, v20, v32 offset0:128 offset1:160
	v_xor_b32_e32 v20, 8, v19
	v_add_u32_e32 v10, 0x80, v20
	ds_write2st64_b32 v10, v2, v6 offset0:128 offset1:160
	v_xor_b32_e32 v2, 16, v19
	v_perm_b32 v6, v3, v7, s0
	v_perm_b32 v10, v11, v15, s0
	v_mfma_f32_16x16x16_bf16 a[0:3], v[70:71], v[80:81], a[0:3]
	ds_write2st64_b32 v2, v6, v10 offset0:129 offset1:161
	v_xor_b32_e32 v2, 24, v19
	v_perm_b32 v3, v3, v7, s1
	v_mfma_f32_16x16x16_bf16 a[4:7], v[70:71], v[76:77], a[4:7]
	v_perm_b32 v6, v11, v15, s1
	v_add_u32_e32 v2, 0x80, v2
	ds_write2st64_b32 v2, v3, v6 offset0:129 offset1:161
	v_mfma_f32_16x16x16_bf16 a[16:19], v[70:71], v[84:85], a[8:11]
	v_xor_b32_e32 v2, 32, v19
	v_perm_b32 v3, v4, v8, s0
	v_perm_b32 v6, v12, v16, s0
	v_mfma_f32_16x16x16_bf16 a[20:23], v[70:71], v[88:89], a[12:15]
	ds_write2st64_b32 v2, v3, v6 offset0:130 offset1:162
	v_xor_b32_e32 v2, 40, v19
	v_perm_b32 v3, v4, v8, s1
	s_waitcnt lgkmcnt(8)
	v_mfma_f32_16x16x16_bf16 a[12:15], v[66:67], v[22:23], a[0:3]
	v_perm_b32 v4, v12, v16, s1
	v_add_u32_e32 v2, 0x80, v2
	ds_write2st64_b32 v2, v3, v4 offset0:130 offset1:162
	s_waitcnt lgkmcnt(8)
	v_mfma_f32_16x16x16_bf16 a[8:11], v[66:67], v[78:79], a[4:7]
	v_xor_b32_e32 v2, 48, v19
	v_perm_b32 v3, v5, v9, s0
	v_perm_b32 v4, v13, v17, s0
	s_waitcnt lgkmcnt(7)
	v_mfma_f32_16x16x16_bf16 a[4:7], v[66:67], v[90:91], a[16:19]
	ds_write2st64_b32 v2, v3, v4 offset0:131 offset1:163
	v_xor_b32_e32 v2, 56, v19
	v_and_or_b32 v23, v68, 12, v73
	s_waitcnt lgkmcnt(7)
	v_mfma_f32_16x16x16_bf16 a[0:3], v[66:67], v[92:93], a[20:23]
	v_perm_b32 v3, v5, v9, s1
	v_perm_b32 v4, v13, v17, s1
	v_add_u32_e32 v2, 0x80, v2
	v_cmp_gt_i32_e32 vcc, s54, v23
	v_mov_b32_e32 v16, 0
	v_mov_b32_e32 v20, 0
	ds_write2st64_b32 v2, v3, v4 offset0:131 offset1:163
	s_and_saveexec_b64 s[0:1], vcc
	s_cbranch_execz .LBB118_61
; %bb.60:
	v_add_u32_e32 v2, s28, v23
	v_ashrrev_i32_e32 v3, 31, v2
	v_mul_lo_u32 v4, v3, s14
	v_mul_lo_u32 v5, v2, s15
	v_mad_u64_u32 v[2:3], s[2:3], v2, s14, 0
	v_add3_u32 v3, v3, v5, v4
	v_lshl_add_u64 v[2:3], v[2:3], 2, s[10:11]
	global_load_dword v2, v[2:3], off
	s_waitcnt vmcnt(0)
	v_sub_f32_e32 v2, s16, v2
	v_mul_f32_e32 v2, 0x3fb8aa3b, v2
	v_exp_f32_e32 v20, v2
.LBB118_61:
	s_or_b64 exec, exec, s[0:1]
	v_or_b32_e32 v8, 1, v23
	v_cmp_gt_i32_e64 s[0:1], s54, v8
	s_and_saveexec_b64 s[2:3], s[0:1]
	s_cbranch_execz .LBB118_63
; %bb.62:
	v_add_u32_e32 v2, s28, v8
	v_ashrrev_i32_e32 v3, 31, v2
	v_mul_lo_u32 v4, v3, s14
	v_mul_lo_u32 v5, v2, s15
	v_mad_u64_u32 v[2:3], s[4:5], v2, s14, 0
	v_add3_u32 v3, v3, v5, v4
	v_lshl_add_u64 v[2:3], v[2:3], 2, s[10:11]
	global_load_dword v2, v[2:3], off
	s_waitcnt vmcnt(0)
	v_sub_f32_e32 v2, s16, v2
	v_mul_f32_e32 v2, 0x3fb8aa3b, v2
	v_exp_f32_e32 v16, v2
.LBB118_63:
	s_or_b64 exec, exec, s[2:3]
	v_or_b32_e32 v9, 2, v23
	v_cmp_gt_i32_e64 s[2:3], s54, v9
	v_mov_b32_e32 v17, 0
	v_mov_b32_e32 v22, 0
	s_and_saveexec_b64 s[4:5], s[2:3]
	s_cbranch_execz .LBB118_65
; %bb.64:
	v_add_u32_e32 v2, s28, v9
	v_ashrrev_i32_e32 v3, 31, v2
	v_mul_lo_u32 v4, v3, s14
	v_mul_lo_u32 v5, v2, s15
	v_mad_u64_u32 v[2:3], s[6:7], v2, s14, 0
	v_add3_u32 v3, v3, v5, v4
	v_lshl_add_u64 v[2:3], v[2:3], 2, s[10:11]
	global_load_dword v2, v[2:3], off
	s_waitcnt vmcnt(0)
	v_sub_f32_e32 v2, s16, v2
	v_mul_f32_e32 v2, 0x3fb8aa3b, v2
	v_exp_f32_e32 v22, v2
.LBB118_65:
	s_or_b64 exec, exec, s[4:5]
	v_or_b32_e32 v32, 3, v23
	v_cmp_gt_i32_e64 s[4:5], s54, v32
	s_and_saveexec_b64 s[6:7], s[4:5]
	s_cbranch_execz .LBB118_67
; %bb.66:
	v_add_u32_e32 v2, s28, v32
	v_ashrrev_i32_e32 v3, 31, v2
	v_mul_lo_u32 v4, v3, s14
	v_mul_lo_u32 v5, v2, s15
	v_mad_u64_u32 v[2:3], s[14:15], v2, s14, 0
	v_add3_u32 v3, v3, v5, v4
	v_lshl_add_u64 v[2:3], v[2:3], 2, s[10:11]
	global_load_dword v2, v[2:3], off
	s_waitcnt vmcnt(0)
	v_sub_f32_e32 v2, s16, v2
	v_mul_f32_e32 v2, 0x3fb8aa3b, v2
	v_exp_f32_e32 v17, v2
.LBB118_67:
	s_or_b64 exec, exec, s[6:7]
	s_add_u32 s6, s8, s30
	v_accvgpr_read_b32 v2, a12
	s_addc_u32 s7, s9, s31
	v_ashrrev_i32_e32 v19, 31, v18
	v_accvgpr_read_b32 v3, a13
	v_accvgpr_read_b32 v4, a14
	;; [unrolled: 1-line block ×3, first 2 shown]
	v_lshl_add_u64 v[6:7], v[18:19], 1, s[6:7]
	v_mov_b32_e32 v13, 0
	v_lshlrev_b32_e32 v10, 8, v23
	v_mov_b32_e32 v11, 0
	s_and_saveexec_b64 s[6:7], vcc
	s_cbranch_execz .LBB118_69
; %bb.68:
	v_mov_b32_e32 v11, 0
	v_lshl_add_u64 v[14:15], v[6:7], 0, v[10:11]
	global_load_ushort v11, v[14:15], off
	s_waitcnt vmcnt(0)
	v_lshlrev_b32_e32 v11, 16, v11
	v_sub_f32_e32 v2, v11, v2
	v_mul_f32_e32 v2, v20, v2
	v_lshrrev_b32_e32 v11, 16, v2
.LBB118_69:
	s_or_b64 exec, exec, s[6:7]
	v_lshlrev_b32_e32 v12, 8, v8
	s_and_saveexec_b64 s[6:7], s[0:1]
	s_cbranch_execz .LBB118_71
; %bb.70:
	v_mov_b32_e32 v13, 0
	v_lshl_add_u64 v[14:15], v[6:7], 0, v[12:13]
	global_load_ushort v2, v[14:15], off
	s_waitcnt vmcnt(0)
	v_lshlrev_b32_e32 v2, 16, v2
	v_sub_f32_e32 v2, v2, v3
	v_mul_f32_e32 v2, v16, v2
	v_lshrrev_b32_e32 v13, 16, v2
.LBB118_71:
	s_or_b64 exec, exec, s[6:7]
	v_mov_b32_e32 v33, 0
	v_lshlrev_b32_e32 v14, 8, v9
	v_mov_b32_e32 v15, 0
	s_and_saveexec_b64 s[6:7], s[2:3]
	s_cbranch_execz .LBB118_73
; %bb.72:
	v_mov_b32_e32 v15, 0
	v_lshl_add_u64 v[2:3], v[6:7], 0, v[14:15]
	global_load_ushort v2, v[2:3], off
	s_waitcnt vmcnt(0)
	v_lshlrev_b32_e32 v2, 16, v2
	v_sub_f32_e32 v2, v2, v4
	v_mul_f32_e32 v2, v22, v2
	v_lshrrev_b32_e32 v15, 16, v2
.LBB118_73:
	s_or_b64 exec, exec, s[6:7]
	v_lshlrev_b32_e32 v8, 8, v32
	s_and_saveexec_b64 s[6:7], s[4:5]
	s_cbranch_execz .LBB118_75
; %bb.74:
	v_mov_b32_e32 v9, 0
	v_lshl_add_u64 v[2:3], v[6:7], 0, v[8:9]
	global_load_ushort v2, v[2:3], off
	s_waitcnt vmcnt(0)
	v_lshlrev_b32_e32 v2, 16, v2
	v_sub_f32_e32 v2, v2, v5
	v_mul_f32_e32 v2, v17, v2
	v_lshrrev_b32_e32 v33, 16, v2
.LBB118_75:
	s_or_b64 exec, exec, s[6:7]
	v_lshlrev_b32_e32 v19, 6, v23
	v_accvgpr_read_b32 v2, a8
	s_mov_b32 s6, 0x5040100
	v_or_b32_e32 v9, v19, v26
	v_accvgpr_read_b32 v3, a9
	v_accvgpr_read_b32 v4, a10
	;; [unrolled: 1-line block ×3, first 2 shown]
	v_perm_b32 v33, v33, v15, s6
	v_perm_b32 v32, v13, v11, s6
	v_lshlrev_b32_e32 v9, 1, v9
	v_mov_b32_e32 v13, 0
	v_mov_b32_e32 v11, 0
	ds_write_b64 v9, v[32:33] offset:24576
	s_and_saveexec_b64 s[6:7], vcc
	s_cbranch_execz .LBB118_77
; %bb.76:
	v_mov_b32_e32 v11, 0
	v_lshl_add_u64 v[32:33], v[6:7], 0, v[10:11]
	global_load_ushort v9, v[32:33], off offset:32
	s_waitcnt vmcnt(0)
	v_lshlrev_b32_e32 v9, 16, v9
	v_sub_f32_e32 v2, v9, v2
	v_mul_f32_e32 v2, v20, v2
	v_lshrrev_b32_e32 v11, 16, v2
.LBB118_77:
	s_or_b64 exec, exec, s[6:7]
	s_and_saveexec_b64 s[6:7], s[0:1]
	s_cbranch_execz .LBB118_79
; %bb.78:
	v_mov_b32_e32 v13, 0
	v_lshl_add_u64 v[32:33], v[6:7], 0, v[12:13]
	global_load_ushort v2, v[32:33], off offset:32
	s_waitcnt vmcnt(0)
	v_lshlrev_b32_e32 v2, 16, v2
	v_sub_f32_e32 v2, v2, v3
	v_mul_f32_e32 v2, v16, v2
	v_lshrrev_b32_e32 v13, 16, v2
.LBB118_79:
	s_or_b64 exec, exec, s[6:7]
	v_mov_b32_e32 v9, 0
	v_mov_b32_e32 v15, 0
	s_and_saveexec_b64 s[6:7], s[2:3]
	s_cbranch_execz .LBB118_81
; %bb.80:
	v_mov_b32_e32 v15, 0
	v_lshl_add_u64 v[2:3], v[6:7], 0, v[14:15]
	global_load_ushort v2, v[2:3], off offset:32
	s_waitcnt vmcnt(0)
	v_lshlrev_b32_e32 v2, 16, v2
	v_sub_f32_e32 v2, v2, v4
	v_mul_f32_e32 v2, v22, v2
	v_lshrrev_b32_e32 v15, 16, v2
.LBB118_81:
	s_or_b64 exec, exec, s[6:7]
	s_and_saveexec_b64 s[6:7], s[4:5]
	s_cbranch_execz .LBB118_83
; %bb.82:
	v_mov_b32_e32 v9, 0
	v_lshl_add_u64 v[2:3], v[6:7], 0, v[8:9]
	global_load_ushort v2, v[2:3], off offset:32
	s_waitcnt vmcnt(0)
	v_lshlrev_b32_e32 v2, 16, v2
	v_sub_f32_e32 v2, v2, v5
	v_mul_f32_e32 v2, v17, v2
	v_lshrrev_b32_e32 v9, 16, v2
.LBB118_83:
	s_or_b64 exec, exec, s[6:7]
	s_mov_b32 s6, 0x5040100
	v_accvgpr_read_b32 v2, a4
	v_perm_b32 v33, v9, v15, s6
	v_or_b32_e32 v9, v19, v25
	v_accvgpr_read_b32 v3, a5
	v_accvgpr_read_b32 v4, a6
	;; [unrolled: 1-line block ×3, first 2 shown]
	v_perm_b32 v32, v13, v11, s6
	v_lshlrev_b32_e32 v9, 1, v9
	v_mov_b32_e32 v13, 0
	v_mov_b32_e32 v11, 0
	ds_write_b64 v9, v[32:33] offset:24576
	s_and_saveexec_b64 s[6:7], vcc
	s_cbranch_execz .LBB118_85
; %bb.84:
	v_mov_b32_e32 v11, 0
	v_lshl_add_u64 v[32:33], v[6:7], 0, v[10:11]
	global_load_ushort v9, v[32:33], off offset:64
	s_waitcnt vmcnt(0)
	v_lshlrev_b32_e32 v9, 16, v9
	v_sub_f32_e32 v2, v9, v2
	v_mul_f32_e32 v2, v20, v2
	v_lshrrev_b32_e32 v11, 16, v2
.LBB118_85:
	s_or_b64 exec, exec, s[6:7]
	s_and_saveexec_b64 s[6:7], s[0:1]
	s_cbranch_execz .LBB118_87
; %bb.86:
	v_mov_b32_e32 v13, 0
	v_lshl_add_u64 v[32:33], v[6:7], 0, v[12:13]
	global_load_ushort v2, v[32:33], off offset:64
	s_waitcnt vmcnt(0)
	v_lshlrev_b32_e32 v2, 16, v2
	v_sub_f32_e32 v2, v2, v3
	v_mul_f32_e32 v2, v16, v2
	v_lshrrev_b32_e32 v13, 16, v2
.LBB118_87:
	s_or_b64 exec, exec, s[6:7]
	v_mov_b32_e32 v9, 0
	v_mov_b32_e32 v15, 0
	s_and_saveexec_b64 s[6:7], s[2:3]
	s_cbranch_execz .LBB118_89
; %bb.88:
	v_mov_b32_e32 v15, 0
	v_lshl_add_u64 v[2:3], v[6:7], 0, v[14:15]
	global_load_ushort v2, v[2:3], off offset:64
	s_waitcnt vmcnt(0)
	v_lshlrev_b32_e32 v2, 16, v2
	v_sub_f32_e32 v2, v2, v4
	v_mul_f32_e32 v2, v22, v2
	v_lshrrev_b32_e32 v15, 16, v2
.LBB118_89:
	s_or_b64 exec, exec, s[6:7]
	s_and_saveexec_b64 s[6:7], s[4:5]
	s_cbranch_execz .LBB118_91
; %bb.90:
	v_mov_b32_e32 v9, 0
	v_lshl_add_u64 v[2:3], v[6:7], 0, v[8:9]
	global_load_ushort v2, v[2:3], off offset:64
	s_waitcnt vmcnt(0)
	v_lshlrev_b32_e32 v2, 16, v2
	v_sub_f32_e32 v2, v2, v5
	v_mul_f32_e32 v2, v17, v2
	v_lshrrev_b32_e32 v9, 16, v2
.LBB118_91:
	s_or_b64 exec, exec, s[6:7]
	s_mov_b32 s6, 0x5040100
	v_accvgpr_read_b32 v5, a3
	v_perm_b32 v33, v9, v15, s6
	v_or_b32_e32 v9, v19, v24
	v_accvgpr_read_b32 v4, a2
	v_accvgpr_read_b32 v3, a1
	;; [unrolled: 1-line block ×3, first 2 shown]
	v_perm_b32 v32, v13, v11, s6
	v_lshlrev_b32_e32 v9, 1, v9
	v_mov_b32_e32 v13, 0
	v_mov_b32_e32 v11, 0
	ds_write_b64 v9, v[32:33] offset:24576
	s_and_saveexec_b64 s[6:7], vcc
	s_cbranch_execz .LBB118_93
; %bb.92:
	v_mov_b32_e32 v11, 0
	v_lshl_add_u64 v[10:11], v[6:7], 0, v[10:11]
	global_load_ushort v9, v[10:11], off offset:96
	s_waitcnt vmcnt(0)
	v_lshlrev_b32_e32 v9, 16, v9
	v_sub_f32_e32 v2, v9, v2
	v_mul_f32_e32 v2, v20, v2
	v_lshrrev_b32_e32 v11, 16, v2
.LBB118_93:
	s_or_b64 exec, exec, s[6:7]
	s_and_saveexec_b64 s[6:7], s[0:1]
	s_cbranch_execz .LBB118_95
; %bb.94:
	v_mov_b32_e32 v13, 0
	v_lshl_add_u64 v[12:13], v[6:7], 0, v[12:13]
	global_load_ushort v2, v[12:13], off offset:96
	s_waitcnt vmcnt(0)
	v_lshlrev_b32_e32 v2, 16, v2
	v_sub_f32_e32 v2, v2, v3
	v_mul_f32_e32 v2, v16, v2
	v_lshrrev_b32_e32 v13, 16, v2
.LBB118_95:
	s_or_b64 exec, exec, s[6:7]
	v_mov_b32_e32 v9, 0
	v_mov_b32_e32 v12, 0
	s_and_saveexec_b64 s[0:1], s[2:3]
	s_cbranch_execz .LBB118_97
; %bb.96:
	v_mov_b32_e32 v15, 0
	v_lshl_add_u64 v[2:3], v[6:7], 0, v[14:15]
	global_load_ushort v2, v[2:3], off offset:96
	s_waitcnt vmcnt(0)
	v_lshlrev_b32_e32 v2, 16, v2
	v_sub_f32_e32 v2, v2, v4
	v_mul_f32_e32 v2, v22, v2
	v_lshrrev_b32_e32 v12, 16, v2
.LBB118_97:
	s_or_b64 exec, exec, s[0:1]
	v_or_b32_e32 v10, 0x6000, v28
	v_or_b32_e32 v4, 0x6000, v29
	;; [unrolled: 1-line block ×4, first 2 shown]
	s_and_saveexec_b64 s[0:1], s[4:5]
	s_cbranch_execz .LBB118_99
; %bb.98:
	v_mov_b32_e32 v9, 0
	v_lshl_add_u64 v[6:7], v[6:7], 0, v[8:9]
	global_load_ushort v6, v[6:7], off offset:96
	s_waitcnt vmcnt(0)
	v_lshlrev_b32_e32 v6, 16, v6
	v_sub_f32_e32 v5, v6, v5
	v_mul_f32_e32 v5, v17, v5
	v_lshrrev_b32_e32 v9, 16, v5
.LBB118_99:
	s_or_b64 exec, exec, s[0:1]
	s_mov_b32 s0, 0x5040100
	v_or_b32_e32 v5, v19, v21
	v_perm_b32 v7, v9, v12, s0
	v_perm_b32 v6, v13, v11, s0
	v_lshlrev_b32_e32 v5, 1, v5
	s_movk_i32 s0, 0x100
	ds_write_b64 v5, v[6:7] offset:24576
	v_and_b32_e32 v5, 7, v0
	v_and_b32_e32 v6, 8, v0
	v_cmp_gt_u32_e32 vcc, s0, v0
	v_lshrrev_b32_e32 v0, 1, v0
	v_mov_b32_e32 v7, 0xa000
	v_mov_b32_e32 v8, 0x8000
	v_lshlrev_b32_e32 v26, 3, v72
	v_and_b32_e32 v0, 24, v0
	v_cndmask_b32_e32 v19, v7, v8, vcc
	v_xor_b32_e32 v7, v26, v0
	v_or_b32_e32 v8, 0x440, v7
	v_cmp_eq_u32_e32 vcc, 0, v6
	v_lshlrev_b32_e32 v11, 3, v5
	v_lshlrev_b32_e32 v5, 7, v5
	v_cndmask_b32_e32 v6, v8, v7, vcc
	v_or_b32_e32 v6, v6, v27
	v_xad_u32 v32, v6, v11, v5
	v_add_u32_e32 v6, v19, v32
	s_waitcnt lgkmcnt(0)
	s_barrier
	ds_read_b64 v[16:17], v6
	ds_read2_b64 v[6:9], v10 offset1:16
	ds_read2_b64 v[12:15], v10 offset0:32 offset1:48
	v_or_b32_e32 v20, 32, v0
	v_xor_b32_e32 v20, v26, v20
	v_or_b32_e32 v21, 0x440, v20
	v_cndmask_b32_e32 v20, v21, v20, vcc
	s_waitcnt lgkmcnt(1)
	v_mfma_f32_16x16x16_bf16 a[0:3], v[16:17], v[6:7], 0
	v_or_b32_e32 v20, v20, v27
	v_xad_u32 v33, v20, v11, v5
	v_add_u32_e32 v20, v19, v33
	v_mfma_f32_16x16x16_bf16 a[4:7], v[16:17], v[8:9], 0
	ds_read_b64 v[24:25], v20
	ds_read2st64_b64 v[28:31], v4 offset0:4 offset1:8
	ds_read2st64_b64 v[66:69], v3 offset0:4 offset1:8
	s_waitcnt lgkmcnt(3)
	v_mfma_f32_16x16x16_bf16 a[8:11], v[16:17], v[12:13], 0
	ds_read2st64_b64 v[70:73], v2 offset0:4 offset1:8
	v_mfma_f32_16x16x16_bf16 a[12:15], v[16:17], v[14:15], 0
	v_or_b32_e32 v16, 64, v0
	v_xor_b32_e32 v16, v26, v16
	v_xor_b32_e32 v17, 0x440, v16
	v_cndmask_b32_e32 v16, v17, v16, vcc
	v_or_b32_e32 v16, v16, v27
	v_xad_u32 v74, v16, v11, v5
	v_add_u32_e32 v16, v19, v74
	ds_read_b64 v[16:17], v16
	ds_read2st64_b64 v[20:23], v10 offset0:4 offset1:8
	v_or_b32_e32 v0, 0x60, v0
	v_xor_b32_e32 v0, v26, v0
	s_waitcnt lgkmcnt(0)
	v_mfma_f32_16x16x16_bf16 a[0:3], v[24:25], v[20:21], a[0:3]
	v_mfma_f32_16x16x16_bf16 a[4:7], v[24:25], v[28:29], a[4:7]
	;; [unrolled: 1-line block ×4, first 2 shown]
	v_xor_b32_e32 v24, 0x440, v0
	v_cndmask_b32_e32 v0, v24, v0, vcc
	v_or_b32_e32 v0, v0, v27
	v_xad_u32 v26, v0, v11, v5
	v_add_u32_e32 v0, v19, v26
	v_mfma_f32_16x16x16_bf16 a[0:3], v[16:17], v[22:23], a[0:3]
	ds_read_b64 v[24:25], v0
	ds_read_b64 v[10:11], v10 offset:6144
	v_mov_b32_e32 v0, 0x3fb8aa3b
	v_mul_f32_e32 v0, s16, v0
	v_mfma_f32_16x16x16_bf16 a[4:7], v[16:17], v[30:31], a[4:7]
	v_exp_f32_e32 v0, v0
	v_mfma_f32_16x16x16_bf16 a[8:11], v[16:17], v[68:69], a[8:11]
	v_mfma_f32_16x16x16_bf16 a[12:15], v[16:17], v[72:73], a[12:15]
	ds_read_b64 v[4:5], v4 offset:6144
	ds_read_b64 v[16:17], v3 offset:6144
	;; [unrolled: 1-line block ×3, first 2 shown]
	s_waitcnt lgkmcnt(3)
	v_mfma_f32_16x16x16_bf16 a[0:3], v[24:25], v[10:11], a[0:3]
	s_waitcnt lgkmcnt(2)
	v_mfma_f32_16x16x16_bf16 a[4:7], v[24:25], v[4:5], a[4:7]
	;; [unrolled: 2-line block ×4, first 2 shown]
	ds_read_b64 v[24:25], v32 offset:40960
	s_waitcnt lgkmcnt(0)
	v_mfma_f32_16x16x16_bf16 a[16:19], v[24:25], v[6:7], 0
	ds_read_b64 v[6:7], v33 offset:40960
	v_mfma_f32_16x16x16_bf16 a[20:23], v[24:25], v[8:9], 0
	ds_read_b64 v[8:9], v74 offset:40960
	v_mfma_f32_16x16x16_bf16 a[24:27], v[24:25], v[12:13], 0
	v_accvgpr_read_b32 v13, a3
	v_accvgpr_read_b32 v12, a2
	v_pk_fma_f32 v[64:65], v[0:1], v[64:65], v[12:13] op_sel_hi:[0,1,1]
	v_mfma_f32_16x16x16_bf16 a[28:31], v[24:25], v[14:15], 0
	ds_read_b64 v[12:13], v26 offset:40960
	v_accvgpr_read_b32 v15, a7
	v_accvgpr_read_b32 v14, a6
	s_waitcnt lgkmcnt(2)
	v_mfma_f32_16x16x16_bf16 a[16:19], v[6:7], v[20:21], a[16:19]
	v_accvgpr_read_b32 v21, a15
	v_accvgpr_read_b32 v20, a14
	v_pk_fma_f32 v[56:57], v[0:1], v[56:57], v[14:15] op_sel_hi:[0,1,1]
	v_mfma_f32_16x16x16_bf16 a[20:23], v[6:7], v[28:29], a[20:23]
	v_pk_fma_f32 v[40:41], v[0:1], v[40:41], v[20:21] op_sel_hi:[0,1,1]
	v_mfma_f32_16x16x16_bf16 a[24:27], v[6:7], v[66:67], a[24:27]
	v_mfma_f32_16x16x16_bf16 a[28:31], v[6:7], v[70:71], a[28:31]
	v_accvgpr_read_b32 v7, a11
	v_accvgpr_read_b32 v6, a10
	v_pk_fma_f32 v[48:49], v[0:1], v[48:49], v[6:7] op_sel_hi:[0,1,1]
	s_waitcnt lgkmcnt(1)
	v_mfma_f32_16x16x16_bf16 a[16:19], v[8:9], v[22:23], a[16:19]
	v_accvgpr_read_b32 v23, a1
	v_accvgpr_read_b32 v22, a0
	v_pk_fma_f32 v[62:63], v[0:1], v[62:63], v[22:23] op_sel_hi:[0,1,1]
	v_mfma_f32_16x16x16_bf16 a[0:3], v[8:9], v[30:31], a[20:23]
	v_accvgpr_read_b32 v23, a5
	v_accvgpr_read_b32 v22, a4
	;; [unrolled: 1-line block ×3, first 2 shown]
	v_mfma_f32_16x16x16_bf16 a[20:23], v[8:9], v[68:69], a[24:27]
	v_accvgpr_read_b32 v7, a13
	v_pk_fma_f32 v[38:39], v[0:1], v[38:39], v[6:7] op_sel_hi:[0,1,1]
	v_pk_fma_f32 v[54:55], v[0:1], v[54:55], v[22:23] op_sel_hi:[0,1,1]
	v_mfma_f32_16x16x16_bf16 a[4:7], v[8:9], v[72:73], a[28:31]
	v_accvgpr_read_b32 v8, a8
	v_accvgpr_read_b32 v9, a9
	v_pk_fma_f32 v[46:47], v[0:1], v[46:47], v[8:9] op_sel_hi:[0,1,1]
	s_waitcnt lgkmcnt(0)
	v_mfma_f32_16x16x16_bf16 a[8:11], v[12:13], v[10:11], a[16:19]
	v_mfma_f32_16x16x16_bf16 a[0:3], v[12:13], v[4:5], a[0:3]
	s_nop 5
	v_accvgpr_read_b32 v5, a11
	v_accvgpr_read_b32 v4, a10
	v_mfma_f32_16x16x16_bf16 a[10:13], v[12:13], v[16:17], a[20:23]
	v_pk_fma_f32 v[60:61], v[0:1], v[60:61], v[4:5] op_sel_hi:[0,1,1]
	v_accvgpr_read_b32 v7, a3
	v_accvgpr_read_b32 v6, a2
	v_mfma_f32_16x16x16_bf16 a[2:5], v[12:13], v[2:3], a[4:7]
	v_accvgpr_read_b32 v5, a1
	v_accvgpr_read_b32 v4, a0
	v_pk_fma_f32 v[50:51], v[0:1], v[50:51], v[4:5] op_sel_hi:[0,1,1]
	v_accvgpr_read_b32 v4, a10
	v_accvgpr_read_b32 v5, a11
	;; [unrolled: 1-line block ×3, first 2 shown]
	v_pk_fma_f32 v[42:43], v[0:1], v[42:43], v[4:5] op_sel_hi:[0,1,1]
	v_accvgpr_read_b32 v5, a3
	v_accvgpr_read_b32 v9, a13
	v_accvgpr_read_b32 v8, a12
	v_accvgpr_read_b32 v3, a5
	v_accvgpr_read_b32 v2, a4
	v_accvgpr_read_b32 v10, a8
	v_accvgpr_read_b32 v4, a2
	v_pk_fma_f32 v[58:59], v[0:1], v[58:59], v[10:11] op_sel_hi:[0,1,1]
	v_pk_fma_f32 v[52:53], v[0:1], v[52:53], v[6:7] op_sel_hi:[0,1,1]
	;; [unrolled: 1-line block ×5, first 2 shown]
	v_mov_b32_e32 v2, v18
.LBB118_100:
	s_mul_i32 s0, s33, s35
	s_mul_hi_u32 s1, s33, s34
	s_add_i32 s0, s1, s0
	s_mul_i32 s1, s44, s34
	s_add_i32 s1, s0, s1
	s_mul_i32 s0, s33, s34
	s_add_u32 s0, s0, s45
	s_addc_u32 s1, s1, s29
	s_lshl_b64 s[0:1], s[0:1], 15
	s_add_u32 s0, s12, s0
	v_lshlrev_b32_e32 v2, 7, v2
	s_addc_u32 s1, s13, s1
	v_ashrrev_i32_e32 v3, 31, v2
	v_lshl_add_u64 v[4:5], v[2:3], 1, s[0:1]
	v_lshlrev_b32_e32 v0, 1, v1
	v_mov_b32_e32 v1, 0
	s_mov_b32 s2, 0x7060302
	v_lshl_add_u64 v[4:5], v[4:5], 0, v[0:1]
	v_perm_b32 v7, v65, v64, s2
	v_perm_b32 v6, v63, v62, s2
	global_store_dwordx2 v[4:5], v[6:7], off
	v_perm_b32 v7, v61, v60, s2
	v_perm_b32 v6, v59, v58, s2
	global_store_dwordx2 v[4:5], v[6:7], off offset:128
	v_or_b32_e32 v4, 0x800, v2
	v_ashrrev_i32_e32 v5, 31, v4
	v_lshl_add_u64 v[4:5], v[4:5], 1, s[0:1]
	v_lshl_add_u64 v[4:5], v[4:5], 0, v[0:1]
	v_perm_b32 v7, v57, v56, s2
	v_perm_b32 v6, v55, v54, s2
	global_store_dwordx2 v[4:5], v[6:7], off
	v_perm_b32 v7, v53, v52, s2
	v_perm_b32 v6, v51, v50, s2
	global_store_dwordx2 v[4:5], v[6:7], off offset:128
	v_or_b32_e32 v4, 0x1000, v2
	v_or_b32_e32 v2, 0x1800, v2
	v_ashrrev_i32_e32 v5, 31, v4
	v_ashrrev_i32_e32 v3, 31, v2
	v_lshl_add_u64 v[4:5], v[4:5], 1, s[0:1]
	v_lshl_add_u64 v[2:3], v[2:3], 1, s[0:1]
	;; [unrolled: 1-line block ×3, first 2 shown]
	v_perm_b32 v7, v49, v48, s2
	v_perm_b32 v6, v47, v46, s2
	v_lshl_add_u64 v[0:1], v[2:3], 0, v[0:1]
	v_perm_b32 v3, v41, v40, s2
	v_perm_b32 v2, v39, v38, s2
	global_store_dwordx2 v[4:5], v[6:7], off
	v_perm_b32 v7, v45, v44, s2
	v_perm_b32 v6, v43, v42, s2
	global_store_dwordx2 v[0:1], v[2:3], off
	v_perm_b32 v3, v35, v34, s2
	v_perm_b32 v2, v37, v36, s2
	global_store_dwordx2 v[4:5], v[6:7], off offset:128
	global_store_dwordx2 v[0:1], v[2:3], off offset:128
	s_endpgm
	.section	.rodata,"a",@progbits
	.p2align	6, 0x0
	.amdhsa_kernel _ZN12_GLOBAL__N_139chunk_gated_delta_rule_fwd_h_hip_kernelILi64ELb0ELb1ELb0ELb1ELb0ELb0ELb0ELb1EEEvPK12hip_bfloat16S3_S3_PKfS5_PKvPS1_S8_PvPKiSB_iiiiilll
		.amdhsa_group_segment_fixed_size 65536
		.amdhsa_private_segment_fixed_size 0
		.amdhsa_kernarg_size 136
		.amdhsa_user_sgpr_count 2
		.amdhsa_user_sgpr_dispatch_ptr 0
		.amdhsa_user_sgpr_queue_ptr 0
		.amdhsa_user_sgpr_kernarg_segment_ptr 1
		.amdhsa_user_sgpr_dispatch_id 0
		.amdhsa_user_sgpr_kernarg_preload_length 0
		.amdhsa_user_sgpr_kernarg_preload_offset 0
		.amdhsa_user_sgpr_private_segment_size 0
		.amdhsa_uses_dynamic_stack 0
		.amdhsa_enable_private_segment 0
		.amdhsa_system_sgpr_workgroup_id_x 1
		.amdhsa_system_sgpr_workgroup_id_y 1
		.amdhsa_system_sgpr_workgroup_id_z 0
		.amdhsa_system_sgpr_workgroup_info 0
		.amdhsa_system_vgpr_workitem_id 0
		.amdhsa_next_free_vgpr 216
		.amdhsa_next_free_sgpr 65
		.amdhsa_accum_offset 180
		.amdhsa_reserve_vcc 1
		.amdhsa_float_round_mode_32 0
		.amdhsa_float_round_mode_16_64 0
		.amdhsa_float_denorm_mode_32 3
		.amdhsa_float_denorm_mode_16_64 3
		.amdhsa_dx10_clamp 1
		.amdhsa_ieee_mode 1
		.amdhsa_fp16_overflow 0
		.amdhsa_tg_split 0
		.amdhsa_exception_fp_ieee_invalid_op 0
		.amdhsa_exception_fp_denorm_src 0
		.amdhsa_exception_fp_ieee_div_zero 0
		.amdhsa_exception_fp_ieee_overflow 0
		.amdhsa_exception_fp_ieee_underflow 0
		.amdhsa_exception_fp_ieee_inexact 0
		.amdhsa_exception_int_div_zero 0
	.end_amdhsa_kernel
	.section	.text._ZN12_GLOBAL__N_139chunk_gated_delta_rule_fwd_h_hip_kernelILi64ELb0ELb1ELb0ELb1ELb0ELb0ELb0ELb1EEEvPK12hip_bfloat16S3_S3_PKfS5_PKvPS1_S8_PvPKiSB_iiiiilll,"axG",@progbits,_ZN12_GLOBAL__N_139chunk_gated_delta_rule_fwd_h_hip_kernelILi64ELb0ELb1ELb0ELb1ELb0ELb0ELb0ELb1EEEvPK12hip_bfloat16S3_S3_PKfS5_PKvPS1_S8_PvPKiSB_iiiiilll,comdat
.Lfunc_end118:
	.size	_ZN12_GLOBAL__N_139chunk_gated_delta_rule_fwd_h_hip_kernelILi64ELb0ELb1ELb0ELb1ELb0ELb0ELb0ELb1EEEvPK12hip_bfloat16S3_S3_PKfS5_PKvPS1_S8_PvPKiSB_iiiiilll, .Lfunc_end118-_ZN12_GLOBAL__N_139chunk_gated_delta_rule_fwd_h_hip_kernelILi64ELb0ELb1ELb0ELb1ELb0ELb0ELb0ELb1EEEvPK12hip_bfloat16S3_S3_PKfS5_PKvPS1_S8_PvPKiSB_iiiiilll
                                        ; -- End function
	.section	.AMDGPU.csdata,"",@progbits
; Kernel info:
; codeLenInByte = 12160
; NumSgprs: 71
; NumVgprs: 178
; NumAgprs: 36
; TotalNumVgprs: 216
; ScratchSize: 0
; MemoryBound: 0
; FloatMode: 240
; IeeeMode: 1
; LDSByteSize: 65536 bytes/workgroup (compile time only)
; SGPRBlocks: 8
; VGPRBlocks: 26
; NumSGPRsForWavesPerEU: 71
; NumVGPRsForWavesPerEU: 216
; AccumOffset: 180
; Occupancy: 1
; WaveLimiterHint : 1
; COMPUTE_PGM_RSRC2:SCRATCH_EN: 0
; COMPUTE_PGM_RSRC2:USER_SGPR: 2
; COMPUTE_PGM_RSRC2:TRAP_HANDLER: 0
; COMPUTE_PGM_RSRC2:TGID_X_EN: 1
; COMPUTE_PGM_RSRC2:TGID_Y_EN: 1
; COMPUTE_PGM_RSRC2:TGID_Z_EN: 0
; COMPUTE_PGM_RSRC2:TIDIG_COMP_CNT: 0
; COMPUTE_PGM_RSRC3_GFX90A:ACCUM_OFFSET: 44
; COMPUTE_PGM_RSRC3_GFX90A:TG_SPLIT: 0
	.section	.text._ZN12_GLOBAL__N_139chunk_gated_delta_rule_fwd_h_hip_kernelILi64ELb0ELb0ELb1ELb1ELb0ELb0ELb0ELb1EEEvPK12hip_bfloat16S3_S3_PKfS5_PKvPS1_S8_PvPKiSB_iiiiilll,"axG",@progbits,_ZN12_GLOBAL__N_139chunk_gated_delta_rule_fwd_h_hip_kernelILi64ELb0ELb0ELb1ELb1ELb0ELb0ELb0ELb1EEEvPK12hip_bfloat16S3_S3_PKfS5_PKvPS1_S8_PvPKiSB_iiiiilll,comdat
	.globl	_ZN12_GLOBAL__N_139chunk_gated_delta_rule_fwd_h_hip_kernelILi64ELb0ELb0ELb1ELb1ELb0ELb0ELb0ELb1EEEvPK12hip_bfloat16S3_S3_PKfS5_PKvPS1_S8_PvPKiSB_iiiiilll ; -- Begin function _ZN12_GLOBAL__N_139chunk_gated_delta_rule_fwd_h_hip_kernelILi64ELb0ELb0ELb1ELb1ELb0ELb0ELb0ELb1EEEvPK12hip_bfloat16S3_S3_PKfS5_PKvPS1_S8_PvPKiSB_iiiiilll
	.p2align	8
	.type	_ZN12_GLOBAL__N_139chunk_gated_delta_rule_fwd_h_hip_kernelILi64ELb0ELb0ELb1ELb1ELb0ELb0ELb0ELb1EEEvPK12hip_bfloat16S3_S3_PKfS5_PKvPS1_S8_PvPKiSB_iiiiilll,@function
_ZN12_GLOBAL__N_139chunk_gated_delta_rule_fwd_h_hip_kernelILi64ELb0ELb0ELb1ELb1ELb0ELb0ELb0ELb1EEEvPK12hip_bfloat16S3_S3_PKfS5_PKvPS1_S8_PvPKiSB_iiiiilll: ; @_ZN12_GLOBAL__N_139chunk_gated_delta_rule_fwd_h_hip_kernelILi64ELb0ELb0ELb1ELb1ELb0ELb0ELb0ELb1EEEvPK12hip_bfloat16S3_S3_PKfS5_PKvPS1_S8_PvPKiSB_iiiiilll
; %bb.0:
	s_load_dwordx4 s[16:19], s[0:1], 0x5c
	s_load_dwordx4 s[20:23], s[0:1], 0x70
	s_abs_i32 s25, s3
	s_ashr_i32 s24, s3, 31
	s_load_dwordx4 s[12:15], s[0:1], 0x30
	s_load_dwordx4 s[28:31], s[0:1], 0x48
	s_waitcnt lgkmcnt(0)
	s_abs_i32 s34, s17
	v_cvt_f32_u32_e32 v1, s34
	s_sub_i32 s26, 0, s34
	s_ashr_i32 s35, s17, 31
	s_xor_b32 s24, s24, s35
	v_rcp_iflag_f32_e32 v1, v1
	s_load_dwordx8 s[4:11], s[0:1], 0x0
	v_lshrrev_b32_e32 v76, 6, v0
	v_bfe_u32 v77, v0, 4, 2
	v_mul_f32_e32 v1, 0x4f7ffffe, v1
	v_cvt_u32_f32_e32 v1, v1
	v_lshlrev_b32_e32 v2, 2, v77
	v_and_b32_e32 v75, 63, v0
	v_mov_b32_e32 v35, 0
	v_readfirstlane_b32 s27, v1
	s_mul_i32 s26, s26, s27
	s_mul_hi_u32 s26, s27, s26
	s_add_i32 s27, s27, s26
	s_mul_hi_u32 s26, s25, s27
	s_mul_i32 s27, s26, s34
	s_sub_i32 s25, s25, s27
	s_add_i32 s33, s26, 1
	s_sub_i32 s27, s25, s34
	s_cmp_ge_u32 s25, s34
	s_cselect_b32 s26, s33, s26
	s_cselect_b32 s25, s27, s25
	s_add_i32 s27, s26, 1
	s_cmp_ge_u32 s25, s34
	s_cselect_b32 s25, s27, s26
	s_xor_b32 s25, s25, s24
	s_sub_i32 s24, s25, s24
	s_mul_i32 s25, s24, s17
	s_sub_i32 s33, s3, s25
	s_ashr_i32 s25, s24, 31
	s_lshl_b64 s[26:27], s[24:25], 2
	s_add_u32 s28, s28, s26
	s_addc_u32 s29, s29, s27
	s_add_u32 s26, s30, s26
	s_addc_u32 s27, s31, s27
	s_abs_i32 s3, s18
	v_cvt_f32_u32_e32 v1, s3
	s_load_dwordx2 s[38:39], s[28:29], 0x0
	s_sub_i32 s29, 0, s3
	s_load_dword s46, s[26:27], 0x0
	v_rcp_iflag_f32_e32 v1, v1
	v_and_b32_e32 v74, 15, v0
	s_waitcnt lgkmcnt(0)
	s_sub_i32 s47, s39, s38
	s_ashr_i32 s28, s47, 31
	v_mul_f32_e32 v1, 0x4f7ffffe, v1
	v_cvt_u32_f32_e32 v1, v1
	s_lshr_b32 s28, s28, 26
	s_add_i32 s28, s47, s28
	s_ashr_i32 s45, s28, 6
	v_readfirstlane_b32 s30, v1
	s_mul_i32 s29, s29, s30
	s_mul_hi_u32 s29, s30, s29
	s_add_i32 s30, s30, s29
	s_mul_hi_u32 s29, s34, s30
	s_mul_i32 s30, s29, s3
	s_ashr_i32 s28, s18, 31
	s_sub_i32 s30, s34, s30
	s_xor_b32 s28, s35, s28
	s_add_i32 s31, s29, 1
	s_sub_i32 s34, s30, s3
	s_cmp_ge_u32 s30, s3
	s_cselect_b32 s29, s31, s29
	s_cselect_b32 s30, s34, s30
	s_add_i32 s31, s29, 1
	s_cmp_ge_u32 s30, s3
	s_cselect_b32 s3, s31, s29
	s_xor_b32 s3, s3, s28
	s_sub_i32 s3, s3, s28
	s_abs_i32 s28, s3
	v_cvt_f32_u32_e32 v1, s28
	s_load_dwordx2 s[34:35], s[0:1], 0x80
	s_xor_b32 s0, s33, s3
	s_sub_i32 s3, 0, s28
	v_rcp_iflag_f32_e32 v1, v1
	s_abs_i32 s1, s33
	s_ashr_i32 s0, s0, 31
	s_mul_hi_i32 s48, s33, s16
	v_mul_f32_e32 v1, 0x4f7ffffe, v1
	v_cvt_u32_f32_e32 v1, v1
	s_mul_i32 s49, s33, s16
	v_lshrrev_b32_e32 v79, 3, v75
	v_lshlrev_b32_e32 v78, 3, v0
	v_readfirstlane_b32 s26, v1
	s_mul_i32 s3, s3, s26
	s_mul_hi_u32 s3, s26, s3
	s_add_i32 s26, s26, s3
	s_mul_hi_u32 s3, s1, s26
	s_mul_i32 s26, s3, s28
	s_sub_i32 s1, s1, s26
	s_add_i32 s26, s3, 1
	s_sub_i32 s27, s1, s28
	s_cmp_ge_u32 s1, s28
	s_cselect_b32 s3, s26, s3
	s_cselect_b32 s1, s27, s1
	s_add_i32 s26, s3, 1
	s_cmp_ge_u32 s1, s28
	s_cselect_b32 s1, s26, s3
	s_xor_b32 s1, s1, s0
	v_lshlrev_b32_e32 v1, 4, v76
	s_sub_i32 s50, s1, s0
	v_or_b32_e32 v80, v2, v1
	s_lshl_b32 s36, s2, 6
	v_or_b32_e32 v81, 64, v80
	s_cmp_lt_i32 s47, 64
	s_mul_i32 s42, s24, s21
	s_mul_hi_u32 s43, s24, s20
	s_mul_i32 s44, s25, s20
	s_mul_i32 s20, s24, s20
	v_mov_b32_e32 v34, v35
	v_mov_b32_e32 v41, v35
	;; [unrolled: 1-line block ×31, first 2 shown]
	s_cbranch_scc1 .LBB119_18
; %bb.1:
	s_ashr_i32 s53, s33, 31
	s_ashr_i32 s1, s38, 31
	s_add_u32 s0, s49, s38
	s_addc_u32 s1, s48, s1
	s_lshl_b64 s[0:1], s[0:1], 8
	v_and_b32_e32 v83, 56, v78
	s_add_u32 s0, s6, s0
	v_lshl_or_b32 v82, v76, 3, v79
	v_lshlrev_b32_e32 v3, 1, v83
	s_addc_u32 s1, s7, s1
	v_lshl_or_b32 v84, v82, 8, v3
	s_and_b32 s1, s1, 0xffff
	s_mov_b32 s3, 0x20000
	s_movk_i32 s2, 0x4000
	s_movk_i32 s21, 0x80
	v_or_b32_e32 v85, 0x2000, v84
	buffer_load_dwordx4 v[4:7], v84, s[0:3], 0 offen
	buffer_load_dwordx4 v[8:11], v84, s[0:3], s21 offen
	buffer_load_dwordx4 v[12:15], v85, s[0:3], 0 offen
	buffer_load_dwordx4 v[16:19], v85, s[0:3], s21 offen
	v_lshlrev_b32_e32 v20, 3, v82
	v_and_or_b32 v22, v0, 7, v20
	v_and_b32_e32 v20, 0x78, v20
	v_lshlrev_b32_e32 v22, 4, v22
	v_xor_b32_e32 v86, v22, v20
	v_mul_lo_u32 v21, v82, s19
	v_or_b32_e32 v87, 0x1000, v86
	s_cmpk_eq_i32 s19, 0x80
	s_mov_b32 s51, s17
	s_mov_b32 s52, s38
	v_xor_b32_e32 v20, 8, v86
	v_xor_b32_e32 v22, 8, v87
	s_cselect_b64 s[0:1], -1, 0
	s_cmpk_lg_i32 s19, 0x80
	s_waitcnt vmcnt(3)
	ds_write_b64 v86, v[4:5] offset:49152
	ds_write_b64 v20, v[6:7] offset:49152
	s_waitcnt vmcnt(2)
	ds_write_b64 v86, v[8:9] offset:57344
	ds_write_b64 v20, v[10:11] offset:57344
	;; [unrolled: 3-line block ×4, first 2 shown]
	v_lshl_add_u32 v4, v21, 1, v83
	s_cbranch_scc0 .LBB119_3
; %bb.2:
	v_lshlrev_b32_e32 v6, 1, v4
	v_add_lshl_u32 v5, v4, s19, 1
	s_lshl_b32 s26, s19, 7
	v_lshl_or_b32 v3, v82, 9, v3
	s_cbranch_execz .LBB119_4
	s_branch .LBB119_5
.LBB119_3:
                                        ; implicit-def: $vgpr5
                                        ; implicit-def: $vgpr6
                                        ; implicit-def: $sgpr26
	v_lshl_or_b32 v3, v82, 9, v3
.LBB119_4:
	v_or_b32_e32 v5, 0x100, v3
	s_movk_i32 s26, 0x4000
	v_mov_b32_e32 v6, v3
.LBB119_5:
	s_mul_i32 s2, s38, s18
	s_ashr_i32 s54, s50, 31
	s_mul_hi_i32 s3, s38, s18
	s_add_u32 s2, s2, s50
	s_addc_u32 s3, s3, s54
	s_lshl_b64 s[2:3], s[2:3], 8
	s_add_u32 s24, s4, s2
	s_addc_u32 s2, s5, s3
	s_and_b32 s25, s2, 0xffff
	s_mov_b32 s27, 0x20000
	s_movk_i32 s55, 0x80
	buffer_load_dwordx4 v[8:11], v6, s[24:27], 0 offen
	buffer_load_dwordx4 v[12:15], v6, s[24:27], s55 offen
	;; [unrolled: 1-line block ×4, first 2 shown]
	v_and_b32_e32 v5, 6, v0
	v_lshlrev_b32_e32 v6, 7, v80
	v_xor_b32_e32 v28, v82, v5
	v_and_b32_e32 v7, 1, v0
	v_lshl_or_b32 v31, v74, 3, v6
	v_lshlrev_b32_e32 v28, 2, v28
	v_lshlrev_b32_e32 v24, 2, v74
	v_or_b32_e32 v88, 0x4000, v31
	v_or_b32_e32 v89, 0x6000, v31
	v_xor_b32_e32 v31, 0x440, v28
	v_cmp_eq_u32_e32 vcc, 0, v7
	v_or_b32_e32 v26, 16, v74
	v_or_b32_e32 v27, 32, v74
	v_xor_b32_e32 v29, v80, v24
	v_xor_b32_e32 v30, v81, v24
	v_cndmask_b32_e32 v7, v31, v28, vcc
	s_add_i32 s2, s43, s42
	s_mov_b32 s56, 0x1000504
	v_lshl_or_b32 v32, v26, 3, v6
	v_lshlrev_b32_e32 v26, 8, v26
	v_lshl_or_b32 v33, v27, 3, v6
	v_lshlrev_b32_e32 v29, 1, v29
	v_lshlrev_b32_e32 v30, 1, v30
	v_lshl_or_b32 v5, v5, 10, v7
	s_add_i32 s21, s2, s44
	s_mul_i32 s2, s33, s23
	s_mul_hi_u32 s3, s33, s22
	s_mov_b32 s57, 0x3020706
	v_lshlrev_b32_e32 v25, 8, v74
	v_or_b32_e32 v92, 0x4000, v33
	v_or_b32_e32 v93, 0x6000, v33
	v_or_b32_e32 v96, v26, v29
	v_or_b32_e32 v97, v26, v30
	v_xor_b32_e32 v7, 8, v5
	v_xor_b32_e32 v26, 24, v5
	;; [unrolled: 1-line block ×4, first 2 shown]
	s_add_i32 s2, s3, s2
	s_mul_i32 s3, s53, s22
	v_or_b32_e32 v90, 0x4000, v32
	v_or_b32_e32 v91, 0x6000, v32
	;; [unrolled: 1-line block ×4, first 2 shown]
	v_xor_b32_e32 v25, 16, v5
	v_xor_b32_e32 v28, 32, v5
	;; [unrolled: 1-line block ×3, first 2 shown]
	v_add_u32_e32 v7, 0x80, v7
	v_add_u32_e32 v26, 0x80, v26
	;; [unrolled: 1-line block ×4, first 2 shown]
	s_add_i32 s3, s2, s3
	s_lshl_b64 s[24:25], s[20:21], 2
	s_mul_i32 s2, s33, s22
	s_add_u32 s21, s10, s24
	s_addc_u32 s24, s11, s25
	s_lshl_b64 s[2:3], s[2:3], 2
	s_add_u32 s2, s21, s2
	s_movk_i32 s21, 0xf8
	s_addc_u32 s3, s24, s3
	s_ashr_i32 s37, s36, 31
	s_lshl_b32 s30, s19, 7
	s_lshl_b64 s[24:25], s[36:37], 8
	s_add_u32 s24, s12, s24
	v_mov_b32_e32 v67, 0
	s_addc_u32 s25, s13, s25
	v_lshlrev_b32_e32 v66, 4, v74
	v_lshlrev_b32_e32 v27, 8, v27
	s_mov_b32 s58, 0
	s_movk_i32 s26, 0x4000
	v_or_b32_e32 v98, v27, v29
	v_or_b32_e32 v99, v27, v30
	v_add_u32_e32 v128, v1, v2
	s_movk_i32 s37, 0x2000
	s_movk_i32 s59, 0x3000
	v_mov_b32_e32 v133, 0x3fb8aa3b
	v_mov_b32_e32 v58, v67
	;; [unrolled: 1-line block ×4, first 2 shown]
	s_waitcnt vmcnt(1)
	v_perm_b32 v34, v8, v16, s56
	s_waitcnt vmcnt(0)
	v_perm_b32 v35, v12, v20, s56
	v_perm_b32 v8, v8, v16, s57
	;; [unrolled: 1-line block ×15, first 2 shown]
	ds_write2st64_b32 v5, v34, v35 offset0:128 offset1:160
	ds_write2st64_b32 v7, v8, v12 offset0:128 offset1:160
	;; [unrolled: 1-line block ×8, first 2 shown]
	v_or_b32_e32 v5, 48, v74
	v_lshl_or_b32 v7, v5, 3, v6
	v_lshlrev_b32_e32 v5, 8, v5
	v_or_b32_e32 v102, v5, v29
	v_or_b32_e32 v103, v5, v30
	;; [unrolled: 1-line block ×3, first 2 shown]
	v_lshlrev_b32_e32 v5, 3, v5
	v_lshrrev_b32_e32 v9, 5, v75
	v_and_or_b32 v9, v5, s21, v9
	v_lshlrev_b32_e32 v9, 4, v9
	v_or_b32_e32 v100, 0x4000, v7
	v_or_b32_e32 v101, 0x6000, v7
	v_lshlrev_b32_e32 v7, 11, v76
	v_and_b32_e32 v5, 0x78, v5
	v_or_b32_e32 v14, 32, v9
	v_and_b32_e32 v8, 0x1000, v7
	v_xor_b32_e32 v10, v9, v5
	v_lshrrev_b32_e32 v11, 1, v0
	v_xor_b32_e32 v14, v14, v5
	v_or_b32_e32 v10, v10, v8
	v_and_b32_e32 v12, 8, v11
	v_or_b32_e32 v14, v14, v8
	v_xor_b32_e32 v104, v10, v12
	v_lshlrev_b32_e32 v10, 8, v77
	v_xor_b32_e32 v106, v14, v12
	v_or_b32_e32 v14, 64, v9
	v_or_b32_e32 v9, 0x60, v9
	;; [unrolled: 1-line block ×3, first 2 shown]
	v_xor_b32_e32 v14, v14, v5
	v_xor_b32_e32 v5, v9, v5
	v_lshlrev_b32_e32 v13, 1, v13
	v_or_b32_e32 v14, v14, v8
	v_or_b32_e32 v5, v5, v8
	;; [unrolled: 1-line block ×6, first 2 shown]
	v_xor_b32_e32 v110, v14, v12
	v_xor_b32_e32 v111, v5, v12
	v_or_b32_e32 v112, 0x6000, v13
	v_or_b32_e32 v113, 0x6080, v13
	;; [unrolled: 1-line block ×4, first 2 shown]
	v_lshlrev_b32_e32 v12, 1, v4
	v_add_lshl_u32 v13, v4, s19, 1
	s_movk_i32 s21, 0x100
	v_lshlrev_b32_e32 v4, 1, v74
	v_lshrrev_b32_e32 v15, 4, v0
	v_or_b32_e32 v5, 1, v4
	v_mov_b32_e32 v19, 0xa000
	v_mov_b32_e32 v20, 0x8000
	v_cmp_gt_u32_e32 vcc, s21, v0
	v_xor_b32_e32 v16, v15, v4
	v_xor_b32_e32 v17, v5, v15
	v_lshl_add_u64 v[4:5], s[24:25], 0, v[66:67]
	v_lshlrev_b32_e32 v66, 8, v15
	v_cndmask_b32_e32 v19, v19, v20, vcc
	v_lshlrev_b32_e32 v20, 3, v76
	v_and_b32_e32 v11, 24, v11
	v_lshl_or_b32 v116, v16, 3, v66
	v_and_b32_e32 v16, 8, v0
	v_xor_b32_e32 v21, v20, v11
	v_or_b32_e32 v22, 0x440, v21
	v_cmp_eq_u32_e32 vcc, 0, v16
	v_and_b32_e32 v15, 7, v0
	v_lshl_or_b32 v117, v17, 3, v66
	v_cndmask_b32_e32 v16, v22, v21, vcc
	v_lshlrev_b32_e32 v17, 3, v15
	v_lshlrev_b32_e32 v15, 7, v15
	v_or_b32_e32 v16, v16, v7
	v_lshlrev_b32_e32 v18, 2, v0
	v_xad_u32 v118, v16, v17, v15
	v_or_b32_e32 v16, 32, v11
	v_and_or_b32 v10, v18, 60, v10
	v_xor_b32_e32 v16, v20, v16
	v_lshlrev_b32_e32 v10, 1, v10
	v_or_b32_e32 v18, 0x440, v16
	v_or_b32_e32 v119, 0x6000, v10
	v_cndmask_b32_e32 v16, v18, v16, vcc
	v_or_b32_e32 v121, 0x6080, v10
	v_or_b32_e32 v122, 0x6100, v10
	;; [unrolled: 1-line block ×5, first 2 shown]
	v_xor_b32_e32 v10, v20, v10
	v_xad_u32 v120, v16, v17, v15
	v_xor_b32_e32 v16, 0x440, v10
	v_cndmask_b32_e32 v10, v16, v10, vcc
	v_or_b32_e32 v10, v10, v7
	v_xad_u32 v124, v10, v17, v15
	v_or_b32_e32 v10, 0x60, v11
	v_xor_b32_e32 v10, v20, v10
	v_xor_b32_e32 v11, 0x440, v10
	v_or_b32_e32 v8, s36, v74
	v_cndmask_b32_e32 v10, v11, v10, vcc
	v_ashrrev_i32_e32 v9, 31, v8
	v_or_b32_e32 v7, v10, v7
	v_or_b32_e32 v14, 0x100, v3
	v_xad_u32 v125, v7, v17, v15
	v_lshlrev_b64 v[8:9], 1, v[8:9]
	v_cndmask_b32_e64 v126, v12, v3, s[0:1]
	v_cndmask_b32_e64 v127, v13, v14, s[0:1]
	v_lshl_add_u64 v[68:69], s[8:9], 0, v[8:9]
	v_lshl_add_u64 v[70:71], s[14:15], 0, v[8:9]
	;; [unrolled: 1-line block ×3, first 2 shown]
	s_mov_b32 s21, 0x7060302
	v_lshlrev_b32_e32 v66, 1, v6
	v_add_u32_e32 v129, v19, v118
	v_add_u32_e32 v130, v19, v120
	;; [unrolled: 1-line block ×4, first 2 shown]
	v_mov_b32_e32 v61, v67
	v_mov_b32_e32 v62, v67
	;; [unrolled: 1-line block ×29, first 2 shown]
	s_waitcnt lgkmcnt(0)
	s_barrier
.LBB119_6:                              ; =>This Inner Loop Header: Depth=1
	s_add_i32 s60, s58, 1
	s_cmp_lt_i32 s60, s45
	s_mov_b64 s[28:29], 0
	s_cselect_b64 s[40:41], -1, 0
	s_cmp_ge_i32 s60, s45
	s_mov_b64 s[24:25], 0
	s_cbranch_scc1 .LBB119_8
; %bb.7:                                ;   in Loop: Header=BB119_6 Depth=1
	s_add_i32 s0, s52, 64
	s_ashr_i32 s1, s0, 31
	s_add_u32 s0, s49, s0
	s_addc_u32 s1, s48, s1
	s_lshl_b64 s[0:1], s[0:1], 8
	s_add_u32 s24, s6, s0
	s_addc_u32 s25, s7, s1
.LBB119_8:                              ;   in Loop: Header=BB119_6 Depth=1
	v_cndmask_b32_e64 v2, 0, 1, s[40:41]
	v_cmp_ne_u32_e64 s[0:1], 1, v2
	s_andn2_b64 vcc, exec, s[40:41]
	s_cbranch_vccnz .LBB119_10
; %bb.9:                                ;   in Loop: Header=BB119_6 Depth=1
	s_add_i32 s28, s52, 64
	s_mul_hi_i32 s29, s28, s18
	s_mul_i32 s28, s28, s18
	s_add_u32 s28, s28, s50
	s_addc_u32 s29, s29, s54
	s_lshl_b64 s[28:29], s[28:29], 8
	s_add_u32 s28, s4, s28
	s_addc_u32 s29, s5, s29
.LBB119_10:                             ;   in Loop: Header=BB119_6 Depth=1
	v_perm_b32 v3, v65, v64, s21
	v_perm_b32 v2, v63, v62, s21
	v_perm_b32 v5, v61, v60, s21
	v_perm_b32 v4, v59, v58, s21
	ds_write_b64 v88, v[2:3]
	ds_write_b64 v89, v[4:5]
	ds_write_b64 v94, v[2:3]
	ds_write_b64 v95, v[4:5]
	v_perm_b32 v3, v57, v56, s21
	v_perm_b32 v2, v55, v54, s21
	v_perm_b32 v5, v53, v52, s21
	v_perm_b32 v4, v51, v50, s21
	ds_write_b64 v90, v[2:3]
	ds_write_b64 v91, v[4:5]
	ds_write_b64 v96, v[2:3]
	ds_write_b64 v97, v[4:5]
	;; [unrolled: 8-line block ×4, first 2 shown]
	s_waitcnt lgkmcnt(0)
	s_barrier
	ds_read_b64 v[6:7], v104 offset:49152
	ds_read2_b64 v[2:5], v105 offset1:16
	ds_read_b64 v[18:19], v107 offset:6144
	ds_read_b64 v[20:21], v105 offset:6144
	s_waitcnt lgkmcnt(2)
	v_mfma_f32_16x16x16_bf16 a[0:3], v[6:7], v[2:3], 0
	ds_read_b64 v[22:23], v106 offset:49152
	ds_read2st64_b64 v[10:13], v108 offset0:4 offset1:8
	ds_read2st64_b64 v[14:17], v109 offset0:4 offset1:8
	v_mfma_f32_16x16x16_bf16 a[4:7], v[6:7], v[4:5], 0
	ds_read2_b64 v[2:5], v105 offset0:32 offset1:48
	s_add_i32 s31, s52, 63
	s_ashr_i32 s40, s31, 31
	s_waitcnt lgkmcnt(0)
	v_mfma_f32_16x16x16_bf16 a[8:11], v[6:7], v[2:3], 0
	s_mul_i32 s41, s31, s35
	s_mul_hi_u32 s61, s31, s34
	s_add_i32 s41, s61, s41
	v_mfma_f32_16x16x16_bf16 a[12:15], v[6:7], v[4:5], 0
	ds_read2st64_b64 v[2:5], v105 offset0:4 offset1:8
	ds_read2st64_b64 v[6:9], v107 offset0:4 offset1:8
	s_mul_i32 s40, s40, s34
	s_waitcnt lgkmcnt(1)
	v_mfma_f32_16x16x16_bf16 a[0:3], v[22:23], v[2:3], a[0:3]
	s_add_i32 s41, s41, s40
	s_mul_i32 s40, s31, s34
	s_lshl_b64 s[40:41], s[40:41], 2
	s_waitcnt lgkmcnt(0)
	v_mfma_f32_16x16x16_bf16 a[4:7], v[22:23], v[6:7], a[4:7]
	s_add_u32 s40, s2, s40
	s_addc_u32 s41, s3, s41
	s_and_b64 vcc, exec, s[0:1]
	v_mfma_f32_16x16x16_bf16 a[8:11], v[22:23], v[10:11], a[8:11]
	ds_read_b64 v[2:3], v110 offset:49152
	ds_read_b64 v[6:7], v111 offset:49152
	;; [unrolled: 1-line block ×3, first 2 shown]
	v_mov_b32_e32 v136, 0
	v_mov_b32_e32 v135, 0
	v_mfma_f32_16x16x16_bf16 a[12:15], v[22:23], v[14:15], a[12:15]
	v_mov_b32_e32 v134, 0
	v_mov_b32_e32 v14, 0
	;; [unrolled: 1-line block ×3, first 2 shown]
	s_waitcnt lgkmcnt(2)
	v_mfma_f32_16x16x16_bf16 a[0:3], v[2:3], v[4:5], a[0:3]
	v_mov_b32_e32 v4, 0
	v_mov_b32_e32 v5, 0
	v_mfma_f32_16x16x16_bf16 a[4:7], v[2:3], v[8:9], a[4:7]
	v_mov_b32_e32 v8, 0
	v_mov_b32_e32 v9, 0
	;; [unrolled: 3-line block ×3, first 2 shown]
	v_mfma_f32_16x16x16_bf16 a[12:15], v[2:3], v[16:17], a[12:15]
	ds_read_b64 v[2:3], v108 offset:6144
	v_mov_b32_e32 v16, 0
	v_mov_b32_e32 v17, 0
	s_waitcnt lgkmcnt(2)
	v_mfma_f32_16x16x16_bf16 a[0:3], v[6:7], v[20:21], a[0:3]
	v_mfma_f32_16x16x16_bf16 a[4:7], v[6:7], v[18:19], a[4:7]
	s_waitcnt lgkmcnt(0)
	v_mfma_f32_16x16x16_bf16 a[8:11], v[6:7], v[2:3], a[8:11]
	v_mov_b32_e32 v2, 0
	v_mov_b32_e32 v3, 0
	v_mfma_f32_16x16x16_bf16 a[12:15], v[6:7], v[10:11], a[12:15]
	v_mov_b32_e32 v6, 0
	v_mov_b32_e32 v7, 0
	;; [unrolled: 1-line block ×4, first 2 shown]
	s_cbranch_vccnz .LBB119_12
; %bb.11:                               ;   in Loop: Header=BB119_6 Depth=1
	s_and_b32 s25, s25, 0xffff
	buffer_load_dwordx4 v[14:17], v84, s[24:27], 0 offen
	buffer_load_dwordx4 v[10:13], v84, s[24:27], s55 offen
	;; [unrolled: 1-line block ×4, first 2 shown]
	v_mov_b32_e32 v135, v86
	v_mov_b32_e32 v134, v87
.LBB119_12:                             ;   in Loop: Header=BB119_6 Depth=1
	ds_read_b64 v[142:143], v104 offset:57344
	ds_read2_b64 v[18:21], v112 offset1:16
	ds_read_b64 v[144:145], v106 offset:57344
	ds_read_b64 v[146:147], v110 offset:57344
	;; [unrolled: 1-line block ×3, first 2 shown]
	v_add_u32_e32 v137, s52, v128
	s_waitcnt lgkmcnt(3)
	v_mfma_f32_16x16x16_bf16 a[0:3], v[142:143], v[18:19], a[0:3]
	v_mfma_f32_16x16x16_bf16 a[4:7], v[142:143], v[20:21], a[4:7]
	ds_read2_b64 v[18:21], v112 offset0:32 offset1:48
	ds_read2st64_b64 v[22:25], v112 offset0:4 offset1:8
	ds_read2st64_b64 v[26:29], v113 offset0:4 offset1:8
	;; [unrolled: 1-line block ×4, first 2 shown]
	s_waitcnt lgkmcnt(4)
	v_mfma_f32_16x16x16_bf16 a[8:11], v[142:143], v[18:19], a[8:11]
	v_ashrrev_i32_e32 v18, 31, v137
	v_mfma_f32_16x16x16_bf16 a[12:15], v[142:143], v[20:21], a[12:15]
	v_mul_lo_u32 v20, v18, s34
	v_mul_lo_u32 v21, v137, s35
	v_mad_u64_u32 v[18:19], s[24:25], v137, s34, 0
	v_add3_u32 v19, v19, v21, v20
	v_add_u32_e32 v20, 1, v137
	v_ashrrev_i32_e32 v21, 31, v20
	s_waitcnt lgkmcnt(3)
	v_mfma_f32_16x16x16_bf16 a[0:3], v[144:145], v[22:23], a[0:3]
	v_mul_lo_u32 v22, v21, s34
	v_mul_lo_u32 v23, v20, s35
	v_mad_u64_u32 v[20:21], s[24:25], v20, s34, 0
	v_add3_u32 v21, v21, v23, v22
	v_add_u32_e32 v22, 2, v137
	v_ashrrev_i32_e32 v23, 31, v22
	s_waitcnt lgkmcnt(2)
	v_mfma_f32_16x16x16_bf16 a[4:7], v[144:145], v[26:27], a[4:7]
	v_mul_lo_u32 v26, v23, s34
	v_mul_lo_u32 v27, v22, s35
	v_mad_u64_u32 v[22:23], s[24:25], v22, s34, 0
	v_lshl_add_u64 v[18:19], v[18:19], 2, s[2:3]
	v_lshl_add_u64 v[20:21], v[20:21], 2, s[2:3]
	v_add3_u32 v23, v23, v27, v26
	v_add_u32_e32 v26, 3, v137
	s_waitcnt lgkmcnt(1)
	v_mfma_f32_16x16x16_bf16 a[8:11], v[144:145], v[30:31], a[8:11]
	global_load_dword v31, v[18:19], off
	global_load_dword v137, v[20:21], off
	v_mad_u64_u32 v[18:19], s[24:25], v26, s34, 0
	v_ashrrev_i32_e32 v27, 31, v26
	s_ashr_i32 s25, s52, 31
	v_mul_lo_u32 v27, v27, s34
	v_mul_lo_u32 v30, v26, s35
	s_add_u32 s24, s49, s52
	v_lshl_add_u64 v[22:23], v[22:23], 2, s[2:3]
	v_add3_u32 v19, v19, v30, v27
	s_addc_u32 s25, s48, s25
	s_waitcnt lgkmcnt(0)
	v_mfma_f32_16x16x16_bf16 a[12:15], v[144:145], v[138:139], a[12:15]
	v_lshl_add_u64 v[18:19], v[18:19], 2, s[2:3]
	global_load_dword v30, v[22:23], off
	global_load_dword v138, v[18:19], off
	s_lshl_b64 s[24:25], s[24:25], 8
	v_lshl_add_u64 v[18:19], v[68:69], 0, s[24:25]
	v_lshl_add_u64 v[18:19], v[18:19], 0, v[66:67]
	global_load_ushort v139, v[18:19], off offset:256
	global_load_ushort v142, v[18:19], off
	global_load_ushort v143, v[18:19], off offset:768
	global_load_ushort v144, v[18:19], off offset:512
	;; [unrolled: 1-line block ×6, first 2 shown]
	s_load_dword s40, s[40:41], 0x0
	v_mfma_f32_16x16x16_bf16 a[12:15], v[146:147], v[140:141], a[12:15]
	global_load_ushort v140, v[18:19], off offset:320
	global_load_ushort v141, v[18:19], off offset:64
	s_and_b64 vcc, exec, s[0:1]
	v_mfma_f32_16x16x16_bf16 a[0:3], v[146:147], v[24:25], a[0:3]
	ds_read_b64 v[20:21], v112 offset:6144
	ds_read_b64 v[22:23], v113 offset:6144
	;; [unrolled: 1-line block ×4, first 2 shown]
	v_mfma_f32_16x16x16_bf16 a[4:7], v[146:147], v[28:29], a[4:7]
	s_waitcnt vmcnt(11) lgkmcnt(0)
	v_sub_f32_e32 v28, s40, v30
	v_mfma_f32_16x16x16_bf16 a[8:11], v[146:147], v[32:33], a[8:11]
	global_load_ushort v146, v[18:19], off offset:832
	global_load_ushort v147, v[18:19], off offset:576
	;; [unrolled: 1-line block ×6, first 2 shown]
	v_mfma_f32_16x16x16_bf16 a[0:3], v[148:149], v[20:21], a[0:3]
	s_waitcnt vmcnt(16)
	v_sub_f32_e32 v29, s40, v138
	v_mul_f32_e32 v28, 0x3fb8aa3b, v28
	v_mul_f32_e32 v29, 0x3fb8aa3b, v29
	v_exp_f32_e32 v28, v28
	v_exp_f32_e32 v29, v29
	s_waitcnt vmcnt(15)
	v_lshlrev_b32_e32 v33, 16, v139
	s_waitcnt vmcnt(14)
	v_lshlrev_b32_e32 v32, 16, v142
	v_accvgpr_read_b32 v21, a3
	v_accvgpr_read_b32 v20, a2
	v_mfma_f32_16x16x16_bf16 a[2:5], v[148:149], v[22:23], a[4:7]
	v_accvgpr_read_b32 v139, a1
	v_accvgpr_read_b32 v138, a0
	v_pk_add_f32 v[32:33], v[32:33], v[138:139] neg_lo:[0,1] neg_hi:[0,1]
	v_mfma_f32_16x16x16_bf16 a[6:9], v[148:149], v[24:25], a[8:11]
	s_waitcnt vmcnt(13)
	v_lshlrev_b32_e32 v139, 16, v143
	s_waitcnt vmcnt(12)
	v_lshlrev_b32_e32 v138, 16, v144
	v_pk_add_f32 v[20:21], v[138:139], v[20:21] neg_lo:[0,1] neg_hi:[0,1]
	v_accvgpr_read_b32 v139, a3
	v_accvgpr_read_b32 v138, a2
	;; [unrolled: 1-line block ×6, first 2 shown]
	v_mfma_f32_16x16x16_bf16 a[8:11], v[148:149], v[26:27], a[12:15]
	v_sub_f32_e32 v26, s40, v31
	v_sub_f32_e32 v27, s40, v137
	v_mul_f32_e32 v26, 0x3fb8aa3b, v26
	v_mul_f32_e32 v27, 0x3fb8aa3b, v27
	v_exp_f32_e32 v26, v26
	v_exp_f32_e32 v27, v27
	v_lshl_add_u64 v[30:31], v[70:71], 0, s[24:25]
	v_lshl_add_u64 v[30:31], v[30:31], 0, v[66:67]
	global_store_short_d16_hi v[30:31], v32, off
	global_store_short_d16_hi v[30:31], v33, off offset:256
	global_store_short_d16_hi v[30:31], v20, off offset:512
	;; [unrolled: 1-line block ×3, first 2 shown]
	v_pk_mul_f32 v[32:33], v[26:27], v[32:33]
	v_pk_mul_f32 v[20:21], v[28:29], v[20:21]
	v_accvgpr_read_b32 v25, a11
	v_perm_b32 v21, v21, v20, s21
	v_perm_b32 v20, v33, v32, s21
	s_waitcnt vmcnt(15)
	v_lshlrev_b32_e32 v33, 16, v145
	s_waitcnt vmcnt(14)
	v_lshlrev_b32_e32 v32, 16, v150
	v_pk_add_f32 v[32:33], v[32:33], v[138:139] neg_lo:[0,1] neg_hi:[0,1]
	s_waitcnt vmcnt(13)
	v_lshlrev_b32_e32 v139, 16, v151
	s_waitcnt vmcnt(12)
	v_lshlrev_b32_e32 v138, 16, v152
	v_pk_add_f32 v[22:23], v[138:139], v[22:23] neg_lo:[0,1] neg_hi:[0,1]
	global_store_short_d16_hi v[30:31], v32, off offset:32
	global_store_short_d16_hi v[30:31], v33, off offset:288
	;; [unrolled: 1-line block ×4, first 2 shown]
	v_pk_mul_f32 v[32:33], v[26:27], v[32:33]
	v_pk_mul_f32 v[22:23], v[28:29], v[22:23]
	v_accvgpr_read_b32 v24, a10
	v_perm_b32 v23, v23, v22, s21
	v_perm_b32 v22, v33, v32, s21
	ds_write2_b64 v89, v[20:21], v[22:23] offset1:16
	v_accvgpr_read_b32 v23, a7
	s_waitcnt vmcnt(15)
	v_lshlrev_b32_e32 v21, 16, v140
	s_waitcnt vmcnt(14)
	v_lshlrev_b32_e32 v20, 16, v141
	v_accvgpr_read_b32 v22, a6
	v_pk_add_f32 v[20:21], v[20:21], v[22:23] neg_lo:[0,1] neg_hi:[0,1]
	global_store_short_d16_hi v[30:31], v20, off offset:64
	global_store_short_d16_hi v[30:31], v21, off offset:320
	v_pk_mul_f32 v[20:21], v[26:27], v[20:21]
	v_mov_b32_e32 v137, 0
	v_perm_b32 v20, v21, v20, s21
	v_mov_b32_e32 v32, 0
	v_mov_b32_e32 v33, 0
	s_waitcnt vmcnt(15)
	v_lshlrev_b32_e32 v23, 16, v146
	s_waitcnt vmcnt(14)
	v_lshlrev_b32_e32 v22, 16, v147
	v_pk_add_f32 v[18:19], v[22:23], v[18:19] neg_lo:[0,1] neg_hi:[0,1]
	global_store_short_d16_hi v[30:31], v18, off offset:576
	global_store_short_d16_hi v[30:31], v19, off offset:832
	v_pk_mul_f32 v[18:19], v[28:29], v[18:19]
	v_accvgpr_read_b32 v23, a9
	v_perm_b32 v21, v19, v18, s21
	s_waitcnt vmcnt(15)
	v_lshlrev_b32_e32 v19, 16, v153
	s_waitcnt vmcnt(14)
	v_lshlrev_b32_e32 v18, 16, v154
	v_accvgpr_read_b32 v22, a8
	v_pk_add_f32 v[18:19], v[18:19], v[22:23] neg_lo:[0,1] neg_hi:[0,1]
	s_waitcnt vmcnt(13)
	v_lshlrev_b32_e32 v23, 16, v155
	s_waitcnt vmcnt(12)
	v_lshlrev_b32_e32 v22, 16, v156
	v_pk_add_f32 v[22:23], v[22:23], v[24:25] neg_lo:[0,1] neg_hi:[0,1]
	global_store_short_d16_hi v[30:31], v18, off offset:96
	global_store_short_d16_hi v[30:31], v19, off offset:352
	;; [unrolled: 1-line block ×4, first 2 shown]
	v_pk_mul_f32 v[18:19], v[26:27], v[18:19]
	v_pk_mul_f32 v[22:23], v[28:29], v[22:23]
	v_mov_b32_e32 v24, 0
	v_perm_b32 v23, v23, v22, s21
	v_perm_b32 v22, v19, v18, s21
	ds_write2_b64 v89, v[20:21], v[22:23] offset0:32 offset1:48
	v_mov_b32_e32 v18, 0
	v_mov_b32_e32 v19, 0
	;; [unrolled: 1-line block ×13, first 2 shown]
	s_cbranch_vccnz .LBB119_14
; %bb.13:                               ;   in Loop: Header=BB119_6 Depth=1
	s_and_b32 s29, s29, 0xffff
	s_mov_b32 s31, s27
	buffer_load_dwordx4 v[30:33], v126, s[28:31], 0 offen
	buffer_load_dwordx4 v[22:25], v126, s[28:31], s55 offen
	;; [unrolled: 1-line block ×4, first 2 shown]
	v_mov_b32_e32 v136, v83
	v_mov_b32_e32 v137, v82
.LBB119_14:                             ;   in Loop: Header=BB119_6 Depth=1
	s_waitcnt lgkmcnt(0)
	s_barrier
	ds_read_b64 v[146:147], v129
	ds_read2_b64 v[138:141], v119 offset1:16
	ds_read_b64 v[162:163], v130
	ds_read_b64 v[164:165], v131
	ds_read_b64 v[166:167], v132
	ds_read2_b64 v[142:145], v119 offset0:32 offset1:48
	s_waitcnt lgkmcnt(4)
	v_mfma_f32_16x16x16_bf16 a[0:3], v[146:147], v[138:139], 0
	ds_read2st64_b64 v[150:153], v121 offset0:4 offset1:8
	ds_read2st64_b64 v[154:157], v122 offset0:4 offset1:8
	ds_read2st64_b64 v[158:161], v123 offset0:4 offset1:8
	v_mfma_f32_16x16x16_bf16 a[4:7], v[146:147], v[140:141], 0
	s_add_i32 s24, s46, s58
	s_mul_hi_i32 s25, s24, s51
	s_mul_i32 s24, s24, s51
	s_waitcnt lgkmcnt(3)
	v_mfma_f32_16x16x16_bf16 a[8:11], v[146:147], v[142:143], 0
	s_add_u32 s24, s24, s33
	s_addc_u32 s25, s25, s53
	s_lshl_b64 s[24:25], s[24:25], 15
	v_mfma_f32_16x16x16_bf16 a[12:15], v[146:147], v[144:145], 0
	ds_read2st64_b64 v[146:149], v119 offset0:4 offset1:8
	s_waitcnt lgkmcnt(0)
	v_mfma_f32_16x16x16_bf16 a[0:3], v[162:163], v[146:147], a[0:3]
	v_mfma_f32_16x16x16_bf16 a[4:7], v[162:163], v[150:151], a[4:7]
	v_mfma_f32_16x16x16_bf16 a[8:11], v[162:163], v[154:155], a[8:11]
	v_mfma_f32_16x16x16_bf16 a[12:15], v[162:163], v[158:159], a[12:15]
	v_mfma_f32_16x16x16_bf16 a[0:3], v[164:165], v[148:149], a[0:3]
	v_mfma_f32_16x16x16_bf16 a[4:7], v[164:165], v[152:153], a[4:7]
	v_mfma_f32_16x16x16_bf16 a[8:11], v[164:165], v[156:157], a[8:11]
	v_mfma_f32_16x16x16_bf16 a[12:15], v[164:165], v[160:161], a[12:15]
	ds_read_b64 v[162:163], v119 offset:6144
	ds_read_b64 v[164:165], v120 offset:40960
	;; [unrolled: 1-line block ×8, first 2 shown]
	s_waitcnt lgkmcnt(5)
	v_mfma_f32_16x16x16_bf16 a[16:19], v[168:169], v[138:139], 0
	v_mfma_f32_16x16x16_bf16 a[20:23], v[168:169], v[140:141], 0
	ds_read2st64_b64 v[138:141], v116 offset1:8
	v_mfma_f32_16x16x16_bf16 a[24:27], v[168:169], v[142:143], 0
	v_mfma_f32_16x16x16_bf16 a[28:31], v[168:169], v[144:145], 0
	ds_read2st64_b64 v[142:145], v117 offset1:8
	v_mfma_f32_16x16x16_bf16 a[16:19], v[164:165], v[146:147], a[16:19]
	s_waitcnt lgkmcnt(1)
	v_mov_b32_e32 v146, v138
	v_mov_b32_e32 v147, v139
	v_mfma_f32_16x16x16_bf16 a[20:23], v[164:165], v[150:151], a[20:23]
	v_lshl_add_u64 v[150:151], v[72:73], 0, s[24:25]
	v_mfma_f32_16x16x16_bf16 a[24:27], v[164:165], v[154:155], a[24:27]
	v_mfma_f32_16x16x16_bf16 a[28:31], v[164:165], v[158:159], a[28:31]
	;; [unrolled: 1-line block ×3, first 2 shown]
	s_waitcnt lgkmcnt(0)
	v_mov_b32_e32 v148, v142
	v_mov_b32_e32 v149, v143
	;; [unrolled: 1-line block ×3, first 2 shown]
	v_mfma_f32_16x16x16_bf16 a[32:35], v[176:177], v[152:153], a[20:23]
	v_mov_b32_e32 v143, v141
	ds_read2st64_b64 v[138:141], v116 offset0:16 offset1:24
	global_store_dwordx4 v[150:151], v[146:149], off
	v_mfma_f32_16x16x16_bf16 a[24:27], v[176:177], v[156:157], a[24:27]
	ds_read2st64_b64 v[146:149], v117 offset0:16 offset1:24
	v_add_co_u32_e32 v152, vcc, s37, v150
	v_mfma_f32_16x16x16_bf16 a[28:31], v[176:177], v[160:161], a[28:31]
	s_nop 0
	v_addc_co_u32_e32 v153, vcc, 0, v151, vcc
	global_store_dwordx4 v[152:153], v[142:145], off offset:-4096
	v_mfma_f32_16x16x16_bf16 a[0:3], v[166:167], v[162:163], a[0:3]
	s_waitcnt lgkmcnt(1)
	v_mov_b32_e32 v142, v138
	v_add_co_u32_e32 v138, vcc, s59, v150
	v_mfma_f32_16x16x16_bf16 a[4:7], v[166:167], v[170:171], a[4:7]
	v_mov_b32_e32 v143, v139
	v_addc_co_u32_e32 v139, vcc, 0, v151, vcc
	v_mfma_f32_16x16x16_bf16 a[8:11], v[166:167], v[172:173], a[8:11]
	s_waitcnt lgkmcnt(0)
	v_mov_b32_e32 v144, v146
	v_mov_b32_e32 v145, v147
	;; [unrolled: 1-line block ×3, first 2 shown]
	v_mfma_f32_16x16x16_bf16 a[12:15], v[166:167], v[174:175], a[12:15]
	v_mov_b32_e32 v147, v141
	s_and_b64 vcc, exec, s[0:1]
	global_store_dwordx4 v[152:153], v[142:145], off
	v_mfma_f32_16x16x16_bf16 a[20:23], v[178:179], v[162:163], a[16:19]
	global_store_dwordx4 v[138:139], v[146:149], off
	v_mfma_f32_16x16x16_bf16 a[16:19], v[178:179], v[170:171], a[32:35]
	v_mfma_f32_16x16x16_bf16 a[24:27], v[178:179], v[172:173], a[24:27]
	;; [unrolled: 1-line block ×3, first 2 shown]
	s_cbranch_vccnz .LBB119_16
; %bb.15:                               ;   in Loop: Header=BB119_6 Depth=1
	v_lshrrev_b32_e32 v138, 3, v136
	v_and_b32_e32 v138, 6, v138
	v_xor_b32_e32 v137, v138, v137
	v_lshlrev_b32_e32 v137, 2, v137
	v_and_b32_e32 v136, 8, v136
	v_xor_b32_e32 v139, 0x440, v137
	v_cmp_eq_u32_e32 vcc, 0, v136
	s_barrier
	s_nop 0
	v_cndmask_b32_e32 v136, v139, v137, vcc
	v_lshl_or_b32 v136, v138, 10, v136
	s_waitcnt vmcnt(5)
	v_perm_b32 v137, v30, v26, s56
	s_waitcnt vmcnt(4)
	v_perm_b32 v138, v22, v18, s56
	ds_write2st64_b32 v136, v137, v138 offset0:128 offset1:160
	v_xor_b32_e32 v137, 8, v136
	v_perm_b32 v26, v30, v26, s57
	v_perm_b32 v18, v22, v18, s57
	v_add_u32_e32 v22, 0x80, v137
	ds_write2st64_b32 v22, v26, v18 offset0:128 offset1:160
	v_xor_b32_e32 v18, 16, v136
	v_perm_b32 v22, v31, v27, s56
	v_perm_b32 v26, v23, v19, s56
	ds_write2st64_b32 v18, v22, v26 offset0:129 offset1:161
	v_xor_b32_e32 v18, 24, v136
	v_perm_b32 v22, v31, v27, s57
	v_perm_b32 v19, v23, v19, s57
	v_add_u32_e32 v18, 0x80, v18
	ds_write2st64_b32 v18, v22, v19 offset0:129 offset1:161
	v_xor_b32_e32 v18, 32, v136
	v_perm_b32 v19, v32, v28, s56
	;; [unrolled: 9-line block ×3, first 2 shown]
	v_perm_b32 v20, v25, v21, s56
	ds_write2st64_b32 v18, v19, v20 offset0:131 offset1:163
	v_xor_b32_e32 v18, 56, v136
	v_perm_b32 v19, v33, v29, s57
	v_perm_b32 v20, v25, v21, s57
	v_add_u32_e32 v18, 0x80, v18
	ds_write2st64_b32 v18, v19, v20 offset0:131 offset1:163
	ds_write_b64 v135, v[14:15] offset:49152
	v_xor_b32_e32 v14, 8, v135
	ds_write_b64 v14, v[16:17] offset:49152
	ds_write_b64 v135, v[10:11] offset:57344
	;; [unrolled: 1-line block ×4, first 2 shown]
	v_xor_b32_e32 v6, 8, v134
	ds_write_b64 v6, v[8:9] offset:49152
	ds_write_b64 v134, v[2:3] offset:57344
	;; [unrolled: 1-line block ×3, first 2 shown]
.LBB119_16:                             ;   in Loop: Header=BB119_6 Depth=1
	s_waitcnt vmcnt(6)
	v_mul_f32_e32 v22, s40, v133
	v_exp_f32_e32 v134, v22
	v_accvgpr_read_b32 v5, a3
	v_accvgpr_read_b32 v9, a7
	;; [unrolled: 1-line block ×4, first 2 shown]
	s_waitcnt vmcnt(4)
	v_accvgpr_read_b32 v18, a20
	v_accvgpr_read_b32 v25, a19
	;; [unrolled: 1-line block ×28, first 2 shown]
	s_add_i32 s52, s52, 64
	v_pk_fma_f32 v[62:63], v[134:135], v[62:63], v[2:3] op_sel_hi:[0,1,1]
	v_pk_fma_f32 v[64:65], v[134:135], v[64:65], v[4:5] op_sel_hi:[0,1,1]
	;; [unrolled: 1-line block ×15, first 2 shown]
	s_cmp_eq_u32 s45, s60
	v_pk_fma_f32 v[38:39], v[134:135], v[38:39], v[32:33] op_sel_hi:[0,1,1]
	s_cbranch_scc1 .LBB119_18
; %bb.17:                               ;   in Loop: Header=BB119_6 Depth=1
	s_mov_b32 s58, s60
	s_branch .LBB119_6
.LBB119_18:
	s_lshl_b32 s0, s45, 6
	s_sub_i32 s47, s47, s0
	s_cmp_gt_i32 s47, 0
	s_cbranch_scc0 .LBB119_99
; %bb.19:
	s_add_i32 s38, s0, s38
	s_ashr_i32 s2, s38, 31
	s_cmpk_lg_i32 s19, 0x80
	s_cselect_b64 s[30:31], -1, 0
	s_and_b64 vcc, exec, s[30:31]
	s_cbranch_vccz .LBB119_21
; %bb.20:
	s_mul_i32 s1, s38, s18
	s_ashr_i32 s3, s50, 31
	s_mul_hi_i32 s0, s38, s18
	s_add_u32 s40, s1, s50
	s_addc_u32 s41, s0, s3
	s_cbranch_execz .LBB119_22
	s_branch .LBB119_23
.LBB119_21:
                                        ; implicit-def: $sgpr40_sgpr41
.LBB119_22:
	s_mul_i32 s1, s50, s16
	s_mul_hi_i32 s0, s50, s16
	s_add_u32 s40, s1, s38
	s_addc_u32 s41, s0, s2
.LBB119_23:
	s_add_i32 s3, s45, s46
	s_ashr_i32 s16, s33, 31
	s_add_u32 s0, s49, s38
	v_lshlrev_b32_e32 v6, 6, v80
	v_lshlrev_b32_e32 v24, 2, v74
	s_addc_u32 s1, s48, s2
	s_mov_b32 s2, 0x7060302
	v_or_b32_e32 v9, v6, v24
	v_xor_b32_e32 v7, v80, v24
	v_perm_b32 v3, v65, v64, s2
	v_perm_b32 v2, v63, v62, s2
	;; [unrolled: 1-line block ×4, first 2 shown]
	v_lshlrev_b32_e32 v9, 1, v9
	v_xor_b32_e32 v8, v81, v24
	ds_write2st64_b64 v9, v[2:3], v[4:5] offset0:32 offset1:48
	v_lshlrev_b32_e32 v7, 1, v7
	v_lshlrev_b32_e32 v9, 8, v74
	v_or_b32_e32 v10, v7, v9
	v_lshlrev_b32_e32 v8, 1, v8
	ds_write_b64 v10, v[2:3]
	v_or_b32_e32 v2, v8, v9
	v_or_b32_e32 v9, 16, v74
	v_lshlrev_b32_e32 v23, 2, v9
	v_or_b32_e32 v10, v6, v23
	ds_write_b64 v2, v[4:5]
	v_perm_b32 v3, v57, v56, s2
	v_perm_b32 v2, v55, v54, s2
	;; [unrolled: 1-line block ×4, first 2 shown]
	v_lshlrev_b32_e32 v10, 1, v10
	v_lshlrev_b32_e32 v9, 8, v9
	ds_write2st64_b64 v10, v[2:3], v[4:5] offset0:32 offset1:48
	v_or_b32_e32 v10, v7, v9
	ds_write_b64 v10, v[2:3]
	v_or_b32_e32 v2, v8, v9
	v_or_b32_e32 v9, 32, v74
	v_lshlrev_b32_e32 v22, 2, v9
	v_or_b32_e32 v10, v6, v22
	s_lshl_b64 s[28:29], s[0:1], 8
	ds_write_b64 v2, v[4:5]
	v_perm_b32 v3, v49, v48, s2
	v_perm_b32 v2, v47, v46, s2
	;; [unrolled: 1-line block ×4, first 2 shown]
	v_lshlrev_b32_e32 v10, 1, v10
	v_lshlrev_b32_e32 v9, 8, v9
	s_add_u32 s0, s6, s28
	ds_write2st64_b64 v10, v[2:3], v[4:5] offset0:32 offset1:48
	v_or_b32_e32 v10, v7, v9
	s_addc_u32 s1, s7, s29
	ds_write_b64 v10, v[2:3]
	v_or_b32_e32 v2, v8, v9
	v_or_b32_e32 v9, 48, v74
	s_mul_hi_i32 s6, s3, s17
	s_mul_i32 s3, s3, s17
	ds_write_b64 v2, v[4:5]
	v_perm_b32 v3, v35, v34, s2
	v_perm_b32 v2, v41, v40, s2
	;; [unrolled: 1-line block ×4, first 2 shown]
	v_lshlrev_b32_e32 v19, 2, v9
	s_add_u32 s2, s3, s33
	v_or_b32_e32 v6, v6, v19
	s_addc_u32 s3, s6, s16
	v_lshlrev_b32_e32 v6, 1, v6
	s_ashr_i32 s37, s36, 31
	s_lshl_b64 s[2:3], s[2:3], 15
	ds_write2st64_b64 v6, v[2:3], v[4:5] offset0:32 offset1:48
	v_lshlrev_b32_e32 v6, 8, v9
	s_add_u32 s6, s12, s2
	v_or_b32_e32 v7, v7, v6
	s_addc_u32 s7, s13, s3
	s_lshl_b64 s[2:3], s[36:37], 8
	ds_write_b64 v7, v[2:3]
	v_or_b32_e32 v2, v8, v6
	s_add_u32 s2, s6, s2
	v_lshlrev_b32_e32 v3, 1, v74
	ds_write_b64 v2, v[4:5]
	v_lshrrev_b32_e32 v2, 4, v0
	s_addc_u32 s3, s7, s3
	v_or_b32_e32 v4, 1, v3
	v_lshlrev_b32_e32 v10, 4, v74
	v_mov_b32_e32 v11, 0
	v_xor_b32_e32 v3, v2, v3
	v_xor_b32_e32 v6, v4, v2
	v_lshl_add_u64 v[12:13], s[2:3], 0, v[10:11]
	v_lshlrev_b32_e32 v10, 8, v2
	v_lshl_or_b32 v16, v3, 3, v10
	v_lshl_or_b32 v17, v6, 3, v10
	s_waitcnt lgkmcnt(0)
	s_barrier
	ds_read2st64_b64 v[2:5], v16 offset1:8
	ds_read2st64_b64 v[6:9], v17 offset1:8
	v_lshl_add_u64 v[14:15], v[12:13], 0, v[10:11]
	s_movk_i32 s2, 0x2000
	s_cmp_lg_u32 s47, 64
	s_waitcnt lgkmcnt(1)
	v_mov_b32_e32 v10, v2
	v_mov_b32_e32 v11, v3
	s_waitcnt lgkmcnt(0)
	v_mov_b32_e32 v12, v6
	v_mov_b32_e32 v13, v7
	global_store_dwordx4 v[14:15], v[10:13], off
	v_mov_b32_e32 v6, v4
	v_mov_b32_e32 v7, v5
	ds_read2st64_b64 v[2:5], v16 offset0:16 offset1:24
	ds_read2st64_b64 v[10:13], v17 offset0:16 offset1:24
	v_add_co_u32_e32 v16, vcc, s2, v14
	s_cselect_b64 s[6:7], -1, 0
	s_nop 0
	v_addc_co_u32_e32 v17, vcc, 0, v15, vcc
	global_store_dwordx4 v[16:17], v[6:9], off offset:-4096
	v_lshl_or_b32 v25, v76, 3, v79
	s_mov_b32 s24, 0
	s_waitcnt lgkmcnt(1)
	v_mov_b32_e32 v6, v2
	v_add_co_u32_e32 v2, vcc, 0x3000, v14
	v_mov_b32_e32 v7, v3
	s_nop 0
	v_addc_co_u32_e32 v3, vcc, 0, v15, vcc
	s_waitcnt lgkmcnt(0)
	v_mov_b32_e32 v8, v10
	v_mov_b32_e32 v9, v11
	;; [unrolled: 1-line block ×4, first 2 shown]
	v_or_b32_e32 v20, 32, v25
	v_and_b32_e32 v18, 56, v78
	s_and_b64 vcc, exec, s[6:7]
	global_store_dwordx4 v[16:17], v[6:9], off
	global_store_dwordx4 v[2:3], v[10:13], off
	s_cbranch_vccz .LBB119_29
; %bb.24:
	s_mov_b32 s25, s24
	s_mov_b32 s26, s24
	;; [unrolled: 1-line block ×3, first 2 shown]
	v_mov_b64_e32 v[6:7], s[24:25]
	v_mov_b64_e32 v[8:9], s[26:27]
	;; [unrolled: 1-line block ×3, first 2 shown]
	v_cmp_gt_i32_e32 vcc, s47, v25
	v_mov_b64_e32 v[4:5], v[8:9]
	s_and_saveexec_b64 s[2:3], vcc
	s_cbranch_execz .LBB119_26
; %bb.25:
	v_lshlrev_b32_e32 v2, 8, v25
	v_mov_b32_e32 v3, 0
	v_lshl_add_u64 v[4:5], s[0:1], 0, v[2:3]
	v_lshlrev_b32_e32 v2, 1, v18
	v_lshl_add_u64 v[10:11], v[4:5], 0, v[2:3]
	global_load_dwordx4 v[6:9], v[10:11], off
	global_load_dwordx4 v[2:5], v[10:11], off offset:128
.LBB119_26:
	s_or_b64 exec, exec, s[2:3]
	s_mov_b32 s25, s24
	s_mov_b32 s26, s24
	;; [unrolled: 1-line block ×3, first 2 shown]
	v_mov_b64_e32 v[14:15], s[24:25]
	v_mov_b64_e32 v[16:17], s[26:27]
	;; [unrolled: 1-line block ×3, first 2 shown]
	v_cmp_gt_i32_e32 vcc, s47, v20
	v_lshlrev_b32_e32 v21, 7, v20
	v_mov_b64_e32 v[12:13], v[16:17]
	s_and_saveexec_b64 s[2:3], vcc
	s_cbranch_execz .LBB119_28
; %bb.27:
	v_lshlrev_b32_e32 v10, 1, v21
	v_mov_b32_e32 v11, 0
	v_lshl_add_u64 v[12:13], s[0:1], 0, v[10:11]
	v_lshlrev_b32_e32 v10, 1, v18
	v_lshl_add_u64 v[26:27], v[12:13], 0, v[10:11]
	global_load_dwordx4 v[14:17], v[26:27], off
	global_load_dwordx4 v[10:13], v[26:27], off offset:128
.LBB119_28:
	s_or_b64 exec, exec, s[2:3]
	v_lshrrev_b32_e32 v26, 3, v18
	v_lshlrev_b32_e32 v27, 3, v25
	v_or_b32_e32 v26, v27, v26
	v_lshlrev_b32_e32 v26, 4, v26
	v_and_b32_e32 v27, 0x78, v27
	v_xor_b32_e32 v26, v26, v27
	s_branch .LBB119_31
.LBB119_29:
                                        ; implicit-def: $vgpr26
                                        ; implicit-def: $vgpr21
                                        ; implicit-def: $vgpr6_vgpr7_vgpr8_vgpr9
                                        ; implicit-def: $vgpr2_vgpr3_vgpr4_vgpr5
                                        ; implicit-def: $vgpr14_vgpr15_vgpr16_vgpr17
                                        ; implicit-def: $vgpr10_vgpr11_vgpr12_vgpr13
	s_cbranch_execz .LBB119_31
; %bb.30:
	s_waitcnt vmcnt(0)
	v_lshlrev_b32_e32 v2, 1, v18
	v_lshl_or_b32 v21, v25, 8, v2
	s_and_b32 s1, s1, 0xffff
	s_mov_b32 s3, 0x20000
	s_movk_i32 s2, 0x4000
	v_lshl_or_b32 v26, v20, 8, v2
	s_movk_i32 s12, 0x80
	buffer_load_dwordx4 v[6:9], v21, s[0:3], 0 offen
	buffer_load_dwordx4 v[2:5], v21, s[0:3], s12 offen
	;; [unrolled: 1-line block ×4, first 2 shown]
	v_lshrrev_b32_e32 v21, 3, v18
	v_lshlrev_b32_e32 v26, 3, v25
	v_or_b32_e32 v21, v26, v21
	v_lshlrev_b32_e32 v21, 4, v21
	v_and_b32_e32 v26, 0x78, v26
	v_xor_b32_e32 v26, v21, v26
	v_lshlrev_b32_e32 v21, 7, v20
.LBB119_31:
	s_movk_i32 s0, 0x1000
	v_and_or_b32 v20, v21, s0, v26
	s_waitcnt vmcnt(1)
	ds_write_b64 v26, v[6:7] offset:49152
	v_xor_b32_e32 v6, 8, v26
	ds_write_b64 v6, v[8:9] offset:49152
	s_waitcnt vmcnt(0)
	ds_write_b64 v26, v[2:3] offset:57344
	ds_write_b64 v6, v[4:5] offset:57344
	;; [unrolled: 1-line block ×3, first 2 shown]
	v_xor_b32_e32 v2, 8, v20
	ds_write_b64 v2, v[16:17] offset:49152
	ds_write_b64 v20, v[10:11] offset:57344
	;; [unrolled: 1-line block ×3, first 2 shown]
	v_or_b32_e32 v2, v1, v74
	v_lshlrev_b32_e32 v3, 11, v76
	v_lshlrev_b32_e32 v2, 3, v2
	v_and_b32_e32 v6, 0x1000, v3
	v_lshrrev_b32_e32 v3, 5, v75
	s_movk_i32 s0, 0xf8
	v_and_or_b32 v3, v2, s0, v3
	v_lshlrev_b32_e32 v7, 4, v3
	v_and_b32_e32 v8, 0x78, v2
	v_or_b32_e32 v10, 32, v7
	v_lshrrev_b32_e32 v3, 1, v75
	v_xor_b32_e32 v10, v10, v8
	v_xor_b32_e32 v2, v7, v8
	v_and_b32_e32 v9, 8, v3
	v_or_b32_e32 v10, v10, v6
	v_or_b32_e32 v2, v2, v6
	v_xor_b32_e32 v28, v10, v9
	v_or_b32_e32 v10, 64, v7
	v_xor_b32_e32 v27, v2, v9
	v_xor_b32_e32 v10, v10, v8
	s_waitcnt lgkmcnt(0)
	s_barrier
	v_or_b32_e32 v13, v10, v6
	ds_read_b64 v[10:11], v27 offset:49152
	v_lshl_or_b32 v14, v77, 8, v24
	v_lshlrev_b32_e32 v26, 1, v14
	v_add_u32_e32 v12, 0x4000, v26
	ds_read2_b64 v[2:5], v12 offset1:16
	v_or_b32_e32 v7, 0x60, v7
	v_xor_b32_e32 v7, v7, v8
	v_or_b32_e32 v6, v7, v6
	v_xor_b32_e32 v29, v13, v9
	v_xor_b32_e32 v30, v6, v9
	ds_read_b64 v[20:21], v28 offset:49152
	ds_read_b64 v[34:35], v29 offset:49152
	;; [unrolled: 1-line block ×3, first 2 shown]
	s_waitcnt lgkmcnt(3)
	v_mfma_f32_16x16x16_bf16 a[0:3], v[10:11], v[2:3], 0
	ds_read2_b64 v[6:9], v12 offset0:32 offset1:48
	s_lshl_b64 s[0:1], s[40:41], 8
	s_add_u32 s4, s4, s0
	v_mfma_f32_16x16x16_bf16 a[4:7], v[10:11], v[4:5], 0
	ds_read2st64_b64 v[2:5], v26 offset0:36 offset1:40
	s_addc_u32 s5, s5, s1
	s_add_i32 s2, s39, -1
	s_waitcnt lgkmcnt(1)
	v_mfma_f32_16x16x16_bf16 a[8:11], v[10:11], v[6:7], 0
	v_or_b32_e32 v6, 64, v14
	v_lshlrev_b32_e32 v31, 1, v6
	s_add_i32 s0, s43, s42
	s_waitcnt lgkmcnt(0)
	v_mfma_f32_16x16x16_bf16 a[0:3], v[20:21], v[2:3], a[0:3]
	v_or_b32_e32 v2, 0x80, v14
	v_lshlrev_b32_e32 v32, 1, v2
	v_or_b32_e32 v2, 0xc0, v14
	v_mfma_f32_16x16x16_bf16 a[12:15], v[10:11], v[8:9], 0
	ds_read2st64_b64 v[6:9], v31 offset0:36 offset1:40
	v_lshlrev_b32_e32 v33, 1, v2
	ds_read2st64_b64 v[10:13], v32 offset0:36 offset1:40
	ds_read2st64_b64 v[14:17], v33 offset0:36 offset1:40
	s_add_i32 s21, s0, s44
	s_mul_i32 s0, s33, s23
	s_mul_hi_u32 s1, s33, s22
	s_ashr_i32 s3, s2, 31
	s_mul_i32 s12, s2, s35
	s_mul_hi_u32 s13, s2, s34
	s_waitcnt lgkmcnt(2)
	v_mfma_f32_16x16x16_bf16 a[4:7], v[20:21], v[6:7], a[4:7]
	s_add_i32 s0, s1, s0
	s_mul_i32 s1, s16, s22
	s_add_i32 s12, s13, s12
	s_mul_i32 s3, s3, s34
	s_waitcnt lgkmcnt(1)
	v_mfma_f32_16x16x16_bf16 a[8:11], v[20:21], v[10:11], a[8:11]
	s_add_i32 s1, s0, s1
	s_add_i32 s3, s12, s3
	s_lshl_b64 s[12:13], s[20:21], 2
	s_waitcnt lgkmcnt(0)
	v_mfma_f32_16x16x16_bf16 a[12:15], v[20:21], v[14:15], a[12:15]
	s_mul_i32 s0, s33, s22
	s_add_u32 s10, s10, s12
	s_addc_u32 s11, s11, s13
	s_lshl_b64 s[0:1], s[0:1], 2
	v_mfma_f32_16x16x16_bf16 a[0:3], v[34:35], v[4:5], a[0:3]
	s_mul_i32 s2, s2, s34
	ds_read_b64 v[2:3], v26 offset:22528
	s_add_u32 s10, s10, s0
	v_mfma_f32_16x16x16_bf16 a[4:7], v[34:35], v[8:9], a[4:7]
	ds_read_b64 v[4:5], v31 offset:22528
	ds_read_b64 v[6:7], v32 offset:22528
	;; [unrolled: 1-line block ×3, first 2 shown]
	s_addc_u32 s11, s11, s1
	s_lshl_b64 s[0:1], s[2:3], 2
	v_mfma_f32_16x16x16_bf16 a[8:11], v[34:35], v[12:13], a[8:11]
	s_add_u32 s0, s10, s0
	s_addc_u32 s1, s11, s1
	s_load_dword s12, s[0:1], 0x0
	v_mfma_f32_16x16x16_bf16 a[12:15], v[34:35], v[16:17], a[12:15]
	s_and_b64 vcc, exec, s[30:31]
	s_waitcnt lgkmcnt(0)
	v_mfma_f32_16x16x16_bf16 a[0:3], v[36:37], v[2:3], a[0:3]
	v_mfma_f32_16x16x16_bf16 a[4:7], v[36:37], v[4:5], a[4:7]
	;; [unrolled: 1-line block ×4, first 2 shown]
	s_cbranch_vccz .LBB119_42
; %bb.32:
	v_lshlrev_b32_e32 v20, 1, v25
	s_and_b64 vcc, exec, s[6:7]
	s_cbranch_vccz .LBB119_43
; %bb.33:
	v_cmp_gt_i32_e32 vcc, s47, v20
	v_mov_b32_e32 v6, 0
	v_mov_b32_e32 v2, 0
	;; [unrolled: 1-line block ×5, first 2 shown]
	s_and_saveexec_b64 s[0:1], vcc
	s_cbranch_execz .LBB119_35
; %bb.34:
	v_mad_i64_i32 v[2:3], s[2:3], s19, v20, 0
	v_lshl_add_u64 v[2:3], v[2:3], 1, s[4:5]
	v_lshlrev_b32_e32 v4, 1, v18
	v_mov_b32_e32 v5, 0
	v_lshl_add_u64 v[2:3], v[2:3], 0, v[4:5]
	global_load_dwordx4 v[2:5], v[2:3], off
.LBB119_35:
	s_or_b64 exec, exec, s[0:1]
	v_or_b32_e32 v21, 1, v20
	v_cmp_gt_i32_e64 s[0:1], s47, v21
	v_mov_b32_e32 v7, 0
	v_mov_b32_e32 v8, 0
	;; [unrolled: 1-line block ×3, first 2 shown]
	s_and_saveexec_b64 s[2:3], s[0:1]
	s_cbranch_execz .LBB119_37
; %bb.36:
	v_mad_i64_i32 v[6:7], s[16:17], s19, v21, 0
	v_lshl_add_u64 v[6:7], v[6:7], 1, s[4:5]
	v_lshlrev_b32_e32 v8, 1, v18
	v_mov_b32_e32 v9, 0
	v_lshl_add_u64 v[6:7], v[6:7], 0, v[8:9]
	global_load_dwordx4 v[6:9], v[6:7], off
.LBB119_37:
	s_or_b64 exec, exec, s[2:3]
	v_mov_b32_e32 v17, 0
	v_mov_b32_e32 v10, 0
	;; [unrolled: 1-line block ×5, first 2 shown]
	s_and_saveexec_b64 s[2:3], vcc
	s_cbranch_execz .LBB119_39
; %bb.38:
	v_mad_i64_i32 v[10:11], s[16:17], s19, v20, 0
	v_lshl_add_u64 v[10:11], v[10:11], 1, s[4:5]
	v_lshlrev_b32_e32 v12, 1, v18
	v_mov_b32_e32 v13, 0
	v_lshl_add_u64 v[10:11], v[10:11], 0, v[12:13]
	global_load_dwordx4 v[10:13], v[10:11], off offset:128
.LBB119_39:
	s_or_b64 exec, exec, s[2:3]
	v_mov_b32_e32 v16, 0
	v_mov_b32_e32 v15, 0
	;; [unrolled: 1-line block ×3, first 2 shown]
	s_and_saveexec_b64 s[2:3], s[0:1]
	s_cbranch_execz .LBB119_41
; %bb.40:
	v_mad_i64_i32 v[14:15], s[0:1], s19, v21, 0
	v_lshl_add_u64 v[14:15], v[14:15], 1, s[4:5]
	v_lshlrev_b32_e32 v16, 1, v18
	v_mov_b32_e32 v17, 0
	v_lshl_add_u64 v[14:15], v[14:15], 0, v[16:17]
	global_load_dwordx4 v[14:17], v[14:15], off offset:128
.LBB119_41:
	s_or_b64 exec, exec, s[2:3]
	s_branch .LBB119_45
.LBB119_42:
                                        ; implicit-def: $vgpr5
                                        ; implicit-def: $vgpr9
                                        ; implicit-def: $vgpr13
                                        ; implicit-def: $vgpr17
	v_lshrrev_b32_e32 v34, 2, v75
	s_branch .LBB119_46
.LBB119_43:
                                        ; implicit-def: $vgpr5
                                        ; implicit-def: $vgpr9
                                        ; implicit-def: $vgpr13
                                        ; implicit-def: $vgpr17
	s_cbranch_execz .LBB119_45
; %bb.44:
	s_waitcnt vmcnt(0)
	v_mad_u64_u32 v[2:3], s[0:1], v20, s19, v[18:19]
	v_lshlrev_b32_e32 v20, 1, v2
	s_lshl_b32 s2, s19, 7
	s_and_b32 s1, s5, 0xffff
	s_mov_b32 s3, 0x20000
	s_mov_b32 s0, s4
	v_add_lshl_u32 v21, v2, s19, 1
	s_movk_i32 s13, 0x80
	buffer_load_dwordx4 v[2:5], v20, s[0:3], 0 offen
	buffer_load_dwordx4 v[10:13], v20, s[0:3], s13 offen
	;; [unrolled: 1-line block ×4, first 2 shown]
.LBB119_45:
	v_lshrrev_b32_e32 v34, 2, v75
	s_cbranch_execnz .LBB119_58
.LBB119_46:
	s_and_b64 vcc, exec, s[6:7]
	s_cbranch_vccz .LBB119_56
; %bb.47:
	s_waitcnt vmcnt(0)
	v_lshlrev_b32_e32 v7, 1, v25
	v_cmp_gt_i32_e32 vcc, s47, v7
	v_mov_b32_e32 v6, 0
	v_lshlrev_b32_e32 v14, 9, v25
	v_mov_b32_e32 v2, 0
	v_mov_b32_e32 v3, 0
	;; [unrolled: 1-line block ×4, first 2 shown]
	s_and_saveexec_b64 s[0:1], vcc
	s_cbranch_execz .LBB119_49
; %bb.48:
	v_mov_b32_e32 v15, 0
	v_lshl_add_u64 v[2:3], s[4:5], 0, v[14:15]
	v_lshlrev_b32_e32 v4, 1, v18
	v_mov_b32_e32 v5, v15
	v_lshl_add_u64 v[2:3], v[2:3], 0, v[4:5]
	global_load_dwordx4 v[2:5], v[2:3], off
.LBB119_49:
	s_or_b64 exec, exec, s[0:1]
	v_or_b32_e32 v7, 1, v7
	v_cmp_gt_i32_e64 s[0:1], s47, v7
	v_lshlrev_b32_e32 v20, 8, v7
	v_mov_b32_e32 v7, 0
	v_mov_b32_e32 v8, 0
	;; [unrolled: 1-line block ×3, first 2 shown]
	s_and_saveexec_b64 s[2:3], s[0:1]
	s_cbranch_execz .LBB119_51
; %bb.50:
	v_mov_b32_e32 v21, 0
	v_lshl_add_u64 v[6:7], s[4:5], 0, v[20:21]
	v_lshlrev_b32_e32 v8, 1, v18
	v_mov_b32_e32 v9, v21
	v_lshl_add_u64 v[6:7], v[6:7], 0, v[8:9]
	global_load_dwordx4 v[6:9], v[6:7], off
.LBB119_51:
	s_or_b64 exec, exec, s[2:3]
	v_mov_b32_e32 v17, 0
	v_mov_b32_e32 v10, 0
	;; [unrolled: 1-line block ×5, first 2 shown]
	s_and_saveexec_b64 s[2:3], vcc
	s_cbranch_execz .LBB119_53
; %bb.52:
	v_mov_b32_e32 v15, 0
	v_lshl_add_u64 v[10:11], s[4:5], 0, v[14:15]
	v_lshlrev_b32_e32 v14, 1, v18
	v_lshl_add_u64 v[10:11], v[10:11], 0, v[14:15]
	global_load_dwordx4 v[10:13], v[10:11], off offset:128
.LBB119_53:
	s_or_b64 exec, exec, s[2:3]
	v_mov_b32_e32 v16, 0
	v_mov_b32_e32 v15, 0
	;; [unrolled: 1-line block ×3, first 2 shown]
	s_and_saveexec_b64 s[2:3], s[0:1]
	s_cbranch_execz .LBB119_55
; %bb.54:
	v_mov_b32_e32 v21, 0
	v_lshl_add_u64 v[14:15], s[4:5], 0, v[20:21]
	v_lshlrev_b32_e32 v20, 1, v18
	v_lshl_add_u64 v[14:15], v[14:15], 0, v[20:21]
	global_load_dwordx4 v[14:17], v[14:15], off offset:128
.LBB119_55:
	s_or_b64 exec, exec, s[2:3]
	s_branch .LBB119_58
.LBB119_56:
                                        ; implicit-def: $vgpr5
                                        ; implicit-def: $vgpr9
                                        ; implicit-def: $vgpr13
                                        ; implicit-def: $vgpr17
	s_cbranch_execz .LBB119_58
; %bb.57:
	s_waitcnt vmcnt(0)
	v_lshlrev_b32_e32 v2, 1, v18
	v_lshl_or_b32 v18, v25, 9, v2
	s_and_b32 s5, s5, 0xffff
	s_mov_b32 s7, 0x20000
	s_movk_i32 s6, 0x4000
	s_movk_i32 s0, 0x80
	buffer_load_dwordx4 v[2:5], v18, s[4:7], 0 offen
	buffer_load_dwordx4 v[6:9], v18, s[4:7], 0 offen offset:256
	buffer_load_dwordx4 v[10:13], v18, s[4:7], s0 offen
	buffer_load_dwordx4 v[14:17], v18, s[4:7], s0 offen offset:256
.LBB119_58:
	ds_read_b64 v[20:21], v27 offset:57344
	v_add_u32_e32 v18, 0x6000, v26
	ds_read2_b64 v[36:39], v18 offset1:16
	ds_read_b64 v[52:53], v28 offset:57344
	ds_read_b64 v[28:29], v29 offset:57344
	;; [unrolled: 1-line block ×3, first 2 shown]
	ds_read2st64_b64 v[40:43], v26 offset0:52 offset1:56
	s_mov_b32 s0, 0x1000504
	s_mov_b32 s1, 0x3020706
	s_waitcnt lgkmcnt(4)
	v_mfma_f32_16x16x16_bf16 a[0:3], v[20:21], v[36:37], a[0:3]
	v_mfma_f32_16x16x16_bf16 a[4:7], v[20:21], v[38:39], a[4:7]
	ds_read2_b64 v[36:39], v18 offset0:32 offset1:48
	v_and_b32_e32 v18, 6, v0
	v_xor_b32_e32 v25, v25, v18
	s_waitcnt lgkmcnt(0)
	v_mfma_f32_16x16x16_bf16 a[8:11], v[20:21], v[36:37], a[8:11]
	v_lshlrev_b32_e32 v25, 2, v25
	v_and_b32_e32 v0, 1, v0
	v_xor_b32_e32 v35, 0x440, v25
	v_mfma_f32_16x16x16_bf16 a[12:15], v[20:21], v[38:39], a[12:15]
	ds_read2st64_b64 v[36:39], v31 offset0:52 offset1:56
	ds_read2st64_b64 v[44:47], v32 offset0:52 offset1:56
	;; [unrolled: 1-line block ×3, first 2 shown]
	v_cmp_eq_u32_e32 vcc, 0, v0
	ds_read_b64 v[20:21], v26 offset:30720
	ds_read_b64 v[26:27], v31 offset:30720
	;; [unrolled: 1-line block ×4, first 2 shown]
	v_mfma_f32_16x16x16_bf16 a[0:3], v[52:53], v[40:41], a[0:3]
	v_cndmask_b32_e32 v0, v35, v25, vcc
	v_lshl_or_b32 v0, v18, 10, v0
	s_waitcnt vmcnt(0)
	v_perm_b32 v18, v2, v6, s0
	s_waitcnt lgkmcnt(6)
	v_mfma_f32_16x16x16_bf16 a[4:7], v[52:53], v[36:37], a[4:7]
	v_perm_b32 v25, v10, v14, s0
	ds_write2st64_b32 v0, v18, v25 offset0:128 offset1:160
	v_xor_b32_e32 v18, 8, v0
	s_waitcnt lgkmcnt(6)
	v_mfma_f32_16x16x16_bf16 a[8:11], v[52:53], v[44:45], a[8:11]
	v_perm_b32 v2, v2, v6, s1
	v_perm_b32 v6, v10, v14, s1
	v_add_u32_e32 v10, 0x80, v18
	s_waitcnt lgkmcnt(5)
	v_mfma_f32_16x16x16_bf16 a[12:15], v[52:53], v[48:49], a[12:15]
	ds_write2st64_b32 v10, v2, v6 offset0:128 offset1:160
	v_xor_b32_e32 v2, 16, v0
	v_perm_b32 v6, v3, v7, s0
	v_mfma_f32_16x16x16_bf16 a[0:3], v[28:29], v[42:43], a[0:3]
	v_perm_b32 v10, v11, v15, s0
	ds_write2st64_b32 v2, v6, v10 offset0:129 offset1:161
	v_xor_b32_e32 v2, 24, v0
	v_mfma_f32_16x16x16_bf16 a[4:7], v[28:29], v[38:39], a[4:7]
	v_perm_b32 v3, v3, v7, s1
	v_perm_b32 v6, v11, v15, s1
	v_add_u32_e32 v2, 0x80, v2
	v_mfma_f32_16x16x16_bf16 a[16:19], v[28:29], v[46:47], a[8:11]
	ds_write2st64_b32 v2, v3, v6 offset0:129 offset1:161
	v_xor_b32_e32 v2, 32, v0
	v_perm_b32 v3, v4, v8, s0
	v_mfma_f32_16x16x16_bf16 a[20:23], v[28:29], v[50:51], a[12:15]
	v_perm_b32 v6, v12, v16, s0
	ds_write2st64_b32 v2, v3, v6 offset0:130 offset1:162
	v_xor_b32_e32 v2, 40, v0
	s_waitcnt lgkmcnt(8)
	v_mfma_f32_16x16x16_bf16 a[12:15], v[54:55], v[20:21], a[0:3]
	v_perm_b32 v3, v4, v8, s1
	v_perm_b32 v4, v12, v16, s1
	v_add_u32_e32 v2, 0x80, v2
	s_waitcnt lgkmcnt(7)
	v_mfma_f32_16x16x16_bf16 a[8:11], v[54:55], v[26:27], a[4:7]
	ds_write2st64_b32 v2, v3, v4 offset0:130 offset1:162
	v_xor_b32_e32 v2, 48, v0
	v_perm_b32 v3, v5, v9, s0
	s_waitcnt lgkmcnt(7)
	v_mfma_f32_16x16x16_bf16 a[4:7], v[54:55], v[30:31], a[16:19]
	v_perm_b32 v4, v13, v17, s0
	v_xor_b32_e32 v0, 56, v0
	v_and_or_b32 v21, v34, 12, v1
	s_waitcnt lgkmcnt(6)
	v_mfma_f32_16x16x16_bf16 a[0:3], v[54:55], v[32:33], a[20:23]
	ds_write2st64_b32 v2, v3, v4 offset0:131 offset1:163
	v_perm_b32 v2, v5, v9, s1
	v_perm_b32 v3, v13, v17, s1
	v_add_u32_e32 v0, 0x80, v0
	v_cmp_gt_i32_e32 vcc, s47, v21
	v_mov_b32_e32 v16, 0
	v_mov_b32_e32 v18, 0
	ds_write2st64_b32 v0, v2, v3 offset0:131 offset1:163
	s_and_saveexec_b64 s[0:1], vcc
	s_cbranch_execz .LBB119_60
; %bb.59:
	v_add_u32_e32 v0, s38, v21
	v_ashrrev_i32_e32 v1, 31, v0
	v_mul_lo_u32 v2, v1, s34
	v_mul_lo_u32 v3, v0, s35
	v_mad_u64_u32 v[0:1], s[2:3], v0, s34, 0
	v_add3_u32 v1, v1, v3, v2
	v_lshl_add_u64 v[0:1], v[0:1], 2, s[10:11]
	global_load_dword v0, v[0:1], off
	s_waitcnt vmcnt(0)
	v_sub_f32_e32 v0, s12, v0
	v_mul_f32_e32 v0, 0x3fb8aa3b, v0
	v_exp_f32_e32 v18, v0
.LBB119_60:
	s_or_b64 exec, exec, s[0:1]
	v_or_b32_e32 v10, 1, v21
	v_cmp_gt_i32_e64 s[0:1], s47, v10
	s_and_saveexec_b64 s[2:3], s[0:1]
	s_cbranch_execz .LBB119_62
; %bb.61:
	v_add_u32_e32 v0, s38, v10
	v_ashrrev_i32_e32 v1, 31, v0
	v_mul_lo_u32 v2, v1, s34
	v_mul_lo_u32 v3, v0, s35
	v_mad_u64_u32 v[0:1], s[4:5], v0, s34, 0
	v_add3_u32 v1, v1, v3, v2
	v_lshl_add_u64 v[0:1], v[0:1], 2, s[10:11]
	global_load_dword v0, v[0:1], off
	s_waitcnt vmcnt(0)
	v_sub_f32_e32 v0, s12, v0
	v_mul_f32_e32 v0, 0x3fb8aa3b, v0
	v_exp_f32_e32 v16, v0
.LBB119_62:
	s_or_b64 exec, exec, s[2:3]
	v_or_b32_e32 v12, 2, v21
	v_cmp_gt_i32_e64 s[2:3], s47, v12
	v_mov_b32_e32 v17, 0
	v_mov_b32_e32 v20, 0
	s_and_saveexec_b64 s[4:5], s[2:3]
	s_cbranch_execz .LBB119_64
; %bb.63:
	v_add_u32_e32 v0, s38, v12
	v_ashrrev_i32_e32 v1, 31, v0
	v_mul_lo_u32 v2, v1, s34
	v_mul_lo_u32 v3, v0, s35
	v_mad_u64_u32 v[0:1], s[6:7], v0, s34, 0
	v_add3_u32 v1, v1, v3, v2
	v_lshl_add_u64 v[0:1], v[0:1], 2, s[10:11]
	global_load_dword v0, v[0:1], off
	s_waitcnt vmcnt(0)
	v_sub_f32_e32 v0, s12, v0
	v_mul_f32_e32 v0, 0x3fb8aa3b, v0
	v_exp_f32_e32 v20, v0
.LBB119_64:
	s_or_b64 exec, exec, s[4:5]
	v_or_b32_e32 v14, 3, v21
	v_cmp_gt_i32_e64 s[4:5], s47, v14
	s_and_saveexec_b64 s[6:7], s[4:5]
	s_cbranch_execz .LBB119_66
; %bb.65:
	v_add_u32_e32 v0, s38, v14
	v_ashrrev_i32_e32 v1, 31, v0
	v_mul_lo_u32 v2, v1, s34
	v_mul_lo_u32 v3, v0, s35
	v_mad_u64_u32 v[0:1], s[16:17], v0, s34, 0
	v_add3_u32 v1, v1, v3, v2
	v_lshl_add_u64 v[0:1], v[0:1], 2, s[10:11]
	global_load_dword v0, v[0:1], off
	s_waitcnt vmcnt(0)
	v_sub_f32_e32 v0, s12, v0
	v_mul_f32_e32 v0, 0x3fb8aa3b, v0
	v_exp_f32_e32 v17, v0
.LBB119_66:
	s_or_b64 exec, exec, s[6:7]
	s_add_u32 s6, s8, s28
	v_or_b32_e32 v4, s36, v74
	s_addc_u32 s7, s9, s29
	s_add_u32 s8, s14, s28
	v_ashrrev_i32_e32 v5, 31, v4
	v_accvgpr_read_b32 v0, a12
	s_addc_u32 s9, s15, s29
	v_lshlrev_b64 v[4:5], 1, v[4:5]
	v_accvgpr_read_b32 v1, a13
	v_accvgpr_read_b32 v2, a14
	;; [unrolled: 1-line block ×3, first 2 shown]
	v_lshl_add_u64 v[6:7], s[6:7], 0, v[4:5]
	v_lshl_add_u64 v[4:5], s[8:9], 0, v[4:5]
	v_mov_b32_e32 v11, 0
	v_lshlrev_b32_e32 v8, 8, v21
	v_mov_b32_e32 v9, 0
	s_and_saveexec_b64 s[6:7], vcc
	s_cbranch_execz .LBB119_68
; %bb.67:
	v_mov_b32_e32 v9, 0
	v_lshl_add_u64 v[26:27], v[6:7], 0, v[8:9]
	global_load_ushort v13, v[26:27], off
	v_lshl_add_u64 v[26:27], v[4:5], 0, v[8:9]
	s_waitcnt vmcnt(0)
	v_lshlrev_b32_e32 v9, 16, v13
	v_sub_f32_e32 v0, v9, v0
	global_store_short_d16_hi v[26:27], v0, off
	v_mul_f32_e32 v0, v18, v0
	v_lshrrev_b32_e32 v9, 16, v0
.LBB119_68:
	s_or_b64 exec, exec, s[6:7]
	v_lshlrev_b32_e32 v10, 8, v10
	s_and_saveexec_b64 s[6:7], s[0:1]
	s_cbranch_execz .LBB119_70
; %bb.69:
	v_mov_b32_e32 v11, 0
	v_lshl_add_u64 v[26:27], v[6:7], 0, v[10:11]
	global_load_ushort v0, v[26:27], off
	v_lshl_add_u64 v[26:27], v[4:5], 0, v[10:11]
	s_waitcnt vmcnt(0)
	v_lshlrev_b32_e32 v0, 16, v0
	v_sub_f32_e32 v0, v0, v1
	global_store_short_d16_hi v[26:27], v0, off
	v_mul_f32_e32 v0, v16, v0
	v_lshrrev_b32_e32 v11, 16, v0
.LBB119_70:
	s_or_b64 exec, exec, s[6:7]
	v_mov_b32_e32 v15, 0
	v_lshlrev_b32_e32 v12, 8, v12
	v_mov_b32_e32 v13, 0
	s_and_saveexec_b64 s[6:7], s[2:3]
	s_cbranch_execz .LBB119_72
; %bb.71:
	v_mov_b32_e32 v13, 0
	v_lshl_add_u64 v[0:1], v[6:7], 0, v[12:13]
	global_load_ushort v25, v[0:1], off
	v_lshl_add_u64 v[0:1], v[4:5], 0, v[12:13]
	s_waitcnt vmcnt(0)
	v_lshlrev_b32_e32 v13, 16, v25
	v_sub_f32_e32 v2, v13, v2
	global_store_short_d16_hi v[0:1], v2, off
	v_mul_f32_e32 v0, v20, v2
	v_lshrrev_b32_e32 v13, 16, v0
.LBB119_72:
	s_or_b64 exec, exec, s[6:7]
	v_lshlrev_b32_e32 v14, 8, v14
	s_and_saveexec_b64 s[6:7], s[4:5]
	s_cbranch_execz .LBB119_74
; %bb.73:
	v_mov_b32_e32 v15, 0
	v_lshl_add_u64 v[0:1], v[6:7], 0, v[14:15]
	global_load_ushort v2, v[0:1], off
	v_lshl_add_u64 v[0:1], v[4:5], 0, v[14:15]
	s_waitcnt vmcnt(0)
	v_lshlrev_b32_e32 v2, 16, v2
	v_sub_f32_e32 v2, v2, v3
	global_store_short_d16_hi v[0:1], v2, off
	v_mul_f32_e32 v0, v17, v2
	v_lshrrev_b32_e32 v15, 16, v0
.LBB119_74:
	s_or_b64 exec, exec, s[6:7]
	v_lshlrev_b32_e32 v21, 6, v21
	s_mov_b32 s6, 0x5040100
	v_perm_b32 v26, v11, v9, s6
	v_or_b32_e32 v9, v21, v24
	v_accvgpr_read_b32 v0, a8
	v_perm_b32 v27, v15, v13, s6
	v_lshlrev_b32_e32 v9, 1, v9
	v_accvgpr_read_b32 v1, a9
	v_accvgpr_read_b32 v2, a10
	;; [unrolled: 1-line block ×3, first 2 shown]
	ds_write_b64 v9, v[26:27] offset:24576
	v_mov_b32_e32 v11, 0
	v_mov_b32_e32 v9, 0
	s_and_saveexec_b64 s[6:7], vcc
	s_cbranch_execz .LBB119_76
; %bb.75:
	v_mov_b32_e32 v9, 0
	v_lshl_add_u64 v[24:25], v[6:7], 0, v[8:9]
	global_load_ushort v13, v[24:25], off offset:32
	v_lshl_add_u64 v[24:25], v[4:5], 0, v[8:9]
	s_waitcnt vmcnt(0)
	v_lshlrev_b32_e32 v9, 16, v13
	v_sub_f32_e32 v0, v9, v0
	global_store_short_d16_hi v[24:25], v0, off offset:32
	v_mul_f32_e32 v0, v18, v0
	v_lshrrev_b32_e32 v9, 16, v0
.LBB119_76:
	s_or_b64 exec, exec, s[6:7]
	s_and_saveexec_b64 s[6:7], s[0:1]
	s_cbranch_execz .LBB119_78
; %bb.77:
	v_mov_b32_e32 v11, 0
	v_lshl_add_u64 v[24:25], v[6:7], 0, v[10:11]
	global_load_ushort v0, v[24:25], off offset:32
	v_lshl_add_u64 v[24:25], v[4:5], 0, v[10:11]
	s_waitcnt vmcnt(0)
	v_lshlrev_b32_e32 v0, 16, v0
	v_sub_f32_e32 v0, v0, v1
	global_store_short_d16_hi v[24:25], v0, off offset:32
	v_mul_f32_e32 v0, v16, v0
	v_lshrrev_b32_e32 v11, 16, v0
.LBB119_78:
	s_or_b64 exec, exec, s[6:7]
	v_mov_b32_e32 v15, 0
	v_mov_b32_e32 v13, 0
	s_and_saveexec_b64 s[6:7], s[2:3]
	s_cbranch_execz .LBB119_80
; %bb.79:
	v_mov_b32_e32 v13, 0
	v_lshl_add_u64 v[0:1], v[6:7], 0, v[12:13]
	global_load_ushort v24, v[0:1], off offset:32
	v_lshl_add_u64 v[0:1], v[4:5], 0, v[12:13]
	s_waitcnt vmcnt(0)
	v_lshlrev_b32_e32 v13, 16, v24
	v_sub_f32_e32 v2, v13, v2
	global_store_short_d16_hi v[0:1], v2, off offset:32
	v_mul_f32_e32 v0, v20, v2
	v_lshrrev_b32_e32 v13, 16, v0
.LBB119_80:
	s_or_b64 exec, exec, s[6:7]
	s_and_saveexec_b64 s[6:7], s[4:5]
	s_cbranch_execz .LBB119_82
; %bb.81:
	v_mov_b32_e32 v15, 0
	v_lshl_add_u64 v[0:1], v[6:7], 0, v[14:15]
	global_load_ushort v2, v[0:1], off offset:32
	v_lshl_add_u64 v[0:1], v[4:5], 0, v[14:15]
	s_waitcnt vmcnt(0)
	v_lshlrev_b32_e32 v2, 16, v2
	v_sub_f32_e32 v2, v2, v3
	global_store_short_d16_hi v[0:1], v2, off offset:32
	v_mul_f32_e32 v0, v17, v2
	v_lshrrev_b32_e32 v15, 16, v0
.LBB119_82:
	s_or_b64 exec, exec, s[6:7]
	s_mov_b32 s6, 0x5040100
	v_perm_b32 v24, v11, v9, s6
	v_or_b32_e32 v9, v21, v23
	v_accvgpr_read_b32 v0, a4
	v_perm_b32 v25, v15, v13, s6
	v_lshlrev_b32_e32 v9, 1, v9
	v_accvgpr_read_b32 v1, a5
	v_accvgpr_read_b32 v2, a6
	;; [unrolled: 1-line block ×3, first 2 shown]
	ds_write_b64 v9, v[24:25] offset:24576
	v_mov_b32_e32 v11, 0
	v_mov_b32_e32 v9, 0
	s_and_saveexec_b64 s[6:7], vcc
	s_cbranch_execz .LBB119_84
; %bb.83:
	v_mov_b32_e32 v9, 0
	v_lshl_add_u64 v[24:25], v[6:7], 0, v[8:9]
	global_load_ushort v13, v[24:25], off offset:64
	v_lshl_add_u64 v[24:25], v[4:5], 0, v[8:9]
	s_waitcnt vmcnt(0)
	v_lshlrev_b32_e32 v9, 16, v13
	v_sub_f32_e32 v0, v9, v0
	global_store_short_d16_hi v[24:25], v0, off offset:64
	v_mul_f32_e32 v0, v18, v0
	v_lshrrev_b32_e32 v9, 16, v0
.LBB119_84:
	s_or_b64 exec, exec, s[6:7]
	s_and_saveexec_b64 s[6:7], s[0:1]
	s_cbranch_execz .LBB119_86
; %bb.85:
	v_mov_b32_e32 v11, 0
	v_lshl_add_u64 v[24:25], v[6:7], 0, v[10:11]
	global_load_ushort v0, v[24:25], off offset:64
	v_lshl_add_u64 v[24:25], v[4:5], 0, v[10:11]
	s_waitcnt vmcnt(0)
	v_lshlrev_b32_e32 v0, 16, v0
	v_sub_f32_e32 v0, v0, v1
	global_store_short_d16_hi v[24:25], v0, off offset:64
	v_mul_f32_e32 v0, v16, v0
	v_lshrrev_b32_e32 v11, 16, v0
.LBB119_86:
	s_or_b64 exec, exec, s[6:7]
	v_mov_b32_e32 v15, 0
	v_mov_b32_e32 v13, 0
	s_and_saveexec_b64 s[6:7], s[2:3]
	s_cbranch_execz .LBB119_88
; %bb.87:
	v_mov_b32_e32 v13, 0
	v_lshl_add_u64 v[0:1], v[6:7], 0, v[12:13]
	global_load_ushort v23, v[0:1], off offset:64
	v_lshl_add_u64 v[0:1], v[4:5], 0, v[12:13]
	s_waitcnt vmcnt(0)
	v_lshlrev_b32_e32 v13, 16, v23
	v_sub_f32_e32 v2, v13, v2
	global_store_short_d16_hi v[0:1], v2, off offset:64
	v_mul_f32_e32 v0, v20, v2
	v_lshrrev_b32_e32 v13, 16, v0
.LBB119_88:
	s_or_b64 exec, exec, s[6:7]
	s_and_saveexec_b64 s[6:7], s[4:5]
	s_cbranch_execz .LBB119_90
; %bb.89:
	v_mov_b32_e32 v15, 0
	v_lshl_add_u64 v[0:1], v[6:7], 0, v[14:15]
	global_load_ushort v2, v[0:1], off offset:64
	v_lshl_add_u64 v[0:1], v[4:5], 0, v[14:15]
	s_waitcnt vmcnt(0)
	v_lshlrev_b32_e32 v2, 16, v2
	v_sub_f32_e32 v2, v2, v3
	global_store_short_d16_hi v[0:1], v2, off offset:64
	v_mul_f32_e32 v0, v17, v2
	v_lshrrev_b32_e32 v15, 16, v0
.LBB119_90:
	s_or_b64 exec, exec, s[6:7]
	s_mov_b32 s6, 0x5040100
	v_perm_b32 v24, v11, v9, s6
	v_or_b32_e32 v9, v21, v22
	v_accvgpr_read_b32 v0, a0
	v_perm_b32 v25, v15, v13, s6
	v_lshlrev_b32_e32 v9, 1, v9
	v_accvgpr_read_b32 v1, a1
	v_accvgpr_read_b32 v2, a2
	;; [unrolled: 1-line block ×3, first 2 shown]
	ds_write_b64 v9, v[24:25] offset:24576
	v_mov_b32_e32 v11, 0
	v_mov_b32_e32 v9, 0
	s_and_saveexec_b64 s[6:7], vcc
	s_cbranch_execz .LBB119_92
; %bb.91:
	v_mov_b32_e32 v9, 0
	v_lshl_add_u64 v[22:23], v[6:7], 0, v[8:9]
	global_load_ushort v13, v[22:23], off offset:96
	v_lshl_add_u64 v[8:9], v[4:5], 0, v[8:9]
	s_waitcnt vmcnt(0)
	v_lshlrev_b32_e32 v13, 16, v13
	v_sub_f32_e32 v0, v13, v0
	global_store_short_d16_hi v[8:9], v0, off offset:96
	v_mul_f32_e32 v0, v18, v0
	v_lshrrev_b32_e32 v9, 16, v0
.LBB119_92:
	s_or_b64 exec, exec, s[6:7]
	s_and_saveexec_b64 s[6:7], s[0:1]
	s_cbranch_execz .LBB119_94
; %bb.93:
	v_mov_b32_e32 v11, 0
	v_lshl_add_u64 v[22:23], v[6:7], 0, v[10:11]
	global_load_ushort v0, v[22:23], off offset:96
	v_lshl_add_u64 v[10:11], v[4:5], 0, v[10:11]
	s_waitcnt vmcnt(0)
	v_lshlrev_b32_e32 v0, 16, v0
	v_sub_f32_e32 v0, v0, v1
	global_store_short_d16_hi v[10:11], v0, off offset:96
	v_mul_f32_e32 v0, v16, v0
	v_lshrrev_b32_e32 v11, 16, v0
.LBB119_94:
	s_or_b64 exec, exec, s[6:7]
	v_mov_b32_e32 v0, 0
	v_mov_b32_e32 v1, 0
	s_and_saveexec_b64 s[0:1], s[2:3]
	s_cbranch_execz .LBB119_96
; %bb.95:
	v_mov_b32_e32 v13, 0
	v_lshl_add_u64 v[22:23], v[6:7], 0, v[12:13]
	global_load_ushort v1, v[22:23], off offset:96
	v_lshl_add_u64 v[12:13], v[4:5], 0, v[12:13]
	s_waitcnt vmcnt(0)
	v_lshlrev_b32_e32 v1, 16, v1
	v_sub_f32_e32 v1, v1, v2
	global_store_short_d16_hi v[12:13], v1, off offset:96
	v_mul_f32_e32 v1, v20, v1
	v_lshrrev_b32_e32 v1, 16, v1
.LBB119_96:
	s_or_b64 exec, exec, s[0:1]
	s_and_saveexec_b64 s[0:1], s[4:5]
	s_cbranch_execz .LBB119_98
; %bb.97:
	v_mov_b32_e32 v15, 0
	v_lshl_add_u64 v[6:7], v[6:7], 0, v[14:15]
	global_load_ushort v0, v[6:7], off offset:96
	v_lshl_add_u64 v[4:5], v[4:5], 0, v[14:15]
	s_waitcnt vmcnt(0)
	v_lshlrev_b32_e32 v0, 16, v0
	v_sub_f32_e32 v0, v0, v3
	global_store_short_d16_hi v[4:5], v0, off offset:96
	v_mul_f32_e32 v0, v17, v0
	v_lshrrev_b32_e32 v0, 16, v0
.LBB119_98:
	s_or_b64 exec, exec, s[0:1]
	s_mov_b32 s0, 0x5040100
	v_or_b32_e32 v2, v21, v19
	v_perm_b32 v1, v0, v1, s0
	v_perm_b32 v0, v11, v9, s0
	v_lshlrev_b32_e32 v2, 1, v2
	ds_write_b64 v2, v[0:1] offset:24576
	s_waitcnt lgkmcnt(0)
	s_barrier
.LBB119_99:
	s_endpgm
	.section	.rodata,"a",@progbits
	.p2align	6, 0x0
	.amdhsa_kernel _ZN12_GLOBAL__N_139chunk_gated_delta_rule_fwd_h_hip_kernelILi64ELb0ELb0ELb1ELb1ELb0ELb0ELb0ELb1EEEvPK12hip_bfloat16S3_S3_PKfS5_PKvPS1_S8_PvPKiSB_iiiiilll
		.amdhsa_group_segment_fixed_size 65536
		.amdhsa_private_segment_fixed_size 0
		.amdhsa_kernarg_size 136
		.amdhsa_user_sgpr_count 2
		.amdhsa_user_sgpr_dispatch_ptr 0
		.amdhsa_user_sgpr_queue_ptr 0
		.amdhsa_user_sgpr_kernarg_segment_ptr 1
		.amdhsa_user_sgpr_dispatch_id 0
		.amdhsa_user_sgpr_kernarg_preload_length 0
		.amdhsa_user_sgpr_kernarg_preload_offset 0
		.amdhsa_user_sgpr_private_segment_size 0
		.amdhsa_uses_dynamic_stack 0
		.amdhsa_enable_private_segment 0
		.amdhsa_system_sgpr_workgroup_id_x 1
		.amdhsa_system_sgpr_workgroup_id_y 1
		.amdhsa_system_sgpr_workgroup_id_z 0
		.amdhsa_system_sgpr_workgroup_info 0
		.amdhsa_system_vgpr_workitem_id 0
		.amdhsa_next_free_vgpr 216
		.amdhsa_next_free_sgpr 62
		.amdhsa_accum_offset 180
		.amdhsa_reserve_vcc 1
		.amdhsa_float_round_mode_32 0
		.amdhsa_float_round_mode_16_64 0
		.amdhsa_float_denorm_mode_32 3
		.amdhsa_float_denorm_mode_16_64 3
		.amdhsa_dx10_clamp 1
		.amdhsa_ieee_mode 1
		.amdhsa_fp16_overflow 0
		.amdhsa_tg_split 0
		.amdhsa_exception_fp_ieee_invalid_op 0
		.amdhsa_exception_fp_denorm_src 0
		.amdhsa_exception_fp_ieee_div_zero 0
		.amdhsa_exception_fp_ieee_overflow 0
		.amdhsa_exception_fp_ieee_underflow 0
		.amdhsa_exception_fp_ieee_inexact 0
		.amdhsa_exception_int_div_zero 0
	.end_amdhsa_kernel
	.section	.text._ZN12_GLOBAL__N_139chunk_gated_delta_rule_fwd_h_hip_kernelILi64ELb0ELb0ELb1ELb1ELb0ELb0ELb0ELb1EEEvPK12hip_bfloat16S3_S3_PKfS5_PKvPS1_S8_PvPKiSB_iiiiilll,"axG",@progbits,_ZN12_GLOBAL__N_139chunk_gated_delta_rule_fwd_h_hip_kernelILi64ELb0ELb0ELb1ELb1ELb0ELb0ELb0ELb1EEEvPK12hip_bfloat16S3_S3_PKfS5_PKvPS1_S8_PvPKiSB_iiiiilll,comdat
.Lfunc_end119:
	.size	_ZN12_GLOBAL__N_139chunk_gated_delta_rule_fwd_h_hip_kernelILi64ELb0ELb0ELb1ELb1ELb0ELb0ELb0ELb1EEEvPK12hip_bfloat16S3_S3_PKfS5_PKvPS1_S8_PvPKiSB_iiiiilll, .Lfunc_end119-_ZN12_GLOBAL__N_139chunk_gated_delta_rule_fwd_h_hip_kernelILi64ELb0ELb0ELb1ELb1ELb0ELb0ELb0ELb1EEEvPK12hip_bfloat16S3_S3_PKfS5_PKvPS1_S8_PvPKiSB_iiiiilll
                                        ; -- End function
	.section	.AMDGPU.csdata,"",@progbits
; Kernel info:
; codeLenInByte = 11188
; NumSgprs: 68
; NumVgprs: 180
; NumAgprs: 36
; TotalNumVgprs: 216
; ScratchSize: 0
; MemoryBound: 0
; FloatMode: 240
; IeeeMode: 1
; LDSByteSize: 65536 bytes/workgroup (compile time only)
; SGPRBlocks: 8
; VGPRBlocks: 26
; NumSGPRsForWavesPerEU: 68
; NumVGPRsForWavesPerEU: 216
; AccumOffset: 180
; Occupancy: 1
; WaveLimiterHint : 1
; COMPUTE_PGM_RSRC2:SCRATCH_EN: 0
; COMPUTE_PGM_RSRC2:USER_SGPR: 2
; COMPUTE_PGM_RSRC2:TRAP_HANDLER: 0
; COMPUTE_PGM_RSRC2:TGID_X_EN: 1
; COMPUTE_PGM_RSRC2:TGID_Y_EN: 1
; COMPUTE_PGM_RSRC2:TGID_Z_EN: 0
; COMPUTE_PGM_RSRC2:TIDIG_COMP_CNT: 0
; COMPUTE_PGM_RSRC3_GFX90A:ACCUM_OFFSET: 44
; COMPUTE_PGM_RSRC3_GFX90A:TG_SPLIT: 0
	.section	.text._ZN12_GLOBAL__N_139chunk_gated_delta_rule_fwd_h_hip_kernelILi64ELb0ELb0ELb0ELb1ELb0ELb0ELb0ELb1EEEvPK12hip_bfloat16S3_S3_PKfS5_PKvPS1_S8_PvPKiSB_iiiiilll,"axG",@progbits,_ZN12_GLOBAL__N_139chunk_gated_delta_rule_fwd_h_hip_kernelILi64ELb0ELb0ELb0ELb1ELb0ELb0ELb0ELb1EEEvPK12hip_bfloat16S3_S3_PKfS5_PKvPS1_S8_PvPKiSB_iiiiilll,comdat
	.globl	_ZN12_GLOBAL__N_139chunk_gated_delta_rule_fwd_h_hip_kernelILi64ELb0ELb0ELb0ELb1ELb0ELb0ELb0ELb1EEEvPK12hip_bfloat16S3_S3_PKfS5_PKvPS1_S8_PvPKiSB_iiiiilll ; -- Begin function _ZN12_GLOBAL__N_139chunk_gated_delta_rule_fwd_h_hip_kernelILi64ELb0ELb0ELb0ELb1ELb0ELb0ELb0ELb1EEEvPK12hip_bfloat16S3_S3_PKfS5_PKvPS1_S8_PvPKiSB_iiiiilll
	.p2align	8
	.type	_ZN12_GLOBAL__N_139chunk_gated_delta_rule_fwd_h_hip_kernelILi64ELb0ELb0ELb0ELb1ELb0ELb0ELb0ELb1EEEvPK12hip_bfloat16S3_S3_PKfS5_PKvPS1_S8_PvPKiSB_iiiiilll,@function
_ZN12_GLOBAL__N_139chunk_gated_delta_rule_fwd_h_hip_kernelILi64ELb0ELb0ELb0ELb1ELb0ELb0ELb0ELb1EEEvPK12hip_bfloat16S3_S3_PKfS5_PKvPS1_S8_PvPKiSB_iiiiilll: ; @_ZN12_GLOBAL__N_139chunk_gated_delta_rule_fwd_h_hip_kernelILi64ELb0ELb0ELb0ELb1ELb0ELb0ELb0ELb1EEEvPK12hip_bfloat16S3_S3_PKfS5_PKvPS1_S8_PvPKiSB_iiiiilll
; %bb.0:
	s_load_dwordx4 s[12:15], s[0:1], 0x5c
	s_load_dwordx4 s[16:19], s[0:1], 0x70
	s_abs_i32 s21, s3
	s_ashr_i32 s20, s3, 31
	s_load_dwordx2 s[36:37], s[0:1], 0x30
	s_load_dwordx4 s[24:27], s[0:1], 0x48
	s_waitcnt lgkmcnt(0)
	s_abs_i32 s28, s13
	v_cvt_f32_u32_e32 v1, s28
	s_sub_i32 s22, 0, s28
	s_ashr_i32 s29, s13, 31
	s_xor_b32 s20, s20, s29
	v_rcp_iflag_f32_e32 v1, v1
	s_load_dwordx8 s[4:11], s[0:1], 0x0
	v_lshrrev_b32_e32 v74, 6, v0
	v_bfe_u32 v75, v0, 4, 2
	v_mul_f32_e32 v1, 0x4f7ffffe, v1
	v_cvt_u32_f32_e32 v1, v1
	v_lshlrev_b32_e32 v2, 2, v75
	v_and_b32_e32 v73, 63, v0
	v_mov_b32_e32 v35, 0
	v_readfirstlane_b32 s23, v1
	s_mul_i32 s22, s22, s23
	s_mul_hi_u32 s22, s23, s22
	s_add_i32 s23, s23, s22
	s_mul_hi_u32 s22, s21, s23
	s_mul_i32 s23, s22, s28
	s_sub_i32 s21, s21, s23
	s_add_i32 s30, s22, 1
	s_sub_i32 s23, s21, s28
	s_cmp_ge_u32 s21, s28
	s_cselect_b32 s22, s30, s22
	s_cselect_b32 s21, s23, s21
	s_add_i32 s23, s22, 1
	s_cmp_ge_u32 s21, s28
	s_cselect_b32 s21, s23, s22
	s_xor_b32 s21, s21, s20
	s_sub_i32 s20, s21, s20
	s_mul_i32 s21, s20, s13
	s_sub_i32 s33, s3, s21
	s_ashr_i32 s21, s20, 31
	s_lshl_b64 s[22:23], s[20:21], 2
	s_add_u32 s24, s24, s22
	s_addc_u32 s25, s25, s23
	s_add_u32 s22, s26, s22
	s_addc_u32 s23, s27, s23
	s_abs_i32 s3, s14
	v_cvt_f32_u32_e32 v1, s3
	s_load_dwordx2 s[34:35], s[24:25], 0x0
	s_sub_i32 s25, 0, s3
	s_load_dword s44, s[22:23], 0x0
	v_rcp_iflag_f32_e32 v1, v1
	v_and_b32_e32 v72, 15, v0
	s_waitcnt lgkmcnt(0)
	s_sub_i32 s45, s35, s34
	s_ashr_i32 s24, s45, 31
	v_mul_f32_e32 v1, 0x4f7ffffe, v1
	v_cvt_u32_f32_e32 v1, v1
	s_lshr_b32 s24, s24, 26
	s_add_i32 s24, s45, s24
	s_ashr_i32 s43, s24, 6
	v_readfirstlane_b32 s26, v1
	s_mul_i32 s25, s25, s26
	s_mul_hi_u32 s25, s26, s25
	s_add_i32 s26, s26, s25
	s_mul_hi_u32 s25, s28, s26
	s_mul_i32 s26, s25, s3
	s_ashr_i32 s24, s14, 31
	s_sub_i32 s26, s28, s26
	s_xor_b32 s24, s29, s24
	s_add_i32 s27, s25, 1
	s_sub_i32 s28, s26, s3
	s_cmp_ge_u32 s26, s3
	s_cselect_b32 s25, s27, s25
	s_cselect_b32 s26, s28, s26
	s_add_i32 s27, s25, 1
	s_cmp_ge_u32 s26, s3
	s_cselect_b32 s3, s27, s25
	s_xor_b32 s3, s3, s24
	s_sub_i32 s3, s3, s24
	s_abs_i32 s24, s3
	v_cvt_f32_u32_e32 v1, s24
	s_load_dwordx2 s[28:29], s[0:1], 0x80
	s_xor_b32 s0, s33, s3
	s_sub_i32 s3, 0, s24
	v_rcp_iflag_f32_e32 v1, v1
	s_abs_i32 s1, s33
	s_ashr_i32 s0, s0, 31
	s_mul_hi_i32 s46, s33, s12
	v_mul_f32_e32 v1, 0x4f7ffffe, v1
	v_cvt_u32_f32_e32 v1, v1
	s_mul_i32 s47, s33, s12
	v_lshrrev_b32_e32 v77, 3, v73
	v_lshlrev_b32_e32 v76, 3, v0
	v_readfirstlane_b32 s22, v1
	s_mul_i32 s3, s3, s22
	s_mul_hi_u32 s3, s22, s3
	s_add_i32 s22, s22, s3
	s_mul_hi_u32 s3, s1, s22
	s_mul_i32 s22, s3, s24
	s_sub_i32 s1, s1, s22
	s_add_i32 s22, s3, 1
	s_sub_i32 s23, s1, s24
	s_cmp_ge_u32 s1, s24
	s_cselect_b32 s3, s22, s3
	s_cselect_b32 s1, s23, s1
	s_add_i32 s22, s3, 1
	s_cmp_ge_u32 s1, s24
	s_cselect_b32 s1, s22, s3
	s_xor_b32 s1, s1, s0
	v_lshlrev_b32_e32 v1, 4, v74
	s_sub_i32 s48, s1, s0
	v_or_b32_e32 v78, v2, v1
	s_lshl_b32 s30, s2, 6
	v_or_b32_e32 v79, 64, v78
	s_cmp_lt_i32 s45, 64
	s_mul_i32 s40, s20, s17
	s_mul_hi_u32 s41, s20, s16
	s_mul_i32 s42, s21, s16
	s_mul_i32 s16, s20, s16
	v_mov_b32_e32 v34, v35
	v_mov_b32_e32 v41, v35
	;; [unrolled: 1-line block ×31, first 2 shown]
	s_cbranch_scc1 .LBB120_18
; %bb.1:
	s_ashr_i32 s51, s33, 31
	s_ashr_i32 s1, s34, 31
	s_add_u32 s0, s47, s34
	s_addc_u32 s1, s46, s1
	s_lshl_b64 s[0:1], s[0:1], 8
	v_and_b32_e32 v81, 56, v76
	s_add_u32 s0, s6, s0
	v_lshl_or_b32 v80, v74, 3, v77
	v_lshlrev_b32_e32 v3, 1, v81
	s_addc_u32 s1, s7, s1
	v_lshl_or_b32 v82, v80, 8, v3
	s_and_b32 s1, s1, 0xffff
	s_mov_b32 s3, 0x20000
	s_movk_i32 s2, 0x4000
	s_movk_i32 s17, 0x80
	v_or_b32_e32 v83, 0x2000, v82
	buffer_load_dwordx4 v[4:7], v82, s[0:3], 0 offen
	buffer_load_dwordx4 v[8:11], v82, s[0:3], s17 offen
	;; [unrolled: 1-line block ×4, first 2 shown]
	v_lshlrev_b32_e32 v20, 3, v80
	v_and_or_b32 v22, v0, 7, v20
	v_and_b32_e32 v20, 0x78, v20
	v_lshlrev_b32_e32 v22, 4, v22
	v_xor_b32_e32 v84, v22, v20
	v_mul_lo_u32 v21, v80, s15
	v_or_b32_e32 v85, 0x1000, v84
	s_cmpk_eq_i32 s15, 0x80
	s_mov_b32 s49, s13
	s_mov_b32 s50, s34
	v_xor_b32_e32 v20, 8, v84
	v_xor_b32_e32 v22, 8, v85
	s_cselect_b64 s[0:1], -1, 0
	s_cmpk_lg_i32 s15, 0x80
	s_waitcnt vmcnt(3)
	ds_write_b64 v84, v[4:5] offset:49152
	ds_write_b64 v20, v[6:7] offset:49152
	s_waitcnt vmcnt(2)
	ds_write_b64 v84, v[8:9] offset:57344
	ds_write_b64 v20, v[10:11] offset:57344
	;; [unrolled: 3-line block ×4, first 2 shown]
	v_lshl_add_u32 v4, v21, 1, v81
	s_cbranch_scc0 .LBB120_3
; %bb.2:
	v_lshlrev_b32_e32 v6, 1, v4
	v_add_lshl_u32 v5, v4, s15, 1
	s_lshl_b32 s22, s15, 7
	v_lshl_or_b32 v3, v80, 9, v3
	s_cbranch_execz .LBB120_4
	s_branch .LBB120_5
.LBB120_3:
                                        ; implicit-def: $vgpr5
                                        ; implicit-def: $vgpr6
                                        ; implicit-def: $sgpr22
	v_lshl_or_b32 v3, v80, 9, v3
.LBB120_4:
	v_or_b32_e32 v5, 0x100, v3
	s_movk_i32 s22, 0x4000
	v_mov_b32_e32 v6, v3
.LBB120_5:
	s_mul_i32 s2, s34, s14
	s_ashr_i32 s52, s48, 31
	s_mul_hi_i32 s3, s34, s14
	s_add_u32 s2, s2, s48
	s_addc_u32 s3, s3, s52
	s_lshl_b64 s[2:3], s[2:3], 8
	s_add_u32 s20, s4, s2
	s_addc_u32 s2, s5, s3
	s_and_b32 s21, s2, 0xffff
	s_mov_b32 s23, 0x20000
	s_movk_i32 s53, 0x80
	buffer_load_dwordx4 v[8:11], v6, s[20:23], 0 offen
	buffer_load_dwordx4 v[12:15], v6, s[20:23], s53 offen
	;; [unrolled: 1-line block ×4, first 2 shown]
	v_and_b32_e32 v5, 6, v0
	v_lshlrev_b32_e32 v6, 7, v78
	v_xor_b32_e32 v28, v80, v5
	v_and_b32_e32 v7, 1, v0
	v_lshl_or_b32 v31, v72, 3, v6
	v_lshlrev_b32_e32 v28, 2, v28
	v_lshlrev_b32_e32 v24, 2, v72
	v_or_b32_e32 v86, 0x4000, v31
	v_or_b32_e32 v87, 0x6000, v31
	v_xor_b32_e32 v31, 0x440, v28
	v_cmp_eq_u32_e32 vcc, 0, v7
	v_or_b32_e32 v26, 16, v72
	v_or_b32_e32 v27, 32, v72
	v_xor_b32_e32 v29, v78, v24
	v_xor_b32_e32 v30, v79, v24
	v_cndmask_b32_e32 v7, v31, v28, vcc
	s_add_i32 s2, s41, s40
	s_mov_b32 s54, 0x1000504
	v_lshl_or_b32 v32, v26, 3, v6
	v_lshlrev_b32_e32 v26, 8, v26
	v_lshl_or_b32 v33, v27, 3, v6
	v_lshlrev_b32_e32 v29, 1, v29
	v_lshlrev_b32_e32 v30, 1, v30
	v_lshl_or_b32 v5, v5, 10, v7
	s_add_i32 s17, s2, s42
	s_mul_i32 s2, s33, s19
	s_mul_hi_u32 s3, s33, s18
	s_mov_b32 s55, 0x3020706
	v_lshlrev_b32_e32 v25, 8, v72
	v_or_b32_e32 v90, 0x4000, v33
	v_or_b32_e32 v91, 0x6000, v33
	;; [unrolled: 1-line block ×4, first 2 shown]
	v_xor_b32_e32 v7, 8, v5
	v_xor_b32_e32 v26, 24, v5
	;; [unrolled: 1-line block ×4, first 2 shown]
	s_add_i32 s2, s3, s2
	s_mul_i32 s3, s51, s18
	v_or_b32_e32 v88, 0x4000, v32
	v_or_b32_e32 v89, 0x6000, v32
	;; [unrolled: 1-line block ×4, first 2 shown]
	v_xor_b32_e32 v25, 16, v5
	v_xor_b32_e32 v28, 32, v5
	;; [unrolled: 1-line block ×3, first 2 shown]
	v_add_u32_e32 v7, 0x80, v7
	v_add_u32_e32 v26, 0x80, v26
	;; [unrolled: 1-line block ×4, first 2 shown]
	s_add_i32 s3, s2, s3
	s_lshl_b64 s[20:21], s[16:17], 2
	s_mul_i32 s2, s33, s18
	s_add_u32 s17, s10, s20
	s_addc_u32 s20, s11, s21
	s_lshl_b64 s[2:3], s[2:3], 2
	s_add_u32 s2, s17, s2
	s_movk_i32 s17, 0xf8
	s_addc_u32 s3, s20, s3
	s_ashr_i32 s31, s30, 31
	s_lshl_b32 s26, s15, 7
	s_lshl_b64 s[20:21], s[30:31], 8
	s_add_u32 s20, s36, s20
	v_mov_b32_e32 v67, 0
	s_addc_u32 s21, s37, s21
	v_lshlrev_b32_e32 v66, 4, v72
	v_lshlrev_b32_e32 v27, 8, v27
	s_mov_b32 s56, 0
	s_movk_i32 s22, 0x4000
	v_or_b32_e32 v96, v27, v29
	v_or_b32_e32 v97, v27, v30
	v_add_u32_e32 v126, v1, v2
	s_movk_i32 s31, 0x2000
	s_movk_i32 s57, 0x3000
	v_mov_b32_e32 v131, 0x3fb8aa3b
	v_mov_b32_e32 v58, v67
	;; [unrolled: 1-line block ×4, first 2 shown]
	s_waitcnt vmcnt(1)
	v_perm_b32 v34, v8, v16, s54
	s_waitcnt vmcnt(0)
	v_perm_b32 v35, v12, v20, s54
	v_perm_b32 v8, v8, v16, s55
	;; [unrolled: 1-line block ×15, first 2 shown]
	ds_write2st64_b32 v5, v34, v35 offset0:128 offset1:160
	ds_write2st64_b32 v7, v8, v12 offset0:128 offset1:160
	;; [unrolled: 1-line block ×8, first 2 shown]
	v_or_b32_e32 v5, 48, v72
	v_lshl_or_b32 v7, v5, 3, v6
	v_lshlrev_b32_e32 v5, 8, v5
	v_or_b32_e32 v100, v5, v29
	v_or_b32_e32 v101, v5, v30
	;; [unrolled: 1-line block ×3, first 2 shown]
	v_lshlrev_b32_e32 v5, 3, v5
	v_lshrrev_b32_e32 v9, 5, v73
	v_and_or_b32 v9, v5, s17, v9
	v_lshlrev_b32_e32 v9, 4, v9
	v_or_b32_e32 v98, 0x4000, v7
	v_or_b32_e32 v99, 0x6000, v7
	v_lshlrev_b32_e32 v7, 11, v74
	v_and_b32_e32 v5, 0x78, v5
	v_or_b32_e32 v14, 32, v9
	v_and_b32_e32 v8, 0x1000, v7
	v_xor_b32_e32 v10, v9, v5
	v_lshrrev_b32_e32 v11, 1, v0
	v_xor_b32_e32 v14, v14, v5
	v_or_b32_e32 v10, v10, v8
	v_and_b32_e32 v12, 8, v11
	v_or_b32_e32 v14, v14, v8
	v_xor_b32_e32 v102, v10, v12
	v_lshlrev_b32_e32 v10, 8, v75
	v_xor_b32_e32 v104, v14, v12
	v_or_b32_e32 v14, 64, v9
	v_or_b32_e32 v9, 0x60, v9
	;; [unrolled: 1-line block ×3, first 2 shown]
	v_xor_b32_e32 v14, v14, v5
	v_xor_b32_e32 v5, v9, v5
	v_lshlrev_b32_e32 v13, 1, v13
	v_or_b32_e32 v14, v14, v8
	v_or_b32_e32 v5, v5, v8
	;; [unrolled: 1-line block ×6, first 2 shown]
	v_xor_b32_e32 v108, v14, v12
	v_xor_b32_e32 v109, v5, v12
	v_or_b32_e32 v110, 0x6000, v13
	v_or_b32_e32 v111, 0x6080, v13
	;; [unrolled: 1-line block ×4, first 2 shown]
	v_lshlrev_b32_e32 v12, 1, v4
	v_add_lshl_u32 v13, v4, s15, 1
	s_movk_i32 s17, 0x100
	v_lshlrev_b32_e32 v4, 1, v72
	v_lshrrev_b32_e32 v15, 4, v0
	v_or_b32_e32 v5, 1, v4
	v_mov_b32_e32 v19, 0xa000
	v_mov_b32_e32 v20, 0x8000
	v_cmp_gt_u32_e32 vcc, s17, v0
	v_xor_b32_e32 v16, v15, v4
	v_xor_b32_e32 v17, v5, v15
	v_lshl_add_u64 v[4:5], s[20:21], 0, v[66:67]
	v_lshlrev_b32_e32 v66, 8, v15
	v_cndmask_b32_e32 v19, v19, v20, vcc
	v_lshlrev_b32_e32 v20, 3, v74
	v_and_b32_e32 v11, 24, v11
	v_lshl_or_b32 v114, v16, 3, v66
	v_and_b32_e32 v16, 8, v0
	v_xor_b32_e32 v21, v20, v11
	v_or_b32_e32 v22, 0x440, v21
	v_cmp_eq_u32_e32 vcc, 0, v16
	v_and_b32_e32 v15, 7, v0
	v_lshl_or_b32 v115, v17, 3, v66
	v_cndmask_b32_e32 v16, v22, v21, vcc
	v_lshlrev_b32_e32 v17, 3, v15
	v_lshlrev_b32_e32 v15, 7, v15
	v_or_b32_e32 v16, v16, v7
	v_lshlrev_b32_e32 v18, 2, v0
	v_xad_u32 v116, v16, v17, v15
	v_or_b32_e32 v16, 32, v11
	v_and_or_b32 v10, v18, 60, v10
	v_xor_b32_e32 v16, v20, v16
	v_lshlrev_b32_e32 v10, 1, v10
	v_or_b32_e32 v18, 0x440, v16
	v_or_b32_e32 v117, 0x6000, v10
	v_cndmask_b32_e32 v16, v18, v16, vcc
	v_or_b32_e32 v119, 0x6080, v10
	v_or_b32_e32 v120, 0x6100, v10
	;; [unrolled: 1-line block ×5, first 2 shown]
	v_xor_b32_e32 v10, v20, v10
	v_xad_u32 v118, v16, v17, v15
	v_xor_b32_e32 v16, 0x440, v10
	v_cndmask_b32_e32 v10, v16, v10, vcc
	v_or_b32_e32 v10, v10, v7
	v_xad_u32 v122, v10, v17, v15
	v_or_b32_e32 v10, 0x60, v11
	v_xor_b32_e32 v10, v20, v10
	v_xor_b32_e32 v11, 0x440, v10
	v_cndmask_b32_e32 v10, v11, v10, vcc
	v_or_b32_e32 v8, s30, v72
	v_or_b32_e32 v7, v10, v7
	v_ashrrev_i32_e32 v9, 31, v8
	v_or_b32_e32 v14, 0x100, v3
	v_xad_u32 v123, v7, v17, v15
	v_cndmask_b32_e64 v124, v12, v3, s[0:1]
	v_cndmask_b32_e64 v125, v13, v14, s[0:1]
	v_lshl_add_u64 v[68:69], v[8:9], 1, s[8:9]
	v_lshl_add_u64 v[70:71], v[4:5], 0, v[66:67]
	s_mov_b32 s17, 0x7060302
	v_lshlrev_b32_e32 v66, 1, v6
	v_add_u32_e32 v127, v19, v116
	v_add_u32_e32 v128, v19, v118
	;; [unrolled: 1-line block ×4, first 2 shown]
	v_mov_b32_e32 v61, v67
	v_mov_b32_e32 v62, v67
	v_mov_b32_e32 v63, v67
	v_mov_b32_e32 v64, v67
	v_mov_b32_e32 v65, v67
	v_mov_b32_e32 v50, v67
	v_mov_b32_e32 v51, v67
	v_mov_b32_e32 v52, v67
	v_mov_b32_e32 v53, v67
	v_mov_b32_e32 v54, v67
	v_mov_b32_e32 v55, v67
	v_mov_b32_e32 v56, v67
	v_mov_b32_e32 v57, v67
	v_mov_b32_e32 v42, v67
	v_mov_b32_e32 v43, v67
	v_mov_b32_e32 v44, v67
	v_mov_b32_e32 v45, v67
	v_mov_b32_e32 v46, v67
	v_mov_b32_e32 v47, v67
	v_mov_b32_e32 v48, v67
	v_mov_b32_e32 v49, v67
	v_mov_b32_e32 v36, v67
	v_mov_b32_e32 v37, v67
	v_mov_b32_e32 v38, v67
	v_mov_b32_e32 v39, v67
	v_mov_b32_e32 v40, v67
	v_mov_b32_e32 v41, v67
	v_mov_b32_e32 v34, v67
	v_mov_b32_e32 v35, v67
	s_waitcnt lgkmcnt(0)
	s_barrier
.LBB120_6:                              ; =>This Inner Loop Header: Depth=1
	s_add_i32 s58, s56, 1
	s_cmp_lt_i32 s58, s43
	s_mov_b64 s[24:25], 0
	s_cselect_b64 s[38:39], -1, 0
	s_cmp_ge_i32 s58, s43
	s_mov_b64 s[20:21], 0
	s_cbranch_scc1 .LBB120_8
; %bb.7:                                ;   in Loop: Header=BB120_6 Depth=1
	s_add_i32 s0, s50, 64
	s_ashr_i32 s1, s0, 31
	s_add_u32 s0, s47, s0
	s_addc_u32 s1, s46, s1
	s_lshl_b64 s[0:1], s[0:1], 8
	s_add_u32 s20, s6, s0
	s_addc_u32 s21, s7, s1
.LBB120_8:                              ;   in Loop: Header=BB120_6 Depth=1
	v_cndmask_b32_e64 v2, 0, 1, s[38:39]
	v_cmp_ne_u32_e64 s[0:1], 1, v2
	s_andn2_b64 vcc, exec, s[38:39]
	s_cbranch_vccnz .LBB120_10
; %bb.9:                                ;   in Loop: Header=BB120_6 Depth=1
	s_add_i32 s24, s50, 64
	s_mul_hi_i32 s25, s24, s14
	s_mul_i32 s24, s24, s14
	s_add_u32 s24, s24, s48
	s_addc_u32 s25, s25, s52
	s_lshl_b64 s[24:25], s[24:25], 8
	s_add_u32 s24, s4, s24
	s_addc_u32 s25, s5, s25
.LBB120_10:                             ;   in Loop: Header=BB120_6 Depth=1
	v_perm_b32 v3, v65, v64, s17
	v_perm_b32 v2, v63, v62, s17
	v_perm_b32 v5, v61, v60, s17
	v_perm_b32 v4, v59, v58, s17
	ds_write_b64 v86, v[2:3]
	ds_write_b64 v87, v[4:5]
	ds_write_b64 v92, v[2:3]
	ds_write_b64 v93, v[4:5]
	v_perm_b32 v3, v57, v56, s17
	v_perm_b32 v2, v55, v54, s17
	v_perm_b32 v5, v53, v52, s17
	v_perm_b32 v4, v51, v50, s17
	ds_write_b64 v88, v[2:3]
	ds_write_b64 v89, v[4:5]
	ds_write_b64 v94, v[2:3]
	ds_write_b64 v95, v[4:5]
	v_perm_b32 v3, v49, v48, s17
	v_perm_b32 v2, v47, v46, s17
	v_perm_b32 v5, v45, v44, s17
	v_perm_b32 v4, v43, v42, s17
	ds_write_b64 v90, v[2:3]
	ds_write_b64 v91, v[4:5]
	ds_write_b64 v96, v[2:3]
	ds_write_b64 v97, v[4:5]
	v_perm_b32 v3, v35, v34, s17
	v_perm_b32 v2, v41, v40, s17
	v_perm_b32 v5, v39, v38, s17
	v_perm_b32 v4, v37, v36, s17
	ds_write_b64 v98, v[2:3]
	ds_write_b64 v99, v[4:5]
	ds_write_b64 v100, v[2:3]
	ds_write_b64 v101, v[4:5]
	s_waitcnt lgkmcnt(0)
	s_barrier
	ds_read_b64 v[6:7], v102 offset:49152
	ds_read2_b64 v[2:5], v103 offset1:16
	ds_read_b64 v[18:19], v105 offset:6144
	ds_read_b64 v[20:21], v103 offset:6144
	s_waitcnt lgkmcnt(2)
	v_mfma_f32_16x16x16_bf16 a[0:3], v[6:7], v[2:3], 0
	ds_read_b64 v[22:23], v104 offset:49152
	ds_read2st64_b64 v[10:13], v106 offset0:4 offset1:8
	ds_read2st64_b64 v[14:17], v107 offset0:4 offset1:8
	v_mfma_f32_16x16x16_bf16 a[4:7], v[6:7], v[4:5], 0
	ds_read2_b64 v[2:5], v103 offset0:32 offset1:48
	s_add_i32 s27, s50, 63
	s_ashr_i32 s38, s27, 31
	s_waitcnt lgkmcnt(0)
	v_mfma_f32_16x16x16_bf16 a[8:11], v[6:7], v[2:3], 0
	s_mul_i32 s39, s27, s29
	s_mul_hi_u32 s59, s27, s28
	s_add_i32 s39, s59, s39
	v_mfma_f32_16x16x16_bf16 a[12:15], v[6:7], v[4:5], 0
	ds_read2st64_b64 v[2:5], v103 offset0:4 offset1:8
	ds_read2st64_b64 v[6:9], v105 offset0:4 offset1:8
	s_mul_i32 s38, s38, s28
	s_waitcnt lgkmcnt(1)
	v_mfma_f32_16x16x16_bf16 a[0:3], v[22:23], v[2:3], a[0:3]
	s_add_i32 s39, s39, s38
	s_mul_i32 s38, s27, s28
	s_lshl_b64 s[38:39], s[38:39], 2
	s_waitcnt lgkmcnt(0)
	v_mfma_f32_16x16x16_bf16 a[4:7], v[22:23], v[6:7], a[4:7]
	s_add_u32 s38, s2, s38
	s_addc_u32 s39, s3, s39
	s_and_b64 vcc, exec, s[0:1]
	v_mfma_f32_16x16x16_bf16 a[8:11], v[22:23], v[10:11], a[8:11]
	ds_read_b64 v[2:3], v108 offset:49152
	ds_read_b64 v[6:7], v109 offset:49152
	;; [unrolled: 1-line block ×3, first 2 shown]
	v_mov_b32_e32 v134, 0
	v_mov_b32_e32 v133, 0
	v_mfma_f32_16x16x16_bf16 a[12:15], v[22:23], v[14:15], a[12:15]
	v_mov_b32_e32 v132, 0
	v_mov_b32_e32 v14, 0
	;; [unrolled: 1-line block ×3, first 2 shown]
	s_waitcnt lgkmcnt(2)
	v_mfma_f32_16x16x16_bf16 a[0:3], v[2:3], v[4:5], a[0:3]
	v_mov_b32_e32 v4, 0
	v_mov_b32_e32 v5, 0
	v_mfma_f32_16x16x16_bf16 a[16:19], v[2:3], v[8:9], a[4:7]
	v_mov_b32_e32 v8, 0
	v_mov_b32_e32 v9, 0
	;; [unrolled: 3-line block ×3, first 2 shown]
	v_mfma_f32_16x16x16_bf16 a[24:27], v[2:3], v[16:17], a[12:15]
	ds_read_b64 v[2:3], v106 offset:6144
	v_mov_b32_e32 v16, 0
	v_mov_b32_e32 v17, 0
	s_waitcnt lgkmcnt(2)
	v_mfma_f32_16x16x16_bf16 a[4:7], v[6:7], v[20:21], a[0:3]
	v_mfma_f32_16x16x16_bf16 a[8:11], v[6:7], v[18:19], a[16:19]
	s_waitcnt lgkmcnt(0)
	v_mfma_f32_16x16x16_bf16 a[12:15], v[6:7], v[2:3], a[20:23]
	v_mov_b32_e32 v2, 0
	v_mov_b32_e32 v3, 0
	v_mfma_f32_16x16x16_bf16 a[0:3], v[6:7], v[10:11], a[24:27]
	v_mov_b32_e32 v6, 0
	v_mov_b32_e32 v7, 0
	;; [unrolled: 1-line block ×4, first 2 shown]
	s_cbranch_vccnz .LBB120_12
; %bb.11:                               ;   in Loop: Header=BB120_6 Depth=1
	s_and_b32 s21, s21, 0xffff
	buffer_load_dwordx4 v[14:17], v82, s[20:23], 0 offen
	buffer_load_dwordx4 v[10:13], v82, s[20:23], s53 offen
	;; [unrolled: 1-line block ×4, first 2 shown]
	v_mov_b32_e32 v133, v84
	v_mov_b32_e32 v132, v85
.LBB120_12:                             ;   in Loop: Header=BB120_6 Depth=1
	ds_read_b64 v[136:137], v102 offset:57344
	ds_read2_b64 v[18:21], v110 offset1:16
	ds_read_b64 v[138:139], v104 offset:57344
	ds_read_b64 v[140:141], v108 offset:57344
	;; [unrolled: 1-line block ×3, first 2 shown]
	v_add_u32_e32 v135, s50, v126
	s_waitcnt lgkmcnt(3)
	v_mfma_f32_16x16x16_bf16 a[4:7], v[136:137], v[18:19], a[4:7]
	v_mfma_f32_16x16x16_bf16 a[8:11], v[136:137], v[20:21], a[8:11]
	ds_read2_b64 v[18:21], v110 offset0:32 offset1:48
	ds_read2st64_b64 v[22:25], v110 offset0:4 offset1:8
	ds_read2st64_b64 v[26:29], v111 offset0:4 offset1:8
	;; [unrolled: 1-line block ×3, first 2 shown]
	s_waitcnt lgkmcnt(3)
	v_mfma_f32_16x16x16_bf16 a[12:15], v[136:137], v[18:19], a[12:15]
	v_ashrrev_i32_e32 v18, 31, v135
	v_mfma_f32_16x16x16_bf16 a[0:3], v[136:137], v[20:21], a[0:3]
	v_mul_lo_u32 v20, v18, s28
	v_mul_lo_u32 v21, v135, s29
	v_mad_u64_u32 v[18:19], s[20:21], v135, s28, 0
	v_add3_u32 v19, v19, v21, v20
	v_add_u32_e32 v20, 1, v135
	v_ashrrev_i32_e32 v21, 31, v20
	s_waitcnt lgkmcnt(2)
	v_mfma_f32_16x16x16_bf16 a[4:7], v[138:139], v[22:23], a[4:7]
	v_mul_lo_u32 v22, v21, s28
	v_mul_lo_u32 v23, v20, s29
	v_mad_u64_u32 v[20:21], s[20:21], v20, s28, 0
	v_add3_u32 v21, v21, v23, v22
	v_add_u32_e32 v22, 2, v135
	v_ashrrev_i32_e32 v23, 31, v22
	s_waitcnt lgkmcnt(1)
	v_mfma_f32_16x16x16_bf16 a[8:11], v[138:139], v[26:27], a[8:11]
	v_mul_lo_u32 v26, v23, s28
	v_mul_lo_u32 v27, v22, s29
	v_mad_u64_u32 v[22:23], s[20:21], v22, s28, 0
	v_add3_u32 v23, v23, v27, v26
	v_add_u32_e32 v26, 3, v135
	v_ashrrev_i32_e32 v27, 31, v26
	v_mul_lo_u32 v135, v27, s28
	v_mul_lo_u32 v136, v26, s29
	v_mad_u64_u32 v[26:27], s[20:21], v26, s28, 0
	s_ashr_i32 s21, s50, 31
	s_add_u32 s20, s47, s50
	v_lshl_add_u64 v[18:19], v[18:19], 2, s[2:3]
	v_add3_u32 v27, v27, v136, v135
	s_addc_u32 s21, s46, s21
	v_lshl_add_u64 v[20:21], v[20:21], 2, s[2:3]
	global_load_dword v137, v[18:19], off
	v_lshl_add_u64 v[18:19], v[26:27], 2, s[2:3]
	s_lshl_b64 s[20:21], s[20:21], 8
	v_lshl_add_u64 v[22:23], v[22:23], 2, s[2:3]
	global_load_dword v135, v[20:21], off
	global_load_dword v136, v[22:23], off
	;; [unrolled: 1-line block ×3, first 2 shown]
	v_lshl_add_u64 v[18:19], v[68:69], 0, s[20:21]
	v_lshl_add_u64 v[22:23], v[18:19], 0, v[66:67]
	global_load_ushort v145, v[22:23], off offset:256
	global_load_ushort v146, v[22:23], off
	ds_read2st64_b64 v[18:21], v113 offset0:4 offset1:8
	global_load_ushort v147, v[22:23], off offset:768
	global_load_ushort v148, v[22:23], off offset:512
	s_waitcnt lgkmcnt(1)
	v_mfma_f32_16x16x16_bf16 a[12:15], v[138:139], v[30:31], a[12:15]
	s_and_b64 vcc, exec, s[0:1]
	s_waitcnt vmcnt(3)
	v_lshlrev_b32_e32 v31, 16, v145
	s_waitcnt lgkmcnt(0)
	v_mfma_f32_16x16x16_bf16 a[0:3], v[138:139], v[18:19], a[0:3]
	global_load_ushort v138, v[22:23], off offset:288
	global_load_ushort v139, v[22:23], off offset:32
	;; [unrolled: 1-line block ×8, first 2 shown]
	v_mfma_f32_16x16x16_bf16 a[4:7], v[140:141], v[24:25], a[4:7]
	ds_read_b64 v[18:19], v110 offset:6144
	s_waitcnt vmcnt(10)
	v_lshlrev_b32_e32 v30, 16, v146
	v_mfma_f32_16x16x16_bf16 a[8:11], v[140:141], v[28:29], a[8:11]
	v_mfma_f32_16x16x16_bf16 a[12:15], v[140:141], v[32:33], a[12:15]
	;; [unrolled: 1-line block ×3, first 2 shown]
	global_load_ushort v140, v[22:23], off offset:352
	global_load_ushort v141, v[22:23], off offset:96
	ds_read_b64 v[20:21], v111 offset:6144
	ds_read_b64 v[24:25], v112 offset:6144
	;; [unrolled: 1-line block ×3, first 2 shown]
	global_load_ushort v155, v[22:23], off offset:864
	global_load_ushort v156, v[22:23], off offset:608
	s_load_dword s20, s[38:39], 0x0
	s_waitcnt lgkmcnt(0)
	v_mfma_f32_16x16x16_bf16 a[4:7], v[142:143], v[18:19], a[4:7]
	v_sub_f32_e32 v28, s20, v136
	v_mfma_f32_16x16x16_bf16 a[0:3], v[142:143], v[26:27], a[0:3]
	v_sub_f32_e32 v26, s20, v137
	v_sub_f32_e32 v27, s20, v135
	;; [unrolled: 1-line block ×3, first 2 shown]
	v_mul_f32_e32 v26, 0x3fb8aa3b, v26
	v_mul_f32_e32 v27, 0x3fb8aa3b, v27
	;; [unrolled: 1-line block ×4, first 2 shown]
	v_mfma_f32_16x16x16_bf16 a[8:11], v[142:143], v[20:21], a[8:11]
	v_exp_f32_e32 v26, v26
	v_exp_f32_e32 v27, v27
	;; [unrolled: 1-line block ×4, first 2 shown]
	v_accvgpr_read_b32 v33, a5
	v_accvgpr_read_b32 v32, a4
	;; [unrolled: 1-line block ×4, first 2 shown]
	v_pk_add_f32 v[30:31], v[30:31], v[32:33] neg_lo:[0,1] neg_hi:[0,1]
	s_waitcnt vmcnt(13)
	v_lshlrev_b32_e32 v33, 16, v147
	s_waitcnt vmcnt(12)
	v_lshlrev_b32_e32 v32, 16, v148
	v_pk_add_f32 v[18:19], v[32:33], v[18:19] neg_lo:[0,1] neg_hi:[0,1]
	v_pk_mul_f32 v[30:31], v[26:27], v[30:31]
	v_pk_mul_f32 v[18:19], v[28:29], v[18:19]
	v_accvgpr_read_b32 v33, a9
	v_perm_b32 v19, v19, v18, s17
	v_perm_b32 v18, v31, v30, s17
	v_accvgpr_read_b32 v32, a8
	v_accvgpr_read_b32 v21, a11
	v_mfma_f32_16x16x16_bf16 a[12:15], v[142:143], v[24:25], a[12:15]
	v_accvgpr_read_b32 v20, a10
	v_accvgpr_read_b32 v25, a3
	;; [unrolled: 1-line block ×3, first 2 shown]
	v_mov_b32_e32 v135, 0
	s_waitcnt vmcnt(11)
	v_lshlrev_b32_e32 v31, 16, v138
	s_waitcnt vmcnt(10)
	v_lshlrev_b32_e32 v30, 16, v139
	v_pk_add_f32 v[30:31], v[30:31], v[32:33] neg_lo:[0,1] neg_hi:[0,1]
	s_waitcnt vmcnt(9)
	v_lshlrev_b32_e32 v33, 16, v149
	s_waitcnt vmcnt(8)
	v_lshlrev_b32_e32 v32, 16, v150
	v_pk_add_f32 v[20:21], v[32:33], v[20:21] neg_lo:[0,1] neg_hi:[0,1]
	v_pk_mul_f32 v[30:31], v[26:27], v[30:31]
	v_pk_mul_f32 v[20:21], v[28:29], v[20:21]
	v_accvgpr_read_b32 v23, a15
	v_perm_b32 v21, v21, v20, s17
	v_perm_b32 v20, v31, v30, s17
	ds_write2_b64 v87, v[18:19], v[20:21] offset1:16
	v_accvgpr_read_b32 v21, a13
	s_waitcnt vmcnt(7)
	v_lshlrev_b32_e32 v19, 16, v151
	s_waitcnt vmcnt(6)
	v_lshlrev_b32_e32 v18, 16, v152
	v_accvgpr_read_b32 v20, a12
	v_accvgpr_read_b32 v22, a14
	v_pk_add_f32 v[18:19], v[18:19], v[20:21] neg_lo:[0,1] neg_hi:[0,1]
	s_waitcnt vmcnt(5)
	v_lshlrev_b32_e32 v21, 16, v153
	s_waitcnt vmcnt(4)
	v_lshlrev_b32_e32 v20, 16, v154
	v_pk_add_f32 v[20:21], v[20:21], v[22:23] neg_lo:[0,1] neg_hi:[0,1]
	v_pk_mul_f32 v[18:19], v[26:27], v[18:19]
	v_pk_mul_f32 v[20:21], v[28:29], v[20:21]
	v_accvgpr_read_b32 v23, a1
	v_perm_b32 v21, v21, v20, s17
	v_perm_b32 v20, v19, v18, s17
	s_waitcnt vmcnt(3)
	v_lshlrev_b32_e32 v19, 16, v140
	s_waitcnt vmcnt(2)
	v_lshlrev_b32_e32 v18, 16, v141
	v_accvgpr_read_b32 v22, a0
	v_pk_add_f32 v[18:19], v[18:19], v[22:23] neg_lo:[0,1] neg_hi:[0,1]
	s_waitcnt vmcnt(1)
	v_lshlrev_b32_e32 v23, 16, v155
	s_waitcnt vmcnt(0)
	v_lshlrev_b32_e32 v22, 16, v156
	v_pk_add_f32 v[22:23], v[22:23], v[24:25] neg_lo:[0,1] neg_hi:[0,1]
	v_pk_mul_f32 v[18:19], v[26:27], v[18:19]
	v_pk_mul_f32 v[22:23], v[28:29], v[22:23]
	v_mov_b32_e32 v24, 0
	v_perm_b32 v23, v23, v22, s17
	v_perm_b32 v22, v19, v18, s17
	ds_write2_b64 v87, v[20:21], v[22:23] offset0:32 offset1:48
	v_mov_b32_e32 v18, 0
	v_mov_b32_e32 v19, 0
	;; [unrolled: 1-line block ×15, first 2 shown]
	s_cbranch_vccnz .LBB120_14
; %bb.13:                               ;   in Loop: Header=BB120_6 Depth=1
	s_and_b32 s25, s25, 0xffff
	s_mov_b32 s27, s23
	buffer_load_dwordx4 v[30:33], v124, s[24:27], 0 offen
	buffer_load_dwordx4 v[22:25], v124, s[24:27], s53 offen
	;; [unrolled: 1-line block ×4, first 2 shown]
	v_mov_b32_e32 v134, v81
	v_mov_b32_e32 v135, v80
.LBB120_14:                             ;   in Loop: Header=BB120_6 Depth=1
	s_waitcnt lgkmcnt(0)
	s_barrier
	ds_read_b64 v[144:145], v127
	ds_read2_b64 v[136:139], v117 offset1:16
	ds_read_b64 v[160:161], v128
	ds_read_b64 v[162:163], v129
	;; [unrolled: 1-line block ×3, first 2 shown]
	ds_read2_b64 v[140:143], v117 offset0:32 offset1:48
	s_waitcnt lgkmcnt(4)
	v_mfma_f32_16x16x16_bf16 a[0:3], v[144:145], v[136:137], 0
	ds_read2st64_b64 v[148:151], v119 offset0:4 offset1:8
	ds_read2st64_b64 v[152:155], v120 offset0:4 offset1:8
	;; [unrolled: 1-line block ×3, first 2 shown]
	v_mfma_f32_16x16x16_bf16 a[4:7], v[144:145], v[138:139], 0
	s_add_i32 s21, s44, s56
	s_mul_hi_i32 s25, s21, s49
	s_mul_i32 s21, s21, s49
	s_waitcnt lgkmcnt(3)
	v_mfma_f32_16x16x16_bf16 a[8:11], v[144:145], v[140:141], 0
	s_add_u32 s24, s21, s33
	s_addc_u32 s25, s25, s51
	s_lshl_b64 s[24:25], s[24:25], 15
	v_mfma_f32_16x16x16_bf16 a[12:15], v[144:145], v[142:143], 0
	ds_read2st64_b64 v[144:147], v117 offset0:4 offset1:8
	s_waitcnt lgkmcnt(0)
	v_mfma_f32_16x16x16_bf16 a[0:3], v[160:161], v[144:145], a[0:3]
	v_mfma_f32_16x16x16_bf16 a[4:7], v[160:161], v[148:149], a[4:7]
	;; [unrolled: 1-line block ×8, first 2 shown]
	ds_read_b64 v[160:161], v117 offset:6144
	ds_read_b64 v[162:163], v118 offset:40960
	;; [unrolled: 1-line block ×8, first 2 shown]
	s_waitcnt lgkmcnt(5)
	v_mfma_f32_16x16x16_bf16 a[16:19], v[166:167], v[136:137], 0
	v_mfma_f32_16x16x16_bf16 a[20:23], v[166:167], v[138:139], 0
	ds_read2st64_b64 v[136:139], v114 offset1:8
	v_mfma_f32_16x16x16_bf16 a[24:27], v[166:167], v[140:141], 0
	v_mfma_f32_16x16x16_bf16 a[28:31], v[166:167], v[142:143], 0
	ds_read2st64_b64 v[140:143], v115 offset1:8
	v_mfma_f32_16x16x16_bf16 a[16:19], v[162:163], v[144:145], a[16:19]
	s_waitcnt lgkmcnt(1)
	v_mov_b32_e32 v144, v136
	v_mov_b32_e32 v145, v137
	v_mfma_f32_16x16x16_bf16 a[20:23], v[162:163], v[148:149], a[20:23]
	v_lshl_add_u64 v[148:149], v[70:71], 0, s[24:25]
	v_mfma_f32_16x16x16_bf16 a[24:27], v[162:163], v[152:153], a[24:27]
	v_mfma_f32_16x16x16_bf16 a[28:31], v[162:163], v[156:157], a[28:31]
	;; [unrolled: 1-line block ×3, first 2 shown]
	s_waitcnt lgkmcnt(0)
	v_mov_b32_e32 v146, v140
	v_mov_b32_e32 v147, v141
	;; [unrolled: 1-line block ×3, first 2 shown]
	v_mfma_f32_16x16x16_bf16 a[32:35], v[174:175], v[150:151], a[20:23]
	v_mov_b32_e32 v141, v139
	ds_read2st64_b64 v[136:139], v114 offset0:16 offset1:24
	global_store_dwordx4 v[148:149], v[144:147], off
	v_mfma_f32_16x16x16_bf16 a[24:27], v[174:175], v[154:155], a[24:27]
	ds_read2st64_b64 v[144:147], v115 offset0:16 offset1:24
	v_add_co_u32_e32 v150, vcc, s31, v148
	v_mfma_f32_16x16x16_bf16 a[28:31], v[174:175], v[158:159], a[28:31]
	s_nop 0
	v_addc_co_u32_e32 v151, vcc, 0, v149, vcc
	global_store_dwordx4 v[150:151], v[140:143], off offset:-4096
	v_mfma_f32_16x16x16_bf16 a[0:3], v[164:165], v[160:161], a[0:3]
	s_waitcnt lgkmcnt(1)
	v_mov_b32_e32 v140, v136
	v_add_co_u32_e32 v136, vcc, s57, v148
	v_mfma_f32_16x16x16_bf16 a[4:7], v[164:165], v[168:169], a[4:7]
	v_mov_b32_e32 v141, v137
	v_addc_co_u32_e32 v137, vcc, 0, v149, vcc
	v_mfma_f32_16x16x16_bf16 a[8:11], v[164:165], v[170:171], a[8:11]
	s_waitcnt lgkmcnt(0)
	v_mov_b32_e32 v142, v144
	v_mov_b32_e32 v143, v145
	;; [unrolled: 1-line block ×3, first 2 shown]
	v_mfma_f32_16x16x16_bf16 a[12:15], v[164:165], v[172:173], a[12:15]
	v_mov_b32_e32 v145, v139
	s_and_b64 vcc, exec, s[0:1]
	global_store_dwordx4 v[150:151], v[140:143], off
	v_mfma_f32_16x16x16_bf16 a[20:23], v[176:177], v[160:161], a[16:19]
	global_store_dwordx4 v[136:137], v[144:147], off
	v_mfma_f32_16x16x16_bf16 a[16:19], v[176:177], v[168:169], a[32:35]
	v_mfma_f32_16x16x16_bf16 a[24:27], v[176:177], v[170:171], a[24:27]
	;; [unrolled: 1-line block ×3, first 2 shown]
	s_cbranch_vccnz .LBB120_16
; %bb.15:                               ;   in Loop: Header=BB120_6 Depth=1
	v_lshrrev_b32_e32 v136, 3, v134
	v_and_b32_e32 v136, 6, v136
	v_xor_b32_e32 v135, v136, v135
	v_lshlrev_b32_e32 v135, 2, v135
	v_and_b32_e32 v134, 8, v134
	v_xor_b32_e32 v137, 0x440, v135
	v_cmp_eq_u32_e32 vcc, 0, v134
	s_barrier
	s_nop 0
	v_cndmask_b32_e32 v134, v137, v135, vcc
	v_lshl_or_b32 v134, v136, 10, v134
	s_waitcnt vmcnt(5)
	v_perm_b32 v135, v30, v26, s54
	s_waitcnt vmcnt(4)
	v_perm_b32 v136, v22, v18, s54
	ds_write2st64_b32 v134, v135, v136 offset0:128 offset1:160
	v_xor_b32_e32 v135, 8, v134
	v_perm_b32 v26, v30, v26, s55
	v_perm_b32 v18, v22, v18, s55
	v_add_u32_e32 v22, 0x80, v135
	ds_write2st64_b32 v22, v26, v18 offset0:128 offset1:160
	v_xor_b32_e32 v18, 16, v134
	v_perm_b32 v22, v31, v27, s54
	v_perm_b32 v26, v23, v19, s54
	ds_write2st64_b32 v18, v22, v26 offset0:129 offset1:161
	v_xor_b32_e32 v18, 24, v134
	v_perm_b32 v22, v31, v27, s55
	v_perm_b32 v19, v23, v19, s55
	v_add_u32_e32 v18, 0x80, v18
	ds_write2st64_b32 v18, v22, v19 offset0:129 offset1:161
	v_xor_b32_e32 v18, 32, v134
	v_perm_b32 v19, v32, v28, s54
	;; [unrolled: 9-line block ×3, first 2 shown]
	v_perm_b32 v20, v25, v21, s54
	ds_write2st64_b32 v18, v19, v20 offset0:131 offset1:163
	v_xor_b32_e32 v18, 56, v134
	v_perm_b32 v19, v33, v29, s55
	v_perm_b32 v20, v25, v21, s55
	v_add_u32_e32 v18, 0x80, v18
	ds_write2st64_b32 v18, v19, v20 offset0:131 offset1:163
	ds_write_b64 v133, v[14:15] offset:49152
	v_xor_b32_e32 v14, 8, v133
	ds_write_b64 v14, v[16:17] offset:49152
	ds_write_b64 v133, v[10:11] offset:57344
	;; [unrolled: 1-line block ×4, first 2 shown]
	v_xor_b32_e32 v6, 8, v132
	ds_write_b64 v6, v[8:9] offset:49152
	ds_write_b64 v132, v[2:3] offset:57344
	ds_write_b64 v6, v[4:5] offset:57344
.LBB120_16:                             ;   in Loop: Header=BB120_6 Depth=1
	s_waitcnt vmcnt(6)
	v_mul_f32_e32 v22, s20, v131
	v_exp_f32_e32 v132, v22
	v_accvgpr_read_b32 v5, a3
	v_accvgpr_read_b32 v9, a7
	;; [unrolled: 1-line block ×4, first 2 shown]
	s_waitcnt vmcnt(4)
	v_accvgpr_read_b32 v18, a20
	v_accvgpr_read_b32 v25, a19
	v_accvgpr_read_b32 v29, a27
	v_accvgpr_read_b32 v33, a31
	v_accvgpr_read_b32 v4, a2
	v_accvgpr_read_b32 v3, a1
	v_accvgpr_read_b32 v2, a0
	v_accvgpr_read_b32 v8, a6
	v_accvgpr_read_b32 v7, a5
	v_accvgpr_read_b32 v6, a4
	v_accvgpr_read_b32 v12, a10
	v_accvgpr_read_b32 v11, a9
	v_accvgpr_read_b32 v10, a8
	v_accvgpr_read_b32 v16, a14
	v_accvgpr_read_b32 v15, a13
	v_accvgpr_read_b32 v14, a12
	v_accvgpr_read_b32 v19, a21
	v_accvgpr_read_b32 v20, a22
	v_accvgpr_read_b32 v21, a23
	v_accvgpr_read_b32 v24, a18
	v_accvgpr_read_b32 v23, a17
	v_accvgpr_read_b32 v22, a16
	v_accvgpr_read_b32 v28, a26
	v_accvgpr_read_b32 v27, a25
	v_accvgpr_read_b32 v26, a24
	v_accvgpr_read_b32 v32, a30
	v_accvgpr_read_b32 v31, a29
	v_accvgpr_read_b32 v30, a28
	s_add_i32 s50, s50, 64
	v_pk_fma_f32 v[62:63], v[132:133], v[62:63], v[2:3] op_sel_hi:[0,1,1]
	v_pk_fma_f32 v[64:65], v[132:133], v[64:65], v[4:5] op_sel_hi:[0,1,1]
	;; [unrolled: 1-line block ×15, first 2 shown]
	s_cmp_eq_u32 s43, s58
	v_pk_fma_f32 v[38:39], v[132:133], v[38:39], v[32:33] op_sel_hi:[0,1,1]
	s_cbranch_scc1 .LBB120_18
; %bb.17:                               ;   in Loop: Header=BB120_6 Depth=1
	s_mov_b32 s56, s58
	s_branch .LBB120_6
.LBB120_18:
	s_lshl_b32 s0, s43, 6
	s_sub_i32 s45, s45, s0
	s_cmp_gt_i32 s45, 0
	s_cbranch_scc0 .LBB120_99
; %bb.19:
	s_add_i32 s34, s0, s34
	s_ashr_i32 s2, s34, 31
	s_cmpk_lg_i32 s15, 0x80
	s_cselect_b64 s[26:27], -1, 0
	s_and_b64 vcc, exec, s[26:27]
	s_cbranch_vccz .LBB120_21
; %bb.20:
	s_mul_i32 s1, s34, s14
	s_ashr_i32 s3, s48, 31
	s_mul_hi_i32 s0, s34, s14
	s_add_u32 s38, s1, s48
	s_addc_u32 s39, s0, s3
	s_cbranch_execz .LBB120_22
	s_branch .LBB120_23
.LBB120_21:
                                        ; implicit-def: $sgpr38_sgpr39
.LBB120_22:
	s_mul_i32 s1, s48, s12
	s_mul_hi_i32 s0, s48, s12
	s_add_u32 s38, s1, s34
	s_addc_u32 s39, s0, s2
.LBB120_23:
	s_add_i32 s3, s43, s44
	s_ashr_i32 s12, s33, 31
	s_add_u32 s0, s47, s34
	v_lshlrev_b32_e32 v6, 6, v78
	v_lshlrev_b32_e32 v24, 2, v72
	s_addc_u32 s1, s46, s2
	s_mov_b32 s2, 0x7060302
	v_or_b32_e32 v9, v6, v24
	v_xor_b32_e32 v7, v78, v24
	v_perm_b32 v3, v65, v64, s2
	v_perm_b32 v2, v63, v62, s2
	;; [unrolled: 1-line block ×4, first 2 shown]
	v_lshlrev_b32_e32 v9, 1, v9
	v_xor_b32_e32 v8, v79, v24
	ds_write2st64_b64 v9, v[2:3], v[4:5] offset0:32 offset1:48
	v_lshlrev_b32_e32 v7, 1, v7
	v_lshlrev_b32_e32 v9, 8, v72
	v_or_b32_e32 v10, v7, v9
	v_lshlrev_b32_e32 v8, 1, v8
	ds_write_b64 v10, v[2:3]
	v_or_b32_e32 v2, v8, v9
	v_or_b32_e32 v9, 16, v72
	v_lshlrev_b32_e32 v23, 2, v9
	v_or_b32_e32 v10, v6, v23
	ds_write_b64 v2, v[4:5]
	v_perm_b32 v3, v57, v56, s2
	v_perm_b32 v2, v55, v54, s2
	v_perm_b32 v5, v53, v52, s2
	v_perm_b32 v4, v51, v50, s2
	v_lshlrev_b32_e32 v10, 1, v10
	v_lshlrev_b32_e32 v9, 8, v9
	ds_write2st64_b64 v10, v[2:3], v[4:5] offset0:32 offset1:48
	v_or_b32_e32 v10, v7, v9
	ds_write_b64 v10, v[2:3]
	v_or_b32_e32 v2, v8, v9
	v_or_b32_e32 v9, 32, v72
	v_lshlrev_b32_e32 v22, 2, v9
	v_or_b32_e32 v10, v6, v22
	s_lshl_b64 s[24:25], s[0:1], 8
	ds_write_b64 v2, v[4:5]
	v_perm_b32 v3, v49, v48, s2
	v_perm_b32 v2, v47, v46, s2
	;; [unrolled: 1-line block ×4, first 2 shown]
	v_lshlrev_b32_e32 v10, 1, v10
	v_lshlrev_b32_e32 v9, 8, v9
	s_add_u32 s0, s6, s24
	ds_write2st64_b64 v10, v[2:3], v[4:5] offset0:32 offset1:48
	v_or_b32_e32 v10, v7, v9
	s_addc_u32 s1, s7, s25
	ds_write_b64 v10, v[2:3]
	v_or_b32_e32 v2, v8, v9
	v_or_b32_e32 v9, 48, v72
	s_mul_hi_i32 s6, s3, s13
	s_mul_i32 s3, s3, s13
	ds_write_b64 v2, v[4:5]
	v_perm_b32 v3, v35, v34, s2
	v_perm_b32 v2, v41, v40, s2
	;; [unrolled: 1-line block ×4, first 2 shown]
	v_lshlrev_b32_e32 v19, 2, v9
	s_add_u32 s2, s3, s33
	v_or_b32_e32 v6, v6, v19
	s_addc_u32 s3, s6, s12
	v_lshlrev_b32_e32 v6, 1, v6
	s_ashr_i32 s31, s30, 31
	s_lshl_b64 s[2:3], s[2:3], 15
	ds_write2st64_b64 v6, v[2:3], v[4:5] offset0:32 offset1:48
	v_lshlrev_b32_e32 v6, 8, v9
	s_add_u32 s6, s36, s2
	v_or_b32_e32 v7, v7, v6
	s_addc_u32 s7, s37, s3
	s_lshl_b64 s[2:3], s[30:31], 8
	ds_write_b64 v7, v[2:3]
	v_or_b32_e32 v2, v8, v6
	s_add_u32 s2, s6, s2
	v_lshlrev_b32_e32 v3, 1, v72
	ds_write_b64 v2, v[4:5]
	v_lshrrev_b32_e32 v2, 4, v0
	s_addc_u32 s3, s7, s3
	v_or_b32_e32 v4, 1, v3
	v_lshlrev_b32_e32 v10, 4, v72
	v_mov_b32_e32 v11, 0
	v_xor_b32_e32 v3, v2, v3
	v_xor_b32_e32 v6, v4, v2
	v_lshl_add_u64 v[12:13], s[2:3], 0, v[10:11]
	v_lshlrev_b32_e32 v10, 8, v2
	v_lshl_or_b32 v16, v3, 3, v10
	v_lshl_or_b32 v17, v6, 3, v10
	s_waitcnt lgkmcnt(0)
	s_barrier
	ds_read2st64_b64 v[2:5], v16 offset1:8
	ds_read2st64_b64 v[6:9], v17 offset1:8
	v_lshl_add_u64 v[14:15], v[12:13], 0, v[10:11]
	s_movk_i32 s2, 0x2000
	s_cmp_lg_u32 s45, 64
	s_waitcnt lgkmcnt(1)
	v_mov_b32_e32 v10, v2
	v_mov_b32_e32 v11, v3
	s_waitcnt lgkmcnt(0)
	v_mov_b32_e32 v12, v6
	v_mov_b32_e32 v13, v7
	global_store_dwordx4 v[14:15], v[10:13], off
	v_mov_b32_e32 v6, v4
	v_mov_b32_e32 v7, v5
	ds_read2st64_b64 v[2:5], v16 offset0:16 offset1:24
	ds_read2st64_b64 v[10:13], v17 offset0:16 offset1:24
	v_add_co_u32_e32 v16, vcc, s2, v14
	s_cselect_b64 s[6:7], -1, 0
	s_nop 0
	v_addc_co_u32_e32 v17, vcc, 0, v15, vcc
	global_store_dwordx4 v[16:17], v[6:9], off offset:-4096
	v_lshl_or_b32 v25, v74, 3, v77
	s_mov_b32 s20, 0
	s_waitcnt lgkmcnt(1)
	v_mov_b32_e32 v6, v2
	v_add_co_u32_e32 v2, vcc, 0x3000, v14
	v_mov_b32_e32 v7, v3
	s_nop 0
	v_addc_co_u32_e32 v3, vcc, 0, v15, vcc
	s_waitcnt lgkmcnt(0)
	v_mov_b32_e32 v8, v10
	v_mov_b32_e32 v9, v11
	;; [unrolled: 1-line block ×4, first 2 shown]
	v_or_b32_e32 v20, 32, v25
	v_and_b32_e32 v18, 56, v76
	s_and_b64 vcc, exec, s[6:7]
	global_store_dwordx4 v[16:17], v[6:9], off
	global_store_dwordx4 v[2:3], v[10:13], off
	s_cbranch_vccz .LBB120_29
; %bb.24:
	s_mov_b32 s21, s20
	s_mov_b32 s22, s20
	;; [unrolled: 1-line block ×3, first 2 shown]
	v_mov_b64_e32 v[6:7], s[20:21]
	v_mov_b64_e32 v[8:9], s[22:23]
	;; [unrolled: 1-line block ×3, first 2 shown]
	v_cmp_gt_i32_e32 vcc, s45, v25
	v_mov_b64_e32 v[4:5], v[8:9]
	s_and_saveexec_b64 s[2:3], vcc
	s_cbranch_execz .LBB120_26
; %bb.25:
	v_lshlrev_b32_e32 v2, 8, v25
	v_mov_b32_e32 v3, 0
	v_lshl_add_u64 v[4:5], s[0:1], 0, v[2:3]
	v_lshlrev_b32_e32 v2, 1, v18
	v_lshl_add_u64 v[10:11], v[4:5], 0, v[2:3]
	global_load_dwordx4 v[6:9], v[10:11], off
	global_load_dwordx4 v[2:5], v[10:11], off offset:128
.LBB120_26:
	s_or_b64 exec, exec, s[2:3]
	s_mov_b32 s21, s20
	s_mov_b32 s22, s20
	;; [unrolled: 1-line block ×3, first 2 shown]
	v_mov_b64_e32 v[14:15], s[20:21]
	v_mov_b64_e32 v[16:17], s[22:23]
	;; [unrolled: 1-line block ×3, first 2 shown]
	v_cmp_gt_i32_e32 vcc, s45, v20
	v_lshlrev_b32_e32 v21, 7, v20
	v_mov_b64_e32 v[12:13], v[16:17]
	s_and_saveexec_b64 s[2:3], vcc
	s_cbranch_execz .LBB120_28
; %bb.27:
	v_lshlrev_b32_e32 v10, 1, v21
	v_mov_b32_e32 v11, 0
	v_lshl_add_u64 v[12:13], s[0:1], 0, v[10:11]
	v_lshlrev_b32_e32 v10, 1, v18
	v_lshl_add_u64 v[26:27], v[12:13], 0, v[10:11]
	global_load_dwordx4 v[14:17], v[26:27], off
	global_load_dwordx4 v[10:13], v[26:27], off offset:128
.LBB120_28:
	s_or_b64 exec, exec, s[2:3]
	v_lshrrev_b32_e32 v26, 3, v18
	v_lshlrev_b32_e32 v27, 3, v25
	v_or_b32_e32 v26, v27, v26
	v_lshlrev_b32_e32 v26, 4, v26
	v_and_b32_e32 v27, 0x78, v27
	v_xor_b32_e32 v26, v26, v27
	s_branch .LBB120_31
.LBB120_29:
                                        ; implicit-def: $vgpr26
                                        ; implicit-def: $vgpr21
                                        ; implicit-def: $vgpr6_vgpr7_vgpr8_vgpr9
                                        ; implicit-def: $vgpr2_vgpr3_vgpr4_vgpr5
                                        ; implicit-def: $vgpr14_vgpr15_vgpr16_vgpr17
                                        ; implicit-def: $vgpr10_vgpr11_vgpr12_vgpr13
	s_cbranch_execz .LBB120_31
; %bb.30:
	s_waitcnt vmcnt(0)
	v_lshlrev_b32_e32 v2, 1, v18
	v_lshl_or_b32 v21, v25, 8, v2
	s_and_b32 s1, s1, 0xffff
	s_mov_b32 s3, 0x20000
	s_movk_i32 s2, 0x4000
	v_lshl_or_b32 v26, v20, 8, v2
	s_movk_i32 s13, 0x80
	buffer_load_dwordx4 v[6:9], v21, s[0:3], 0 offen
	buffer_load_dwordx4 v[2:5], v21, s[0:3], s13 offen
	;; [unrolled: 1-line block ×4, first 2 shown]
	v_lshrrev_b32_e32 v21, 3, v18
	v_lshlrev_b32_e32 v26, 3, v25
	v_or_b32_e32 v21, v26, v21
	v_lshlrev_b32_e32 v21, 4, v21
	v_and_b32_e32 v26, 0x78, v26
	v_xor_b32_e32 v26, v21, v26
	v_lshlrev_b32_e32 v21, 7, v20
.LBB120_31:
	s_movk_i32 s0, 0x1000
	v_and_or_b32 v20, v21, s0, v26
	s_waitcnt vmcnt(1)
	ds_write_b64 v26, v[6:7] offset:49152
	v_xor_b32_e32 v6, 8, v26
	ds_write_b64 v6, v[8:9] offset:49152
	s_waitcnt vmcnt(0)
	ds_write_b64 v26, v[2:3] offset:57344
	ds_write_b64 v6, v[4:5] offset:57344
	;; [unrolled: 1-line block ×3, first 2 shown]
	v_xor_b32_e32 v2, 8, v20
	ds_write_b64 v2, v[16:17] offset:49152
	ds_write_b64 v20, v[10:11] offset:57344
	;; [unrolled: 1-line block ×3, first 2 shown]
	v_or_b32_e32 v2, v1, v72
	v_lshlrev_b32_e32 v3, 11, v74
	v_lshlrev_b32_e32 v2, 3, v2
	v_and_b32_e32 v6, 0x1000, v3
	v_lshrrev_b32_e32 v3, 5, v73
	s_movk_i32 s0, 0xf8
	v_and_or_b32 v3, v2, s0, v3
	v_lshlrev_b32_e32 v7, 4, v3
	v_and_b32_e32 v8, 0x78, v2
	v_or_b32_e32 v10, 32, v7
	v_lshrrev_b32_e32 v3, 1, v73
	v_xor_b32_e32 v10, v10, v8
	v_xor_b32_e32 v2, v7, v8
	v_and_b32_e32 v9, 8, v3
	v_or_b32_e32 v10, v10, v6
	v_or_b32_e32 v2, v2, v6
	v_xor_b32_e32 v28, v10, v9
	v_or_b32_e32 v10, 64, v7
	v_xor_b32_e32 v27, v2, v9
	v_xor_b32_e32 v10, v10, v8
	s_waitcnt lgkmcnt(0)
	s_barrier
	v_or_b32_e32 v13, v10, v6
	ds_read_b64 v[10:11], v27 offset:49152
	v_lshl_or_b32 v14, v75, 8, v24
	v_lshlrev_b32_e32 v26, 1, v14
	v_add_u32_e32 v12, 0x4000, v26
	ds_read2_b64 v[2:5], v12 offset1:16
	v_or_b32_e32 v7, 0x60, v7
	v_xor_b32_e32 v7, v7, v8
	v_or_b32_e32 v6, v7, v6
	v_xor_b32_e32 v29, v13, v9
	v_xor_b32_e32 v30, v6, v9
	ds_read_b64 v[20:21], v28 offset:49152
	ds_read_b64 v[34:35], v29 offset:49152
	;; [unrolled: 1-line block ×3, first 2 shown]
	s_waitcnt lgkmcnt(3)
	v_mfma_f32_16x16x16_bf16 a[0:3], v[10:11], v[2:3], 0
	ds_read2_b64 v[6:9], v12 offset0:32 offset1:48
	s_lshl_b64 s[0:1], s[38:39], 8
	s_add_u32 s4, s4, s0
	v_mfma_f32_16x16x16_bf16 a[4:7], v[10:11], v[4:5], 0
	ds_read2st64_b64 v[2:5], v26 offset0:36 offset1:40
	s_addc_u32 s5, s5, s1
	s_add_i32 s0, s41, s40
	s_waitcnt lgkmcnt(1)
	v_mfma_f32_16x16x16_bf16 a[8:11], v[10:11], v[6:7], 0
	v_or_b32_e32 v6, 64, v14
	v_lshlrev_b32_e32 v31, 1, v6
	s_add_i32 s2, s35, -1
	s_waitcnt lgkmcnt(0)
	v_mfma_f32_16x16x16_bf16 a[0:3], v[20:21], v[2:3], a[0:3]
	v_or_b32_e32 v2, 0x80, v14
	v_lshlrev_b32_e32 v32, 1, v2
	v_or_b32_e32 v2, 0xc0, v14
	v_mfma_f32_16x16x16_bf16 a[12:15], v[10:11], v[8:9], 0
	ds_read2st64_b64 v[6:9], v31 offset0:36 offset1:40
	v_lshlrev_b32_e32 v33, 1, v2
	ds_read2st64_b64 v[10:13], v32 offset0:36 offset1:40
	ds_read2st64_b64 v[14:17], v33 offset0:36 offset1:40
	s_add_i32 s17, s0, s42
	s_mul_i32 s0, s33, s19
	s_mul_hi_u32 s1, s33, s18
	s_add_i32 s0, s1, s0
	s_mul_i32 s1, s12, s18
	s_ashr_i32 s3, s2, 31
	s_mul_i32 s12, s2, s29
	s_mul_hi_u32 s13, s2, s28
	s_waitcnt lgkmcnt(2)
	v_mfma_f32_16x16x16_bf16 a[4:7], v[20:21], v[6:7], a[4:7]
	s_add_i32 s12, s13, s12
	s_mul_i32 s3, s3, s28
	s_add_i32 s1, s0, s1
	s_waitcnt lgkmcnt(1)
	v_mfma_f32_16x16x16_bf16 a[8:11], v[20:21], v[10:11], a[8:11]
	s_add_i32 s3, s12, s3
	s_lshl_b64 s[12:13], s[16:17], 2
	s_mul_i32 s0, s33, s18
	s_waitcnt lgkmcnt(0)
	v_mfma_f32_16x16x16_bf16 a[12:15], v[20:21], v[14:15], a[12:15]
	s_add_u32 s10, s10, s12
	s_addc_u32 s11, s11, s13
	s_lshl_b64 s[0:1], s[0:1], 2
	v_mfma_f32_16x16x16_bf16 a[0:3], v[34:35], v[4:5], a[0:3]
	s_mul_i32 s2, s2, s28
	ds_read_b64 v[2:3], v26 offset:22528
	s_add_u32 s10, s10, s0
	v_mfma_f32_16x16x16_bf16 a[4:7], v[34:35], v[8:9], a[4:7]
	ds_read_b64 v[4:5], v31 offset:22528
	ds_read_b64 v[6:7], v32 offset:22528
	ds_read_b64 v[8:9], v33 offset:22528
	s_addc_u32 s11, s11, s1
	s_lshl_b64 s[0:1], s[2:3], 2
	v_mfma_f32_16x16x16_bf16 a[8:11], v[34:35], v[12:13], a[8:11]
	s_add_u32 s0, s10, s0
	s_addc_u32 s1, s11, s1
	s_load_dword s12, s[0:1], 0x0
	v_mfma_f32_16x16x16_bf16 a[12:15], v[34:35], v[16:17], a[12:15]
	s_and_b64 vcc, exec, s[26:27]
	s_waitcnt lgkmcnt(0)
	v_mfma_f32_16x16x16_bf16 a[0:3], v[36:37], v[2:3], a[0:3]
	v_mfma_f32_16x16x16_bf16 a[4:7], v[36:37], v[4:5], a[4:7]
	;; [unrolled: 1-line block ×4, first 2 shown]
	s_cbranch_vccz .LBB120_42
; %bb.32:
	v_lshlrev_b32_e32 v20, 1, v25
	s_and_b64 vcc, exec, s[6:7]
	s_cbranch_vccz .LBB120_43
; %bb.33:
	v_cmp_gt_i32_e32 vcc, s45, v20
	v_mov_b32_e32 v6, 0
	v_mov_b32_e32 v2, 0
	;; [unrolled: 1-line block ×5, first 2 shown]
	s_and_saveexec_b64 s[0:1], vcc
	s_cbranch_execz .LBB120_35
; %bb.34:
	v_mad_i64_i32 v[2:3], s[2:3], s15, v20, 0
	v_lshl_add_u64 v[2:3], v[2:3], 1, s[4:5]
	v_lshlrev_b32_e32 v4, 1, v18
	v_mov_b32_e32 v5, 0
	v_lshl_add_u64 v[2:3], v[2:3], 0, v[4:5]
	global_load_dwordx4 v[2:5], v[2:3], off
.LBB120_35:
	s_or_b64 exec, exec, s[0:1]
	v_or_b32_e32 v21, 1, v20
	v_cmp_gt_i32_e64 s[0:1], s45, v21
	v_mov_b32_e32 v7, 0
	v_mov_b32_e32 v8, 0
	v_mov_b32_e32 v9, 0
	s_and_saveexec_b64 s[2:3], s[0:1]
	s_cbranch_execz .LBB120_37
; %bb.36:
	v_mad_i64_i32 v[6:7], s[16:17], s15, v21, 0
	v_lshl_add_u64 v[6:7], v[6:7], 1, s[4:5]
	v_lshlrev_b32_e32 v8, 1, v18
	v_mov_b32_e32 v9, 0
	v_lshl_add_u64 v[6:7], v[6:7], 0, v[8:9]
	global_load_dwordx4 v[6:9], v[6:7], off
.LBB120_37:
	s_or_b64 exec, exec, s[2:3]
	v_mov_b32_e32 v17, 0
	v_mov_b32_e32 v10, 0
	;; [unrolled: 1-line block ×5, first 2 shown]
	s_and_saveexec_b64 s[2:3], vcc
	s_cbranch_execz .LBB120_39
; %bb.38:
	v_mad_i64_i32 v[10:11], s[16:17], s15, v20, 0
	v_lshl_add_u64 v[10:11], v[10:11], 1, s[4:5]
	v_lshlrev_b32_e32 v12, 1, v18
	v_mov_b32_e32 v13, 0
	v_lshl_add_u64 v[10:11], v[10:11], 0, v[12:13]
	global_load_dwordx4 v[10:13], v[10:11], off offset:128
.LBB120_39:
	s_or_b64 exec, exec, s[2:3]
	v_mov_b32_e32 v16, 0
	v_mov_b32_e32 v15, 0
	;; [unrolled: 1-line block ×3, first 2 shown]
	s_and_saveexec_b64 s[2:3], s[0:1]
	s_cbranch_execz .LBB120_41
; %bb.40:
	v_mad_i64_i32 v[14:15], s[0:1], s15, v21, 0
	v_lshl_add_u64 v[14:15], v[14:15], 1, s[4:5]
	v_lshlrev_b32_e32 v16, 1, v18
	v_mov_b32_e32 v17, 0
	v_lshl_add_u64 v[14:15], v[14:15], 0, v[16:17]
	global_load_dwordx4 v[14:17], v[14:15], off offset:128
.LBB120_41:
	s_or_b64 exec, exec, s[2:3]
	s_branch .LBB120_45
.LBB120_42:
                                        ; implicit-def: $vgpr5
                                        ; implicit-def: $vgpr9
                                        ; implicit-def: $vgpr13
                                        ; implicit-def: $vgpr17
	v_lshrrev_b32_e32 v34, 2, v73
	s_branch .LBB120_46
.LBB120_43:
                                        ; implicit-def: $vgpr5
                                        ; implicit-def: $vgpr9
                                        ; implicit-def: $vgpr13
                                        ; implicit-def: $vgpr17
	s_cbranch_execz .LBB120_45
; %bb.44:
	s_waitcnt vmcnt(0)
	v_mad_u64_u32 v[2:3], s[0:1], v20, s15, v[18:19]
	v_lshlrev_b32_e32 v20, 1, v2
	s_lshl_b32 s2, s15, 7
	s_and_b32 s1, s5, 0xffff
	s_mov_b32 s3, 0x20000
	s_mov_b32 s0, s4
	v_add_lshl_u32 v21, v2, s15, 1
	s_movk_i32 s13, 0x80
	buffer_load_dwordx4 v[2:5], v20, s[0:3], 0 offen
	buffer_load_dwordx4 v[10:13], v20, s[0:3], s13 offen
	;; [unrolled: 1-line block ×4, first 2 shown]
.LBB120_45:
	v_lshrrev_b32_e32 v34, 2, v73
	s_cbranch_execnz .LBB120_58
.LBB120_46:
	s_and_b64 vcc, exec, s[6:7]
	s_cbranch_vccz .LBB120_56
; %bb.47:
	s_waitcnt vmcnt(0)
	v_lshlrev_b32_e32 v7, 1, v25
	v_cmp_gt_i32_e32 vcc, s45, v7
	v_mov_b32_e32 v6, 0
	v_lshlrev_b32_e32 v14, 9, v25
	v_mov_b32_e32 v2, 0
	v_mov_b32_e32 v3, 0
	;; [unrolled: 1-line block ×4, first 2 shown]
	s_and_saveexec_b64 s[0:1], vcc
	s_cbranch_execz .LBB120_49
; %bb.48:
	v_mov_b32_e32 v15, 0
	v_lshl_add_u64 v[2:3], s[4:5], 0, v[14:15]
	v_lshlrev_b32_e32 v4, 1, v18
	v_mov_b32_e32 v5, v15
	v_lshl_add_u64 v[2:3], v[2:3], 0, v[4:5]
	global_load_dwordx4 v[2:5], v[2:3], off
.LBB120_49:
	s_or_b64 exec, exec, s[0:1]
	v_or_b32_e32 v7, 1, v7
	v_cmp_gt_i32_e64 s[0:1], s45, v7
	v_lshlrev_b32_e32 v20, 8, v7
	v_mov_b32_e32 v7, 0
	v_mov_b32_e32 v8, 0
	;; [unrolled: 1-line block ×3, first 2 shown]
	s_and_saveexec_b64 s[2:3], s[0:1]
	s_cbranch_execz .LBB120_51
; %bb.50:
	v_mov_b32_e32 v21, 0
	v_lshl_add_u64 v[6:7], s[4:5], 0, v[20:21]
	v_lshlrev_b32_e32 v8, 1, v18
	v_mov_b32_e32 v9, v21
	v_lshl_add_u64 v[6:7], v[6:7], 0, v[8:9]
	global_load_dwordx4 v[6:9], v[6:7], off
.LBB120_51:
	s_or_b64 exec, exec, s[2:3]
	v_mov_b32_e32 v17, 0
	v_mov_b32_e32 v10, 0
	;; [unrolled: 1-line block ×5, first 2 shown]
	s_and_saveexec_b64 s[2:3], vcc
	s_cbranch_execz .LBB120_53
; %bb.52:
	v_mov_b32_e32 v15, 0
	v_lshl_add_u64 v[10:11], s[4:5], 0, v[14:15]
	v_lshlrev_b32_e32 v14, 1, v18
	v_lshl_add_u64 v[10:11], v[10:11], 0, v[14:15]
	global_load_dwordx4 v[10:13], v[10:11], off offset:128
.LBB120_53:
	s_or_b64 exec, exec, s[2:3]
	v_mov_b32_e32 v16, 0
	v_mov_b32_e32 v15, 0
	;; [unrolled: 1-line block ×3, first 2 shown]
	s_and_saveexec_b64 s[2:3], s[0:1]
	s_cbranch_execz .LBB120_55
; %bb.54:
	v_mov_b32_e32 v21, 0
	v_lshl_add_u64 v[14:15], s[4:5], 0, v[20:21]
	v_lshlrev_b32_e32 v20, 1, v18
	v_lshl_add_u64 v[14:15], v[14:15], 0, v[20:21]
	global_load_dwordx4 v[14:17], v[14:15], off offset:128
.LBB120_55:
	s_or_b64 exec, exec, s[2:3]
	s_branch .LBB120_58
.LBB120_56:
                                        ; implicit-def: $vgpr5
                                        ; implicit-def: $vgpr9
                                        ; implicit-def: $vgpr13
                                        ; implicit-def: $vgpr17
	s_cbranch_execz .LBB120_58
; %bb.57:
	s_waitcnt vmcnt(0)
	v_lshlrev_b32_e32 v2, 1, v18
	v_lshl_or_b32 v18, v25, 9, v2
	s_and_b32 s5, s5, 0xffff
	s_mov_b32 s7, 0x20000
	s_movk_i32 s6, 0x4000
	s_movk_i32 s0, 0x80
	buffer_load_dwordx4 v[2:5], v18, s[4:7], 0 offen
	buffer_load_dwordx4 v[6:9], v18, s[4:7], 0 offen offset:256
	buffer_load_dwordx4 v[10:13], v18, s[4:7], s0 offen
	buffer_load_dwordx4 v[14:17], v18, s[4:7], s0 offen offset:256
.LBB120_58:
	ds_read_b64 v[20:21], v27 offset:57344
	v_add_u32_e32 v18, 0x6000, v26
	ds_read2_b64 v[36:39], v18 offset1:16
	ds_read_b64 v[52:53], v28 offset:57344
	ds_read_b64 v[28:29], v29 offset:57344
	;; [unrolled: 1-line block ×3, first 2 shown]
	ds_read2st64_b64 v[40:43], v26 offset0:52 offset1:56
	s_mov_b32 s0, 0x1000504
	s_mov_b32 s1, 0x3020706
	s_waitcnt lgkmcnt(4)
	v_mfma_f32_16x16x16_bf16 a[0:3], v[20:21], v[36:37], a[0:3]
	v_mfma_f32_16x16x16_bf16 a[4:7], v[20:21], v[38:39], a[4:7]
	ds_read2_b64 v[36:39], v18 offset0:32 offset1:48
	v_and_b32_e32 v18, 6, v0
	v_xor_b32_e32 v25, v25, v18
	s_waitcnt lgkmcnt(0)
	v_mfma_f32_16x16x16_bf16 a[8:11], v[20:21], v[36:37], a[8:11]
	v_lshlrev_b32_e32 v25, 2, v25
	v_and_b32_e32 v0, 1, v0
	v_xor_b32_e32 v35, 0x440, v25
	v_mfma_f32_16x16x16_bf16 a[12:15], v[20:21], v[38:39], a[12:15]
	ds_read2st64_b64 v[36:39], v31 offset0:52 offset1:56
	ds_read2st64_b64 v[44:47], v32 offset0:52 offset1:56
	;; [unrolled: 1-line block ×3, first 2 shown]
	v_cmp_eq_u32_e32 vcc, 0, v0
	ds_read_b64 v[20:21], v26 offset:30720
	ds_read_b64 v[26:27], v31 offset:30720
	;; [unrolled: 1-line block ×4, first 2 shown]
	v_mfma_f32_16x16x16_bf16 a[0:3], v[52:53], v[40:41], a[0:3]
	v_cndmask_b32_e32 v0, v35, v25, vcc
	v_lshl_or_b32 v0, v18, 10, v0
	s_waitcnt vmcnt(0)
	v_perm_b32 v18, v2, v6, s0
	s_waitcnt lgkmcnt(6)
	v_mfma_f32_16x16x16_bf16 a[4:7], v[52:53], v[36:37], a[4:7]
	v_perm_b32 v25, v10, v14, s0
	ds_write2st64_b32 v0, v18, v25 offset0:128 offset1:160
	v_xor_b32_e32 v18, 8, v0
	s_waitcnt lgkmcnt(6)
	v_mfma_f32_16x16x16_bf16 a[8:11], v[52:53], v[44:45], a[8:11]
	v_perm_b32 v2, v2, v6, s1
	v_perm_b32 v6, v10, v14, s1
	v_add_u32_e32 v10, 0x80, v18
	s_waitcnt lgkmcnt(5)
	v_mfma_f32_16x16x16_bf16 a[12:15], v[52:53], v[48:49], a[12:15]
	ds_write2st64_b32 v10, v2, v6 offset0:128 offset1:160
	v_xor_b32_e32 v2, 16, v0
	v_perm_b32 v6, v3, v7, s0
	v_mfma_f32_16x16x16_bf16 a[0:3], v[28:29], v[42:43], a[0:3]
	v_perm_b32 v10, v11, v15, s0
	ds_write2st64_b32 v2, v6, v10 offset0:129 offset1:161
	v_xor_b32_e32 v2, 24, v0
	v_mfma_f32_16x16x16_bf16 a[4:7], v[28:29], v[38:39], a[4:7]
	v_perm_b32 v3, v3, v7, s1
	v_perm_b32 v6, v11, v15, s1
	v_add_u32_e32 v2, 0x80, v2
	v_mfma_f32_16x16x16_bf16 a[16:19], v[28:29], v[46:47], a[8:11]
	ds_write2st64_b32 v2, v3, v6 offset0:129 offset1:161
	v_xor_b32_e32 v2, 32, v0
	v_perm_b32 v3, v4, v8, s0
	v_mfma_f32_16x16x16_bf16 a[20:23], v[28:29], v[50:51], a[12:15]
	v_perm_b32 v6, v12, v16, s0
	ds_write2st64_b32 v2, v3, v6 offset0:130 offset1:162
	v_xor_b32_e32 v2, 40, v0
	s_waitcnt lgkmcnt(8)
	v_mfma_f32_16x16x16_bf16 a[12:15], v[54:55], v[20:21], a[0:3]
	v_perm_b32 v3, v4, v8, s1
	v_perm_b32 v4, v12, v16, s1
	v_add_u32_e32 v2, 0x80, v2
	s_waitcnt lgkmcnt(7)
	v_mfma_f32_16x16x16_bf16 a[8:11], v[54:55], v[26:27], a[4:7]
	ds_write2st64_b32 v2, v3, v4 offset0:130 offset1:162
	v_xor_b32_e32 v2, 48, v0
	v_perm_b32 v3, v5, v9, s0
	s_waitcnt lgkmcnt(7)
	v_mfma_f32_16x16x16_bf16 a[4:7], v[54:55], v[30:31], a[16:19]
	v_perm_b32 v4, v13, v17, s0
	v_xor_b32_e32 v0, 56, v0
	v_and_or_b32 v18, v34, 12, v1
	s_waitcnt lgkmcnt(6)
	v_mfma_f32_16x16x16_bf16 a[0:3], v[54:55], v[32:33], a[20:23]
	ds_write2st64_b32 v2, v3, v4 offset0:131 offset1:163
	v_perm_b32 v2, v5, v9, s1
	v_perm_b32 v3, v13, v17, s1
	v_add_u32_e32 v0, 0x80, v0
	v_cmp_gt_i32_e32 vcc, s45, v18
	v_mov_b32_e32 v14, 0
	v_mov_b32_e32 v16, 0
	ds_write2st64_b32 v0, v2, v3 offset0:131 offset1:163
	s_and_saveexec_b64 s[0:1], vcc
	s_cbranch_execz .LBB120_60
; %bb.59:
	v_add_u32_e32 v0, s34, v18
	v_ashrrev_i32_e32 v1, 31, v0
	v_mul_lo_u32 v2, v1, s28
	v_mul_lo_u32 v3, v0, s29
	v_mad_u64_u32 v[0:1], s[2:3], v0, s28, 0
	v_add3_u32 v1, v1, v3, v2
	v_lshl_add_u64 v[0:1], v[0:1], 2, s[10:11]
	global_load_dword v0, v[0:1], off
	s_waitcnt vmcnt(0)
	v_sub_f32_e32 v0, s12, v0
	v_mul_f32_e32 v0, 0x3fb8aa3b, v0
	v_exp_f32_e32 v16, v0
.LBB120_60:
	s_or_b64 exec, exec, s[0:1]
	v_or_b32_e32 v8, 1, v18
	v_cmp_gt_i32_e64 s[0:1], s45, v8
	s_and_saveexec_b64 s[2:3], s[0:1]
	s_cbranch_execz .LBB120_62
; %bb.61:
	v_add_u32_e32 v0, s34, v8
	v_ashrrev_i32_e32 v1, 31, v0
	v_mul_lo_u32 v2, v1, s28
	v_mul_lo_u32 v3, v0, s29
	v_mad_u64_u32 v[0:1], s[4:5], v0, s28, 0
	v_add3_u32 v1, v1, v3, v2
	v_lshl_add_u64 v[0:1], v[0:1], 2, s[10:11]
	global_load_dword v0, v[0:1], off
	s_waitcnt vmcnt(0)
	v_sub_f32_e32 v0, s12, v0
	v_mul_f32_e32 v0, 0x3fb8aa3b, v0
	v_exp_f32_e32 v14, v0
.LBB120_62:
	s_or_b64 exec, exec, s[2:3]
	v_or_b32_e32 v10, 2, v18
	v_cmp_gt_i32_e64 s[2:3], s45, v10
	v_mov_b32_e32 v15, 0
	v_mov_b32_e32 v17, 0
	s_and_saveexec_b64 s[4:5], s[2:3]
	s_cbranch_execz .LBB120_64
; %bb.63:
	v_add_u32_e32 v0, s34, v10
	v_ashrrev_i32_e32 v1, 31, v0
	v_mul_lo_u32 v2, v1, s28
	v_mul_lo_u32 v3, v0, s29
	v_mad_u64_u32 v[0:1], s[6:7], v0, s28, 0
	v_add3_u32 v1, v1, v3, v2
	v_lshl_add_u64 v[0:1], v[0:1], 2, s[10:11]
	global_load_dword v0, v[0:1], off
	s_waitcnt vmcnt(0)
	v_sub_f32_e32 v0, s12, v0
	v_mul_f32_e32 v0, 0x3fb8aa3b, v0
	v_exp_f32_e32 v17, v0
.LBB120_64:
	s_or_b64 exec, exec, s[4:5]
	v_or_b32_e32 v12, 3, v18
	v_cmp_gt_i32_e64 s[4:5], s45, v12
	s_and_saveexec_b64 s[6:7], s[4:5]
	s_cbranch_execz .LBB120_66
; %bb.65:
	v_add_u32_e32 v0, s34, v12
	v_ashrrev_i32_e32 v1, 31, v0
	v_mul_lo_u32 v2, v1, s28
	v_mul_lo_u32 v3, v0, s29
	v_mad_u64_u32 v[0:1], s[14:15], v0, s28, 0
	v_add3_u32 v1, v1, v3, v2
	v_lshl_add_u64 v[0:1], v[0:1], 2, s[10:11]
	global_load_dword v0, v[0:1], off
	s_waitcnt vmcnt(0)
	v_sub_f32_e32 v0, s12, v0
	v_mul_f32_e32 v0, 0x3fb8aa3b, v0
	v_exp_f32_e32 v15, v0
.LBB120_66:
	s_or_b64 exec, exec, s[6:7]
	v_or_b32_e32 v4, s30, v72
	s_add_u32 s6, s8, s24
	v_accvgpr_read_b32 v0, a12
	s_addc_u32 s7, s9, s25
	v_ashrrev_i32_e32 v5, 31, v4
	v_accvgpr_read_b32 v1, a13
	v_accvgpr_read_b32 v2, a14
	;; [unrolled: 1-line block ×3, first 2 shown]
	v_lshl_add_u64 v[4:5], v[4:5], 1, s[6:7]
	v_mov_b32_e32 v9, 0
	v_lshlrev_b32_e32 v6, 8, v18
	v_mov_b32_e32 v7, 0
	s_and_saveexec_b64 s[6:7], vcc
	s_cbranch_execz .LBB120_68
; %bb.67:
	v_mov_b32_e32 v7, 0
	v_lshl_add_u64 v[20:21], v[4:5], 0, v[6:7]
	global_load_ushort v7, v[20:21], off
	s_waitcnt vmcnt(0)
	v_lshlrev_b32_e32 v7, 16, v7
	v_sub_f32_e32 v0, v7, v0
	v_mul_f32_e32 v0, v16, v0
	v_lshrrev_b32_e32 v7, 16, v0
.LBB120_68:
	s_or_b64 exec, exec, s[6:7]
	v_lshlrev_b32_e32 v8, 8, v8
	s_and_saveexec_b64 s[6:7], s[0:1]
	s_cbranch_execz .LBB120_70
; %bb.69:
	v_mov_b32_e32 v9, 0
	v_lshl_add_u64 v[20:21], v[4:5], 0, v[8:9]
	global_load_ushort v0, v[20:21], off
	s_waitcnt vmcnt(0)
	v_lshlrev_b32_e32 v0, 16, v0
	v_sub_f32_e32 v0, v0, v1
	v_mul_f32_e32 v0, v14, v0
	v_lshrrev_b32_e32 v9, 16, v0
.LBB120_70:
	s_or_b64 exec, exec, s[6:7]
	v_mov_b32_e32 v13, 0
	v_lshlrev_b32_e32 v10, 8, v10
	v_mov_b32_e32 v11, 0
	s_and_saveexec_b64 s[6:7], s[2:3]
	s_cbranch_execz .LBB120_72
; %bb.71:
	v_mov_b32_e32 v11, 0
	v_lshl_add_u64 v[0:1], v[4:5], 0, v[10:11]
	global_load_ushort v0, v[0:1], off
	s_waitcnt vmcnt(0)
	v_lshlrev_b32_e32 v0, 16, v0
	v_sub_f32_e32 v0, v0, v2
	v_mul_f32_e32 v0, v17, v0
	v_lshrrev_b32_e32 v11, 16, v0
.LBB120_72:
	s_or_b64 exec, exec, s[6:7]
	v_lshlrev_b32_e32 v12, 8, v12
	s_and_saveexec_b64 s[6:7], s[4:5]
	s_cbranch_execz .LBB120_74
; %bb.73:
	v_mov_b32_e32 v13, 0
	v_lshl_add_u64 v[0:1], v[4:5], 0, v[12:13]
	global_load_ushort v0, v[0:1], off
	s_waitcnt vmcnt(0)
	v_lshlrev_b32_e32 v0, 16, v0
	v_sub_f32_e32 v0, v0, v3
	v_mul_f32_e32 v0, v15, v0
	v_lshrrev_b32_e32 v13, 16, v0
.LBB120_74:
	s_or_b64 exec, exec, s[6:7]
	v_lshlrev_b32_e32 v18, 6, v18
	s_mov_b32 s6, 0x5040100
	v_perm_b32 v20, v9, v7, s6
	v_or_b32_e32 v7, v18, v24
	v_accvgpr_read_b32 v0, a8
	v_perm_b32 v21, v13, v11, s6
	v_lshlrev_b32_e32 v7, 1, v7
	v_accvgpr_read_b32 v1, a9
	v_accvgpr_read_b32 v2, a10
	;; [unrolled: 1-line block ×3, first 2 shown]
	ds_write_b64 v7, v[20:21] offset:24576
	v_mov_b32_e32 v9, 0
	v_mov_b32_e32 v7, 0
	s_and_saveexec_b64 s[6:7], vcc
	s_cbranch_execz .LBB120_76
; %bb.75:
	v_mov_b32_e32 v7, 0
	v_lshl_add_u64 v[20:21], v[4:5], 0, v[6:7]
	global_load_ushort v7, v[20:21], off offset:32
	s_waitcnt vmcnt(0)
	v_lshlrev_b32_e32 v7, 16, v7
	v_sub_f32_e32 v0, v7, v0
	v_mul_f32_e32 v0, v16, v0
	v_lshrrev_b32_e32 v7, 16, v0
.LBB120_76:
	s_or_b64 exec, exec, s[6:7]
	s_and_saveexec_b64 s[6:7], s[0:1]
	s_cbranch_execz .LBB120_78
; %bb.77:
	v_mov_b32_e32 v9, 0
	v_lshl_add_u64 v[20:21], v[4:5], 0, v[8:9]
	global_load_ushort v0, v[20:21], off offset:32
	s_waitcnt vmcnt(0)
	v_lshlrev_b32_e32 v0, 16, v0
	v_sub_f32_e32 v0, v0, v1
	v_mul_f32_e32 v0, v14, v0
	v_lshrrev_b32_e32 v9, 16, v0
.LBB120_78:
	s_or_b64 exec, exec, s[6:7]
	v_mov_b32_e32 v13, 0
	v_mov_b32_e32 v11, 0
	s_and_saveexec_b64 s[6:7], s[2:3]
	s_cbranch_execz .LBB120_80
; %bb.79:
	v_mov_b32_e32 v11, 0
	v_lshl_add_u64 v[0:1], v[4:5], 0, v[10:11]
	global_load_ushort v0, v[0:1], off offset:32
	s_waitcnt vmcnt(0)
	v_lshlrev_b32_e32 v0, 16, v0
	v_sub_f32_e32 v0, v0, v2
	v_mul_f32_e32 v0, v17, v0
	v_lshrrev_b32_e32 v11, 16, v0
.LBB120_80:
	s_or_b64 exec, exec, s[6:7]
	s_and_saveexec_b64 s[6:7], s[4:5]
	s_cbranch_execz .LBB120_82
; %bb.81:
	v_mov_b32_e32 v13, 0
	v_lshl_add_u64 v[0:1], v[4:5], 0, v[12:13]
	global_load_ushort v0, v[0:1], off offset:32
	s_waitcnt vmcnt(0)
	v_lshlrev_b32_e32 v0, 16, v0
	v_sub_f32_e32 v0, v0, v3
	v_mul_f32_e32 v0, v15, v0
	v_lshrrev_b32_e32 v13, 16, v0
.LBB120_82:
	s_or_b64 exec, exec, s[6:7]
	s_mov_b32 s6, 0x5040100
	v_perm_b32 v20, v9, v7, s6
	v_or_b32_e32 v7, v18, v23
	v_accvgpr_read_b32 v0, a4
	v_perm_b32 v21, v13, v11, s6
	v_lshlrev_b32_e32 v7, 1, v7
	v_accvgpr_read_b32 v1, a5
	v_accvgpr_read_b32 v2, a6
	;; [unrolled: 1-line block ×3, first 2 shown]
	ds_write_b64 v7, v[20:21] offset:24576
	v_mov_b32_e32 v9, 0
	v_mov_b32_e32 v7, 0
	s_and_saveexec_b64 s[6:7], vcc
	s_cbranch_execz .LBB120_84
; %bb.83:
	v_mov_b32_e32 v7, 0
	v_lshl_add_u64 v[20:21], v[4:5], 0, v[6:7]
	global_load_ushort v7, v[20:21], off offset:64
	s_waitcnt vmcnt(0)
	v_lshlrev_b32_e32 v7, 16, v7
	v_sub_f32_e32 v0, v7, v0
	v_mul_f32_e32 v0, v16, v0
	v_lshrrev_b32_e32 v7, 16, v0
.LBB120_84:
	s_or_b64 exec, exec, s[6:7]
	s_and_saveexec_b64 s[6:7], s[0:1]
	s_cbranch_execz .LBB120_86
; %bb.85:
	v_mov_b32_e32 v9, 0
	v_lshl_add_u64 v[20:21], v[4:5], 0, v[8:9]
	global_load_ushort v0, v[20:21], off offset:64
	s_waitcnt vmcnt(0)
	v_lshlrev_b32_e32 v0, 16, v0
	v_sub_f32_e32 v0, v0, v1
	v_mul_f32_e32 v0, v14, v0
	v_lshrrev_b32_e32 v9, 16, v0
.LBB120_86:
	s_or_b64 exec, exec, s[6:7]
	v_mov_b32_e32 v13, 0
	v_mov_b32_e32 v11, 0
	s_and_saveexec_b64 s[6:7], s[2:3]
	s_cbranch_execz .LBB120_88
; %bb.87:
	v_mov_b32_e32 v11, 0
	v_lshl_add_u64 v[0:1], v[4:5], 0, v[10:11]
	global_load_ushort v0, v[0:1], off offset:64
	s_waitcnt vmcnt(0)
	v_lshlrev_b32_e32 v0, 16, v0
	v_sub_f32_e32 v0, v0, v2
	v_mul_f32_e32 v0, v17, v0
	v_lshrrev_b32_e32 v11, 16, v0
.LBB120_88:
	s_or_b64 exec, exec, s[6:7]
	s_and_saveexec_b64 s[6:7], s[4:5]
	s_cbranch_execz .LBB120_90
; %bb.89:
	v_mov_b32_e32 v13, 0
	v_lshl_add_u64 v[0:1], v[4:5], 0, v[12:13]
	global_load_ushort v0, v[0:1], off offset:64
	s_waitcnt vmcnt(0)
	v_lshlrev_b32_e32 v0, 16, v0
	v_sub_f32_e32 v0, v0, v3
	v_mul_f32_e32 v0, v15, v0
	v_lshrrev_b32_e32 v13, 16, v0
.LBB120_90:
	s_or_b64 exec, exec, s[6:7]
	s_mov_b32 s6, 0x5040100
	v_perm_b32 v20, v9, v7, s6
	v_or_b32_e32 v7, v18, v22
	v_accvgpr_read_b32 v0, a0
	v_perm_b32 v21, v13, v11, s6
	v_lshlrev_b32_e32 v7, 1, v7
	v_accvgpr_read_b32 v1, a1
	v_accvgpr_read_b32 v2, a2
	;; [unrolled: 1-line block ×3, first 2 shown]
	ds_write_b64 v7, v[20:21] offset:24576
	v_mov_b32_e32 v9, 0
	v_mov_b32_e32 v7, 0
	s_and_saveexec_b64 s[6:7], vcc
	s_cbranch_execz .LBB120_92
; %bb.91:
	v_mov_b32_e32 v7, 0
	v_lshl_add_u64 v[6:7], v[4:5], 0, v[6:7]
	global_load_ushort v6, v[6:7], off offset:96
	s_waitcnt vmcnt(0)
	v_lshlrev_b32_e32 v6, 16, v6
	v_sub_f32_e32 v0, v6, v0
	v_mul_f32_e32 v0, v16, v0
	v_lshrrev_b32_e32 v7, 16, v0
.LBB120_92:
	s_or_b64 exec, exec, s[6:7]
	s_and_saveexec_b64 s[6:7], s[0:1]
	s_cbranch_execz .LBB120_94
; %bb.93:
	v_mov_b32_e32 v9, 0
	v_lshl_add_u64 v[8:9], v[4:5], 0, v[8:9]
	global_load_ushort v0, v[8:9], off offset:96
	s_waitcnt vmcnt(0)
	v_lshlrev_b32_e32 v0, 16, v0
	v_sub_f32_e32 v0, v0, v1
	v_mul_f32_e32 v0, v14, v0
	v_lshrrev_b32_e32 v9, 16, v0
.LBB120_94:
	s_or_b64 exec, exec, s[6:7]
	v_mov_b32_e32 v0, 0
	v_mov_b32_e32 v1, 0
	s_and_saveexec_b64 s[0:1], s[2:3]
	s_cbranch_execz .LBB120_96
; %bb.95:
	v_mov_b32_e32 v11, 0
	v_lshl_add_u64 v[10:11], v[4:5], 0, v[10:11]
	global_load_ushort v1, v[10:11], off offset:96
	s_waitcnt vmcnt(0)
	v_lshlrev_b32_e32 v1, 16, v1
	v_sub_f32_e32 v1, v1, v2
	v_mul_f32_e32 v1, v17, v1
	v_lshrrev_b32_e32 v1, 16, v1
.LBB120_96:
	s_or_b64 exec, exec, s[0:1]
	s_and_saveexec_b64 s[0:1], s[4:5]
	s_cbranch_execz .LBB120_98
; %bb.97:
	v_mov_b32_e32 v13, 0
	v_lshl_add_u64 v[4:5], v[4:5], 0, v[12:13]
	global_load_ushort v0, v[4:5], off offset:96
	s_waitcnt vmcnt(0)
	v_lshlrev_b32_e32 v0, 16, v0
	v_sub_f32_e32 v0, v0, v3
	v_mul_f32_e32 v0, v15, v0
	v_lshrrev_b32_e32 v0, 16, v0
.LBB120_98:
	s_or_b64 exec, exec, s[0:1]
	s_mov_b32 s0, 0x5040100
	v_or_b32_e32 v2, v18, v19
	v_perm_b32 v1, v0, v1, s0
	v_perm_b32 v0, v9, v7, s0
	v_lshlrev_b32_e32 v2, 1, v2
	ds_write_b64 v2, v[0:1] offset:24576
	s_waitcnt lgkmcnt(0)
	s_barrier
.LBB120_99:
	s_endpgm
	.section	.rodata,"a",@progbits
	.p2align	6, 0x0
	.amdhsa_kernel _ZN12_GLOBAL__N_139chunk_gated_delta_rule_fwd_h_hip_kernelILi64ELb0ELb0ELb0ELb1ELb0ELb0ELb0ELb1EEEvPK12hip_bfloat16S3_S3_PKfS5_PKvPS1_S8_PvPKiSB_iiiiilll
		.amdhsa_group_segment_fixed_size 65536
		.amdhsa_private_segment_fixed_size 0
		.amdhsa_kernarg_size 136
		.amdhsa_user_sgpr_count 2
		.amdhsa_user_sgpr_dispatch_ptr 0
		.amdhsa_user_sgpr_queue_ptr 0
		.amdhsa_user_sgpr_kernarg_segment_ptr 1
		.amdhsa_user_sgpr_dispatch_id 0
		.amdhsa_user_sgpr_kernarg_preload_length 0
		.amdhsa_user_sgpr_kernarg_preload_offset 0
		.amdhsa_user_sgpr_private_segment_size 0
		.amdhsa_uses_dynamic_stack 0
		.amdhsa_enable_private_segment 0
		.amdhsa_system_sgpr_workgroup_id_x 1
		.amdhsa_system_sgpr_workgroup_id_y 1
		.amdhsa_system_sgpr_workgroup_id_z 0
		.amdhsa_system_sgpr_workgroup_info 0
		.amdhsa_system_vgpr_workitem_id 0
		.amdhsa_next_free_vgpr 216
		.amdhsa_next_free_sgpr 60
		.amdhsa_accum_offset 180
		.amdhsa_reserve_vcc 1
		.amdhsa_float_round_mode_32 0
		.amdhsa_float_round_mode_16_64 0
		.amdhsa_float_denorm_mode_32 3
		.amdhsa_float_denorm_mode_16_64 3
		.amdhsa_dx10_clamp 1
		.amdhsa_ieee_mode 1
		.amdhsa_fp16_overflow 0
		.amdhsa_tg_split 0
		.amdhsa_exception_fp_ieee_invalid_op 0
		.amdhsa_exception_fp_denorm_src 0
		.amdhsa_exception_fp_ieee_div_zero 0
		.amdhsa_exception_fp_ieee_overflow 0
		.amdhsa_exception_fp_ieee_underflow 0
		.amdhsa_exception_fp_ieee_inexact 0
		.amdhsa_exception_int_div_zero 0
	.end_amdhsa_kernel
	.section	.text._ZN12_GLOBAL__N_139chunk_gated_delta_rule_fwd_h_hip_kernelILi64ELb0ELb0ELb0ELb1ELb0ELb0ELb0ELb1EEEvPK12hip_bfloat16S3_S3_PKfS5_PKvPS1_S8_PvPKiSB_iiiiilll,"axG",@progbits,_ZN12_GLOBAL__N_139chunk_gated_delta_rule_fwd_h_hip_kernelILi64ELb0ELb0ELb0ELb1ELb0ELb0ELb0ELb1EEEvPK12hip_bfloat16S3_S3_PKfS5_PKvPS1_S8_PvPKiSB_iiiiilll,comdat
.Lfunc_end120:
	.size	_ZN12_GLOBAL__N_139chunk_gated_delta_rule_fwd_h_hip_kernelILi64ELb0ELb0ELb0ELb1ELb0ELb0ELb0ELb1EEEvPK12hip_bfloat16S3_S3_PKfS5_PKvPS1_S8_PvPKiSB_iiiiilll, .Lfunc_end120-_ZN12_GLOBAL__N_139chunk_gated_delta_rule_fwd_h_hip_kernelILi64ELb0ELb0ELb0ELb1ELb0ELb0ELb0ELb1EEEvPK12hip_bfloat16S3_S3_PKfS5_PKvPS1_S8_PvPKiSB_iiiiilll
                                        ; -- End function
	.section	.AMDGPU.csdata,"",@progbits
; Kernel info:
; codeLenInByte = 10744
; NumSgprs: 66
; NumVgprs: 178
; NumAgprs: 36
; TotalNumVgprs: 216
; ScratchSize: 0
; MemoryBound: 0
; FloatMode: 240
; IeeeMode: 1
; LDSByteSize: 65536 bytes/workgroup (compile time only)
; SGPRBlocks: 8
; VGPRBlocks: 26
; NumSGPRsForWavesPerEU: 66
; NumVGPRsForWavesPerEU: 216
; AccumOffset: 180
; Occupancy: 1
; WaveLimiterHint : 1
; COMPUTE_PGM_RSRC2:SCRATCH_EN: 0
; COMPUTE_PGM_RSRC2:USER_SGPR: 2
; COMPUTE_PGM_RSRC2:TRAP_HANDLER: 0
; COMPUTE_PGM_RSRC2:TGID_X_EN: 1
; COMPUTE_PGM_RSRC2:TGID_Y_EN: 1
; COMPUTE_PGM_RSRC2:TGID_Z_EN: 0
; COMPUTE_PGM_RSRC2:TIDIG_COMP_CNT: 0
; COMPUTE_PGM_RSRC3_GFX90A:ACCUM_OFFSET: 44
; COMPUTE_PGM_RSRC3_GFX90A:TG_SPLIT: 0
	.section	.text._ZN12_GLOBAL__N_139chunk_gated_delta_rule_fwd_h_hip_kernelILi64ELb1ELb1ELb1ELb0ELb0ELb0ELb0ELb1EEEvPK12hip_bfloat16S3_S3_PKfS5_PKvPS1_S8_PvPKiSB_iiiiilll,"axG",@progbits,_ZN12_GLOBAL__N_139chunk_gated_delta_rule_fwd_h_hip_kernelILi64ELb1ELb1ELb1ELb0ELb0ELb0ELb0ELb1EEEvPK12hip_bfloat16S3_S3_PKfS5_PKvPS1_S8_PvPKiSB_iiiiilll,comdat
	.globl	_ZN12_GLOBAL__N_139chunk_gated_delta_rule_fwd_h_hip_kernelILi64ELb1ELb1ELb1ELb0ELb0ELb0ELb0ELb1EEEvPK12hip_bfloat16S3_S3_PKfS5_PKvPS1_S8_PvPKiSB_iiiiilll ; -- Begin function _ZN12_GLOBAL__N_139chunk_gated_delta_rule_fwd_h_hip_kernelILi64ELb1ELb1ELb1ELb0ELb0ELb0ELb0ELb1EEEvPK12hip_bfloat16S3_S3_PKfS5_PKvPS1_S8_PvPKiSB_iiiiilll
	.p2align	8
	.type	_ZN12_GLOBAL__N_139chunk_gated_delta_rule_fwd_h_hip_kernelILi64ELb1ELb1ELb1ELb0ELb0ELb0ELb0ELb1EEEvPK12hip_bfloat16S3_S3_PKfS5_PKvPS1_S8_PvPKiSB_iiiiilll,@function
_ZN12_GLOBAL__N_139chunk_gated_delta_rule_fwd_h_hip_kernelILi64ELb1ELb1ELb1ELb0ELb0ELb0ELb0ELb1EEEvPK12hip_bfloat16S3_S3_PKfS5_PKvPS1_S8_PvPKiSB_iiiiilll: ; @_ZN12_GLOBAL__N_139chunk_gated_delta_rule_fwd_h_hip_kernelILi64ELb1ELb1ELb1ELb0ELb0ELb0ELb0ELb1EEEvPK12hip_bfloat16S3_S3_PKfS5_PKvPS1_S8_PvPKiSB_iiiiilll
; %bb.0:
	s_load_dwordx4 s[20:23], s[0:1], 0x5c
	s_load_dwordx4 s[24:27], s[0:1], 0x70
	s_abs_i32 s6, s3
	s_ashr_i32 s5, s3, 31
	v_and_b32_e32 v88, 15, v0
	s_waitcnt lgkmcnt(0)
	s_abs_i32 s4, s21
	v_cvt_f32_u32_e32 v1, s4
	s_sub_i32 s8, 0, s4
	s_ashr_i32 s7, s21, 31
	s_xor_b32 s5, s5, s7
	v_rcp_iflag_f32_e32 v1, v1
	v_bfe_u32 v87, v0, 4, 2
	v_mov_b32_e32 v35, 0
	v_lshlrev_b32_e32 v89, 3, v0
	v_mul_f32_e32 v1, 0x4f7ffffe, v1
	v_cvt_u32_f32_e32 v1, v1
	s_nop 0
	v_readfirstlane_b32 s9, v1
	s_mul_i32 s8, s8, s9
	s_mul_hi_u32 s8, s9, s8
	s_add_i32 s9, s9, s8
	s_mul_hi_u32 s8, s6, s9
	s_mul_i32 s9, s8, s4
	s_sub_i32 s6, s6, s9
	s_add_i32 s10, s8, 1
	s_sub_i32 s9, s6, s4
	s_cmp_ge_u32 s6, s4
	s_cselect_b32 s8, s10, s8
	s_cselect_b32 s6, s9, s6
	s_add_i32 s9, s8, 1
	s_cmp_ge_u32 s6, s4
	s_cselect_b32 s6, s9, s8
	s_xor_b32 s6, s6, s5
	s_add_i32 s8, s20, 63
	s_sub_i32 s55, s6, s5
	s_ashr_i32 s9, s8, 31
	s_mul_i32 s12, s55, s21
	s_sub_i32 s52, s3, s12
	s_lshr_b32 s3, s9, 26
	s_add_i32 s8, s8, s3
	s_abs_i32 s3, s22
	v_cvt_f32_u32_e32 v1, s3
	s_ashr_i32 s54, s20, 31
	s_lshr_b32 s5, s54, 26
	s_add_i32 s5, s20, s5
	v_rcp_iflag_f32_e32 v1, v1
	s_ashr_i32 s57, s22, 31
	s_ashr_i32 s56, s5, 6
	s_xor_b32 s5, s7, s57
	v_mul_f32_e32 v1, 0x4f7ffffe, v1
	v_cvt_u32_f32_e32 v1, v1
	s_sub_i32 s6, 0, s3
	s_ashr_i32 s28, s8, 6
	s_lshl_b32 s2, s2, 6
	v_readfirstlane_b32 s7, v1
	s_mul_i32 s6, s6, s7
	s_mul_hi_u32 s6, s7, s6
	s_add_i32 s7, s7, s6
	s_mul_hi_u32 s6, s4, s7
	s_mul_i32 s7, s6, s3
	s_sub_i32 s4, s4, s7
	s_add_i32 s7, s6, 1
	s_sub_i32 s8, s4, s3
	s_cmp_ge_u32 s4, s3
	s_cselect_b32 s6, s7, s6
	s_cselect_b32 s4, s8, s4
	s_add_i32 s7, s6, 1
	s_cmp_ge_u32 s4, s3
	s_cselect_b32 s3, s7, s6
	s_xor_b32 s3, s3, s5
	s_sub_i32 s3, s3, s5
	s_abs_i32 s13, s3
	v_cvt_f32_u32_e32 v1, s13
	s_sub_i32 s15, 0, s13
	s_abs_i32 s14, s52
	s_xor_b32 s3, s52, s3
	v_rcp_iflag_f32_e32 v2, v1
	s_ashr_i32 s3, s3, 31
	s_load_dwordx8 s[4:11], s[0:1], 0x28
	v_or_b32_e32 v76, s2, v88
	v_mul_f32_e32 v2, 0x4f7ffffe, v2
	v_cvt_u32_f32_e32 v2, v2
	v_lshrrev_b32_e32 v1, 6, v0
	v_lshlrev_b32_e32 v36, 7, v76
	v_lshlrev_b32_e32 v86, 4, v1
	v_readfirstlane_b32 s16, v2
	s_mul_i32 s15, s15, s16
	s_mul_hi_u32 s15, s16, s15
	s_add_i32 s16, s16, s15
	s_mul_hi_u32 s15, s14, s16
	s_mul_i32 s16, s15, s13
	s_sub_i32 s14, s14, s16
	s_add_i32 s16, s15, 1
	s_sub_i32 s17, s14, s13
	s_cmp_ge_u32 s14, s13
	s_cselect_b32 s15, s16, s15
	s_cselect_b32 s14, s17, s14
	s_add_i32 s16, s15, 1
	s_cmp_ge_u32 s14, s13
	s_cselect_b32 s13, s16, s15
	s_xor_b32 s13, s13, s3
	s_sub_i32 s58, s13, s3
	s_ashr_i32 s3, s55, 31
	s_ashr_i32 s53, s52, 31
	s_mul_hi_i32 s13, s55, s21
	s_add_u32 s42, s12, s52
	s_addc_u32 s43, s13, s53
	s_lshl_b64 s[34:35], s[42:43], 15
	s_waitcnt lgkmcnt(0)
	s_add_u32 s4, s4, s34
	v_or_b32_e32 v38, 0x800, v36
	v_lshl_or_b32 v91, v87, 2, v86
	s_addc_u32 s5, s5, s35
	v_ashrrev_i32_e32 v37, 31, v36
	v_ashrrev_i32_e32 v39, 31, v38
	v_lshl_add_u64 v[2:3], v[36:37], 1, s[4:5]
	v_lshlrev_b32_e32 v34, 1, v91
	v_lshl_add_u64 v[6:7], v[38:39], 1, s[4:5]
	v_or_b32_e32 v40, 0x1000, v36
	v_or_b32_e32 v42, 0x1800, v36
	v_lshl_add_u64 v[2:3], v[2:3], 0, v[34:35]
	v_lshl_add_u64 v[6:7], v[6:7], 0, v[34:35]
	v_ashrrev_i32_e32 v41, 31, v40
	v_ashrrev_i32_e32 v43, 31, v42
	global_load_dwordx2 v[4:5], v[2:3], off
	v_lshl_add_u64 v[14:15], v[42:43], 1, s[4:5]
	global_load_dwordx2 v[2:3], v[2:3], off offset:128
	s_nop 0
	global_load_dwordx2 v[8:9], v[6:7], off
	global_load_dwordx2 v[10:11], v[6:7], off offset:128
	v_lshl_add_u64 v[6:7], v[40:41], 1, s[4:5]
	v_lshl_add_u64 v[6:7], v[6:7], 0, v[34:35]
	;; [unrolled: 1-line block ×3, first 2 shown]
	global_load_dwordx2 v[12:13], v[6:7], off
	v_and_b32_e32 v35, 63, v0
	global_load_dwordx2 v[6:7], v[6:7], off offset:128
	s_nop 0
	global_load_dwordx2 v[16:17], v[14:15], off
	global_load_dwordx2 v[18:19], v[14:15], off offset:128
	s_load_dwordx8 s[12:19], s[0:1], 0x0
	s_load_dwordx2 s[36:37], s[0:1], 0x80
	v_lshrrev_b32_e32 v90, 3, v35
	v_or_b32_e32 v92, 64, v91
	s_mul_i32 s59, s55, s28
	s_cmp_lt_i32 s20, 64
	s_mul_i32 s60, s43, s20
	s_mul_hi_u32 s61, s42, s20
	s_mul_i32 s4, s42, s20
	s_mul_i32 s33, s55, s25
	s_mul_hi_u32 s48, s55, s24
	s_mul_i32 s43, s3, s24
	s_mul_i32 s40, s55, s24
	;; [unrolled: 1-line block ×3, first 2 shown]
	s_mul_hi_u32 s50, s52, s26
	s_mul_i32 s51, s53, s26
	s_mul_i32 s38, s52, s26
	s_waitcnt vmcnt(7)
	v_and_b32_e32 v71, 0xffff0000, v4
	v_lshlrev_b32_e32 v70, 16, v4
	v_and_b32_e32 v75, 0xffff0000, v5
	v_lshlrev_b32_e32 v74, 16, v5
	s_waitcnt vmcnt(6)
	v_and_b32_e32 v69, 0xffff0000, v2
	v_lshlrev_b32_e32 v68, 16, v2
	v_and_b32_e32 v73, 0xffff0000, v3
	v_lshlrev_b32_e32 v72, 16, v3
	;; [unrolled: 5-line block ×8, first 2 shown]
	s_cbranch_scc1 .LBB121_18
; %bb.1:
	s_add_i32 s5, s61, s60
	s_lshl_b64 s[0:1], s[4:5], 8
	v_and_b32_e32 v94, 56, v89
	s_waitcnt lgkmcnt(0)
	s_add_u32 s24, s14, s0
	v_lshl_or_b32 v93, v1, 3, v90
	v_lshlrev_b32_e32 v2, 1, v94
	s_addc_u32 s0, s15, s1
	v_lshl_or_b32 v95, v93, 8, v2
	s_and_b32 s25, s0, 0xffff
	s_mov_b32 s27, 0x20000
	s_movk_i32 s26, 0x4000
	s_movk_i32 s0, 0x80
	v_or_b32_e32 v96, 0x2000, v95
	buffer_load_dwordx4 v[4:7], v95, s[24:27], 0 offen
	buffer_load_dwordx4 v[8:11], v95, s[24:27], s0 offen
	;; [unrolled: 1-line block ×4, first 2 shown]
	v_lshlrev_b32_e32 v3, 3, v93
	v_and_or_b32 v21, v0, 7, v3
	v_and_b32_e32 v3, 0x78, v3
	v_lshlrev_b32_e32 v21, 4, v21
	v_xor_b32_e32 v97, v21, v3
	v_mul_lo_u32 v20, v93, s23
	v_or_b32_e32 v98, 0x1000, v97
	v_xor_b32_e32 v3, 8, v97
	s_cmpk_eq_i32 s23, 0x80
	s_mov_b32 s62, s22
	v_xor_b32_e32 v21, 8, v98
	s_cselect_b64 s[0:1], -1, 0
	s_cmpk_lg_i32 s23, 0x80
	s_waitcnt vmcnt(3)
	ds_write_b64 v97, v[4:5] offset:49152
	ds_write_b64 v3, v[6:7] offset:49152
	s_waitcnt vmcnt(2)
	ds_write_b64 v97, v[8:9] offset:57344
	ds_write_b64 v3, v[10:11] offset:57344
	;; [unrolled: 3-line block ×4, first 2 shown]
	v_lshl_add_u32 v3, v20, 1, v94
	s_cbranch_scc0 .LBB121_3
; %bb.2:
	v_lshlrev_b32_e32 v5, 1, v3
	v_add_lshl_u32 v4, v3, s23, 1
	s_lshl_b32 s26, s23, 7
	v_lshl_or_b32 v2, v93, 9, v2
	s_cbranch_execz .LBB121_4
	s_branch .LBB121_5
.LBB121_3:
                                        ; implicit-def: $vgpr4
                                        ; implicit-def: $vgpr5
                                        ; implicit-def: $sgpr26
	v_lshl_or_b32 v2, v93, 9, v2
.LBB121_4:
	v_or_b32_e32 v4, 0x100, v2
	s_movk_i32 s26, 0x4000
	v_mov_b32_e32 v5, v2
.LBB121_5:
	s_mul_hi_u32 s24, s22, s20
	s_mul_i32 s25, s57, s20
	s_add_i32 s24, s24, s25
	s_mul_i32 s25, s22, s20
	s_mul_i32 s27, s25, s3
	s_mul_hi_u32 s28, s25, s55
	s_add_i32 s27, s28, s27
	s_mul_i32 s24, s24, s55
	s_add_i32 s27, s27, s24
	s_mul_i32 s25, s25, s55
	s_ashr_i32 s63, s58, 31
	s_add_u32 s24, s25, s58
	s_addc_u32 s25, s27, s63
	s_lshl_b64 s[24:25], s[24:25], 8
	s_add_u32 s24, s12, s24
	s_addc_u32 s25, s13, s25
	s_and_b32 s25, s25, 0xffff
	s_mov_b32 s27, 0x20000
	s_movk_i32 s64, 0x80
	buffer_load_dwordx4 v[6:9], v5, s[24:27], 0 offen
	buffer_load_dwordx4 v[10:13], v5, s[24:27], s64 offen
	;; [unrolled: 1-line block ×4, first 2 shown]
	v_and_b32_e32 v5, 6, v0
	v_lshlrev_b32_e32 v4, 7, v91
	v_xor_b32_e32 v26, v93, v5
	v_and_b32_e32 v22, 1, v0
	v_lshl_or_b32 v29, v88, 3, v4
	v_lshlrev_b32_e32 v26, 2, v26
	v_or_b32_e32 v99, 0x4000, v29
	v_or_b32_e32 v100, 0x6000, v29
	v_xor_b32_e32 v29, 0x440, v26
	v_cmp_eq_u32_e32 vcc, 0, v22
	v_lshlrev_b32_e32 v23, 2, v88
	s_mov_b32 s66, 0x1000504
	v_cndmask_b32_e32 v22, v29, v26, vcc
	v_xor_b32_e32 v27, v91, v23
	v_xor_b32_e32 v28, v92, v23
	v_lshl_or_b32 v5, v5, 10, v22
	s_mov_b32 s67, 0x3020706
	v_lshlrev_b32_e32 v24, 8, v88
	v_or_b32_e32 v25, 16, v88
	v_lshlrev_b32_e32 v27, 1, v27
	v_lshlrev_b32_e32 v28, 1, v28
	v_xor_b32_e32 v22, 8, v5
	v_xor_b32_e32 v26, 24, v5
	;; [unrolled: 1-line block ×4, first 2 shown]
	s_mul_i32 s3, s3, s20
	s_mul_hi_u32 s24, s55, s20
	v_or_b32_e32 v102, v24, v27
	v_or_b32_e32 v103, v24, v28
	v_xor_b32_e32 v24, 16, v5
	v_xor_b32_e32 v29, 32, v5
	;; [unrolled: 1-line block ×3, first 2 shown]
	v_add_u32_e32 v22, 0x80, v22
	v_add_u32_e32 v26, 0x80, v26
	;; [unrolled: 1-line block ×4, first 2 shown]
	s_add_i32 s69, s24, s3
	s_add_i32 s3, s48, s33
	;; [unrolled: 1-line block ×5, first 2 shown]
	s_lshl_b64 s[24:25], s[40:41], 2
	s_add_u32 s3, s18, s24
	s_addc_u32 s28, s19, s25
	s_lshl_b64 s[24:25], s[38:39], 2
	s_add_u32 s44, s3, s24
	s_movk_i32 s3, 0xf8
	s_addc_u32 s45, s28, s25
	s_lshl_b32 s30, s23, 7
	s_movk_i32 s28, 0x100
	v_mov_b32_e32 v79, 0
	v_cmp_gt_u32_e32 vcc, s28, v0
	v_lshl_or_b32 v30, v25, 3, v4
	s_mov_b32 s65, 0
	s_mul_i32 s68, s55, s20
	v_or_b32_e32 v101, 0x4000, v30
	s_movk_i32 s26, 0x4000
	v_or_b32_e32 v104, 0x6000, v30
	s_movk_i32 s39, 0x2000
	s_movk_i32 s41, 0x3000
	v_mov_b32_e32 v142, 0x3fb8aa3b
	s_mov_b32 s71, 0
	s_waitcnt vmcnt(1)
	v_perm_b32 v77, v6, v14, s66
	s_waitcnt vmcnt(0)
	v_perm_b32 v78, v10, v18, s66
	v_perm_b32 v6, v6, v14, s67
	;; [unrolled: 1-line block ×15, first 2 shown]
	ds_write2st64_b32 v5, v77, v78 offset0:128 offset1:160
	ds_write2st64_b32 v22, v6, v10 offset0:128 offset1:160
	;; [unrolled: 1-line block ×8, first 2 shown]
	v_lshlrev_b32_e32 v5, 8, v25
	v_or_b32_e32 v105, v5, v27
	v_or_b32_e32 v106, v5, v28
	;; [unrolled: 1-line block ×3, first 2 shown]
	v_lshl_or_b32 v6, v5, 3, v4
	v_lshlrev_b32_e32 v5, 8, v5
	v_or_b32_e32 v109, v5, v27
	v_or_b32_e32 v110, v5, v28
	;; [unrolled: 1-line block ×5, first 2 shown]
	v_lshl_or_b32 v6, v5, 3, v4
	v_lshlrev_b32_e32 v5, 8, v5
	v_or_b32_e32 v113, v5, v27
	v_or_b32_e32 v114, v5, v28
	;; [unrolled: 1-line block ×3, first 2 shown]
	v_lshlrev_b32_e32 v5, 3, v5
	v_lshrrev_b32_e32 v7, 5, v35
	v_and_or_b32 v7, v5, s3, v7
	v_lshlrev_b32_e32 v7, 4, v7
	v_lshlrev_b32_e32 v8, 11, v1
	v_and_b32_e32 v5, 0x78, v5
	v_or_b32_e32 v13, 32, v7
	v_or_b32_e32 v111, 0x4000, v6
	;; [unrolled: 1-line block ×3, first 2 shown]
	v_and_b32_e32 v6, 0x1000, v8
	v_xor_b32_e32 v9, v7, v5
	v_lshrrev_b32_e32 v10, 1, v0
	v_xor_b32_e32 v13, v13, v5
	v_or_b32_e32 v9, v9, v6
	v_and_b32_e32 v11, 8, v10
	v_or_b32_e32 v13, v13, v6
	v_xor_b32_e32 v115, v9, v11
	v_lshlrev_b32_e32 v9, 8, v87
	v_xor_b32_e32 v117, v13, v11
	v_or_b32_e32 v13, 64, v7
	v_or_b32_e32 v7, 0x60, v7
	s_ashr_i32 s3, s2, 31
	v_or_b32_e32 v12, v9, v23
	v_xor_b32_e32 v13, v13, v5
	v_xor_b32_e32 v5, v7, v5
	s_lshl_b64 s[24:25], s[2:3], 8
	v_lshlrev_b32_e32 v12, 1, v12
	v_or_b32_e32 v13, v13, v6
	v_or_b32_e32 v5, v5, v6
	s_add_u32 s24, s6, s24
	v_lshlrev_b32_e32 v6, 1, v88
	v_or_b32_e32 v116, 0x4000, v12
	v_or_b32_e32 v118, 0x4080, v12
	;; [unrolled: 1-line block ×8, first 2 shown]
	v_lshrrev_b32_e32 v12, 4, v0
	s_addc_u32 s25, s7, s25
	v_or_b32_e32 v7, 1, v6
	v_lshlrev_b32_e32 v78, 4, v88
	v_mov_b32_e32 v16, 0xa000
	v_mov_b32_e32 v17, 0x8000
	v_xor_b32_e32 v121, v13, v11
	v_xor_b32_e32 v13, v12, v6
	;; [unrolled: 1-line block ×3, first 2 shown]
	v_lshl_add_u64 v[6:7], s[24:25], 0, v[78:79]
	v_lshlrev_b32_e32 v78, 8, v12
	v_cndmask_b32_e32 v16, v16, v17, vcc
	v_lshlrev_b32_e32 v17, 3, v1
	v_and_b32_e32 v10, 24, v10
	v_lshl_or_b32 v127, v13, 3, v78
	v_and_b32_e32 v13, 8, v0
	v_xor_b32_e32 v18, v17, v10
	v_or_b32_e32 v19, 0x440, v18
	v_cmp_eq_u32_e32 vcc, 0, v13
	v_and_b32_e32 v12, 7, v0
	v_lshl_or_b32 v128, v14, 3, v78
	v_cndmask_b32_e32 v13, v19, v18, vcc
	v_lshlrev_b32_e32 v14, 3, v12
	v_lshlrev_b32_e32 v12, 7, v12
	v_or_b32_e32 v13, v13, v8
	v_lshlrev_b32_e32 v15, 2, v0
	v_xad_u32 v129, v13, v14, v12
	v_or_b32_e32 v13, 32, v10
	v_and_or_b32 v9, v15, 60, v9
	v_xor_b32_e32 v13, v17, v13
	v_lshlrev_b32_e32 v9, 1, v9
	v_or_b32_e32 v15, 0x440, v13
	v_or_b32_e32 v130, 0x6000, v9
	v_cndmask_b32_e32 v13, v15, v13, vcc
	v_or_b32_e32 v132, 0x6080, v9
	v_or_b32_e32 v133, 0x6100, v9
	;; [unrolled: 1-line block ×5, first 2 shown]
	v_xor_b32_e32 v9, v17, v9
	v_xad_u32 v131, v13, v14, v12
	v_xor_b32_e32 v13, 0x440, v9
	v_cndmask_b32_e32 v9, v13, v9, vcc
	v_or_b32_e32 v9, v9, v8
	v_xad_u32 v135, v9, v14, v12
	v_or_b32_e32 v9, 0x60, v10
	v_xor_b32_e32 v9, v17, v9
	v_xor_b32_e32 v10, 0x440, v9
	v_cndmask_b32_e32 v9, v10, v9, vcc
	v_xor_b32_e32 v122, v5, v11
	v_ashrrev_i32_e32 v77, 31, v76
	v_lshlrev_b32_e32 v5, 1, v3
	v_add_lshl_u32 v3, v3, s23, 1
	v_or_b32_e32 v11, 0x100, v2
	v_or_b32_e32 v8, v9, v8
	v_xad_u32 v136, v8, v14, v12
	v_cndmask_b32_e64 v137, v5, v2, s[0:1]
	v_cndmask_b32_e64 v138, v3, v11, s[0:1]
	v_lshlrev_b64 v[2:3], 1, v[76:77]
	v_lshl_add_u64 v[80:81], s[16:17], 0, v[2:3]
	v_lshl_add_u64 v[82:83], s[8:9], 0, v[2:3]
	;; [unrolled: 1-line block ×3, first 2 shown]
	s_mov_b32 s3, 0x7060302
	v_lshlrev_b32_e32 v78, 1, v4
	v_add_u32_e32 v77, v16, v129
	v_add_u32_e32 v139, v16, v131
	;; [unrolled: 1-line block ×4, first 2 shown]
	s_waitcnt lgkmcnt(0)
	s_barrier
.LBB121_6:                              ; =>This Inner Loop Header: Depth=1
	s_add_i32 s70, s71, 1
	s_cmp_lt_i32 s70, s56
	s_mov_b64 s[28:29], 0
	s_cselect_b64 s[46:47], -1, 0
	s_cmp_ge_i32 s70, s56
	s_mov_b64 s[24:25], 0
	s_cbranch_scc1 .LBB121_8
; %bb.7:                                ;   in Loop: Header=BB121_6 Depth=1
	s_add_i32 s0, s65, 64
	s_add_u32 s0, s4, s0
	s_addc_u32 s1, s5, 0
	s_lshl_b64 s[0:1], s[0:1], 8
	s_add_u32 s24, s14, s0
	s_addc_u32 s25, s15, s1
.LBB121_8:                              ;   in Loop: Header=BB121_6 Depth=1
	v_cndmask_b32_e64 v2, 0, 1, s[46:47]
	v_cmp_ne_u32_e64 s[0:1], 1, v2
	s_andn2_b64 vcc, exec, s[46:47]
	s_cbranch_vccnz .LBB121_10
; %bb.9:                                ;   in Loop: Header=BB121_6 Depth=1
	s_add_i32 s28, s65, 64
	s_add_u32 s28, s68, s28
	s_addc_u32 s29, s69, 0
	s_mul_i32 s31, s28, s57
	s_mul_hi_u32 s46, s28, s62
	s_add_i32 s31, s46, s31
	s_mul_i32 s29, s29, s62
	s_add_i32 s31, s31, s29
	s_mul_i32 s28, s28, s62
	s_add_u32 s28, s28, s58
	s_addc_u32 s29, s31, s63
	s_lshl_b64 s[28:29], s[28:29], 8
	s_add_u32 s28, s12, s28
	s_addc_u32 s29, s13, s29
.LBB121_10:                             ;   in Loop: Header=BB121_6 Depth=1
	v_perm_b32 v3, v75, v74, s3
	v_perm_b32 v2, v71, v70, s3
	v_perm_b32 v5, v73, v72, s3
	v_perm_b32 v4, v69, v68, s3
	ds_write_b64 v99, v[2:3]
	ds_write_b64 v100, v[4:5]
	ds_write_b64 v102, v[2:3]
	ds_write_b64 v103, v[4:5]
	v_perm_b32 v3, v67, v66, s3
	v_perm_b32 v2, v63, v62, s3
	v_perm_b32 v5, v65, v64, s3
	v_perm_b32 v4, v61, v60, s3
	ds_write_b64 v101, v[2:3]
	ds_write_b64 v104, v[4:5]
	ds_write_b64 v105, v[2:3]
	ds_write_b64 v106, v[4:5]
	;; [unrolled: 8-line block ×4, first 2 shown]
	s_waitcnt lgkmcnt(0)
	s_barrier
	ds_read_b64 v[6:7], v115 offset:49152
	ds_read2_b64 v[2:5], v116 offset1:16
	ds_read_b64 v[18:19], v118 offset:6144
	ds_read_b64 v[20:21], v116 offset:6144
	s_waitcnt lgkmcnt(2)
	v_mfma_f32_16x16x16_bf16 a[0:3], v[6:7], v[2:3], 0
	ds_read_b64 v[22:23], v117 offset:49152
	ds_read2st64_b64 v[10:13], v119 offset0:4 offset1:8
	ds_read2st64_b64 v[14:17], v120 offset0:4 offset1:8
	v_mfma_f32_16x16x16_bf16 a[4:7], v[6:7], v[4:5], 0
	ds_read2_b64 v[2:5], v116 offset0:32 offset1:48
	s_add_i32 s31, s65, 63
	s_mul_i32 s46, s31, s37
	s_waitcnt lgkmcnt(0)
	v_mfma_f32_16x16x16_bf16 a[8:11], v[6:7], v[2:3], 0
	s_mul_hi_u32 s47, s31, s36
	s_add_i32 s47, s47, s46
	s_mul_i32 s46, s31, s36
	v_mfma_f32_16x16x16_bf16 a[12:15], v[6:7], v[4:5], 0
	ds_read2st64_b64 v[2:5], v116 offset0:4 offset1:8
	ds_read2st64_b64 v[6:9], v118 offset0:4 offset1:8
	s_lshl_b64 s[46:47], s[46:47], 2
	s_waitcnt lgkmcnt(1)
	v_mfma_f32_16x16x16_bf16 a[0:3], v[22:23], v[2:3], a[0:3]
	s_add_u32 s46, s44, s46
	s_addc_u32 s47, s45, s47
	s_and_b64 vcc, exec, s[0:1]
	s_waitcnt lgkmcnt(0)
	v_mfma_f32_16x16x16_bf16 a[4:7], v[22:23], v[6:7], a[4:7]
	v_mov_b32_e32 v145, 0
	v_mov_b32_e32 v144, 0
	;; [unrolled: 1-line block ×3, first 2 shown]
	v_mfma_f32_16x16x16_bf16 a[8:11], v[22:23], v[10:11], a[8:11]
	ds_read_b64 v[2:3], v121 offset:49152
	ds_read_b64 v[6:7], v122 offset:49152
	;; [unrolled: 1-line block ×3, first 2 shown]
	v_mfma_f32_16x16x16_bf16 a[12:15], v[22:23], v[14:15], a[12:15]
	v_mov_b32_e32 v14, 0
	v_mov_b32_e32 v15, 0
	s_waitcnt lgkmcnt(2)
	v_mfma_f32_16x16x16_bf16 a[0:3], v[2:3], v[4:5], a[0:3]
	v_mov_b32_e32 v4, 0
	v_mov_b32_e32 v5, 0
	v_mfma_f32_16x16x16_bf16 a[4:7], v[2:3], v[8:9], a[4:7]
	v_mov_b32_e32 v8, 0
	v_mov_b32_e32 v9, 0
	;; [unrolled: 3-line block ×3, first 2 shown]
	v_mfma_f32_16x16x16_bf16 a[12:15], v[2:3], v[16:17], a[12:15]
	ds_read_b64 v[2:3], v119 offset:6144
	v_mov_b32_e32 v16, 0
	v_mov_b32_e32 v17, 0
	s_waitcnt lgkmcnt(2)
	v_mfma_f32_16x16x16_bf16 a[0:3], v[6:7], v[20:21], a[0:3]
	v_mfma_f32_16x16x16_bf16 a[4:7], v[6:7], v[18:19], a[4:7]
	s_waitcnt lgkmcnt(0)
	v_mfma_f32_16x16x16_bf16 a[8:11], v[6:7], v[2:3], a[8:11]
	v_mov_b32_e32 v2, 0
	v_mov_b32_e32 v3, 0
	v_mfma_f32_16x16x16_bf16 a[12:15], v[6:7], v[10:11], a[12:15]
	v_mov_b32_e32 v6, 0
	v_mov_b32_e32 v7, 0
	v_mov_b32_e32 v10, 0
	v_mov_b32_e32 v11, 0
	s_cbranch_vccnz .LBB121_12
; %bb.11:                               ;   in Loop: Header=BB121_6 Depth=1
	s_and_b32 s25, s25, 0xffff
	buffer_load_dwordx4 v[14:17], v95, s[24:27], 0 offen
	buffer_load_dwordx4 v[10:13], v95, s[24:27], s64 offen
	;; [unrolled: 1-line block ×4, first 2 shown]
	v_mov_b32_e32 v144, v97
	v_mov_b32_e32 v143, v98
.LBB121_12:                             ;   in Loop: Header=BB121_6 Depth=1
	ds_read_b64 v[150:151], v115 offset:57344
	ds_read2_b64 v[18:21], v123 offset1:16
	ds_read_b64 v[152:153], v117 offset:57344
	ds_read_b64 v[154:155], v121 offset:57344
	ds_read_b64 v[156:157], v122 offset:57344
	s_waitcnt lgkmcnt(3)
	v_mfma_f32_16x16x16_bf16 a[0:3], v[150:151], v[18:19], a[0:3]
	v_mfma_f32_16x16x16_bf16 a[4:7], v[150:151], v[20:21], a[4:7]
	ds_read2_b64 v[18:21], v123 offset0:32 offset1:48
	ds_read2st64_b64 v[22:25], v123 offset0:4 offset1:8
	ds_read2st64_b64 v[26:29], v124 offset0:4 offset1:8
	;; [unrolled: 1-line block ×4, first 2 shown]
	s_waitcnt lgkmcnt(4)
	v_mfma_f32_16x16x16_bf16 a[8:11], v[150:151], v[18:19], a[8:11]
	v_mfma_f32_16x16x16_bf16 a[12:15], v[150:151], v[20:21], a[12:15]
	v_add_u32_e32 v150, s65, v91
	v_ashrrev_i32_e32 v18, 31, v150
	v_mul_lo_u32 v20, v18, s36
	v_mul_lo_u32 v21, v150, s37
	v_mad_u64_u32 v[18:19], s[24:25], v150, s36, 0
	v_add3_u32 v19, v19, v21, v20
	v_add_u32_e32 v20, 1, v150
	v_ashrrev_i32_e32 v21, 31, v20
	s_waitcnt lgkmcnt(3)
	v_mfma_f32_16x16x16_bf16 a[0:3], v[152:153], v[22:23], a[0:3]
	v_mul_lo_u32 v22, v21, s36
	v_mul_lo_u32 v23, v20, s37
	v_mad_u64_u32 v[20:21], s[24:25], v20, s36, 0
	v_add3_u32 v21, v21, v23, v22
	v_add_u32_e32 v22, 2, v150
	v_ashrrev_i32_e32 v23, 31, v22
	s_waitcnt lgkmcnt(2)
	v_mfma_f32_16x16x16_bf16 a[4:7], v[152:153], v[26:27], a[4:7]
	v_mul_lo_u32 v26, v23, s36
	v_mul_lo_u32 v27, v22, s37
	v_mad_u64_u32 v[22:23], s[24:25], v22, s36, 0
	v_add3_u32 v23, v23, v27, v26
	v_add_u32_e32 v26, 3, v150
	v_lshl_add_u64 v[18:19], v[18:19], 2, s[44:45]
	v_lshl_add_u64 v[20:21], v[20:21], 2, s[44:45]
	v_ashrrev_i32_e32 v27, 31, v26
	s_waitcnt lgkmcnt(1)
	v_mfma_f32_16x16x16_bf16 a[8:11], v[152:153], v[30:31], a[8:11]
	v_mul_lo_u32 v27, v27, s36
	global_load_dword v30, v[18:19], off
	v_mul_lo_u32 v31, v26, s37
	s_waitcnt lgkmcnt(0)
	v_mfma_f32_16x16x16_bf16 a[12:15], v[152:153], v[146:147], a[12:15]
	global_load_dword v146, v[20:21], off
	v_mad_u64_u32 v[18:19], s[24:25], v26, s36, 0
	v_add3_u32 v19, v19, v31, v27
	s_add_u32 s24, s4, s65
	v_lshl_add_u64 v[22:23], v[22:23], 2, s[44:45]
	v_lshl_add_u64 v[18:19], v[18:19], 2, s[44:45]
	s_addc_u32 s25, s5, 0
	global_load_dword v31, v[22:23], off
	global_load_dword v147, v[18:19], off
	s_lshl_b64 s[24:25], s[24:25], 8
	v_lshl_add_u64 v[18:19], v[80:81], 0, s[24:25]
	v_lshl_add_u64 v[18:19], v[18:19], 0, v[78:79]
	global_load_ushort v150, v[18:19], off offset:256
	global_load_ushort v151, v[18:19], off
	global_load_ushort v152, v[18:19], off offset:768
	global_load_ushort v153, v[18:19], off offset:512
	;; [unrolled: 1-line block ×6, first 2 shown]
	s_load_dword s46, s[46:47], 0x0
	v_mfma_f32_16x16x16_bf16 a[12:15], v[154:155], v[148:149], a[12:15]
	global_load_ushort v148, v[18:19], off offset:320
	global_load_ushort v149, v[18:19], off offset:64
	s_and_b64 vcc, exec, s[0:1]
	v_mfma_f32_16x16x16_bf16 a[0:3], v[154:155], v[24:25], a[0:3]
	ds_read_b64 v[20:21], v123 offset:6144
	ds_read_b64 v[22:23], v124 offset:6144
	ds_read_b64 v[24:25], v125 offset:6144
	ds_read_b64 v[26:27], v126 offset:6144
	v_mfma_f32_16x16x16_bf16 a[4:7], v[154:155], v[28:29], a[4:7]
	s_waitcnt vmcnt(11) lgkmcnt(0)
	v_sub_f32_e32 v28, s46, v31
	v_mfma_f32_16x16x16_bf16 a[8:11], v[154:155], v[32:33], a[8:11]
	global_load_ushort v154, v[18:19], off offset:832
	global_load_ushort v155, v[18:19], off offset:576
	;; [unrolled: 1-line block ×6, first 2 shown]
	v_mfma_f32_16x16x16_bf16 a[0:3], v[156:157], v[20:21], a[0:3]
	s_waitcnt vmcnt(16)
	v_sub_f32_e32 v29, s46, v147
	v_mul_f32_e32 v28, 0x3fb8aa3b, v28
	v_mul_f32_e32 v29, 0x3fb8aa3b, v29
	v_exp_f32_e32 v28, v28
	v_exp_f32_e32 v29, v29
	s_waitcnt vmcnt(15)
	v_lshlrev_b32_e32 v33, 16, v150
	s_waitcnt vmcnt(14)
	v_lshlrev_b32_e32 v32, 16, v151
	v_accvgpr_read_b32 v21, a3
	v_accvgpr_read_b32 v20, a2
	v_mfma_f32_16x16x16_bf16 a[2:5], v[156:157], v[22:23], a[4:7]
	v_mfma_f32_16x16x16_bf16 a[6:9], v[156:157], v[24:25], a[8:11]
	s_nop 5
	v_accvgpr_read_b32 v23, a5
	v_accvgpr_read_b32 v22, a4
	;; [unrolled: 1-line block ×4, first 2 shown]
	v_mfma_f32_16x16x16_bf16 a[8:11], v[156:157], v[26:27], a[12:15]
	v_sub_f32_e32 v26, s46, v30
	v_sub_f32_e32 v27, s46, v146
	v_mul_f32_e32 v26, 0x3fb8aa3b, v26
	v_mul_f32_e32 v27, 0x3fb8aa3b, v27
	v_exp_f32_e32 v26, v26
	v_exp_f32_e32 v27, v27
	v_accvgpr_read_b32 v147, a1
	v_accvgpr_read_b32 v146, a0
	v_lshl_add_u64 v[30:31], v[82:83], 0, s[24:25]
	v_pk_add_f32 v[32:33], v[32:33], v[146:147] neg_lo:[0,1] neg_hi:[0,1]
	s_waitcnt vmcnt(13)
	v_lshlrev_b32_e32 v147, 16, v152
	s_waitcnt vmcnt(12)
	v_lshlrev_b32_e32 v146, 16, v153
	v_lshl_add_u64 v[30:31], v[30:31], 0, v[78:79]
	v_pk_add_f32 v[20:21], v[146:147], v[20:21] neg_lo:[0,1] neg_hi:[0,1]
	global_store_short_d16_hi v[30:31], v32, off
	global_store_short_d16_hi v[30:31], v33, off offset:256
	global_store_short_d16_hi v[30:31], v20, off offset:512
	;; [unrolled: 1-line block ×3, first 2 shown]
	v_pk_mul_f32 v[32:33], v[26:27], v[32:33]
	v_pk_mul_f32 v[20:21], v[28:29], v[20:21]
	v_accvgpr_read_b32 v147, a3
	v_perm_b32 v21, v21, v20, s3
	v_perm_b32 v20, v33, v32, s3
	s_waitcnt vmcnt(15)
	v_lshlrev_b32_e32 v33, 16, v158
	s_waitcnt vmcnt(14)
	v_lshlrev_b32_e32 v32, 16, v159
	v_accvgpr_read_b32 v146, a2
	v_pk_add_f32 v[32:33], v[32:33], v[146:147] neg_lo:[0,1] neg_hi:[0,1]
	s_waitcnt vmcnt(13)
	v_lshlrev_b32_e32 v147, 16, v160
	s_waitcnt vmcnt(12)
	v_lshlrev_b32_e32 v146, 16, v161
	v_pk_add_f32 v[22:23], v[146:147], v[22:23] neg_lo:[0,1] neg_hi:[0,1]
	global_store_short_d16_hi v[30:31], v32, off offset:32
	global_store_short_d16_hi v[30:31], v33, off offset:288
	;; [unrolled: 1-line block ×4, first 2 shown]
	v_pk_mul_f32 v[32:33], v[26:27], v[32:33]
	v_pk_mul_f32 v[22:23], v[28:29], v[22:23]
	v_accvgpr_read_b32 v25, a11
	v_perm_b32 v23, v23, v22, s3
	v_perm_b32 v22, v33, v32, s3
	ds_write2_b64 v100, v[20:21], v[22:23] offset1:16
	v_accvgpr_read_b32 v23, a7
	s_waitcnt vmcnt(15)
	v_lshlrev_b32_e32 v21, 16, v148
	s_waitcnt vmcnt(14)
	v_lshlrev_b32_e32 v20, 16, v149
	v_accvgpr_read_b32 v22, a6
	v_pk_add_f32 v[20:21], v[20:21], v[22:23] neg_lo:[0,1] neg_hi:[0,1]
	global_store_short_d16_hi v[30:31], v20, off offset:64
	global_store_short_d16_hi v[30:31], v21, off offset:320
	v_pk_mul_f32 v[20:21], v[26:27], v[20:21]
	v_accvgpr_read_b32 v24, a10
	v_perm_b32 v20, v21, v20, s3
	v_mov_b32_e32 v146, 0
	v_mov_b32_e32 v32, 0
	;; [unrolled: 1-line block ×3, first 2 shown]
	s_waitcnt vmcnt(15)
	v_lshlrev_b32_e32 v23, 16, v154
	s_waitcnt vmcnt(14)
	v_lshlrev_b32_e32 v22, 16, v155
	v_pk_add_f32 v[18:19], v[22:23], v[18:19] neg_lo:[0,1] neg_hi:[0,1]
	global_store_short_d16_hi v[30:31], v18, off offset:576
	global_store_short_d16_hi v[30:31], v19, off offset:832
	v_pk_mul_f32 v[18:19], v[28:29], v[18:19]
	v_accvgpr_read_b32 v23, a9
	v_perm_b32 v21, v19, v18, s3
	s_waitcnt vmcnt(15)
	v_lshlrev_b32_e32 v19, 16, v162
	s_waitcnt vmcnt(14)
	v_lshlrev_b32_e32 v18, 16, v163
	v_accvgpr_read_b32 v22, a8
	v_pk_add_f32 v[18:19], v[18:19], v[22:23] neg_lo:[0,1] neg_hi:[0,1]
	s_waitcnt vmcnt(13)
	v_lshlrev_b32_e32 v23, 16, v164
	s_waitcnt vmcnt(12)
	v_lshlrev_b32_e32 v22, 16, v165
	v_pk_add_f32 v[22:23], v[22:23], v[24:25] neg_lo:[0,1] neg_hi:[0,1]
	global_store_short_d16_hi v[30:31], v18, off offset:96
	global_store_short_d16_hi v[30:31], v19, off offset:352
	;; [unrolled: 1-line block ×4, first 2 shown]
	v_pk_mul_f32 v[18:19], v[26:27], v[18:19]
	v_pk_mul_f32 v[22:23], v[28:29], v[22:23]
	v_mov_b32_e32 v24, 0
	v_perm_b32 v23, v23, v22, s3
	v_perm_b32 v22, v19, v18, s3
	ds_write2_b64 v100, v[20:21], v[22:23] offset0:32 offset1:48
	v_mov_b32_e32 v18, 0
	v_mov_b32_e32 v19, 0
	;; [unrolled: 1-line block ×13, first 2 shown]
	s_cbranch_vccnz .LBB121_14
; %bb.13:                               ;   in Loop: Header=BB121_6 Depth=1
	s_and_b32 s29, s29, 0xffff
	s_mov_b32 s31, s27
	buffer_load_dwordx4 v[30:33], v137, s[28:31], 0 offen
	buffer_load_dwordx4 v[22:25], v137, s[28:31], s64 offen
	;; [unrolled: 1-line block ×4, first 2 shown]
	v_mov_b32_e32 v145, v94
	v_mov_b32_e32 v146, v93
.LBB121_14:                             ;   in Loop: Header=BB121_6 Depth=1
	s_waitcnt lgkmcnt(0)
	s_barrier
	ds_read_b64 v[156:157], v77
	ds_read2_b64 v[148:151], v130 offset1:16
	ds_read_b64 v[172:173], v139
	ds_read_b64 v[174:175], v140
	;; [unrolled: 1-line block ×3, first 2 shown]
	ds_read2_b64 v[152:155], v130 offset0:32 offset1:48
	s_waitcnt lgkmcnt(4)
	v_mfma_f32_16x16x16_bf16 a[0:3], v[156:157], v[148:149], 0
	ds_read2st64_b64 v[160:163], v132 offset0:4 offset1:8
	ds_read2st64_b64 v[164:167], v133 offset0:4 offset1:8
	;; [unrolled: 1-line block ×3, first 2 shown]
	v_mfma_f32_16x16x16_bf16 a[4:7], v[156:157], v[150:151], 0
	s_add_i32 s24, s59, s71
	s_mul_hi_i32 s25, s24, s21
	s_mul_i32 s24, s24, s21
	s_waitcnt lgkmcnt(3)
	v_mfma_f32_16x16x16_bf16 a[8:11], v[156:157], v[152:153], 0
	s_add_u32 s24, s24, s52
	s_addc_u32 s25, s25, s53
	s_lshl_b64 s[24:25], s[24:25], 15
	v_mfma_f32_16x16x16_bf16 a[12:15], v[156:157], v[154:155], 0
	ds_read2st64_b64 v[156:159], v130 offset0:4 offset1:8
	s_waitcnt lgkmcnt(0)
	v_mfma_f32_16x16x16_bf16 a[0:3], v[172:173], v[156:157], a[0:3]
	v_mfma_f32_16x16x16_bf16 a[4:7], v[172:173], v[160:161], a[4:7]
	;; [unrolled: 1-line block ×8, first 2 shown]
	ds_read_b64 v[172:173], v130 offset:6144
	ds_read_b64 v[174:175], v131 offset:40960
	;; [unrolled: 1-line block ×8, first 2 shown]
	s_waitcnt lgkmcnt(5)
	v_mfma_f32_16x16x16_bf16 a[16:19], v[178:179], v[148:149], 0
	v_mfma_f32_16x16x16_bf16 a[20:23], v[178:179], v[150:151], 0
	ds_read2st64_b64 v[148:151], v127 offset1:8
	v_mfma_f32_16x16x16_bf16 a[24:27], v[178:179], v[152:153], 0
	v_mfma_f32_16x16x16_bf16 a[28:31], v[178:179], v[154:155], 0
	ds_read2st64_b64 v[152:155], v128 offset1:8
	v_mfma_f32_16x16x16_bf16 a[16:19], v[174:175], v[156:157], a[16:19]
	s_waitcnt lgkmcnt(1)
	v_mov_b32_e32 v156, v148
	v_mov_b32_e32 v157, v149
	v_mfma_f32_16x16x16_bf16 a[20:23], v[174:175], v[160:161], a[20:23]
	v_lshl_add_u64 v[160:161], v[84:85], 0, s[24:25]
	v_mfma_f32_16x16x16_bf16 a[24:27], v[174:175], v[164:165], a[24:27]
	v_mfma_f32_16x16x16_bf16 a[28:31], v[174:175], v[168:169], a[28:31]
	;; [unrolled: 1-line block ×3, first 2 shown]
	s_waitcnt lgkmcnt(0)
	v_mov_b32_e32 v158, v152
	v_mov_b32_e32 v159, v153
	;; [unrolled: 1-line block ×3, first 2 shown]
	v_mfma_f32_16x16x16_bf16 a[32:35], v[186:187], v[162:163], a[20:23]
	v_mov_b32_e32 v153, v151
	ds_read2st64_b64 v[148:151], v127 offset0:16 offset1:24
	global_store_dwordx4 v[160:161], v[156:159], off
	v_mfma_f32_16x16x16_bf16 a[24:27], v[186:187], v[166:167], a[24:27]
	ds_read2st64_b64 v[156:159], v128 offset0:16 offset1:24
	v_add_co_u32_e32 v162, vcc, s39, v160
	v_mfma_f32_16x16x16_bf16 a[28:31], v[186:187], v[170:171], a[28:31]
	s_nop 0
	v_addc_co_u32_e32 v163, vcc, 0, v161, vcc
	global_store_dwordx4 v[162:163], v[152:155], off offset:-4096
	v_mfma_f32_16x16x16_bf16 a[0:3], v[176:177], v[172:173], a[0:3]
	s_waitcnt lgkmcnt(1)
	v_mov_b32_e32 v152, v148
	v_add_co_u32_e32 v148, vcc, s41, v160
	v_mfma_f32_16x16x16_bf16 a[4:7], v[176:177], v[180:181], a[4:7]
	v_mov_b32_e32 v153, v149
	v_addc_co_u32_e32 v149, vcc, 0, v161, vcc
	v_mfma_f32_16x16x16_bf16 a[8:11], v[176:177], v[182:183], a[8:11]
	s_waitcnt lgkmcnt(0)
	v_mov_b32_e32 v154, v156
	v_mov_b32_e32 v155, v157
	v_mov_b32_e32 v156, v150
	v_mfma_f32_16x16x16_bf16 a[12:15], v[176:177], v[184:185], a[12:15]
	v_mov_b32_e32 v157, v151
	s_and_b64 vcc, exec, s[0:1]
	global_store_dwordx4 v[162:163], v[152:155], off
	v_mfma_f32_16x16x16_bf16 a[20:23], v[188:189], v[172:173], a[16:19]
	global_store_dwordx4 v[148:149], v[156:159], off
	v_mfma_f32_16x16x16_bf16 a[16:19], v[188:189], v[180:181], a[32:35]
	v_mfma_f32_16x16x16_bf16 a[24:27], v[188:189], v[182:183], a[24:27]
	;; [unrolled: 1-line block ×3, first 2 shown]
	s_cbranch_vccnz .LBB121_16
; %bb.15:                               ;   in Loop: Header=BB121_6 Depth=1
	v_lshrrev_b32_e32 v147, 3, v145
	v_and_b32_e32 v147, 6, v147
	v_xor_b32_e32 v146, v147, v146
	v_lshlrev_b32_e32 v146, 2, v146
	v_and_b32_e32 v145, 8, v145
	v_xor_b32_e32 v148, 0x440, v146
	v_cmp_eq_u32_e32 vcc, 0, v145
	s_barrier
	s_nop 0
	v_cndmask_b32_e32 v145, v148, v146, vcc
	v_lshl_or_b32 v145, v147, 10, v145
	s_waitcnt vmcnt(5)
	v_perm_b32 v146, v30, v26, s66
	s_waitcnt vmcnt(4)
	v_perm_b32 v147, v22, v18, s66
	ds_write2st64_b32 v145, v146, v147 offset0:128 offset1:160
	v_xor_b32_e32 v146, 8, v145
	v_perm_b32 v26, v30, v26, s67
	v_perm_b32 v18, v22, v18, s67
	v_add_u32_e32 v22, 0x80, v146
	ds_write2st64_b32 v22, v26, v18 offset0:128 offset1:160
	v_xor_b32_e32 v18, 16, v145
	v_perm_b32 v22, v31, v27, s66
	v_perm_b32 v26, v23, v19, s66
	ds_write2st64_b32 v18, v22, v26 offset0:129 offset1:161
	v_xor_b32_e32 v18, 24, v145
	v_perm_b32 v22, v31, v27, s67
	v_perm_b32 v19, v23, v19, s67
	v_add_u32_e32 v18, 0x80, v18
	ds_write2st64_b32 v18, v22, v19 offset0:129 offset1:161
	v_xor_b32_e32 v18, 32, v145
	v_perm_b32 v19, v32, v28, s66
	;; [unrolled: 9-line block ×3, first 2 shown]
	v_perm_b32 v20, v25, v21, s66
	ds_write2st64_b32 v18, v19, v20 offset0:131 offset1:163
	v_xor_b32_e32 v18, 56, v145
	v_perm_b32 v19, v33, v29, s67
	v_perm_b32 v20, v25, v21, s67
	v_add_u32_e32 v18, 0x80, v18
	ds_write2st64_b32 v18, v19, v20 offset0:131 offset1:163
	ds_write_b64 v144, v[14:15] offset:49152
	v_xor_b32_e32 v14, 8, v144
	ds_write_b64 v14, v[16:17] offset:49152
	ds_write_b64 v144, v[10:11] offset:57344
	;; [unrolled: 1-line block ×4, first 2 shown]
	v_xor_b32_e32 v6, 8, v143
	ds_write_b64 v6, v[8:9] offset:49152
	ds_write_b64 v143, v[2:3] offset:57344
	ds_write_b64 v6, v[4:5] offset:57344
.LBB121_16:                             ;   in Loop: Header=BB121_6 Depth=1
	s_waitcnt vmcnt(6)
	v_mul_f32_e32 v22, s46, v142
	v_exp_f32_e32 v144, v22
	v_accvgpr_read_b32 v5, a3
	v_accvgpr_read_b32 v9, a7
	;; [unrolled: 1-line block ×4, first 2 shown]
	s_waitcnt vmcnt(4)
	v_accvgpr_read_b32 v18, a20
	v_accvgpr_read_b32 v25, a19
	;; [unrolled: 1-line block ×28, first 2 shown]
	s_add_i32 s65, s65, 64
	v_pk_fma_f32 v[70:71], v[70:71], v[144:145], v[2:3] op_sel_hi:[1,0,1]
	v_pk_fma_f32 v[74:75], v[74:75], v[144:145], v[4:5] op_sel_hi:[1,0,1]
	;; [unrolled: 1-line block ×15, first 2 shown]
	s_cmp_eq_u32 s56, s70
	v_pk_fma_f32 v[48:49], v[48:49], v[144:145], v[32:33] op_sel_hi:[1,0,1]
	s_cbranch_scc1 .LBB121_18
; %bb.17:                               ;   in Loop: Header=BB121_6 Depth=1
	s_mov_b32 s71, s70
	s_branch .LBB121_6
.LBB121_18:
	s_lshl_b32 s30, s56, 6
	s_sub_i32 s31, s20, s30
	s_cmp_gt_i32 s31, 0
	s_cbranch_scc0 .LBB121_99
; %bb.19:
	s_ashr_i32 s3, s30, 31
	s_cmpk_lg_i32 s23, 0x80
	s_cselect_b64 s[26:27], -1, 0
	s_and_b64 vcc, exec, s[26:27]
	s_cbranch_vccz .LBB121_21
; %bb.20:
	s_mul_i32 s1, s55, s20
	s_mul_hi_i32 s0, s55, s20
	s_add_u32 s1, s1, s30
	s_addc_u32 s0, s0, s3
	s_mul_i32 s5, s1, s57
	s_mul_hi_u32 s24, s1, s22
	s_add_i32 s5, s24, s5
	s_mul_i32 s0, s0, s22
	s_add_i32 s5, s5, s0
	s_mul_i32 s1, s1, s22
	s_ashr_i32 s0, s58, 31
	s_add_u32 s28, s1, s58
	s_addc_u32 s29, s5, s0
	s_cbranch_execz .LBB121_22
	s_branch .LBB121_23
.LBB121_21:
                                        ; implicit-def: $sgpr28_sgpr29
.LBB121_22:
	s_mul_hi_i32 s0, s55, s22
	s_mul_i32 s55, s55, s22
	s_ashr_i32 s1, s58, 31
	s_add_u32 s5, s55, s58
	s_addc_u32 s0, s0, s1
	s_mul_i32 s1, s5, s54
	s_mul_hi_u32 s22, s5, s20
	s_add_i32 s1, s22, s1
	s_mul_i32 s0, s0, s20
	s_add_i32 s1, s1, s0
	s_mul_i32 s5, s5, s20
	s_add_u32 s28, s5, s30
	s_addc_u32 s29, s1, s3
.LBB121_23:
	s_mul_i32 s0, s42, s54
	s_add_i32 s0, s61, s0
	s_add_i32 s5, s59, s56
	;; [unrolled: 1-line block ×3, first 2 shown]
	s_add_u32 s0, s4, s30
	v_lshlrev_b32_e32 v6, 6, v91
	v_lshlrev_b32_e32 v24, 2, v88
	s_addc_u32 s1, s1, s3
	s_mov_b32 s3, 0x7060302
	v_or_b32_e32 v9, v6, v24
	v_xor_b32_e32 v7, v91, v24
	v_perm_b32 v3, v75, v74, s3
	v_perm_b32 v2, v71, v70, s3
	v_perm_b32 v5, v73, v72, s3
	v_perm_b32 v4, v69, v68, s3
	v_lshlrev_b32_e32 v9, 1, v9
	v_xor_b32_e32 v8, v92, v24
	ds_write2st64_b64 v9, v[2:3], v[4:5] offset0:32 offset1:48
	v_lshlrev_b32_e32 v7, 1, v7
	v_lshlrev_b32_e32 v9, 8, v88
	v_or_b32_e32 v10, v7, v9
	v_lshlrev_b32_e32 v8, 1, v8
	ds_write_b64 v10, v[2:3]
	v_or_b32_e32 v2, v8, v9
	v_or_b32_e32 v9, 16, v88
	v_lshlrev_b32_e32 v23, 2, v9
	v_or_b32_e32 v10, v6, v23
	ds_write_b64 v2, v[4:5]
	v_perm_b32 v3, v67, v66, s3
	v_perm_b32 v2, v63, v62, s3
	;; [unrolled: 1-line block ×4, first 2 shown]
	v_lshlrev_b32_e32 v10, 1, v10
	v_lshlrev_b32_e32 v9, 8, v9
	ds_write2st64_b64 v10, v[2:3], v[4:5] offset0:32 offset1:48
	v_or_b32_e32 v10, v7, v9
	ds_write_b64 v10, v[2:3]
	v_or_b32_e32 v2, v8, v9
	v_or_b32_e32 v9, 32, v88
	v_lshlrev_b32_e32 v22, 2, v9
	v_or_b32_e32 v10, v6, v22
	ds_write_b64 v2, v[4:5]
	v_perm_b32 v3, v59, v58, s3
	v_perm_b32 v2, v55, v54, s3
	;; [unrolled: 1-line block ×4, first 2 shown]
	v_lshlrev_b32_e32 v10, 1, v10
	v_lshlrev_b32_e32 v9, 8, v9
	s_lshl_b64 s[24:25], s[0:1], 8
	ds_write2st64_b64 v10, v[2:3], v[4:5] offset0:32 offset1:48
	v_or_b32_e32 v10, v7, v9
	s_waitcnt lgkmcnt(0)
	s_add_u32 s0, s14, s24
	ds_write_b64 v10, v[2:3]
	v_or_b32_e32 v2, v8, v9
	s_addc_u32 s1, s15, s25
	ds_write_b64 v2, v[4:5]
	v_perm_b32 v3, v53, v52, s3
	v_perm_b32 v2, v47, v46, s3
	;; [unrolled: 1-line block ×4, first 2 shown]
	v_or_b32_e32 v9, 48, v88
	s_mul_hi_i32 s3, s5, s21
	s_mul_i32 s5, s5, s21
	v_lshlrev_b32_e32 v19, 2, v9
	s_add_u32 s4, s5, s52
	v_or_b32_e32 v6, v6, v19
	s_addc_u32 s5, s3, s53
	v_lshlrev_b32_e32 v6, 1, v6
	s_ashr_i32 s3, s2, 31
	s_lshl_b64 s[4:5], s[4:5], 15
	ds_write2st64_b64 v6, v[2:3], v[4:5] offset0:32 offset1:48
	v_lshlrev_b32_e32 v6, 8, v9
	s_add_u32 s4, s6, s4
	v_or_b32_e32 v7, v7, v6
	s_addc_u32 s5, s7, s5
	s_lshl_b64 s[2:3], s[2:3], 8
	ds_write_b64 v7, v[2:3]
	v_or_b32_e32 v2, v8, v6
	s_add_u32 s2, s4, s2
	v_lshlrev_b32_e32 v3, 1, v88
	ds_write_b64 v2, v[4:5]
	v_lshrrev_b32_e32 v2, 4, v0
	s_addc_u32 s3, s5, s3
	v_or_b32_e32 v4, 1, v3
	v_lshlrev_b32_e32 v10, 4, v88
	v_mov_b32_e32 v11, 0
	v_xor_b32_e32 v3, v2, v3
	v_xor_b32_e32 v6, v4, v2
	v_lshl_add_u64 v[12:13], s[2:3], 0, v[10:11]
	v_lshlrev_b32_e32 v10, 8, v2
	v_lshl_or_b32 v16, v3, 3, v10
	v_lshl_or_b32 v17, v6, 3, v10
	s_waitcnt lgkmcnt(0)
	s_barrier
	ds_read2st64_b64 v[2:5], v16 offset1:8
	ds_read2st64_b64 v[6:9], v17 offset1:8
	v_lshl_add_u64 v[14:15], v[12:13], 0, v[10:11]
	s_movk_i32 s2, 0x2000
	s_cmp_lg_u32 s31, 64
	s_waitcnt lgkmcnt(1)
	v_mov_b32_e32 v10, v2
	v_mov_b32_e32 v11, v3
	s_waitcnt lgkmcnt(0)
	v_mov_b32_e32 v12, v6
	v_mov_b32_e32 v13, v7
	global_store_dwordx4 v[14:15], v[10:13], off
	v_mov_b32_e32 v6, v4
	v_mov_b32_e32 v7, v5
	ds_read2st64_b64 v[2:5], v16 offset0:16 offset1:24
	ds_read2st64_b64 v[10:13], v17 offset0:16 offset1:24
	v_add_co_u32_e32 v16, vcc, s2, v14
	s_cselect_b64 s[14:15], -1, 0
	s_nop 0
	v_addc_co_u32_e32 v17, vcc, 0, v15, vcc
	global_store_dwordx4 v[16:17], v[6:9], off offset:-4096
	v_lshl_or_b32 v30, v1, 3, v90
	s_mov_b32 s4, 0
	s_waitcnt lgkmcnt(1)
	v_mov_b32_e32 v6, v2
	v_add_co_u32_e32 v2, vcc, 0x3000, v14
	v_mov_b32_e32 v7, v3
	s_nop 0
	v_addc_co_u32_e32 v3, vcc, 0, v15, vcc
	s_waitcnt lgkmcnt(0)
	v_mov_b32_e32 v8, v10
	v_mov_b32_e32 v9, v11
	;; [unrolled: 1-line block ×4, first 2 shown]
	v_or_b32_e32 v20, 32, v30
	v_and_b32_e32 v18, 56, v89
	s_and_b64 vcc, exec, s[14:15]
	global_store_dwordx4 v[16:17], v[6:9], off
	global_store_dwordx4 v[2:3], v[10:13], off
	s_cbranch_vccz .LBB121_29
; %bb.24:
	s_mov_b32 s6, s4
	s_mov_b32 s7, s4
	;; [unrolled: 1-line block ×3, first 2 shown]
	v_mov_b64_e32 v[8:9], s[6:7]
	v_mov_b64_e32 v[6:7], s[4:5]
	;; [unrolled: 1-line block ×3, first 2 shown]
	v_cmp_gt_i32_e32 vcc, s31, v30
	v_mov_b64_e32 v[4:5], v[8:9]
	s_and_saveexec_b64 s[2:3], vcc
	s_cbranch_execz .LBB121_26
; %bb.25:
	v_lshlrev_b32_e32 v2, 8, v30
	v_mov_b32_e32 v3, 0
	v_lshl_add_u64 v[4:5], s[0:1], 0, v[2:3]
	v_lshlrev_b32_e32 v2, 1, v18
	v_lshl_add_u64 v[10:11], v[4:5], 0, v[2:3]
	global_load_dwordx4 v[6:9], v[10:11], off
	global_load_dwordx4 v[2:5], v[10:11], off offset:128
.LBB121_26:
	s_or_b64 exec, exec, s[2:3]
	s_mov_b32 s6, s4
	s_mov_b32 s7, s4
	;; [unrolled: 1-line block ×3, first 2 shown]
	v_mov_b64_e32 v[16:17], s[6:7]
	v_mov_b64_e32 v[14:15], s[4:5]
	;; [unrolled: 1-line block ×3, first 2 shown]
	v_cmp_gt_i32_e32 vcc, s31, v20
	v_lshlrev_b32_e32 v21, 7, v20
	v_mov_b64_e32 v[12:13], v[16:17]
	s_and_saveexec_b64 s[2:3], vcc
	s_cbranch_execz .LBB121_28
; %bb.27:
	v_lshlrev_b32_e32 v10, 1, v21
	v_mov_b32_e32 v11, 0
	v_lshl_add_u64 v[12:13], s[0:1], 0, v[10:11]
	v_lshlrev_b32_e32 v10, 1, v18
	v_lshl_add_u64 v[26:27], v[12:13], 0, v[10:11]
	global_load_dwordx4 v[14:17], v[26:27], off
	global_load_dwordx4 v[10:13], v[26:27], off offset:128
.LBB121_28:
	s_or_b64 exec, exec, s[2:3]
	v_lshrrev_b32_e32 v25, 3, v18
	v_lshlrev_b32_e32 v26, 3, v30
	v_or_b32_e32 v25, v26, v25
	v_lshlrev_b32_e32 v25, 4, v25
	v_and_b32_e32 v26, 0x78, v26
	v_xor_b32_e32 v25, v25, v26
	s_branch .LBB121_31
.LBB121_29:
                                        ; implicit-def: $vgpr25
                                        ; implicit-def: $vgpr21
                                        ; implicit-def: $vgpr6_vgpr7_vgpr8_vgpr9
                                        ; implicit-def: $vgpr2_vgpr3_vgpr4_vgpr5
                                        ; implicit-def: $vgpr14_vgpr15_vgpr16_vgpr17
                                        ; implicit-def: $vgpr10_vgpr11_vgpr12_vgpr13
	s_cbranch_execz .LBB121_31
; %bb.30:
	s_waitcnt vmcnt(0)
	v_lshlrev_b32_e32 v2, 1, v18
	v_lshl_or_b32 v21, v30, 8, v2
	s_and_b32 s1, s1, 0xffff
	s_mov_b32 s3, 0x20000
	s_movk_i32 s2, 0x4000
	v_lshl_or_b32 v25, v20, 8, v2
	s_movk_i32 s4, 0x80
	buffer_load_dwordx4 v[6:9], v21, s[0:3], 0 offen
	buffer_load_dwordx4 v[2:5], v21, s[0:3], s4 offen
	;; [unrolled: 1-line block ×4, first 2 shown]
	v_lshrrev_b32_e32 v21, 3, v18
	v_lshlrev_b32_e32 v25, 3, v30
	v_or_b32_e32 v21, v25, v21
	v_lshlrev_b32_e32 v21, 4, v21
	v_and_b32_e32 v25, 0x78, v25
	v_xor_b32_e32 v25, v21, v25
	v_lshlrev_b32_e32 v21, 7, v20
.LBB121_31:
	s_movk_i32 s0, 0x1000
	v_and_or_b32 v20, v21, s0, v25
	s_waitcnt vmcnt(1)
	ds_write_b64 v25, v[6:7] offset:49152
	v_xor_b32_e32 v6, 8, v25
	ds_write_b64 v6, v[8:9] offset:49152
	s_waitcnt vmcnt(0)
	ds_write_b64 v25, v[2:3] offset:57344
	ds_write_b64 v6, v[4:5] offset:57344
	ds_write_b64 v20, v[14:15] offset:49152
	v_xor_b32_e32 v2, 8, v20
	ds_write_b64 v2, v[16:17] offset:49152
	ds_write_b64 v20, v[10:11] offset:57344
	;; [unrolled: 1-line block ×3, first 2 shown]
	v_or_b32_e32 v2, v86, v88
	v_lshlrev_b32_e32 v2, 3, v2
	v_lshrrev_b32_e32 v3, 5, v35
	s_movk_i32 s0, 0xf8
	v_and_or_b32 v3, v2, s0, v3
	v_lshlrev_b32_e32 v7, 4, v3
	v_lshlrev_b32_e32 v25, 11, v1
	v_and_b32_e32 v8, 0x78, v2
	v_or_b32_e32 v10, 32, v7
	v_and_b32_e32 v6, 0x1000, v25
	v_lshrrev_b32_e32 v3, 1, v35
	v_xor_b32_e32 v10, v10, v8
	v_xor_b32_e32 v2, v7, v8
	v_and_b32_e32 v9, 8, v3
	v_or_b32_e32 v10, v10, v6
	v_or_b32_e32 v2, v2, v6
	v_xor_b32_e32 v32, v10, v9
	v_or_b32_e32 v10, 64, v7
	v_xor_b32_e32 v31, v2, v9
	v_xor_b32_e32 v10, v10, v8
	s_waitcnt lgkmcnt(0)
	s_barrier
	v_or_b32_e32 v13, v10, v6
	ds_read_b64 v[10:11], v31 offset:49152
	v_lshl_or_b32 v14, v87, 8, v24
	v_lshlrev_b32_e32 v26, 1, v14
	v_add_u32_e32 v12, 0x4000, v26
	ds_read2_b64 v[2:5], v12 offset1:16
	v_or_b32_e32 v7, 0x60, v7
	v_xor_b32_e32 v7, v7, v8
	v_or_b32_e32 v6, v7, v6
	v_xor_b32_e32 v33, v13, v9
	v_xor_b32_e32 v77, v6, v9
	ds_read_b64 v[20:21], v32 offset:49152
	ds_read_b64 v[78:79], v33 offset:49152
	;; [unrolled: 1-line block ×3, first 2 shown]
	s_waitcnt lgkmcnt(3)
	v_mfma_f32_16x16x16_bf16 a[0:3], v[10:11], v[2:3], 0
	ds_read2st64_b64 v[6:9], v26 offset0:36 offset1:40
	s_lshl_b64 s[0:1], s[28:29], 8
	s_add_u32 s4, s12, s0
	v_mfma_f32_16x16x16_bf16 a[4:7], v[10:11], v[4:5], 0
	ds_read2_b64 v[2:5], v12 offset0:32 offset1:48
	s_addc_u32 s5, s13, s1
	s_add_i32 s1, s48, s33
	s_waitcnt lgkmcnt(0)
	v_mfma_f32_16x16x16_bf16 a[8:11], v[10:11], v[2:3], 0
	v_or_b32_e32 v2, 64, v14
	v_lshlrev_b32_e32 v27, 1, v2
	s_add_i32 s0, s20, -1
	v_mfma_f32_16x16x16_bf16 a[12:15], v[10:11], v[4:5], 0
	ds_read2st64_b64 v[2:5], v27 offset0:36 offset1:40
	s_add_i32 s41, s1, s43
	s_add_i32 s1, s50, s49
	v_mfma_f32_16x16x16_bf16 a[0:3], v[20:21], v[6:7], a[0:3]
	v_or_b32_e32 v6, 0x80, v14
	v_lshlrev_b32_e32 v28, 1, v6
	ds_read2st64_b64 v[10:13], v28 offset0:36 offset1:40
	s_waitcnt lgkmcnt(1)
	v_mfma_f32_16x16x16_bf16 a[4:7], v[20:21], v[2:3], a[4:7]
	v_or_b32_e32 v2, 0xc0, v14
	v_lshlrev_b32_e32 v29, 1, v2
	ds_read2st64_b64 v[14:17], v29 offset0:36 offset1:40
	s_add_i32 s39, s1, s51
	s_ashr_i32 s1, s0, 31
	s_mul_i32 s2, s0, s37
	s_mul_hi_u32 s3, s0, s36
	s_add_i32 s2, s3, s2
	s_mul_i32 s1, s1, s36
	s_waitcnt lgkmcnt(1)
	v_mfma_f32_16x16x16_bf16 a[8:11], v[20:21], v[10:11], a[8:11]
	s_add_i32 s1, s2, s1
	s_lshl_b64 s[2:3], s[40:41], 2
	s_add_u32 s6, s18, s2
	s_waitcnt lgkmcnt(0)
	v_mfma_f32_16x16x16_bf16 a[12:15], v[20:21], v[14:15], a[12:15]
	s_addc_u32 s7, s19, s3
	s_lshl_b64 s[2:3], s[38:39], 2
	s_mul_i32 s0, s0, s36
	v_mfma_f32_16x16x16_bf16 a[0:3], v[78:79], v[8:9], a[0:3]
	ds_read_b64 v[2:3], v26 offset:22528
	s_add_u32 s12, s6, s2
	s_addc_u32 s13, s7, s3
	v_mfma_f32_16x16x16_bf16 a[4:7], v[78:79], v[4:5], a[4:7]
	ds_read_b64 v[4:5], v27 offset:22528
	ds_read_b64 v[6:7], v28 offset:22528
	ds_read_b64 v[8:9], v29 offset:22528
	s_lshl_b64 s[0:1], s[0:1], 2
	s_add_u32 s0, s12, s0
	v_mfma_f32_16x16x16_bf16 a[8:11], v[78:79], v[12:13], a[8:11]
	s_addc_u32 s1, s13, s1
	s_load_dword s18, s[0:1], 0x0
	s_and_b64 vcc, exec, s[26:27]
	v_mfma_f32_16x16x16_bf16 a[12:15], v[78:79], v[16:17], a[12:15]
	s_waitcnt lgkmcnt(0)
	v_mfma_f32_16x16x16_bf16 a[0:3], v[80:81], v[2:3], a[0:3]
	v_mfma_f32_16x16x16_bf16 a[4:7], v[80:81], v[4:5], a[4:7]
	;; [unrolled: 1-line block ×4, first 2 shown]
	s_cbranch_vccz .LBB121_42
; %bb.32:
	v_lshlrev_b32_e32 v20, 1, v30
	s_and_b64 vcc, exec, s[14:15]
	s_cbranch_vccz .LBB121_43
; %bb.33:
	v_cmp_gt_i32_e32 vcc, s31, v20
	v_mov_b32_e32 v6, 0
	v_mov_b32_e32 v2, 0
	;; [unrolled: 1-line block ×5, first 2 shown]
	s_and_saveexec_b64 s[0:1], vcc
	s_cbranch_execz .LBB121_35
; %bb.34:
	v_mad_i64_i32 v[2:3], s[2:3], s23, v20, 0
	v_lshl_add_u64 v[2:3], v[2:3], 1, s[4:5]
	v_lshlrev_b32_e32 v4, 1, v18
	v_mov_b32_e32 v5, 0
	v_lshl_add_u64 v[2:3], v[2:3], 0, v[4:5]
	global_load_dwordx4 v[2:5], v[2:3], off
.LBB121_35:
	s_or_b64 exec, exec, s[0:1]
	v_or_b32_e32 v21, 1, v20
	v_cmp_gt_i32_e64 s[0:1], s31, v21
	v_mov_b32_e32 v7, 0
	v_mov_b32_e32 v8, 0
	;; [unrolled: 1-line block ×3, first 2 shown]
	s_and_saveexec_b64 s[2:3], s[0:1]
	s_cbranch_execz .LBB121_37
; %bb.36:
	v_mad_i64_i32 v[6:7], s[6:7], s23, v21, 0
	v_lshl_add_u64 v[6:7], v[6:7], 1, s[4:5]
	v_lshlrev_b32_e32 v8, 1, v18
	v_mov_b32_e32 v9, 0
	v_lshl_add_u64 v[6:7], v[6:7], 0, v[8:9]
	global_load_dwordx4 v[6:9], v[6:7], off
.LBB121_37:
	s_or_b64 exec, exec, s[2:3]
	v_mov_b32_e32 v17, 0
	v_mov_b32_e32 v10, 0
	;; [unrolled: 1-line block ×5, first 2 shown]
	s_and_saveexec_b64 s[2:3], vcc
	s_cbranch_execz .LBB121_39
; %bb.38:
	v_mad_i64_i32 v[10:11], s[6:7], s23, v20, 0
	v_lshl_add_u64 v[10:11], v[10:11], 1, s[4:5]
	v_lshlrev_b32_e32 v12, 1, v18
	v_mov_b32_e32 v13, 0
	v_lshl_add_u64 v[10:11], v[10:11], 0, v[12:13]
	global_load_dwordx4 v[10:13], v[10:11], off offset:128
.LBB121_39:
	s_or_b64 exec, exec, s[2:3]
	v_mov_b32_e32 v16, 0
	v_mov_b32_e32 v15, 0
	;; [unrolled: 1-line block ×3, first 2 shown]
	s_and_saveexec_b64 s[2:3], s[0:1]
	s_cbranch_execz .LBB121_41
; %bb.40:
	v_mad_i64_i32 v[14:15], s[0:1], s23, v21, 0
	v_lshl_add_u64 v[14:15], v[14:15], 1, s[4:5]
	v_lshlrev_b32_e32 v16, 1, v18
	v_mov_b32_e32 v17, 0
	v_lshl_add_u64 v[14:15], v[14:15], 0, v[16:17]
	global_load_dwordx4 v[14:17], v[14:15], off offset:128
.LBB121_41:
	s_or_b64 exec, exec, s[2:3]
	s_branch .LBB121_45
.LBB121_42:
                                        ; implicit-def: $vgpr5
                                        ; implicit-def: $vgpr9
                                        ; implicit-def: $vgpr13
                                        ; implicit-def: $vgpr17
	v_lshrrev_b32_e32 v35, 2, v35
	s_branch .LBB121_46
.LBB121_43:
                                        ; implicit-def: $vgpr5
                                        ; implicit-def: $vgpr9
                                        ; implicit-def: $vgpr13
                                        ; implicit-def: $vgpr17
	s_cbranch_execz .LBB121_45
; %bb.44:
	s_waitcnt vmcnt(0)
	v_mad_u64_u32 v[2:3], s[0:1], v20, s23, v[18:19]
	v_lshlrev_b32_e32 v20, 1, v2
	s_lshl_b32 s2, s23, 7
	s_and_b32 s1, s5, 0xffff
	s_mov_b32 s3, 0x20000
	s_mov_b32 s0, s4
	v_add_lshl_u32 v21, v2, s23, 1
	s_movk_i32 s6, 0x80
	buffer_load_dwordx4 v[2:5], v20, s[0:3], 0 offen
	buffer_load_dwordx4 v[10:13], v20, s[0:3], s6 offen
	;; [unrolled: 1-line block ×4, first 2 shown]
.LBB121_45:
	v_lshrrev_b32_e32 v35, 2, v35
	s_cbranch_execnz .LBB121_58
.LBB121_46:
	s_and_b64 vcc, exec, s[14:15]
	s_cbranch_vccz .LBB121_56
; %bb.47:
	s_waitcnt vmcnt(0)
	v_lshlrev_b32_e32 v7, 1, v30
	v_cmp_gt_i32_e32 vcc, s31, v7
	v_mov_b32_e32 v6, 0
	v_lshlrev_b32_e32 v14, 9, v30
	v_mov_b32_e32 v2, 0
	v_mov_b32_e32 v3, 0
	;; [unrolled: 1-line block ×4, first 2 shown]
	s_and_saveexec_b64 s[0:1], vcc
	s_cbranch_execz .LBB121_49
; %bb.48:
	v_mov_b32_e32 v15, 0
	v_lshl_add_u64 v[2:3], s[4:5], 0, v[14:15]
	v_lshlrev_b32_e32 v4, 1, v18
	v_mov_b32_e32 v5, v15
	v_lshl_add_u64 v[2:3], v[2:3], 0, v[4:5]
	global_load_dwordx4 v[2:5], v[2:3], off
.LBB121_49:
	s_or_b64 exec, exec, s[0:1]
	v_or_b32_e32 v7, 1, v7
	v_cmp_gt_i32_e64 s[0:1], s31, v7
	v_lshlrev_b32_e32 v20, 8, v7
	v_mov_b32_e32 v7, 0
	v_mov_b32_e32 v8, 0
	v_mov_b32_e32 v9, 0
	s_and_saveexec_b64 s[2:3], s[0:1]
	s_cbranch_execz .LBB121_51
; %bb.50:
	v_mov_b32_e32 v21, 0
	v_lshl_add_u64 v[6:7], s[4:5], 0, v[20:21]
	v_lshlrev_b32_e32 v8, 1, v18
	v_mov_b32_e32 v9, v21
	v_lshl_add_u64 v[6:7], v[6:7], 0, v[8:9]
	global_load_dwordx4 v[6:9], v[6:7], off
.LBB121_51:
	s_or_b64 exec, exec, s[2:3]
	v_mov_b32_e32 v17, 0
	v_mov_b32_e32 v10, 0
	;; [unrolled: 1-line block ×5, first 2 shown]
	s_and_saveexec_b64 s[2:3], vcc
	s_cbranch_execz .LBB121_53
; %bb.52:
	v_mov_b32_e32 v15, 0
	v_lshl_add_u64 v[10:11], s[4:5], 0, v[14:15]
	v_lshlrev_b32_e32 v14, 1, v18
	v_lshl_add_u64 v[10:11], v[10:11], 0, v[14:15]
	global_load_dwordx4 v[10:13], v[10:11], off offset:128
.LBB121_53:
	s_or_b64 exec, exec, s[2:3]
	v_mov_b32_e32 v16, 0
	v_mov_b32_e32 v15, 0
	;; [unrolled: 1-line block ×3, first 2 shown]
	s_and_saveexec_b64 s[2:3], s[0:1]
	s_cbranch_execz .LBB121_55
; %bb.54:
	v_mov_b32_e32 v21, 0
	v_lshl_add_u64 v[14:15], s[4:5], 0, v[20:21]
	v_lshlrev_b32_e32 v20, 1, v18
	v_lshl_add_u64 v[14:15], v[14:15], 0, v[20:21]
	global_load_dwordx4 v[14:17], v[14:15], off offset:128
.LBB121_55:
	s_or_b64 exec, exec, s[2:3]
	s_branch .LBB121_58
.LBB121_56:
                                        ; implicit-def: $vgpr5
                                        ; implicit-def: $vgpr9
                                        ; implicit-def: $vgpr13
                                        ; implicit-def: $vgpr17
	s_cbranch_execz .LBB121_58
; %bb.57:
	s_waitcnt vmcnt(0)
	v_lshlrev_b32_e32 v2, 1, v18
	v_lshl_or_b32 v18, v30, 9, v2
	s_and_b32 s5, s5, 0xffff
	s_mov_b32 s7, 0x20000
	s_movk_i32 s6, 0x4000
	s_movk_i32 s0, 0x80
	buffer_load_dwordx4 v[2:5], v18, s[4:7], 0 offen
	buffer_load_dwordx4 v[6:9], v18, s[4:7], 0 offen offset:256
	buffer_load_dwordx4 v[10:13], v18, s[4:7], s0 offen
	buffer_load_dwordx4 v[14:17], v18, s[4:7], s0 offen offset:256
.LBB121_58:
	ds_read_b64 v[20:21], v31 offset:57344
	v_add_u32_e32 v18, 0x6000, v26
	ds_read2_b64 v[78:81], v18 offset1:16
	ds_read_b64 v[96:97], v32 offset:57344
	ds_read_b64 v[32:33], v33 offset:57344
	;; [unrolled: 1-line block ×3, first 2 shown]
	ds_read2st64_b64 v[82:85], v26 offset0:52 offset1:56
	v_and_b32_e32 v31, 1, v0
	v_cmp_eq_u32_e32 vcc, 0, v31
	s_mov_b32 s0, 0x1000504
	s_waitcnt vmcnt(0)
	v_perm_b32 v31, v10, v14, s0
	s_mov_b32 s1, 0x3020706
	s_waitcnt lgkmcnt(4)
	v_mfma_f32_16x16x16_bf16 a[0:3], v[20:21], v[78:79], a[0:3]
	v_mfma_f32_16x16x16_bf16 a[4:7], v[20:21], v[80:81], a[4:7]
	ds_read2_b64 v[78:81], v18 offset0:32 offset1:48
	v_and_b32_e32 v18, 6, v0
	v_xor_b32_e32 v30, v30, v18
	s_waitcnt lgkmcnt(0)
	v_mfma_f32_16x16x16_bf16 a[8:11], v[20:21], v[78:79], a[8:11]
	v_lshlrev_b32_e32 v30, 2, v30
	v_xor_b32_e32 v77, 0x440, v30
	v_cndmask_b32_e32 v30, v77, v30, vcc
	v_mfma_f32_16x16x16_bf16 a[12:15], v[20:21], v[80:81], a[12:15]
	ds_read2st64_b64 v[78:81], v27 offset0:52 offset1:56
	ds_read2st64_b64 v[88:91], v28 offset0:52 offset1:56
	;; [unrolled: 1-line block ×3, first 2 shown]
	v_lshl_or_b32 v18, v18, 10, v30
	v_perm_b32 v30, v2, v6, s0
	v_mfma_f32_16x16x16_bf16 a[0:3], v[96:97], v[82:83], a[0:3]
	ds_read_b64 v[20:21], v26 offset:30720
	ds_read_b64 v[82:83], v27 offset:30720
	;; [unrolled: 1-line block ×4, first 2 shown]
	ds_write2st64_b32 v18, v30, v31 offset0:128 offset1:160
	v_xor_b32_e32 v30, 8, v18
	s_waitcnt lgkmcnt(7)
	v_mfma_f32_16x16x16_bf16 a[4:7], v[96:97], v[78:79], a[4:7]
	v_perm_b32 v2, v2, v6, s1
	v_perm_b32 v6, v10, v14, s1
	v_add_u32_e32 v10, 0x80, v30
	s_waitcnt lgkmcnt(6)
	v_mfma_f32_16x16x16_bf16 a[8:11], v[96:97], v[88:89], a[8:11]
	ds_write2st64_b32 v10, v2, v6 offset0:128 offset1:160
	v_xor_b32_e32 v2, 16, v18
	v_perm_b32 v6, v3, v7, s0
	s_waitcnt lgkmcnt(6)
	v_mfma_f32_16x16x16_bf16 a[12:15], v[96:97], v[92:93], a[12:15]
	v_perm_b32 v10, v11, v15, s0
	ds_write2st64_b32 v2, v6, v10 offset0:129 offset1:161
	v_xor_b32_e32 v2, 24, v18
	v_mfma_f32_16x16x16_bf16 a[0:3], v[32:33], v[84:85], a[0:3]
	v_perm_b32 v3, v3, v7, s1
	v_perm_b32 v6, v11, v15, s1
	v_add_u32_e32 v2, 0x80, v2
	v_mfma_f32_16x16x16_bf16 a[4:7], v[32:33], v[80:81], a[4:7]
	ds_write2st64_b32 v2, v3, v6 offset0:129 offset1:161
	v_xor_b32_e32 v2, 32, v18
	v_perm_b32 v3, v4, v8, s0
	v_mfma_f32_16x16x16_bf16 a[16:19], v[32:33], v[90:91], a[8:11]
	v_perm_b32 v6, v12, v16, s0
	ds_write2st64_b32 v2, v3, v6 offset0:130 offset1:162
	v_xor_b32_e32 v2, 40, v18
	v_mfma_f32_16x16x16_bf16 a[20:23], v[32:33], v[94:95], a[12:15]
	v_perm_b32 v3, v4, v8, s1
	v_perm_b32 v4, v12, v16, s1
	v_add_u32_e32 v2, 0x80, v2
	s_waitcnt lgkmcnt(8)
	v_mfma_f32_16x16x16_bf16 a[12:15], v[98:99], v[20:21], a[0:3]
	ds_write2st64_b32 v2, v3, v4 offset0:130 offset1:162
	v_xor_b32_e32 v2, 48, v18
	v_perm_b32 v3, v5, v9, s0
	s_waitcnt lgkmcnt(8)
	v_mfma_f32_16x16x16_bf16 a[8:11], v[98:99], v[82:83], a[4:7]
	v_perm_b32 v4, v13, v17, s0
	ds_write2st64_b32 v2, v3, v4 offset0:131 offset1:163
	v_xor_b32_e32 v2, 56, v18
	s_waitcnt lgkmcnt(8)
	v_mfma_f32_16x16x16_bf16 a[4:7], v[98:99], v[100:101], a[16:19]
	v_and_or_b32 v31, v35, 12, v86
	v_perm_b32 v3, v5, v9, s1
	v_perm_b32 v4, v13, v17, s1
	s_waitcnt lgkmcnt(7)
	v_mfma_f32_16x16x16_bf16 a[0:3], v[98:99], v[102:103], a[20:23]
	v_add_u32_e32 v2, 0x80, v2
	v_cmp_gt_i32_e32 vcc, s31, v31
	v_mov_b32_e32 v20, 0
	v_mov_b32_e32 v21, 0
	ds_write2st64_b32 v2, v3, v4 offset0:131 offset1:163
	s_and_saveexec_b64 s[0:1], vcc
	s_cbranch_execz .LBB121_60
; %bb.59:
	v_add_u32_e32 v2, s30, v31
	v_ashrrev_i32_e32 v3, 31, v2
	v_mul_lo_u32 v4, v3, s36
	v_mul_lo_u32 v5, v2, s37
	v_mad_u64_u32 v[2:3], s[2:3], v2, s36, 0
	v_add3_u32 v3, v3, v5, v4
	v_lshl_add_u64 v[2:3], v[2:3], 2, s[12:13]
	global_load_dword v2, v[2:3], off
	s_waitcnt vmcnt(0)
	v_sub_f32_e32 v2, s18, v2
	v_mul_f32_e32 v2, 0x3fb8aa3b, v2
	v_exp_f32_e32 v21, v2
.LBB121_60:
	s_or_b64 exec, exec, s[0:1]
	v_or_b32_e32 v11, 1, v31
	v_cmp_gt_i32_e64 s[2:3], s31, v11
	s_and_saveexec_b64 s[0:1], s[2:3]
	s_cbranch_execz .LBB121_62
; %bb.61:
	v_add_u32_e32 v2, s30, v11
	v_ashrrev_i32_e32 v3, 31, v2
	v_mul_lo_u32 v4, v3, s36
	v_mul_lo_u32 v5, v2, s37
	v_mad_u64_u32 v[2:3], s[4:5], v2, s36, 0
	v_add3_u32 v3, v3, v5, v4
	v_lshl_add_u64 v[2:3], v[2:3], 2, s[12:13]
	global_load_dword v2, v[2:3], off
	s_waitcnt vmcnt(0)
	v_sub_f32_e32 v2, s18, v2
	v_mul_f32_e32 v2, 0x3fb8aa3b, v2
	v_exp_f32_e32 v20, v2
.LBB121_62:
	s_or_b64 exec, exec, s[0:1]
	v_or_b32_e32 v10, 2, v31
	v_cmp_gt_i32_e64 s[4:5], s31, v10
	v_mov_b32_e32 v18, 0
	v_mov_b32_e32 v30, 0
	s_and_saveexec_b64 s[0:1], s[4:5]
	s_cbranch_execz .LBB121_64
; %bb.63:
	v_add_u32_e32 v2, s30, v10
	v_ashrrev_i32_e32 v3, 31, v2
	v_mul_lo_u32 v4, v3, s36
	v_mul_lo_u32 v5, v2, s37
	v_mad_u64_u32 v[2:3], s[6:7], v2, s36, 0
	v_add3_u32 v3, v3, v5, v4
	v_lshl_add_u64 v[2:3], v[2:3], 2, s[12:13]
	global_load_dword v2, v[2:3], off
	s_waitcnt vmcnt(0)
	v_sub_f32_e32 v2, s18, v2
	v_mul_f32_e32 v2, 0x3fb8aa3b, v2
	v_exp_f32_e32 v30, v2
.LBB121_64:
	s_or_b64 exec, exec, s[0:1]
	v_or_b32_e32 v32, 3, v31
	v_cmp_gt_i32_e64 s[0:1], s31, v32
	s_and_saveexec_b64 s[6:7], s[0:1]
	s_cbranch_execz .LBB121_66
; %bb.65:
	v_add_u32_e32 v2, s30, v32
	v_ashrrev_i32_e32 v3, 31, v2
	v_mul_lo_u32 v4, v3, s36
	v_mul_lo_u32 v5, v2, s37
	v_mad_u64_u32 v[2:3], s[14:15], v2, s36, 0
	v_add3_u32 v3, v3, v5, v4
	v_lshl_add_u64 v[2:3], v[2:3], 2, s[12:13]
	global_load_dword v2, v[2:3], off
	s_waitcnt vmcnt(0)
	v_sub_f32_e32 v2, s18, v2
	v_mul_f32_e32 v2, 0x3fb8aa3b, v2
	v_exp_f32_e32 v18, v2
.LBB121_66:
	s_or_b64 exec, exec, s[6:7]
	s_add_u32 s6, s16, s24
	s_addc_u32 s7, s17, s25
	s_add_u32 s8, s8, s24
	v_ashrrev_i32_e32 v77, 31, v76
	v_accvgpr_read_b32 v2, a12
	s_addc_u32 s9, s9, s25
	v_lshlrev_b64 v[6:7], 1, v[76:77]
	v_accvgpr_read_b32 v3, a13
	v_accvgpr_read_b32 v4, a14
	;; [unrolled: 1-line block ×3, first 2 shown]
	v_lshl_add_u64 v[8:9], s[6:7], 0, v[6:7]
	v_lshl_add_u64 v[6:7], s[8:9], 0, v[6:7]
	v_mov_b32_e32 v15, 0
	v_lshlrev_b32_e32 v12, 8, v31
	v_mov_b32_e32 v13, 0
	s_and_saveexec_b64 s[6:7], vcc
	s_cbranch_execz .LBB121_68
; %bb.67:
	v_mov_b32_e32 v13, 0
	v_lshl_add_u64 v[16:17], v[8:9], 0, v[12:13]
	global_load_ushort v14, v[16:17], off
	v_lshl_add_u64 v[16:17], v[6:7], 0, v[12:13]
	s_waitcnt vmcnt(0)
	v_lshlrev_b32_e32 v13, 16, v14
	v_sub_f32_e32 v2, v13, v2
	global_store_short_d16_hi v[16:17], v2, off
	v_mul_f32_e32 v2, v21, v2
	v_lshrrev_b32_e32 v13, 16, v2
.LBB121_68:
	s_or_b64 exec, exec, s[6:7]
	v_lshlrev_b32_e32 v14, 8, v11
	s_and_saveexec_b64 s[6:7], s[2:3]
	s_cbranch_execz .LBB121_70
; %bb.69:
	v_mov_b32_e32 v15, 0
	v_lshl_add_u64 v[16:17], v[8:9], 0, v[14:15]
	global_load_ushort v2, v[16:17], off
	v_lshl_add_u64 v[16:17], v[6:7], 0, v[14:15]
	s_waitcnt vmcnt(0)
	v_lshlrev_b32_e32 v2, 16, v2
	v_sub_f32_e32 v2, v2, v3
	global_store_short_d16_hi v[16:17], v2, off
	v_mul_f32_e32 v2, v20, v2
	v_lshrrev_b32_e32 v15, 16, v2
.LBB121_70:
	s_or_b64 exec, exec, s[6:7]
	v_mov_b32_e32 v11, 0
	v_lshlrev_b32_e32 v16, 8, v10
	v_mov_b32_e32 v17, 0
	s_and_saveexec_b64 s[6:7], s[4:5]
	s_cbranch_execz .LBB121_72
; %bb.71:
	v_mov_b32_e32 v17, 0
	v_lshl_add_u64 v[2:3], v[8:9], 0, v[16:17]
	global_load_ushort v10, v[2:3], off
	v_lshl_add_u64 v[2:3], v[6:7], 0, v[16:17]
	s_waitcnt vmcnt(0)
	v_lshlrev_b32_e32 v10, 16, v10
	v_sub_f32_e32 v4, v10, v4
	global_store_short_d16_hi v[2:3], v4, off
	v_mul_f32_e32 v2, v30, v4
	v_lshrrev_b32_e32 v17, 16, v2
.LBB121_72:
	s_or_b64 exec, exec, s[6:7]
	v_lshlrev_b32_e32 v10, 8, v32
	s_and_saveexec_b64 s[6:7], s[0:1]
	s_cbranch_execz .LBB121_74
; %bb.73:
	v_mov_b32_e32 v11, 0
	v_lshl_add_u64 v[2:3], v[8:9], 0, v[10:11]
	global_load_ushort v4, v[2:3], off
	v_lshl_add_u64 v[2:3], v[6:7], 0, v[10:11]
	s_waitcnt vmcnt(0)
	v_lshlrev_b32_e32 v4, 16, v4
	v_sub_f32_e32 v4, v4, v5
	global_store_short_d16_hi v[2:3], v4, off
	v_mul_f32_e32 v2, v18, v4
	v_lshrrev_b32_e32 v11, 16, v2
.LBB121_74:
	s_or_b64 exec, exec, s[6:7]
	v_lshlrev_b32_e32 v31, 6, v31
	s_mov_b32 s6, 0x5040100
	v_accvgpr_read_b32 v2, a8
	v_perm_b32 v33, v11, v17, s6
	v_or_b32_e32 v11, v31, v24
	v_accvgpr_read_b32 v3, a9
	v_accvgpr_read_b32 v4, a10
	;; [unrolled: 1-line block ×3, first 2 shown]
	v_perm_b32 v32, v15, v13, s6
	v_lshlrev_b32_e32 v11, 1, v11
	v_mov_b32_e32 v15, 0
	v_mov_b32_e32 v13, 0
	ds_write_b64 v11, v[32:33] offset:24576
	s_and_saveexec_b64 s[6:7], vcc
	s_cbranch_execz .LBB121_76
; %bb.75:
	v_mov_b32_e32 v13, 0
	v_lshl_add_u64 v[32:33], v[8:9], 0, v[12:13]
	global_load_ushort v11, v[32:33], off offset:32
	v_lshl_add_u64 v[32:33], v[6:7], 0, v[12:13]
	s_waitcnt vmcnt(0)
	v_lshlrev_b32_e32 v11, 16, v11
	v_sub_f32_e32 v2, v11, v2
	global_store_short_d16_hi v[32:33], v2, off offset:32
	v_mul_f32_e32 v2, v21, v2
	v_lshrrev_b32_e32 v13, 16, v2
.LBB121_76:
	s_or_b64 exec, exec, s[6:7]
	s_and_saveexec_b64 s[6:7], s[2:3]
	s_cbranch_execz .LBB121_78
; %bb.77:
	v_mov_b32_e32 v15, 0
	v_lshl_add_u64 v[32:33], v[8:9], 0, v[14:15]
	global_load_ushort v2, v[32:33], off offset:32
	v_lshl_add_u64 v[32:33], v[6:7], 0, v[14:15]
	s_waitcnt vmcnt(0)
	v_lshlrev_b32_e32 v2, 16, v2
	v_sub_f32_e32 v2, v2, v3
	global_store_short_d16_hi v[32:33], v2, off offset:32
	v_mul_f32_e32 v2, v20, v2
	v_lshrrev_b32_e32 v15, 16, v2
.LBB121_78:
	s_or_b64 exec, exec, s[6:7]
	v_mov_b32_e32 v11, 0
	v_mov_b32_e32 v17, 0
	s_and_saveexec_b64 s[6:7], s[4:5]
	s_cbranch_execz .LBB121_80
; %bb.79:
	v_mov_b32_e32 v17, 0
	v_lshl_add_u64 v[2:3], v[8:9], 0, v[16:17]
	global_load_ushort v24, v[2:3], off offset:32
	v_lshl_add_u64 v[2:3], v[6:7], 0, v[16:17]
	s_waitcnt vmcnt(0)
	v_lshlrev_b32_e32 v17, 16, v24
	v_sub_f32_e32 v4, v17, v4
	global_store_short_d16_hi v[2:3], v4, off offset:32
	v_mul_f32_e32 v2, v30, v4
	v_lshrrev_b32_e32 v17, 16, v2
.LBB121_80:
	s_or_b64 exec, exec, s[6:7]
	s_and_saveexec_b64 s[6:7], s[0:1]
	s_cbranch_execz .LBB121_82
; %bb.81:
	v_mov_b32_e32 v11, 0
	v_lshl_add_u64 v[2:3], v[8:9], 0, v[10:11]
	global_load_ushort v4, v[2:3], off offset:32
	v_lshl_add_u64 v[2:3], v[6:7], 0, v[10:11]
	s_waitcnt vmcnt(0)
	v_lshlrev_b32_e32 v4, 16, v4
	v_sub_f32_e32 v4, v4, v5
	global_store_short_d16_hi v[2:3], v4, off offset:32
	v_mul_f32_e32 v2, v18, v4
	v_lshrrev_b32_e32 v11, 16, v2
.LBB121_82:
	s_or_b64 exec, exec, s[6:7]
	s_mov_b32 s6, 0x5040100
	v_accvgpr_read_b32 v2, a4
	v_perm_b32 v33, v11, v17, s6
	v_or_b32_e32 v11, v31, v23
	v_accvgpr_read_b32 v3, a5
	v_accvgpr_read_b32 v4, a6
	;; [unrolled: 1-line block ×3, first 2 shown]
	v_perm_b32 v32, v15, v13, s6
	v_lshlrev_b32_e32 v11, 1, v11
	v_mov_b32_e32 v15, 0
	v_mov_b32_e32 v13, 0
	ds_write_b64 v11, v[32:33] offset:24576
	s_and_saveexec_b64 s[6:7], vcc
	s_cbranch_execz .LBB121_84
; %bb.83:
	v_mov_b32_e32 v13, 0
	v_lshl_add_u64 v[32:33], v[8:9], 0, v[12:13]
	global_load_ushort v11, v[32:33], off offset:64
	v_lshl_add_u64 v[32:33], v[6:7], 0, v[12:13]
	s_waitcnt vmcnt(0)
	v_lshlrev_b32_e32 v11, 16, v11
	v_sub_f32_e32 v2, v11, v2
	global_store_short_d16_hi v[32:33], v2, off offset:64
	v_mul_f32_e32 v2, v21, v2
	v_lshrrev_b32_e32 v13, 16, v2
.LBB121_84:
	s_or_b64 exec, exec, s[6:7]
	s_and_saveexec_b64 s[6:7], s[2:3]
	s_cbranch_execz .LBB121_86
; %bb.85:
	v_mov_b32_e32 v15, 0
	v_lshl_add_u64 v[32:33], v[8:9], 0, v[14:15]
	global_load_ushort v2, v[32:33], off offset:64
	v_lshl_add_u64 v[32:33], v[6:7], 0, v[14:15]
	s_waitcnt vmcnt(0)
	v_lshlrev_b32_e32 v2, 16, v2
	v_sub_f32_e32 v2, v2, v3
	global_store_short_d16_hi v[32:33], v2, off offset:64
	v_mul_f32_e32 v2, v20, v2
	v_lshrrev_b32_e32 v15, 16, v2
.LBB121_86:
	s_or_b64 exec, exec, s[6:7]
	v_mov_b32_e32 v11, 0
	v_mov_b32_e32 v17, 0
	s_and_saveexec_b64 s[6:7], s[4:5]
	s_cbranch_execz .LBB121_88
; %bb.87:
	v_mov_b32_e32 v17, 0
	v_lshl_add_u64 v[2:3], v[8:9], 0, v[16:17]
	global_load_ushort v23, v[2:3], off offset:64
	v_lshl_add_u64 v[2:3], v[6:7], 0, v[16:17]
	s_waitcnt vmcnt(0)
	v_lshlrev_b32_e32 v17, 16, v23
	v_sub_f32_e32 v4, v17, v4
	global_store_short_d16_hi v[2:3], v4, off offset:64
	v_mul_f32_e32 v2, v30, v4
	v_lshrrev_b32_e32 v17, 16, v2
.LBB121_88:
	s_or_b64 exec, exec, s[6:7]
	s_and_saveexec_b64 s[6:7], s[0:1]
	s_cbranch_execz .LBB121_90
; %bb.89:
	v_mov_b32_e32 v11, 0
	v_lshl_add_u64 v[2:3], v[8:9], 0, v[10:11]
	global_load_ushort v4, v[2:3], off offset:64
	v_lshl_add_u64 v[2:3], v[6:7], 0, v[10:11]
	s_waitcnt vmcnt(0)
	v_lshlrev_b32_e32 v4, 16, v4
	v_sub_f32_e32 v4, v4, v5
	global_store_short_d16_hi v[2:3], v4, off offset:64
	v_mul_f32_e32 v2, v18, v4
	v_lshrrev_b32_e32 v11, 16, v2
.LBB121_90:
	s_or_b64 exec, exec, s[6:7]
	s_mov_b32 s6, 0x5040100
	v_accvgpr_read_b32 v5, a3
	v_perm_b32 v33, v11, v17, s6
	v_or_b32_e32 v11, v31, v22
	v_accvgpr_read_b32 v4, a2
	v_accvgpr_read_b32 v3, a1
	;; [unrolled: 1-line block ×3, first 2 shown]
	v_perm_b32 v32, v15, v13, s6
	v_lshlrev_b32_e32 v11, 1, v11
	v_mov_b32_e32 v15, 0
	v_mov_b32_e32 v13, 0
	ds_write_b64 v11, v[32:33] offset:24576
	s_and_saveexec_b64 s[6:7], vcc
	s_cbranch_execz .LBB121_92
; %bb.91:
	v_mov_b32_e32 v13, 0
	v_lshl_add_u64 v[22:23], v[8:9], 0, v[12:13]
	global_load_ushort v11, v[22:23], off offset:96
	v_lshl_add_u64 v[12:13], v[6:7], 0, v[12:13]
	s_waitcnt vmcnt(0)
	v_lshlrev_b32_e32 v11, 16, v11
	v_sub_f32_e32 v2, v11, v2
	global_store_short_d16_hi v[12:13], v2, off offset:96
	v_mul_f32_e32 v2, v21, v2
	v_lshrrev_b32_e32 v13, 16, v2
.LBB121_92:
	s_or_b64 exec, exec, s[6:7]
	s_and_saveexec_b64 s[6:7], s[2:3]
	s_cbranch_execz .LBB121_94
; %bb.93:
	v_mov_b32_e32 v15, 0
	v_lshl_add_u64 v[22:23], v[8:9], 0, v[14:15]
	global_load_ushort v2, v[22:23], off offset:96
	v_lshl_add_u64 v[14:15], v[6:7], 0, v[14:15]
	s_waitcnt vmcnt(0)
	v_lshlrev_b32_e32 v2, 16, v2
	v_sub_f32_e32 v2, v2, v3
	global_store_short_d16_hi v[14:15], v2, off offset:96
	v_mul_f32_e32 v2, v20, v2
	v_lshrrev_b32_e32 v15, 16, v2
.LBB121_94:
	s_or_b64 exec, exec, s[6:7]
	v_mov_b32_e32 v11, 0
	v_mov_b32_e32 v14, 0
	s_and_saveexec_b64 s[2:3], s[4:5]
	s_cbranch_execz .LBB121_96
; %bb.95:
	v_mov_b32_e32 v17, 0
	v_lshl_add_u64 v[2:3], v[8:9], 0, v[16:17]
	global_load_ushort v12, v[2:3], off offset:96
	v_lshl_add_u64 v[2:3], v[6:7], 0, v[16:17]
	s_waitcnt vmcnt(0)
	v_lshlrev_b32_e32 v12, 16, v12
	v_sub_f32_e32 v4, v12, v4
	global_store_short_d16_hi v[2:3], v4, off offset:96
	v_mul_f32_e32 v2, v30, v4
	v_lshrrev_b32_e32 v14, 16, v2
.LBB121_96:
	s_or_b64 exec, exec, s[2:3]
	v_or_b32_e32 v12, 0x6000, v26
	v_or_b32_e32 v4, 0x6000, v27
	;; [unrolled: 1-line block ×4, first 2 shown]
	s_and_saveexec_b64 s[2:3], s[0:1]
	s_cbranch_execz .LBB121_98
; %bb.97:
	v_mov_b32_e32 v11, 0
	v_lshl_add_u64 v[8:9], v[8:9], 0, v[10:11]
	global_load_ushort v8, v[8:9], off offset:96
	v_lshl_add_u64 v[6:7], v[6:7], 0, v[10:11]
	s_waitcnt vmcnt(0)
	v_lshlrev_b32_e32 v8, 16, v8
	v_sub_f32_e32 v5, v8, v5
	global_store_short_d16_hi v[6:7], v5, off offset:96
	v_mul_f32_e32 v5, v18, v5
	v_lshrrev_b32_e32 v11, 16, v5
.LBB121_98:
	s_or_b64 exec, exec, s[2:3]
	s_mov_b32 s0, 0x5040100
	v_or_b32_e32 v5, v31, v19
	v_perm_b32 v7, v11, v14, s0
	v_perm_b32 v6, v15, v13, s0
	v_lshlrev_b32_e32 v5, 1, v5
	s_movk_i32 s0, 0x100
	ds_write_b64 v5, v[6:7] offset:24576
	v_and_b32_e32 v5, 7, v0
	v_and_b32_e32 v6, 8, v0
	v_cmp_gt_u32_e32 vcc, s0, v0
	v_lshrrev_b32_e32 v0, 1, v0
	v_lshlrev_b32_e32 v23, 3, v1
	v_and_b32_e32 v24, 24, v0
	v_mov_b32_e32 v7, 0xa000
	v_mov_b32_e32 v8, 0x8000
	v_xor_b32_e32 v0, v23, v24
	v_cndmask_b32_e32 v22, v7, v8, vcc
	v_or_b32_e32 v1, 0x440, v0
	v_cmp_eq_u32_e32 vcc, 0, v6
	v_lshlrev_b32_e32 v13, 3, v5
	v_lshlrev_b32_e32 v5, 7, v5
	v_cndmask_b32_e32 v0, v1, v0, vcc
	v_or_b32_e32 v0, v0, v25
	v_xad_u32 v35, v0, v13, v5
	v_or_b32_e32 v10, 32, v24
	v_add_u32_e32 v0, v22, v35
	v_xor_b32_e32 v10, v23, v10
	s_waitcnt lgkmcnt(0)
	s_barrier
	ds_read_b64 v[0:1], v0
	ds_read2_b64 v[6:9], v12 offset1:16
	ds_read2_b64 v[14:17], v12 offset0:32 offset1:48
	v_or_b32_e32 v11, 0x440, v10
	v_cndmask_b32_e32 v10, v11, v10, vcc
	v_or_b32_e32 v10, v10, v25
	v_xad_u32 v80, v10, v13, v5
	v_add_u32_e32 v10, v22, v80
	s_waitcnt lgkmcnt(1)
	v_mfma_f32_16x16x16_bf16 a[0:3], v[0:1], v[6:7], 0
	ds_read_b64 v[10:11], v10
	ds_read2st64_b64 v[18:21], v12 offset0:4 offset1:8
	ds_read2st64_b64 v[26:29], v4 offset0:4 offset1:8
	v_mfma_f32_16x16x16_bf16 a[4:7], v[0:1], v[8:9], 0
	ds_read2st64_b64 v[30:33], v3 offset0:4 offset1:8
	ds_read2st64_b64 v[76:79], v2 offset0:4 offset1:8
	s_waitcnt lgkmcnt(5)
	v_mfma_f32_16x16x16_bf16 a[8:11], v[0:1], v[14:15], 0
	v_mfma_f32_16x16x16_bf16 a[12:15], v[0:1], v[16:17], 0
	v_or_b32_e32 v0, 64, v24
	v_xor_b32_e32 v0, v23, v0
	v_xor_b32_e32 v1, 0x440, v0
	v_cndmask_b32_e32 v0, v1, v0, vcc
	v_or_b32_e32 v0, v0, v25
	v_xad_u32 v81, v0, v13, v5
	v_add_u32_e32 v0, v22, v81
	ds_read_b64 v[0:1], v0
	s_waitcnt lgkmcnt(4)
	v_mfma_f32_16x16x16_bf16 a[0:3], v[10:11], v[18:19], a[0:3]
	s_waitcnt lgkmcnt(3)
	v_mfma_f32_16x16x16_bf16 a[4:7], v[10:11], v[26:27], a[4:7]
	;; [unrolled: 2-line block ×4, first 2 shown]
	v_or_b32_e32 v10, 0x60, v24
	v_xor_b32_e32 v10, v23, v10
	v_xor_b32_e32 v11, 0x440, v10
	v_cndmask_b32_e32 v10, v11, v10, vcc
	v_or_b32_e32 v10, v10, v25
	v_xad_u32 v23, v10, v13, v5
	v_add_u32_e32 v5, v22, v23
	s_waitcnt lgkmcnt(0)
	v_mfma_f32_16x16x16_bf16 a[0:3], v[0:1], v[20:21], a[0:3]
	ds_read_b64 v[10:11], v5
	ds_read_b64 v[12:13], v12 offset:6144
	v_mfma_f32_16x16x16_bf16 a[4:7], v[0:1], v[28:29], a[4:7]
	v_mfma_f32_16x16x16_bf16 a[8:11], v[0:1], v[32:33], a[8:11]
	;; [unrolled: 1-line block ×3, first 2 shown]
	ds_read_b64 v[0:1], v4 offset:6144
	ds_read_b64 v[4:5], v3 offset:6144
	;; [unrolled: 1-line block ×3, first 2 shown]
	s_waitcnt lgkmcnt(3)
	v_mfma_f32_16x16x16_bf16 a[0:3], v[10:11], v[12:13], a[0:3]
	s_waitcnt lgkmcnt(2)
	v_mfma_f32_16x16x16_bf16 a[4:7], v[10:11], v[0:1], a[4:7]
	;; [unrolled: 2-line block ×4, first 2 shown]
	ds_read_b64 v[10:11], v35 offset:40960
	s_waitcnt lgkmcnt(0)
	v_mfma_f32_16x16x16_bf16 a[16:19], v[10:11], v[6:7], 0
	ds_read_b64 v[6:7], v80 offset:40960
	v_mfma_f32_16x16x16_bf16 a[20:23], v[10:11], v[8:9], 0
	v_mov_b32_e32 v8, 0x3fb8aa3b
	v_mul_f32_e32 v8, s18, v8
	v_exp_f32_e32 v8, v8
	v_mfma_f32_16x16x16_bf16 a[24:27], v[10:11], v[14:15], 0
	v_accvgpr_read_b32 v15, a3
	v_accvgpr_read_b32 v14, a2
	v_pk_fma_f32 v[74:75], v[74:75], v[8:9], v[14:15] op_sel_hi:[1,0,1]
	v_mfma_f32_16x16x16_bf16 a[28:31], v[10:11], v[16:17], 0
	ds_read_b64 v[10:11], v81 offset:40960
	ds_read_b64 v[14:15], v23 offset:40960
	v_accvgpr_read_b32 v17, a7
	s_waitcnt lgkmcnt(2)
	v_mfma_f32_16x16x16_bf16 a[16:19], v[6:7], v[18:19], a[16:19]
	v_accvgpr_read_b32 v16, a6
	v_accvgpr_read_b32 v19, a15
	;; [unrolled: 1-line block ×3, first 2 shown]
	v_mfma_f32_16x16x16_bf16 a[20:23], v[6:7], v[26:27], a[20:23]
	v_pk_fma_f32 v[66:67], v[66:67], v[8:9], v[16:17] op_sel_hi:[1,0,1]
	v_pk_fma_f32 v[52:53], v[52:53], v[8:9], v[18:19] op_sel_hi:[1,0,1]
	v_mfma_f32_16x16x16_bf16 a[24:27], v[6:7], v[30:31], a[24:27]
	v_mfma_f32_16x16x16_bf16 a[28:31], v[6:7], v[76:77], a[28:31]
	v_accvgpr_read_b32 v7, a11
	v_accvgpr_read_b32 v6, a10
	v_pk_fma_f32 v[58:59], v[58:59], v[8:9], v[6:7] op_sel_hi:[1,0,1]
	s_waitcnt lgkmcnt(1)
	v_mfma_f32_16x16x16_bf16 a[16:19], v[10:11], v[20:21], a[16:19]
	v_accvgpr_read_b32 v21, a1
	v_accvgpr_read_b32 v20, a0
	v_pk_fma_f32 v[70:71], v[70:71], v[8:9], v[20:21] op_sel_hi:[1,0,1]
	v_mfma_f32_16x16x16_bf16 a[0:3], v[10:11], v[28:29], a[20:23]
	v_accvgpr_read_b32 v21, a5
	v_accvgpr_read_b32 v20, a4
	;; [unrolled: 1-line block ×3, first 2 shown]
	v_mfma_f32_16x16x16_bf16 a[20:23], v[10:11], v[32:33], a[24:27]
	v_accvgpr_read_b32 v7, a13
	v_pk_fma_f32 v[46:47], v[46:47], v[8:9], v[6:7] op_sel_hi:[1,0,1]
	v_pk_fma_f32 v[62:63], v[62:63], v[8:9], v[20:21] op_sel_hi:[1,0,1]
	v_mfma_f32_16x16x16_bf16 a[4:7], v[10:11], v[78:79], a[28:31]
	v_accvgpr_read_b32 v11, a9
	v_accvgpr_read_b32 v10, a8
	v_pk_fma_f32 v[54:55], v[54:55], v[8:9], v[10:11] op_sel_hi:[1,0,1]
	s_waitcnt lgkmcnt(0)
	v_mfma_f32_16x16x16_bf16 a[8:11], v[14:15], v[12:13], a[16:19]
	v_mfma_f32_16x16x16_bf16 a[0:3], v[14:15], v[0:1], a[0:3]
	s_nop 5
	v_accvgpr_read_b32 v1, a11
	v_accvgpr_read_b32 v0, a10
	v_mfma_f32_16x16x16_bf16 a[10:13], v[14:15], v[4:5], a[20:23]
	v_pk_fma_f32 v[72:73], v[72:73], v[8:9], v[0:1] op_sel_hi:[1,0,1]
	v_accvgpr_read_b32 v7, a3
	v_accvgpr_read_b32 v6, a2
	v_mfma_f32_16x16x16_bf16 a[2:5], v[14:15], v[2:3], a[4:7]
	v_accvgpr_read_b32 v0, a0
	v_accvgpr_read_b32 v1, a1
	v_pk_fma_f32 v[60:61], v[60:61], v[8:9], v[0:1] op_sel_hi:[1,0,1]
	v_accvgpr_read_b32 v0, a10
	v_accvgpr_read_b32 v1, a11
	;; [unrolled: 1-line block ×3, first 2 shown]
	v_pk_fma_f32 v[50:51], v[50:51], v[8:9], v[0:1] op_sel_hi:[1,0,1]
	v_accvgpr_read_b32 v0, a2
	v_accvgpr_read_b32 v5, a13
	;; [unrolled: 1-line block ×7, first 2 shown]
	v_pk_fma_f32 v[68:69], v[68:69], v[8:9], v[10:11] op_sel_hi:[1,0,1]
	v_pk_fma_f32 v[64:65], v[64:65], v[8:9], v[6:7] op_sel_hi:[1,0,1]
	;; [unrolled: 1-line block ×5, first 2 shown]
.LBB121_99:
	s_add_u32 s0, s10, s34
	s_addc_u32 s1, s11, s35
	v_lshl_add_u64 v[0:1], v[36:37], 1, s[0:1]
	v_mov_b32_e32 v35, 0
	s_mov_b32 s2, 0x7060302
	v_lshl_add_u64 v[0:1], v[0:1], 0, v[34:35]
	v_perm_b32 v3, v75, v74, s2
	v_perm_b32 v2, v71, v70, s2
	global_store_dwordx2 v[0:1], v[2:3], off
	v_perm_b32 v3, v73, v72, s2
	v_perm_b32 v2, v69, v68, s2
	global_store_dwordx2 v[0:1], v[2:3], off offset:128
	v_lshl_add_u64 v[0:1], v[38:39], 1, s[0:1]
	v_lshl_add_u64 v[0:1], v[0:1], 0, v[34:35]
	v_perm_b32 v3, v67, v66, s2
	v_perm_b32 v2, v63, v62, s2
	global_store_dwordx2 v[0:1], v[2:3], off
	v_perm_b32 v3, v65, v64, s2
	v_perm_b32 v2, v61, v60, s2
	global_store_dwordx2 v[0:1], v[2:3], off offset:128
	v_lshl_add_u64 v[0:1], v[40:41], 1, s[0:1]
	;; [unrolled: 8-line block ×3, first 2 shown]
	v_lshl_add_u64 v[0:1], v[0:1], 0, v[34:35]
	v_perm_b32 v3, v53, v52, s2
	v_perm_b32 v2, v47, v46, s2
	global_store_dwordx2 v[0:1], v[2:3], off
	v_perm_b32 v3, v49, v48, s2
	v_perm_b32 v2, v45, v44, s2
	global_store_dwordx2 v[0:1], v[2:3], off offset:128
	s_endpgm
	.section	.rodata,"a",@progbits
	.p2align	6, 0x0
	.amdhsa_kernel _ZN12_GLOBAL__N_139chunk_gated_delta_rule_fwd_h_hip_kernelILi64ELb1ELb1ELb1ELb0ELb0ELb0ELb0ELb1EEEvPK12hip_bfloat16S3_S3_PKfS5_PKvPS1_S8_PvPKiSB_iiiiilll
		.amdhsa_group_segment_fixed_size 65536
		.amdhsa_private_segment_fixed_size 0
		.amdhsa_kernarg_size 136
		.amdhsa_user_sgpr_count 2
		.amdhsa_user_sgpr_dispatch_ptr 0
		.amdhsa_user_sgpr_queue_ptr 0
		.amdhsa_user_sgpr_kernarg_segment_ptr 1
		.amdhsa_user_sgpr_dispatch_id 0
		.amdhsa_user_sgpr_kernarg_preload_length 0
		.amdhsa_user_sgpr_kernarg_preload_offset 0
		.amdhsa_user_sgpr_private_segment_size 0
		.amdhsa_uses_dynamic_stack 0
		.amdhsa_enable_private_segment 0
		.amdhsa_system_sgpr_workgroup_id_x 1
		.amdhsa_system_sgpr_workgroup_id_y 1
		.amdhsa_system_sgpr_workgroup_id_z 0
		.amdhsa_system_sgpr_workgroup_info 0
		.amdhsa_system_vgpr_workitem_id 0
		.amdhsa_next_free_vgpr 228
		.amdhsa_next_free_sgpr 72
		.amdhsa_accum_offset 192
		.amdhsa_reserve_vcc 1
		.amdhsa_float_round_mode_32 0
		.amdhsa_float_round_mode_16_64 0
		.amdhsa_float_denorm_mode_32 3
		.amdhsa_float_denorm_mode_16_64 3
		.amdhsa_dx10_clamp 1
		.amdhsa_ieee_mode 1
		.amdhsa_fp16_overflow 0
		.amdhsa_tg_split 0
		.amdhsa_exception_fp_ieee_invalid_op 0
		.amdhsa_exception_fp_denorm_src 0
		.amdhsa_exception_fp_ieee_div_zero 0
		.amdhsa_exception_fp_ieee_overflow 0
		.amdhsa_exception_fp_ieee_underflow 0
		.amdhsa_exception_fp_ieee_inexact 0
		.amdhsa_exception_int_div_zero 0
	.end_amdhsa_kernel
	.section	.text._ZN12_GLOBAL__N_139chunk_gated_delta_rule_fwd_h_hip_kernelILi64ELb1ELb1ELb1ELb0ELb0ELb0ELb0ELb1EEEvPK12hip_bfloat16S3_S3_PKfS5_PKvPS1_S8_PvPKiSB_iiiiilll,"axG",@progbits,_ZN12_GLOBAL__N_139chunk_gated_delta_rule_fwd_h_hip_kernelILi64ELb1ELb1ELb1ELb0ELb0ELb0ELb0ELb1EEEvPK12hip_bfloat16S3_S3_PKfS5_PKvPS1_S8_PvPKiSB_iiiiilll,comdat
.Lfunc_end121:
	.size	_ZN12_GLOBAL__N_139chunk_gated_delta_rule_fwd_h_hip_kernelILi64ELb1ELb1ELb1ELb0ELb0ELb0ELb0ELb1EEEvPK12hip_bfloat16S3_S3_PKfS5_PKvPS1_S8_PvPKiSB_iiiiilll, .Lfunc_end121-_ZN12_GLOBAL__N_139chunk_gated_delta_rule_fwd_h_hip_kernelILi64ELb1ELb1ELb1ELb0ELb0ELb0ELb0ELb1EEEvPK12hip_bfloat16S3_S3_PKfS5_PKvPS1_S8_PvPKiSB_iiiiilll
                                        ; -- End function
	.section	.AMDGPU.csdata,"",@progbits
; Kernel info:
; codeLenInByte = 12828
; NumSgprs: 78
; NumVgprs: 190
; NumAgprs: 36
; TotalNumVgprs: 228
; ScratchSize: 0
; MemoryBound: 0
; FloatMode: 240
; IeeeMode: 1
; LDSByteSize: 65536 bytes/workgroup (compile time only)
; SGPRBlocks: 9
; VGPRBlocks: 28
; NumSGPRsForWavesPerEU: 78
; NumVGPRsForWavesPerEU: 228
; AccumOffset: 192
; Occupancy: 1
; WaveLimiterHint : 1
; COMPUTE_PGM_RSRC2:SCRATCH_EN: 0
; COMPUTE_PGM_RSRC2:USER_SGPR: 2
; COMPUTE_PGM_RSRC2:TRAP_HANDLER: 0
; COMPUTE_PGM_RSRC2:TGID_X_EN: 1
; COMPUTE_PGM_RSRC2:TGID_Y_EN: 1
; COMPUTE_PGM_RSRC2:TGID_Z_EN: 0
; COMPUTE_PGM_RSRC2:TIDIG_COMP_CNT: 0
; COMPUTE_PGM_RSRC3_GFX90A:ACCUM_OFFSET: 47
; COMPUTE_PGM_RSRC3_GFX90A:TG_SPLIT: 0
	.section	.text._ZN12_GLOBAL__N_139chunk_gated_delta_rule_fwd_h_hip_kernelILi64ELb1ELb1ELb0ELb0ELb0ELb0ELb0ELb1EEEvPK12hip_bfloat16S3_S3_PKfS5_PKvPS1_S8_PvPKiSB_iiiiilll,"axG",@progbits,_ZN12_GLOBAL__N_139chunk_gated_delta_rule_fwd_h_hip_kernelILi64ELb1ELb1ELb0ELb0ELb0ELb0ELb0ELb1EEEvPK12hip_bfloat16S3_S3_PKfS5_PKvPS1_S8_PvPKiSB_iiiiilll,comdat
	.globl	_ZN12_GLOBAL__N_139chunk_gated_delta_rule_fwd_h_hip_kernelILi64ELb1ELb1ELb0ELb0ELb0ELb0ELb0ELb1EEEvPK12hip_bfloat16S3_S3_PKfS5_PKvPS1_S8_PvPKiSB_iiiiilll ; -- Begin function _ZN12_GLOBAL__N_139chunk_gated_delta_rule_fwd_h_hip_kernelILi64ELb1ELb1ELb0ELb0ELb0ELb0ELb0ELb1EEEvPK12hip_bfloat16S3_S3_PKfS5_PKvPS1_S8_PvPKiSB_iiiiilll
	.p2align	8
	.type	_ZN12_GLOBAL__N_139chunk_gated_delta_rule_fwd_h_hip_kernelILi64ELb1ELb1ELb0ELb0ELb0ELb0ELb0ELb1EEEvPK12hip_bfloat16S3_S3_PKfS5_PKvPS1_S8_PvPKiSB_iiiiilll,@function
_ZN12_GLOBAL__N_139chunk_gated_delta_rule_fwd_h_hip_kernelILi64ELb1ELb1ELb0ELb0ELb0ELb0ELb0ELb1EEEvPK12hip_bfloat16S3_S3_PKfS5_PKvPS1_S8_PvPKiSB_iiiiilll: ; @_ZN12_GLOBAL__N_139chunk_gated_delta_rule_fwd_h_hip_kernelILi64ELb1ELb1ELb0ELb0ELb0ELb0ELb0ELb1EEEvPK12hip_bfloat16S3_S3_PKfS5_PKvPS1_S8_PvPKiSB_iiiiilll
; %bb.0:
	s_load_dwordx4 s[12:15], s[0:1], 0x5c
	s_load_dwordx4 s[20:23], s[0:1], 0x70
	s_abs_i32 s6, s3
	s_ashr_i32 s5, s3, 31
	s_load_dwordx4 s[16:19], s[0:1], 0x28
	s_waitcnt lgkmcnt(0)
	s_abs_i32 s4, s13
	v_cvt_f32_u32_e32 v1, s4
	s_sub_i32 s8, 0, s4
	s_ashr_i32 s7, s13, 31
	s_xor_b32 s5, s5, s7
	v_rcp_iflag_f32_e32 v1, v1
	v_and_b32_e32 v86, 15, v0
	v_bfe_u32 v85, v0, 4, 2
	v_mov_b32_e32 v35, 0
	v_mul_f32_e32 v1, 0x4f7ffffe, v1
	v_cvt_u32_f32_e32 v1, v1
	v_lshlrev_b32_e32 v88, 3, v0
	v_readfirstlane_b32 s9, v1
	s_mul_i32 s8, s8, s9
	s_mul_hi_u32 s8, s9, s8
	s_add_i32 s9, s9, s8
	s_mul_hi_u32 s8, s6, s9
	s_mul_i32 s9, s8, s4
	s_sub_i32 s6, s6, s9
	s_add_i32 s10, s8, 1
	s_sub_i32 s9, s6, s4
	s_cmp_ge_u32 s6, s4
	s_cselect_b32 s8, s10, s8
	s_cselect_b32 s6, s9, s6
	s_add_i32 s9, s8, 1
	s_cmp_ge_u32 s6, s4
	s_cselect_b32 s6, s9, s8
	s_xor_b32 s6, s6, s5
	s_add_i32 s8, s12, 63
	s_sub_i32 s53, s6, s5
	s_ashr_i32 s9, s8, 31
	s_mul_i32 s5, s53, s13
	s_sub_i32 s50, s3, s5
	s_lshr_b32 s3, s9, 26
	s_add_i32 s8, s8, s3
	s_abs_i32 s3, s14
	v_cvt_f32_u32_e32 v1, s3
	s_ashr_i32 s52, s12, 31
	s_lshr_b32 s6, s52, 26
	s_add_i32 s6, s12, s6
	v_rcp_iflag_f32_e32 v1, v1
	s_ashr_i32 s55, s14, 31
	s_ashr_i32 s24, s8, 6
	;; [unrolled: 1-line block ×3, first 2 shown]
	v_mul_f32_e32 v1, 0x4f7ffffe, v1
	v_cvt_u32_f32_e32 v1, v1
	s_xor_b32 s6, s7, s55
	s_sub_i32 s7, 0, s3
	s_lshl_b32 s2, s2, 6
	v_readfirstlane_b32 s8, v1
	s_mul_i32 s7, s7, s8
	s_mul_hi_u32 s7, s8, s7
	s_add_i32 s8, s8, s7
	s_mul_hi_u32 s7, s4, s8
	s_mul_i32 s8, s7, s3
	s_sub_i32 s4, s4, s8
	s_add_i32 s8, s7, 1
	s_sub_i32 s9, s4, s3
	s_cmp_ge_u32 s4, s3
	s_cselect_b32 s7, s8, s7
	s_cselect_b32 s4, s9, s4
	s_add_i32 s8, s7, 1
	s_cmp_ge_u32 s4, s3
	s_cselect_b32 s3, s8, s7
	s_xor_b32 s3, s3, s6
	s_sub_i32 s3, s3, s6
	s_abs_i32 s4, s3
	v_cvt_f32_u32_e32 v1, s4
	s_sub_i32 s7, 0, s4
	s_abs_i32 s6, s50
	s_xor_b32 s3, s50, s3
	v_rcp_iflag_f32_e32 v2, v1
	s_ashr_i32 s3, s3, 31
	v_or_b32_e32 v76, s2, v86
	v_lshrrev_b32_e32 v1, 6, v0
	v_mul_f32_e32 v2, 0x4f7ffffe, v2
	v_cvt_u32_f32_e32 v2, v2
	v_lshlrev_b32_e32 v36, 7, v76
	v_lshlrev_b32_e32 v84, 4, v1
	v_or_b32_e32 v38, 0x800, v36
	v_readfirstlane_b32 s8, v2
	s_mul_i32 s7, s7, s8
	s_mul_hi_u32 s7, s8, s7
	s_add_i32 s8, s8, s7
	s_mul_hi_u32 s7, s6, s8
	s_mul_i32 s8, s7, s4
	s_sub_i32 s6, s6, s8
	s_add_i32 s8, s7, 1
	s_sub_i32 s9, s6, s4
	s_cmp_ge_u32 s6, s4
	s_cselect_b32 s7, s8, s7
	s_cselect_b32 s6, s9, s6
	s_add_i32 s8, s7, 1
	s_cmp_ge_u32 s6, s4
	s_cselect_b32 s4, s8, s7
	s_xor_b32 s4, s4, s3
	s_sub_i32 s56, s4, s3
	s_ashr_i32 s3, s53, 31
	s_ashr_i32 s51, s50, 31
	s_mul_hi_i32 s4, s53, s13
	s_add_u32 s40, s5, s50
	s_addc_u32 s41, s4, s51
	s_lshl_b64 s[28:29], s[40:41], 15
	s_add_u32 s4, s16, s28
	v_lshl_or_b32 v89, v85, 2, v84
	s_addc_u32 s5, s17, s29
	v_ashrrev_i32_e32 v37, 31, v36
	v_ashrrev_i32_e32 v39, 31, v38
	v_lshl_add_u64 v[2:3], v[36:37], 1, s[4:5]
	v_lshlrev_b32_e32 v34, 1, v89
	v_lshl_add_u64 v[6:7], v[38:39], 1, s[4:5]
	v_or_b32_e32 v40, 0x1000, v36
	v_or_b32_e32 v42, 0x1800, v36
	v_lshl_add_u64 v[2:3], v[2:3], 0, v[34:35]
	v_lshl_add_u64 v[6:7], v[6:7], 0, v[34:35]
	v_ashrrev_i32_e32 v41, 31, v40
	v_ashrrev_i32_e32 v43, 31, v42
	global_load_dwordx2 v[4:5], v[2:3], off
	v_lshl_add_u64 v[14:15], v[42:43], 1, s[4:5]
	global_load_dwordx2 v[2:3], v[2:3], off offset:128
	s_nop 0
	global_load_dwordx2 v[8:9], v[6:7], off
	global_load_dwordx2 v[10:11], v[6:7], off offset:128
	v_lshl_add_u64 v[6:7], v[40:41], 1, s[4:5]
	v_lshl_add_u64 v[6:7], v[6:7], 0, v[34:35]
	v_lshl_add_u64 v[14:15], v[14:15], 0, v[34:35]
	global_load_dwordx2 v[12:13], v[6:7], off
	v_and_b32_e32 v35, 63, v0
	global_load_dwordx2 v[6:7], v[6:7], off offset:128
	s_nop 0
	global_load_dwordx2 v[16:17], v[14:15], off
	global_load_dwordx2 v[18:19], v[14:15], off offset:128
	s_load_dwordx2 s[30:31], s[0:1], 0x40
	s_load_dwordx8 s[4:11], s[0:1], 0x0
	s_load_dwordx2 s[34:35], s[0:1], 0x80
	v_lshrrev_b32_e32 v87, 3, v35
	v_or_b32_e32 v90, 64, v89
	s_mul_i32 s57, s53, s24
	s_cmp_lt_i32 s12, 64
	s_mul_i32 s58, s41, s12
	s_mul_hi_u32 s59, s40, s12
	s_mul_i32 s16, s40, s12
	s_mul_i32 s33, s53, s21
	s_mul_hi_u32 s46, s53, s20
	s_mul_i32 s41, s3, s20
	s_mul_i32 s38, s53, s20
	;; [unrolled: 1-line block ×3, first 2 shown]
	s_mul_hi_u32 s48, s50, s22
	s_mul_i32 s49, s51, s22
	s_mul_i32 s36, s50, s22
	s_waitcnt vmcnt(7)
	v_and_b32_e32 v71, 0xffff0000, v4
	v_lshlrev_b32_e32 v70, 16, v4
	v_and_b32_e32 v75, 0xffff0000, v5
	v_lshlrev_b32_e32 v74, 16, v5
	s_waitcnt vmcnt(6)
	v_and_b32_e32 v69, 0xffff0000, v2
	v_lshlrev_b32_e32 v68, 16, v2
	v_and_b32_e32 v73, 0xffff0000, v3
	v_lshlrev_b32_e32 v72, 16, v3
	;; [unrolled: 5-line block ×8, first 2 shown]
	s_cbranch_scc1 .LBB122_18
; %bb.1:
	s_add_i32 s17, s59, s58
	s_lshl_b64 s[0:1], s[16:17], 8
	v_and_b32_e32 v92, 56, v88
	s_waitcnt lgkmcnt(0)
	s_add_u32 s20, s6, s0
	v_lshl_or_b32 v91, v1, 3, v87
	v_lshlrev_b32_e32 v2, 1, v92
	s_addc_u32 s0, s7, s1
	v_lshl_or_b32 v93, v91, 8, v2
	s_and_b32 s21, s0, 0xffff
	s_mov_b32 s23, 0x20000
	s_movk_i32 s22, 0x4000
	s_movk_i32 s0, 0x80
	v_or_b32_e32 v94, 0x2000, v93
	buffer_load_dwordx4 v[4:7], v93, s[20:23], 0 offen
	buffer_load_dwordx4 v[8:11], v93, s[20:23], s0 offen
	;; [unrolled: 1-line block ×4, first 2 shown]
	v_lshlrev_b32_e32 v3, 3, v91
	v_and_or_b32 v21, v0, 7, v3
	v_and_b32_e32 v3, 0x78, v3
	v_lshlrev_b32_e32 v21, 4, v21
	v_xor_b32_e32 v95, v21, v3
	v_mul_lo_u32 v20, v91, s15
	v_or_b32_e32 v96, 0x1000, v95
	v_xor_b32_e32 v3, 8, v95
	s_cmpk_eq_i32 s15, 0x80
	s_mov_b32 s60, s14
	v_xor_b32_e32 v21, 8, v96
	s_cselect_b64 s[0:1], -1, 0
	s_cmpk_lg_i32 s15, 0x80
	s_waitcnt vmcnt(3)
	ds_write_b64 v95, v[4:5] offset:49152
	ds_write_b64 v3, v[6:7] offset:49152
	s_waitcnt vmcnt(2)
	ds_write_b64 v95, v[8:9] offset:57344
	ds_write_b64 v3, v[10:11] offset:57344
	;; [unrolled: 3-line block ×4, first 2 shown]
	v_lshl_add_u32 v3, v20, 1, v92
	s_cbranch_scc0 .LBB122_3
; %bb.2:
	v_lshlrev_b32_e32 v5, 1, v3
	v_add_lshl_u32 v4, v3, s15, 1
	s_lshl_b32 s22, s15, 7
	v_lshl_or_b32 v2, v91, 9, v2
	s_cbranch_execz .LBB122_4
	s_branch .LBB122_5
.LBB122_3:
                                        ; implicit-def: $vgpr4
                                        ; implicit-def: $vgpr5
                                        ; implicit-def: $sgpr22
	v_lshl_or_b32 v2, v91, 9, v2
.LBB122_4:
	v_or_b32_e32 v4, 0x100, v2
	s_movk_i32 s22, 0x4000
	v_mov_b32_e32 v5, v2
.LBB122_5:
	s_mul_hi_u32 s20, s14, s12
	s_mul_i32 s21, s55, s12
	s_add_i32 s20, s20, s21
	s_mul_i32 s21, s14, s12
	s_mul_i32 s23, s21, s3
	s_mul_hi_u32 s24, s21, s53
	s_add_i32 s23, s24, s23
	s_mul_i32 s20, s20, s53
	s_add_i32 s23, s23, s20
	s_mul_i32 s21, s21, s53
	s_ashr_i32 s61, s56, 31
	s_add_u32 s20, s21, s56
	s_addc_u32 s21, s23, s61
	s_lshl_b64 s[20:21], s[20:21], 8
	s_add_u32 s20, s4, s20
	s_addc_u32 s21, s5, s21
	s_and_b32 s21, s21, 0xffff
	s_mov_b32 s23, 0x20000
	s_movk_i32 s62, 0x80
	buffer_load_dwordx4 v[6:9], v5, s[20:23], 0 offen
	buffer_load_dwordx4 v[10:13], v5, s[20:23], s62 offen
	;; [unrolled: 1-line block ×4, first 2 shown]
	v_and_b32_e32 v5, 6, v0
	v_lshlrev_b32_e32 v4, 7, v89
	v_xor_b32_e32 v26, v91, v5
	v_and_b32_e32 v22, 1, v0
	v_lshl_or_b32 v29, v86, 3, v4
	v_lshlrev_b32_e32 v26, 2, v26
	v_or_b32_e32 v97, 0x4000, v29
	v_or_b32_e32 v98, 0x6000, v29
	v_xor_b32_e32 v29, 0x440, v26
	v_cmp_eq_u32_e32 vcc, 0, v22
	v_lshlrev_b32_e32 v23, 2, v86
	s_mov_b32 s64, 0x1000504
	v_cndmask_b32_e32 v22, v29, v26, vcc
	v_xor_b32_e32 v27, v89, v23
	v_xor_b32_e32 v28, v90, v23
	v_lshl_or_b32 v5, v5, 10, v22
	s_mov_b32 s65, 0x3020706
	v_lshlrev_b32_e32 v24, 8, v86
	v_or_b32_e32 v25, 16, v86
	v_lshlrev_b32_e32 v27, 1, v27
	v_lshlrev_b32_e32 v28, 1, v28
	v_xor_b32_e32 v22, 8, v5
	v_xor_b32_e32 v26, 24, v5
	;; [unrolled: 1-line block ×4, first 2 shown]
	s_mul_i32 s3, s3, s12
	s_mul_hi_u32 s20, s53, s12
	v_or_b32_e32 v100, v24, v27
	v_or_b32_e32 v101, v24, v28
	v_xor_b32_e32 v24, 16, v5
	v_xor_b32_e32 v29, 32, v5
	;; [unrolled: 1-line block ×3, first 2 shown]
	v_add_u32_e32 v22, 0x80, v22
	v_add_u32_e32 v26, 0x80, v26
	;; [unrolled: 1-line block ×4, first 2 shown]
	s_add_i32 s67, s20, s3
	s_add_i32 s3, s46, s33
	;; [unrolled: 1-line block ×5, first 2 shown]
	s_lshl_b64 s[20:21], s[38:39], 2
	s_add_u32 s3, s10, s20
	s_addc_u32 s24, s11, s21
	s_lshl_b64 s[20:21], s[36:37], 2
	s_add_u32 s42, s3, s20
	s_movk_i32 s3, 0xf8
	s_addc_u32 s43, s24, s21
	s_lshl_b32 s26, s15, 7
	s_movk_i32 s24, 0x100
	v_mov_b32_e32 v79, 0
	v_cmp_gt_u32_e32 vcc, s24, v0
	v_lshl_or_b32 v30, v25, 3, v4
	s_mov_b32 s63, 0
	s_mul_i32 s66, s53, s12
	v_or_b32_e32 v99, 0x4000, v30
	s_movk_i32 s22, 0x4000
	v_or_b32_e32 v102, 0x6000, v30
	s_movk_i32 s37, 0x2000
	s_movk_i32 s39, 0x3000
	v_mov_b32_e32 v140, 0x3fb8aa3b
	s_mov_b32 s69, 0
	s_waitcnt vmcnt(1)
	v_perm_b32 v77, v6, v14, s64
	s_waitcnt vmcnt(0)
	v_perm_b32 v78, v10, v18, s64
	v_perm_b32 v6, v6, v14, s65
	;; [unrolled: 1-line block ×15, first 2 shown]
	ds_write2st64_b32 v5, v77, v78 offset0:128 offset1:160
	ds_write2st64_b32 v22, v6, v10 offset0:128 offset1:160
	ds_write2st64_b32 v24, v14, v18 offset0:129 offset1:161
	ds_write2st64_b32 v26, v7, v11 offset0:129 offset1:161
	ds_write2st64_b32 v29, v15, v19 offset0:130 offset1:162
	ds_write2st64_b32 v31, v8, v12 offset0:130 offset1:162
	ds_write2st64_b32 v32, v16, v20 offset0:131 offset1:163
	ds_write2st64_b32 v33, v9, v13 offset0:131 offset1:163
	v_lshlrev_b32_e32 v5, 8, v25
	v_or_b32_e32 v103, v5, v27
	v_or_b32_e32 v104, v5, v28
	v_or_b32_e32 v5, 32, v86
	v_lshl_or_b32 v6, v5, 3, v4
	v_lshlrev_b32_e32 v5, 8, v5
	v_or_b32_e32 v107, v5, v27
	v_or_b32_e32 v108, v5, v28
	;; [unrolled: 1-line block ×5, first 2 shown]
	v_lshl_or_b32 v6, v5, 3, v4
	v_lshlrev_b32_e32 v5, 8, v5
	v_or_b32_e32 v111, v5, v27
	v_or_b32_e32 v112, v5, v28
	;; [unrolled: 1-line block ×3, first 2 shown]
	v_lshlrev_b32_e32 v5, 3, v5
	v_lshrrev_b32_e32 v7, 5, v35
	v_and_or_b32 v7, v5, s3, v7
	v_lshlrev_b32_e32 v7, 4, v7
	v_lshlrev_b32_e32 v8, 11, v1
	v_and_b32_e32 v5, 0x78, v5
	v_or_b32_e32 v13, 32, v7
	v_or_b32_e32 v109, 0x4000, v6
	;; [unrolled: 1-line block ×3, first 2 shown]
	v_and_b32_e32 v6, 0x1000, v8
	v_xor_b32_e32 v9, v7, v5
	v_lshrrev_b32_e32 v10, 1, v0
	v_xor_b32_e32 v13, v13, v5
	v_or_b32_e32 v9, v9, v6
	v_and_b32_e32 v11, 8, v10
	v_or_b32_e32 v13, v13, v6
	v_xor_b32_e32 v113, v9, v11
	v_lshlrev_b32_e32 v9, 8, v85
	v_xor_b32_e32 v115, v13, v11
	v_or_b32_e32 v13, 64, v7
	v_or_b32_e32 v7, 0x60, v7
	s_ashr_i32 s3, s2, 31
	v_or_b32_e32 v12, v9, v23
	v_xor_b32_e32 v13, v13, v5
	v_xor_b32_e32 v5, v7, v5
	s_lshl_b64 s[20:21], s[2:3], 8
	v_lshlrev_b32_e32 v12, 1, v12
	v_or_b32_e32 v13, v13, v6
	v_or_b32_e32 v5, v5, v6
	s_add_u32 s20, s18, s20
	v_lshlrev_b32_e32 v6, 1, v86
	v_or_b32_e32 v114, 0x4000, v12
	v_or_b32_e32 v116, 0x4080, v12
	;; [unrolled: 1-line block ×8, first 2 shown]
	v_lshrrev_b32_e32 v12, 4, v0
	s_addc_u32 s21, s19, s21
	v_or_b32_e32 v7, 1, v6
	v_lshlrev_b32_e32 v78, 4, v86
	v_mov_b32_e32 v16, 0xa000
	v_mov_b32_e32 v17, 0x8000
	v_xor_b32_e32 v119, v13, v11
	v_xor_b32_e32 v13, v12, v6
	;; [unrolled: 1-line block ×3, first 2 shown]
	v_lshl_add_u64 v[6:7], s[20:21], 0, v[78:79]
	v_lshlrev_b32_e32 v78, 8, v12
	v_cndmask_b32_e32 v16, v16, v17, vcc
	v_lshlrev_b32_e32 v17, 3, v1
	v_and_b32_e32 v10, 24, v10
	v_lshl_or_b32 v125, v13, 3, v78
	v_and_b32_e32 v13, 8, v0
	v_xor_b32_e32 v18, v17, v10
	v_or_b32_e32 v19, 0x440, v18
	v_cmp_eq_u32_e32 vcc, 0, v13
	v_and_b32_e32 v12, 7, v0
	v_lshl_or_b32 v126, v14, 3, v78
	v_cndmask_b32_e32 v13, v19, v18, vcc
	v_lshlrev_b32_e32 v14, 3, v12
	v_lshlrev_b32_e32 v12, 7, v12
	v_or_b32_e32 v13, v13, v8
	v_lshlrev_b32_e32 v15, 2, v0
	v_xad_u32 v127, v13, v14, v12
	v_or_b32_e32 v13, 32, v10
	v_and_or_b32 v9, v15, 60, v9
	v_xor_b32_e32 v13, v17, v13
	v_lshlrev_b32_e32 v9, 1, v9
	v_or_b32_e32 v15, 0x440, v13
	v_or_b32_e32 v128, 0x6000, v9
	v_cndmask_b32_e32 v13, v15, v13, vcc
	v_or_b32_e32 v130, 0x6080, v9
	v_or_b32_e32 v131, 0x6100, v9
	v_or_b32_e32 v132, 0x6180, v9
	v_or_b32_e32 v9, 64, v10
	v_or_b32_e32 v13, v13, v8
	v_xor_b32_e32 v9, v17, v9
	v_xad_u32 v129, v13, v14, v12
	v_xor_b32_e32 v13, 0x440, v9
	v_cndmask_b32_e32 v9, v13, v9, vcc
	v_or_b32_e32 v9, v9, v8
	v_xad_u32 v133, v9, v14, v12
	v_or_b32_e32 v9, 0x60, v10
	v_xor_b32_e32 v9, v17, v9
	v_xor_b32_e32 v10, 0x440, v9
	v_cndmask_b32_e32 v9, v10, v9, vcc
	v_or_b32_e32 v8, v9, v8
	v_xor_b32_e32 v120, v5, v11
	v_ashrrev_i32_e32 v77, 31, v76
	v_lshlrev_b32_e32 v5, 1, v3
	v_add_lshl_u32 v3, v3, s15, 1
	v_or_b32_e32 v11, 0x100, v2
	v_xad_u32 v134, v8, v14, v12
	v_cndmask_b32_e64 v135, v5, v2, s[0:1]
	v_cndmask_b32_e64 v136, v3, v11, s[0:1]
	v_lshl_add_u64 v[80:81], v[76:77], 1, s[8:9]
	v_lshl_add_u64 v[82:83], v[6:7], 0, v[78:79]
	s_mov_b32 s3, 0x7060302
	v_lshlrev_b32_e32 v78, 1, v4
	v_add_u32_e32 v77, v16, v127
	v_add_u32_e32 v137, v16, v129
	;; [unrolled: 1-line block ×4, first 2 shown]
	s_waitcnt lgkmcnt(0)
	s_barrier
.LBB122_6:                              ; =>This Inner Loop Header: Depth=1
	s_add_i32 s68, s69, 1
	s_cmp_lt_i32 s68, s54
	s_mov_b64 s[24:25], 0
	s_cselect_b64 s[44:45], -1, 0
	s_cmp_ge_i32 s68, s54
	s_mov_b64 s[20:21], 0
	s_cbranch_scc1 .LBB122_8
; %bb.7:                                ;   in Loop: Header=BB122_6 Depth=1
	s_add_i32 s0, s63, 64
	s_add_u32 s0, s16, s0
	s_addc_u32 s1, s17, 0
	s_lshl_b64 s[0:1], s[0:1], 8
	s_add_u32 s20, s6, s0
	s_addc_u32 s21, s7, s1
.LBB122_8:                              ;   in Loop: Header=BB122_6 Depth=1
	v_cndmask_b32_e64 v2, 0, 1, s[44:45]
	v_cmp_ne_u32_e64 s[0:1], 1, v2
	s_andn2_b64 vcc, exec, s[44:45]
	s_cbranch_vccnz .LBB122_10
; %bb.9:                                ;   in Loop: Header=BB122_6 Depth=1
	s_add_i32 s24, s63, 64
	s_add_u32 s24, s66, s24
	s_addc_u32 s25, s67, 0
	s_mul_i32 s27, s24, s55
	s_mul_hi_u32 s44, s24, s60
	s_add_i32 s27, s44, s27
	s_mul_i32 s25, s25, s60
	s_add_i32 s27, s27, s25
	s_mul_i32 s24, s24, s60
	s_add_u32 s24, s24, s56
	s_addc_u32 s25, s27, s61
	s_lshl_b64 s[24:25], s[24:25], 8
	s_add_u32 s24, s4, s24
	s_addc_u32 s25, s5, s25
.LBB122_10:                             ;   in Loop: Header=BB122_6 Depth=1
	v_perm_b32 v3, v75, v74, s3
	v_perm_b32 v2, v71, v70, s3
	v_perm_b32 v5, v73, v72, s3
	v_perm_b32 v4, v69, v68, s3
	ds_write_b64 v97, v[2:3]
	ds_write_b64 v98, v[4:5]
	ds_write_b64 v100, v[2:3]
	ds_write_b64 v101, v[4:5]
	v_perm_b32 v3, v67, v66, s3
	v_perm_b32 v2, v63, v62, s3
	v_perm_b32 v5, v65, v64, s3
	v_perm_b32 v4, v61, v60, s3
	ds_write_b64 v99, v[2:3]
	ds_write_b64 v102, v[4:5]
	ds_write_b64 v103, v[2:3]
	ds_write_b64 v104, v[4:5]
	;; [unrolled: 8-line block ×4, first 2 shown]
	s_waitcnt lgkmcnt(0)
	s_barrier
	ds_read_b64 v[6:7], v113 offset:49152
	ds_read2_b64 v[2:5], v114 offset1:16
	ds_read_b64 v[18:19], v116 offset:6144
	ds_read_b64 v[20:21], v114 offset:6144
	s_waitcnt lgkmcnt(2)
	v_mfma_f32_16x16x16_bf16 a[0:3], v[6:7], v[2:3], 0
	ds_read_b64 v[22:23], v115 offset:49152
	ds_read2st64_b64 v[10:13], v117 offset0:4 offset1:8
	ds_read2st64_b64 v[14:17], v118 offset0:4 offset1:8
	v_mfma_f32_16x16x16_bf16 a[4:7], v[6:7], v[4:5], 0
	ds_read2_b64 v[2:5], v114 offset0:32 offset1:48
	s_add_i32 s27, s63, 63
	s_mul_i32 s44, s27, s35
	s_waitcnt lgkmcnt(0)
	v_mfma_f32_16x16x16_bf16 a[8:11], v[6:7], v[2:3], 0
	s_mul_hi_u32 s45, s27, s34
	s_add_i32 s45, s45, s44
	s_mul_i32 s44, s27, s34
	v_mfma_f32_16x16x16_bf16 a[12:15], v[6:7], v[4:5], 0
	ds_read2st64_b64 v[2:5], v114 offset0:4 offset1:8
	ds_read2st64_b64 v[6:9], v116 offset0:4 offset1:8
	s_lshl_b64 s[44:45], s[44:45], 2
	s_waitcnt lgkmcnt(1)
	v_mfma_f32_16x16x16_bf16 a[0:3], v[22:23], v[2:3], a[0:3]
	s_add_u32 s44, s42, s44
	s_addc_u32 s45, s43, s45
	s_and_b64 vcc, exec, s[0:1]
	s_waitcnt lgkmcnt(0)
	v_mfma_f32_16x16x16_bf16 a[4:7], v[22:23], v[6:7], a[4:7]
	v_mov_b32_e32 v143, 0
	v_mov_b32_e32 v142, 0
	;; [unrolled: 1-line block ×3, first 2 shown]
	v_mfma_f32_16x16x16_bf16 a[8:11], v[22:23], v[10:11], a[8:11]
	ds_read_b64 v[2:3], v119 offset:49152
	ds_read_b64 v[6:7], v120 offset:49152
	;; [unrolled: 1-line block ×3, first 2 shown]
	v_mfma_f32_16x16x16_bf16 a[12:15], v[22:23], v[14:15], a[12:15]
	v_mov_b32_e32 v14, 0
	v_mov_b32_e32 v15, 0
	s_waitcnt lgkmcnt(2)
	v_mfma_f32_16x16x16_bf16 a[0:3], v[2:3], v[4:5], a[0:3]
	v_mov_b32_e32 v4, 0
	v_mov_b32_e32 v5, 0
	v_mfma_f32_16x16x16_bf16 a[16:19], v[2:3], v[8:9], a[4:7]
	v_mov_b32_e32 v8, 0
	v_mov_b32_e32 v9, 0
	;; [unrolled: 3-line block ×3, first 2 shown]
	v_mfma_f32_16x16x16_bf16 a[24:27], v[2:3], v[16:17], a[12:15]
	ds_read_b64 v[2:3], v117 offset:6144
	v_mov_b32_e32 v16, 0
	v_mov_b32_e32 v17, 0
	s_waitcnt lgkmcnt(2)
	v_mfma_f32_16x16x16_bf16 a[4:7], v[6:7], v[20:21], a[0:3]
	v_mfma_f32_16x16x16_bf16 a[8:11], v[6:7], v[18:19], a[16:19]
	s_waitcnt lgkmcnt(0)
	v_mfma_f32_16x16x16_bf16 a[12:15], v[6:7], v[2:3], a[20:23]
	v_mov_b32_e32 v2, 0
	v_mov_b32_e32 v3, 0
	v_mfma_f32_16x16x16_bf16 a[0:3], v[6:7], v[10:11], a[24:27]
	v_mov_b32_e32 v6, 0
	v_mov_b32_e32 v7, 0
	;; [unrolled: 1-line block ×4, first 2 shown]
	s_cbranch_vccnz .LBB122_12
; %bb.11:                               ;   in Loop: Header=BB122_6 Depth=1
	s_and_b32 s21, s21, 0xffff
	buffer_load_dwordx4 v[14:17], v93, s[20:23], 0 offen
	buffer_load_dwordx4 v[10:13], v93, s[20:23], s62 offen
	;; [unrolled: 1-line block ×4, first 2 shown]
	v_mov_b32_e32 v142, v95
	v_mov_b32_e32 v141, v96
.LBB122_12:                             ;   in Loop: Header=BB122_6 Depth=1
	ds_read_b64 v[144:145], v113 offset:57344
	ds_read2_b64 v[18:21], v121 offset1:16
	ds_read_b64 v[146:147], v115 offset:57344
	ds_read_b64 v[148:149], v119 offset:57344
	;; [unrolled: 1-line block ×3, first 2 shown]
	v_add_u32_e32 v152, s63, v89
	s_waitcnt lgkmcnt(3)
	v_mfma_f32_16x16x16_bf16 a[4:7], v[144:145], v[18:19], a[4:7]
	v_mfma_f32_16x16x16_bf16 a[8:11], v[144:145], v[20:21], a[8:11]
	ds_read2_b64 v[18:21], v121 offset0:32 offset1:48
	ds_read2st64_b64 v[22:25], v121 offset0:4 offset1:8
	ds_read2st64_b64 v[26:29], v122 offset0:4 offset1:8
	;; [unrolled: 1-line block ×3, first 2 shown]
	s_waitcnt lgkmcnt(3)
	v_mfma_f32_16x16x16_bf16 a[12:15], v[144:145], v[18:19], a[12:15]
	v_ashrrev_i32_e32 v18, 31, v152
	v_mfma_f32_16x16x16_bf16 a[0:3], v[144:145], v[20:21], a[0:3]
	v_mul_lo_u32 v20, v18, s34
	v_mul_lo_u32 v21, v152, s35
	v_mad_u64_u32 v[18:19], s[20:21], v152, s34, 0
	v_add3_u32 v19, v19, v21, v20
	v_add_u32_e32 v20, 1, v152
	v_ashrrev_i32_e32 v21, 31, v20
	s_waitcnt lgkmcnt(2)
	v_mfma_f32_16x16x16_bf16 a[4:7], v[146:147], v[22:23], a[4:7]
	v_mul_lo_u32 v22, v21, s34
	v_mul_lo_u32 v23, v20, s35
	v_mad_u64_u32 v[20:21], s[20:21], v20, s34, 0
	v_add3_u32 v21, v21, v23, v22
	v_add_u32_e32 v22, 2, v152
	v_ashrrev_i32_e32 v23, 31, v22
	s_waitcnt lgkmcnt(1)
	v_mfma_f32_16x16x16_bf16 a[8:11], v[146:147], v[26:27], a[8:11]
	v_mul_lo_u32 v26, v23, s34
	v_mul_lo_u32 v27, v22, s35
	v_mad_u64_u32 v[22:23], s[20:21], v22, s34, 0
	v_lshl_add_u64 v[18:19], v[18:19], 2, s[42:43]
	v_add3_u32 v23, v23, v27, v26
	v_add_u32_e32 v26, 3, v152
	v_ashrrev_i32_e32 v27, 31, v26
	global_load_dword v145, v[18:19], off
	v_mad_u64_u32 v[18:19], s[20:21], v26, s34, 0
	v_mul_lo_u32 v27, v27, s34
	v_mul_lo_u32 v144, v26, s35
	s_add_u32 s20, s16, s63
	v_add3_u32 v19, v19, v144, v27
	s_addc_u32 s21, s17, 0
	v_lshl_add_u64 v[20:21], v[20:21], 2, s[42:43]
	v_lshl_add_u64 v[22:23], v[22:23], 2, s[42:43]
	v_lshl_add_u64 v[18:19], v[18:19], 2, s[42:43]
	s_lshl_b64 s[20:21], s[20:21], 8
	global_load_dword v144, v[20:21], off
	global_load_dword v152, v[22:23], off
	;; [unrolled: 1-line block ×3, first 2 shown]
	v_lshl_add_u64 v[18:19], v[80:81], 0, s[20:21]
	v_lshl_add_u64 v[22:23], v[18:19], 0, v[78:79]
	global_load_ushort v154, v[22:23], off offset:256
	global_load_ushort v155, v[22:23], off
	ds_read2st64_b64 v[18:21], v124 offset0:4 offset1:8
	global_load_ushort v156, v[22:23], off offset:768
	global_load_ushort v157, v[22:23], off offset:512
	s_waitcnt lgkmcnt(1)
	v_mfma_f32_16x16x16_bf16 a[12:15], v[146:147], v[30:31], a[12:15]
	s_and_b64 vcc, exec, s[0:1]
	s_waitcnt vmcnt(3)
	v_lshlrev_b32_e32 v31, 16, v154
	s_waitcnt lgkmcnt(0)
	v_mfma_f32_16x16x16_bf16 a[0:3], v[146:147], v[18:19], a[0:3]
	global_load_ushort v146, v[22:23], off offset:288
	global_load_ushort v147, v[22:23], off offset:32
	;; [unrolled: 1-line block ×8, first 2 shown]
	v_mfma_f32_16x16x16_bf16 a[4:7], v[148:149], v[24:25], a[4:7]
	ds_read_b64 v[18:19], v121 offset:6144
	s_waitcnt vmcnt(10)
	v_lshlrev_b32_e32 v30, 16, v155
	v_mfma_f32_16x16x16_bf16 a[8:11], v[148:149], v[28:29], a[8:11]
	v_mfma_f32_16x16x16_bf16 a[12:15], v[148:149], v[32:33], a[12:15]
	;; [unrolled: 1-line block ×3, first 2 shown]
	global_load_ushort v148, v[22:23], off offset:352
	global_load_ushort v149, v[22:23], off offset:96
	ds_read_b64 v[20:21], v122 offset:6144
	ds_read_b64 v[24:25], v123 offset:6144
	;; [unrolled: 1-line block ×3, first 2 shown]
	global_load_ushort v164, v[22:23], off offset:864
	global_load_ushort v165, v[22:23], off offset:608
	s_load_dword s20, s[44:45], 0x0
	s_waitcnt lgkmcnt(0)
	v_mfma_f32_16x16x16_bf16 a[4:7], v[150:151], v[18:19], a[4:7]
	v_sub_f32_e32 v28, s20, v152
	v_mfma_f32_16x16x16_bf16 a[0:3], v[150:151], v[26:27], a[0:3]
	v_sub_f32_e32 v26, s20, v145
	v_sub_f32_e32 v27, s20, v144
	;; [unrolled: 1-line block ×3, first 2 shown]
	v_mul_f32_e32 v26, 0x3fb8aa3b, v26
	v_mul_f32_e32 v27, 0x3fb8aa3b, v27
	;; [unrolled: 1-line block ×4, first 2 shown]
	v_mfma_f32_16x16x16_bf16 a[8:11], v[150:151], v[20:21], a[8:11]
	v_exp_f32_e32 v26, v26
	v_exp_f32_e32 v27, v27
	;; [unrolled: 1-line block ×4, first 2 shown]
	v_accvgpr_read_b32 v33, a5
	v_accvgpr_read_b32 v32, a4
	;; [unrolled: 1-line block ×4, first 2 shown]
	v_pk_add_f32 v[30:31], v[30:31], v[32:33] neg_lo:[0,1] neg_hi:[0,1]
	s_waitcnt vmcnt(13)
	v_lshlrev_b32_e32 v33, 16, v156
	s_waitcnt vmcnt(12)
	v_lshlrev_b32_e32 v32, 16, v157
	v_pk_add_f32 v[18:19], v[32:33], v[18:19] neg_lo:[0,1] neg_hi:[0,1]
	v_pk_mul_f32 v[30:31], v[26:27], v[30:31]
	v_pk_mul_f32 v[18:19], v[28:29], v[18:19]
	v_accvgpr_read_b32 v33, a9
	v_perm_b32 v19, v19, v18, s3
	v_perm_b32 v18, v31, v30, s3
	v_accvgpr_read_b32 v32, a8
	v_accvgpr_read_b32 v21, a11
	v_mfma_f32_16x16x16_bf16 a[12:15], v[150:151], v[24:25], a[12:15]
	v_accvgpr_read_b32 v20, a10
	v_accvgpr_read_b32 v25, a3
	;; [unrolled: 1-line block ×3, first 2 shown]
	v_mov_b32_e32 v144, 0
	s_waitcnt vmcnt(11)
	v_lshlrev_b32_e32 v31, 16, v146
	s_waitcnt vmcnt(10)
	v_lshlrev_b32_e32 v30, 16, v147
	v_pk_add_f32 v[30:31], v[30:31], v[32:33] neg_lo:[0,1] neg_hi:[0,1]
	s_waitcnt vmcnt(9)
	v_lshlrev_b32_e32 v33, 16, v158
	s_waitcnt vmcnt(8)
	v_lshlrev_b32_e32 v32, 16, v159
	v_pk_add_f32 v[20:21], v[32:33], v[20:21] neg_lo:[0,1] neg_hi:[0,1]
	v_pk_mul_f32 v[30:31], v[26:27], v[30:31]
	v_pk_mul_f32 v[20:21], v[28:29], v[20:21]
	v_accvgpr_read_b32 v23, a15
	v_perm_b32 v21, v21, v20, s3
	v_perm_b32 v20, v31, v30, s3
	ds_write2_b64 v98, v[18:19], v[20:21] offset1:16
	v_accvgpr_read_b32 v21, a13
	s_waitcnt vmcnt(7)
	v_lshlrev_b32_e32 v19, 16, v160
	s_waitcnt vmcnt(6)
	v_lshlrev_b32_e32 v18, 16, v161
	v_accvgpr_read_b32 v20, a12
	v_accvgpr_read_b32 v22, a14
	v_pk_add_f32 v[18:19], v[18:19], v[20:21] neg_lo:[0,1] neg_hi:[0,1]
	s_waitcnt vmcnt(5)
	v_lshlrev_b32_e32 v21, 16, v162
	s_waitcnt vmcnt(4)
	v_lshlrev_b32_e32 v20, 16, v163
	v_pk_add_f32 v[20:21], v[20:21], v[22:23] neg_lo:[0,1] neg_hi:[0,1]
	v_pk_mul_f32 v[18:19], v[26:27], v[18:19]
	v_pk_mul_f32 v[20:21], v[28:29], v[20:21]
	v_accvgpr_read_b32 v23, a1
	v_perm_b32 v21, v21, v20, s3
	v_perm_b32 v20, v19, v18, s3
	s_waitcnt vmcnt(3)
	v_lshlrev_b32_e32 v19, 16, v148
	s_waitcnt vmcnt(2)
	v_lshlrev_b32_e32 v18, 16, v149
	v_accvgpr_read_b32 v22, a0
	v_pk_add_f32 v[18:19], v[18:19], v[22:23] neg_lo:[0,1] neg_hi:[0,1]
	s_waitcnt vmcnt(1)
	v_lshlrev_b32_e32 v23, 16, v164
	s_waitcnt vmcnt(0)
	v_lshlrev_b32_e32 v22, 16, v165
	v_pk_add_f32 v[22:23], v[22:23], v[24:25] neg_lo:[0,1] neg_hi:[0,1]
	v_pk_mul_f32 v[18:19], v[26:27], v[18:19]
	v_pk_mul_f32 v[22:23], v[28:29], v[22:23]
	v_mov_b32_e32 v24, 0
	v_perm_b32 v23, v23, v22, s3
	v_perm_b32 v22, v19, v18, s3
	ds_write2_b64 v98, v[20:21], v[22:23] offset0:32 offset1:48
	v_mov_b32_e32 v18, 0
	v_mov_b32_e32 v19, 0
	v_mov_b32_e32 v20, 0
	v_mov_b32_e32 v21, 0
	v_mov_b32_e32 v22, 0
	v_mov_b32_e32 v23, 0
	v_mov_b32_e32 v25, 0
	v_mov_b32_e32 v26, 0
	v_mov_b32_e32 v27, 0
	v_mov_b32_e32 v28, 0
	v_mov_b32_e32 v29, 0
	v_mov_b32_e32 v30, 0
	v_mov_b32_e32 v31, 0
	v_mov_b32_e32 v32, 0
	v_mov_b32_e32 v33, 0
	s_cbranch_vccnz .LBB122_14
; %bb.13:                               ;   in Loop: Header=BB122_6 Depth=1
	s_and_b32 s25, s25, 0xffff
	s_mov_b32 s27, s23
	buffer_load_dwordx4 v[30:33], v135, s[24:27], 0 offen
	buffer_load_dwordx4 v[22:25], v135, s[24:27], s62 offen
	;; [unrolled: 1-line block ×4, first 2 shown]
	v_mov_b32_e32 v143, v92
	v_mov_b32_e32 v144, v91
.LBB122_14:                             ;   in Loop: Header=BB122_6 Depth=1
	s_waitcnt lgkmcnt(0)
	s_barrier
	ds_read_b64 v[154:155], v77
	ds_read2_b64 v[146:149], v128 offset1:16
	ds_read_b64 v[170:171], v137
	ds_read_b64 v[172:173], v138
	;; [unrolled: 1-line block ×3, first 2 shown]
	ds_read2_b64 v[150:153], v128 offset0:32 offset1:48
	s_waitcnt lgkmcnt(4)
	v_mfma_f32_16x16x16_bf16 a[0:3], v[154:155], v[146:147], 0
	ds_read2st64_b64 v[158:161], v130 offset0:4 offset1:8
	ds_read2st64_b64 v[162:165], v131 offset0:4 offset1:8
	;; [unrolled: 1-line block ×3, first 2 shown]
	v_mfma_f32_16x16x16_bf16 a[4:7], v[154:155], v[148:149], 0
	s_add_i32 s21, s57, s69
	s_mul_hi_i32 s25, s21, s13
	s_mul_i32 s21, s21, s13
	s_waitcnt lgkmcnt(3)
	v_mfma_f32_16x16x16_bf16 a[8:11], v[154:155], v[150:151], 0
	s_add_u32 s24, s21, s50
	s_addc_u32 s25, s25, s51
	s_lshl_b64 s[24:25], s[24:25], 15
	v_mfma_f32_16x16x16_bf16 a[12:15], v[154:155], v[152:153], 0
	ds_read2st64_b64 v[154:157], v128 offset0:4 offset1:8
	s_waitcnt lgkmcnt(0)
	v_mfma_f32_16x16x16_bf16 a[0:3], v[170:171], v[154:155], a[0:3]
	v_mfma_f32_16x16x16_bf16 a[4:7], v[170:171], v[158:159], a[4:7]
	v_mfma_f32_16x16x16_bf16 a[8:11], v[170:171], v[162:163], a[8:11]
	v_mfma_f32_16x16x16_bf16 a[12:15], v[170:171], v[166:167], a[12:15]
	v_mfma_f32_16x16x16_bf16 a[0:3], v[172:173], v[156:157], a[0:3]
	v_mfma_f32_16x16x16_bf16 a[4:7], v[172:173], v[160:161], a[4:7]
	v_mfma_f32_16x16x16_bf16 a[8:11], v[172:173], v[164:165], a[8:11]
	v_mfma_f32_16x16x16_bf16 a[12:15], v[172:173], v[168:169], a[12:15]
	ds_read_b64 v[170:171], v128 offset:6144
	ds_read_b64 v[172:173], v129 offset:40960
	;; [unrolled: 1-line block ×8, first 2 shown]
	s_waitcnt lgkmcnt(5)
	v_mfma_f32_16x16x16_bf16 a[16:19], v[176:177], v[146:147], 0
	v_mfma_f32_16x16x16_bf16 a[20:23], v[176:177], v[148:149], 0
	ds_read2st64_b64 v[146:149], v125 offset1:8
	v_mfma_f32_16x16x16_bf16 a[24:27], v[176:177], v[150:151], 0
	v_mfma_f32_16x16x16_bf16 a[28:31], v[176:177], v[152:153], 0
	ds_read2st64_b64 v[150:153], v126 offset1:8
	v_mfma_f32_16x16x16_bf16 a[16:19], v[172:173], v[154:155], a[16:19]
	s_waitcnt lgkmcnt(1)
	v_mov_b32_e32 v154, v146
	v_mov_b32_e32 v155, v147
	v_mfma_f32_16x16x16_bf16 a[20:23], v[172:173], v[158:159], a[20:23]
	v_lshl_add_u64 v[158:159], v[82:83], 0, s[24:25]
	v_mfma_f32_16x16x16_bf16 a[24:27], v[172:173], v[162:163], a[24:27]
	v_mfma_f32_16x16x16_bf16 a[28:31], v[172:173], v[166:167], a[28:31]
	;; [unrolled: 1-line block ×3, first 2 shown]
	s_waitcnt lgkmcnt(0)
	v_mov_b32_e32 v156, v150
	v_mov_b32_e32 v157, v151
	;; [unrolled: 1-line block ×3, first 2 shown]
	v_mfma_f32_16x16x16_bf16 a[32:35], v[184:185], v[160:161], a[20:23]
	v_mov_b32_e32 v151, v149
	ds_read2st64_b64 v[146:149], v125 offset0:16 offset1:24
	global_store_dwordx4 v[158:159], v[154:157], off
	v_mfma_f32_16x16x16_bf16 a[24:27], v[184:185], v[164:165], a[24:27]
	ds_read2st64_b64 v[154:157], v126 offset0:16 offset1:24
	v_add_co_u32_e32 v160, vcc, s37, v158
	v_mfma_f32_16x16x16_bf16 a[28:31], v[184:185], v[168:169], a[28:31]
	s_nop 0
	v_addc_co_u32_e32 v161, vcc, 0, v159, vcc
	global_store_dwordx4 v[160:161], v[150:153], off offset:-4096
	v_mfma_f32_16x16x16_bf16 a[0:3], v[174:175], v[170:171], a[0:3]
	s_waitcnt lgkmcnt(1)
	v_mov_b32_e32 v150, v146
	v_add_co_u32_e32 v146, vcc, s39, v158
	v_mfma_f32_16x16x16_bf16 a[4:7], v[174:175], v[178:179], a[4:7]
	v_mov_b32_e32 v151, v147
	v_addc_co_u32_e32 v147, vcc, 0, v159, vcc
	v_mfma_f32_16x16x16_bf16 a[8:11], v[174:175], v[180:181], a[8:11]
	s_waitcnt lgkmcnt(0)
	v_mov_b32_e32 v152, v154
	v_mov_b32_e32 v153, v155
	;; [unrolled: 1-line block ×3, first 2 shown]
	v_mfma_f32_16x16x16_bf16 a[12:15], v[174:175], v[182:183], a[12:15]
	v_mov_b32_e32 v155, v149
	s_and_b64 vcc, exec, s[0:1]
	global_store_dwordx4 v[160:161], v[150:153], off
	v_mfma_f32_16x16x16_bf16 a[20:23], v[186:187], v[170:171], a[16:19]
	global_store_dwordx4 v[146:147], v[154:157], off
	v_mfma_f32_16x16x16_bf16 a[16:19], v[186:187], v[178:179], a[32:35]
	v_mfma_f32_16x16x16_bf16 a[24:27], v[186:187], v[180:181], a[24:27]
	;; [unrolled: 1-line block ×3, first 2 shown]
	s_cbranch_vccnz .LBB122_16
; %bb.15:                               ;   in Loop: Header=BB122_6 Depth=1
	v_lshrrev_b32_e32 v145, 3, v143
	v_and_b32_e32 v145, 6, v145
	v_xor_b32_e32 v144, v145, v144
	v_lshlrev_b32_e32 v144, 2, v144
	v_and_b32_e32 v143, 8, v143
	v_xor_b32_e32 v146, 0x440, v144
	v_cmp_eq_u32_e32 vcc, 0, v143
	s_barrier
	s_nop 0
	v_cndmask_b32_e32 v143, v146, v144, vcc
	v_lshl_or_b32 v143, v145, 10, v143
	s_waitcnt vmcnt(5)
	v_perm_b32 v144, v30, v26, s64
	s_waitcnt vmcnt(4)
	v_perm_b32 v145, v22, v18, s64
	ds_write2st64_b32 v143, v144, v145 offset0:128 offset1:160
	v_xor_b32_e32 v144, 8, v143
	v_perm_b32 v26, v30, v26, s65
	v_perm_b32 v18, v22, v18, s65
	v_add_u32_e32 v22, 0x80, v144
	ds_write2st64_b32 v22, v26, v18 offset0:128 offset1:160
	v_xor_b32_e32 v18, 16, v143
	v_perm_b32 v22, v31, v27, s64
	v_perm_b32 v26, v23, v19, s64
	ds_write2st64_b32 v18, v22, v26 offset0:129 offset1:161
	v_xor_b32_e32 v18, 24, v143
	v_perm_b32 v22, v31, v27, s65
	v_perm_b32 v19, v23, v19, s65
	v_add_u32_e32 v18, 0x80, v18
	ds_write2st64_b32 v18, v22, v19 offset0:129 offset1:161
	v_xor_b32_e32 v18, 32, v143
	v_perm_b32 v19, v32, v28, s64
	;; [unrolled: 9-line block ×3, first 2 shown]
	v_perm_b32 v20, v25, v21, s64
	ds_write2st64_b32 v18, v19, v20 offset0:131 offset1:163
	v_xor_b32_e32 v18, 56, v143
	v_perm_b32 v19, v33, v29, s65
	v_perm_b32 v20, v25, v21, s65
	v_add_u32_e32 v18, 0x80, v18
	ds_write2st64_b32 v18, v19, v20 offset0:131 offset1:163
	ds_write_b64 v142, v[14:15] offset:49152
	v_xor_b32_e32 v14, 8, v142
	ds_write_b64 v14, v[16:17] offset:49152
	ds_write_b64 v142, v[10:11] offset:57344
	;; [unrolled: 1-line block ×4, first 2 shown]
	v_xor_b32_e32 v6, 8, v141
	ds_write_b64 v6, v[8:9] offset:49152
	ds_write_b64 v141, v[2:3] offset:57344
	;; [unrolled: 1-line block ×3, first 2 shown]
.LBB122_16:                             ;   in Loop: Header=BB122_6 Depth=1
	s_waitcnt vmcnt(6)
	v_mul_f32_e32 v22, s20, v140
	v_exp_f32_e32 v142, v22
	v_accvgpr_read_b32 v5, a3
	v_accvgpr_read_b32 v9, a7
	v_accvgpr_read_b32 v13, a11
	v_accvgpr_read_b32 v17, a15
	s_waitcnt vmcnt(4)
	v_accvgpr_read_b32 v18, a20
	v_accvgpr_read_b32 v25, a19
	;; [unrolled: 1-line block ×28, first 2 shown]
	s_add_i32 s63, s63, 64
	v_pk_fma_f32 v[70:71], v[70:71], v[142:143], v[2:3] op_sel_hi:[1,0,1]
	v_pk_fma_f32 v[74:75], v[74:75], v[142:143], v[4:5] op_sel_hi:[1,0,1]
	;; [unrolled: 1-line block ×15, first 2 shown]
	s_cmp_eq_u32 s54, s68
	v_pk_fma_f32 v[48:49], v[48:49], v[142:143], v[32:33] op_sel_hi:[1,0,1]
	s_cbranch_scc1 .LBB122_18
; %bb.17:                               ;   in Loop: Header=BB122_6 Depth=1
	s_mov_b32 s69, s68
	s_branch .LBB122_6
.LBB122_18:
	s_lshl_b32 s26, s54, 6
	s_sub_i32 s27, s12, s26
	s_cmp_gt_i32 s27, 0
	s_cbranch_scc0 .LBB122_99
; %bb.19:
	s_ashr_i32 s3, s26, 31
	s_cmpk_lg_i32 s15, 0x80
	s_cselect_b64 s[22:23], -1, 0
	s_and_b64 vcc, exec, s[22:23]
	s_cbranch_vccz .LBB122_21
; %bb.20:
	s_mul_i32 s1, s53, s12
	s_mul_hi_i32 s0, s53, s12
	s_add_u32 s1, s1, s26
	s_addc_u32 s0, s0, s3
	s_mul_i32 s17, s1, s55
	s_mul_hi_u32 s20, s1, s14
	s_add_i32 s17, s20, s17
	s_mul_i32 s0, s0, s14
	s_add_i32 s17, s17, s0
	s_mul_i32 s1, s1, s14
	s_ashr_i32 s0, s56, 31
	s_add_u32 s24, s1, s56
	s_addc_u32 s25, s17, s0
	s_cbranch_execz .LBB122_22
	s_branch .LBB122_23
.LBB122_21:
                                        ; implicit-def: $sgpr24_sgpr25
.LBB122_22:
	s_mul_hi_i32 s0, s53, s14
	s_mul_i32 s53, s53, s14
	s_ashr_i32 s1, s56, 31
	s_add_u32 s14, s53, s56
	s_addc_u32 s0, s0, s1
	s_mul_i32 s1, s14, s52
	s_mul_hi_u32 s17, s14, s12
	s_add_i32 s1, s17, s1
	s_mul_i32 s0, s0, s12
	s_add_i32 s1, s1, s0
	s_mul_i32 s14, s14, s12
	s_add_u32 s24, s14, s26
	s_addc_u32 s25, s1, s3
.LBB122_23:
	s_mul_i32 s0, s40, s52
	s_add_i32 s0, s59, s0
	s_add_i32 s14, s57, s54
	;; [unrolled: 1-line block ×3, first 2 shown]
	s_add_u32 s0, s16, s26
	v_lshlrev_b32_e32 v6, 6, v89
	v_lshlrev_b32_e32 v24, 2, v86
	s_addc_u32 s1, s1, s3
	s_mov_b32 s3, 0x7060302
	v_or_b32_e32 v9, v6, v24
	v_xor_b32_e32 v7, v89, v24
	v_perm_b32 v3, v75, v74, s3
	v_perm_b32 v2, v71, v70, s3
	;; [unrolled: 1-line block ×4, first 2 shown]
	v_lshlrev_b32_e32 v9, 1, v9
	v_xor_b32_e32 v8, v90, v24
	ds_write2st64_b64 v9, v[2:3], v[4:5] offset0:32 offset1:48
	v_lshlrev_b32_e32 v7, 1, v7
	v_lshlrev_b32_e32 v9, 8, v86
	v_or_b32_e32 v10, v7, v9
	v_lshlrev_b32_e32 v8, 1, v8
	ds_write_b64 v10, v[2:3]
	v_or_b32_e32 v2, v8, v9
	v_or_b32_e32 v9, 16, v86
	v_lshlrev_b32_e32 v23, 2, v9
	v_or_b32_e32 v10, v6, v23
	ds_write_b64 v2, v[4:5]
	v_perm_b32 v3, v67, v66, s3
	v_perm_b32 v2, v63, v62, s3
	;; [unrolled: 1-line block ×4, first 2 shown]
	v_lshlrev_b32_e32 v10, 1, v10
	v_lshlrev_b32_e32 v9, 8, v9
	ds_write2st64_b64 v10, v[2:3], v[4:5] offset0:32 offset1:48
	v_or_b32_e32 v10, v7, v9
	ds_write_b64 v10, v[2:3]
	v_or_b32_e32 v2, v8, v9
	v_or_b32_e32 v9, 32, v86
	v_lshlrev_b32_e32 v22, 2, v9
	v_or_b32_e32 v10, v6, v22
	ds_write_b64 v2, v[4:5]
	v_perm_b32 v3, v59, v58, s3
	v_perm_b32 v2, v55, v54, s3
	v_perm_b32 v5, v57, v56, s3
	v_perm_b32 v4, v51, v50, s3
	v_lshlrev_b32_e32 v10, 1, v10
	v_lshlrev_b32_e32 v9, 8, v9
	s_lshl_b64 s[20:21], s[0:1], 8
	ds_write2st64_b64 v10, v[2:3], v[4:5] offset0:32 offset1:48
	v_or_b32_e32 v10, v7, v9
	s_waitcnt lgkmcnt(0)
	s_add_u32 s0, s6, s20
	ds_write_b64 v10, v[2:3]
	v_or_b32_e32 v2, v8, v9
	s_addc_u32 s1, s7, s21
	ds_write_b64 v2, v[4:5]
	v_perm_b32 v3, v53, v52, s3
	v_perm_b32 v2, v47, v46, s3
	;; [unrolled: 1-line block ×4, first 2 shown]
	v_or_b32_e32 v9, 48, v86
	s_mul_hi_i32 s3, s14, s13
	s_mul_i32 s14, s14, s13
	v_lshlrev_b32_e32 v19, 2, v9
	s_add_u32 s6, s14, s50
	v_or_b32_e32 v6, v6, v19
	s_addc_u32 s7, s3, s51
	v_lshlrev_b32_e32 v6, 1, v6
	s_ashr_i32 s3, s2, 31
	s_lshl_b64 s[6:7], s[6:7], 15
	ds_write2st64_b64 v6, v[2:3], v[4:5] offset0:32 offset1:48
	v_lshlrev_b32_e32 v6, 8, v9
	s_add_u32 s6, s18, s6
	v_or_b32_e32 v7, v7, v6
	s_addc_u32 s7, s19, s7
	s_lshl_b64 s[2:3], s[2:3], 8
	ds_write_b64 v7, v[2:3]
	v_or_b32_e32 v2, v8, v6
	s_add_u32 s2, s6, s2
	v_lshlrev_b32_e32 v3, 1, v86
	ds_write_b64 v2, v[4:5]
	v_lshrrev_b32_e32 v2, 4, v0
	s_addc_u32 s3, s7, s3
	v_or_b32_e32 v4, 1, v3
	v_lshlrev_b32_e32 v10, 4, v86
	v_mov_b32_e32 v11, 0
	v_xor_b32_e32 v3, v2, v3
	v_xor_b32_e32 v6, v4, v2
	v_lshl_add_u64 v[12:13], s[2:3], 0, v[10:11]
	v_lshlrev_b32_e32 v10, 8, v2
	v_lshl_or_b32 v16, v3, 3, v10
	v_lshl_or_b32 v17, v6, 3, v10
	s_waitcnt lgkmcnt(0)
	s_barrier
	ds_read2st64_b64 v[2:5], v16 offset1:8
	ds_read2st64_b64 v[6:9], v17 offset1:8
	v_lshl_add_u64 v[14:15], v[12:13], 0, v[10:11]
	s_movk_i32 s2, 0x2000
	s_cmp_lg_u32 s27, 64
	s_waitcnt lgkmcnt(1)
	v_mov_b32_e32 v10, v2
	v_mov_b32_e32 v11, v3
	s_waitcnt lgkmcnt(0)
	v_mov_b32_e32 v12, v6
	v_mov_b32_e32 v13, v7
	global_store_dwordx4 v[14:15], v[10:13], off
	v_mov_b32_e32 v6, v4
	v_mov_b32_e32 v7, v5
	ds_read2st64_b64 v[2:5], v16 offset0:16 offset1:24
	ds_read2st64_b64 v[10:13], v17 offset0:16 offset1:24
	v_add_co_u32_e32 v16, vcc, s2, v14
	s_cselect_b64 s[6:7], -1, 0
	s_nop 0
	v_addc_co_u32_e32 v17, vcc, 0, v15, vcc
	global_store_dwordx4 v[16:17], v[6:9], off offset:-4096
	v_lshl_or_b32 v30, v1, 3, v87
	s_mov_b32 s16, 0
	s_waitcnt lgkmcnt(1)
	v_mov_b32_e32 v6, v2
	v_add_co_u32_e32 v2, vcc, 0x3000, v14
	v_mov_b32_e32 v7, v3
	s_nop 0
	v_addc_co_u32_e32 v3, vcc, 0, v15, vcc
	s_waitcnt lgkmcnt(0)
	v_mov_b32_e32 v8, v10
	v_mov_b32_e32 v9, v11
	;; [unrolled: 1-line block ×4, first 2 shown]
	v_or_b32_e32 v20, 32, v30
	v_and_b32_e32 v18, 56, v88
	s_and_b64 vcc, exec, s[6:7]
	global_store_dwordx4 v[16:17], v[6:9], off
	global_store_dwordx4 v[2:3], v[10:13], off
	s_cbranch_vccz .LBB122_29
; %bb.24:
	s_mov_b32 s17, s16
	s_mov_b32 s18, s16
	s_mov_b32 s19, s16
	v_mov_b64_e32 v[6:7], s[16:17]
	v_mov_b64_e32 v[8:9], s[18:19]
	;; [unrolled: 1-line block ×3, first 2 shown]
	v_cmp_gt_i32_e32 vcc, s27, v30
	v_mov_b64_e32 v[4:5], v[8:9]
	s_and_saveexec_b64 s[2:3], vcc
	s_cbranch_execz .LBB122_26
; %bb.25:
	v_lshlrev_b32_e32 v2, 8, v30
	v_mov_b32_e32 v3, 0
	v_lshl_add_u64 v[4:5], s[0:1], 0, v[2:3]
	v_lshlrev_b32_e32 v2, 1, v18
	v_lshl_add_u64 v[10:11], v[4:5], 0, v[2:3]
	global_load_dwordx4 v[6:9], v[10:11], off
	global_load_dwordx4 v[2:5], v[10:11], off offset:128
.LBB122_26:
	s_or_b64 exec, exec, s[2:3]
	s_mov_b32 s17, s16
	s_mov_b32 s18, s16
	;; [unrolled: 1-line block ×3, first 2 shown]
	v_mov_b64_e32 v[14:15], s[16:17]
	v_mov_b64_e32 v[16:17], s[18:19]
	;; [unrolled: 1-line block ×3, first 2 shown]
	v_cmp_gt_i32_e32 vcc, s27, v20
	v_lshlrev_b32_e32 v21, 7, v20
	v_mov_b64_e32 v[12:13], v[16:17]
	s_and_saveexec_b64 s[2:3], vcc
	s_cbranch_execz .LBB122_28
; %bb.27:
	v_lshlrev_b32_e32 v10, 1, v21
	v_mov_b32_e32 v11, 0
	v_lshl_add_u64 v[12:13], s[0:1], 0, v[10:11]
	v_lshlrev_b32_e32 v10, 1, v18
	v_lshl_add_u64 v[26:27], v[12:13], 0, v[10:11]
	global_load_dwordx4 v[14:17], v[26:27], off
	global_load_dwordx4 v[10:13], v[26:27], off offset:128
.LBB122_28:
	s_or_b64 exec, exec, s[2:3]
	v_lshrrev_b32_e32 v25, 3, v18
	v_lshlrev_b32_e32 v26, 3, v30
	v_or_b32_e32 v25, v26, v25
	v_lshlrev_b32_e32 v25, 4, v25
	v_and_b32_e32 v26, 0x78, v26
	v_xor_b32_e32 v25, v25, v26
	s_branch .LBB122_31
.LBB122_29:
                                        ; implicit-def: $vgpr25
                                        ; implicit-def: $vgpr21
                                        ; implicit-def: $vgpr6_vgpr7_vgpr8_vgpr9
                                        ; implicit-def: $vgpr2_vgpr3_vgpr4_vgpr5
                                        ; implicit-def: $vgpr14_vgpr15_vgpr16_vgpr17
                                        ; implicit-def: $vgpr10_vgpr11_vgpr12_vgpr13
	s_cbranch_execz .LBB122_31
; %bb.30:
	s_waitcnt vmcnt(0)
	v_lshlrev_b32_e32 v2, 1, v18
	v_lshl_or_b32 v21, v30, 8, v2
	s_and_b32 s1, s1, 0xffff
	s_mov_b32 s3, 0x20000
	s_movk_i32 s2, 0x4000
	v_lshl_or_b32 v25, v20, 8, v2
	s_movk_i32 s13, 0x80
	buffer_load_dwordx4 v[6:9], v21, s[0:3], 0 offen
	buffer_load_dwordx4 v[2:5], v21, s[0:3], s13 offen
	;; [unrolled: 1-line block ×4, first 2 shown]
	v_lshrrev_b32_e32 v21, 3, v18
	v_lshlrev_b32_e32 v25, 3, v30
	v_or_b32_e32 v21, v25, v21
	v_lshlrev_b32_e32 v21, 4, v21
	v_and_b32_e32 v25, 0x78, v25
	v_xor_b32_e32 v25, v21, v25
	v_lshlrev_b32_e32 v21, 7, v20
.LBB122_31:
	s_movk_i32 s0, 0x1000
	v_and_or_b32 v20, v21, s0, v25
	s_waitcnt vmcnt(1)
	ds_write_b64 v25, v[6:7] offset:49152
	v_xor_b32_e32 v6, 8, v25
	ds_write_b64 v6, v[8:9] offset:49152
	s_waitcnt vmcnt(0)
	ds_write_b64 v25, v[2:3] offset:57344
	ds_write_b64 v6, v[4:5] offset:57344
	;; [unrolled: 1-line block ×3, first 2 shown]
	v_xor_b32_e32 v2, 8, v20
	ds_write_b64 v2, v[16:17] offset:49152
	ds_write_b64 v20, v[10:11] offset:57344
	;; [unrolled: 1-line block ×3, first 2 shown]
	v_or_b32_e32 v2, v84, v86
	v_lshlrev_b32_e32 v2, 3, v2
	v_lshrrev_b32_e32 v3, 5, v35
	s_movk_i32 s0, 0xf8
	v_and_or_b32 v3, v2, s0, v3
	v_lshlrev_b32_e32 v7, 4, v3
	v_lshlrev_b32_e32 v25, 11, v1
	v_and_b32_e32 v8, 0x78, v2
	v_or_b32_e32 v10, 32, v7
	v_and_b32_e32 v6, 0x1000, v25
	v_lshrrev_b32_e32 v3, 1, v35
	v_xor_b32_e32 v10, v10, v8
	v_xor_b32_e32 v2, v7, v8
	v_and_b32_e32 v9, 8, v3
	v_or_b32_e32 v10, v10, v6
	v_or_b32_e32 v2, v2, v6
	v_xor_b32_e32 v32, v10, v9
	v_or_b32_e32 v10, 64, v7
	v_xor_b32_e32 v31, v2, v9
	v_xor_b32_e32 v10, v10, v8
	s_waitcnt lgkmcnt(0)
	s_barrier
	v_or_b32_e32 v13, v10, v6
	ds_read_b64 v[10:11], v31 offset:49152
	v_lshl_or_b32 v14, v85, 8, v24
	v_lshlrev_b32_e32 v26, 1, v14
	v_add_u32_e32 v12, 0x4000, v26
	ds_read2_b64 v[2:5], v12 offset1:16
	v_or_b32_e32 v7, 0x60, v7
	v_xor_b32_e32 v7, v7, v8
	v_or_b32_e32 v6, v7, v6
	v_xor_b32_e32 v33, v13, v9
	v_xor_b32_e32 v77, v6, v9
	ds_read_b64 v[20:21], v32 offset:49152
	ds_read_b64 v[78:79], v33 offset:49152
	;; [unrolled: 1-line block ×3, first 2 shown]
	s_waitcnt lgkmcnt(3)
	v_mfma_f32_16x16x16_bf16 a[0:3], v[10:11], v[2:3], 0
	ds_read2st64_b64 v[6:9], v26 offset0:36 offset1:40
	s_lshl_b64 s[0:1], s[24:25], 8
	s_add_u32 s4, s4, s0
	v_mfma_f32_16x16x16_bf16 a[4:7], v[10:11], v[4:5], 0
	ds_read2_b64 v[2:5], v12 offset0:32 offset1:48
	s_addc_u32 s5, s5, s1
	s_add_i32 s1, s46, s33
	s_waitcnt lgkmcnt(0)
	v_mfma_f32_16x16x16_bf16 a[8:11], v[10:11], v[2:3], 0
	v_or_b32_e32 v2, 64, v14
	v_lshlrev_b32_e32 v27, 1, v2
	s_add_i32 s0, s12, -1
	v_mfma_f32_16x16x16_bf16 a[12:15], v[10:11], v[4:5], 0
	ds_read2st64_b64 v[2:5], v27 offset0:36 offset1:40
	s_add_i32 s39, s1, s41
	s_add_i32 s1, s48, s47
	v_mfma_f32_16x16x16_bf16 a[0:3], v[20:21], v[6:7], a[0:3]
	v_or_b32_e32 v6, 0x80, v14
	v_lshlrev_b32_e32 v28, 1, v6
	ds_read2st64_b64 v[10:13], v28 offset0:36 offset1:40
	s_waitcnt lgkmcnt(1)
	v_mfma_f32_16x16x16_bf16 a[4:7], v[20:21], v[2:3], a[4:7]
	v_or_b32_e32 v2, 0xc0, v14
	v_lshlrev_b32_e32 v29, 1, v2
	ds_read2st64_b64 v[14:17], v29 offset0:36 offset1:40
	s_add_i32 s37, s1, s49
	s_ashr_i32 s1, s0, 31
	s_mul_i32 s2, s0, s35
	s_mul_hi_u32 s3, s0, s34
	s_add_i32 s2, s3, s2
	s_mul_i32 s1, s1, s34
	s_waitcnt lgkmcnt(1)
	v_mfma_f32_16x16x16_bf16 a[8:11], v[20:21], v[10:11], a[8:11]
	s_add_i32 s1, s2, s1
	s_lshl_b64 s[2:3], s[38:39], 2
	s_add_u32 s10, s10, s2
	s_waitcnt lgkmcnt(0)
	v_mfma_f32_16x16x16_bf16 a[12:15], v[20:21], v[14:15], a[12:15]
	s_addc_u32 s11, s11, s3
	s_lshl_b64 s[2:3], s[36:37], 2
	s_mul_i32 s0, s0, s34
	v_mfma_f32_16x16x16_bf16 a[0:3], v[78:79], v[8:9], a[0:3]
	ds_read_b64 v[2:3], v26 offset:22528
	s_add_u32 s10, s10, s2
	s_addc_u32 s11, s11, s3
	v_mfma_f32_16x16x16_bf16 a[4:7], v[78:79], v[4:5], a[4:7]
	ds_read_b64 v[4:5], v27 offset:22528
	ds_read_b64 v[6:7], v28 offset:22528
	ds_read_b64 v[8:9], v29 offset:22528
	s_lshl_b64 s[0:1], s[0:1], 2
	s_add_u32 s0, s10, s0
	v_mfma_f32_16x16x16_bf16 a[8:11], v[78:79], v[12:13], a[8:11]
	s_addc_u32 s1, s11, s1
	s_load_dword s12, s[0:1], 0x0
	s_and_b64 vcc, exec, s[22:23]
	v_mfma_f32_16x16x16_bf16 a[12:15], v[78:79], v[16:17], a[12:15]
	s_waitcnt lgkmcnt(0)
	v_mfma_f32_16x16x16_bf16 a[0:3], v[80:81], v[2:3], a[0:3]
	v_mfma_f32_16x16x16_bf16 a[4:7], v[80:81], v[4:5], a[4:7]
	;; [unrolled: 1-line block ×4, first 2 shown]
	s_cbranch_vccz .LBB122_42
; %bb.32:
	v_lshlrev_b32_e32 v20, 1, v30
	s_and_b64 vcc, exec, s[6:7]
	s_cbranch_vccz .LBB122_43
; %bb.33:
	v_cmp_gt_i32_e32 vcc, s27, v20
	v_mov_b32_e32 v6, 0
	v_mov_b32_e32 v2, 0
	;; [unrolled: 1-line block ×5, first 2 shown]
	s_and_saveexec_b64 s[0:1], vcc
	s_cbranch_execz .LBB122_35
; %bb.34:
	v_mad_i64_i32 v[2:3], s[2:3], s15, v20, 0
	v_lshl_add_u64 v[2:3], v[2:3], 1, s[4:5]
	v_lshlrev_b32_e32 v4, 1, v18
	v_mov_b32_e32 v5, 0
	v_lshl_add_u64 v[2:3], v[2:3], 0, v[4:5]
	global_load_dwordx4 v[2:5], v[2:3], off
.LBB122_35:
	s_or_b64 exec, exec, s[0:1]
	v_or_b32_e32 v21, 1, v20
	v_cmp_gt_i32_e64 s[0:1], s27, v21
	v_mov_b32_e32 v7, 0
	v_mov_b32_e32 v8, 0
	;; [unrolled: 1-line block ×3, first 2 shown]
	s_and_saveexec_b64 s[2:3], s[0:1]
	s_cbranch_execz .LBB122_37
; %bb.36:
	v_mad_i64_i32 v[6:7], s[16:17], s15, v21, 0
	v_lshl_add_u64 v[6:7], v[6:7], 1, s[4:5]
	v_lshlrev_b32_e32 v8, 1, v18
	v_mov_b32_e32 v9, 0
	v_lshl_add_u64 v[6:7], v[6:7], 0, v[8:9]
	global_load_dwordx4 v[6:9], v[6:7], off
.LBB122_37:
	s_or_b64 exec, exec, s[2:3]
	v_mov_b32_e32 v17, 0
	v_mov_b32_e32 v10, 0
	;; [unrolled: 1-line block ×5, first 2 shown]
	s_and_saveexec_b64 s[2:3], vcc
	s_cbranch_execz .LBB122_39
; %bb.38:
	v_mad_i64_i32 v[10:11], s[16:17], s15, v20, 0
	v_lshl_add_u64 v[10:11], v[10:11], 1, s[4:5]
	v_lshlrev_b32_e32 v12, 1, v18
	v_mov_b32_e32 v13, 0
	v_lshl_add_u64 v[10:11], v[10:11], 0, v[12:13]
	global_load_dwordx4 v[10:13], v[10:11], off offset:128
.LBB122_39:
	s_or_b64 exec, exec, s[2:3]
	v_mov_b32_e32 v16, 0
	v_mov_b32_e32 v15, 0
	v_mov_b32_e32 v14, 0
	s_and_saveexec_b64 s[2:3], s[0:1]
	s_cbranch_execz .LBB122_41
; %bb.40:
	v_mad_i64_i32 v[14:15], s[0:1], s15, v21, 0
	v_lshl_add_u64 v[14:15], v[14:15], 1, s[4:5]
	v_lshlrev_b32_e32 v16, 1, v18
	v_mov_b32_e32 v17, 0
	v_lshl_add_u64 v[14:15], v[14:15], 0, v[16:17]
	global_load_dwordx4 v[14:17], v[14:15], off offset:128
.LBB122_41:
	s_or_b64 exec, exec, s[2:3]
	s_branch .LBB122_45
.LBB122_42:
                                        ; implicit-def: $vgpr5
                                        ; implicit-def: $vgpr9
                                        ; implicit-def: $vgpr13
                                        ; implicit-def: $vgpr17
	v_lshrrev_b32_e32 v35, 2, v35
	s_branch .LBB122_46
.LBB122_43:
                                        ; implicit-def: $vgpr5
                                        ; implicit-def: $vgpr9
                                        ; implicit-def: $vgpr13
                                        ; implicit-def: $vgpr17
	s_cbranch_execz .LBB122_45
; %bb.44:
	s_waitcnt vmcnt(0)
	v_mad_u64_u32 v[2:3], s[0:1], v20, s15, v[18:19]
	v_lshlrev_b32_e32 v20, 1, v2
	s_lshl_b32 s2, s15, 7
	s_and_b32 s1, s5, 0xffff
	s_mov_b32 s3, 0x20000
	s_mov_b32 s0, s4
	v_add_lshl_u32 v21, v2, s15, 1
	s_movk_i32 s13, 0x80
	buffer_load_dwordx4 v[2:5], v20, s[0:3], 0 offen
	buffer_load_dwordx4 v[10:13], v20, s[0:3], s13 offen
	;; [unrolled: 1-line block ×4, first 2 shown]
.LBB122_45:
	v_lshrrev_b32_e32 v35, 2, v35
	s_cbranch_execnz .LBB122_58
.LBB122_46:
	s_and_b64 vcc, exec, s[6:7]
	s_cbranch_vccz .LBB122_56
; %bb.47:
	s_waitcnt vmcnt(0)
	v_lshlrev_b32_e32 v7, 1, v30
	v_cmp_gt_i32_e32 vcc, s27, v7
	v_mov_b32_e32 v6, 0
	v_lshlrev_b32_e32 v14, 9, v30
	v_mov_b32_e32 v2, 0
	v_mov_b32_e32 v3, 0
	;; [unrolled: 1-line block ×4, first 2 shown]
	s_and_saveexec_b64 s[0:1], vcc
	s_cbranch_execz .LBB122_49
; %bb.48:
	v_mov_b32_e32 v15, 0
	v_lshl_add_u64 v[2:3], s[4:5], 0, v[14:15]
	v_lshlrev_b32_e32 v4, 1, v18
	v_mov_b32_e32 v5, v15
	v_lshl_add_u64 v[2:3], v[2:3], 0, v[4:5]
	global_load_dwordx4 v[2:5], v[2:3], off
.LBB122_49:
	s_or_b64 exec, exec, s[0:1]
	v_or_b32_e32 v7, 1, v7
	v_cmp_gt_i32_e64 s[0:1], s27, v7
	v_lshlrev_b32_e32 v20, 8, v7
	v_mov_b32_e32 v7, 0
	v_mov_b32_e32 v8, 0
	;; [unrolled: 1-line block ×3, first 2 shown]
	s_and_saveexec_b64 s[2:3], s[0:1]
	s_cbranch_execz .LBB122_51
; %bb.50:
	v_mov_b32_e32 v21, 0
	v_lshl_add_u64 v[6:7], s[4:5], 0, v[20:21]
	v_lshlrev_b32_e32 v8, 1, v18
	v_mov_b32_e32 v9, v21
	v_lshl_add_u64 v[6:7], v[6:7], 0, v[8:9]
	global_load_dwordx4 v[6:9], v[6:7], off
.LBB122_51:
	s_or_b64 exec, exec, s[2:3]
	v_mov_b32_e32 v17, 0
	v_mov_b32_e32 v10, 0
	v_mov_b32_e32 v11, 0
	v_mov_b32_e32 v12, 0
	v_mov_b32_e32 v13, 0
	s_and_saveexec_b64 s[2:3], vcc
	s_cbranch_execz .LBB122_53
; %bb.52:
	v_mov_b32_e32 v15, 0
	v_lshl_add_u64 v[10:11], s[4:5], 0, v[14:15]
	v_lshlrev_b32_e32 v14, 1, v18
	v_lshl_add_u64 v[10:11], v[10:11], 0, v[14:15]
	global_load_dwordx4 v[10:13], v[10:11], off offset:128
.LBB122_53:
	s_or_b64 exec, exec, s[2:3]
	v_mov_b32_e32 v16, 0
	v_mov_b32_e32 v15, 0
	v_mov_b32_e32 v14, 0
	s_and_saveexec_b64 s[2:3], s[0:1]
	s_cbranch_execz .LBB122_55
; %bb.54:
	v_mov_b32_e32 v21, 0
	v_lshl_add_u64 v[14:15], s[4:5], 0, v[20:21]
	v_lshlrev_b32_e32 v20, 1, v18
	v_lshl_add_u64 v[14:15], v[14:15], 0, v[20:21]
	global_load_dwordx4 v[14:17], v[14:15], off offset:128
.LBB122_55:
	s_or_b64 exec, exec, s[2:3]
	s_branch .LBB122_58
.LBB122_56:
                                        ; implicit-def: $vgpr5
                                        ; implicit-def: $vgpr9
                                        ; implicit-def: $vgpr13
                                        ; implicit-def: $vgpr17
	s_cbranch_execz .LBB122_58
; %bb.57:
	s_waitcnt vmcnt(0)
	v_lshlrev_b32_e32 v2, 1, v18
	v_lshl_or_b32 v18, v30, 9, v2
	s_and_b32 s5, s5, 0xffff
	s_mov_b32 s7, 0x20000
	s_movk_i32 s6, 0x4000
	s_movk_i32 s0, 0x80
	buffer_load_dwordx4 v[2:5], v18, s[4:7], 0 offen
	buffer_load_dwordx4 v[6:9], v18, s[4:7], 0 offen offset:256
	buffer_load_dwordx4 v[10:13], v18, s[4:7], s0 offen
	buffer_load_dwordx4 v[14:17], v18, s[4:7], s0 offen offset:256
.LBB122_58:
	ds_read_b64 v[20:21], v31 offset:57344
	v_add_u32_e32 v18, 0x6000, v26
	ds_read2_b64 v[78:81], v18 offset1:16
	ds_read_b64 v[82:83], v32 offset:57344
	ds_read_b64 v[32:33], v33 offset:57344
	;; [unrolled: 1-line block ×3, first 2 shown]
	ds_read2st64_b64 v[86:89], v26 offset0:52 offset1:56
	v_and_b32_e32 v31, 1, v0
	v_cmp_eq_u32_e32 vcc, 0, v31
	s_mov_b32 s0, 0x1000504
	s_waitcnt vmcnt(0)
	v_perm_b32 v31, v10, v14, s0
	s_mov_b32 s1, 0x3020706
	s_waitcnt lgkmcnt(4)
	v_mfma_f32_16x16x16_bf16 a[0:3], v[20:21], v[78:79], a[0:3]
	v_mfma_f32_16x16x16_bf16 a[4:7], v[20:21], v[80:81], a[4:7]
	ds_read2_b64 v[78:81], v18 offset0:32 offset1:48
	v_and_b32_e32 v18, 6, v0
	v_xor_b32_e32 v30, v30, v18
	s_waitcnt lgkmcnt(0)
	v_mfma_f32_16x16x16_bf16 a[8:11], v[20:21], v[78:79], a[8:11]
	v_lshlrev_b32_e32 v30, 2, v30
	v_xor_b32_e32 v77, 0x440, v30
	v_cndmask_b32_e32 v30, v77, v30, vcc
	v_mfma_f32_16x16x16_bf16 a[12:15], v[20:21], v[80:81], a[12:15]
	ds_read2st64_b64 v[78:81], v27 offset0:52 offset1:56
	ds_read2st64_b64 v[90:93], v28 offset0:52 offset1:56
	;; [unrolled: 1-line block ×3, first 2 shown]
	v_lshl_or_b32 v18, v18, 10, v30
	v_perm_b32 v30, v2, v6, s0
	v_mfma_f32_16x16x16_bf16 a[0:3], v[82:83], v[86:87], a[0:3]
	ds_read_b64 v[20:21], v26 offset:30720
	ds_read_b64 v[86:87], v27 offset:30720
	;; [unrolled: 1-line block ×4, first 2 shown]
	ds_write2st64_b32 v18, v30, v31 offset0:128 offset1:160
	v_xor_b32_e32 v30, 8, v18
	s_waitcnt lgkmcnt(7)
	v_mfma_f32_16x16x16_bf16 a[4:7], v[82:83], v[78:79], a[4:7]
	v_perm_b32 v2, v2, v6, s1
	v_perm_b32 v6, v10, v14, s1
	v_add_u32_e32 v10, 0x80, v30
	s_waitcnt lgkmcnt(6)
	v_mfma_f32_16x16x16_bf16 a[8:11], v[82:83], v[90:91], a[8:11]
	ds_write2st64_b32 v10, v2, v6 offset0:128 offset1:160
	v_xor_b32_e32 v2, 16, v18
	v_perm_b32 v6, v3, v7, s0
	s_waitcnt lgkmcnt(6)
	v_mfma_f32_16x16x16_bf16 a[12:15], v[82:83], v[94:95], a[12:15]
	v_perm_b32 v10, v11, v15, s0
	ds_write2st64_b32 v2, v6, v10 offset0:129 offset1:161
	v_xor_b32_e32 v2, 24, v18
	v_mfma_f32_16x16x16_bf16 a[0:3], v[32:33], v[88:89], a[0:3]
	v_perm_b32 v3, v3, v7, s1
	v_perm_b32 v6, v11, v15, s1
	v_add_u32_e32 v2, 0x80, v2
	v_mfma_f32_16x16x16_bf16 a[4:7], v[32:33], v[80:81], a[4:7]
	ds_write2st64_b32 v2, v3, v6 offset0:129 offset1:161
	v_xor_b32_e32 v2, 32, v18
	v_perm_b32 v3, v4, v8, s0
	v_mfma_f32_16x16x16_bf16 a[16:19], v[32:33], v[92:93], a[8:11]
	v_perm_b32 v6, v12, v16, s0
	ds_write2st64_b32 v2, v3, v6 offset0:130 offset1:162
	v_xor_b32_e32 v2, 40, v18
	v_mfma_f32_16x16x16_bf16 a[20:23], v[32:33], v[96:97], a[12:15]
	v_perm_b32 v3, v4, v8, s1
	v_perm_b32 v4, v12, v16, s1
	v_add_u32_e32 v2, 0x80, v2
	s_waitcnt lgkmcnt(8)
	v_mfma_f32_16x16x16_bf16 a[12:15], v[98:99], v[20:21], a[0:3]
	ds_write2st64_b32 v2, v3, v4 offset0:130 offset1:162
	v_xor_b32_e32 v2, 48, v18
	v_perm_b32 v3, v5, v9, s0
	s_waitcnt lgkmcnt(8)
	v_mfma_f32_16x16x16_bf16 a[8:11], v[98:99], v[86:87], a[4:7]
	v_perm_b32 v4, v13, v17, s0
	ds_write2st64_b32 v2, v3, v4 offset0:131 offset1:163
	v_xor_b32_e32 v2, 56, v18
	s_waitcnt lgkmcnt(8)
	v_mfma_f32_16x16x16_bf16 a[4:7], v[98:99], v[100:101], a[16:19]
	v_and_or_b32 v21, v35, 12, v84
	v_perm_b32 v3, v5, v9, s1
	v_perm_b32 v4, v13, v17, s1
	s_waitcnt lgkmcnt(7)
	v_mfma_f32_16x16x16_bf16 a[0:3], v[98:99], v[102:103], a[20:23]
	v_add_u32_e32 v2, 0x80, v2
	v_cmp_gt_i32_e32 vcc, s27, v21
	v_mov_b32_e32 v16, 0
	v_mov_b32_e32 v18, 0
	ds_write2st64_b32 v2, v3, v4 offset0:131 offset1:163
	s_and_saveexec_b64 s[0:1], vcc
	s_cbranch_execz .LBB122_60
; %bb.59:
	v_add_u32_e32 v2, s26, v21
	v_ashrrev_i32_e32 v3, 31, v2
	v_mul_lo_u32 v4, v3, s34
	v_mul_lo_u32 v5, v2, s35
	v_mad_u64_u32 v[2:3], s[2:3], v2, s34, 0
	v_add3_u32 v3, v3, v5, v4
	v_lshl_add_u64 v[2:3], v[2:3], 2, s[10:11]
	global_load_dword v2, v[2:3], off
	s_waitcnt vmcnt(0)
	v_sub_f32_e32 v2, s12, v2
	v_mul_f32_e32 v2, 0x3fb8aa3b, v2
	v_exp_f32_e32 v18, v2
.LBB122_60:
	s_or_b64 exec, exec, s[0:1]
	v_or_b32_e32 v8, 1, v21
	v_cmp_gt_i32_e64 s[0:1], s27, v8
	s_and_saveexec_b64 s[2:3], s[0:1]
	s_cbranch_execz .LBB122_62
; %bb.61:
	v_add_u32_e32 v2, s26, v8
	v_ashrrev_i32_e32 v3, 31, v2
	v_mul_lo_u32 v4, v3, s34
	v_mul_lo_u32 v5, v2, s35
	v_mad_u64_u32 v[2:3], s[4:5], v2, s34, 0
	v_add3_u32 v3, v3, v5, v4
	v_lshl_add_u64 v[2:3], v[2:3], 2, s[10:11]
	global_load_dword v2, v[2:3], off
	s_waitcnt vmcnt(0)
	v_sub_f32_e32 v2, s12, v2
	v_mul_f32_e32 v2, 0x3fb8aa3b, v2
	v_exp_f32_e32 v16, v2
.LBB122_62:
	s_or_b64 exec, exec, s[2:3]
	v_or_b32_e32 v9, 2, v21
	v_cmp_gt_i32_e64 s[2:3], s27, v9
	v_mov_b32_e32 v17, 0
	v_mov_b32_e32 v20, 0
	s_and_saveexec_b64 s[4:5], s[2:3]
	s_cbranch_execz .LBB122_64
; %bb.63:
	v_add_u32_e32 v2, s26, v9
	v_ashrrev_i32_e32 v3, 31, v2
	v_mul_lo_u32 v4, v3, s34
	v_mul_lo_u32 v5, v2, s35
	v_mad_u64_u32 v[2:3], s[6:7], v2, s34, 0
	v_add3_u32 v3, v3, v5, v4
	v_lshl_add_u64 v[2:3], v[2:3], 2, s[10:11]
	global_load_dword v2, v[2:3], off
	s_waitcnt vmcnt(0)
	v_sub_f32_e32 v2, s12, v2
	v_mul_f32_e32 v2, 0x3fb8aa3b, v2
	v_exp_f32_e32 v20, v2
.LBB122_64:
	s_or_b64 exec, exec, s[4:5]
	v_or_b32_e32 v30, 3, v21
	v_cmp_gt_i32_e64 s[4:5], s27, v30
	s_and_saveexec_b64 s[6:7], s[4:5]
	s_cbranch_execz .LBB122_66
; %bb.65:
	v_add_u32_e32 v2, s26, v30
	v_ashrrev_i32_e32 v3, 31, v2
	v_mul_lo_u32 v4, v3, s34
	v_mul_lo_u32 v5, v2, s35
	v_mad_u64_u32 v[2:3], s[14:15], v2, s34, 0
	v_add3_u32 v3, v3, v5, v4
	v_lshl_add_u64 v[2:3], v[2:3], 2, s[10:11]
	global_load_dword v2, v[2:3], off
	s_waitcnt vmcnt(0)
	v_sub_f32_e32 v2, s12, v2
	v_mul_f32_e32 v2, 0x3fb8aa3b, v2
	v_exp_f32_e32 v17, v2
.LBB122_66:
	s_or_b64 exec, exec, s[6:7]
	s_add_u32 s6, s8, s20
	v_accvgpr_read_b32 v2, a12
	s_addc_u32 s7, s9, s21
	v_ashrrev_i32_e32 v77, 31, v76
	v_accvgpr_read_b32 v3, a13
	v_accvgpr_read_b32 v4, a14
	;; [unrolled: 1-line block ×3, first 2 shown]
	v_lshl_add_u64 v[6:7], v[76:77], 1, s[6:7]
	v_mov_b32_e32 v13, 0
	v_lshlrev_b32_e32 v10, 8, v21
	v_mov_b32_e32 v11, 0
	s_and_saveexec_b64 s[6:7], vcc
	s_cbranch_execz .LBB122_68
; %bb.67:
	v_mov_b32_e32 v11, 0
	v_lshl_add_u64 v[14:15], v[6:7], 0, v[10:11]
	global_load_ushort v11, v[14:15], off
	s_waitcnt vmcnt(0)
	v_lshlrev_b32_e32 v11, 16, v11
	v_sub_f32_e32 v2, v11, v2
	v_mul_f32_e32 v2, v18, v2
	v_lshrrev_b32_e32 v11, 16, v2
.LBB122_68:
	s_or_b64 exec, exec, s[6:7]
	v_lshlrev_b32_e32 v12, 8, v8
	s_and_saveexec_b64 s[6:7], s[0:1]
	s_cbranch_execz .LBB122_70
; %bb.69:
	v_mov_b32_e32 v13, 0
	v_lshl_add_u64 v[14:15], v[6:7], 0, v[12:13]
	global_load_ushort v2, v[14:15], off
	s_waitcnt vmcnt(0)
	v_lshlrev_b32_e32 v2, 16, v2
	v_sub_f32_e32 v2, v2, v3
	v_mul_f32_e32 v2, v16, v2
	v_lshrrev_b32_e32 v13, 16, v2
.LBB122_70:
	s_or_b64 exec, exec, s[6:7]
	v_mov_b32_e32 v31, 0
	v_lshlrev_b32_e32 v14, 8, v9
	v_mov_b32_e32 v15, 0
	s_and_saveexec_b64 s[6:7], s[2:3]
	s_cbranch_execz .LBB122_72
; %bb.71:
	v_mov_b32_e32 v15, 0
	v_lshl_add_u64 v[2:3], v[6:7], 0, v[14:15]
	global_load_ushort v2, v[2:3], off
	s_waitcnt vmcnt(0)
	v_lshlrev_b32_e32 v2, 16, v2
	v_sub_f32_e32 v2, v2, v4
	v_mul_f32_e32 v2, v20, v2
	v_lshrrev_b32_e32 v15, 16, v2
.LBB122_72:
	s_or_b64 exec, exec, s[6:7]
	v_lshlrev_b32_e32 v8, 8, v30
	s_and_saveexec_b64 s[6:7], s[4:5]
	s_cbranch_execz .LBB122_74
; %bb.73:
	v_mov_b32_e32 v9, 0
	v_lshl_add_u64 v[2:3], v[6:7], 0, v[8:9]
	global_load_ushort v2, v[2:3], off
	s_waitcnt vmcnt(0)
	v_lshlrev_b32_e32 v2, 16, v2
	v_sub_f32_e32 v2, v2, v5
	v_mul_f32_e32 v2, v17, v2
	v_lshrrev_b32_e32 v31, 16, v2
.LBB122_74:
	s_or_b64 exec, exec, s[6:7]
	v_lshlrev_b32_e32 v21, 6, v21
	v_accvgpr_read_b32 v2, a8
	s_mov_b32 s6, 0x5040100
	v_or_b32_e32 v9, v21, v24
	v_accvgpr_read_b32 v3, a9
	v_accvgpr_read_b32 v4, a10
	;; [unrolled: 1-line block ×3, first 2 shown]
	v_perm_b32 v31, v31, v15, s6
	v_perm_b32 v30, v13, v11, s6
	v_lshlrev_b32_e32 v9, 1, v9
	v_mov_b32_e32 v13, 0
	v_mov_b32_e32 v11, 0
	ds_write_b64 v9, v[30:31] offset:24576
	s_and_saveexec_b64 s[6:7], vcc
	s_cbranch_execz .LBB122_76
; %bb.75:
	v_mov_b32_e32 v11, 0
	v_lshl_add_u64 v[30:31], v[6:7], 0, v[10:11]
	global_load_ushort v9, v[30:31], off offset:32
	s_waitcnt vmcnt(0)
	v_lshlrev_b32_e32 v9, 16, v9
	v_sub_f32_e32 v2, v9, v2
	v_mul_f32_e32 v2, v18, v2
	v_lshrrev_b32_e32 v11, 16, v2
.LBB122_76:
	s_or_b64 exec, exec, s[6:7]
	s_and_saveexec_b64 s[6:7], s[0:1]
	s_cbranch_execz .LBB122_78
; %bb.77:
	v_mov_b32_e32 v13, 0
	v_lshl_add_u64 v[30:31], v[6:7], 0, v[12:13]
	global_load_ushort v2, v[30:31], off offset:32
	s_waitcnt vmcnt(0)
	v_lshlrev_b32_e32 v2, 16, v2
	v_sub_f32_e32 v2, v2, v3
	v_mul_f32_e32 v2, v16, v2
	v_lshrrev_b32_e32 v13, 16, v2
.LBB122_78:
	s_or_b64 exec, exec, s[6:7]
	v_mov_b32_e32 v9, 0
	v_mov_b32_e32 v15, 0
	s_and_saveexec_b64 s[6:7], s[2:3]
	s_cbranch_execz .LBB122_80
; %bb.79:
	v_mov_b32_e32 v15, 0
	v_lshl_add_u64 v[2:3], v[6:7], 0, v[14:15]
	global_load_ushort v2, v[2:3], off offset:32
	s_waitcnt vmcnt(0)
	v_lshlrev_b32_e32 v2, 16, v2
	v_sub_f32_e32 v2, v2, v4
	v_mul_f32_e32 v2, v20, v2
	v_lshrrev_b32_e32 v15, 16, v2
.LBB122_80:
	s_or_b64 exec, exec, s[6:7]
	s_and_saveexec_b64 s[6:7], s[4:5]
	s_cbranch_execz .LBB122_82
; %bb.81:
	v_mov_b32_e32 v9, 0
	v_lshl_add_u64 v[2:3], v[6:7], 0, v[8:9]
	global_load_ushort v2, v[2:3], off offset:32
	s_waitcnt vmcnt(0)
	v_lshlrev_b32_e32 v2, 16, v2
	v_sub_f32_e32 v2, v2, v5
	v_mul_f32_e32 v2, v17, v2
	v_lshrrev_b32_e32 v9, 16, v2
.LBB122_82:
	s_or_b64 exec, exec, s[6:7]
	s_mov_b32 s6, 0x5040100
	v_accvgpr_read_b32 v2, a4
	v_perm_b32 v31, v9, v15, s6
	v_or_b32_e32 v9, v21, v23
	v_accvgpr_read_b32 v3, a5
	v_accvgpr_read_b32 v4, a6
	;; [unrolled: 1-line block ×3, first 2 shown]
	v_perm_b32 v30, v13, v11, s6
	v_lshlrev_b32_e32 v9, 1, v9
	v_mov_b32_e32 v13, 0
	v_mov_b32_e32 v11, 0
	ds_write_b64 v9, v[30:31] offset:24576
	s_and_saveexec_b64 s[6:7], vcc
	s_cbranch_execz .LBB122_84
; %bb.83:
	v_mov_b32_e32 v11, 0
	v_lshl_add_u64 v[30:31], v[6:7], 0, v[10:11]
	global_load_ushort v9, v[30:31], off offset:64
	s_waitcnt vmcnt(0)
	v_lshlrev_b32_e32 v9, 16, v9
	v_sub_f32_e32 v2, v9, v2
	v_mul_f32_e32 v2, v18, v2
	v_lshrrev_b32_e32 v11, 16, v2
.LBB122_84:
	s_or_b64 exec, exec, s[6:7]
	s_and_saveexec_b64 s[6:7], s[0:1]
	s_cbranch_execz .LBB122_86
; %bb.85:
	v_mov_b32_e32 v13, 0
	v_lshl_add_u64 v[30:31], v[6:7], 0, v[12:13]
	global_load_ushort v2, v[30:31], off offset:64
	s_waitcnt vmcnt(0)
	v_lshlrev_b32_e32 v2, 16, v2
	v_sub_f32_e32 v2, v2, v3
	v_mul_f32_e32 v2, v16, v2
	v_lshrrev_b32_e32 v13, 16, v2
.LBB122_86:
	s_or_b64 exec, exec, s[6:7]
	v_mov_b32_e32 v9, 0
	v_mov_b32_e32 v15, 0
	s_and_saveexec_b64 s[6:7], s[2:3]
	s_cbranch_execz .LBB122_88
; %bb.87:
	v_mov_b32_e32 v15, 0
	v_lshl_add_u64 v[2:3], v[6:7], 0, v[14:15]
	global_load_ushort v2, v[2:3], off offset:64
	s_waitcnt vmcnt(0)
	v_lshlrev_b32_e32 v2, 16, v2
	v_sub_f32_e32 v2, v2, v4
	v_mul_f32_e32 v2, v20, v2
	v_lshrrev_b32_e32 v15, 16, v2
.LBB122_88:
	s_or_b64 exec, exec, s[6:7]
	s_and_saveexec_b64 s[6:7], s[4:5]
	s_cbranch_execz .LBB122_90
; %bb.89:
	v_mov_b32_e32 v9, 0
	v_lshl_add_u64 v[2:3], v[6:7], 0, v[8:9]
	global_load_ushort v2, v[2:3], off offset:64
	s_waitcnt vmcnt(0)
	v_lshlrev_b32_e32 v2, 16, v2
	v_sub_f32_e32 v2, v2, v5
	v_mul_f32_e32 v2, v17, v2
	v_lshrrev_b32_e32 v9, 16, v2
.LBB122_90:
	s_or_b64 exec, exec, s[6:7]
	s_mov_b32 s6, 0x5040100
	v_accvgpr_read_b32 v5, a3
	v_perm_b32 v31, v9, v15, s6
	v_or_b32_e32 v9, v21, v22
	v_accvgpr_read_b32 v4, a2
	v_accvgpr_read_b32 v3, a1
	;; [unrolled: 1-line block ×3, first 2 shown]
	v_perm_b32 v30, v13, v11, s6
	v_lshlrev_b32_e32 v9, 1, v9
	v_mov_b32_e32 v13, 0
	v_mov_b32_e32 v11, 0
	ds_write_b64 v9, v[30:31] offset:24576
	s_and_saveexec_b64 s[6:7], vcc
	s_cbranch_execz .LBB122_92
; %bb.91:
	v_mov_b32_e32 v11, 0
	v_lshl_add_u64 v[10:11], v[6:7], 0, v[10:11]
	global_load_ushort v9, v[10:11], off offset:96
	s_waitcnt vmcnt(0)
	v_lshlrev_b32_e32 v9, 16, v9
	v_sub_f32_e32 v2, v9, v2
	v_mul_f32_e32 v2, v18, v2
	v_lshrrev_b32_e32 v11, 16, v2
.LBB122_92:
	s_or_b64 exec, exec, s[6:7]
	s_and_saveexec_b64 s[6:7], s[0:1]
	s_cbranch_execz .LBB122_94
; %bb.93:
	v_mov_b32_e32 v13, 0
	v_lshl_add_u64 v[12:13], v[6:7], 0, v[12:13]
	global_load_ushort v2, v[12:13], off offset:96
	s_waitcnt vmcnt(0)
	v_lshlrev_b32_e32 v2, 16, v2
	v_sub_f32_e32 v2, v2, v3
	v_mul_f32_e32 v2, v16, v2
	v_lshrrev_b32_e32 v13, 16, v2
.LBB122_94:
	s_or_b64 exec, exec, s[6:7]
	v_mov_b32_e32 v9, 0
	v_mov_b32_e32 v12, 0
	s_and_saveexec_b64 s[0:1], s[2:3]
	s_cbranch_execz .LBB122_96
; %bb.95:
	v_mov_b32_e32 v15, 0
	v_lshl_add_u64 v[2:3], v[6:7], 0, v[14:15]
	global_load_ushort v2, v[2:3], off offset:96
	s_waitcnt vmcnt(0)
	v_lshlrev_b32_e32 v2, 16, v2
	v_sub_f32_e32 v2, v2, v4
	v_mul_f32_e32 v2, v20, v2
	v_lshrrev_b32_e32 v12, 16, v2
.LBB122_96:
	s_or_b64 exec, exec, s[0:1]
	v_or_b32_e32 v10, 0x6000, v26
	v_or_b32_e32 v4, 0x6000, v27
	;; [unrolled: 1-line block ×4, first 2 shown]
	s_and_saveexec_b64 s[0:1], s[4:5]
	s_cbranch_execz .LBB122_98
; %bb.97:
	v_mov_b32_e32 v9, 0
	v_lshl_add_u64 v[6:7], v[6:7], 0, v[8:9]
	global_load_ushort v6, v[6:7], off offset:96
	s_waitcnt vmcnt(0)
	v_lshlrev_b32_e32 v6, 16, v6
	v_sub_f32_e32 v5, v6, v5
	v_mul_f32_e32 v5, v17, v5
	v_lshrrev_b32_e32 v9, 16, v5
.LBB122_98:
	s_or_b64 exec, exec, s[0:1]
	s_mov_b32 s0, 0x5040100
	v_or_b32_e32 v5, v21, v19
	v_perm_b32 v7, v9, v12, s0
	v_perm_b32 v6, v13, v11, s0
	v_lshlrev_b32_e32 v5, 1, v5
	s_movk_i32 s0, 0x100
	ds_write_b64 v5, v[6:7] offset:24576
	v_and_b32_e32 v5, 7, v0
	v_and_b32_e32 v6, 8, v0
	v_cmp_gt_u32_e32 vcc, s0, v0
	v_lshrrev_b32_e32 v0, 1, v0
	v_lshlrev_b32_e32 v35, 3, v1
	v_and_b32_e32 v78, 24, v0
	v_mov_b32_e32 v7, 0xa000
	v_mov_b32_e32 v8, 0x8000
	v_xor_b32_e32 v0, v35, v78
	v_or_b32_e32 v16, 32, v78
	v_cndmask_b32_e32 v24, v7, v8, vcc
	v_or_b32_e32 v1, 0x440, v0
	v_cmp_eq_u32_e32 vcc, 0, v6
	v_xor_b32_e32 v16, v35, v16
	v_or_b32_e32 v17, 0x440, v16
	v_cndmask_b32_e32 v0, v1, v0, vcc
	v_lshlrev_b32_e32 v11, 3, v5
	v_lshlrev_b32_e32 v5, 7, v5
	v_or_b32_e32 v0, v0, v25
	v_cndmask_b32_e32 v16, v17, v16, vcc
	v_xad_u32 v79, v0, v11, v5
	v_or_b32_e32 v16, v16, v25
	v_add_u32_e32 v0, v24, v79
	v_xad_u32 v80, v16, v11, v5
	s_waitcnt lgkmcnt(0)
	s_barrier
	ds_read_b64 v[0:1], v0
	ds_read2_b64 v[6:9], v10 offset1:16
	ds_read2_b64 v[12:15], v10 offset0:32 offset1:48
	v_add_u32_e32 v16, v24, v80
	ds_read_b64 v[76:77], v16
	s_waitcnt lgkmcnt(2)
	v_mfma_f32_16x16x16_bf16 a[0:3], v[0:1], v[6:7], 0
	ds_read2st64_b64 v[16:19], v10 offset0:4 offset1:8
	ds_read2st64_b64 v[20:23], v4 offset0:4 offset1:8
	;; [unrolled: 1-line block ×3, first 2 shown]
	v_mfma_f32_16x16x16_bf16 a[4:7], v[0:1], v[8:9], 0
	ds_read2st64_b64 v[30:33], v2 offset0:4 offset1:8
	s_waitcnt lgkmcnt(5)
	v_mfma_f32_16x16x16_bf16 a[8:11], v[0:1], v[12:13], 0
	v_mfma_f32_16x16x16_bf16 a[12:15], v[0:1], v[14:15], 0
	v_or_b32_e32 v0, 64, v78
	v_xor_b32_e32 v0, v35, v0
	v_xor_b32_e32 v1, 0x440, v0
	v_cndmask_b32_e32 v0, v1, v0, vcc
	v_or_b32_e32 v0, v0, v25
	s_waitcnt lgkmcnt(3)
	v_mfma_f32_16x16x16_bf16 a[0:3], v[76:77], v[16:17], a[0:3]
	s_waitcnt lgkmcnt(2)
	v_mfma_f32_16x16x16_bf16 a[4:7], v[76:77], v[20:21], a[4:7]
	s_waitcnt lgkmcnt(1)
	v_mfma_f32_16x16x16_bf16 a[8:11], v[76:77], v[26:27], a[8:11]
	s_waitcnt lgkmcnt(0)
	v_mfma_f32_16x16x16_bf16 a[12:15], v[76:77], v[30:31], a[12:15]
	v_xad_u32 v76, v0, v11, v5
	v_add_u32_e32 v0, v24, v76
	ds_read_b64 v[0:1], v0
	v_or_b32_e32 v77, 0x60, v78
	v_xor_b32_e32 v35, v35, v77
	v_xor_b32_e32 v77, 0x440, v35
	v_cndmask_b32_e32 v35, v77, v35, vcc
	v_or_b32_e32 v25, v35, v25
	v_xad_u32 v35, v25, v11, v5
	v_add_u32_e32 v5, v24, v35
	s_waitcnt lgkmcnt(0)
	v_mfma_f32_16x16x16_bf16 a[0:3], v[0:1], v[18:19], a[0:3]
	ds_read_b64 v[24:25], v5
	ds_read_b64 v[10:11], v10 offset:6144
	v_mfma_f32_16x16x16_bf16 a[4:7], v[0:1], v[22:23], a[4:7]
	v_mfma_f32_16x16x16_bf16 a[8:11], v[0:1], v[28:29], a[8:11]
	;; [unrolled: 1-line block ×3, first 2 shown]
	ds_read_b64 v[0:1], v4 offset:6144
	ds_read_b64 v[4:5], v3 offset:6144
	ds_read_b64 v[2:3], v2 offset:6144
	s_waitcnt lgkmcnt(3)
	v_mfma_f32_16x16x16_bf16 a[0:3], v[24:25], v[10:11], a[0:3]
	s_waitcnt lgkmcnt(2)
	v_mfma_f32_16x16x16_bf16 a[4:7], v[24:25], v[0:1], a[4:7]
	;; [unrolled: 2-line block ×4, first 2 shown]
	ds_read_b64 v[24:25], v79 offset:40960
	s_waitcnt lgkmcnt(0)
	v_mfma_f32_16x16x16_bf16 a[16:19], v[24:25], v[6:7], 0
	ds_read_b64 v[6:7], v80 offset:40960
	v_mfma_f32_16x16x16_bf16 a[20:23], v[24:25], v[8:9], 0
	v_mov_b32_e32 v8, 0x3fb8aa3b
	v_mul_f32_e32 v8, s12, v8
	v_exp_f32_e32 v8, v8
	v_mfma_f32_16x16x16_bf16 a[24:27], v[24:25], v[12:13], 0
	ds_read_b64 v[12:13], v76 offset:40960
	v_mfma_f32_16x16x16_bf16 a[28:31], v[24:25], v[14:15], 0
	v_accvgpr_read_b32 v15, a3
	v_accvgpr_read_b32 v14, a2
	v_pk_fma_f32 v[74:75], v[74:75], v[8:9], v[14:15] op_sel_hi:[1,0,1]
	ds_read_b64 v[14:15], v35 offset:40960
	s_waitcnt lgkmcnt(2)
	v_mfma_f32_16x16x16_bf16 a[16:19], v[6:7], v[16:17], a[16:19]
	v_accvgpr_read_b32 v17, a7
	v_accvgpr_read_b32 v16, a6
	v_pk_fma_f32 v[66:67], v[66:67], v[8:9], v[16:17] op_sel_hi:[1,0,1]
	v_mfma_f32_16x16x16_bf16 a[20:23], v[6:7], v[20:21], a[20:23]
	v_accvgpr_read_b32 v21, a1
	v_accvgpr_read_b32 v20, a0
	v_pk_fma_f32 v[70:71], v[70:71], v[8:9], v[20:21] op_sel_hi:[1,0,1]
	;; [unrolled: 4-line block ×4, first 2 shown]
	s_waitcnt lgkmcnt(1)
	v_mfma_f32_16x16x16_bf16 a[16:19], v[12:13], v[18:19], a[16:19]
	v_accvgpr_read_b32 v6, a12
	v_accvgpr_read_b32 v7, a13
	v_pk_fma_f32 v[46:47], v[46:47], v[8:9], v[6:7] op_sel_hi:[1,0,1]
	v_mfma_f32_16x16x16_bf16 a[0:3], v[12:13], v[22:23], a[20:23]
	v_accvgpr_read_b32 v19, a15
	v_accvgpr_read_b32 v18, a14
	v_pk_fma_f32 v[52:53], v[52:53], v[8:9], v[18:19] op_sel_hi:[1,0,1]
	v_mfma_f32_16x16x16_bf16 a[20:23], v[12:13], v[28:29], a[24:27]
	v_mfma_f32_16x16x16_bf16 a[4:7], v[12:13], v[32:33], a[28:31]
	v_accvgpr_read_b32 v13, a9
	v_accvgpr_read_b32 v12, a8
	v_pk_fma_f32 v[54:55], v[54:55], v[8:9], v[12:13] op_sel_hi:[1,0,1]
	s_waitcnt lgkmcnt(0)
	v_mfma_f32_16x16x16_bf16 a[8:11], v[14:15], v[10:11], a[16:19]
	v_mfma_f32_16x16x16_bf16 a[0:3], v[14:15], v[0:1], a[0:3]
	s_nop 5
	v_accvgpr_read_b32 v1, a11
	v_accvgpr_read_b32 v0, a10
	v_mfma_f32_16x16x16_bf16 a[10:13], v[14:15], v[4:5], a[20:23]
	v_pk_fma_f32 v[72:73], v[72:73], v[8:9], v[0:1] op_sel_hi:[1,0,1]
	v_accvgpr_read_b32 v7, a3
	v_accvgpr_read_b32 v6, a2
	v_mfma_f32_16x16x16_bf16 a[2:5], v[14:15], v[2:3], a[4:7]
	v_accvgpr_read_b32 v0, a0
	v_accvgpr_read_b32 v1, a1
	v_pk_fma_f32 v[60:61], v[60:61], v[8:9], v[0:1] op_sel_hi:[1,0,1]
	v_accvgpr_read_b32 v0, a10
	v_accvgpr_read_b32 v1, a11
	;; [unrolled: 1-line block ×3, first 2 shown]
	v_pk_fma_f32 v[50:51], v[50:51], v[8:9], v[0:1] op_sel_hi:[1,0,1]
	v_accvgpr_read_b32 v0, a2
	v_accvgpr_read_b32 v5, a13
	;; [unrolled: 1-line block ×7, first 2 shown]
	v_pk_fma_f32 v[68:69], v[68:69], v[8:9], v[10:11] op_sel_hi:[1,0,1]
	v_pk_fma_f32 v[64:65], v[64:65], v[8:9], v[6:7] op_sel_hi:[1,0,1]
	;; [unrolled: 1-line block ×5, first 2 shown]
.LBB122_99:
	s_waitcnt lgkmcnt(0)
	s_add_u32 s0, s30, s28
	s_addc_u32 s1, s31, s29
	v_lshl_add_u64 v[0:1], v[36:37], 1, s[0:1]
	v_mov_b32_e32 v35, 0
	s_mov_b32 s2, 0x7060302
	v_lshl_add_u64 v[0:1], v[0:1], 0, v[34:35]
	v_perm_b32 v3, v75, v74, s2
	v_perm_b32 v2, v71, v70, s2
	global_store_dwordx2 v[0:1], v[2:3], off
	v_perm_b32 v3, v73, v72, s2
	v_perm_b32 v2, v69, v68, s2
	global_store_dwordx2 v[0:1], v[2:3], off offset:128
	v_lshl_add_u64 v[0:1], v[38:39], 1, s[0:1]
	v_lshl_add_u64 v[0:1], v[0:1], 0, v[34:35]
	v_perm_b32 v3, v67, v66, s2
	v_perm_b32 v2, v63, v62, s2
	global_store_dwordx2 v[0:1], v[2:3], off
	v_perm_b32 v3, v65, v64, s2
	v_perm_b32 v2, v61, v60, s2
	global_store_dwordx2 v[0:1], v[2:3], off offset:128
	v_lshl_add_u64 v[0:1], v[40:41], 1, s[0:1]
	;; [unrolled: 8-line block ×3, first 2 shown]
	v_lshl_add_u64 v[0:1], v[0:1], 0, v[34:35]
	v_perm_b32 v3, v53, v52, s2
	v_perm_b32 v2, v47, v46, s2
	global_store_dwordx2 v[0:1], v[2:3], off
	v_perm_b32 v3, v49, v48, s2
	v_perm_b32 v2, v45, v44, s2
	global_store_dwordx2 v[0:1], v[2:3], off offset:128
	s_endpgm
	.section	.rodata,"a",@progbits
	.p2align	6, 0x0
	.amdhsa_kernel _ZN12_GLOBAL__N_139chunk_gated_delta_rule_fwd_h_hip_kernelILi64ELb1ELb1ELb0ELb0ELb0ELb0ELb0ELb1EEEvPK12hip_bfloat16S3_S3_PKfS5_PKvPS1_S8_PvPKiSB_iiiiilll
		.amdhsa_group_segment_fixed_size 65536
		.amdhsa_private_segment_fixed_size 0
		.amdhsa_kernarg_size 136
		.amdhsa_user_sgpr_count 2
		.amdhsa_user_sgpr_dispatch_ptr 0
		.amdhsa_user_sgpr_queue_ptr 0
		.amdhsa_user_sgpr_kernarg_segment_ptr 1
		.amdhsa_user_sgpr_dispatch_id 0
		.amdhsa_user_sgpr_kernarg_preload_length 0
		.amdhsa_user_sgpr_kernarg_preload_offset 0
		.amdhsa_user_sgpr_private_segment_size 0
		.amdhsa_uses_dynamic_stack 0
		.amdhsa_enable_private_segment 0
		.amdhsa_system_sgpr_workgroup_id_x 1
		.amdhsa_system_sgpr_workgroup_id_y 1
		.amdhsa_system_sgpr_workgroup_id_z 0
		.amdhsa_system_sgpr_workgroup_info 0
		.amdhsa_system_vgpr_workitem_id 0
		.amdhsa_next_free_vgpr 224
		.amdhsa_next_free_sgpr 70
		.amdhsa_accum_offset 188
		.amdhsa_reserve_vcc 1
		.amdhsa_float_round_mode_32 0
		.amdhsa_float_round_mode_16_64 0
		.amdhsa_float_denorm_mode_32 3
		.amdhsa_float_denorm_mode_16_64 3
		.amdhsa_dx10_clamp 1
		.amdhsa_ieee_mode 1
		.amdhsa_fp16_overflow 0
		.amdhsa_tg_split 0
		.amdhsa_exception_fp_ieee_invalid_op 0
		.amdhsa_exception_fp_denorm_src 0
		.amdhsa_exception_fp_ieee_div_zero 0
		.amdhsa_exception_fp_ieee_overflow 0
		.amdhsa_exception_fp_ieee_underflow 0
		.amdhsa_exception_fp_ieee_inexact 0
		.amdhsa_exception_int_div_zero 0
	.end_amdhsa_kernel
	.section	.text._ZN12_GLOBAL__N_139chunk_gated_delta_rule_fwd_h_hip_kernelILi64ELb1ELb1ELb0ELb0ELb0ELb0ELb0ELb1EEEvPK12hip_bfloat16S3_S3_PKfS5_PKvPS1_S8_PvPKiSB_iiiiilll,"axG",@progbits,_ZN12_GLOBAL__N_139chunk_gated_delta_rule_fwd_h_hip_kernelILi64ELb1ELb1ELb0ELb0ELb0ELb0ELb0ELb1EEEvPK12hip_bfloat16S3_S3_PKfS5_PKvPS1_S8_PvPKiSB_iiiiilll,comdat
.Lfunc_end122:
	.size	_ZN12_GLOBAL__N_139chunk_gated_delta_rule_fwd_h_hip_kernelILi64ELb1ELb1ELb0ELb0ELb0ELb0ELb0ELb1EEEvPK12hip_bfloat16S3_S3_PKfS5_PKvPS1_S8_PvPKiSB_iiiiilll, .Lfunc_end122-_ZN12_GLOBAL__N_139chunk_gated_delta_rule_fwd_h_hip_kernelILi64ELb1ELb1ELb0ELb0ELb0ELb0ELb0ELb1EEEvPK12hip_bfloat16S3_S3_PKfS5_PKvPS1_S8_PvPKiSB_iiiiilll
                                        ; -- End function
	.section	.AMDGPU.csdata,"",@progbits
; Kernel info:
; codeLenInByte = 12384
; NumSgprs: 76
; NumVgprs: 188
; NumAgprs: 36
; TotalNumVgprs: 224
; ScratchSize: 0
; MemoryBound: 0
; FloatMode: 240
; IeeeMode: 1
; LDSByteSize: 65536 bytes/workgroup (compile time only)
; SGPRBlocks: 9
; VGPRBlocks: 27
; NumSGPRsForWavesPerEU: 76
; NumVGPRsForWavesPerEU: 224
; AccumOffset: 188
; Occupancy: 1
; WaveLimiterHint : 1
; COMPUTE_PGM_RSRC2:SCRATCH_EN: 0
; COMPUTE_PGM_RSRC2:USER_SGPR: 2
; COMPUTE_PGM_RSRC2:TRAP_HANDLER: 0
; COMPUTE_PGM_RSRC2:TGID_X_EN: 1
; COMPUTE_PGM_RSRC2:TGID_Y_EN: 1
; COMPUTE_PGM_RSRC2:TGID_Z_EN: 0
; COMPUTE_PGM_RSRC2:TIDIG_COMP_CNT: 0
; COMPUTE_PGM_RSRC3_GFX90A:ACCUM_OFFSET: 46
; COMPUTE_PGM_RSRC3_GFX90A:TG_SPLIT: 0
	.section	.text._ZN12_GLOBAL__N_139chunk_gated_delta_rule_fwd_h_hip_kernelILi64ELb1ELb0ELb1ELb0ELb0ELb0ELb0ELb1EEEvPK12hip_bfloat16S3_S3_PKfS5_PKvPS1_S8_PvPKiSB_iiiiilll,"axG",@progbits,_ZN12_GLOBAL__N_139chunk_gated_delta_rule_fwd_h_hip_kernelILi64ELb1ELb0ELb1ELb0ELb0ELb0ELb0ELb1EEEvPK12hip_bfloat16S3_S3_PKfS5_PKvPS1_S8_PvPKiSB_iiiiilll,comdat
	.globl	_ZN12_GLOBAL__N_139chunk_gated_delta_rule_fwd_h_hip_kernelILi64ELb1ELb0ELb1ELb0ELb0ELb0ELb0ELb1EEEvPK12hip_bfloat16S3_S3_PKfS5_PKvPS1_S8_PvPKiSB_iiiiilll ; -- Begin function _ZN12_GLOBAL__N_139chunk_gated_delta_rule_fwd_h_hip_kernelILi64ELb1ELb0ELb1ELb0ELb0ELb0ELb0ELb1EEEvPK12hip_bfloat16S3_S3_PKfS5_PKvPS1_S8_PvPKiSB_iiiiilll
	.p2align	8
	.type	_ZN12_GLOBAL__N_139chunk_gated_delta_rule_fwd_h_hip_kernelILi64ELb1ELb0ELb1ELb0ELb0ELb0ELb0ELb1EEEvPK12hip_bfloat16S3_S3_PKfS5_PKvPS1_S8_PvPKiSB_iiiiilll,@function
_ZN12_GLOBAL__N_139chunk_gated_delta_rule_fwd_h_hip_kernelILi64ELb1ELb0ELb1ELb0ELb0ELb0ELb0ELb1EEEvPK12hip_bfloat16S3_S3_PKfS5_PKvPS1_S8_PvPKiSB_iiiiilll: ; @_ZN12_GLOBAL__N_139chunk_gated_delta_rule_fwd_h_hip_kernelILi64ELb1ELb0ELb1ELb0ELb0ELb0ELb0ELb1EEEvPK12hip_bfloat16S3_S3_PKfS5_PKvPS1_S8_PvPKiSB_iiiiilll
; %bb.0:
	s_load_dwordx4 s[12:15], s[0:1], 0x5c
	s_load_dwordx4 s[20:23], s[0:1], 0x70
	s_abs_i32 s6, s3
	s_ashr_i32 s5, s3, 31
	s_load_dwordx4 s[16:19], s[0:1], 0x28
	s_load_dwordx2 s[28:29], s[0:1], 0x38
	s_waitcnt lgkmcnt(0)
	s_abs_i32 s4, s13
	v_cvt_f32_u32_e32 v1, s4
	s_sub_i32 s8, 0, s4
	s_ashr_i32 s7, s13, 31
	s_xor_b32 s5, s5, s7
	v_rcp_iflag_f32_e32 v1, v1
	v_and_b32_e32 v79, 15, v0
	v_lshrrev_b32_e32 v77, 6, v0
	v_bfe_u32 v78, v0, 4, 2
	v_mul_f32_e32 v1, 0x4f7ffffe, v1
	v_cvt_u32_f32_e32 v1, v1
	v_mov_b32_e32 v7, 0
	v_and_b32_e32 v76, 63, v0
	v_lshrrev_b32_e32 v80, 3, v76
	v_readfirstlane_b32 s9, v1
	s_mul_i32 s8, s8, s9
	s_mul_hi_u32 s8, s9, s8
	s_add_i32 s9, s9, s8
	s_mul_hi_u32 s8, s6, s9
	s_mul_i32 s9, s8, s4
	s_sub_i32 s6, s6, s9
	s_add_i32 s10, s8, 1
	s_sub_i32 s9, s6, s4
	s_cmp_ge_u32 s6, s4
	s_cselect_b32 s8, s10, s8
	s_cselect_b32 s6, s9, s6
	s_add_i32 s9, s8, 1
	s_cmp_ge_u32 s6, s4
	s_cselect_b32 s6, s9, s8
	s_xor_b32 s6, s6, s5
	s_add_i32 s8, s12, 63
	s_sub_i32 s51, s6, s5
	s_ashr_i32 s9, s8, 31
	s_mul_i32 s5, s51, s13
	s_sub_i32 s48, s3, s5
	s_lshr_b32 s3, s9, 26
	s_add_i32 s8, s8, s3
	s_abs_i32 s3, s14
	v_cvt_f32_u32_e32 v1, s3
	s_ashr_i32 s50, s12, 31
	s_lshr_b32 s6, s50, 26
	s_add_i32 s6, s12, s6
	v_rcp_iflag_f32_e32 v1, v1
	s_ashr_i32 s53, s14, 31
	s_ashr_i32 s24, s8, 6
	;; [unrolled: 1-line block ×3, first 2 shown]
	v_mul_f32_e32 v1, 0x4f7ffffe, v1
	v_cvt_u32_f32_e32 v1, v1
	s_xor_b32 s6, s7, s53
	s_sub_i32 s7, 0, s3
	s_lshl_b32 s2, s2, 6
	v_readfirstlane_b32 s8, v1
	s_mul_i32 s7, s7, s8
	s_mul_hi_u32 s7, s8, s7
	s_add_i32 s8, s8, s7
	s_mul_hi_u32 s7, s4, s8
	s_mul_i32 s8, s7, s3
	s_sub_i32 s4, s4, s8
	s_add_i32 s8, s7, 1
	s_sub_i32 s9, s4, s3
	s_cmp_ge_u32 s4, s3
	s_cselect_b32 s7, s8, s7
	s_cselect_b32 s4, s9, s4
	s_add_i32 s8, s7, 1
	s_cmp_ge_u32 s4, s3
	s_cselect_b32 s3, s8, s7
	s_xor_b32 s3, s3, s6
	s_sub_i32 s3, s3, s6
	s_abs_i32 s4, s3
	v_cvt_f32_u32_e32 v1, s4
	s_sub_i32 s7, 0, s4
	s_abs_i32 s6, s48
	s_xor_b32 s3, s48, s3
	v_rcp_iflag_f32_e32 v1, v1
	s_ashr_i32 s3, s3, 31
	v_or_b32_e32 v34, s2, v79
	v_lshlrev_b32_e32 v2, 7, v34
	v_mul_f32_e32 v1, 0x4f7ffffe, v1
	v_cvt_u32_f32_e32 v1, v1
	v_or_b32_e32 v10, 0x800, v2
	v_ashrrev_i32_e32 v3, 31, v2
	v_ashrrev_i32_e32 v11, 31, v10
	v_readfirstlane_b32 s8, v1
	s_mul_i32 s7, s7, s8
	s_mul_hi_u32 s7, s8, s7
	s_add_i32 s8, s8, s7
	s_mul_hi_u32 s7, s6, s8
	s_mul_i32 s8, s7, s4
	s_sub_i32 s6, s6, s8
	s_add_i32 s8, s7, 1
	s_sub_i32 s9, s6, s4
	s_cmp_ge_u32 s6, s4
	s_cselect_b32 s7, s8, s7
	s_cselect_b32 s6, s9, s6
	s_add_i32 s8, s7, 1
	s_cmp_ge_u32 s6, s4
	s_cselect_b32 s4, s8, s7
	s_xor_b32 s4, s4, s3
	s_sub_i32 s54, s4, s3
	s_ashr_i32 s3, s51, 31
	s_ashr_i32 s49, s48, 31
	s_mul_hi_i32 s4, s51, s13
	s_add_u32 s38, s5, s48
	s_addc_u32 s39, s4, s49
	s_lshl_b64 s[4:5], s[38:39], 15
	v_lshlrev_b32_e32 v1, 4, v77
	s_add_u32 s4, s16, s4
	v_lshl_or_b32 v82, v78, 2, v1
	s_addc_u32 s5, s17, s5
	v_lshl_add_u64 v[4:5], v[2:3], 1, s[4:5]
	v_lshlrev_b32_e32 v6, 1, v82
	v_lshl_add_u64 v[10:11], v[10:11], 1, s[4:5]
	v_lshl_add_u64 v[4:5], v[4:5], 0, v[6:7]
	;; [unrolled: 1-line block ×3, first 2 shown]
	global_load_dwordx2 v[8:9], v[4:5], off
	v_or_b32_e32 v83, 64, v82
	global_load_dwordx2 v[4:5], v[4:5], off offset:128
	s_nop 0
	global_load_dwordx2 v[12:13], v[10:11], off
	global_load_dwordx2 v[14:15], v[10:11], off offset:128
	v_or_b32_e32 v10, 0x1000, v2
	v_or_b32_e32 v2, 0x1800, v2
	v_ashrrev_i32_e32 v11, 31, v10
	v_ashrrev_i32_e32 v3, 31, v2
	v_lshl_add_u64 v[10:11], v[10:11], 1, s[4:5]
	v_lshl_add_u64 v[2:3], v[2:3], 1, s[4:5]
	;; [unrolled: 1-line block ×4, first 2 shown]
	global_load_dwordx2 v[16:17], v[10:11], off
	s_mul_i32 s55, s51, s24
	global_load_dwordx2 v[10:11], v[10:11], off offset:128
	s_nop 0
	global_load_dwordx2 v[6:7], v[2:3], off
	global_load_dwordx2 v[18:19], v[2:3], off offset:128
	s_load_dwordx8 s[4:11], s[0:1], 0x0
	s_load_dwordx2 s[30:31], s[0:1], 0x80
	s_cmp_lt_i32 s12, 64
	v_lshlrev_b32_e32 v81, 3, v0
	s_mul_i32 s56, s39, s12
	s_mul_hi_u32 s57, s38, s12
	s_mul_i32 s16, s38, s12
	s_mul_i32 s33, s51, s21
	s_mul_hi_u32 s44, s51, s20
	s_mul_i32 s39, s3, s20
	s_mul_i32 s36, s51, s20
	;; [unrolled: 1-line block ×3, first 2 shown]
	s_mul_hi_u32 s46, s48, s22
	s_mul_i32 s47, s49, s22
	s_mul_i32 s34, s48, s22
	s_waitcnt vmcnt(7)
	v_and_b32_e32 v63, 0xffff0000, v8
	v_lshlrev_b32_e32 v62, 16, v8
	v_and_b32_e32 v67, 0xffff0000, v9
	v_lshlrev_b32_e32 v66, 16, v9
	s_waitcnt vmcnt(6)
	v_and_b32_e32 v61, 0xffff0000, v4
	v_lshlrev_b32_e32 v60, 16, v4
	v_and_b32_e32 v65, 0xffff0000, v5
	v_lshlrev_b32_e32 v64, 16, v5
	;; [unrolled: 5-line block ×8, first 2 shown]
	s_cbranch_scc1 .LBB123_18
; %bb.1:
	s_add_i32 s17, s57, s56
	s_lshl_b64 s[0:1], s[16:17], 8
	v_and_b32_e32 v85, 56, v81
	s_waitcnt lgkmcnt(0)
	s_add_u32 s20, s6, s0
	v_lshl_or_b32 v84, v77, 3, v80
	v_lshlrev_b32_e32 v2, 1, v85
	s_addc_u32 s0, s7, s1
	v_lshl_or_b32 v86, v84, 8, v2
	s_and_b32 s21, s0, 0xffff
	s_mov_b32 s23, 0x20000
	s_movk_i32 s22, 0x4000
	s_movk_i32 s0, 0x80
	v_or_b32_e32 v87, 0x2000, v86
	buffer_load_dwordx4 v[4:7], v86, s[20:23], 0 offen
	buffer_load_dwordx4 v[8:11], v86, s[20:23], s0 offen
	;; [unrolled: 1-line block ×4, first 2 shown]
	v_lshlrev_b32_e32 v3, 3, v84
	v_and_or_b32 v21, v0, 7, v3
	v_and_b32_e32 v3, 0x78, v3
	v_lshlrev_b32_e32 v21, 4, v21
	v_xor_b32_e32 v88, v21, v3
	v_mul_lo_u32 v20, v84, s15
	v_or_b32_e32 v89, 0x1000, v88
	v_xor_b32_e32 v3, 8, v88
	s_cmpk_eq_i32 s15, 0x80
	s_mov_b32 s58, s14
	v_xor_b32_e32 v21, 8, v89
	s_cselect_b64 s[0:1], -1, 0
	s_cmpk_lg_i32 s15, 0x80
	s_waitcnt vmcnt(3)
	ds_write_b64 v88, v[4:5] offset:49152
	ds_write_b64 v3, v[6:7] offset:49152
	s_waitcnt vmcnt(2)
	ds_write_b64 v88, v[8:9] offset:57344
	ds_write_b64 v3, v[10:11] offset:57344
	;; [unrolled: 3-line block ×4, first 2 shown]
	v_lshl_add_u32 v3, v20, 1, v85
	s_cbranch_scc0 .LBB123_3
; %bb.2:
	v_lshlrev_b32_e32 v5, 1, v3
	v_add_lshl_u32 v4, v3, s15, 1
	s_lshl_b32 s22, s15, 7
	v_lshl_or_b32 v2, v84, 9, v2
	s_cbranch_execz .LBB123_4
	s_branch .LBB123_5
.LBB123_3:
                                        ; implicit-def: $vgpr4
                                        ; implicit-def: $vgpr5
                                        ; implicit-def: $sgpr22
	v_lshl_or_b32 v2, v84, 9, v2
.LBB123_4:
	v_or_b32_e32 v4, 0x100, v2
	s_movk_i32 s22, 0x4000
	v_mov_b32_e32 v5, v2
.LBB123_5:
	s_mul_hi_u32 s20, s14, s12
	s_mul_i32 s21, s53, s12
	s_add_i32 s20, s20, s21
	s_mul_i32 s21, s14, s12
	s_mul_i32 s23, s21, s3
	s_mul_hi_u32 s24, s21, s51
	s_add_i32 s23, s24, s23
	s_mul_i32 s20, s20, s51
	s_add_i32 s23, s23, s20
	s_mul_i32 s21, s21, s51
	s_ashr_i32 s59, s54, 31
	s_add_u32 s20, s21, s54
	s_addc_u32 s21, s23, s59
	s_lshl_b64 s[20:21], s[20:21], 8
	s_add_u32 s20, s4, s20
	s_addc_u32 s21, s5, s21
	s_and_b32 s21, s21, 0xffff
	s_mov_b32 s23, 0x20000
	s_movk_i32 s60, 0x80
	buffer_load_dwordx4 v[6:9], v5, s[20:23], 0 offen
	buffer_load_dwordx4 v[10:13], v5, s[20:23], s60 offen
	;; [unrolled: 1-line block ×4, first 2 shown]
	v_and_b32_e32 v5, 6, v0
	v_lshlrev_b32_e32 v4, 7, v82
	v_xor_b32_e32 v26, v84, v5
	v_and_b32_e32 v22, 1, v0
	v_lshl_or_b32 v29, v79, 3, v4
	v_lshlrev_b32_e32 v26, 2, v26
	v_or_b32_e32 v90, 0x4000, v29
	v_or_b32_e32 v91, 0x6000, v29
	v_xor_b32_e32 v29, 0x440, v26
	v_cmp_eq_u32_e32 vcc, 0, v22
	v_lshlrev_b32_e32 v23, 2, v79
	s_mov_b32 s62, 0x1000504
	v_cndmask_b32_e32 v22, v29, v26, vcc
	v_xor_b32_e32 v27, v82, v23
	v_xor_b32_e32 v28, v83, v23
	v_lshl_or_b32 v5, v5, 10, v22
	s_mov_b32 s63, 0x3020706
	v_lshlrev_b32_e32 v24, 8, v79
	v_or_b32_e32 v25, 16, v79
	v_lshlrev_b32_e32 v27, 1, v27
	v_lshlrev_b32_e32 v28, 1, v28
	v_xor_b32_e32 v22, 8, v5
	v_xor_b32_e32 v26, 24, v5
	;; [unrolled: 1-line block ×4, first 2 shown]
	s_mul_i32 s3, s3, s12
	s_mul_hi_u32 s20, s51, s12
	v_or_b32_e32 v93, v24, v27
	v_or_b32_e32 v94, v24, v28
	v_xor_b32_e32 v24, 16, v5
	v_xor_b32_e32 v29, 32, v5
	;; [unrolled: 1-line block ×3, first 2 shown]
	v_add_u32_e32 v22, 0x80, v22
	v_add_u32_e32 v26, 0x80, v26
	;; [unrolled: 1-line block ×4, first 2 shown]
	s_add_i32 s65, s20, s3
	s_add_i32 s3, s44, s33
	;; [unrolled: 1-line block ×5, first 2 shown]
	s_lshl_b64 s[20:21], s[36:37], 2
	s_add_u32 s3, s10, s20
	s_addc_u32 s24, s11, s21
	s_lshl_b64 s[20:21], s[34:35], 2
	s_add_u32 s40, s3, s20
	s_movk_i32 s3, 0xf8
	s_addc_u32 s41, s24, s21
	s_lshl_b32 s26, s15, 7
	s_movk_i32 s24, 0x100
	v_mov_b32_e32 v69, 0
	v_cmp_gt_u32_e32 vcc, s24, v0
	v_lshl_or_b32 v30, v25, 3, v4
	s_mov_b32 s61, 0
	s_mul_i32 s64, s51, s12
	v_or_b32_e32 v92, 0x4000, v30
	s_movk_i32 s22, 0x4000
	v_or_b32_e32 v95, 0x6000, v30
	s_movk_i32 s35, 0x2000
	s_movk_i32 s37, 0x3000
	v_mov_b32_e32 v133, 0x3fb8aa3b
	s_mov_b32 s67, 0
	s_waitcnt vmcnt(1)
	v_perm_b32 v35, v6, v14, s62
	s_waitcnt vmcnt(0)
	v_perm_b32 v68, v10, v18, s62
	v_perm_b32 v6, v6, v14, s63
	;; [unrolled: 1-line block ×15, first 2 shown]
	ds_write2st64_b32 v5, v35, v68 offset0:128 offset1:160
	ds_write2st64_b32 v22, v6, v10 offset0:128 offset1:160
	;; [unrolled: 1-line block ×8, first 2 shown]
	v_lshlrev_b32_e32 v5, 8, v25
	v_or_b32_e32 v96, v5, v27
	v_or_b32_e32 v97, v5, v28
	;; [unrolled: 1-line block ×3, first 2 shown]
	v_lshl_or_b32 v6, v5, 3, v4
	v_lshlrev_b32_e32 v5, 8, v5
	v_or_b32_e32 v100, v5, v27
	v_or_b32_e32 v101, v5, v28
	;; [unrolled: 1-line block ×5, first 2 shown]
	v_lshl_or_b32 v6, v5, 3, v4
	v_lshlrev_b32_e32 v5, 8, v5
	v_or_b32_e32 v104, v5, v27
	v_or_b32_e32 v105, v5, v28
	;; [unrolled: 1-line block ×3, first 2 shown]
	v_lshlrev_b32_e32 v5, 3, v5
	v_lshrrev_b32_e32 v7, 5, v76
	v_and_or_b32 v7, v5, s3, v7
	v_lshlrev_b32_e32 v7, 4, v7
	v_lshlrev_b32_e32 v8, 11, v77
	v_and_b32_e32 v5, 0x78, v5
	v_or_b32_e32 v13, 32, v7
	v_or_b32_e32 v102, 0x4000, v6
	;; [unrolled: 1-line block ×3, first 2 shown]
	v_and_b32_e32 v6, 0x1000, v8
	v_xor_b32_e32 v9, v7, v5
	v_lshrrev_b32_e32 v10, 1, v0
	v_xor_b32_e32 v13, v13, v5
	v_or_b32_e32 v9, v9, v6
	v_and_b32_e32 v11, 8, v10
	v_or_b32_e32 v13, v13, v6
	v_xor_b32_e32 v106, v9, v11
	v_lshlrev_b32_e32 v9, 8, v78
	v_xor_b32_e32 v108, v13, v11
	v_or_b32_e32 v13, 64, v7
	v_or_b32_e32 v7, 0x60, v7
	s_ashr_i32 s3, s2, 31
	v_or_b32_e32 v12, v9, v23
	v_xor_b32_e32 v13, v13, v5
	v_xor_b32_e32 v5, v7, v5
	s_lshl_b64 s[20:21], s[2:3], 8
	v_lshlrev_b32_e32 v12, 1, v12
	v_or_b32_e32 v13, v13, v6
	v_or_b32_e32 v5, v5, v6
	s_add_u32 s20, s18, s20
	v_lshlrev_b32_e32 v6, 1, v79
	v_or_b32_e32 v107, 0x4000, v12
	v_or_b32_e32 v109, 0x4080, v12
	;; [unrolled: 1-line block ×8, first 2 shown]
	v_lshrrev_b32_e32 v12, 4, v0
	s_addc_u32 s21, s19, s21
	v_or_b32_e32 v7, 1, v6
	v_lshlrev_b32_e32 v68, 4, v79
	v_mov_b32_e32 v16, 0xa000
	v_mov_b32_e32 v17, 0x8000
	v_xor_b32_e32 v112, v13, v11
	v_xor_b32_e32 v13, v12, v6
	;; [unrolled: 1-line block ×3, first 2 shown]
	v_lshl_add_u64 v[6:7], s[20:21], 0, v[68:69]
	v_lshlrev_b32_e32 v68, 8, v12
	v_cndmask_b32_e32 v16, v16, v17, vcc
	v_lshlrev_b32_e32 v17, 3, v77
	v_and_b32_e32 v10, 24, v10
	v_lshl_or_b32 v118, v13, 3, v68
	v_and_b32_e32 v13, 8, v0
	v_xor_b32_e32 v18, v17, v10
	v_or_b32_e32 v19, 0x440, v18
	v_cmp_eq_u32_e32 vcc, 0, v13
	v_and_b32_e32 v12, 7, v0
	v_lshl_or_b32 v119, v14, 3, v68
	v_cndmask_b32_e32 v13, v19, v18, vcc
	v_lshlrev_b32_e32 v14, 3, v12
	v_lshlrev_b32_e32 v12, 7, v12
	v_or_b32_e32 v13, v13, v8
	v_lshlrev_b32_e32 v15, 2, v0
	v_xad_u32 v120, v13, v14, v12
	v_or_b32_e32 v13, 32, v10
	v_and_or_b32 v9, v15, 60, v9
	v_xor_b32_e32 v13, v17, v13
	v_lshlrev_b32_e32 v9, 1, v9
	v_or_b32_e32 v15, 0x440, v13
	v_or_b32_e32 v121, 0x6000, v9
	v_cndmask_b32_e32 v13, v15, v13, vcc
	v_or_b32_e32 v123, 0x6080, v9
	v_or_b32_e32 v124, 0x6100, v9
	;; [unrolled: 1-line block ×5, first 2 shown]
	v_xor_b32_e32 v9, v17, v9
	v_xad_u32 v122, v13, v14, v12
	v_xor_b32_e32 v13, 0x440, v9
	v_cndmask_b32_e32 v9, v13, v9, vcc
	v_or_b32_e32 v9, v9, v8
	v_xad_u32 v126, v9, v14, v12
	v_or_b32_e32 v9, 0x60, v10
	v_xor_b32_e32 v9, v17, v9
	v_xor_b32_e32 v10, 0x440, v9
	v_cndmask_b32_e32 v9, v10, v9, vcc
	v_xor_b32_e32 v113, v5, v11
	v_ashrrev_i32_e32 v35, 31, v34
	v_lshlrev_b32_e32 v5, 1, v3
	v_add_lshl_u32 v3, v3, s15, 1
	v_or_b32_e32 v11, 0x100, v2
	v_or_b32_e32 v8, v9, v8
	v_xad_u32 v127, v8, v14, v12
	v_cndmask_b32_e64 v128, v5, v2, s[0:1]
	v_cndmask_b32_e64 v129, v3, v11, s[0:1]
	v_lshlrev_b64 v[2:3], 1, v[34:35]
	v_lshl_add_u64 v[70:71], s[8:9], 0, v[2:3]
	v_lshl_add_u64 v[72:73], s[28:29], 0, v[2:3]
	;; [unrolled: 1-line block ×3, first 2 shown]
	s_mov_b32 s3, 0x7060302
	v_lshlrev_b32_e32 v68, 1, v4
	v_add_u32_e32 v35, v16, v120
	v_add_u32_e32 v130, v16, v122
	;; [unrolled: 1-line block ×4, first 2 shown]
	s_waitcnt lgkmcnt(0)
	s_barrier
.LBB123_6:                              ; =>This Inner Loop Header: Depth=1
	s_add_i32 s66, s67, 1
	s_cmp_lt_i32 s66, s52
	s_mov_b64 s[24:25], 0
	s_cselect_b64 s[42:43], -1, 0
	s_cmp_ge_i32 s66, s52
	s_mov_b64 s[20:21], 0
	s_cbranch_scc1 .LBB123_8
; %bb.7:                                ;   in Loop: Header=BB123_6 Depth=1
	s_add_i32 s0, s61, 64
	s_add_u32 s0, s16, s0
	s_addc_u32 s1, s17, 0
	s_lshl_b64 s[0:1], s[0:1], 8
	s_add_u32 s20, s6, s0
	s_addc_u32 s21, s7, s1
.LBB123_8:                              ;   in Loop: Header=BB123_6 Depth=1
	v_cndmask_b32_e64 v2, 0, 1, s[42:43]
	v_cmp_ne_u32_e64 s[0:1], 1, v2
	s_andn2_b64 vcc, exec, s[42:43]
	s_cbranch_vccnz .LBB123_10
; %bb.9:                                ;   in Loop: Header=BB123_6 Depth=1
	s_add_i32 s24, s61, 64
	s_add_u32 s24, s64, s24
	s_addc_u32 s25, s65, 0
	s_mul_i32 s27, s24, s53
	s_mul_hi_u32 s42, s24, s58
	s_add_i32 s27, s42, s27
	s_mul_i32 s25, s25, s58
	s_add_i32 s27, s27, s25
	s_mul_i32 s24, s24, s58
	s_add_u32 s24, s24, s54
	s_addc_u32 s25, s27, s59
	s_lshl_b64 s[24:25], s[24:25], 8
	s_add_u32 s24, s4, s24
	s_addc_u32 s25, s5, s25
.LBB123_10:                             ;   in Loop: Header=BB123_6 Depth=1
	v_perm_b32 v3, v67, v66, s3
	v_perm_b32 v2, v63, v62, s3
	v_perm_b32 v5, v65, v64, s3
	v_perm_b32 v4, v61, v60, s3
	ds_write_b64 v90, v[2:3]
	ds_write_b64 v91, v[4:5]
	ds_write_b64 v93, v[2:3]
	ds_write_b64 v94, v[4:5]
	v_perm_b32 v3, v59, v58, s3
	v_perm_b32 v2, v55, v54, s3
	v_perm_b32 v5, v57, v56, s3
	v_perm_b32 v4, v53, v52, s3
	ds_write_b64 v92, v[2:3]
	ds_write_b64 v95, v[4:5]
	ds_write_b64 v96, v[2:3]
	ds_write_b64 v97, v[4:5]
	;; [unrolled: 8-line block ×4, first 2 shown]
	s_waitcnt lgkmcnt(0)
	s_barrier
	ds_read_b64 v[6:7], v106 offset:49152
	ds_read2_b64 v[2:5], v107 offset1:16
	ds_read_b64 v[18:19], v109 offset:6144
	ds_read_b64 v[20:21], v107 offset:6144
	s_waitcnt lgkmcnt(2)
	v_mfma_f32_16x16x16_bf16 a[0:3], v[6:7], v[2:3], 0
	ds_read_b64 v[22:23], v108 offset:49152
	ds_read2st64_b64 v[10:13], v110 offset0:4 offset1:8
	ds_read2st64_b64 v[14:17], v111 offset0:4 offset1:8
	v_mfma_f32_16x16x16_bf16 a[4:7], v[6:7], v[4:5], 0
	ds_read2_b64 v[2:5], v107 offset0:32 offset1:48
	s_add_i32 s27, s61, 63
	s_mul_i32 s42, s27, s31
	s_waitcnt lgkmcnt(0)
	v_mfma_f32_16x16x16_bf16 a[8:11], v[6:7], v[2:3], 0
	s_mul_hi_u32 s43, s27, s30
	s_add_i32 s43, s43, s42
	s_mul_i32 s42, s27, s30
	v_mfma_f32_16x16x16_bf16 a[12:15], v[6:7], v[4:5], 0
	ds_read2st64_b64 v[2:5], v107 offset0:4 offset1:8
	ds_read2st64_b64 v[6:9], v109 offset0:4 offset1:8
	s_lshl_b64 s[42:43], s[42:43], 2
	s_waitcnt lgkmcnt(1)
	v_mfma_f32_16x16x16_bf16 a[0:3], v[22:23], v[2:3], a[0:3]
	s_add_u32 s42, s40, s42
	s_addc_u32 s43, s41, s43
	s_and_b64 vcc, exec, s[0:1]
	s_waitcnt lgkmcnt(0)
	v_mfma_f32_16x16x16_bf16 a[4:7], v[22:23], v[6:7], a[4:7]
	v_mov_b32_e32 v136, 0
	v_mov_b32_e32 v135, 0
	;; [unrolled: 1-line block ×3, first 2 shown]
	v_mfma_f32_16x16x16_bf16 a[8:11], v[22:23], v[10:11], a[8:11]
	ds_read_b64 v[2:3], v112 offset:49152
	ds_read_b64 v[6:7], v113 offset:49152
	;; [unrolled: 1-line block ×3, first 2 shown]
	v_mfma_f32_16x16x16_bf16 a[12:15], v[22:23], v[14:15], a[12:15]
	v_mov_b32_e32 v14, 0
	v_mov_b32_e32 v15, 0
	s_waitcnt lgkmcnt(2)
	v_mfma_f32_16x16x16_bf16 a[0:3], v[2:3], v[4:5], a[0:3]
	v_mov_b32_e32 v4, 0
	v_mov_b32_e32 v5, 0
	v_mfma_f32_16x16x16_bf16 a[4:7], v[2:3], v[8:9], a[4:7]
	v_mov_b32_e32 v8, 0
	v_mov_b32_e32 v9, 0
	;; [unrolled: 3-line block ×3, first 2 shown]
	v_mfma_f32_16x16x16_bf16 a[12:15], v[2:3], v[16:17], a[12:15]
	ds_read_b64 v[2:3], v110 offset:6144
	v_mov_b32_e32 v16, 0
	v_mov_b32_e32 v17, 0
	s_waitcnt lgkmcnt(2)
	v_mfma_f32_16x16x16_bf16 a[0:3], v[6:7], v[20:21], a[0:3]
	v_mfma_f32_16x16x16_bf16 a[4:7], v[6:7], v[18:19], a[4:7]
	s_waitcnt lgkmcnt(0)
	v_mfma_f32_16x16x16_bf16 a[8:11], v[6:7], v[2:3], a[8:11]
	v_mov_b32_e32 v2, 0
	v_mov_b32_e32 v3, 0
	v_mfma_f32_16x16x16_bf16 a[12:15], v[6:7], v[10:11], a[12:15]
	v_mov_b32_e32 v6, 0
	v_mov_b32_e32 v7, 0
	;; [unrolled: 1-line block ×4, first 2 shown]
	s_cbranch_vccnz .LBB123_12
; %bb.11:                               ;   in Loop: Header=BB123_6 Depth=1
	s_and_b32 s21, s21, 0xffff
	buffer_load_dwordx4 v[14:17], v86, s[20:23], 0 offen
	buffer_load_dwordx4 v[10:13], v86, s[20:23], s60 offen
	;; [unrolled: 1-line block ×4, first 2 shown]
	v_mov_b32_e32 v135, v88
	v_mov_b32_e32 v134, v89
.LBB123_12:                             ;   in Loop: Header=BB123_6 Depth=1
	ds_read_b64 v[142:143], v106 offset:57344
	ds_read2_b64 v[18:21], v114 offset1:16
	ds_read_b64 v[144:145], v108 offset:57344
	ds_read_b64 v[146:147], v112 offset:57344
	;; [unrolled: 1-line block ×3, first 2 shown]
	v_add_u32_e32 v137, s61, v82
	s_waitcnt lgkmcnt(3)
	v_mfma_f32_16x16x16_bf16 a[0:3], v[142:143], v[18:19], a[0:3]
	v_mfma_f32_16x16x16_bf16 a[4:7], v[142:143], v[20:21], a[4:7]
	ds_read2_b64 v[18:21], v114 offset0:32 offset1:48
	ds_read2st64_b64 v[22:25], v114 offset0:4 offset1:8
	ds_read2st64_b64 v[26:29], v115 offset0:4 offset1:8
	;; [unrolled: 1-line block ×4, first 2 shown]
	s_waitcnt lgkmcnt(4)
	v_mfma_f32_16x16x16_bf16 a[8:11], v[142:143], v[18:19], a[8:11]
	v_ashrrev_i32_e32 v18, 31, v137
	v_mfma_f32_16x16x16_bf16 a[12:15], v[142:143], v[20:21], a[12:15]
	v_mul_lo_u32 v20, v18, s30
	v_mul_lo_u32 v21, v137, s31
	v_mad_u64_u32 v[18:19], s[20:21], v137, s30, 0
	v_add3_u32 v19, v19, v21, v20
	v_add_u32_e32 v20, 1, v137
	v_ashrrev_i32_e32 v21, 31, v20
	s_waitcnt lgkmcnt(3)
	v_mfma_f32_16x16x16_bf16 a[0:3], v[144:145], v[22:23], a[0:3]
	v_mul_lo_u32 v22, v21, s30
	v_mul_lo_u32 v23, v20, s31
	v_mad_u64_u32 v[20:21], s[20:21], v20, s30, 0
	v_add3_u32 v21, v21, v23, v22
	v_add_u32_e32 v22, 2, v137
	v_ashrrev_i32_e32 v23, 31, v22
	s_waitcnt lgkmcnt(2)
	v_mfma_f32_16x16x16_bf16 a[4:7], v[144:145], v[26:27], a[4:7]
	v_mul_lo_u32 v26, v23, s30
	v_mul_lo_u32 v27, v22, s31
	v_mad_u64_u32 v[22:23], s[20:21], v22, s30, 0
	v_add3_u32 v23, v23, v27, v26
	v_add_u32_e32 v26, 3, v137
	v_lshl_add_u64 v[18:19], v[18:19], 2, s[40:41]
	v_lshl_add_u64 v[20:21], v[20:21], 2, s[40:41]
	v_ashrrev_i32_e32 v27, 31, v26
	s_waitcnt lgkmcnt(1)
	v_mfma_f32_16x16x16_bf16 a[8:11], v[144:145], v[30:31], a[8:11]
	v_mul_lo_u32 v27, v27, s30
	global_load_dword v30, v[18:19], off
	global_load_dword v137, v[20:21], off
	v_mul_lo_u32 v31, v26, s31
	v_mad_u64_u32 v[18:19], s[20:21], v26, s30, 0
	v_add3_u32 v19, v19, v31, v27
	s_add_u32 s20, s16, s61
	v_lshl_add_u64 v[22:23], v[22:23], 2, s[40:41]
	v_lshl_add_u64 v[18:19], v[18:19], 2, s[40:41]
	s_addc_u32 s21, s17, 0
	s_waitcnt lgkmcnt(0)
	v_mfma_f32_16x16x16_bf16 a[12:15], v[144:145], v[138:139], a[12:15]
	global_load_dword v31, v[22:23], off
	global_load_dword v138, v[18:19], off
	s_lshl_b64 s[20:21], s[20:21], 8
	v_lshl_add_u64 v[18:19], v[70:71], 0, s[20:21]
	v_lshl_add_u64 v[18:19], v[18:19], 0, v[68:69]
	global_load_ushort v139, v[18:19], off offset:256
	global_load_ushort v142, v[18:19], off
	global_load_ushort v143, v[18:19], off offset:768
	global_load_ushort v144, v[18:19], off offset:512
	;; [unrolled: 1-line block ×6, first 2 shown]
	s_load_dword s42, s[42:43], 0x0
	v_mfma_f32_16x16x16_bf16 a[12:15], v[146:147], v[140:141], a[12:15]
	global_load_ushort v140, v[18:19], off offset:320
	global_load_ushort v141, v[18:19], off offset:64
	s_and_b64 vcc, exec, s[0:1]
	v_mfma_f32_16x16x16_bf16 a[0:3], v[146:147], v[24:25], a[0:3]
	ds_read_b64 v[20:21], v114 offset:6144
	ds_read_b64 v[22:23], v115 offset:6144
	;; [unrolled: 1-line block ×4, first 2 shown]
	v_mfma_f32_16x16x16_bf16 a[4:7], v[146:147], v[28:29], a[4:7]
	s_waitcnt vmcnt(11) lgkmcnt(0)
	v_sub_f32_e32 v28, s42, v31
	v_mfma_f32_16x16x16_bf16 a[8:11], v[146:147], v[32:33], a[8:11]
	global_load_ushort v146, v[18:19], off offset:832
	global_load_ushort v147, v[18:19], off offset:576
	;; [unrolled: 1-line block ×6, first 2 shown]
	v_mfma_f32_16x16x16_bf16 a[0:3], v[148:149], v[20:21], a[0:3]
	s_waitcnt vmcnt(16)
	v_sub_f32_e32 v29, s42, v138
	v_mul_f32_e32 v28, 0x3fb8aa3b, v28
	v_mul_f32_e32 v29, 0x3fb8aa3b, v29
	v_exp_f32_e32 v28, v28
	v_exp_f32_e32 v29, v29
	s_waitcnt vmcnt(15)
	v_lshlrev_b32_e32 v33, 16, v139
	s_waitcnt vmcnt(14)
	v_lshlrev_b32_e32 v32, 16, v142
	v_accvgpr_read_b32 v21, a3
	v_accvgpr_read_b32 v20, a2
	v_mfma_f32_16x16x16_bf16 a[2:5], v[148:149], v[22:23], a[4:7]
	v_accvgpr_read_b32 v139, a1
	v_accvgpr_read_b32 v138, a0
	v_pk_add_f32 v[32:33], v[32:33], v[138:139] neg_lo:[0,1] neg_hi:[0,1]
	v_mfma_f32_16x16x16_bf16 a[6:9], v[148:149], v[24:25], a[8:11]
	s_waitcnt vmcnt(13)
	v_lshlrev_b32_e32 v139, 16, v143
	s_waitcnt vmcnt(12)
	v_lshlrev_b32_e32 v138, 16, v144
	v_pk_add_f32 v[20:21], v[138:139], v[20:21] neg_lo:[0,1] neg_hi:[0,1]
	v_accvgpr_read_b32 v139, a3
	v_accvgpr_read_b32 v138, a2
	;; [unrolled: 1-line block ×6, first 2 shown]
	v_mfma_f32_16x16x16_bf16 a[8:11], v[148:149], v[26:27], a[12:15]
	v_sub_f32_e32 v26, s42, v30
	v_sub_f32_e32 v27, s42, v137
	v_mul_f32_e32 v26, 0x3fb8aa3b, v26
	v_mul_f32_e32 v27, 0x3fb8aa3b, v27
	v_exp_f32_e32 v26, v26
	v_exp_f32_e32 v27, v27
	v_lshl_add_u64 v[30:31], v[72:73], 0, s[20:21]
	v_lshl_add_u64 v[30:31], v[30:31], 0, v[68:69]
	global_store_short_d16_hi v[30:31], v32, off
	global_store_short_d16_hi v[30:31], v33, off offset:256
	global_store_short_d16_hi v[30:31], v20, off offset:512
	;; [unrolled: 1-line block ×3, first 2 shown]
	v_pk_mul_f32 v[32:33], v[26:27], v[32:33]
	v_pk_mul_f32 v[20:21], v[28:29], v[20:21]
	v_accvgpr_read_b32 v25, a11
	v_perm_b32 v21, v21, v20, s3
	v_perm_b32 v20, v33, v32, s3
	s_waitcnt vmcnt(15)
	v_lshlrev_b32_e32 v33, 16, v145
	s_waitcnt vmcnt(14)
	v_lshlrev_b32_e32 v32, 16, v150
	v_pk_add_f32 v[32:33], v[32:33], v[138:139] neg_lo:[0,1] neg_hi:[0,1]
	s_waitcnt vmcnt(13)
	v_lshlrev_b32_e32 v139, 16, v151
	s_waitcnt vmcnt(12)
	v_lshlrev_b32_e32 v138, 16, v152
	v_pk_add_f32 v[22:23], v[138:139], v[22:23] neg_lo:[0,1] neg_hi:[0,1]
	global_store_short_d16_hi v[30:31], v32, off offset:32
	global_store_short_d16_hi v[30:31], v33, off offset:288
	;; [unrolled: 1-line block ×4, first 2 shown]
	v_pk_mul_f32 v[32:33], v[26:27], v[32:33]
	v_pk_mul_f32 v[22:23], v[28:29], v[22:23]
	v_accvgpr_read_b32 v24, a10
	v_perm_b32 v23, v23, v22, s3
	v_perm_b32 v22, v33, v32, s3
	ds_write2_b64 v91, v[20:21], v[22:23] offset1:16
	v_accvgpr_read_b32 v23, a7
	s_waitcnt vmcnt(15)
	v_lshlrev_b32_e32 v21, 16, v140
	s_waitcnt vmcnt(14)
	v_lshlrev_b32_e32 v20, 16, v141
	v_accvgpr_read_b32 v22, a6
	v_pk_add_f32 v[20:21], v[20:21], v[22:23] neg_lo:[0,1] neg_hi:[0,1]
	global_store_short_d16_hi v[30:31], v20, off offset:64
	global_store_short_d16_hi v[30:31], v21, off offset:320
	v_pk_mul_f32 v[20:21], v[26:27], v[20:21]
	v_mov_b32_e32 v137, 0
	v_perm_b32 v20, v21, v20, s3
	v_mov_b32_e32 v32, 0
	v_mov_b32_e32 v33, 0
	s_waitcnt vmcnt(15)
	v_lshlrev_b32_e32 v23, 16, v146
	s_waitcnt vmcnt(14)
	v_lshlrev_b32_e32 v22, 16, v147
	v_pk_add_f32 v[18:19], v[22:23], v[18:19] neg_lo:[0,1] neg_hi:[0,1]
	global_store_short_d16_hi v[30:31], v18, off offset:576
	global_store_short_d16_hi v[30:31], v19, off offset:832
	v_pk_mul_f32 v[18:19], v[28:29], v[18:19]
	v_accvgpr_read_b32 v23, a9
	v_perm_b32 v21, v19, v18, s3
	s_waitcnt vmcnt(15)
	v_lshlrev_b32_e32 v19, 16, v153
	s_waitcnt vmcnt(14)
	v_lshlrev_b32_e32 v18, 16, v154
	v_accvgpr_read_b32 v22, a8
	v_pk_add_f32 v[18:19], v[18:19], v[22:23] neg_lo:[0,1] neg_hi:[0,1]
	s_waitcnt vmcnt(13)
	v_lshlrev_b32_e32 v23, 16, v155
	s_waitcnt vmcnt(12)
	v_lshlrev_b32_e32 v22, 16, v156
	v_pk_add_f32 v[22:23], v[22:23], v[24:25] neg_lo:[0,1] neg_hi:[0,1]
	global_store_short_d16_hi v[30:31], v18, off offset:96
	global_store_short_d16_hi v[30:31], v19, off offset:352
	;; [unrolled: 1-line block ×4, first 2 shown]
	v_pk_mul_f32 v[18:19], v[26:27], v[18:19]
	v_pk_mul_f32 v[22:23], v[28:29], v[22:23]
	v_mov_b32_e32 v24, 0
	v_perm_b32 v23, v23, v22, s3
	v_perm_b32 v22, v19, v18, s3
	ds_write2_b64 v91, v[20:21], v[22:23] offset0:32 offset1:48
	v_mov_b32_e32 v18, 0
	v_mov_b32_e32 v19, 0
	;; [unrolled: 1-line block ×13, first 2 shown]
	s_cbranch_vccnz .LBB123_14
; %bb.13:                               ;   in Loop: Header=BB123_6 Depth=1
	s_and_b32 s25, s25, 0xffff
	s_mov_b32 s27, s23
	buffer_load_dwordx4 v[30:33], v128, s[24:27], 0 offen
	buffer_load_dwordx4 v[22:25], v128, s[24:27], s60 offen
	buffer_load_dwordx4 v[26:29], v129, s[24:27], 0 offen
	buffer_load_dwordx4 v[18:21], v129, s[24:27], s60 offen
	v_mov_b32_e32 v136, v85
	v_mov_b32_e32 v137, v84
.LBB123_14:                             ;   in Loop: Header=BB123_6 Depth=1
	s_waitcnt lgkmcnt(0)
	s_barrier
	ds_read_b64 v[146:147], v35
	ds_read2_b64 v[138:141], v121 offset1:16
	ds_read_b64 v[162:163], v130
	ds_read_b64 v[164:165], v131
	;; [unrolled: 1-line block ×3, first 2 shown]
	ds_read2_b64 v[142:145], v121 offset0:32 offset1:48
	s_waitcnt lgkmcnt(4)
	v_mfma_f32_16x16x16_bf16 a[0:3], v[146:147], v[138:139], 0
	ds_read2st64_b64 v[150:153], v123 offset0:4 offset1:8
	ds_read2st64_b64 v[154:157], v124 offset0:4 offset1:8
	;; [unrolled: 1-line block ×3, first 2 shown]
	v_mfma_f32_16x16x16_bf16 a[4:7], v[146:147], v[140:141], 0
	s_add_i32 s20, s55, s67
	s_mul_hi_i32 s21, s20, s13
	s_mul_i32 s20, s20, s13
	s_waitcnt lgkmcnt(3)
	v_mfma_f32_16x16x16_bf16 a[8:11], v[146:147], v[142:143], 0
	s_add_u32 s20, s20, s48
	s_addc_u32 s21, s21, s49
	s_lshl_b64 s[20:21], s[20:21], 15
	v_mfma_f32_16x16x16_bf16 a[12:15], v[146:147], v[144:145], 0
	ds_read2st64_b64 v[146:149], v121 offset0:4 offset1:8
	s_waitcnt lgkmcnt(0)
	v_mfma_f32_16x16x16_bf16 a[0:3], v[162:163], v[146:147], a[0:3]
	v_mfma_f32_16x16x16_bf16 a[4:7], v[162:163], v[150:151], a[4:7]
	v_mfma_f32_16x16x16_bf16 a[8:11], v[162:163], v[154:155], a[8:11]
	v_mfma_f32_16x16x16_bf16 a[12:15], v[162:163], v[158:159], a[12:15]
	v_mfma_f32_16x16x16_bf16 a[0:3], v[164:165], v[148:149], a[0:3]
	v_mfma_f32_16x16x16_bf16 a[4:7], v[164:165], v[152:153], a[4:7]
	v_mfma_f32_16x16x16_bf16 a[8:11], v[164:165], v[156:157], a[8:11]
	v_mfma_f32_16x16x16_bf16 a[12:15], v[164:165], v[160:161], a[12:15]
	ds_read_b64 v[162:163], v121 offset:6144
	ds_read_b64 v[164:165], v122 offset:40960
	;; [unrolled: 1-line block ×8, first 2 shown]
	s_waitcnt lgkmcnt(5)
	v_mfma_f32_16x16x16_bf16 a[16:19], v[168:169], v[138:139], 0
	v_mfma_f32_16x16x16_bf16 a[20:23], v[168:169], v[140:141], 0
	ds_read2st64_b64 v[138:141], v118 offset1:8
	v_mfma_f32_16x16x16_bf16 a[24:27], v[168:169], v[142:143], 0
	v_mfma_f32_16x16x16_bf16 a[28:31], v[168:169], v[144:145], 0
	ds_read2st64_b64 v[142:145], v119 offset1:8
	v_mfma_f32_16x16x16_bf16 a[16:19], v[164:165], v[146:147], a[16:19]
	s_waitcnt lgkmcnt(1)
	v_mov_b32_e32 v146, v138
	v_mov_b32_e32 v147, v139
	v_mfma_f32_16x16x16_bf16 a[20:23], v[164:165], v[150:151], a[20:23]
	v_lshl_add_u64 v[150:151], v[74:75], 0, s[20:21]
	v_mfma_f32_16x16x16_bf16 a[24:27], v[164:165], v[154:155], a[24:27]
	v_mfma_f32_16x16x16_bf16 a[28:31], v[164:165], v[158:159], a[28:31]
	;; [unrolled: 1-line block ×3, first 2 shown]
	s_waitcnt lgkmcnt(0)
	v_mov_b32_e32 v148, v142
	v_mov_b32_e32 v149, v143
	;; [unrolled: 1-line block ×3, first 2 shown]
	v_mfma_f32_16x16x16_bf16 a[32:35], v[176:177], v[152:153], a[20:23]
	v_mov_b32_e32 v143, v141
	ds_read2st64_b64 v[138:141], v118 offset0:16 offset1:24
	global_store_dwordx4 v[150:151], v[146:149], off
	v_mfma_f32_16x16x16_bf16 a[24:27], v[176:177], v[156:157], a[24:27]
	ds_read2st64_b64 v[146:149], v119 offset0:16 offset1:24
	v_add_co_u32_e32 v152, vcc, s35, v150
	v_mfma_f32_16x16x16_bf16 a[28:31], v[176:177], v[160:161], a[28:31]
	s_nop 0
	v_addc_co_u32_e32 v153, vcc, 0, v151, vcc
	global_store_dwordx4 v[152:153], v[142:145], off offset:-4096
	v_mfma_f32_16x16x16_bf16 a[0:3], v[166:167], v[162:163], a[0:3]
	s_waitcnt lgkmcnt(1)
	v_mov_b32_e32 v142, v138
	v_add_co_u32_e32 v138, vcc, s37, v150
	v_mfma_f32_16x16x16_bf16 a[4:7], v[166:167], v[170:171], a[4:7]
	v_mov_b32_e32 v143, v139
	v_addc_co_u32_e32 v139, vcc, 0, v151, vcc
	v_mfma_f32_16x16x16_bf16 a[8:11], v[166:167], v[172:173], a[8:11]
	s_waitcnt lgkmcnt(0)
	v_mov_b32_e32 v144, v146
	v_mov_b32_e32 v145, v147
	v_mov_b32_e32 v146, v140
	v_mfma_f32_16x16x16_bf16 a[12:15], v[166:167], v[174:175], a[12:15]
	v_mov_b32_e32 v147, v141
	s_and_b64 vcc, exec, s[0:1]
	global_store_dwordx4 v[152:153], v[142:145], off
	v_mfma_f32_16x16x16_bf16 a[20:23], v[178:179], v[162:163], a[16:19]
	global_store_dwordx4 v[138:139], v[146:149], off
	v_mfma_f32_16x16x16_bf16 a[16:19], v[178:179], v[170:171], a[32:35]
	v_mfma_f32_16x16x16_bf16 a[24:27], v[178:179], v[172:173], a[24:27]
	;; [unrolled: 1-line block ×3, first 2 shown]
	s_cbranch_vccnz .LBB123_16
; %bb.15:                               ;   in Loop: Header=BB123_6 Depth=1
	v_lshrrev_b32_e32 v138, 3, v136
	v_and_b32_e32 v138, 6, v138
	v_xor_b32_e32 v137, v138, v137
	v_lshlrev_b32_e32 v137, 2, v137
	v_and_b32_e32 v136, 8, v136
	v_xor_b32_e32 v139, 0x440, v137
	v_cmp_eq_u32_e32 vcc, 0, v136
	s_barrier
	s_nop 0
	v_cndmask_b32_e32 v136, v139, v137, vcc
	v_lshl_or_b32 v136, v138, 10, v136
	s_waitcnt vmcnt(5)
	v_perm_b32 v137, v30, v26, s62
	s_waitcnt vmcnt(4)
	v_perm_b32 v138, v22, v18, s62
	ds_write2st64_b32 v136, v137, v138 offset0:128 offset1:160
	v_xor_b32_e32 v137, 8, v136
	v_perm_b32 v26, v30, v26, s63
	v_perm_b32 v18, v22, v18, s63
	v_add_u32_e32 v22, 0x80, v137
	ds_write2st64_b32 v22, v26, v18 offset0:128 offset1:160
	v_xor_b32_e32 v18, 16, v136
	v_perm_b32 v22, v31, v27, s62
	v_perm_b32 v26, v23, v19, s62
	ds_write2st64_b32 v18, v22, v26 offset0:129 offset1:161
	v_xor_b32_e32 v18, 24, v136
	v_perm_b32 v22, v31, v27, s63
	v_perm_b32 v19, v23, v19, s63
	v_add_u32_e32 v18, 0x80, v18
	ds_write2st64_b32 v18, v22, v19 offset0:129 offset1:161
	v_xor_b32_e32 v18, 32, v136
	v_perm_b32 v19, v32, v28, s62
	;; [unrolled: 9-line block ×3, first 2 shown]
	v_perm_b32 v20, v25, v21, s62
	ds_write2st64_b32 v18, v19, v20 offset0:131 offset1:163
	v_xor_b32_e32 v18, 56, v136
	v_perm_b32 v19, v33, v29, s63
	v_perm_b32 v20, v25, v21, s63
	v_add_u32_e32 v18, 0x80, v18
	ds_write2st64_b32 v18, v19, v20 offset0:131 offset1:163
	ds_write_b64 v135, v[14:15] offset:49152
	v_xor_b32_e32 v14, 8, v135
	ds_write_b64 v14, v[16:17] offset:49152
	ds_write_b64 v135, v[10:11] offset:57344
	;; [unrolled: 1-line block ×4, first 2 shown]
	v_xor_b32_e32 v6, 8, v134
	ds_write_b64 v6, v[8:9] offset:49152
	ds_write_b64 v134, v[2:3] offset:57344
	;; [unrolled: 1-line block ×3, first 2 shown]
.LBB123_16:                             ;   in Loop: Header=BB123_6 Depth=1
	s_waitcnt vmcnt(6)
	v_mul_f32_e32 v22, s42, v133
	v_exp_f32_e32 v134, v22
	v_accvgpr_read_b32 v5, a3
	v_accvgpr_read_b32 v9, a7
	v_accvgpr_read_b32 v13, a11
	v_accvgpr_read_b32 v17, a15
	s_waitcnt vmcnt(4)
	v_accvgpr_read_b32 v18, a20
	v_accvgpr_read_b32 v25, a19
	;; [unrolled: 1-line block ×28, first 2 shown]
	s_add_i32 s61, s61, 64
	v_pk_fma_f32 v[62:63], v[62:63], v[134:135], v[2:3] op_sel_hi:[1,0,1]
	v_pk_fma_f32 v[66:67], v[66:67], v[134:135], v[4:5] op_sel_hi:[1,0,1]
	;; [unrolled: 1-line block ×15, first 2 shown]
	s_cmp_eq_u32 s52, s66
	v_pk_fma_f32 v[40:41], v[40:41], v[134:135], v[32:33] op_sel_hi:[1,0,1]
	s_cbranch_scc1 .LBB123_18
; %bb.17:                               ;   in Loop: Header=BB123_6 Depth=1
	s_mov_b32 s67, s66
	s_branch .LBB123_6
.LBB123_18:
	s_lshl_b32 s26, s52, 6
	s_sub_i32 s27, s12, s26
	s_cmp_gt_i32 s27, 0
	s_cbranch_scc0 .LBB123_99
; %bb.19:
	s_ashr_i32 s3, s26, 31
	s_cmpk_lg_i32 s15, 0x80
	s_cselect_b64 s[22:23], -1, 0
	s_and_b64 vcc, exec, s[22:23]
	s_cbranch_vccz .LBB123_21
; %bb.20:
	s_mul_i32 s1, s51, s12
	s_mul_hi_i32 s0, s51, s12
	s_add_u32 s1, s1, s26
	s_addc_u32 s0, s0, s3
	s_mul_i32 s17, s1, s53
	s_mul_hi_u32 s20, s1, s14
	s_add_i32 s17, s20, s17
	s_mul_i32 s0, s0, s14
	s_add_i32 s17, s17, s0
	s_mul_i32 s1, s1, s14
	s_ashr_i32 s0, s54, 31
	s_add_u32 s24, s1, s54
	s_addc_u32 s25, s17, s0
	s_cbranch_execz .LBB123_22
	s_branch .LBB123_23
.LBB123_21:
                                        ; implicit-def: $sgpr24_sgpr25
.LBB123_22:
	s_mul_hi_i32 s0, s51, s14
	s_mul_i32 s51, s51, s14
	s_ashr_i32 s1, s54, 31
	s_add_u32 s14, s51, s54
	s_addc_u32 s0, s0, s1
	s_mul_i32 s1, s14, s50
	s_mul_hi_u32 s17, s14, s12
	s_add_i32 s1, s17, s1
	s_mul_i32 s0, s0, s12
	s_add_i32 s1, s1, s0
	s_mul_i32 s14, s14, s12
	s_add_u32 s24, s14, s26
	s_addc_u32 s25, s1, s3
.LBB123_23:
	s_mul_i32 s0, s38, s50
	s_add_i32 s0, s57, s0
	s_add_i32 s14, s55, s52
	;; [unrolled: 1-line block ×3, first 2 shown]
	s_add_u32 s0, s16, s26
	v_lshlrev_b32_e32 v6, 6, v82
	v_lshlrev_b32_e32 v24, 2, v79
	s_addc_u32 s1, s1, s3
	s_mov_b32 s3, 0x7060302
	v_or_b32_e32 v9, v6, v24
	v_xor_b32_e32 v7, v82, v24
	v_perm_b32 v3, v67, v66, s3
	v_perm_b32 v2, v63, v62, s3
	v_perm_b32 v5, v65, v64, s3
	v_perm_b32 v4, v61, v60, s3
	v_lshlrev_b32_e32 v9, 1, v9
	v_xor_b32_e32 v8, v83, v24
	ds_write2st64_b64 v9, v[2:3], v[4:5] offset0:32 offset1:48
	v_lshlrev_b32_e32 v7, 1, v7
	v_lshlrev_b32_e32 v9, 8, v79
	v_or_b32_e32 v10, v7, v9
	v_lshlrev_b32_e32 v8, 1, v8
	ds_write_b64 v10, v[2:3]
	v_or_b32_e32 v2, v8, v9
	v_or_b32_e32 v9, 16, v79
	v_lshlrev_b32_e32 v23, 2, v9
	v_or_b32_e32 v10, v6, v23
	ds_write_b64 v2, v[4:5]
	v_perm_b32 v3, v59, v58, s3
	v_perm_b32 v2, v55, v54, s3
	;; [unrolled: 1-line block ×4, first 2 shown]
	v_lshlrev_b32_e32 v10, 1, v10
	v_lshlrev_b32_e32 v9, 8, v9
	ds_write2st64_b64 v10, v[2:3], v[4:5] offset0:32 offset1:48
	v_or_b32_e32 v10, v7, v9
	ds_write_b64 v10, v[2:3]
	v_or_b32_e32 v2, v8, v9
	v_or_b32_e32 v9, 32, v79
	v_lshlrev_b32_e32 v22, 2, v9
	v_or_b32_e32 v10, v6, v22
	ds_write_b64 v2, v[4:5]
	v_perm_b32 v3, v51, v50, s3
	v_perm_b32 v2, v47, v46, s3
	;; [unrolled: 1-line block ×4, first 2 shown]
	v_lshlrev_b32_e32 v10, 1, v10
	v_lshlrev_b32_e32 v9, 8, v9
	s_lshl_b64 s[20:21], s[0:1], 8
	ds_write2st64_b64 v10, v[2:3], v[4:5] offset0:32 offset1:48
	v_or_b32_e32 v10, v7, v9
	s_waitcnt lgkmcnt(0)
	s_add_u32 s0, s6, s20
	ds_write_b64 v10, v[2:3]
	v_or_b32_e32 v2, v8, v9
	s_addc_u32 s1, s7, s21
	ds_write_b64 v2, v[4:5]
	v_perm_b32 v3, v43, v42, s3
	v_perm_b32 v2, v39, v38, s3
	;; [unrolled: 1-line block ×4, first 2 shown]
	v_or_b32_e32 v9, 48, v79
	s_mul_hi_i32 s3, s14, s13
	s_mul_i32 s14, s14, s13
	v_lshlrev_b32_e32 v19, 2, v9
	s_add_u32 s6, s14, s48
	v_or_b32_e32 v6, v6, v19
	s_addc_u32 s7, s3, s49
	v_lshlrev_b32_e32 v6, 1, v6
	s_ashr_i32 s3, s2, 31
	s_lshl_b64 s[6:7], s[6:7], 15
	ds_write2st64_b64 v6, v[2:3], v[4:5] offset0:32 offset1:48
	v_lshlrev_b32_e32 v6, 8, v9
	s_add_u32 s6, s18, s6
	v_or_b32_e32 v7, v7, v6
	s_addc_u32 s7, s19, s7
	s_lshl_b64 s[2:3], s[2:3], 8
	ds_write_b64 v7, v[2:3]
	v_or_b32_e32 v2, v8, v6
	s_add_u32 s2, s6, s2
	v_lshlrev_b32_e32 v3, 1, v79
	ds_write_b64 v2, v[4:5]
	v_lshrrev_b32_e32 v2, 4, v0
	s_addc_u32 s3, s7, s3
	v_or_b32_e32 v4, 1, v3
	v_lshlrev_b32_e32 v10, 4, v79
	v_mov_b32_e32 v11, 0
	v_xor_b32_e32 v3, v2, v3
	v_xor_b32_e32 v6, v4, v2
	v_lshl_add_u64 v[12:13], s[2:3], 0, v[10:11]
	v_lshlrev_b32_e32 v10, 8, v2
	v_lshl_or_b32 v16, v3, 3, v10
	v_lshl_or_b32 v17, v6, 3, v10
	s_waitcnt lgkmcnt(0)
	s_barrier
	ds_read2st64_b64 v[2:5], v16 offset1:8
	ds_read2st64_b64 v[6:9], v17 offset1:8
	v_lshl_add_u64 v[14:15], v[12:13], 0, v[10:11]
	s_movk_i32 s2, 0x2000
	s_cmp_lg_u32 s27, 64
	s_waitcnt lgkmcnt(1)
	v_mov_b32_e32 v10, v2
	v_mov_b32_e32 v11, v3
	s_waitcnt lgkmcnt(0)
	v_mov_b32_e32 v12, v6
	v_mov_b32_e32 v13, v7
	global_store_dwordx4 v[14:15], v[10:13], off
	v_mov_b32_e32 v6, v4
	v_mov_b32_e32 v7, v5
	ds_read2st64_b64 v[2:5], v16 offset0:16 offset1:24
	ds_read2st64_b64 v[10:13], v17 offset0:16 offset1:24
	v_add_co_u32_e32 v16, vcc, s2, v14
	s_cselect_b64 s[6:7], -1, 0
	s_nop 0
	v_addc_co_u32_e32 v17, vcc, 0, v15, vcc
	global_store_dwordx4 v[16:17], v[6:9], off offset:-4096
	v_lshl_or_b32 v25, v77, 3, v80
	s_mov_b32 s16, 0
	s_waitcnt lgkmcnt(1)
	v_mov_b32_e32 v6, v2
	v_add_co_u32_e32 v2, vcc, 0x3000, v14
	v_mov_b32_e32 v7, v3
	s_nop 0
	v_addc_co_u32_e32 v3, vcc, 0, v15, vcc
	s_waitcnt lgkmcnt(0)
	v_mov_b32_e32 v8, v10
	v_mov_b32_e32 v9, v11
	;; [unrolled: 1-line block ×4, first 2 shown]
	v_or_b32_e32 v20, 32, v25
	v_and_b32_e32 v18, 56, v81
	s_and_b64 vcc, exec, s[6:7]
	global_store_dwordx4 v[16:17], v[6:9], off
	global_store_dwordx4 v[2:3], v[10:13], off
	s_cbranch_vccz .LBB123_29
; %bb.24:
	s_mov_b32 s17, s16
	s_mov_b32 s18, s16
	;; [unrolled: 1-line block ×3, first 2 shown]
	v_mov_b64_e32 v[6:7], s[16:17]
	v_mov_b64_e32 v[8:9], s[18:19]
	;; [unrolled: 1-line block ×3, first 2 shown]
	v_cmp_gt_i32_e32 vcc, s27, v25
	v_mov_b64_e32 v[4:5], v[8:9]
	s_and_saveexec_b64 s[2:3], vcc
	s_cbranch_execz .LBB123_26
; %bb.25:
	v_lshlrev_b32_e32 v2, 8, v25
	v_mov_b32_e32 v3, 0
	v_lshl_add_u64 v[4:5], s[0:1], 0, v[2:3]
	v_lshlrev_b32_e32 v2, 1, v18
	v_lshl_add_u64 v[10:11], v[4:5], 0, v[2:3]
	global_load_dwordx4 v[6:9], v[10:11], off
	global_load_dwordx4 v[2:5], v[10:11], off offset:128
.LBB123_26:
	s_or_b64 exec, exec, s[2:3]
	s_mov_b32 s17, s16
	s_mov_b32 s18, s16
	;; [unrolled: 1-line block ×3, first 2 shown]
	v_mov_b64_e32 v[14:15], s[16:17]
	v_mov_b64_e32 v[16:17], s[18:19]
	;; [unrolled: 1-line block ×3, first 2 shown]
	v_cmp_gt_i32_e32 vcc, s27, v20
	v_lshlrev_b32_e32 v21, 7, v20
	v_mov_b64_e32 v[12:13], v[16:17]
	s_and_saveexec_b64 s[2:3], vcc
	s_cbranch_execz .LBB123_28
; %bb.27:
	v_lshlrev_b32_e32 v10, 1, v21
	v_mov_b32_e32 v11, 0
	v_lshl_add_u64 v[12:13], s[0:1], 0, v[10:11]
	v_lshlrev_b32_e32 v10, 1, v18
	v_lshl_add_u64 v[26:27], v[12:13], 0, v[10:11]
	global_load_dwordx4 v[14:17], v[26:27], off
	global_load_dwordx4 v[10:13], v[26:27], off offset:128
.LBB123_28:
	s_or_b64 exec, exec, s[2:3]
	v_lshrrev_b32_e32 v26, 3, v18
	v_lshlrev_b32_e32 v27, 3, v25
	v_or_b32_e32 v26, v27, v26
	v_lshlrev_b32_e32 v26, 4, v26
	v_and_b32_e32 v27, 0x78, v27
	v_xor_b32_e32 v26, v26, v27
	s_branch .LBB123_31
.LBB123_29:
                                        ; implicit-def: $vgpr26
                                        ; implicit-def: $vgpr21
                                        ; implicit-def: $vgpr6_vgpr7_vgpr8_vgpr9
                                        ; implicit-def: $vgpr2_vgpr3_vgpr4_vgpr5
                                        ; implicit-def: $vgpr14_vgpr15_vgpr16_vgpr17
                                        ; implicit-def: $vgpr10_vgpr11_vgpr12_vgpr13
	s_cbranch_execz .LBB123_31
; %bb.30:
	s_waitcnt vmcnt(0)
	v_lshlrev_b32_e32 v2, 1, v18
	v_lshl_or_b32 v21, v25, 8, v2
	s_and_b32 s1, s1, 0xffff
	s_mov_b32 s3, 0x20000
	s_movk_i32 s2, 0x4000
	v_lshl_or_b32 v26, v20, 8, v2
	s_movk_i32 s13, 0x80
	buffer_load_dwordx4 v[6:9], v21, s[0:3], 0 offen
	buffer_load_dwordx4 v[2:5], v21, s[0:3], s13 offen
	;; [unrolled: 1-line block ×4, first 2 shown]
	v_lshrrev_b32_e32 v21, 3, v18
	v_lshlrev_b32_e32 v26, 3, v25
	v_or_b32_e32 v21, v26, v21
	v_lshlrev_b32_e32 v21, 4, v21
	v_and_b32_e32 v26, 0x78, v26
	v_xor_b32_e32 v26, v21, v26
	v_lshlrev_b32_e32 v21, 7, v20
.LBB123_31:
	s_movk_i32 s0, 0x1000
	v_and_or_b32 v20, v21, s0, v26
	s_waitcnt vmcnt(1)
	ds_write_b64 v26, v[6:7] offset:49152
	v_xor_b32_e32 v6, 8, v26
	ds_write_b64 v6, v[8:9] offset:49152
	s_waitcnt vmcnt(0)
	ds_write_b64 v26, v[2:3] offset:57344
	ds_write_b64 v6, v[4:5] offset:57344
	;; [unrolled: 1-line block ×3, first 2 shown]
	v_xor_b32_e32 v2, 8, v20
	ds_write_b64 v2, v[16:17] offset:49152
	ds_write_b64 v20, v[10:11] offset:57344
	;; [unrolled: 1-line block ×3, first 2 shown]
	v_or_b32_e32 v2, v1, v79
	v_lshlrev_b32_e32 v3, 11, v77
	v_lshlrev_b32_e32 v2, 3, v2
	v_and_b32_e32 v6, 0x1000, v3
	v_lshrrev_b32_e32 v3, 5, v76
	s_movk_i32 s0, 0xf8
	v_and_or_b32 v3, v2, s0, v3
	v_lshlrev_b32_e32 v7, 4, v3
	v_and_b32_e32 v8, 0x78, v2
	v_or_b32_e32 v10, 32, v7
	v_lshrrev_b32_e32 v3, 1, v76
	v_xor_b32_e32 v10, v10, v8
	v_xor_b32_e32 v2, v7, v8
	v_and_b32_e32 v9, 8, v3
	v_or_b32_e32 v10, v10, v6
	v_or_b32_e32 v2, v2, v6
	v_xor_b32_e32 v28, v10, v9
	v_or_b32_e32 v10, 64, v7
	v_xor_b32_e32 v27, v2, v9
	v_xor_b32_e32 v10, v10, v8
	s_waitcnt lgkmcnt(0)
	s_barrier
	v_or_b32_e32 v13, v10, v6
	ds_read_b64 v[10:11], v27 offset:49152
	v_lshl_or_b32 v14, v78, 8, v24
	v_lshlrev_b32_e32 v26, 1, v14
	v_add_u32_e32 v12, 0x4000, v26
	ds_read2_b64 v[2:5], v12 offset1:16
	v_or_b32_e32 v7, 0x60, v7
	v_xor_b32_e32 v7, v7, v8
	v_or_b32_e32 v6, v7, v6
	v_xor_b32_e32 v29, v13, v9
	v_xor_b32_e32 v30, v6, v9
	ds_read_b64 v[20:21], v28 offset:49152
	ds_read_b64 v[36:37], v29 offset:49152
	;; [unrolled: 1-line block ×3, first 2 shown]
	s_waitcnt lgkmcnt(3)
	v_mfma_f32_16x16x16_bf16 a[0:3], v[10:11], v[2:3], 0
	ds_read2st64_b64 v[6:9], v26 offset0:36 offset1:40
	s_lshl_b64 s[0:1], s[24:25], 8
	s_add_u32 s4, s4, s0
	v_mfma_f32_16x16x16_bf16 a[4:7], v[10:11], v[4:5], 0
	ds_read2_b64 v[2:5], v12 offset0:32 offset1:48
	s_addc_u32 s5, s5, s1
	s_add_i32 s1, s44, s33
	s_waitcnt lgkmcnt(0)
	v_mfma_f32_16x16x16_bf16 a[8:11], v[10:11], v[2:3], 0
	v_or_b32_e32 v2, 64, v14
	v_lshlrev_b32_e32 v31, 1, v2
	s_add_i32 s0, s12, -1
	v_mfma_f32_16x16x16_bf16 a[12:15], v[10:11], v[4:5], 0
	ds_read2st64_b64 v[2:5], v31 offset0:36 offset1:40
	s_add_i32 s37, s1, s39
	s_add_i32 s1, s46, s45
	v_mfma_f32_16x16x16_bf16 a[0:3], v[20:21], v[6:7], a[0:3]
	v_or_b32_e32 v6, 0x80, v14
	v_lshlrev_b32_e32 v32, 1, v6
	ds_read2st64_b64 v[10:13], v32 offset0:36 offset1:40
	s_waitcnt lgkmcnt(1)
	v_mfma_f32_16x16x16_bf16 a[4:7], v[20:21], v[2:3], a[4:7]
	v_or_b32_e32 v2, 0xc0, v14
	v_lshlrev_b32_e32 v33, 1, v2
	ds_read2st64_b64 v[14:17], v33 offset0:36 offset1:40
	s_add_i32 s35, s1, s47
	s_ashr_i32 s1, s0, 31
	s_mul_i32 s2, s0, s31
	s_mul_hi_u32 s3, s0, s30
	s_add_i32 s2, s3, s2
	s_mul_i32 s1, s1, s30
	s_waitcnt lgkmcnt(1)
	v_mfma_f32_16x16x16_bf16 a[8:11], v[20:21], v[10:11], a[8:11]
	s_add_i32 s1, s2, s1
	s_lshl_b64 s[2:3], s[36:37], 2
	s_add_u32 s10, s10, s2
	s_waitcnt lgkmcnt(0)
	v_mfma_f32_16x16x16_bf16 a[12:15], v[20:21], v[14:15], a[12:15]
	s_addc_u32 s11, s11, s3
	s_lshl_b64 s[2:3], s[34:35], 2
	s_mul_i32 s0, s0, s30
	v_mfma_f32_16x16x16_bf16 a[0:3], v[36:37], v[8:9], a[0:3]
	ds_read_b64 v[2:3], v26 offset:22528
	s_add_u32 s10, s10, s2
	s_addc_u32 s11, s11, s3
	v_mfma_f32_16x16x16_bf16 a[4:7], v[36:37], v[4:5], a[4:7]
	ds_read_b64 v[4:5], v31 offset:22528
	ds_read_b64 v[6:7], v32 offset:22528
	;; [unrolled: 1-line block ×3, first 2 shown]
	s_lshl_b64 s[0:1], s[0:1], 2
	s_add_u32 s0, s10, s0
	v_mfma_f32_16x16x16_bf16 a[8:11], v[36:37], v[12:13], a[8:11]
	s_addc_u32 s1, s11, s1
	s_load_dword s12, s[0:1], 0x0
	s_and_b64 vcc, exec, s[22:23]
	v_mfma_f32_16x16x16_bf16 a[12:15], v[36:37], v[16:17], a[12:15]
	s_waitcnt lgkmcnt(0)
	v_mfma_f32_16x16x16_bf16 a[0:3], v[38:39], v[2:3], a[0:3]
	v_mfma_f32_16x16x16_bf16 a[4:7], v[38:39], v[4:5], a[4:7]
	;; [unrolled: 1-line block ×4, first 2 shown]
	s_cbranch_vccz .LBB123_42
; %bb.32:
	v_lshlrev_b32_e32 v20, 1, v25
	s_and_b64 vcc, exec, s[6:7]
	s_cbranch_vccz .LBB123_43
; %bb.33:
	v_cmp_gt_i32_e32 vcc, s27, v20
	v_mov_b32_e32 v6, 0
	v_mov_b32_e32 v2, 0
	;; [unrolled: 1-line block ×5, first 2 shown]
	s_and_saveexec_b64 s[0:1], vcc
	s_cbranch_execz .LBB123_35
; %bb.34:
	v_mad_i64_i32 v[2:3], s[2:3], s15, v20, 0
	v_lshl_add_u64 v[2:3], v[2:3], 1, s[4:5]
	v_lshlrev_b32_e32 v4, 1, v18
	v_mov_b32_e32 v5, 0
	v_lshl_add_u64 v[2:3], v[2:3], 0, v[4:5]
	global_load_dwordx4 v[2:5], v[2:3], off
.LBB123_35:
	s_or_b64 exec, exec, s[0:1]
	v_or_b32_e32 v21, 1, v20
	v_cmp_gt_i32_e64 s[0:1], s27, v21
	v_mov_b32_e32 v7, 0
	v_mov_b32_e32 v8, 0
	;; [unrolled: 1-line block ×3, first 2 shown]
	s_and_saveexec_b64 s[2:3], s[0:1]
	s_cbranch_execz .LBB123_37
; %bb.36:
	v_mad_i64_i32 v[6:7], s[16:17], s15, v21, 0
	v_lshl_add_u64 v[6:7], v[6:7], 1, s[4:5]
	v_lshlrev_b32_e32 v8, 1, v18
	v_mov_b32_e32 v9, 0
	v_lshl_add_u64 v[6:7], v[6:7], 0, v[8:9]
	global_load_dwordx4 v[6:9], v[6:7], off
.LBB123_37:
	s_or_b64 exec, exec, s[2:3]
	v_mov_b32_e32 v17, 0
	v_mov_b32_e32 v10, 0
	;; [unrolled: 1-line block ×5, first 2 shown]
	s_and_saveexec_b64 s[2:3], vcc
	s_cbranch_execz .LBB123_39
; %bb.38:
	v_mad_i64_i32 v[10:11], s[16:17], s15, v20, 0
	v_lshl_add_u64 v[10:11], v[10:11], 1, s[4:5]
	v_lshlrev_b32_e32 v12, 1, v18
	v_mov_b32_e32 v13, 0
	v_lshl_add_u64 v[10:11], v[10:11], 0, v[12:13]
	global_load_dwordx4 v[10:13], v[10:11], off offset:128
.LBB123_39:
	s_or_b64 exec, exec, s[2:3]
	v_mov_b32_e32 v16, 0
	v_mov_b32_e32 v15, 0
	;; [unrolled: 1-line block ×3, first 2 shown]
	s_and_saveexec_b64 s[2:3], s[0:1]
	s_cbranch_execz .LBB123_41
; %bb.40:
	v_mad_i64_i32 v[14:15], s[0:1], s15, v21, 0
	v_lshl_add_u64 v[14:15], v[14:15], 1, s[4:5]
	v_lshlrev_b32_e32 v16, 1, v18
	v_mov_b32_e32 v17, 0
	v_lshl_add_u64 v[14:15], v[14:15], 0, v[16:17]
	global_load_dwordx4 v[14:17], v[14:15], off offset:128
.LBB123_41:
	s_or_b64 exec, exec, s[2:3]
	s_branch .LBB123_45
.LBB123_42:
                                        ; implicit-def: $vgpr5
                                        ; implicit-def: $vgpr9
                                        ; implicit-def: $vgpr13
                                        ; implicit-def: $vgpr17
	v_lshrrev_b32_e32 v35, 2, v76
	s_branch .LBB123_46
.LBB123_43:
                                        ; implicit-def: $vgpr5
                                        ; implicit-def: $vgpr9
                                        ; implicit-def: $vgpr13
                                        ; implicit-def: $vgpr17
	s_cbranch_execz .LBB123_45
; %bb.44:
	s_waitcnt vmcnt(0)
	v_mad_u64_u32 v[2:3], s[0:1], v20, s15, v[18:19]
	v_lshlrev_b32_e32 v20, 1, v2
	s_lshl_b32 s2, s15, 7
	s_and_b32 s1, s5, 0xffff
	s_mov_b32 s3, 0x20000
	s_mov_b32 s0, s4
	v_add_lshl_u32 v21, v2, s15, 1
	s_movk_i32 s13, 0x80
	buffer_load_dwordx4 v[2:5], v20, s[0:3], 0 offen
	buffer_load_dwordx4 v[10:13], v20, s[0:3], s13 offen
	;; [unrolled: 1-line block ×4, first 2 shown]
.LBB123_45:
	v_lshrrev_b32_e32 v35, 2, v76
	s_cbranch_execnz .LBB123_58
.LBB123_46:
	s_and_b64 vcc, exec, s[6:7]
	s_cbranch_vccz .LBB123_56
; %bb.47:
	s_waitcnt vmcnt(0)
	v_lshlrev_b32_e32 v7, 1, v25
	v_cmp_gt_i32_e32 vcc, s27, v7
	v_mov_b32_e32 v6, 0
	v_lshlrev_b32_e32 v14, 9, v25
	v_mov_b32_e32 v2, 0
	v_mov_b32_e32 v3, 0
	;; [unrolled: 1-line block ×4, first 2 shown]
	s_and_saveexec_b64 s[0:1], vcc
	s_cbranch_execz .LBB123_49
; %bb.48:
	v_mov_b32_e32 v15, 0
	v_lshl_add_u64 v[2:3], s[4:5], 0, v[14:15]
	v_lshlrev_b32_e32 v4, 1, v18
	v_mov_b32_e32 v5, v15
	v_lshl_add_u64 v[2:3], v[2:3], 0, v[4:5]
	global_load_dwordx4 v[2:5], v[2:3], off
.LBB123_49:
	s_or_b64 exec, exec, s[0:1]
	v_or_b32_e32 v7, 1, v7
	v_cmp_gt_i32_e64 s[0:1], s27, v7
	v_lshlrev_b32_e32 v20, 8, v7
	v_mov_b32_e32 v7, 0
	v_mov_b32_e32 v8, 0
	;; [unrolled: 1-line block ×3, first 2 shown]
	s_and_saveexec_b64 s[2:3], s[0:1]
	s_cbranch_execz .LBB123_51
; %bb.50:
	v_mov_b32_e32 v21, 0
	v_lshl_add_u64 v[6:7], s[4:5], 0, v[20:21]
	v_lshlrev_b32_e32 v8, 1, v18
	v_mov_b32_e32 v9, v21
	v_lshl_add_u64 v[6:7], v[6:7], 0, v[8:9]
	global_load_dwordx4 v[6:9], v[6:7], off
.LBB123_51:
	s_or_b64 exec, exec, s[2:3]
	v_mov_b32_e32 v17, 0
	v_mov_b32_e32 v10, 0
	;; [unrolled: 1-line block ×5, first 2 shown]
	s_and_saveexec_b64 s[2:3], vcc
	s_cbranch_execz .LBB123_53
; %bb.52:
	v_mov_b32_e32 v15, 0
	v_lshl_add_u64 v[10:11], s[4:5], 0, v[14:15]
	v_lshlrev_b32_e32 v14, 1, v18
	v_lshl_add_u64 v[10:11], v[10:11], 0, v[14:15]
	global_load_dwordx4 v[10:13], v[10:11], off offset:128
.LBB123_53:
	s_or_b64 exec, exec, s[2:3]
	v_mov_b32_e32 v16, 0
	v_mov_b32_e32 v15, 0
	;; [unrolled: 1-line block ×3, first 2 shown]
	s_and_saveexec_b64 s[2:3], s[0:1]
	s_cbranch_execz .LBB123_55
; %bb.54:
	v_mov_b32_e32 v21, 0
	v_lshl_add_u64 v[14:15], s[4:5], 0, v[20:21]
	v_lshlrev_b32_e32 v20, 1, v18
	v_lshl_add_u64 v[14:15], v[14:15], 0, v[20:21]
	global_load_dwordx4 v[14:17], v[14:15], off offset:128
.LBB123_55:
	s_or_b64 exec, exec, s[2:3]
	s_branch .LBB123_58
.LBB123_56:
                                        ; implicit-def: $vgpr5
                                        ; implicit-def: $vgpr9
                                        ; implicit-def: $vgpr13
                                        ; implicit-def: $vgpr17
	s_cbranch_execz .LBB123_58
; %bb.57:
	s_waitcnt vmcnt(0)
	v_lshlrev_b32_e32 v2, 1, v18
	v_lshl_or_b32 v18, v25, 9, v2
	s_and_b32 s5, s5, 0xffff
	s_mov_b32 s7, 0x20000
	s_movk_i32 s6, 0x4000
	s_movk_i32 s0, 0x80
	buffer_load_dwordx4 v[2:5], v18, s[4:7], 0 offen
	buffer_load_dwordx4 v[6:9], v18, s[4:7], 0 offen offset:256
	buffer_load_dwordx4 v[10:13], v18, s[4:7], s0 offen
	buffer_load_dwordx4 v[14:17], v18, s[4:7], s0 offen offset:256
.LBB123_58:
	ds_read_b64 v[20:21], v27 offset:57344
	v_add_u32_e32 v18, 0x6000, v26
	ds_read2_b64 v[36:39], v18 offset1:16
	ds_read_b64 v[52:53], v28 offset:57344
	ds_read_b64 v[28:29], v29 offset:57344
	;; [unrolled: 1-line block ×3, first 2 shown]
	ds_read2st64_b64 v[40:43], v26 offset0:52 offset1:56
	s_mov_b32 s0, 0x1000504
	s_mov_b32 s1, 0x3020706
	s_waitcnt lgkmcnt(4)
	v_mfma_f32_16x16x16_bf16 a[0:3], v[20:21], v[36:37], a[0:3]
	v_mfma_f32_16x16x16_bf16 a[4:7], v[20:21], v[38:39], a[4:7]
	ds_read2_b64 v[36:39], v18 offset0:32 offset1:48
	v_and_b32_e32 v18, 6, v0
	v_xor_b32_e32 v25, v25, v18
	s_waitcnt lgkmcnt(0)
	v_mfma_f32_16x16x16_bf16 a[8:11], v[20:21], v[36:37], a[8:11]
	v_lshlrev_b32_e32 v25, 2, v25
	v_and_b32_e32 v0, 1, v0
	v_cmp_eq_u32_e32 vcc, 0, v0
	v_mfma_f32_16x16x16_bf16 a[12:15], v[20:21], v[38:39], a[12:15]
	ds_read2st64_b64 v[36:39], v31 offset0:52 offset1:56
	ds_read2st64_b64 v[44:47], v32 offset0:52 offset1:56
	;; [unrolled: 1-line block ×3, first 2 shown]
	ds_read_b64 v[20:21], v26 offset:30720
	ds_read_b64 v[26:27], v31 offset:30720
	;; [unrolled: 1-line block ×4, first 2 shown]
	s_waitcnt lgkmcnt(6)
	v_mfma_f32_16x16x16_bf16 a[4:7], v[52:53], v[36:37], a[4:7]
	v_xor_b32_e32 v36, 0x440, v25
	v_cndmask_b32_e32 v0, v36, v25, vcc
	v_lshl_or_b32 v0, v18, 10, v0
	v_mfma_f32_16x16x16_bf16 a[0:3], v[52:53], v[40:41], a[0:3]
	s_waitcnt vmcnt(0)
	v_perm_b32 v18, v2, v6, s0
	v_perm_b32 v25, v10, v14, s0
	ds_write2st64_b32 v0, v18, v25 offset0:128 offset1:160
	s_waitcnt lgkmcnt(6)
	v_mfma_f32_16x16x16_bf16 a[8:11], v[52:53], v[44:45], a[8:11]
	v_xor_b32_e32 v18, 8, v0
	v_perm_b32 v2, v2, v6, s1
	v_perm_b32 v6, v10, v14, s1
	s_waitcnt lgkmcnt(5)
	v_mfma_f32_16x16x16_bf16 a[12:15], v[52:53], v[48:49], a[12:15]
	v_add_u32_e32 v10, 0x80, v18
	ds_write2st64_b32 v10, v2, v6 offset0:128 offset1:160
	v_xor_b32_e32 v2, 16, v0
	v_mfma_f32_16x16x16_bf16 a[0:3], v[28:29], v[42:43], a[0:3]
	v_perm_b32 v6, v3, v7, s0
	v_perm_b32 v10, v11, v15, s0
	ds_write2st64_b32 v2, v6, v10 offset0:129 offset1:161
	v_mfma_f32_16x16x16_bf16 a[4:7], v[28:29], v[38:39], a[4:7]
	v_xor_b32_e32 v2, 24, v0
	v_perm_b32 v3, v3, v7, s1
	v_perm_b32 v6, v11, v15, s1
	v_mfma_f32_16x16x16_bf16 a[16:19], v[28:29], v[46:47], a[8:11]
	v_add_u32_e32 v2, 0x80, v2
	ds_write2st64_b32 v2, v3, v6 offset0:129 offset1:161
	v_xor_b32_e32 v2, 32, v0
	v_mfma_f32_16x16x16_bf16 a[20:23], v[28:29], v[50:51], a[12:15]
	v_perm_b32 v3, v4, v8, s0
	v_perm_b32 v6, v12, v16, s0
	ds_write2st64_b32 v2, v3, v6 offset0:130 offset1:162
	s_waitcnt lgkmcnt(8)
	v_mfma_f32_16x16x16_bf16 a[12:15], v[54:55], v[20:21], a[0:3]
	v_xor_b32_e32 v2, 40, v0
	v_perm_b32 v3, v4, v8, s1
	v_perm_b32 v4, v12, v16, s1
	s_waitcnt lgkmcnt(7)
	v_mfma_f32_16x16x16_bf16 a[8:11], v[54:55], v[26:27], a[4:7]
	v_add_u32_e32 v2, 0x80, v2
	ds_write2st64_b32 v2, v3, v4 offset0:130 offset1:162
	v_xor_b32_e32 v2, 48, v0
	s_waitcnt lgkmcnt(7)
	v_mfma_f32_16x16x16_bf16 a[4:7], v[54:55], v[30:31], a[16:19]
	v_perm_b32 v3, v5, v9, s0
	v_perm_b32 v4, v13, v17, s0
	v_xor_b32_e32 v0, 56, v0
	s_waitcnt lgkmcnt(6)
	v_mfma_f32_16x16x16_bf16 a[0:3], v[54:55], v[32:33], a[20:23]
	v_and_or_b32 v21, v35, 12, v1
	ds_write2st64_b32 v2, v3, v4 offset0:131 offset1:163
	v_perm_b32 v2, v5, v9, s1
	v_perm_b32 v3, v13, v17, s1
	v_add_u32_e32 v0, 0x80, v0
	v_cmp_gt_i32_e32 vcc, s27, v21
	v_mov_b32_e32 v16, 0
	v_mov_b32_e32 v18, 0
	ds_write2st64_b32 v0, v2, v3 offset0:131 offset1:163
	s_and_saveexec_b64 s[0:1], vcc
	s_cbranch_execz .LBB123_60
; %bb.59:
	v_add_u32_e32 v0, s26, v21
	v_ashrrev_i32_e32 v1, 31, v0
	v_mul_lo_u32 v2, v1, s30
	v_mul_lo_u32 v3, v0, s31
	v_mad_u64_u32 v[0:1], s[2:3], v0, s30, 0
	v_add3_u32 v1, v1, v3, v2
	v_lshl_add_u64 v[0:1], v[0:1], 2, s[10:11]
	global_load_dword v0, v[0:1], off
	s_waitcnt vmcnt(0)
	v_sub_f32_e32 v0, s12, v0
	v_mul_f32_e32 v0, 0x3fb8aa3b, v0
	v_exp_f32_e32 v18, v0
.LBB123_60:
	s_or_b64 exec, exec, s[0:1]
	v_or_b32_e32 v10, 1, v21
	v_cmp_gt_i32_e64 s[0:1], s27, v10
	s_and_saveexec_b64 s[2:3], s[0:1]
	s_cbranch_execz .LBB123_62
; %bb.61:
	v_add_u32_e32 v0, s26, v10
	v_ashrrev_i32_e32 v1, 31, v0
	v_mul_lo_u32 v2, v1, s30
	v_mul_lo_u32 v3, v0, s31
	v_mad_u64_u32 v[0:1], s[4:5], v0, s30, 0
	v_add3_u32 v1, v1, v3, v2
	v_lshl_add_u64 v[0:1], v[0:1], 2, s[10:11]
	global_load_dword v0, v[0:1], off
	s_waitcnt vmcnt(0)
	v_sub_f32_e32 v0, s12, v0
	v_mul_f32_e32 v0, 0x3fb8aa3b, v0
	v_exp_f32_e32 v16, v0
.LBB123_62:
	s_or_b64 exec, exec, s[2:3]
	v_or_b32_e32 v12, 2, v21
	v_cmp_gt_i32_e64 s[2:3], s27, v12
	v_mov_b32_e32 v17, 0
	v_mov_b32_e32 v20, 0
	s_and_saveexec_b64 s[4:5], s[2:3]
	s_cbranch_execz .LBB123_64
; %bb.63:
	v_add_u32_e32 v0, s26, v12
	v_ashrrev_i32_e32 v1, 31, v0
	v_mul_lo_u32 v2, v1, s30
	v_mul_lo_u32 v3, v0, s31
	v_mad_u64_u32 v[0:1], s[6:7], v0, s30, 0
	v_add3_u32 v1, v1, v3, v2
	v_lshl_add_u64 v[0:1], v[0:1], 2, s[10:11]
	global_load_dword v0, v[0:1], off
	s_waitcnt vmcnt(0)
	v_sub_f32_e32 v0, s12, v0
	v_mul_f32_e32 v0, 0x3fb8aa3b, v0
	v_exp_f32_e32 v20, v0
.LBB123_64:
	s_or_b64 exec, exec, s[4:5]
	v_or_b32_e32 v14, 3, v21
	v_cmp_gt_i32_e64 s[4:5], s27, v14
	s_and_saveexec_b64 s[6:7], s[4:5]
	s_cbranch_execz .LBB123_66
; %bb.65:
	v_add_u32_e32 v0, s26, v14
	v_ashrrev_i32_e32 v1, 31, v0
	v_mul_lo_u32 v2, v1, s30
	v_mul_lo_u32 v3, v0, s31
	v_mad_u64_u32 v[0:1], s[14:15], v0, s30, 0
	v_add3_u32 v1, v1, v3, v2
	v_lshl_add_u64 v[0:1], v[0:1], 2, s[10:11]
	global_load_dword v0, v[0:1], off
	s_waitcnt vmcnt(0)
	v_sub_f32_e32 v0, s12, v0
	v_mul_f32_e32 v0, 0x3fb8aa3b, v0
	v_exp_f32_e32 v17, v0
.LBB123_66:
	s_or_b64 exec, exec, s[6:7]
	s_add_u32 s6, s8, s20
	s_addc_u32 s7, s9, s21
	s_add_u32 s8, s28, s20
	v_ashrrev_i32_e32 v35, 31, v34
	v_accvgpr_read_b32 v0, a12
	s_addc_u32 s9, s29, s21
	v_lshlrev_b64 v[4:5], 1, v[34:35]
	v_accvgpr_read_b32 v1, a13
	v_accvgpr_read_b32 v2, a14
	;; [unrolled: 1-line block ×3, first 2 shown]
	v_lshl_add_u64 v[6:7], s[6:7], 0, v[4:5]
	v_lshl_add_u64 v[4:5], s[8:9], 0, v[4:5]
	v_mov_b32_e32 v11, 0
	v_lshlrev_b32_e32 v8, 8, v21
	v_mov_b32_e32 v9, 0
	s_and_saveexec_b64 s[6:7], vcc
	s_cbranch_execz .LBB123_68
; %bb.67:
	v_mov_b32_e32 v9, 0
	v_lshl_add_u64 v[26:27], v[6:7], 0, v[8:9]
	global_load_ushort v13, v[26:27], off
	v_lshl_add_u64 v[26:27], v[4:5], 0, v[8:9]
	s_waitcnt vmcnt(0)
	v_lshlrev_b32_e32 v9, 16, v13
	v_sub_f32_e32 v0, v9, v0
	global_store_short_d16_hi v[26:27], v0, off
	v_mul_f32_e32 v0, v18, v0
	v_lshrrev_b32_e32 v9, 16, v0
.LBB123_68:
	s_or_b64 exec, exec, s[6:7]
	v_lshlrev_b32_e32 v10, 8, v10
	s_and_saveexec_b64 s[6:7], s[0:1]
	s_cbranch_execz .LBB123_70
; %bb.69:
	v_mov_b32_e32 v11, 0
	v_lshl_add_u64 v[26:27], v[6:7], 0, v[10:11]
	global_load_ushort v0, v[26:27], off
	v_lshl_add_u64 v[26:27], v[4:5], 0, v[10:11]
	s_waitcnt vmcnt(0)
	v_lshlrev_b32_e32 v0, 16, v0
	v_sub_f32_e32 v0, v0, v1
	global_store_short_d16_hi v[26:27], v0, off
	v_mul_f32_e32 v0, v16, v0
	v_lshrrev_b32_e32 v11, 16, v0
.LBB123_70:
	s_or_b64 exec, exec, s[6:7]
	v_mov_b32_e32 v15, 0
	v_lshlrev_b32_e32 v12, 8, v12
	v_mov_b32_e32 v13, 0
	s_and_saveexec_b64 s[6:7], s[2:3]
	s_cbranch_execz .LBB123_72
; %bb.71:
	v_mov_b32_e32 v13, 0
	v_lshl_add_u64 v[0:1], v[6:7], 0, v[12:13]
	global_load_ushort v25, v[0:1], off
	v_lshl_add_u64 v[0:1], v[4:5], 0, v[12:13]
	s_waitcnt vmcnt(0)
	v_lshlrev_b32_e32 v13, 16, v25
	v_sub_f32_e32 v2, v13, v2
	global_store_short_d16_hi v[0:1], v2, off
	v_mul_f32_e32 v0, v20, v2
	v_lshrrev_b32_e32 v13, 16, v0
.LBB123_72:
	s_or_b64 exec, exec, s[6:7]
	v_lshlrev_b32_e32 v14, 8, v14
	s_and_saveexec_b64 s[6:7], s[4:5]
	s_cbranch_execz .LBB123_74
; %bb.73:
	v_mov_b32_e32 v15, 0
	v_lshl_add_u64 v[0:1], v[6:7], 0, v[14:15]
	global_load_ushort v2, v[0:1], off
	v_lshl_add_u64 v[0:1], v[4:5], 0, v[14:15]
	s_waitcnt vmcnt(0)
	v_lshlrev_b32_e32 v2, 16, v2
	v_sub_f32_e32 v2, v2, v3
	global_store_short_d16_hi v[0:1], v2, off
	v_mul_f32_e32 v0, v17, v2
	v_lshrrev_b32_e32 v15, 16, v0
.LBB123_74:
	s_or_b64 exec, exec, s[6:7]
	v_lshlrev_b32_e32 v21, 6, v21
	s_mov_b32 s6, 0x5040100
	v_perm_b32 v26, v11, v9, s6
	v_or_b32_e32 v9, v21, v24
	v_accvgpr_read_b32 v0, a8
	v_perm_b32 v27, v15, v13, s6
	v_lshlrev_b32_e32 v9, 1, v9
	v_accvgpr_read_b32 v1, a9
	v_accvgpr_read_b32 v2, a10
	;; [unrolled: 1-line block ×3, first 2 shown]
	ds_write_b64 v9, v[26:27] offset:24576
	v_mov_b32_e32 v11, 0
	v_mov_b32_e32 v9, 0
	s_and_saveexec_b64 s[6:7], vcc
	s_cbranch_execz .LBB123_76
; %bb.75:
	v_mov_b32_e32 v9, 0
	v_lshl_add_u64 v[24:25], v[6:7], 0, v[8:9]
	global_load_ushort v13, v[24:25], off offset:32
	v_lshl_add_u64 v[24:25], v[4:5], 0, v[8:9]
	s_waitcnt vmcnt(0)
	v_lshlrev_b32_e32 v9, 16, v13
	v_sub_f32_e32 v0, v9, v0
	global_store_short_d16_hi v[24:25], v0, off offset:32
	v_mul_f32_e32 v0, v18, v0
	v_lshrrev_b32_e32 v9, 16, v0
.LBB123_76:
	s_or_b64 exec, exec, s[6:7]
	s_and_saveexec_b64 s[6:7], s[0:1]
	s_cbranch_execz .LBB123_78
; %bb.77:
	v_mov_b32_e32 v11, 0
	v_lshl_add_u64 v[24:25], v[6:7], 0, v[10:11]
	global_load_ushort v0, v[24:25], off offset:32
	v_lshl_add_u64 v[24:25], v[4:5], 0, v[10:11]
	s_waitcnt vmcnt(0)
	v_lshlrev_b32_e32 v0, 16, v0
	v_sub_f32_e32 v0, v0, v1
	global_store_short_d16_hi v[24:25], v0, off offset:32
	v_mul_f32_e32 v0, v16, v0
	v_lshrrev_b32_e32 v11, 16, v0
.LBB123_78:
	s_or_b64 exec, exec, s[6:7]
	v_mov_b32_e32 v15, 0
	v_mov_b32_e32 v13, 0
	s_and_saveexec_b64 s[6:7], s[2:3]
	s_cbranch_execz .LBB123_80
; %bb.79:
	v_mov_b32_e32 v13, 0
	v_lshl_add_u64 v[0:1], v[6:7], 0, v[12:13]
	global_load_ushort v24, v[0:1], off offset:32
	v_lshl_add_u64 v[0:1], v[4:5], 0, v[12:13]
	s_waitcnt vmcnt(0)
	v_lshlrev_b32_e32 v13, 16, v24
	v_sub_f32_e32 v2, v13, v2
	global_store_short_d16_hi v[0:1], v2, off offset:32
	v_mul_f32_e32 v0, v20, v2
	v_lshrrev_b32_e32 v13, 16, v0
.LBB123_80:
	s_or_b64 exec, exec, s[6:7]
	s_and_saveexec_b64 s[6:7], s[4:5]
	s_cbranch_execz .LBB123_82
; %bb.81:
	v_mov_b32_e32 v15, 0
	v_lshl_add_u64 v[0:1], v[6:7], 0, v[14:15]
	global_load_ushort v2, v[0:1], off offset:32
	v_lshl_add_u64 v[0:1], v[4:5], 0, v[14:15]
	s_waitcnt vmcnt(0)
	v_lshlrev_b32_e32 v2, 16, v2
	v_sub_f32_e32 v2, v2, v3
	global_store_short_d16_hi v[0:1], v2, off offset:32
	v_mul_f32_e32 v0, v17, v2
	v_lshrrev_b32_e32 v15, 16, v0
.LBB123_82:
	s_or_b64 exec, exec, s[6:7]
	s_mov_b32 s6, 0x5040100
	v_perm_b32 v24, v11, v9, s6
	v_or_b32_e32 v9, v21, v23
	v_accvgpr_read_b32 v0, a4
	v_perm_b32 v25, v15, v13, s6
	v_lshlrev_b32_e32 v9, 1, v9
	v_accvgpr_read_b32 v1, a5
	v_accvgpr_read_b32 v2, a6
	;; [unrolled: 1-line block ×3, first 2 shown]
	ds_write_b64 v9, v[24:25] offset:24576
	v_mov_b32_e32 v11, 0
	v_mov_b32_e32 v9, 0
	s_and_saveexec_b64 s[6:7], vcc
	s_cbranch_execz .LBB123_84
; %bb.83:
	v_mov_b32_e32 v9, 0
	v_lshl_add_u64 v[24:25], v[6:7], 0, v[8:9]
	global_load_ushort v13, v[24:25], off offset:64
	v_lshl_add_u64 v[24:25], v[4:5], 0, v[8:9]
	s_waitcnt vmcnt(0)
	v_lshlrev_b32_e32 v9, 16, v13
	v_sub_f32_e32 v0, v9, v0
	global_store_short_d16_hi v[24:25], v0, off offset:64
	v_mul_f32_e32 v0, v18, v0
	v_lshrrev_b32_e32 v9, 16, v0
.LBB123_84:
	s_or_b64 exec, exec, s[6:7]
	s_and_saveexec_b64 s[6:7], s[0:1]
	s_cbranch_execz .LBB123_86
; %bb.85:
	v_mov_b32_e32 v11, 0
	v_lshl_add_u64 v[24:25], v[6:7], 0, v[10:11]
	global_load_ushort v0, v[24:25], off offset:64
	v_lshl_add_u64 v[24:25], v[4:5], 0, v[10:11]
	s_waitcnt vmcnt(0)
	v_lshlrev_b32_e32 v0, 16, v0
	v_sub_f32_e32 v0, v0, v1
	global_store_short_d16_hi v[24:25], v0, off offset:64
	v_mul_f32_e32 v0, v16, v0
	v_lshrrev_b32_e32 v11, 16, v0
.LBB123_86:
	s_or_b64 exec, exec, s[6:7]
	v_mov_b32_e32 v15, 0
	v_mov_b32_e32 v13, 0
	s_and_saveexec_b64 s[6:7], s[2:3]
	s_cbranch_execz .LBB123_88
; %bb.87:
	v_mov_b32_e32 v13, 0
	v_lshl_add_u64 v[0:1], v[6:7], 0, v[12:13]
	global_load_ushort v23, v[0:1], off offset:64
	v_lshl_add_u64 v[0:1], v[4:5], 0, v[12:13]
	s_waitcnt vmcnt(0)
	v_lshlrev_b32_e32 v13, 16, v23
	v_sub_f32_e32 v2, v13, v2
	global_store_short_d16_hi v[0:1], v2, off offset:64
	v_mul_f32_e32 v0, v20, v2
	v_lshrrev_b32_e32 v13, 16, v0
.LBB123_88:
	s_or_b64 exec, exec, s[6:7]
	s_and_saveexec_b64 s[6:7], s[4:5]
	s_cbranch_execz .LBB123_90
; %bb.89:
	v_mov_b32_e32 v15, 0
	v_lshl_add_u64 v[0:1], v[6:7], 0, v[14:15]
	global_load_ushort v2, v[0:1], off offset:64
	v_lshl_add_u64 v[0:1], v[4:5], 0, v[14:15]
	s_waitcnt vmcnt(0)
	v_lshlrev_b32_e32 v2, 16, v2
	v_sub_f32_e32 v2, v2, v3
	global_store_short_d16_hi v[0:1], v2, off offset:64
	v_mul_f32_e32 v0, v17, v2
	v_lshrrev_b32_e32 v15, 16, v0
.LBB123_90:
	s_or_b64 exec, exec, s[6:7]
	s_mov_b32 s6, 0x5040100
	v_perm_b32 v24, v11, v9, s6
	v_or_b32_e32 v9, v21, v22
	v_accvgpr_read_b32 v0, a0
	v_perm_b32 v25, v15, v13, s6
	v_lshlrev_b32_e32 v9, 1, v9
	v_accvgpr_read_b32 v1, a1
	v_accvgpr_read_b32 v2, a2
	;; [unrolled: 1-line block ×3, first 2 shown]
	ds_write_b64 v9, v[24:25] offset:24576
	v_mov_b32_e32 v11, 0
	v_mov_b32_e32 v9, 0
	s_and_saveexec_b64 s[6:7], vcc
	s_cbranch_execz .LBB123_92
; %bb.91:
	v_mov_b32_e32 v9, 0
	v_lshl_add_u64 v[22:23], v[6:7], 0, v[8:9]
	global_load_ushort v13, v[22:23], off offset:96
	v_lshl_add_u64 v[8:9], v[4:5], 0, v[8:9]
	s_waitcnt vmcnt(0)
	v_lshlrev_b32_e32 v13, 16, v13
	v_sub_f32_e32 v0, v13, v0
	global_store_short_d16_hi v[8:9], v0, off offset:96
	v_mul_f32_e32 v0, v18, v0
	v_lshrrev_b32_e32 v9, 16, v0
.LBB123_92:
	s_or_b64 exec, exec, s[6:7]
	s_and_saveexec_b64 s[6:7], s[0:1]
	s_cbranch_execz .LBB123_94
; %bb.93:
	v_mov_b32_e32 v11, 0
	v_lshl_add_u64 v[22:23], v[6:7], 0, v[10:11]
	global_load_ushort v0, v[22:23], off offset:96
	v_lshl_add_u64 v[10:11], v[4:5], 0, v[10:11]
	s_waitcnt vmcnt(0)
	v_lshlrev_b32_e32 v0, 16, v0
	v_sub_f32_e32 v0, v0, v1
	global_store_short_d16_hi v[10:11], v0, off offset:96
	v_mul_f32_e32 v0, v16, v0
	v_lshrrev_b32_e32 v11, 16, v0
.LBB123_94:
	s_or_b64 exec, exec, s[6:7]
	v_mov_b32_e32 v0, 0
	v_mov_b32_e32 v1, 0
	s_and_saveexec_b64 s[0:1], s[2:3]
	s_cbranch_execz .LBB123_96
; %bb.95:
	v_mov_b32_e32 v13, 0
	v_lshl_add_u64 v[22:23], v[6:7], 0, v[12:13]
	global_load_ushort v1, v[22:23], off offset:96
	v_lshl_add_u64 v[12:13], v[4:5], 0, v[12:13]
	s_waitcnt vmcnt(0)
	v_lshlrev_b32_e32 v1, 16, v1
	v_sub_f32_e32 v1, v1, v2
	global_store_short_d16_hi v[12:13], v1, off offset:96
	v_mul_f32_e32 v1, v20, v1
	v_lshrrev_b32_e32 v1, 16, v1
.LBB123_96:
	s_or_b64 exec, exec, s[0:1]
	s_and_saveexec_b64 s[0:1], s[4:5]
	s_cbranch_execz .LBB123_98
; %bb.97:
	v_mov_b32_e32 v15, 0
	v_lshl_add_u64 v[6:7], v[6:7], 0, v[14:15]
	global_load_ushort v0, v[6:7], off offset:96
	v_lshl_add_u64 v[4:5], v[4:5], 0, v[14:15]
	s_waitcnt vmcnt(0)
	v_lshlrev_b32_e32 v0, 16, v0
	v_sub_f32_e32 v0, v0, v3
	global_store_short_d16_hi v[4:5], v0, off offset:96
	v_mul_f32_e32 v0, v17, v0
	v_lshrrev_b32_e32 v0, 16, v0
.LBB123_98:
	s_or_b64 exec, exec, s[0:1]
	s_mov_b32 s0, 0x5040100
	v_or_b32_e32 v2, v21, v19
	v_perm_b32 v1, v0, v1, s0
	v_perm_b32 v0, v11, v9, s0
	v_lshlrev_b32_e32 v2, 1, v2
	ds_write_b64 v2, v[0:1] offset:24576
	s_waitcnt lgkmcnt(0)
	s_barrier
.LBB123_99:
	s_endpgm
	.section	.rodata,"a",@progbits
	.p2align	6, 0x0
	.amdhsa_kernel _ZN12_GLOBAL__N_139chunk_gated_delta_rule_fwd_h_hip_kernelILi64ELb1ELb0ELb1ELb0ELb0ELb0ELb0ELb1EEEvPK12hip_bfloat16S3_S3_PKfS5_PKvPS1_S8_PvPKiSB_iiiiilll
		.amdhsa_group_segment_fixed_size 65536
		.amdhsa_private_segment_fixed_size 0
		.amdhsa_kernarg_size 136
		.amdhsa_user_sgpr_count 2
		.amdhsa_user_sgpr_dispatch_ptr 0
		.amdhsa_user_sgpr_queue_ptr 0
		.amdhsa_user_sgpr_kernarg_segment_ptr 1
		.amdhsa_user_sgpr_dispatch_id 0
		.amdhsa_user_sgpr_kernarg_preload_length 0
		.amdhsa_user_sgpr_kernarg_preload_offset 0
		.amdhsa_user_sgpr_private_segment_size 0
		.amdhsa_uses_dynamic_stack 0
		.amdhsa_enable_private_segment 0
		.amdhsa_system_sgpr_workgroup_id_x 1
		.amdhsa_system_sgpr_workgroup_id_y 1
		.amdhsa_system_sgpr_workgroup_id_z 0
		.amdhsa_system_sgpr_workgroup_info 0
		.amdhsa_system_vgpr_workitem_id 0
		.amdhsa_next_free_vgpr 216
		.amdhsa_next_free_sgpr 68
		.amdhsa_accum_offset 180
		.amdhsa_reserve_vcc 1
		.amdhsa_float_round_mode_32 0
		.amdhsa_float_round_mode_16_64 0
		.amdhsa_float_denorm_mode_32 3
		.amdhsa_float_denorm_mode_16_64 3
		.amdhsa_dx10_clamp 1
		.amdhsa_ieee_mode 1
		.amdhsa_fp16_overflow 0
		.amdhsa_tg_split 0
		.amdhsa_exception_fp_ieee_invalid_op 0
		.amdhsa_exception_fp_denorm_src 0
		.amdhsa_exception_fp_ieee_div_zero 0
		.amdhsa_exception_fp_ieee_overflow 0
		.amdhsa_exception_fp_ieee_underflow 0
		.amdhsa_exception_fp_ieee_inexact 0
		.amdhsa_exception_int_div_zero 0
	.end_amdhsa_kernel
	.section	.text._ZN12_GLOBAL__N_139chunk_gated_delta_rule_fwd_h_hip_kernelILi64ELb1ELb0ELb1ELb0ELb0ELb0ELb0ELb1EEEvPK12hip_bfloat16S3_S3_PKfS5_PKvPS1_S8_PvPKiSB_iiiiilll,"axG",@progbits,_ZN12_GLOBAL__N_139chunk_gated_delta_rule_fwd_h_hip_kernelILi64ELb1ELb0ELb1ELb0ELb0ELb0ELb0ELb1EEEvPK12hip_bfloat16S3_S3_PKfS5_PKvPS1_S8_PvPKiSB_iiiiilll,comdat
.Lfunc_end123:
	.size	_ZN12_GLOBAL__N_139chunk_gated_delta_rule_fwd_h_hip_kernelILi64ELb1ELb0ELb1ELb0ELb0ELb0ELb0ELb1EEEvPK12hip_bfloat16S3_S3_PKfS5_PKvPS1_S8_PvPKiSB_iiiiilll, .Lfunc_end123-_ZN12_GLOBAL__N_139chunk_gated_delta_rule_fwd_h_hip_kernelILi64ELb1ELb0ELb1ELb0ELb0ELb0ELb0ELb1EEEvPK12hip_bfloat16S3_S3_PKfS5_PKvPS1_S8_PvPKiSB_iiiiilll
                                        ; -- End function
	.section	.AMDGPU.csdata,"",@progbits
; Kernel info:
; codeLenInByte = 11448
; NumSgprs: 74
; NumVgprs: 180
; NumAgprs: 36
; TotalNumVgprs: 216
; ScratchSize: 0
; MemoryBound: 0
; FloatMode: 240
; IeeeMode: 1
; LDSByteSize: 65536 bytes/workgroup (compile time only)
; SGPRBlocks: 9
; VGPRBlocks: 26
; NumSGPRsForWavesPerEU: 74
; NumVGPRsForWavesPerEU: 216
; AccumOffset: 180
; Occupancy: 1
; WaveLimiterHint : 1
; COMPUTE_PGM_RSRC2:SCRATCH_EN: 0
; COMPUTE_PGM_RSRC2:USER_SGPR: 2
; COMPUTE_PGM_RSRC2:TRAP_HANDLER: 0
; COMPUTE_PGM_RSRC2:TGID_X_EN: 1
; COMPUTE_PGM_RSRC2:TGID_Y_EN: 1
; COMPUTE_PGM_RSRC2:TGID_Z_EN: 0
; COMPUTE_PGM_RSRC2:TIDIG_COMP_CNT: 0
; COMPUTE_PGM_RSRC3_GFX90A:ACCUM_OFFSET: 44
; COMPUTE_PGM_RSRC3_GFX90A:TG_SPLIT: 0
	.section	.text._ZN12_GLOBAL__N_139chunk_gated_delta_rule_fwd_h_hip_kernelILi64ELb1ELb0ELb0ELb0ELb0ELb0ELb0ELb1EEEvPK12hip_bfloat16S3_S3_PKfS5_PKvPS1_S8_PvPKiSB_iiiiilll,"axG",@progbits,_ZN12_GLOBAL__N_139chunk_gated_delta_rule_fwd_h_hip_kernelILi64ELb1ELb0ELb0ELb0ELb0ELb0ELb0ELb1EEEvPK12hip_bfloat16S3_S3_PKfS5_PKvPS1_S8_PvPKiSB_iiiiilll,comdat
	.globl	_ZN12_GLOBAL__N_139chunk_gated_delta_rule_fwd_h_hip_kernelILi64ELb1ELb0ELb0ELb0ELb0ELb0ELb0ELb1EEEvPK12hip_bfloat16S3_S3_PKfS5_PKvPS1_S8_PvPKiSB_iiiiilll ; -- Begin function _ZN12_GLOBAL__N_139chunk_gated_delta_rule_fwd_h_hip_kernelILi64ELb1ELb0ELb0ELb0ELb0ELb0ELb0ELb1EEEvPK12hip_bfloat16S3_S3_PKfS5_PKvPS1_S8_PvPKiSB_iiiiilll
	.p2align	8
	.type	_ZN12_GLOBAL__N_139chunk_gated_delta_rule_fwd_h_hip_kernelILi64ELb1ELb0ELb0ELb0ELb0ELb0ELb0ELb1EEEvPK12hip_bfloat16S3_S3_PKfS5_PKvPS1_S8_PvPKiSB_iiiiilll,@function
_ZN12_GLOBAL__N_139chunk_gated_delta_rule_fwd_h_hip_kernelILi64ELb1ELb0ELb0ELb0ELb0ELb0ELb0ELb1EEEvPK12hip_bfloat16S3_S3_PKfS5_PKvPS1_S8_PvPKiSB_iiiiilll: ; @_ZN12_GLOBAL__N_139chunk_gated_delta_rule_fwd_h_hip_kernelILi64ELb1ELb0ELb0ELb0ELb0ELb0ELb0ELb1EEEvPK12hip_bfloat16S3_S3_PKfS5_PKvPS1_S8_PvPKiSB_iiiiilll
; %bb.0:
	s_load_dwordx4 s[12:15], s[0:1], 0x5c
	s_load_dwordx4 s[16:19], s[0:1], 0x28
	s_abs_i32 s6, s3
	s_ashr_i32 s5, s3, 31
	v_and_b32_e32 v77, 15, v0
	s_waitcnt lgkmcnt(0)
	s_abs_i32 s4, s13
	v_cvt_f32_u32_e32 v1, s4
	s_sub_i32 s8, 0, s4
	s_ashr_i32 s7, s13, 31
	s_xor_b32 s5, s5, s7
	v_rcp_iflag_f32_e32 v1, v1
	v_lshrrev_b32_e32 v75, 6, v0
	v_bfe_u32 v76, v0, 4, 2
	v_mov_b32_e32 v7, 0
	v_mul_f32_e32 v1, 0x4f7ffffe, v1
	v_cvt_u32_f32_e32 v1, v1
	v_and_b32_e32 v74, 63, v0
	v_lshlrev_b32_e32 v78, 3, v0
	v_lshrrev_b32_e32 v79, 3, v74
	v_readfirstlane_b32 s9, v1
	s_mul_i32 s8, s8, s9
	s_mul_hi_u32 s8, s9, s8
	s_add_i32 s9, s9, s8
	s_mul_hi_u32 s8, s6, s9
	s_mul_i32 s9, s8, s4
	s_sub_i32 s6, s6, s9
	s_add_i32 s10, s8, 1
	s_sub_i32 s9, s6, s4
	s_cmp_ge_u32 s6, s4
	s_cselect_b32 s8, s10, s8
	s_cselect_b32 s6, s9, s6
	s_add_i32 s9, s8, 1
	s_cmp_ge_u32 s6, s4
	s_cselect_b32 s6, s9, s8
	s_xor_b32 s6, s6, s5
	s_sub_i32 s49, s6, s5
	s_mul_i32 s6, s49, s13
	s_sub_i32 s46, s3, s6
	s_abs_i32 s3, s14
	v_cvt_f32_u32_e32 v1, s3
	s_add_i32 s8, s12, 63
	s_ashr_i32 s9, s8, 31
	s_lshr_b32 s5, s9, 26
	v_rcp_iflag_f32_e32 v1, v1
	s_ashr_i32 s48, s12, 31
	s_add_i32 s8, s8, s5
	s_lshr_b32 s5, s48, 26
	v_mul_f32_e32 v1, 0x4f7ffffe, v1
	v_cvt_u32_f32_e32 v1, v1
	s_add_i32 s5, s12, s5
	s_ashr_i32 s51, s14, 31
	s_ashr_i32 s24, s8, 6
	s_ashr_i32 s50, s5, 6
	s_xor_b32 s5, s7, s51
	s_sub_i32 s7, 0, s3
	v_readfirstlane_b32 s8, v1
	s_mul_i32 s7, s7, s8
	s_mul_hi_u32 s7, s8, s7
	s_add_i32 s8, s8, s7
	s_mul_hi_u32 s7, s4, s8
	s_mul_i32 s8, s7, s3
	s_sub_i32 s4, s4, s8
	s_lshl_b32 s2, s2, 6
	s_add_i32 s8, s7, 1
	s_sub_i32 s9, s4, s3
	s_cmp_ge_u32 s4, s3
	s_cselect_b32 s7, s8, s7
	s_cselect_b32 s4, s9, s4
	s_add_i32 s8, s7, 1
	s_cmp_ge_u32 s4, s3
	s_cselect_b32 s3, s8, s7
	s_xor_b32 s3, s3, s5
	s_sub_i32 s3, s3, s5
	s_abs_i32 s4, s3
	v_cvt_f32_u32_e32 v1, s4
	s_sub_i32 s7, 0, s4
	s_abs_i32 s5, s46
	s_xor_b32 s3, s46, s3
	v_rcp_iflag_f32_e32 v1, v1
	s_ashr_i32 s3, s3, 31
	v_or_b32_e32 v34, s2, v77
	v_lshlrev_b32_e32 v2, 7, v34
	v_mul_f32_e32 v1, 0x4f7ffffe, v1
	v_cvt_u32_f32_e32 v1, v1
	v_or_b32_e32 v10, 0x800, v2
	v_ashrrev_i32_e32 v3, 31, v2
	v_ashrrev_i32_e32 v11, 31, v10
	v_readfirstlane_b32 s8, v1
	s_mul_i32 s7, s7, s8
	s_mul_hi_u32 s7, s8, s7
	s_add_i32 s8, s8, s7
	s_mul_hi_u32 s7, s5, s8
	s_mul_i32 s8, s7, s4
	s_sub_i32 s5, s5, s8
	s_add_i32 s8, s7, 1
	s_sub_i32 s9, s5, s4
	s_cmp_ge_u32 s5, s4
	s_cselect_b32 s7, s8, s7
	s_cselect_b32 s5, s9, s5
	s_add_i32 s8, s7, 1
	s_cmp_ge_u32 s5, s4
	s_cselect_b32 s4, s8, s7
	s_xor_b32 s4, s4, s3
	s_sub_i32 s52, s4, s3
	s_ashr_i32 s3, s49, 31
	s_ashr_i32 s47, s46, 31
	s_mul_hi_i32 s4, s49, s13
	s_add_u32 s36, s6, s46
	s_addc_u32 s37, s4, s47
	s_lshl_b64 s[4:5], s[36:37], 15
	v_lshlrev_b32_e32 v1, 4, v75
	s_add_u32 s4, s16, s4
	v_lshl_or_b32 v80, v76, 2, v1
	s_addc_u32 s5, s17, s5
	v_lshl_add_u64 v[4:5], v[2:3], 1, s[4:5]
	v_lshlrev_b32_e32 v6, 1, v80
	v_lshl_add_u64 v[10:11], v[10:11], 1, s[4:5]
	v_lshl_add_u64 v[4:5], v[4:5], 0, v[6:7]
	;; [unrolled: 1-line block ×3, first 2 shown]
	global_load_dwordx2 v[8:9], v[4:5], off
	v_or_b32_e32 v81, 64, v80
	global_load_dwordx2 v[4:5], v[4:5], off offset:128
	s_nop 0
	global_load_dwordx2 v[12:13], v[10:11], off
	global_load_dwordx2 v[14:15], v[10:11], off offset:128
	v_or_b32_e32 v10, 0x1000, v2
	v_or_b32_e32 v2, 0x1800, v2
	v_ashrrev_i32_e32 v11, 31, v10
	v_ashrrev_i32_e32 v3, 31, v2
	v_lshl_add_u64 v[10:11], v[10:11], 1, s[4:5]
	v_lshl_add_u64 v[2:3], v[2:3], 1, s[4:5]
	;; [unrolled: 1-line block ×4, first 2 shown]
	global_load_dwordx2 v[16:17], v[10:11], off
	s_mul_i32 s53, s49, s24
	global_load_dwordx2 v[10:11], v[10:11], off offset:128
	s_nop 0
	global_load_dwordx2 v[6:7], v[2:3], off
	global_load_dwordx2 v[18:19], v[2:3], off offset:128
	s_load_dwordx8 s[4:11], s[0:1], 0x0
	s_load_dwordx2 s[28:29], s[0:1], 0x80
	s_load_dwordx4 s[20:23], s[0:1], 0x70
	s_cmp_lt_i32 s12, 64
	s_mul_i32 s54, s37, s12
	s_mul_hi_u32 s55, s36, s12
	s_mul_i32 s16, s36, s12
	s_waitcnt lgkmcnt(0)
	s_mul_i32 s33, s49, s21
	s_mul_hi_u32 s42, s49, s20
	s_mul_i32 s37, s3, s20
	s_mul_i32 s34, s49, s20
	s_mul_i32 s43, s46, s23
	s_mul_hi_u32 s44, s46, s22
	s_mul_i32 s45, s47, s22
	s_mul_i32 s30, s46, s22
	s_waitcnt vmcnt(7)
	v_and_b32_e32 v63, 0xffff0000, v8
	v_lshlrev_b32_e32 v62, 16, v8
	v_and_b32_e32 v67, 0xffff0000, v9
	v_lshlrev_b32_e32 v66, 16, v9
	s_waitcnt vmcnt(6)
	v_and_b32_e32 v61, 0xffff0000, v4
	v_lshlrev_b32_e32 v60, 16, v4
	v_and_b32_e32 v65, 0xffff0000, v5
	v_lshlrev_b32_e32 v64, 16, v5
	;; [unrolled: 5-line block ×8, first 2 shown]
	s_cbranch_scc1 .LBB124_18
; %bb.1:
	s_add_i32 s17, s55, s54
	s_lshl_b64 s[0:1], s[16:17], 8
	v_and_b32_e32 v83, 56, v78
	s_add_u32 s20, s6, s0
	v_lshl_or_b32 v82, v75, 3, v79
	v_lshlrev_b32_e32 v2, 1, v83
	s_addc_u32 s0, s7, s1
	v_lshl_or_b32 v84, v82, 8, v2
	s_and_b32 s21, s0, 0xffff
	s_mov_b32 s23, 0x20000
	s_movk_i32 s22, 0x4000
	s_movk_i32 s0, 0x80
	v_or_b32_e32 v85, 0x2000, v84
	buffer_load_dwordx4 v[4:7], v84, s[20:23], 0 offen
	buffer_load_dwordx4 v[8:11], v84, s[20:23], s0 offen
	;; [unrolled: 1-line block ×4, first 2 shown]
	v_lshlrev_b32_e32 v3, 3, v82
	v_and_or_b32 v21, v0, 7, v3
	v_and_b32_e32 v3, 0x78, v3
	v_lshlrev_b32_e32 v21, 4, v21
	v_xor_b32_e32 v86, v21, v3
	v_mul_lo_u32 v20, v82, s15
	v_or_b32_e32 v87, 0x1000, v86
	v_xor_b32_e32 v3, 8, v86
	s_cmpk_eq_i32 s15, 0x80
	s_mov_b32 s56, s14
	v_xor_b32_e32 v21, 8, v87
	s_cselect_b64 s[0:1], -1, 0
	s_cmpk_lg_i32 s15, 0x80
	s_waitcnt vmcnt(3)
	ds_write_b64 v86, v[4:5] offset:49152
	ds_write_b64 v3, v[6:7] offset:49152
	s_waitcnt vmcnt(2)
	ds_write_b64 v86, v[8:9] offset:57344
	ds_write_b64 v3, v[10:11] offset:57344
	;; [unrolled: 3-line block ×4, first 2 shown]
	v_lshl_add_u32 v3, v20, 1, v83
	s_cbranch_scc0 .LBB124_3
; %bb.2:
	v_lshlrev_b32_e32 v5, 1, v3
	v_add_lshl_u32 v4, v3, s15, 1
	s_lshl_b32 s22, s15, 7
	v_lshl_or_b32 v2, v82, 9, v2
	s_cbranch_execz .LBB124_4
	s_branch .LBB124_5
.LBB124_3:
                                        ; implicit-def: $vgpr4
                                        ; implicit-def: $vgpr5
                                        ; implicit-def: $sgpr22
	v_lshl_or_b32 v2, v82, 9, v2
.LBB124_4:
	v_or_b32_e32 v4, 0x100, v2
	s_movk_i32 s22, 0x4000
	v_mov_b32_e32 v5, v2
.LBB124_5:
	s_mul_hi_u32 s20, s14, s12
	s_mul_i32 s21, s51, s12
	s_add_i32 s20, s20, s21
	s_mul_i32 s21, s14, s12
	s_mul_i32 s23, s21, s3
	s_mul_hi_u32 s24, s21, s49
	s_add_i32 s23, s24, s23
	s_mul_i32 s20, s20, s49
	s_add_i32 s23, s23, s20
	s_mul_i32 s21, s21, s49
	s_ashr_i32 s57, s52, 31
	s_add_u32 s20, s21, s52
	s_addc_u32 s21, s23, s57
	s_lshl_b64 s[20:21], s[20:21], 8
	s_add_u32 s20, s4, s20
	s_addc_u32 s21, s5, s21
	s_and_b32 s21, s21, 0xffff
	s_mov_b32 s23, 0x20000
	s_movk_i32 s58, 0x80
	buffer_load_dwordx4 v[6:9], v5, s[20:23], 0 offen
	buffer_load_dwordx4 v[10:13], v5, s[20:23], s58 offen
	;; [unrolled: 1-line block ×4, first 2 shown]
	v_and_b32_e32 v5, 6, v0
	v_lshlrev_b32_e32 v4, 7, v80
	v_xor_b32_e32 v26, v82, v5
	v_and_b32_e32 v22, 1, v0
	v_lshl_or_b32 v29, v77, 3, v4
	v_lshlrev_b32_e32 v26, 2, v26
	v_or_b32_e32 v88, 0x4000, v29
	v_or_b32_e32 v89, 0x6000, v29
	v_xor_b32_e32 v29, 0x440, v26
	v_cmp_eq_u32_e32 vcc, 0, v22
	v_lshlrev_b32_e32 v23, 2, v77
	s_mov_b32 s60, 0x1000504
	v_cndmask_b32_e32 v22, v29, v26, vcc
	v_xor_b32_e32 v27, v80, v23
	v_xor_b32_e32 v28, v81, v23
	v_lshl_or_b32 v5, v5, 10, v22
	s_mov_b32 s61, 0x3020706
	v_lshlrev_b32_e32 v24, 8, v77
	v_or_b32_e32 v25, 16, v77
	v_lshlrev_b32_e32 v27, 1, v27
	v_lshlrev_b32_e32 v28, 1, v28
	v_xor_b32_e32 v22, 8, v5
	v_xor_b32_e32 v26, 24, v5
	v_xor_b32_e32 v31, 40, v5
	v_xor_b32_e32 v33, 56, v5
	s_mul_i32 s3, s3, s12
	s_mul_hi_u32 s20, s49, s12
	v_or_b32_e32 v91, v24, v27
	v_or_b32_e32 v92, v24, v28
	v_xor_b32_e32 v24, 16, v5
	v_xor_b32_e32 v29, 32, v5
	;; [unrolled: 1-line block ×3, first 2 shown]
	v_add_u32_e32 v22, 0x80, v22
	v_add_u32_e32 v26, 0x80, v26
	;; [unrolled: 1-line block ×4, first 2 shown]
	s_add_i32 s63, s20, s3
	s_add_i32 s3, s42, s33
	;; [unrolled: 1-line block ×5, first 2 shown]
	s_lshl_b64 s[20:21], s[34:35], 2
	s_add_u32 s3, s10, s20
	s_addc_u32 s24, s11, s21
	s_lshl_b64 s[20:21], s[30:31], 2
	s_add_u32 s38, s3, s20
	s_movk_i32 s3, 0xf8
	s_addc_u32 s39, s24, s21
	s_lshl_b32 s26, s15, 7
	s_movk_i32 s24, 0x100
	v_mov_b32_e32 v69, 0
	v_cmp_gt_u32_e32 vcc, s24, v0
	v_lshl_or_b32 v30, v25, 3, v4
	s_mov_b32 s59, 0
	s_mul_i32 s62, s49, s12
	v_or_b32_e32 v90, 0x4000, v30
	s_movk_i32 s22, 0x4000
	v_or_b32_e32 v93, 0x6000, v30
	s_movk_i32 s31, 0x2000
	s_movk_i32 s35, 0x3000
	v_mov_b32_e32 v131, 0x3fb8aa3b
	s_mov_b32 s65, 0
	s_waitcnt vmcnt(1)
	v_perm_b32 v35, v6, v14, s60
	s_waitcnt vmcnt(0)
	v_perm_b32 v68, v10, v18, s60
	v_perm_b32 v6, v6, v14, s61
	;; [unrolled: 1-line block ×15, first 2 shown]
	ds_write2st64_b32 v5, v35, v68 offset0:128 offset1:160
	ds_write2st64_b32 v22, v6, v10 offset0:128 offset1:160
	;; [unrolled: 1-line block ×8, first 2 shown]
	v_lshlrev_b32_e32 v5, 8, v25
	v_or_b32_e32 v94, v5, v27
	v_or_b32_e32 v95, v5, v28
	;; [unrolled: 1-line block ×3, first 2 shown]
	v_lshl_or_b32 v6, v5, 3, v4
	v_lshlrev_b32_e32 v5, 8, v5
	v_or_b32_e32 v98, v5, v27
	v_or_b32_e32 v99, v5, v28
	;; [unrolled: 1-line block ×5, first 2 shown]
	v_lshl_or_b32 v6, v5, 3, v4
	v_lshlrev_b32_e32 v5, 8, v5
	v_or_b32_e32 v102, v5, v27
	v_or_b32_e32 v103, v5, v28
	;; [unrolled: 1-line block ×3, first 2 shown]
	v_lshlrev_b32_e32 v5, 3, v5
	v_lshrrev_b32_e32 v7, 5, v74
	v_and_or_b32 v7, v5, s3, v7
	v_lshlrev_b32_e32 v7, 4, v7
	v_lshlrev_b32_e32 v8, 11, v75
	v_and_b32_e32 v5, 0x78, v5
	v_or_b32_e32 v13, 32, v7
	v_or_b32_e32 v100, 0x4000, v6
	v_or_b32_e32 v101, 0x6000, v6
	v_and_b32_e32 v6, 0x1000, v8
	v_xor_b32_e32 v9, v7, v5
	v_lshrrev_b32_e32 v10, 1, v0
	v_xor_b32_e32 v13, v13, v5
	v_or_b32_e32 v9, v9, v6
	v_and_b32_e32 v11, 8, v10
	v_or_b32_e32 v13, v13, v6
	v_xor_b32_e32 v104, v9, v11
	v_lshlrev_b32_e32 v9, 8, v76
	v_xor_b32_e32 v106, v13, v11
	v_or_b32_e32 v13, 64, v7
	v_or_b32_e32 v7, 0x60, v7
	s_ashr_i32 s3, s2, 31
	v_or_b32_e32 v12, v9, v23
	v_xor_b32_e32 v13, v13, v5
	v_xor_b32_e32 v5, v7, v5
	s_lshl_b64 s[20:21], s[2:3], 8
	v_lshlrev_b32_e32 v12, 1, v12
	v_or_b32_e32 v13, v13, v6
	v_or_b32_e32 v5, v5, v6
	s_add_u32 s20, s18, s20
	v_lshlrev_b32_e32 v6, 1, v77
	v_or_b32_e32 v105, 0x4000, v12
	v_or_b32_e32 v107, 0x4080, v12
	;; [unrolled: 1-line block ×8, first 2 shown]
	v_lshrrev_b32_e32 v12, 4, v0
	s_addc_u32 s21, s19, s21
	v_or_b32_e32 v7, 1, v6
	v_lshlrev_b32_e32 v68, 4, v77
	v_mov_b32_e32 v16, 0xa000
	v_mov_b32_e32 v17, 0x8000
	v_xor_b32_e32 v110, v13, v11
	v_xor_b32_e32 v13, v12, v6
	;; [unrolled: 1-line block ×3, first 2 shown]
	v_lshl_add_u64 v[6:7], s[20:21], 0, v[68:69]
	v_lshlrev_b32_e32 v68, 8, v12
	v_cndmask_b32_e32 v16, v16, v17, vcc
	v_lshlrev_b32_e32 v17, 3, v75
	v_and_b32_e32 v10, 24, v10
	v_lshl_or_b32 v116, v13, 3, v68
	v_and_b32_e32 v13, 8, v0
	v_xor_b32_e32 v18, v17, v10
	v_or_b32_e32 v19, 0x440, v18
	v_cmp_eq_u32_e32 vcc, 0, v13
	v_and_b32_e32 v12, 7, v0
	v_lshl_or_b32 v117, v14, 3, v68
	v_cndmask_b32_e32 v13, v19, v18, vcc
	v_lshlrev_b32_e32 v14, 3, v12
	v_lshlrev_b32_e32 v12, 7, v12
	v_or_b32_e32 v13, v13, v8
	v_lshlrev_b32_e32 v15, 2, v0
	v_xad_u32 v118, v13, v14, v12
	v_or_b32_e32 v13, 32, v10
	v_and_or_b32 v9, v15, 60, v9
	v_xor_b32_e32 v13, v17, v13
	v_lshlrev_b32_e32 v9, 1, v9
	v_or_b32_e32 v15, 0x440, v13
	v_or_b32_e32 v119, 0x6000, v9
	v_cndmask_b32_e32 v13, v15, v13, vcc
	v_or_b32_e32 v121, 0x6080, v9
	v_or_b32_e32 v122, 0x6100, v9
	;; [unrolled: 1-line block ×5, first 2 shown]
	v_xor_b32_e32 v9, v17, v9
	v_xad_u32 v120, v13, v14, v12
	v_xor_b32_e32 v13, 0x440, v9
	v_cndmask_b32_e32 v9, v13, v9, vcc
	v_or_b32_e32 v9, v9, v8
	v_xad_u32 v124, v9, v14, v12
	v_or_b32_e32 v9, 0x60, v10
	v_xor_b32_e32 v9, v17, v9
	v_xor_b32_e32 v10, 0x440, v9
	v_cndmask_b32_e32 v9, v10, v9, vcc
	v_or_b32_e32 v8, v9, v8
	v_xor_b32_e32 v111, v5, v11
	v_ashrrev_i32_e32 v35, 31, v34
	v_lshlrev_b32_e32 v5, 1, v3
	v_add_lshl_u32 v3, v3, s15, 1
	v_or_b32_e32 v11, 0x100, v2
	v_xad_u32 v125, v8, v14, v12
	v_cndmask_b32_e64 v126, v5, v2, s[0:1]
	v_cndmask_b32_e64 v127, v3, v11, s[0:1]
	v_lshl_add_u64 v[70:71], v[34:35], 1, s[8:9]
	v_lshl_add_u64 v[72:73], v[6:7], 0, v[68:69]
	s_mov_b32 s3, 0x7060302
	v_lshlrev_b32_e32 v68, 1, v4
	v_add_u32_e32 v35, v16, v118
	v_add_u32_e32 v128, v16, v120
	;; [unrolled: 1-line block ×4, first 2 shown]
	s_waitcnt lgkmcnt(0)
	s_barrier
.LBB124_6:                              ; =>This Inner Loop Header: Depth=1
	s_add_i32 s64, s65, 1
	s_cmp_lt_i32 s64, s50
	s_mov_b64 s[24:25], 0
	s_cselect_b64 s[40:41], -1, 0
	s_cmp_ge_i32 s64, s50
	s_mov_b64 s[20:21], 0
	s_cbranch_scc1 .LBB124_8
; %bb.7:                                ;   in Loop: Header=BB124_6 Depth=1
	s_add_i32 s0, s59, 64
	s_add_u32 s0, s16, s0
	s_addc_u32 s1, s17, 0
	s_lshl_b64 s[0:1], s[0:1], 8
	s_add_u32 s20, s6, s0
	s_addc_u32 s21, s7, s1
.LBB124_8:                              ;   in Loop: Header=BB124_6 Depth=1
	v_cndmask_b32_e64 v2, 0, 1, s[40:41]
	v_cmp_ne_u32_e64 s[0:1], 1, v2
	s_andn2_b64 vcc, exec, s[40:41]
	s_cbranch_vccnz .LBB124_10
; %bb.9:                                ;   in Loop: Header=BB124_6 Depth=1
	s_add_i32 s24, s59, 64
	s_add_u32 s24, s62, s24
	s_addc_u32 s25, s63, 0
	s_mul_i32 s27, s24, s51
	s_mul_hi_u32 s40, s24, s56
	s_add_i32 s27, s40, s27
	s_mul_i32 s25, s25, s56
	s_add_i32 s27, s27, s25
	s_mul_i32 s24, s24, s56
	s_add_u32 s24, s24, s52
	s_addc_u32 s25, s27, s57
	s_lshl_b64 s[24:25], s[24:25], 8
	s_add_u32 s24, s4, s24
	s_addc_u32 s25, s5, s25
.LBB124_10:                             ;   in Loop: Header=BB124_6 Depth=1
	v_perm_b32 v3, v67, v66, s3
	v_perm_b32 v2, v63, v62, s3
	v_perm_b32 v5, v65, v64, s3
	v_perm_b32 v4, v61, v60, s3
	ds_write_b64 v88, v[2:3]
	ds_write_b64 v89, v[4:5]
	ds_write_b64 v91, v[2:3]
	ds_write_b64 v92, v[4:5]
	v_perm_b32 v3, v59, v58, s3
	v_perm_b32 v2, v55, v54, s3
	v_perm_b32 v5, v57, v56, s3
	v_perm_b32 v4, v53, v52, s3
	ds_write_b64 v90, v[2:3]
	ds_write_b64 v93, v[4:5]
	ds_write_b64 v94, v[2:3]
	ds_write_b64 v95, v[4:5]
	;; [unrolled: 8-line block ×4, first 2 shown]
	s_waitcnt lgkmcnt(0)
	s_barrier
	ds_read_b64 v[6:7], v104 offset:49152
	ds_read2_b64 v[2:5], v105 offset1:16
	ds_read_b64 v[18:19], v107 offset:6144
	ds_read_b64 v[20:21], v105 offset:6144
	s_waitcnt lgkmcnt(2)
	v_mfma_f32_16x16x16_bf16 a[0:3], v[6:7], v[2:3], 0
	ds_read_b64 v[22:23], v106 offset:49152
	ds_read2st64_b64 v[10:13], v108 offset0:4 offset1:8
	ds_read2st64_b64 v[14:17], v109 offset0:4 offset1:8
	v_mfma_f32_16x16x16_bf16 a[4:7], v[6:7], v[4:5], 0
	ds_read2_b64 v[2:5], v105 offset0:32 offset1:48
	s_add_i32 s27, s59, 63
	s_mul_i32 s40, s27, s29
	s_waitcnt lgkmcnt(0)
	v_mfma_f32_16x16x16_bf16 a[8:11], v[6:7], v[2:3], 0
	s_mul_hi_u32 s41, s27, s28
	s_add_i32 s41, s41, s40
	s_mul_i32 s40, s27, s28
	v_mfma_f32_16x16x16_bf16 a[12:15], v[6:7], v[4:5], 0
	ds_read2st64_b64 v[2:5], v105 offset0:4 offset1:8
	ds_read2st64_b64 v[6:9], v107 offset0:4 offset1:8
	s_lshl_b64 s[40:41], s[40:41], 2
	s_waitcnt lgkmcnt(1)
	v_mfma_f32_16x16x16_bf16 a[0:3], v[22:23], v[2:3], a[0:3]
	s_add_u32 s40, s38, s40
	s_addc_u32 s41, s39, s41
	s_and_b64 vcc, exec, s[0:1]
	s_waitcnt lgkmcnt(0)
	v_mfma_f32_16x16x16_bf16 a[4:7], v[22:23], v[6:7], a[4:7]
	v_mov_b32_e32 v134, 0
	v_mov_b32_e32 v133, 0
	;; [unrolled: 1-line block ×3, first 2 shown]
	v_mfma_f32_16x16x16_bf16 a[8:11], v[22:23], v[10:11], a[8:11]
	ds_read_b64 v[2:3], v110 offset:49152
	ds_read_b64 v[6:7], v111 offset:49152
	;; [unrolled: 1-line block ×3, first 2 shown]
	v_mfma_f32_16x16x16_bf16 a[12:15], v[22:23], v[14:15], a[12:15]
	v_mov_b32_e32 v14, 0
	v_mov_b32_e32 v15, 0
	s_waitcnt lgkmcnt(2)
	v_mfma_f32_16x16x16_bf16 a[0:3], v[2:3], v[4:5], a[0:3]
	v_mov_b32_e32 v4, 0
	v_mov_b32_e32 v5, 0
	v_mfma_f32_16x16x16_bf16 a[16:19], v[2:3], v[8:9], a[4:7]
	v_mov_b32_e32 v8, 0
	v_mov_b32_e32 v9, 0
	;; [unrolled: 3-line block ×3, first 2 shown]
	v_mfma_f32_16x16x16_bf16 a[24:27], v[2:3], v[16:17], a[12:15]
	ds_read_b64 v[2:3], v108 offset:6144
	v_mov_b32_e32 v16, 0
	v_mov_b32_e32 v17, 0
	s_waitcnt lgkmcnt(2)
	v_mfma_f32_16x16x16_bf16 a[4:7], v[6:7], v[20:21], a[0:3]
	v_mfma_f32_16x16x16_bf16 a[8:11], v[6:7], v[18:19], a[16:19]
	s_waitcnt lgkmcnt(0)
	v_mfma_f32_16x16x16_bf16 a[12:15], v[6:7], v[2:3], a[20:23]
	v_mov_b32_e32 v2, 0
	v_mov_b32_e32 v3, 0
	v_mfma_f32_16x16x16_bf16 a[0:3], v[6:7], v[10:11], a[24:27]
	v_mov_b32_e32 v6, 0
	v_mov_b32_e32 v7, 0
	;; [unrolled: 1-line block ×4, first 2 shown]
	s_cbranch_vccnz .LBB124_12
; %bb.11:                               ;   in Loop: Header=BB124_6 Depth=1
	s_and_b32 s21, s21, 0xffff
	buffer_load_dwordx4 v[14:17], v84, s[20:23], 0 offen
	buffer_load_dwordx4 v[10:13], v84, s[20:23], s58 offen
	;; [unrolled: 1-line block ×4, first 2 shown]
	v_mov_b32_e32 v133, v86
	v_mov_b32_e32 v132, v87
.LBB124_12:                             ;   in Loop: Header=BB124_6 Depth=1
	ds_read_b64 v[136:137], v104 offset:57344
	ds_read2_b64 v[18:21], v112 offset1:16
	ds_read_b64 v[138:139], v106 offset:57344
	ds_read_b64 v[140:141], v110 offset:57344
	;; [unrolled: 1-line block ×3, first 2 shown]
	v_add_u32_e32 v135, s59, v80
	s_waitcnt lgkmcnt(3)
	v_mfma_f32_16x16x16_bf16 a[4:7], v[136:137], v[18:19], a[4:7]
	v_mfma_f32_16x16x16_bf16 a[8:11], v[136:137], v[20:21], a[8:11]
	ds_read2_b64 v[18:21], v112 offset0:32 offset1:48
	ds_read2st64_b64 v[22:25], v112 offset0:4 offset1:8
	ds_read2st64_b64 v[26:29], v113 offset0:4 offset1:8
	;; [unrolled: 1-line block ×3, first 2 shown]
	s_waitcnt lgkmcnt(3)
	v_mfma_f32_16x16x16_bf16 a[12:15], v[136:137], v[18:19], a[12:15]
	v_ashrrev_i32_e32 v18, 31, v135
	v_mfma_f32_16x16x16_bf16 a[0:3], v[136:137], v[20:21], a[0:3]
	v_mul_lo_u32 v20, v18, s28
	v_mul_lo_u32 v21, v135, s29
	v_mad_u64_u32 v[18:19], s[20:21], v135, s28, 0
	v_add3_u32 v19, v19, v21, v20
	v_add_u32_e32 v20, 1, v135
	v_ashrrev_i32_e32 v21, 31, v20
	s_waitcnt lgkmcnt(2)
	v_mfma_f32_16x16x16_bf16 a[4:7], v[138:139], v[22:23], a[4:7]
	v_mul_lo_u32 v22, v21, s28
	v_mul_lo_u32 v23, v20, s29
	v_mad_u64_u32 v[20:21], s[20:21], v20, s28, 0
	v_add3_u32 v21, v21, v23, v22
	v_add_u32_e32 v22, 2, v135
	v_ashrrev_i32_e32 v23, 31, v22
	s_waitcnt lgkmcnt(1)
	v_mfma_f32_16x16x16_bf16 a[8:11], v[138:139], v[26:27], a[8:11]
	v_mul_lo_u32 v26, v23, s28
	v_mul_lo_u32 v27, v22, s29
	v_mad_u64_u32 v[22:23], s[20:21], v22, s28, 0
	v_lshl_add_u64 v[18:19], v[18:19], 2, s[38:39]
	v_add3_u32 v23, v23, v27, v26
	v_add_u32_e32 v26, 3, v135
	v_ashrrev_i32_e32 v27, 31, v26
	global_load_dword v136, v[18:19], off
	v_mad_u64_u32 v[18:19], s[20:21], v26, s28, 0
	v_mul_lo_u32 v27, v27, s28
	v_mul_lo_u32 v135, v26, s29
	s_add_u32 s20, s16, s59
	v_add3_u32 v19, v19, v135, v27
	s_addc_u32 s21, s17, 0
	v_lshl_add_u64 v[20:21], v[20:21], 2, s[38:39]
	v_lshl_add_u64 v[22:23], v[22:23], 2, s[38:39]
	;; [unrolled: 1-line block ×3, first 2 shown]
	s_lshl_b64 s[20:21], s[20:21], 8
	global_load_dword v135, v[20:21], off
	global_load_dword v137, v[22:23], off
	;; [unrolled: 1-line block ×3, first 2 shown]
	v_lshl_add_u64 v[18:19], v[70:71], 0, s[20:21]
	v_lshl_add_u64 v[22:23], v[18:19], 0, v[68:69]
	global_load_ushort v145, v[22:23], off offset:256
	global_load_ushort v146, v[22:23], off
	ds_read2st64_b64 v[18:21], v115 offset0:4 offset1:8
	global_load_ushort v147, v[22:23], off offset:768
	global_load_ushort v148, v[22:23], off offset:512
	s_waitcnt lgkmcnt(1)
	v_mfma_f32_16x16x16_bf16 a[12:15], v[138:139], v[30:31], a[12:15]
	s_and_b64 vcc, exec, s[0:1]
	s_waitcnt vmcnt(3)
	v_lshlrev_b32_e32 v31, 16, v145
	s_waitcnt lgkmcnt(0)
	v_mfma_f32_16x16x16_bf16 a[0:3], v[138:139], v[18:19], a[0:3]
	global_load_ushort v138, v[22:23], off offset:288
	global_load_ushort v139, v[22:23], off offset:32
	;; [unrolled: 1-line block ×8, first 2 shown]
	v_mfma_f32_16x16x16_bf16 a[4:7], v[140:141], v[24:25], a[4:7]
	ds_read_b64 v[18:19], v112 offset:6144
	s_waitcnt vmcnt(10)
	v_lshlrev_b32_e32 v30, 16, v146
	v_mfma_f32_16x16x16_bf16 a[8:11], v[140:141], v[28:29], a[8:11]
	v_mfma_f32_16x16x16_bf16 a[12:15], v[140:141], v[32:33], a[12:15]
	;; [unrolled: 1-line block ×3, first 2 shown]
	global_load_ushort v140, v[22:23], off offset:352
	global_load_ushort v141, v[22:23], off offset:96
	ds_read_b64 v[20:21], v113 offset:6144
	ds_read_b64 v[24:25], v114 offset:6144
	;; [unrolled: 1-line block ×3, first 2 shown]
	global_load_ushort v155, v[22:23], off offset:864
	global_load_ushort v156, v[22:23], off offset:608
	s_load_dword s20, s[40:41], 0x0
	s_waitcnt lgkmcnt(0)
	v_mfma_f32_16x16x16_bf16 a[4:7], v[142:143], v[18:19], a[4:7]
	v_sub_f32_e32 v28, s20, v137
	v_mfma_f32_16x16x16_bf16 a[0:3], v[142:143], v[26:27], a[0:3]
	v_sub_f32_e32 v26, s20, v136
	v_sub_f32_e32 v27, s20, v135
	v_sub_f32_e32 v29, s20, v144
	v_mul_f32_e32 v26, 0x3fb8aa3b, v26
	v_mul_f32_e32 v27, 0x3fb8aa3b, v27
	;; [unrolled: 1-line block ×4, first 2 shown]
	v_mfma_f32_16x16x16_bf16 a[8:11], v[142:143], v[20:21], a[8:11]
	v_exp_f32_e32 v26, v26
	v_exp_f32_e32 v27, v27
	;; [unrolled: 1-line block ×4, first 2 shown]
	v_accvgpr_read_b32 v33, a5
	v_accvgpr_read_b32 v32, a4
	v_accvgpr_read_b32 v19, a7
	v_accvgpr_read_b32 v18, a6
	v_pk_add_f32 v[30:31], v[30:31], v[32:33] neg_lo:[0,1] neg_hi:[0,1]
	s_waitcnt vmcnt(13)
	v_lshlrev_b32_e32 v33, 16, v147
	s_waitcnt vmcnt(12)
	v_lshlrev_b32_e32 v32, 16, v148
	v_pk_add_f32 v[18:19], v[32:33], v[18:19] neg_lo:[0,1] neg_hi:[0,1]
	v_pk_mul_f32 v[30:31], v[26:27], v[30:31]
	v_pk_mul_f32 v[18:19], v[28:29], v[18:19]
	v_accvgpr_read_b32 v33, a9
	v_perm_b32 v19, v19, v18, s3
	v_perm_b32 v18, v31, v30, s3
	v_accvgpr_read_b32 v32, a8
	v_accvgpr_read_b32 v21, a11
	v_mfma_f32_16x16x16_bf16 a[12:15], v[142:143], v[24:25], a[12:15]
	v_accvgpr_read_b32 v20, a10
	v_accvgpr_read_b32 v25, a3
	v_accvgpr_read_b32 v24, a2
	v_mov_b32_e32 v135, 0
	s_waitcnt vmcnt(11)
	v_lshlrev_b32_e32 v31, 16, v138
	s_waitcnt vmcnt(10)
	v_lshlrev_b32_e32 v30, 16, v139
	v_pk_add_f32 v[30:31], v[30:31], v[32:33] neg_lo:[0,1] neg_hi:[0,1]
	s_waitcnt vmcnt(9)
	v_lshlrev_b32_e32 v33, 16, v149
	s_waitcnt vmcnt(8)
	v_lshlrev_b32_e32 v32, 16, v150
	v_pk_add_f32 v[20:21], v[32:33], v[20:21] neg_lo:[0,1] neg_hi:[0,1]
	v_pk_mul_f32 v[30:31], v[26:27], v[30:31]
	v_pk_mul_f32 v[20:21], v[28:29], v[20:21]
	v_accvgpr_read_b32 v23, a15
	v_perm_b32 v21, v21, v20, s3
	v_perm_b32 v20, v31, v30, s3
	ds_write2_b64 v89, v[18:19], v[20:21] offset1:16
	v_accvgpr_read_b32 v21, a13
	s_waitcnt vmcnt(7)
	v_lshlrev_b32_e32 v19, 16, v151
	s_waitcnt vmcnt(6)
	v_lshlrev_b32_e32 v18, 16, v152
	v_accvgpr_read_b32 v20, a12
	v_accvgpr_read_b32 v22, a14
	v_pk_add_f32 v[18:19], v[18:19], v[20:21] neg_lo:[0,1] neg_hi:[0,1]
	s_waitcnt vmcnt(5)
	v_lshlrev_b32_e32 v21, 16, v153
	s_waitcnt vmcnt(4)
	v_lshlrev_b32_e32 v20, 16, v154
	v_pk_add_f32 v[20:21], v[20:21], v[22:23] neg_lo:[0,1] neg_hi:[0,1]
	v_pk_mul_f32 v[18:19], v[26:27], v[18:19]
	v_pk_mul_f32 v[20:21], v[28:29], v[20:21]
	v_accvgpr_read_b32 v23, a1
	v_perm_b32 v21, v21, v20, s3
	v_perm_b32 v20, v19, v18, s3
	s_waitcnt vmcnt(3)
	v_lshlrev_b32_e32 v19, 16, v140
	s_waitcnt vmcnt(2)
	v_lshlrev_b32_e32 v18, 16, v141
	v_accvgpr_read_b32 v22, a0
	v_pk_add_f32 v[18:19], v[18:19], v[22:23] neg_lo:[0,1] neg_hi:[0,1]
	s_waitcnt vmcnt(1)
	v_lshlrev_b32_e32 v23, 16, v155
	s_waitcnt vmcnt(0)
	v_lshlrev_b32_e32 v22, 16, v156
	v_pk_add_f32 v[22:23], v[22:23], v[24:25] neg_lo:[0,1] neg_hi:[0,1]
	v_pk_mul_f32 v[18:19], v[26:27], v[18:19]
	v_pk_mul_f32 v[22:23], v[28:29], v[22:23]
	v_mov_b32_e32 v24, 0
	v_perm_b32 v23, v23, v22, s3
	v_perm_b32 v22, v19, v18, s3
	ds_write2_b64 v89, v[20:21], v[22:23] offset0:32 offset1:48
	v_mov_b32_e32 v18, 0
	v_mov_b32_e32 v19, 0
	;; [unrolled: 1-line block ×15, first 2 shown]
	s_cbranch_vccnz .LBB124_14
; %bb.13:                               ;   in Loop: Header=BB124_6 Depth=1
	s_and_b32 s25, s25, 0xffff
	s_mov_b32 s27, s23
	buffer_load_dwordx4 v[30:33], v126, s[24:27], 0 offen
	buffer_load_dwordx4 v[22:25], v126, s[24:27], s58 offen
	;; [unrolled: 1-line block ×4, first 2 shown]
	v_mov_b32_e32 v134, v83
	v_mov_b32_e32 v135, v82
.LBB124_14:                             ;   in Loop: Header=BB124_6 Depth=1
	s_waitcnt lgkmcnt(0)
	s_barrier
	ds_read_b64 v[144:145], v35
	ds_read2_b64 v[136:139], v119 offset1:16
	ds_read_b64 v[160:161], v128
	ds_read_b64 v[162:163], v129
	;; [unrolled: 1-line block ×3, first 2 shown]
	ds_read2_b64 v[140:143], v119 offset0:32 offset1:48
	s_waitcnt lgkmcnt(4)
	v_mfma_f32_16x16x16_bf16 a[0:3], v[144:145], v[136:137], 0
	ds_read2st64_b64 v[148:151], v121 offset0:4 offset1:8
	ds_read2st64_b64 v[152:155], v122 offset0:4 offset1:8
	;; [unrolled: 1-line block ×3, first 2 shown]
	v_mfma_f32_16x16x16_bf16 a[4:7], v[144:145], v[138:139], 0
	s_add_i32 s21, s53, s65
	s_mul_hi_i32 s25, s21, s13
	s_mul_i32 s21, s21, s13
	s_waitcnt lgkmcnt(3)
	v_mfma_f32_16x16x16_bf16 a[8:11], v[144:145], v[140:141], 0
	s_add_u32 s24, s21, s46
	s_addc_u32 s25, s25, s47
	s_lshl_b64 s[24:25], s[24:25], 15
	v_mfma_f32_16x16x16_bf16 a[12:15], v[144:145], v[142:143], 0
	ds_read2st64_b64 v[144:147], v119 offset0:4 offset1:8
	s_waitcnt lgkmcnt(0)
	v_mfma_f32_16x16x16_bf16 a[0:3], v[160:161], v[144:145], a[0:3]
	v_mfma_f32_16x16x16_bf16 a[4:7], v[160:161], v[148:149], a[4:7]
	;; [unrolled: 1-line block ×8, first 2 shown]
	ds_read_b64 v[160:161], v119 offset:6144
	ds_read_b64 v[162:163], v120 offset:40960
	ds_read_b64 v[166:167], v118 offset:40960
	ds_read_b64 v[168:169], v121 offset:6144
	ds_read_b64 v[170:171], v122 offset:6144
	ds_read_b64 v[172:173], v123 offset:6144
	ds_read_b64 v[174:175], v124 offset:40960
	ds_read_b64 v[176:177], v125 offset:40960
	s_waitcnt lgkmcnt(5)
	v_mfma_f32_16x16x16_bf16 a[16:19], v[166:167], v[136:137], 0
	v_mfma_f32_16x16x16_bf16 a[20:23], v[166:167], v[138:139], 0
	ds_read2st64_b64 v[136:139], v116 offset1:8
	v_mfma_f32_16x16x16_bf16 a[24:27], v[166:167], v[140:141], 0
	v_mfma_f32_16x16x16_bf16 a[28:31], v[166:167], v[142:143], 0
	ds_read2st64_b64 v[140:143], v117 offset1:8
	v_mfma_f32_16x16x16_bf16 a[16:19], v[162:163], v[144:145], a[16:19]
	s_waitcnt lgkmcnt(1)
	v_mov_b32_e32 v144, v136
	v_mov_b32_e32 v145, v137
	v_mfma_f32_16x16x16_bf16 a[20:23], v[162:163], v[148:149], a[20:23]
	v_lshl_add_u64 v[148:149], v[72:73], 0, s[24:25]
	v_mfma_f32_16x16x16_bf16 a[24:27], v[162:163], v[152:153], a[24:27]
	v_mfma_f32_16x16x16_bf16 a[28:31], v[162:163], v[156:157], a[28:31]
	;; [unrolled: 1-line block ×3, first 2 shown]
	s_waitcnt lgkmcnt(0)
	v_mov_b32_e32 v146, v140
	v_mov_b32_e32 v147, v141
	;; [unrolled: 1-line block ×3, first 2 shown]
	v_mfma_f32_16x16x16_bf16 a[32:35], v[174:175], v[150:151], a[20:23]
	v_mov_b32_e32 v141, v139
	ds_read2st64_b64 v[136:139], v116 offset0:16 offset1:24
	global_store_dwordx4 v[148:149], v[144:147], off
	v_mfma_f32_16x16x16_bf16 a[24:27], v[174:175], v[154:155], a[24:27]
	ds_read2st64_b64 v[144:147], v117 offset0:16 offset1:24
	v_add_co_u32_e32 v150, vcc, s31, v148
	v_mfma_f32_16x16x16_bf16 a[28:31], v[174:175], v[158:159], a[28:31]
	s_nop 0
	v_addc_co_u32_e32 v151, vcc, 0, v149, vcc
	global_store_dwordx4 v[150:151], v[140:143], off offset:-4096
	v_mfma_f32_16x16x16_bf16 a[0:3], v[164:165], v[160:161], a[0:3]
	s_waitcnt lgkmcnt(1)
	v_mov_b32_e32 v140, v136
	v_add_co_u32_e32 v136, vcc, s35, v148
	v_mfma_f32_16x16x16_bf16 a[4:7], v[164:165], v[168:169], a[4:7]
	v_mov_b32_e32 v141, v137
	v_addc_co_u32_e32 v137, vcc, 0, v149, vcc
	v_mfma_f32_16x16x16_bf16 a[8:11], v[164:165], v[170:171], a[8:11]
	s_waitcnt lgkmcnt(0)
	v_mov_b32_e32 v142, v144
	v_mov_b32_e32 v143, v145
	;; [unrolled: 1-line block ×3, first 2 shown]
	v_mfma_f32_16x16x16_bf16 a[12:15], v[164:165], v[172:173], a[12:15]
	v_mov_b32_e32 v145, v139
	s_and_b64 vcc, exec, s[0:1]
	global_store_dwordx4 v[150:151], v[140:143], off
	v_mfma_f32_16x16x16_bf16 a[20:23], v[176:177], v[160:161], a[16:19]
	global_store_dwordx4 v[136:137], v[144:147], off
	v_mfma_f32_16x16x16_bf16 a[16:19], v[176:177], v[168:169], a[32:35]
	v_mfma_f32_16x16x16_bf16 a[24:27], v[176:177], v[170:171], a[24:27]
	;; [unrolled: 1-line block ×3, first 2 shown]
	s_cbranch_vccnz .LBB124_16
; %bb.15:                               ;   in Loop: Header=BB124_6 Depth=1
	v_lshrrev_b32_e32 v136, 3, v134
	v_and_b32_e32 v136, 6, v136
	v_xor_b32_e32 v135, v136, v135
	v_lshlrev_b32_e32 v135, 2, v135
	v_and_b32_e32 v134, 8, v134
	v_xor_b32_e32 v137, 0x440, v135
	v_cmp_eq_u32_e32 vcc, 0, v134
	s_barrier
	s_nop 0
	v_cndmask_b32_e32 v134, v137, v135, vcc
	v_lshl_or_b32 v134, v136, 10, v134
	s_waitcnt vmcnt(5)
	v_perm_b32 v135, v30, v26, s60
	s_waitcnt vmcnt(4)
	v_perm_b32 v136, v22, v18, s60
	ds_write2st64_b32 v134, v135, v136 offset0:128 offset1:160
	v_xor_b32_e32 v135, 8, v134
	v_perm_b32 v26, v30, v26, s61
	v_perm_b32 v18, v22, v18, s61
	v_add_u32_e32 v22, 0x80, v135
	ds_write2st64_b32 v22, v26, v18 offset0:128 offset1:160
	v_xor_b32_e32 v18, 16, v134
	v_perm_b32 v22, v31, v27, s60
	v_perm_b32 v26, v23, v19, s60
	ds_write2st64_b32 v18, v22, v26 offset0:129 offset1:161
	v_xor_b32_e32 v18, 24, v134
	v_perm_b32 v22, v31, v27, s61
	v_perm_b32 v19, v23, v19, s61
	v_add_u32_e32 v18, 0x80, v18
	ds_write2st64_b32 v18, v22, v19 offset0:129 offset1:161
	v_xor_b32_e32 v18, 32, v134
	v_perm_b32 v19, v32, v28, s60
	;; [unrolled: 9-line block ×3, first 2 shown]
	v_perm_b32 v20, v25, v21, s60
	ds_write2st64_b32 v18, v19, v20 offset0:131 offset1:163
	v_xor_b32_e32 v18, 56, v134
	v_perm_b32 v19, v33, v29, s61
	v_perm_b32 v20, v25, v21, s61
	v_add_u32_e32 v18, 0x80, v18
	ds_write2st64_b32 v18, v19, v20 offset0:131 offset1:163
	ds_write_b64 v133, v[14:15] offset:49152
	v_xor_b32_e32 v14, 8, v133
	ds_write_b64 v14, v[16:17] offset:49152
	ds_write_b64 v133, v[10:11] offset:57344
	;; [unrolled: 1-line block ×4, first 2 shown]
	v_xor_b32_e32 v6, 8, v132
	ds_write_b64 v6, v[8:9] offset:49152
	ds_write_b64 v132, v[2:3] offset:57344
	;; [unrolled: 1-line block ×3, first 2 shown]
.LBB124_16:                             ;   in Loop: Header=BB124_6 Depth=1
	s_waitcnt vmcnt(6)
	v_mul_f32_e32 v22, s20, v131
	v_exp_f32_e32 v132, v22
	v_accvgpr_read_b32 v5, a3
	v_accvgpr_read_b32 v9, a7
	;; [unrolled: 1-line block ×4, first 2 shown]
	s_waitcnt vmcnt(4)
	v_accvgpr_read_b32 v18, a20
	v_accvgpr_read_b32 v25, a19
	v_accvgpr_read_b32 v29, a27
	v_accvgpr_read_b32 v33, a31
	v_accvgpr_read_b32 v4, a2
	v_accvgpr_read_b32 v3, a1
	v_accvgpr_read_b32 v2, a0
	v_accvgpr_read_b32 v8, a6
	v_accvgpr_read_b32 v7, a5
	v_accvgpr_read_b32 v6, a4
	v_accvgpr_read_b32 v12, a10
	v_accvgpr_read_b32 v11, a9
	v_accvgpr_read_b32 v10, a8
	v_accvgpr_read_b32 v16, a14
	v_accvgpr_read_b32 v15, a13
	v_accvgpr_read_b32 v14, a12
	v_accvgpr_read_b32 v19, a21
	v_accvgpr_read_b32 v20, a22
	v_accvgpr_read_b32 v21, a23
	v_accvgpr_read_b32 v24, a18
	v_accvgpr_read_b32 v23, a17
	v_accvgpr_read_b32 v22, a16
	v_accvgpr_read_b32 v28, a26
	v_accvgpr_read_b32 v27, a25
	v_accvgpr_read_b32 v26, a24
	v_accvgpr_read_b32 v32, a30
	v_accvgpr_read_b32 v31, a29
	v_accvgpr_read_b32 v30, a28
	s_add_i32 s59, s59, 64
	v_pk_fma_f32 v[62:63], v[62:63], v[132:133], v[2:3] op_sel_hi:[1,0,1]
	v_pk_fma_f32 v[66:67], v[66:67], v[132:133], v[4:5] op_sel_hi:[1,0,1]
	;; [unrolled: 1-line block ×15, first 2 shown]
	s_cmp_eq_u32 s50, s64
	v_pk_fma_f32 v[40:41], v[40:41], v[132:133], v[32:33] op_sel_hi:[1,0,1]
	s_cbranch_scc1 .LBB124_18
; %bb.17:                               ;   in Loop: Header=BB124_6 Depth=1
	s_mov_b32 s65, s64
	s_branch .LBB124_6
.LBB124_18:
	s_lshl_b32 s26, s50, 6
	s_sub_i32 s27, s12, s26
	s_cmp_gt_i32 s27, 0
	s_cbranch_scc0 .LBB124_99
; %bb.19:
	s_ashr_i32 s3, s26, 31
	s_cmpk_lg_i32 s15, 0x80
	s_cselect_b64 s[22:23], -1, 0
	s_and_b64 vcc, exec, s[22:23]
	s_cbranch_vccz .LBB124_21
; %bb.20:
	s_mul_i32 s1, s49, s12
	s_mul_hi_i32 s0, s49, s12
	s_add_u32 s1, s1, s26
	s_addc_u32 s0, s0, s3
	s_mul_i32 s17, s1, s51
	s_mul_hi_u32 s20, s1, s14
	s_add_i32 s17, s20, s17
	s_mul_i32 s0, s0, s14
	s_add_i32 s17, s17, s0
	s_mul_i32 s1, s1, s14
	s_ashr_i32 s0, s52, 31
	s_add_u32 s24, s1, s52
	s_addc_u32 s25, s17, s0
	s_cbranch_execz .LBB124_22
	s_branch .LBB124_23
.LBB124_21:
                                        ; implicit-def: $sgpr24_sgpr25
.LBB124_22:
	s_mul_hi_i32 s0, s49, s14
	s_mul_i32 s49, s49, s14
	s_ashr_i32 s1, s52, 31
	s_add_u32 s14, s49, s52
	s_addc_u32 s0, s0, s1
	s_mul_i32 s1, s14, s48
	s_mul_hi_u32 s17, s14, s12
	s_add_i32 s1, s17, s1
	s_mul_i32 s0, s0, s12
	s_add_i32 s1, s1, s0
	s_mul_i32 s14, s14, s12
	s_add_u32 s24, s14, s26
	s_addc_u32 s25, s1, s3
.LBB124_23:
	s_mul_i32 s0, s36, s48
	s_add_i32 s0, s55, s0
	s_add_i32 s14, s53, s50
	s_add_i32 s1, s0, s54
	s_add_u32 s0, s16, s26
	v_lshlrev_b32_e32 v6, 6, v80
	v_lshlrev_b32_e32 v24, 2, v77
	s_addc_u32 s1, s1, s3
	s_mov_b32 s3, 0x7060302
	v_or_b32_e32 v9, v6, v24
	v_xor_b32_e32 v7, v80, v24
	v_perm_b32 v3, v67, v66, s3
	v_perm_b32 v2, v63, v62, s3
	;; [unrolled: 1-line block ×4, first 2 shown]
	v_lshlrev_b32_e32 v9, 1, v9
	v_xor_b32_e32 v8, v81, v24
	ds_write2st64_b64 v9, v[2:3], v[4:5] offset0:32 offset1:48
	v_lshlrev_b32_e32 v7, 1, v7
	v_lshlrev_b32_e32 v9, 8, v77
	v_or_b32_e32 v10, v7, v9
	v_lshlrev_b32_e32 v8, 1, v8
	ds_write_b64 v10, v[2:3]
	v_or_b32_e32 v2, v8, v9
	v_or_b32_e32 v9, 16, v77
	v_lshlrev_b32_e32 v23, 2, v9
	v_or_b32_e32 v10, v6, v23
	ds_write_b64 v2, v[4:5]
	v_perm_b32 v3, v59, v58, s3
	v_perm_b32 v2, v55, v54, s3
	v_perm_b32 v5, v57, v56, s3
	v_perm_b32 v4, v53, v52, s3
	v_lshlrev_b32_e32 v10, 1, v10
	v_lshlrev_b32_e32 v9, 8, v9
	ds_write2st64_b64 v10, v[2:3], v[4:5] offset0:32 offset1:48
	v_or_b32_e32 v10, v7, v9
	ds_write_b64 v10, v[2:3]
	v_or_b32_e32 v2, v8, v9
	v_or_b32_e32 v9, 32, v77
	v_lshlrev_b32_e32 v22, 2, v9
	v_or_b32_e32 v10, v6, v22
	ds_write_b64 v2, v[4:5]
	v_perm_b32 v3, v51, v50, s3
	v_perm_b32 v2, v47, v46, s3
	;; [unrolled: 1-line block ×4, first 2 shown]
	v_lshlrev_b32_e32 v10, 1, v10
	v_lshlrev_b32_e32 v9, 8, v9
	s_lshl_b64 s[20:21], s[0:1], 8
	ds_write2st64_b64 v10, v[2:3], v[4:5] offset0:32 offset1:48
	v_or_b32_e32 v10, v7, v9
	s_add_u32 s0, s6, s20
	ds_write_b64 v10, v[2:3]
	v_or_b32_e32 v2, v8, v9
	s_addc_u32 s1, s7, s21
	ds_write_b64 v2, v[4:5]
	v_perm_b32 v3, v43, v42, s3
	v_perm_b32 v2, v39, v38, s3
	;; [unrolled: 1-line block ×4, first 2 shown]
	v_or_b32_e32 v9, 48, v77
	s_mul_hi_i32 s3, s14, s13
	s_mul_i32 s14, s14, s13
	v_lshlrev_b32_e32 v19, 2, v9
	s_add_u32 s6, s14, s46
	v_or_b32_e32 v6, v6, v19
	s_addc_u32 s7, s3, s47
	v_lshlrev_b32_e32 v6, 1, v6
	s_ashr_i32 s3, s2, 31
	s_lshl_b64 s[6:7], s[6:7], 15
	ds_write2st64_b64 v6, v[2:3], v[4:5] offset0:32 offset1:48
	v_lshlrev_b32_e32 v6, 8, v9
	s_add_u32 s6, s18, s6
	v_or_b32_e32 v7, v7, v6
	s_addc_u32 s7, s19, s7
	s_lshl_b64 s[2:3], s[2:3], 8
	ds_write_b64 v7, v[2:3]
	v_or_b32_e32 v2, v8, v6
	s_add_u32 s2, s6, s2
	v_lshlrev_b32_e32 v3, 1, v77
	ds_write_b64 v2, v[4:5]
	v_lshrrev_b32_e32 v2, 4, v0
	s_addc_u32 s3, s7, s3
	v_or_b32_e32 v4, 1, v3
	v_lshlrev_b32_e32 v10, 4, v77
	v_mov_b32_e32 v11, 0
	v_xor_b32_e32 v3, v2, v3
	v_xor_b32_e32 v6, v4, v2
	v_lshl_add_u64 v[12:13], s[2:3], 0, v[10:11]
	v_lshlrev_b32_e32 v10, 8, v2
	v_lshl_or_b32 v16, v3, 3, v10
	v_lshl_or_b32 v17, v6, 3, v10
	s_waitcnt lgkmcnt(0)
	s_barrier
	ds_read2st64_b64 v[2:5], v16 offset1:8
	ds_read2st64_b64 v[6:9], v17 offset1:8
	v_lshl_add_u64 v[14:15], v[12:13], 0, v[10:11]
	s_movk_i32 s2, 0x2000
	s_cmp_lg_u32 s27, 64
	s_waitcnt lgkmcnt(1)
	v_mov_b32_e32 v10, v2
	v_mov_b32_e32 v11, v3
	s_waitcnt lgkmcnt(0)
	v_mov_b32_e32 v12, v6
	v_mov_b32_e32 v13, v7
	global_store_dwordx4 v[14:15], v[10:13], off
	v_mov_b32_e32 v6, v4
	v_mov_b32_e32 v7, v5
	ds_read2st64_b64 v[2:5], v16 offset0:16 offset1:24
	ds_read2st64_b64 v[10:13], v17 offset0:16 offset1:24
	v_add_co_u32_e32 v16, vcc, s2, v14
	s_cselect_b64 s[6:7], -1, 0
	s_nop 0
	v_addc_co_u32_e32 v17, vcc, 0, v15, vcc
	global_store_dwordx4 v[16:17], v[6:9], off offset:-4096
	v_lshl_or_b32 v25, v75, 3, v79
	s_mov_b32 s16, 0
	s_waitcnt lgkmcnt(1)
	v_mov_b32_e32 v6, v2
	v_add_co_u32_e32 v2, vcc, 0x3000, v14
	v_mov_b32_e32 v7, v3
	s_nop 0
	v_addc_co_u32_e32 v3, vcc, 0, v15, vcc
	s_waitcnt lgkmcnt(0)
	v_mov_b32_e32 v8, v10
	v_mov_b32_e32 v9, v11
	;; [unrolled: 1-line block ×4, first 2 shown]
	v_or_b32_e32 v20, 32, v25
	v_and_b32_e32 v18, 56, v78
	s_and_b64 vcc, exec, s[6:7]
	global_store_dwordx4 v[16:17], v[6:9], off
	global_store_dwordx4 v[2:3], v[10:13], off
	s_cbranch_vccz .LBB124_29
; %bb.24:
	s_mov_b32 s17, s16
	s_mov_b32 s18, s16
	s_mov_b32 s19, s16
	v_mov_b64_e32 v[6:7], s[16:17]
	v_mov_b64_e32 v[8:9], s[18:19]
	;; [unrolled: 1-line block ×3, first 2 shown]
	v_cmp_gt_i32_e32 vcc, s27, v25
	v_mov_b64_e32 v[4:5], v[8:9]
	s_and_saveexec_b64 s[2:3], vcc
	s_cbranch_execz .LBB124_26
; %bb.25:
	v_lshlrev_b32_e32 v2, 8, v25
	v_mov_b32_e32 v3, 0
	v_lshl_add_u64 v[4:5], s[0:1], 0, v[2:3]
	v_lshlrev_b32_e32 v2, 1, v18
	v_lshl_add_u64 v[10:11], v[4:5], 0, v[2:3]
	global_load_dwordx4 v[6:9], v[10:11], off
	global_load_dwordx4 v[2:5], v[10:11], off offset:128
.LBB124_26:
	s_or_b64 exec, exec, s[2:3]
	s_mov_b32 s17, s16
	s_mov_b32 s18, s16
	;; [unrolled: 1-line block ×3, first 2 shown]
	v_mov_b64_e32 v[14:15], s[16:17]
	v_mov_b64_e32 v[16:17], s[18:19]
	;; [unrolled: 1-line block ×3, first 2 shown]
	v_cmp_gt_i32_e32 vcc, s27, v20
	v_lshlrev_b32_e32 v21, 7, v20
	v_mov_b64_e32 v[12:13], v[16:17]
	s_and_saveexec_b64 s[2:3], vcc
	s_cbranch_execz .LBB124_28
; %bb.27:
	v_lshlrev_b32_e32 v10, 1, v21
	v_mov_b32_e32 v11, 0
	v_lshl_add_u64 v[12:13], s[0:1], 0, v[10:11]
	v_lshlrev_b32_e32 v10, 1, v18
	v_lshl_add_u64 v[26:27], v[12:13], 0, v[10:11]
	global_load_dwordx4 v[14:17], v[26:27], off
	global_load_dwordx4 v[10:13], v[26:27], off offset:128
.LBB124_28:
	s_or_b64 exec, exec, s[2:3]
	v_lshrrev_b32_e32 v26, 3, v18
	v_lshlrev_b32_e32 v27, 3, v25
	v_or_b32_e32 v26, v27, v26
	v_lshlrev_b32_e32 v26, 4, v26
	v_and_b32_e32 v27, 0x78, v27
	v_xor_b32_e32 v26, v26, v27
	s_branch .LBB124_31
.LBB124_29:
                                        ; implicit-def: $vgpr26
                                        ; implicit-def: $vgpr21
                                        ; implicit-def: $vgpr6_vgpr7_vgpr8_vgpr9
                                        ; implicit-def: $vgpr2_vgpr3_vgpr4_vgpr5
                                        ; implicit-def: $vgpr14_vgpr15_vgpr16_vgpr17
                                        ; implicit-def: $vgpr10_vgpr11_vgpr12_vgpr13
	s_cbranch_execz .LBB124_31
; %bb.30:
	s_waitcnt vmcnt(0)
	v_lshlrev_b32_e32 v2, 1, v18
	v_lshl_or_b32 v21, v25, 8, v2
	s_and_b32 s1, s1, 0xffff
	s_mov_b32 s3, 0x20000
	s_movk_i32 s2, 0x4000
	v_lshl_or_b32 v26, v20, 8, v2
	s_movk_i32 s13, 0x80
	buffer_load_dwordx4 v[6:9], v21, s[0:3], 0 offen
	buffer_load_dwordx4 v[2:5], v21, s[0:3], s13 offen
	;; [unrolled: 1-line block ×4, first 2 shown]
	v_lshrrev_b32_e32 v21, 3, v18
	v_lshlrev_b32_e32 v26, 3, v25
	v_or_b32_e32 v21, v26, v21
	v_lshlrev_b32_e32 v21, 4, v21
	v_and_b32_e32 v26, 0x78, v26
	v_xor_b32_e32 v26, v21, v26
	v_lshlrev_b32_e32 v21, 7, v20
.LBB124_31:
	s_movk_i32 s0, 0x1000
	v_and_or_b32 v20, v21, s0, v26
	s_waitcnt vmcnt(1)
	ds_write_b64 v26, v[6:7] offset:49152
	v_xor_b32_e32 v6, 8, v26
	ds_write_b64 v6, v[8:9] offset:49152
	s_waitcnt vmcnt(0)
	ds_write_b64 v26, v[2:3] offset:57344
	ds_write_b64 v6, v[4:5] offset:57344
	ds_write_b64 v20, v[14:15] offset:49152
	v_xor_b32_e32 v2, 8, v20
	ds_write_b64 v2, v[16:17] offset:49152
	ds_write_b64 v20, v[10:11] offset:57344
	ds_write_b64 v2, v[12:13] offset:57344
	v_or_b32_e32 v2, v1, v77
	v_lshlrev_b32_e32 v3, 11, v75
	v_lshlrev_b32_e32 v2, 3, v2
	v_and_b32_e32 v6, 0x1000, v3
	v_lshrrev_b32_e32 v3, 5, v74
	s_movk_i32 s0, 0xf8
	v_and_or_b32 v3, v2, s0, v3
	v_lshlrev_b32_e32 v7, 4, v3
	v_and_b32_e32 v8, 0x78, v2
	v_or_b32_e32 v10, 32, v7
	v_lshrrev_b32_e32 v3, 1, v74
	v_xor_b32_e32 v10, v10, v8
	v_xor_b32_e32 v2, v7, v8
	v_and_b32_e32 v9, 8, v3
	v_or_b32_e32 v10, v10, v6
	v_or_b32_e32 v2, v2, v6
	v_xor_b32_e32 v28, v10, v9
	v_or_b32_e32 v10, 64, v7
	v_xor_b32_e32 v27, v2, v9
	v_xor_b32_e32 v10, v10, v8
	s_waitcnt lgkmcnt(0)
	s_barrier
	v_or_b32_e32 v13, v10, v6
	ds_read_b64 v[10:11], v27 offset:49152
	v_lshl_or_b32 v14, v76, 8, v24
	v_lshlrev_b32_e32 v26, 1, v14
	v_add_u32_e32 v12, 0x4000, v26
	ds_read2_b64 v[2:5], v12 offset1:16
	v_or_b32_e32 v7, 0x60, v7
	v_xor_b32_e32 v7, v7, v8
	v_or_b32_e32 v6, v7, v6
	v_xor_b32_e32 v29, v13, v9
	v_xor_b32_e32 v30, v6, v9
	ds_read_b64 v[20:21], v28 offset:49152
	ds_read_b64 v[36:37], v29 offset:49152
	;; [unrolled: 1-line block ×3, first 2 shown]
	s_waitcnt lgkmcnt(3)
	v_mfma_f32_16x16x16_bf16 a[0:3], v[10:11], v[2:3], 0
	ds_read2st64_b64 v[6:9], v26 offset0:36 offset1:40
	s_lshl_b64 s[0:1], s[24:25], 8
	s_add_u32 s4, s4, s0
	v_mfma_f32_16x16x16_bf16 a[4:7], v[10:11], v[4:5], 0
	ds_read2_b64 v[2:5], v12 offset0:32 offset1:48
	s_addc_u32 s5, s5, s1
	s_add_i32 s1, s42, s33
	s_waitcnt lgkmcnt(0)
	v_mfma_f32_16x16x16_bf16 a[8:11], v[10:11], v[2:3], 0
	v_or_b32_e32 v2, 64, v14
	v_lshlrev_b32_e32 v31, 1, v2
	s_add_i32 s0, s12, -1
	v_mfma_f32_16x16x16_bf16 a[12:15], v[10:11], v[4:5], 0
	ds_read2st64_b64 v[2:5], v31 offset0:36 offset1:40
	s_add_i32 s35, s1, s37
	s_add_i32 s1, s44, s43
	v_mfma_f32_16x16x16_bf16 a[0:3], v[20:21], v[6:7], a[0:3]
	v_or_b32_e32 v6, 0x80, v14
	v_lshlrev_b32_e32 v32, 1, v6
	ds_read2st64_b64 v[10:13], v32 offset0:36 offset1:40
	s_waitcnt lgkmcnt(1)
	v_mfma_f32_16x16x16_bf16 a[4:7], v[20:21], v[2:3], a[4:7]
	v_or_b32_e32 v2, 0xc0, v14
	v_lshlrev_b32_e32 v33, 1, v2
	ds_read2st64_b64 v[14:17], v33 offset0:36 offset1:40
	s_add_i32 s31, s1, s45
	s_ashr_i32 s1, s0, 31
	s_mul_i32 s2, s0, s29
	s_mul_hi_u32 s3, s0, s28
	s_add_i32 s2, s3, s2
	s_mul_i32 s1, s1, s28
	s_waitcnt lgkmcnt(1)
	v_mfma_f32_16x16x16_bf16 a[8:11], v[20:21], v[10:11], a[8:11]
	s_add_i32 s1, s2, s1
	s_lshl_b64 s[2:3], s[34:35], 2
	s_add_u32 s10, s10, s2
	s_waitcnt lgkmcnt(0)
	v_mfma_f32_16x16x16_bf16 a[12:15], v[20:21], v[14:15], a[12:15]
	s_addc_u32 s11, s11, s3
	s_lshl_b64 s[2:3], s[30:31], 2
	s_mul_i32 s0, s0, s28
	v_mfma_f32_16x16x16_bf16 a[0:3], v[36:37], v[8:9], a[0:3]
	ds_read_b64 v[2:3], v26 offset:22528
	s_add_u32 s10, s10, s2
	s_addc_u32 s11, s11, s3
	v_mfma_f32_16x16x16_bf16 a[4:7], v[36:37], v[4:5], a[4:7]
	ds_read_b64 v[4:5], v31 offset:22528
	ds_read_b64 v[6:7], v32 offset:22528
	ds_read_b64 v[8:9], v33 offset:22528
	s_lshl_b64 s[0:1], s[0:1], 2
	s_add_u32 s0, s10, s0
	v_mfma_f32_16x16x16_bf16 a[8:11], v[36:37], v[12:13], a[8:11]
	s_addc_u32 s1, s11, s1
	s_load_dword s12, s[0:1], 0x0
	s_and_b64 vcc, exec, s[22:23]
	v_mfma_f32_16x16x16_bf16 a[12:15], v[36:37], v[16:17], a[12:15]
	s_waitcnt lgkmcnt(0)
	v_mfma_f32_16x16x16_bf16 a[0:3], v[38:39], v[2:3], a[0:3]
	v_mfma_f32_16x16x16_bf16 a[4:7], v[38:39], v[4:5], a[4:7]
	;; [unrolled: 1-line block ×4, first 2 shown]
	s_cbranch_vccz .LBB124_42
; %bb.32:
	v_lshlrev_b32_e32 v20, 1, v25
	s_and_b64 vcc, exec, s[6:7]
	s_cbranch_vccz .LBB124_43
; %bb.33:
	v_cmp_gt_i32_e32 vcc, s27, v20
	v_mov_b32_e32 v6, 0
	v_mov_b32_e32 v2, 0
	;; [unrolled: 1-line block ×5, first 2 shown]
	s_and_saveexec_b64 s[0:1], vcc
	s_cbranch_execz .LBB124_35
; %bb.34:
	v_mad_i64_i32 v[2:3], s[2:3], s15, v20, 0
	v_lshl_add_u64 v[2:3], v[2:3], 1, s[4:5]
	v_lshlrev_b32_e32 v4, 1, v18
	v_mov_b32_e32 v5, 0
	v_lshl_add_u64 v[2:3], v[2:3], 0, v[4:5]
	global_load_dwordx4 v[2:5], v[2:3], off
.LBB124_35:
	s_or_b64 exec, exec, s[0:1]
	v_or_b32_e32 v21, 1, v20
	v_cmp_gt_i32_e64 s[0:1], s27, v21
	v_mov_b32_e32 v7, 0
	v_mov_b32_e32 v8, 0
	v_mov_b32_e32 v9, 0
	s_and_saveexec_b64 s[2:3], s[0:1]
	s_cbranch_execz .LBB124_37
; %bb.36:
	v_mad_i64_i32 v[6:7], s[16:17], s15, v21, 0
	v_lshl_add_u64 v[6:7], v[6:7], 1, s[4:5]
	v_lshlrev_b32_e32 v8, 1, v18
	v_mov_b32_e32 v9, 0
	v_lshl_add_u64 v[6:7], v[6:7], 0, v[8:9]
	global_load_dwordx4 v[6:9], v[6:7], off
.LBB124_37:
	s_or_b64 exec, exec, s[2:3]
	v_mov_b32_e32 v17, 0
	v_mov_b32_e32 v10, 0
	;; [unrolled: 1-line block ×5, first 2 shown]
	s_and_saveexec_b64 s[2:3], vcc
	s_cbranch_execz .LBB124_39
; %bb.38:
	v_mad_i64_i32 v[10:11], s[16:17], s15, v20, 0
	v_lshl_add_u64 v[10:11], v[10:11], 1, s[4:5]
	v_lshlrev_b32_e32 v12, 1, v18
	v_mov_b32_e32 v13, 0
	v_lshl_add_u64 v[10:11], v[10:11], 0, v[12:13]
	global_load_dwordx4 v[10:13], v[10:11], off offset:128
.LBB124_39:
	s_or_b64 exec, exec, s[2:3]
	v_mov_b32_e32 v16, 0
	v_mov_b32_e32 v15, 0
	v_mov_b32_e32 v14, 0
	s_and_saveexec_b64 s[2:3], s[0:1]
	s_cbranch_execz .LBB124_41
; %bb.40:
	v_mad_i64_i32 v[14:15], s[0:1], s15, v21, 0
	v_lshl_add_u64 v[14:15], v[14:15], 1, s[4:5]
	v_lshlrev_b32_e32 v16, 1, v18
	v_mov_b32_e32 v17, 0
	v_lshl_add_u64 v[14:15], v[14:15], 0, v[16:17]
	global_load_dwordx4 v[14:17], v[14:15], off offset:128
.LBB124_41:
	s_or_b64 exec, exec, s[2:3]
	s_branch .LBB124_45
.LBB124_42:
                                        ; implicit-def: $vgpr5
                                        ; implicit-def: $vgpr9
                                        ; implicit-def: $vgpr13
                                        ; implicit-def: $vgpr17
	v_lshrrev_b32_e32 v35, 2, v74
	s_branch .LBB124_46
.LBB124_43:
                                        ; implicit-def: $vgpr5
                                        ; implicit-def: $vgpr9
                                        ; implicit-def: $vgpr13
                                        ; implicit-def: $vgpr17
	s_cbranch_execz .LBB124_45
; %bb.44:
	s_waitcnt vmcnt(0)
	v_mad_u64_u32 v[2:3], s[0:1], v20, s15, v[18:19]
	v_lshlrev_b32_e32 v20, 1, v2
	s_lshl_b32 s2, s15, 7
	s_and_b32 s1, s5, 0xffff
	s_mov_b32 s3, 0x20000
	s_mov_b32 s0, s4
	v_add_lshl_u32 v21, v2, s15, 1
	s_movk_i32 s13, 0x80
	buffer_load_dwordx4 v[2:5], v20, s[0:3], 0 offen
	buffer_load_dwordx4 v[10:13], v20, s[0:3], s13 offen
	;; [unrolled: 1-line block ×4, first 2 shown]
.LBB124_45:
	v_lshrrev_b32_e32 v35, 2, v74
	s_cbranch_execnz .LBB124_58
.LBB124_46:
	s_and_b64 vcc, exec, s[6:7]
	s_cbranch_vccz .LBB124_56
; %bb.47:
	s_waitcnt vmcnt(0)
	v_lshlrev_b32_e32 v7, 1, v25
	v_cmp_gt_i32_e32 vcc, s27, v7
	v_mov_b32_e32 v6, 0
	v_lshlrev_b32_e32 v14, 9, v25
	v_mov_b32_e32 v2, 0
	v_mov_b32_e32 v3, 0
	;; [unrolled: 1-line block ×4, first 2 shown]
	s_and_saveexec_b64 s[0:1], vcc
	s_cbranch_execz .LBB124_49
; %bb.48:
	v_mov_b32_e32 v15, 0
	v_lshl_add_u64 v[2:3], s[4:5], 0, v[14:15]
	v_lshlrev_b32_e32 v4, 1, v18
	v_mov_b32_e32 v5, v15
	v_lshl_add_u64 v[2:3], v[2:3], 0, v[4:5]
	global_load_dwordx4 v[2:5], v[2:3], off
.LBB124_49:
	s_or_b64 exec, exec, s[0:1]
	v_or_b32_e32 v7, 1, v7
	v_cmp_gt_i32_e64 s[0:1], s27, v7
	v_lshlrev_b32_e32 v20, 8, v7
	v_mov_b32_e32 v7, 0
	v_mov_b32_e32 v8, 0
	;; [unrolled: 1-line block ×3, first 2 shown]
	s_and_saveexec_b64 s[2:3], s[0:1]
	s_cbranch_execz .LBB124_51
; %bb.50:
	v_mov_b32_e32 v21, 0
	v_lshl_add_u64 v[6:7], s[4:5], 0, v[20:21]
	v_lshlrev_b32_e32 v8, 1, v18
	v_mov_b32_e32 v9, v21
	v_lshl_add_u64 v[6:7], v[6:7], 0, v[8:9]
	global_load_dwordx4 v[6:9], v[6:7], off
.LBB124_51:
	s_or_b64 exec, exec, s[2:3]
	v_mov_b32_e32 v17, 0
	v_mov_b32_e32 v10, 0
	v_mov_b32_e32 v11, 0
	v_mov_b32_e32 v12, 0
	v_mov_b32_e32 v13, 0
	s_and_saveexec_b64 s[2:3], vcc
	s_cbranch_execz .LBB124_53
; %bb.52:
	v_mov_b32_e32 v15, 0
	v_lshl_add_u64 v[10:11], s[4:5], 0, v[14:15]
	v_lshlrev_b32_e32 v14, 1, v18
	v_lshl_add_u64 v[10:11], v[10:11], 0, v[14:15]
	global_load_dwordx4 v[10:13], v[10:11], off offset:128
.LBB124_53:
	s_or_b64 exec, exec, s[2:3]
	v_mov_b32_e32 v16, 0
	v_mov_b32_e32 v15, 0
	;; [unrolled: 1-line block ×3, first 2 shown]
	s_and_saveexec_b64 s[2:3], s[0:1]
	s_cbranch_execz .LBB124_55
; %bb.54:
	v_mov_b32_e32 v21, 0
	v_lshl_add_u64 v[14:15], s[4:5], 0, v[20:21]
	v_lshlrev_b32_e32 v20, 1, v18
	v_lshl_add_u64 v[14:15], v[14:15], 0, v[20:21]
	global_load_dwordx4 v[14:17], v[14:15], off offset:128
.LBB124_55:
	s_or_b64 exec, exec, s[2:3]
	s_branch .LBB124_58
.LBB124_56:
                                        ; implicit-def: $vgpr5
                                        ; implicit-def: $vgpr9
                                        ; implicit-def: $vgpr13
                                        ; implicit-def: $vgpr17
	s_cbranch_execz .LBB124_58
; %bb.57:
	s_waitcnt vmcnt(0)
	v_lshlrev_b32_e32 v2, 1, v18
	v_lshl_or_b32 v18, v25, 9, v2
	s_and_b32 s5, s5, 0xffff
	s_mov_b32 s7, 0x20000
	s_movk_i32 s6, 0x4000
	s_movk_i32 s0, 0x80
	buffer_load_dwordx4 v[2:5], v18, s[4:7], 0 offen
	buffer_load_dwordx4 v[6:9], v18, s[4:7], 0 offen offset:256
	buffer_load_dwordx4 v[10:13], v18, s[4:7], s0 offen
	buffer_load_dwordx4 v[14:17], v18, s[4:7], s0 offen offset:256
.LBB124_58:
	ds_read_b64 v[20:21], v27 offset:57344
	v_add_u32_e32 v18, 0x6000, v26
	ds_read2_b64 v[36:39], v18 offset1:16
	ds_read_b64 v[52:53], v28 offset:57344
	ds_read_b64 v[28:29], v29 offset:57344
	;; [unrolled: 1-line block ×3, first 2 shown]
	ds_read2st64_b64 v[40:43], v26 offset0:52 offset1:56
	s_mov_b32 s0, 0x1000504
	s_mov_b32 s1, 0x3020706
	s_waitcnt lgkmcnt(4)
	v_mfma_f32_16x16x16_bf16 a[0:3], v[20:21], v[36:37], a[0:3]
	v_mfma_f32_16x16x16_bf16 a[4:7], v[20:21], v[38:39], a[4:7]
	ds_read2_b64 v[36:39], v18 offset0:32 offset1:48
	v_and_b32_e32 v18, 6, v0
	v_xor_b32_e32 v25, v25, v18
	s_waitcnt lgkmcnt(0)
	v_mfma_f32_16x16x16_bf16 a[8:11], v[20:21], v[36:37], a[8:11]
	v_lshlrev_b32_e32 v25, 2, v25
	v_and_b32_e32 v0, 1, v0
	v_cmp_eq_u32_e32 vcc, 0, v0
	v_mfma_f32_16x16x16_bf16 a[12:15], v[20:21], v[38:39], a[12:15]
	ds_read2st64_b64 v[36:39], v31 offset0:52 offset1:56
	ds_read2st64_b64 v[44:47], v32 offset0:52 offset1:56
	ds_read2st64_b64 v[48:51], v33 offset0:52 offset1:56
	ds_read_b64 v[20:21], v26 offset:30720
	ds_read_b64 v[26:27], v31 offset:30720
	;; [unrolled: 1-line block ×4, first 2 shown]
	s_waitcnt lgkmcnt(6)
	v_mfma_f32_16x16x16_bf16 a[4:7], v[52:53], v[36:37], a[4:7]
	v_xor_b32_e32 v36, 0x440, v25
	v_cndmask_b32_e32 v0, v36, v25, vcc
	v_lshl_or_b32 v0, v18, 10, v0
	v_mfma_f32_16x16x16_bf16 a[0:3], v[52:53], v[40:41], a[0:3]
	s_waitcnt vmcnt(0)
	v_perm_b32 v18, v2, v6, s0
	v_perm_b32 v25, v10, v14, s0
	ds_write2st64_b32 v0, v18, v25 offset0:128 offset1:160
	s_waitcnt lgkmcnt(6)
	v_mfma_f32_16x16x16_bf16 a[8:11], v[52:53], v[44:45], a[8:11]
	v_xor_b32_e32 v18, 8, v0
	v_perm_b32 v2, v2, v6, s1
	v_perm_b32 v6, v10, v14, s1
	s_waitcnt lgkmcnt(5)
	v_mfma_f32_16x16x16_bf16 a[12:15], v[52:53], v[48:49], a[12:15]
	v_add_u32_e32 v10, 0x80, v18
	ds_write2st64_b32 v10, v2, v6 offset0:128 offset1:160
	v_xor_b32_e32 v2, 16, v0
	v_mfma_f32_16x16x16_bf16 a[0:3], v[28:29], v[42:43], a[0:3]
	v_perm_b32 v6, v3, v7, s0
	v_perm_b32 v10, v11, v15, s0
	ds_write2st64_b32 v2, v6, v10 offset0:129 offset1:161
	v_mfma_f32_16x16x16_bf16 a[4:7], v[28:29], v[38:39], a[4:7]
	v_xor_b32_e32 v2, 24, v0
	v_perm_b32 v3, v3, v7, s1
	v_perm_b32 v6, v11, v15, s1
	v_mfma_f32_16x16x16_bf16 a[16:19], v[28:29], v[46:47], a[8:11]
	v_add_u32_e32 v2, 0x80, v2
	ds_write2st64_b32 v2, v3, v6 offset0:129 offset1:161
	v_xor_b32_e32 v2, 32, v0
	v_mfma_f32_16x16x16_bf16 a[20:23], v[28:29], v[50:51], a[12:15]
	v_perm_b32 v3, v4, v8, s0
	v_perm_b32 v6, v12, v16, s0
	ds_write2st64_b32 v2, v3, v6 offset0:130 offset1:162
	s_waitcnt lgkmcnt(8)
	v_mfma_f32_16x16x16_bf16 a[12:15], v[54:55], v[20:21], a[0:3]
	v_xor_b32_e32 v2, 40, v0
	v_perm_b32 v3, v4, v8, s1
	v_perm_b32 v4, v12, v16, s1
	s_waitcnt lgkmcnt(7)
	v_mfma_f32_16x16x16_bf16 a[8:11], v[54:55], v[26:27], a[4:7]
	v_add_u32_e32 v2, 0x80, v2
	ds_write2st64_b32 v2, v3, v4 offset0:130 offset1:162
	v_xor_b32_e32 v2, 48, v0
	s_waitcnt lgkmcnt(7)
	v_mfma_f32_16x16x16_bf16 a[4:7], v[54:55], v[30:31], a[16:19]
	v_perm_b32 v3, v5, v9, s0
	v_perm_b32 v4, v13, v17, s0
	v_xor_b32_e32 v0, 56, v0
	s_waitcnt lgkmcnt(6)
	v_mfma_f32_16x16x16_bf16 a[0:3], v[54:55], v[32:33], a[20:23]
	v_and_or_b32 v18, v35, 12, v1
	ds_write2st64_b32 v2, v3, v4 offset0:131 offset1:163
	v_perm_b32 v2, v5, v9, s1
	v_perm_b32 v3, v13, v17, s1
	v_add_u32_e32 v0, 0x80, v0
	v_cmp_gt_i32_e32 vcc, s27, v18
	v_mov_b32_e32 v14, 0
	v_mov_b32_e32 v16, 0
	ds_write2st64_b32 v0, v2, v3 offset0:131 offset1:163
	s_and_saveexec_b64 s[0:1], vcc
	s_cbranch_execz .LBB124_60
; %bb.59:
	v_add_u32_e32 v0, s26, v18
	v_ashrrev_i32_e32 v1, 31, v0
	v_mul_lo_u32 v2, v1, s28
	v_mul_lo_u32 v3, v0, s29
	v_mad_u64_u32 v[0:1], s[2:3], v0, s28, 0
	v_add3_u32 v1, v1, v3, v2
	v_lshl_add_u64 v[0:1], v[0:1], 2, s[10:11]
	global_load_dword v0, v[0:1], off
	s_waitcnt vmcnt(0)
	v_sub_f32_e32 v0, s12, v0
	v_mul_f32_e32 v0, 0x3fb8aa3b, v0
	v_exp_f32_e32 v16, v0
.LBB124_60:
	s_or_b64 exec, exec, s[0:1]
	v_or_b32_e32 v8, 1, v18
	v_cmp_gt_i32_e64 s[0:1], s27, v8
	s_and_saveexec_b64 s[2:3], s[0:1]
	s_cbranch_execz .LBB124_62
; %bb.61:
	v_add_u32_e32 v0, s26, v8
	v_ashrrev_i32_e32 v1, 31, v0
	v_mul_lo_u32 v2, v1, s28
	v_mul_lo_u32 v3, v0, s29
	v_mad_u64_u32 v[0:1], s[4:5], v0, s28, 0
	v_add3_u32 v1, v1, v3, v2
	v_lshl_add_u64 v[0:1], v[0:1], 2, s[10:11]
	global_load_dword v0, v[0:1], off
	s_waitcnt vmcnt(0)
	v_sub_f32_e32 v0, s12, v0
	v_mul_f32_e32 v0, 0x3fb8aa3b, v0
	v_exp_f32_e32 v14, v0
.LBB124_62:
	s_or_b64 exec, exec, s[2:3]
	v_or_b32_e32 v10, 2, v18
	v_cmp_gt_i32_e64 s[2:3], s27, v10
	v_mov_b32_e32 v15, 0
	v_mov_b32_e32 v17, 0
	s_and_saveexec_b64 s[4:5], s[2:3]
	s_cbranch_execz .LBB124_64
; %bb.63:
	v_add_u32_e32 v0, s26, v10
	v_ashrrev_i32_e32 v1, 31, v0
	v_mul_lo_u32 v2, v1, s28
	v_mul_lo_u32 v3, v0, s29
	v_mad_u64_u32 v[0:1], s[6:7], v0, s28, 0
	v_add3_u32 v1, v1, v3, v2
	v_lshl_add_u64 v[0:1], v[0:1], 2, s[10:11]
	global_load_dword v0, v[0:1], off
	s_waitcnt vmcnt(0)
	v_sub_f32_e32 v0, s12, v0
	v_mul_f32_e32 v0, 0x3fb8aa3b, v0
	v_exp_f32_e32 v17, v0
.LBB124_64:
	s_or_b64 exec, exec, s[4:5]
	v_or_b32_e32 v12, 3, v18
	v_cmp_gt_i32_e64 s[4:5], s27, v12
	s_and_saveexec_b64 s[6:7], s[4:5]
	s_cbranch_execz .LBB124_66
; %bb.65:
	v_add_u32_e32 v0, s26, v12
	v_ashrrev_i32_e32 v1, 31, v0
	v_mul_lo_u32 v2, v1, s28
	v_mul_lo_u32 v3, v0, s29
	v_mad_u64_u32 v[0:1], s[14:15], v0, s28, 0
	v_add3_u32 v1, v1, v3, v2
	v_lshl_add_u64 v[0:1], v[0:1], 2, s[10:11]
	global_load_dword v0, v[0:1], off
	s_waitcnt vmcnt(0)
	v_sub_f32_e32 v0, s12, v0
	v_mul_f32_e32 v0, 0x3fb8aa3b, v0
	v_exp_f32_e32 v15, v0
.LBB124_66:
	s_or_b64 exec, exec, s[6:7]
	s_add_u32 s6, s8, s20
	v_accvgpr_read_b32 v0, a12
	s_addc_u32 s7, s9, s21
	v_ashrrev_i32_e32 v35, 31, v34
	v_accvgpr_read_b32 v1, a13
	v_accvgpr_read_b32 v2, a14
	;; [unrolled: 1-line block ×3, first 2 shown]
	v_lshl_add_u64 v[4:5], v[34:35], 1, s[6:7]
	v_mov_b32_e32 v9, 0
	v_lshlrev_b32_e32 v6, 8, v18
	v_mov_b32_e32 v7, 0
	s_and_saveexec_b64 s[6:7], vcc
	s_cbranch_execz .LBB124_68
; %bb.67:
	v_mov_b32_e32 v7, 0
	v_lshl_add_u64 v[20:21], v[4:5], 0, v[6:7]
	global_load_ushort v7, v[20:21], off
	s_waitcnt vmcnt(0)
	v_lshlrev_b32_e32 v7, 16, v7
	v_sub_f32_e32 v0, v7, v0
	v_mul_f32_e32 v0, v16, v0
	v_lshrrev_b32_e32 v7, 16, v0
.LBB124_68:
	s_or_b64 exec, exec, s[6:7]
	v_lshlrev_b32_e32 v8, 8, v8
	s_and_saveexec_b64 s[6:7], s[0:1]
	s_cbranch_execz .LBB124_70
; %bb.69:
	v_mov_b32_e32 v9, 0
	v_lshl_add_u64 v[20:21], v[4:5], 0, v[8:9]
	global_load_ushort v0, v[20:21], off
	s_waitcnt vmcnt(0)
	v_lshlrev_b32_e32 v0, 16, v0
	v_sub_f32_e32 v0, v0, v1
	v_mul_f32_e32 v0, v14, v0
	v_lshrrev_b32_e32 v9, 16, v0
.LBB124_70:
	s_or_b64 exec, exec, s[6:7]
	v_mov_b32_e32 v13, 0
	v_lshlrev_b32_e32 v10, 8, v10
	v_mov_b32_e32 v11, 0
	s_and_saveexec_b64 s[6:7], s[2:3]
	s_cbranch_execz .LBB124_72
; %bb.71:
	v_mov_b32_e32 v11, 0
	v_lshl_add_u64 v[0:1], v[4:5], 0, v[10:11]
	global_load_ushort v0, v[0:1], off
	s_waitcnt vmcnt(0)
	v_lshlrev_b32_e32 v0, 16, v0
	v_sub_f32_e32 v0, v0, v2
	v_mul_f32_e32 v0, v17, v0
	v_lshrrev_b32_e32 v11, 16, v0
.LBB124_72:
	s_or_b64 exec, exec, s[6:7]
	v_lshlrev_b32_e32 v12, 8, v12
	s_and_saveexec_b64 s[6:7], s[4:5]
	s_cbranch_execz .LBB124_74
; %bb.73:
	v_mov_b32_e32 v13, 0
	v_lshl_add_u64 v[0:1], v[4:5], 0, v[12:13]
	global_load_ushort v0, v[0:1], off
	s_waitcnt vmcnt(0)
	v_lshlrev_b32_e32 v0, 16, v0
	v_sub_f32_e32 v0, v0, v3
	v_mul_f32_e32 v0, v15, v0
	v_lshrrev_b32_e32 v13, 16, v0
.LBB124_74:
	s_or_b64 exec, exec, s[6:7]
	v_lshlrev_b32_e32 v18, 6, v18
	s_mov_b32 s6, 0x5040100
	v_perm_b32 v20, v9, v7, s6
	v_or_b32_e32 v7, v18, v24
	v_accvgpr_read_b32 v0, a8
	v_perm_b32 v21, v13, v11, s6
	v_lshlrev_b32_e32 v7, 1, v7
	v_accvgpr_read_b32 v1, a9
	v_accvgpr_read_b32 v2, a10
	;; [unrolled: 1-line block ×3, first 2 shown]
	ds_write_b64 v7, v[20:21] offset:24576
	v_mov_b32_e32 v9, 0
	v_mov_b32_e32 v7, 0
	s_and_saveexec_b64 s[6:7], vcc
	s_cbranch_execz .LBB124_76
; %bb.75:
	v_mov_b32_e32 v7, 0
	v_lshl_add_u64 v[20:21], v[4:5], 0, v[6:7]
	global_load_ushort v7, v[20:21], off offset:32
	s_waitcnt vmcnt(0)
	v_lshlrev_b32_e32 v7, 16, v7
	v_sub_f32_e32 v0, v7, v0
	v_mul_f32_e32 v0, v16, v0
	v_lshrrev_b32_e32 v7, 16, v0
.LBB124_76:
	s_or_b64 exec, exec, s[6:7]
	s_and_saveexec_b64 s[6:7], s[0:1]
	s_cbranch_execz .LBB124_78
; %bb.77:
	v_mov_b32_e32 v9, 0
	v_lshl_add_u64 v[20:21], v[4:5], 0, v[8:9]
	global_load_ushort v0, v[20:21], off offset:32
	s_waitcnt vmcnt(0)
	v_lshlrev_b32_e32 v0, 16, v0
	v_sub_f32_e32 v0, v0, v1
	v_mul_f32_e32 v0, v14, v0
	v_lshrrev_b32_e32 v9, 16, v0
.LBB124_78:
	s_or_b64 exec, exec, s[6:7]
	v_mov_b32_e32 v13, 0
	v_mov_b32_e32 v11, 0
	s_and_saveexec_b64 s[6:7], s[2:3]
	s_cbranch_execz .LBB124_80
; %bb.79:
	v_mov_b32_e32 v11, 0
	v_lshl_add_u64 v[0:1], v[4:5], 0, v[10:11]
	global_load_ushort v0, v[0:1], off offset:32
	s_waitcnt vmcnt(0)
	v_lshlrev_b32_e32 v0, 16, v0
	v_sub_f32_e32 v0, v0, v2
	v_mul_f32_e32 v0, v17, v0
	v_lshrrev_b32_e32 v11, 16, v0
.LBB124_80:
	s_or_b64 exec, exec, s[6:7]
	s_and_saveexec_b64 s[6:7], s[4:5]
	s_cbranch_execz .LBB124_82
; %bb.81:
	v_mov_b32_e32 v13, 0
	v_lshl_add_u64 v[0:1], v[4:5], 0, v[12:13]
	global_load_ushort v0, v[0:1], off offset:32
	s_waitcnt vmcnt(0)
	v_lshlrev_b32_e32 v0, 16, v0
	v_sub_f32_e32 v0, v0, v3
	v_mul_f32_e32 v0, v15, v0
	v_lshrrev_b32_e32 v13, 16, v0
.LBB124_82:
	s_or_b64 exec, exec, s[6:7]
	s_mov_b32 s6, 0x5040100
	v_perm_b32 v20, v9, v7, s6
	v_or_b32_e32 v7, v18, v23
	v_accvgpr_read_b32 v0, a4
	v_perm_b32 v21, v13, v11, s6
	v_lshlrev_b32_e32 v7, 1, v7
	v_accvgpr_read_b32 v1, a5
	v_accvgpr_read_b32 v2, a6
	;; [unrolled: 1-line block ×3, first 2 shown]
	ds_write_b64 v7, v[20:21] offset:24576
	v_mov_b32_e32 v9, 0
	v_mov_b32_e32 v7, 0
	s_and_saveexec_b64 s[6:7], vcc
	s_cbranch_execz .LBB124_84
; %bb.83:
	v_mov_b32_e32 v7, 0
	v_lshl_add_u64 v[20:21], v[4:5], 0, v[6:7]
	global_load_ushort v7, v[20:21], off offset:64
	s_waitcnt vmcnt(0)
	v_lshlrev_b32_e32 v7, 16, v7
	v_sub_f32_e32 v0, v7, v0
	v_mul_f32_e32 v0, v16, v0
	v_lshrrev_b32_e32 v7, 16, v0
.LBB124_84:
	s_or_b64 exec, exec, s[6:7]
	s_and_saveexec_b64 s[6:7], s[0:1]
	s_cbranch_execz .LBB124_86
; %bb.85:
	v_mov_b32_e32 v9, 0
	v_lshl_add_u64 v[20:21], v[4:5], 0, v[8:9]
	global_load_ushort v0, v[20:21], off offset:64
	s_waitcnt vmcnt(0)
	v_lshlrev_b32_e32 v0, 16, v0
	v_sub_f32_e32 v0, v0, v1
	v_mul_f32_e32 v0, v14, v0
	v_lshrrev_b32_e32 v9, 16, v0
.LBB124_86:
	s_or_b64 exec, exec, s[6:7]
	v_mov_b32_e32 v13, 0
	v_mov_b32_e32 v11, 0
	s_and_saveexec_b64 s[6:7], s[2:3]
	s_cbranch_execz .LBB124_88
; %bb.87:
	v_mov_b32_e32 v11, 0
	v_lshl_add_u64 v[0:1], v[4:5], 0, v[10:11]
	global_load_ushort v0, v[0:1], off offset:64
	s_waitcnt vmcnt(0)
	v_lshlrev_b32_e32 v0, 16, v0
	v_sub_f32_e32 v0, v0, v2
	v_mul_f32_e32 v0, v17, v0
	v_lshrrev_b32_e32 v11, 16, v0
.LBB124_88:
	s_or_b64 exec, exec, s[6:7]
	s_and_saveexec_b64 s[6:7], s[4:5]
	s_cbranch_execz .LBB124_90
; %bb.89:
	v_mov_b32_e32 v13, 0
	v_lshl_add_u64 v[0:1], v[4:5], 0, v[12:13]
	global_load_ushort v0, v[0:1], off offset:64
	s_waitcnt vmcnt(0)
	v_lshlrev_b32_e32 v0, 16, v0
	v_sub_f32_e32 v0, v0, v3
	v_mul_f32_e32 v0, v15, v0
	v_lshrrev_b32_e32 v13, 16, v0
.LBB124_90:
	s_or_b64 exec, exec, s[6:7]
	s_mov_b32 s6, 0x5040100
	v_perm_b32 v20, v9, v7, s6
	v_or_b32_e32 v7, v18, v22
	v_accvgpr_read_b32 v0, a0
	v_perm_b32 v21, v13, v11, s6
	v_lshlrev_b32_e32 v7, 1, v7
	v_accvgpr_read_b32 v1, a1
	v_accvgpr_read_b32 v2, a2
	;; [unrolled: 1-line block ×3, first 2 shown]
	ds_write_b64 v7, v[20:21] offset:24576
	v_mov_b32_e32 v9, 0
	v_mov_b32_e32 v7, 0
	s_and_saveexec_b64 s[6:7], vcc
	s_cbranch_execz .LBB124_92
; %bb.91:
	v_mov_b32_e32 v7, 0
	v_lshl_add_u64 v[6:7], v[4:5], 0, v[6:7]
	global_load_ushort v6, v[6:7], off offset:96
	s_waitcnt vmcnt(0)
	v_lshlrev_b32_e32 v6, 16, v6
	v_sub_f32_e32 v0, v6, v0
	v_mul_f32_e32 v0, v16, v0
	v_lshrrev_b32_e32 v7, 16, v0
.LBB124_92:
	s_or_b64 exec, exec, s[6:7]
	s_and_saveexec_b64 s[6:7], s[0:1]
	s_cbranch_execz .LBB124_94
; %bb.93:
	v_mov_b32_e32 v9, 0
	v_lshl_add_u64 v[8:9], v[4:5], 0, v[8:9]
	global_load_ushort v0, v[8:9], off offset:96
	s_waitcnt vmcnt(0)
	v_lshlrev_b32_e32 v0, 16, v0
	v_sub_f32_e32 v0, v0, v1
	v_mul_f32_e32 v0, v14, v0
	v_lshrrev_b32_e32 v9, 16, v0
.LBB124_94:
	s_or_b64 exec, exec, s[6:7]
	v_mov_b32_e32 v0, 0
	v_mov_b32_e32 v1, 0
	s_and_saveexec_b64 s[0:1], s[2:3]
	s_cbranch_execz .LBB124_96
; %bb.95:
	v_mov_b32_e32 v11, 0
	v_lshl_add_u64 v[10:11], v[4:5], 0, v[10:11]
	global_load_ushort v1, v[10:11], off offset:96
	s_waitcnt vmcnt(0)
	v_lshlrev_b32_e32 v1, 16, v1
	v_sub_f32_e32 v1, v1, v2
	v_mul_f32_e32 v1, v17, v1
	v_lshrrev_b32_e32 v1, 16, v1
.LBB124_96:
	s_or_b64 exec, exec, s[0:1]
	s_and_saveexec_b64 s[0:1], s[4:5]
	s_cbranch_execz .LBB124_98
; %bb.97:
	v_mov_b32_e32 v13, 0
	v_lshl_add_u64 v[4:5], v[4:5], 0, v[12:13]
	global_load_ushort v0, v[4:5], off offset:96
	s_waitcnt vmcnt(0)
	v_lshlrev_b32_e32 v0, 16, v0
	v_sub_f32_e32 v0, v0, v3
	v_mul_f32_e32 v0, v15, v0
	v_lshrrev_b32_e32 v0, 16, v0
.LBB124_98:
	s_or_b64 exec, exec, s[0:1]
	s_mov_b32 s0, 0x5040100
	v_or_b32_e32 v2, v18, v19
	v_perm_b32 v1, v0, v1, s0
	v_perm_b32 v0, v9, v7, s0
	v_lshlrev_b32_e32 v2, 1, v2
	ds_write_b64 v2, v[0:1] offset:24576
	s_waitcnt lgkmcnt(0)
	s_barrier
.LBB124_99:
	s_endpgm
	.section	.rodata,"a",@progbits
	.p2align	6, 0x0
	.amdhsa_kernel _ZN12_GLOBAL__N_139chunk_gated_delta_rule_fwd_h_hip_kernelILi64ELb1ELb0ELb0ELb0ELb0ELb0ELb0ELb1EEEvPK12hip_bfloat16S3_S3_PKfS5_PKvPS1_S8_PvPKiSB_iiiiilll
		.amdhsa_group_segment_fixed_size 65536
		.amdhsa_private_segment_fixed_size 0
		.amdhsa_kernarg_size 136
		.amdhsa_user_sgpr_count 2
		.amdhsa_user_sgpr_dispatch_ptr 0
		.amdhsa_user_sgpr_queue_ptr 0
		.amdhsa_user_sgpr_kernarg_segment_ptr 1
		.amdhsa_user_sgpr_dispatch_id 0
		.amdhsa_user_sgpr_kernarg_preload_length 0
		.amdhsa_user_sgpr_kernarg_preload_offset 0
		.amdhsa_user_sgpr_private_segment_size 0
		.amdhsa_uses_dynamic_stack 0
		.amdhsa_enable_private_segment 0
		.amdhsa_system_sgpr_workgroup_id_x 1
		.amdhsa_system_sgpr_workgroup_id_y 1
		.amdhsa_system_sgpr_workgroup_id_z 0
		.amdhsa_system_sgpr_workgroup_info 0
		.amdhsa_system_vgpr_workitem_id 0
		.amdhsa_next_free_vgpr 216
		.amdhsa_next_free_sgpr 66
		.amdhsa_accum_offset 180
		.amdhsa_reserve_vcc 1
		.amdhsa_float_round_mode_32 0
		.amdhsa_float_round_mode_16_64 0
		.amdhsa_float_denorm_mode_32 3
		.amdhsa_float_denorm_mode_16_64 3
		.amdhsa_dx10_clamp 1
		.amdhsa_ieee_mode 1
		.amdhsa_fp16_overflow 0
		.amdhsa_tg_split 0
		.amdhsa_exception_fp_ieee_invalid_op 0
		.amdhsa_exception_fp_denorm_src 0
		.amdhsa_exception_fp_ieee_div_zero 0
		.amdhsa_exception_fp_ieee_overflow 0
		.amdhsa_exception_fp_ieee_underflow 0
		.amdhsa_exception_fp_ieee_inexact 0
		.amdhsa_exception_int_div_zero 0
	.end_amdhsa_kernel
	.section	.text._ZN12_GLOBAL__N_139chunk_gated_delta_rule_fwd_h_hip_kernelILi64ELb1ELb0ELb0ELb0ELb0ELb0ELb0ELb1EEEvPK12hip_bfloat16S3_S3_PKfS5_PKvPS1_S8_PvPKiSB_iiiiilll,"axG",@progbits,_ZN12_GLOBAL__N_139chunk_gated_delta_rule_fwd_h_hip_kernelILi64ELb1ELb0ELb0ELb0ELb0ELb0ELb0ELb1EEEvPK12hip_bfloat16S3_S3_PKfS5_PKvPS1_S8_PvPKiSB_iiiiilll,comdat
.Lfunc_end124:
	.size	_ZN12_GLOBAL__N_139chunk_gated_delta_rule_fwd_h_hip_kernelILi64ELb1ELb0ELb0ELb0ELb0ELb0ELb0ELb1EEEvPK12hip_bfloat16S3_S3_PKfS5_PKvPS1_S8_PvPKiSB_iiiiilll, .Lfunc_end124-_ZN12_GLOBAL__N_139chunk_gated_delta_rule_fwd_h_hip_kernelILi64ELb1ELb0ELb0ELb0ELb0ELb0ELb0ELb1EEEvPK12hip_bfloat16S3_S3_PKfS5_PKvPS1_S8_PvPKiSB_iiiiilll
                                        ; -- End function
	.section	.AMDGPU.csdata,"",@progbits
; Kernel info:
; codeLenInByte = 10992
; NumSgprs: 72
; NumVgprs: 178
; NumAgprs: 36
; TotalNumVgprs: 216
; ScratchSize: 0
; MemoryBound: 0
; FloatMode: 240
; IeeeMode: 1
; LDSByteSize: 65536 bytes/workgroup (compile time only)
; SGPRBlocks: 8
; VGPRBlocks: 26
; NumSGPRsForWavesPerEU: 72
; NumVGPRsForWavesPerEU: 216
; AccumOffset: 180
; Occupancy: 1
; WaveLimiterHint : 1
; COMPUTE_PGM_RSRC2:SCRATCH_EN: 0
; COMPUTE_PGM_RSRC2:USER_SGPR: 2
; COMPUTE_PGM_RSRC2:TRAP_HANDLER: 0
; COMPUTE_PGM_RSRC2:TGID_X_EN: 1
; COMPUTE_PGM_RSRC2:TGID_Y_EN: 1
; COMPUTE_PGM_RSRC2:TGID_Z_EN: 0
; COMPUTE_PGM_RSRC2:TIDIG_COMP_CNT: 0
; COMPUTE_PGM_RSRC3_GFX90A:ACCUM_OFFSET: 44
; COMPUTE_PGM_RSRC3_GFX90A:TG_SPLIT: 0
	.section	.text._ZN12_GLOBAL__N_139chunk_gated_delta_rule_fwd_h_hip_kernelILi64ELb0ELb1ELb1ELb0ELb0ELb0ELb0ELb1EEEvPK12hip_bfloat16S3_S3_PKfS5_PKvPS1_S8_PvPKiSB_iiiiilll,"axG",@progbits,_ZN12_GLOBAL__N_139chunk_gated_delta_rule_fwd_h_hip_kernelILi64ELb0ELb1ELb1ELb0ELb0ELb0ELb0ELb1EEEvPK12hip_bfloat16S3_S3_PKfS5_PKvPS1_S8_PvPKiSB_iiiiilll,comdat
	.globl	_ZN12_GLOBAL__N_139chunk_gated_delta_rule_fwd_h_hip_kernelILi64ELb0ELb1ELb1ELb0ELb0ELb0ELb0ELb1EEEvPK12hip_bfloat16S3_S3_PKfS5_PKvPS1_S8_PvPKiSB_iiiiilll ; -- Begin function _ZN12_GLOBAL__N_139chunk_gated_delta_rule_fwd_h_hip_kernelILi64ELb0ELb1ELb1ELb0ELb0ELb0ELb0ELb1EEEvPK12hip_bfloat16S3_S3_PKfS5_PKvPS1_S8_PvPKiSB_iiiiilll
	.p2align	8
	.type	_ZN12_GLOBAL__N_139chunk_gated_delta_rule_fwd_h_hip_kernelILi64ELb0ELb1ELb1ELb0ELb0ELb0ELb0ELb1EEEvPK12hip_bfloat16S3_S3_PKfS5_PKvPS1_S8_PvPKiSB_iiiiilll,@function
_ZN12_GLOBAL__N_139chunk_gated_delta_rule_fwd_h_hip_kernelILi64ELb0ELb1ELb1ELb0ELb0ELb0ELb0ELb1EEEvPK12hip_bfloat16S3_S3_PKfS5_PKvPS1_S8_PvPKiSB_iiiiilll: ; @_ZN12_GLOBAL__N_139chunk_gated_delta_rule_fwd_h_hip_kernelILi64ELb0ELb1ELb1ELb0ELb0ELb0ELb0ELb1EEEvPK12hip_bfloat16S3_S3_PKfS5_PKvPS1_S8_PvPKiSB_iiiiilll
; %bb.0:
	s_load_dwordx4 s[16:19], s[0:1], 0x5c
	s_load_dwordx4 s[20:23], s[0:1], 0x70
	s_abs_i32 s26, s3
	s_ashr_i32 s25, s3, 31
	s_load_dwordx8 s[4:11], s[0:1], 0x0
	s_waitcnt lgkmcnt(0)
	s_abs_i32 s24, s17
	v_cvt_f32_u32_e32 v1, s24
	s_sub_i32 s28, 0, s24
	s_ashr_i32 s27, s17, 31
	s_xor_b32 s25, s25, s27
	v_rcp_iflag_f32_e32 v1, v1
	s_load_dwordx2 s[34:35], s[0:1], 0x40
	s_load_dwordx4 s[12:15], s[0:1], 0x30
	s_load_dwordx2 s[36:37], s[0:1], 0x80
	v_lshrrev_b32_e32 v74, 6, v0
	v_mul_f32_e32 v1, 0x4f7ffffe, v1
	v_cvt_u32_f32_e32 v1, v1
	v_bfe_u32 v77, v0, 4, 2
	s_mov_b32 s0, 0
	v_lshlrev_b32_e32 v75, 4, v74
	v_readfirstlane_b32 s29, v1
	s_mul_i32 s28, s28, s29
	s_mul_hi_u32 s28, s29, s28
	s_add_i32 s29, s29, s28
	s_mul_hi_u32 s28, s26, s29
	s_mul_i32 s29, s28, s24
	s_sub_i32 s26, s26, s29
	s_add_i32 s30, s28, 1
	s_sub_i32 s29, s26, s24
	s_cmp_ge_u32 s26, s24
	s_cselect_b32 s28, s30, s28
	s_cselect_b32 s26, s29, s26
	s_add_i32 s29, s28, 1
	s_cmp_ge_u32 s26, s24
	s_cselect_b32 s26, s29, s28
	s_xor_b32 s26, s26, s25
	s_sub_i32 s49, s26, s25
	s_abs_i32 s26, s18
	v_cvt_f32_u32_e32 v1, s26
	s_mul_i32 s47, s49, s17
	s_sub_i32 s33, s3, s47
	s_add_i32 s3, s16, 63
	v_rcp_iflag_f32_e32 v1, v1
	s_ashr_i32 s25, s3, 31
	s_lshr_b32 s25, s25, 26
	s_ashr_i32 s48, s16, 31
	v_mul_f32_e32 v1, 0x4f7ffffe, v1
	v_cvt_u32_f32_e32 v1, v1
	s_add_i32 s3, s3, s25
	s_lshr_b32 s25, s48, 26
	s_add_i32 s25, s16, s25
	s_ashr_i32 s51, s18, 31
	s_ashr_i32 s50, s25, 6
	s_xor_b32 s25, s27, s51
	s_sub_i32 s27, 0, s26
	v_readfirstlane_b32 s28, v1
	s_mul_i32 s27, s27, s28
	s_mul_hi_u32 s27, s28, s27
	s_add_i32 s28, s28, s27
	s_mul_hi_u32 s27, s24, s28
	s_mul_i32 s28, s27, s26
	s_sub_i32 s24, s24, s28
	s_ashr_i32 s3, s3, 6
	s_add_i32 s28, s27, 1
	s_sub_i32 s29, s24, s26
	s_cmp_ge_u32 s24, s26
	s_cselect_b32 s27, s28, s27
	s_cselect_b32 s24, s29, s24
	s_add_i32 s28, s27, 1
	s_cmp_ge_u32 s24, s26
	s_cselect_b32 s24, s28, s27
	s_xor_b32 s24, s24, s25
	s_sub_i32 s24, s24, s25
	s_abs_i32 s25, s24
	v_cvt_f32_u32_e32 v1, s25
	s_sub_i32 s26, 0, s25
	s_xor_b32 s1, s33, s24
	s_abs_i32 s24, s33
	v_rcp_iflag_f32_e32 v1, v1
	s_ashr_i32 s1, s1, 31
	v_lshlrev_b32_e32 v2, 2, v77
	v_and_b32_e32 v76, 63, v0
	v_mul_f32_e32 v1, 0x4f7ffffe, v1
	v_cvt_u32_f32_e32 v1, v1
	s_mul_i32 s52, s49, s3
	v_and_b32_e32 v78, 15, v0
	s_mul_hi_i32 s53, s49, s17
	v_readfirstlane_b32 s27, v1
	s_mul_i32 s26, s26, s27
	s_mul_hi_u32 s26, s27, s26
	s_add_i32 s27, s27, s26
	s_mul_hi_u32 s26, s24, s27
	s_mul_i32 s27, s26, s25
	s_sub_i32 s24, s24, s27
	s_add_i32 s27, s26, 1
	s_sub_i32 s28, s24, s25
	s_cmp_ge_u32 s24, s25
	s_cselect_b32 s26, s27, s26
	s_cselect_b32 s24, s28, s24
	s_add_i32 s27, s26, 1
	s_cmp_ge_u32 s24, s25
	s_cselect_b32 s24, s27, s26
	s_xor_b32 s24, s24, s1
	s_sub_i32 s54, s24, s1
	v_or_b32_e32 v1, v2, v75
	s_lshl_b32 s2, s2, 6
	s_mov_b32 s1, s0
	v_or_b32_e32 v81, 64, v1
	s_cmp_lt_i32 s16, 64
	v_mov_b64_e32 v[34:35], s[0:1]
	v_lshrrev_b32_e32 v80, 3, v76
	v_lshlrev_b32_e32 v79, 3, v0
	s_mul_i32 s21, s49, s21
	s_mul_hi_u32 s46, s49, s20
	s_mul_i32 s38, s49, s20
	v_mov_b64_e32 v[36:37], s[0:1]
	v_mov_b64_e32 v[40:41], s[0:1]
	;; [unrolled: 1-line block ×15, first 2 shown]
	s_cbranch_scc1 .LBB125_17
; %bb.1:
	s_ashr_i32 s3, s49, 31
	s_ashr_i32 s56, s33, 31
	s_add_u32 s0, s47, s33
	s_addc_u32 s1, s53, s56
	s_mul_i32 s1, s16, s1
	s_mul_hi_u32 s24, s16, s0
	s_add_i32 s41, s24, s1
	s_mul_i32 s40, s16, s0
	s_lshl_b64 s[0:1], s[40:41], 8
	v_and_b32_e32 v83, 56, v79
	s_add_u32 s24, s6, s0
	v_lshl_or_b32 v82, v74, 3, v80
	v_lshlrev_b32_e32 v3, 1, v83
	s_addc_u32 s0, s7, s1
	v_lshl_or_b32 v84, v82, 8, v3
	s_and_b32 s25, s0, 0xffff
	s_mov_b32 s27, 0x20000
	s_movk_i32 s26, 0x4000
	s_movk_i32 s0, 0x80
	v_or_b32_e32 v85, 0x2000, v84
	buffer_load_dwordx4 v[4:7], v84, s[24:27], 0 offen
	buffer_load_dwordx4 v[8:11], v84, s[24:27], s0 offen
	;; [unrolled: 1-line block ×4, first 2 shown]
	v_lshlrev_b32_e32 v20, 3, v82
	v_and_or_b32 v22, v0, 7, v20
	v_and_b32_e32 v20, 0x78, v20
	v_lshlrev_b32_e32 v22, 4, v22
	v_xor_b32_e32 v86, v22, v20
	v_mul_lo_u32 v21, v82, s19
	v_or_b32_e32 v87, 0x1000, v86
	s_cmpk_eq_i32 s19, 0x80
	s_mov_b32 s55, s18
	v_xor_b32_e32 v20, 8, v86
	v_xor_b32_e32 v22, 8, v87
	s_cselect_b64 s[0:1], -1, 0
	s_cmpk_lg_i32 s19, 0x80
	s_waitcnt vmcnt(3)
	ds_write_b64 v86, v[4:5] offset:49152
	ds_write_b64 v20, v[6:7] offset:49152
	s_waitcnt vmcnt(2)
	ds_write_b64 v86, v[8:9] offset:57344
	ds_write_b64 v20, v[10:11] offset:57344
	;; [unrolled: 3-line block ×4, first 2 shown]
	v_lshl_add_u32 v4, v21, 1, v83
	s_cbranch_scc0 .LBB125_3
; %bb.2:
	v_lshlrev_b32_e32 v6, 1, v4
	v_add_lshl_u32 v5, v4, s19, 1
	s_lshl_b32 s26, s19, 7
	v_lshl_or_b32 v3, v82, 9, v3
	s_cbranch_execz .LBB125_4
	s_branch .LBB125_5
.LBB125_3:
                                        ; implicit-def: $vgpr5
                                        ; implicit-def: $vgpr6
                                        ; implicit-def: $sgpr26
	v_lshl_or_b32 v3, v82, 9, v3
.LBB125_4:
	v_or_b32_e32 v5, 0x100, v3
	s_movk_i32 s26, 0x4000
	v_mov_b32_e32 v6, v3
.LBB125_5:
	s_mul_hi_u32 s24, s18, s16
	s_mul_i32 s25, s51, s16
	s_add_i32 s24, s24, s25
	s_mul_i32 s25, s18, s16
	s_mul_i32 s27, s25, s3
	s_mul_hi_u32 s28, s25, s49
	s_add_i32 s27, s28, s27
	s_mul_i32 s24, s24, s49
	s_add_i32 s27, s27, s24
	s_mul_i32 s25, s25, s49
	s_ashr_i32 s57, s54, 31
	s_add_u32 s24, s25, s54
	s_addc_u32 s25, s27, s57
	s_lshl_b64 s[24:25], s[24:25], 8
	s_add_u32 s24, s4, s24
	s_addc_u32 s25, s5, s25
	s_and_b32 s25, s25, 0xffff
	s_mov_b32 s27, 0x20000
	s_movk_i32 s58, 0x80
	buffer_load_dwordx4 v[8:11], v6, s[24:27], 0 offen
	buffer_load_dwordx4 v[12:15], v6, s[24:27], s58 offen
	;; [unrolled: 1-line block ×4, first 2 shown]
	v_and_b32_e32 v5, 6, v0
	v_lshlrev_b32_e32 v6, 7, v1
	v_xor_b32_e32 v27, v82, v5
	v_and_b32_e32 v7, 1, v0
	v_lshl_or_b32 v30, v78, 3, v6
	v_lshlrev_b32_e32 v27, 2, v27
	v_or_b32_e32 v88, 0x4000, v30
	v_or_b32_e32 v89, 0x6000, v30
	v_xor_b32_e32 v30, 0x440, v27
	v_cmp_eq_u32_e32 vcc, 0, v7
	v_lshlrev_b32_e32 v24, 2, v78
	s_mov_b32 s60, 0x1000504
	v_cndmask_b32_e32 v7, v30, v27, vcc
	v_xor_b32_e32 v28, v1, v24
	v_xor_b32_e32 v29, v81, v24
	v_lshl_or_b32 v5, v5, 10, v7
	s_mov_b32 s61, 0x3020706
	s_mul_i32 s24, s3, s16
	s_mul_hi_u32 s25, s49, s16
	v_lshlrev_b32_e32 v25, 8, v78
	v_or_b32_e32 v26, 16, v78
	v_lshlrev_b32_e32 v28, 1, v28
	v_lshlrev_b32_e32 v29, 1, v29
	v_xor_b32_e32 v7, 8, v5
	v_xor_b32_e32 v27, 24, v5
	;; [unrolled: 1-line block ×4, first 2 shown]
	v_or_b32_e32 v91, v25, v28
	v_or_b32_e32 v92, v25, v29
	v_xor_b32_e32 v25, 16, v5
	v_xor_b32_e32 v30, 32, v5
	;; [unrolled: 1-line block ×3, first 2 shown]
	v_add_u32_e32 v7, 0x80, v7
	v_add_u32_e32 v27, 0x80, v27
	;; [unrolled: 1-line block ×4, first 2 shown]
	s_add_i32 s63, s25, s24
	s_add_i32 s24, s46, s21
	s_mul_i32 s3, s3, s20
	s_add_i32 s39, s24, s3
	s_mul_i32 s3, s33, s23
	s_mul_hi_u32 s24, s33, s22
	s_add_i32 s3, s24, s3
	s_mul_i32 s24, s56, s22
	s_add_i32 s25, s3, s24
	s_lshl_b64 s[28:29], s[38:39], 2
	s_mul_i32 s24, s33, s22
	s_add_u32 s3, s10, s28
	s_addc_u32 s28, s11, s29
	s_lshl_b64 s[24:25], s[24:25], 2
	s_add_u32 s42, s3, s24
	s_movk_i32 s3, 0xf8
	s_addc_u32 s43, s28, s25
	s_lshl_b32 s30, s19, 7
	s_movk_i32 s28, 0x100
	v_mov_b32_e32 v67, 0
	v_lshlrev_b32_e32 v66, 4, v78
	v_cmp_gt_u32_e32 vcc, s28, v0
	v_lshl_or_b32 v31, v26, 3, v6
	s_mov_b32 s59, 0
	s_mul_i32 s62, s49, s16
	v_or_b32_e32 v90, 0x4000, v31
	s_movk_i32 s26, 0x4000
	v_or_b32_e32 v93, 0x6000, v31
	v_add_u32_e32 v128, v75, v2
	s_movk_i32 s39, 0x2000
	s_movk_i32 s64, 0x3000
	v_mov_b32_e32 v133, 0x3fb8aa3b
	s_mov_b32 s66, 0
	v_mov_b32_e32 v62, v67
	v_mov_b32_e32 v63, v67
	;; [unrolled: 1-line block ×9, first 2 shown]
	s_waitcnt vmcnt(1)
	v_perm_b32 v35, v8, v16, s60
	s_waitcnt vmcnt(0)
	v_perm_b32 v36, v12, v20, s60
	v_perm_b32 v8, v8, v16, s61
	;; [unrolled: 1-line block ×15, first 2 shown]
	ds_write2st64_b32 v5, v35, v36 offset0:128 offset1:160
	ds_write2st64_b32 v7, v8, v12 offset0:128 offset1:160
	;; [unrolled: 1-line block ×8, first 2 shown]
	v_lshlrev_b32_e32 v5, 8, v26
	v_or_b32_e32 v94, v5, v28
	v_or_b32_e32 v95, v5, v29
	;; [unrolled: 1-line block ×3, first 2 shown]
	v_lshl_or_b32 v7, v5, 3, v6
	v_lshlrev_b32_e32 v5, 8, v5
	v_or_b32_e32 v98, v5, v28
	v_or_b32_e32 v99, v5, v29
	;; [unrolled: 1-line block ×5, first 2 shown]
	v_lshl_or_b32 v7, v5, 3, v6
	v_lshlrev_b32_e32 v5, 8, v5
	v_or_b32_e32 v102, v5, v28
	v_or_b32_e32 v103, v5, v29
	;; [unrolled: 1-line block ×3, first 2 shown]
	v_lshlrev_b32_e32 v5, 3, v5
	v_lshrrev_b32_e32 v9, 5, v76
	v_and_or_b32 v9, v5, s3, v9
	v_lshlrev_b32_e32 v9, 4, v9
	v_or_b32_e32 v100, 0x4000, v7
	v_or_b32_e32 v101, 0x6000, v7
	v_lshlrev_b32_e32 v7, 11, v74
	v_and_b32_e32 v5, 0x78, v5
	v_or_b32_e32 v14, 32, v9
	v_and_b32_e32 v8, 0x1000, v7
	v_xor_b32_e32 v10, v9, v5
	v_lshrrev_b32_e32 v11, 1, v0
	v_xor_b32_e32 v14, v14, v5
	v_or_b32_e32 v10, v10, v8
	v_and_b32_e32 v12, 8, v11
	v_or_b32_e32 v14, v14, v8
	v_xor_b32_e32 v104, v10, v12
	v_lshlrev_b32_e32 v10, 8, v77
	v_xor_b32_e32 v106, v14, v12
	v_or_b32_e32 v14, 64, v9
	v_or_b32_e32 v9, 0x60, v9
	;; [unrolled: 1-line block ×3, first 2 shown]
	v_xor_b32_e32 v14, v14, v5
	v_xor_b32_e32 v5, v9, v5
	s_ashr_i32 s3, s2, 31
	v_lshlrev_b32_e32 v13, 1, v13
	v_or_b32_e32 v14, v14, v8
	v_or_b32_e32 v5, v5, v8
	s_lshl_b64 s[24:25], s[2:3], 8
	v_or_b32_e32 v105, 0x4000, v13
	v_or_b32_e32 v107, 0x4080, v13
	;; [unrolled: 1-line block ×4, first 2 shown]
	v_xor_b32_e32 v110, v14, v12
	v_xor_b32_e32 v111, v5, v12
	v_or_b32_e32 v112, 0x6000, v13
	v_or_b32_e32 v113, 0x6080, v13
	;; [unrolled: 1-line block ×4, first 2 shown]
	v_lshlrev_b32_e32 v12, 1, v4
	v_add_lshl_u32 v13, v4, s19, 1
	s_waitcnt lgkmcnt(0)
	s_add_u32 s24, s12, s24
	v_lshlrev_b32_e32 v4, 1, v78
	v_lshrrev_b32_e32 v15, 4, v0
	s_addc_u32 s25, s13, s25
	v_or_b32_e32 v5, 1, v4
	v_mov_b32_e32 v19, 0xa000
	v_mov_b32_e32 v20, 0x8000
	v_xor_b32_e32 v16, v15, v4
	v_xor_b32_e32 v17, v5, v15
	v_lshl_add_u64 v[4:5], s[24:25], 0, v[66:67]
	v_lshlrev_b32_e32 v66, 8, v15
	v_cndmask_b32_e32 v19, v19, v20, vcc
	v_lshlrev_b32_e32 v20, 3, v74
	v_and_b32_e32 v11, 24, v11
	v_lshl_or_b32 v116, v16, 3, v66
	v_and_b32_e32 v16, 8, v0
	v_xor_b32_e32 v21, v20, v11
	v_or_b32_e32 v22, 0x440, v21
	v_cmp_eq_u32_e32 vcc, 0, v16
	v_and_b32_e32 v15, 7, v0
	v_lshl_or_b32 v117, v17, 3, v66
	v_cndmask_b32_e32 v16, v22, v21, vcc
	v_lshlrev_b32_e32 v17, 3, v15
	v_lshlrev_b32_e32 v15, 7, v15
	v_or_b32_e32 v16, v16, v7
	v_lshlrev_b32_e32 v18, 2, v0
	v_xad_u32 v118, v16, v17, v15
	v_or_b32_e32 v16, 32, v11
	v_and_or_b32 v10, v18, 60, v10
	v_xor_b32_e32 v16, v20, v16
	v_lshlrev_b32_e32 v10, 1, v10
	v_or_b32_e32 v18, 0x440, v16
	v_or_b32_e32 v119, 0x6000, v10
	v_cndmask_b32_e32 v16, v18, v16, vcc
	v_or_b32_e32 v121, 0x6080, v10
	v_or_b32_e32 v122, 0x6100, v10
	;; [unrolled: 1-line block ×5, first 2 shown]
	v_xor_b32_e32 v10, v20, v10
	v_xad_u32 v120, v16, v17, v15
	v_xor_b32_e32 v16, 0x440, v10
	v_cndmask_b32_e32 v10, v16, v10, vcc
	v_or_b32_e32 v10, v10, v7
	v_xad_u32 v124, v10, v17, v15
	v_or_b32_e32 v10, 0x60, v11
	v_xor_b32_e32 v10, v20, v10
	v_xor_b32_e32 v11, 0x440, v10
	v_or_b32_e32 v8, s2, v78
	v_cndmask_b32_e32 v10, v11, v10, vcc
	v_ashrrev_i32_e32 v9, 31, v8
	v_or_b32_e32 v7, v10, v7
	v_or_b32_e32 v14, 0x100, v3
	v_xad_u32 v125, v7, v17, v15
	v_lshlrev_b64 v[8:9], 1, v[8:9]
	v_cndmask_b32_e64 v126, v12, v3, s[0:1]
	v_cndmask_b32_e64 v127, v13, v14, s[0:1]
	v_lshl_add_u64 v[68:69], s[8:9], 0, v[8:9]
	v_lshl_add_u64 v[70:71], s[14:15], 0, v[8:9]
	;; [unrolled: 1-line block ×3, first 2 shown]
	s_mov_b32 s3, 0x7060302
	v_lshlrev_b32_e32 v66, 1, v6
	v_add_u32_e32 v129, v19, v118
	v_add_u32_e32 v130, v19, v120
	;; [unrolled: 1-line block ×4, first 2 shown]
	v_mov_b32_e32 v55, v67
	v_mov_b32_e32 v56, v67
	v_mov_b32_e32 v57, v67
	v_mov_b32_e32 v50, v67
	v_mov_b32_e32 v51, v67
	v_mov_b32_e32 v52, v67
	v_mov_b32_e32 v53, v67
	v_mov_b32_e32 v46, v67
	v_mov_b32_e32 v47, v67
	v_mov_b32_e32 v48, v67
	v_mov_b32_e32 v49, v67
	v_mov_b32_e32 v42, v67
	v_mov_b32_e32 v43, v67
	v_mov_b32_e32 v44, v67
	v_mov_b32_e32 v45, v67
	v_mov_b32_e32 v38, v67
	v_mov_b32_e32 v39, v67
	v_mov_b32_e32 v40, v67
	v_mov_b32_e32 v41, v67
	v_mov_b32_e32 v36, v67
	v_mov_b32_e32 v37, v67
	v_mov_b32_e32 v34, v67
	v_mov_b32_e32 v35, v67
	s_barrier
	s_branch .LBB125_7
.LBB125_6:                              ;   in Loop: Header=BB125_7 Depth=1
	s_waitcnt vmcnt(6)
	v_mul_f32_e32 v22, s44, v133
	v_exp_f32_e32 v134, v22
	v_accvgpr_read_b32 v5, a3
	v_accvgpr_read_b32 v9, a7
	;; [unrolled: 1-line block ×4, first 2 shown]
	s_waitcnt vmcnt(4)
	v_accvgpr_read_b32 v18, a20
	v_accvgpr_read_b32 v25, a19
	v_accvgpr_read_b32 v29, a27
	v_accvgpr_read_b32 v33, a31
	v_accvgpr_read_b32 v4, a2
	v_accvgpr_read_b32 v3, a1
	v_accvgpr_read_b32 v2, a0
	v_accvgpr_read_b32 v8, a6
	v_accvgpr_read_b32 v7, a5
	v_accvgpr_read_b32 v6, a4
	v_accvgpr_read_b32 v12, a10
	v_accvgpr_read_b32 v11, a9
	v_accvgpr_read_b32 v10, a8
	v_accvgpr_read_b32 v16, a14
	v_accvgpr_read_b32 v15, a13
	v_accvgpr_read_b32 v14, a12
	v_accvgpr_read_b32 v19, a21
	v_accvgpr_read_b32 v20, a22
	v_accvgpr_read_b32 v21, a23
	v_accvgpr_read_b32 v24, a18
	v_accvgpr_read_b32 v23, a17
	v_accvgpr_read_b32 v22, a16
	v_accvgpr_read_b32 v28, a26
	v_accvgpr_read_b32 v27, a25
	v_accvgpr_read_b32 v26, a24
	v_accvgpr_read_b32 v32, a30
	v_accvgpr_read_b32 v31, a29
	v_accvgpr_read_b32 v30, a28
	s_add_i32 s59, s59, 64
	v_pk_fma_f32 v[62:63], v[134:135], v[62:63], v[2:3] op_sel_hi:[0,1,1]
	v_pk_fma_f32 v[64:65], v[134:135], v[64:65], v[4:5] op_sel_hi:[0,1,1]
	;; [unrolled: 1-line block ×16, first 2 shown]
	s_cmp_eq_u32 s50, s65
	s_mov_b32 s66, s65
	s_cbranch_scc1 .LBB125_17
.LBB125_7:                              ; =>This Inner Loop Header: Depth=1
	s_add_i32 s65, s66, 1
	s_cmp_lt_i32 s65, s50
	s_mov_b64 s[28:29], 0
	s_cselect_b64 s[44:45], -1, 0
	s_cmp_ge_i32 s65, s50
	s_mov_b64 s[24:25], 0
	s_cbranch_scc1 .LBB125_9
; %bb.8:                                ;   in Loop: Header=BB125_7 Depth=1
	s_add_i32 s0, s59, 64
	s_add_u32 s0, s40, s0
	s_addc_u32 s1, s41, 0
	s_lshl_b64 s[0:1], s[0:1], 8
	s_add_u32 s24, s6, s0
	s_addc_u32 s25, s7, s1
.LBB125_9:                              ;   in Loop: Header=BB125_7 Depth=1
	v_cndmask_b32_e64 v2, 0, 1, s[44:45]
	v_cmp_ne_u32_e64 s[0:1], 1, v2
	s_andn2_b64 vcc, exec, s[44:45]
	s_cbranch_vccnz .LBB125_11
; %bb.10:                               ;   in Loop: Header=BB125_7 Depth=1
	s_add_i32 s28, s59, 64
	s_add_u32 s28, s62, s28
	s_addc_u32 s29, s63, 0
	s_mul_i32 s31, s28, s51
	s_mul_hi_u32 s44, s28, s55
	s_add_i32 s31, s44, s31
	s_mul_i32 s29, s29, s55
	s_add_i32 s31, s31, s29
	s_mul_i32 s28, s28, s55
	s_add_u32 s28, s28, s54
	s_addc_u32 s29, s31, s57
	s_lshl_b64 s[28:29], s[28:29], 8
	s_add_u32 s28, s4, s28
	s_addc_u32 s29, s5, s29
.LBB125_11:                             ;   in Loop: Header=BB125_7 Depth=1
	v_perm_b32 v3, v65, v64, s3
	v_perm_b32 v2, v63, v62, s3
	v_perm_b32 v5, v61, v60, s3
	v_perm_b32 v4, v59, v58, s3
	ds_write_b64 v88, v[2:3]
	ds_write_b64 v89, v[4:5]
	ds_write_b64 v91, v[2:3]
	ds_write_b64 v92, v[4:5]
	v_perm_b32 v3, v57, v56, s3
	v_perm_b32 v2, v55, v54, s3
	v_perm_b32 v5, v53, v52, s3
	v_perm_b32 v4, v51, v50, s3
	ds_write_b64 v90, v[2:3]
	ds_write_b64 v93, v[4:5]
	ds_write_b64 v94, v[2:3]
	ds_write_b64 v95, v[4:5]
	;; [unrolled: 8-line block ×4, first 2 shown]
	s_waitcnt lgkmcnt(0)
	s_barrier
	ds_read_b64 v[6:7], v104 offset:49152
	ds_read2_b64 v[2:5], v105 offset1:16
	ds_read_b64 v[18:19], v107 offset:6144
	ds_read_b64 v[20:21], v105 offset:6144
	s_waitcnt lgkmcnt(2)
	v_mfma_f32_16x16x16_bf16 a[0:3], v[6:7], v[2:3], 0
	ds_read_b64 v[22:23], v106 offset:49152
	ds_read2st64_b64 v[10:13], v108 offset0:4 offset1:8
	ds_read2st64_b64 v[14:17], v109 offset0:4 offset1:8
	v_mfma_f32_16x16x16_bf16 a[4:7], v[6:7], v[4:5], 0
	ds_read2_b64 v[2:5], v105 offset0:32 offset1:48
	s_add_i32 s31, s59, 63
	s_mul_i32 s44, s31, s37
	s_waitcnt lgkmcnt(0)
	v_mfma_f32_16x16x16_bf16 a[8:11], v[6:7], v[2:3], 0
	s_mul_hi_u32 s45, s31, s36
	s_add_i32 s45, s45, s44
	s_mul_i32 s44, s31, s36
	v_mfma_f32_16x16x16_bf16 a[12:15], v[6:7], v[4:5], 0
	ds_read2st64_b64 v[2:5], v105 offset0:4 offset1:8
	ds_read2st64_b64 v[6:9], v107 offset0:4 offset1:8
	s_lshl_b64 s[44:45], s[44:45], 2
	s_waitcnt lgkmcnt(1)
	v_mfma_f32_16x16x16_bf16 a[0:3], v[22:23], v[2:3], a[0:3]
	s_add_u32 s44, s42, s44
	s_addc_u32 s45, s43, s45
	s_and_b64 vcc, exec, s[0:1]
	s_waitcnt lgkmcnt(0)
	v_mfma_f32_16x16x16_bf16 a[4:7], v[22:23], v[6:7], a[4:7]
	v_mov_b32_e32 v136, 0
	v_mov_b32_e32 v135, 0
	;; [unrolled: 1-line block ×3, first 2 shown]
	v_mfma_f32_16x16x16_bf16 a[8:11], v[22:23], v[10:11], a[8:11]
	ds_read_b64 v[2:3], v110 offset:49152
	ds_read_b64 v[6:7], v111 offset:49152
	;; [unrolled: 1-line block ×3, first 2 shown]
	v_mfma_f32_16x16x16_bf16 a[12:15], v[22:23], v[14:15], a[12:15]
	v_mov_b32_e32 v14, 0
	v_mov_b32_e32 v15, 0
	s_waitcnt lgkmcnt(2)
	v_mfma_f32_16x16x16_bf16 a[0:3], v[2:3], v[4:5], a[0:3]
	v_mov_b32_e32 v4, 0
	v_mov_b32_e32 v5, 0
	v_mfma_f32_16x16x16_bf16 a[4:7], v[2:3], v[8:9], a[4:7]
	v_mov_b32_e32 v8, 0
	v_mov_b32_e32 v9, 0
	;; [unrolled: 3-line block ×3, first 2 shown]
	v_mfma_f32_16x16x16_bf16 a[12:15], v[2:3], v[16:17], a[12:15]
	ds_read_b64 v[2:3], v108 offset:6144
	v_mov_b32_e32 v16, 0
	v_mov_b32_e32 v17, 0
	s_waitcnt lgkmcnt(2)
	v_mfma_f32_16x16x16_bf16 a[0:3], v[6:7], v[20:21], a[0:3]
	v_mfma_f32_16x16x16_bf16 a[4:7], v[6:7], v[18:19], a[4:7]
	s_waitcnt lgkmcnt(0)
	v_mfma_f32_16x16x16_bf16 a[8:11], v[6:7], v[2:3], a[8:11]
	v_mov_b32_e32 v2, 0
	v_mov_b32_e32 v3, 0
	v_mfma_f32_16x16x16_bf16 a[12:15], v[6:7], v[10:11], a[12:15]
	v_mov_b32_e32 v6, 0
	v_mov_b32_e32 v7, 0
	v_mov_b32_e32 v10, 0
	v_mov_b32_e32 v11, 0
	s_cbranch_vccnz .LBB125_13
; %bb.12:                               ;   in Loop: Header=BB125_7 Depth=1
	s_and_b32 s25, s25, 0xffff
	buffer_load_dwordx4 v[14:17], v84, s[24:27], 0 offen
	buffer_load_dwordx4 v[10:13], v84, s[24:27], s58 offen
	;; [unrolled: 1-line block ×4, first 2 shown]
	v_mov_b32_e32 v135, v86
	v_mov_b32_e32 v134, v87
.LBB125_13:                             ;   in Loop: Header=BB125_7 Depth=1
	ds_read_b64 v[142:143], v104 offset:57344
	ds_read2_b64 v[18:21], v112 offset1:16
	ds_read_b64 v[144:145], v106 offset:57344
	ds_read_b64 v[146:147], v110 offset:57344
	ds_read_b64 v[148:149], v111 offset:57344
	v_add_u32_e32 v137, s59, v128
	s_waitcnt lgkmcnt(3)
	v_mfma_f32_16x16x16_bf16 a[0:3], v[142:143], v[18:19], a[0:3]
	v_mfma_f32_16x16x16_bf16 a[4:7], v[142:143], v[20:21], a[4:7]
	ds_read2_b64 v[18:21], v112 offset0:32 offset1:48
	ds_read2st64_b64 v[22:25], v112 offset0:4 offset1:8
	ds_read2st64_b64 v[26:29], v113 offset0:4 offset1:8
	;; [unrolled: 1-line block ×4, first 2 shown]
	s_waitcnt lgkmcnt(4)
	v_mfma_f32_16x16x16_bf16 a[8:11], v[142:143], v[18:19], a[8:11]
	v_ashrrev_i32_e32 v18, 31, v137
	v_mfma_f32_16x16x16_bf16 a[12:15], v[142:143], v[20:21], a[12:15]
	v_mul_lo_u32 v20, v18, s36
	v_mul_lo_u32 v21, v137, s37
	v_mad_u64_u32 v[18:19], s[24:25], v137, s36, 0
	v_add3_u32 v19, v19, v21, v20
	v_add_u32_e32 v20, 1, v137
	v_ashrrev_i32_e32 v21, 31, v20
	s_waitcnt lgkmcnt(3)
	v_mfma_f32_16x16x16_bf16 a[0:3], v[144:145], v[22:23], a[0:3]
	v_mul_lo_u32 v22, v21, s36
	v_mul_lo_u32 v23, v20, s37
	v_mad_u64_u32 v[20:21], s[24:25], v20, s36, 0
	v_add3_u32 v21, v21, v23, v22
	v_add_u32_e32 v22, 2, v137
	v_ashrrev_i32_e32 v23, 31, v22
	s_waitcnt lgkmcnt(2)
	v_mfma_f32_16x16x16_bf16 a[4:7], v[144:145], v[26:27], a[4:7]
	v_mul_lo_u32 v26, v23, s36
	v_mul_lo_u32 v27, v22, s37
	v_mad_u64_u32 v[22:23], s[24:25], v22, s36, 0
	v_add3_u32 v23, v23, v27, v26
	v_add_u32_e32 v26, 3, v137
	v_lshl_add_u64 v[18:19], v[18:19], 2, s[42:43]
	v_lshl_add_u64 v[20:21], v[20:21], 2, s[42:43]
	v_ashrrev_i32_e32 v27, 31, v26
	s_waitcnt lgkmcnt(1)
	v_mfma_f32_16x16x16_bf16 a[8:11], v[144:145], v[30:31], a[8:11]
	v_mul_lo_u32 v27, v27, s36
	global_load_dword v30, v[18:19], off
	global_load_dword v137, v[20:21], off
	v_mul_lo_u32 v31, v26, s37
	v_mad_u64_u32 v[18:19], s[24:25], v26, s36, 0
	v_add3_u32 v19, v19, v31, v27
	s_add_u32 s24, s40, s59
	v_lshl_add_u64 v[22:23], v[22:23], 2, s[42:43]
	v_lshl_add_u64 v[18:19], v[18:19], 2, s[42:43]
	s_addc_u32 s25, s41, 0
	s_waitcnt lgkmcnt(0)
	v_mfma_f32_16x16x16_bf16 a[12:15], v[144:145], v[138:139], a[12:15]
	global_load_dword v31, v[22:23], off
	global_load_dword v138, v[18:19], off
	s_lshl_b64 s[24:25], s[24:25], 8
	v_lshl_add_u64 v[18:19], v[68:69], 0, s[24:25]
	v_lshl_add_u64 v[18:19], v[18:19], 0, v[66:67]
	global_load_ushort v139, v[18:19], off offset:256
	global_load_ushort v142, v[18:19], off
	global_load_ushort v143, v[18:19], off offset:768
	global_load_ushort v144, v[18:19], off offset:512
	;; [unrolled: 1-line block ×6, first 2 shown]
	s_load_dword s44, s[44:45], 0x0
	v_mfma_f32_16x16x16_bf16 a[12:15], v[146:147], v[140:141], a[12:15]
	global_load_ushort v140, v[18:19], off offset:320
	global_load_ushort v141, v[18:19], off offset:64
	s_and_b64 vcc, exec, s[0:1]
	v_mfma_f32_16x16x16_bf16 a[0:3], v[146:147], v[24:25], a[0:3]
	ds_read_b64 v[20:21], v112 offset:6144
	ds_read_b64 v[22:23], v113 offset:6144
	ds_read_b64 v[24:25], v114 offset:6144
	ds_read_b64 v[26:27], v115 offset:6144
	v_mfma_f32_16x16x16_bf16 a[4:7], v[146:147], v[28:29], a[4:7]
	s_waitcnt vmcnt(11) lgkmcnt(0)
	v_sub_f32_e32 v28, s44, v31
	v_mfma_f32_16x16x16_bf16 a[8:11], v[146:147], v[32:33], a[8:11]
	global_load_ushort v146, v[18:19], off offset:832
	global_load_ushort v147, v[18:19], off offset:576
	;; [unrolled: 1-line block ×6, first 2 shown]
	v_mfma_f32_16x16x16_bf16 a[0:3], v[148:149], v[20:21], a[0:3]
	s_waitcnt vmcnt(16)
	v_sub_f32_e32 v29, s44, v138
	v_mul_f32_e32 v28, 0x3fb8aa3b, v28
	v_mul_f32_e32 v29, 0x3fb8aa3b, v29
	v_exp_f32_e32 v28, v28
	v_exp_f32_e32 v29, v29
	s_waitcnt vmcnt(15)
	v_lshlrev_b32_e32 v33, 16, v139
	s_waitcnt vmcnt(14)
	v_lshlrev_b32_e32 v32, 16, v142
	v_accvgpr_read_b32 v21, a3
	v_accvgpr_read_b32 v20, a2
	v_mfma_f32_16x16x16_bf16 a[2:5], v[148:149], v[22:23], a[4:7]
	v_accvgpr_read_b32 v139, a1
	v_accvgpr_read_b32 v138, a0
	v_pk_add_f32 v[32:33], v[32:33], v[138:139] neg_lo:[0,1] neg_hi:[0,1]
	v_mfma_f32_16x16x16_bf16 a[6:9], v[148:149], v[24:25], a[8:11]
	s_waitcnt vmcnt(13)
	v_lshlrev_b32_e32 v139, 16, v143
	s_waitcnt vmcnt(12)
	v_lshlrev_b32_e32 v138, 16, v144
	v_pk_add_f32 v[20:21], v[138:139], v[20:21] neg_lo:[0,1] neg_hi:[0,1]
	v_accvgpr_read_b32 v139, a3
	v_accvgpr_read_b32 v138, a2
	;; [unrolled: 1-line block ×6, first 2 shown]
	v_mfma_f32_16x16x16_bf16 a[8:11], v[148:149], v[26:27], a[12:15]
	v_sub_f32_e32 v26, s44, v30
	v_sub_f32_e32 v27, s44, v137
	v_mul_f32_e32 v26, 0x3fb8aa3b, v26
	v_mul_f32_e32 v27, 0x3fb8aa3b, v27
	v_exp_f32_e32 v26, v26
	v_exp_f32_e32 v27, v27
	v_lshl_add_u64 v[30:31], v[70:71], 0, s[24:25]
	v_lshl_add_u64 v[30:31], v[30:31], 0, v[66:67]
	global_store_short_d16_hi v[30:31], v32, off
	global_store_short_d16_hi v[30:31], v33, off offset:256
	global_store_short_d16_hi v[30:31], v20, off offset:512
	;; [unrolled: 1-line block ×3, first 2 shown]
	v_pk_mul_f32 v[32:33], v[26:27], v[32:33]
	v_pk_mul_f32 v[20:21], v[28:29], v[20:21]
	v_accvgpr_read_b32 v25, a11
	v_perm_b32 v21, v21, v20, s3
	v_perm_b32 v20, v33, v32, s3
	s_waitcnt vmcnt(15)
	v_lshlrev_b32_e32 v33, 16, v145
	s_waitcnt vmcnt(14)
	v_lshlrev_b32_e32 v32, 16, v150
	v_pk_add_f32 v[32:33], v[32:33], v[138:139] neg_lo:[0,1] neg_hi:[0,1]
	s_waitcnt vmcnt(13)
	v_lshlrev_b32_e32 v139, 16, v151
	s_waitcnt vmcnt(12)
	v_lshlrev_b32_e32 v138, 16, v152
	v_pk_add_f32 v[22:23], v[138:139], v[22:23] neg_lo:[0,1] neg_hi:[0,1]
	global_store_short_d16_hi v[30:31], v32, off offset:32
	global_store_short_d16_hi v[30:31], v33, off offset:288
	;; [unrolled: 1-line block ×4, first 2 shown]
	v_pk_mul_f32 v[32:33], v[26:27], v[32:33]
	v_pk_mul_f32 v[22:23], v[28:29], v[22:23]
	v_accvgpr_read_b32 v24, a10
	v_perm_b32 v23, v23, v22, s3
	v_perm_b32 v22, v33, v32, s3
	ds_write2_b64 v89, v[20:21], v[22:23] offset1:16
	v_accvgpr_read_b32 v23, a7
	s_waitcnt vmcnt(15)
	v_lshlrev_b32_e32 v21, 16, v140
	s_waitcnt vmcnt(14)
	v_lshlrev_b32_e32 v20, 16, v141
	v_accvgpr_read_b32 v22, a6
	v_pk_add_f32 v[20:21], v[20:21], v[22:23] neg_lo:[0,1] neg_hi:[0,1]
	global_store_short_d16_hi v[30:31], v20, off offset:64
	global_store_short_d16_hi v[30:31], v21, off offset:320
	v_pk_mul_f32 v[20:21], v[26:27], v[20:21]
	v_mov_b32_e32 v137, 0
	v_perm_b32 v20, v21, v20, s3
	v_mov_b32_e32 v32, 0
	v_mov_b32_e32 v33, 0
	s_waitcnt vmcnt(15)
	v_lshlrev_b32_e32 v23, 16, v146
	s_waitcnt vmcnt(14)
	v_lshlrev_b32_e32 v22, 16, v147
	v_pk_add_f32 v[18:19], v[22:23], v[18:19] neg_lo:[0,1] neg_hi:[0,1]
	global_store_short_d16_hi v[30:31], v18, off offset:576
	global_store_short_d16_hi v[30:31], v19, off offset:832
	v_pk_mul_f32 v[18:19], v[28:29], v[18:19]
	v_accvgpr_read_b32 v23, a9
	v_perm_b32 v21, v19, v18, s3
	s_waitcnt vmcnt(15)
	v_lshlrev_b32_e32 v19, 16, v153
	s_waitcnt vmcnt(14)
	v_lshlrev_b32_e32 v18, 16, v154
	v_accvgpr_read_b32 v22, a8
	v_pk_add_f32 v[18:19], v[18:19], v[22:23] neg_lo:[0,1] neg_hi:[0,1]
	s_waitcnt vmcnt(13)
	v_lshlrev_b32_e32 v23, 16, v155
	s_waitcnt vmcnt(12)
	v_lshlrev_b32_e32 v22, 16, v156
	v_pk_add_f32 v[22:23], v[22:23], v[24:25] neg_lo:[0,1] neg_hi:[0,1]
	global_store_short_d16_hi v[30:31], v18, off offset:96
	global_store_short_d16_hi v[30:31], v19, off offset:352
	;; [unrolled: 1-line block ×4, first 2 shown]
	v_pk_mul_f32 v[18:19], v[26:27], v[18:19]
	v_pk_mul_f32 v[22:23], v[28:29], v[22:23]
	v_mov_b32_e32 v24, 0
	v_perm_b32 v23, v23, v22, s3
	v_perm_b32 v22, v19, v18, s3
	ds_write2_b64 v89, v[20:21], v[22:23] offset0:32 offset1:48
	v_mov_b32_e32 v18, 0
	v_mov_b32_e32 v19, 0
	;; [unrolled: 1-line block ×13, first 2 shown]
	s_cbranch_vccnz .LBB125_15
; %bb.14:                               ;   in Loop: Header=BB125_7 Depth=1
	s_and_b32 s29, s29, 0xffff
	s_mov_b32 s31, s27
	buffer_load_dwordx4 v[30:33], v126, s[28:31], 0 offen
	buffer_load_dwordx4 v[22:25], v126, s[28:31], s58 offen
	;; [unrolled: 1-line block ×4, first 2 shown]
	v_mov_b32_e32 v136, v83
	v_mov_b32_e32 v137, v82
.LBB125_15:                             ;   in Loop: Header=BB125_7 Depth=1
	s_waitcnt lgkmcnt(0)
	s_barrier
	ds_read_b64 v[146:147], v129
	ds_read2_b64 v[138:141], v119 offset1:16
	ds_read_b64 v[162:163], v130
	ds_read_b64 v[164:165], v131
	;; [unrolled: 1-line block ×3, first 2 shown]
	ds_read2_b64 v[142:145], v119 offset0:32 offset1:48
	s_waitcnt lgkmcnt(4)
	v_mfma_f32_16x16x16_bf16 a[0:3], v[146:147], v[138:139], 0
	ds_read2st64_b64 v[150:153], v121 offset0:4 offset1:8
	ds_read2st64_b64 v[154:157], v122 offset0:4 offset1:8
	;; [unrolled: 1-line block ×3, first 2 shown]
	v_mfma_f32_16x16x16_bf16 a[4:7], v[146:147], v[140:141], 0
	s_add_i32 s24, s52, s66
	s_mul_hi_i32 s25, s24, s17
	s_mul_i32 s24, s24, s17
	s_waitcnt lgkmcnt(3)
	v_mfma_f32_16x16x16_bf16 a[8:11], v[146:147], v[142:143], 0
	s_add_u32 s24, s24, s33
	s_addc_u32 s25, s25, s56
	s_lshl_b64 s[24:25], s[24:25], 15
	v_mfma_f32_16x16x16_bf16 a[12:15], v[146:147], v[144:145], 0
	ds_read2st64_b64 v[146:149], v119 offset0:4 offset1:8
	s_waitcnt lgkmcnt(0)
	v_mfma_f32_16x16x16_bf16 a[0:3], v[162:163], v[146:147], a[0:3]
	v_mfma_f32_16x16x16_bf16 a[4:7], v[162:163], v[150:151], a[4:7]
	;; [unrolled: 1-line block ×8, first 2 shown]
	ds_read_b64 v[162:163], v119 offset:6144
	ds_read_b64 v[164:165], v120 offset:40960
	;; [unrolled: 1-line block ×8, first 2 shown]
	s_waitcnt lgkmcnt(5)
	v_mfma_f32_16x16x16_bf16 a[16:19], v[168:169], v[138:139], 0
	v_mfma_f32_16x16x16_bf16 a[20:23], v[168:169], v[140:141], 0
	ds_read2st64_b64 v[138:141], v116 offset1:8
	v_mfma_f32_16x16x16_bf16 a[24:27], v[168:169], v[142:143], 0
	v_mfma_f32_16x16x16_bf16 a[28:31], v[168:169], v[144:145], 0
	ds_read2st64_b64 v[142:145], v117 offset1:8
	v_mfma_f32_16x16x16_bf16 a[16:19], v[164:165], v[146:147], a[16:19]
	s_waitcnt lgkmcnt(1)
	v_mov_b32_e32 v146, v138
	v_mov_b32_e32 v147, v139
	v_mfma_f32_16x16x16_bf16 a[20:23], v[164:165], v[150:151], a[20:23]
	v_lshl_add_u64 v[150:151], v[72:73], 0, s[24:25]
	v_mfma_f32_16x16x16_bf16 a[24:27], v[164:165], v[154:155], a[24:27]
	v_mfma_f32_16x16x16_bf16 a[28:31], v[164:165], v[158:159], a[28:31]
	;; [unrolled: 1-line block ×3, first 2 shown]
	s_waitcnt lgkmcnt(0)
	v_mov_b32_e32 v148, v142
	v_mov_b32_e32 v149, v143
	;; [unrolled: 1-line block ×3, first 2 shown]
	v_mfma_f32_16x16x16_bf16 a[32:35], v[176:177], v[152:153], a[20:23]
	v_mov_b32_e32 v143, v141
	ds_read2st64_b64 v[138:141], v116 offset0:16 offset1:24
	global_store_dwordx4 v[150:151], v[146:149], off
	v_mfma_f32_16x16x16_bf16 a[24:27], v[176:177], v[156:157], a[24:27]
	ds_read2st64_b64 v[146:149], v117 offset0:16 offset1:24
	v_add_co_u32_e32 v152, vcc, s39, v150
	v_mfma_f32_16x16x16_bf16 a[28:31], v[176:177], v[160:161], a[28:31]
	s_nop 0
	v_addc_co_u32_e32 v153, vcc, 0, v151, vcc
	global_store_dwordx4 v[152:153], v[142:145], off offset:-4096
	v_mfma_f32_16x16x16_bf16 a[0:3], v[166:167], v[162:163], a[0:3]
	s_waitcnt lgkmcnt(1)
	v_mov_b32_e32 v142, v138
	v_add_co_u32_e32 v138, vcc, s64, v150
	v_mfma_f32_16x16x16_bf16 a[4:7], v[166:167], v[170:171], a[4:7]
	v_mov_b32_e32 v143, v139
	v_addc_co_u32_e32 v139, vcc, 0, v151, vcc
	v_mfma_f32_16x16x16_bf16 a[8:11], v[166:167], v[172:173], a[8:11]
	s_waitcnt lgkmcnt(0)
	v_mov_b32_e32 v144, v146
	v_mov_b32_e32 v145, v147
	;; [unrolled: 1-line block ×3, first 2 shown]
	v_mfma_f32_16x16x16_bf16 a[12:15], v[166:167], v[174:175], a[12:15]
	v_mov_b32_e32 v147, v141
	s_and_b64 vcc, exec, s[0:1]
	global_store_dwordx4 v[152:153], v[142:145], off
	v_mfma_f32_16x16x16_bf16 a[20:23], v[178:179], v[162:163], a[16:19]
	global_store_dwordx4 v[138:139], v[146:149], off
	v_mfma_f32_16x16x16_bf16 a[16:19], v[178:179], v[170:171], a[32:35]
	v_mfma_f32_16x16x16_bf16 a[24:27], v[178:179], v[172:173], a[24:27]
	;; [unrolled: 1-line block ×3, first 2 shown]
	s_cbranch_vccnz .LBB125_6
; %bb.16:                               ;   in Loop: Header=BB125_7 Depth=1
	v_lshrrev_b32_e32 v138, 3, v136
	v_and_b32_e32 v138, 6, v138
	v_xor_b32_e32 v137, v138, v137
	v_lshlrev_b32_e32 v137, 2, v137
	v_and_b32_e32 v136, 8, v136
	v_xor_b32_e32 v139, 0x440, v137
	v_cmp_eq_u32_e32 vcc, 0, v136
	s_barrier
	s_nop 0
	v_cndmask_b32_e32 v136, v139, v137, vcc
	v_lshl_or_b32 v136, v138, 10, v136
	s_waitcnt vmcnt(5)
	v_perm_b32 v137, v30, v26, s60
	s_waitcnt vmcnt(4)
	v_perm_b32 v138, v22, v18, s60
	ds_write2st64_b32 v136, v137, v138 offset0:128 offset1:160
	v_xor_b32_e32 v137, 8, v136
	v_perm_b32 v26, v30, v26, s61
	v_perm_b32 v18, v22, v18, s61
	v_add_u32_e32 v22, 0x80, v137
	ds_write2st64_b32 v22, v26, v18 offset0:128 offset1:160
	v_xor_b32_e32 v18, 16, v136
	v_perm_b32 v22, v31, v27, s60
	v_perm_b32 v26, v23, v19, s60
	ds_write2st64_b32 v18, v22, v26 offset0:129 offset1:161
	v_xor_b32_e32 v18, 24, v136
	v_perm_b32 v22, v31, v27, s61
	v_perm_b32 v19, v23, v19, s61
	v_add_u32_e32 v18, 0x80, v18
	ds_write2st64_b32 v18, v22, v19 offset0:129 offset1:161
	v_xor_b32_e32 v18, 32, v136
	v_perm_b32 v19, v32, v28, s60
	;; [unrolled: 9-line block ×3, first 2 shown]
	v_perm_b32 v20, v25, v21, s60
	ds_write2st64_b32 v18, v19, v20 offset0:131 offset1:163
	v_xor_b32_e32 v18, 56, v136
	v_perm_b32 v19, v33, v29, s61
	v_perm_b32 v20, v25, v21, s61
	v_add_u32_e32 v18, 0x80, v18
	ds_write2st64_b32 v18, v19, v20 offset0:131 offset1:163
	ds_write_b64 v135, v[14:15] offset:49152
	v_xor_b32_e32 v14, 8, v135
	ds_write_b64 v14, v[16:17] offset:49152
	ds_write_b64 v135, v[10:11] offset:57344
	;; [unrolled: 1-line block ×4, first 2 shown]
	v_xor_b32_e32 v6, 8, v134
	ds_write_b64 v6, v[8:9] offset:49152
	ds_write_b64 v134, v[2:3] offset:57344
	ds_write_b64 v6, v[4:5] offset:57344
	s_branch .LBB125_6
.LBB125_17:
	s_lshl_b32 s44, s50, 6
	s_sub_i32 s45, s16, s44
	s_cmp_gt_i32 s45, 0
	v_or_b32_e32 v18, s2, v78
	s_cbranch_scc1 .LBB125_19
; %bb.18:
	s_ashr_i32 s0, s33, 31
	s_add_u32 s28, s47, s33
	s_addc_u32 s29, s53, s0
	v_or_b32_e32 v2, s2, v78
	s_cbranch_execz .LBB125_20
	s_branch .LBB125_100
.LBB125_19:
                                        ; implicit-def: $sgpr28_sgpr29
                                        ; implicit-def: $vgpr2
.LBB125_20:
	s_ashr_i32 s39, s49, 31
	s_ashr_i32 s3, s44, 31
	s_cmpk_lg_i32 s19, 0x80
	s_cselect_b64 s[40:41], -1, 0
	s_and_b64 vcc, exec, s[40:41]
	s_cbranch_vccz .LBB125_22
; %bb.21:
	s_mul_i32 s1, s49, s16
	s_mul_hi_i32 s0, s49, s16
	s_add_u32 s1, s1, s44
	s_addc_u32 s0, s0, s3
	s_mul_i32 s24, s1, s51
	s_mul_hi_u32 s25, s1, s18
	s_add_i32 s24, s25, s24
	s_mul_i32 s0, s0, s18
	s_add_i32 s24, s24, s0
	s_mul_i32 s1, s1, s18
	s_ashr_i32 s0, s54, 31
	s_add_u32 s42, s1, s54
	s_addc_u32 s43, s24, s0
	s_cbranch_execz .LBB125_23
	s_branch .LBB125_24
.LBB125_22:
                                        ; implicit-def: $sgpr42_sgpr43
.LBB125_23:
	s_mul_hi_i32 s0, s49, s18
	s_mul_i32 s49, s49, s18
	s_ashr_i32 s1, s54, 31
	s_add_u32 s18, s49, s54
	s_addc_u32 s0, s0, s1
	s_mul_i32 s1, s18, s48
	s_mul_hi_u32 s24, s18, s16
	s_add_i32 s1, s24, s1
	s_mul_i32 s0, s0, s16
	s_add_i32 s1, s1, s0
	s_mul_i32 s18, s18, s16
	s_add_u32 s42, s18, s44
	s_addc_u32 s43, s1, s3
.LBB125_24:
	s_add_i32 s24, s52, s50
	s_ashr_i32 s18, s33, 31
	s_add_u32 s28, s47, s33
	s_addc_u32 s29, s53, s18
	s_mul_i32 s0, s28, s48
	s_mul_hi_u32 s1, s28, s16
	s_add_i32 s0, s1, s0
	s_mul_i32 s1, s29, s16
	s_add_i32 s1, s0, s1
	s_mul_i32 s0, s28, s16
	s_add_u32 s0, s0, s44
	v_lshlrev_b32_e32 v6, 6, v1
	v_lshlrev_b32_e32 v26, 2, v78
	s_addc_u32 s1, s1, s3
	s_mov_b32 s3, 0x7060302
	v_or_b32_e32 v9, v6, v26
	v_xor_b32_e32 v7, v1, v26
	v_perm_b32 v3, v65, v64, s3
	v_perm_b32 v2, v63, v62, s3
	;; [unrolled: 1-line block ×4, first 2 shown]
	v_lshlrev_b32_e32 v9, 1, v9
	v_xor_b32_e32 v8, v81, v26
	ds_write2st64_b64 v9, v[2:3], v[4:5] offset0:32 offset1:48
	v_lshlrev_b32_e32 v7, 1, v7
	v_lshlrev_b32_e32 v9, 8, v78
	v_or_b32_e32 v10, v7, v9
	v_lshlrev_b32_e32 v8, 1, v8
	ds_write_b64 v10, v[2:3]
	v_or_b32_e32 v2, v8, v9
	v_or_b32_e32 v9, 16, v78
	v_lshlrev_b32_e32 v25, 2, v9
	v_or_b32_e32 v10, v6, v25
	ds_write_b64 v2, v[4:5]
	v_perm_b32 v3, v57, v56, s3
	v_perm_b32 v2, v55, v54, s3
	;; [unrolled: 1-line block ×4, first 2 shown]
	v_lshlrev_b32_e32 v10, 1, v10
	v_lshlrev_b32_e32 v9, 8, v9
	ds_write2st64_b64 v10, v[2:3], v[4:5] offset0:32 offset1:48
	v_or_b32_e32 v10, v7, v9
	ds_write_b64 v10, v[2:3]
	v_or_b32_e32 v2, v8, v9
	v_or_b32_e32 v9, 32, v78
	v_lshlrev_b32_e32 v24, 2, v9
	v_or_b32_e32 v10, v6, v24
	ds_write_b64 v2, v[4:5]
	v_perm_b32 v3, v49, v48, s3
	v_perm_b32 v2, v47, v46, s3
	;; [unrolled: 1-line block ×4, first 2 shown]
	v_lshlrev_b32_e32 v10, 1, v10
	v_lshlrev_b32_e32 v9, 8, v9
	s_lshl_b64 s[30:31], s[0:1], 8
	ds_write2st64_b64 v10, v[2:3], v[4:5] offset0:32 offset1:48
	v_or_b32_e32 v10, v7, v9
	s_add_u32 s0, s6, s30
	ds_write_b64 v10, v[2:3]
	v_or_b32_e32 v2, v8, v9
	s_addc_u32 s1, s7, s31
	ds_write_b64 v2, v[4:5]
	v_perm_b32 v3, v41, v40, s3
	v_perm_b32 v2, v39, v38, s3
	;; [unrolled: 1-line block ×4, first 2 shown]
	v_or_b32_e32 v9, 48, v78
	s_mul_hi_i32 s3, s24, s17
	s_mul_i32 s24, s24, s17
	v_lshlrev_b32_e32 v21, 2, v9
	s_add_u32 s6, s24, s33
	v_or_b32_e32 v6, v6, v21
	s_addc_u32 s7, s3, s18
	v_lshlrev_b32_e32 v6, 1, v6
	s_ashr_i32 s3, s2, 31
	s_lshl_b64 s[6:7], s[6:7], 15
	ds_write2st64_b64 v6, v[2:3], v[4:5] offset0:32 offset1:48
	v_lshlrev_b32_e32 v6, 8, v9
	s_waitcnt lgkmcnt(0)
	s_add_u32 s6, s12, s6
	v_or_b32_e32 v7, v7, v6
	s_addc_u32 s7, s13, s7
	s_lshl_b64 s[2:3], s[2:3], 8
	ds_write_b64 v7, v[2:3]
	v_or_b32_e32 v2, v8, v6
	s_add_u32 s2, s6, s2
	v_lshlrev_b32_e32 v3, 1, v78
	ds_write_b64 v2, v[4:5]
	v_lshrrev_b32_e32 v2, 4, v0
	s_addc_u32 s3, s7, s3
	v_or_b32_e32 v4, 1, v3
	v_lshlrev_b32_e32 v10, 4, v78
	v_mov_b32_e32 v11, 0
	v_xor_b32_e32 v3, v2, v3
	v_xor_b32_e32 v6, v4, v2
	v_lshl_add_u64 v[12:13], s[2:3], 0, v[10:11]
	v_lshlrev_b32_e32 v10, 8, v2
	v_lshl_or_b32 v16, v3, 3, v10
	v_lshl_or_b32 v17, v6, 3, v10
	s_waitcnt lgkmcnt(0)
	s_barrier
	ds_read2st64_b64 v[2:5], v16 offset1:8
	ds_read2st64_b64 v[6:9], v17 offset1:8
	v_lshl_add_u64 v[14:15], v[12:13], 0, v[10:11]
	s_movk_i32 s2, 0x2000
	s_cmp_lg_u32 s45, 64
	s_waitcnt lgkmcnt(1)
	v_mov_b32_e32 v10, v2
	v_mov_b32_e32 v11, v3
	s_waitcnt lgkmcnt(0)
	v_mov_b32_e32 v12, v6
	v_mov_b32_e32 v13, v7
	global_store_dwordx4 v[14:15], v[10:13], off
	v_mov_b32_e32 v6, v4
	v_mov_b32_e32 v7, v5
	ds_read2st64_b64 v[2:5], v16 offset0:16 offset1:24
	ds_read2st64_b64 v[10:13], v17 offset0:16 offset1:24
	v_add_co_u32_e32 v16, vcc, s2, v14
	s_cselect_b64 s[6:7], -1, 0
	s_nop 0
	v_addc_co_u32_e32 v17, vcc, 0, v15, vcc
	global_store_dwordx4 v[16:17], v[6:9], off offset:-4096
	v_lshl_or_b32 v19, v74, 3, v80
	s_mov_b32 s24, 0
	s_waitcnt lgkmcnt(1)
	v_mov_b32_e32 v6, v2
	v_add_co_u32_e32 v2, vcc, 0x3000, v14
	v_mov_b32_e32 v7, v3
	s_nop 0
	v_addc_co_u32_e32 v3, vcc, 0, v15, vcc
	s_waitcnt lgkmcnt(0)
	v_mov_b32_e32 v8, v10
	v_mov_b32_e32 v9, v11
	;; [unrolled: 1-line block ×4, first 2 shown]
	v_or_b32_e32 v22, 32, v19
	v_and_b32_e32 v20, 56, v79
	s_and_b64 vcc, exec, s[6:7]
	global_store_dwordx4 v[16:17], v[6:9], off
	global_store_dwordx4 v[2:3], v[10:13], off
	s_cbranch_vccz .LBB125_30
; %bb.25:
	s_mov_b32 s25, s24
	s_mov_b32 s26, s24
	s_mov_b32 s27, s24
	v_mov_b64_e32 v[6:7], s[24:25]
	v_mov_b64_e32 v[8:9], s[26:27]
	;; [unrolled: 1-line block ×3, first 2 shown]
	v_cmp_gt_i32_e32 vcc, s45, v19
	v_mov_b64_e32 v[4:5], v[8:9]
	s_and_saveexec_b64 s[2:3], vcc
	s_cbranch_execz .LBB125_27
; %bb.26:
	v_lshlrev_b32_e32 v2, 8, v19
	v_mov_b32_e32 v3, 0
	v_lshl_add_u64 v[4:5], s[0:1], 0, v[2:3]
	v_lshlrev_b32_e32 v2, 1, v20
	v_lshl_add_u64 v[10:11], v[4:5], 0, v[2:3]
	global_load_dwordx4 v[6:9], v[10:11], off
	global_load_dwordx4 v[2:5], v[10:11], off offset:128
.LBB125_27:
	s_or_b64 exec, exec, s[2:3]
	s_mov_b32 s25, s24
	s_mov_b32 s26, s24
	;; [unrolled: 1-line block ×3, first 2 shown]
	v_mov_b64_e32 v[14:15], s[24:25]
	v_mov_b64_e32 v[16:17], s[26:27]
	;; [unrolled: 1-line block ×3, first 2 shown]
	v_cmp_gt_i32_e32 vcc, s45, v22
	v_lshlrev_b32_e32 v23, 7, v22
	v_mov_b64_e32 v[12:13], v[16:17]
	s_and_saveexec_b64 s[2:3], vcc
	s_cbranch_execz .LBB125_29
; %bb.28:
	v_lshlrev_b32_e32 v10, 1, v23
	v_mov_b32_e32 v11, 0
	v_lshl_add_u64 v[12:13], s[0:1], 0, v[10:11]
	v_lshlrev_b32_e32 v10, 1, v20
	v_lshl_add_u64 v[28:29], v[12:13], 0, v[10:11]
	global_load_dwordx4 v[14:17], v[28:29], off
	global_load_dwordx4 v[10:13], v[28:29], off offset:128
.LBB125_29:
	s_or_b64 exec, exec, s[2:3]
	v_lshrrev_b32_e32 v27, 3, v20
	v_lshlrev_b32_e32 v28, 3, v19
	v_or_b32_e32 v27, v28, v27
	v_lshlrev_b32_e32 v27, 4, v27
	v_and_b32_e32 v28, 0x78, v28
	v_xor_b32_e32 v27, v27, v28
	s_branch .LBB125_32
.LBB125_30:
                                        ; implicit-def: $vgpr27
                                        ; implicit-def: $vgpr23
                                        ; implicit-def: $vgpr6_vgpr7_vgpr8_vgpr9
                                        ; implicit-def: $vgpr2_vgpr3_vgpr4_vgpr5
                                        ; implicit-def: $vgpr14_vgpr15_vgpr16_vgpr17
                                        ; implicit-def: $vgpr10_vgpr11_vgpr12_vgpr13
	s_cbranch_execz .LBB125_32
; %bb.31:
	s_waitcnt vmcnt(0)
	v_lshlrev_b32_e32 v2, 1, v20
	v_lshl_or_b32 v23, v19, 8, v2
	s_and_b32 s1, s1, 0xffff
	s_mov_b32 s3, 0x20000
	s_movk_i32 s2, 0x4000
	v_lshl_or_b32 v27, v22, 8, v2
	s_movk_i32 s12, 0x80
	buffer_load_dwordx4 v[6:9], v23, s[0:3], 0 offen
	buffer_load_dwordx4 v[2:5], v23, s[0:3], s12 offen
	;; [unrolled: 1-line block ×4, first 2 shown]
	v_lshrrev_b32_e32 v23, 3, v20
	v_lshlrev_b32_e32 v27, 3, v19
	v_or_b32_e32 v23, v27, v23
	v_lshlrev_b32_e32 v23, 4, v23
	v_and_b32_e32 v27, 0x78, v27
	v_xor_b32_e32 v27, v23, v27
	v_lshlrev_b32_e32 v23, 7, v22
.LBB125_32:
	s_movk_i32 s0, 0x1000
	v_and_or_b32 v22, v23, s0, v27
	s_waitcnt vmcnt(1)
	ds_write_b64 v27, v[6:7] offset:49152
	v_xor_b32_e32 v6, 8, v27
	ds_write_b64 v6, v[8:9] offset:49152
	s_waitcnt vmcnt(0)
	ds_write_b64 v27, v[2:3] offset:57344
	ds_write_b64 v6, v[4:5] offset:57344
	;; [unrolled: 1-line block ×3, first 2 shown]
	v_xor_b32_e32 v2, 8, v22
	ds_write_b64 v2, v[16:17] offset:49152
	ds_write_b64 v22, v[10:11] offset:57344
	;; [unrolled: 1-line block ×3, first 2 shown]
	v_or_b32_e32 v2, v75, v78
	v_lshlrev_b32_e32 v2, 3, v2
	v_lshrrev_b32_e32 v3, 5, v76
	s_movk_i32 s0, 0xf8
	v_and_or_b32 v3, v2, s0, v3
	v_lshlrev_b32_e32 v7, 4, v3
	v_lshlrev_b32_e32 v27, 11, v74
	v_and_b32_e32 v8, 0x78, v2
	v_or_b32_e32 v10, 32, v7
	v_and_b32_e32 v6, 0x1000, v27
	v_lshrrev_b32_e32 v3, 1, v76
	v_xor_b32_e32 v10, v10, v8
	v_xor_b32_e32 v2, v7, v8
	v_and_b32_e32 v9, 8, v3
	v_or_b32_e32 v10, v10, v6
	v_or_b32_e32 v2, v2, v6
	v_xor_b32_e32 v33, v10, v9
	v_or_b32_e32 v10, 64, v7
	v_xor_b32_e32 v32, v2, v9
	v_xor_b32_e32 v10, v10, v8
	s_waitcnt lgkmcnt(0)
	s_barrier
	v_or_b32_e32 v13, v10, v6
	ds_read_b64 v[10:11], v32 offset:49152
	v_lshl_or_b32 v14, v77, 8, v26
	v_lshlrev_b32_e32 v28, 1, v14
	v_add_u32_e32 v12, 0x4000, v28
	ds_read2_b64 v[2:5], v12 offset1:16
	v_or_b32_e32 v7, 0x60, v7
	v_xor_b32_e32 v7, v7, v8
	v_or_b32_e32 v6, v7, v6
	v_xor_b32_e32 v66, v13, v9
	v_xor_b32_e32 v67, v6, v9
	ds_read_b64 v[22:23], v33 offset:49152
	ds_read_b64 v[68:69], v66 offset:49152
	;; [unrolled: 1-line block ×3, first 2 shown]
	s_waitcnt lgkmcnt(3)
	v_mfma_f32_16x16x16_bf16 a[0:3], v[10:11], v[2:3], 0
	ds_read2_b64 v[6:9], v12 offset0:32 offset1:48
	s_lshl_b64 s[0:1], s[42:43], 8
	s_add_u32 s4, s4, s0
	v_mfma_f32_16x16x16_bf16 a[4:7], v[10:11], v[4:5], 0
	ds_read2st64_b64 v[2:5], v28 offset0:36 offset1:40
	s_addc_u32 s5, s5, s1
	s_add_i32 s2, s16, -1
	s_waitcnt lgkmcnt(1)
	v_mfma_f32_16x16x16_bf16 a[8:11], v[10:11], v[6:7], 0
	v_or_b32_e32 v6, 64, v14
	v_lshlrev_b32_e32 v29, 1, v6
	s_add_i32 s0, s46, s21
	s_waitcnt lgkmcnt(0)
	v_mfma_f32_16x16x16_bf16 a[0:3], v[22:23], v[2:3], a[0:3]
	v_or_b32_e32 v2, 0x80, v14
	v_lshlrev_b32_e32 v30, 1, v2
	v_or_b32_e32 v2, 0xc0, v14
	v_mfma_f32_16x16x16_bf16 a[12:15], v[10:11], v[8:9], 0
	ds_read2st64_b64 v[6:9], v29 offset0:36 offset1:40
	v_lshlrev_b32_e32 v31, 1, v2
	ds_read2st64_b64 v[10:13], v30 offset0:36 offset1:40
	ds_read2st64_b64 v[14:17], v31 offset0:36 offset1:40
	s_mul_i32 s39, s39, s20
	s_add_i32 s39, s0, s39
	s_mul_i32 s0, s33, s23
	s_mul_hi_u32 s1, s33, s22
	s_ashr_i32 s3, s2, 31
	s_mul_i32 s12, s2, s37
	s_mul_hi_u32 s13, s2, s36
	s_waitcnt lgkmcnt(2)
	v_mfma_f32_16x16x16_bf16 a[4:7], v[22:23], v[6:7], a[4:7]
	s_add_i32 s0, s1, s0
	s_mul_i32 s1, s18, s22
	s_add_i32 s12, s13, s12
	s_mul_i32 s3, s3, s36
	s_waitcnt lgkmcnt(1)
	v_mfma_f32_16x16x16_bf16 a[8:11], v[22:23], v[10:11], a[8:11]
	s_add_i32 s1, s0, s1
	s_add_i32 s3, s12, s3
	s_lshl_b64 s[12:13], s[38:39], 2
	s_waitcnt lgkmcnt(0)
	v_mfma_f32_16x16x16_bf16 a[12:15], v[22:23], v[14:15], a[12:15]
	s_mul_i32 s0, s33, s22
	s_add_u32 s10, s10, s12
	s_addc_u32 s11, s11, s13
	s_lshl_b64 s[0:1], s[0:1], 2
	v_mfma_f32_16x16x16_bf16 a[0:3], v[68:69], v[4:5], a[0:3]
	s_mul_i32 s2, s2, s36
	ds_read_b64 v[2:3], v28 offset:22528
	s_add_u32 s10, s10, s0
	v_mfma_f32_16x16x16_bf16 a[4:7], v[68:69], v[8:9], a[4:7]
	ds_read_b64 v[4:5], v29 offset:22528
	ds_read_b64 v[6:7], v30 offset:22528
	;; [unrolled: 1-line block ×3, first 2 shown]
	s_addc_u32 s11, s11, s1
	s_lshl_b64 s[0:1], s[2:3], 2
	v_mfma_f32_16x16x16_bf16 a[8:11], v[68:69], v[12:13], a[8:11]
	s_add_u32 s0, s10, s0
	s_addc_u32 s1, s11, s1
	s_load_dword s12, s[0:1], 0x0
	v_mfma_f32_16x16x16_bf16 a[12:15], v[68:69], v[16:17], a[12:15]
	s_and_b64 vcc, exec, s[40:41]
	s_waitcnt lgkmcnt(0)
	v_mfma_f32_16x16x16_bf16 a[0:3], v[70:71], v[2:3], a[0:3]
	v_mfma_f32_16x16x16_bf16 a[4:7], v[70:71], v[4:5], a[4:7]
	;; [unrolled: 1-line block ×4, first 2 shown]
	s_cbranch_vccz .LBB125_43
; %bb.33:
	v_lshlrev_b32_e32 v22, 1, v19
	s_and_b64 vcc, exec, s[6:7]
	s_cbranch_vccz .LBB125_44
; %bb.34:
	v_cmp_gt_i32_e32 vcc, s45, v22
	v_mov_b32_e32 v6, 0
	v_mov_b32_e32 v2, 0
	;; [unrolled: 1-line block ×5, first 2 shown]
	s_and_saveexec_b64 s[0:1], vcc
	s_cbranch_execz .LBB125_36
; %bb.35:
	v_mad_i64_i32 v[2:3], s[2:3], s19, v22, 0
	v_lshl_add_u64 v[2:3], v[2:3], 1, s[4:5]
	v_lshlrev_b32_e32 v4, 1, v20
	v_mov_b32_e32 v5, 0
	v_lshl_add_u64 v[2:3], v[2:3], 0, v[4:5]
	global_load_dwordx4 v[2:5], v[2:3], off
.LBB125_36:
	s_or_b64 exec, exec, s[0:1]
	v_or_b32_e32 v23, 1, v22
	v_cmp_gt_i32_e64 s[0:1], s45, v23
	v_mov_b32_e32 v7, 0
	v_mov_b32_e32 v8, 0
	;; [unrolled: 1-line block ×3, first 2 shown]
	s_and_saveexec_b64 s[2:3], s[0:1]
	s_cbranch_execz .LBB125_38
; %bb.37:
	v_mad_i64_i32 v[6:7], s[16:17], s19, v23, 0
	v_lshl_add_u64 v[6:7], v[6:7], 1, s[4:5]
	v_lshlrev_b32_e32 v8, 1, v20
	v_mov_b32_e32 v9, 0
	v_lshl_add_u64 v[6:7], v[6:7], 0, v[8:9]
	global_load_dwordx4 v[6:9], v[6:7], off
.LBB125_38:
	s_or_b64 exec, exec, s[2:3]
	v_mov_b32_e32 v17, 0
	v_mov_b32_e32 v10, 0
	;; [unrolled: 1-line block ×5, first 2 shown]
	s_and_saveexec_b64 s[2:3], vcc
	s_cbranch_execz .LBB125_40
; %bb.39:
	v_mad_i64_i32 v[10:11], s[16:17], s19, v22, 0
	v_lshl_add_u64 v[10:11], v[10:11], 1, s[4:5]
	v_lshlrev_b32_e32 v12, 1, v20
	v_mov_b32_e32 v13, 0
	v_lshl_add_u64 v[10:11], v[10:11], 0, v[12:13]
	global_load_dwordx4 v[10:13], v[10:11], off offset:128
.LBB125_40:
	s_or_b64 exec, exec, s[2:3]
	v_mov_b32_e32 v16, 0
	v_mov_b32_e32 v15, 0
	;; [unrolled: 1-line block ×3, first 2 shown]
	s_and_saveexec_b64 s[2:3], s[0:1]
	s_cbranch_execz .LBB125_42
; %bb.41:
	v_mad_i64_i32 v[14:15], s[0:1], s19, v23, 0
	v_lshl_add_u64 v[14:15], v[14:15], 1, s[4:5]
	v_lshlrev_b32_e32 v16, 1, v20
	v_mov_b32_e32 v17, 0
	v_lshl_add_u64 v[14:15], v[14:15], 0, v[16:17]
	global_load_dwordx4 v[14:17], v[14:15], off offset:128
.LBB125_42:
	s_or_b64 exec, exec, s[2:3]
	s_branch .LBB125_46
.LBB125_43:
                                        ; implicit-def: $vgpr5
                                        ; implicit-def: $vgpr9
                                        ; implicit-def: $vgpr13
                                        ; implicit-def: $vgpr17
	v_lshrrev_b32_e32 v68, 2, v76
	s_branch .LBB125_47
.LBB125_44:
                                        ; implicit-def: $vgpr5
                                        ; implicit-def: $vgpr9
                                        ; implicit-def: $vgpr13
                                        ; implicit-def: $vgpr17
	s_cbranch_execz .LBB125_46
; %bb.45:
	s_waitcnt vmcnt(0)
	v_mad_u64_u32 v[2:3], s[0:1], v22, s19, v[20:21]
	v_lshlrev_b32_e32 v22, 1, v2
	s_lshl_b32 s2, s19, 7
	s_and_b32 s1, s5, 0xffff
	s_mov_b32 s3, 0x20000
	s_mov_b32 s0, s4
	v_add_lshl_u32 v23, v2, s19, 1
	s_movk_i32 s13, 0x80
	buffer_load_dwordx4 v[2:5], v22, s[0:3], 0 offen
	buffer_load_dwordx4 v[10:13], v22, s[0:3], s13 offen
	;; [unrolled: 1-line block ×4, first 2 shown]
.LBB125_46:
	v_lshrrev_b32_e32 v68, 2, v76
	s_cbranch_execnz .LBB125_59
.LBB125_47:
	s_and_b64 vcc, exec, s[6:7]
	s_cbranch_vccz .LBB125_57
; %bb.48:
	s_waitcnt vmcnt(0)
	v_lshlrev_b32_e32 v7, 1, v19
	v_cmp_gt_i32_e32 vcc, s45, v7
	v_mov_b32_e32 v6, 0
	v_lshlrev_b32_e32 v14, 9, v19
	v_mov_b32_e32 v2, 0
	v_mov_b32_e32 v3, 0
	;; [unrolled: 1-line block ×4, first 2 shown]
	s_and_saveexec_b64 s[0:1], vcc
	s_cbranch_execz .LBB125_50
; %bb.49:
	v_mov_b32_e32 v15, 0
	v_lshl_add_u64 v[2:3], s[4:5], 0, v[14:15]
	v_lshlrev_b32_e32 v4, 1, v20
	v_mov_b32_e32 v5, v15
	v_lshl_add_u64 v[2:3], v[2:3], 0, v[4:5]
	global_load_dwordx4 v[2:5], v[2:3], off
.LBB125_50:
	s_or_b64 exec, exec, s[0:1]
	v_or_b32_e32 v7, 1, v7
	v_cmp_gt_i32_e64 s[0:1], s45, v7
	v_lshlrev_b32_e32 v22, 8, v7
	v_mov_b32_e32 v7, 0
	v_mov_b32_e32 v8, 0
	;; [unrolled: 1-line block ×3, first 2 shown]
	s_and_saveexec_b64 s[2:3], s[0:1]
	s_cbranch_execz .LBB125_52
; %bb.51:
	v_mov_b32_e32 v23, 0
	v_lshl_add_u64 v[6:7], s[4:5], 0, v[22:23]
	v_lshlrev_b32_e32 v8, 1, v20
	v_mov_b32_e32 v9, v23
	v_lshl_add_u64 v[6:7], v[6:7], 0, v[8:9]
	global_load_dwordx4 v[6:9], v[6:7], off
.LBB125_52:
	s_or_b64 exec, exec, s[2:3]
	v_mov_b32_e32 v17, 0
	v_mov_b32_e32 v10, 0
	;; [unrolled: 1-line block ×5, first 2 shown]
	s_and_saveexec_b64 s[2:3], vcc
	s_cbranch_execz .LBB125_54
; %bb.53:
	v_mov_b32_e32 v15, 0
	v_lshl_add_u64 v[10:11], s[4:5], 0, v[14:15]
	v_lshlrev_b32_e32 v14, 1, v20
	v_lshl_add_u64 v[10:11], v[10:11], 0, v[14:15]
	global_load_dwordx4 v[10:13], v[10:11], off offset:128
.LBB125_54:
	s_or_b64 exec, exec, s[2:3]
	v_mov_b32_e32 v16, 0
	v_mov_b32_e32 v15, 0
	;; [unrolled: 1-line block ×3, first 2 shown]
	s_and_saveexec_b64 s[2:3], s[0:1]
	s_cbranch_execz .LBB125_56
; %bb.55:
	v_mov_b32_e32 v23, 0
	v_lshl_add_u64 v[14:15], s[4:5], 0, v[22:23]
	v_lshlrev_b32_e32 v22, 1, v20
	v_lshl_add_u64 v[14:15], v[14:15], 0, v[22:23]
	global_load_dwordx4 v[14:17], v[14:15], off offset:128
.LBB125_56:
	s_or_b64 exec, exec, s[2:3]
	s_branch .LBB125_59
.LBB125_57:
                                        ; implicit-def: $vgpr5
                                        ; implicit-def: $vgpr9
                                        ; implicit-def: $vgpr13
                                        ; implicit-def: $vgpr17
	s_cbranch_execz .LBB125_59
; %bb.58:
	s_waitcnt vmcnt(0)
	v_lshlrev_b32_e32 v2, 1, v20
	v_lshl_or_b32 v20, v19, 9, v2
	s_and_b32 s5, s5, 0xffff
	s_mov_b32 s7, 0x20000
	s_movk_i32 s6, 0x4000
	s_movk_i32 s0, 0x80
	buffer_load_dwordx4 v[2:5], v20, s[4:7], 0 offen
	buffer_load_dwordx4 v[6:9], v20, s[4:7], 0 offen offset:256
	buffer_load_dwordx4 v[10:13], v20, s[4:7], s0 offen
	buffer_load_dwordx4 v[14:17], v20, s[4:7], s0 offen offset:256
.LBB125_59:
	ds_read_b64 v[22:23], v32 offset:57344
	v_add_u32_e32 v20, 0x6000, v28
	ds_read2_b64 v[70:73], v20 offset1:16
	ds_read_b64 v[32:33], v33 offset:57344
	ds_read_b64 v[88:89], v66 offset:57344
	;; [unrolled: 1-line block ×3, first 2 shown]
	ds_read2st64_b64 v[76:79], v28 offset0:52 offset1:56
	v_and_b32_e32 v69, 1, v0
	v_cmp_eq_u32_e32 vcc, 0, v69
	s_mov_b32 s0, 0x1000504
	s_mov_b32 s1, 0x3020706
	s_waitcnt lgkmcnt(4)
	v_mfma_f32_16x16x16_bf16 a[0:3], v[22:23], v[70:71], a[0:3]
	v_mfma_f32_16x16x16_bf16 a[4:7], v[22:23], v[72:73], a[4:7]
	ds_read2_b64 v[70:73], v20 offset0:32 offset1:48
	v_and_b32_e32 v20, 6, v0
	v_xor_b32_e32 v19, v19, v20
	s_waitcnt lgkmcnt(0)
	v_mfma_f32_16x16x16_bf16 a[8:11], v[22:23], v[70:71], a[8:11]
	v_lshlrev_b32_e32 v19, 2, v19
	v_mfma_f32_16x16x16_bf16 a[12:15], v[22:23], v[72:73], a[12:15]
	ds_read2st64_b64 v[70:73], v29 offset0:52 offset1:56
	ds_read2st64_b64 v[80:83], v30 offset0:52 offset1:56
	;; [unrolled: 1-line block ×3, first 2 shown]
	s_waitcnt lgkmcnt(2)
	v_mfma_f32_16x16x16_bf16 a[4:7], v[32:33], v[70:71], a[4:7]
	v_xor_b32_e32 v70, 0x440, v19
	v_cndmask_b32_e32 v19, v70, v19, vcc
	v_lshl_or_b32 v19, v20, 10, v19
	v_mfma_f32_16x16x16_bf16 a[0:3], v[32:33], v[76:77], a[0:3]
	s_waitcnt vmcnt(0)
	v_perm_b32 v20, v2, v6, s0
	ds_read_b64 v[22:23], v28 offset:30720
	ds_read_b64 v[76:77], v29 offset:30720
	;; [unrolled: 1-line block ×4, first 2 shown]
	v_perm_b32 v2, v2, v6, s1
	s_waitcnt lgkmcnt(5)
	v_mfma_f32_16x16x16_bf16 a[8:11], v[32:33], v[80:81], a[8:11]
	v_perm_b32 v6, v10, v14, s1
	s_waitcnt lgkmcnt(4)
	v_mfma_f32_16x16x16_bf16 a[12:15], v[32:33], v[84:85], a[12:15]
	v_perm_b32 v32, v10, v14, s0
	ds_write2st64_b32 v19, v20, v32 offset0:128 offset1:160
	v_xor_b32_e32 v20, 8, v19
	v_add_u32_e32 v10, 0x80, v20
	ds_write2st64_b32 v10, v2, v6 offset0:128 offset1:160
	v_xor_b32_e32 v2, 16, v19
	v_perm_b32 v6, v3, v7, s0
	v_perm_b32 v10, v11, v15, s0
	v_mfma_f32_16x16x16_bf16 a[0:3], v[88:89], v[78:79], a[0:3]
	ds_write2st64_b32 v2, v6, v10 offset0:129 offset1:161
	v_xor_b32_e32 v2, 24, v19
	v_perm_b32 v3, v3, v7, s1
	v_mfma_f32_16x16x16_bf16 a[4:7], v[88:89], v[72:73], a[4:7]
	v_perm_b32 v6, v11, v15, s1
	v_add_u32_e32 v2, 0x80, v2
	ds_write2st64_b32 v2, v3, v6 offset0:129 offset1:161
	v_mfma_f32_16x16x16_bf16 a[16:19], v[88:89], v[82:83], a[8:11]
	v_xor_b32_e32 v2, 32, v19
	v_perm_b32 v3, v4, v8, s0
	v_perm_b32 v6, v12, v16, s0
	v_mfma_f32_16x16x16_bf16 a[20:23], v[88:89], v[86:87], a[12:15]
	ds_write2st64_b32 v2, v3, v6 offset0:130 offset1:162
	v_xor_b32_e32 v2, 40, v19
	v_perm_b32 v3, v4, v8, s1
	s_waitcnt lgkmcnt(8)
	v_mfma_f32_16x16x16_bf16 a[12:15], v[66:67], v[22:23], a[0:3]
	v_perm_b32 v4, v12, v16, s1
	v_add_u32_e32 v2, 0x80, v2
	ds_write2st64_b32 v2, v3, v4 offset0:130 offset1:162
	s_waitcnt lgkmcnt(8)
	v_mfma_f32_16x16x16_bf16 a[8:11], v[66:67], v[76:77], a[4:7]
	v_xor_b32_e32 v2, 48, v19
	v_perm_b32 v3, v5, v9, s0
	v_perm_b32 v4, v13, v17, s0
	s_waitcnt lgkmcnt(7)
	v_mfma_f32_16x16x16_bf16 a[4:7], v[66:67], v[90:91], a[16:19]
	ds_write2st64_b32 v2, v3, v4 offset0:131 offset1:163
	v_xor_b32_e32 v2, 56, v19
	v_and_or_b32 v33, v68, 12, v75
	s_waitcnt lgkmcnt(7)
	v_mfma_f32_16x16x16_bf16 a[0:3], v[66:67], v[92:93], a[20:23]
	v_perm_b32 v3, v5, v9, s1
	v_perm_b32 v4, v13, v17, s1
	v_add_u32_e32 v2, 0x80, v2
	v_cmp_gt_i32_e32 vcc, s45, v33
	v_mov_b32_e32 v22, 0
	v_mov_b32_e32 v23, 0
	ds_write2st64_b32 v2, v3, v4 offset0:131 offset1:163
	s_and_saveexec_b64 s[0:1], vcc
	s_cbranch_execz .LBB125_61
; %bb.60:
	v_add_u32_e32 v2, s44, v33
	v_ashrrev_i32_e32 v3, 31, v2
	v_mul_lo_u32 v4, v3, s36
	v_mul_lo_u32 v5, v2, s37
	v_mad_u64_u32 v[2:3], s[2:3], v2, s36, 0
	v_add3_u32 v3, v3, v5, v4
	v_lshl_add_u64 v[2:3], v[2:3], 2, s[10:11]
	global_load_dword v2, v[2:3], off
	s_waitcnt vmcnt(0)
	v_sub_f32_e32 v2, s12, v2
	v_mul_f32_e32 v2, 0x3fb8aa3b, v2
	v_exp_f32_e32 v23, v2
.LBB125_61:
	s_or_b64 exec, exec, s[0:1]
	v_or_b32_e32 v11, 1, v33
	v_cmp_gt_i32_e64 s[2:3], s45, v11
	s_and_saveexec_b64 s[0:1], s[2:3]
	s_cbranch_execz .LBB125_63
; %bb.62:
	v_add_u32_e32 v2, s44, v11
	v_ashrrev_i32_e32 v3, 31, v2
	v_mul_lo_u32 v4, v3, s36
	v_mul_lo_u32 v5, v2, s37
	v_mad_u64_u32 v[2:3], s[4:5], v2, s36, 0
	v_add3_u32 v3, v3, v5, v4
	v_lshl_add_u64 v[2:3], v[2:3], 2, s[10:11]
	global_load_dword v2, v[2:3], off
	s_waitcnt vmcnt(0)
	v_sub_f32_e32 v2, s12, v2
	v_mul_f32_e32 v2, 0x3fb8aa3b, v2
	v_exp_f32_e32 v22, v2
.LBB125_63:
	s_or_b64 exec, exec, s[0:1]
	v_or_b32_e32 v10, 2, v33
	v_cmp_gt_i32_e64 s[4:5], s45, v10
	v_mov_b32_e32 v20, 0
	v_mov_b32_e32 v32, 0
	s_and_saveexec_b64 s[0:1], s[4:5]
	s_cbranch_execz .LBB125_65
; %bb.64:
	v_add_u32_e32 v2, s44, v10
	v_ashrrev_i32_e32 v3, 31, v2
	v_mul_lo_u32 v4, v3, s36
	v_mul_lo_u32 v5, v2, s37
	v_mad_u64_u32 v[2:3], s[6:7], v2, s36, 0
	v_add3_u32 v3, v3, v5, v4
	v_lshl_add_u64 v[2:3], v[2:3], 2, s[10:11]
	global_load_dword v2, v[2:3], off
	s_waitcnt vmcnt(0)
	v_sub_f32_e32 v2, s12, v2
	v_mul_f32_e32 v2, 0x3fb8aa3b, v2
	v_exp_f32_e32 v32, v2
.LBB125_65:
	s_or_b64 exec, exec, s[0:1]
	v_or_b32_e32 v66, 3, v33
	v_cmp_gt_i32_e64 s[0:1], s45, v66
	s_and_saveexec_b64 s[6:7], s[0:1]
	s_cbranch_execz .LBB125_67
; %bb.66:
	v_add_u32_e32 v2, s44, v66
	v_ashrrev_i32_e32 v3, 31, v2
	v_mul_lo_u32 v4, v3, s36
	v_mul_lo_u32 v5, v2, s37
	v_mad_u64_u32 v[2:3], s[16:17], v2, s36, 0
	v_add3_u32 v3, v3, v5, v4
	v_lshl_add_u64 v[2:3], v[2:3], 2, s[10:11]
	global_load_dword v2, v[2:3], off
	s_waitcnt vmcnt(0)
	v_sub_f32_e32 v2, s12, v2
	v_mul_f32_e32 v2, 0x3fb8aa3b, v2
	v_exp_f32_e32 v20, v2
.LBB125_67:
	s_or_b64 exec, exec, s[6:7]
	s_add_u32 s6, s8, s30
	s_addc_u32 s7, s9, s31
	s_add_u32 s8, s14, s30
	v_ashrrev_i32_e32 v19, 31, v18
	v_accvgpr_read_b32 v2, a12
	s_addc_u32 s9, s15, s31
	v_lshlrev_b64 v[6:7], 1, v[18:19]
	v_accvgpr_read_b32 v3, a13
	v_accvgpr_read_b32 v4, a14
	;; [unrolled: 1-line block ×3, first 2 shown]
	v_lshl_add_u64 v[8:9], s[6:7], 0, v[6:7]
	v_lshl_add_u64 v[6:7], s[8:9], 0, v[6:7]
	v_mov_b32_e32 v15, 0
	v_lshlrev_b32_e32 v12, 8, v33
	v_mov_b32_e32 v13, 0
	s_and_saveexec_b64 s[6:7], vcc
	s_cbranch_execz .LBB125_69
; %bb.68:
	v_mov_b32_e32 v13, 0
	v_lshl_add_u64 v[16:17], v[8:9], 0, v[12:13]
	global_load_ushort v14, v[16:17], off
	v_lshl_add_u64 v[16:17], v[6:7], 0, v[12:13]
	s_waitcnt vmcnt(0)
	v_lshlrev_b32_e32 v13, 16, v14
	v_sub_f32_e32 v2, v13, v2
	global_store_short_d16_hi v[16:17], v2, off
	v_mul_f32_e32 v2, v23, v2
	v_lshrrev_b32_e32 v13, 16, v2
.LBB125_69:
	s_or_b64 exec, exec, s[6:7]
	v_lshlrev_b32_e32 v14, 8, v11
	s_and_saveexec_b64 s[6:7], s[2:3]
	s_cbranch_execz .LBB125_71
; %bb.70:
	v_mov_b32_e32 v15, 0
	v_lshl_add_u64 v[16:17], v[8:9], 0, v[14:15]
	global_load_ushort v2, v[16:17], off
	v_lshl_add_u64 v[16:17], v[6:7], 0, v[14:15]
	s_waitcnt vmcnt(0)
	v_lshlrev_b32_e32 v2, 16, v2
	v_sub_f32_e32 v2, v2, v3
	global_store_short_d16_hi v[16:17], v2, off
	v_mul_f32_e32 v2, v22, v2
	v_lshrrev_b32_e32 v15, 16, v2
.LBB125_71:
	s_or_b64 exec, exec, s[6:7]
	v_mov_b32_e32 v11, 0
	v_lshlrev_b32_e32 v16, 8, v10
	v_mov_b32_e32 v17, 0
	s_and_saveexec_b64 s[6:7], s[4:5]
	s_cbranch_execz .LBB125_73
; %bb.72:
	v_mov_b32_e32 v17, 0
	v_lshl_add_u64 v[2:3], v[8:9], 0, v[16:17]
	global_load_ushort v10, v[2:3], off
	v_lshl_add_u64 v[2:3], v[6:7], 0, v[16:17]
	s_waitcnt vmcnt(0)
	v_lshlrev_b32_e32 v10, 16, v10
	v_sub_f32_e32 v4, v10, v4
	global_store_short_d16_hi v[2:3], v4, off
	v_mul_f32_e32 v2, v32, v4
	v_lshrrev_b32_e32 v17, 16, v2
.LBB125_73:
	s_or_b64 exec, exec, s[6:7]
	v_lshlrev_b32_e32 v10, 8, v66
	s_and_saveexec_b64 s[6:7], s[0:1]
	s_cbranch_execz .LBB125_75
; %bb.74:
	v_mov_b32_e32 v11, 0
	v_lshl_add_u64 v[2:3], v[8:9], 0, v[10:11]
	global_load_ushort v4, v[2:3], off
	v_lshl_add_u64 v[2:3], v[6:7], 0, v[10:11]
	s_waitcnt vmcnt(0)
	v_lshlrev_b32_e32 v4, 16, v4
	v_sub_f32_e32 v4, v4, v5
	global_store_short_d16_hi v[2:3], v4, off
	v_mul_f32_e32 v2, v20, v4
	v_lshrrev_b32_e32 v11, 16, v2
.LBB125_75:
	s_or_b64 exec, exec, s[6:7]
	v_lshlrev_b32_e32 v19, 6, v33
	s_mov_b32 s6, 0x5040100
	v_accvgpr_read_b32 v2, a8
	v_perm_b32 v67, v11, v17, s6
	v_or_b32_e32 v11, v19, v26
	v_accvgpr_read_b32 v3, a9
	v_accvgpr_read_b32 v4, a10
	;; [unrolled: 1-line block ×3, first 2 shown]
	v_perm_b32 v66, v15, v13, s6
	v_lshlrev_b32_e32 v11, 1, v11
	v_mov_b32_e32 v15, 0
	v_mov_b32_e32 v13, 0
	ds_write_b64 v11, v[66:67] offset:24576
	s_and_saveexec_b64 s[6:7], vcc
	s_cbranch_execz .LBB125_77
; %bb.76:
	v_mov_b32_e32 v13, 0
	v_lshl_add_u64 v[66:67], v[8:9], 0, v[12:13]
	global_load_ushort v11, v[66:67], off offset:32
	v_lshl_add_u64 v[66:67], v[6:7], 0, v[12:13]
	s_waitcnt vmcnt(0)
	v_lshlrev_b32_e32 v11, 16, v11
	v_sub_f32_e32 v2, v11, v2
	global_store_short_d16_hi v[66:67], v2, off offset:32
	v_mul_f32_e32 v2, v23, v2
	v_lshrrev_b32_e32 v13, 16, v2
.LBB125_77:
	s_or_b64 exec, exec, s[6:7]
	s_and_saveexec_b64 s[6:7], s[2:3]
	s_cbranch_execz .LBB125_79
; %bb.78:
	v_mov_b32_e32 v15, 0
	v_lshl_add_u64 v[66:67], v[8:9], 0, v[14:15]
	global_load_ushort v2, v[66:67], off offset:32
	v_lshl_add_u64 v[66:67], v[6:7], 0, v[14:15]
	s_waitcnt vmcnt(0)
	v_lshlrev_b32_e32 v2, 16, v2
	v_sub_f32_e32 v2, v2, v3
	global_store_short_d16_hi v[66:67], v2, off offset:32
	v_mul_f32_e32 v2, v22, v2
	v_lshrrev_b32_e32 v15, 16, v2
.LBB125_79:
	s_or_b64 exec, exec, s[6:7]
	v_mov_b32_e32 v11, 0
	v_mov_b32_e32 v17, 0
	s_and_saveexec_b64 s[6:7], s[4:5]
	s_cbranch_execz .LBB125_81
; %bb.80:
	v_mov_b32_e32 v17, 0
	v_lshl_add_u64 v[2:3], v[8:9], 0, v[16:17]
	global_load_ushort v26, v[2:3], off offset:32
	v_lshl_add_u64 v[2:3], v[6:7], 0, v[16:17]
	s_waitcnt vmcnt(0)
	v_lshlrev_b32_e32 v17, 16, v26
	v_sub_f32_e32 v4, v17, v4
	global_store_short_d16_hi v[2:3], v4, off offset:32
	v_mul_f32_e32 v2, v32, v4
	v_lshrrev_b32_e32 v17, 16, v2
.LBB125_81:
	s_or_b64 exec, exec, s[6:7]
	s_and_saveexec_b64 s[6:7], s[0:1]
	s_cbranch_execz .LBB125_83
; %bb.82:
	v_mov_b32_e32 v11, 0
	v_lshl_add_u64 v[2:3], v[8:9], 0, v[10:11]
	global_load_ushort v4, v[2:3], off offset:32
	v_lshl_add_u64 v[2:3], v[6:7], 0, v[10:11]
	s_waitcnt vmcnt(0)
	v_lshlrev_b32_e32 v4, 16, v4
	v_sub_f32_e32 v4, v4, v5
	global_store_short_d16_hi v[2:3], v4, off offset:32
	v_mul_f32_e32 v2, v20, v4
	v_lshrrev_b32_e32 v11, 16, v2
.LBB125_83:
	s_or_b64 exec, exec, s[6:7]
	s_mov_b32 s6, 0x5040100
	v_accvgpr_read_b32 v2, a4
	v_perm_b32 v67, v11, v17, s6
	v_or_b32_e32 v11, v19, v25
	v_accvgpr_read_b32 v3, a5
	v_accvgpr_read_b32 v4, a6
	;; [unrolled: 1-line block ×3, first 2 shown]
	v_perm_b32 v66, v15, v13, s6
	v_lshlrev_b32_e32 v11, 1, v11
	v_mov_b32_e32 v15, 0
	v_mov_b32_e32 v13, 0
	ds_write_b64 v11, v[66:67] offset:24576
	s_and_saveexec_b64 s[6:7], vcc
	s_cbranch_execz .LBB125_85
; %bb.84:
	v_mov_b32_e32 v13, 0
	v_lshl_add_u64 v[66:67], v[8:9], 0, v[12:13]
	global_load_ushort v11, v[66:67], off offset:64
	v_lshl_add_u64 v[66:67], v[6:7], 0, v[12:13]
	s_waitcnt vmcnt(0)
	v_lshlrev_b32_e32 v11, 16, v11
	v_sub_f32_e32 v2, v11, v2
	global_store_short_d16_hi v[66:67], v2, off offset:64
	v_mul_f32_e32 v2, v23, v2
	v_lshrrev_b32_e32 v13, 16, v2
.LBB125_85:
	s_or_b64 exec, exec, s[6:7]
	s_and_saveexec_b64 s[6:7], s[2:3]
	s_cbranch_execz .LBB125_87
; %bb.86:
	v_mov_b32_e32 v15, 0
	v_lshl_add_u64 v[66:67], v[8:9], 0, v[14:15]
	global_load_ushort v2, v[66:67], off offset:64
	v_lshl_add_u64 v[66:67], v[6:7], 0, v[14:15]
	s_waitcnt vmcnt(0)
	v_lshlrev_b32_e32 v2, 16, v2
	v_sub_f32_e32 v2, v2, v3
	global_store_short_d16_hi v[66:67], v2, off offset:64
	v_mul_f32_e32 v2, v22, v2
	v_lshrrev_b32_e32 v15, 16, v2
.LBB125_87:
	s_or_b64 exec, exec, s[6:7]
	v_mov_b32_e32 v11, 0
	v_mov_b32_e32 v17, 0
	s_and_saveexec_b64 s[6:7], s[4:5]
	s_cbranch_execz .LBB125_89
; %bb.88:
	v_mov_b32_e32 v17, 0
	v_lshl_add_u64 v[2:3], v[8:9], 0, v[16:17]
	global_load_ushort v25, v[2:3], off offset:64
	v_lshl_add_u64 v[2:3], v[6:7], 0, v[16:17]
	s_waitcnt vmcnt(0)
	v_lshlrev_b32_e32 v17, 16, v25
	v_sub_f32_e32 v4, v17, v4
	global_store_short_d16_hi v[2:3], v4, off offset:64
	v_mul_f32_e32 v2, v32, v4
	v_lshrrev_b32_e32 v17, 16, v2
.LBB125_89:
	s_or_b64 exec, exec, s[6:7]
	s_and_saveexec_b64 s[6:7], s[0:1]
	s_cbranch_execz .LBB125_91
; %bb.90:
	v_mov_b32_e32 v11, 0
	v_lshl_add_u64 v[2:3], v[8:9], 0, v[10:11]
	global_load_ushort v4, v[2:3], off offset:64
	v_lshl_add_u64 v[2:3], v[6:7], 0, v[10:11]
	s_waitcnt vmcnt(0)
	v_lshlrev_b32_e32 v4, 16, v4
	v_sub_f32_e32 v4, v4, v5
	global_store_short_d16_hi v[2:3], v4, off offset:64
	v_mul_f32_e32 v2, v20, v4
	v_lshrrev_b32_e32 v11, 16, v2
.LBB125_91:
	s_or_b64 exec, exec, s[6:7]
	s_mov_b32 s6, 0x5040100
	v_accvgpr_read_b32 v5, a3
	v_perm_b32 v67, v11, v17, s6
	v_or_b32_e32 v11, v19, v24
	v_accvgpr_read_b32 v4, a2
	v_accvgpr_read_b32 v3, a1
	;; [unrolled: 1-line block ×3, first 2 shown]
	v_perm_b32 v66, v15, v13, s6
	v_lshlrev_b32_e32 v11, 1, v11
	v_mov_b32_e32 v15, 0
	v_mov_b32_e32 v13, 0
	ds_write_b64 v11, v[66:67] offset:24576
	s_and_saveexec_b64 s[6:7], vcc
	s_cbranch_execz .LBB125_93
; %bb.92:
	v_mov_b32_e32 v13, 0
	v_lshl_add_u64 v[24:25], v[8:9], 0, v[12:13]
	global_load_ushort v11, v[24:25], off offset:96
	v_lshl_add_u64 v[12:13], v[6:7], 0, v[12:13]
	s_waitcnt vmcnt(0)
	v_lshlrev_b32_e32 v11, 16, v11
	v_sub_f32_e32 v2, v11, v2
	global_store_short_d16_hi v[12:13], v2, off offset:96
	v_mul_f32_e32 v2, v23, v2
	v_lshrrev_b32_e32 v13, 16, v2
.LBB125_93:
	s_or_b64 exec, exec, s[6:7]
	s_and_saveexec_b64 s[6:7], s[2:3]
	s_cbranch_execz .LBB125_95
; %bb.94:
	v_mov_b32_e32 v15, 0
	v_lshl_add_u64 v[24:25], v[8:9], 0, v[14:15]
	global_load_ushort v2, v[24:25], off offset:96
	v_lshl_add_u64 v[14:15], v[6:7], 0, v[14:15]
	s_waitcnt vmcnt(0)
	v_lshlrev_b32_e32 v2, 16, v2
	v_sub_f32_e32 v2, v2, v3
	global_store_short_d16_hi v[14:15], v2, off offset:96
	v_mul_f32_e32 v2, v22, v2
	v_lshrrev_b32_e32 v15, 16, v2
.LBB125_95:
	s_or_b64 exec, exec, s[6:7]
	v_mov_b32_e32 v11, 0
	v_mov_b32_e32 v14, 0
	s_and_saveexec_b64 s[2:3], s[4:5]
	s_cbranch_execz .LBB125_97
; %bb.96:
	v_mov_b32_e32 v17, 0
	v_lshl_add_u64 v[2:3], v[8:9], 0, v[16:17]
	global_load_ushort v12, v[2:3], off offset:96
	v_lshl_add_u64 v[2:3], v[6:7], 0, v[16:17]
	s_waitcnt vmcnt(0)
	v_lshlrev_b32_e32 v12, 16, v12
	v_sub_f32_e32 v4, v12, v4
	global_store_short_d16_hi v[2:3], v4, off offset:96
	v_mul_f32_e32 v2, v32, v4
	v_lshrrev_b32_e32 v14, 16, v2
.LBB125_97:
	s_or_b64 exec, exec, s[2:3]
	v_or_b32_e32 v12, 0x6000, v28
	v_or_b32_e32 v4, 0x6000, v29
	;; [unrolled: 1-line block ×4, first 2 shown]
	s_and_saveexec_b64 s[2:3], s[0:1]
	s_cbranch_execz .LBB125_99
; %bb.98:
	v_mov_b32_e32 v11, 0
	v_lshl_add_u64 v[8:9], v[8:9], 0, v[10:11]
	global_load_ushort v8, v[8:9], off offset:96
	v_lshl_add_u64 v[6:7], v[6:7], 0, v[10:11]
	s_waitcnt vmcnt(0)
	v_lshlrev_b32_e32 v8, 16, v8
	v_sub_f32_e32 v5, v8, v5
	global_store_short_d16_hi v[6:7], v5, off offset:96
	v_mul_f32_e32 v5, v20, v5
	v_lshrrev_b32_e32 v11, 16, v5
.LBB125_99:
	s_or_b64 exec, exec, s[2:3]
	s_mov_b32 s0, 0x5040100
	v_or_b32_e32 v5, v19, v21
	v_perm_b32 v7, v11, v14, s0
	v_perm_b32 v6, v15, v13, s0
	v_lshlrev_b32_e32 v5, 1, v5
	s_movk_i32 s0, 0x100
	ds_write_b64 v5, v[6:7] offset:24576
	v_and_b32_e32 v5, 7, v0
	v_and_b32_e32 v6, 8, v0
	v_cmp_gt_u32_e32 vcc, s0, v0
	v_lshrrev_b32_e32 v0, 1, v0
	v_mov_b32_e32 v7, 0xa000
	v_mov_b32_e32 v8, 0x8000
	v_lshlrev_b32_e32 v26, 3, v74
	v_and_b32_e32 v0, 24, v0
	v_cndmask_b32_e32 v19, v7, v8, vcc
	v_xor_b32_e32 v7, v26, v0
	v_or_b32_e32 v8, 0x440, v7
	v_cmp_eq_u32_e32 vcc, 0, v6
	v_lshlrev_b32_e32 v13, 3, v5
	v_lshlrev_b32_e32 v5, 7, v5
	v_cndmask_b32_e32 v6, v8, v7, vcc
	v_or_b32_e32 v6, v6, v27
	v_xad_u32 v32, v6, v13, v5
	v_add_u32_e32 v6, v19, v32
	s_waitcnt lgkmcnt(0)
	s_barrier
	ds_read_b64 v[10:11], v6
	ds_read2_b64 v[6:9], v12 offset1:16
	ds_read2_b64 v[14:17], v12 offset0:32 offset1:48
	v_or_b32_e32 v20, 32, v0
	v_xor_b32_e32 v20, v26, v20
	v_or_b32_e32 v21, 0x440, v20
	v_cndmask_b32_e32 v20, v21, v20, vcc
	s_waitcnt lgkmcnt(1)
	v_mfma_f32_16x16x16_bf16 a[0:3], v[10:11], v[6:7], 0
	v_or_b32_e32 v20, v20, v27
	v_xad_u32 v33, v20, v13, v5
	v_add_u32_e32 v20, v19, v33
	v_mfma_f32_16x16x16_bf16 a[4:7], v[10:11], v[8:9], 0
	ds_read_b64 v[24:25], v20
	ds_read2st64_b64 v[28:31], v4 offset0:4 offset1:8
	ds_read2st64_b64 v[66:69], v3 offset0:4 offset1:8
	s_waitcnt lgkmcnt(3)
	v_mfma_f32_16x16x16_bf16 a[8:11], v[10:11], v[14:15], 0
	ds_read2st64_b64 v[70:73], v2 offset0:4 offset1:8
	v_mfma_f32_16x16x16_bf16 a[12:15], v[10:11], v[16:17], 0
	v_or_b32_e32 v10, 64, v0
	v_xor_b32_e32 v10, v26, v10
	v_xor_b32_e32 v11, 0x440, v10
	v_cndmask_b32_e32 v10, v11, v10, vcc
	v_or_b32_e32 v10, v10, v27
	v_xad_u32 v74, v10, v13, v5
	v_add_u32_e32 v10, v19, v74
	ds_read_b64 v[10:11], v10
	ds_read2st64_b64 v[20:23], v12 offset0:4 offset1:8
	v_or_b32_e32 v0, 0x60, v0
	v_xor_b32_e32 v0, v26, v0
	s_waitcnt lgkmcnt(0)
	v_mfma_f32_16x16x16_bf16 a[0:3], v[24:25], v[20:21], a[0:3]
	v_mfma_f32_16x16x16_bf16 a[4:7], v[24:25], v[28:29], a[4:7]
	v_mfma_f32_16x16x16_bf16 a[8:11], v[24:25], v[66:67], a[8:11]
	v_mfma_f32_16x16x16_bf16 a[12:15], v[24:25], v[70:71], a[12:15]
	v_xor_b32_e32 v24, 0x440, v0
	v_cndmask_b32_e32 v0, v24, v0, vcc
	v_or_b32_e32 v0, v0, v27
	v_xad_u32 v26, v0, v13, v5
	v_add_u32_e32 v0, v19, v26
	v_mfma_f32_16x16x16_bf16 a[0:3], v[10:11], v[22:23], a[0:3]
	ds_read_b64 v[24:25], v0
	ds_read_b64 v[12:13], v12 offset:6144
	v_mov_b32_e32 v0, 0x3fb8aa3b
	v_mul_f32_e32 v0, s12, v0
	v_mfma_f32_16x16x16_bf16 a[4:7], v[10:11], v[30:31], a[4:7]
	v_exp_f32_e32 v0, v0
	v_mfma_f32_16x16x16_bf16 a[8:11], v[10:11], v[68:69], a[8:11]
	v_mfma_f32_16x16x16_bf16 a[12:15], v[10:11], v[72:73], a[12:15]
	ds_read_b64 v[4:5], v4 offset:6144
	ds_read_b64 v[10:11], v3 offset:6144
	;; [unrolled: 1-line block ×3, first 2 shown]
	s_waitcnt lgkmcnt(3)
	v_mfma_f32_16x16x16_bf16 a[0:3], v[24:25], v[12:13], a[0:3]
	s_waitcnt lgkmcnt(2)
	v_mfma_f32_16x16x16_bf16 a[4:7], v[24:25], v[4:5], a[4:7]
	;; [unrolled: 2-line block ×4, first 2 shown]
	ds_read_b64 v[24:25], v32 offset:40960
	s_waitcnt lgkmcnt(0)
	v_mfma_f32_16x16x16_bf16 a[16:19], v[24:25], v[6:7], 0
	ds_read_b64 v[6:7], v33 offset:40960
	v_mfma_f32_16x16x16_bf16 a[20:23], v[24:25], v[8:9], 0
	ds_read_b64 v[8:9], v74 offset:40960
	v_mfma_f32_16x16x16_bf16 a[24:27], v[24:25], v[14:15], 0
	v_accvgpr_read_b32 v15, a3
	v_accvgpr_read_b32 v14, a2
	v_pk_fma_f32 v[64:65], v[0:1], v[64:65], v[14:15] op_sel_hi:[0,1,1]
	v_mfma_f32_16x16x16_bf16 a[28:31], v[24:25], v[16:17], 0
	ds_read_b64 v[14:15], v26 offset:40960
	v_accvgpr_read_b32 v17, a7
	v_accvgpr_read_b32 v16, a6
	s_waitcnt lgkmcnt(2)
	v_mfma_f32_16x16x16_bf16 a[16:19], v[6:7], v[20:21], a[16:19]
	v_accvgpr_read_b32 v21, a15
	v_accvgpr_read_b32 v20, a14
	v_pk_fma_f32 v[56:57], v[0:1], v[56:57], v[16:17] op_sel_hi:[0,1,1]
	v_mfma_f32_16x16x16_bf16 a[20:23], v[6:7], v[28:29], a[20:23]
	v_pk_fma_f32 v[40:41], v[0:1], v[40:41], v[20:21] op_sel_hi:[0,1,1]
	v_mfma_f32_16x16x16_bf16 a[24:27], v[6:7], v[66:67], a[24:27]
	v_mfma_f32_16x16x16_bf16 a[28:31], v[6:7], v[70:71], a[28:31]
	v_accvgpr_read_b32 v7, a11
	v_accvgpr_read_b32 v6, a10
	v_pk_fma_f32 v[48:49], v[0:1], v[48:49], v[6:7] op_sel_hi:[0,1,1]
	s_waitcnt lgkmcnt(1)
	v_mfma_f32_16x16x16_bf16 a[16:19], v[8:9], v[22:23], a[16:19]
	v_accvgpr_read_b32 v23, a1
	v_accvgpr_read_b32 v22, a0
	v_pk_fma_f32 v[62:63], v[0:1], v[62:63], v[22:23] op_sel_hi:[0,1,1]
	v_mfma_f32_16x16x16_bf16 a[0:3], v[8:9], v[30:31], a[20:23]
	v_accvgpr_read_b32 v23, a5
	v_accvgpr_read_b32 v22, a4
	;; [unrolled: 1-line block ×3, first 2 shown]
	v_mfma_f32_16x16x16_bf16 a[20:23], v[8:9], v[68:69], a[24:27]
	v_accvgpr_read_b32 v7, a13
	v_pk_fma_f32 v[38:39], v[0:1], v[38:39], v[6:7] op_sel_hi:[0,1,1]
	v_pk_fma_f32 v[54:55], v[0:1], v[54:55], v[22:23] op_sel_hi:[0,1,1]
	v_mfma_f32_16x16x16_bf16 a[4:7], v[8:9], v[72:73], a[28:31]
	v_accvgpr_read_b32 v8, a8
	v_accvgpr_read_b32 v9, a9
	v_pk_fma_f32 v[46:47], v[0:1], v[46:47], v[8:9] op_sel_hi:[0,1,1]
	s_waitcnt lgkmcnt(0)
	v_mfma_f32_16x16x16_bf16 a[8:11], v[14:15], v[12:13], a[16:19]
	v_mfma_f32_16x16x16_bf16 a[0:3], v[14:15], v[4:5], a[0:3]
	s_nop 5
	v_accvgpr_read_b32 v5, a11
	v_accvgpr_read_b32 v4, a10
	v_mfma_f32_16x16x16_bf16 a[10:13], v[14:15], v[10:11], a[20:23]
	v_pk_fma_f32 v[60:61], v[0:1], v[60:61], v[4:5] op_sel_hi:[0,1,1]
	v_accvgpr_read_b32 v7, a3
	v_accvgpr_read_b32 v6, a2
	v_mfma_f32_16x16x16_bf16 a[2:5], v[14:15], v[2:3], a[4:7]
	v_accvgpr_read_b32 v5, a1
	v_accvgpr_read_b32 v4, a0
	v_pk_fma_f32 v[50:51], v[0:1], v[50:51], v[4:5] op_sel_hi:[0,1,1]
	v_accvgpr_read_b32 v4, a10
	v_accvgpr_read_b32 v5, a11
	;; [unrolled: 1-line block ×3, first 2 shown]
	v_pk_fma_f32 v[42:43], v[0:1], v[42:43], v[4:5] op_sel_hi:[0,1,1]
	v_accvgpr_read_b32 v5, a3
	v_accvgpr_read_b32 v9, a13
	;; [unrolled: 1-line block ×7, first 2 shown]
	v_pk_fma_f32 v[58:59], v[0:1], v[58:59], v[10:11] op_sel_hi:[0,1,1]
	v_pk_fma_f32 v[52:53], v[0:1], v[52:53], v[6:7] op_sel_hi:[0,1,1]
	v_pk_fma_f32 v[44:45], v[0:1], v[44:45], v[8:9] op_sel_hi:[0,1,1]
	v_pk_fma_f32 v[36:37], v[0:1], v[36:37], v[4:5] op_sel_hi:[0,1,1]
	v_pk_fma_f32 v[34:35], v[0:1], v[34:35], v[2:3] op_sel_hi:[0,1,1]
	v_mov_b32_e32 v2, v18
.LBB125_100:
	s_lshl_b64 s[0:1], s[28:29], 15
	s_waitcnt lgkmcnt(0)
	s_add_u32 s0, s34, s0
	v_lshlrev_b32_e32 v2, 7, v2
	s_addc_u32 s1, s35, s1
	v_ashrrev_i32_e32 v3, 31, v2
	v_lshl_add_u64 v[4:5], v[2:3], 1, s[0:1]
	v_lshlrev_b32_e32 v0, 1, v1
	v_mov_b32_e32 v1, 0
	s_mov_b32 s2, 0x7060302
	v_lshl_add_u64 v[4:5], v[4:5], 0, v[0:1]
	v_perm_b32 v7, v65, v64, s2
	v_perm_b32 v6, v63, v62, s2
	global_store_dwordx2 v[4:5], v[6:7], off
	v_perm_b32 v7, v61, v60, s2
	v_perm_b32 v6, v59, v58, s2
	global_store_dwordx2 v[4:5], v[6:7], off offset:128
	v_or_b32_e32 v4, 0x800, v2
	v_ashrrev_i32_e32 v5, 31, v4
	v_lshl_add_u64 v[4:5], v[4:5], 1, s[0:1]
	v_lshl_add_u64 v[4:5], v[4:5], 0, v[0:1]
	v_perm_b32 v7, v57, v56, s2
	v_perm_b32 v6, v55, v54, s2
	global_store_dwordx2 v[4:5], v[6:7], off
	v_perm_b32 v7, v53, v52, s2
	v_perm_b32 v6, v51, v50, s2
	global_store_dwordx2 v[4:5], v[6:7], off offset:128
	v_or_b32_e32 v4, 0x1000, v2
	v_or_b32_e32 v2, 0x1800, v2
	v_ashrrev_i32_e32 v5, 31, v4
	v_ashrrev_i32_e32 v3, 31, v2
	v_lshl_add_u64 v[4:5], v[4:5], 1, s[0:1]
	v_lshl_add_u64 v[2:3], v[2:3], 1, s[0:1]
	v_lshl_add_u64 v[4:5], v[4:5], 0, v[0:1]
	v_perm_b32 v7, v49, v48, s2
	v_perm_b32 v6, v47, v46, s2
	v_lshl_add_u64 v[0:1], v[2:3], 0, v[0:1]
	v_perm_b32 v3, v41, v40, s2
	v_perm_b32 v2, v39, v38, s2
	global_store_dwordx2 v[4:5], v[6:7], off
	v_perm_b32 v7, v45, v44, s2
	v_perm_b32 v6, v43, v42, s2
	global_store_dwordx2 v[0:1], v[2:3], off
	v_perm_b32 v3, v35, v34, s2
	v_perm_b32 v2, v37, v36, s2
	global_store_dwordx2 v[4:5], v[6:7], off offset:128
	global_store_dwordx2 v[0:1], v[2:3], off offset:128
	s_endpgm
	.section	.rodata,"a",@progbits
	.p2align	6, 0x0
	.amdhsa_kernel _ZN12_GLOBAL__N_139chunk_gated_delta_rule_fwd_h_hip_kernelILi64ELb0ELb1ELb1ELb0ELb0ELb0ELb0ELb1EEEvPK12hip_bfloat16S3_S3_PKfS5_PKvPS1_S8_PvPKiSB_iiiiilll
		.amdhsa_group_segment_fixed_size 65536
		.amdhsa_private_segment_fixed_size 0
		.amdhsa_kernarg_size 136
		.amdhsa_user_sgpr_count 2
		.amdhsa_user_sgpr_dispatch_ptr 0
		.amdhsa_user_sgpr_queue_ptr 0
		.amdhsa_user_sgpr_kernarg_segment_ptr 1
		.amdhsa_user_sgpr_dispatch_id 0
		.amdhsa_user_sgpr_kernarg_preload_length 0
		.amdhsa_user_sgpr_kernarg_preload_offset 0
		.amdhsa_user_sgpr_private_segment_size 0
		.amdhsa_uses_dynamic_stack 0
		.amdhsa_enable_private_segment 0
		.amdhsa_system_sgpr_workgroup_id_x 1
		.amdhsa_system_sgpr_workgroup_id_y 1
		.amdhsa_system_sgpr_workgroup_id_z 0
		.amdhsa_system_sgpr_workgroup_info 0
		.amdhsa_system_vgpr_workitem_id 0
		.amdhsa_next_free_vgpr 216
		.amdhsa_next_free_sgpr 67
		.amdhsa_accum_offset 180
		.amdhsa_reserve_vcc 1
		.amdhsa_float_round_mode_32 0
		.amdhsa_float_round_mode_16_64 0
		.amdhsa_float_denorm_mode_32 3
		.amdhsa_float_denorm_mode_16_64 3
		.amdhsa_dx10_clamp 1
		.amdhsa_ieee_mode 1
		.amdhsa_fp16_overflow 0
		.amdhsa_tg_split 0
		.amdhsa_exception_fp_ieee_invalid_op 0
		.amdhsa_exception_fp_denorm_src 0
		.amdhsa_exception_fp_ieee_div_zero 0
		.amdhsa_exception_fp_ieee_overflow 0
		.amdhsa_exception_fp_ieee_underflow 0
		.amdhsa_exception_fp_ieee_inexact 0
		.amdhsa_exception_int_div_zero 0
	.end_amdhsa_kernel
	.section	.text._ZN12_GLOBAL__N_139chunk_gated_delta_rule_fwd_h_hip_kernelILi64ELb0ELb1ELb1ELb0ELb0ELb0ELb0ELb1EEEvPK12hip_bfloat16S3_S3_PKfS5_PKvPS1_S8_PvPKiSB_iiiiilll,"axG",@progbits,_ZN12_GLOBAL__N_139chunk_gated_delta_rule_fwd_h_hip_kernelILi64ELb0ELb1ELb1ELb0ELb0ELb0ELb0ELb1EEEvPK12hip_bfloat16S3_S3_PKfS5_PKvPS1_S8_PvPKiSB_iiiiilll,comdat
.Lfunc_end125:
	.size	_ZN12_GLOBAL__N_139chunk_gated_delta_rule_fwd_h_hip_kernelILi64ELb0ELb1ELb1ELb0ELb0ELb0ELb0ELb1EEEvPK12hip_bfloat16S3_S3_PKfS5_PKvPS1_S8_PvPKiSB_iiiiilll, .Lfunc_end125-_ZN12_GLOBAL__N_139chunk_gated_delta_rule_fwd_h_hip_kernelILi64ELb0ELb1ELb1ELb0ELb0ELb0ELb0ELb1EEEvPK12hip_bfloat16S3_S3_PKfS5_PKvPS1_S8_PvPKiSB_iiiiilll
                                        ; -- End function
	.section	.AMDGPU.csdata,"",@progbits
; Kernel info:
; codeLenInByte = 12728
; NumSgprs: 73
; NumVgprs: 180
; NumAgprs: 36
; TotalNumVgprs: 216
; ScratchSize: 0
; MemoryBound: 0
; FloatMode: 240
; IeeeMode: 1
; LDSByteSize: 65536 bytes/workgroup (compile time only)
; SGPRBlocks: 9
; VGPRBlocks: 26
; NumSGPRsForWavesPerEU: 73
; NumVGPRsForWavesPerEU: 216
; AccumOffset: 180
; Occupancy: 1
; WaveLimiterHint : 1
; COMPUTE_PGM_RSRC2:SCRATCH_EN: 0
; COMPUTE_PGM_RSRC2:USER_SGPR: 2
; COMPUTE_PGM_RSRC2:TRAP_HANDLER: 0
; COMPUTE_PGM_RSRC2:TGID_X_EN: 1
; COMPUTE_PGM_RSRC2:TGID_Y_EN: 1
; COMPUTE_PGM_RSRC2:TGID_Z_EN: 0
; COMPUTE_PGM_RSRC2:TIDIG_COMP_CNT: 0
; COMPUTE_PGM_RSRC3_GFX90A:ACCUM_OFFSET: 44
; COMPUTE_PGM_RSRC3_GFX90A:TG_SPLIT: 0
	.section	.text._ZN12_GLOBAL__N_139chunk_gated_delta_rule_fwd_h_hip_kernelILi64ELb0ELb1ELb0ELb0ELb0ELb0ELb0ELb1EEEvPK12hip_bfloat16S3_S3_PKfS5_PKvPS1_S8_PvPKiSB_iiiiilll,"axG",@progbits,_ZN12_GLOBAL__N_139chunk_gated_delta_rule_fwd_h_hip_kernelILi64ELb0ELb1ELb0ELb0ELb0ELb0ELb0ELb1EEEvPK12hip_bfloat16S3_S3_PKfS5_PKvPS1_S8_PvPKiSB_iiiiilll,comdat
	.globl	_ZN12_GLOBAL__N_139chunk_gated_delta_rule_fwd_h_hip_kernelILi64ELb0ELb1ELb0ELb0ELb0ELb0ELb0ELb1EEEvPK12hip_bfloat16S3_S3_PKfS5_PKvPS1_S8_PvPKiSB_iiiiilll ; -- Begin function _ZN12_GLOBAL__N_139chunk_gated_delta_rule_fwd_h_hip_kernelILi64ELb0ELb1ELb0ELb0ELb0ELb0ELb0ELb1EEEvPK12hip_bfloat16S3_S3_PKfS5_PKvPS1_S8_PvPKiSB_iiiiilll
	.p2align	8
	.type	_ZN12_GLOBAL__N_139chunk_gated_delta_rule_fwd_h_hip_kernelILi64ELb0ELb1ELb0ELb0ELb0ELb0ELb0ELb1EEEvPK12hip_bfloat16S3_S3_PKfS5_PKvPS1_S8_PvPKiSB_iiiiilll,@function
_ZN12_GLOBAL__N_139chunk_gated_delta_rule_fwd_h_hip_kernelILi64ELb0ELb1ELb0ELb0ELb0ELb0ELb0ELb1EEEvPK12hip_bfloat16S3_S3_PKfS5_PKvPS1_S8_PvPKiSB_iiiiilll: ; @_ZN12_GLOBAL__N_139chunk_gated_delta_rule_fwd_h_hip_kernelILi64ELb0ELb1ELb0ELb0ELb0ELb0ELb0ELb1EEEvPK12hip_bfloat16S3_S3_PKfS5_PKvPS1_S8_PvPKiSB_iiiiilll
; %bb.0:
	s_load_dwordx4 s[12:15], s[0:1], 0x5c
	s_load_dwordx4 s[16:19], s[0:1], 0x70
	s_abs_i32 s22, s3
	s_ashr_i32 s21, s3, 31
	s_load_dwordx8 s[4:11], s[0:1], 0x0
	s_waitcnt lgkmcnt(0)
	s_abs_i32 s20, s13
	v_cvt_f32_u32_e32 v1, s20
	s_sub_i32 s24, 0, s20
	s_ashr_i32 s23, s13, 31
	s_xor_b32 s21, s21, s23
	v_rcp_iflag_f32_e32 v1, v1
	s_load_dwordx2 s[28:29], s[0:1], 0x40
	s_load_dwordx2 s[36:37], s[0:1], 0x30
	;; [unrolled: 1-line block ×3, first 2 shown]
	v_lshrrev_b32_e32 v72, 6, v0
	v_mul_f32_e32 v1, 0x4f7ffffe, v1
	v_cvt_u32_f32_e32 v1, v1
	v_bfe_u32 v75, v0, 4, 2
	s_mov_b32 s0, 0
	v_lshlrev_b32_e32 v73, 4, v72
	v_readfirstlane_b32 s25, v1
	s_mul_i32 s24, s24, s25
	s_mul_hi_u32 s24, s25, s24
	s_add_i32 s25, s25, s24
	s_mul_hi_u32 s24, s22, s25
	s_mul_i32 s25, s24, s20
	s_sub_i32 s22, s22, s25
	s_add_i32 s26, s24, 1
	s_sub_i32 s25, s22, s20
	s_cmp_ge_u32 s22, s20
	s_cselect_b32 s24, s26, s24
	s_cselect_b32 s22, s25, s22
	s_add_i32 s25, s24, 1
	s_cmp_ge_u32 s22, s20
	s_cselect_b32 s22, s25, s24
	s_xor_b32 s22, s22, s21
	s_sub_i32 s47, s22, s21
	s_abs_i32 s22, s14
	v_cvt_f32_u32_e32 v1, s22
	s_mul_i32 s45, s47, s13
	s_sub_i32 s33, s3, s45
	s_add_i32 s3, s12, 63
	v_rcp_iflag_f32_e32 v1, v1
	s_ashr_i32 s21, s3, 31
	s_lshr_b32 s21, s21, 26
	s_ashr_i32 s46, s12, 31
	v_mul_f32_e32 v1, 0x4f7ffffe, v1
	v_cvt_u32_f32_e32 v1, v1
	s_add_i32 s3, s3, s21
	s_lshr_b32 s21, s46, 26
	s_add_i32 s21, s12, s21
	s_ashr_i32 s49, s14, 31
	s_ashr_i32 s48, s21, 6
	s_xor_b32 s21, s23, s49
	s_sub_i32 s23, 0, s22
	v_readfirstlane_b32 s24, v1
	s_mul_i32 s23, s23, s24
	s_mul_hi_u32 s23, s24, s23
	s_add_i32 s24, s24, s23
	s_mul_hi_u32 s23, s20, s24
	s_mul_i32 s24, s23, s22
	s_sub_i32 s20, s20, s24
	s_ashr_i32 s3, s3, 6
	s_add_i32 s24, s23, 1
	s_sub_i32 s25, s20, s22
	s_cmp_ge_u32 s20, s22
	s_cselect_b32 s23, s24, s23
	s_cselect_b32 s20, s25, s20
	s_add_i32 s24, s23, 1
	s_cmp_ge_u32 s20, s22
	s_cselect_b32 s20, s24, s23
	s_xor_b32 s20, s20, s21
	s_sub_i32 s20, s20, s21
	s_abs_i32 s21, s20
	v_cvt_f32_u32_e32 v1, s21
	s_sub_i32 s22, 0, s21
	s_xor_b32 s1, s33, s20
	s_abs_i32 s20, s33
	v_rcp_iflag_f32_e32 v1, v1
	s_ashr_i32 s1, s1, 31
	v_lshlrev_b32_e32 v2, 2, v75
	v_and_b32_e32 v74, 63, v0
	v_mul_f32_e32 v1, 0x4f7ffffe, v1
	v_cvt_u32_f32_e32 v1, v1
	s_mul_i32 s50, s47, s3
	v_and_b32_e32 v76, 15, v0
	s_mul_hi_i32 s51, s47, s13
	v_readfirstlane_b32 s23, v1
	s_mul_i32 s22, s22, s23
	s_mul_hi_u32 s22, s23, s22
	s_add_i32 s23, s23, s22
	s_mul_hi_u32 s22, s20, s23
	s_mul_i32 s23, s22, s21
	s_sub_i32 s20, s20, s23
	s_add_i32 s23, s22, 1
	s_sub_i32 s24, s20, s21
	s_cmp_ge_u32 s20, s21
	s_cselect_b32 s22, s23, s22
	s_cselect_b32 s20, s24, s20
	s_add_i32 s23, s22, 1
	s_cmp_ge_u32 s20, s21
	s_cselect_b32 s20, s23, s22
	s_xor_b32 s20, s20, s1
	s_sub_i32 s52, s20, s1
	v_or_b32_e32 v1, v2, v73
	s_lshl_b32 s2, s2, 6
	s_mov_b32 s1, s0
	v_or_b32_e32 v79, 64, v1
	s_cmp_lt_i32 s12, 64
	v_mov_b64_e32 v[34:35], s[0:1]
	v_lshrrev_b32_e32 v78, 3, v74
	v_lshlrev_b32_e32 v77, 3, v0
	s_mul_i32 s17, s47, s17
	s_mul_hi_u32 s44, s47, s16
	s_mul_i32 s34, s47, s16
	v_mov_b64_e32 v[36:37], s[0:1]
	v_mov_b64_e32 v[40:41], s[0:1]
	;; [unrolled: 1-line block ×15, first 2 shown]
	s_cbranch_scc1 .LBB126_17
; %bb.1:
	s_ashr_i32 s3, s47, 31
	s_ashr_i32 s54, s33, 31
	s_add_u32 s0, s45, s33
	s_addc_u32 s1, s51, s54
	s_mul_i32 s1, s12, s1
	s_mul_hi_u32 s20, s12, s0
	s_add_i32 s39, s20, s1
	s_mul_i32 s38, s12, s0
	s_lshl_b64 s[0:1], s[38:39], 8
	v_and_b32_e32 v81, 56, v77
	s_add_u32 s20, s6, s0
	v_lshl_or_b32 v80, v72, 3, v78
	v_lshlrev_b32_e32 v3, 1, v81
	s_addc_u32 s0, s7, s1
	v_lshl_or_b32 v82, v80, 8, v3
	s_and_b32 s21, s0, 0xffff
	s_mov_b32 s23, 0x20000
	s_movk_i32 s22, 0x4000
	s_movk_i32 s0, 0x80
	v_or_b32_e32 v83, 0x2000, v82
	buffer_load_dwordx4 v[4:7], v82, s[20:23], 0 offen
	buffer_load_dwordx4 v[8:11], v82, s[20:23], s0 offen
	;; [unrolled: 1-line block ×4, first 2 shown]
	v_lshlrev_b32_e32 v20, 3, v80
	v_and_or_b32 v22, v0, 7, v20
	v_and_b32_e32 v20, 0x78, v20
	v_lshlrev_b32_e32 v22, 4, v22
	v_xor_b32_e32 v84, v22, v20
	v_mul_lo_u32 v21, v80, s15
	v_or_b32_e32 v85, 0x1000, v84
	s_cmpk_eq_i32 s15, 0x80
	s_mov_b32 s53, s14
	v_xor_b32_e32 v20, 8, v84
	v_xor_b32_e32 v22, 8, v85
	s_cselect_b64 s[0:1], -1, 0
	s_cmpk_lg_i32 s15, 0x80
	s_waitcnt vmcnt(3)
	ds_write_b64 v84, v[4:5] offset:49152
	ds_write_b64 v20, v[6:7] offset:49152
	s_waitcnt vmcnt(2)
	ds_write_b64 v84, v[8:9] offset:57344
	ds_write_b64 v20, v[10:11] offset:57344
	;; [unrolled: 3-line block ×4, first 2 shown]
	v_lshl_add_u32 v4, v21, 1, v81
	s_cbranch_scc0 .LBB126_3
; %bb.2:
	v_lshlrev_b32_e32 v6, 1, v4
	v_add_lshl_u32 v5, v4, s15, 1
	s_lshl_b32 s22, s15, 7
	v_lshl_or_b32 v3, v80, 9, v3
	s_cbranch_execz .LBB126_4
	s_branch .LBB126_5
.LBB126_3:
                                        ; implicit-def: $vgpr5
                                        ; implicit-def: $vgpr6
                                        ; implicit-def: $sgpr22
	v_lshl_or_b32 v3, v80, 9, v3
.LBB126_4:
	v_or_b32_e32 v5, 0x100, v3
	s_movk_i32 s22, 0x4000
	v_mov_b32_e32 v6, v3
.LBB126_5:
	s_mul_hi_u32 s20, s14, s12
	s_mul_i32 s21, s49, s12
	s_add_i32 s20, s20, s21
	s_mul_i32 s21, s14, s12
	s_mul_i32 s23, s21, s3
	s_mul_hi_u32 s24, s21, s47
	s_add_i32 s23, s24, s23
	s_mul_i32 s20, s20, s47
	s_add_i32 s23, s23, s20
	s_mul_i32 s21, s21, s47
	s_ashr_i32 s55, s52, 31
	s_add_u32 s20, s21, s52
	s_addc_u32 s21, s23, s55
	s_lshl_b64 s[20:21], s[20:21], 8
	s_add_u32 s20, s4, s20
	s_addc_u32 s21, s5, s21
	s_and_b32 s21, s21, 0xffff
	s_mov_b32 s23, 0x20000
	s_movk_i32 s56, 0x80
	buffer_load_dwordx4 v[8:11], v6, s[20:23], 0 offen
	buffer_load_dwordx4 v[12:15], v6, s[20:23], s56 offen
	;; [unrolled: 1-line block ×4, first 2 shown]
	v_and_b32_e32 v5, 6, v0
	v_lshlrev_b32_e32 v6, 7, v1
	v_xor_b32_e32 v27, v80, v5
	v_and_b32_e32 v7, 1, v0
	v_lshl_or_b32 v30, v76, 3, v6
	v_lshlrev_b32_e32 v27, 2, v27
	v_or_b32_e32 v86, 0x4000, v30
	v_or_b32_e32 v87, 0x6000, v30
	v_xor_b32_e32 v30, 0x440, v27
	v_cmp_eq_u32_e32 vcc, 0, v7
	v_lshlrev_b32_e32 v24, 2, v76
	s_mov_b32 s58, 0x1000504
	v_cndmask_b32_e32 v7, v30, v27, vcc
	v_xor_b32_e32 v28, v1, v24
	v_xor_b32_e32 v29, v79, v24
	v_lshl_or_b32 v5, v5, 10, v7
	s_mov_b32 s59, 0x3020706
	s_mul_i32 s20, s3, s12
	s_mul_hi_u32 s21, s47, s12
	v_lshlrev_b32_e32 v25, 8, v76
	v_or_b32_e32 v26, 16, v76
	v_lshlrev_b32_e32 v28, 1, v28
	v_lshlrev_b32_e32 v29, 1, v29
	v_xor_b32_e32 v7, 8, v5
	v_xor_b32_e32 v27, 24, v5
	;; [unrolled: 1-line block ×4, first 2 shown]
	v_or_b32_e32 v89, v25, v28
	v_or_b32_e32 v90, v25, v29
	v_xor_b32_e32 v25, 16, v5
	v_xor_b32_e32 v30, 32, v5
	;; [unrolled: 1-line block ×3, first 2 shown]
	v_add_u32_e32 v7, 0x80, v7
	v_add_u32_e32 v27, 0x80, v27
	;; [unrolled: 1-line block ×4, first 2 shown]
	s_add_i32 s61, s21, s20
	s_add_i32 s20, s44, s17
	s_mul_i32 s3, s3, s16
	s_add_i32 s35, s20, s3
	s_mul_i32 s3, s33, s19
	s_mul_hi_u32 s20, s33, s18
	s_add_i32 s3, s20, s3
	s_mul_i32 s20, s54, s18
	s_add_i32 s21, s3, s20
	s_lshl_b64 s[24:25], s[34:35], 2
	s_mul_i32 s20, s33, s18
	s_add_u32 s3, s10, s24
	s_addc_u32 s24, s11, s25
	s_lshl_b64 s[20:21], s[20:21], 2
	s_add_u32 s40, s3, s20
	s_movk_i32 s3, 0xf8
	s_addc_u32 s41, s24, s21
	s_lshl_b32 s26, s15, 7
	s_movk_i32 s24, 0x100
	v_mov_b32_e32 v67, 0
	v_lshlrev_b32_e32 v66, 4, v76
	v_cmp_gt_u32_e32 vcc, s24, v0
	v_lshl_or_b32 v31, v26, 3, v6
	s_mov_b32 s57, 0
	s_mul_i32 s60, s47, s12
	v_or_b32_e32 v88, 0x4000, v31
	s_movk_i32 s22, 0x4000
	v_or_b32_e32 v91, 0x6000, v31
	v_add_u32_e32 v126, v73, v2
	s_movk_i32 s35, 0x2000
	s_movk_i32 s62, 0x3000
	v_mov_b32_e32 v131, 0x3fb8aa3b
	s_mov_b32 s64, 0
	v_mov_b32_e32 v62, v67
	v_mov_b32_e32 v63, v67
	v_mov_b32_e32 v64, v67
	v_mov_b32_e32 v65, v67
	v_mov_b32_e32 v58, v67
	v_mov_b32_e32 v59, v67
	v_mov_b32_e32 v60, v67
	v_mov_b32_e32 v61, v67
	v_mov_b32_e32 v54, v67
	s_waitcnt vmcnt(1)
	v_perm_b32 v35, v8, v16, s58
	s_waitcnt vmcnt(0)
	v_perm_b32 v36, v12, v20, s58
	v_perm_b32 v8, v8, v16, s59
	;; [unrolled: 1-line block ×15, first 2 shown]
	ds_write2st64_b32 v5, v35, v36 offset0:128 offset1:160
	ds_write2st64_b32 v7, v8, v12 offset0:128 offset1:160
	;; [unrolled: 1-line block ×8, first 2 shown]
	v_lshlrev_b32_e32 v5, 8, v26
	v_or_b32_e32 v92, v5, v28
	v_or_b32_e32 v93, v5, v29
	;; [unrolled: 1-line block ×3, first 2 shown]
	v_lshl_or_b32 v7, v5, 3, v6
	v_lshlrev_b32_e32 v5, 8, v5
	v_or_b32_e32 v96, v5, v28
	v_or_b32_e32 v97, v5, v29
	;; [unrolled: 1-line block ×5, first 2 shown]
	v_lshl_or_b32 v7, v5, 3, v6
	v_lshlrev_b32_e32 v5, 8, v5
	v_or_b32_e32 v100, v5, v28
	v_or_b32_e32 v101, v5, v29
	;; [unrolled: 1-line block ×3, first 2 shown]
	v_lshlrev_b32_e32 v5, 3, v5
	v_lshrrev_b32_e32 v9, 5, v74
	v_and_or_b32 v9, v5, s3, v9
	v_lshlrev_b32_e32 v9, 4, v9
	v_or_b32_e32 v98, 0x4000, v7
	v_or_b32_e32 v99, 0x6000, v7
	v_lshlrev_b32_e32 v7, 11, v72
	v_and_b32_e32 v5, 0x78, v5
	v_or_b32_e32 v14, 32, v9
	v_and_b32_e32 v8, 0x1000, v7
	v_xor_b32_e32 v10, v9, v5
	v_lshrrev_b32_e32 v11, 1, v0
	v_xor_b32_e32 v14, v14, v5
	v_or_b32_e32 v10, v10, v8
	v_and_b32_e32 v12, 8, v11
	v_or_b32_e32 v14, v14, v8
	v_xor_b32_e32 v102, v10, v12
	v_lshlrev_b32_e32 v10, 8, v75
	v_xor_b32_e32 v104, v14, v12
	v_or_b32_e32 v14, 64, v9
	v_or_b32_e32 v9, 0x60, v9
	;; [unrolled: 1-line block ×3, first 2 shown]
	v_xor_b32_e32 v14, v14, v5
	v_xor_b32_e32 v5, v9, v5
	s_ashr_i32 s3, s2, 31
	v_lshlrev_b32_e32 v13, 1, v13
	v_or_b32_e32 v14, v14, v8
	v_or_b32_e32 v5, v5, v8
	s_lshl_b64 s[20:21], s[2:3], 8
	v_or_b32_e32 v103, 0x4000, v13
	v_or_b32_e32 v105, 0x4080, v13
	;; [unrolled: 1-line block ×4, first 2 shown]
	v_xor_b32_e32 v108, v14, v12
	v_xor_b32_e32 v109, v5, v12
	v_or_b32_e32 v110, 0x6000, v13
	v_or_b32_e32 v111, 0x6080, v13
	;; [unrolled: 1-line block ×4, first 2 shown]
	v_lshlrev_b32_e32 v12, 1, v4
	v_add_lshl_u32 v13, v4, s15, 1
	s_waitcnt lgkmcnt(0)
	s_add_u32 s20, s36, s20
	v_lshlrev_b32_e32 v4, 1, v76
	v_lshrrev_b32_e32 v15, 4, v0
	s_addc_u32 s21, s37, s21
	v_or_b32_e32 v5, 1, v4
	v_mov_b32_e32 v19, 0xa000
	v_mov_b32_e32 v20, 0x8000
	v_xor_b32_e32 v16, v15, v4
	v_xor_b32_e32 v17, v5, v15
	v_lshl_add_u64 v[4:5], s[20:21], 0, v[66:67]
	v_lshlrev_b32_e32 v66, 8, v15
	v_cndmask_b32_e32 v19, v19, v20, vcc
	v_lshlrev_b32_e32 v20, 3, v72
	v_and_b32_e32 v11, 24, v11
	v_lshl_or_b32 v114, v16, 3, v66
	v_and_b32_e32 v16, 8, v0
	v_xor_b32_e32 v21, v20, v11
	v_or_b32_e32 v22, 0x440, v21
	v_cmp_eq_u32_e32 vcc, 0, v16
	v_and_b32_e32 v15, 7, v0
	v_lshl_or_b32 v115, v17, 3, v66
	v_cndmask_b32_e32 v16, v22, v21, vcc
	v_lshlrev_b32_e32 v17, 3, v15
	v_lshlrev_b32_e32 v15, 7, v15
	v_or_b32_e32 v16, v16, v7
	v_lshlrev_b32_e32 v18, 2, v0
	v_xad_u32 v116, v16, v17, v15
	v_or_b32_e32 v16, 32, v11
	v_and_or_b32 v10, v18, 60, v10
	v_xor_b32_e32 v16, v20, v16
	v_lshlrev_b32_e32 v10, 1, v10
	v_or_b32_e32 v18, 0x440, v16
	v_or_b32_e32 v117, 0x6000, v10
	v_cndmask_b32_e32 v16, v18, v16, vcc
	v_or_b32_e32 v119, 0x6080, v10
	v_or_b32_e32 v120, 0x6100, v10
	v_or_b32_e32 v121, 0x6180, v10
	v_or_b32_e32 v10, 64, v11
	v_or_b32_e32 v16, v16, v7
	v_xor_b32_e32 v10, v20, v10
	v_xad_u32 v118, v16, v17, v15
	v_xor_b32_e32 v16, 0x440, v10
	v_cndmask_b32_e32 v10, v16, v10, vcc
	v_or_b32_e32 v10, v10, v7
	v_xad_u32 v122, v10, v17, v15
	v_or_b32_e32 v10, 0x60, v11
	v_xor_b32_e32 v10, v20, v10
	v_xor_b32_e32 v11, 0x440, v10
	v_cndmask_b32_e32 v10, v11, v10, vcc
	v_or_b32_e32 v8, s2, v76
	v_or_b32_e32 v7, v10, v7
	v_ashrrev_i32_e32 v9, 31, v8
	v_or_b32_e32 v14, 0x100, v3
	v_xad_u32 v123, v7, v17, v15
	v_cndmask_b32_e64 v124, v12, v3, s[0:1]
	v_cndmask_b32_e64 v125, v13, v14, s[0:1]
	v_lshl_add_u64 v[68:69], v[8:9], 1, s[8:9]
	v_lshl_add_u64 v[70:71], v[4:5], 0, v[66:67]
	s_mov_b32 s3, 0x7060302
	v_lshlrev_b32_e32 v66, 1, v6
	v_add_u32_e32 v127, v19, v116
	v_add_u32_e32 v128, v19, v118
	;; [unrolled: 1-line block ×4, first 2 shown]
	v_mov_b32_e32 v55, v67
	v_mov_b32_e32 v56, v67
	v_mov_b32_e32 v57, v67
	v_mov_b32_e32 v50, v67
	v_mov_b32_e32 v51, v67
	v_mov_b32_e32 v52, v67
	v_mov_b32_e32 v53, v67
	v_mov_b32_e32 v46, v67
	v_mov_b32_e32 v47, v67
	v_mov_b32_e32 v48, v67
	v_mov_b32_e32 v49, v67
	v_mov_b32_e32 v42, v67
	v_mov_b32_e32 v43, v67
	v_mov_b32_e32 v44, v67
	v_mov_b32_e32 v45, v67
	v_mov_b32_e32 v38, v67
	v_mov_b32_e32 v39, v67
	v_mov_b32_e32 v40, v67
	v_mov_b32_e32 v41, v67
	v_mov_b32_e32 v36, v67
	v_mov_b32_e32 v37, v67
	v_mov_b32_e32 v34, v67
	v_mov_b32_e32 v35, v67
	s_barrier
	s_branch .LBB126_7
.LBB126_6:                              ;   in Loop: Header=BB126_7 Depth=1
	s_waitcnt vmcnt(6)
	v_mul_f32_e32 v22, s20, v131
	v_exp_f32_e32 v132, v22
	v_accvgpr_read_b32 v5, a3
	v_accvgpr_read_b32 v9, a7
	;; [unrolled: 1-line block ×4, first 2 shown]
	s_waitcnt vmcnt(4)
	v_accvgpr_read_b32 v18, a20
	v_accvgpr_read_b32 v25, a19
	;; [unrolled: 1-line block ×28, first 2 shown]
	s_add_i32 s57, s57, 64
	v_pk_fma_f32 v[62:63], v[132:133], v[62:63], v[2:3] op_sel_hi:[0,1,1]
	v_pk_fma_f32 v[64:65], v[132:133], v[64:65], v[4:5] op_sel_hi:[0,1,1]
	;; [unrolled: 1-line block ×16, first 2 shown]
	s_cmp_eq_u32 s48, s63
	s_mov_b32 s64, s63
	s_cbranch_scc1 .LBB126_17
.LBB126_7:                              ; =>This Inner Loop Header: Depth=1
	s_add_i32 s63, s64, 1
	s_cmp_lt_i32 s63, s48
	s_mov_b64 s[24:25], 0
	s_cselect_b64 s[42:43], -1, 0
	s_cmp_ge_i32 s63, s48
	s_mov_b64 s[20:21], 0
	s_cbranch_scc1 .LBB126_9
; %bb.8:                                ;   in Loop: Header=BB126_7 Depth=1
	s_add_i32 s0, s57, 64
	s_add_u32 s0, s38, s0
	s_addc_u32 s1, s39, 0
	s_lshl_b64 s[0:1], s[0:1], 8
	s_add_u32 s20, s6, s0
	s_addc_u32 s21, s7, s1
.LBB126_9:                              ;   in Loop: Header=BB126_7 Depth=1
	v_cndmask_b32_e64 v2, 0, 1, s[42:43]
	v_cmp_ne_u32_e64 s[0:1], 1, v2
	s_andn2_b64 vcc, exec, s[42:43]
	s_cbranch_vccnz .LBB126_11
; %bb.10:                               ;   in Loop: Header=BB126_7 Depth=1
	s_add_i32 s24, s57, 64
	s_add_u32 s24, s60, s24
	s_addc_u32 s25, s61, 0
	s_mul_i32 s27, s24, s49
	s_mul_hi_u32 s42, s24, s53
	s_add_i32 s27, s42, s27
	s_mul_i32 s25, s25, s53
	s_add_i32 s27, s27, s25
	s_mul_i32 s24, s24, s53
	s_add_u32 s24, s24, s52
	s_addc_u32 s25, s27, s55
	s_lshl_b64 s[24:25], s[24:25], 8
	s_add_u32 s24, s4, s24
	s_addc_u32 s25, s5, s25
.LBB126_11:                             ;   in Loop: Header=BB126_7 Depth=1
	v_perm_b32 v3, v65, v64, s3
	v_perm_b32 v2, v63, v62, s3
	v_perm_b32 v5, v61, v60, s3
	v_perm_b32 v4, v59, v58, s3
	ds_write_b64 v86, v[2:3]
	ds_write_b64 v87, v[4:5]
	ds_write_b64 v89, v[2:3]
	ds_write_b64 v90, v[4:5]
	v_perm_b32 v3, v57, v56, s3
	v_perm_b32 v2, v55, v54, s3
	v_perm_b32 v5, v53, v52, s3
	v_perm_b32 v4, v51, v50, s3
	ds_write_b64 v88, v[2:3]
	ds_write_b64 v91, v[4:5]
	ds_write_b64 v92, v[2:3]
	ds_write_b64 v93, v[4:5]
	v_perm_b32 v3, v49, v48, s3
	v_perm_b32 v2, v47, v46, s3
	v_perm_b32 v5, v45, v44, s3
	v_perm_b32 v4, v43, v42, s3
	ds_write_b64 v94, v[2:3]
	ds_write_b64 v95, v[4:5]
	ds_write_b64 v96, v[2:3]
	ds_write_b64 v97, v[4:5]
	v_perm_b32 v3, v41, v40, s3
	v_perm_b32 v2, v39, v38, s3
	v_perm_b32 v5, v35, v34, s3
	v_perm_b32 v4, v37, v36, s3
	ds_write_b64 v98, v[2:3]
	ds_write_b64 v99, v[4:5]
	ds_write_b64 v100, v[2:3]
	ds_write_b64 v101, v[4:5]
	s_waitcnt lgkmcnt(0)
	s_barrier
	ds_read_b64 v[6:7], v102 offset:49152
	ds_read2_b64 v[2:5], v103 offset1:16
	ds_read_b64 v[18:19], v105 offset:6144
	ds_read_b64 v[20:21], v103 offset:6144
	s_waitcnt lgkmcnt(2)
	v_mfma_f32_16x16x16_bf16 a[0:3], v[6:7], v[2:3], 0
	ds_read_b64 v[22:23], v104 offset:49152
	ds_read2st64_b64 v[10:13], v106 offset0:4 offset1:8
	ds_read2st64_b64 v[14:17], v107 offset0:4 offset1:8
	v_mfma_f32_16x16x16_bf16 a[4:7], v[6:7], v[4:5], 0
	ds_read2_b64 v[2:5], v103 offset0:32 offset1:48
	s_add_i32 s27, s57, 63
	s_mul_i32 s42, s27, s31
	s_waitcnt lgkmcnt(0)
	v_mfma_f32_16x16x16_bf16 a[8:11], v[6:7], v[2:3], 0
	s_mul_hi_u32 s43, s27, s30
	s_add_i32 s43, s43, s42
	s_mul_i32 s42, s27, s30
	v_mfma_f32_16x16x16_bf16 a[12:15], v[6:7], v[4:5], 0
	ds_read2st64_b64 v[2:5], v103 offset0:4 offset1:8
	ds_read2st64_b64 v[6:9], v105 offset0:4 offset1:8
	s_lshl_b64 s[42:43], s[42:43], 2
	s_waitcnt lgkmcnt(1)
	v_mfma_f32_16x16x16_bf16 a[0:3], v[22:23], v[2:3], a[0:3]
	s_add_u32 s42, s40, s42
	s_addc_u32 s43, s41, s43
	s_and_b64 vcc, exec, s[0:1]
	s_waitcnt lgkmcnt(0)
	v_mfma_f32_16x16x16_bf16 a[4:7], v[22:23], v[6:7], a[4:7]
	v_mov_b32_e32 v134, 0
	v_mov_b32_e32 v133, 0
	;; [unrolled: 1-line block ×3, first 2 shown]
	v_mfma_f32_16x16x16_bf16 a[8:11], v[22:23], v[10:11], a[8:11]
	ds_read_b64 v[2:3], v108 offset:49152
	ds_read_b64 v[6:7], v109 offset:49152
	;; [unrolled: 1-line block ×3, first 2 shown]
	v_mfma_f32_16x16x16_bf16 a[12:15], v[22:23], v[14:15], a[12:15]
	v_mov_b32_e32 v14, 0
	v_mov_b32_e32 v15, 0
	s_waitcnt lgkmcnt(2)
	v_mfma_f32_16x16x16_bf16 a[0:3], v[2:3], v[4:5], a[0:3]
	v_mov_b32_e32 v4, 0
	v_mov_b32_e32 v5, 0
	v_mfma_f32_16x16x16_bf16 a[16:19], v[2:3], v[8:9], a[4:7]
	v_mov_b32_e32 v8, 0
	v_mov_b32_e32 v9, 0
	v_mfma_f32_16x16x16_bf16 a[20:23], v[2:3], v[12:13], a[8:11]
	v_mov_b32_e32 v12, 0
	v_mov_b32_e32 v13, 0
	v_mfma_f32_16x16x16_bf16 a[24:27], v[2:3], v[16:17], a[12:15]
	ds_read_b64 v[2:3], v106 offset:6144
	v_mov_b32_e32 v16, 0
	v_mov_b32_e32 v17, 0
	s_waitcnt lgkmcnt(2)
	v_mfma_f32_16x16x16_bf16 a[4:7], v[6:7], v[20:21], a[0:3]
	v_mfma_f32_16x16x16_bf16 a[8:11], v[6:7], v[18:19], a[16:19]
	s_waitcnt lgkmcnt(0)
	v_mfma_f32_16x16x16_bf16 a[12:15], v[6:7], v[2:3], a[20:23]
	v_mov_b32_e32 v2, 0
	v_mov_b32_e32 v3, 0
	v_mfma_f32_16x16x16_bf16 a[0:3], v[6:7], v[10:11], a[24:27]
	v_mov_b32_e32 v6, 0
	v_mov_b32_e32 v7, 0
	v_mov_b32_e32 v10, 0
	v_mov_b32_e32 v11, 0
	s_cbranch_vccnz .LBB126_13
; %bb.12:                               ;   in Loop: Header=BB126_7 Depth=1
	s_and_b32 s21, s21, 0xffff
	buffer_load_dwordx4 v[14:17], v82, s[20:23], 0 offen
	buffer_load_dwordx4 v[10:13], v82, s[20:23], s56 offen
	;; [unrolled: 1-line block ×4, first 2 shown]
	v_mov_b32_e32 v133, v84
	v_mov_b32_e32 v132, v85
.LBB126_13:                             ;   in Loop: Header=BB126_7 Depth=1
	ds_read_b64 v[136:137], v102 offset:57344
	ds_read2_b64 v[18:21], v110 offset1:16
	ds_read_b64 v[138:139], v104 offset:57344
	ds_read_b64 v[140:141], v108 offset:57344
	;; [unrolled: 1-line block ×3, first 2 shown]
	v_add_u32_e32 v135, s57, v126
	s_waitcnt lgkmcnt(3)
	v_mfma_f32_16x16x16_bf16 a[4:7], v[136:137], v[18:19], a[4:7]
	v_mfma_f32_16x16x16_bf16 a[8:11], v[136:137], v[20:21], a[8:11]
	ds_read2_b64 v[18:21], v110 offset0:32 offset1:48
	ds_read2st64_b64 v[22:25], v110 offset0:4 offset1:8
	ds_read2st64_b64 v[26:29], v111 offset0:4 offset1:8
	;; [unrolled: 1-line block ×3, first 2 shown]
	s_waitcnt lgkmcnt(3)
	v_mfma_f32_16x16x16_bf16 a[12:15], v[136:137], v[18:19], a[12:15]
	v_ashrrev_i32_e32 v18, 31, v135
	v_mfma_f32_16x16x16_bf16 a[0:3], v[136:137], v[20:21], a[0:3]
	v_mul_lo_u32 v20, v18, s30
	v_mul_lo_u32 v21, v135, s31
	v_mad_u64_u32 v[18:19], s[20:21], v135, s30, 0
	v_add3_u32 v19, v19, v21, v20
	v_add_u32_e32 v20, 1, v135
	v_ashrrev_i32_e32 v21, 31, v20
	s_waitcnt lgkmcnt(2)
	v_mfma_f32_16x16x16_bf16 a[4:7], v[138:139], v[22:23], a[4:7]
	v_mul_lo_u32 v22, v21, s30
	v_mul_lo_u32 v23, v20, s31
	v_mad_u64_u32 v[20:21], s[20:21], v20, s30, 0
	v_add3_u32 v21, v21, v23, v22
	v_add_u32_e32 v22, 2, v135
	v_ashrrev_i32_e32 v23, 31, v22
	s_waitcnt lgkmcnt(1)
	v_mfma_f32_16x16x16_bf16 a[8:11], v[138:139], v[26:27], a[8:11]
	v_mul_lo_u32 v26, v23, s30
	v_mul_lo_u32 v27, v22, s31
	v_mad_u64_u32 v[22:23], s[20:21], v22, s30, 0
	v_lshl_add_u64 v[18:19], v[18:19], 2, s[40:41]
	v_add3_u32 v23, v23, v27, v26
	v_add_u32_e32 v26, 3, v135
	v_ashrrev_i32_e32 v27, 31, v26
	global_load_dword v136, v[18:19], off
	v_mad_u64_u32 v[18:19], s[20:21], v26, s30, 0
	v_mul_lo_u32 v27, v27, s30
	v_mul_lo_u32 v135, v26, s31
	s_add_u32 s20, s38, s57
	v_add3_u32 v19, v19, v135, v27
	s_addc_u32 s21, s39, 0
	v_lshl_add_u64 v[20:21], v[20:21], 2, s[40:41]
	v_lshl_add_u64 v[22:23], v[22:23], 2, s[40:41]
	v_lshl_add_u64 v[18:19], v[18:19], 2, s[40:41]
	s_lshl_b64 s[20:21], s[20:21], 8
	global_load_dword v135, v[20:21], off
	global_load_dword v137, v[22:23], off
	;; [unrolled: 1-line block ×3, first 2 shown]
	v_lshl_add_u64 v[18:19], v[68:69], 0, s[20:21]
	v_lshl_add_u64 v[22:23], v[18:19], 0, v[66:67]
	global_load_ushort v145, v[22:23], off offset:256
	global_load_ushort v146, v[22:23], off
	ds_read2st64_b64 v[18:21], v113 offset0:4 offset1:8
	global_load_ushort v147, v[22:23], off offset:768
	global_load_ushort v148, v[22:23], off offset:512
	s_waitcnt lgkmcnt(1)
	v_mfma_f32_16x16x16_bf16 a[12:15], v[138:139], v[30:31], a[12:15]
	s_and_b64 vcc, exec, s[0:1]
	s_waitcnt vmcnt(3)
	v_lshlrev_b32_e32 v31, 16, v145
	s_waitcnt lgkmcnt(0)
	v_mfma_f32_16x16x16_bf16 a[0:3], v[138:139], v[18:19], a[0:3]
	global_load_ushort v138, v[22:23], off offset:288
	global_load_ushort v139, v[22:23], off offset:32
	;; [unrolled: 1-line block ×8, first 2 shown]
	v_mfma_f32_16x16x16_bf16 a[4:7], v[140:141], v[24:25], a[4:7]
	ds_read_b64 v[18:19], v110 offset:6144
	s_waitcnt vmcnt(10)
	v_lshlrev_b32_e32 v30, 16, v146
	v_mfma_f32_16x16x16_bf16 a[8:11], v[140:141], v[28:29], a[8:11]
	v_mfma_f32_16x16x16_bf16 a[12:15], v[140:141], v[32:33], a[12:15]
	;; [unrolled: 1-line block ×3, first 2 shown]
	global_load_ushort v140, v[22:23], off offset:352
	global_load_ushort v141, v[22:23], off offset:96
	ds_read_b64 v[20:21], v111 offset:6144
	ds_read_b64 v[24:25], v112 offset:6144
	;; [unrolled: 1-line block ×3, first 2 shown]
	global_load_ushort v155, v[22:23], off offset:864
	global_load_ushort v156, v[22:23], off offset:608
	s_load_dword s20, s[42:43], 0x0
	s_waitcnt lgkmcnt(0)
	v_mfma_f32_16x16x16_bf16 a[4:7], v[142:143], v[18:19], a[4:7]
	v_sub_f32_e32 v28, s20, v137
	v_mfma_f32_16x16x16_bf16 a[0:3], v[142:143], v[26:27], a[0:3]
	v_sub_f32_e32 v26, s20, v136
	v_sub_f32_e32 v27, s20, v135
	;; [unrolled: 1-line block ×3, first 2 shown]
	v_mul_f32_e32 v26, 0x3fb8aa3b, v26
	v_mul_f32_e32 v27, 0x3fb8aa3b, v27
	;; [unrolled: 1-line block ×4, first 2 shown]
	v_mfma_f32_16x16x16_bf16 a[8:11], v[142:143], v[20:21], a[8:11]
	v_exp_f32_e32 v26, v26
	v_exp_f32_e32 v27, v27
	;; [unrolled: 1-line block ×4, first 2 shown]
	v_accvgpr_read_b32 v33, a5
	v_accvgpr_read_b32 v32, a4
	;; [unrolled: 1-line block ×4, first 2 shown]
	v_pk_add_f32 v[30:31], v[30:31], v[32:33] neg_lo:[0,1] neg_hi:[0,1]
	s_waitcnt vmcnt(13)
	v_lshlrev_b32_e32 v33, 16, v147
	s_waitcnt vmcnt(12)
	v_lshlrev_b32_e32 v32, 16, v148
	v_pk_add_f32 v[18:19], v[32:33], v[18:19] neg_lo:[0,1] neg_hi:[0,1]
	v_pk_mul_f32 v[30:31], v[26:27], v[30:31]
	v_pk_mul_f32 v[18:19], v[28:29], v[18:19]
	v_accvgpr_read_b32 v33, a9
	v_perm_b32 v19, v19, v18, s3
	v_perm_b32 v18, v31, v30, s3
	v_accvgpr_read_b32 v32, a8
	v_accvgpr_read_b32 v21, a11
	v_mfma_f32_16x16x16_bf16 a[12:15], v[142:143], v[24:25], a[12:15]
	v_accvgpr_read_b32 v20, a10
	v_accvgpr_read_b32 v25, a3
	;; [unrolled: 1-line block ×3, first 2 shown]
	v_mov_b32_e32 v135, 0
	s_waitcnt vmcnt(11)
	v_lshlrev_b32_e32 v31, 16, v138
	s_waitcnt vmcnt(10)
	v_lshlrev_b32_e32 v30, 16, v139
	v_pk_add_f32 v[30:31], v[30:31], v[32:33] neg_lo:[0,1] neg_hi:[0,1]
	s_waitcnt vmcnt(9)
	v_lshlrev_b32_e32 v33, 16, v149
	s_waitcnt vmcnt(8)
	v_lshlrev_b32_e32 v32, 16, v150
	v_pk_add_f32 v[20:21], v[32:33], v[20:21] neg_lo:[0,1] neg_hi:[0,1]
	v_pk_mul_f32 v[30:31], v[26:27], v[30:31]
	v_pk_mul_f32 v[20:21], v[28:29], v[20:21]
	v_accvgpr_read_b32 v23, a15
	v_perm_b32 v21, v21, v20, s3
	v_perm_b32 v20, v31, v30, s3
	ds_write2_b64 v87, v[18:19], v[20:21] offset1:16
	v_accvgpr_read_b32 v21, a13
	s_waitcnt vmcnt(7)
	v_lshlrev_b32_e32 v19, 16, v151
	s_waitcnt vmcnt(6)
	v_lshlrev_b32_e32 v18, 16, v152
	v_accvgpr_read_b32 v20, a12
	v_accvgpr_read_b32 v22, a14
	v_pk_add_f32 v[18:19], v[18:19], v[20:21] neg_lo:[0,1] neg_hi:[0,1]
	s_waitcnt vmcnt(5)
	v_lshlrev_b32_e32 v21, 16, v153
	s_waitcnt vmcnt(4)
	v_lshlrev_b32_e32 v20, 16, v154
	v_pk_add_f32 v[20:21], v[20:21], v[22:23] neg_lo:[0,1] neg_hi:[0,1]
	v_pk_mul_f32 v[18:19], v[26:27], v[18:19]
	v_pk_mul_f32 v[20:21], v[28:29], v[20:21]
	v_accvgpr_read_b32 v23, a1
	v_perm_b32 v21, v21, v20, s3
	v_perm_b32 v20, v19, v18, s3
	s_waitcnt vmcnt(3)
	v_lshlrev_b32_e32 v19, 16, v140
	s_waitcnt vmcnt(2)
	v_lshlrev_b32_e32 v18, 16, v141
	v_accvgpr_read_b32 v22, a0
	v_pk_add_f32 v[18:19], v[18:19], v[22:23] neg_lo:[0,1] neg_hi:[0,1]
	s_waitcnt vmcnt(1)
	v_lshlrev_b32_e32 v23, 16, v155
	s_waitcnt vmcnt(0)
	v_lshlrev_b32_e32 v22, 16, v156
	v_pk_add_f32 v[22:23], v[22:23], v[24:25] neg_lo:[0,1] neg_hi:[0,1]
	v_pk_mul_f32 v[18:19], v[26:27], v[18:19]
	v_pk_mul_f32 v[22:23], v[28:29], v[22:23]
	v_mov_b32_e32 v24, 0
	v_perm_b32 v23, v23, v22, s3
	v_perm_b32 v22, v19, v18, s3
	ds_write2_b64 v87, v[20:21], v[22:23] offset0:32 offset1:48
	v_mov_b32_e32 v18, 0
	v_mov_b32_e32 v19, 0
	;; [unrolled: 1-line block ×15, first 2 shown]
	s_cbranch_vccnz .LBB126_15
; %bb.14:                               ;   in Loop: Header=BB126_7 Depth=1
	s_and_b32 s25, s25, 0xffff
	s_mov_b32 s27, s23
	buffer_load_dwordx4 v[30:33], v124, s[24:27], 0 offen
	buffer_load_dwordx4 v[22:25], v124, s[24:27], s56 offen
	;; [unrolled: 1-line block ×4, first 2 shown]
	v_mov_b32_e32 v134, v81
	v_mov_b32_e32 v135, v80
.LBB126_15:                             ;   in Loop: Header=BB126_7 Depth=1
	s_waitcnt lgkmcnt(0)
	s_barrier
	ds_read_b64 v[144:145], v127
	ds_read2_b64 v[136:139], v117 offset1:16
	ds_read_b64 v[160:161], v128
	ds_read_b64 v[162:163], v129
	;; [unrolled: 1-line block ×3, first 2 shown]
	ds_read2_b64 v[140:143], v117 offset0:32 offset1:48
	s_waitcnt lgkmcnt(4)
	v_mfma_f32_16x16x16_bf16 a[0:3], v[144:145], v[136:137], 0
	ds_read2st64_b64 v[148:151], v119 offset0:4 offset1:8
	ds_read2st64_b64 v[152:155], v120 offset0:4 offset1:8
	;; [unrolled: 1-line block ×3, first 2 shown]
	v_mfma_f32_16x16x16_bf16 a[4:7], v[144:145], v[138:139], 0
	s_add_i32 s21, s50, s64
	s_mul_hi_i32 s25, s21, s13
	s_mul_i32 s21, s21, s13
	s_waitcnt lgkmcnt(3)
	v_mfma_f32_16x16x16_bf16 a[8:11], v[144:145], v[140:141], 0
	s_add_u32 s24, s21, s33
	s_addc_u32 s25, s25, s54
	s_lshl_b64 s[24:25], s[24:25], 15
	v_mfma_f32_16x16x16_bf16 a[12:15], v[144:145], v[142:143], 0
	ds_read2st64_b64 v[144:147], v117 offset0:4 offset1:8
	s_waitcnt lgkmcnt(0)
	v_mfma_f32_16x16x16_bf16 a[0:3], v[160:161], v[144:145], a[0:3]
	v_mfma_f32_16x16x16_bf16 a[4:7], v[160:161], v[148:149], a[4:7]
	;; [unrolled: 1-line block ×8, first 2 shown]
	ds_read_b64 v[160:161], v117 offset:6144
	ds_read_b64 v[162:163], v118 offset:40960
	;; [unrolled: 1-line block ×8, first 2 shown]
	s_waitcnt lgkmcnt(5)
	v_mfma_f32_16x16x16_bf16 a[16:19], v[166:167], v[136:137], 0
	v_mfma_f32_16x16x16_bf16 a[20:23], v[166:167], v[138:139], 0
	ds_read2st64_b64 v[136:139], v114 offset1:8
	v_mfma_f32_16x16x16_bf16 a[24:27], v[166:167], v[140:141], 0
	v_mfma_f32_16x16x16_bf16 a[28:31], v[166:167], v[142:143], 0
	ds_read2st64_b64 v[140:143], v115 offset1:8
	v_mfma_f32_16x16x16_bf16 a[16:19], v[162:163], v[144:145], a[16:19]
	s_waitcnt lgkmcnt(1)
	v_mov_b32_e32 v144, v136
	v_mov_b32_e32 v145, v137
	v_mfma_f32_16x16x16_bf16 a[20:23], v[162:163], v[148:149], a[20:23]
	v_lshl_add_u64 v[148:149], v[70:71], 0, s[24:25]
	v_mfma_f32_16x16x16_bf16 a[24:27], v[162:163], v[152:153], a[24:27]
	v_mfma_f32_16x16x16_bf16 a[28:31], v[162:163], v[156:157], a[28:31]
	;; [unrolled: 1-line block ×3, first 2 shown]
	s_waitcnt lgkmcnt(0)
	v_mov_b32_e32 v146, v140
	v_mov_b32_e32 v147, v141
	;; [unrolled: 1-line block ×3, first 2 shown]
	v_mfma_f32_16x16x16_bf16 a[32:35], v[174:175], v[150:151], a[20:23]
	v_mov_b32_e32 v141, v139
	ds_read2st64_b64 v[136:139], v114 offset0:16 offset1:24
	global_store_dwordx4 v[148:149], v[144:147], off
	v_mfma_f32_16x16x16_bf16 a[24:27], v[174:175], v[154:155], a[24:27]
	ds_read2st64_b64 v[144:147], v115 offset0:16 offset1:24
	v_add_co_u32_e32 v150, vcc, s35, v148
	v_mfma_f32_16x16x16_bf16 a[28:31], v[174:175], v[158:159], a[28:31]
	s_nop 0
	v_addc_co_u32_e32 v151, vcc, 0, v149, vcc
	global_store_dwordx4 v[150:151], v[140:143], off offset:-4096
	v_mfma_f32_16x16x16_bf16 a[0:3], v[164:165], v[160:161], a[0:3]
	s_waitcnt lgkmcnt(1)
	v_mov_b32_e32 v140, v136
	v_add_co_u32_e32 v136, vcc, s62, v148
	v_mfma_f32_16x16x16_bf16 a[4:7], v[164:165], v[168:169], a[4:7]
	v_mov_b32_e32 v141, v137
	v_addc_co_u32_e32 v137, vcc, 0, v149, vcc
	v_mfma_f32_16x16x16_bf16 a[8:11], v[164:165], v[170:171], a[8:11]
	s_waitcnt lgkmcnt(0)
	v_mov_b32_e32 v142, v144
	v_mov_b32_e32 v143, v145
	;; [unrolled: 1-line block ×3, first 2 shown]
	v_mfma_f32_16x16x16_bf16 a[12:15], v[164:165], v[172:173], a[12:15]
	v_mov_b32_e32 v145, v139
	s_and_b64 vcc, exec, s[0:1]
	global_store_dwordx4 v[150:151], v[140:143], off
	v_mfma_f32_16x16x16_bf16 a[20:23], v[176:177], v[160:161], a[16:19]
	global_store_dwordx4 v[136:137], v[144:147], off
	v_mfma_f32_16x16x16_bf16 a[16:19], v[176:177], v[168:169], a[32:35]
	v_mfma_f32_16x16x16_bf16 a[24:27], v[176:177], v[170:171], a[24:27]
	;; [unrolled: 1-line block ×3, first 2 shown]
	s_cbranch_vccnz .LBB126_6
; %bb.16:                               ;   in Loop: Header=BB126_7 Depth=1
	v_lshrrev_b32_e32 v136, 3, v134
	v_and_b32_e32 v136, 6, v136
	v_xor_b32_e32 v135, v136, v135
	v_lshlrev_b32_e32 v135, 2, v135
	v_and_b32_e32 v134, 8, v134
	v_xor_b32_e32 v137, 0x440, v135
	v_cmp_eq_u32_e32 vcc, 0, v134
	s_barrier
	s_nop 0
	v_cndmask_b32_e32 v134, v137, v135, vcc
	v_lshl_or_b32 v134, v136, 10, v134
	s_waitcnt vmcnt(5)
	v_perm_b32 v135, v30, v26, s58
	s_waitcnt vmcnt(4)
	v_perm_b32 v136, v22, v18, s58
	ds_write2st64_b32 v134, v135, v136 offset0:128 offset1:160
	v_xor_b32_e32 v135, 8, v134
	v_perm_b32 v26, v30, v26, s59
	v_perm_b32 v18, v22, v18, s59
	v_add_u32_e32 v22, 0x80, v135
	ds_write2st64_b32 v22, v26, v18 offset0:128 offset1:160
	v_xor_b32_e32 v18, 16, v134
	v_perm_b32 v22, v31, v27, s58
	v_perm_b32 v26, v23, v19, s58
	ds_write2st64_b32 v18, v22, v26 offset0:129 offset1:161
	v_xor_b32_e32 v18, 24, v134
	v_perm_b32 v22, v31, v27, s59
	v_perm_b32 v19, v23, v19, s59
	v_add_u32_e32 v18, 0x80, v18
	ds_write2st64_b32 v18, v22, v19 offset0:129 offset1:161
	v_xor_b32_e32 v18, 32, v134
	v_perm_b32 v19, v32, v28, s58
	;; [unrolled: 9-line block ×3, first 2 shown]
	v_perm_b32 v20, v25, v21, s58
	ds_write2st64_b32 v18, v19, v20 offset0:131 offset1:163
	v_xor_b32_e32 v18, 56, v134
	v_perm_b32 v19, v33, v29, s59
	v_perm_b32 v20, v25, v21, s59
	v_add_u32_e32 v18, 0x80, v18
	ds_write2st64_b32 v18, v19, v20 offset0:131 offset1:163
	ds_write_b64 v133, v[14:15] offset:49152
	v_xor_b32_e32 v14, 8, v133
	ds_write_b64 v14, v[16:17] offset:49152
	ds_write_b64 v133, v[10:11] offset:57344
	;; [unrolled: 1-line block ×4, first 2 shown]
	v_xor_b32_e32 v6, 8, v132
	ds_write_b64 v6, v[8:9] offset:49152
	ds_write_b64 v132, v[2:3] offset:57344
	;; [unrolled: 1-line block ×3, first 2 shown]
	s_branch .LBB126_6
.LBB126_17:
	s_lshl_b32 s42, s48, 6
	s_sub_i32 s43, s12, s42
	s_cmp_gt_i32 s43, 0
	v_or_b32_e32 v18, s2, v76
	s_cbranch_scc1 .LBB126_19
; %bb.18:
	s_ashr_i32 s0, s33, 31
	s_add_u32 s24, s45, s33
	s_addc_u32 s25, s51, s0
	v_or_b32_e32 v2, s2, v76
	s_cbranch_execz .LBB126_20
	s_branch .LBB126_100
.LBB126_19:
                                        ; implicit-def: $sgpr24_sgpr25
                                        ; implicit-def: $vgpr2
.LBB126_20:
	s_ashr_i32 s35, s47, 31
	s_ashr_i32 s3, s42, 31
	s_cmpk_lg_i32 s15, 0x80
	s_cselect_b64 s[38:39], -1, 0
	s_and_b64 vcc, exec, s[38:39]
	s_cbranch_vccz .LBB126_22
; %bb.21:
	s_mul_i32 s1, s47, s12
	s_mul_hi_i32 s0, s47, s12
	s_add_u32 s1, s1, s42
	s_addc_u32 s0, s0, s3
	s_mul_i32 s20, s1, s49
	s_mul_hi_u32 s21, s1, s14
	s_add_i32 s20, s21, s20
	s_mul_i32 s0, s0, s14
	s_add_i32 s20, s20, s0
	s_mul_i32 s1, s1, s14
	s_ashr_i32 s0, s52, 31
	s_add_u32 s40, s1, s52
	s_addc_u32 s41, s20, s0
	s_cbranch_execz .LBB126_23
	s_branch .LBB126_24
.LBB126_22:
                                        ; implicit-def: $sgpr40_sgpr41
.LBB126_23:
	s_mul_hi_i32 s0, s47, s14
	s_mul_i32 s47, s47, s14
	s_ashr_i32 s1, s52, 31
	s_add_u32 s14, s47, s52
	s_addc_u32 s0, s0, s1
	s_mul_i32 s1, s14, s46
	s_mul_hi_u32 s20, s14, s12
	s_add_i32 s1, s20, s1
	s_mul_i32 s0, s0, s12
	s_add_i32 s1, s1, s0
	s_mul_i32 s14, s14, s12
	s_add_u32 s40, s14, s42
	s_addc_u32 s41, s1, s3
.LBB126_24:
	s_add_i32 s20, s50, s48
	s_ashr_i32 s14, s33, 31
	s_add_u32 s24, s45, s33
	s_addc_u32 s25, s51, s14
	s_mul_i32 s0, s24, s46
	s_mul_hi_u32 s1, s24, s12
	s_add_i32 s0, s1, s0
	s_mul_i32 s1, s25, s12
	s_add_i32 s1, s0, s1
	s_mul_i32 s0, s24, s12
	s_add_u32 s0, s0, s42
	v_lshlrev_b32_e32 v6, 6, v1
	v_lshlrev_b32_e32 v26, 2, v76
	s_addc_u32 s1, s1, s3
	s_mov_b32 s3, 0x7060302
	v_or_b32_e32 v9, v6, v26
	v_xor_b32_e32 v7, v1, v26
	v_perm_b32 v3, v65, v64, s3
	v_perm_b32 v2, v63, v62, s3
	;; [unrolled: 1-line block ×4, first 2 shown]
	v_lshlrev_b32_e32 v9, 1, v9
	v_xor_b32_e32 v8, v79, v26
	ds_write2st64_b64 v9, v[2:3], v[4:5] offset0:32 offset1:48
	v_lshlrev_b32_e32 v7, 1, v7
	v_lshlrev_b32_e32 v9, 8, v76
	v_or_b32_e32 v10, v7, v9
	v_lshlrev_b32_e32 v8, 1, v8
	ds_write_b64 v10, v[2:3]
	v_or_b32_e32 v2, v8, v9
	v_or_b32_e32 v9, 16, v76
	v_lshlrev_b32_e32 v25, 2, v9
	v_or_b32_e32 v10, v6, v25
	ds_write_b64 v2, v[4:5]
	v_perm_b32 v3, v57, v56, s3
	v_perm_b32 v2, v55, v54, s3
	;; [unrolled: 1-line block ×4, first 2 shown]
	v_lshlrev_b32_e32 v10, 1, v10
	v_lshlrev_b32_e32 v9, 8, v9
	ds_write2st64_b64 v10, v[2:3], v[4:5] offset0:32 offset1:48
	v_or_b32_e32 v10, v7, v9
	ds_write_b64 v10, v[2:3]
	v_or_b32_e32 v2, v8, v9
	v_or_b32_e32 v9, 32, v76
	v_lshlrev_b32_e32 v24, 2, v9
	v_or_b32_e32 v10, v6, v24
	ds_write_b64 v2, v[4:5]
	v_perm_b32 v3, v49, v48, s3
	v_perm_b32 v2, v47, v46, s3
	;; [unrolled: 1-line block ×4, first 2 shown]
	v_lshlrev_b32_e32 v10, 1, v10
	v_lshlrev_b32_e32 v9, 8, v9
	s_lshl_b64 s[26:27], s[0:1], 8
	ds_write2st64_b64 v10, v[2:3], v[4:5] offset0:32 offset1:48
	v_or_b32_e32 v10, v7, v9
	s_add_u32 s0, s6, s26
	ds_write_b64 v10, v[2:3]
	v_or_b32_e32 v2, v8, v9
	s_addc_u32 s1, s7, s27
	ds_write_b64 v2, v[4:5]
	v_perm_b32 v3, v41, v40, s3
	v_perm_b32 v2, v39, v38, s3
	;; [unrolled: 1-line block ×4, first 2 shown]
	v_or_b32_e32 v9, 48, v76
	s_mul_hi_i32 s3, s20, s13
	s_mul_i32 s20, s20, s13
	v_lshlrev_b32_e32 v21, 2, v9
	s_add_u32 s6, s20, s33
	v_or_b32_e32 v6, v6, v21
	s_addc_u32 s7, s3, s14
	v_lshlrev_b32_e32 v6, 1, v6
	s_ashr_i32 s3, s2, 31
	s_lshl_b64 s[6:7], s[6:7], 15
	ds_write2st64_b64 v6, v[2:3], v[4:5] offset0:32 offset1:48
	v_lshlrev_b32_e32 v6, 8, v9
	s_waitcnt lgkmcnt(0)
	s_add_u32 s6, s36, s6
	v_or_b32_e32 v7, v7, v6
	s_addc_u32 s7, s37, s7
	s_lshl_b64 s[2:3], s[2:3], 8
	ds_write_b64 v7, v[2:3]
	v_or_b32_e32 v2, v8, v6
	s_add_u32 s2, s6, s2
	v_lshlrev_b32_e32 v3, 1, v76
	ds_write_b64 v2, v[4:5]
	v_lshrrev_b32_e32 v2, 4, v0
	s_addc_u32 s3, s7, s3
	v_or_b32_e32 v4, 1, v3
	v_lshlrev_b32_e32 v10, 4, v76
	v_mov_b32_e32 v11, 0
	v_xor_b32_e32 v3, v2, v3
	v_xor_b32_e32 v6, v4, v2
	v_lshl_add_u64 v[12:13], s[2:3], 0, v[10:11]
	v_lshlrev_b32_e32 v10, 8, v2
	v_lshl_or_b32 v16, v3, 3, v10
	v_lshl_or_b32 v17, v6, 3, v10
	s_waitcnt lgkmcnt(0)
	s_barrier
	ds_read2st64_b64 v[2:5], v16 offset1:8
	ds_read2st64_b64 v[6:9], v17 offset1:8
	v_lshl_add_u64 v[14:15], v[12:13], 0, v[10:11]
	s_movk_i32 s2, 0x2000
	s_cmp_lg_u32 s43, 64
	s_waitcnt lgkmcnt(1)
	v_mov_b32_e32 v10, v2
	v_mov_b32_e32 v11, v3
	s_waitcnt lgkmcnt(0)
	v_mov_b32_e32 v12, v6
	v_mov_b32_e32 v13, v7
	global_store_dwordx4 v[14:15], v[10:13], off
	v_mov_b32_e32 v6, v4
	v_mov_b32_e32 v7, v5
	ds_read2st64_b64 v[2:5], v16 offset0:16 offset1:24
	ds_read2st64_b64 v[10:13], v17 offset0:16 offset1:24
	v_add_co_u32_e32 v16, vcc, s2, v14
	s_cselect_b64 s[6:7], -1, 0
	s_nop 0
	v_addc_co_u32_e32 v17, vcc, 0, v15, vcc
	global_store_dwordx4 v[16:17], v[6:9], off offset:-4096
	v_lshl_or_b32 v19, v72, 3, v78
	s_mov_b32 s20, 0
	s_waitcnt lgkmcnt(1)
	v_mov_b32_e32 v6, v2
	v_add_co_u32_e32 v2, vcc, 0x3000, v14
	v_mov_b32_e32 v7, v3
	s_nop 0
	v_addc_co_u32_e32 v3, vcc, 0, v15, vcc
	s_waitcnt lgkmcnt(0)
	v_mov_b32_e32 v8, v10
	v_mov_b32_e32 v9, v11
	;; [unrolled: 1-line block ×4, first 2 shown]
	v_or_b32_e32 v22, 32, v19
	v_and_b32_e32 v20, 56, v77
	s_and_b64 vcc, exec, s[6:7]
	global_store_dwordx4 v[16:17], v[6:9], off
	global_store_dwordx4 v[2:3], v[10:13], off
	s_cbranch_vccz .LBB126_30
; %bb.25:
	s_mov_b32 s21, s20
	s_mov_b32 s22, s20
	;; [unrolled: 1-line block ×3, first 2 shown]
	v_mov_b64_e32 v[6:7], s[20:21]
	v_mov_b64_e32 v[8:9], s[22:23]
	;; [unrolled: 1-line block ×3, first 2 shown]
	v_cmp_gt_i32_e32 vcc, s43, v19
	v_mov_b64_e32 v[4:5], v[8:9]
	s_and_saveexec_b64 s[2:3], vcc
	s_cbranch_execz .LBB126_27
; %bb.26:
	v_lshlrev_b32_e32 v2, 8, v19
	v_mov_b32_e32 v3, 0
	v_lshl_add_u64 v[4:5], s[0:1], 0, v[2:3]
	v_lshlrev_b32_e32 v2, 1, v20
	v_lshl_add_u64 v[10:11], v[4:5], 0, v[2:3]
	global_load_dwordx4 v[6:9], v[10:11], off
	global_load_dwordx4 v[2:5], v[10:11], off offset:128
.LBB126_27:
	s_or_b64 exec, exec, s[2:3]
	s_mov_b32 s21, s20
	s_mov_b32 s22, s20
	;; [unrolled: 1-line block ×3, first 2 shown]
	v_mov_b64_e32 v[14:15], s[20:21]
	v_mov_b64_e32 v[16:17], s[22:23]
	;; [unrolled: 1-line block ×3, first 2 shown]
	v_cmp_gt_i32_e32 vcc, s43, v22
	v_lshlrev_b32_e32 v23, 7, v22
	v_mov_b64_e32 v[12:13], v[16:17]
	s_and_saveexec_b64 s[2:3], vcc
	s_cbranch_execz .LBB126_29
; %bb.28:
	v_lshlrev_b32_e32 v10, 1, v23
	v_mov_b32_e32 v11, 0
	v_lshl_add_u64 v[12:13], s[0:1], 0, v[10:11]
	v_lshlrev_b32_e32 v10, 1, v20
	v_lshl_add_u64 v[28:29], v[12:13], 0, v[10:11]
	global_load_dwordx4 v[14:17], v[28:29], off
	global_load_dwordx4 v[10:13], v[28:29], off offset:128
.LBB126_29:
	s_or_b64 exec, exec, s[2:3]
	v_lshrrev_b32_e32 v27, 3, v20
	v_lshlrev_b32_e32 v28, 3, v19
	v_or_b32_e32 v27, v28, v27
	v_lshlrev_b32_e32 v27, 4, v27
	v_and_b32_e32 v28, 0x78, v28
	v_xor_b32_e32 v27, v27, v28
	s_branch .LBB126_32
.LBB126_30:
                                        ; implicit-def: $vgpr27
                                        ; implicit-def: $vgpr23
                                        ; implicit-def: $vgpr6_vgpr7_vgpr8_vgpr9
                                        ; implicit-def: $vgpr2_vgpr3_vgpr4_vgpr5
                                        ; implicit-def: $vgpr14_vgpr15_vgpr16_vgpr17
                                        ; implicit-def: $vgpr10_vgpr11_vgpr12_vgpr13
	s_cbranch_execz .LBB126_32
; %bb.31:
	s_waitcnt vmcnt(0)
	v_lshlrev_b32_e32 v2, 1, v20
	v_lshl_or_b32 v23, v19, 8, v2
	s_and_b32 s1, s1, 0xffff
	s_mov_b32 s3, 0x20000
	s_movk_i32 s2, 0x4000
	v_lshl_or_b32 v27, v22, 8, v2
	s_movk_i32 s13, 0x80
	buffer_load_dwordx4 v[6:9], v23, s[0:3], 0 offen
	buffer_load_dwordx4 v[2:5], v23, s[0:3], s13 offen
	;; [unrolled: 1-line block ×4, first 2 shown]
	v_lshrrev_b32_e32 v23, 3, v20
	v_lshlrev_b32_e32 v27, 3, v19
	v_or_b32_e32 v23, v27, v23
	v_lshlrev_b32_e32 v23, 4, v23
	v_and_b32_e32 v27, 0x78, v27
	v_xor_b32_e32 v27, v23, v27
	v_lshlrev_b32_e32 v23, 7, v22
.LBB126_32:
	s_movk_i32 s0, 0x1000
	v_and_or_b32 v22, v23, s0, v27
	s_waitcnt vmcnt(1)
	ds_write_b64 v27, v[6:7] offset:49152
	v_xor_b32_e32 v6, 8, v27
	ds_write_b64 v6, v[8:9] offset:49152
	s_waitcnt vmcnt(0)
	ds_write_b64 v27, v[2:3] offset:57344
	ds_write_b64 v6, v[4:5] offset:57344
	;; [unrolled: 1-line block ×3, first 2 shown]
	v_xor_b32_e32 v2, 8, v22
	ds_write_b64 v2, v[16:17] offset:49152
	ds_write_b64 v22, v[10:11] offset:57344
	;; [unrolled: 1-line block ×3, first 2 shown]
	v_or_b32_e32 v2, v73, v76
	v_lshlrev_b32_e32 v2, 3, v2
	v_lshrrev_b32_e32 v3, 5, v74
	s_movk_i32 s0, 0xf8
	v_and_or_b32 v3, v2, s0, v3
	v_lshlrev_b32_e32 v7, 4, v3
	v_lshlrev_b32_e32 v27, 11, v72
	v_and_b32_e32 v8, 0x78, v2
	v_or_b32_e32 v10, 32, v7
	v_and_b32_e32 v6, 0x1000, v27
	v_lshrrev_b32_e32 v3, 1, v74
	v_xor_b32_e32 v10, v10, v8
	v_xor_b32_e32 v2, v7, v8
	v_and_b32_e32 v9, 8, v3
	v_or_b32_e32 v10, v10, v6
	v_or_b32_e32 v2, v2, v6
	v_xor_b32_e32 v33, v10, v9
	v_or_b32_e32 v10, 64, v7
	v_xor_b32_e32 v32, v2, v9
	v_xor_b32_e32 v10, v10, v8
	s_waitcnt lgkmcnt(0)
	s_barrier
	v_or_b32_e32 v13, v10, v6
	ds_read_b64 v[10:11], v32 offset:49152
	v_lshl_or_b32 v14, v75, 8, v26
	v_lshlrev_b32_e32 v28, 1, v14
	v_add_u32_e32 v12, 0x4000, v28
	ds_read2_b64 v[2:5], v12 offset1:16
	v_or_b32_e32 v7, 0x60, v7
	v_xor_b32_e32 v7, v7, v8
	v_or_b32_e32 v6, v7, v6
	v_xor_b32_e32 v66, v13, v9
	v_xor_b32_e32 v67, v6, v9
	ds_read_b64 v[22:23], v33 offset:49152
	ds_read_b64 v[68:69], v66 offset:49152
	;; [unrolled: 1-line block ×3, first 2 shown]
	s_waitcnt lgkmcnt(3)
	v_mfma_f32_16x16x16_bf16 a[0:3], v[10:11], v[2:3], 0
	ds_read2_b64 v[6:9], v12 offset0:32 offset1:48
	s_lshl_b64 s[0:1], s[40:41], 8
	s_add_u32 s4, s4, s0
	v_mfma_f32_16x16x16_bf16 a[4:7], v[10:11], v[4:5], 0
	ds_read2st64_b64 v[2:5], v28 offset0:36 offset1:40
	s_addc_u32 s5, s5, s1
	s_add_i32 s2, s12, -1
	s_waitcnt lgkmcnt(1)
	v_mfma_f32_16x16x16_bf16 a[8:11], v[10:11], v[6:7], 0
	v_or_b32_e32 v6, 64, v14
	v_lshlrev_b32_e32 v29, 1, v6
	s_add_i32 s0, s44, s17
	s_waitcnt lgkmcnt(0)
	v_mfma_f32_16x16x16_bf16 a[0:3], v[22:23], v[2:3], a[0:3]
	v_or_b32_e32 v2, 0x80, v14
	v_lshlrev_b32_e32 v30, 1, v2
	v_or_b32_e32 v2, 0xc0, v14
	v_mfma_f32_16x16x16_bf16 a[12:15], v[10:11], v[8:9], 0
	ds_read2st64_b64 v[6:9], v29 offset0:36 offset1:40
	v_lshlrev_b32_e32 v31, 1, v2
	ds_read2st64_b64 v[10:13], v30 offset0:36 offset1:40
	ds_read2st64_b64 v[14:17], v31 offset0:36 offset1:40
	s_mul_i32 s35, s35, s16
	s_add_i32 s35, s0, s35
	s_mul_i32 s0, s33, s19
	s_mul_hi_u32 s1, s33, s18
	s_ashr_i32 s3, s2, 31
	s_mul_i32 s12, s2, s31
	s_mul_hi_u32 s13, s2, s30
	s_waitcnt lgkmcnt(2)
	v_mfma_f32_16x16x16_bf16 a[4:7], v[22:23], v[6:7], a[4:7]
	s_add_i32 s0, s1, s0
	s_mul_i32 s1, s14, s18
	s_add_i32 s12, s13, s12
	s_mul_i32 s3, s3, s30
	s_waitcnt lgkmcnt(1)
	v_mfma_f32_16x16x16_bf16 a[8:11], v[22:23], v[10:11], a[8:11]
	s_add_i32 s1, s0, s1
	s_add_i32 s3, s12, s3
	s_lshl_b64 s[12:13], s[34:35], 2
	s_waitcnt lgkmcnt(0)
	v_mfma_f32_16x16x16_bf16 a[12:15], v[22:23], v[14:15], a[12:15]
	s_mul_i32 s0, s33, s18
	s_add_u32 s10, s10, s12
	s_addc_u32 s11, s11, s13
	s_lshl_b64 s[0:1], s[0:1], 2
	v_mfma_f32_16x16x16_bf16 a[0:3], v[68:69], v[4:5], a[0:3]
	s_mul_i32 s2, s2, s30
	ds_read_b64 v[2:3], v28 offset:22528
	s_add_u32 s10, s10, s0
	v_mfma_f32_16x16x16_bf16 a[4:7], v[68:69], v[8:9], a[4:7]
	ds_read_b64 v[4:5], v29 offset:22528
	ds_read_b64 v[6:7], v30 offset:22528
	;; [unrolled: 1-line block ×3, first 2 shown]
	s_addc_u32 s11, s11, s1
	s_lshl_b64 s[0:1], s[2:3], 2
	v_mfma_f32_16x16x16_bf16 a[8:11], v[68:69], v[12:13], a[8:11]
	s_add_u32 s0, s10, s0
	s_addc_u32 s1, s11, s1
	s_load_dword s12, s[0:1], 0x0
	v_mfma_f32_16x16x16_bf16 a[12:15], v[68:69], v[16:17], a[12:15]
	s_and_b64 vcc, exec, s[38:39]
	s_waitcnt lgkmcnt(0)
	v_mfma_f32_16x16x16_bf16 a[0:3], v[70:71], v[2:3], a[0:3]
	v_mfma_f32_16x16x16_bf16 a[4:7], v[70:71], v[4:5], a[4:7]
	;; [unrolled: 1-line block ×4, first 2 shown]
	s_cbranch_vccz .LBB126_43
; %bb.33:
	v_lshlrev_b32_e32 v22, 1, v19
	s_and_b64 vcc, exec, s[6:7]
	s_cbranch_vccz .LBB126_44
; %bb.34:
	v_cmp_gt_i32_e32 vcc, s43, v22
	v_mov_b32_e32 v6, 0
	v_mov_b32_e32 v2, 0
	;; [unrolled: 1-line block ×5, first 2 shown]
	s_and_saveexec_b64 s[0:1], vcc
	s_cbranch_execz .LBB126_36
; %bb.35:
	v_mad_i64_i32 v[2:3], s[2:3], s15, v22, 0
	v_lshl_add_u64 v[2:3], v[2:3], 1, s[4:5]
	v_lshlrev_b32_e32 v4, 1, v20
	v_mov_b32_e32 v5, 0
	v_lshl_add_u64 v[2:3], v[2:3], 0, v[4:5]
	global_load_dwordx4 v[2:5], v[2:3], off
.LBB126_36:
	s_or_b64 exec, exec, s[0:1]
	v_or_b32_e32 v23, 1, v22
	v_cmp_gt_i32_e64 s[0:1], s43, v23
	v_mov_b32_e32 v7, 0
	v_mov_b32_e32 v8, 0
	;; [unrolled: 1-line block ×3, first 2 shown]
	s_and_saveexec_b64 s[2:3], s[0:1]
	s_cbranch_execz .LBB126_38
; %bb.37:
	v_mad_i64_i32 v[6:7], s[16:17], s15, v23, 0
	v_lshl_add_u64 v[6:7], v[6:7], 1, s[4:5]
	v_lshlrev_b32_e32 v8, 1, v20
	v_mov_b32_e32 v9, 0
	v_lshl_add_u64 v[6:7], v[6:7], 0, v[8:9]
	global_load_dwordx4 v[6:9], v[6:7], off
.LBB126_38:
	s_or_b64 exec, exec, s[2:3]
	v_mov_b32_e32 v17, 0
	v_mov_b32_e32 v10, 0
	;; [unrolled: 1-line block ×5, first 2 shown]
	s_and_saveexec_b64 s[2:3], vcc
	s_cbranch_execz .LBB126_40
; %bb.39:
	v_mad_i64_i32 v[10:11], s[16:17], s15, v22, 0
	v_lshl_add_u64 v[10:11], v[10:11], 1, s[4:5]
	v_lshlrev_b32_e32 v12, 1, v20
	v_mov_b32_e32 v13, 0
	v_lshl_add_u64 v[10:11], v[10:11], 0, v[12:13]
	global_load_dwordx4 v[10:13], v[10:11], off offset:128
.LBB126_40:
	s_or_b64 exec, exec, s[2:3]
	v_mov_b32_e32 v16, 0
	v_mov_b32_e32 v15, 0
	v_mov_b32_e32 v14, 0
	s_and_saveexec_b64 s[2:3], s[0:1]
	s_cbranch_execz .LBB126_42
; %bb.41:
	v_mad_i64_i32 v[14:15], s[0:1], s15, v23, 0
	v_lshl_add_u64 v[14:15], v[14:15], 1, s[4:5]
	v_lshlrev_b32_e32 v16, 1, v20
	v_mov_b32_e32 v17, 0
	v_lshl_add_u64 v[14:15], v[14:15], 0, v[16:17]
	global_load_dwordx4 v[14:17], v[14:15], off offset:128
.LBB126_42:
	s_or_b64 exec, exec, s[2:3]
	s_branch .LBB126_46
.LBB126_43:
                                        ; implicit-def: $vgpr5
                                        ; implicit-def: $vgpr9
                                        ; implicit-def: $vgpr13
                                        ; implicit-def: $vgpr17
	v_lshrrev_b32_e32 v68, 2, v74
	s_branch .LBB126_47
.LBB126_44:
                                        ; implicit-def: $vgpr5
                                        ; implicit-def: $vgpr9
                                        ; implicit-def: $vgpr13
                                        ; implicit-def: $vgpr17
	s_cbranch_execz .LBB126_46
; %bb.45:
	s_waitcnt vmcnt(0)
	v_mad_u64_u32 v[2:3], s[0:1], v22, s15, v[20:21]
	v_lshlrev_b32_e32 v22, 1, v2
	s_lshl_b32 s2, s15, 7
	s_and_b32 s1, s5, 0xffff
	s_mov_b32 s3, 0x20000
	s_mov_b32 s0, s4
	v_add_lshl_u32 v23, v2, s15, 1
	s_movk_i32 s13, 0x80
	buffer_load_dwordx4 v[2:5], v22, s[0:3], 0 offen
	buffer_load_dwordx4 v[10:13], v22, s[0:3], s13 offen
	;; [unrolled: 1-line block ×4, first 2 shown]
.LBB126_46:
	v_lshrrev_b32_e32 v68, 2, v74
	s_cbranch_execnz .LBB126_59
.LBB126_47:
	s_and_b64 vcc, exec, s[6:7]
	s_cbranch_vccz .LBB126_57
; %bb.48:
	s_waitcnt vmcnt(0)
	v_lshlrev_b32_e32 v7, 1, v19
	v_cmp_gt_i32_e32 vcc, s43, v7
	v_mov_b32_e32 v6, 0
	v_lshlrev_b32_e32 v14, 9, v19
	v_mov_b32_e32 v2, 0
	v_mov_b32_e32 v3, 0
	;; [unrolled: 1-line block ×4, first 2 shown]
	s_and_saveexec_b64 s[0:1], vcc
	s_cbranch_execz .LBB126_50
; %bb.49:
	v_mov_b32_e32 v15, 0
	v_lshl_add_u64 v[2:3], s[4:5], 0, v[14:15]
	v_lshlrev_b32_e32 v4, 1, v20
	v_mov_b32_e32 v5, v15
	v_lshl_add_u64 v[2:3], v[2:3], 0, v[4:5]
	global_load_dwordx4 v[2:5], v[2:3], off
.LBB126_50:
	s_or_b64 exec, exec, s[0:1]
	v_or_b32_e32 v7, 1, v7
	v_cmp_gt_i32_e64 s[0:1], s43, v7
	v_lshlrev_b32_e32 v22, 8, v7
	v_mov_b32_e32 v7, 0
	v_mov_b32_e32 v8, 0
	;; [unrolled: 1-line block ×3, first 2 shown]
	s_and_saveexec_b64 s[2:3], s[0:1]
	s_cbranch_execz .LBB126_52
; %bb.51:
	v_mov_b32_e32 v23, 0
	v_lshl_add_u64 v[6:7], s[4:5], 0, v[22:23]
	v_lshlrev_b32_e32 v8, 1, v20
	v_mov_b32_e32 v9, v23
	v_lshl_add_u64 v[6:7], v[6:7], 0, v[8:9]
	global_load_dwordx4 v[6:9], v[6:7], off
.LBB126_52:
	s_or_b64 exec, exec, s[2:3]
	v_mov_b32_e32 v17, 0
	v_mov_b32_e32 v10, 0
	;; [unrolled: 1-line block ×5, first 2 shown]
	s_and_saveexec_b64 s[2:3], vcc
	s_cbranch_execz .LBB126_54
; %bb.53:
	v_mov_b32_e32 v15, 0
	v_lshl_add_u64 v[10:11], s[4:5], 0, v[14:15]
	v_lshlrev_b32_e32 v14, 1, v20
	v_lshl_add_u64 v[10:11], v[10:11], 0, v[14:15]
	global_load_dwordx4 v[10:13], v[10:11], off offset:128
.LBB126_54:
	s_or_b64 exec, exec, s[2:3]
	v_mov_b32_e32 v16, 0
	v_mov_b32_e32 v15, 0
	;; [unrolled: 1-line block ×3, first 2 shown]
	s_and_saveexec_b64 s[2:3], s[0:1]
	s_cbranch_execz .LBB126_56
; %bb.55:
	v_mov_b32_e32 v23, 0
	v_lshl_add_u64 v[14:15], s[4:5], 0, v[22:23]
	v_lshlrev_b32_e32 v22, 1, v20
	v_lshl_add_u64 v[14:15], v[14:15], 0, v[22:23]
	global_load_dwordx4 v[14:17], v[14:15], off offset:128
.LBB126_56:
	s_or_b64 exec, exec, s[2:3]
	s_branch .LBB126_59
.LBB126_57:
                                        ; implicit-def: $vgpr5
                                        ; implicit-def: $vgpr9
                                        ; implicit-def: $vgpr13
                                        ; implicit-def: $vgpr17
	s_cbranch_execz .LBB126_59
; %bb.58:
	s_waitcnt vmcnt(0)
	v_lshlrev_b32_e32 v2, 1, v20
	v_lshl_or_b32 v20, v19, 9, v2
	s_and_b32 s5, s5, 0xffff
	s_mov_b32 s7, 0x20000
	s_movk_i32 s6, 0x4000
	s_movk_i32 s0, 0x80
	buffer_load_dwordx4 v[2:5], v20, s[4:7], 0 offen
	buffer_load_dwordx4 v[6:9], v20, s[4:7], 0 offen offset:256
	buffer_load_dwordx4 v[10:13], v20, s[4:7], s0 offen
	buffer_load_dwordx4 v[14:17], v20, s[4:7], s0 offen offset:256
.LBB126_59:
	ds_read_b64 v[22:23], v32 offset:57344
	v_add_u32_e32 v20, 0x6000, v28
	ds_read2_b64 v[74:77], v20 offset1:16
	ds_read_b64 v[32:33], v33 offset:57344
	ds_read_b64 v[70:71], v66 offset:57344
	;; [unrolled: 1-line block ×3, first 2 shown]
	ds_read2st64_b64 v[78:81], v28 offset0:52 offset1:56
	v_and_b32_e32 v69, 1, v0
	v_cmp_eq_u32_e32 vcc, 0, v69
	s_mov_b32 s0, 0x1000504
	s_mov_b32 s1, 0x3020706
	s_waitcnt lgkmcnt(4)
	v_mfma_f32_16x16x16_bf16 a[0:3], v[22:23], v[74:75], a[0:3]
	v_mfma_f32_16x16x16_bf16 a[4:7], v[22:23], v[76:77], a[4:7]
	ds_read2_b64 v[74:77], v20 offset0:32 offset1:48
	v_and_b32_e32 v20, 6, v0
	v_xor_b32_e32 v19, v19, v20
	s_waitcnt lgkmcnt(0)
	v_mfma_f32_16x16x16_bf16 a[8:11], v[22:23], v[74:75], a[8:11]
	v_lshlrev_b32_e32 v19, 2, v19
	v_mfma_f32_16x16x16_bf16 a[12:15], v[22:23], v[76:77], a[12:15]
	ds_read2st64_b64 v[74:77], v29 offset0:52 offset1:56
	ds_read2st64_b64 v[82:85], v30 offset0:52 offset1:56
	ds_read2st64_b64 v[86:89], v31 offset0:52 offset1:56
	s_waitcnt lgkmcnt(2)
	v_mfma_f32_16x16x16_bf16 a[4:7], v[32:33], v[74:75], a[4:7]
	v_xor_b32_e32 v74, 0x440, v19
	v_cndmask_b32_e32 v19, v74, v19, vcc
	v_lshl_or_b32 v19, v20, 10, v19
	v_mfma_f32_16x16x16_bf16 a[0:3], v[32:33], v[78:79], a[0:3]
	s_waitcnt vmcnt(0)
	v_perm_b32 v20, v2, v6, s0
	ds_read_b64 v[22:23], v28 offset:30720
	ds_read_b64 v[78:79], v29 offset:30720
	;; [unrolled: 1-line block ×4, first 2 shown]
	v_perm_b32 v2, v2, v6, s1
	s_waitcnt lgkmcnt(5)
	v_mfma_f32_16x16x16_bf16 a[8:11], v[32:33], v[82:83], a[8:11]
	v_perm_b32 v6, v10, v14, s1
	s_waitcnt lgkmcnt(4)
	v_mfma_f32_16x16x16_bf16 a[12:15], v[32:33], v[86:87], a[12:15]
	v_perm_b32 v32, v10, v14, s0
	ds_write2st64_b32 v19, v20, v32 offset0:128 offset1:160
	v_xor_b32_e32 v20, 8, v19
	v_add_u32_e32 v10, 0x80, v20
	ds_write2st64_b32 v10, v2, v6 offset0:128 offset1:160
	v_xor_b32_e32 v2, 16, v19
	v_perm_b32 v6, v3, v7, s0
	v_perm_b32 v10, v11, v15, s0
	v_mfma_f32_16x16x16_bf16 a[0:3], v[70:71], v[80:81], a[0:3]
	ds_write2st64_b32 v2, v6, v10 offset0:129 offset1:161
	v_xor_b32_e32 v2, 24, v19
	v_perm_b32 v3, v3, v7, s1
	v_mfma_f32_16x16x16_bf16 a[4:7], v[70:71], v[76:77], a[4:7]
	v_perm_b32 v6, v11, v15, s1
	v_add_u32_e32 v2, 0x80, v2
	ds_write2st64_b32 v2, v3, v6 offset0:129 offset1:161
	v_mfma_f32_16x16x16_bf16 a[16:19], v[70:71], v[84:85], a[8:11]
	v_xor_b32_e32 v2, 32, v19
	v_perm_b32 v3, v4, v8, s0
	v_perm_b32 v6, v12, v16, s0
	v_mfma_f32_16x16x16_bf16 a[20:23], v[70:71], v[88:89], a[12:15]
	ds_write2st64_b32 v2, v3, v6 offset0:130 offset1:162
	v_xor_b32_e32 v2, 40, v19
	v_perm_b32 v3, v4, v8, s1
	s_waitcnt lgkmcnt(8)
	v_mfma_f32_16x16x16_bf16 a[12:15], v[66:67], v[22:23], a[0:3]
	v_perm_b32 v4, v12, v16, s1
	v_add_u32_e32 v2, 0x80, v2
	ds_write2st64_b32 v2, v3, v4 offset0:130 offset1:162
	s_waitcnt lgkmcnt(8)
	v_mfma_f32_16x16x16_bf16 a[8:11], v[66:67], v[78:79], a[4:7]
	v_xor_b32_e32 v2, 48, v19
	v_perm_b32 v3, v5, v9, s0
	v_perm_b32 v4, v13, v17, s0
	s_waitcnt lgkmcnt(7)
	v_mfma_f32_16x16x16_bf16 a[4:7], v[66:67], v[90:91], a[16:19]
	ds_write2st64_b32 v2, v3, v4 offset0:131 offset1:163
	v_xor_b32_e32 v2, 56, v19
	v_and_or_b32 v23, v68, 12, v73
	s_waitcnt lgkmcnt(7)
	v_mfma_f32_16x16x16_bf16 a[0:3], v[66:67], v[92:93], a[20:23]
	v_perm_b32 v3, v5, v9, s1
	v_perm_b32 v4, v13, v17, s1
	v_add_u32_e32 v2, 0x80, v2
	v_cmp_gt_i32_e32 vcc, s43, v23
	v_mov_b32_e32 v16, 0
	v_mov_b32_e32 v20, 0
	ds_write2st64_b32 v2, v3, v4 offset0:131 offset1:163
	s_and_saveexec_b64 s[0:1], vcc
	s_cbranch_execz .LBB126_61
; %bb.60:
	v_add_u32_e32 v2, s42, v23
	v_ashrrev_i32_e32 v3, 31, v2
	v_mul_lo_u32 v4, v3, s30
	v_mul_lo_u32 v5, v2, s31
	v_mad_u64_u32 v[2:3], s[2:3], v2, s30, 0
	v_add3_u32 v3, v3, v5, v4
	v_lshl_add_u64 v[2:3], v[2:3], 2, s[10:11]
	global_load_dword v2, v[2:3], off
	s_waitcnt vmcnt(0)
	v_sub_f32_e32 v2, s12, v2
	v_mul_f32_e32 v2, 0x3fb8aa3b, v2
	v_exp_f32_e32 v20, v2
.LBB126_61:
	s_or_b64 exec, exec, s[0:1]
	v_or_b32_e32 v8, 1, v23
	v_cmp_gt_i32_e64 s[0:1], s43, v8
	s_and_saveexec_b64 s[2:3], s[0:1]
	s_cbranch_execz .LBB126_63
; %bb.62:
	v_add_u32_e32 v2, s42, v8
	v_ashrrev_i32_e32 v3, 31, v2
	v_mul_lo_u32 v4, v3, s30
	v_mul_lo_u32 v5, v2, s31
	v_mad_u64_u32 v[2:3], s[4:5], v2, s30, 0
	v_add3_u32 v3, v3, v5, v4
	v_lshl_add_u64 v[2:3], v[2:3], 2, s[10:11]
	global_load_dword v2, v[2:3], off
	s_waitcnt vmcnt(0)
	v_sub_f32_e32 v2, s12, v2
	v_mul_f32_e32 v2, 0x3fb8aa3b, v2
	v_exp_f32_e32 v16, v2
.LBB126_63:
	s_or_b64 exec, exec, s[2:3]
	v_or_b32_e32 v9, 2, v23
	v_cmp_gt_i32_e64 s[2:3], s43, v9
	v_mov_b32_e32 v17, 0
	v_mov_b32_e32 v22, 0
	s_and_saveexec_b64 s[4:5], s[2:3]
	s_cbranch_execz .LBB126_65
; %bb.64:
	v_add_u32_e32 v2, s42, v9
	v_ashrrev_i32_e32 v3, 31, v2
	v_mul_lo_u32 v4, v3, s30
	v_mul_lo_u32 v5, v2, s31
	v_mad_u64_u32 v[2:3], s[6:7], v2, s30, 0
	v_add3_u32 v3, v3, v5, v4
	v_lshl_add_u64 v[2:3], v[2:3], 2, s[10:11]
	global_load_dword v2, v[2:3], off
	s_waitcnt vmcnt(0)
	v_sub_f32_e32 v2, s12, v2
	v_mul_f32_e32 v2, 0x3fb8aa3b, v2
	v_exp_f32_e32 v22, v2
.LBB126_65:
	s_or_b64 exec, exec, s[4:5]
	v_or_b32_e32 v32, 3, v23
	v_cmp_gt_i32_e64 s[4:5], s43, v32
	s_and_saveexec_b64 s[6:7], s[4:5]
	s_cbranch_execz .LBB126_67
; %bb.66:
	v_add_u32_e32 v2, s42, v32
	v_ashrrev_i32_e32 v3, 31, v2
	v_mul_lo_u32 v4, v3, s30
	v_mul_lo_u32 v5, v2, s31
	v_mad_u64_u32 v[2:3], s[14:15], v2, s30, 0
	v_add3_u32 v3, v3, v5, v4
	v_lshl_add_u64 v[2:3], v[2:3], 2, s[10:11]
	global_load_dword v2, v[2:3], off
	s_waitcnt vmcnt(0)
	v_sub_f32_e32 v2, s12, v2
	v_mul_f32_e32 v2, 0x3fb8aa3b, v2
	v_exp_f32_e32 v17, v2
.LBB126_67:
	s_or_b64 exec, exec, s[6:7]
	s_add_u32 s6, s8, s26
	v_accvgpr_read_b32 v2, a12
	s_addc_u32 s7, s9, s27
	v_ashrrev_i32_e32 v19, 31, v18
	v_accvgpr_read_b32 v3, a13
	v_accvgpr_read_b32 v4, a14
	v_accvgpr_read_b32 v5, a15
	v_lshl_add_u64 v[6:7], v[18:19], 1, s[6:7]
	v_mov_b32_e32 v13, 0
	v_lshlrev_b32_e32 v10, 8, v23
	v_mov_b32_e32 v11, 0
	s_and_saveexec_b64 s[6:7], vcc
	s_cbranch_execz .LBB126_69
; %bb.68:
	v_mov_b32_e32 v11, 0
	v_lshl_add_u64 v[14:15], v[6:7], 0, v[10:11]
	global_load_ushort v11, v[14:15], off
	s_waitcnt vmcnt(0)
	v_lshlrev_b32_e32 v11, 16, v11
	v_sub_f32_e32 v2, v11, v2
	v_mul_f32_e32 v2, v20, v2
	v_lshrrev_b32_e32 v11, 16, v2
.LBB126_69:
	s_or_b64 exec, exec, s[6:7]
	v_lshlrev_b32_e32 v12, 8, v8
	s_and_saveexec_b64 s[6:7], s[0:1]
	s_cbranch_execz .LBB126_71
; %bb.70:
	v_mov_b32_e32 v13, 0
	v_lshl_add_u64 v[14:15], v[6:7], 0, v[12:13]
	global_load_ushort v2, v[14:15], off
	s_waitcnt vmcnt(0)
	v_lshlrev_b32_e32 v2, 16, v2
	v_sub_f32_e32 v2, v2, v3
	v_mul_f32_e32 v2, v16, v2
	v_lshrrev_b32_e32 v13, 16, v2
.LBB126_71:
	s_or_b64 exec, exec, s[6:7]
	v_mov_b32_e32 v33, 0
	v_lshlrev_b32_e32 v14, 8, v9
	v_mov_b32_e32 v15, 0
	s_and_saveexec_b64 s[6:7], s[2:3]
	s_cbranch_execz .LBB126_73
; %bb.72:
	v_mov_b32_e32 v15, 0
	v_lshl_add_u64 v[2:3], v[6:7], 0, v[14:15]
	global_load_ushort v2, v[2:3], off
	s_waitcnt vmcnt(0)
	v_lshlrev_b32_e32 v2, 16, v2
	v_sub_f32_e32 v2, v2, v4
	v_mul_f32_e32 v2, v22, v2
	v_lshrrev_b32_e32 v15, 16, v2
.LBB126_73:
	s_or_b64 exec, exec, s[6:7]
	v_lshlrev_b32_e32 v8, 8, v32
	s_and_saveexec_b64 s[6:7], s[4:5]
	s_cbranch_execz .LBB126_75
; %bb.74:
	v_mov_b32_e32 v9, 0
	v_lshl_add_u64 v[2:3], v[6:7], 0, v[8:9]
	global_load_ushort v2, v[2:3], off
	s_waitcnt vmcnt(0)
	v_lshlrev_b32_e32 v2, 16, v2
	v_sub_f32_e32 v2, v2, v5
	v_mul_f32_e32 v2, v17, v2
	v_lshrrev_b32_e32 v33, 16, v2
.LBB126_75:
	s_or_b64 exec, exec, s[6:7]
	v_lshlrev_b32_e32 v19, 6, v23
	v_accvgpr_read_b32 v2, a8
	s_mov_b32 s6, 0x5040100
	v_or_b32_e32 v9, v19, v26
	v_accvgpr_read_b32 v3, a9
	v_accvgpr_read_b32 v4, a10
	;; [unrolled: 1-line block ×3, first 2 shown]
	v_perm_b32 v33, v33, v15, s6
	v_perm_b32 v32, v13, v11, s6
	v_lshlrev_b32_e32 v9, 1, v9
	v_mov_b32_e32 v13, 0
	v_mov_b32_e32 v11, 0
	ds_write_b64 v9, v[32:33] offset:24576
	s_and_saveexec_b64 s[6:7], vcc
	s_cbranch_execz .LBB126_77
; %bb.76:
	v_mov_b32_e32 v11, 0
	v_lshl_add_u64 v[32:33], v[6:7], 0, v[10:11]
	global_load_ushort v9, v[32:33], off offset:32
	s_waitcnt vmcnt(0)
	v_lshlrev_b32_e32 v9, 16, v9
	v_sub_f32_e32 v2, v9, v2
	v_mul_f32_e32 v2, v20, v2
	v_lshrrev_b32_e32 v11, 16, v2
.LBB126_77:
	s_or_b64 exec, exec, s[6:7]
	s_and_saveexec_b64 s[6:7], s[0:1]
	s_cbranch_execz .LBB126_79
; %bb.78:
	v_mov_b32_e32 v13, 0
	v_lshl_add_u64 v[32:33], v[6:7], 0, v[12:13]
	global_load_ushort v2, v[32:33], off offset:32
	s_waitcnt vmcnt(0)
	v_lshlrev_b32_e32 v2, 16, v2
	v_sub_f32_e32 v2, v2, v3
	v_mul_f32_e32 v2, v16, v2
	v_lshrrev_b32_e32 v13, 16, v2
.LBB126_79:
	s_or_b64 exec, exec, s[6:7]
	v_mov_b32_e32 v9, 0
	v_mov_b32_e32 v15, 0
	s_and_saveexec_b64 s[6:7], s[2:3]
	s_cbranch_execz .LBB126_81
; %bb.80:
	v_mov_b32_e32 v15, 0
	v_lshl_add_u64 v[2:3], v[6:7], 0, v[14:15]
	global_load_ushort v2, v[2:3], off offset:32
	s_waitcnt vmcnt(0)
	v_lshlrev_b32_e32 v2, 16, v2
	v_sub_f32_e32 v2, v2, v4
	v_mul_f32_e32 v2, v22, v2
	v_lshrrev_b32_e32 v15, 16, v2
.LBB126_81:
	s_or_b64 exec, exec, s[6:7]
	s_and_saveexec_b64 s[6:7], s[4:5]
	s_cbranch_execz .LBB126_83
; %bb.82:
	v_mov_b32_e32 v9, 0
	v_lshl_add_u64 v[2:3], v[6:7], 0, v[8:9]
	global_load_ushort v2, v[2:3], off offset:32
	s_waitcnt vmcnt(0)
	v_lshlrev_b32_e32 v2, 16, v2
	v_sub_f32_e32 v2, v2, v5
	v_mul_f32_e32 v2, v17, v2
	v_lshrrev_b32_e32 v9, 16, v2
.LBB126_83:
	s_or_b64 exec, exec, s[6:7]
	s_mov_b32 s6, 0x5040100
	v_accvgpr_read_b32 v2, a4
	v_perm_b32 v33, v9, v15, s6
	v_or_b32_e32 v9, v19, v25
	v_accvgpr_read_b32 v3, a5
	v_accvgpr_read_b32 v4, a6
	;; [unrolled: 1-line block ×3, first 2 shown]
	v_perm_b32 v32, v13, v11, s6
	v_lshlrev_b32_e32 v9, 1, v9
	v_mov_b32_e32 v13, 0
	v_mov_b32_e32 v11, 0
	ds_write_b64 v9, v[32:33] offset:24576
	s_and_saveexec_b64 s[6:7], vcc
	s_cbranch_execz .LBB126_85
; %bb.84:
	v_mov_b32_e32 v11, 0
	v_lshl_add_u64 v[32:33], v[6:7], 0, v[10:11]
	global_load_ushort v9, v[32:33], off offset:64
	s_waitcnt vmcnt(0)
	v_lshlrev_b32_e32 v9, 16, v9
	v_sub_f32_e32 v2, v9, v2
	v_mul_f32_e32 v2, v20, v2
	v_lshrrev_b32_e32 v11, 16, v2
.LBB126_85:
	s_or_b64 exec, exec, s[6:7]
	s_and_saveexec_b64 s[6:7], s[0:1]
	s_cbranch_execz .LBB126_87
; %bb.86:
	v_mov_b32_e32 v13, 0
	v_lshl_add_u64 v[32:33], v[6:7], 0, v[12:13]
	global_load_ushort v2, v[32:33], off offset:64
	s_waitcnt vmcnt(0)
	v_lshlrev_b32_e32 v2, 16, v2
	v_sub_f32_e32 v2, v2, v3
	v_mul_f32_e32 v2, v16, v2
	v_lshrrev_b32_e32 v13, 16, v2
.LBB126_87:
	s_or_b64 exec, exec, s[6:7]
	v_mov_b32_e32 v9, 0
	v_mov_b32_e32 v15, 0
	s_and_saveexec_b64 s[6:7], s[2:3]
	s_cbranch_execz .LBB126_89
; %bb.88:
	v_mov_b32_e32 v15, 0
	v_lshl_add_u64 v[2:3], v[6:7], 0, v[14:15]
	global_load_ushort v2, v[2:3], off offset:64
	s_waitcnt vmcnt(0)
	v_lshlrev_b32_e32 v2, 16, v2
	v_sub_f32_e32 v2, v2, v4
	v_mul_f32_e32 v2, v22, v2
	v_lshrrev_b32_e32 v15, 16, v2
.LBB126_89:
	s_or_b64 exec, exec, s[6:7]
	s_and_saveexec_b64 s[6:7], s[4:5]
	s_cbranch_execz .LBB126_91
; %bb.90:
	v_mov_b32_e32 v9, 0
	v_lshl_add_u64 v[2:3], v[6:7], 0, v[8:9]
	global_load_ushort v2, v[2:3], off offset:64
	s_waitcnt vmcnt(0)
	v_lshlrev_b32_e32 v2, 16, v2
	v_sub_f32_e32 v2, v2, v5
	v_mul_f32_e32 v2, v17, v2
	v_lshrrev_b32_e32 v9, 16, v2
.LBB126_91:
	s_or_b64 exec, exec, s[6:7]
	s_mov_b32 s6, 0x5040100
	v_accvgpr_read_b32 v5, a3
	v_perm_b32 v33, v9, v15, s6
	v_or_b32_e32 v9, v19, v24
	v_accvgpr_read_b32 v4, a2
	v_accvgpr_read_b32 v3, a1
	;; [unrolled: 1-line block ×3, first 2 shown]
	v_perm_b32 v32, v13, v11, s6
	v_lshlrev_b32_e32 v9, 1, v9
	v_mov_b32_e32 v13, 0
	v_mov_b32_e32 v11, 0
	ds_write_b64 v9, v[32:33] offset:24576
	s_and_saveexec_b64 s[6:7], vcc
	s_cbranch_execz .LBB126_93
; %bb.92:
	v_mov_b32_e32 v11, 0
	v_lshl_add_u64 v[10:11], v[6:7], 0, v[10:11]
	global_load_ushort v9, v[10:11], off offset:96
	s_waitcnt vmcnt(0)
	v_lshlrev_b32_e32 v9, 16, v9
	v_sub_f32_e32 v2, v9, v2
	v_mul_f32_e32 v2, v20, v2
	v_lshrrev_b32_e32 v11, 16, v2
.LBB126_93:
	s_or_b64 exec, exec, s[6:7]
	s_and_saveexec_b64 s[6:7], s[0:1]
	s_cbranch_execz .LBB126_95
; %bb.94:
	v_mov_b32_e32 v13, 0
	v_lshl_add_u64 v[12:13], v[6:7], 0, v[12:13]
	global_load_ushort v2, v[12:13], off offset:96
	s_waitcnt vmcnt(0)
	v_lshlrev_b32_e32 v2, 16, v2
	v_sub_f32_e32 v2, v2, v3
	v_mul_f32_e32 v2, v16, v2
	v_lshrrev_b32_e32 v13, 16, v2
.LBB126_95:
	s_or_b64 exec, exec, s[6:7]
	v_mov_b32_e32 v9, 0
	v_mov_b32_e32 v12, 0
	s_and_saveexec_b64 s[0:1], s[2:3]
	s_cbranch_execz .LBB126_97
; %bb.96:
	v_mov_b32_e32 v15, 0
	v_lshl_add_u64 v[2:3], v[6:7], 0, v[14:15]
	global_load_ushort v2, v[2:3], off offset:96
	s_waitcnt vmcnt(0)
	v_lshlrev_b32_e32 v2, 16, v2
	v_sub_f32_e32 v2, v2, v4
	v_mul_f32_e32 v2, v22, v2
	v_lshrrev_b32_e32 v12, 16, v2
.LBB126_97:
	s_or_b64 exec, exec, s[0:1]
	v_or_b32_e32 v10, 0x6000, v28
	v_or_b32_e32 v4, 0x6000, v29
	;; [unrolled: 1-line block ×4, first 2 shown]
	s_and_saveexec_b64 s[0:1], s[4:5]
	s_cbranch_execz .LBB126_99
; %bb.98:
	v_mov_b32_e32 v9, 0
	v_lshl_add_u64 v[6:7], v[6:7], 0, v[8:9]
	global_load_ushort v6, v[6:7], off offset:96
	s_waitcnt vmcnt(0)
	v_lshlrev_b32_e32 v6, 16, v6
	v_sub_f32_e32 v5, v6, v5
	v_mul_f32_e32 v5, v17, v5
	v_lshrrev_b32_e32 v9, 16, v5
.LBB126_99:
	s_or_b64 exec, exec, s[0:1]
	s_mov_b32 s0, 0x5040100
	v_or_b32_e32 v5, v19, v21
	v_perm_b32 v7, v9, v12, s0
	v_perm_b32 v6, v13, v11, s0
	v_lshlrev_b32_e32 v5, 1, v5
	s_movk_i32 s0, 0x100
	ds_write_b64 v5, v[6:7] offset:24576
	v_and_b32_e32 v5, 7, v0
	v_and_b32_e32 v6, 8, v0
	v_cmp_gt_u32_e32 vcc, s0, v0
	v_lshrrev_b32_e32 v0, 1, v0
	v_mov_b32_e32 v7, 0xa000
	v_mov_b32_e32 v8, 0x8000
	v_lshlrev_b32_e32 v26, 3, v72
	v_and_b32_e32 v0, 24, v0
	v_cndmask_b32_e32 v19, v7, v8, vcc
	v_xor_b32_e32 v7, v26, v0
	v_or_b32_e32 v8, 0x440, v7
	v_cmp_eq_u32_e32 vcc, 0, v6
	v_lshlrev_b32_e32 v11, 3, v5
	v_lshlrev_b32_e32 v5, 7, v5
	v_cndmask_b32_e32 v6, v8, v7, vcc
	v_or_b32_e32 v6, v6, v27
	v_xad_u32 v32, v6, v11, v5
	v_add_u32_e32 v6, v19, v32
	s_waitcnt lgkmcnt(0)
	s_barrier
	ds_read_b64 v[16:17], v6
	ds_read2_b64 v[6:9], v10 offset1:16
	ds_read2_b64 v[12:15], v10 offset0:32 offset1:48
	v_or_b32_e32 v20, 32, v0
	v_xor_b32_e32 v20, v26, v20
	v_or_b32_e32 v21, 0x440, v20
	v_cndmask_b32_e32 v20, v21, v20, vcc
	s_waitcnt lgkmcnt(1)
	v_mfma_f32_16x16x16_bf16 a[0:3], v[16:17], v[6:7], 0
	v_or_b32_e32 v20, v20, v27
	v_xad_u32 v33, v20, v11, v5
	v_add_u32_e32 v20, v19, v33
	v_mfma_f32_16x16x16_bf16 a[4:7], v[16:17], v[8:9], 0
	ds_read_b64 v[24:25], v20
	ds_read2st64_b64 v[28:31], v4 offset0:4 offset1:8
	ds_read2st64_b64 v[66:69], v3 offset0:4 offset1:8
	s_waitcnt lgkmcnt(3)
	v_mfma_f32_16x16x16_bf16 a[8:11], v[16:17], v[12:13], 0
	ds_read2st64_b64 v[70:73], v2 offset0:4 offset1:8
	v_mfma_f32_16x16x16_bf16 a[12:15], v[16:17], v[14:15], 0
	v_or_b32_e32 v16, 64, v0
	v_xor_b32_e32 v16, v26, v16
	v_xor_b32_e32 v17, 0x440, v16
	v_cndmask_b32_e32 v16, v17, v16, vcc
	v_or_b32_e32 v16, v16, v27
	v_xad_u32 v74, v16, v11, v5
	v_add_u32_e32 v16, v19, v74
	ds_read_b64 v[16:17], v16
	ds_read2st64_b64 v[20:23], v10 offset0:4 offset1:8
	v_or_b32_e32 v0, 0x60, v0
	v_xor_b32_e32 v0, v26, v0
	s_waitcnt lgkmcnt(0)
	v_mfma_f32_16x16x16_bf16 a[0:3], v[24:25], v[20:21], a[0:3]
	v_mfma_f32_16x16x16_bf16 a[4:7], v[24:25], v[28:29], a[4:7]
	;; [unrolled: 1-line block ×4, first 2 shown]
	v_xor_b32_e32 v24, 0x440, v0
	v_cndmask_b32_e32 v0, v24, v0, vcc
	v_or_b32_e32 v0, v0, v27
	v_xad_u32 v26, v0, v11, v5
	v_add_u32_e32 v0, v19, v26
	v_mfma_f32_16x16x16_bf16 a[0:3], v[16:17], v[22:23], a[0:3]
	ds_read_b64 v[24:25], v0
	ds_read_b64 v[10:11], v10 offset:6144
	v_mov_b32_e32 v0, 0x3fb8aa3b
	v_mul_f32_e32 v0, s12, v0
	v_mfma_f32_16x16x16_bf16 a[4:7], v[16:17], v[30:31], a[4:7]
	v_exp_f32_e32 v0, v0
	v_mfma_f32_16x16x16_bf16 a[8:11], v[16:17], v[68:69], a[8:11]
	v_mfma_f32_16x16x16_bf16 a[12:15], v[16:17], v[72:73], a[12:15]
	ds_read_b64 v[4:5], v4 offset:6144
	ds_read_b64 v[16:17], v3 offset:6144
	;; [unrolled: 1-line block ×3, first 2 shown]
	s_waitcnt lgkmcnt(3)
	v_mfma_f32_16x16x16_bf16 a[0:3], v[24:25], v[10:11], a[0:3]
	s_waitcnt lgkmcnt(2)
	v_mfma_f32_16x16x16_bf16 a[4:7], v[24:25], v[4:5], a[4:7]
	;; [unrolled: 2-line block ×4, first 2 shown]
	ds_read_b64 v[24:25], v32 offset:40960
	s_waitcnt lgkmcnt(0)
	v_mfma_f32_16x16x16_bf16 a[16:19], v[24:25], v[6:7], 0
	ds_read_b64 v[6:7], v33 offset:40960
	v_mfma_f32_16x16x16_bf16 a[20:23], v[24:25], v[8:9], 0
	ds_read_b64 v[8:9], v74 offset:40960
	v_mfma_f32_16x16x16_bf16 a[24:27], v[24:25], v[12:13], 0
	v_accvgpr_read_b32 v13, a3
	v_accvgpr_read_b32 v12, a2
	v_pk_fma_f32 v[64:65], v[0:1], v[64:65], v[12:13] op_sel_hi:[0,1,1]
	v_mfma_f32_16x16x16_bf16 a[28:31], v[24:25], v[14:15], 0
	ds_read_b64 v[12:13], v26 offset:40960
	v_accvgpr_read_b32 v15, a7
	v_accvgpr_read_b32 v14, a6
	s_waitcnt lgkmcnt(2)
	v_mfma_f32_16x16x16_bf16 a[16:19], v[6:7], v[20:21], a[16:19]
	v_accvgpr_read_b32 v21, a15
	v_accvgpr_read_b32 v20, a14
	v_pk_fma_f32 v[56:57], v[0:1], v[56:57], v[14:15] op_sel_hi:[0,1,1]
	v_mfma_f32_16x16x16_bf16 a[20:23], v[6:7], v[28:29], a[20:23]
	v_pk_fma_f32 v[40:41], v[0:1], v[40:41], v[20:21] op_sel_hi:[0,1,1]
	v_mfma_f32_16x16x16_bf16 a[24:27], v[6:7], v[66:67], a[24:27]
	v_mfma_f32_16x16x16_bf16 a[28:31], v[6:7], v[70:71], a[28:31]
	v_accvgpr_read_b32 v7, a11
	v_accvgpr_read_b32 v6, a10
	v_pk_fma_f32 v[48:49], v[0:1], v[48:49], v[6:7] op_sel_hi:[0,1,1]
	s_waitcnt lgkmcnt(1)
	v_mfma_f32_16x16x16_bf16 a[16:19], v[8:9], v[22:23], a[16:19]
	v_accvgpr_read_b32 v23, a1
	v_accvgpr_read_b32 v22, a0
	v_pk_fma_f32 v[62:63], v[0:1], v[62:63], v[22:23] op_sel_hi:[0,1,1]
	v_mfma_f32_16x16x16_bf16 a[0:3], v[8:9], v[30:31], a[20:23]
	v_accvgpr_read_b32 v23, a5
	v_accvgpr_read_b32 v22, a4
	;; [unrolled: 1-line block ×3, first 2 shown]
	v_mfma_f32_16x16x16_bf16 a[20:23], v[8:9], v[68:69], a[24:27]
	v_accvgpr_read_b32 v7, a13
	v_pk_fma_f32 v[38:39], v[0:1], v[38:39], v[6:7] op_sel_hi:[0,1,1]
	v_pk_fma_f32 v[54:55], v[0:1], v[54:55], v[22:23] op_sel_hi:[0,1,1]
	v_mfma_f32_16x16x16_bf16 a[4:7], v[8:9], v[72:73], a[28:31]
	v_accvgpr_read_b32 v8, a8
	v_accvgpr_read_b32 v9, a9
	v_pk_fma_f32 v[46:47], v[0:1], v[46:47], v[8:9] op_sel_hi:[0,1,1]
	s_waitcnt lgkmcnt(0)
	v_mfma_f32_16x16x16_bf16 a[8:11], v[12:13], v[10:11], a[16:19]
	v_mfma_f32_16x16x16_bf16 a[0:3], v[12:13], v[4:5], a[0:3]
	s_nop 5
	v_accvgpr_read_b32 v5, a11
	v_accvgpr_read_b32 v4, a10
	v_mfma_f32_16x16x16_bf16 a[10:13], v[12:13], v[16:17], a[20:23]
	v_pk_fma_f32 v[60:61], v[0:1], v[60:61], v[4:5] op_sel_hi:[0,1,1]
	v_accvgpr_read_b32 v7, a3
	v_accvgpr_read_b32 v6, a2
	v_mfma_f32_16x16x16_bf16 a[2:5], v[12:13], v[2:3], a[4:7]
	v_accvgpr_read_b32 v5, a1
	v_accvgpr_read_b32 v4, a0
	v_pk_fma_f32 v[50:51], v[0:1], v[50:51], v[4:5] op_sel_hi:[0,1,1]
	v_accvgpr_read_b32 v4, a10
	v_accvgpr_read_b32 v5, a11
	;; [unrolled: 1-line block ×3, first 2 shown]
	v_pk_fma_f32 v[42:43], v[0:1], v[42:43], v[4:5] op_sel_hi:[0,1,1]
	v_accvgpr_read_b32 v5, a3
	v_accvgpr_read_b32 v9, a13
	v_accvgpr_read_b32 v8, a12
	v_accvgpr_read_b32 v3, a5
	v_accvgpr_read_b32 v2, a4
	v_accvgpr_read_b32 v10, a8
	v_accvgpr_read_b32 v4, a2
	v_pk_fma_f32 v[58:59], v[0:1], v[58:59], v[10:11] op_sel_hi:[0,1,1]
	v_pk_fma_f32 v[52:53], v[0:1], v[52:53], v[6:7] op_sel_hi:[0,1,1]
	;; [unrolled: 1-line block ×5, first 2 shown]
	v_mov_b32_e32 v2, v18
.LBB126_100:
	s_lshl_b64 s[0:1], s[24:25], 15
	s_waitcnt lgkmcnt(0)
	s_add_u32 s0, s28, s0
	v_lshlrev_b32_e32 v2, 7, v2
	s_addc_u32 s1, s29, s1
	v_ashrrev_i32_e32 v3, 31, v2
	v_lshl_add_u64 v[4:5], v[2:3], 1, s[0:1]
	v_lshlrev_b32_e32 v0, 1, v1
	v_mov_b32_e32 v1, 0
	s_mov_b32 s2, 0x7060302
	v_lshl_add_u64 v[4:5], v[4:5], 0, v[0:1]
	v_perm_b32 v7, v65, v64, s2
	v_perm_b32 v6, v63, v62, s2
	global_store_dwordx2 v[4:5], v[6:7], off
	v_perm_b32 v7, v61, v60, s2
	v_perm_b32 v6, v59, v58, s2
	global_store_dwordx2 v[4:5], v[6:7], off offset:128
	v_or_b32_e32 v4, 0x800, v2
	v_ashrrev_i32_e32 v5, 31, v4
	v_lshl_add_u64 v[4:5], v[4:5], 1, s[0:1]
	v_lshl_add_u64 v[4:5], v[4:5], 0, v[0:1]
	v_perm_b32 v7, v57, v56, s2
	v_perm_b32 v6, v55, v54, s2
	global_store_dwordx2 v[4:5], v[6:7], off
	v_perm_b32 v7, v53, v52, s2
	v_perm_b32 v6, v51, v50, s2
	global_store_dwordx2 v[4:5], v[6:7], off offset:128
	v_or_b32_e32 v4, 0x1000, v2
	v_or_b32_e32 v2, 0x1800, v2
	v_ashrrev_i32_e32 v5, 31, v4
	v_ashrrev_i32_e32 v3, 31, v2
	v_lshl_add_u64 v[4:5], v[4:5], 1, s[0:1]
	v_lshl_add_u64 v[2:3], v[2:3], 1, s[0:1]
	;; [unrolled: 1-line block ×3, first 2 shown]
	v_perm_b32 v7, v49, v48, s2
	v_perm_b32 v6, v47, v46, s2
	v_lshl_add_u64 v[0:1], v[2:3], 0, v[0:1]
	v_perm_b32 v3, v41, v40, s2
	v_perm_b32 v2, v39, v38, s2
	global_store_dwordx2 v[4:5], v[6:7], off
	v_perm_b32 v7, v45, v44, s2
	v_perm_b32 v6, v43, v42, s2
	global_store_dwordx2 v[0:1], v[2:3], off
	v_perm_b32 v3, v35, v34, s2
	v_perm_b32 v2, v37, v36, s2
	global_store_dwordx2 v[4:5], v[6:7], off offset:128
	global_store_dwordx2 v[0:1], v[2:3], off offset:128
	s_endpgm
	.section	.rodata,"a",@progbits
	.p2align	6, 0x0
	.amdhsa_kernel _ZN12_GLOBAL__N_139chunk_gated_delta_rule_fwd_h_hip_kernelILi64ELb0ELb1ELb0ELb0ELb0ELb0ELb0ELb1EEEvPK12hip_bfloat16S3_S3_PKfS5_PKvPS1_S8_PvPKiSB_iiiiilll
		.amdhsa_group_segment_fixed_size 65536
		.amdhsa_private_segment_fixed_size 0
		.amdhsa_kernarg_size 136
		.amdhsa_user_sgpr_count 2
		.amdhsa_user_sgpr_dispatch_ptr 0
		.amdhsa_user_sgpr_queue_ptr 0
		.amdhsa_user_sgpr_kernarg_segment_ptr 1
		.amdhsa_user_sgpr_dispatch_id 0
		.amdhsa_user_sgpr_kernarg_preload_length 0
		.amdhsa_user_sgpr_kernarg_preload_offset 0
		.amdhsa_user_sgpr_private_segment_size 0
		.amdhsa_uses_dynamic_stack 0
		.amdhsa_enable_private_segment 0
		.amdhsa_system_sgpr_workgroup_id_x 1
		.amdhsa_system_sgpr_workgroup_id_y 1
		.amdhsa_system_sgpr_workgroup_id_z 0
		.amdhsa_system_sgpr_workgroup_info 0
		.amdhsa_system_vgpr_workitem_id 0
		.amdhsa_next_free_vgpr 216
		.amdhsa_next_free_sgpr 65
		.amdhsa_accum_offset 180
		.amdhsa_reserve_vcc 1
		.amdhsa_float_round_mode_32 0
		.amdhsa_float_round_mode_16_64 0
		.amdhsa_float_denorm_mode_32 3
		.amdhsa_float_denorm_mode_16_64 3
		.amdhsa_dx10_clamp 1
		.amdhsa_ieee_mode 1
		.amdhsa_fp16_overflow 0
		.amdhsa_tg_split 0
		.amdhsa_exception_fp_ieee_invalid_op 0
		.amdhsa_exception_fp_denorm_src 0
		.amdhsa_exception_fp_ieee_div_zero 0
		.amdhsa_exception_fp_ieee_overflow 0
		.amdhsa_exception_fp_ieee_underflow 0
		.amdhsa_exception_fp_ieee_inexact 0
		.amdhsa_exception_int_div_zero 0
	.end_amdhsa_kernel
	.section	.text._ZN12_GLOBAL__N_139chunk_gated_delta_rule_fwd_h_hip_kernelILi64ELb0ELb1ELb0ELb0ELb0ELb0ELb0ELb1EEEvPK12hip_bfloat16S3_S3_PKfS5_PKvPS1_S8_PvPKiSB_iiiiilll,"axG",@progbits,_ZN12_GLOBAL__N_139chunk_gated_delta_rule_fwd_h_hip_kernelILi64ELb0ELb1ELb0ELb0ELb0ELb0ELb0ELb1EEEvPK12hip_bfloat16S3_S3_PKfS5_PKvPS1_S8_PvPKiSB_iiiiilll,comdat
.Lfunc_end126:
	.size	_ZN12_GLOBAL__N_139chunk_gated_delta_rule_fwd_h_hip_kernelILi64ELb0ELb1ELb0ELb0ELb0ELb0ELb0ELb1EEEvPK12hip_bfloat16S3_S3_PKfS5_PKvPS1_S8_PvPKiSB_iiiiilll, .Lfunc_end126-_ZN12_GLOBAL__N_139chunk_gated_delta_rule_fwd_h_hip_kernelILi64ELb0ELb1ELb0ELb0ELb0ELb0ELb0ELb1EEEvPK12hip_bfloat16S3_S3_PKfS5_PKvPS1_S8_PvPKiSB_iiiiilll
                                        ; -- End function
	.section	.AMDGPU.csdata,"",@progbits
; Kernel info:
; codeLenInByte = 12284
; NumSgprs: 71
; NumVgprs: 178
; NumAgprs: 36
; TotalNumVgprs: 216
; ScratchSize: 0
; MemoryBound: 0
; FloatMode: 240
; IeeeMode: 1
; LDSByteSize: 65536 bytes/workgroup (compile time only)
; SGPRBlocks: 8
; VGPRBlocks: 26
; NumSGPRsForWavesPerEU: 71
; NumVGPRsForWavesPerEU: 216
; AccumOffset: 180
; Occupancy: 1
; WaveLimiterHint : 1
; COMPUTE_PGM_RSRC2:SCRATCH_EN: 0
; COMPUTE_PGM_RSRC2:USER_SGPR: 2
; COMPUTE_PGM_RSRC2:TRAP_HANDLER: 0
; COMPUTE_PGM_RSRC2:TGID_X_EN: 1
; COMPUTE_PGM_RSRC2:TGID_Y_EN: 1
; COMPUTE_PGM_RSRC2:TGID_Z_EN: 0
; COMPUTE_PGM_RSRC2:TIDIG_COMP_CNT: 0
; COMPUTE_PGM_RSRC3_GFX90A:ACCUM_OFFSET: 44
; COMPUTE_PGM_RSRC3_GFX90A:TG_SPLIT: 0
	.section	.text._ZN12_GLOBAL__N_139chunk_gated_delta_rule_fwd_h_hip_kernelILi64ELb0ELb0ELb1ELb0ELb0ELb0ELb0ELb1EEEvPK12hip_bfloat16S3_S3_PKfS5_PKvPS1_S8_PvPKiSB_iiiiilll,"axG",@progbits,_ZN12_GLOBAL__N_139chunk_gated_delta_rule_fwd_h_hip_kernelILi64ELb0ELb0ELb1ELb0ELb0ELb0ELb0ELb1EEEvPK12hip_bfloat16S3_S3_PKfS5_PKvPS1_S8_PvPKiSB_iiiiilll,comdat
	.globl	_ZN12_GLOBAL__N_139chunk_gated_delta_rule_fwd_h_hip_kernelILi64ELb0ELb0ELb1ELb0ELb0ELb0ELb0ELb1EEEvPK12hip_bfloat16S3_S3_PKfS5_PKvPS1_S8_PvPKiSB_iiiiilll ; -- Begin function _ZN12_GLOBAL__N_139chunk_gated_delta_rule_fwd_h_hip_kernelILi64ELb0ELb0ELb1ELb0ELb0ELb0ELb0ELb1EEEvPK12hip_bfloat16S3_S3_PKfS5_PKvPS1_S8_PvPKiSB_iiiiilll
	.p2align	8
	.type	_ZN12_GLOBAL__N_139chunk_gated_delta_rule_fwd_h_hip_kernelILi64ELb0ELb0ELb1ELb0ELb0ELb0ELb0ELb1EEEvPK12hip_bfloat16S3_S3_PKfS5_PKvPS1_S8_PvPKiSB_iiiiilll,@function
_ZN12_GLOBAL__N_139chunk_gated_delta_rule_fwd_h_hip_kernelILi64ELb0ELb0ELb1ELb0ELb0ELb0ELb0ELb1EEEvPK12hip_bfloat16S3_S3_PKfS5_PKvPS1_S8_PvPKiSB_iiiiilll: ; @_ZN12_GLOBAL__N_139chunk_gated_delta_rule_fwd_h_hip_kernelILi64ELb0ELb0ELb1ELb0ELb0ELb0ELb0ELb1EEEvPK12hip_bfloat16S3_S3_PKfS5_PKvPS1_S8_PvPKiSB_iiiiilll
; %bb.0:
	s_load_dwordx4 s[16:19], s[0:1], 0x5c
	s_load_dwordx4 s[12:15], s[0:1], 0x30
	s_abs_i32 s22, s3
	s_ashr_i32 s21, s3, 31
	s_load_dwordx8 s[4:11], s[0:1], 0x0
	s_waitcnt lgkmcnt(0)
	s_abs_i32 s20, s17
	v_cvt_f32_u32_e32 v1, s20
	s_sub_i32 s24, 0, s20
	s_ashr_i32 s23, s17, 31
	s_xor_b32 s21, s21, s23
	v_rcp_iflag_f32_e32 v1, v1
	v_lshrrev_b32_e32 v76, 6, v0
	v_bfe_u32 v77, v0, 4, 2
	v_lshlrev_b32_e32 v2, 2, v77
	v_mul_f32_e32 v1, 0x4f7ffffe, v1
	v_cvt_u32_f32_e32 v1, v1
	v_and_b32_e32 v75, 63, v0
	v_mov_b32_e32 v35, 0
	v_and_b32_e32 v74, 15, v0
	v_readfirstlane_b32 s25, v1
	s_mul_i32 s24, s24, s25
	s_mul_hi_u32 s24, s25, s24
	s_add_i32 s25, s25, s24
	s_mul_hi_u32 s24, s22, s25
	s_mul_i32 s25, s24, s20
	s_sub_i32 s22, s22, s25
	s_add_i32 s26, s24, 1
	s_sub_i32 s25, s22, s20
	s_cmp_ge_u32 s22, s20
	s_cselect_b32 s24, s26, s24
	s_cselect_b32 s22, s25, s22
	s_add_i32 s25, s24, 1
	s_cmp_ge_u32 s22, s20
	s_cselect_b32 s22, s25, s24
	s_xor_b32 s22, s22, s21
	s_sub_i32 s47, s22, s21
	s_abs_i32 s21, s18
	v_cvt_f32_u32_e32 v1, s21
	s_add_i32 s24, s16, 63
	s_mul_i32 s45, s47, s17
	s_sub_i32 s33, s3, s45
	v_rcp_iflag_f32_e32 v1, v1
	s_ashr_i32 s3, s24, 31
	s_ashr_i32 s46, s16, 31
	s_lshr_b32 s3, s3, 26
	v_mul_f32_e32 v1, 0x4f7ffffe, v1
	v_cvt_u32_f32_e32 v1, v1
	s_lshr_b32 s22, s46, 26
	s_add_i32 s24, s24, s3
	s_add_i32 s22, s16, s22
	s_ashr_i32 s49, s18, 31
	s_ashr_i32 s3, s24, 6
	s_ashr_i32 s48, s22, 6
	s_xor_b32 s22, s23, s49
	s_sub_i32 s23, 0, s21
	v_readfirstlane_b32 s24, v1
	s_mul_i32 s23, s23, s24
	s_mul_hi_u32 s23, s24, s23
	s_add_i32 s24, s24, s23
	s_mul_hi_u32 s23, s20, s24
	s_mul_i32 s24, s23, s21
	s_sub_i32 s20, s20, s24
	s_add_i32 s24, s23, 1
	s_sub_i32 s25, s20, s21
	s_cmp_ge_u32 s20, s21
	s_cselect_b32 s23, s24, s23
	s_cselect_b32 s20, s25, s20
	s_add_i32 s24, s23, 1
	s_cmp_ge_u32 s20, s21
	s_cselect_b32 s20, s24, s23
	s_xor_b32 s20, s20, s22
	s_sub_i32 s24, s20, s22
	s_abs_i32 s25, s24
	v_cvt_f32_u32_e32 v1, s25
	s_load_dwordx2 s[34:35], s[0:1], 0x80
	s_load_dwordx4 s[20:23], s[0:1], 0x70
	s_xor_b32 s0, s33, s24
	s_sub_i32 s24, 0, s25
	v_rcp_iflag_f32_e32 v1, v1
	s_abs_i32 s1, s33
	s_ashr_i32 s0, s0, 31
	s_mul_i32 s50, s47, s3
	v_mul_f32_e32 v1, 0x4f7ffffe, v1
	v_cvt_u32_f32_e32 v1, v1
	s_mul_hi_i32 s51, s47, s17
	v_lshrrev_b32_e32 v79, 3, v75
	v_lshlrev_b32_e32 v78, 3, v0
	v_readfirstlane_b32 s26, v1
	s_mul_i32 s24, s24, s26
	s_mul_hi_u32 s24, s26, s24
	s_add_i32 s26, s26, s24
	s_mul_hi_u32 s24, s1, s26
	s_mul_i32 s26, s24, s25
	s_sub_i32 s1, s1, s26
	s_add_i32 s26, s24, 1
	s_sub_i32 s27, s1, s25
	s_cmp_ge_u32 s1, s25
	s_cselect_b32 s24, s26, s24
	s_cselect_b32 s1, s27, s1
	s_add_i32 s26, s24, 1
	s_cmp_ge_u32 s1, s25
	s_cselect_b32 s1, s26, s24
	s_xor_b32 s1, s1, s0
	v_lshlrev_b32_e32 v1, 4, v76
	s_sub_i32 s52, s1, s0
	v_or_b32_e32 v80, v2, v1
	s_lshl_b32 s36, s2, 6
	v_or_b32_e32 v81, 64, v80
	s_cmp_lt_i32 s16, 64
	s_waitcnt lgkmcnt(0)
	s_mul_i32 s21, s47, s21
	s_mul_hi_u32 s44, s47, s20
	s_mul_i32 s38, s47, s20
	v_mov_b32_e32 v34, v35
	v_mov_b32_e32 v41, v35
	;; [unrolled: 1-line block ×31, first 2 shown]
	s_cbranch_scc1 .LBB127_18
; %bb.1:
	s_ashr_i32 s28, s47, 31
	s_ashr_i32 s54, s33, 31
	s_add_u32 s0, s45, s33
	s_addc_u32 s1, s51, s54
	s_mul_i32 s1, s16, s1
	s_mul_hi_u32 s2, s16, s0
	s_add_i32 s3, s2, s1
	s_mul_i32 s2, s16, s0
	s_lshl_b64 s[0:1], s[2:3], 8
	v_and_b32_e32 v83, 56, v78
	s_add_u32 s24, s6, s0
	v_lshl_or_b32 v82, v76, 3, v79
	v_lshlrev_b32_e32 v3, 1, v83
	s_addc_u32 s0, s7, s1
	v_lshl_or_b32 v84, v82, 8, v3
	s_and_b32 s25, s0, 0xffff
	s_mov_b32 s27, 0x20000
	s_movk_i32 s26, 0x4000
	s_movk_i32 s0, 0x80
	v_or_b32_e32 v85, 0x2000, v84
	buffer_load_dwordx4 v[4:7], v84, s[24:27], 0 offen
	buffer_load_dwordx4 v[8:11], v84, s[24:27], s0 offen
	;; [unrolled: 1-line block ×4, first 2 shown]
	v_lshlrev_b32_e32 v20, 3, v82
	v_and_or_b32 v22, v0, 7, v20
	v_and_b32_e32 v20, 0x78, v20
	v_lshlrev_b32_e32 v22, 4, v22
	v_xor_b32_e32 v86, v22, v20
	v_mul_lo_u32 v21, v82, s19
	v_or_b32_e32 v87, 0x1000, v86
	s_cmpk_eq_i32 s19, 0x80
	s_mov_b32 s53, s18
	v_xor_b32_e32 v20, 8, v86
	v_xor_b32_e32 v22, 8, v87
	s_cselect_b64 s[0:1], -1, 0
	s_cmpk_lg_i32 s19, 0x80
	s_waitcnt vmcnt(3)
	ds_write_b64 v86, v[4:5] offset:49152
	ds_write_b64 v20, v[6:7] offset:49152
	s_waitcnt vmcnt(2)
	ds_write_b64 v86, v[8:9] offset:57344
	ds_write_b64 v20, v[10:11] offset:57344
	;; [unrolled: 3-line block ×4, first 2 shown]
	v_lshl_add_u32 v4, v21, 1, v83
	s_cbranch_scc0 .LBB127_3
; %bb.2:
	v_lshlrev_b32_e32 v6, 1, v4
	v_add_lshl_u32 v5, v4, s19, 1
	s_lshl_b32 s26, s19, 7
	v_lshl_or_b32 v3, v82, 9, v3
	s_cbranch_execz .LBB127_4
	s_branch .LBB127_5
.LBB127_3:
                                        ; implicit-def: $vgpr5
                                        ; implicit-def: $vgpr6
                                        ; implicit-def: $sgpr26
	v_lshl_or_b32 v3, v82, 9, v3
.LBB127_4:
	v_or_b32_e32 v5, 0x100, v3
	s_movk_i32 s26, 0x4000
	v_mov_b32_e32 v6, v3
.LBB127_5:
	s_mul_hi_u32 s24, s18, s16
	s_mul_i32 s25, s49, s16
	s_add_i32 s24, s24, s25
	s_mul_i32 s25, s18, s16
	s_mul_i32 s27, s25, s28
	s_mul_hi_u32 s29, s25, s47
	s_add_i32 s27, s29, s27
	s_mul_i32 s24, s24, s47
	s_add_i32 s27, s27, s24
	s_mul_i32 s25, s25, s47
	s_ashr_i32 s55, s52, 31
	s_add_u32 s24, s25, s52
	s_addc_u32 s25, s27, s55
	s_lshl_b64 s[24:25], s[24:25], 8
	s_add_u32 s24, s4, s24
	s_addc_u32 s25, s5, s25
	s_and_b32 s25, s25, 0xffff
	s_mov_b32 s27, 0x20000
	s_movk_i32 s56, 0x80
	buffer_load_dwordx4 v[8:11], v6, s[24:27], 0 offen
	buffer_load_dwordx4 v[12:15], v6, s[24:27], s56 offen
	;; [unrolled: 1-line block ×4, first 2 shown]
	v_and_b32_e32 v5, 6, v0
	v_lshlrev_b32_e32 v6, 7, v80
	v_xor_b32_e32 v27, v82, v5
	v_and_b32_e32 v7, 1, v0
	v_lshl_or_b32 v30, v74, 3, v6
	v_lshlrev_b32_e32 v27, 2, v27
	v_or_b32_e32 v88, 0x4000, v30
	v_or_b32_e32 v89, 0x6000, v30
	v_xor_b32_e32 v30, 0x440, v27
	v_cmp_eq_u32_e32 vcc, 0, v7
	v_lshlrev_b32_e32 v24, 2, v74
	s_mov_b32 s58, 0x1000504
	v_cndmask_b32_e32 v7, v30, v27, vcc
	v_xor_b32_e32 v28, v80, v24
	v_xor_b32_e32 v29, v81, v24
	v_lshl_or_b32 v5, v5, 10, v7
	s_mov_b32 s59, 0x3020706
	s_mul_i32 s24, s28, s16
	s_mul_hi_u32 s25, s47, s16
	v_lshlrev_b32_e32 v25, 8, v74
	v_or_b32_e32 v26, 16, v74
	v_lshlrev_b32_e32 v28, 1, v28
	v_lshlrev_b32_e32 v29, 1, v29
	v_xor_b32_e32 v7, 8, v5
	v_xor_b32_e32 v27, 24, v5
	;; [unrolled: 1-line block ×4, first 2 shown]
	v_or_b32_e32 v91, v25, v28
	v_or_b32_e32 v92, v25, v29
	v_xor_b32_e32 v25, 16, v5
	v_xor_b32_e32 v30, 32, v5
	;; [unrolled: 1-line block ×3, first 2 shown]
	v_add_u32_e32 v7, 0x80, v7
	v_add_u32_e32 v27, 0x80, v27
	v_add_u32_e32 v32, 0x80, v32
	v_add_u32_e32 v34, 0x80, v34
	s_add_i32 s61, s25, s24
	s_add_i32 s24, s44, s21
	s_mul_i32 s28, s28, s20
	s_add_i32 s39, s24, s28
	s_mul_i32 s24, s33, s23
	s_mul_hi_u32 s25, s33, s22
	s_add_i32 s24, s25, s24
	s_mul_i32 s25, s54, s22
	s_add_i32 s25, s24, s25
	s_lshl_b64 s[28:29], s[38:39], 2
	s_mul_i32 s24, s33, s22
	s_add_u32 s28, s10, s28
	s_addc_u32 s29, s11, s29
	s_lshl_b64 s[24:25], s[24:25], 2
	s_add_u32 s40, s28, s24
	s_movk_i32 s24, 0xf8
	s_addc_u32 s41, s29, s25
	s_ashr_i32 s37, s36, 31
	s_lshl_b32 s30, s19, 7
	s_movk_i32 s28, 0x100
	v_mov_b32_e32 v67, 0
	v_lshlrev_b32_e32 v66, 4, v74
	v_cmp_gt_u32_e32 vcc, s28, v0
	v_lshl_or_b32 v31, v26, 3, v6
	s_mov_b32 s57, 0
	s_mul_i32 s60, s47, s16
	v_or_b32_e32 v90, 0x4000, v31
	s_movk_i32 s26, 0x4000
	v_or_b32_e32 v93, 0x6000, v31
	v_add_u32_e32 v128, v1, v2
	s_movk_i32 s39, 0x2000
	s_movk_i32 s62, 0x3000
	v_mov_b32_e32 v133, 0x3fb8aa3b
	s_mov_b32 s64, 0
	v_mov_b32_e32 v58, v67
	v_mov_b32_e32 v59, v67
	;; [unrolled: 1-line block ×8, first 2 shown]
	s_waitcnt vmcnt(1)
	v_perm_b32 v35, v8, v16, s58
	s_waitcnt vmcnt(0)
	v_perm_b32 v36, v12, v20, s58
	v_perm_b32 v8, v8, v16, s59
	v_perm_b32 v12, v12, v20, s59
	v_perm_b32 v16, v9, v17, s58
	v_perm_b32 v20, v13, v21, s58
	v_perm_b32 v9, v9, v17, s59
	v_perm_b32 v13, v13, v21, s59
	v_perm_b32 v17, v10, v18, s58
	v_perm_b32 v21, v14, v22, s58
	v_perm_b32 v10, v10, v18, s59
	v_perm_b32 v14, v14, v22, s59
	v_perm_b32 v18, v11, v19, s58
	v_perm_b32 v22, v15, v23, s58
	v_perm_b32 v11, v11, v19, s59
	v_perm_b32 v15, v15, v23, s59
	ds_write2st64_b32 v5, v35, v36 offset0:128 offset1:160
	ds_write2st64_b32 v7, v8, v12 offset0:128 offset1:160
	;; [unrolled: 1-line block ×8, first 2 shown]
	v_lshlrev_b32_e32 v5, 8, v26
	v_or_b32_e32 v94, v5, v28
	v_or_b32_e32 v95, v5, v29
	;; [unrolled: 1-line block ×3, first 2 shown]
	v_lshl_or_b32 v7, v5, 3, v6
	v_lshlrev_b32_e32 v5, 8, v5
	v_or_b32_e32 v98, v5, v28
	v_or_b32_e32 v99, v5, v29
	;; [unrolled: 1-line block ×5, first 2 shown]
	v_lshl_or_b32 v7, v5, 3, v6
	v_lshlrev_b32_e32 v5, 8, v5
	v_or_b32_e32 v102, v5, v28
	v_or_b32_e32 v103, v5, v29
	;; [unrolled: 1-line block ×3, first 2 shown]
	v_lshlrev_b32_e32 v5, 3, v5
	v_lshrrev_b32_e32 v9, 5, v75
	v_and_or_b32 v9, v5, s24, v9
	v_lshlrev_b32_e32 v9, 4, v9
	v_or_b32_e32 v100, 0x4000, v7
	v_or_b32_e32 v101, 0x6000, v7
	v_lshlrev_b32_e32 v7, 11, v76
	v_and_b32_e32 v5, 0x78, v5
	v_or_b32_e32 v14, 32, v9
	v_and_b32_e32 v8, 0x1000, v7
	v_xor_b32_e32 v10, v9, v5
	v_lshrrev_b32_e32 v11, 1, v0
	v_xor_b32_e32 v14, v14, v5
	v_or_b32_e32 v10, v10, v8
	v_and_b32_e32 v12, 8, v11
	v_or_b32_e32 v14, v14, v8
	v_xor_b32_e32 v104, v10, v12
	v_lshlrev_b32_e32 v10, 8, v77
	v_xor_b32_e32 v106, v14, v12
	v_or_b32_e32 v14, 64, v9
	v_or_b32_e32 v9, 0x60, v9
	;; [unrolled: 1-line block ×3, first 2 shown]
	v_xor_b32_e32 v14, v14, v5
	v_xor_b32_e32 v5, v9, v5
	v_lshlrev_b32_e32 v13, 1, v13
	v_or_b32_e32 v14, v14, v8
	v_or_b32_e32 v5, v5, v8
	s_lshl_b64 s[24:25], s[36:37], 8
	v_or_b32_e32 v105, 0x4000, v13
	v_or_b32_e32 v107, 0x4080, v13
	;; [unrolled: 1-line block ×4, first 2 shown]
	v_xor_b32_e32 v110, v14, v12
	v_xor_b32_e32 v111, v5, v12
	v_or_b32_e32 v112, 0x6000, v13
	v_or_b32_e32 v113, 0x6080, v13
	;; [unrolled: 1-line block ×4, first 2 shown]
	v_lshlrev_b32_e32 v12, 1, v4
	v_add_lshl_u32 v13, v4, s19, 1
	s_add_u32 s24, s12, s24
	v_lshlrev_b32_e32 v4, 1, v74
	v_lshrrev_b32_e32 v15, 4, v0
	s_addc_u32 s25, s13, s25
	v_or_b32_e32 v5, 1, v4
	v_mov_b32_e32 v19, 0xa000
	v_mov_b32_e32 v20, 0x8000
	v_xor_b32_e32 v16, v15, v4
	v_xor_b32_e32 v17, v5, v15
	v_lshl_add_u64 v[4:5], s[24:25], 0, v[66:67]
	v_lshlrev_b32_e32 v66, 8, v15
	v_cndmask_b32_e32 v19, v19, v20, vcc
	v_lshlrev_b32_e32 v20, 3, v76
	v_and_b32_e32 v11, 24, v11
	v_lshl_or_b32 v116, v16, 3, v66
	v_and_b32_e32 v16, 8, v0
	v_xor_b32_e32 v21, v20, v11
	v_or_b32_e32 v22, 0x440, v21
	v_cmp_eq_u32_e32 vcc, 0, v16
	v_and_b32_e32 v15, 7, v0
	v_lshl_or_b32 v117, v17, 3, v66
	v_cndmask_b32_e32 v16, v22, v21, vcc
	v_lshlrev_b32_e32 v17, 3, v15
	v_lshlrev_b32_e32 v15, 7, v15
	v_or_b32_e32 v16, v16, v7
	v_lshlrev_b32_e32 v18, 2, v0
	v_xad_u32 v118, v16, v17, v15
	v_or_b32_e32 v16, 32, v11
	v_and_or_b32 v10, v18, 60, v10
	v_xor_b32_e32 v16, v20, v16
	v_lshlrev_b32_e32 v10, 1, v10
	v_or_b32_e32 v18, 0x440, v16
	v_or_b32_e32 v119, 0x6000, v10
	v_cndmask_b32_e32 v16, v18, v16, vcc
	v_or_b32_e32 v121, 0x6080, v10
	v_or_b32_e32 v122, 0x6100, v10
	;; [unrolled: 1-line block ×5, first 2 shown]
	v_xor_b32_e32 v10, v20, v10
	v_xad_u32 v120, v16, v17, v15
	v_xor_b32_e32 v16, 0x440, v10
	v_cndmask_b32_e32 v10, v16, v10, vcc
	v_or_b32_e32 v10, v10, v7
	v_xad_u32 v124, v10, v17, v15
	v_or_b32_e32 v10, 0x60, v11
	v_xor_b32_e32 v10, v20, v10
	v_xor_b32_e32 v11, 0x440, v10
	v_or_b32_e32 v8, s36, v74
	v_cndmask_b32_e32 v10, v11, v10, vcc
	v_ashrrev_i32_e32 v9, 31, v8
	v_or_b32_e32 v7, v10, v7
	v_or_b32_e32 v14, 0x100, v3
	v_xad_u32 v125, v7, v17, v15
	v_lshlrev_b64 v[8:9], 1, v[8:9]
	v_cndmask_b32_e64 v126, v12, v3, s[0:1]
	v_cndmask_b32_e64 v127, v13, v14, s[0:1]
	v_lshl_add_u64 v[68:69], s[8:9], 0, v[8:9]
	v_lshl_add_u64 v[70:71], s[14:15], 0, v[8:9]
	;; [unrolled: 1-line block ×3, first 2 shown]
	s_mov_b32 s37, 0x7060302
	v_lshlrev_b32_e32 v66, 1, v6
	v_add_u32_e32 v129, v19, v118
	v_add_u32_e32 v130, v19, v120
	;; [unrolled: 1-line block ×4, first 2 shown]
	v_mov_b32_e32 v50, v67
	v_mov_b32_e32 v51, v67
	v_mov_b32_e32 v52, v67
	v_mov_b32_e32 v53, v67
	v_mov_b32_e32 v54, v67
	v_mov_b32_e32 v55, v67
	v_mov_b32_e32 v56, v67
	v_mov_b32_e32 v57, v67
	v_mov_b32_e32 v42, v67
	v_mov_b32_e32 v43, v67
	v_mov_b32_e32 v44, v67
	v_mov_b32_e32 v45, v67
	v_mov_b32_e32 v46, v67
	v_mov_b32_e32 v47, v67
	v_mov_b32_e32 v48, v67
	v_mov_b32_e32 v49, v67
	v_mov_b32_e32 v36, v67
	v_mov_b32_e32 v37, v67
	v_mov_b32_e32 v38, v67
	v_mov_b32_e32 v39, v67
	v_mov_b32_e32 v40, v67
	v_mov_b32_e32 v41, v67
	v_mov_b32_e32 v34, v67
	v_mov_b32_e32 v35, v67
	s_waitcnt lgkmcnt(0)
	s_barrier
.LBB127_6:                              ; =>This Inner Loop Header: Depth=1
	s_add_i32 s63, s64, 1
	s_cmp_lt_i32 s63, s48
	s_mov_b64 s[28:29], 0
	s_cselect_b64 s[42:43], -1, 0
	s_cmp_ge_i32 s63, s48
	s_mov_b64 s[24:25], 0
	s_cbranch_scc1 .LBB127_8
; %bb.7:                                ;   in Loop: Header=BB127_6 Depth=1
	s_add_i32 s0, s57, 64
	s_add_u32 s0, s2, s0
	s_addc_u32 s1, s3, 0
	s_lshl_b64 s[0:1], s[0:1], 8
	s_add_u32 s24, s6, s0
	s_addc_u32 s25, s7, s1
.LBB127_8:                              ;   in Loop: Header=BB127_6 Depth=1
	v_cndmask_b32_e64 v2, 0, 1, s[42:43]
	v_cmp_ne_u32_e64 s[0:1], 1, v2
	s_andn2_b64 vcc, exec, s[42:43]
	s_cbranch_vccnz .LBB127_10
; %bb.9:                                ;   in Loop: Header=BB127_6 Depth=1
	s_add_i32 s28, s57, 64
	s_add_u32 s28, s60, s28
	s_addc_u32 s29, s61, 0
	s_mul_i32 s31, s28, s49
	s_mul_hi_u32 s42, s28, s53
	s_add_i32 s31, s42, s31
	s_mul_i32 s29, s29, s53
	s_add_i32 s31, s31, s29
	s_mul_i32 s28, s28, s53
	s_add_u32 s28, s28, s52
	s_addc_u32 s29, s31, s55
	s_lshl_b64 s[28:29], s[28:29], 8
	s_add_u32 s28, s4, s28
	s_addc_u32 s29, s5, s29
.LBB127_10:                             ;   in Loop: Header=BB127_6 Depth=1
	v_perm_b32 v3, v65, v64, s37
	v_perm_b32 v2, v63, v62, s37
	v_perm_b32 v5, v61, v60, s37
	v_perm_b32 v4, v59, v58, s37
	ds_write_b64 v88, v[2:3]
	ds_write_b64 v89, v[4:5]
	ds_write_b64 v91, v[2:3]
	ds_write_b64 v92, v[4:5]
	v_perm_b32 v3, v57, v56, s37
	v_perm_b32 v2, v55, v54, s37
	v_perm_b32 v5, v53, v52, s37
	v_perm_b32 v4, v51, v50, s37
	ds_write_b64 v90, v[2:3]
	ds_write_b64 v93, v[4:5]
	ds_write_b64 v94, v[2:3]
	ds_write_b64 v95, v[4:5]
	;; [unrolled: 8-line block ×4, first 2 shown]
	s_waitcnt lgkmcnt(0)
	s_barrier
	ds_read_b64 v[6:7], v104 offset:49152
	ds_read2_b64 v[2:5], v105 offset1:16
	ds_read_b64 v[18:19], v107 offset:6144
	ds_read_b64 v[20:21], v105 offset:6144
	s_waitcnt lgkmcnt(2)
	v_mfma_f32_16x16x16_bf16 a[0:3], v[6:7], v[2:3], 0
	ds_read_b64 v[22:23], v106 offset:49152
	ds_read2st64_b64 v[10:13], v108 offset0:4 offset1:8
	ds_read2st64_b64 v[14:17], v109 offset0:4 offset1:8
	v_mfma_f32_16x16x16_bf16 a[4:7], v[6:7], v[4:5], 0
	ds_read2_b64 v[2:5], v105 offset0:32 offset1:48
	s_add_i32 s31, s57, 63
	s_mul_i32 s42, s31, s35
	s_waitcnt lgkmcnt(0)
	v_mfma_f32_16x16x16_bf16 a[8:11], v[6:7], v[2:3], 0
	s_mul_hi_u32 s43, s31, s34
	s_add_i32 s43, s43, s42
	s_mul_i32 s42, s31, s34
	v_mfma_f32_16x16x16_bf16 a[12:15], v[6:7], v[4:5], 0
	ds_read2st64_b64 v[2:5], v105 offset0:4 offset1:8
	ds_read2st64_b64 v[6:9], v107 offset0:4 offset1:8
	s_lshl_b64 s[42:43], s[42:43], 2
	s_waitcnt lgkmcnt(1)
	v_mfma_f32_16x16x16_bf16 a[0:3], v[22:23], v[2:3], a[0:3]
	s_add_u32 s42, s40, s42
	s_addc_u32 s43, s41, s43
	s_and_b64 vcc, exec, s[0:1]
	s_waitcnt lgkmcnt(0)
	v_mfma_f32_16x16x16_bf16 a[4:7], v[22:23], v[6:7], a[4:7]
	v_mov_b32_e32 v136, 0
	v_mov_b32_e32 v135, 0
	;; [unrolled: 1-line block ×3, first 2 shown]
	v_mfma_f32_16x16x16_bf16 a[8:11], v[22:23], v[10:11], a[8:11]
	ds_read_b64 v[2:3], v110 offset:49152
	ds_read_b64 v[6:7], v111 offset:49152
	;; [unrolled: 1-line block ×3, first 2 shown]
	v_mfma_f32_16x16x16_bf16 a[12:15], v[22:23], v[14:15], a[12:15]
	v_mov_b32_e32 v14, 0
	v_mov_b32_e32 v15, 0
	s_waitcnt lgkmcnt(2)
	v_mfma_f32_16x16x16_bf16 a[0:3], v[2:3], v[4:5], a[0:3]
	v_mov_b32_e32 v4, 0
	v_mov_b32_e32 v5, 0
	v_mfma_f32_16x16x16_bf16 a[4:7], v[2:3], v[8:9], a[4:7]
	v_mov_b32_e32 v8, 0
	v_mov_b32_e32 v9, 0
	;; [unrolled: 3-line block ×3, first 2 shown]
	v_mfma_f32_16x16x16_bf16 a[12:15], v[2:3], v[16:17], a[12:15]
	ds_read_b64 v[2:3], v108 offset:6144
	v_mov_b32_e32 v16, 0
	v_mov_b32_e32 v17, 0
	s_waitcnt lgkmcnt(2)
	v_mfma_f32_16x16x16_bf16 a[0:3], v[6:7], v[20:21], a[0:3]
	v_mfma_f32_16x16x16_bf16 a[4:7], v[6:7], v[18:19], a[4:7]
	s_waitcnt lgkmcnt(0)
	v_mfma_f32_16x16x16_bf16 a[8:11], v[6:7], v[2:3], a[8:11]
	v_mov_b32_e32 v2, 0
	v_mov_b32_e32 v3, 0
	v_mfma_f32_16x16x16_bf16 a[12:15], v[6:7], v[10:11], a[12:15]
	v_mov_b32_e32 v6, 0
	v_mov_b32_e32 v7, 0
	;; [unrolled: 1-line block ×4, first 2 shown]
	s_cbranch_vccnz .LBB127_12
; %bb.11:                               ;   in Loop: Header=BB127_6 Depth=1
	s_and_b32 s25, s25, 0xffff
	buffer_load_dwordx4 v[14:17], v84, s[24:27], 0 offen
	buffer_load_dwordx4 v[10:13], v84, s[24:27], s56 offen
	;; [unrolled: 1-line block ×4, first 2 shown]
	v_mov_b32_e32 v135, v86
	v_mov_b32_e32 v134, v87
.LBB127_12:                             ;   in Loop: Header=BB127_6 Depth=1
	ds_read_b64 v[142:143], v104 offset:57344
	ds_read2_b64 v[18:21], v112 offset1:16
	ds_read_b64 v[144:145], v106 offset:57344
	ds_read_b64 v[146:147], v110 offset:57344
	;; [unrolled: 1-line block ×3, first 2 shown]
	v_add_u32_e32 v137, s57, v128
	s_waitcnt lgkmcnt(3)
	v_mfma_f32_16x16x16_bf16 a[0:3], v[142:143], v[18:19], a[0:3]
	v_mfma_f32_16x16x16_bf16 a[4:7], v[142:143], v[20:21], a[4:7]
	ds_read2_b64 v[18:21], v112 offset0:32 offset1:48
	ds_read2st64_b64 v[22:25], v112 offset0:4 offset1:8
	ds_read2st64_b64 v[26:29], v113 offset0:4 offset1:8
	;; [unrolled: 1-line block ×4, first 2 shown]
	s_waitcnt lgkmcnt(4)
	v_mfma_f32_16x16x16_bf16 a[8:11], v[142:143], v[18:19], a[8:11]
	v_ashrrev_i32_e32 v18, 31, v137
	v_mfma_f32_16x16x16_bf16 a[12:15], v[142:143], v[20:21], a[12:15]
	v_mul_lo_u32 v20, v18, s34
	v_mul_lo_u32 v21, v137, s35
	v_mad_u64_u32 v[18:19], s[24:25], v137, s34, 0
	v_add3_u32 v19, v19, v21, v20
	v_add_u32_e32 v20, 1, v137
	v_ashrrev_i32_e32 v21, 31, v20
	s_waitcnt lgkmcnt(3)
	v_mfma_f32_16x16x16_bf16 a[0:3], v[144:145], v[22:23], a[0:3]
	v_mul_lo_u32 v22, v21, s34
	v_mul_lo_u32 v23, v20, s35
	v_mad_u64_u32 v[20:21], s[24:25], v20, s34, 0
	v_add3_u32 v21, v21, v23, v22
	v_add_u32_e32 v22, 2, v137
	v_ashrrev_i32_e32 v23, 31, v22
	s_waitcnt lgkmcnt(2)
	v_mfma_f32_16x16x16_bf16 a[4:7], v[144:145], v[26:27], a[4:7]
	v_mul_lo_u32 v26, v23, s34
	v_mul_lo_u32 v27, v22, s35
	v_mad_u64_u32 v[22:23], s[24:25], v22, s34, 0
	v_add3_u32 v23, v23, v27, v26
	v_add_u32_e32 v26, 3, v137
	v_lshl_add_u64 v[18:19], v[18:19], 2, s[40:41]
	v_lshl_add_u64 v[20:21], v[20:21], 2, s[40:41]
	v_ashrrev_i32_e32 v27, 31, v26
	s_waitcnt lgkmcnt(1)
	v_mfma_f32_16x16x16_bf16 a[8:11], v[144:145], v[30:31], a[8:11]
	v_mul_lo_u32 v27, v27, s34
	global_load_dword v30, v[18:19], off
	global_load_dword v137, v[20:21], off
	v_mul_lo_u32 v31, v26, s35
	v_mad_u64_u32 v[18:19], s[24:25], v26, s34, 0
	v_add3_u32 v19, v19, v31, v27
	s_add_u32 s24, s2, s57
	v_lshl_add_u64 v[22:23], v[22:23], 2, s[40:41]
	v_lshl_add_u64 v[18:19], v[18:19], 2, s[40:41]
	s_addc_u32 s25, s3, 0
	s_waitcnt lgkmcnt(0)
	v_mfma_f32_16x16x16_bf16 a[12:15], v[144:145], v[138:139], a[12:15]
	global_load_dword v31, v[22:23], off
	global_load_dword v138, v[18:19], off
	s_lshl_b64 s[24:25], s[24:25], 8
	v_lshl_add_u64 v[18:19], v[68:69], 0, s[24:25]
	v_lshl_add_u64 v[18:19], v[18:19], 0, v[66:67]
	global_load_ushort v139, v[18:19], off offset:256
	global_load_ushort v142, v[18:19], off
	global_load_ushort v143, v[18:19], off offset:768
	global_load_ushort v144, v[18:19], off offset:512
	;; [unrolled: 1-line block ×6, first 2 shown]
	s_load_dword s42, s[42:43], 0x0
	v_mfma_f32_16x16x16_bf16 a[12:15], v[146:147], v[140:141], a[12:15]
	global_load_ushort v140, v[18:19], off offset:320
	global_load_ushort v141, v[18:19], off offset:64
	s_and_b64 vcc, exec, s[0:1]
	v_mfma_f32_16x16x16_bf16 a[0:3], v[146:147], v[24:25], a[0:3]
	ds_read_b64 v[20:21], v112 offset:6144
	ds_read_b64 v[22:23], v113 offset:6144
	;; [unrolled: 1-line block ×4, first 2 shown]
	v_mfma_f32_16x16x16_bf16 a[4:7], v[146:147], v[28:29], a[4:7]
	s_waitcnt vmcnt(11) lgkmcnt(0)
	v_sub_f32_e32 v28, s42, v31
	v_mfma_f32_16x16x16_bf16 a[8:11], v[146:147], v[32:33], a[8:11]
	global_load_ushort v146, v[18:19], off offset:832
	global_load_ushort v147, v[18:19], off offset:576
	;; [unrolled: 1-line block ×6, first 2 shown]
	v_mfma_f32_16x16x16_bf16 a[0:3], v[148:149], v[20:21], a[0:3]
	s_waitcnt vmcnt(16)
	v_sub_f32_e32 v29, s42, v138
	v_mul_f32_e32 v28, 0x3fb8aa3b, v28
	v_mul_f32_e32 v29, 0x3fb8aa3b, v29
	v_exp_f32_e32 v28, v28
	v_exp_f32_e32 v29, v29
	s_waitcnt vmcnt(15)
	v_lshlrev_b32_e32 v33, 16, v139
	s_waitcnt vmcnt(14)
	v_lshlrev_b32_e32 v32, 16, v142
	v_accvgpr_read_b32 v21, a3
	v_accvgpr_read_b32 v20, a2
	v_mfma_f32_16x16x16_bf16 a[2:5], v[148:149], v[22:23], a[4:7]
	v_accvgpr_read_b32 v139, a1
	v_accvgpr_read_b32 v138, a0
	v_pk_add_f32 v[32:33], v[32:33], v[138:139] neg_lo:[0,1] neg_hi:[0,1]
	v_mfma_f32_16x16x16_bf16 a[6:9], v[148:149], v[24:25], a[8:11]
	s_waitcnt vmcnt(13)
	v_lshlrev_b32_e32 v139, 16, v143
	s_waitcnt vmcnt(12)
	v_lshlrev_b32_e32 v138, 16, v144
	v_pk_add_f32 v[20:21], v[138:139], v[20:21] neg_lo:[0,1] neg_hi:[0,1]
	v_accvgpr_read_b32 v139, a3
	v_accvgpr_read_b32 v138, a2
	;; [unrolled: 1-line block ×6, first 2 shown]
	v_mfma_f32_16x16x16_bf16 a[8:11], v[148:149], v[26:27], a[12:15]
	v_sub_f32_e32 v26, s42, v30
	v_sub_f32_e32 v27, s42, v137
	v_mul_f32_e32 v26, 0x3fb8aa3b, v26
	v_mul_f32_e32 v27, 0x3fb8aa3b, v27
	v_exp_f32_e32 v26, v26
	v_exp_f32_e32 v27, v27
	v_lshl_add_u64 v[30:31], v[70:71], 0, s[24:25]
	v_lshl_add_u64 v[30:31], v[30:31], 0, v[66:67]
	global_store_short_d16_hi v[30:31], v32, off
	global_store_short_d16_hi v[30:31], v33, off offset:256
	global_store_short_d16_hi v[30:31], v20, off offset:512
	;; [unrolled: 1-line block ×3, first 2 shown]
	v_pk_mul_f32 v[32:33], v[26:27], v[32:33]
	v_pk_mul_f32 v[20:21], v[28:29], v[20:21]
	v_accvgpr_read_b32 v25, a11
	v_perm_b32 v21, v21, v20, s37
	v_perm_b32 v20, v33, v32, s37
	s_waitcnt vmcnt(15)
	v_lshlrev_b32_e32 v33, 16, v145
	s_waitcnt vmcnt(14)
	v_lshlrev_b32_e32 v32, 16, v150
	v_pk_add_f32 v[32:33], v[32:33], v[138:139] neg_lo:[0,1] neg_hi:[0,1]
	s_waitcnt vmcnt(13)
	v_lshlrev_b32_e32 v139, 16, v151
	s_waitcnt vmcnt(12)
	v_lshlrev_b32_e32 v138, 16, v152
	v_pk_add_f32 v[22:23], v[138:139], v[22:23] neg_lo:[0,1] neg_hi:[0,1]
	global_store_short_d16_hi v[30:31], v32, off offset:32
	global_store_short_d16_hi v[30:31], v33, off offset:288
	;; [unrolled: 1-line block ×4, first 2 shown]
	v_pk_mul_f32 v[32:33], v[26:27], v[32:33]
	v_pk_mul_f32 v[22:23], v[28:29], v[22:23]
	v_accvgpr_read_b32 v24, a10
	v_perm_b32 v23, v23, v22, s37
	v_perm_b32 v22, v33, v32, s37
	ds_write2_b64 v89, v[20:21], v[22:23] offset1:16
	v_accvgpr_read_b32 v23, a7
	s_waitcnt vmcnt(15)
	v_lshlrev_b32_e32 v21, 16, v140
	s_waitcnt vmcnt(14)
	v_lshlrev_b32_e32 v20, 16, v141
	v_accvgpr_read_b32 v22, a6
	v_pk_add_f32 v[20:21], v[20:21], v[22:23] neg_lo:[0,1] neg_hi:[0,1]
	global_store_short_d16_hi v[30:31], v20, off offset:64
	global_store_short_d16_hi v[30:31], v21, off offset:320
	v_pk_mul_f32 v[20:21], v[26:27], v[20:21]
	v_mov_b32_e32 v137, 0
	v_perm_b32 v20, v21, v20, s37
	v_mov_b32_e32 v32, 0
	v_mov_b32_e32 v33, 0
	s_waitcnt vmcnt(15)
	v_lshlrev_b32_e32 v23, 16, v146
	s_waitcnt vmcnt(14)
	v_lshlrev_b32_e32 v22, 16, v147
	v_pk_add_f32 v[18:19], v[22:23], v[18:19] neg_lo:[0,1] neg_hi:[0,1]
	global_store_short_d16_hi v[30:31], v18, off offset:576
	global_store_short_d16_hi v[30:31], v19, off offset:832
	v_pk_mul_f32 v[18:19], v[28:29], v[18:19]
	v_accvgpr_read_b32 v23, a9
	v_perm_b32 v21, v19, v18, s37
	s_waitcnt vmcnt(15)
	v_lshlrev_b32_e32 v19, 16, v153
	s_waitcnt vmcnt(14)
	v_lshlrev_b32_e32 v18, 16, v154
	v_accvgpr_read_b32 v22, a8
	v_pk_add_f32 v[18:19], v[18:19], v[22:23] neg_lo:[0,1] neg_hi:[0,1]
	s_waitcnt vmcnt(13)
	v_lshlrev_b32_e32 v23, 16, v155
	s_waitcnt vmcnt(12)
	v_lshlrev_b32_e32 v22, 16, v156
	v_pk_add_f32 v[22:23], v[22:23], v[24:25] neg_lo:[0,1] neg_hi:[0,1]
	global_store_short_d16_hi v[30:31], v18, off offset:96
	global_store_short_d16_hi v[30:31], v19, off offset:352
	;; [unrolled: 1-line block ×4, first 2 shown]
	v_pk_mul_f32 v[18:19], v[26:27], v[18:19]
	v_pk_mul_f32 v[22:23], v[28:29], v[22:23]
	v_mov_b32_e32 v24, 0
	v_perm_b32 v23, v23, v22, s37
	v_perm_b32 v22, v19, v18, s37
	ds_write2_b64 v89, v[20:21], v[22:23] offset0:32 offset1:48
	v_mov_b32_e32 v18, 0
	v_mov_b32_e32 v19, 0
	;; [unrolled: 1-line block ×13, first 2 shown]
	s_cbranch_vccnz .LBB127_14
; %bb.13:                               ;   in Loop: Header=BB127_6 Depth=1
	s_and_b32 s29, s29, 0xffff
	s_mov_b32 s31, s27
	buffer_load_dwordx4 v[30:33], v126, s[28:31], 0 offen
	buffer_load_dwordx4 v[22:25], v126, s[28:31], s56 offen
	;; [unrolled: 1-line block ×4, first 2 shown]
	v_mov_b32_e32 v136, v83
	v_mov_b32_e32 v137, v82
.LBB127_14:                             ;   in Loop: Header=BB127_6 Depth=1
	s_waitcnt lgkmcnt(0)
	s_barrier
	ds_read_b64 v[146:147], v129
	ds_read2_b64 v[138:141], v119 offset1:16
	ds_read_b64 v[162:163], v130
	ds_read_b64 v[164:165], v131
	;; [unrolled: 1-line block ×3, first 2 shown]
	ds_read2_b64 v[142:145], v119 offset0:32 offset1:48
	s_waitcnt lgkmcnt(4)
	v_mfma_f32_16x16x16_bf16 a[0:3], v[146:147], v[138:139], 0
	ds_read2st64_b64 v[150:153], v121 offset0:4 offset1:8
	ds_read2st64_b64 v[154:157], v122 offset0:4 offset1:8
	;; [unrolled: 1-line block ×3, first 2 shown]
	v_mfma_f32_16x16x16_bf16 a[4:7], v[146:147], v[140:141], 0
	s_add_i32 s24, s50, s64
	s_mul_hi_i32 s25, s24, s17
	s_mul_i32 s24, s24, s17
	s_waitcnt lgkmcnt(3)
	v_mfma_f32_16x16x16_bf16 a[8:11], v[146:147], v[142:143], 0
	s_add_u32 s24, s24, s33
	s_addc_u32 s25, s25, s54
	s_lshl_b64 s[24:25], s[24:25], 15
	v_mfma_f32_16x16x16_bf16 a[12:15], v[146:147], v[144:145], 0
	ds_read2st64_b64 v[146:149], v119 offset0:4 offset1:8
	s_waitcnt lgkmcnt(0)
	v_mfma_f32_16x16x16_bf16 a[0:3], v[162:163], v[146:147], a[0:3]
	v_mfma_f32_16x16x16_bf16 a[4:7], v[162:163], v[150:151], a[4:7]
	;; [unrolled: 1-line block ×8, first 2 shown]
	ds_read_b64 v[162:163], v119 offset:6144
	ds_read_b64 v[164:165], v120 offset:40960
	;; [unrolled: 1-line block ×8, first 2 shown]
	s_waitcnt lgkmcnt(5)
	v_mfma_f32_16x16x16_bf16 a[16:19], v[168:169], v[138:139], 0
	v_mfma_f32_16x16x16_bf16 a[20:23], v[168:169], v[140:141], 0
	ds_read2st64_b64 v[138:141], v116 offset1:8
	v_mfma_f32_16x16x16_bf16 a[24:27], v[168:169], v[142:143], 0
	v_mfma_f32_16x16x16_bf16 a[28:31], v[168:169], v[144:145], 0
	ds_read2st64_b64 v[142:145], v117 offset1:8
	v_mfma_f32_16x16x16_bf16 a[16:19], v[164:165], v[146:147], a[16:19]
	s_waitcnt lgkmcnt(1)
	v_mov_b32_e32 v146, v138
	v_mov_b32_e32 v147, v139
	v_mfma_f32_16x16x16_bf16 a[20:23], v[164:165], v[150:151], a[20:23]
	v_lshl_add_u64 v[150:151], v[72:73], 0, s[24:25]
	v_mfma_f32_16x16x16_bf16 a[24:27], v[164:165], v[154:155], a[24:27]
	v_mfma_f32_16x16x16_bf16 a[28:31], v[164:165], v[158:159], a[28:31]
	;; [unrolled: 1-line block ×3, first 2 shown]
	s_waitcnt lgkmcnt(0)
	v_mov_b32_e32 v148, v142
	v_mov_b32_e32 v149, v143
	;; [unrolled: 1-line block ×3, first 2 shown]
	v_mfma_f32_16x16x16_bf16 a[32:35], v[176:177], v[152:153], a[20:23]
	v_mov_b32_e32 v143, v141
	ds_read2st64_b64 v[138:141], v116 offset0:16 offset1:24
	global_store_dwordx4 v[150:151], v[146:149], off
	v_mfma_f32_16x16x16_bf16 a[24:27], v[176:177], v[156:157], a[24:27]
	ds_read2st64_b64 v[146:149], v117 offset0:16 offset1:24
	v_add_co_u32_e32 v152, vcc, s39, v150
	v_mfma_f32_16x16x16_bf16 a[28:31], v[176:177], v[160:161], a[28:31]
	s_nop 0
	v_addc_co_u32_e32 v153, vcc, 0, v151, vcc
	global_store_dwordx4 v[152:153], v[142:145], off offset:-4096
	v_mfma_f32_16x16x16_bf16 a[0:3], v[166:167], v[162:163], a[0:3]
	s_waitcnt lgkmcnt(1)
	v_mov_b32_e32 v142, v138
	v_add_co_u32_e32 v138, vcc, s62, v150
	v_mfma_f32_16x16x16_bf16 a[4:7], v[166:167], v[170:171], a[4:7]
	v_mov_b32_e32 v143, v139
	v_addc_co_u32_e32 v139, vcc, 0, v151, vcc
	v_mfma_f32_16x16x16_bf16 a[8:11], v[166:167], v[172:173], a[8:11]
	s_waitcnt lgkmcnt(0)
	v_mov_b32_e32 v144, v146
	v_mov_b32_e32 v145, v147
	;; [unrolled: 1-line block ×3, first 2 shown]
	v_mfma_f32_16x16x16_bf16 a[12:15], v[166:167], v[174:175], a[12:15]
	v_mov_b32_e32 v147, v141
	s_and_b64 vcc, exec, s[0:1]
	global_store_dwordx4 v[152:153], v[142:145], off
	v_mfma_f32_16x16x16_bf16 a[20:23], v[178:179], v[162:163], a[16:19]
	global_store_dwordx4 v[138:139], v[146:149], off
	v_mfma_f32_16x16x16_bf16 a[16:19], v[178:179], v[170:171], a[32:35]
	v_mfma_f32_16x16x16_bf16 a[24:27], v[178:179], v[172:173], a[24:27]
	;; [unrolled: 1-line block ×3, first 2 shown]
	s_cbranch_vccnz .LBB127_16
; %bb.15:                               ;   in Loop: Header=BB127_6 Depth=1
	v_lshrrev_b32_e32 v138, 3, v136
	v_and_b32_e32 v138, 6, v138
	v_xor_b32_e32 v137, v138, v137
	v_lshlrev_b32_e32 v137, 2, v137
	v_and_b32_e32 v136, 8, v136
	v_xor_b32_e32 v139, 0x440, v137
	v_cmp_eq_u32_e32 vcc, 0, v136
	s_barrier
	s_nop 0
	v_cndmask_b32_e32 v136, v139, v137, vcc
	v_lshl_or_b32 v136, v138, 10, v136
	s_waitcnt vmcnt(5)
	v_perm_b32 v137, v30, v26, s58
	s_waitcnt vmcnt(4)
	v_perm_b32 v138, v22, v18, s58
	ds_write2st64_b32 v136, v137, v138 offset0:128 offset1:160
	v_xor_b32_e32 v137, 8, v136
	v_perm_b32 v26, v30, v26, s59
	v_perm_b32 v18, v22, v18, s59
	v_add_u32_e32 v22, 0x80, v137
	ds_write2st64_b32 v22, v26, v18 offset0:128 offset1:160
	v_xor_b32_e32 v18, 16, v136
	v_perm_b32 v22, v31, v27, s58
	v_perm_b32 v26, v23, v19, s58
	ds_write2st64_b32 v18, v22, v26 offset0:129 offset1:161
	v_xor_b32_e32 v18, 24, v136
	v_perm_b32 v22, v31, v27, s59
	v_perm_b32 v19, v23, v19, s59
	v_add_u32_e32 v18, 0x80, v18
	ds_write2st64_b32 v18, v22, v19 offset0:129 offset1:161
	v_xor_b32_e32 v18, 32, v136
	v_perm_b32 v19, v32, v28, s58
	;; [unrolled: 9-line block ×3, first 2 shown]
	v_perm_b32 v20, v25, v21, s58
	ds_write2st64_b32 v18, v19, v20 offset0:131 offset1:163
	v_xor_b32_e32 v18, 56, v136
	v_perm_b32 v19, v33, v29, s59
	v_perm_b32 v20, v25, v21, s59
	v_add_u32_e32 v18, 0x80, v18
	ds_write2st64_b32 v18, v19, v20 offset0:131 offset1:163
	ds_write_b64 v135, v[14:15] offset:49152
	v_xor_b32_e32 v14, 8, v135
	ds_write_b64 v14, v[16:17] offset:49152
	ds_write_b64 v135, v[10:11] offset:57344
	;; [unrolled: 1-line block ×4, first 2 shown]
	v_xor_b32_e32 v6, 8, v134
	ds_write_b64 v6, v[8:9] offset:49152
	ds_write_b64 v134, v[2:3] offset:57344
	;; [unrolled: 1-line block ×3, first 2 shown]
.LBB127_16:                             ;   in Loop: Header=BB127_6 Depth=1
	s_waitcnt vmcnt(6)
	v_mul_f32_e32 v22, s42, v133
	v_exp_f32_e32 v134, v22
	v_accvgpr_read_b32 v5, a3
	v_accvgpr_read_b32 v9, a7
	;; [unrolled: 1-line block ×4, first 2 shown]
	s_waitcnt vmcnt(4)
	v_accvgpr_read_b32 v18, a20
	v_accvgpr_read_b32 v25, a19
	;; [unrolled: 1-line block ×28, first 2 shown]
	s_add_i32 s57, s57, 64
	v_pk_fma_f32 v[62:63], v[134:135], v[62:63], v[2:3] op_sel_hi:[0,1,1]
	v_pk_fma_f32 v[64:65], v[134:135], v[64:65], v[4:5] op_sel_hi:[0,1,1]
	;; [unrolled: 1-line block ×15, first 2 shown]
	s_cmp_eq_u32 s48, s63
	v_pk_fma_f32 v[38:39], v[134:135], v[38:39], v[32:33] op_sel_hi:[0,1,1]
	s_cbranch_scc1 .LBB127_18
; %bb.17:                               ;   in Loop: Header=BB127_6 Depth=1
	s_mov_b32 s64, s63
	s_branch .LBB127_6
.LBB127_18:
	s_lshl_b32 s42, s48, 6
	s_sub_i32 s43, s16, s42
	s_cmp_gt_i32 s43, 0
	s_cbranch_scc0 .LBB127_99
; %bb.19:
	s_ashr_i32 s39, s47, 31
	s_ashr_i32 s2, s42, 31
	s_cmpk_lg_i32 s19, 0x80
	s_cselect_b64 s[30:31], -1, 0
	s_and_b64 vcc, exec, s[30:31]
	s_cbranch_vccz .LBB127_21
; %bb.20:
	s_mul_i32 s1, s47, s16
	s_mul_hi_i32 s0, s47, s16
	s_add_u32 s1, s1, s42
	s_addc_u32 s0, s0, s2
	s_mul_i32 s3, s1, s49
	s_mul_hi_u32 s24, s1, s18
	s_add_i32 s3, s24, s3
	s_mul_i32 s0, s0, s18
	s_add_i32 s3, s3, s0
	s_mul_i32 s1, s1, s18
	s_ashr_i32 s0, s52, 31
	s_add_u32 s40, s1, s52
	s_addc_u32 s41, s3, s0
	s_cbranch_execz .LBB127_22
	s_branch .LBB127_23
.LBB127_21:
                                        ; implicit-def: $sgpr40_sgpr41
.LBB127_22:
	s_mul_hi_i32 s0, s47, s18
	s_mul_i32 s47, s47, s18
	s_ashr_i32 s1, s52, 31
	s_add_u32 s3, s47, s52
	s_addc_u32 s0, s0, s1
	s_mul_i32 s1, s3, s46
	s_mul_hi_u32 s18, s3, s16
	s_add_i32 s1, s18, s1
	s_mul_i32 s0, s0, s16
	s_add_i32 s1, s1, s0
	s_mul_i32 s3, s3, s16
	s_add_u32 s40, s3, s42
	s_addc_u32 s41, s1, s2
.LBB127_23:
	s_add_i32 s3, s50, s48
	s_ashr_i32 s18, s33, 31
	s_add_u32 s0, s45, s33
	s_addc_u32 s1, s51, s18
	s_mul_i32 s24, s0, s46
	s_mul_hi_u32 s25, s0, s16
	s_add_i32 s24, s25, s24
	s_mul_i32 s1, s1, s16
	s_add_i32 s24, s24, s1
	s_mul_i32 s0, s0, s16
	s_add_u32 s0, s0, s42
	v_lshlrev_b32_e32 v6, 6, v80
	v_lshlrev_b32_e32 v24, 2, v74
	s_addc_u32 s1, s24, s2
	s_mov_b32 s2, 0x7060302
	v_or_b32_e32 v9, v6, v24
	v_xor_b32_e32 v7, v80, v24
	v_perm_b32 v3, v65, v64, s2
	v_perm_b32 v2, v63, v62, s2
	;; [unrolled: 1-line block ×4, first 2 shown]
	v_lshlrev_b32_e32 v9, 1, v9
	v_xor_b32_e32 v8, v81, v24
	ds_write2st64_b64 v9, v[2:3], v[4:5] offset0:32 offset1:48
	v_lshlrev_b32_e32 v7, 1, v7
	v_lshlrev_b32_e32 v9, 8, v74
	v_or_b32_e32 v10, v7, v9
	v_lshlrev_b32_e32 v8, 1, v8
	ds_write_b64 v10, v[2:3]
	v_or_b32_e32 v2, v8, v9
	v_or_b32_e32 v9, 16, v74
	v_lshlrev_b32_e32 v23, 2, v9
	v_or_b32_e32 v10, v6, v23
	ds_write_b64 v2, v[4:5]
	v_perm_b32 v3, v57, v56, s2
	v_perm_b32 v2, v55, v54, s2
	v_perm_b32 v5, v53, v52, s2
	v_perm_b32 v4, v51, v50, s2
	v_lshlrev_b32_e32 v10, 1, v10
	v_lshlrev_b32_e32 v9, 8, v9
	ds_write2st64_b64 v10, v[2:3], v[4:5] offset0:32 offset1:48
	v_or_b32_e32 v10, v7, v9
	ds_write_b64 v10, v[2:3]
	v_or_b32_e32 v2, v8, v9
	v_or_b32_e32 v9, 32, v74
	v_lshlrev_b32_e32 v22, 2, v9
	v_or_b32_e32 v10, v6, v22
	s_lshl_b64 s[28:29], s[0:1], 8
	ds_write_b64 v2, v[4:5]
	v_perm_b32 v3, v49, v48, s2
	v_perm_b32 v2, v47, v46, s2
	;; [unrolled: 1-line block ×4, first 2 shown]
	v_lshlrev_b32_e32 v10, 1, v10
	v_lshlrev_b32_e32 v9, 8, v9
	s_add_u32 s0, s6, s28
	ds_write2st64_b64 v10, v[2:3], v[4:5] offset0:32 offset1:48
	v_or_b32_e32 v10, v7, v9
	s_addc_u32 s1, s7, s29
	ds_write_b64 v10, v[2:3]
	v_or_b32_e32 v2, v8, v9
	v_or_b32_e32 v9, 48, v74
	s_mul_hi_i32 s6, s3, s17
	s_mul_i32 s3, s3, s17
	ds_write_b64 v2, v[4:5]
	v_perm_b32 v3, v35, v34, s2
	v_perm_b32 v2, v41, v40, s2
	;; [unrolled: 1-line block ×4, first 2 shown]
	v_lshlrev_b32_e32 v19, 2, v9
	s_add_u32 s2, s3, s33
	v_or_b32_e32 v6, v6, v19
	s_addc_u32 s3, s6, s18
	v_lshlrev_b32_e32 v6, 1, v6
	s_ashr_i32 s37, s36, 31
	s_lshl_b64 s[2:3], s[2:3], 15
	ds_write2st64_b64 v6, v[2:3], v[4:5] offset0:32 offset1:48
	v_lshlrev_b32_e32 v6, 8, v9
	s_add_u32 s6, s12, s2
	v_or_b32_e32 v7, v7, v6
	s_addc_u32 s7, s13, s3
	s_lshl_b64 s[2:3], s[36:37], 8
	ds_write_b64 v7, v[2:3]
	v_or_b32_e32 v2, v8, v6
	s_add_u32 s2, s6, s2
	v_lshlrev_b32_e32 v3, 1, v74
	ds_write_b64 v2, v[4:5]
	v_lshrrev_b32_e32 v2, 4, v0
	s_addc_u32 s3, s7, s3
	v_or_b32_e32 v4, 1, v3
	v_lshlrev_b32_e32 v10, 4, v74
	v_mov_b32_e32 v11, 0
	v_xor_b32_e32 v3, v2, v3
	v_xor_b32_e32 v6, v4, v2
	v_lshl_add_u64 v[12:13], s[2:3], 0, v[10:11]
	v_lshlrev_b32_e32 v10, 8, v2
	v_lshl_or_b32 v16, v3, 3, v10
	v_lshl_or_b32 v17, v6, 3, v10
	s_waitcnt lgkmcnt(0)
	s_barrier
	ds_read2st64_b64 v[2:5], v16 offset1:8
	ds_read2st64_b64 v[6:9], v17 offset1:8
	v_lshl_add_u64 v[14:15], v[12:13], 0, v[10:11]
	s_movk_i32 s2, 0x2000
	s_cmp_lg_u32 s43, 64
	s_waitcnt lgkmcnt(1)
	v_mov_b32_e32 v10, v2
	v_mov_b32_e32 v11, v3
	s_waitcnt lgkmcnt(0)
	v_mov_b32_e32 v12, v6
	v_mov_b32_e32 v13, v7
	global_store_dwordx4 v[14:15], v[10:13], off
	v_mov_b32_e32 v6, v4
	v_mov_b32_e32 v7, v5
	ds_read2st64_b64 v[2:5], v16 offset0:16 offset1:24
	ds_read2st64_b64 v[10:13], v17 offset0:16 offset1:24
	v_add_co_u32_e32 v16, vcc, s2, v14
	s_cselect_b64 s[6:7], -1, 0
	s_nop 0
	v_addc_co_u32_e32 v17, vcc, 0, v15, vcc
	global_store_dwordx4 v[16:17], v[6:9], off offset:-4096
	v_lshl_or_b32 v25, v76, 3, v79
	s_mov_b32 s24, 0
	s_waitcnt lgkmcnt(1)
	v_mov_b32_e32 v6, v2
	v_add_co_u32_e32 v2, vcc, 0x3000, v14
	v_mov_b32_e32 v7, v3
	s_nop 0
	v_addc_co_u32_e32 v3, vcc, 0, v15, vcc
	s_waitcnt lgkmcnt(0)
	v_mov_b32_e32 v8, v10
	v_mov_b32_e32 v9, v11
	;; [unrolled: 1-line block ×4, first 2 shown]
	v_or_b32_e32 v20, 32, v25
	v_and_b32_e32 v18, 56, v78
	s_and_b64 vcc, exec, s[6:7]
	global_store_dwordx4 v[16:17], v[6:9], off
	global_store_dwordx4 v[2:3], v[10:13], off
	s_cbranch_vccz .LBB127_29
; %bb.24:
	s_mov_b32 s25, s24
	s_mov_b32 s26, s24
	;; [unrolled: 1-line block ×3, first 2 shown]
	v_mov_b64_e32 v[6:7], s[24:25]
	v_mov_b64_e32 v[8:9], s[26:27]
	;; [unrolled: 1-line block ×3, first 2 shown]
	v_cmp_gt_i32_e32 vcc, s43, v25
	v_mov_b64_e32 v[4:5], v[8:9]
	s_and_saveexec_b64 s[2:3], vcc
	s_cbranch_execz .LBB127_26
; %bb.25:
	v_lshlrev_b32_e32 v2, 8, v25
	v_mov_b32_e32 v3, 0
	v_lshl_add_u64 v[4:5], s[0:1], 0, v[2:3]
	v_lshlrev_b32_e32 v2, 1, v18
	v_lshl_add_u64 v[10:11], v[4:5], 0, v[2:3]
	global_load_dwordx4 v[6:9], v[10:11], off
	global_load_dwordx4 v[2:5], v[10:11], off offset:128
.LBB127_26:
	s_or_b64 exec, exec, s[2:3]
	s_mov_b32 s25, s24
	s_mov_b32 s26, s24
	s_mov_b32 s27, s24
	v_mov_b64_e32 v[14:15], s[24:25]
	v_mov_b64_e32 v[16:17], s[26:27]
	;; [unrolled: 1-line block ×3, first 2 shown]
	v_cmp_gt_i32_e32 vcc, s43, v20
	v_lshlrev_b32_e32 v21, 7, v20
	v_mov_b64_e32 v[12:13], v[16:17]
	s_and_saveexec_b64 s[2:3], vcc
	s_cbranch_execz .LBB127_28
; %bb.27:
	v_lshlrev_b32_e32 v10, 1, v21
	v_mov_b32_e32 v11, 0
	v_lshl_add_u64 v[12:13], s[0:1], 0, v[10:11]
	v_lshlrev_b32_e32 v10, 1, v18
	v_lshl_add_u64 v[26:27], v[12:13], 0, v[10:11]
	global_load_dwordx4 v[14:17], v[26:27], off
	global_load_dwordx4 v[10:13], v[26:27], off offset:128
.LBB127_28:
	s_or_b64 exec, exec, s[2:3]
	v_lshrrev_b32_e32 v26, 3, v18
	v_lshlrev_b32_e32 v27, 3, v25
	v_or_b32_e32 v26, v27, v26
	v_lshlrev_b32_e32 v26, 4, v26
	v_and_b32_e32 v27, 0x78, v27
	v_xor_b32_e32 v26, v26, v27
	s_branch .LBB127_31
.LBB127_29:
                                        ; implicit-def: $vgpr26
                                        ; implicit-def: $vgpr21
                                        ; implicit-def: $vgpr6_vgpr7_vgpr8_vgpr9
                                        ; implicit-def: $vgpr2_vgpr3_vgpr4_vgpr5
                                        ; implicit-def: $vgpr14_vgpr15_vgpr16_vgpr17
                                        ; implicit-def: $vgpr10_vgpr11_vgpr12_vgpr13
	s_cbranch_execz .LBB127_31
; %bb.30:
	s_waitcnt vmcnt(0)
	v_lshlrev_b32_e32 v2, 1, v18
	v_lshl_or_b32 v21, v25, 8, v2
	s_and_b32 s1, s1, 0xffff
	s_mov_b32 s3, 0x20000
	s_movk_i32 s2, 0x4000
	v_lshl_or_b32 v26, v20, 8, v2
	s_movk_i32 s12, 0x80
	buffer_load_dwordx4 v[6:9], v21, s[0:3], 0 offen
	buffer_load_dwordx4 v[2:5], v21, s[0:3], s12 offen
	;; [unrolled: 1-line block ×4, first 2 shown]
	v_lshrrev_b32_e32 v21, 3, v18
	v_lshlrev_b32_e32 v26, 3, v25
	v_or_b32_e32 v21, v26, v21
	v_lshlrev_b32_e32 v21, 4, v21
	v_and_b32_e32 v26, 0x78, v26
	v_xor_b32_e32 v26, v21, v26
	v_lshlrev_b32_e32 v21, 7, v20
.LBB127_31:
	s_movk_i32 s0, 0x1000
	v_and_or_b32 v20, v21, s0, v26
	s_waitcnt vmcnt(1)
	ds_write_b64 v26, v[6:7] offset:49152
	v_xor_b32_e32 v6, 8, v26
	ds_write_b64 v6, v[8:9] offset:49152
	s_waitcnt vmcnt(0)
	ds_write_b64 v26, v[2:3] offset:57344
	ds_write_b64 v6, v[4:5] offset:57344
	;; [unrolled: 1-line block ×3, first 2 shown]
	v_xor_b32_e32 v2, 8, v20
	ds_write_b64 v2, v[16:17] offset:49152
	ds_write_b64 v20, v[10:11] offset:57344
	;; [unrolled: 1-line block ×3, first 2 shown]
	v_or_b32_e32 v2, v1, v74
	v_lshlrev_b32_e32 v3, 11, v76
	v_lshlrev_b32_e32 v2, 3, v2
	v_and_b32_e32 v6, 0x1000, v3
	v_lshrrev_b32_e32 v3, 5, v75
	s_movk_i32 s0, 0xf8
	v_and_or_b32 v3, v2, s0, v3
	v_lshlrev_b32_e32 v7, 4, v3
	v_and_b32_e32 v8, 0x78, v2
	v_or_b32_e32 v10, 32, v7
	v_lshrrev_b32_e32 v3, 1, v75
	v_xor_b32_e32 v10, v10, v8
	v_xor_b32_e32 v2, v7, v8
	v_and_b32_e32 v9, 8, v3
	v_or_b32_e32 v10, v10, v6
	v_or_b32_e32 v2, v2, v6
	v_xor_b32_e32 v28, v10, v9
	v_or_b32_e32 v10, 64, v7
	v_xor_b32_e32 v27, v2, v9
	v_xor_b32_e32 v10, v10, v8
	s_waitcnt lgkmcnt(0)
	s_barrier
	v_or_b32_e32 v13, v10, v6
	ds_read_b64 v[10:11], v27 offset:49152
	v_lshl_or_b32 v14, v77, 8, v24
	v_lshlrev_b32_e32 v26, 1, v14
	v_add_u32_e32 v12, 0x4000, v26
	ds_read2_b64 v[2:5], v12 offset1:16
	v_or_b32_e32 v7, 0x60, v7
	v_xor_b32_e32 v7, v7, v8
	v_or_b32_e32 v6, v7, v6
	v_xor_b32_e32 v29, v13, v9
	v_xor_b32_e32 v30, v6, v9
	ds_read_b64 v[20:21], v28 offset:49152
	ds_read_b64 v[34:35], v29 offset:49152
	;; [unrolled: 1-line block ×3, first 2 shown]
	s_waitcnt lgkmcnt(3)
	v_mfma_f32_16x16x16_bf16 a[0:3], v[10:11], v[2:3], 0
	ds_read2_b64 v[6:9], v12 offset0:32 offset1:48
	s_lshl_b64 s[0:1], s[40:41], 8
	s_add_u32 s4, s4, s0
	v_mfma_f32_16x16x16_bf16 a[4:7], v[10:11], v[4:5], 0
	ds_read2st64_b64 v[2:5], v26 offset0:36 offset1:40
	s_addc_u32 s5, s5, s1
	s_add_i32 s2, s16, -1
	s_waitcnt lgkmcnt(1)
	v_mfma_f32_16x16x16_bf16 a[8:11], v[10:11], v[6:7], 0
	v_or_b32_e32 v6, 64, v14
	v_lshlrev_b32_e32 v31, 1, v6
	s_add_i32 s0, s44, s21
	s_waitcnt lgkmcnt(0)
	v_mfma_f32_16x16x16_bf16 a[0:3], v[20:21], v[2:3], a[0:3]
	v_or_b32_e32 v2, 0x80, v14
	v_lshlrev_b32_e32 v32, 1, v2
	v_or_b32_e32 v2, 0xc0, v14
	v_mfma_f32_16x16x16_bf16 a[12:15], v[10:11], v[8:9], 0
	ds_read2st64_b64 v[6:9], v31 offset0:36 offset1:40
	v_lshlrev_b32_e32 v33, 1, v2
	ds_read2st64_b64 v[10:13], v32 offset0:36 offset1:40
	ds_read2st64_b64 v[14:17], v33 offset0:36 offset1:40
	s_mul_i32 s39, s39, s20
	s_add_i32 s39, s0, s39
	s_mul_i32 s0, s33, s23
	s_mul_hi_u32 s1, s33, s22
	s_ashr_i32 s3, s2, 31
	s_mul_i32 s12, s2, s35
	s_mul_hi_u32 s13, s2, s34
	s_waitcnt lgkmcnt(2)
	v_mfma_f32_16x16x16_bf16 a[4:7], v[20:21], v[6:7], a[4:7]
	s_add_i32 s0, s1, s0
	s_mul_i32 s1, s18, s22
	s_add_i32 s12, s13, s12
	s_mul_i32 s3, s3, s34
	s_waitcnt lgkmcnt(1)
	v_mfma_f32_16x16x16_bf16 a[8:11], v[20:21], v[10:11], a[8:11]
	s_add_i32 s1, s0, s1
	s_add_i32 s3, s12, s3
	s_lshl_b64 s[12:13], s[38:39], 2
	s_waitcnt lgkmcnt(0)
	v_mfma_f32_16x16x16_bf16 a[12:15], v[20:21], v[14:15], a[12:15]
	s_mul_i32 s0, s33, s22
	s_add_u32 s10, s10, s12
	s_addc_u32 s11, s11, s13
	s_lshl_b64 s[0:1], s[0:1], 2
	v_mfma_f32_16x16x16_bf16 a[0:3], v[34:35], v[4:5], a[0:3]
	s_mul_i32 s2, s2, s34
	ds_read_b64 v[2:3], v26 offset:22528
	s_add_u32 s10, s10, s0
	v_mfma_f32_16x16x16_bf16 a[4:7], v[34:35], v[8:9], a[4:7]
	ds_read_b64 v[4:5], v31 offset:22528
	ds_read_b64 v[6:7], v32 offset:22528
	;; [unrolled: 1-line block ×3, first 2 shown]
	s_addc_u32 s11, s11, s1
	s_lshl_b64 s[0:1], s[2:3], 2
	v_mfma_f32_16x16x16_bf16 a[8:11], v[34:35], v[12:13], a[8:11]
	s_add_u32 s0, s10, s0
	s_addc_u32 s1, s11, s1
	s_load_dword s12, s[0:1], 0x0
	v_mfma_f32_16x16x16_bf16 a[12:15], v[34:35], v[16:17], a[12:15]
	s_and_b64 vcc, exec, s[30:31]
	s_waitcnt lgkmcnt(0)
	v_mfma_f32_16x16x16_bf16 a[0:3], v[36:37], v[2:3], a[0:3]
	v_mfma_f32_16x16x16_bf16 a[4:7], v[36:37], v[4:5], a[4:7]
	;; [unrolled: 1-line block ×4, first 2 shown]
	s_cbranch_vccz .LBB127_42
; %bb.32:
	v_lshlrev_b32_e32 v20, 1, v25
	s_and_b64 vcc, exec, s[6:7]
	s_cbranch_vccz .LBB127_43
; %bb.33:
	v_cmp_gt_i32_e32 vcc, s43, v20
	v_mov_b32_e32 v6, 0
	v_mov_b32_e32 v2, 0
	;; [unrolled: 1-line block ×5, first 2 shown]
	s_and_saveexec_b64 s[0:1], vcc
	s_cbranch_execz .LBB127_35
; %bb.34:
	v_mad_i64_i32 v[2:3], s[2:3], s19, v20, 0
	v_lshl_add_u64 v[2:3], v[2:3], 1, s[4:5]
	v_lshlrev_b32_e32 v4, 1, v18
	v_mov_b32_e32 v5, 0
	v_lshl_add_u64 v[2:3], v[2:3], 0, v[4:5]
	global_load_dwordx4 v[2:5], v[2:3], off
.LBB127_35:
	s_or_b64 exec, exec, s[0:1]
	v_or_b32_e32 v21, 1, v20
	v_cmp_gt_i32_e64 s[0:1], s43, v21
	v_mov_b32_e32 v7, 0
	v_mov_b32_e32 v8, 0
	;; [unrolled: 1-line block ×3, first 2 shown]
	s_and_saveexec_b64 s[2:3], s[0:1]
	s_cbranch_execz .LBB127_37
; %bb.36:
	v_mad_i64_i32 v[6:7], s[16:17], s19, v21, 0
	v_lshl_add_u64 v[6:7], v[6:7], 1, s[4:5]
	v_lshlrev_b32_e32 v8, 1, v18
	v_mov_b32_e32 v9, 0
	v_lshl_add_u64 v[6:7], v[6:7], 0, v[8:9]
	global_load_dwordx4 v[6:9], v[6:7], off
.LBB127_37:
	s_or_b64 exec, exec, s[2:3]
	v_mov_b32_e32 v17, 0
	v_mov_b32_e32 v10, 0
	;; [unrolled: 1-line block ×5, first 2 shown]
	s_and_saveexec_b64 s[2:3], vcc
	s_cbranch_execz .LBB127_39
; %bb.38:
	v_mad_i64_i32 v[10:11], s[16:17], s19, v20, 0
	v_lshl_add_u64 v[10:11], v[10:11], 1, s[4:5]
	v_lshlrev_b32_e32 v12, 1, v18
	v_mov_b32_e32 v13, 0
	v_lshl_add_u64 v[10:11], v[10:11], 0, v[12:13]
	global_load_dwordx4 v[10:13], v[10:11], off offset:128
.LBB127_39:
	s_or_b64 exec, exec, s[2:3]
	v_mov_b32_e32 v16, 0
	v_mov_b32_e32 v15, 0
	;; [unrolled: 1-line block ×3, first 2 shown]
	s_and_saveexec_b64 s[2:3], s[0:1]
	s_cbranch_execz .LBB127_41
; %bb.40:
	v_mad_i64_i32 v[14:15], s[0:1], s19, v21, 0
	v_lshl_add_u64 v[14:15], v[14:15], 1, s[4:5]
	v_lshlrev_b32_e32 v16, 1, v18
	v_mov_b32_e32 v17, 0
	v_lshl_add_u64 v[14:15], v[14:15], 0, v[16:17]
	global_load_dwordx4 v[14:17], v[14:15], off offset:128
.LBB127_41:
	s_or_b64 exec, exec, s[2:3]
	s_branch .LBB127_45
.LBB127_42:
                                        ; implicit-def: $vgpr5
                                        ; implicit-def: $vgpr9
                                        ; implicit-def: $vgpr13
                                        ; implicit-def: $vgpr17
	v_lshrrev_b32_e32 v34, 2, v75
	s_branch .LBB127_46
.LBB127_43:
                                        ; implicit-def: $vgpr5
                                        ; implicit-def: $vgpr9
                                        ; implicit-def: $vgpr13
                                        ; implicit-def: $vgpr17
	s_cbranch_execz .LBB127_45
; %bb.44:
	s_waitcnt vmcnt(0)
	v_mad_u64_u32 v[2:3], s[0:1], v20, s19, v[18:19]
	v_lshlrev_b32_e32 v20, 1, v2
	s_lshl_b32 s2, s19, 7
	s_and_b32 s1, s5, 0xffff
	s_mov_b32 s3, 0x20000
	s_mov_b32 s0, s4
	v_add_lshl_u32 v21, v2, s19, 1
	s_movk_i32 s13, 0x80
	buffer_load_dwordx4 v[2:5], v20, s[0:3], 0 offen
	buffer_load_dwordx4 v[10:13], v20, s[0:3], s13 offen
	;; [unrolled: 1-line block ×4, first 2 shown]
.LBB127_45:
	v_lshrrev_b32_e32 v34, 2, v75
	s_cbranch_execnz .LBB127_58
.LBB127_46:
	s_and_b64 vcc, exec, s[6:7]
	s_cbranch_vccz .LBB127_56
; %bb.47:
	s_waitcnt vmcnt(0)
	v_lshlrev_b32_e32 v7, 1, v25
	v_cmp_gt_i32_e32 vcc, s43, v7
	v_mov_b32_e32 v6, 0
	v_lshlrev_b32_e32 v14, 9, v25
	v_mov_b32_e32 v2, 0
	v_mov_b32_e32 v3, 0
	;; [unrolled: 1-line block ×4, first 2 shown]
	s_and_saveexec_b64 s[0:1], vcc
	s_cbranch_execz .LBB127_49
; %bb.48:
	v_mov_b32_e32 v15, 0
	v_lshl_add_u64 v[2:3], s[4:5], 0, v[14:15]
	v_lshlrev_b32_e32 v4, 1, v18
	v_mov_b32_e32 v5, v15
	v_lshl_add_u64 v[2:3], v[2:3], 0, v[4:5]
	global_load_dwordx4 v[2:5], v[2:3], off
.LBB127_49:
	s_or_b64 exec, exec, s[0:1]
	v_or_b32_e32 v7, 1, v7
	v_cmp_gt_i32_e64 s[0:1], s43, v7
	v_lshlrev_b32_e32 v20, 8, v7
	v_mov_b32_e32 v7, 0
	v_mov_b32_e32 v8, 0
	;; [unrolled: 1-line block ×3, first 2 shown]
	s_and_saveexec_b64 s[2:3], s[0:1]
	s_cbranch_execz .LBB127_51
; %bb.50:
	v_mov_b32_e32 v21, 0
	v_lshl_add_u64 v[6:7], s[4:5], 0, v[20:21]
	v_lshlrev_b32_e32 v8, 1, v18
	v_mov_b32_e32 v9, v21
	v_lshl_add_u64 v[6:7], v[6:7], 0, v[8:9]
	global_load_dwordx4 v[6:9], v[6:7], off
.LBB127_51:
	s_or_b64 exec, exec, s[2:3]
	v_mov_b32_e32 v17, 0
	v_mov_b32_e32 v10, 0
	;; [unrolled: 1-line block ×5, first 2 shown]
	s_and_saveexec_b64 s[2:3], vcc
	s_cbranch_execz .LBB127_53
; %bb.52:
	v_mov_b32_e32 v15, 0
	v_lshl_add_u64 v[10:11], s[4:5], 0, v[14:15]
	v_lshlrev_b32_e32 v14, 1, v18
	v_lshl_add_u64 v[10:11], v[10:11], 0, v[14:15]
	global_load_dwordx4 v[10:13], v[10:11], off offset:128
.LBB127_53:
	s_or_b64 exec, exec, s[2:3]
	v_mov_b32_e32 v16, 0
	v_mov_b32_e32 v15, 0
	v_mov_b32_e32 v14, 0
	s_and_saveexec_b64 s[2:3], s[0:1]
	s_cbranch_execz .LBB127_55
; %bb.54:
	v_mov_b32_e32 v21, 0
	v_lshl_add_u64 v[14:15], s[4:5], 0, v[20:21]
	v_lshlrev_b32_e32 v20, 1, v18
	v_lshl_add_u64 v[14:15], v[14:15], 0, v[20:21]
	global_load_dwordx4 v[14:17], v[14:15], off offset:128
.LBB127_55:
	s_or_b64 exec, exec, s[2:3]
	s_branch .LBB127_58
.LBB127_56:
                                        ; implicit-def: $vgpr5
                                        ; implicit-def: $vgpr9
                                        ; implicit-def: $vgpr13
                                        ; implicit-def: $vgpr17
	s_cbranch_execz .LBB127_58
; %bb.57:
	s_waitcnt vmcnt(0)
	v_lshlrev_b32_e32 v2, 1, v18
	v_lshl_or_b32 v18, v25, 9, v2
	s_and_b32 s5, s5, 0xffff
	s_mov_b32 s7, 0x20000
	s_movk_i32 s6, 0x4000
	s_movk_i32 s0, 0x80
	buffer_load_dwordx4 v[2:5], v18, s[4:7], 0 offen
	buffer_load_dwordx4 v[6:9], v18, s[4:7], 0 offen offset:256
	buffer_load_dwordx4 v[10:13], v18, s[4:7], s0 offen
	buffer_load_dwordx4 v[14:17], v18, s[4:7], s0 offen offset:256
.LBB127_58:
	ds_read_b64 v[20:21], v27 offset:57344
	v_add_u32_e32 v18, 0x6000, v26
	ds_read2_b64 v[36:39], v18 offset1:16
	ds_read_b64 v[52:53], v28 offset:57344
	ds_read_b64 v[28:29], v29 offset:57344
	;; [unrolled: 1-line block ×3, first 2 shown]
	ds_read2st64_b64 v[40:43], v26 offset0:52 offset1:56
	s_mov_b32 s0, 0x1000504
	s_mov_b32 s1, 0x3020706
	s_waitcnt lgkmcnt(4)
	v_mfma_f32_16x16x16_bf16 a[0:3], v[20:21], v[36:37], a[0:3]
	v_mfma_f32_16x16x16_bf16 a[4:7], v[20:21], v[38:39], a[4:7]
	ds_read2_b64 v[36:39], v18 offset0:32 offset1:48
	v_and_b32_e32 v18, 6, v0
	v_xor_b32_e32 v25, v25, v18
	s_waitcnt lgkmcnt(0)
	v_mfma_f32_16x16x16_bf16 a[8:11], v[20:21], v[36:37], a[8:11]
	v_lshlrev_b32_e32 v25, 2, v25
	v_and_b32_e32 v0, 1, v0
	v_xor_b32_e32 v35, 0x440, v25
	v_mfma_f32_16x16x16_bf16 a[12:15], v[20:21], v[38:39], a[12:15]
	ds_read2st64_b64 v[36:39], v31 offset0:52 offset1:56
	ds_read2st64_b64 v[44:47], v32 offset0:52 offset1:56
	;; [unrolled: 1-line block ×3, first 2 shown]
	v_cmp_eq_u32_e32 vcc, 0, v0
	ds_read_b64 v[20:21], v26 offset:30720
	ds_read_b64 v[26:27], v31 offset:30720
	;; [unrolled: 1-line block ×4, first 2 shown]
	v_mfma_f32_16x16x16_bf16 a[0:3], v[52:53], v[40:41], a[0:3]
	v_cndmask_b32_e32 v0, v35, v25, vcc
	v_lshl_or_b32 v0, v18, 10, v0
	s_waitcnt vmcnt(0)
	v_perm_b32 v18, v2, v6, s0
	s_waitcnt lgkmcnt(6)
	v_mfma_f32_16x16x16_bf16 a[4:7], v[52:53], v[36:37], a[4:7]
	v_perm_b32 v25, v10, v14, s0
	ds_write2st64_b32 v0, v18, v25 offset0:128 offset1:160
	v_xor_b32_e32 v18, 8, v0
	s_waitcnt lgkmcnt(6)
	v_mfma_f32_16x16x16_bf16 a[8:11], v[52:53], v[44:45], a[8:11]
	v_perm_b32 v2, v2, v6, s1
	v_perm_b32 v6, v10, v14, s1
	v_add_u32_e32 v10, 0x80, v18
	s_waitcnt lgkmcnt(5)
	v_mfma_f32_16x16x16_bf16 a[12:15], v[52:53], v[48:49], a[12:15]
	ds_write2st64_b32 v10, v2, v6 offset0:128 offset1:160
	v_xor_b32_e32 v2, 16, v0
	v_perm_b32 v6, v3, v7, s0
	v_mfma_f32_16x16x16_bf16 a[0:3], v[28:29], v[42:43], a[0:3]
	v_perm_b32 v10, v11, v15, s0
	ds_write2st64_b32 v2, v6, v10 offset0:129 offset1:161
	v_xor_b32_e32 v2, 24, v0
	v_mfma_f32_16x16x16_bf16 a[4:7], v[28:29], v[38:39], a[4:7]
	v_perm_b32 v3, v3, v7, s1
	v_perm_b32 v6, v11, v15, s1
	v_add_u32_e32 v2, 0x80, v2
	v_mfma_f32_16x16x16_bf16 a[16:19], v[28:29], v[46:47], a[8:11]
	ds_write2st64_b32 v2, v3, v6 offset0:129 offset1:161
	v_xor_b32_e32 v2, 32, v0
	v_perm_b32 v3, v4, v8, s0
	v_mfma_f32_16x16x16_bf16 a[20:23], v[28:29], v[50:51], a[12:15]
	v_perm_b32 v6, v12, v16, s0
	ds_write2st64_b32 v2, v3, v6 offset0:130 offset1:162
	v_xor_b32_e32 v2, 40, v0
	s_waitcnt lgkmcnt(8)
	v_mfma_f32_16x16x16_bf16 a[12:15], v[54:55], v[20:21], a[0:3]
	v_perm_b32 v3, v4, v8, s1
	v_perm_b32 v4, v12, v16, s1
	v_add_u32_e32 v2, 0x80, v2
	s_waitcnt lgkmcnt(7)
	v_mfma_f32_16x16x16_bf16 a[8:11], v[54:55], v[26:27], a[4:7]
	ds_write2st64_b32 v2, v3, v4 offset0:130 offset1:162
	v_xor_b32_e32 v2, 48, v0
	v_perm_b32 v3, v5, v9, s0
	s_waitcnt lgkmcnt(7)
	v_mfma_f32_16x16x16_bf16 a[4:7], v[54:55], v[30:31], a[16:19]
	v_perm_b32 v4, v13, v17, s0
	v_xor_b32_e32 v0, 56, v0
	v_and_or_b32 v21, v34, 12, v1
	s_waitcnt lgkmcnt(6)
	v_mfma_f32_16x16x16_bf16 a[0:3], v[54:55], v[32:33], a[20:23]
	ds_write2st64_b32 v2, v3, v4 offset0:131 offset1:163
	v_perm_b32 v2, v5, v9, s1
	v_perm_b32 v3, v13, v17, s1
	v_add_u32_e32 v0, 0x80, v0
	v_cmp_gt_i32_e32 vcc, s43, v21
	v_mov_b32_e32 v16, 0
	v_mov_b32_e32 v18, 0
	ds_write2st64_b32 v0, v2, v3 offset0:131 offset1:163
	s_and_saveexec_b64 s[0:1], vcc
	s_cbranch_execz .LBB127_60
; %bb.59:
	v_add_u32_e32 v0, s42, v21
	v_ashrrev_i32_e32 v1, 31, v0
	v_mul_lo_u32 v2, v1, s34
	v_mul_lo_u32 v3, v0, s35
	v_mad_u64_u32 v[0:1], s[2:3], v0, s34, 0
	v_add3_u32 v1, v1, v3, v2
	v_lshl_add_u64 v[0:1], v[0:1], 2, s[10:11]
	global_load_dword v0, v[0:1], off
	s_waitcnt vmcnt(0)
	v_sub_f32_e32 v0, s12, v0
	v_mul_f32_e32 v0, 0x3fb8aa3b, v0
	v_exp_f32_e32 v18, v0
.LBB127_60:
	s_or_b64 exec, exec, s[0:1]
	v_or_b32_e32 v10, 1, v21
	v_cmp_gt_i32_e64 s[0:1], s43, v10
	s_and_saveexec_b64 s[2:3], s[0:1]
	s_cbranch_execz .LBB127_62
; %bb.61:
	v_add_u32_e32 v0, s42, v10
	v_ashrrev_i32_e32 v1, 31, v0
	v_mul_lo_u32 v2, v1, s34
	v_mul_lo_u32 v3, v0, s35
	v_mad_u64_u32 v[0:1], s[4:5], v0, s34, 0
	v_add3_u32 v1, v1, v3, v2
	v_lshl_add_u64 v[0:1], v[0:1], 2, s[10:11]
	global_load_dword v0, v[0:1], off
	s_waitcnt vmcnt(0)
	v_sub_f32_e32 v0, s12, v0
	v_mul_f32_e32 v0, 0x3fb8aa3b, v0
	v_exp_f32_e32 v16, v0
.LBB127_62:
	s_or_b64 exec, exec, s[2:3]
	v_or_b32_e32 v12, 2, v21
	v_cmp_gt_i32_e64 s[2:3], s43, v12
	v_mov_b32_e32 v17, 0
	v_mov_b32_e32 v20, 0
	s_and_saveexec_b64 s[4:5], s[2:3]
	s_cbranch_execz .LBB127_64
; %bb.63:
	v_add_u32_e32 v0, s42, v12
	v_ashrrev_i32_e32 v1, 31, v0
	v_mul_lo_u32 v2, v1, s34
	v_mul_lo_u32 v3, v0, s35
	v_mad_u64_u32 v[0:1], s[6:7], v0, s34, 0
	v_add3_u32 v1, v1, v3, v2
	v_lshl_add_u64 v[0:1], v[0:1], 2, s[10:11]
	global_load_dword v0, v[0:1], off
	s_waitcnt vmcnt(0)
	v_sub_f32_e32 v0, s12, v0
	v_mul_f32_e32 v0, 0x3fb8aa3b, v0
	v_exp_f32_e32 v20, v0
.LBB127_64:
	s_or_b64 exec, exec, s[4:5]
	v_or_b32_e32 v14, 3, v21
	v_cmp_gt_i32_e64 s[4:5], s43, v14
	s_and_saveexec_b64 s[6:7], s[4:5]
	s_cbranch_execz .LBB127_66
; %bb.65:
	v_add_u32_e32 v0, s42, v14
	v_ashrrev_i32_e32 v1, 31, v0
	v_mul_lo_u32 v2, v1, s34
	v_mul_lo_u32 v3, v0, s35
	v_mad_u64_u32 v[0:1], s[16:17], v0, s34, 0
	v_add3_u32 v1, v1, v3, v2
	v_lshl_add_u64 v[0:1], v[0:1], 2, s[10:11]
	global_load_dword v0, v[0:1], off
	s_waitcnt vmcnt(0)
	v_sub_f32_e32 v0, s12, v0
	v_mul_f32_e32 v0, 0x3fb8aa3b, v0
	v_exp_f32_e32 v17, v0
.LBB127_66:
	s_or_b64 exec, exec, s[6:7]
	s_add_u32 s6, s8, s28
	v_or_b32_e32 v4, s36, v74
	s_addc_u32 s7, s9, s29
	s_add_u32 s8, s14, s28
	v_ashrrev_i32_e32 v5, 31, v4
	v_accvgpr_read_b32 v0, a12
	s_addc_u32 s9, s15, s29
	v_lshlrev_b64 v[4:5], 1, v[4:5]
	v_accvgpr_read_b32 v1, a13
	v_accvgpr_read_b32 v2, a14
	;; [unrolled: 1-line block ×3, first 2 shown]
	v_lshl_add_u64 v[6:7], s[6:7], 0, v[4:5]
	v_lshl_add_u64 v[4:5], s[8:9], 0, v[4:5]
	v_mov_b32_e32 v11, 0
	v_lshlrev_b32_e32 v8, 8, v21
	v_mov_b32_e32 v9, 0
	s_and_saveexec_b64 s[6:7], vcc
	s_cbranch_execz .LBB127_68
; %bb.67:
	v_mov_b32_e32 v9, 0
	v_lshl_add_u64 v[26:27], v[6:7], 0, v[8:9]
	global_load_ushort v13, v[26:27], off
	v_lshl_add_u64 v[26:27], v[4:5], 0, v[8:9]
	s_waitcnt vmcnt(0)
	v_lshlrev_b32_e32 v9, 16, v13
	v_sub_f32_e32 v0, v9, v0
	global_store_short_d16_hi v[26:27], v0, off
	v_mul_f32_e32 v0, v18, v0
	v_lshrrev_b32_e32 v9, 16, v0
.LBB127_68:
	s_or_b64 exec, exec, s[6:7]
	v_lshlrev_b32_e32 v10, 8, v10
	s_and_saveexec_b64 s[6:7], s[0:1]
	s_cbranch_execz .LBB127_70
; %bb.69:
	v_mov_b32_e32 v11, 0
	v_lshl_add_u64 v[26:27], v[6:7], 0, v[10:11]
	global_load_ushort v0, v[26:27], off
	v_lshl_add_u64 v[26:27], v[4:5], 0, v[10:11]
	s_waitcnt vmcnt(0)
	v_lshlrev_b32_e32 v0, 16, v0
	v_sub_f32_e32 v0, v0, v1
	global_store_short_d16_hi v[26:27], v0, off
	v_mul_f32_e32 v0, v16, v0
	v_lshrrev_b32_e32 v11, 16, v0
.LBB127_70:
	s_or_b64 exec, exec, s[6:7]
	v_mov_b32_e32 v15, 0
	v_lshlrev_b32_e32 v12, 8, v12
	v_mov_b32_e32 v13, 0
	s_and_saveexec_b64 s[6:7], s[2:3]
	s_cbranch_execz .LBB127_72
; %bb.71:
	v_mov_b32_e32 v13, 0
	v_lshl_add_u64 v[0:1], v[6:7], 0, v[12:13]
	global_load_ushort v25, v[0:1], off
	v_lshl_add_u64 v[0:1], v[4:5], 0, v[12:13]
	s_waitcnt vmcnt(0)
	v_lshlrev_b32_e32 v13, 16, v25
	v_sub_f32_e32 v2, v13, v2
	global_store_short_d16_hi v[0:1], v2, off
	v_mul_f32_e32 v0, v20, v2
	v_lshrrev_b32_e32 v13, 16, v0
.LBB127_72:
	s_or_b64 exec, exec, s[6:7]
	v_lshlrev_b32_e32 v14, 8, v14
	s_and_saveexec_b64 s[6:7], s[4:5]
	s_cbranch_execz .LBB127_74
; %bb.73:
	v_mov_b32_e32 v15, 0
	v_lshl_add_u64 v[0:1], v[6:7], 0, v[14:15]
	global_load_ushort v2, v[0:1], off
	v_lshl_add_u64 v[0:1], v[4:5], 0, v[14:15]
	s_waitcnt vmcnt(0)
	v_lshlrev_b32_e32 v2, 16, v2
	v_sub_f32_e32 v2, v2, v3
	global_store_short_d16_hi v[0:1], v2, off
	v_mul_f32_e32 v0, v17, v2
	v_lshrrev_b32_e32 v15, 16, v0
.LBB127_74:
	s_or_b64 exec, exec, s[6:7]
	v_lshlrev_b32_e32 v21, 6, v21
	s_mov_b32 s6, 0x5040100
	v_perm_b32 v26, v11, v9, s6
	v_or_b32_e32 v9, v21, v24
	v_accvgpr_read_b32 v0, a8
	v_perm_b32 v27, v15, v13, s6
	v_lshlrev_b32_e32 v9, 1, v9
	v_accvgpr_read_b32 v1, a9
	v_accvgpr_read_b32 v2, a10
	;; [unrolled: 1-line block ×3, first 2 shown]
	ds_write_b64 v9, v[26:27] offset:24576
	v_mov_b32_e32 v11, 0
	v_mov_b32_e32 v9, 0
	s_and_saveexec_b64 s[6:7], vcc
	s_cbranch_execz .LBB127_76
; %bb.75:
	v_mov_b32_e32 v9, 0
	v_lshl_add_u64 v[24:25], v[6:7], 0, v[8:9]
	global_load_ushort v13, v[24:25], off offset:32
	v_lshl_add_u64 v[24:25], v[4:5], 0, v[8:9]
	s_waitcnt vmcnt(0)
	v_lshlrev_b32_e32 v9, 16, v13
	v_sub_f32_e32 v0, v9, v0
	global_store_short_d16_hi v[24:25], v0, off offset:32
	v_mul_f32_e32 v0, v18, v0
	v_lshrrev_b32_e32 v9, 16, v0
.LBB127_76:
	s_or_b64 exec, exec, s[6:7]
	s_and_saveexec_b64 s[6:7], s[0:1]
	s_cbranch_execz .LBB127_78
; %bb.77:
	v_mov_b32_e32 v11, 0
	v_lshl_add_u64 v[24:25], v[6:7], 0, v[10:11]
	global_load_ushort v0, v[24:25], off offset:32
	v_lshl_add_u64 v[24:25], v[4:5], 0, v[10:11]
	s_waitcnt vmcnt(0)
	v_lshlrev_b32_e32 v0, 16, v0
	v_sub_f32_e32 v0, v0, v1
	global_store_short_d16_hi v[24:25], v0, off offset:32
	v_mul_f32_e32 v0, v16, v0
	v_lshrrev_b32_e32 v11, 16, v0
.LBB127_78:
	s_or_b64 exec, exec, s[6:7]
	v_mov_b32_e32 v15, 0
	v_mov_b32_e32 v13, 0
	s_and_saveexec_b64 s[6:7], s[2:3]
	s_cbranch_execz .LBB127_80
; %bb.79:
	v_mov_b32_e32 v13, 0
	v_lshl_add_u64 v[0:1], v[6:7], 0, v[12:13]
	global_load_ushort v24, v[0:1], off offset:32
	v_lshl_add_u64 v[0:1], v[4:5], 0, v[12:13]
	s_waitcnt vmcnt(0)
	v_lshlrev_b32_e32 v13, 16, v24
	v_sub_f32_e32 v2, v13, v2
	global_store_short_d16_hi v[0:1], v2, off offset:32
	v_mul_f32_e32 v0, v20, v2
	v_lshrrev_b32_e32 v13, 16, v0
.LBB127_80:
	s_or_b64 exec, exec, s[6:7]
	s_and_saveexec_b64 s[6:7], s[4:5]
	s_cbranch_execz .LBB127_82
; %bb.81:
	v_mov_b32_e32 v15, 0
	v_lshl_add_u64 v[0:1], v[6:7], 0, v[14:15]
	global_load_ushort v2, v[0:1], off offset:32
	v_lshl_add_u64 v[0:1], v[4:5], 0, v[14:15]
	s_waitcnt vmcnt(0)
	v_lshlrev_b32_e32 v2, 16, v2
	v_sub_f32_e32 v2, v2, v3
	global_store_short_d16_hi v[0:1], v2, off offset:32
	v_mul_f32_e32 v0, v17, v2
	v_lshrrev_b32_e32 v15, 16, v0
.LBB127_82:
	s_or_b64 exec, exec, s[6:7]
	s_mov_b32 s6, 0x5040100
	v_perm_b32 v24, v11, v9, s6
	v_or_b32_e32 v9, v21, v23
	v_accvgpr_read_b32 v0, a4
	v_perm_b32 v25, v15, v13, s6
	v_lshlrev_b32_e32 v9, 1, v9
	v_accvgpr_read_b32 v1, a5
	v_accvgpr_read_b32 v2, a6
	;; [unrolled: 1-line block ×3, first 2 shown]
	ds_write_b64 v9, v[24:25] offset:24576
	v_mov_b32_e32 v11, 0
	v_mov_b32_e32 v9, 0
	s_and_saveexec_b64 s[6:7], vcc
	s_cbranch_execz .LBB127_84
; %bb.83:
	v_mov_b32_e32 v9, 0
	v_lshl_add_u64 v[24:25], v[6:7], 0, v[8:9]
	global_load_ushort v13, v[24:25], off offset:64
	v_lshl_add_u64 v[24:25], v[4:5], 0, v[8:9]
	s_waitcnt vmcnt(0)
	v_lshlrev_b32_e32 v9, 16, v13
	v_sub_f32_e32 v0, v9, v0
	global_store_short_d16_hi v[24:25], v0, off offset:64
	v_mul_f32_e32 v0, v18, v0
	v_lshrrev_b32_e32 v9, 16, v0
.LBB127_84:
	s_or_b64 exec, exec, s[6:7]
	s_and_saveexec_b64 s[6:7], s[0:1]
	s_cbranch_execz .LBB127_86
; %bb.85:
	v_mov_b32_e32 v11, 0
	v_lshl_add_u64 v[24:25], v[6:7], 0, v[10:11]
	global_load_ushort v0, v[24:25], off offset:64
	v_lshl_add_u64 v[24:25], v[4:5], 0, v[10:11]
	s_waitcnt vmcnt(0)
	v_lshlrev_b32_e32 v0, 16, v0
	v_sub_f32_e32 v0, v0, v1
	global_store_short_d16_hi v[24:25], v0, off offset:64
	v_mul_f32_e32 v0, v16, v0
	v_lshrrev_b32_e32 v11, 16, v0
.LBB127_86:
	s_or_b64 exec, exec, s[6:7]
	v_mov_b32_e32 v15, 0
	v_mov_b32_e32 v13, 0
	s_and_saveexec_b64 s[6:7], s[2:3]
	s_cbranch_execz .LBB127_88
; %bb.87:
	v_mov_b32_e32 v13, 0
	v_lshl_add_u64 v[0:1], v[6:7], 0, v[12:13]
	global_load_ushort v23, v[0:1], off offset:64
	v_lshl_add_u64 v[0:1], v[4:5], 0, v[12:13]
	s_waitcnt vmcnt(0)
	v_lshlrev_b32_e32 v13, 16, v23
	v_sub_f32_e32 v2, v13, v2
	global_store_short_d16_hi v[0:1], v2, off offset:64
	v_mul_f32_e32 v0, v20, v2
	v_lshrrev_b32_e32 v13, 16, v0
.LBB127_88:
	s_or_b64 exec, exec, s[6:7]
	s_and_saveexec_b64 s[6:7], s[4:5]
	s_cbranch_execz .LBB127_90
; %bb.89:
	v_mov_b32_e32 v15, 0
	v_lshl_add_u64 v[0:1], v[6:7], 0, v[14:15]
	global_load_ushort v2, v[0:1], off offset:64
	v_lshl_add_u64 v[0:1], v[4:5], 0, v[14:15]
	s_waitcnt vmcnt(0)
	v_lshlrev_b32_e32 v2, 16, v2
	v_sub_f32_e32 v2, v2, v3
	global_store_short_d16_hi v[0:1], v2, off offset:64
	v_mul_f32_e32 v0, v17, v2
	v_lshrrev_b32_e32 v15, 16, v0
.LBB127_90:
	s_or_b64 exec, exec, s[6:7]
	s_mov_b32 s6, 0x5040100
	v_perm_b32 v24, v11, v9, s6
	v_or_b32_e32 v9, v21, v22
	v_accvgpr_read_b32 v0, a0
	v_perm_b32 v25, v15, v13, s6
	v_lshlrev_b32_e32 v9, 1, v9
	v_accvgpr_read_b32 v1, a1
	v_accvgpr_read_b32 v2, a2
	;; [unrolled: 1-line block ×3, first 2 shown]
	ds_write_b64 v9, v[24:25] offset:24576
	v_mov_b32_e32 v11, 0
	v_mov_b32_e32 v9, 0
	s_and_saveexec_b64 s[6:7], vcc
	s_cbranch_execz .LBB127_92
; %bb.91:
	v_mov_b32_e32 v9, 0
	v_lshl_add_u64 v[22:23], v[6:7], 0, v[8:9]
	global_load_ushort v13, v[22:23], off offset:96
	v_lshl_add_u64 v[8:9], v[4:5], 0, v[8:9]
	s_waitcnt vmcnt(0)
	v_lshlrev_b32_e32 v13, 16, v13
	v_sub_f32_e32 v0, v13, v0
	global_store_short_d16_hi v[8:9], v0, off offset:96
	v_mul_f32_e32 v0, v18, v0
	v_lshrrev_b32_e32 v9, 16, v0
.LBB127_92:
	s_or_b64 exec, exec, s[6:7]
	s_and_saveexec_b64 s[6:7], s[0:1]
	s_cbranch_execz .LBB127_94
; %bb.93:
	v_mov_b32_e32 v11, 0
	v_lshl_add_u64 v[22:23], v[6:7], 0, v[10:11]
	global_load_ushort v0, v[22:23], off offset:96
	v_lshl_add_u64 v[10:11], v[4:5], 0, v[10:11]
	s_waitcnt vmcnt(0)
	v_lshlrev_b32_e32 v0, 16, v0
	v_sub_f32_e32 v0, v0, v1
	global_store_short_d16_hi v[10:11], v0, off offset:96
	v_mul_f32_e32 v0, v16, v0
	v_lshrrev_b32_e32 v11, 16, v0
.LBB127_94:
	s_or_b64 exec, exec, s[6:7]
	v_mov_b32_e32 v0, 0
	v_mov_b32_e32 v1, 0
	s_and_saveexec_b64 s[0:1], s[2:3]
	s_cbranch_execz .LBB127_96
; %bb.95:
	v_mov_b32_e32 v13, 0
	v_lshl_add_u64 v[22:23], v[6:7], 0, v[12:13]
	global_load_ushort v1, v[22:23], off offset:96
	v_lshl_add_u64 v[12:13], v[4:5], 0, v[12:13]
	s_waitcnt vmcnt(0)
	v_lshlrev_b32_e32 v1, 16, v1
	v_sub_f32_e32 v1, v1, v2
	global_store_short_d16_hi v[12:13], v1, off offset:96
	v_mul_f32_e32 v1, v20, v1
	v_lshrrev_b32_e32 v1, 16, v1
.LBB127_96:
	s_or_b64 exec, exec, s[0:1]
	s_and_saveexec_b64 s[0:1], s[4:5]
	s_cbranch_execz .LBB127_98
; %bb.97:
	v_mov_b32_e32 v15, 0
	v_lshl_add_u64 v[6:7], v[6:7], 0, v[14:15]
	global_load_ushort v0, v[6:7], off offset:96
	v_lshl_add_u64 v[4:5], v[4:5], 0, v[14:15]
	s_waitcnt vmcnt(0)
	v_lshlrev_b32_e32 v0, 16, v0
	v_sub_f32_e32 v0, v0, v3
	global_store_short_d16_hi v[4:5], v0, off offset:96
	v_mul_f32_e32 v0, v17, v0
	v_lshrrev_b32_e32 v0, 16, v0
.LBB127_98:
	s_or_b64 exec, exec, s[0:1]
	s_mov_b32 s0, 0x5040100
	v_or_b32_e32 v2, v21, v19
	v_perm_b32 v1, v0, v1, s0
	v_perm_b32 v0, v11, v9, s0
	v_lshlrev_b32_e32 v2, 1, v2
	ds_write_b64 v2, v[0:1] offset:24576
	s_waitcnt lgkmcnt(0)
	s_barrier
.LBB127_99:
	s_endpgm
	.section	.rodata,"a",@progbits
	.p2align	6, 0x0
	.amdhsa_kernel _ZN12_GLOBAL__N_139chunk_gated_delta_rule_fwd_h_hip_kernelILi64ELb0ELb0ELb1ELb0ELb0ELb0ELb0ELb1EEEvPK12hip_bfloat16S3_S3_PKfS5_PKvPS1_S8_PvPKiSB_iiiiilll
		.amdhsa_group_segment_fixed_size 65536
		.amdhsa_private_segment_fixed_size 0
		.amdhsa_kernarg_size 136
		.amdhsa_user_sgpr_count 2
		.amdhsa_user_sgpr_dispatch_ptr 0
		.amdhsa_user_sgpr_queue_ptr 0
		.amdhsa_user_sgpr_kernarg_segment_ptr 1
		.amdhsa_user_sgpr_dispatch_id 0
		.amdhsa_user_sgpr_kernarg_preload_length 0
		.amdhsa_user_sgpr_kernarg_preload_offset 0
		.amdhsa_user_sgpr_private_segment_size 0
		.amdhsa_uses_dynamic_stack 0
		.amdhsa_enable_private_segment 0
		.amdhsa_system_sgpr_workgroup_id_x 1
		.amdhsa_system_sgpr_workgroup_id_y 1
		.amdhsa_system_sgpr_workgroup_id_z 0
		.amdhsa_system_sgpr_workgroup_info 0
		.amdhsa_system_vgpr_workitem_id 0
		.amdhsa_next_free_vgpr 216
		.amdhsa_next_free_sgpr 65
		.amdhsa_accum_offset 180
		.amdhsa_reserve_vcc 1
		.amdhsa_float_round_mode_32 0
		.amdhsa_float_round_mode_16_64 0
		.amdhsa_float_denorm_mode_32 3
		.amdhsa_float_denorm_mode_16_64 3
		.amdhsa_dx10_clamp 1
		.amdhsa_ieee_mode 1
		.amdhsa_fp16_overflow 0
		.amdhsa_tg_split 0
		.amdhsa_exception_fp_ieee_invalid_op 0
		.amdhsa_exception_fp_denorm_src 0
		.amdhsa_exception_fp_ieee_div_zero 0
		.amdhsa_exception_fp_ieee_overflow 0
		.amdhsa_exception_fp_ieee_underflow 0
		.amdhsa_exception_fp_ieee_inexact 0
		.amdhsa_exception_int_div_zero 0
	.end_amdhsa_kernel
	.section	.text._ZN12_GLOBAL__N_139chunk_gated_delta_rule_fwd_h_hip_kernelILi64ELb0ELb0ELb1ELb0ELb0ELb0ELb0ELb1EEEvPK12hip_bfloat16S3_S3_PKfS5_PKvPS1_S8_PvPKiSB_iiiiilll,"axG",@progbits,_ZN12_GLOBAL__N_139chunk_gated_delta_rule_fwd_h_hip_kernelILi64ELb0ELb0ELb1ELb0ELb0ELb0ELb0ELb1EEEvPK12hip_bfloat16S3_S3_PKfS5_PKvPS1_S8_PvPKiSB_iiiiilll,comdat
.Lfunc_end127:
	.size	_ZN12_GLOBAL__N_139chunk_gated_delta_rule_fwd_h_hip_kernelILi64ELb0ELb0ELb1ELb0ELb0ELb0ELb0ELb1EEEvPK12hip_bfloat16S3_S3_PKfS5_PKvPS1_S8_PvPKiSB_iiiiilll, .Lfunc_end127-_ZN12_GLOBAL__N_139chunk_gated_delta_rule_fwd_h_hip_kernelILi64ELb0ELb0ELb1ELb0ELb0ELb0ELb0ELb1EEEvPK12hip_bfloat16S3_S3_PKfS5_PKvPS1_S8_PvPKiSB_iiiiilll
                                        ; -- End function
	.section	.AMDGPU.csdata,"",@progbits
; Kernel info:
; codeLenInByte = 11328
; NumSgprs: 71
; NumVgprs: 180
; NumAgprs: 36
; TotalNumVgprs: 216
; ScratchSize: 0
; MemoryBound: 0
; FloatMode: 240
; IeeeMode: 1
; LDSByteSize: 65536 bytes/workgroup (compile time only)
; SGPRBlocks: 8
; VGPRBlocks: 26
; NumSGPRsForWavesPerEU: 71
; NumVGPRsForWavesPerEU: 216
; AccumOffset: 180
; Occupancy: 1
; WaveLimiterHint : 1
; COMPUTE_PGM_RSRC2:SCRATCH_EN: 0
; COMPUTE_PGM_RSRC2:USER_SGPR: 2
; COMPUTE_PGM_RSRC2:TRAP_HANDLER: 0
; COMPUTE_PGM_RSRC2:TGID_X_EN: 1
; COMPUTE_PGM_RSRC2:TGID_Y_EN: 1
; COMPUTE_PGM_RSRC2:TGID_Z_EN: 0
; COMPUTE_PGM_RSRC2:TIDIG_COMP_CNT: 0
; COMPUTE_PGM_RSRC3_GFX90A:ACCUM_OFFSET: 44
; COMPUTE_PGM_RSRC3_GFX90A:TG_SPLIT: 0
	.section	.text._ZN12_GLOBAL__N_139chunk_gated_delta_rule_fwd_h_hip_kernelILi64ELb0ELb0ELb0ELb0ELb0ELb0ELb0ELb1EEEvPK12hip_bfloat16S3_S3_PKfS5_PKvPS1_S8_PvPKiSB_iiiiilll,"axG",@progbits,_ZN12_GLOBAL__N_139chunk_gated_delta_rule_fwd_h_hip_kernelILi64ELb0ELb0ELb0ELb0ELb0ELb0ELb0ELb1EEEvPK12hip_bfloat16S3_S3_PKfS5_PKvPS1_S8_PvPKiSB_iiiiilll,comdat
	.globl	_ZN12_GLOBAL__N_139chunk_gated_delta_rule_fwd_h_hip_kernelILi64ELb0ELb0ELb0ELb0ELb0ELb0ELb0ELb1EEEvPK12hip_bfloat16S3_S3_PKfS5_PKvPS1_S8_PvPKiSB_iiiiilll ; -- Begin function _ZN12_GLOBAL__N_139chunk_gated_delta_rule_fwd_h_hip_kernelILi64ELb0ELb0ELb0ELb0ELb0ELb0ELb0ELb1EEEvPK12hip_bfloat16S3_S3_PKfS5_PKvPS1_S8_PvPKiSB_iiiiilll
	.p2align	8
	.type	_ZN12_GLOBAL__N_139chunk_gated_delta_rule_fwd_h_hip_kernelILi64ELb0ELb0ELb0ELb0ELb0ELb0ELb0ELb1EEEvPK12hip_bfloat16S3_S3_PKfS5_PKvPS1_S8_PvPKiSB_iiiiilll,@function
_ZN12_GLOBAL__N_139chunk_gated_delta_rule_fwd_h_hip_kernelILi64ELb0ELb0ELb0ELb0ELb0ELb0ELb0ELb1EEEvPK12hip_bfloat16S3_S3_PKfS5_PKvPS1_S8_PvPKiSB_iiiiilll: ; @_ZN12_GLOBAL__N_139chunk_gated_delta_rule_fwd_h_hip_kernelILi64ELb0ELb0ELb0ELb0ELb0ELb0ELb0ELb1EEEvPK12hip_bfloat16S3_S3_PKfS5_PKvPS1_S8_PvPKiSB_iiiiilll
; %bb.0:
	s_load_dwordx4 s[12:15], s[0:1], 0x5c
	s_load_dwordx2 s[36:37], s[0:1], 0x30
	s_abs_i32 s18, s3
	s_ashr_i32 s17, s3, 31
	s_load_dwordx8 s[4:11], s[0:1], 0x0
	s_waitcnt lgkmcnt(0)
	s_abs_i32 s16, s13
	v_cvt_f32_u32_e32 v1, s16
	s_sub_i32 s20, 0, s16
	s_ashr_i32 s19, s13, 31
	s_xor_b32 s17, s17, s19
	v_rcp_iflag_f32_e32 v1, v1
	v_lshrrev_b32_e32 v74, 6, v0
	v_bfe_u32 v75, v0, 4, 2
	v_lshlrev_b32_e32 v2, 2, v75
	v_mul_f32_e32 v1, 0x4f7ffffe, v1
	v_cvt_u32_f32_e32 v1, v1
	v_and_b32_e32 v73, 63, v0
	v_mov_b32_e32 v35, 0
	v_and_b32_e32 v72, 15, v0
	v_readfirstlane_b32 s21, v1
	s_mul_i32 s20, s20, s21
	s_mul_hi_u32 s20, s21, s20
	s_add_i32 s21, s21, s20
	s_mul_hi_u32 s20, s18, s21
	s_mul_i32 s21, s20, s16
	s_sub_i32 s18, s18, s21
	s_add_i32 s22, s20, 1
	s_sub_i32 s21, s18, s16
	s_cmp_ge_u32 s18, s16
	s_cselect_b32 s20, s22, s20
	s_cselect_b32 s18, s21, s18
	s_add_i32 s21, s20, 1
	s_cmp_ge_u32 s18, s16
	s_cselect_b32 s18, s21, s20
	s_xor_b32 s18, s18, s17
	s_sub_i32 s45, s18, s17
	s_abs_i32 s17, s14
	v_cvt_f32_u32_e32 v1, s17
	s_add_i32 s20, s12, 63
	s_mul_i32 s43, s45, s13
	s_sub_i32 s33, s3, s43
	v_rcp_iflag_f32_e32 v1, v1
	s_ashr_i32 s3, s20, 31
	s_ashr_i32 s44, s12, 31
	s_lshr_b32 s3, s3, 26
	v_mul_f32_e32 v1, 0x4f7ffffe, v1
	v_cvt_u32_f32_e32 v1, v1
	s_lshr_b32 s18, s44, 26
	s_add_i32 s20, s20, s3
	s_add_i32 s18, s12, s18
	s_ashr_i32 s47, s14, 31
	s_ashr_i32 s3, s20, 6
	;; [unrolled: 1-line block ×3, first 2 shown]
	s_xor_b32 s18, s19, s47
	s_sub_i32 s19, 0, s17
	v_readfirstlane_b32 s20, v1
	s_mul_i32 s19, s19, s20
	s_mul_hi_u32 s19, s20, s19
	s_add_i32 s20, s20, s19
	s_mul_hi_u32 s19, s16, s20
	s_mul_i32 s20, s19, s17
	s_sub_i32 s16, s16, s20
	s_add_i32 s20, s19, 1
	s_sub_i32 s21, s16, s17
	s_cmp_ge_u32 s16, s17
	s_cselect_b32 s19, s20, s19
	s_cselect_b32 s16, s21, s16
	s_add_i32 s20, s19, 1
	s_cmp_ge_u32 s16, s17
	s_cselect_b32 s16, s20, s19
	s_xor_b32 s16, s16, s18
	s_sub_i32 s20, s16, s18
	s_abs_i32 s21, s20
	v_cvt_f32_u32_e32 v1, s21
	s_load_dwordx2 s[28:29], s[0:1], 0x80
	s_load_dwordx4 s[16:19], s[0:1], 0x70
	s_xor_b32 s0, s33, s20
	s_sub_i32 s20, 0, s21
	v_rcp_iflag_f32_e32 v1, v1
	s_abs_i32 s1, s33
	s_ashr_i32 s0, s0, 31
	s_mul_i32 s48, s45, s3
	v_mul_f32_e32 v1, 0x4f7ffffe, v1
	v_cvt_u32_f32_e32 v1, v1
	s_mul_hi_i32 s49, s45, s13
	v_lshrrev_b32_e32 v77, 3, v73
	v_lshlrev_b32_e32 v76, 3, v0
	v_readfirstlane_b32 s22, v1
	s_mul_i32 s20, s20, s22
	s_mul_hi_u32 s20, s22, s20
	s_add_i32 s22, s22, s20
	s_mul_hi_u32 s20, s1, s22
	s_mul_i32 s22, s20, s21
	s_sub_i32 s1, s1, s22
	s_add_i32 s22, s20, 1
	s_sub_i32 s23, s1, s21
	s_cmp_ge_u32 s1, s21
	s_cselect_b32 s20, s22, s20
	s_cselect_b32 s1, s23, s1
	s_add_i32 s22, s20, 1
	s_cmp_ge_u32 s1, s21
	s_cselect_b32 s1, s22, s20
	s_xor_b32 s1, s1, s0
	v_lshlrev_b32_e32 v1, 4, v74
	s_sub_i32 s50, s1, s0
	v_or_b32_e32 v78, v2, v1
	s_lshl_b32 s30, s2, 6
	v_or_b32_e32 v79, 64, v78
	s_cmp_lt_i32 s12, 64
	s_waitcnt lgkmcnt(0)
	s_mul_i32 s17, s45, s17
	s_mul_hi_u32 s42, s45, s16
	s_mul_i32 s34, s45, s16
	v_mov_b32_e32 v34, v35
	v_mov_b32_e32 v41, v35
	;; [unrolled: 1-line block ×31, first 2 shown]
	s_cbranch_scc1 .LBB128_18
; %bb.1:
	s_ashr_i32 s24, s45, 31
	s_ashr_i32 s52, s33, 31
	s_add_u32 s0, s43, s33
	s_addc_u32 s1, s49, s52
	s_mul_i32 s1, s12, s1
	s_mul_hi_u32 s2, s12, s0
	s_add_i32 s3, s2, s1
	s_mul_i32 s2, s12, s0
	s_lshl_b64 s[0:1], s[2:3], 8
	v_and_b32_e32 v81, 56, v76
	s_add_u32 s20, s6, s0
	v_lshl_or_b32 v80, v74, 3, v77
	v_lshlrev_b32_e32 v3, 1, v81
	s_addc_u32 s0, s7, s1
	v_lshl_or_b32 v82, v80, 8, v3
	s_and_b32 s21, s0, 0xffff
	s_mov_b32 s23, 0x20000
	s_movk_i32 s22, 0x4000
	s_movk_i32 s0, 0x80
	v_or_b32_e32 v83, 0x2000, v82
	buffer_load_dwordx4 v[4:7], v82, s[20:23], 0 offen
	buffer_load_dwordx4 v[8:11], v82, s[20:23], s0 offen
	;; [unrolled: 1-line block ×4, first 2 shown]
	v_lshlrev_b32_e32 v20, 3, v80
	v_and_or_b32 v22, v0, 7, v20
	v_and_b32_e32 v20, 0x78, v20
	v_lshlrev_b32_e32 v22, 4, v22
	v_xor_b32_e32 v84, v22, v20
	v_mul_lo_u32 v21, v80, s15
	v_or_b32_e32 v85, 0x1000, v84
	s_cmpk_eq_i32 s15, 0x80
	s_mov_b32 s51, s14
	v_xor_b32_e32 v20, 8, v84
	v_xor_b32_e32 v22, 8, v85
	s_cselect_b64 s[0:1], -1, 0
	s_cmpk_lg_i32 s15, 0x80
	s_waitcnt vmcnt(3)
	ds_write_b64 v84, v[4:5] offset:49152
	ds_write_b64 v20, v[6:7] offset:49152
	s_waitcnt vmcnt(2)
	ds_write_b64 v84, v[8:9] offset:57344
	ds_write_b64 v20, v[10:11] offset:57344
	;; [unrolled: 3-line block ×4, first 2 shown]
	v_lshl_add_u32 v4, v21, 1, v81
	s_cbranch_scc0 .LBB128_3
; %bb.2:
	v_lshlrev_b32_e32 v6, 1, v4
	v_add_lshl_u32 v5, v4, s15, 1
	s_lshl_b32 s22, s15, 7
	v_lshl_or_b32 v3, v80, 9, v3
	s_cbranch_execz .LBB128_4
	s_branch .LBB128_5
.LBB128_3:
                                        ; implicit-def: $vgpr5
                                        ; implicit-def: $vgpr6
                                        ; implicit-def: $sgpr22
	v_lshl_or_b32 v3, v80, 9, v3
.LBB128_4:
	v_or_b32_e32 v5, 0x100, v3
	s_movk_i32 s22, 0x4000
	v_mov_b32_e32 v6, v3
.LBB128_5:
	s_mul_hi_u32 s20, s14, s12
	s_mul_i32 s21, s47, s12
	s_add_i32 s20, s20, s21
	s_mul_i32 s21, s14, s12
	s_mul_i32 s23, s21, s24
	s_mul_hi_u32 s25, s21, s45
	s_add_i32 s23, s25, s23
	s_mul_i32 s20, s20, s45
	s_add_i32 s23, s23, s20
	s_mul_i32 s21, s21, s45
	s_ashr_i32 s53, s50, 31
	s_add_u32 s20, s21, s50
	s_addc_u32 s21, s23, s53
	s_lshl_b64 s[20:21], s[20:21], 8
	s_add_u32 s20, s4, s20
	s_addc_u32 s21, s5, s21
	s_and_b32 s21, s21, 0xffff
	s_mov_b32 s23, 0x20000
	s_movk_i32 s54, 0x80
	buffer_load_dwordx4 v[8:11], v6, s[20:23], 0 offen
	buffer_load_dwordx4 v[12:15], v6, s[20:23], s54 offen
	;; [unrolled: 1-line block ×4, first 2 shown]
	v_and_b32_e32 v5, 6, v0
	v_lshlrev_b32_e32 v6, 7, v78
	v_xor_b32_e32 v27, v80, v5
	v_and_b32_e32 v7, 1, v0
	v_lshl_or_b32 v30, v72, 3, v6
	v_lshlrev_b32_e32 v27, 2, v27
	v_or_b32_e32 v86, 0x4000, v30
	v_or_b32_e32 v87, 0x6000, v30
	v_xor_b32_e32 v30, 0x440, v27
	v_cmp_eq_u32_e32 vcc, 0, v7
	v_lshlrev_b32_e32 v24, 2, v72
	s_mov_b32 s56, 0x1000504
	v_cndmask_b32_e32 v7, v30, v27, vcc
	v_xor_b32_e32 v28, v78, v24
	v_xor_b32_e32 v29, v79, v24
	v_lshl_or_b32 v5, v5, 10, v7
	s_mov_b32 s57, 0x3020706
	s_mul_i32 s20, s24, s12
	s_mul_hi_u32 s21, s45, s12
	v_lshlrev_b32_e32 v25, 8, v72
	v_or_b32_e32 v26, 16, v72
	v_lshlrev_b32_e32 v28, 1, v28
	v_lshlrev_b32_e32 v29, 1, v29
	v_xor_b32_e32 v7, 8, v5
	v_xor_b32_e32 v27, 24, v5
	v_xor_b32_e32 v32, 40, v5
	v_xor_b32_e32 v34, 56, v5
	v_or_b32_e32 v89, v25, v28
	v_or_b32_e32 v90, v25, v29
	v_xor_b32_e32 v25, 16, v5
	v_xor_b32_e32 v30, 32, v5
	;; [unrolled: 1-line block ×3, first 2 shown]
	v_add_u32_e32 v7, 0x80, v7
	v_add_u32_e32 v27, 0x80, v27
	v_add_u32_e32 v32, 0x80, v32
	v_add_u32_e32 v34, 0x80, v34
	s_add_i32 s59, s21, s20
	s_add_i32 s20, s42, s17
	s_mul_i32 s24, s24, s16
	s_add_i32 s35, s20, s24
	s_mul_i32 s20, s33, s19
	s_mul_hi_u32 s21, s33, s18
	s_add_i32 s20, s21, s20
	s_mul_i32 s21, s52, s18
	s_add_i32 s21, s20, s21
	s_lshl_b64 s[24:25], s[34:35], 2
	s_mul_i32 s20, s33, s18
	s_add_u32 s24, s10, s24
	s_addc_u32 s25, s11, s25
	s_lshl_b64 s[20:21], s[20:21], 2
	s_add_u32 s38, s24, s20
	s_movk_i32 s20, 0xf8
	s_addc_u32 s39, s25, s21
	s_ashr_i32 s31, s30, 31
	s_lshl_b32 s26, s15, 7
	s_movk_i32 s24, 0x100
	v_mov_b32_e32 v67, 0
	v_lshlrev_b32_e32 v66, 4, v72
	v_cmp_gt_u32_e32 vcc, s24, v0
	v_lshl_or_b32 v31, v26, 3, v6
	s_mov_b32 s55, 0
	s_mul_i32 s58, s45, s12
	v_or_b32_e32 v88, 0x4000, v31
	s_movk_i32 s22, 0x4000
	v_or_b32_e32 v91, 0x6000, v31
	v_add_u32_e32 v126, v1, v2
	s_movk_i32 s35, 0x2000
	s_movk_i32 s60, 0x3000
	v_mov_b32_e32 v131, 0x3fb8aa3b
	s_mov_b32 s62, 0
	v_mov_b32_e32 v58, v67
	v_mov_b32_e32 v59, v67
	;; [unrolled: 1-line block ×8, first 2 shown]
	s_waitcnt vmcnt(1)
	v_perm_b32 v35, v8, v16, s56
	s_waitcnt vmcnt(0)
	v_perm_b32 v36, v12, v20, s56
	v_perm_b32 v8, v8, v16, s57
	;; [unrolled: 1-line block ×15, first 2 shown]
	ds_write2st64_b32 v5, v35, v36 offset0:128 offset1:160
	ds_write2st64_b32 v7, v8, v12 offset0:128 offset1:160
	ds_write2st64_b32 v25, v16, v20 offset0:129 offset1:161
	ds_write2st64_b32 v27, v9, v13 offset0:129 offset1:161
	ds_write2st64_b32 v30, v17, v21 offset0:130 offset1:162
	ds_write2st64_b32 v32, v10, v14 offset0:130 offset1:162
	ds_write2st64_b32 v33, v18, v22 offset0:131 offset1:163
	ds_write2st64_b32 v34, v11, v15 offset0:131 offset1:163
	v_lshlrev_b32_e32 v5, 8, v26
	v_or_b32_e32 v92, v5, v28
	v_or_b32_e32 v93, v5, v29
	;; [unrolled: 1-line block ×3, first 2 shown]
	v_lshl_or_b32 v7, v5, 3, v6
	v_lshlrev_b32_e32 v5, 8, v5
	v_or_b32_e32 v96, v5, v28
	v_or_b32_e32 v97, v5, v29
	;; [unrolled: 1-line block ×5, first 2 shown]
	v_lshl_or_b32 v7, v5, 3, v6
	v_lshlrev_b32_e32 v5, 8, v5
	v_or_b32_e32 v100, v5, v28
	v_or_b32_e32 v101, v5, v29
	;; [unrolled: 1-line block ×3, first 2 shown]
	v_lshlrev_b32_e32 v5, 3, v5
	v_lshrrev_b32_e32 v9, 5, v73
	v_and_or_b32 v9, v5, s20, v9
	v_lshlrev_b32_e32 v9, 4, v9
	v_or_b32_e32 v98, 0x4000, v7
	v_or_b32_e32 v99, 0x6000, v7
	v_lshlrev_b32_e32 v7, 11, v74
	v_and_b32_e32 v5, 0x78, v5
	v_or_b32_e32 v14, 32, v9
	v_and_b32_e32 v8, 0x1000, v7
	v_xor_b32_e32 v10, v9, v5
	v_lshrrev_b32_e32 v11, 1, v0
	v_xor_b32_e32 v14, v14, v5
	v_or_b32_e32 v10, v10, v8
	v_and_b32_e32 v12, 8, v11
	v_or_b32_e32 v14, v14, v8
	v_xor_b32_e32 v102, v10, v12
	v_lshlrev_b32_e32 v10, 8, v75
	v_xor_b32_e32 v104, v14, v12
	v_or_b32_e32 v14, 64, v9
	v_or_b32_e32 v9, 0x60, v9
	;; [unrolled: 1-line block ×3, first 2 shown]
	v_xor_b32_e32 v14, v14, v5
	v_xor_b32_e32 v5, v9, v5
	v_lshlrev_b32_e32 v13, 1, v13
	v_or_b32_e32 v14, v14, v8
	v_or_b32_e32 v5, v5, v8
	s_lshl_b64 s[20:21], s[30:31], 8
	v_or_b32_e32 v103, 0x4000, v13
	v_or_b32_e32 v105, 0x4080, v13
	;; [unrolled: 1-line block ×4, first 2 shown]
	v_xor_b32_e32 v108, v14, v12
	v_xor_b32_e32 v109, v5, v12
	v_or_b32_e32 v110, 0x6000, v13
	v_or_b32_e32 v111, 0x6080, v13
	;; [unrolled: 1-line block ×4, first 2 shown]
	v_lshlrev_b32_e32 v12, 1, v4
	v_add_lshl_u32 v13, v4, s15, 1
	s_add_u32 s20, s36, s20
	v_lshlrev_b32_e32 v4, 1, v72
	v_lshrrev_b32_e32 v15, 4, v0
	s_addc_u32 s21, s37, s21
	v_or_b32_e32 v5, 1, v4
	v_mov_b32_e32 v19, 0xa000
	v_mov_b32_e32 v20, 0x8000
	v_xor_b32_e32 v16, v15, v4
	v_xor_b32_e32 v17, v5, v15
	v_lshl_add_u64 v[4:5], s[20:21], 0, v[66:67]
	v_lshlrev_b32_e32 v66, 8, v15
	v_cndmask_b32_e32 v19, v19, v20, vcc
	v_lshlrev_b32_e32 v20, 3, v74
	v_and_b32_e32 v11, 24, v11
	v_lshl_or_b32 v114, v16, 3, v66
	v_and_b32_e32 v16, 8, v0
	v_xor_b32_e32 v21, v20, v11
	v_or_b32_e32 v22, 0x440, v21
	v_cmp_eq_u32_e32 vcc, 0, v16
	v_and_b32_e32 v15, 7, v0
	v_lshl_or_b32 v115, v17, 3, v66
	v_cndmask_b32_e32 v16, v22, v21, vcc
	v_lshlrev_b32_e32 v17, 3, v15
	v_lshlrev_b32_e32 v15, 7, v15
	v_or_b32_e32 v16, v16, v7
	v_lshlrev_b32_e32 v18, 2, v0
	v_xad_u32 v116, v16, v17, v15
	v_or_b32_e32 v16, 32, v11
	v_and_or_b32 v10, v18, 60, v10
	v_xor_b32_e32 v16, v20, v16
	v_lshlrev_b32_e32 v10, 1, v10
	v_or_b32_e32 v18, 0x440, v16
	v_or_b32_e32 v117, 0x6000, v10
	v_cndmask_b32_e32 v16, v18, v16, vcc
	v_or_b32_e32 v119, 0x6080, v10
	v_or_b32_e32 v120, 0x6100, v10
	;; [unrolled: 1-line block ×5, first 2 shown]
	v_xor_b32_e32 v10, v20, v10
	v_xad_u32 v118, v16, v17, v15
	v_xor_b32_e32 v16, 0x440, v10
	v_cndmask_b32_e32 v10, v16, v10, vcc
	v_or_b32_e32 v10, v10, v7
	v_xad_u32 v122, v10, v17, v15
	v_or_b32_e32 v10, 0x60, v11
	v_xor_b32_e32 v10, v20, v10
	v_xor_b32_e32 v11, 0x440, v10
	v_cndmask_b32_e32 v10, v11, v10, vcc
	v_or_b32_e32 v8, s30, v72
	v_or_b32_e32 v7, v10, v7
	v_ashrrev_i32_e32 v9, 31, v8
	v_or_b32_e32 v14, 0x100, v3
	v_xad_u32 v123, v7, v17, v15
	v_cndmask_b32_e64 v124, v12, v3, s[0:1]
	v_cndmask_b32_e64 v125, v13, v14, s[0:1]
	v_lshl_add_u64 v[68:69], v[8:9], 1, s[8:9]
	v_lshl_add_u64 v[70:71], v[4:5], 0, v[66:67]
	s_mov_b32 s31, 0x7060302
	v_lshlrev_b32_e32 v66, 1, v6
	v_add_u32_e32 v127, v19, v116
	v_add_u32_e32 v128, v19, v118
	v_add_u32_e32 v129, v19, v122
	v_add_u32_e32 v130, v19, v123
	v_mov_b32_e32 v50, v67
	v_mov_b32_e32 v51, v67
	;; [unrolled: 1-line block ×24, first 2 shown]
	s_waitcnt lgkmcnt(0)
	s_barrier
.LBB128_6:                              ; =>This Inner Loop Header: Depth=1
	s_add_i32 s61, s62, 1
	s_cmp_lt_i32 s61, s46
	s_mov_b64 s[24:25], 0
	s_cselect_b64 s[40:41], -1, 0
	s_cmp_ge_i32 s61, s46
	s_mov_b64 s[20:21], 0
	s_cbranch_scc1 .LBB128_8
; %bb.7:                                ;   in Loop: Header=BB128_6 Depth=1
	s_add_i32 s0, s55, 64
	s_add_u32 s0, s2, s0
	s_addc_u32 s1, s3, 0
	s_lshl_b64 s[0:1], s[0:1], 8
	s_add_u32 s20, s6, s0
	s_addc_u32 s21, s7, s1
.LBB128_8:                              ;   in Loop: Header=BB128_6 Depth=1
	v_cndmask_b32_e64 v2, 0, 1, s[40:41]
	v_cmp_ne_u32_e64 s[0:1], 1, v2
	s_andn2_b64 vcc, exec, s[40:41]
	s_cbranch_vccnz .LBB128_10
; %bb.9:                                ;   in Loop: Header=BB128_6 Depth=1
	s_add_i32 s24, s55, 64
	s_add_u32 s24, s58, s24
	s_addc_u32 s25, s59, 0
	s_mul_i32 s27, s24, s47
	s_mul_hi_u32 s40, s24, s51
	s_add_i32 s27, s40, s27
	s_mul_i32 s25, s25, s51
	s_add_i32 s27, s27, s25
	s_mul_i32 s24, s24, s51
	s_add_u32 s24, s24, s50
	s_addc_u32 s25, s27, s53
	s_lshl_b64 s[24:25], s[24:25], 8
	s_add_u32 s24, s4, s24
	s_addc_u32 s25, s5, s25
.LBB128_10:                             ;   in Loop: Header=BB128_6 Depth=1
	v_perm_b32 v3, v65, v64, s31
	v_perm_b32 v2, v63, v62, s31
	v_perm_b32 v5, v61, v60, s31
	v_perm_b32 v4, v59, v58, s31
	ds_write_b64 v86, v[2:3]
	ds_write_b64 v87, v[4:5]
	ds_write_b64 v89, v[2:3]
	ds_write_b64 v90, v[4:5]
	v_perm_b32 v3, v57, v56, s31
	v_perm_b32 v2, v55, v54, s31
	v_perm_b32 v5, v53, v52, s31
	v_perm_b32 v4, v51, v50, s31
	ds_write_b64 v88, v[2:3]
	ds_write_b64 v91, v[4:5]
	ds_write_b64 v92, v[2:3]
	ds_write_b64 v93, v[4:5]
	;; [unrolled: 8-line block ×4, first 2 shown]
	s_waitcnt lgkmcnt(0)
	s_barrier
	ds_read_b64 v[6:7], v102 offset:49152
	ds_read2_b64 v[2:5], v103 offset1:16
	ds_read_b64 v[18:19], v105 offset:6144
	ds_read_b64 v[20:21], v103 offset:6144
	s_waitcnt lgkmcnt(2)
	v_mfma_f32_16x16x16_bf16 a[0:3], v[6:7], v[2:3], 0
	ds_read_b64 v[22:23], v104 offset:49152
	ds_read2st64_b64 v[10:13], v106 offset0:4 offset1:8
	ds_read2st64_b64 v[14:17], v107 offset0:4 offset1:8
	v_mfma_f32_16x16x16_bf16 a[4:7], v[6:7], v[4:5], 0
	ds_read2_b64 v[2:5], v103 offset0:32 offset1:48
	s_add_i32 s27, s55, 63
	s_mul_i32 s40, s27, s29
	s_waitcnt lgkmcnt(0)
	v_mfma_f32_16x16x16_bf16 a[8:11], v[6:7], v[2:3], 0
	s_mul_hi_u32 s41, s27, s28
	s_add_i32 s41, s41, s40
	s_mul_i32 s40, s27, s28
	v_mfma_f32_16x16x16_bf16 a[12:15], v[6:7], v[4:5], 0
	ds_read2st64_b64 v[2:5], v103 offset0:4 offset1:8
	ds_read2st64_b64 v[6:9], v105 offset0:4 offset1:8
	s_lshl_b64 s[40:41], s[40:41], 2
	s_waitcnt lgkmcnt(1)
	v_mfma_f32_16x16x16_bf16 a[0:3], v[22:23], v[2:3], a[0:3]
	s_add_u32 s40, s38, s40
	s_addc_u32 s41, s39, s41
	s_and_b64 vcc, exec, s[0:1]
	s_waitcnt lgkmcnt(0)
	v_mfma_f32_16x16x16_bf16 a[4:7], v[22:23], v[6:7], a[4:7]
	v_mov_b32_e32 v134, 0
	v_mov_b32_e32 v133, 0
	;; [unrolled: 1-line block ×3, first 2 shown]
	v_mfma_f32_16x16x16_bf16 a[8:11], v[22:23], v[10:11], a[8:11]
	ds_read_b64 v[2:3], v108 offset:49152
	ds_read_b64 v[6:7], v109 offset:49152
	;; [unrolled: 1-line block ×3, first 2 shown]
	v_mfma_f32_16x16x16_bf16 a[12:15], v[22:23], v[14:15], a[12:15]
	v_mov_b32_e32 v14, 0
	v_mov_b32_e32 v15, 0
	s_waitcnt lgkmcnt(2)
	v_mfma_f32_16x16x16_bf16 a[0:3], v[2:3], v[4:5], a[0:3]
	v_mov_b32_e32 v4, 0
	v_mov_b32_e32 v5, 0
	v_mfma_f32_16x16x16_bf16 a[16:19], v[2:3], v[8:9], a[4:7]
	v_mov_b32_e32 v8, 0
	v_mov_b32_e32 v9, 0
	;; [unrolled: 3-line block ×3, first 2 shown]
	v_mfma_f32_16x16x16_bf16 a[24:27], v[2:3], v[16:17], a[12:15]
	ds_read_b64 v[2:3], v106 offset:6144
	v_mov_b32_e32 v16, 0
	v_mov_b32_e32 v17, 0
	s_waitcnt lgkmcnt(2)
	v_mfma_f32_16x16x16_bf16 a[4:7], v[6:7], v[20:21], a[0:3]
	v_mfma_f32_16x16x16_bf16 a[8:11], v[6:7], v[18:19], a[16:19]
	s_waitcnt lgkmcnt(0)
	v_mfma_f32_16x16x16_bf16 a[12:15], v[6:7], v[2:3], a[20:23]
	v_mov_b32_e32 v2, 0
	v_mov_b32_e32 v3, 0
	v_mfma_f32_16x16x16_bf16 a[0:3], v[6:7], v[10:11], a[24:27]
	v_mov_b32_e32 v6, 0
	v_mov_b32_e32 v7, 0
	;; [unrolled: 1-line block ×4, first 2 shown]
	s_cbranch_vccnz .LBB128_12
; %bb.11:                               ;   in Loop: Header=BB128_6 Depth=1
	s_and_b32 s21, s21, 0xffff
	buffer_load_dwordx4 v[14:17], v82, s[20:23], 0 offen
	buffer_load_dwordx4 v[10:13], v82, s[20:23], s54 offen
	;; [unrolled: 1-line block ×4, first 2 shown]
	v_mov_b32_e32 v133, v84
	v_mov_b32_e32 v132, v85
.LBB128_12:                             ;   in Loop: Header=BB128_6 Depth=1
	ds_read_b64 v[136:137], v102 offset:57344
	ds_read2_b64 v[18:21], v110 offset1:16
	ds_read_b64 v[138:139], v104 offset:57344
	ds_read_b64 v[140:141], v108 offset:57344
	;; [unrolled: 1-line block ×3, first 2 shown]
	v_add_u32_e32 v135, s55, v126
	s_waitcnt lgkmcnt(3)
	v_mfma_f32_16x16x16_bf16 a[4:7], v[136:137], v[18:19], a[4:7]
	v_mfma_f32_16x16x16_bf16 a[8:11], v[136:137], v[20:21], a[8:11]
	ds_read2_b64 v[18:21], v110 offset0:32 offset1:48
	ds_read2st64_b64 v[22:25], v110 offset0:4 offset1:8
	ds_read2st64_b64 v[26:29], v111 offset0:4 offset1:8
	;; [unrolled: 1-line block ×3, first 2 shown]
	s_waitcnt lgkmcnt(3)
	v_mfma_f32_16x16x16_bf16 a[12:15], v[136:137], v[18:19], a[12:15]
	v_ashrrev_i32_e32 v18, 31, v135
	v_mfma_f32_16x16x16_bf16 a[0:3], v[136:137], v[20:21], a[0:3]
	v_mul_lo_u32 v20, v18, s28
	v_mul_lo_u32 v21, v135, s29
	v_mad_u64_u32 v[18:19], s[20:21], v135, s28, 0
	v_add3_u32 v19, v19, v21, v20
	v_add_u32_e32 v20, 1, v135
	v_ashrrev_i32_e32 v21, 31, v20
	s_waitcnt lgkmcnt(2)
	v_mfma_f32_16x16x16_bf16 a[4:7], v[138:139], v[22:23], a[4:7]
	v_mul_lo_u32 v22, v21, s28
	v_mul_lo_u32 v23, v20, s29
	v_mad_u64_u32 v[20:21], s[20:21], v20, s28, 0
	v_add3_u32 v21, v21, v23, v22
	v_add_u32_e32 v22, 2, v135
	v_ashrrev_i32_e32 v23, 31, v22
	s_waitcnt lgkmcnt(1)
	v_mfma_f32_16x16x16_bf16 a[8:11], v[138:139], v[26:27], a[8:11]
	v_mul_lo_u32 v26, v23, s28
	v_mul_lo_u32 v27, v22, s29
	v_mad_u64_u32 v[22:23], s[20:21], v22, s28, 0
	v_lshl_add_u64 v[18:19], v[18:19], 2, s[38:39]
	v_add3_u32 v23, v23, v27, v26
	v_add_u32_e32 v26, 3, v135
	v_ashrrev_i32_e32 v27, 31, v26
	global_load_dword v136, v[18:19], off
	v_mad_u64_u32 v[18:19], s[20:21], v26, s28, 0
	v_mul_lo_u32 v27, v27, s28
	v_mul_lo_u32 v135, v26, s29
	s_add_u32 s20, s2, s55
	v_add3_u32 v19, v19, v135, v27
	s_addc_u32 s21, s3, 0
	v_lshl_add_u64 v[20:21], v[20:21], 2, s[38:39]
	v_lshl_add_u64 v[22:23], v[22:23], 2, s[38:39]
	;; [unrolled: 1-line block ×3, first 2 shown]
	s_lshl_b64 s[20:21], s[20:21], 8
	global_load_dword v135, v[20:21], off
	global_load_dword v137, v[22:23], off
	;; [unrolled: 1-line block ×3, first 2 shown]
	v_lshl_add_u64 v[18:19], v[68:69], 0, s[20:21]
	v_lshl_add_u64 v[22:23], v[18:19], 0, v[66:67]
	global_load_ushort v145, v[22:23], off offset:256
	global_load_ushort v146, v[22:23], off
	ds_read2st64_b64 v[18:21], v113 offset0:4 offset1:8
	global_load_ushort v147, v[22:23], off offset:768
	global_load_ushort v148, v[22:23], off offset:512
	s_waitcnt lgkmcnt(1)
	v_mfma_f32_16x16x16_bf16 a[12:15], v[138:139], v[30:31], a[12:15]
	s_and_b64 vcc, exec, s[0:1]
	s_waitcnt vmcnt(3)
	v_lshlrev_b32_e32 v31, 16, v145
	s_waitcnt lgkmcnt(0)
	v_mfma_f32_16x16x16_bf16 a[0:3], v[138:139], v[18:19], a[0:3]
	global_load_ushort v138, v[22:23], off offset:288
	global_load_ushort v139, v[22:23], off offset:32
	;; [unrolled: 1-line block ×8, first 2 shown]
	v_mfma_f32_16x16x16_bf16 a[4:7], v[140:141], v[24:25], a[4:7]
	ds_read_b64 v[18:19], v110 offset:6144
	s_waitcnt vmcnt(10)
	v_lshlrev_b32_e32 v30, 16, v146
	v_mfma_f32_16x16x16_bf16 a[8:11], v[140:141], v[28:29], a[8:11]
	v_mfma_f32_16x16x16_bf16 a[12:15], v[140:141], v[32:33], a[12:15]
	;; [unrolled: 1-line block ×3, first 2 shown]
	global_load_ushort v140, v[22:23], off offset:352
	global_load_ushort v141, v[22:23], off offset:96
	ds_read_b64 v[20:21], v111 offset:6144
	ds_read_b64 v[24:25], v112 offset:6144
	;; [unrolled: 1-line block ×3, first 2 shown]
	global_load_ushort v155, v[22:23], off offset:864
	global_load_ushort v156, v[22:23], off offset:608
	s_load_dword s20, s[40:41], 0x0
	s_waitcnt lgkmcnt(0)
	v_mfma_f32_16x16x16_bf16 a[4:7], v[142:143], v[18:19], a[4:7]
	v_sub_f32_e32 v28, s20, v137
	v_mfma_f32_16x16x16_bf16 a[0:3], v[142:143], v[26:27], a[0:3]
	v_sub_f32_e32 v26, s20, v136
	v_sub_f32_e32 v27, s20, v135
	;; [unrolled: 1-line block ×3, first 2 shown]
	v_mul_f32_e32 v26, 0x3fb8aa3b, v26
	v_mul_f32_e32 v27, 0x3fb8aa3b, v27
	v_mul_f32_e32 v28, 0x3fb8aa3b, v28
	v_mul_f32_e32 v29, 0x3fb8aa3b, v29
	v_mfma_f32_16x16x16_bf16 a[8:11], v[142:143], v[20:21], a[8:11]
	v_exp_f32_e32 v26, v26
	v_exp_f32_e32 v27, v27
	;; [unrolled: 1-line block ×4, first 2 shown]
	v_accvgpr_read_b32 v33, a5
	v_accvgpr_read_b32 v32, a4
	;; [unrolled: 1-line block ×4, first 2 shown]
	v_pk_add_f32 v[30:31], v[30:31], v[32:33] neg_lo:[0,1] neg_hi:[0,1]
	s_waitcnt vmcnt(13)
	v_lshlrev_b32_e32 v33, 16, v147
	s_waitcnt vmcnt(12)
	v_lshlrev_b32_e32 v32, 16, v148
	v_pk_add_f32 v[18:19], v[32:33], v[18:19] neg_lo:[0,1] neg_hi:[0,1]
	v_pk_mul_f32 v[30:31], v[26:27], v[30:31]
	v_pk_mul_f32 v[18:19], v[28:29], v[18:19]
	v_accvgpr_read_b32 v33, a9
	v_perm_b32 v19, v19, v18, s31
	v_perm_b32 v18, v31, v30, s31
	v_accvgpr_read_b32 v32, a8
	v_accvgpr_read_b32 v21, a11
	v_mfma_f32_16x16x16_bf16 a[12:15], v[142:143], v[24:25], a[12:15]
	v_accvgpr_read_b32 v20, a10
	v_accvgpr_read_b32 v25, a3
	;; [unrolled: 1-line block ×3, first 2 shown]
	v_mov_b32_e32 v135, 0
	s_waitcnt vmcnt(11)
	v_lshlrev_b32_e32 v31, 16, v138
	s_waitcnt vmcnt(10)
	v_lshlrev_b32_e32 v30, 16, v139
	v_pk_add_f32 v[30:31], v[30:31], v[32:33] neg_lo:[0,1] neg_hi:[0,1]
	s_waitcnt vmcnt(9)
	v_lshlrev_b32_e32 v33, 16, v149
	s_waitcnt vmcnt(8)
	v_lshlrev_b32_e32 v32, 16, v150
	v_pk_add_f32 v[20:21], v[32:33], v[20:21] neg_lo:[0,1] neg_hi:[0,1]
	v_pk_mul_f32 v[30:31], v[26:27], v[30:31]
	v_pk_mul_f32 v[20:21], v[28:29], v[20:21]
	v_accvgpr_read_b32 v23, a15
	v_perm_b32 v21, v21, v20, s31
	v_perm_b32 v20, v31, v30, s31
	ds_write2_b64 v87, v[18:19], v[20:21] offset1:16
	v_accvgpr_read_b32 v21, a13
	s_waitcnt vmcnt(7)
	v_lshlrev_b32_e32 v19, 16, v151
	s_waitcnt vmcnt(6)
	v_lshlrev_b32_e32 v18, 16, v152
	v_accvgpr_read_b32 v20, a12
	v_accvgpr_read_b32 v22, a14
	v_pk_add_f32 v[18:19], v[18:19], v[20:21] neg_lo:[0,1] neg_hi:[0,1]
	s_waitcnt vmcnt(5)
	v_lshlrev_b32_e32 v21, 16, v153
	s_waitcnt vmcnt(4)
	v_lshlrev_b32_e32 v20, 16, v154
	v_pk_add_f32 v[20:21], v[20:21], v[22:23] neg_lo:[0,1] neg_hi:[0,1]
	v_pk_mul_f32 v[18:19], v[26:27], v[18:19]
	v_pk_mul_f32 v[20:21], v[28:29], v[20:21]
	v_accvgpr_read_b32 v23, a1
	v_perm_b32 v21, v21, v20, s31
	v_perm_b32 v20, v19, v18, s31
	s_waitcnt vmcnt(3)
	v_lshlrev_b32_e32 v19, 16, v140
	s_waitcnt vmcnt(2)
	v_lshlrev_b32_e32 v18, 16, v141
	v_accvgpr_read_b32 v22, a0
	v_pk_add_f32 v[18:19], v[18:19], v[22:23] neg_lo:[0,1] neg_hi:[0,1]
	s_waitcnt vmcnt(1)
	v_lshlrev_b32_e32 v23, 16, v155
	s_waitcnt vmcnt(0)
	v_lshlrev_b32_e32 v22, 16, v156
	v_pk_add_f32 v[22:23], v[22:23], v[24:25] neg_lo:[0,1] neg_hi:[0,1]
	v_pk_mul_f32 v[18:19], v[26:27], v[18:19]
	v_pk_mul_f32 v[22:23], v[28:29], v[22:23]
	v_mov_b32_e32 v24, 0
	v_perm_b32 v23, v23, v22, s31
	v_perm_b32 v22, v19, v18, s31
	ds_write2_b64 v87, v[20:21], v[22:23] offset0:32 offset1:48
	v_mov_b32_e32 v18, 0
	v_mov_b32_e32 v19, 0
	;; [unrolled: 1-line block ×15, first 2 shown]
	s_cbranch_vccnz .LBB128_14
; %bb.13:                               ;   in Loop: Header=BB128_6 Depth=1
	s_and_b32 s25, s25, 0xffff
	s_mov_b32 s27, s23
	buffer_load_dwordx4 v[30:33], v124, s[24:27], 0 offen
	buffer_load_dwordx4 v[22:25], v124, s[24:27], s54 offen
	;; [unrolled: 1-line block ×4, first 2 shown]
	v_mov_b32_e32 v134, v81
	v_mov_b32_e32 v135, v80
.LBB128_14:                             ;   in Loop: Header=BB128_6 Depth=1
	s_waitcnt lgkmcnt(0)
	s_barrier
	ds_read_b64 v[144:145], v127
	ds_read2_b64 v[136:139], v117 offset1:16
	ds_read_b64 v[160:161], v128
	ds_read_b64 v[162:163], v129
	;; [unrolled: 1-line block ×3, first 2 shown]
	ds_read2_b64 v[140:143], v117 offset0:32 offset1:48
	s_waitcnt lgkmcnt(4)
	v_mfma_f32_16x16x16_bf16 a[0:3], v[144:145], v[136:137], 0
	ds_read2st64_b64 v[148:151], v119 offset0:4 offset1:8
	ds_read2st64_b64 v[152:155], v120 offset0:4 offset1:8
	;; [unrolled: 1-line block ×3, first 2 shown]
	v_mfma_f32_16x16x16_bf16 a[4:7], v[144:145], v[138:139], 0
	s_add_i32 s21, s48, s62
	s_mul_hi_i32 s25, s21, s13
	s_mul_i32 s21, s21, s13
	s_waitcnt lgkmcnt(3)
	v_mfma_f32_16x16x16_bf16 a[8:11], v[144:145], v[140:141], 0
	s_add_u32 s24, s21, s33
	s_addc_u32 s25, s25, s52
	s_lshl_b64 s[24:25], s[24:25], 15
	v_mfma_f32_16x16x16_bf16 a[12:15], v[144:145], v[142:143], 0
	ds_read2st64_b64 v[144:147], v117 offset0:4 offset1:8
	s_waitcnt lgkmcnt(0)
	v_mfma_f32_16x16x16_bf16 a[0:3], v[160:161], v[144:145], a[0:3]
	v_mfma_f32_16x16x16_bf16 a[4:7], v[160:161], v[148:149], a[4:7]
	;; [unrolled: 1-line block ×8, first 2 shown]
	ds_read_b64 v[160:161], v117 offset:6144
	ds_read_b64 v[162:163], v118 offset:40960
	ds_read_b64 v[166:167], v116 offset:40960
	ds_read_b64 v[168:169], v119 offset:6144
	ds_read_b64 v[170:171], v120 offset:6144
	ds_read_b64 v[172:173], v121 offset:6144
	ds_read_b64 v[174:175], v122 offset:40960
	ds_read_b64 v[176:177], v123 offset:40960
	s_waitcnt lgkmcnt(5)
	v_mfma_f32_16x16x16_bf16 a[16:19], v[166:167], v[136:137], 0
	v_mfma_f32_16x16x16_bf16 a[20:23], v[166:167], v[138:139], 0
	ds_read2st64_b64 v[136:139], v114 offset1:8
	v_mfma_f32_16x16x16_bf16 a[24:27], v[166:167], v[140:141], 0
	v_mfma_f32_16x16x16_bf16 a[28:31], v[166:167], v[142:143], 0
	ds_read2st64_b64 v[140:143], v115 offset1:8
	v_mfma_f32_16x16x16_bf16 a[16:19], v[162:163], v[144:145], a[16:19]
	s_waitcnt lgkmcnt(1)
	v_mov_b32_e32 v144, v136
	v_mov_b32_e32 v145, v137
	v_mfma_f32_16x16x16_bf16 a[20:23], v[162:163], v[148:149], a[20:23]
	v_lshl_add_u64 v[148:149], v[70:71], 0, s[24:25]
	v_mfma_f32_16x16x16_bf16 a[24:27], v[162:163], v[152:153], a[24:27]
	v_mfma_f32_16x16x16_bf16 a[28:31], v[162:163], v[156:157], a[28:31]
	;; [unrolled: 1-line block ×3, first 2 shown]
	s_waitcnt lgkmcnt(0)
	v_mov_b32_e32 v146, v140
	v_mov_b32_e32 v147, v141
	;; [unrolled: 1-line block ×3, first 2 shown]
	v_mfma_f32_16x16x16_bf16 a[32:35], v[174:175], v[150:151], a[20:23]
	v_mov_b32_e32 v141, v139
	ds_read2st64_b64 v[136:139], v114 offset0:16 offset1:24
	global_store_dwordx4 v[148:149], v[144:147], off
	v_mfma_f32_16x16x16_bf16 a[24:27], v[174:175], v[154:155], a[24:27]
	ds_read2st64_b64 v[144:147], v115 offset0:16 offset1:24
	v_add_co_u32_e32 v150, vcc, s35, v148
	v_mfma_f32_16x16x16_bf16 a[28:31], v[174:175], v[158:159], a[28:31]
	s_nop 0
	v_addc_co_u32_e32 v151, vcc, 0, v149, vcc
	global_store_dwordx4 v[150:151], v[140:143], off offset:-4096
	v_mfma_f32_16x16x16_bf16 a[0:3], v[164:165], v[160:161], a[0:3]
	s_waitcnt lgkmcnt(1)
	v_mov_b32_e32 v140, v136
	v_add_co_u32_e32 v136, vcc, s60, v148
	v_mfma_f32_16x16x16_bf16 a[4:7], v[164:165], v[168:169], a[4:7]
	v_mov_b32_e32 v141, v137
	v_addc_co_u32_e32 v137, vcc, 0, v149, vcc
	v_mfma_f32_16x16x16_bf16 a[8:11], v[164:165], v[170:171], a[8:11]
	s_waitcnt lgkmcnt(0)
	v_mov_b32_e32 v142, v144
	v_mov_b32_e32 v143, v145
	;; [unrolled: 1-line block ×3, first 2 shown]
	v_mfma_f32_16x16x16_bf16 a[12:15], v[164:165], v[172:173], a[12:15]
	v_mov_b32_e32 v145, v139
	s_and_b64 vcc, exec, s[0:1]
	global_store_dwordx4 v[150:151], v[140:143], off
	v_mfma_f32_16x16x16_bf16 a[20:23], v[176:177], v[160:161], a[16:19]
	global_store_dwordx4 v[136:137], v[144:147], off
	v_mfma_f32_16x16x16_bf16 a[16:19], v[176:177], v[168:169], a[32:35]
	v_mfma_f32_16x16x16_bf16 a[24:27], v[176:177], v[170:171], a[24:27]
	;; [unrolled: 1-line block ×3, first 2 shown]
	s_cbranch_vccnz .LBB128_16
; %bb.15:                               ;   in Loop: Header=BB128_6 Depth=1
	v_lshrrev_b32_e32 v136, 3, v134
	v_and_b32_e32 v136, 6, v136
	v_xor_b32_e32 v135, v136, v135
	v_lshlrev_b32_e32 v135, 2, v135
	v_and_b32_e32 v134, 8, v134
	v_xor_b32_e32 v137, 0x440, v135
	v_cmp_eq_u32_e32 vcc, 0, v134
	s_barrier
	s_nop 0
	v_cndmask_b32_e32 v134, v137, v135, vcc
	v_lshl_or_b32 v134, v136, 10, v134
	s_waitcnt vmcnt(5)
	v_perm_b32 v135, v30, v26, s56
	s_waitcnt vmcnt(4)
	v_perm_b32 v136, v22, v18, s56
	ds_write2st64_b32 v134, v135, v136 offset0:128 offset1:160
	v_xor_b32_e32 v135, 8, v134
	v_perm_b32 v26, v30, v26, s57
	v_perm_b32 v18, v22, v18, s57
	v_add_u32_e32 v22, 0x80, v135
	ds_write2st64_b32 v22, v26, v18 offset0:128 offset1:160
	v_xor_b32_e32 v18, 16, v134
	v_perm_b32 v22, v31, v27, s56
	v_perm_b32 v26, v23, v19, s56
	ds_write2st64_b32 v18, v22, v26 offset0:129 offset1:161
	v_xor_b32_e32 v18, 24, v134
	v_perm_b32 v22, v31, v27, s57
	v_perm_b32 v19, v23, v19, s57
	v_add_u32_e32 v18, 0x80, v18
	ds_write2st64_b32 v18, v22, v19 offset0:129 offset1:161
	v_xor_b32_e32 v18, 32, v134
	v_perm_b32 v19, v32, v28, s56
	;; [unrolled: 9-line block ×3, first 2 shown]
	v_perm_b32 v20, v25, v21, s56
	ds_write2st64_b32 v18, v19, v20 offset0:131 offset1:163
	v_xor_b32_e32 v18, 56, v134
	v_perm_b32 v19, v33, v29, s57
	v_perm_b32 v20, v25, v21, s57
	v_add_u32_e32 v18, 0x80, v18
	ds_write2st64_b32 v18, v19, v20 offset0:131 offset1:163
	ds_write_b64 v133, v[14:15] offset:49152
	v_xor_b32_e32 v14, 8, v133
	ds_write_b64 v14, v[16:17] offset:49152
	ds_write_b64 v133, v[10:11] offset:57344
	;; [unrolled: 1-line block ×4, first 2 shown]
	v_xor_b32_e32 v6, 8, v132
	ds_write_b64 v6, v[8:9] offset:49152
	ds_write_b64 v132, v[2:3] offset:57344
	;; [unrolled: 1-line block ×3, first 2 shown]
.LBB128_16:                             ;   in Loop: Header=BB128_6 Depth=1
	s_waitcnt vmcnt(6)
	v_mul_f32_e32 v22, s20, v131
	v_exp_f32_e32 v132, v22
	v_accvgpr_read_b32 v5, a3
	v_accvgpr_read_b32 v9, a7
	;; [unrolled: 1-line block ×4, first 2 shown]
	s_waitcnt vmcnt(4)
	v_accvgpr_read_b32 v18, a20
	v_accvgpr_read_b32 v25, a19
	;; [unrolled: 1-line block ×28, first 2 shown]
	s_add_i32 s55, s55, 64
	v_pk_fma_f32 v[62:63], v[132:133], v[62:63], v[2:3] op_sel_hi:[0,1,1]
	v_pk_fma_f32 v[64:65], v[132:133], v[64:65], v[4:5] op_sel_hi:[0,1,1]
	;; [unrolled: 1-line block ×15, first 2 shown]
	s_cmp_eq_u32 s46, s61
	v_pk_fma_f32 v[38:39], v[132:133], v[38:39], v[32:33] op_sel_hi:[0,1,1]
	s_cbranch_scc1 .LBB128_18
; %bb.17:                               ;   in Loop: Header=BB128_6 Depth=1
	s_mov_b32 s62, s61
	s_branch .LBB128_6
.LBB128_18:
	s_lshl_b32 s40, s46, 6
	s_sub_i32 s41, s12, s40
	s_cmp_gt_i32 s41, 0
	s_cbranch_scc0 .LBB128_99
; %bb.19:
	s_ashr_i32 s35, s45, 31
	s_ashr_i32 s2, s40, 31
	s_cmpk_lg_i32 s15, 0x80
	s_cselect_b64 s[26:27], -1, 0
	s_and_b64 vcc, exec, s[26:27]
	s_cbranch_vccz .LBB128_21
; %bb.20:
	s_mul_i32 s1, s45, s12
	s_mul_hi_i32 s0, s45, s12
	s_add_u32 s1, s1, s40
	s_addc_u32 s0, s0, s2
	s_mul_i32 s3, s1, s47
	s_mul_hi_u32 s20, s1, s14
	s_add_i32 s3, s20, s3
	s_mul_i32 s0, s0, s14
	s_add_i32 s3, s3, s0
	s_mul_i32 s1, s1, s14
	s_ashr_i32 s0, s50, 31
	s_add_u32 s38, s1, s50
	s_addc_u32 s39, s3, s0
	s_cbranch_execz .LBB128_22
	s_branch .LBB128_23
.LBB128_21:
                                        ; implicit-def: $sgpr38_sgpr39
.LBB128_22:
	s_mul_hi_i32 s0, s45, s14
	s_mul_i32 s45, s45, s14
	s_ashr_i32 s1, s50, 31
	s_add_u32 s3, s45, s50
	s_addc_u32 s0, s0, s1
	s_mul_i32 s1, s3, s44
	s_mul_hi_u32 s14, s3, s12
	s_add_i32 s1, s14, s1
	s_mul_i32 s0, s0, s12
	s_add_i32 s1, s1, s0
	s_mul_i32 s3, s3, s12
	s_add_u32 s38, s3, s40
	s_addc_u32 s39, s1, s2
.LBB128_23:
	s_add_i32 s3, s48, s46
	s_ashr_i32 s14, s33, 31
	s_add_u32 s0, s43, s33
	s_addc_u32 s1, s49, s14
	s_mul_i32 s20, s0, s44
	s_mul_hi_u32 s21, s0, s12
	s_add_i32 s20, s21, s20
	s_mul_i32 s1, s1, s12
	s_add_i32 s20, s20, s1
	s_mul_i32 s0, s0, s12
	s_add_u32 s0, s0, s40
	v_lshlrev_b32_e32 v6, 6, v78
	v_lshlrev_b32_e32 v24, 2, v72
	s_addc_u32 s1, s20, s2
	s_mov_b32 s2, 0x7060302
	v_or_b32_e32 v9, v6, v24
	v_xor_b32_e32 v7, v78, v24
	v_perm_b32 v3, v65, v64, s2
	v_perm_b32 v2, v63, v62, s2
	;; [unrolled: 1-line block ×4, first 2 shown]
	v_lshlrev_b32_e32 v9, 1, v9
	v_xor_b32_e32 v8, v79, v24
	ds_write2st64_b64 v9, v[2:3], v[4:5] offset0:32 offset1:48
	v_lshlrev_b32_e32 v7, 1, v7
	v_lshlrev_b32_e32 v9, 8, v72
	v_or_b32_e32 v10, v7, v9
	v_lshlrev_b32_e32 v8, 1, v8
	ds_write_b64 v10, v[2:3]
	v_or_b32_e32 v2, v8, v9
	v_or_b32_e32 v9, 16, v72
	v_lshlrev_b32_e32 v23, 2, v9
	v_or_b32_e32 v10, v6, v23
	ds_write_b64 v2, v[4:5]
	v_perm_b32 v3, v57, v56, s2
	v_perm_b32 v2, v55, v54, s2
	;; [unrolled: 1-line block ×4, first 2 shown]
	v_lshlrev_b32_e32 v10, 1, v10
	v_lshlrev_b32_e32 v9, 8, v9
	ds_write2st64_b64 v10, v[2:3], v[4:5] offset0:32 offset1:48
	v_or_b32_e32 v10, v7, v9
	ds_write_b64 v10, v[2:3]
	v_or_b32_e32 v2, v8, v9
	v_or_b32_e32 v9, 32, v72
	v_lshlrev_b32_e32 v22, 2, v9
	v_or_b32_e32 v10, v6, v22
	s_lshl_b64 s[24:25], s[0:1], 8
	ds_write_b64 v2, v[4:5]
	v_perm_b32 v3, v49, v48, s2
	v_perm_b32 v2, v47, v46, s2
	;; [unrolled: 1-line block ×4, first 2 shown]
	v_lshlrev_b32_e32 v10, 1, v10
	v_lshlrev_b32_e32 v9, 8, v9
	s_add_u32 s0, s6, s24
	ds_write2st64_b64 v10, v[2:3], v[4:5] offset0:32 offset1:48
	v_or_b32_e32 v10, v7, v9
	s_addc_u32 s1, s7, s25
	ds_write_b64 v10, v[2:3]
	v_or_b32_e32 v2, v8, v9
	v_or_b32_e32 v9, 48, v72
	s_mul_hi_i32 s6, s3, s13
	s_mul_i32 s3, s3, s13
	ds_write_b64 v2, v[4:5]
	v_perm_b32 v3, v35, v34, s2
	v_perm_b32 v2, v41, v40, s2
	;; [unrolled: 1-line block ×4, first 2 shown]
	v_lshlrev_b32_e32 v19, 2, v9
	s_add_u32 s2, s3, s33
	v_or_b32_e32 v6, v6, v19
	s_addc_u32 s3, s6, s14
	v_lshlrev_b32_e32 v6, 1, v6
	s_ashr_i32 s31, s30, 31
	s_lshl_b64 s[2:3], s[2:3], 15
	ds_write2st64_b64 v6, v[2:3], v[4:5] offset0:32 offset1:48
	v_lshlrev_b32_e32 v6, 8, v9
	s_add_u32 s6, s36, s2
	v_or_b32_e32 v7, v7, v6
	s_addc_u32 s7, s37, s3
	s_lshl_b64 s[2:3], s[30:31], 8
	ds_write_b64 v7, v[2:3]
	v_or_b32_e32 v2, v8, v6
	s_add_u32 s2, s6, s2
	v_lshlrev_b32_e32 v3, 1, v72
	ds_write_b64 v2, v[4:5]
	v_lshrrev_b32_e32 v2, 4, v0
	s_addc_u32 s3, s7, s3
	v_or_b32_e32 v4, 1, v3
	v_lshlrev_b32_e32 v10, 4, v72
	v_mov_b32_e32 v11, 0
	v_xor_b32_e32 v3, v2, v3
	v_xor_b32_e32 v6, v4, v2
	v_lshl_add_u64 v[12:13], s[2:3], 0, v[10:11]
	v_lshlrev_b32_e32 v10, 8, v2
	v_lshl_or_b32 v16, v3, 3, v10
	v_lshl_or_b32 v17, v6, 3, v10
	s_waitcnt lgkmcnt(0)
	s_barrier
	ds_read2st64_b64 v[2:5], v16 offset1:8
	ds_read2st64_b64 v[6:9], v17 offset1:8
	v_lshl_add_u64 v[14:15], v[12:13], 0, v[10:11]
	s_movk_i32 s2, 0x2000
	s_cmp_lg_u32 s41, 64
	s_waitcnt lgkmcnt(1)
	v_mov_b32_e32 v10, v2
	v_mov_b32_e32 v11, v3
	s_waitcnt lgkmcnt(0)
	v_mov_b32_e32 v12, v6
	v_mov_b32_e32 v13, v7
	global_store_dwordx4 v[14:15], v[10:13], off
	v_mov_b32_e32 v6, v4
	v_mov_b32_e32 v7, v5
	ds_read2st64_b64 v[2:5], v16 offset0:16 offset1:24
	ds_read2st64_b64 v[10:13], v17 offset0:16 offset1:24
	v_add_co_u32_e32 v16, vcc, s2, v14
	s_cselect_b64 s[6:7], -1, 0
	s_nop 0
	v_addc_co_u32_e32 v17, vcc, 0, v15, vcc
	global_store_dwordx4 v[16:17], v[6:9], off offset:-4096
	v_lshl_or_b32 v25, v74, 3, v77
	s_mov_b32 s20, 0
	s_waitcnt lgkmcnt(1)
	v_mov_b32_e32 v6, v2
	v_add_co_u32_e32 v2, vcc, 0x3000, v14
	v_mov_b32_e32 v7, v3
	s_nop 0
	v_addc_co_u32_e32 v3, vcc, 0, v15, vcc
	s_waitcnt lgkmcnt(0)
	v_mov_b32_e32 v8, v10
	v_mov_b32_e32 v9, v11
	;; [unrolled: 1-line block ×4, first 2 shown]
	v_or_b32_e32 v20, 32, v25
	v_and_b32_e32 v18, 56, v76
	s_and_b64 vcc, exec, s[6:7]
	global_store_dwordx4 v[16:17], v[6:9], off
	global_store_dwordx4 v[2:3], v[10:13], off
	s_cbranch_vccz .LBB128_29
; %bb.24:
	s_mov_b32 s21, s20
	s_mov_b32 s22, s20
	;; [unrolled: 1-line block ×3, first 2 shown]
	v_mov_b64_e32 v[6:7], s[20:21]
	v_mov_b64_e32 v[8:9], s[22:23]
	;; [unrolled: 1-line block ×3, first 2 shown]
	v_cmp_gt_i32_e32 vcc, s41, v25
	v_mov_b64_e32 v[4:5], v[8:9]
	s_and_saveexec_b64 s[2:3], vcc
	s_cbranch_execz .LBB128_26
; %bb.25:
	v_lshlrev_b32_e32 v2, 8, v25
	v_mov_b32_e32 v3, 0
	v_lshl_add_u64 v[4:5], s[0:1], 0, v[2:3]
	v_lshlrev_b32_e32 v2, 1, v18
	v_lshl_add_u64 v[10:11], v[4:5], 0, v[2:3]
	global_load_dwordx4 v[6:9], v[10:11], off
	global_load_dwordx4 v[2:5], v[10:11], off offset:128
.LBB128_26:
	s_or_b64 exec, exec, s[2:3]
	s_mov_b32 s21, s20
	s_mov_b32 s22, s20
	;; [unrolled: 1-line block ×3, first 2 shown]
	v_mov_b64_e32 v[14:15], s[20:21]
	v_mov_b64_e32 v[16:17], s[22:23]
	;; [unrolled: 1-line block ×3, first 2 shown]
	v_cmp_gt_i32_e32 vcc, s41, v20
	v_lshlrev_b32_e32 v21, 7, v20
	v_mov_b64_e32 v[12:13], v[16:17]
	s_and_saveexec_b64 s[2:3], vcc
	s_cbranch_execz .LBB128_28
; %bb.27:
	v_lshlrev_b32_e32 v10, 1, v21
	v_mov_b32_e32 v11, 0
	v_lshl_add_u64 v[12:13], s[0:1], 0, v[10:11]
	v_lshlrev_b32_e32 v10, 1, v18
	v_lshl_add_u64 v[26:27], v[12:13], 0, v[10:11]
	global_load_dwordx4 v[14:17], v[26:27], off
	global_load_dwordx4 v[10:13], v[26:27], off offset:128
.LBB128_28:
	s_or_b64 exec, exec, s[2:3]
	v_lshrrev_b32_e32 v26, 3, v18
	v_lshlrev_b32_e32 v27, 3, v25
	v_or_b32_e32 v26, v27, v26
	v_lshlrev_b32_e32 v26, 4, v26
	v_and_b32_e32 v27, 0x78, v27
	v_xor_b32_e32 v26, v26, v27
	s_branch .LBB128_31
.LBB128_29:
                                        ; implicit-def: $vgpr26
                                        ; implicit-def: $vgpr21
                                        ; implicit-def: $vgpr6_vgpr7_vgpr8_vgpr9
                                        ; implicit-def: $vgpr2_vgpr3_vgpr4_vgpr5
                                        ; implicit-def: $vgpr14_vgpr15_vgpr16_vgpr17
                                        ; implicit-def: $vgpr10_vgpr11_vgpr12_vgpr13
	s_cbranch_execz .LBB128_31
; %bb.30:
	s_waitcnt vmcnt(0)
	v_lshlrev_b32_e32 v2, 1, v18
	v_lshl_or_b32 v21, v25, 8, v2
	s_and_b32 s1, s1, 0xffff
	s_mov_b32 s3, 0x20000
	s_movk_i32 s2, 0x4000
	v_lshl_or_b32 v26, v20, 8, v2
	s_movk_i32 s13, 0x80
	buffer_load_dwordx4 v[6:9], v21, s[0:3], 0 offen
	buffer_load_dwordx4 v[2:5], v21, s[0:3], s13 offen
	;; [unrolled: 1-line block ×4, first 2 shown]
	v_lshrrev_b32_e32 v21, 3, v18
	v_lshlrev_b32_e32 v26, 3, v25
	v_or_b32_e32 v21, v26, v21
	v_lshlrev_b32_e32 v21, 4, v21
	v_and_b32_e32 v26, 0x78, v26
	v_xor_b32_e32 v26, v21, v26
	v_lshlrev_b32_e32 v21, 7, v20
.LBB128_31:
	s_movk_i32 s0, 0x1000
	v_and_or_b32 v20, v21, s0, v26
	s_waitcnt vmcnt(1)
	ds_write_b64 v26, v[6:7] offset:49152
	v_xor_b32_e32 v6, 8, v26
	ds_write_b64 v6, v[8:9] offset:49152
	s_waitcnt vmcnt(0)
	ds_write_b64 v26, v[2:3] offset:57344
	ds_write_b64 v6, v[4:5] offset:57344
	;; [unrolled: 1-line block ×3, first 2 shown]
	v_xor_b32_e32 v2, 8, v20
	ds_write_b64 v2, v[16:17] offset:49152
	ds_write_b64 v20, v[10:11] offset:57344
	;; [unrolled: 1-line block ×3, first 2 shown]
	v_or_b32_e32 v2, v1, v72
	v_lshlrev_b32_e32 v3, 11, v74
	v_lshlrev_b32_e32 v2, 3, v2
	v_and_b32_e32 v6, 0x1000, v3
	v_lshrrev_b32_e32 v3, 5, v73
	s_movk_i32 s0, 0xf8
	v_and_or_b32 v3, v2, s0, v3
	v_lshlrev_b32_e32 v7, 4, v3
	v_and_b32_e32 v8, 0x78, v2
	v_or_b32_e32 v10, 32, v7
	v_lshrrev_b32_e32 v3, 1, v73
	v_xor_b32_e32 v10, v10, v8
	v_xor_b32_e32 v2, v7, v8
	v_and_b32_e32 v9, 8, v3
	v_or_b32_e32 v10, v10, v6
	v_or_b32_e32 v2, v2, v6
	v_xor_b32_e32 v28, v10, v9
	v_or_b32_e32 v10, 64, v7
	v_xor_b32_e32 v27, v2, v9
	v_xor_b32_e32 v10, v10, v8
	s_waitcnt lgkmcnt(0)
	s_barrier
	v_or_b32_e32 v13, v10, v6
	ds_read_b64 v[10:11], v27 offset:49152
	v_lshl_or_b32 v14, v75, 8, v24
	v_lshlrev_b32_e32 v26, 1, v14
	v_add_u32_e32 v12, 0x4000, v26
	ds_read2_b64 v[2:5], v12 offset1:16
	v_or_b32_e32 v7, 0x60, v7
	v_xor_b32_e32 v7, v7, v8
	v_or_b32_e32 v6, v7, v6
	v_xor_b32_e32 v29, v13, v9
	v_xor_b32_e32 v30, v6, v9
	ds_read_b64 v[20:21], v28 offset:49152
	ds_read_b64 v[34:35], v29 offset:49152
	;; [unrolled: 1-line block ×3, first 2 shown]
	s_waitcnt lgkmcnt(3)
	v_mfma_f32_16x16x16_bf16 a[0:3], v[10:11], v[2:3], 0
	ds_read2_b64 v[6:9], v12 offset0:32 offset1:48
	s_lshl_b64 s[0:1], s[38:39], 8
	s_add_u32 s4, s4, s0
	v_mfma_f32_16x16x16_bf16 a[4:7], v[10:11], v[4:5], 0
	ds_read2st64_b64 v[2:5], v26 offset0:36 offset1:40
	s_addc_u32 s5, s5, s1
	s_add_i32 s2, s12, -1
	s_waitcnt lgkmcnt(1)
	v_mfma_f32_16x16x16_bf16 a[8:11], v[10:11], v[6:7], 0
	v_or_b32_e32 v6, 64, v14
	v_lshlrev_b32_e32 v31, 1, v6
	s_add_i32 s0, s42, s17
	s_waitcnt lgkmcnt(0)
	v_mfma_f32_16x16x16_bf16 a[0:3], v[20:21], v[2:3], a[0:3]
	v_or_b32_e32 v2, 0x80, v14
	v_lshlrev_b32_e32 v32, 1, v2
	v_or_b32_e32 v2, 0xc0, v14
	v_mfma_f32_16x16x16_bf16 a[12:15], v[10:11], v[8:9], 0
	ds_read2st64_b64 v[6:9], v31 offset0:36 offset1:40
	v_lshlrev_b32_e32 v33, 1, v2
	ds_read2st64_b64 v[10:13], v32 offset0:36 offset1:40
	ds_read2st64_b64 v[14:17], v33 offset0:36 offset1:40
	s_mul_i32 s35, s35, s16
	s_add_i32 s35, s0, s35
	s_mul_i32 s0, s33, s19
	s_mul_hi_u32 s1, s33, s18
	s_ashr_i32 s3, s2, 31
	s_mul_i32 s12, s2, s29
	s_mul_hi_u32 s13, s2, s28
	s_waitcnt lgkmcnt(2)
	v_mfma_f32_16x16x16_bf16 a[4:7], v[20:21], v[6:7], a[4:7]
	s_add_i32 s0, s1, s0
	s_mul_i32 s1, s14, s18
	s_add_i32 s12, s13, s12
	s_mul_i32 s3, s3, s28
	s_waitcnt lgkmcnt(1)
	v_mfma_f32_16x16x16_bf16 a[8:11], v[20:21], v[10:11], a[8:11]
	s_add_i32 s1, s0, s1
	s_add_i32 s3, s12, s3
	s_lshl_b64 s[12:13], s[34:35], 2
	s_waitcnt lgkmcnt(0)
	v_mfma_f32_16x16x16_bf16 a[12:15], v[20:21], v[14:15], a[12:15]
	s_mul_i32 s0, s33, s18
	s_add_u32 s10, s10, s12
	s_addc_u32 s11, s11, s13
	s_lshl_b64 s[0:1], s[0:1], 2
	v_mfma_f32_16x16x16_bf16 a[0:3], v[34:35], v[4:5], a[0:3]
	s_mul_i32 s2, s2, s28
	ds_read_b64 v[2:3], v26 offset:22528
	s_add_u32 s10, s10, s0
	v_mfma_f32_16x16x16_bf16 a[4:7], v[34:35], v[8:9], a[4:7]
	ds_read_b64 v[4:5], v31 offset:22528
	ds_read_b64 v[6:7], v32 offset:22528
	;; [unrolled: 1-line block ×3, first 2 shown]
	s_addc_u32 s11, s11, s1
	s_lshl_b64 s[0:1], s[2:3], 2
	v_mfma_f32_16x16x16_bf16 a[8:11], v[34:35], v[12:13], a[8:11]
	s_add_u32 s0, s10, s0
	s_addc_u32 s1, s11, s1
	s_load_dword s12, s[0:1], 0x0
	v_mfma_f32_16x16x16_bf16 a[12:15], v[34:35], v[16:17], a[12:15]
	s_and_b64 vcc, exec, s[26:27]
	s_waitcnt lgkmcnt(0)
	v_mfma_f32_16x16x16_bf16 a[0:3], v[36:37], v[2:3], a[0:3]
	v_mfma_f32_16x16x16_bf16 a[4:7], v[36:37], v[4:5], a[4:7]
	;; [unrolled: 1-line block ×4, first 2 shown]
	s_cbranch_vccz .LBB128_42
; %bb.32:
	v_lshlrev_b32_e32 v20, 1, v25
	s_and_b64 vcc, exec, s[6:7]
	s_cbranch_vccz .LBB128_43
; %bb.33:
	v_cmp_gt_i32_e32 vcc, s41, v20
	v_mov_b32_e32 v6, 0
	v_mov_b32_e32 v2, 0
	;; [unrolled: 1-line block ×5, first 2 shown]
	s_and_saveexec_b64 s[0:1], vcc
	s_cbranch_execz .LBB128_35
; %bb.34:
	v_mad_i64_i32 v[2:3], s[2:3], s15, v20, 0
	v_lshl_add_u64 v[2:3], v[2:3], 1, s[4:5]
	v_lshlrev_b32_e32 v4, 1, v18
	v_mov_b32_e32 v5, 0
	v_lshl_add_u64 v[2:3], v[2:3], 0, v[4:5]
	global_load_dwordx4 v[2:5], v[2:3], off
.LBB128_35:
	s_or_b64 exec, exec, s[0:1]
	v_or_b32_e32 v21, 1, v20
	v_cmp_gt_i32_e64 s[0:1], s41, v21
	v_mov_b32_e32 v7, 0
	v_mov_b32_e32 v8, 0
	;; [unrolled: 1-line block ×3, first 2 shown]
	s_and_saveexec_b64 s[2:3], s[0:1]
	s_cbranch_execz .LBB128_37
; %bb.36:
	v_mad_i64_i32 v[6:7], s[16:17], s15, v21, 0
	v_lshl_add_u64 v[6:7], v[6:7], 1, s[4:5]
	v_lshlrev_b32_e32 v8, 1, v18
	v_mov_b32_e32 v9, 0
	v_lshl_add_u64 v[6:7], v[6:7], 0, v[8:9]
	global_load_dwordx4 v[6:9], v[6:7], off
.LBB128_37:
	s_or_b64 exec, exec, s[2:3]
	v_mov_b32_e32 v17, 0
	v_mov_b32_e32 v10, 0
	;; [unrolled: 1-line block ×5, first 2 shown]
	s_and_saveexec_b64 s[2:3], vcc
	s_cbranch_execz .LBB128_39
; %bb.38:
	v_mad_i64_i32 v[10:11], s[16:17], s15, v20, 0
	v_lshl_add_u64 v[10:11], v[10:11], 1, s[4:5]
	v_lshlrev_b32_e32 v12, 1, v18
	v_mov_b32_e32 v13, 0
	v_lshl_add_u64 v[10:11], v[10:11], 0, v[12:13]
	global_load_dwordx4 v[10:13], v[10:11], off offset:128
.LBB128_39:
	s_or_b64 exec, exec, s[2:3]
	v_mov_b32_e32 v16, 0
	v_mov_b32_e32 v15, 0
	;; [unrolled: 1-line block ×3, first 2 shown]
	s_and_saveexec_b64 s[2:3], s[0:1]
	s_cbranch_execz .LBB128_41
; %bb.40:
	v_mad_i64_i32 v[14:15], s[0:1], s15, v21, 0
	v_lshl_add_u64 v[14:15], v[14:15], 1, s[4:5]
	v_lshlrev_b32_e32 v16, 1, v18
	v_mov_b32_e32 v17, 0
	v_lshl_add_u64 v[14:15], v[14:15], 0, v[16:17]
	global_load_dwordx4 v[14:17], v[14:15], off offset:128
.LBB128_41:
	s_or_b64 exec, exec, s[2:3]
	s_branch .LBB128_45
.LBB128_42:
                                        ; implicit-def: $vgpr5
                                        ; implicit-def: $vgpr9
                                        ; implicit-def: $vgpr13
                                        ; implicit-def: $vgpr17
	v_lshrrev_b32_e32 v34, 2, v73
	s_branch .LBB128_46
.LBB128_43:
                                        ; implicit-def: $vgpr5
                                        ; implicit-def: $vgpr9
                                        ; implicit-def: $vgpr13
                                        ; implicit-def: $vgpr17
	s_cbranch_execz .LBB128_45
; %bb.44:
	s_waitcnt vmcnt(0)
	v_mad_u64_u32 v[2:3], s[0:1], v20, s15, v[18:19]
	v_lshlrev_b32_e32 v20, 1, v2
	s_lshl_b32 s2, s15, 7
	s_and_b32 s1, s5, 0xffff
	s_mov_b32 s3, 0x20000
	s_mov_b32 s0, s4
	v_add_lshl_u32 v21, v2, s15, 1
	s_movk_i32 s13, 0x80
	buffer_load_dwordx4 v[2:5], v20, s[0:3], 0 offen
	buffer_load_dwordx4 v[10:13], v20, s[0:3], s13 offen
	;; [unrolled: 1-line block ×4, first 2 shown]
.LBB128_45:
	v_lshrrev_b32_e32 v34, 2, v73
	s_cbranch_execnz .LBB128_58
.LBB128_46:
	s_and_b64 vcc, exec, s[6:7]
	s_cbranch_vccz .LBB128_56
; %bb.47:
	s_waitcnt vmcnt(0)
	v_lshlrev_b32_e32 v7, 1, v25
	v_cmp_gt_i32_e32 vcc, s41, v7
	v_mov_b32_e32 v6, 0
	v_lshlrev_b32_e32 v14, 9, v25
	v_mov_b32_e32 v2, 0
	v_mov_b32_e32 v3, 0
	;; [unrolled: 1-line block ×4, first 2 shown]
	s_and_saveexec_b64 s[0:1], vcc
	s_cbranch_execz .LBB128_49
; %bb.48:
	v_mov_b32_e32 v15, 0
	v_lshl_add_u64 v[2:3], s[4:5], 0, v[14:15]
	v_lshlrev_b32_e32 v4, 1, v18
	v_mov_b32_e32 v5, v15
	v_lshl_add_u64 v[2:3], v[2:3], 0, v[4:5]
	global_load_dwordx4 v[2:5], v[2:3], off
.LBB128_49:
	s_or_b64 exec, exec, s[0:1]
	v_or_b32_e32 v7, 1, v7
	v_cmp_gt_i32_e64 s[0:1], s41, v7
	v_lshlrev_b32_e32 v20, 8, v7
	v_mov_b32_e32 v7, 0
	v_mov_b32_e32 v8, 0
	;; [unrolled: 1-line block ×3, first 2 shown]
	s_and_saveexec_b64 s[2:3], s[0:1]
	s_cbranch_execz .LBB128_51
; %bb.50:
	v_mov_b32_e32 v21, 0
	v_lshl_add_u64 v[6:7], s[4:5], 0, v[20:21]
	v_lshlrev_b32_e32 v8, 1, v18
	v_mov_b32_e32 v9, v21
	v_lshl_add_u64 v[6:7], v[6:7], 0, v[8:9]
	global_load_dwordx4 v[6:9], v[6:7], off
.LBB128_51:
	s_or_b64 exec, exec, s[2:3]
	v_mov_b32_e32 v17, 0
	v_mov_b32_e32 v10, 0
	;; [unrolled: 1-line block ×5, first 2 shown]
	s_and_saveexec_b64 s[2:3], vcc
	s_cbranch_execz .LBB128_53
; %bb.52:
	v_mov_b32_e32 v15, 0
	v_lshl_add_u64 v[10:11], s[4:5], 0, v[14:15]
	v_lshlrev_b32_e32 v14, 1, v18
	v_lshl_add_u64 v[10:11], v[10:11], 0, v[14:15]
	global_load_dwordx4 v[10:13], v[10:11], off offset:128
.LBB128_53:
	s_or_b64 exec, exec, s[2:3]
	v_mov_b32_e32 v16, 0
	v_mov_b32_e32 v15, 0
	;; [unrolled: 1-line block ×3, first 2 shown]
	s_and_saveexec_b64 s[2:3], s[0:1]
	s_cbranch_execz .LBB128_55
; %bb.54:
	v_mov_b32_e32 v21, 0
	v_lshl_add_u64 v[14:15], s[4:5], 0, v[20:21]
	v_lshlrev_b32_e32 v20, 1, v18
	v_lshl_add_u64 v[14:15], v[14:15], 0, v[20:21]
	global_load_dwordx4 v[14:17], v[14:15], off offset:128
.LBB128_55:
	s_or_b64 exec, exec, s[2:3]
	s_branch .LBB128_58
.LBB128_56:
                                        ; implicit-def: $vgpr5
                                        ; implicit-def: $vgpr9
                                        ; implicit-def: $vgpr13
                                        ; implicit-def: $vgpr17
	s_cbranch_execz .LBB128_58
; %bb.57:
	s_waitcnt vmcnt(0)
	v_lshlrev_b32_e32 v2, 1, v18
	v_lshl_or_b32 v18, v25, 9, v2
	s_and_b32 s5, s5, 0xffff
	s_mov_b32 s7, 0x20000
	s_movk_i32 s6, 0x4000
	s_movk_i32 s0, 0x80
	buffer_load_dwordx4 v[2:5], v18, s[4:7], 0 offen
	buffer_load_dwordx4 v[6:9], v18, s[4:7], 0 offen offset:256
	buffer_load_dwordx4 v[10:13], v18, s[4:7], s0 offen
	buffer_load_dwordx4 v[14:17], v18, s[4:7], s0 offen offset:256
.LBB128_58:
	ds_read_b64 v[20:21], v27 offset:57344
	v_add_u32_e32 v18, 0x6000, v26
	ds_read2_b64 v[36:39], v18 offset1:16
	ds_read_b64 v[52:53], v28 offset:57344
	ds_read_b64 v[28:29], v29 offset:57344
	;; [unrolled: 1-line block ×3, first 2 shown]
	ds_read2st64_b64 v[40:43], v26 offset0:52 offset1:56
	s_mov_b32 s0, 0x1000504
	s_mov_b32 s1, 0x3020706
	s_waitcnt lgkmcnt(4)
	v_mfma_f32_16x16x16_bf16 a[0:3], v[20:21], v[36:37], a[0:3]
	v_mfma_f32_16x16x16_bf16 a[4:7], v[20:21], v[38:39], a[4:7]
	ds_read2_b64 v[36:39], v18 offset0:32 offset1:48
	v_and_b32_e32 v18, 6, v0
	v_xor_b32_e32 v25, v25, v18
	s_waitcnt lgkmcnt(0)
	v_mfma_f32_16x16x16_bf16 a[8:11], v[20:21], v[36:37], a[8:11]
	v_lshlrev_b32_e32 v25, 2, v25
	v_and_b32_e32 v0, 1, v0
	v_xor_b32_e32 v35, 0x440, v25
	v_mfma_f32_16x16x16_bf16 a[12:15], v[20:21], v[38:39], a[12:15]
	ds_read2st64_b64 v[36:39], v31 offset0:52 offset1:56
	ds_read2st64_b64 v[44:47], v32 offset0:52 offset1:56
	;; [unrolled: 1-line block ×3, first 2 shown]
	v_cmp_eq_u32_e32 vcc, 0, v0
	ds_read_b64 v[20:21], v26 offset:30720
	ds_read_b64 v[26:27], v31 offset:30720
	;; [unrolled: 1-line block ×4, first 2 shown]
	v_mfma_f32_16x16x16_bf16 a[0:3], v[52:53], v[40:41], a[0:3]
	v_cndmask_b32_e32 v0, v35, v25, vcc
	v_lshl_or_b32 v0, v18, 10, v0
	s_waitcnt vmcnt(0)
	v_perm_b32 v18, v2, v6, s0
	s_waitcnt lgkmcnt(6)
	v_mfma_f32_16x16x16_bf16 a[4:7], v[52:53], v[36:37], a[4:7]
	v_perm_b32 v25, v10, v14, s0
	ds_write2st64_b32 v0, v18, v25 offset0:128 offset1:160
	v_xor_b32_e32 v18, 8, v0
	s_waitcnt lgkmcnt(6)
	v_mfma_f32_16x16x16_bf16 a[8:11], v[52:53], v[44:45], a[8:11]
	v_perm_b32 v2, v2, v6, s1
	v_perm_b32 v6, v10, v14, s1
	v_add_u32_e32 v10, 0x80, v18
	s_waitcnt lgkmcnt(5)
	v_mfma_f32_16x16x16_bf16 a[12:15], v[52:53], v[48:49], a[12:15]
	ds_write2st64_b32 v10, v2, v6 offset0:128 offset1:160
	v_xor_b32_e32 v2, 16, v0
	v_perm_b32 v6, v3, v7, s0
	v_mfma_f32_16x16x16_bf16 a[0:3], v[28:29], v[42:43], a[0:3]
	v_perm_b32 v10, v11, v15, s0
	ds_write2st64_b32 v2, v6, v10 offset0:129 offset1:161
	v_xor_b32_e32 v2, 24, v0
	v_mfma_f32_16x16x16_bf16 a[4:7], v[28:29], v[38:39], a[4:7]
	v_perm_b32 v3, v3, v7, s1
	v_perm_b32 v6, v11, v15, s1
	v_add_u32_e32 v2, 0x80, v2
	v_mfma_f32_16x16x16_bf16 a[16:19], v[28:29], v[46:47], a[8:11]
	ds_write2st64_b32 v2, v3, v6 offset0:129 offset1:161
	v_xor_b32_e32 v2, 32, v0
	v_perm_b32 v3, v4, v8, s0
	v_mfma_f32_16x16x16_bf16 a[20:23], v[28:29], v[50:51], a[12:15]
	v_perm_b32 v6, v12, v16, s0
	ds_write2st64_b32 v2, v3, v6 offset0:130 offset1:162
	v_xor_b32_e32 v2, 40, v0
	s_waitcnt lgkmcnt(8)
	v_mfma_f32_16x16x16_bf16 a[12:15], v[54:55], v[20:21], a[0:3]
	v_perm_b32 v3, v4, v8, s1
	v_perm_b32 v4, v12, v16, s1
	v_add_u32_e32 v2, 0x80, v2
	s_waitcnt lgkmcnt(7)
	v_mfma_f32_16x16x16_bf16 a[8:11], v[54:55], v[26:27], a[4:7]
	ds_write2st64_b32 v2, v3, v4 offset0:130 offset1:162
	v_xor_b32_e32 v2, 48, v0
	v_perm_b32 v3, v5, v9, s0
	s_waitcnt lgkmcnt(7)
	v_mfma_f32_16x16x16_bf16 a[4:7], v[54:55], v[30:31], a[16:19]
	v_perm_b32 v4, v13, v17, s0
	v_xor_b32_e32 v0, 56, v0
	v_and_or_b32 v18, v34, 12, v1
	s_waitcnt lgkmcnt(6)
	v_mfma_f32_16x16x16_bf16 a[0:3], v[54:55], v[32:33], a[20:23]
	ds_write2st64_b32 v2, v3, v4 offset0:131 offset1:163
	v_perm_b32 v2, v5, v9, s1
	v_perm_b32 v3, v13, v17, s1
	v_add_u32_e32 v0, 0x80, v0
	v_cmp_gt_i32_e32 vcc, s41, v18
	v_mov_b32_e32 v14, 0
	v_mov_b32_e32 v16, 0
	ds_write2st64_b32 v0, v2, v3 offset0:131 offset1:163
	s_and_saveexec_b64 s[0:1], vcc
	s_cbranch_execz .LBB128_60
; %bb.59:
	v_add_u32_e32 v0, s40, v18
	v_ashrrev_i32_e32 v1, 31, v0
	v_mul_lo_u32 v2, v1, s28
	v_mul_lo_u32 v3, v0, s29
	v_mad_u64_u32 v[0:1], s[2:3], v0, s28, 0
	v_add3_u32 v1, v1, v3, v2
	v_lshl_add_u64 v[0:1], v[0:1], 2, s[10:11]
	global_load_dword v0, v[0:1], off
	s_waitcnt vmcnt(0)
	v_sub_f32_e32 v0, s12, v0
	v_mul_f32_e32 v0, 0x3fb8aa3b, v0
	v_exp_f32_e32 v16, v0
.LBB128_60:
	s_or_b64 exec, exec, s[0:1]
	v_or_b32_e32 v8, 1, v18
	v_cmp_gt_i32_e64 s[0:1], s41, v8
	s_and_saveexec_b64 s[2:3], s[0:1]
	s_cbranch_execz .LBB128_62
; %bb.61:
	v_add_u32_e32 v0, s40, v8
	v_ashrrev_i32_e32 v1, 31, v0
	v_mul_lo_u32 v2, v1, s28
	v_mul_lo_u32 v3, v0, s29
	v_mad_u64_u32 v[0:1], s[4:5], v0, s28, 0
	v_add3_u32 v1, v1, v3, v2
	v_lshl_add_u64 v[0:1], v[0:1], 2, s[10:11]
	global_load_dword v0, v[0:1], off
	s_waitcnt vmcnt(0)
	v_sub_f32_e32 v0, s12, v0
	v_mul_f32_e32 v0, 0x3fb8aa3b, v0
	v_exp_f32_e32 v14, v0
.LBB128_62:
	s_or_b64 exec, exec, s[2:3]
	v_or_b32_e32 v10, 2, v18
	v_cmp_gt_i32_e64 s[2:3], s41, v10
	v_mov_b32_e32 v15, 0
	v_mov_b32_e32 v17, 0
	s_and_saveexec_b64 s[4:5], s[2:3]
	s_cbranch_execz .LBB128_64
; %bb.63:
	v_add_u32_e32 v0, s40, v10
	v_ashrrev_i32_e32 v1, 31, v0
	v_mul_lo_u32 v2, v1, s28
	v_mul_lo_u32 v3, v0, s29
	v_mad_u64_u32 v[0:1], s[6:7], v0, s28, 0
	v_add3_u32 v1, v1, v3, v2
	v_lshl_add_u64 v[0:1], v[0:1], 2, s[10:11]
	global_load_dword v0, v[0:1], off
	s_waitcnt vmcnt(0)
	v_sub_f32_e32 v0, s12, v0
	v_mul_f32_e32 v0, 0x3fb8aa3b, v0
	v_exp_f32_e32 v17, v0
.LBB128_64:
	s_or_b64 exec, exec, s[4:5]
	v_or_b32_e32 v12, 3, v18
	v_cmp_gt_i32_e64 s[4:5], s41, v12
	s_and_saveexec_b64 s[6:7], s[4:5]
	s_cbranch_execz .LBB128_66
; %bb.65:
	v_add_u32_e32 v0, s40, v12
	v_ashrrev_i32_e32 v1, 31, v0
	v_mul_lo_u32 v2, v1, s28
	v_mul_lo_u32 v3, v0, s29
	v_mad_u64_u32 v[0:1], s[14:15], v0, s28, 0
	v_add3_u32 v1, v1, v3, v2
	v_lshl_add_u64 v[0:1], v[0:1], 2, s[10:11]
	global_load_dword v0, v[0:1], off
	s_waitcnt vmcnt(0)
	v_sub_f32_e32 v0, s12, v0
	v_mul_f32_e32 v0, 0x3fb8aa3b, v0
	v_exp_f32_e32 v15, v0
.LBB128_66:
	s_or_b64 exec, exec, s[6:7]
	v_or_b32_e32 v4, s30, v72
	s_add_u32 s6, s8, s24
	v_accvgpr_read_b32 v0, a12
	s_addc_u32 s7, s9, s25
	v_ashrrev_i32_e32 v5, 31, v4
	v_accvgpr_read_b32 v1, a13
	v_accvgpr_read_b32 v2, a14
	;; [unrolled: 1-line block ×3, first 2 shown]
	v_lshl_add_u64 v[4:5], v[4:5], 1, s[6:7]
	v_mov_b32_e32 v9, 0
	v_lshlrev_b32_e32 v6, 8, v18
	v_mov_b32_e32 v7, 0
	s_and_saveexec_b64 s[6:7], vcc
	s_cbranch_execz .LBB128_68
; %bb.67:
	v_mov_b32_e32 v7, 0
	v_lshl_add_u64 v[20:21], v[4:5], 0, v[6:7]
	global_load_ushort v7, v[20:21], off
	s_waitcnt vmcnt(0)
	v_lshlrev_b32_e32 v7, 16, v7
	v_sub_f32_e32 v0, v7, v0
	v_mul_f32_e32 v0, v16, v0
	v_lshrrev_b32_e32 v7, 16, v0
.LBB128_68:
	s_or_b64 exec, exec, s[6:7]
	v_lshlrev_b32_e32 v8, 8, v8
	s_and_saveexec_b64 s[6:7], s[0:1]
	s_cbranch_execz .LBB128_70
; %bb.69:
	v_mov_b32_e32 v9, 0
	v_lshl_add_u64 v[20:21], v[4:5], 0, v[8:9]
	global_load_ushort v0, v[20:21], off
	s_waitcnt vmcnt(0)
	v_lshlrev_b32_e32 v0, 16, v0
	v_sub_f32_e32 v0, v0, v1
	v_mul_f32_e32 v0, v14, v0
	v_lshrrev_b32_e32 v9, 16, v0
.LBB128_70:
	s_or_b64 exec, exec, s[6:7]
	v_mov_b32_e32 v13, 0
	v_lshlrev_b32_e32 v10, 8, v10
	v_mov_b32_e32 v11, 0
	s_and_saveexec_b64 s[6:7], s[2:3]
	s_cbranch_execz .LBB128_72
; %bb.71:
	v_mov_b32_e32 v11, 0
	v_lshl_add_u64 v[0:1], v[4:5], 0, v[10:11]
	global_load_ushort v0, v[0:1], off
	s_waitcnt vmcnt(0)
	v_lshlrev_b32_e32 v0, 16, v0
	v_sub_f32_e32 v0, v0, v2
	v_mul_f32_e32 v0, v17, v0
	v_lshrrev_b32_e32 v11, 16, v0
.LBB128_72:
	s_or_b64 exec, exec, s[6:7]
	v_lshlrev_b32_e32 v12, 8, v12
	s_and_saveexec_b64 s[6:7], s[4:5]
	s_cbranch_execz .LBB128_74
; %bb.73:
	v_mov_b32_e32 v13, 0
	v_lshl_add_u64 v[0:1], v[4:5], 0, v[12:13]
	global_load_ushort v0, v[0:1], off
	s_waitcnt vmcnt(0)
	v_lshlrev_b32_e32 v0, 16, v0
	v_sub_f32_e32 v0, v0, v3
	v_mul_f32_e32 v0, v15, v0
	v_lshrrev_b32_e32 v13, 16, v0
.LBB128_74:
	s_or_b64 exec, exec, s[6:7]
	v_lshlrev_b32_e32 v18, 6, v18
	s_mov_b32 s6, 0x5040100
	v_perm_b32 v20, v9, v7, s6
	v_or_b32_e32 v7, v18, v24
	v_accvgpr_read_b32 v0, a8
	v_perm_b32 v21, v13, v11, s6
	v_lshlrev_b32_e32 v7, 1, v7
	v_accvgpr_read_b32 v1, a9
	v_accvgpr_read_b32 v2, a10
	;; [unrolled: 1-line block ×3, first 2 shown]
	ds_write_b64 v7, v[20:21] offset:24576
	v_mov_b32_e32 v9, 0
	v_mov_b32_e32 v7, 0
	s_and_saveexec_b64 s[6:7], vcc
	s_cbranch_execz .LBB128_76
; %bb.75:
	v_mov_b32_e32 v7, 0
	v_lshl_add_u64 v[20:21], v[4:5], 0, v[6:7]
	global_load_ushort v7, v[20:21], off offset:32
	s_waitcnt vmcnt(0)
	v_lshlrev_b32_e32 v7, 16, v7
	v_sub_f32_e32 v0, v7, v0
	v_mul_f32_e32 v0, v16, v0
	v_lshrrev_b32_e32 v7, 16, v0
.LBB128_76:
	s_or_b64 exec, exec, s[6:7]
	s_and_saveexec_b64 s[6:7], s[0:1]
	s_cbranch_execz .LBB128_78
; %bb.77:
	v_mov_b32_e32 v9, 0
	v_lshl_add_u64 v[20:21], v[4:5], 0, v[8:9]
	global_load_ushort v0, v[20:21], off offset:32
	s_waitcnt vmcnt(0)
	v_lshlrev_b32_e32 v0, 16, v0
	v_sub_f32_e32 v0, v0, v1
	v_mul_f32_e32 v0, v14, v0
	v_lshrrev_b32_e32 v9, 16, v0
.LBB128_78:
	s_or_b64 exec, exec, s[6:7]
	v_mov_b32_e32 v13, 0
	v_mov_b32_e32 v11, 0
	s_and_saveexec_b64 s[6:7], s[2:3]
	s_cbranch_execz .LBB128_80
; %bb.79:
	v_mov_b32_e32 v11, 0
	v_lshl_add_u64 v[0:1], v[4:5], 0, v[10:11]
	global_load_ushort v0, v[0:1], off offset:32
	s_waitcnt vmcnt(0)
	v_lshlrev_b32_e32 v0, 16, v0
	v_sub_f32_e32 v0, v0, v2
	v_mul_f32_e32 v0, v17, v0
	v_lshrrev_b32_e32 v11, 16, v0
.LBB128_80:
	s_or_b64 exec, exec, s[6:7]
	s_and_saveexec_b64 s[6:7], s[4:5]
	s_cbranch_execz .LBB128_82
; %bb.81:
	v_mov_b32_e32 v13, 0
	v_lshl_add_u64 v[0:1], v[4:5], 0, v[12:13]
	global_load_ushort v0, v[0:1], off offset:32
	s_waitcnt vmcnt(0)
	v_lshlrev_b32_e32 v0, 16, v0
	v_sub_f32_e32 v0, v0, v3
	v_mul_f32_e32 v0, v15, v0
	v_lshrrev_b32_e32 v13, 16, v0
.LBB128_82:
	s_or_b64 exec, exec, s[6:7]
	s_mov_b32 s6, 0x5040100
	v_perm_b32 v20, v9, v7, s6
	v_or_b32_e32 v7, v18, v23
	v_accvgpr_read_b32 v0, a4
	v_perm_b32 v21, v13, v11, s6
	v_lshlrev_b32_e32 v7, 1, v7
	v_accvgpr_read_b32 v1, a5
	v_accvgpr_read_b32 v2, a6
	;; [unrolled: 1-line block ×3, first 2 shown]
	ds_write_b64 v7, v[20:21] offset:24576
	v_mov_b32_e32 v9, 0
	v_mov_b32_e32 v7, 0
	s_and_saveexec_b64 s[6:7], vcc
	s_cbranch_execz .LBB128_84
; %bb.83:
	v_mov_b32_e32 v7, 0
	v_lshl_add_u64 v[20:21], v[4:5], 0, v[6:7]
	global_load_ushort v7, v[20:21], off offset:64
	s_waitcnt vmcnt(0)
	v_lshlrev_b32_e32 v7, 16, v7
	v_sub_f32_e32 v0, v7, v0
	v_mul_f32_e32 v0, v16, v0
	v_lshrrev_b32_e32 v7, 16, v0
.LBB128_84:
	s_or_b64 exec, exec, s[6:7]
	s_and_saveexec_b64 s[6:7], s[0:1]
	s_cbranch_execz .LBB128_86
; %bb.85:
	v_mov_b32_e32 v9, 0
	v_lshl_add_u64 v[20:21], v[4:5], 0, v[8:9]
	global_load_ushort v0, v[20:21], off offset:64
	s_waitcnt vmcnt(0)
	v_lshlrev_b32_e32 v0, 16, v0
	v_sub_f32_e32 v0, v0, v1
	v_mul_f32_e32 v0, v14, v0
	v_lshrrev_b32_e32 v9, 16, v0
.LBB128_86:
	s_or_b64 exec, exec, s[6:7]
	v_mov_b32_e32 v13, 0
	v_mov_b32_e32 v11, 0
	s_and_saveexec_b64 s[6:7], s[2:3]
	s_cbranch_execz .LBB128_88
; %bb.87:
	v_mov_b32_e32 v11, 0
	v_lshl_add_u64 v[0:1], v[4:5], 0, v[10:11]
	global_load_ushort v0, v[0:1], off offset:64
	s_waitcnt vmcnt(0)
	v_lshlrev_b32_e32 v0, 16, v0
	v_sub_f32_e32 v0, v0, v2
	v_mul_f32_e32 v0, v17, v0
	v_lshrrev_b32_e32 v11, 16, v0
.LBB128_88:
	s_or_b64 exec, exec, s[6:7]
	s_and_saveexec_b64 s[6:7], s[4:5]
	s_cbranch_execz .LBB128_90
; %bb.89:
	v_mov_b32_e32 v13, 0
	v_lshl_add_u64 v[0:1], v[4:5], 0, v[12:13]
	global_load_ushort v0, v[0:1], off offset:64
	s_waitcnt vmcnt(0)
	v_lshlrev_b32_e32 v0, 16, v0
	v_sub_f32_e32 v0, v0, v3
	v_mul_f32_e32 v0, v15, v0
	v_lshrrev_b32_e32 v13, 16, v0
.LBB128_90:
	s_or_b64 exec, exec, s[6:7]
	s_mov_b32 s6, 0x5040100
	v_perm_b32 v20, v9, v7, s6
	v_or_b32_e32 v7, v18, v22
	v_accvgpr_read_b32 v0, a0
	v_perm_b32 v21, v13, v11, s6
	v_lshlrev_b32_e32 v7, 1, v7
	v_accvgpr_read_b32 v1, a1
	v_accvgpr_read_b32 v2, a2
	;; [unrolled: 1-line block ×3, first 2 shown]
	ds_write_b64 v7, v[20:21] offset:24576
	v_mov_b32_e32 v9, 0
	v_mov_b32_e32 v7, 0
	s_and_saveexec_b64 s[6:7], vcc
	s_cbranch_execz .LBB128_92
; %bb.91:
	v_mov_b32_e32 v7, 0
	v_lshl_add_u64 v[6:7], v[4:5], 0, v[6:7]
	global_load_ushort v6, v[6:7], off offset:96
	s_waitcnt vmcnt(0)
	v_lshlrev_b32_e32 v6, 16, v6
	v_sub_f32_e32 v0, v6, v0
	v_mul_f32_e32 v0, v16, v0
	v_lshrrev_b32_e32 v7, 16, v0
.LBB128_92:
	s_or_b64 exec, exec, s[6:7]
	s_and_saveexec_b64 s[6:7], s[0:1]
	s_cbranch_execz .LBB128_94
; %bb.93:
	v_mov_b32_e32 v9, 0
	v_lshl_add_u64 v[8:9], v[4:5], 0, v[8:9]
	global_load_ushort v0, v[8:9], off offset:96
	s_waitcnt vmcnt(0)
	v_lshlrev_b32_e32 v0, 16, v0
	v_sub_f32_e32 v0, v0, v1
	v_mul_f32_e32 v0, v14, v0
	v_lshrrev_b32_e32 v9, 16, v0
.LBB128_94:
	s_or_b64 exec, exec, s[6:7]
	v_mov_b32_e32 v0, 0
	v_mov_b32_e32 v1, 0
	s_and_saveexec_b64 s[0:1], s[2:3]
	s_cbranch_execz .LBB128_96
; %bb.95:
	v_mov_b32_e32 v11, 0
	v_lshl_add_u64 v[10:11], v[4:5], 0, v[10:11]
	global_load_ushort v1, v[10:11], off offset:96
	s_waitcnt vmcnt(0)
	v_lshlrev_b32_e32 v1, 16, v1
	v_sub_f32_e32 v1, v1, v2
	v_mul_f32_e32 v1, v17, v1
	v_lshrrev_b32_e32 v1, 16, v1
.LBB128_96:
	s_or_b64 exec, exec, s[0:1]
	s_and_saveexec_b64 s[0:1], s[4:5]
	s_cbranch_execz .LBB128_98
; %bb.97:
	v_mov_b32_e32 v13, 0
	v_lshl_add_u64 v[4:5], v[4:5], 0, v[12:13]
	global_load_ushort v0, v[4:5], off offset:96
	s_waitcnt vmcnt(0)
	v_lshlrev_b32_e32 v0, 16, v0
	v_sub_f32_e32 v0, v0, v3
	v_mul_f32_e32 v0, v15, v0
	v_lshrrev_b32_e32 v0, 16, v0
.LBB128_98:
	s_or_b64 exec, exec, s[0:1]
	s_mov_b32 s0, 0x5040100
	v_or_b32_e32 v2, v18, v19
	v_perm_b32 v1, v0, v1, s0
	v_perm_b32 v0, v9, v7, s0
	v_lshlrev_b32_e32 v2, 1, v2
	ds_write_b64 v2, v[0:1] offset:24576
	s_waitcnt lgkmcnt(0)
	s_barrier
.LBB128_99:
	s_endpgm
	.section	.rodata,"a",@progbits
	.p2align	6, 0x0
	.amdhsa_kernel _ZN12_GLOBAL__N_139chunk_gated_delta_rule_fwd_h_hip_kernelILi64ELb0ELb0ELb0ELb0ELb0ELb0ELb0ELb1EEEvPK12hip_bfloat16S3_S3_PKfS5_PKvPS1_S8_PvPKiSB_iiiiilll
		.amdhsa_group_segment_fixed_size 65536
		.amdhsa_private_segment_fixed_size 0
		.amdhsa_kernarg_size 136
		.amdhsa_user_sgpr_count 2
		.amdhsa_user_sgpr_dispatch_ptr 0
		.amdhsa_user_sgpr_queue_ptr 0
		.amdhsa_user_sgpr_kernarg_segment_ptr 1
		.amdhsa_user_sgpr_dispatch_id 0
		.amdhsa_user_sgpr_kernarg_preload_length 0
		.amdhsa_user_sgpr_kernarg_preload_offset 0
		.amdhsa_user_sgpr_private_segment_size 0
		.amdhsa_uses_dynamic_stack 0
		.amdhsa_enable_private_segment 0
		.amdhsa_system_sgpr_workgroup_id_x 1
		.amdhsa_system_sgpr_workgroup_id_y 1
		.amdhsa_system_sgpr_workgroup_id_z 0
		.amdhsa_system_sgpr_workgroup_info 0
		.amdhsa_system_vgpr_workitem_id 0
		.amdhsa_next_free_vgpr 216
		.amdhsa_next_free_sgpr 63
		.amdhsa_accum_offset 180
		.amdhsa_reserve_vcc 1
		.amdhsa_float_round_mode_32 0
		.amdhsa_float_round_mode_16_64 0
		.amdhsa_float_denorm_mode_32 3
		.amdhsa_float_denorm_mode_16_64 3
		.amdhsa_dx10_clamp 1
		.amdhsa_ieee_mode 1
		.amdhsa_fp16_overflow 0
		.amdhsa_tg_split 0
		.amdhsa_exception_fp_ieee_invalid_op 0
		.amdhsa_exception_fp_denorm_src 0
		.amdhsa_exception_fp_ieee_div_zero 0
		.amdhsa_exception_fp_ieee_overflow 0
		.amdhsa_exception_fp_ieee_underflow 0
		.amdhsa_exception_fp_ieee_inexact 0
		.amdhsa_exception_int_div_zero 0
	.end_amdhsa_kernel
	.section	.text._ZN12_GLOBAL__N_139chunk_gated_delta_rule_fwd_h_hip_kernelILi64ELb0ELb0ELb0ELb0ELb0ELb0ELb0ELb1EEEvPK12hip_bfloat16S3_S3_PKfS5_PKvPS1_S8_PvPKiSB_iiiiilll,"axG",@progbits,_ZN12_GLOBAL__N_139chunk_gated_delta_rule_fwd_h_hip_kernelILi64ELb0ELb0ELb0ELb0ELb0ELb0ELb0ELb1EEEvPK12hip_bfloat16S3_S3_PKfS5_PKvPS1_S8_PvPKiSB_iiiiilll,comdat
.Lfunc_end128:
	.size	_ZN12_GLOBAL__N_139chunk_gated_delta_rule_fwd_h_hip_kernelILi64ELb0ELb0ELb0ELb0ELb0ELb0ELb0ELb1EEEvPK12hip_bfloat16S3_S3_PKfS5_PKvPS1_S8_PvPKiSB_iiiiilll, .Lfunc_end128-_ZN12_GLOBAL__N_139chunk_gated_delta_rule_fwd_h_hip_kernelILi64ELb0ELb0ELb0ELb0ELb0ELb0ELb0ELb1EEEvPK12hip_bfloat16S3_S3_PKfS5_PKvPS1_S8_PvPKiSB_iiiiilll
                                        ; -- End function
	.section	.AMDGPU.csdata,"",@progbits
; Kernel info:
; codeLenInByte = 10884
; NumSgprs: 69
; NumVgprs: 178
; NumAgprs: 36
; TotalNumVgprs: 216
; ScratchSize: 0
; MemoryBound: 0
; FloatMode: 240
; IeeeMode: 1
; LDSByteSize: 65536 bytes/workgroup (compile time only)
; SGPRBlocks: 8
; VGPRBlocks: 26
; NumSGPRsForWavesPerEU: 69
; NumVGPRsForWavesPerEU: 216
; AccumOffset: 180
; Occupancy: 1
; WaveLimiterHint : 1
; COMPUTE_PGM_RSRC2:SCRATCH_EN: 0
; COMPUTE_PGM_RSRC2:USER_SGPR: 2
; COMPUTE_PGM_RSRC2:TRAP_HANDLER: 0
; COMPUTE_PGM_RSRC2:TGID_X_EN: 1
; COMPUTE_PGM_RSRC2:TGID_Y_EN: 1
; COMPUTE_PGM_RSRC2:TGID_Z_EN: 0
; COMPUTE_PGM_RSRC2:TIDIG_COMP_CNT: 0
; COMPUTE_PGM_RSRC3_GFX90A:ACCUM_OFFSET: 44
; COMPUTE_PGM_RSRC3_GFX90A:TG_SPLIT: 0
	.section	.text._ZN12_GLOBAL__N_139chunk_gated_delta_rule_fwd_h_hip_kernelILi64ELb1ELb1ELb1ELb1ELb1ELb1ELb1ELb0EEEvPK12hip_bfloat16S3_S3_PKfS5_PKvPS1_S8_PvPKiSB_iiiiilll,"axG",@progbits,_ZN12_GLOBAL__N_139chunk_gated_delta_rule_fwd_h_hip_kernelILi64ELb1ELb1ELb1ELb1ELb1ELb1ELb1ELb0EEEvPK12hip_bfloat16S3_S3_PKfS5_PKvPS1_S8_PvPKiSB_iiiiilll,comdat
	.globl	_ZN12_GLOBAL__N_139chunk_gated_delta_rule_fwd_h_hip_kernelILi64ELb1ELb1ELb1ELb1ELb1ELb1ELb1ELb0EEEvPK12hip_bfloat16S3_S3_PKfS5_PKvPS1_S8_PvPKiSB_iiiiilll ; -- Begin function _ZN12_GLOBAL__N_139chunk_gated_delta_rule_fwd_h_hip_kernelILi64ELb1ELb1ELb1ELb1ELb1ELb1ELb1ELb0EEEvPK12hip_bfloat16S3_S3_PKfS5_PKvPS1_S8_PvPKiSB_iiiiilll
	.p2align	8
	.type	_ZN12_GLOBAL__N_139chunk_gated_delta_rule_fwd_h_hip_kernelILi64ELb1ELb1ELb1ELb1ELb1ELb1ELb1ELb0EEEvPK12hip_bfloat16S3_S3_PKfS5_PKvPS1_S8_PvPKiSB_iiiiilll,@function
_ZN12_GLOBAL__N_139chunk_gated_delta_rule_fwd_h_hip_kernelILi64ELb1ELb1ELb1ELb1ELb1ELb1ELb1ELb0EEEvPK12hip_bfloat16S3_S3_PKfS5_PKvPS1_S8_PvPKiSB_iiiiilll: ; @_ZN12_GLOBAL__N_139chunk_gated_delta_rule_fwd_h_hip_kernelILi64ELb1ELb1ELb1ELb1ELb1ELb1ELb1ELb0EEEvPK12hip_bfloat16S3_S3_PKfS5_PKvPS1_S8_PvPKiSB_iiiiilll
; %bb.0:
	s_load_dwordx4 s[28:31], s[0:1], 0x5c
	s_load_dwordx4 s[4:7], s[0:1], 0x70
	s_abs_i32 s11, s3
	s_ashr_i32 s10, s3, 31
	s_load_dwordx4 s[24:27], s[0:1], 0x40
	s_load_dwordx2 s[8:9], s[0:1], 0x50
	s_waitcnt lgkmcnt(0)
	s_abs_i32 s14, s29
	v_cvt_f32_u32_e32 v1, s14
	s_sub_i32 s12, 0, s14
	s_ashr_i32 s15, s29, 31
	s_xor_b32 s10, s10, s15
	v_rcp_iflag_f32_e32 v1, v1
	v_and_b32_e32 v99, 15, v0
	v_bfe_u32 v98, v0, 4, 2
	v_mov_b32_e32 v79, 0
	v_mul_f32_e32 v1, 0x4f7ffffe, v1
	v_cvt_u32_f32_e32 v1, v1
	v_lshlrev_b32_e32 v100, 3, v0
	v_readfirstlane_b32 s13, v1
	s_mul_i32 s12, s12, s13
	s_mul_hi_u32 s12, s13, s12
	s_add_i32 s13, s13, s12
	s_mul_hi_u32 s12, s11, s13
	s_mul_i32 s13, s12, s14
	s_sub_i32 s11, s11, s13
	s_add_i32 s16, s12, 1
	s_sub_i32 s13, s11, s14
	s_cmp_ge_u32 s11, s14
	s_cselect_b32 s12, s16, s12
	s_cselect_b32 s11, s13, s11
	s_add_i32 s13, s12, 1
	s_cmp_ge_u32 s11, s14
	s_cselect_b32 s11, s13, s12
	s_xor_b32 s11, s11, s10
	s_sub_i32 s36, s11, s10
	s_mul_i32 s16, s36, s29
	s_ashr_i32 s37, s36, 31
	s_sub_i32 s33, s3, s16
	s_lshl_b64 s[10:11], s[36:37], 2
	s_add_u32 s12, s26, s10
	s_addc_u32 s13, s27, s11
	s_add_u32 s38, s8, s10
	s_addc_u32 s39, s9, s11
	s_abs_i32 s3, s30
	v_cvt_f32_u32_e32 v1, s3
	s_load_dwordx2 s[34:35], s[12:13], 0x0
	s_sub_i32 s9, 0, s3
	s_lshl_b32 s2, s2, 6
	v_rcp_iflag_f32_e32 v1, v1
	v_or_b32_e32 v88, s2, v99
	s_waitcnt lgkmcnt(0)
	s_sub_i32 s56, s35, s34
	s_ashr_i32 s8, s56, 31
	v_mul_f32_e32 v1, 0x4f7ffffe, v1
	v_cvt_u32_f32_e32 v1, v1
	s_lshr_b32 s8, s8, 26
	s_add_i32 s8, s56, s8
	s_ashr_i32 s55, s8, 6
	v_readfirstlane_b32 s10, v1
	s_mul_i32 s9, s9, s10
	s_mul_hi_u32 s9, s10, s9
	s_add_i32 s10, s10, s9
	s_mul_hi_u32 s9, s14, s10
	s_mul_i32 s10, s9, s3
	s_ashr_i32 s8, s30, 31
	s_sub_i32 s10, s14, s10
	s_xor_b32 s8, s15, s8
	s_add_i32 s11, s9, 1
	s_sub_i32 s12, s10, s3
	s_cmp_ge_u32 s10, s3
	s_cselect_b32 s9, s11, s9
	s_cselect_b32 s10, s12, s10
	s_add_i32 s11, s9, 1
	s_cmp_ge_u32 s10, s3
	s_cselect_b32 s3, s11, s9
	s_xor_b32 s3, s3, s8
	s_sub_i32 s3, s3, s8
	s_abs_i32 s17, s3
	v_cvt_f32_u32_e32 v1, s17
	s_sub_i32 s19, 0, s17
	s_abs_i32 s18, s33
	s_xor_b32 s3, s33, s3
	v_rcp_iflag_f32_e32 v2, v1
	s_ashr_i32 s3, s3, 31
	s_load_dwordx8 s[8:15], s[0:1], 0x20
	v_lshrrev_b32_e32 v1, 6, v0
	v_mul_f32_e32 v2, 0x4f7ffffe, v2
	v_cvt_u32_f32_e32 v2, v2
	v_lshlrev_b32_e32 v77, 4, v1
	v_lshlrev_b32_e32 v80, 7, v88
	v_lshl_or_b32 v102, v98, 2, v77
	v_readfirstlane_b32 s20, v2
	s_mul_i32 s19, s19, s20
	s_mul_hi_u32 s19, s20, s19
	s_add_i32 s20, s20, s19
	s_mul_hi_u32 s19, s18, s20
	s_mul_i32 s20, s19, s17
	s_sub_i32 s18, s18, s20
	s_add_i32 s20, s19, 1
	s_sub_i32 s21, s18, s17
	s_cmp_ge_u32 s18, s17
	s_cselect_b32 s19, s20, s19
	s_cselect_b32 s18, s21, s18
	s_add_i32 s20, s19, 1
	s_cmp_ge_u32 s18, s17
	s_cselect_b32 s17, s20, s19
	s_xor_b32 s17, s17, s3
	s_sub_i32 s57, s17, s3
	s_ashr_i32 s48, s33, 31
	s_mul_hi_i32 s3, s36, s29
	s_add_u32 s16, s16, s33
	s_addc_u32 s17, s3, s48
	s_lshl_b64 s[26:27], s[16:17], 16
	s_waitcnt lgkmcnt(0)
	s_add_u32 s10, s10, s26
	s_addc_u32 s11, s11, s27
	v_ashrrev_i32_e32 v81, 31, v80
	v_lshl_add_u64 v[2:3], v[80:81], 2, s[10:11]
	v_lshlrev_b32_e32 v78, 2, v102
	v_or_b32_e32 v82, 0x800, v80
	v_lshl_add_u64 v[2:3], v[2:3], 0, v[78:79]
	v_ashrrev_i32_e32 v83, 31, v82
	global_load_dwordx4 v[22:25], v[2:3], off
	global_load_dwordx4 v[10:13], v[2:3], off offset:256
	v_lshl_add_u64 v[2:3], v[82:83], 2, s[10:11]
	v_or_b32_e32 v86, 0x1000, v80
	v_lshl_add_u64 v[2:3], v[2:3], 0, v[78:79]
	v_ashrrev_i32_e32 v87, 31, v86
	global_load_dwordx4 v[18:21], v[2:3], off
	global_load_dwordx4 v[14:17], v[2:3], off offset:256
	v_lshl_add_u64 v[2:3], v[86:87], 2, s[10:11]
	;; [unrolled: 6-line block ×3, first 2 shown]
	v_lshl_add_u64 v[34:35], v[2:3], 0, v[78:79]
	global_load_dwordx4 v[6:9], v[34:35], off
	global_load_dwordx4 v[2:5], v[34:35], off offset:256
	s_load_dwordx8 s[16:23], s[0:1], 0x0
	s_load_dwordx2 s[10:11], s[0:1], 0x80
	s_load_dword s58, s[38:39], 0x0
	v_and_b32_e32 v79, 63, v0
	v_or_b32_e32 v103, 64, v102
	s_cmp_lt_i32 s56, 64
	s_mul_hi_i32 s59, s33, s28
	s_mul_i32 s60, s33, s28
	v_lshrrev_b32_e32 v101, 3, v79
	s_mul_i32 s49, s36, s5
	s_mul_hi_u32 s51, s36, s4
	s_mul_i32 s50, s37, s4
	s_mul_i32 s42, s36, s4
	;; [unrolled: 1-line block ×3, first 2 shown]
	s_mul_hi_u32 s53, s33, s6
	s_mul_i32 s54, s48, s6
	s_mul_i32 s40, s33, s6
	s_cbranch_scc1 .LBB129_18
; %bb.1:
	s_ashr_i32 s1, s34, 31
	s_add_u32 s0, s60, s34
	s_addc_u32 s1, s59, s1
	s_lshl_b64 s[0:1], s[0:1], 8
	v_and_b32_e32 v105, 56, v100
	s_waitcnt lgkmcnt(0)
	s_add_u32 s4, s18, s0
	v_lshl_or_b32 v104, v1, 3, v101
	v_lshlrev_b32_e32 v34, 1, v105
	s_addc_u32 s0, s19, s1
	v_lshl_or_b32 v106, v104, 8, v34
	s_and_b32 s5, s0, 0xffff
	s_mov_b32 s7, 0x20000
	s_movk_i32 s6, 0x4000
	s_movk_i32 s0, 0x80
	v_or_b32_e32 v107, 0x2000, v106
	buffer_load_dwordx4 v[36:39], v106, s[4:7], 0 offen
	buffer_load_dwordx4 v[40:43], v106, s[4:7], s0 offen
	;; [unrolled: 1-line block ×4, first 2 shown]
	v_lshlrev_b32_e32 v35, 3, v104
	v_and_or_b32 v53, v0, 7, v35
	v_and_b32_e32 v35, 0x78, v35
	v_lshlrev_b32_e32 v53, 4, v53
	v_xor_b32_e32 v108, v53, v35
	v_mul_lo_u32 v52, v104, s31
	v_or_b32_e32 v109, 0x1000, v108
	v_xor_b32_e32 v35, 8, v108
	s_cmpk_eq_i32 s31, 0x80
	s_mov_b32 s61, s34
	v_xor_b32_e32 v53, 8, v109
	s_cselect_b64 s[0:1], -1, 0
	s_cmpk_lg_i32 s31, 0x80
	s_waitcnt vmcnt(3)
	ds_write_b64 v108, v[36:37] offset:49152
	ds_write_b64 v35, v[38:39] offset:49152
	s_waitcnt vmcnt(2)
	ds_write_b64 v108, v[40:41] offset:57344
	ds_write_b64 v35, v[42:43] offset:57344
	;; [unrolled: 3-line block ×4, first 2 shown]
	v_lshl_add_u32 v35, v52, 1, v105
	s_cbranch_scc0 .LBB129_3
; %bb.2:
	v_lshlrev_b32_e32 v37, 1, v35
	v_add_lshl_u32 v36, v35, s31, 1
	s_lshl_b32 s6, s31, 7
	v_lshl_or_b32 v34, v104, 9, v34
	s_cbranch_execz .LBB129_4
	s_branch .LBB129_5
.LBB129_3:
                                        ; implicit-def: $vgpr36
                                        ; implicit-def: $vgpr37
                                        ; implicit-def: $sgpr6
	v_lshl_or_b32 v34, v104, 9, v34
.LBB129_4:
	v_or_b32_e32 v36, 0x100, v34
	s_movk_i32 s6, 0x4000
	v_mov_b32_e32 v37, v34
.LBB129_5:
	s_mul_i32 s4, s34, s30
	s_ashr_i32 s62, s57, 31
	s_mul_hi_i32 s3, s34, s30
	s_add_u32 s4, s4, s57
	s_addc_u32 s5, s3, s62
	s_lshl_b64 s[4:5], s[4:5], 8
	s_add_u32 s4, s16, s4
	s_addc_u32 s3, s17, s5
	s_and_b32 s5, s3, 0xffff
	s_movk_i32 s63, 0x80
	buffer_load_dwordx4 v[38:41], v37, s[4:7], 0 offen
	buffer_load_dwordx4 v[42:45], v37, s[4:7], s63 offen
	;; [unrolled: 1-line block ×4, first 2 shown]
	v_and_b32_e32 v37, 6, v0
	v_lshlrev_b32_e32 v36, 7, v102
	v_xor_b32_e32 v59, v104, v37
	v_and_b32_e32 v54, 1, v0
	v_lshl_or_b32 v62, v99, 3, v36
	v_lshlrev_b32_e32 v59, 2, v59
	v_lshlrev_b32_e32 v55, 2, v99
	v_or_b32_e32 v110, 0x4000, v62
	v_or_b32_e32 v111, 0x6000, v62
	v_xor_b32_e32 v62, 0x440, v59
	v_cmp_eq_u32_e32 vcc, 0, v54
	v_or_b32_e32 v57, 16, v99
	v_or_b32_e32 v58, 32, v99
	v_xor_b32_e32 v60, v102, v55
	v_xor_b32_e32 v61, v103, v55
	v_cndmask_b32_e32 v54, v62, v59, vcc
	s_mov_b32 s64, 0x1000504
	v_lshl_or_b32 v63, v57, 3, v36
	v_lshlrev_b32_e32 v57, 8, v57
	v_lshl_or_b32 v64, v58, 3, v36
	v_lshlrev_b32_e32 v60, 1, v60
	v_lshlrev_b32_e32 v61, 1, v61
	v_lshl_or_b32 v37, v37, 10, v54
	s_add_i32 s3, s51, s49
	s_mov_b32 s65, 0x3020706
	v_lshlrev_b32_e32 v56, 8, v99
	v_or_b32_e32 v114, 0x4000, v64
	v_or_b32_e32 v115, 0x6000, v64
	;; [unrolled: 1-line block ×4, first 2 shown]
	v_xor_b32_e32 v54, 8, v37
	v_xor_b32_e32 v57, 24, v37
	v_xor_b32_e32 v62, 40, v37
	v_xor_b32_e32 v64, 56, v37
	s_add_i32 s43, s3, s50
	s_add_i32 s3, s53, s52
	v_or_b32_e32 v112, 0x4000, v63
	v_or_b32_e32 v113, 0x6000, v63
	;; [unrolled: 1-line block ×4, first 2 shown]
	v_xor_b32_e32 v56, 16, v37
	v_xor_b32_e32 v59, 32, v37
	;; [unrolled: 1-line block ×3, first 2 shown]
	v_add_u32_e32 v54, 0x80, v54
	v_add_u32_e32 v57, 0x80, v57
	;; [unrolled: 1-line block ×4, first 2 shown]
	s_add_i32 s41, s3, s54
	s_lshl_b64 s[4:5], s[42:43], 2
	s_add_u32 s3, s22, s4
	s_addc_u32 s36, s23, s5
	s_lshl_b64 s[4:5], s[40:41], 2
	s_add_u32 s44, s3, s4
	s_movk_i32 s3, 0xf8
	s_addc_u32 s45, s36, s5
	s_lshl_b32 s38, s31, 7
	s_movk_i32 s36, 0x100
	v_mov_b32_e32 v91, 0
	v_lshlrev_b32_e32 v90, 4, v99
	v_ashrrev_i32_e32 v89, 31, v88
	v_lshlrev_b32_e32 v58, 8, v58
	s_mov_b32 s66, 0
	s_movk_i32 s6, 0x4000
	v_or_b32_e32 v120, v58, v60
	v_or_b32_e32 v121, v58, v61
	s_movk_i32 s41, 0x2000
	s_movk_i32 s43, 0x3000
	s_waitcnt vmcnt(1)
	v_perm_b32 v65, v38, v46, s64
	s_waitcnt vmcnt(0)
	v_perm_b32 v66, v42, v50, s64
	v_perm_b32 v38, v38, v46, s65
	;; [unrolled: 1-line block ×15, first 2 shown]
	ds_write2st64_b32 v37, v65, v66 offset0:128 offset1:160
	ds_write2st64_b32 v54, v38, v42 offset0:128 offset1:160
	;; [unrolled: 1-line block ×8, first 2 shown]
	v_or_b32_e32 v37, 48, v99
	v_lshl_or_b32 v38, v37, 3, v36
	v_lshlrev_b32_e32 v37, 8, v37
	v_or_b32_e32 v124, v37, v60
	v_or_b32_e32 v125, v37, v61
	;; [unrolled: 1-line block ×3, first 2 shown]
	v_lshlrev_b32_e32 v37, 3, v37
	v_lshrrev_b32_e32 v39, 5, v79
	v_and_or_b32 v39, v37, s3, v39
	v_lshlrev_b32_e32 v39, 4, v39
	v_or_b32_e32 v122, 0x4000, v38
	v_or_b32_e32 v123, 0x6000, v38
	v_lshrrev_b32_e32 v38, 2, v79
	v_lshlrev_b32_e32 v41, 11, v1
	v_and_b32_e32 v37, 0x78, v37
	v_or_b32_e32 v45, 32, v39
	v_and_b32_e32 v40, 12, v38
	v_and_b32_e32 v38, 0x1000, v41
	v_lshrrev_b32_e32 v43, 1, v79
	v_xor_b32_e32 v45, v45, v37
	v_xor_b32_e32 v42, v39, v37
	v_and_b32_e32 v43, 8, v43
	v_or_b32_e32 v45, v45, v38
	v_or_b32_e32 v42, v42, v38
	v_xor_b32_e32 v128, v45, v43
	v_or_b32_e32 v45, 64, v39
	v_or_b32_e32 v39, 0x60, v39
	v_xor_b32_e32 v126, v42, v43
	v_lshlrev_b32_e32 v42, 8, v98
	v_xor_b32_e32 v45, v45, v37
	v_xor_b32_e32 v37, v39, v37
	s_ashr_i32 s3, s2, 31
	v_or_b32_e32 v44, v42, v55
	v_or_b32_e32 v45, v45, v38
	;; [unrolled: 1-line block ×3, first 2 shown]
	s_lshl_b64 s[4:5], s[2:3], 8
	v_lshlrev_b32_e32 v47, 2, v0
	v_lshlrev_b32_e32 v44, 1, v44
	v_xor_b32_e32 v132, v45, v43
	v_xor_b32_e32 v133, v37, v43
	v_lshlrev_b32_e32 v37, 1, v35
	v_add_lshl_u32 v35, v35, s31, 1
	v_or_b32_e32 v43, 0x100, v34
	s_add_u32 s4, s12, s4
	v_lshlrev_b32_e32 v38, 1, v99
	v_lshrrev_b32_e32 v48, 1, v0
	v_and_or_b32 v42, v47, 60, v42
	v_or_b32_e32 v127, 0x4000, v44
	v_or_b32_e32 v129, 0x4080, v44
	;; [unrolled: 1-line block ×8, first 2 shown]
	v_lshrrev_b32_e32 v44, 4, v0
	s_addc_u32 s5, s13, s5
	v_or_b32_e32 v39, 1, v38
	v_and_b32_e32 v48, 24, v48
	v_lshlrev_b32_e32 v42, 1, v42
	v_cndmask_b32_e64 v144, v37, v34, s[0:1]
	v_cndmask_b32_e64 v145, v35, v43, s[0:1]
	v_mov_b32_e32 v35, 0xa000
	v_mov_b32_e32 v37, 0x8000
	v_cmp_gt_u32_e64 s[0:1], s36, v0
	v_xor_b32_e32 v45, v44, v38
	v_xor_b32_e32 v46, v39, v44
	v_lshl_add_u64 v[38:39], s[4:5], 0, v[90:91]
	v_lshlrev_b32_e32 v90, 8, v44
	v_or_b32_e32 v140, 0x6000, v42
	v_or_b32_e32 v47, 32, v48
	;; [unrolled: 1-line block ×6, first 2 shown]
	v_cndmask_b32_e64 v35, v35, v37, s[0:1]
	v_lshlrev_b32_e32 v37, 3, v1
	v_lshl_or_b32 v138, v45, 3, v90
	v_and_b32_e32 v45, 8, v0
	v_xor_b32_e32 v43, v37, v48
	v_xor_b32_e32 v47, v37, v47
	;; [unrolled: 1-line block ×3, first 2 shown]
	v_mov_b32_e32 v49, 0x400
	v_cmp_eq_u32_e32 vcc, 0, v45
	v_or_b32_e32 v48, 0x440, v43
	v_or_b32_e32 v50, 0x440, v47
	v_xor_b32_e32 v42, 0x440, v37
	v_and_b32_e32 v44, 7, v0
	v_cndmask_b32_e64 v45, v49, 64, vcc
	v_cndmask_b32_e32 v48, v48, v43, vcc
	v_cndmask_b32_e32 v47, v50, v47, vcc
	;; [unrolled: 1-line block ×3, first 2 shown]
	v_lshl_or_b32 v139, v46, 3, v90
	v_lshlrev_b32_e32 v46, 3, v44
	v_or_b32_e32 v48, v48, v41
	v_or_b32_e32 v47, v47, v41
	v_or3_b32 v43, v41, v45, v43
	v_or_b32_e32 v37, v37, v41
	v_lshlrev_b32_e32 v44, 7, v44
	v_xor_b32_e32 v48, v48, v46
	v_xor_b32_e32 v47, v47, v46
	;; [unrolled: 1-line block ×4, first 2 shown]
	v_or_b32_e32 v34, v77, v40
	v_add_u32_e32 v49, v35, v48
	v_add_u32_e32 v50, v35, v47
	v_or_b32_e32 v146, v43, v44
	v_add_u32_e32 v41, v35, v37
	v_or3_b32 v40, v77, v40, 64
	v_add_u32_e32 v45, 0xa000, v48
	v_add_u32_e32 v46, 0xa000, v47
	;; [unrolled: 1-line block ×3, first 2 shown]
	v_lshlrev_b64 v[42:43], 1, v[88:89]
	v_lshl_add_u64 v[92:93], s[20:21], 0, v[42:43]
	v_lshl_add_u64 v[94:95], s[14:15], 0, v[42:43]
	;; [unrolled: 1-line block ×3, first 2 shown]
	s_mov_b32 s3, 0x7060302
	v_lshlrev_b32_e32 v90, 1, v36
	v_lshlrev_b32_e32 v89, 2, v34
	v_add_u32_e32 v147, v49, v44
	v_add_u32_e32 v148, v50, v44
	;; [unrolled: 1-line block ×4, first 2 shown]
	v_lshlrev_b32_e32 v151, 2, v40
	v_add_u32_e32 v152, v45, v44
	v_add_u32_e32 v153, v46, v44
	;; [unrolled: 1-line block ×3, first 2 shown]
	s_waitcnt lgkmcnt(0)
	s_barrier
.LBB129_6:                              ; =>This Inner Loop Header: Depth=1
	s_add_i32 s67, s66, 1
	s_cmp_lt_i32 s67, s55
	s_mov_b64 s[36:37], 0
	s_cselect_b64 s[46:47], -1, 0
	s_cmp_ge_i32 s67, s55
	s_mov_b64 s[4:5], 0
	s_cbranch_scc1 .LBB129_8
; %bb.7:                                ;   in Loop: Header=BB129_6 Depth=1
	s_add_i32 s0, s61, 64
	s_ashr_i32 s1, s0, 31
	s_add_u32 s0, s60, s0
	s_addc_u32 s1, s59, s1
	s_lshl_b64 s[0:1], s[0:1], 8
	s_add_u32 s4, s18, s0
	s_addc_u32 s5, s19, s1
.LBB129_8:                              ;   in Loop: Header=BB129_6 Depth=1
	v_cndmask_b32_e64 v34, 0, 1, s[46:47]
	v_cmp_ne_u32_e64 s[0:1], 1, v34
	s_andn2_b64 vcc, exec, s[46:47]
	s_cbranch_vccnz .LBB129_10
; %bb.9:                                ;   in Loop: Header=BB129_6 Depth=1
	s_add_i32 s36, s61, 64
	s_mul_hi_i32 s37, s36, s30
	s_mul_i32 s36, s36, s30
	s_add_u32 s36, s36, s57
	s_addc_u32 s37, s37, s62
	s_lshl_b64 s[36:37], s[36:37], 8
	s_add_u32 s36, s16, s36
	s_addc_u32 s37, s17, s37
.LBB129_10:                             ;   in Loop: Header=BB129_6 Depth=1
	v_perm_b32 v35, v25, v24, s3
	v_perm_b32 v34, v23, v22, s3
	v_perm_b32 v37, v13, v12, s3
	v_perm_b32 v36, v11, v10, s3
	ds_write_b64 v110, v[34:35]
	ds_write_b64 v111, v[36:37]
	ds_write_b64 v116, v[34:35]
	ds_write_b64 v117, v[36:37]
	v_perm_b32 v35, v21, v20, s3
	v_perm_b32 v34, v19, v18, s3
	v_perm_b32 v37, v17, v16, s3
	v_perm_b32 v36, v15, v14, s3
	ds_write_b64 v112, v[34:35]
	ds_write_b64 v113, v[36:37]
	ds_write_b64 v118, v[34:35]
	ds_write_b64 v119, v[36:37]
	v_perm_b32 v35, v33, v32, s3
	v_perm_b32 v34, v31, v30, s3
	v_perm_b32 v37, v29, v28, s3
	v_perm_b32 v36, v27, v26, s3
	ds_write_b64 v114, v[34:35]
	ds_write_b64 v115, v[36:37]
	ds_write_b64 v120, v[34:35]
	ds_write_b64 v121, v[36:37]
	v_perm_b32 v35, v9, v8, s3
	v_perm_b32 v34, v7, v6, s3
	v_perm_b32 v37, v5, v4, s3
	v_perm_b32 v36, v3, v2, s3
	ds_write_b64 v122, v[34:35]
	ds_write_b64 v123, v[36:37]
	ds_write_b64 v124, v[34:35]
	ds_write_b64 v125, v[36:37]
	s_waitcnt lgkmcnt(0)
	s_barrier
	ds_read_b64 v[38:39], v126 offset:49152
	ds_read2_b64 v[34:37], v127 offset1:16
	ds_read_b64 v[50:51], v129 offset:6144
	ds_read_b64 v[52:53], v127 offset:6144
	s_waitcnt lgkmcnt(2)
	v_mfma_f32_16x16x16_bf16 a[0:3], v[38:39], v[34:35], 0
	ds_read_b64 v[54:55], v128 offset:49152
	ds_read2st64_b64 v[42:45], v130 offset0:4 offset1:8
	ds_read2st64_b64 v[46:49], v131 offset0:4 offset1:8
	v_mfma_f32_16x16x16_bf16 a[4:7], v[38:39], v[36:37], 0
	ds_read2_b64 v[34:37], v127 offset0:32 offset1:48
	s_add_i32 s68, s61, 63
	s_ashr_i32 s39, s68, 31
	s_waitcnt lgkmcnt(0)
	v_mfma_f32_16x16x16_bf16 a[8:11], v[38:39], v[34:35], 0
	s_mul_i32 s46, s68, s11
	s_mul_hi_u32 s47, s68, s10
	s_add_i32 s46, s47, s46
	v_mfma_f32_16x16x16_bf16 a[12:15], v[38:39], v[36:37], 0
	ds_read2st64_b64 v[34:37], v127 offset0:4 offset1:8
	ds_read2st64_b64 v[38:41], v129 offset0:4 offset1:8
	s_mul_i32 s39, s39, s10
	s_waitcnt lgkmcnt(1)
	v_mfma_f32_16x16x16_bf16 a[0:3], v[54:55], v[34:35], a[0:3]
	s_add_i32 s47, s46, s39
	s_mul_i32 s46, s68, s10
	s_lshl_b64 s[46:47], s[46:47], 2
	s_waitcnt lgkmcnt(0)
	v_mfma_f32_16x16x16_bf16 a[4:7], v[54:55], v[38:39], a[4:7]
	s_add_u32 s46, s44, s46
	s_addc_u32 s47, s45, s47
	s_and_b64 vcc, exec, s[0:1]
	v_mfma_f32_16x16x16_bf16 a[8:11], v[54:55], v[42:43], a[8:11]
	ds_read_b64 v[34:35], v132 offset:49152
	ds_read_b64 v[38:39], v133 offset:49152
	;; [unrolled: 1-line block ×3, first 2 shown]
	v_mov_b32_e32 v157, 0
	v_mov_b32_e32 v156, 0
	v_mfma_f32_16x16x16_bf16 a[12:15], v[54:55], v[46:47], a[12:15]
	v_mov_b32_e32 v155, 0
	v_mov_b32_e32 v46, 0
	;; [unrolled: 1-line block ×3, first 2 shown]
	s_waitcnt lgkmcnt(2)
	v_mfma_f32_16x16x16_bf16 a[0:3], v[34:35], v[36:37], a[0:3]
	v_mov_b32_e32 v36, 0
	v_mov_b32_e32 v37, 0
	v_mfma_f32_16x16x16_bf16 a[16:19], v[34:35], v[40:41], a[4:7]
	v_mov_b32_e32 v40, 0
	v_mov_b32_e32 v41, 0
	;; [unrolled: 3-line block ×3, first 2 shown]
	v_mfma_f32_16x16x16_bf16 a[24:27], v[34:35], v[48:49], a[12:15]
	ds_read_b64 v[34:35], v130 offset:6144
	v_mov_b32_e32 v48, 0
	v_mov_b32_e32 v49, 0
	s_waitcnt lgkmcnt(2)
	v_mfma_f32_16x16x16_bf16 a[4:7], v[38:39], v[52:53], a[0:3]
	v_mfma_f32_16x16x16_bf16 a[8:11], v[38:39], v[50:51], a[16:19]
	s_waitcnt lgkmcnt(0)
	v_mfma_f32_16x16x16_bf16 a[12:15], v[38:39], v[34:35], a[20:23]
	v_mov_b32_e32 v34, 0
	v_mov_b32_e32 v35, 0
	v_mfma_f32_16x16x16_bf16 a[0:3], v[38:39], v[42:43], a[24:27]
	v_mov_b32_e32 v38, 0
	v_mov_b32_e32 v39, 0
	;; [unrolled: 1-line block ×4, first 2 shown]
	s_cbranch_vccnz .LBB129_12
; %bb.11:                               ;   in Loop: Header=BB129_6 Depth=1
	s_and_b32 s5, s5, 0xffff
	buffer_load_dwordx4 v[46:49], v106, s[4:7], 0 offen
	buffer_load_dwordx4 v[42:45], v106, s[4:7], s63 offen
	;; [unrolled: 1-line block ×4, first 2 shown]
	v_mov_b32_e32 v156, v108
	v_mov_b32_e32 v155, v109
.LBB129_12:                             ;   in Loop: Header=BB129_6 Depth=1
	ds_read_b64 v[62:63], v126 offset:57344
	ds_read2_b64 v[50:53], v134 offset1:16
	ds_read_b64 v[66:67], v128 offset:57344
	ds_read_b64 v[68:69], v132 offset:57344
	;; [unrolled: 1-line block ×3, first 2 shown]
	v_add_u32_e32 v64, s61, v102
	s_waitcnt lgkmcnt(3)
	v_mfma_f32_16x16x16_bf16 a[4:7], v[62:63], v[50:51], a[4:7]
	v_mfma_f32_16x16x16_bf16 a[8:11], v[62:63], v[52:53], a[8:11]
	ds_read2_b64 v[50:53], v134 offset0:32 offset1:48
	ds_read2st64_b64 v[54:57], v134 offset0:4 offset1:8
	ds_read2st64_b64 v[58:61], v135 offset0:4 offset1:8
	s_waitcnt lgkmcnt(2)
	v_mfma_f32_16x16x16_bf16 a[12:15], v[62:63], v[50:51], a[12:15]
	v_ashrrev_i32_e32 v50, 31, v64
	v_mul_lo_u32 v65, v50, s10
	v_mad_u64_u32 v[50:51], s[4:5], v64, s10, 0
	v_mfma_f32_16x16x16_bf16 a[0:3], v[62:63], v[52:53], a[0:3]
	v_mul_lo_u32 v52, v64, s11
	v_add3_u32 v51, v51, v52, v65
	v_add_u32_e32 v52, 1, v64
	v_ashrrev_i32_e32 v53, 31, v52
	s_waitcnt lgkmcnt(1)
	v_mfma_f32_16x16x16_bf16 a[4:7], v[66:67], v[54:55], a[4:7]
	v_mul_lo_u32 v54, v53, s10
	v_mul_lo_u32 v55, v52, s11
	v_mad_u64_u32 v[52:53], s[4:5], v52, s10, 0
	v_add3_u32 v53, v53, v55, v54
	v_add_u32_e32 v54, 2, v64
	v_ashrrev_i32_e32 v55, 31, v54
	v_mul_lo_u32 v62, v55, s10
	v_mul_lo_u32 v63, v54, s11
	v_mad_u64_u32 v[54:55], s[4:5], v54, s10, 0
	v_add3_u32 v55, v55, v63, v62
	v_add_u32_e32 v62, 3, v64
	v_ashrrev_i32_e32 v63, 31, v62
	v_mul_lo_u32 v64, v63, s10
	v_mul_lo_u32 v65, v62, s11
	v_mad_u64_u32 v[62:63], s[4:5], v62, s10, 0
	s_ashr_i32 s5, s61, 31
	s_add_u32 s4, s60, s61
	s_addc_u32 s5, s59, s5
	v_lshl_add_u64 v[50:51], v[50:51], 2, s[44:45]
	v_add3_u32 v63, v63, v65, v64
	s_lshl_b64 s[4:5], s[4:5], 8
	v_lshl_add_u64 v[52:53], v[52:53], 2, s[44:45]
	v_lshl_add_u64 v[54:55], v[54:55], 2, s[44:45]
	;; [unrolled: 1-line block ×3, first 2 shown]
	global_load_dword v72, v[50:51], off
	global_load_dword v73, v[52:53], off
	;; [unrolled: 1-line block ×4, first 2 shown]
	v_lshl_add_u64 v[50:51], v[92:93], 0, s[4:5]
	v_lshl_add_u64 v[54:55], v[50:51], 0, v[90:91]
	global_load_ushort v76, v[54:55], off offset:256
	global_load_ushort v158, v[54:55], off
	ds_read2st64_b64 v[50:53], v136 offset0:4 offset1:8
	global_load_ushort v159, v[54:55], off offset:768
	global_load_ushort v160, v[54:55], off offset:512
	ds_read2st64_b64 v[62:65], v137 offset0:4 offset1:8
	global_load_ushort v161, v[54:55], off offset:288
	global_load_ushort v162, v[54:55], off offset:32
	;; [unrolled: 1-line block ×4, first 2 shown]
	s_waitcnt lgkmcnt(2)
	v_mfma_f32_16x16x16_bf16 a[8:11], v[66:67], v[58:59], a[8:11]
	global_load_ushort v165, v[54:55], off offset:320
	global_load_ushort v166, v[54:55], off offset:64
	;; [unrolled: 1-line block ×4, first 2 shown]
	s_and_b64 vcc, exec, s[0:1]
	s_waitcnt lgkmcnt(1)
	v_mfma_f32_16x16x16_bf16 a[12:15], v[66:67], v[50:51], a[12:15]
	ds_read_b64 v[50:51], v134 offset:6144
	s_waitcnt lgkmcnt(1)
	v_mfma_f32_16x16x16_bf16 a[0:3], v[66:67], v[62:63], a[0:3]
	v_lshl_add_u64 v[62:63], v[94:95], 0, s[4:5]
	v_lshl_add_u64 v[62:63], v[62:63], 0, v[90:91]
	v_mfma_f32_16x16x16_bf16 a[4:7], v[68:69], v[56:57], a[4:7]
	v_mfma_f32_16x16x16_bf16 a[8:11], v[68:69], v[60:61], a[8:11]
	;; [unrolled: 1-line block ×4, first 2 shown]
	global_load_ushort v68, v[54:55], off offset:352
	global_load_ushort v69, v[54:55], off offset:96
	ds_read_b64 v[52:53], v135 offset:6144
	ds_read_b64 v[56:57], v136 offset:6144
	;; [unrolled: 1-line block ×3, first 2 shown]
	s_load_dword s46, s[46:47], 0x0
	global_load_ushort v169, v[54:55], off offset:864
	global_load_ushort v170, v[54:55], off offset:608
	s_waitcnt lgkmcnt(0)
	v_mfma_f32_16x16x16_bf16 a[4:7], v[70:71], v[50:51], a[4:7]
	s_waitcnt vmcnt(17)
	v_sub_f32_e32 v60, s46, v74
	v_mfma_f32_16x16x16_bf16 a[0:3], v[70:71], v[58:59], a[0:3]
	v_sub_f32_e32 v58, s46, v72
	v_sub_f32_e32 v59, s46, v73
	s_waitcnt vmcnt(16)
	v_sub_f32_e32 v61, s46, v75
	v_mfma_f32_16x16x16_bf16 a[8:11], v[70:71], v[52:53], a[8:11]
	v_exp_f32_e32 v58, v58
	v_exp_f32_e32 v59, v59
	;; [unrolled: 1-line block ×4, first 2 shown]
	v_accvgpr_read_b32 v67, a5
	s_waitcnt vmcnt(15)
	v_lshlrev_b32_e32 v65, 16, v76
	s_waitcnt vmcnt(14)
	v_lshlrev_b32_e32 v64, 16, v158
	v_accvgpr_read_b32 v66, a4
	v_accvgpr_read_b32 v51, a7
	;; [unrolled: 1-line block ×3, first 2 shown]
	v_pk_add_f32 v[64:65], v[64:65], v[66:67] neg_lo:[0,1] neg_hi:[0,1]
	s_waitcnt vmcnt(13)
	v_lshlrev_b32_e32 v67, 16, v159
	s_waitcnt vmcnt(12)
	v_lshlrev_b32_e32 v66, 16, v160
	v_pk_add_f32 v[50:51], v[66:67], v[50:51] neg_lo:[0,1] neg_hi:[0,1]
	global_store_short_d16_hi v[62:63], v64, off
	global_store_short_d16_hi v[62:63], v65, off offset:256
	global_store_short_d16_hi v[62:63], v50, off offset:512
	;; [unrolled: 1-line block ×3, first 2 shown]
	v_pk_mul_f32 v[64:65], v[58:59], v[64:65]
	v_pk_mul_f32 v[50:51], v[60:61], v[50:51]
	v_accvgpr_read_b32 v67, a9
	v_perm_b32 v64, v65, v64, s3
	v_perm_b32 v65, v51, v50, s3
	s_waitcnt vmcnt(15)
	v_lshlrev_b32_e32 v51, 16, v161
	s_waitcnt vmcnt(14)
	v_lshlrev_b32_e32 v50, 16, v162
	v_accvgpr_read_b32 v66, a8
	v_accvgpr_read_b32 v53, a11
	v_mfma_f32_16x16x16_bf16 a[12:15], v[70:71], v[56:57], a[12:15]
	v_accvgpr_read_b32 v52, a10
	v_pk_add_f32 v[50:51], v[50:51], v[66:67] neg_lo:[0,1] neg_hi:[0,1]
	s_waitcnt vmcnt(13)
	v_lshlrev_b32_e32 v67, 16, v163
	s_waitcnt vmcnt(12)
	v_lshlrev_b32_e32 v66, 16, v164
	v_pk_add_f32 v[52:53], v[66:67], v[52:53] neg_lo:[0,1] neg_hi:[0,1]
	global_store_short_d16_hi v[62:63], v50, off offset:32
	global_store_short_d16_hi v[62:63], v51, off offset:288
	;; [unrolled: 1-line block ×4, first 2 shown]
	v_pk_mul_f32 v[50:51], v[58:59], v[50:51]
	v_pk_mul_f32 v[52:53], v[60:61], v[52:53]
	v_accvgpr_read_b32 v55, a15
	v_perm_b32 v53, v53, v52, s3
	v_perm_b32 v52, v51, v50, s3
	ds_write2_b64 v111, v[64:65], v[52:53] offset1:16
	v_accvgpr_read_b32 v53, a13
	s_waitcnt vmcnt(15)
	v_lshlrev_b32_e32 v51, 16, v165
	s_waitcnt vmcnt(14)
	v_lshlrev_b32_e32 v50, 16, v166
	v_accvgpr_read_b32 v52, a12
	v_accvgpr_read_b32 v54, a14
	v_pk_add_f32 v[50:51], v[50:51], v[52:53] neg_lo:[0,1] neg_hi:[0,1]
	s_waitcnt vmcnt(13)
	v_lshlrev_b32_e32 v53, 16, v167
	s_waitcnt vmcnt(12)
	v_lshlrev_b32_e32 v52, 16, v168
	v_pk_add_f32 v[52:53], v[52:53], v[54:55] neg_lo:[0,1] neg_hi:[0,1]
	global_store_short_d16_hi v[62:63], v50, off offset:64
	global_store_short_d16_hi v[62:63], v51, off offset:320
	;; [unrolled: 1-line block ×4, first 2 shown]
	v_pk_mul_f32 v[50:51], v[58:59], v[50:51]
	v_pk_mul_f32 v[52:53], v[60:61], v[52:53]
	v_accvgpr_read_b32 v55, a1
	v_perm_b32 v50, v51, v50, s3
	v_perm_b32 v51, v53, v52, s3
	s_waitcnt vmcnt(15)
	v_lshlrev_b32_e32 v53, 16, v68
	s_waitcnt vmcnt(14)
	v_lshlrev_b32_e32 v52, 16, v69
	v_accvgpr_read_b32 v54, a0
	v_accvgpr_read_b32 v57, a3
	;; [unrolled: 1-line block ×3, first 2 shown]
	v_pk_add_f32 v[52:53], v[52:53], v[54:55] neg_lo:[0,1] neg_hi:[0,1]
	s_waitcnt vmcnt(13)
	v_lshlrev_b32_e32 v55, 16, v169
	s_waitcnt vmcnt(12)
	v_lshlrev_b32_e32 v54, 16, v170
	v_pk_add_f32 v[54:55], v[54:55], v[56:57] neg_lo:[0,1] neg_hi:[0,1]
	global_store_short_d16_hi v[62:63], v52, off offset:96
	global_store_short_d16_hi v[62:63], v53, off offset:352
	;; [unrolled: 1-line block ×4, first 2 shown]
	v_pk_mul_f32 v[52:53], v[58:59], v[52:53]
	v_pk_mul_f32 v[54:55], v[60:61], v[54:55]
	v_mov_b32_e32 v158, 0
	v_perm_b32 v55, v55, v54, s3
	v_perm_b32 v54, v53, v52, s3
	ds_write2_b64 v111, v[50:51], v[54:55] offset0:32 offset1:48
	v_mov_b32_e32 v50, 0
	v_mov_b32_e32 v51, 0
	;; [unrolled: 1-line block ×16, first 2 shown]
	s_cbranch_vccnz .LBB129_14
; %bb.13:                               ;   in Loop: Header=BB129_6 Depth=1
	s_and_b32 s37, s37, 0xffff
	s_mov_b32 s39, s7
	buffer_load_dwordx4 v[62:65], v144, s[36:39], 0 offen
	buffer_load_dwordx4 v[54:57], v144, s[36:39], s63 offen
	;; [unrolled: 1-line block ×4, first 2 shown]
	v_mov_b32_e32 v157, v105
	v_mov_b32_e32 v158, v104
.LBB129_14:                             ;   in Loop: Header=BB129_6 Depth=1
	s_waitcnt lgkmcnt(0)
	s_barrier
	ds_read_b64 v[74:75], v147
	ds_read2_b64 v[66:69], v140 offset1:16
	ds_read_b64 v[176:177], v148
	ds_read_b64 v[178:179], v149
	;; [unrolled: 1-line block ×3, first 2 shown]
	ds_read2_b64 v[70:73], v140 offset0:32 offset1:48
	ds_read2st64_b64 v[160:163], v140 offset0:4 offset1:8
	ds_read2st64_b64 v[164:167], v141 offset0:4 offset1:8
	;; [unrolled: 1-line block ×4, first 2 shown]
	s_waitcnt lgkmcnt(8)
	v_mfma_f32_16x16x16_bf16 a[0:3], v[74:75], v[66:67], 0
	s_add_i32 s4, s58, s66
	s_mul_hi_i32 s5, s4, s29
	s_mul_i32 s4, s4, s29
	v_mfma_f32_16x16x16_bf16 a[4:7], v[74:75], v[68:69], 0
	s_add_u32 s4, s4, s33
	s_addc_u32 s5, s5, s48
	s_lshl_b64 s[4:5], s[4:5], 15
	s_waitcnt lgkmcnt(4)
	v_mfma_f32_16x16x16_bf16 a[8:11], v[74:75], v[70:71], 0
	s_mul_i32 s36, s68, s29
	s_mul_hi_i32 s37, s68, s29
	s_add_u32 s36, s36, s33
	v_mfma_f32_16x16x16_bf16 a[12:15], v[74:75], v[72:73], 0
	ds_read_b64 v[74:75], v140 offset:6144
	ds_read_b64 v[188:189], v141 offset:6144
	;; [unrolled: 1-line block ×4, first 2 shown]
	s_addc_u32 s37, s37, s48
	s_waitcnt lgkmcnt(7)
	v_mfma_f32_16x16x16_bf16 a[0:3], v[176:177], v[160:161], a[0:3]
	s_lshl_b64 s[36:37], s[36:37], 9
	s_add_u32 s36, s8, s36
	s_addc_u32 s37, s9, s37
	s_waitcnt lgkmcnt(6)
	v_mfma_f32_16x16x16_bf16 a[4:7], v[176:177], v[164:165], a[4:7]
	v_lshl_add_u64 v[198:199], v[96:97], 0, s[4:5]
	s_waitcnt lgkmcnt(5)
	v_mfma_f32_16x16x16_bf16 a[8:11], v[176:177], v[168:169], a[8:11]
	s_waitcnt lgkmcnt(4)
	v_mfma_f32_16x16x16_bf16 a[12:15], v[176:177], v[172:173], a[12:15]
	ds_read_b64 v[176:177], v152
	ds_read_b64 v[186:187], v153
	;; [unrolled: 1-line block ×3, first 2 shown]
	s_waitcnt lgkmcnt(2)
	v_mfma_f32_16x16x16_bf16 a[16:19], v[176:177], v[66:67], 0
	v_mfma_f32_16x16x16_bf16 a[20:23], v[176:177], v[68:69], 0
	global_load_dwordx4 v[66:69], v151, s[36:37]
	v_mfma_f32_16x16x16_bf16 a[24:27], v[176:177], v[70:71], 0
	v_mfma_f32_16x16x16_bf16 a[28:31], v[176:177], v[72:73], 0
	global_load_dwordx4 v[70:73], v89, s[36:37]
	v_mfma_f32_16x16x16_bf16 a[0:3], v[178:179], v[162:163], a[0:3]
	v_mfma_f32_16x16x16_bf16 a[4:7], v[178:179], v[166:167], a[4:7]
	v_mfma_f32_16x16x16_bf16 a[8:11], v[178:179], v[170:171], a[8:11]
	v_mfma_f32_16x16x16_bf16 a[12:15], v[178:179], v[174:175], a[12:15]
	v_mfma_f32_16x16x16_bf16 a[0:3], v[180:181], v[74:75], a[0:3]
	v_mfma_f32_16x16x16_bf16 a[4:7], v[180:181], v[188:189], a[4:7]
	v_mfma_f32_16x16x16_bf16 a[8:11], v[180:181], v[190:191], a[8:11]
	v_mfma_f32_16x16x16_bf16 a[12:15], v[180:181], v[192:193], a[12:15]
	ds_read2st64_b64 v[176:179], v138 offset1:8
	ds_read2st64_b64 v[180:183], v139 offset1:8
	ds_read_b64 v[196:197], v146 offset:40960
	s_waitcnt lgkmcnt(2)
	v_mov_b32_e32 v184, v176
	v_mfma_f32_16x16x16_bf16 a[16:19], v[186:187], v[160:161], a[16:19]
	v_mov_b32_e32 v185, v177
	v_mfma_f32_16x16x16_bf16 a[20:23], v[186:187], v[164:165], a[20:23]
	v_mfma_f32_16x16x16_bf16 a[24:27], v[186:187], v[168:169], a[24:27]
	;; [unrolled: 1-line block ×3, first 2 shown]
	v_add_co_u32_e32 v172, vcc, s41, v198
	s_waitcnt lgkmcnt(1)
	v_mov_b32_e32 v186, v180
	s_waitcnt lgkmcnt(0)
	v_mfma_f32_16x16x16_bf16 a[16:19], v[196:197], v[162:163], a[16:19]
	ds_read2st64_b64 v[160:163], v138 offset0:16 offset1:24
	v_addc_co_u32_e32 v173, vcc, 0, v199, vcc
	v_mfma_f32_16x16x16_bf16 a[32:35], v[196:197], v[166:167], a[20:23]
	ds_read2st64_b64 v[164:167], v139 offset0:16 offset1:24
	v_mov_b32_e32 v187, v181
	v_mov_b32_e32 v180, v178
	v_mfma_f32_16x16x16_bf16 a[24:27], v[196:197], v[170:171], a[24:27]
	v_mov_b32_e32 v181, v179
	s_waitcnt lgkmcnt(0)
	v_mov_b32_e32 v170, v164
	v_mov_b32_e32 v171, v165
	v_mfma_f32_16x16x16_bf16 a[36:39], v[196:197], v[174:175], a[28:31]
	v_mov_b32_e32 v164, v162
	v_mov_b32_e32 v165, v163
	;; [unrolled: 1-line block ×3, first 2 shown]
	v_mfma_f32_16x16x16_bf16 a[20:23], v[194:195], v[74:75], a[16:19]
	v_add_co_u32_e32 v74, vcc, s43, v198
	v_mov_b32_e32 v169, v161
	v_mfma_f32_16x16x16_bf16 a[28:31], v[194:195], v[188:189], a[32:35]
	v_addc_co_u32_e32 v75, vcc, 0, v199, vcc
	global_store_dwordx4 v[74:75], v[164:167], off
	v_mfma_f32_16x16x16_bf16 a[16:19], v[194:195], v[190:191], a[24:27]
	s_waitcnt vmcnt(2)
	v_mov_b32_e32 v76, v69
	v_mov_b32_e32 v75, v68
	;; [unrolled: 1-line block ×3, first 2 shown]
	v_mfma_f32_16x16x16_bf16 a[24:27], v[194:195], v[192:193], a[36:39]
	s_and_b64 vcc, exec, s[0:1]
	global_store_dwordx4 v[198:199], v[184:187], off
	global_store_dwordx4 v[172:173], v[180:183], off offset:-4096
	global_store_dwordx4 v[172:173], v[168:171], off
	s_cbranch_vccnz .LBB129_16
; %bb.15:                               ;   in Loop: Header=BB129_6 Depth=1
	v_lshrrev_b32_e32 v67, 3, v157
	v_and_b32_e32 v67, 6, v67
	v_xor_b32_e32 v68, v67, v158
	v_lshlrev_b32_e32 v68, 2, v68
	v_and_b32_e32 v69, 8, v157
	v_xor_b32_e32 v157, 0x440, v68
	v_cmp_eq_u32_e32 vcc, 0, v69
	v_perm_b32 v69, v54, v50, s64
	s_nop 0
	v_cndmask_b32_e32 v68, v157, v68, vcc
	v_lshl_or_b32 v67, v67, 10, v68
	v_perm_b32 v68, v62, v58, s64
	s_barrier
	ds_write2st64_b32 v67, v68, v69 offset0:128 offset1:160
	v_xor_b32_e32 v68, 8, v67
	v_perm_b32 v58, v62, v58, s65
	v_perm_b32 v50, v54, v50, s65
	v_add_u32_e32 v54, 0x80, v68
	ds_write2st64_b32 v54, v58, v50 offset0:128 offset1:160
	v_xor_b32_e32 v50, 16, v67
	v_perm_b32 v54, v63, v59, s64
	v_perm_b32 v58, v55, v51, s64
	ds_write2st64_b32 v50, v54, v58 offset0:129 offset1:161
	v_xor_b32_e32 v50, 24, v67
	v_perm_b32 v54, v63, v59, s65
	v_perm_b32 v51, v55, v51, s65
	v_add_u32_e32 v50, 0x80, v50
	ds_write2st64_b32 v50, v54, v51 offset0:129 offset1:161
	v_xor_b32_e32 v50, 32, v67
	v_perm_b32 v51, v64, v60, s64
	v_perm_b32 v54, v56, v52, s64
	;; [unrolled: 9-line block ×3, first 2 shown]
	ds_write2st64_b32 v50, v51, v52 offset0:131 offset1:163
	v_xor_b32_e32 v50, 56, v67
	v_perm_b32 v51, v65, v61, s65
	v_perm_b32 v52, v57, v53, s65
	v_add_u32_e32 v50, 0x80, v50
	ds_write2st64_b32 v50, v51, v52 offset0:131 offset1:163
	ds_write_b64 v156, v[46:47] offset:49152
	v_xor_b32_e32 v46, 8, v156
	ds_write_b64 v46, v[48:49] offset:49152
	ds_write_b64 v156, v[42:43] offset:57344
	;; [unrolled: 1-line block ×4, first 2 shown]
	v_xor_b32_e32 v38, 8, v155
	ds_write_b64 v38, v[40:41] offset:49152
	ds_write_b64 v155, v[34:35] offset:57344
	;; [unrolled: 1-line block ×3, first 2 shown]
.LBB129_16:                             ;   in Loop: Header=BB129_6 Depth=1
	v_exp_f32_e32 v68, s46
	s_waitcnt vmcnt(4)
	v_exp_f32_e32 v70, v70
	v_exp_f32_e32 v71, v71
	;; [unrolled: 1-line block ×4, first 2 shown]
	v_accvgpr_read_b32 v37, a3
	v_accvgpr_read_b32 v36, a2
	;; [unrolled: 1-line block ×4, first 2 shown]
	v_pk_mul_f32 v[70:71], v[68:69], v[70:71] op_sel_hi:[0,1]
	v_pk_mul_f32 v[72:73], v[68:69], v[72:73] op_sel_hi:[0,1]
	v_pk_fma_f32 v[22:23], v[22:23], v[70:71], v[34:35]
	v_pk_fma_f32 v[24:25], v[24:25], v[72:73], v[36:37]
	v_exp_f32_e32 v34, v66
	v_exp_f32_e32 v35, v74
	;; [unrolled: 1-line block ×4, first 2 shown]
	v_accvgpr_read_b32 v41, a7
	v_accvgpr_read_b32 v45, a11
	;; [unrolled: 1-line block ×28, first 2 shown]
	v_pk_mul_f32 v[34:35], v[68:69], v[34:35] op_sel_hi:[0,1]
	v_pk_mul_f32 v[36:37], v[68:69], v[36:37] op_sel_hi:[0,1]
	s_add_i32 s61, s61, 64
	v_pk_fma_f32 v[18:19], v[70:71], v[18:19], v[38:39]
	v_pk_fma_f32 v[20:21], v[72:73], v[20:21], v[40:41]
	;; [unrolled: 1-line block ×13, first 2 shown]
	s_cmp_eq_u32 s55, s67
	v_pk_fma_f32 v[4:5], v[36:37], v[4:5], v[64:65]
	s_cbranch_scc1 .LBB129_18
; %bb.17:                               ;   in Loop: Header=BB129_6 Depth=1
	s_mov_b32 s66, s67
	s_branch .LBB129_6
.LBB129_18:
	s_lshl_b32 s0, s55, 6
	s_sub_i32 s46, s56, s0
	s_cmp_gt_i32 s46, 0
	s_cbranch_scc0 .LBB129_99
; %bb.19:
	s_add_i32 s34, s0, s34
	s_ashr_i32 s3, s34, 31
	s_cmpk_lg_i32 s31, 0x80
	s_cselect_b64 s[38:39], -1, 0
	s_and_b64 vcc, exec, s[38:39]
	s_cbranch_vccz .LBB129_21
; %bb.20:
	s_mul_i32 s1, s34, s30
	s_ashr_i32 s4, s57, 31
	s_mul_hi_i32 s0, s34, s30
	s_add_u32 s44, s1, s57
	s_addc_u32 s45, s0, s4
	s_cbranch_execz .LBB129_22
	s_branch .LBB129_23
.LBB129_21:
                                        ; implicit-def: $sgpr44_sgpr45
.LBB129_22:
	s_mul_i32 s1, s57, s28
	s_mul_hi_i32 s0, s57, s28
	s_add_u32 s44, s1, s34
	s_addc_u32 s45, s0, s3
.LBB129_23:
	s_waitcnt lgkmcnt(0)
	s_add_i32 s4, s55, s58
	s_add_u32 s0, s60, s34
	v_lshlrev_b32_e32 v38, 6, v102
	v_lshlrev_b32_e32 v57, 2, v99
	s_addc_u32 s1, s59, s3
	s_mov_b32 s3, 0x7060302
	v_or_b32_e32 v41, v38, v57
	v_xor_b32_e32 v39, v102, v57
	s_waitcnt vmcnt(7)
	v_perm_b32 v35, v25, v24, s3
	v_perm_b32 v34, v23, v22, s3
	s_waitcnt vmcnt(6)
	v_perm_b32 v37, v13, v12, s3
	v_perm_b32 v36, v11, v10, s3
	v_lshlrev_b32_e32 v41, 1, v41
	v_xor_b32_e32 v40, v103, v57
	ds_write2st64_b64 v41, v[34:35], v[36:37] offset0:32 offset1:48
	v_lshlrev_b32_e32 v39, 1, v39
	v_lshlrev_b32_e32 v41, 8, v99
	v_or_b32_e32 v42, v39, v41
	v_lshlrev_b32_e32 v40, 1, v40
	ds_write_b64 v42, v[34:35]
	v_or_b32_e32 v34, v40, v41
	v_or_b32_e32 v41, 16, v99
	v_lshlrev_b32_e32 v55, 2, v41
	v_or_b32_e32 v42, v38, v55
	ds_write_b64 v34, v[36:37]
	s_waitcnt vmcnt(5)
	v_perm_b32 v35, v21, v20, s3
	v_perm_b32 v34, v19, v18, s3
	s_waitcnt vmcnt(4)
	v_perm_b32 v37, v17, v16, s3
	v_perm_b32 v36, v15, v14, s3
	v_lshlrev_b32_e32 v42, 1, v42
	v_lshlrev_b32_e32 v41, 8, v41
	ds_write2st64_b64 v42, v[34:35], v[36:37] offset0:32 offset1:48
	v_or_b32_e32 v42, v39, v41
	ds_write_b64 v42, v[34:35]
	v_or_b32_e32 v34, v40, v41
	v_or_b32_e32 v41, 32, v99
	v_lshlrev_b32_e32 v54, 2, v41
	v_or_b32_e32 v42, v38, v54
	ds_write_b64 v34, v[36:37]
	s_waitcnt vmcnt(3)
	v_perm_b32 v35, v33, v32, s3
	v_perm_b32 v34, v31, v30, s3
	s_waitcnt vmcnt(2)
	v_perm_b32 v37, v29, v28, s3
	v_perm_b32 v36, v27, v26, s3
	v_lshlrev_b32_e32 v42, 1, v42
	v_lshlrev_b32_e32 v41, 8, v41
	s_lshl_b64 s[36:37], s[0:1], 8
	ds_write2st64_b64 v42, v[34:35], v[36:37] offset0:32 offset1:48
	v_or_b32_e32 v42, v39, v41
	s_add_u32 s0, s18, s36
	ds_write_b64 v42, v[34:35]
	v_or_b32_e32 v34, v40, v41
	s_addc_u32 s1, s19, s37
	ds_write_b64 v34, v[36:37]
	s_waitcnt vmcnt(1)
	v_perm_b32 v35, v9, v8, s3
	v_perm_b32 v34, v7, v6, s3
	s_waitcnt vmcnt(0)
	v_perm_b32 v37, v5, v4, s3
	v_perm_b32 v36, v3, v2, s3
	v_or_b32_e32 v41, 48, v99
	s_mul_hi_i32 s3, s4, s29
	s_mul_i32 s4, s4, s29
	v_lshlrev_b32_e32 v51, 2, v41
	s_add_u32 s4, s4, s33
	v_or_b32_e32 v38, v38, v51
	s_addc_u32 s5, s3, s48
	v_lshlrev_b32_e32 v38, 1, v38
	s_ashr_i32 s3, s2, 31
	s_lshl_b64 s[4:5], s[4:5], 15
	ds_write2st64_b64 v38, v[34:35], v[36:37] offset0:32 offset1:48
	v_lshlrev_b32_e32 v38, 8, v41
	s_add_u32 s4, s12, s4
	v_or_b32_e32 v39, v39, v38
	s_addc_u32 s5, s13, s5
	s_lshl_b64 s[2:3], s[2:3], 8
	ds_write_b64 v39, v[34:35]
	v_or_b32_e32 v34, v40, v38
	s_add_u32 s2, s4, s2
	v_lshlrev_b32_e32 v35, 1, v99
	ds_write_b64 v34, v[36:37]
	v_lshrrev_b32_e32 v34, 4, v0
	s_addc_u32 s3, s5, s3
	v_or_b32_e32 v36, 1, v35
	v_lshlrev_b32_e32 v42, 4, v99
	v_mov_b32_e32 v43, 0
	v_xor_b32_e32 v35, v34, v35
	v_xor_b32_e32 v38, v36, v34
	v_lshl_add_u64 v[44:45], s[2:3], 0, v[42:43]
	v_lshlrev_b32_e32 v42, 8, v34
	v_lshl_or_b32 v48, v35, 3, v42
	v_lshl_or_b32 v49, v38, 3, v42
	s_waitcnt lgkmcnt(0)
	s_barrier
	ds_read2st64_b64 v[34:37], v48 offset1:8
	ds_read2st64_b64 v[38:41], v49 offset1:8
	v_lshl_add_u64 v[46:47], v[44:45], 0, v[42:43]
	s_movk_i32 s2, 0x2000
	s_cmp_lg_u32 s46, 64
	s_waitcnt lgkmcnt(1)
	v_mov_b32_e32 v42, v34
	v_mov_b32_e32 v43, v35
	s_waitcnt lgkmcnt(0)
	v_mov_b32_e32 v44, v38
	v_mov_b32_e32 v45, v39
	global_store_dwordx4 v[46:47], v[42:45], off
	v_mov_b32_e32 v38, v36
	v_mov_b32_e32 v39, v37
	ds_read2st64_b64 v[34:37], v48 offset0:16 offset1:24
	ds_read2st64_b64 v[42:45], v49 offset0:16 offset1:24
	v_add_co_u32_e32 v48, vcc, s2, v46
	s_cselect_b64 s[18:19], -1, 0
	s_nop 0
	v_addc_co_u32_e32 v49, vcc, 0, v47, vcc
	global_store_dwordx4 v[48:49], v[38:41], off offset:-4096
	v_lshl_or_b32 v62, v1, 3, v101
	s_mov_b32 s4, 0
	s_waitcnt lgkmcnt(1)
	v_mov_b32_e32 v38, v34
	v_add_co_u32_e32 v34, vcc, 0x3000, v46
	v_mov_b32_e32 v39, v35
	s_nop 0
	v_addc_co_u32_e32 v35, vcc, 0, v47, vcc
	s_waitcnt lgkmcnt(0)
	v_mov_b32_e32 v40, v42
	v_mov_b32_e32 v41, v43
	;; [unrolled: 1-line block ×4, first 2 shown]
	v_or_b32_e32 v52, 32, v62
	v_and_b32_e32 v50, 56, v100
	s_and_b64 vcc, exec, s[18:19]
	global_store_dwordx4 v[48:49], v[38:41], off
	global_store_dwordx4 v[34:35], v[42:45], off
	s_cbranch_vccz .LBB129_29
; %bb.24:
	s_mov_b32 s6, s4
	s_mov_b32 s7, s4
	;; [unrolled: 1-line block ×3, first 2 shown]
	v_mov_b64_e32 v[40:41], s[6:7]
	v_mov_b64_e32 v[38:39], s[4:5]
	;; [unrolled: 1-line block ×3, first 2 shown]
	v_cmp_gt_i32_e32 vcc, s46, v62
	v_mov_b64_e32 v[36:37], v[40:41]
	s_and_saveexec_b64 s[2:3], vcc
	s_cbranch_execz .LBB129_26
; %bb.25:
	v_lshlrev_b32_e32 v34, 8, v62
	v_mov_b32_e32 v35, 0
	v_lshl_add_u64 v[36:37], s[0:1], 0, v[34:35]
	v_lshlrev_b32_e32 v34, 1, v50
	v_lshl_add_u64 v[42:43], v[36:37], 0, v[34:35]
	global_load_dwordx4 v[38:41], v[42:43], off
	global_load_dwordx4 v[34:37], v[42:43], off offset:128
.LBB129_26:
	s_or_b64 exec, exec, s[2:3]
	s_mov_b32 s6, s4
	s_mov_b32 s7, s4
	;; [unrolled: 1-line block ×3, first 2 shown]
	v_mov_b64_e32 v[48:49], s[6:7]
	v_mov_b64_e32 v[46:47], s[4:5]
	;; [unrolled: 1-line block ×3, first 2 shown]
	v_cmp_gt_i32_e32 vcc, s46, v52
	v_lshlrev_b32_e32 v53, 7, v52
	v_mov_b64_e32 v[44:45], v[48:49]
	s_and_saveexec_b64 s[2:3], vcc
	s_cbranch_execz .LBB129_28
; %bb.27:
	v_lshlrev_b32_e32 v42, 1, v53
	v_mov_b32_e32 v43, 0
	v_lshl_add_u64 v[44:45], s[0:1], 0, v[42:43]
	v_lshlrev_b32_e32 v42, 1, v50
	v_lshl_add_u64 v[58:59], v[44:45], 0, v[42:43]
	global_load_dwordx4 v[46:49], v[58:59], off
	global_load_dwordx4 v[42:45], v[58:59], off offset:128
.LBB129_28:
	s_or_b64 exec, exec, s[2:3]
	v_lshrrev_b32_e32 v56, 3, v50
	v_lshlrev_b32_e32 v58, 3, v62
	v_or_b32_e32 v56, v58, v56
	v_lshlrev_b32_e32 v56, 4, v56
	v_and_b32_e32 v58, 0x78, v58
	v_xor_b32_e32 v56, v56, v58
	s_branch .LBB129_31
.LBB129_29:
                                        ; implicit-def: $vgpr56
                                        ; implicit-def: $vgpr53
                                        ; implicit-def: $vgpr38_vgpr39_vgpr40_vgpr41
                                        ; implicit-def: $vgpr34_vgpr35_vgpr36_vgpr37
                                        ; implicit-def: $vgpr46_vgpr47_vgpr48_vgpr49
                                        ; implicit-def: $vgpr42_vgpr43_vgpr44_vgpr45
	s_cbranch_execz .LBB129_31
; %bb.30:
	s_waitcnt vmcnt(0)
	v_lshlrev_b32_e32 v34, 1, v50
	v_lshl_or_b32 v53, v62, 8, v34
	s_and_b32 s1, s1, 0xffff
	s_mov_b32 s3, 0x20000
	s_movk_i32 s2, 0x4000
	v_lshl_or_b32 v56, v52, 8, v34
	s_movk_i32 s4, 0x80
	buffer_load_dwordx4 v[38:41], v53, s[0:3], 0 offen
	buffer_load_dwordx4 v[34:37], v53, s[0:3], s4 offen
	;; [unrolled: 1-line block ×4, first 2 shown]
	v_lshrrev_b32_e32 v53, 3, v50
	v_lshlrev_b32_e32 v56, 3, v62
	v_or_b32_e32 v53, v56, v53
	v_lshlrev_b32_e32 v53, 4, v53
	v_and_b32_e32 v56, 0x78, v56
	v_xor_b32_e32 v56, v53, v56
	v_lshlrev_b32_e32 v53, 7, v52
.LBB129_31:
	s_movk_i32 s0, 0x1000
	v_and_or_b32 v52, v53, s0, v56
	s_waitcnt vmcnt(1)
	ds_write_b64 v56, v[38:39] offset:49152
	v_xor_b32_e32 v38, 8, v56
	ds_write_b64 v38, v[40:41] offset:49152
	s_waitcnt vmcnt(0)
	ds_write_b64 v56, v[34:35] offset:57344
	ds_write_b64 v38, v[36:37] offset:57344
	;; [unrolled: 1-line block ×3, first 2 shown]
	v_xor_b32_e32 v34, 8, v52
	ds_write_b64 v34, v[48:49] offset:49152
	ds_write_b64 v52, v[42:43] offset:57344
	;; [unrolled: 1-line block ×3, first 2 shown]
	v_or_b32_e32 v34, v77, v99
	v_lshlrev_b32_e32 v34, 3, v34
	v_lshrrev_b32_e32 v35, 5, v79
	s_movk_i32 s0, 0xf8
	v_and_or_b32 v35, v34, s0, v35
	v_lshlrev_b32_e32 v39, 4, v35
	v_lshlrev_b32_e32 v56, 11, v1
	v_and_b32_e32 v40, 0x78, v34
	v_or_b32_e32 v42, 32, v39
	v_and_b32_e32 v38, 0x1000, v56
	v_lshrrev_b32_e32 v35, 1, v79
	v_xor_b32_e32 v42, v42, v40
	v_xor_b32_e32 v34, v39, v40
	v_and_b32_e32 v41, 8, v35
	v_or_b32_e32 v42, v42, v38
	v_or_b32_e32 v34, v34, v38
	v_xor_b32_e32 v64, v42, v41
	v_or_b32_e32 v42, 64, v39
	v_xor_b32_e32 v63, v34, v41
	v_xor_b32_e32 v42, v42, v40
	s_waitcnt lgkmcnt(0)
	s_barrier
	v_or_b32_e32 v45, v42, v38
	ds_read_b64 v[42:43], v63 offset:49152
	v_lshl_or_b32 v46, v98, 8, v57
	v_lshlrev_b32_e32 v58, 1, v46
	v_add_u32_e32 v44, 0x4000, v58
	ds_read2_b64 v[34:37], v44 offset1:16
	v_or_b32_e32 v39, 0x60, v39
	v_xor_b32_e32 v39, v39, v40
	v_or_b32_e32 v38, v39, v38
	v_xor_b32_e32 v65, v45, v41
	v_xor_b32_e32 v66, v38, v41
	ds_read_b64 v[52:53], v64 offset:49152
	ds_read_b64 v[68:69], v65 offset:49152
	;; [unrolled: 1-line block ×3, first 2 shown]
	s_waitcnt lgkmcnt(3)
	v_mfma_f32_16x16x16_bf16 a[0:3], v[42:43], v[34:35], 0
	ds_read2st64_b64 v[38:41], v58 offset0:36 offset1:40
	s_lshl_b64 s[0:1], s[44:45], 8
	s_add_u32 s4, s16, s0
	v_mfma_f32_16x16x16_bf16 a[4:7], v[42:43], v[36:37], 0
	ds_read2_b64 v[34:37], v44 offset0:32 offset1:48
	s_addc_u32 s5, s17, s1
	s_add_i32 s0, s51, s49
	s_waitcnt lgkmcnt(0)
	v_mfma_f32_16x16x16_bf16 a[8:11], v[42:43], v[34:35], 0
	v_or_b32_e32 v34, 64, v46
	v_lshlrev_b32_e32 v59, 1, v34
	s_add_i32 s17, s35, -1
	v_mfma_f32_16x16x16_bf16 a[12:15], v[42:43], v[36:37], 0
	ds_read2st64_b64 v[34:37], v59 offset0:36 offset1:40
	s_add_i32 s43, s0, s50
	s_add_i32 s0, s53, s52
	v_mfma_f32_16x16x16_bf16 a[0:3], v[52:53], v[38:39], a[0:3]
	v_or_b32_e32 v38, 0x80, v46
	v_lshlrev_b32_e32 v60, 1, v38
	ds_read2st64_b64 v[42:45], v60 offset0:36 offset1:40
	s_waitcnt lgkmcnt(1)
	v_mfma_f32_16x16x16_bf16 a[4:7], v[52:53], v[34:35], a[4:7]
	v_or_b32_e32 v34, 0xc0, v46
	v_lshlrev_b32_e32 v61, 1, v34
	ds_read2st64_b64 v[46:49], v61 offset0:36 offset1:40
	s_add_i32 s41, s0, s54
	s_ashr_i32 s0, s17, 31
	s_mul_i32 s1, s17, s11
	s_mul_hi_u32 s2, s17, s10
	s_add_i32 s1, s2, s1
	s_mul_i32 s0, s0, s10
	s_waitcnt lgkmcnt(1)
	v_mfma_f32_16x16x16_bf16 a[8:11], v[52:53], v[42:43], a[8:11]
	s_add_i32 s1, s1, s0
	s_lshl_b64 s[2:3], s[42:43], 2
	s_add_u32 s6, s22, s2
	s_waitcnt lgkmcnt(0)
	v_mfma_f32_16x16x16_bf16 a[12:15], v[52:53], v[46:47], a[12:15]
	s_addc_u32 s7, s23, s3
	s_lshl_b64 s[2:3], s[40:41], 2
	s_mul_i32 s0, s17, s10
	v_mfma_f32_16x16x16_bf16 a[0:3], v[68:69], v[40:41], a[0:3]
	ds_read_b64 v[34:35], v58 offset:22528
	s_add_u32 s12, s6, s2
	s_addc_u32 s13, s7, s3
	v_mfma_f32_16x16x16_bf16 a[4:7], v[68:69], v[36:37], a[4:7]
	ds_read_b64 v[36:37], v59 offset:22528
	ds_read_b64 v[38:39], v60 offset:22528
	;; [unrolled: 1-line block ×3, first 2 shown]
	s_lshl_b64 s[0:1], s[0:1], 2
	s_add_u32 s0, s12, s0
	v_mfma_f32_16x16x16_bf16 a[8:11], v[68:69], v[44:45], a[8:11]
	s_addc_u32 s1, s13, s1
	s_load_dword s16, s[0:1], 0x0
	s_and_b64 vcc, exec, s[38:39]
	v_mfma_f32_16x16x16_bf16 a[12:15], v[68:69], v[48:49], a[12:15]
	s_waitcnt lgkmcnt(0)
	v_mfma_f32_16x16x16_bf16 a[0:3], v[70:71], v[34:35], a[0:3]
	v_mfma_f32_16x16x16_bf16 a[4:7], v[70:71], v[36:37], a[4:7]
	v_mfma_f32_16x16x16_bf16 a[8:11], v[70:71], v[38:39], a[8:11]
	v_mfma_f32_16x16x16_bf16 a[12:15], v[70:71], v[40:41], a[12:15]
	s_cbranch_vccz .LBB129_42
; %bb.32:
	v_lshlrev_b32_e32 v52, 1, v62
	s_and_b64 vcc, exec, s[18:19]
	s_cbranch_vccz .LBB129_43
; %bb.33:
	v_cmp_gt_i32_e32 vcc, s46, v52
	v_mov_b32_e32 v38, 0
	v_mov_b32_e32 v34, 0
	v_mov_b32_e32 v35, 0
	v_mov_b32_e32 v36, 0
	v_mov_b32_e32 v37, 0
	s_and_saveexec_b64 s[0:1], vcc
	s_cbranch_execz .LBB129_35
; %bb.34:
	v_mad_i64_i32 v[34:35], s[2:3], s31, v52, 0
	v_lshl_add_u64 v[34:35], v[34:35], 1, s[4:5]
	v_lshlrev_b32_e32 v36, 1, v50
	v_mov_b32_e32 v37, 0
	v_lshl_add_u64 v[34:35], v[34:35], 0, v[36:37]
	global_load_dwordx4 v[34:37], v[34:35], off
.LBB129_35:
	s_or_b64 exec, exec, s[0:1]
	v_or_b32_e32 v53, 1, v52
	v_cmp_gt_i32_e64 s[0:1], s46, v53
	v_mov_b32_e32 v39, 0
	v_mov_b32_e32 v40, 0
	;; [unrolled: 1-line block ×3, first 2 shown]
	s_and_saveexec_b64 s[2:3], s[0:1]
	s_cbranch_execz .LBB129_37
; %bb.36:
	v_mad_i64_i32 v[38:39], s[6:7], s31, v53, 0
	v_lshl_add_u64 v[38:39], v[38:39], 1, s[4:5]
	v_lshlrev_b32_e32 v40, 1, v50
	v_mov_b32_e32 v41, 0
	v_lshl_add_u64 v[38:39], v[38:39], 0, v[40:41]
	global_load_dwordx4 v[38:41], v[38:39], off
.LBB129_37:
	s_or_b64 exec, exec, s[2:3]
	v_mov_b32_e32 v49, 0
	v_mov_b32_e32 v42, 0
	;; [unrolled: 1-line block ×5, first 2 shown]
	s_and_saveexec_b64 s[2:3], vcc
	s_cbranch_execz .LBB129_39
; %bb.38:
	v_mad_i64_i32 v[42:43], s[6:7], s31, v52, 0
	v_lshl_add_u64 v[42:43], v[42:43], 1, s[4:5]
	v_lshlrev_b32_e32 v44, 1, v50
	v_mov_b32_e32 v45, 0
	v_lshl_add_u64 v[42:43], v[42:43], 0, v[44:45]
	global_load_dwordx4 v[42:45], v[42:43], off offset:128
.LBB129_39:
	s_or_b64 exec, exec, s[2:3]
	v_mov_b32_e32 v48, 0
	v_mov_b32_e32 v47, 0
	;; [unrolled: 1-line block ×3, first 2 shown]
	s_and_saveexec_b64 s[2:3], s[0:1]
	s_cbranch_execz .LBB129_41
; %bb.40:
	v_mad_i64_i32 v[46:47], s[0:1], s31, v53, 0
	v_lshl_add_u64 v[46:47], v[46:47], 1, s[4:5]
	v_lshlrev_b32_e32 v48, 1, v50
	v_mov_b32_e32 v49, 0
	v_lshl_add_u64 v[46:47], v[46:47], 0, v[48:49]
	global_load_dwordx4 v[46:49], v[46:47], off offset:128
.LBB129_41:
	s_or_b64 exec, exec, s[2:3]
	s_branch .LBB129_45
.LBB129_42:
                                        ; implicit-def: $vgpr37
                                        ; implicit-def: $vgpr41
                                        ; implicit-def: $vgpr45
                                        ; implicit-def: $vgpr49
	v_lshrrev_b32_e32 v67, 2, v79
	s_branch .LBB129_46
.LBB129_43:
                                        ; implicit-def: $vgpr37
                                        ; implicit-def: $vgpr41
                                        ; implicit-def: $vgpr45
                                        ; implicit-def: $vgpr49
	s_cbranch_execz .LBB129_45
; %bb.44:
	s_waitcnt vmcnt(0)
	v_mad_u64_u32 v[34:35], s[0:1], v52, s31, v[50:51]
	v_lshlrev_b32_e32 v52, 1, v34
	s_lshl_b32 s2, s31, 7
	s_and_b32 s1, s5, 0xffff
	s_mov_b32 s3, 0x20000
	s_mov_b32 s0, s4
	v_add_lshl_u32 v53, v34, s31, 1
	s_movk_i32 s6, 0x80
	buffer_load_dwordx4 v[34:37], v52, s[0:3], 0 offen
	buffer_load_dwordx4 v[42:45], v52, s[0:3], s6 offen
	;; [unrolled: 1-line block ×4, first 2 shown]
.LBB129_45:
	v_lshrrev_b32_e32 v67, 2, v79
	s_cbranch_execnz .LBB129_58
.LBB129_46:
	s_and_b64 vcc, exec, s[18:19]
	s_cbranch_vccz .LBB129_56
; %bb.47:
	s_waitcnt vmcnt(0)
	v_lshlrev_b32_e32 v39, 1, v62
	v_cmp_gt_i32_e32 vcc, s46, v39
	v_mov_b32_e32 v38, 0
	v_lshlrev_b32_e32 v46, 9, v62
	v_mov_b32_e32 v34, 0
	v_mov_b32_e32 v35, 0
	;; [unrolled: 1-line block ×4, first 2 shown]
	s_and_saveexec_b64 s[0:1], vcc
	s_cbranch_execz .LBB129_49
; %bb.48:
	v_mov_b32_e32 v47, 0
	v_lshl_add_u64 v[34:35], s[4:5], 0, v[46:47]
	v_lshlrev_b32_e32 v36, 1, v50
	v_mov_b32_e32 v37, v47
	v_lshl_add_u64 v[34:35], v[34:35], 0, v[36:37]
	global_load_dwordx4 v[34:37], v[34:35], off
.LBB129_49:
	s_or_b64 exec, exec, s[0:1]
	v_or_b32_e32 v39, 1, v39
	v_cmp_gt_i32_e64 s[0:1], s46, v39
	v_lshlrev_b32_e32 v52, 8, v39
	v_mov_b32_e32 v39, 0
	v_mov_b32_e32 v40, 0
	;; [unrolled: 1-line block ×3, first 2 shown]
	s_and_saveexec_b64 s[2:3], s[0:1]
	s_cbranch_execz .LBB129_51
; %bb.50:
	v_mov_b32_e32 v53, 0
	v_lshl_add_u64 v[38:39], s[4:5], 0, v[52:53]
	v_lshlrev_b32_e32 v40, 1, v50
	v_mov_b32_e32 v41, v53
	v_lshl_add_u64 v[38:39], v[38:39], 0, v[40:41]
	global_load_dwordx4 v[38:41], v[38:39], off
.LBB129_51:
	s_or_b64 exec, exec, s[2:3]
	v_mov_b32_e32 v49, 0
	v_mov_b32_e32 v42, 0
	;; [unrolled: 1-line block ×5, first 2 shown]
	s_and_saveexec_b64 s[2:3], vcc
	s_cbranch_execz .LBB129_53
; %bb.52:
	v_mov_b32_e32 v47, 0
	v_lshl_add_u64 v[42:43], s[4:5], 0, v[46:47]
	v_lshlrev_b32_e32 v46, 1, v50
	v_lshl_add_u64 v[42:43], v[42:43], 0, v[46:47]
	global_load_dwordx4 v[42:45], v[42:43], off offset:128
.LBB129_53:
	s_or_b64 exec, exec, s[2:3]
	v_mov_b32_e32 v48, 0
	v_mov_b32_e32 v47, 0
	v_mov_b32_e32 v46, 0
	s_and_saveexec_b64 s[2:3], s[0:1]
	s_cbranch_execz .LBB129_55
; %bb.54:
	v_mov_b32_e32 v53, 0
	v_lshl_add_u64 v[46:47], s[4:5], 0, v[52:53]
	v_lshlrev_b32_e32 v52, 1, v50
	v_lshl_add_u64 v[46:47], v[46:47], 0, v[52:53]
	global_load_dwordx4 v[46:49], v[46:47], off offset:128
.LBB129_55:
	s_or_b64 exec, exec, s[2:3]
	s_branch .LBB129_58
.LBB129_56:
                                        ; implicit-def: $vgpr37
                                        ; implicit-def: $vgpr41
                                        ; implicit-def: $vgpr45
                                        ; implicit-def: $vgpr49
	s_cbranch_execz .LBB129_58
; %bb.57:
	s_waitcnt vmcnt(0)
	v_lshlrev_b32_e32 v34, 1, v50
	v_lshl_or_b32 v50, v62, 9, v34
	s_and_b32 s5, s5, 0xffff
	s_mov_b32 s7, 0x20000
	s_movk_i32 s6, 0x4000
	s_movk_i32 s0, 0x80
	buffer_load_dwordx4 v[34:37], v50, s[4:7], 0 offen
	buffer_load_dwordx4 v[38:41], v50, s[4:7], 0 offen offset:256
	buffer_load_dwordx4 v[42:45], v50, s[4:7], s0 offen
	buffer_load_dwordx4 v[46:49], v50, s[4:7], s0 offen offset:256
.LBB129_58:
	ds_read_b64 v[52:53], v63 offset:57344
	v_add_u32_e32 v50, 0x6000, v58
	ds_read2_b64 v[68:71], v50 offset1:16
	ds_read_b64 v[94:95], v64 offset:57344
	ds_read_b64 v[96:97], v65 offset:57344
	;; [unrolled: 1-line block ×3, first 2 shown]
	v_and_b32_e32 v63, 6, v0
	v_xor_b32_e32 v62, v62, v63
	v_lshlrev_b32_e32 v62, 2, v62
	s_mov_b32 s0, 0x1000504
	s_mov_b32 s1, 0x3020706
	s_waitcnt lgkmcnt(3)
	v_mfma_f32_16x16x16_bf16 a[0:3], v[52:53], v[68:69], a[0:3]
	v_mfma_f32_16x16x16_bf16 a[4:7], v[52:53], v[70:71], a[4:7]
	ds_read2_b64 v[68:71], v50 offset0:32 offset1:48
	v_and_b32_e32 v50, 12, v67
	ds_read2st64_b64 v[64:67], v58 offset0:52 offset1:56
	s_waitcnt lgkmcnt(1)
	v_mfma_f32_16x16x16_bf16 a[8:11], v[52:53], v[68:69], a[8:11]
	v_mfma_f32_16x16x16_bf16 a[12:15], v[52:53], v[70:71], a[12:15]
	ds_read2st64_b64 v[68:71], v59 offset0:52 offset1:56
	ds_read2st64_b64 v[72:75], v60 offset0:52 offset1:56
	;; [unrolled: 1-line block ×3, first 2 shown]
	s_waitcnt lgkmcnt(3)
	v_mfma_f32_16x16x16_bf16 a[0:3], v[94:95], v[64:65], a[0:3]
	ds_read_b64 v[52:53], v58 offset:30720
	ds_read_b64 v[64:65], v59 offset:30720
	;; [unrolled: 1-line block ×4, first 2 shown]
	s_waitcnt lgkmcnt(6)
	v_mfma_f32_16x16x16_bf16 a[4:7], v[94:95], v[68:69], a[4:7]
	v_and_b32_e32 v68, 1, v0
	v_xor_b32_e32 v69, 0x440, v62
	v_cmp_eq_u32_e32 vcc, 0, v68
	s_waitcnt lgkmcnt(5)
	v_mfma_f32_16x16x16_bf16 a[8:11], v[94:95], v[72:73], a[8:11]
	v_cndmask_b32_e32 v62, v69, v62, vcc
	v_lshl_or_b32 v62, v63, 10, v62
	s_waitcnt lgkmcnt(4)
	v_mfma_f32_16x16x16_bf16 a[12:15], v[94:95], v[90:91], a[12:15]
	s_waitcnt vmcnt(0)
	v_perm_b32 v63, v34, v38, s0
	v_perm_b32 v34, v34, v38, s1
	v_perm_b32 v38, v42, v46, s1
	v_mfma_f32_16x16x16_bf16 a[0:3], v[96:97], v[66:67], a[0:3]
	v_perm_b32 v66, v42, v46, s0
	ds_write2st64_b32 v62, v63, v66 offset0:128 offset1:160
	v_xor_b32_e32 v63, 8, v62
	v_add_u32_e32 v42, 0x80, v63
	ds_write2st64_b32 v42, v34, v38 offset0:128 offset1:160
	v_xor_b32_e32 v34, 16, v62
	v_perm_b32 v38, v35, v39, s0
	v_perm_b32 v42, v43, v47, s0
	v_mfma_f32_16x16x16_bf16 a[4:7], v[96:97], v[70:71], a[4:7]
	ds_write2st64_b32 v34, v38, v42 offset0:129 offset1:161
	v_xor_b32_e32 v34, 24, v62
	v_perm_b32 v35, v35, v39, s1
	v_mfma_f32_16x16x16_bf16 a[16:19], v[96:97], v[74:75], a[8:11]
	v_perm_b32 v38, v43, v47, s1
	v_add_u32_e32 v34, 0x80, v34
	ds_write2st64_b32 v34, v35, v38 offset0:129 offset1:161
	v_mfma_f32_16x16x16_bf16 a[20:23], v[96:97], v[92:93], a[12:15]
	v_xor_b32_e32 v34, 32, v62
	v_perm_b32 v35, v36, v40, s0
	v_perm_b32 v38, v44, v48, s0
	ds_write2st64_b32 v34, v35, v38 offset0:130 offset1:162
	v_xor_b32_e32 v34, 40, v62
	s_waitcnt lgkmcnt(8)
	v_mfma_f32_16x16x16_bf16 a[12:15], v[98:99], v[52:53], a[0:3]
	v_perm_b32 v35, v36, v40, s1
	v_perm_b32 v36, v44, v48, s1
	v_add_u32_e32 v34, 0x80, v34
	s_waitcnt lgkmcnt(7)
	v_mfma_f32_16x16x16_bf16 a[8:11], v[98:99], v[64:65], a[4:7]
	ds_write2st64_b32 v34, v35, v36 offset0:130 offset1:162
	v_xor_b32_e32 v34, 48, v62
	v_perm_b32 v35, v37, v41, s0
	s_waitcnt lgkmcnt(7)
	v_mfma_f32_16x16x16_bf16 a[4:7], v[98:99], v[100:101], a[16:19]
	v_perm_b32 v36, v45, v49, s0
	ds_write2st64_b32 v34, v35, v36 offset0:131 offset1:163
	v_xor_b32_e32 v34, 56, v62
	s_waitcnt lgkmcnt(7)
	v_mfma_f32_16x16x16_bf16 a[0:3], v[98:99], v[102:103], a[20:23]
	v_or_b32_e32 v52, v50, v77
	v_perm_b32 v35, v37, v41, s1
	v_perm_b32 v36, v45, v49, s1
	v_add_u32_e32 v34, 0x80, v34
	v_cmp_gt_i32_e64 s[0:1], s46, v52
	v_mov_b32_e32 v62, 0
	v_mov_b32_e32 v63, 0
	ds_write2st64_b32 v34, v35, v36 offset0:131 offset1:163
	s_and_saveexec_b64 s[2:3], s[0:1]
	s_cbranch_execz .LBB129_60
; %bb.59:
	v_add_u32_e32 v34, s34, v52
	v_ashrrev_i32_e32 v35, 31, v34
	v_mul_lo_u32 v36, v35, s10
	v_mul_lo_u32 v37, v34, s11
	v_mad_u64_u32 v[34:35], s[4:5], v34, s10, 0
	v_add3_u32 v35, v35, v37, v36
	v_lshl_add_u64 v[34:35], v[34:35], 2, s[12:13]
	global_load_dword v34, v[34:35], off
	s_waitcnt vmcnt(0)
	v_sub_f32_e32 v34, s16, v34
	v_exp_f32_e32 v63, v34
.LBB129_60:
	s_or_b64 exec, exec, s[2:3]
	v_or_b32_e32 v46, 1, v52
	v_cmp_gt_i32_e64 s[4:5], s46, v46
	s_and_saveexec_b64 s[2:3], s[4:5]
	s_cbranch_execz .LBB129_62
; %bb.61:
	v_add_u32_e32 v34, s34, v46
	v_ashrrev_i32_e32 v35, 31, v34
	v_mul_lo_u32 v36, v35, s10
	v_mul_lo_u32 v37, v34, s11
	v_mad_u64_u32 v[34:35], s[6:7], v34, s10, 0
	v_add3_u32 v35, v35, v37, v36
	v_lshl_add_u64 v[34:35], v[34:35], 2, s[12:13]
	global_load_dword v34, v[34:35], off
	s_waitcnt vmcnt(0)
	v_sub_f32_e32 v34, s16, v34
	v_exp_f32_e32 v62, v34
.LBB129_62:
	s_or_b64 exec, exec, s[2:3]
	v_or_b32_e32 v42, 2, v52
	v_cmp_gt_i32_e64 s[2:3], s46, v42
	v_mov_b32_e32 v53, 0
	v_mov_b32_e32 v64, 0
	s_and_saveexec_b64 s[6:7], s[2:3]
	s_cbranch_execz .LBB129_64
; %bb.63:
	v_add_u32_e32 v34, s34, v42
	v_ashrrev_i32_e32 v35, 31, v34
	v_mul_lo_u32 v36, v35, s10
	v_mul_lo_u32 v37, v34, s11
	v_mad_u64_u32 v[34:35], s[18:19], v34, s10, 0
	v_add3_u32 v35, v35, v37, v36
	v_lshl_add_u64 v[34:35], v[34:35], 2, s[12:13]
	global_load_dword v34, v[34:35], off
	s_waitcnt vmcnt(0)
	v_sub_f32_e32 v34, s16, v34
	v_exp_f32_e32 v64, v34
.LBB129_64:
	s_or_b64 exec, exec, s[6:7]
	v_or_b32_e32 v43, 3, v52
	v_cmp_gt_i32_e32 vcc, s46, v43
	s_and_saveexec_b64 s[6:7], vcc
	s_cbranch_execz .LBB129_66
; %bb.65:
	v_add_u32_e32 v34, s34, v43
	v_ashrrev_i32_e32 v35, 31, v34
	v_mul_lo_u32 v36, v35, s10
	v_mul_lo_u32 v37, v34, s11
	v_mad_u64_u32 v[34:35], s[10:11], v34, s10, 0
	v_add3_u32 v35, v35, v37, v36
	v_lshl_add_u64 v[34:35], v[34:35], 2, s[12:13]
	global_load_dword v34, v[34:35], off
	s_waitcnt vmcnt(0)
	v_sub_f32_e32 v34, s16, v34
	v_exp_f32_e32 v53, v34
.LBB129_66:
	s_or_b64 exec, exec, s[6:7]
	s_add_u32 s6, s20, s36
	s_addc_u32 s7, s21, s37
	s_add_u32 s10, s14, s36
	v_ashrrev_i32_e32 v89, 31, v88
	v_accvgpr_read_b32 v37, a15
	s_addc_u32 s11, s15, s37
	v_lshlrev_b64 v[38:39], 1, v[88:89]
	v_accvgpr_read_b32 v36, a14
	v_accvgpr_read_b32 v35, a13
	;; [unrolled: 1-line block ×3, first 2 shown]
	v_lshl_add_u64 v[40:41], s[6:7], 0, v[38:39]
	v_lshl_add_u64 v[38:39], s[10:11], 0, v[38:39]
	v_mov_b32_e32 v47, 0
	v_lshlrev_b32_e32 v44, 8, v52
	v_mov_b32_e32 v45, 0
	s_and_saveexec_b64 s[6:7], s[0:1]
	s_cbranch_execz .LBB129_68
; %bb.67:
	v_mov_b32_e32 v45, 0
	v_lshl_add_u64 v[48:49], v[40:41], 0, v[44:45]
	global_load_ushort v65, v[48:49], off
	v_lshl_add_u64 v[48:49], v[38:39], 0, v[44:45]
	s_waitcnt vmcnt(0)
	v_lshlrev_b32_e32 v45, 16, v65
	v_sub_f32_e32 v34, v45, v34
	global_store_short_d16_hi v[48:49], v34, off
	v_mul_f32_e32 v34, v63, v34
	v_lshrrev_b32_e32 v45, 16, v34
.LBB129_68:
	s_or_b64 exec, exec, s[6:7]
	v_lshlrev_b32_e32 v46, 8, v46
	s_and_saveexec_b64 s[6:7], s[4:5]
	s_cbranch_execz .LBB129_70
; %bb.69:
	v_mov_b32_e32 v47, 0
	v_lshl_add_u64 v[48:49], v[40:41], 0, v[46:47]
	global_load_ushort v34, v[48:49], off
	v_lshl_add_u64 v[48:49], v[38:39], 0, v[46:47]
	s_waitcnt vmcnt(0)
	v_lshlrev_b32_e32 v34, 16, v34
	v_sub_f32_e32 v34, v34, v35
	global_store_short_d16_hi v[48:49], v34, off
	v_mul_f32_e32 v34, v62, v34
	v_lshrrev_b32_e32 v47, 16, v34
.LBB129_70:
	s_or_b64 exec, exec, s[6:7]
	v_mov_b32_e32 v66, 0
	v_lshlrev_b32_e32 v48, 8, v42
	v_mov_b32_e32 v49, 0
	s_and_saveexec_b64 s[6:7], s[2:3]
	s_cbranch_execz .LBB129_72
; %bb.71:
	v_mov_b32_e32 v49, 0
	v_lshl_add_u64 v[34:35], v[40:41], 0, v[48:49]
	global_load_ushort v42, v[34:35], off
	v_lshl_add_u64 v[34:35], v[38:39], 0, v[48:49]
	s_waitcnt vmcnt(0)
	v_lshlrev_b32_e32 v42, 16, v42
	v_sub_f32_e32 v36, v42, v36
	global_store_short_d16_hi v[34:35], v36, off
	v_mul_f32_e32 v34, v64, v36
	v_lshrrev_b32_e32 v49, 16, v34
.LBB129_72:
	s_or_b64 exec, exec, s[6:7]
	v_lshlrev_b32_e32 v42, 8, v43
	s_and_saveexec_b64 s[6:7], vcc
	s_cbranch_execz .LBB129_74
; %bb.73:
	v_mov_b32_e32 v43, 0
	v_lshl_add_u64 v[34:35], v[40:41], 0, v[42:43]
	global_load_ushort v36, v[34:35], off
	v_lshl_add_u64 v[34:35], v[38:39], 0, v[42:43]
	s_waitcnt vmcnt(0)
	v_lshlrev_b32_e32 v36, 16, v36
	v_sub_f32_e32 v36, v36, v37
	global_store_short_d16_hi v[34:35], v36, off
	v_mul_f32_e32 v34, v53, v36
	v_lshrrev_b32_e32 v66, 16, v34
.LBB129_74:
	s_or_b64 exec, exec, s[6:7]
	v_lshlrev_b32_e32 v65, 6, v52
	v_accvgpr_read_b32 v37, a11
	s_mov_b32 s6, 0x5040100
	v_or_b32_e32 v43, v65, v57
	v_accvgpr_read_b32 v36, a10
	v_accvgpr_read_b32 v35, a9
	;; [unrolled: 1-line block ×3, first 2 shown]
	v_perm_b32 v67, v66, v49, s6
	v_perm_b32 v66, v47, v45, s6
	v_lshlrev_b32_e32 v43, 1, v43
	v_mov_b32_e32 v47, 0
	v_mov_b32_e32 v45, 0
	ds_write_b64 v43, v[66:67] offset:24576
	s_and_saveexec_b64 s[6:7], s[0:1]
	s_cbranch_execz .LBB129_76
; %bb.75:
	v_mov_b32_e32 v45, 0
	v_lshl_add_u64 v[66:67], v[40:41], 0, v[44:45]
	global_load_ushort v43, v[66:67], off offset:32
	v_lshl_add_u64 v[66:67], v[38:39], 0, v[44:45]
	s_waitcnt vmcnt(0)
	v_lshlrev_b32_e32 v43, 16, v43
	v_sub_f32_e32 v34, v43, v34
	global_store_short_d16_hi v[66:67], v34, off offset:32
	v_mul_f32_e32 v34, v63, v34
	v_lshrrev_b32_e32 v45, 16, v34
.LBB129_76:
	s_or_b64 exec, exec, s[6:7]
	s_and_saveexec_b64 s[6:7], s[4:5]
	s_cbranch_execz .LBB129_78
; %bb.77:
	v_mov_b32_e32 v47, 0
	v_lshl_add_u64 v[66:67], v[40:41], 0, v[46:47]
	global_load_ushort v34, v[66:67], off offset:32
	v_lshl_add_u64 v[66:67], v[38:39], 0, v[46:47]
	s_waitcnt vmcnt(0)
	v_lshlrev_b32_e32 v34, 16, v34
	v_sub_f32_e32 v34, v34, v35
	global_store_short_d16_hi v[66:67], v34, off offset:32
	v_mul_f32_e32 v34, v62, v34
	v_lshrrev_b32_e32 v47, 16, v34
.LBB129_78:
	s_or_b64 exec, exec, s[6:7]
	v_mov_b32_e32 v43, 0
	v_mov_b32_e32 v49, 0
	s_and_saveexec_b64 s[6:7], s[2:3]
	s_cbranch_execz .LBB129_80
; %bb.79:
	v_mov_b32_e32 v49, 0
	v_lshl_add_u64 v[34:35], v[40:41], 0, v[48:49]
	global_load_ushort v57, v[34:35], off offset:32
	v_lshl_add_u64 v[34:35], v[38:39], 0, v[48:49]
	s_waitcnt vmcnt(0)
	v_lshlrev_b32_e32 v49, 16, v57
	v_sub_f32_e32 v36, v49, v36
	global_store_short_d16_hi v[34:35], v36, off offset:32
	v_mul_f32_e32 v34, v64, v36
	v_lshrrev_b32_e32 v49, 16, v34
.LBB129_80:
	s_or_b64 exec, exec, s[6:7]
	s_and_saveexec_b64 s[6:7], vcc
	s_cbranch_execz .LBB129_82
; %bb.81:
	v_mov_b32_e32 v43, 0
	v_lshl_add_u64 v[34:35], v[40:41], 0, v[42:43]
	global_load_ushort v36, v[34:35], off offset:32
	v_lshl_add_u64 v[34:35], v[38:39], 0, v[42:43]
	s_waitcnt vmcnt(0)
	v_lshlrev_b32_e32 v36, 16, v36
	v_sub_f32_e32 v36, v36, v37
	global_store_short_d16_hi v[34:35], v36, off offset:32
	v_mul_f32_e32 v34, v53, v36
	v_lshrrev_b32_e32 v43, 16, v34
.LBB129_82:
	s_or_b64 exec, exec, s[6:7]
	s_mov_b32 s6, 0x5040100
	v_accvgpr_read_b32 v37, a7
	v_perm_b32 v67, v43, v49, s6
	v_or_b32_e32 v43, v65, v55
	v_accvgpr_read_b32 v36, a6
	v_accvgpr_read_b32 v35, a5
	v_accvgpr_read_b32 v34, a4
	v_perm_b32 v66, v47, v45, s6
	v_lshlrev_b32_e32 v43, 1, v43
	v_mov_b32_e32 v47, 0
	v_mov_b32_e32 v45, 0
	ds_write_b64 v43, v[66:67] offset:24576
	s_and_saveexec_b64 s[6:7], s[0:1]
	s_cbranch_execz .LBB129_84
; %bb.83:
	v_mov_b32_e32 v45, 0
	v_lshl_add_u64 v[66:67], v[40:41], 0, v[44:45]
	global_load_ushort v43, v[66:67], off offset:64
	v_lshl_add_u64 v[66:67], v[38:39], 0, v[44:45]
	s_waitcnt vmcnt(0)
	v_lshlrev_b32_e32 v43, 16, v43
	v_sub_f32_e32 v34, v43, v34
	global_store_short_d16_hi v[66:67], v34, off offset:64
	v_mul_f32_e32 v34, v63, v34
	v_lshrrev_b32_e32 v45, 16, v34
.LBB129_84:
	s_or_b64 exec, exec, s[6:7]
	s_and_saveexec_b64 s[6:7], s[4:5]
	s_cbranch_execz .LBB129_86
; %bb.85:
	v_mov_b32_e32 v47, 0
	v_lshl_add_u64 v[66:67], v[40:41], 0, v[46:47]
	global_load_ushort v34, v[66:67], off offset:64
	v_lshl_add_u64 v[66:67], v[38:39], 0, v[46:47]
	s_waitcnt vmcnt(0)
	v_lshlrev_b32_e32 v34, 16, v34
	v_sub_f32_e32 v34, v34, v35
	global_store_short_d16_hi v[66:67], v34, off offset:64
	v_mul_f32_e32 v34, v62, v34
	v_lshrrev_b32_e32 v47, 16, v34
.LBB129_86:
	s_or_b64 exec, exec, s[6:7]
	v_mov_b32_e32 v43, 0
	v_mov_b32_e32 v49, 0
	s_and_saveexec_b64 s[6:7], s[2:3]
	s_cbranch_execz .LBB129_88
; %bb.87:
	v_mov_b32_e32 v49, 0
	v_lshl_add_u64 v[34:35], v[40:41], 0, v[48:49]
	global_load_ushort v55, v[34:35], off offset:64
	v_lshl_add_u64 v[34:35], v[38:39], 0, v[48:49]
	s_waitcnt vmcnt(0)
	v_lshlrev_b32_e32 v49, 16, v55
	v_sub_f32_e32 v36, v49, v36
	global_store_short_d16_hi v[34:35], v36, off offset:64
	v_mul_f32_e32 v34, v64, v36
	v_lshrrev_b32_e32 v49, 16, v34
.LBB129_88:
	s_or_b64 exec, exec, s[6:7]
	s_and_saveexec_b64 s[6:7], vcc
	s_cbranch_execz .LBB129_90
; %bb.89:
	v_mov_b32_e32 v43, 0
	v_lshl_add_u64 v[34:35], v[40:41], 0, v[42:43]
	global_load_ushort v36, v[34:35], off offset:64
	v_lshl_add_u64 v[34:35], v[38:39], 0, v[42:43]
	s_waitcnt vmcnt(0)
	v_lshlrev_b32_e32 v36, 16, v36
	v_sub_f32_e32 v36, v36, v37
	global_store_short_d16_hi v[34:35], v36, off offset:64
	v_mul_f32_e32 v34, v53, v36
	v_lshrrev_b32_e32 v43, 16, v34
.LBB129_90:
	s_or_b64 exec, exec, s[6:7]
	s_mov_b32 s6, 0x5040100
	v_accvgpr_read_b32 v37, a3
	v_perm_b32 v67, v43, v49, s6
	v_or_b32_e32 v43, v65, v54
	v_accvgpr_read_b32 v36, a2
	v_accvgpr_read_b32 v35, a1
	;; [unrolled: 1-line block ×3, first 2 shown]
	v_perm_b32 v66, v47, v45, s6
	v_lshlrev_b32_e32 v43, 1, v43
	v_mov_b32_e32 v47, 0
	v_mov_b32_e32 v45, 0
	ds_write_b64 v43, v[66:67] offset:24576
	s_and_saveexec_b64 s[6:7], s[0:1]
	s_cbranch_execz .LBB129_92
; %bb.91:
	v_mov_b32_e32 v45, 0
	v_lshl_add_u64 v[54:55], v[40:41], 0, v[44:45]
	global_load_ushort v43, v[54:55], off offset:96
	v_lshl_add_u64 v[44:45], v[38:39], 0, v[44:45]
	s_waitcnt vmcnt(0)
	v_lshlrev_b32_e32 v43, 16, v43
	v_sub_f32_e32 v34, v43, v34
	global_store_short_d16_hi v[44:45], v34, off offset:96
	v_mul_f32_e32 v34, v63, v34
	v_lshrrev_b32_e32 v45, 16, v34
.LBB129_92:
	s_or_b64 exec, exec, s[6:7]
	s_and_saveexec_b64 s[0:1], s[4:5]
	s_cbranch_execz .LBB129_94
; %bb.93:
	v_mov_b32_e32 v47, 0
	v_lshl_add_u64 v[54:55], v[40:41], 0, v[46:47]
	global_load_ushort v34, v[54:55], off offset:96
	v_lshl_add_u64 v[46:47], v[38:39], 0, v[46:47]
	s_waitcnt vmcnt(0)
	v_lshlrev_b32_e32 v34, 16, v34
	v_sub_f32_e32 v34, v34, v35
	global_store_short_d16_hi v[46:47], v34, off offset:96
	v_mul_f32_e32 v34, v62, v34
	v_lshrrev_b32_e32 v47, 16, v34
.LBB129_94:
	s_or_b64 exec, exec, s[0:1]
	v_mov_b32_e32 v43, 0
	v_mov_b32_e32 v46, 0
	s_and_saveexec_b64 s[0:1], s[2:3]
	s_cbranch_execz .LBB129_96
; %bb.95:
	v_mov_b32_e32 v49, 0
	v_lshl_add_u64 v[34:35], v[40:41], 0, v[48:49]
	global_load_ushort v44, v[34:35], off offset:96
	v_lshl_add_u64 v[34:35], v[38:39], 0, v[48:49]
	s_waitcnt vmcnt(0)
	v_lshlrev_b32_e32 v44, 16, v44
	v_sub_f32_e32 v36, v44, v36
	global_store_short_d16_hi v[34:35], v36, off offset:96
	v_mul_f32_e32 v34, v64, v36
	v_lshrrev_b32_e32 v46, 16, v34
.LBB129_96:
	s_or_b64 exec, exec, s[0:1]
	v_or_b32_e32 v34, 0x6000, v58
	v_or_b32_e32 v35, 0x6000, v59
	;; [unrolled: 1-line block ×4, first 2 shown]
	s_and_saveexec_b64 s[0:1], vcc
	s_cbranch_execz .LBB129_98
; %bb.97:
	v_mov_b32_e32 v43, 0
	v_lshl_add_u64 v[40:41], v[40:41], 0, v[42:43]
	global_load_ushort v40, v[40:41], off offset:96
	v_lshl_add_u64 v[38:39], v[38:39], 0, v[42:43]
	s_waitcnt vmcnt(0)
	v_lshlrev_b32_e32 v40, 16, v40
	v_sub_f32_e32 v37, v40, v37
	global_store_short_d16_hi v[38:39], v37, off offset:96
	v_mul_f32_e32 v37, v53, v37
	v_lshrrev_b32_e32 v43, 16, v37
.LBB129_98:
	s_or_b64 exec, exec, s[0:1]
	s_mov_b32 s0, 0x5040100
	v_or_b32_e32 v37, v65, v51
	v_perm_b32 v39, v43, v46, s0
	v_perm_b32 v38, v47, v45, s0
	v_lshlrev_b32_e32 v37, 1, v37
	ds_write_b64 v37, v[38:39] offset:24576
	v_and_b32_e32 v37, 7, v0
	v_and_b32_e32 v42, 8, v0
	v_lshlrev_b32_e32 v45, 3, v37
	v_lshlrev_b32_e32 v79, 7, v37
	v_lshrrev_b32_e32 v37, 1, v0
	v_and_b32_e32 v37, 24, v37
	v_mov_b32_e32 v43, 0x400
	v_cmp_eq_u32_e32 vcc, 0, v42
	s_movk_i32 s2, 0x100
	v_lshlrev_b32_e32 v53, 3, v1
	v_cndmask_b32_e64 v51, v43, 64, vcc
	v_mov_b32_e32 v42, 0xa000
	v_mov_b32_e32 v43, 0x8000
	v_cmp_gt_u32_e64 s[0:1], s2, v0
	v_xor_b32_e32 v57, v53, v37
	v_or_b32_e32 v46, 32, v37
	v_cndmask_b32_e64 v0, v42, v43, s[0:1]
	v_or_b32_e32 v42, 0x440, v57
	v_cndmask_b32_e32 v42, v42, v57, vcc
	v_or_b32_e32 v42, v42, v56
	v_xor_b32_e32 v90, v42, v45
	v_xor_b32_e32 v46, v53, v46
	v_add3_u32 v42, v0, v90, v79
	v_or_b32_e32 v47, 0x440, v46
	s_waitcnt lgkmcnt(0)
	s_barrier
	ds_read_b64 v[42:43], v42
	v_cndmask_b32_e32 v46, v47, v46, vcc
	v_or_b32_e32 v46, v46, v56
	v_xor_b32_e32 v91, v46, v45
	v_add3_u32 v46, v0, v91, v79
	ds_read_b64 v[54:55], v46
	ds_read2_b64 v[38:41], v34 offset1:16
	ds_read2_b64 v[46:49], v34 offset0:32 offset1:48
	v_or_b32_e32 v37, 0x60, v37
	v_xor_b32_e32 v37, v53, v37
	s_waitcnt lgkmcnt(1)
	v_mfma_f32_16x16x16_bf16 a[0:3], v[42:43], v[38:39], 0
	s_mul_i32 s0, s17, s29
	ds_read2st64_b64 v[58:61], v34 offset0:4 offset1:8
	s_mul_hi_i32 s1, s17, s29
	v_mfma_f32_16x16x16_bf16 a[4:7], v[42:43], v[40:41], 0
	ds_read2st64_b64 v[62:65], v35 offset0:4 offset1:8
	s_add_u32 s0, s0, s33
	ds_read2st64_b64 v[66:69], v36 offset0:4 offset1:8
	s_waitcnt lgkmcnt(3)
	v_mfma_f32_16x16x16_bf16 a[8:11], v[42:43], v[46:47], 0
	ds_read2st64_b64 v[70:73], v44 offset0:4 offset1:8
	s_addc_u32 s1, s1, s48
	s_lshl_b64 s[0:1], s[0:1], 9
	v_mfma_f32_16x16x16_bf16 a[12:15], v[42:43], v[48:49], 0
	v_or3_b32 v42, v56, v51, v57
	v_xor_b32_e32 v51, 0x440, v37
	v_cndmask_b32_e32 v37, v51, v37, vcc
	v_xor_b32_e32 v42, v42, v45
	v_or_b32_e32 v37, v37, v56
	v_or_b32_e32 v92, v42, v79
	v_xor_b32_e32 v93, v37, v45
	v_or_b32_e32 v42, v0, v92
	v_add3_u32 v0, v0, v93, v79
	s_add_u32 s0, s8, s0
	ds_read_b64 v[42:43], v42
	ds_read_b64 v[56:57], v0
	s_addc_u32 s1, s9, s1
	v_lshlrev_b32_e32 v0, 2, v52
	s_waitcnt lgkmcnt(5)
	v_mfma_f32_16x16x16_bf16 a[0:3], v[54:55], v[58:59], a[0:3]
	s_waitcnt lgkmcnt(4)
	v_mfma_f32_16x16x16_bf16 a[4:7], v[54:55], v[62:63], a[4:7]
	;; [unrolled: 2-line block ×4, first 2 shown]
	global_load_dwordx4 v[52:55], v0, s[0:1]
	v_lshlrev_b32_e32 v0, 6, v1
	v_lshlrev_b32_e32 v1, 2, v50
	v_or3_b32 v0, v0, v1, s2
	global_load_dwordx4 v[74:77], v0, s[0:1]
	s_waitcnt lgkmcnt(1)
	v_mfma_f32_16x16x16_bf16 a[0:3], v[42:43], v[60:61], a[0:3]
	v_exp_f32_e32 v0, s16
	s_waitcnt vmcnt(1)
	v_exp_f32_e32 v37, v55
	v_mfma_f32_16x16x16_bf16 a[4:7], v[42:43], v[64:65], a[4:7]
	v_mfma_f32_16x16x16_bf16 a[8:11], v[42:43], v[68:69], a[8:11]
	;; [unrolled: 1-line block ×3, first 2 shown]
	ds_read_b64 v[42:43], v34 offset:6144
	ds_read_b64 v[50:51], v35 offset:6144
	;; [unrolled: 1-line block ×4, first 2 shown]
	v_exp_f32_e32 v34, v52
	v_exp_f32_e32 v35, v53
	;; [unrolled: 1-line block ×3, first 2 shown]
	s_waitcnt lgkmcnt(3)
	v_mfma_f32_16x16x16_bf16 a[0:3], v[56:57], v[42:43], a[0:3]
	v_pk_mul_f32 v[34:35], v[0:1], v[34:35] op_sel_hi:[0,1]
	v_add_u32_e32 v1, v90, v79
	ds_read_b64 v[52:53], v1 offset:40960
	s_waitcnt lgkmcnt(3)
	v_mfma_f32_16x16x16_bf16 a[4:7], v[56:57], v[50:51], a[4:7]
	v_pk_mul_f32 v[36:37], v[0:1], v[36:37] op_sel_hi:[0,1]
	v_add_u32_e32 v1, v91, v79
	v_pk_mul_f32 v[22:23], v[22:23], v[34:35]
	s_waitcnt lgkmcnt(2)
	v_mfma_f32_16x16x16_bf16 a[8:11], v[56:57], v[88:89], a[8:11]
	v_pk_mul_f32 v[24:25], v[24:25], v[36:37]
	v_pk_mul_f32 v[18:19], v[34:35], v[18:19]
	;; [unrolled: 1-line block ×3, first 2 shown]
	s_waitcnt lgkmcnt(1)
	v_mfma_f32_16x16x16_bf16 a[12:15], v[56:57], v[44:45], a[12:15]
	v_add_u32_e32 v56, v93, v79
	ds_read_b64 v[54:55], v1 offset:40960
	ds_read_b64 v[56:57], v56 offset:40960
	v_accvgpr_read_b32 v1, a0
	s_waitcnt lgkmcnt(2)
	v_mfma_f32_16x16x16_bf16 a[20:23], v[52:53], v[40:41], 0
	ds_read_b64 v[40:41], v92 offset:40960
	v_add_f32_e32 v22, v22, v1
	v_accvgpr_read_b32 v1, a1
	v_mfma_f32_16x16x16_bf16 a[16:19], v[52:53], v[38:39], 0
	v_add_f32_e32 v23, v23, v1
	v_accvgpr_read_b32 v1, a2
	v_add_f32_e32 v24, v24, v1
	v_accvgpr_read_b32 v1, a3
	s_waitcnt lgkmcnt(2)
	v_mfma_f32_16x16x16_bf16 a[0:3], v[54:55], v[58:59], a[16:19]
	v_add_f32_e32 v25, v25, v1
	v_accvgpr_read_b32 v1, a4
	v_accvgpr_read_b32 v39, a15
	;; [unrolled: 1-line block ×3, first 2 shown]
	v_mfma_f32_16x16x16_bf16 a[24:27], v[52:53], v[46:47], 0
	v_add_f32_e32 v18, v18, v1
	v_accvgpr_read_b32 v1, a5
	v_accvgpr_read_b32 v47, a13
	v_mfma_f32_16x16x16_bf16 a[14:17], v[54:55], v[62:63], a[20:23]
	v_add_f32_e32 v19, v19, v1
	v_accvgpr_read_b32 v1, a6
	v_accvgpr_read_b32 v46, a12
	s_waitcnt lgkmcnt(0)
	v_mfma_f32_16x16x16_bf16 a[0:3], v[40:41], v[60:61], a[0:3]
	v_pk_mul_f32 v[30:31], v[34:35], v[30:31]
	v_pk_mul_f32 v[32:33], v[36:37], v[32:33]
	v_add_f32_e32 v20, v20, v1
	v_accvgpr_read_b32 v1, a7
	v_pk_fma_f32 v[6:7], v[34:35], v[6:7], v[46:47]
	v_pk_fma_f32 v[8:9], v[36:37], v[8:9], v[38:39]
	s_waitcnt vmcnt(0)
	v_mov_b32_e32 v34, v75
	v_add_f32_e32 v21, v21, v1
	v_accvgpr_read_b32 v1, a8
	v_exp_f32_e32 v38, v74
	v_exp_f32_e32 v39, v34
	v_mfma_f32_16x16x16_bf16 a[28:31], v[52:53], v[48:49], 0
	v_add_f32_e32 v30, v30, v1
	v_accvgpr_read_b32 v1, a9
	v_mov_b32_e32 v35, v76
	v_mfma_f32_16x16x16_bf16 a[18:21], v[54:55], v[66:67], a[24:27]
	v_mov_b32_e32 v36, v77
	v_add_f32_e32 v31, v31, v1
	v_accvgpr_read_b32 v1, a10
	v_mfma_f32_16x16x16_bf16 a[14:17], v[40:41], v[64:65], a[14:17]
	v_exp_f32_e32 v34, v35
	v_exp_f32_e32 v35, v36
	v_add_f32_e32 v32, v32, v1
	v_mfma_f32_16x16x16_bf16 a[0:3], v[56:57], v[42:43], a[0:3]
	v_accvgpr_read_b32 v1, a11
	v_pk_mul_f32 v[36:37], v[0:1], v[38:39] op_sel_hi:[0,1]
	v_pk_mul_f32 v[10:11], v[10:11], v[36:37]
	v_mfma_f32_16x16x16_bf16 a[4:7], v[54:55], v[70:71], a[28:31]
	v_add_f32_e32 v33, v33, v1
	v_pk_mul_f32 v[0:1], v[0:1], v[34:35] op_sel_hi:[0,1]
	v_pk_mul_f32 v[12:13], v[12:13], v[0:1]
	v_mfma_f32_16x16x16_bf16 a[8:11], v[40:41], v[68:69], a[18:21]
	v_accvgpr_read_b32 v38, a0
	v_add_f32_e32 v10, v10, v38
	v_accvgpr_read_b32 v38, a1
	v_mfma_f32_16x16x16_bf16 a[12:15], v[56:57], v[50:51], a[14:17]
	v_add_f32_e32 v11, v11, v38
	v_accvgpr_read_b32 v38, a2
	v_add_f32_e32 v12, v12, v38
	v_accvgpr_read_b32 v38, a3
	v_mfma_f32_16x16x16_bf16 a[4:7], v[40:41], v[72:73], a[4:7]
	v_pk_mul_f32 v[14:15], v[36:37], v[14:15]
	v_add_f32_e32 v13, v13, v38
	v_accvgpr_read_b32 v38, a12
	v_mfma_f32_16x16x16_bf16 a[8:11], v[56:57], v[88:89], a[8:11]
	v_add_f32_e32 v14, v14, v38
	v_accvgpr_read_b32 v38, a13
	v_pk_mul_f32 v[16:17], v[0:1], v[16:17]
	v_add_f32_e32 v15, v15, v38
	v_accvgpr_read_b32 v38, a14
	v_add_f32_e32 v16, v16, v38
	v_accvgpr_read_b32 v38, a15
	v_pk_mul_f32 v[26:27], v[36:37], v[26:27]
	v_mfma_f32_16x16x16_bf16 a[4:7], v[56:57], v[44:45], a[4:7]
	v_add_f32_e32 v17, v17, v38
	v_accvgpr_read_b32 v38, a8
	v_add_f32_e32 v26, v26, v38
	v_accvgpr_read_b32 v38, a9
	v_pk_mul_f32 v[28:29], v[0:1], v[28:29]
	v_add_f32_e32 v27, v27, v38
	v_accvgpr_read_b32 v38, a10
	v_add_f32_e32 v28, v28, v38
	v_accvgpr_read_b32 v38, a11
	;; [unrolled: 2-line block ×3, first 2 shown]
	v_accvgpr_read_b32 v35, a7
	v_accvgpr_read_b32 v34, a6
	;; [unrolled: 1-line block ×3, first 2 shown]
	v_pk_fma_f32 v[2:3], v[36:37], v[2:3], v[38:39]
	v_pk_fma_f32 v[4:5], v[0:1], v[4:5], v[34:35]
.LBB129_99:
	s_add_u32 s0, s24, s26
	s_addc_u32 s1, s25, s27
	v_lshl_add_u64 v[0:1], v[80:81], 2, s[0:1]
	v_mov_b32_e32 v79, 0
	v_lshl_add_u64 v[0:1], v[0:1], 0, v[78:79]
	s_waitcnt vmcnt(7)
	global_store_dwordx4 v[0:1], v[22:25], off
	s_waitcnt vmcnt(7)
	global_store_dwordx4 v[0:1], v[10:13], off offset:256
	v_lshl_add_u64 v[0:1], v[82:83], 2, s[0:1]
	v_lshl_add_u64 v[0:1], v[0:1], 0, v[78:79]
	s_waitcnt vmcnt(7)
	global_store_dwordx4 v[0:1], v[18:21], off
	s_waitcnt vmcnt(7)
	global_store_dwordx4 v[0:1], v[14:17], off offset:256
	v_lshl_add_u64 v[0:1], v[86:87], 2, s[0:1]
	v_lshl_add_u64 v[0:1], v[0:1], 0, v[78:79]
	s_waitcnt vmcnt(7)
	global_store_dwordx4 v[0:1], v[30:33], off
	s_waitcnt vmcnt(7)
	global_store_dwordx4 v[0:1], v[26:29], off offset:256
	v_lshl_add_u64 v[0:1], v[84:85], 2, s[0:1]
	v_lshl_add_u64 v[0:1], v[0:1], 0, v[78:79]
	s_waitcnt vmcnt(7)
	global_store_dwordx4 v[0:1], v[6:9], off
	s_waitcnt vmcnt(7)
	global_store_dwordx4 v[0:1], v[2:5], off offset:256
	s_endpgm
	.section	.rodata,"a",@progbits
	.p2align	6, 0x0
	.amdhsa_kernel _ZN12_GLOBAL__N_139chunk_gated_delta_rule_fwd_h_hip_kernelILi64ELb1ELb1ELb1ELb1ELb1ELb1ELb1ELb0EEEvPK12hip_bfloat16S3_S3_PKfS5_PKvPS1_S8_PvPKiSB_iiiiilll
		.amdhsa_group_segment_fixed_size 65536
		.amdhsa_private_segment_fixed_size 0
		.amdhsa_kernarg_size 136
		.amdhsa_user_sgpr_count 2
		.amdhsa_user_sgpr_dispatch_ptr 0
		.amdhsa_user_sgpr_queue_ptr 0
		.amdhsa_user_sgpr_kernarg_segment_ptr 1
		.amdhsa_user_sgpr_dispatch_id 0
		.amdhsa_user_sgpr_kernarg_preload_length 0
		.amdhsa_user_sgpr_kernarg_preload_offset 0
		.amdhsa_user_sgpr_private_segment_size 0
		.amdhsa_uses_dynamic_stack 0
		.amdhsa_enable_private_segment 0
		.amdhsa_system_sgpr_workgroup_id_x 1
		.amdhsa_system_sgpr_workgroup_id_y 1
		.amdhsa_system_sgpr_workgroup_id_z 0
		.amdhsa_system_sgpr_workgroup_info 0
		.amdhsa_system_vgpr_workitem_id 0
		.amdhsa_next_free_vgpr 240
		.amdhsa_next_free_sgpr 69
		.amdhsa_accum_offset 200
		.amdhsa_reserve_vcc 1
		.amdhsa_float_round_mode_32 0
		.amdhsa_float_round_mode_16_64 0
		.amdhsa_float_denorm_mode_32 3
		.amdhsa_float_denorm_mode_16_64 3
		.amdhsa_dx10_clamp 1
		.amdhsa_ieee_mode 1
		.amdhsa_fp16_overflow 0
		.amdhsa_tg_split 0
		.amdhsa_exception_fp_ieee_invalid_op 0
		.amdhsa_exception_fp_denorm_src 0
		.amdhsa_exception_fp_ieee_div_zero 0
		.amdhsa_exception_fp_ieee_overflow 0
		.amdhsa_exception_fp_ieee_underflow 0
		.amdhsa_exception_fp_ieee_inexact 0
		.amdhsa_exception_int_div_zero 0
	.end_amdhsa_kernel
	.section	.text._ZN12_GLOBAL__N_139chunk_gated_delta_rule_fwd_h_hip_kernelILi64ELb1ELb1ELb1ELb1ELb1ELb1ELb1ELb0EEEvPK12hip_bfloat16S3_S3_PKfS5_PKvPS1_S8_PvPKiSB_iiiiilll,"axG",@progbits,_ZN12_GLOBAL__N_139chunk_gated_delta_rule_fwd_h_hip_kernelILi64ELb1ELb1ELb1ELb1ELb1ELb1ELb1ELb0EEEvPK12hip_bfloat16S3_S3_PKfS5_PKvPS1_S8_PvPKiSB_iiiiilll,comdat
.Lfunc_end129:
	.size	_ZN12_GLOBAL__N_139chunk_gated_delta_rule_fwd_h_hip_kernelILi64ELb1ELb1ELb1ELb1ELb1ELb1ELb1ELb0EEEvPK12hip_bfloat16S3_S3_PKfS5_PKvPS1_S8_PvPKiSB_iiiiilll, .Lfunc_end129-_ZN12_GLOBAL__N_139chunk_gated_delta_rule_fwd_h_hip_kernelILi64ELb1ELb1ELb1ELb1ELb1ELb1ELb1ELb0EEEvPK12hip_bfloat16S3_S3_PKfS5_PKvPS1_S8_PvPKiSB_iiiiilll
                                        ; -- End function
	.section	.AMDGPU.csdata,"",@progbits
; Kernel info:
; codeLenInByte = 12788
; NumSgprs: 75
; NumVgprs: 200
; NumAgprs: 40
; TotalNumVgprs: 240
; ScratchSize: 0
; MemoryBound: 0
; FloatMode: 240
; IeeeMode: 1
; LDSByteSize: 65536 bytes/workgroup (compile time only)
; SGPRBlocks: 9
; VGPRBlocks: 29
; NumSGPRsForWavesPerEU: 75
; NumVGPRsForWavesPerEU: 240
; AccumOffset: 200
; Occupancy: 1
; WaveLimiterHint : 1
; COMPUTE_PGM_RSRC2:SCRATCH_EN: 0
; COMPUTE_PGM_RSRC2:USER_SGPR: 2
; COMPUTE_PGM_RSRC2:TRAP_HANDLER: 0
; COMPUTE_PGM_RSRC2:TGID_X_EN: 1
; COMPUTE_PGM_RSRC2:TGID_Y_EN: 1
; COMPUTE_PGM_RSRC2:TGID_Z_EN: 0
; COMPUTE_PGM_RSRC2:TIDIG_COMP_CNT: 0
; COMPUTE_PGM_RSRC3_GFX90A:ACCUM_OFFSET: 49
; COMPUTE_PGM_RSRC3_GFX90A:TG_SPLIT: 0
	.section	.text._ZN12_GLOBAL__N_139chunk_gated_delta_rule_fwd_h_hip_kernelILi64ELb1ELb1ELb0ELb1ELb1ELb1ELb1ELb0EEEvPK12hip_bfloat16S3_S3_PKfS5_PKvPS1_S8_PvPKiSB_iiiiilll,"axG",@progbits,_ZN12_GLOBAL__N_139chunk_gated_delta_rule_fwd_h_hip_kernelILi64ELb1ELb1ELb0ELb1ELb1ELb1ELb1ELb0EEEvPK12hip_bfloat16S3_S3_PKfS5_PKvPS1_S8_PvPKiSB_iiiiilll,comdat
	.globl	_ZN12_GLOBAL__N_139chunk_gated_delta_rule_fwd_h_hip_kernelILi64ELb1ELb1ELb0ELb1ELb1ELb1ELb1ELb0EEEvPK12hip_bfloat16S3_S3_PKfS5_PKvPS1_S8_PvPKiSB_iiiiilll ; -- Begin function _ZN12_GLOBAL__N_139chunk_gated_delta_rule_fwd_h_hip_kernelILi64ELb1ELb1ELb0ELb1ELb1ELb1ELb1ELb0EEEvPK12hip_bfloat16S3_S3_PKfS5_PKvPS1_S8_PvPKiSB_iiiiilll
	.p2align	8
	.type	_ZN12_GLOBAL__N_139chunk_gated_delta_rule_fwd_h_hip_kernelILi64ELb1ELb1ELb0ELb1ELb1ELb1ELb1ELb0EEEvPK12hip_bfloat16S3_S3_PKfS5_PKvPS1_S8_PvPKiSB_iiiiilll,@function
_ZN12_GLOBAL__N_139chunk_gated_delta_rule_fwd_h_hip_kernelILi64ELb1ELb1ELb0ELb1ELb1ELb1ELb1ELb0EEEvPK12hip_bfloat16S3_S3_PKfS5_PKvPS1_S8_PvPKiSB_iiiiilll: ; @_ZN12_GLOBAL__N_139chunk_gated_delta_rule_fwd_h_hip_kernelILi64ELb1ELb1ELb0ELb1ELb1ELb1ELb1ELb0EEEvPK12hip_bfloat16S3_S3_PKfS5_PKvPS1_S8_PvPKiSB_iiiiilll
; %bb.0:
	s_load_dwordx4 s[16:19], s[0:1], 0x5c
	s_load_dwordx4 s[24:27], s[0:1], 0x70
	s_abs_i32 s7, s3
	s_ashr_i32 s6, s3, 31
	s_load_dwordx4 s[12:15], s[0:1], 0x40
	s_load_dwordx2 s[4:5], s[0:1], 0x50
	s_waitcnt lgkmcnt(0)
	s_abs_i32 s10, s17
	v_cvt_f32_u32_e32 v1, s10
	s_sub_i32 s8, 0, s10
	s_ashr_i32 s11, s17, 31
	s_xor_b32 s6, s6, s11
	v_rcp_iflag_f32_e32 v1, v1
	v_and_b32_e32 v97, 15, v0
	v_bfe_u32 v96, v0, 4, 2
	v_mov_b32_e32 v79, 0
	v_mul_f32_e32 v1, 0x4f7ffffe, v1
	v_cvt_u32_f32_e32 v1, v1
	v_lshlrev_b32_e32 v98, 3, v0
	v_readfirstlane_b32 s9, v1
	s_mul_i32 s8, s8, s9
	s_mul_hi_u32 s8, s9, s8
	s_add_i32 s9, s9, s8
	s_mul_hi_u32 s8, s7, s9
	s_mul_i32 s9, s8, s10
	s_sub_i32 s7, s7, s9
	s_add_i32 s20, s8, 1
	s_sub_i32 s9, s7, s10
	s_cmp_ge_u32 s7, s10
	s_cselect_b32 s8, s20, s8
	s_cselect_b32 s7, s9, s7
	s_add_i32 s9, s8, 1
	s_cmp_ge_u32 s7, s10
	s_cselect_b32 s7, s9, s8
	s_xor_b32 s7, s7, s6
	s_sub_i32 s28, s7, s6
	s_mul_i32 s36, s28, s17
	s_ashr_i32 s29, s28, 31
	s_sub_i32 s33, s3, s36
	s_lshl_b64 s[6:7], s[28:29], 2
	s_add_u32 s8, s14, s6
	s_addc_u32 s9, s15, s7
	s_add_u32 s30, s4, s6
	s_addc_u32 s31, s5, s7
	s_abs_i32 s3, s18
	v_cvt_f32_u32_e32 v1, s3
	s_load_dwordx2 s[34:35], s[8:9], 0x0
	s_sub_i32 s5, 0, s3
	s_lshl_b32 s2, s2, 6
	v_rcp_iflag_f32_e32 v1, v1
	s_load_dwordx4 s[20:23], s[0:1], 0x20
	s_load_dwordx2 s[40:41], s[0:1], 0x30
	s_waitcnt lgkmcnt(0)
	s_sub_i32 s54, s35, s34
	s_ashr_i32 s4, s54, 31
	v_mul_f32_e32 v1, 0x4f7ffffe, v1
	v_cvt_u32_f32_e32 v1, v1
	s_lshr_b32 s4, s4, 26
	s_add_i32 s4, s54, s4
	s_ashr_i32 s53, s4, 6
	v_readfirstlane_b32 s6, v1
	s_mul_i32 s5, s5, s6
	s_mul_hi_u32 s5, s6, s5
	s_add_i32 s6, s6, s5
	s_mul_hi_u32 s5, s10, s6
	s_mul_i32 s6, s5, s3
	s_ashr_i32 s4, s18, 31
	s_sub_i32 s6, s10, s6
	s_xor_b32 s4, s11, s4
	s_add_i32 s7, s5, 1
	s_sub_i32 s8, s6, s3
	s_cmp_ge_u32 s6, s3
	s_cselect_b32 s5, s7, s5
	s_cselect_b32 s6, s8, s6
	s_add_i32 s7, s5, 1
	s_cmp_ge_u32 s6, s3
	s_cselect_b32 s3, s7, s5
	s_xor_b32 s3, s3, s4
	s_sub_i32 s3, s3, s4
	s_abs_i32 s4, s3
	v_cvt_f32_u32_e32 v1, s4
	s_sub_i32 s6, 0, s4
	s_abs_i32 s5, s33
	s_xor_b32 s3, s33, s3
	v_rcp_iflag_f32_e32 v2, v1
	s_ashr_i32 s3, s3, 31
	v_lshrrev_b32_e32 v1, 6, v0
	v_or_b32_e32 v88, s2, v97
	v_mul_f32_e32 v2, 0x4f7ffffe, v2
	v_cvt_u32_f32_e32 v2, v2
	v_lshlrev_b32_e32 v77, 4, v1
	v_lshlrev_b32_e32 v80, 7, v88
	v_lshl_or_b32 v100, v96, 2, v77
	v_readfirstlane_b32 s7, v2
	s_mul_i32 s6, s6, s7
	s_mul_hi_u32 s6, s7, s6
	s_add_i32 s7, s7, s6
	s_mul_hi_u32 s6, s5, s7
	s_mul_i32 s7, s6, s4
	s_sub_i32 s5, s5, s7
	s_add_i32 s7, s6, 1
	s_sub_i32 s8, s5, s4
	s_cmp_ge_u32 s5, s4
	s_cselect_b32 s6, s7, s6
	s_cselect_b32 s5, s8, s5
	s_add_i32 s7, s6, 1
	s_cmp_ge_u32 s5, s4
	s_cselect_b32 s4, s7, s6
	s_xor_b32 s4, s4, s3
	s_sub_i32 s55, s4, s3
	s_ashr_i32 s46, s33, 31
	s_mul_hi_i32 s3, s28, s17
	s_add_u32 s4, s36, s33
	s_addc_u32 s5, s3, s46
	s_lshl_b64 s[14:15], s[4:5], 16
	s_add_u32 s4, s22, s14
	s_addc_u32 s5, s23, s15
	v_ashrrev_i32_e32 v81, 31, v80
	v_lshl_add_u64 v[2:3], v[80:81], 2, s[4:5]
	v_lshlrev_b32_e32 v78, 2, v100
	v_or_b32_e32 v82, 0x800, v80
	v_lshl_add_u64 v[2:3], v[2:3], 0, v[78:79]
	v_ashrrev_i32_e32 v83, 31, v82
	global_load_dwordx4 v[22:25], v[2:3], off
	global_load_dwordx4 v[10:13], v[2:3], off offset:256
	v_lshl_add_u64 v[2:3], v[82:83], 2, s[4:5]
	v_or_b32_e32 v86, 0x1000, v80
	v_lshl_add_u64 v[2:3], v[2:3], 0, v[78:79]
	v_ashrrev_i32_e32 v87, 31, v86
	global_load_dwordx4 v[18:21], v[2:3], off
	global_load_dwordx4 v[14:17], v[2:3], off offset:256
	v_lshl_add_u64 v[2:3], v[86:87], 2, s[4:5]
	;; [unrolled: 6-line block ×3, first 2 shown]
	v_lshl_add_u64 v[34:35], v[2:3], 0, v[78:79]
	global_load_dwordx4 v[6:9], v[34:35], off
	global_load_dwordx4 v[2:5], v[34:35], off offset:256
	s_load_dwordx8 s[4:11], s[0:1], 0x0
	s_load_dwordx2 s[22:23], s[0:1], 0x80
	s_load_dword s56, s[30:31], 0x0
	v_and_b32_e32 v79, 63, v0
	v_or_b32_e32 v101, 64, v100
	s_cmp_lt_i32 s54, 64
	s_mul_hi_i32 s57, s33, s16
	s_mul_i32 s58, s33, s16
	v_lshrrev_b32_e32 v99, 3, v79
	s_mul_i32 s47, s28, s25
	s_mul_hi_u32 s49, s28, s24
	s_mul_i32 s48, s29, s24
	s_mul_i32 s38, s28, s24
	;; [unrolled: 1-line block ×3, first 2 shown]
	s_mul_hi_u32 s51, s33, s26
	s_mul_i32 s52, s46, s26
	s_mul_i32 s36, s33, s26
	s_cbranch_scc1 .LBB130_18
; %bb.1:
	s_ashr_i32 s1, s34, 31
	s_add_u32 s0, s58, s34
	s_addc_u32 s1, s57, s1
	s_lshl_b64 s[0:1], s[0:1], 8
	v_and_b32_e32 v103, 56, v98
	s_waitcnt lgkmcnt(0)
	s_add_u32 s24, s6, s0
	v_lshl_or_b32 v102, v1, 3, v99
	v_lshlrev_b32_e32 v34, 1, v103
	s_addc_u32 s0, s7, s1
	v_lshl_or_b32 v104, v102, 8, v34
	s_and_b32 s25, s0, 0xffff
	s_mov_b32 s27, 0x20000
	s_movk_i32 s26, 0x4000
	s_movk_i32 s0, 0x80
	v_or_b32_e32 v105, 0x2000, v104
	buffer_load_dwordx4 v[36:39], v104, s[24:27], 0 offen
	buffer_load_dwordx4 v[40:43], v104, s[24:27], s0 offen
	;; [unrolled: 1-line block ×4, first 2 shown]
	v_lshlrev_b32_e32 v35, 3, v102
	v_and_or_b32 v53, v0, 7, v35
	v_and_b32_e32 v35, 0x78, v35
	v_lshlrev_b32_e32 v53, 4, v53
	v_xor_b32_e32 v106, v53, v35
	v_mul_lo_u32 v52, v102, s19
	v_or_b32_e32 v107, 0x1000, v106
	v_xor_b32_e32 v35, 8, v106
	s_cmpk_eq_i32 s19, 0x80
	s_mov_b32 s59, s34
	v_xor_b32_e32 v53, 8, v107
	s_cselect_b64 s[0:1], -1, 0
	s_cmpk_lg_i32 s19, 0x80
	s_waitcnt vmcnt(3)
	ds_write_b64 v106, v[36:37] offset:49152
	ds_write_b64 v35, v[38:39] offset:49152
	s_waitcnt vmcnt(2)
	ds_write_b64 v106, v[40:41] offset:57344
	ds_write_b64 v35, v[42:43] offset:57344
	s_waitcnt vmcnt(1)
	ds_write_b64 v106, v[44:45] offset:53248
	ds_write_b64 v53, v[46:47] offset:49152
	s_waitcnt vmcnt(0)
	ds_write_b64 v106, v[48:49] offset:61440
	ds_write_b64 v53, v[50:51] offset:57344
	v_lshl_add_u32 v35, v52, 1, v103
	s_cbranch_scc0 .LBB130_3
; %bb.2:
	v_lshlrev_b32_e32 v37, 1, v35
	v_add_lshl_u32 v36, v35, s19, 1
	s_lshl_b32 s26, s19, 7
	v_lshl_or_b32 v34, v102, 9, v34
	s_cbranch_execz .LBB130_4
	s_branch .LBB130_5
.LBB130_3:
                                        ; implicit-def: $vgpr36
                                        ; implicit-def: $vgpr37
                                        ; implicit-def: $sgpr26
	v_lshl_or_b32 v34, v102, 9, v34
.LBB130_4:
	v_or_b32_e32 v36, 0x100, v34
	s_movk_i32 s26, 0x4000
	v_mov_b32_e32 v37, v34
.LBB130_5:
	s_mul_i32 s24, s34, s18
	s_ashr_i32 s60, s55, 31
	s_mul_hi_i32 s3, s34, s18
	s_add_u32 s24, s24, s55
	s_addc_u32 s25, s3, s60
	s_lshl_b64 s[24:25], s[24:25], 8
	s_add_u32 s24, s4, s24
	s_addc_u32 s3, s5, s25
	s_and_b32 s25, s3, 0xffff
	s_movk_i32 s61, 0x80
	buffer_load_dwordx4 v[38:41], v37, s[24:27], 0 offen
	buffer_load_dwordx4 v[42:45], v37, s[24:27], s61 offen
	;; [unrolled: 1-line block ×4, first 2 shown]
	v_and_b32_e32 v37, 6, v0
	v_lshlrev_b32_e32 v36, 7, v100
	v_xor_b32_e32 v59, v102, v37
	v_and_b32_e32 v54, 1, v0
	v_lshl_or_b32 v62, v97, 3, v36
	v_lshlrev_b32_e32 v59, 2, v59
	v_lshlrev_b32_e32 v55, 2, v97
	v_or_b32_e32 v108, 0x4000, v62
	v_or_b32_e32 v109, 0x6000, v62
	v_xor_b32_e32 v62, 0x440, v59
	v_cmp_eq_u32_e32 vcc, 0, v54
	v_or_b32_e32 v57, 16, v97
	v_or_b32_e32 v58, 32, v97
	v_xor_b32_e32 v60, v100, v55
	v_xor_b32_e32 v61, v101, v55
	v_cndmask_b32_e32 v54, v62, v59, vcc
	s_mov_b32 s62, 0x1000504
	v_lshl_or_b32 v63, v57, 3, v36
	v_lshlrev_b32_e32 v57, 8, v57
	v_lshl_or_b32 v64, v58, 3, v36
	v_lshlrev_b32_e32 v60, 1, v60
	v_lshlrev_b32_e32 v61, 1, v61
	v_lshl_or_b32 v37, v37, 10, v54
	s_add_i32 s3, s49, s47
	s_mov_b32 s63, 0x3020706
	v_lshlrev_b32_e32 v56, 8, v97
	v_or_b32_e32 v112, 0x4000, v64
	v_or_b32_e32 v113, 0x6000, v64
	;; [unrolled: 1-line block ×4, first 2 shown]
	v_xor_b32_e32 v54, 8, v37
	v_xor_b32_e32 v57, 24, v37
	;; [unrolled: 1-line block ×4, first 2 shown]
	s_add_i32 s39, s3, s48
	s_add_i32 s3, s51, s50
	v_or_b32_e32 v110, 0x4000, v63
	v_or_b32_e32 v111, 0x6000, v63
	;; [unrolled: 1-line block ×4, first 2 shown]
	v_xor_b32_e32 v56, 16, v37
	v_xor_b32_e32 v59, 32, v37
	;; [unrolled: 1-line block ×3, first 2 shown]
	v_add_u32_e32 v54, 0x80, v54
	v_add_u32_e32 v57, 0x80, v57
	;; [unrolled: 1-line block ×4, first 2 shown]
	s_add_i32 s37, s3, s52
	s_lshl_b64 s[24:25], s[38:39], 2
	s_add_u32 s3, s10, s24
	s_addc_u32 s28, s11, s25
	s_lshl_b64 s[24:25], s[36:37], 2
	s_add_u32 s42, s3, s24
	s_movk_i32 s3, 0xf8
	s_addc_u32 s43, s28, s25
	s_lshl_b32 s30, s19, 7
	s_movk_i32 s28, 0x100
	v_mov_b32_e32 v91, 0
	v_lshlrev_b32_e32 v90, 4, v97
	v_lshlrev_b32_e32 v58, 8, v58
	v_ashrrev_i32_e32 v89, 31, v88
	s_mov_b32 s64, 0
	s_movk_i32 s26, 0x4000
	v_or_b32_e32 v118, v58, v60
	v_or_b32_e32 v119, v58, v61
	v_lshl_add_u64 v[92:93], v[88:89], 1, s[8:9]
	s_movk_i32 s37, 0x2000
	s_movk_i32 s39, 0x3000
	s_waitcnt vmcnt(1)
	v_perm_b32 v65, v38, v46, s62
	s_waitcnt vmcnt(0)
	v_perm_b32 v66, v42, v50, s62
	v_perm_b32 v38, v38, v46, s63
	;; [unrolled: 1-line block ×15, first 2 shown]
	ds_write2st64_b32 v37, v65, v66 offset0:128 offset1:160
	ds_write2st64_b32 v54, v38, v42 offset0:128 offset1:160
	;; [unrolled: 1-line block ×8, first 2 shown]
	v_or_b32_e32 v37, 48, v97
	v_lshl_or_b32 v38, v37, 3, v36
	v_lshlrev_b32_e32 v37, 8, v37
	v_or_b32_e32 v122, v37, v60
	v_or_b32_e32 v123, v37, v61
	;; [unrolled: 1-line block ×3, first 2 shown]
	v_lshlrev_b32_e32 v37, 3, v37
	v_lshrrev_b32_e32 v39, 5, v79
	v_and_or_b32 v39, v37, s3, v39
	v_lshlrev_b32_e32 v39, 4, v39
	v_or_b32_e32 v120, 0x4000, v38
	v_or_b32_e32 v121, 0x6000, v38
	v_lshrrev_b32_e32 v38, 2, v79
	v_lshlrev_b32_e32 v41, 11, v1
	v_and_b32_e32 v37, 0x78, v37
	v_or_b32_e32 v45, 32, v39
	v_and_b32_e32 v40, 12, v38
	v_and_b32_e32 v38, 0x1000, v41
	v_lshrrev_b32_e32 v43, 1, v79
	v_xor_b32_e32 v45, v45, v37
	v_xor_b32_e32 v42, v39, v37
	v_and_b32_e32 v43, 8, v43
	v_or_b32_e32 v45, v45, v38
	v_or_b32_e32 v42, v42, v38
	v_xor_b32_e32 v126, v45, v43
	v_or_b32_e32 v45, 64, v39
	v_or_b32_e32 v39, 0x60, v39
	v_xor_b32_e32 v124, v42, v43
	v_lshlrev_b32_e32 v42, 8, v96
	v_xor_b32_e32 v45, v45, v37
	v_xor_b32_e32 v37, v39, v37
	s_ashr_i32 s3, s2, 31
	v_or_b32_e32 v44, v42, v55
	v_or_b32_e32 v45, v45, v38
	;; [unrolled: 1-line block ×3, first 2 shown]
	s_lshl_b64 s[24:25], s[2:3], 8
	v_lshlrev_b32_e32 v47, 2, v0
	v_lshlrev_b32_e32 v44, 1, v44
	v_xor_b32_e32 v130, v45, v43
	v_xor_b32_e32 v131, v37, v43
	v_lshlrev_b32_e32 v37, 1, v35
	v_add_lshl_u32 v35, v35, s19, 1
	v_or_b32_e32 v43, 0x100, v34
	s_add_u32 s24, s40, s24
	v_lshlrev_b32_e32 v38, 1, v97
	v_lshrrev_b32_e32 v48, 1, v0
	v_and_or_b32 v42, v47, 60, v42
	v_or_b32_e32 v125, 0x4000, v44
	v_or_b32_e32 v127, 0x4080, v44
	;; [unrolled: 1-line block ×8, first 2 shown]
	v_lshrrev_b32_e32 v44, 4, v0
	s_addc_u32 s25, s41, s25
	v_or_b32_e32 v39, 1, v38
	v_and_b32_e32 v48, 24, v48
	v_lshlrev_b32_e32 v42, 1, v42
	v_cndmask_b32_e64 v142, v37, v34, s[0:1]
	v_cndmask_b32_e64 v143, v35, v43, s[0:1]
	v_mov_b32_e32 v35, 0xa000
	v_mov_b32_e32 v37, 0x8000
	v_cmp_gt_u32_e64 s[0:1], s28, v0
	v_xor_b32_e32 v45, v44, v38
	v_xor_b32_e32 v46, v39, v44
	v_lshl_add_u64 v[38:39], s[24:25], 0, v[90:91]
	v_lshlrev_b32_e32 v90, 8, v44
	v_or_b32_e32 v138, 0x6000, v42
	v_or_b32_e32 v47, 32, v48
	;; [unrolled: 1-line block ×6, first 2 shown]
	v_cndmask_b32_e64 v35, v35, v37, s[0:1]
	v_lshlrev_b32_e32 v37, 3, v1
	v_lshl_or_b32 v136, v45, 3, v90
	v_and_b32_e32 v45, 8, v0
	v_xor_b32_e32 v43, v37, v48
	v_xor_b32_e32 v47, v37, v47
	;; [unrolled: 1-line block ×3, first 2 shown]
	v_mov_b32_e32 v49, 0x400
	v_cmp_eq_u32_e32 vcc, 0, v45
	v_or_b32_e32 v48, 0x440, v43
	v_or_b32_e32 v50, 0x440, v47
	v_xor_b32_e32 v42, 0x440, v37
	v_and_b32_e32 v44, 7, v0
	v_cndmask_b32_e64 v45, v49, 64, vcc
	v_cndmask_b32_e32 v48, v48, v43, vcc
	v_cndmask_b32_e32 v47, v50, v47, vcc
	;; [unrolled: 1-line block ×3, first 2 shown]
	v_lshl_or_b32 v137, v46, 3, v90
	v_lshlrev_b32_e32 v46, 3, v44
	v_or_b32_e32 v48, v48, v41
	v_or_b32_e32 v47, v47, v41
	v_or3_b32 v43, v41, v45, v43
	v_or_b32_e32 v37, v37, v41
	v_lshlrev_b32_e32 v44, 7, v44
	v_xor_b32_e32 v48, v48, v46
	v_xor_b32_e32 v47, v47, v46
	;; [unrolled: 1-line block ×4, first 2 shown]
	v_or_b32_e32 v34, v77, v40
	v_add_u32_e32 v49, v35, v48
	v_add_u32_e32 v50, v35, v47
	v_or_b32_e32 v144, v43, v44
	v_add_u32_e32 v41, v35, v37
	v_or3_b32 v40, v77, v40, 64
	v_add_u32_e32 v42, 0xa000, v48
	v_add_u32_e32 v43, 0xa000, v47
	v_add_u32_e32 v37, 0xa000, v37
	v_lshl_add_u64 v[94:95], v[38:39], 0, v[90:91]
	s_mov_b32 s3, 0x7060302
	v_lshlrev_b32_e32 v90, 1, v36
	v_lshlrev_b32_e32 v89, 2, v34
	v_add_u32_e32 v145, v49, v44
	v_add_u32_e32 v146, v50, v44
	;; [unrolled: 1-line block ×4, first 2 shown]
	v_lshlrev_b32_e32 v149, 2, v40
	v_add_u32_e32 v150, v42, v44
	v_add_u32_e32 v151, v43, v44
	;; [unrolled: 1-line block ×3, first 2 shown]
	s_waitcnt lgkmcnt(0)
	s_barrier
.LBB130_6:                              ; =>This Inner Loop Header: Depth=1
	s_add_i32 s65, s64, 1
	s_cmp_lt_i32 s65, s53
	s_mov_b64 s[28:29], 0
	s_cselect_b64 s[44:45], -1, 0
	s_cmp_ge_i32 s65, s53
	s_mov_b64 s[24:25], 0
	s_cbranch_scc1 .LBB130_8
; %bb.7:                                ;   in Loop: Header=BB130_6 Depth=1
	s_add_i32 s0, s59, 64
	s_ashr_i32 s1, s0, 31
	s_add_u32 s0, s58, s0
	s_addc_u32 s1, s57, s1
	s_lshl_b64 s[0:1], s[0:1], 8
	s_add_u32 s24, s6, s0
	s_addc_u32 s25, s7, s1
.LBB130_8:                              ;   in Loop: Header=BB130_6 Depth=1
	v_cndmask_b32_e64 v34, 0, 1, s[44:45]
	v_cmp_ne_u32_e64 s[0:1], 1, v34
	s_andn2_b64 vcc, exec, s[44:45]
	s_cbranch_vccnz .LBB130_10
; %bb.9:                                ;   in Loop: Header=BB130_6 Depth=1
	s_add_i32 s28, s59, 64
	s_mul_hi_i32 s29, s28, s18
	s_mul_i32 s28, s28, s18
	s_add_u32 s28, s28, s55
	s_addc_u32 s29, s29, s60
	s_lshl_b64 s[28:29], s[28:29], 8
	s_add_u32 s28, s4, s28
	s_addc_u32 s29, s5, s29
.LBB130_10:                             ;   in Loop: Header=BB130_6 Depth=1
	v_perm_b32 v35, v25, v24, s3
	v_perm_b32 v34, v23, v22, s3
	v_perm_b32 v37, v13, v12, s3
	v_perm_b32 v36, v11, v10, s3
	ds_write_b64 v108, v[34:35]
	ds_write_b64 v109, v[36:37]
	ds_write_b64 v114, v[34:35]
	ds_write_b64 v115, v[36:37]
	v_perm_b32 v35, v21, v20, s3
	v_perm_b32 v34, v19, v18, s3
	v_perm_b32 v37, v17, v16, s3
	v_perm_b32 v36, v15, v14, s3
	ds_write_b64 v110, v[34:35]
	ds_write_b64 v111, v[36:37]
	ds_write_b64 v116, v[34:35]
	ds_write_b64 v117, v[36:37]
	;; [unrolled: 8-line block ×4, first 2 shown]
	s_waitcnt lgkmcnt(0)
	s_barrier
	ds_read_b64 v[38:39], v124 offset:49152
	ds_read2_b64 v[34:37], v125 offset1:16
	ds_read_b64 v[50:51], v127 offset:6144
	ds_read_b64 v[52:53], v125 offset:6144
	s_waitcnt lgkmcnt(2)
	v_mfma_f32_16x16x16_bf16 a[0:3], v[38:39], v[34:35], 0
	ds_read_b64 v[54:55], v126 offset:49152
	ds_read2st64_b64 v[42:45], v128 offset0:4 offset1:8
	ds_read2st64_b64 v[46:49], v129 offset0:4 offset1:8
	v_mfma_f32_16x16x16_bf16 a[4:7], v[38:39], v[36:37], 0
	ds_read2_b64 v[34:37], v125 offset0:32 offset1:48
	s_add_i32 s66, s59, 63
	s_ashr_i32 s31, s66, 31
	s_waitcnt lgkmcnt(0)
	v_mfma_f32_16x16x16_bf16 a[8:11], v[38:39], v[34:35], 0
	s_mul_i32 s44, s66, s23
	s_mul_hi_u32 s45, s66, s22
	s_add_i32 s44, s45, s44
	v_mfma_f32_16x16x16_bf16 a[12:15], v[38:39], v[36:37], 0
	ds_read2st64_b64 v[34:37], v125 offset0:4 offset1:8
	ds_read2st64_b64 v[38:41], v127 offset0:4 offset1:8
	s_mul_i32 s31, s31, s22
	s_waitcnt lgkmcnt(1)
	v_mfma_f32_16x16x16_bf16 a[0:3], v[54:55], v[34:35], a[0:3]
	s_add_i32 s45, s44, s31
	s_mul_i32 s44, s66, s22
	s_lshl_b64 s[44:45], s[44:45], 2
	s_waitcnt lgkmcnt(0)
	v_mfma_f32_16x16x16_bf16 a[4:7], v[54:55], v[38:39], a[4:7]
	s_add_u32 s44, s42, s44
	s_addc_u32 s45, s43, s45
	s_and_b64 vcc, exec, s[0:1]
	v_mfma_f32_16x16x16_bf16 a[8:11], v[54:55], v[42:43], a[8:11]
	ds_read_b64 v[34:35], v130 offset:49152
	ds_read_b64 v[38:39], v131 offset:49152
	;; [unrolled: 1-line block ×3, first 2 shown]
	v_mov_b32_e32 v155, 0
	v_mov_b32_e32 v154, 0
	v_mfma_f32_16x16x16_bf16 a[12:15], v[54:55], v[46:47], a[12:15]
	v_mov_b32_e32 v153, 0
	v_mov_b32_e32 v46, 0
	;; [unrolled: 1-line block ×3, first 2 shown]
	s_waitcnt lgkmcnt(2)
	v_mfma_f32_16x16x16_bf16 a[0:3], v[34:35], v[36:37], a[0:3]
	v_mov_b32_e32 v36, 0
	v_mov_b32_e32 v37, 0
	v_mfma_f32_16x16x16_bf16 a[16:19], v[34:35], v[40:41], a[4:7]
	v_mov_b32_e32 v40, 0
	v_mov_b32_e32 v41, 0
	;; [unrolled: 3-line block ×3, first 2 shown]
	v_mfma_f32_16x16x16_bf16 a[24:27], v[34:35], v[48:49], a[12:15]
	ds_read_b64 v[34:35], v128 offset:6144
	v_mov_b32_e32 v48, 0
	v_mov_b32_e32 v49, 0
	s_waitcnt lgkmcnt(2)
	v_mfma_f32_16x16x16_bf16 a[4:7], v[38:39], v[52:53], a[0:3]
	v_mfma_f32_16x16x16_bf16 a[8:11], v[38:39], v[50:51], a[16:19]
	s_waitcnt lgkmcnt(0)
	v_mfma_f32_16x16x16_bf16 a[12:15], v[38:39], v[34:35], a[20:23]
	v_mov_b32_e32 v34, 0
	v_mov_b32_e32 v35, 0
	v_mfma_f32_16x16x16_bf16 a[0:3], v[38:39], v[42:43], a[24:27]
	v_mov_b32_e32 v38, 0
	v_mov_b32_e32 v39, 0
	v_mov_b32_e32 v42, 0
	v_mov_b32_e32 v43, 0
	s_cbranch_vccnz .LBB130_12
; %bb.11:                               ;   in Loop: Header=BB130_6 Depth=1
	s_and_b32 s25, s25, 0xffff
	buffer_load_dwordx4 v[46:49], v104, s[24:27], 0 offen
	buffer_load_dwordx4 v[42:45], v104, s[24:27], s61 offen
	;; [unrolled: 1-line block ×4, first 2 shown]
	v_mov_b32_e32 v154, v106
	v_mov_b32_e32 v153, v107
.LBB130_12:                             ;   in Loop: Header=BB130_6 Depth=1
	ds_read_b64 v[66:67], v124 offset:57344
	ds_read2_b64 v[50:53], v132 offset1:16
	ds_read_b64 v[68:69], v126 offset:57344
	ds_read_b64 v[70:71], v130 offset:57344
	;; [unrolled: 1-line block ×3, first 2 shown]
	v_add_u32_e32 v74, s59, v100
	s_waitcnt lgkmcnt(3)
	v_mfma_f32_16x16x16_bf16 a[4:7], v[66:67], v[50:51], a[4:7]
	v_mfma_f32_16x16x16_bf16 a[8:11], v[66:67], v[52:53], a[8:11]
	ds_read2_b64 v[50:53], v132 offset0:32 offset1:48
	ds_read2st64_b64 v[54:57], v132 offset0:4 offset1:8
	ds_read2st64_b64 v[58:61], v133 offset0:4 offset1:8
	;; [unrolled: 1-line block ×3, first 2 shown]
	s_waitcnt lgkmcnt(3)
	v_mfma_f32_16x16x16_bf16 a[12:15], v[66:67], v[50:51], a[12:15]
	v_ashrrev_i32_e32 v50, 31, v74
	v_mfma_f32_16x16x16_bf16 a[0:3], v[66:67], v[52:53], a[0:3]
	v_mul_lo_u32 v52, v50, s22
	v_mul_lo_u32 v53, v74, s23
	v_mad_u64_u32 v[50:51], s[24:25], v74, s22, 0
	v_add3_u32 v51, v51, v53, v52
	v_add_u32_e32 v52, 1, v74
	v_ashrrev_i32_e32 v53, 31, v52
	s_waitcnt lgkmcnt(2)
	v_mfma_f32_16x16x16_bf16 a[4:7], v[68:69], v[54:55], a[4:7]
	v_mul_lo_u32 v54, v53, s22
	v_mul_lo_u32 v55, v52, s23
	v_mad_u64_u32 v[52:53], s[24:25], v52, s22, 0
	v_add3_u32 v53, v53, v55, v54
	v_add_u32_e32 v54, 2, v74
	v_ashrrev_i32_e32 v55, 31, v54
	s_waitcnt lgkmcnt(1)
	v_mfma_f32_16x16x16_bf16 a[8:11], v[68:69], v[58:59], a[8:11]
	v_mul_lo_u32 v58, v55, s22
	v_mul_lo_u32 v59, v54, s23
	v_mad_u64_u32 v[54:55], s[24:25], v54, s22, 0
	v_add3_u32 v55, v55, v59, v58
	v_add_u32_e32 v58, 3, v74
	v_ashrrev_i32_e32 v59, 31, v58
	v_mul_lo_u32 v66, v59, s22
	v_mul_lo_u32 v67, v58, s23
	v_mad_u64_u32 v[58:59], s[24:25], v58, s22, 0
	s_ashr_i32 s25, s59, 31
	s_add_u32 s24, s58, s59
	s_addc_u32 s25, s57, s25
	v_lshl_add_u64 v[50:51], v[50:51], 2, s[42:43]
	v_add3_u32 v59, v59, v67, v66
	s_lshl_b64 s[24:25], s[24:25], 8
	v_lshl_add_u64 v[52:53], v[52:53], 2, s[42:43]
	v_lshl_add_u64 v[54:55], v[54:55], 2, s[42:43]
	;; [unrolled: 1-line block ×3, first 2 shown]
	global_load_dword v66, v[50:51], off
	global_load_dword v67, v[52:53], off
	;; [unrolled: 1-line block ×4, first 2 shown]
	v_lshl_add_u64 v[50:51], v[92:93], 0, s[24:25]
	v_lshl_add_u64 v[54:55], v[50:51], 0, v[90:91]
	global_load_ushort v76, v[54:55], off offset:256
	global_load_ushort v156, v[54:55], off
	ds_read2st64_b64 v[50:53], v135 offset0:4 offset1:8
	global_load_ushort v157, v[54:55], off offset:768
	global_load_ushort v158, v[54:55], off offset:512
	s_waitcnt lgkmcnt(1)
	v_mfma_f32_16x16x16_bf16 a[12:15], v[68:69], v[62:63], a[12:15]
	s_and_b64 vcc, exec, s[0:1]
	s_waitcnt vmcnt(3)
	v_lshlrev_b32_e32 v63, 16, v76
	s_waitcnt lgkmcnt(0)
	v_mfma_f32_16x16x16_bf16 a[0:3], v[68:69], v[50:51], a[0:3]
	global_load_ushort v68, v[54:55], off offset:288
	global_load_ushort v69, v[54:55], off offset:32
	;; [unrolled: 1-line block ×8, first 2 shown]
	v_mfma_f32_16x16x16_bf16 a[4:7], v[70:71], v[56:57], a[4:7]
	ds_read_b64 v[50:51], v132 offset:6144
	s_waitcnt vmcnt(10)
	v_lshlrev_b32_e32 v62, 16, v156
	v_mov_b32_e32 v156, 0
	v_mfma_f32_16x16x16_bf16 a[8:11], v[70:71], v[60:61], a[8:11]
	v_mfma_f32_16x16x16_bf16 a[12:15], v[70:71], v[64:65], a[12:15]
	;; [unrolled: 1-line block ×3, first 2 shown]
	global_load_ushort v70, v[54:55], off offset:352
	global_load_ushort v71, v[54:55], off offset:96
	ds_read_b64 v[52:53], v133 offset:6144
	ds_read_b64 v[56:57], v134 offset:6144
	;; [unrolled: 1-line block ×3, first 2 shown]
	global_load_ushort v165, v[54:55], off offset:864
	global_load_ushort v166, v[54:55], off offset:608
	s_load_dword s24, s[44:45], 0x0
	s_waitcnt lgkmcnt(0)
	v_mfma_f32_16x16x16_bf16 a[4:7], v[72:73], v[50:51], a[4:7]
	v_sub_f32_e32 v60, s24, v74
	v_mfma_f32_16x16x16_bf16 a[0:3], v[72:73], v[58:59], a[0:3]
	v_sub_f32_e32 v58, s24, v66
	v_sub_f32_e32 v59, s24, v67
	;; [unrolled: 1-line block ×3, first 2 shown]
	v_mfma_f32_16x16x16_bf16 a[8:11], v[72:73], v[52:53], a[8:11]
	v_exp_f32_e32 v58, v58
	v_exp_f32_e32 v59, v59
	;; [unrolled: 1-line block ×4, first 2 shown]
	v_accvgpr_read_b32 v65, a5
	v_accvgpr_read_b32 v64, a4
	;; [unrolled: 1-line block ×4, first 2 shown]
	v_pk_add_f32 v[62:63], v[62:63], v[64:65] neg_lo:[0,1] neg_hi:[0,1]
	s_waitcnt vmcnt(13)
	v_lshlrev_b32_e32 v65, 16, v157
	s_waitcnt vmcnt(12)
	v_lshlrev_b32_e32 v64, 16, v158
	v_pk_add_f32 v[50:51], v[64:65], v[50:51] neg_lo:[0,1] neg_hi:[0,1]
	v_pk_mul_f32 v[62:63], v[58:59], v[62:63]
	v_pk_mul_f32 v[50:51], v[60:61], v[50:51]
	v_accvgpr_read_b32 v65, a9
	v_perm_b32 v51, v51, v50, s3
	v_perm_b32 v50, v63, v62, s3
	v_accvgpr_read_b32 v64, a8
	v_accvgpr_read_b32 v53, a11
	v_mfma_f32_16x16x16_bf16 a[12:15], v[72:73], v[56:57], a[12:15]
	v_accvgpr_read_b32 v52, a10
	v_accvgpr_read_b32 v57, a3
	v_accvgpr_read_b32 v56, a2
	s_waitcnt vmcnt(11)
	v_lshlrev_b32_e32 v63, 16, v68
	s_waitcnt vmcnt(10)
	v_lshlrev_b32_e32 v62, 16, v69
	v_pk_add_f32 v[62:63], v[62:63], v[64:65] neg_lo:[0,1] neg_hi:[0,1]
	s_waitcnt vmcnt(9)
	v_lshlrev_b32_e32 v65, 16, v159
	s_waitcnt vmcnt(8)
	v_lshlrev_b32_e32 v64, 16, v160
	v_pk_add_f32 v[52:53], v[64:65], v[52:53] neg_lo:[0,1] neg_hi:[0,1]
	v_pk_mul_f32 v[62:63], v[58:59], v[62:63]
	v_pk_mul_f32 v[52:53], v[60:61], v[52:53]
	v_accvgpr_read_b32 v55, a15
	v_perm_b32 v53, v53, v52, s3
	v_perm_b32 v52, v63, v62, s3
	ds_write2_b64 v109, v[50:51], v[52:53] offset1:16
	v_accvgpr_read_b32 v53, a13
	s_waitcnt vmcnt(7)
	v_lshlrev_b32_e32 v51, 16, v161
	s_waitcnt vmcnt(6)
	v_lshlrev_b32_e32 v50, 16, v162
	v_accvgpr_read_b32 v52, a12
	v_accvgpr_read_b32 v54, a14
	v_pk_add_f32 v[50:51], v[50:51], v[52:53] neg_lo:[0,1] neg_hi:[0,1]
	s_waitcnt vmcnt(5)
	v_lshlrev_b32_e32 v53, 16, v163
	s_waitcnt vmcnt(4)
	v_lshlrev_b32_e32 v52, 16, v164
	v_pk_add_f32 v[52:53], v[52:53], v[54:55] neg_lo:[0,1] neg_hi:[0,1]
	v_pk_mul_f32 v[50:51], v[58:59], v[50:51]
	v_pk_mul_f32 v[52:53], v[60:61], v[52:53]
	v_accvgpr_read_b32 v55, a1
	v_perm_b32 v53, v53, v52, s3
	v_perm_b32 v52, v51, v50, s3
	s_waitcnt vmcnt(3)
	v_lshlrev_b32_e32 v51, 16, v70
	s_waitcnt vmcnt(2)
	v_lshlrev_b32_e32 v50, 16, v71
	v_accvgpr_read_b32 v54, a0
	v_pk_add_f32 v[50:51], v[50:51], v[54:55] neg_lo:[0,1] neg_hi:[0,1]
	s_waitcnt vmcnt(1)
	v_lshlrev_b32_e32 v55, 16, v165
	s_waitcnt vmcnt(0)
	v_lshlrev_b32_e32 v54, 16, v166
	v_pk_add_f32 v[54:55], v[54:55], v[56:57] neg_lo:[0,1] neg_hi:[0,1]
	v_pk_mul_f32 v[50:51], v[58:59], v[50:51]
	v_pk_mul_f32 v[54:55], v[60:61], v[54:55]
	v_mov_b32_e32 v56, 0
	v_perm_b32 v55, v55, v54, s3
	v_perm_b32 v54, v51, v50, s3
	ds_write2_b64 v109, v[52:53], v[54:55] offset0:32 offset1:48
	v_mov_b32_e32 v50, 0
	v_mov_b32_e32 v51, 0
	;; [unrolled: 1-line block ×15, first 2 shown]
	s_cbranch_vccnz .LBB130_14
; %bb.13:                               ;   in Loop: Header=BB130_6 Depth=1
	s_and_b32 s29, s29, 0xffff
	s_mov_b32 s31, s27
	buffer_load_dwordx4 v[62:65], v142, s[28:31], 0 offen
	buffer_load_dwordx4 v[54:57], v142, s[28:31], s61 offen
	;; [unrolled: 1-line block ×4, first 2 shown]
	v_mov_b32_e32 v155, v103
	v_mov_b32_e32 v156, v102
.LBB130_14:                             ;   in Loop: Header=BB130_6 Depth=1
	s_waitcnt lgkmcnt(0)
	s_barrier
	ds_read_b64 v[74:75], v145
	ds_read2_b64 v[66:69], v138 offset1:16
	ds_read_b64 v[174:175], v146
	ds_read_b64 v[176:177], v147
	;; [unrolled: 1-line block ×3, first 2 shown]
	ds_read2_b64 v[70:73], v138 offset0:32 offset1:48
	ds_read2st64_b64 v[158:161], v138 offset0:4 offset1:8
	ds_read2st64_b64 v[162:165], v139 offset0:4 offset1:8
	;; [unrolled: 1-line block ×4, first 2 shown]
	s_waitcnt lgkmcnt(8)
	v_mfma_f32_16x16x16_bf16 a[0:3], v[74:75], v[66:67], 0
	s_add_i32 s25, s56, s64
	s_mul_hi_i32 s29, s25, s17
	s_mul_i32 s25, s25, s17
	v_mfma_f32_16x16x16_bf16 a[4:7], v[74:75], v[68:69], 0
	s_add_u32 s28, s25, s33
	s_addc_u32 s29, s29, s46
	s_lshl_b64 s[28:29], s[28:29], 15
	s_waitcnt lgkmcnt(4)
	v_mfma_f32_16x16x16_bf16 a[8:11], v[74:75], v[70:71], 0
	s_mul_i32 s31, s66, s17
	s_mul_hi_i32 s25, s66, s17
	s_add_u32 s44, s31, s33
	v_mfma_f32_16x16x16_bf16 a[12:15], v[74:75], v[72:73], 0
	ds_read_b64 v[74:75], v138 offset:6144
	ds_read_b64 v[186:187], v139 offset:6144
	;; [unrolled: 1-line block ×4, first 2 shown]
	s_addc_u32 s45, s25, s46
	s_waitcnt lgkmcnt(7)
	v_mfma_f32_16x16x16_bf16 a[0:3], v[174:175], v[158:159], a[0:3]
	s_lshl_b64 s[44:45], s[44:45], 9
	s_add_u32 s44, s20, s44
	s_addc_u32 s45, s21, s45
	s_waitcnt lgkmcnt(6)
	v_mfma_f32_16x16x16_bf16 a[4:7], v[174:175], v[162:163], a[4:7]
	v_lshl_add_u64 v[196:197], v[94:95], 0, s[28:29]
	s_waitcnt lgkmcnt(5)
	v_mfma_f32_16x16x16_bf16 a[8:11], v[174:175], v[166:167], a[8:11]
	s_waitcnt lgkmcnt(4)
	v_mfma_f32_16x16x16_bf16 a[12:15], v[174:175], v[170:171], a[12:15]
	ds_read_b64 v[174:175], v150
	ds_read_b64 v[184:185], v151
	;; [unrolled: 1-line block ×3, first 2 shown]
	s_waitcnt lgkmcnt(2)
	v_mfma_f32_16x16x16_bf16 a[16:19], v[174:175], v[66:67], 0
	v_mfma_f32_16x16x16_bf16 a[20:23], v[174:175], v[68:69], 0
	global_load_dwordx4 v[66:69], v149, s[44:45]
	v_mfma_f32_16x16x16_bf16 a[24:27], v[174:175], v[70:71], 0
	v_mfma_f32_16x16x16_bf16 a[28:31], v[174:175], v[72:73], 0
	global_load_dwordx4 v[70:73], v89, s[44:45]
	v_mfma_f32_16x16x16_bf16 a[0:3], v[176:177], v[160:161], a[0:3]
	v_mfma_f32_16x16x16_bf16 a[4:7], v[176:177], v[164:165], a[4:7]
	;; [unrolled: 1-line block ×8, first 2 shown]
	ds_read2st64_b64 v[174:177], v136 offset1:8
	ds_read2st64_b64 v[178:181], v137 offset1:8
	ds_read_b64 v[194:195], v144 offset:40960
	s_waitcnt lgkmcnt(2)
	v_mov_b32_e32 v182, v174
	v_mfma_f32_16x16x16_bf16 a[16:19], v[184:185], v[158:159], a[16:19]
	v_mov_b32_e32 v183, v175
	v_mfma_f32_16x16x16_bf16 a[20:23], v[184:185], v[162:163], a[20:23]
	v_mfma_f32_16x16x16_bf16 a[24:27], v[184:185], v[166:167], a[24:27]
	;; [unrolled: 1-line block ×3, first 2 shown]
	v_add_co_u32_e32 v170, vcc, s37, v196
	s_waitcnt lgkmcnt(1)
	v_mov_b32_e32 v184, v178
	s_waitcnt lgkmcnt(0)
	v_mfma_f32_16x16x16_bf16 a[16:19], v[194:195], v[160:161], a[16:19]
	ds_read2st64_b64 v[158:161], v136 offset0:16 offset1:24
	v_addc_co_u32_e32 v171, vcc, 0, v197, vcc
	v_mfma_f32_16x16x16_bf16 a[32:35], v[194:195], v[164:165], a[20:23]
	ds_read2st64_b64 v[162:165], v137 offset0:16 offset1:24
	v_mov_b32_e32 v185, v179
	v_mov_b32_e32 v178, v176
	v_mfma_f32_16x16x16_bf16 a[24:27], v[194:195], v[168:169], a[24:27]
	v_mov_b32_e32 v179, v177
	s_waitcnt lgkmcnt(0)
	v_mov_b32_e32 v168, v162
	v_mov_b32_e32 v169, v163
	v_mfma_f32_16x16x16_bf16 a[36:39], v[194:195], v[172:173], a[28:31]
	v_mov_b32_e32 v162, v160
	v_mov_b32_e32 v163, v161
	;; [unrolled: 1-line block ×3, first 2 shown]
	v_mfma_f32_16x16x16_bf16 a[20:23], v[192:193], v[74:75], a[16:19]
	v_add_co_u32_e32 v74, vcc, s39, v196
	v_mov_b32_e32 v167, v159
	v_mfma_f32_16x16x16_bf16 a[28:31], v[192:193], v[186:187], a[32:35]
	v_addc_co_u32_e32 v75, vcc, 0, v197, vcc
	global_store_dwordx4 v[74:75], v[162:165], off
	v_mfma_f32_16x16x16_bf16 a[16:19], v[192:193], v[188:189], a[24:27]
	s_waitcnt vmcnt(2)
	v_mov_b32_e32 v76, v69
	v_mov_b32_e32 v75, v68
	;; [unrolled: 1-line block ×3, first 2 shown]
	v_mfma_f32_16x16x16_bf16 a[24:27], v[192:193], v[190:191], a[36:39]
	s_and_b64 vcc, exec, s[0:1]
	global_store_dwordx4 v[196:197], v[182:185], off
	global_store_dwordx4 v[170:171], v[178:181], off offset:-4096
	global_store_dwordx4 v[170:171], v[166:169], off
	s_cbranch_vccnz .LBB130_16
; %bb.15:                               ;   in Loop: Header=BB130_6 Depth=1
	v_lshrrev_b32_e32 v67, 3, v155
	v_and_b32_e32 v67, 6, v67
	v_xor_b32_e32 v68, v67, v156
	v_lshlrev_b32_e32 v68, 2, v68
	v_and_b32_e32 v69, 8, v155
	v_xor_b32_e32 v155, 0x440, v68
	v_cmp_eq_u32_e32 vcc, 0, v69
	v_perm_b32 v69, v54, v50, s62
	s_nop 0
	v_cndmask_b32_e32 v68, v155, v68, vcc
	v_lshl_or_b32 v67, v67, 10, v68
	v_perm_b32 v68, v62, v58, s62
	s_barrier
	ds_write2st64_b32 v67, v68, v69 offset0:128 offset1:160
	v_xor_b32_e32 v68, 8, v67
	v_perm_b32 v58, v62, v58, s63
	v_perm_b32 v50, v54, v50, s63
	v_add_u32_e32 v54, 0x80, v68
	ds_write2st64_b32 v54, v58, v50 offset0:128 offset1:160
	v_xor_b32_e32 v50, 16, v67
	v_perm_b32 v54, v63, v59, s62
	v_perm_b32 v58, v55, v51, s62
	ds_write2st64_b32 v50, v54, v58 offset0:129 offset1:161
	v_xor_b32_e32 v50, 24, v67
	v_perm_b32 v54, v63, v59, s63
	v_perm_b32 v51, v55, v51, s63
	v_add_u32_e32 v50, 0x80, v50
	ds_write2st64_b32 v50, v54, v51 offset0:129 offset1:161
	v_xor_b32_e32 v50, 32, v67
	v_perm_b32 v51, v64, v60, s62
	v_perm_b32 v54, v56, v52, s62
	;; [unrolled: 9-line block ×3, first 2 shown]
	ds_write2st64_b32 v50, v51, v52 offset0:131 offset1:163
	v_xor_b32_e32 v50, 56, v67
	v_perm_b32 v51, v65, v61, s63
	v_perm_b32 v52, v57, v53, s63
	v_add_u32_e32 v50, 0x80, v50
	ds_write2st64_b32 v50, v51, v52 offset0:131 offset1:163
	ds_write_b64 v154, v[46:47] offset:49152
	v_xor_b32_e32 v46, 8, v154
	ds_write_b64 v46, v[48:49] offset:49152
	ds_write_b64 v154, v[42:43] offset:57344
	;; [unrolled: 1-line block ×4, first 2 shown]
	v_xor_b32_e32 v38, 8, v153
	ds_write_b64 v38, v[40:41] offset:49152
	ds_write_b64 v153, v[34:35] offset:57344
	;; [unrolled: 1-line block ×3, first 2 shown]
.LBB130_16:                             ;   in Loop: Header=BB130_6 Depth=1
	v_exp_f32_e32 v68, s24
	s_waitcnt vmcnt(4)
	v_exp_f32_e32 v70, v70
	v_exp_f32_e32 v71, v71
	;; [unrolled: 1-line block ×4, first 2 shown]
	v_accvgpr_read_b32 v37, a3
	v_accvgpr_read_b32 v36, a2
	v_accvgpr_read_b32 v35, a1
	v_accvgpr_read_b32 v34, a0
	v_pk_mul_f32 v[70:71], v[68:69], v[70:71] op_sel_hi:[0,1]
	v_pk_mul_f32 v[72:73], v[68:69], v[72:73] op_sel_hi:[0,1]
	v_pk_fma_f32 v[22:23], v[22:23], v[70:71], v[34:35]
	v_pk_fma_f32 v[24:25], v[24:25], v[72:73], v[36:37]
	v_exp_f32_e32 v34, v66
	v_exp_f32_e32 v35, v74
	;; [unrolled: 1-line block ×4, first 2 shown]
	v_accvgpr_read_b32 v41, a7
	v_accvgpr_read_b32 v45, a11
	;; [unrolled: 1-line block ×28, first 2 shown]
	v_pk_mul_f32 v[34:35], v[68:69], v[34:35] op_sel_hi:[0,1]
	v_pk_mul_f32 v[36:37], v[68:69], v[36:37] op_sel_hi:[0,1]
	s_add_i32 s59, s59, 64
	v_pk_fma_f32 v[18:19], v[70:71], v[18:19], v[38:39]
	v_pk_fma_f32 v[20:21], v[72:73], v[20:21], v[40:41]
	;; [unrolled: 1-line block ×13, first 2 shown]
	s_cmp_eq_u32 s53, s65
	v_pk_fma_f32 v[4:5], v[36:37], v[4:5], v[64:65]
	s_cbranch_scc1 .LBB130_18
; %bb.17:                               ;   in Loop: Header=BB130_6 Depth=1
	s_mov_b32 s64, s65
	s_branch .LBB130_6
.LBB130_18:
	s_lshl_b32 s0, s53, 6
	s_sub_i32 s44, s54, s0
	s_cmp_gt_i32 s44, 0
	s_cbranch_scc0 .LBB130_99
; %bb.19:
	s_add_i32 s34, s0, s34
	s_ashr_i32 s3, s34, 31
	s_cmpk_lg_i32 s19, 0x80
	s_cselect_b64 s[30:31], -1, 0
	s_and_b64 vcc, exec, s[30:31]
	s_cbranch_vccz .LBB130_21
; %bb.20:
	s_mul_hi_i32 s0, s34, s18
	s_mul_i32 s1, s34, s18
	s_ashr_i32 s18, s55, 31
	s_add_u32 s42, s1, s55
	s_addc_u32 s43, s0, s18
	s_cbranch_execz .LBB130_22
	s_branch .LBB130_23
.LBB130_21:
                                        ; implicit-def: $sgpr42_sgpr43
.LBB130_22:
	s_mul_i32 s1, s55, s16
	s_mul_hi_i32 s0, s55, s16
	s_add_u32 s42, s1, s34
	s_addc_u32 s43, s0, s3
.LBB130_23:
	s_waitcnt lgkmcnt(0)
	s_add_i32 s16, s53, s56
	s_add_u32 s0, s58, s34
	v_lshlrev_b32_e32 v38, 6, v100
	v_lshlrev_b32_e32 v56, 2, v97
	s_addc_u32 s1, s57, s3
	s_mov_b32 s3, 0x7060302
	v_or_b32_e32 v41, v38, v56
	v_xor_b32_e32 v39, v100, v56
	s_waitcnt vmcnt(7)
	v_perm_b32 v35, v25, v24, s3
	v_perm_b32 v34, v23, v22, s3
	s_waitcnt vmcnt(6)
	v_perm_b32 v37, v13, v12, s3
	v_perm_b32 v36, v11, v10, s3
	v_lshlrev_b32_e32 v41, 1, v41
	v_xor_b32_e32 v40, v101, v56
	ds_write2st64_b64 v41, v[34:35], v[36:37] offset0:32 offset1:48
	v_lshlrev_b32_e32 v39, 1, v39
	v_lshlrev_b32_e32 v41, 8, v97
	v_or_b32_e32 v42, v39, v41
	v_lshlrev_b32_e32 v40, 1, v40
	ds_write_b64 v42, v[34:35]
	v_or_b32_e32 v34, v40, v41
	v_or_b32_e32 v41, 16, v97
	v_lshlrev_b32_e32 v55, 2, v41
	v_or_b32_e32 v42, v38, v55
	ds_write_b64 v34, v[36:37]
	s_waitcnt vmcnt(5)
	v_perm_b32 v35, v21, v20, s3
	v_perm_b32 v34, v19, v18, s3
	s_waitcnt vmcnt(4)
	v_perm_b32 v37, v17, v16, s3
	v_perm_b32 v36, v15, v14, s3
	v_lshlrev_b32_e32 v42, 1, v42
	v_lshlrev_b32_e32 v41, 8, v41
	ds_write2st64_b64 v42, v[34:35], v[36:37] offset0:32 offset1:48
	v_or_b32_e32 v42, v39, v41
	ds_write_b64 v42, v[34:35]
	v_or_b32_e32 v34, v40, v41
	v_or_b32_e32 v41, 32, v97
	v_lshlrev_b32_e32 v54, 2, v41
	v_or_b32_e32 v42, v38, v54
	ds_write_b64 v34, v[36:37]
	s_waitcnt vmcnt(3)
	v_perm_b32 v35, v33, v32, s3
	v_perm_b32 v34, v31, v30, s3
	s_waitcnt vmcnt(2)
	v_perm_b32 v37, v29, v28, s3
	v_perm_b32 v36, v27, v26, s3
	v_lshlrev_b32_e32 v42, 1, v42
	v_lshlrev_b32_e32 v41, 8, v41
	s_lshl_b64 s[28:29], s[0:1], 8
	ds_write2st64_b64 v42, v[34:35], v[36:37] offset0:32 offset1:48
	v_or_b32_e32 v42, v39, v41
	s_add_u32 s0, s6, s28
	ds_write_b64 v42, v[34:35]
	v_or_b32_e32 v34, v40, v41
	s_addc_u32 s1, s7, s29
	ds_write_b64 v34, v[36:37]
	s_waitcnt vmcnt(1)
	v_perm_b32 v35, v9, v8, s3
	v_perm_b32 v34, v7, v6, s3
	s_waitcnt vmcnt(0)
	v_perm_b32 v37, v5, v4, s3
	v_perm_b32 v36, v3, v2, s3
	v_or_b32_e32 v41, 48, v97
	s_mul_hi_i32 s3, s16, s17
	s_mul_i32 s16, s16, s17
	v_lshlrev_b32_e32 v51, 2, v41
	s_add_u32 s6, s16, s33
	v_or_b32_e32 v38, v38, v51
	s_addc_u32 s7, s3, s46
	v_lshlrev_b32_e32 v38, 1, v38
	s_ashr_i32 s3, s2, 31
	s_lshl_b64 s[6:7], s[6:7], 15
	ds_write2st64_b64 v38, v[34:35], v[36:37] offset0:32 offset1:48
	v_lshlrev_b32_e32 v38, 8, v41
	s_add_u32 s6, s40, s6
	v_or_b32_e32 v39, v39, v38
	s_addc_u32 s7, s41, s7
	s_lshl_b64 s[2:3], s[2:3], 8
	ds_write_b64 v39, v[34:35]
	v_or_b32_e32 v34, v40, v38
	s_add_u32 s2, s6, s2
	v_lshlrev_b32_e32 v35, 1, v97
	ds_write_b64 v34, v[36:37]
	v_lshrrev_b32_e32 v34, 4, v0
	s_addc_u32 s3, s7, s3
	v_or_b32_e32 v36, 1, v35
	v_lshlrev_b32_e32 v42, 4, v97
	v_mov_b32_e32 v43, 0
	v_xor_b32_e32 v35, v34, v35
	v_xor_b32_e32 v38, v36, v34
	v_lshl_add_u64 v[44:45], s[2:3], 0, v[42:43]
	v_lshlrev_b32_e32 v42, 8, v34
	v_lshl_or_b32 v48, v35, 3, v42
	v_lshl_or_b32 v49, v38, 3, v42
	s_waitcnt lgkmcnt(0)
	s_barrier
	ds_read2st64_b64 v[34:37], v48 offset1:8
	ds_read2st64_b64 v[38:41], v49 offset1:8
	v_lshl_add_u64 v[46:47], v[44:45], 0, v[42:43]
	s_movk_i32 s2, 0x2000
	s_cmp_lg_u32 s44, 64
	s_waitcnt lgkmcnt(1)
	v_mov_b32_e32 v42, v34
	v_mov_b32_e32 v43, v35
	s_waitcnt lgkmcnt(0)
	v_mov_b32_e32 v44, v38
	v_mov_b32_e32 v45, v39
	global_store_dwordx4 v[46:47], v[42:45], off
	v_mov_b32_e32 v38, v36
	v_mov_b32_e32 v39, v37
	ds_read2st64_b64 v[34:37], v48 offset0:16 offset1:24
	ds_read2st64_b64 v[42:45], v49 offset0:16 offset1:24
	v_add_co_u32_e32 v48, vcc, s2, v46
	s_cselect_b64 s[6:7], -1, 0
	s_nop 0
	v_addc_co_u32_e32 v49, vcc, 0, v47, vcc
	global_store_dwordx4 v[48:49], v[38:41], off offset:-4096
	v_lshl_or_b32 v62, v1, 3, v99
	s_mov_b32 s24, 0
	s_waitcnt lgkmcnt(1)
	v_mov_b32_e32 v38, v34
	v_add_co_u32_e32 v34, vcc, 0x3000, v46
	v_mov_b32_e32 v39, v35
	s_nop 0
	v_addc_co_u32_e32 v35, vcc, 0, v47, vcc
	s_waitcnt lgkmcnt(0)
	v_mov_b32_e32 v40, v42
	v_mov_b32_e32 v41, v43
	;; [unrolled: 1-line block ×4, first 2 shown]
	v_or_b32_e32 v52, 32, v62
	v_and_b32_e32 v50, 56, v98
	s_and_b64 vcc, exec, s[6:7]
	global_store_dwordx4 v[48:49], v[38:41], off
	global_store_dwordx4 v[34:35], v[42:45], off
	s_cbranch_vccz .LBB130_29
; %bb.24:
	s_mov_b32 s26, s24
	s_mov_b32 s27, s24
	;; [unrolled: 1-line block ×3, first 2 shown]
	v_mov_b64_e32 v[40:41], s[26:27]
	v_mov_b64_e32 v[38:39], s[24:25]
	;; [unrolled: 1-line block ×3, first 2 shown]
	v_cmp_gt_i32_e32 vcc, s44, v62
	v_mov_b64_e32 v[36:37], v[40:41]
	s_and_saveexec_b64 s[2:3], vcc
	s_cbranch_execz .LBB130_26
; %bb.25:
	v_lshlrev_b32_e32 v34, 8, v62
	v_mov_b32_e32 v35, 0
	v_lshl_add_u64 v[36:37], s[0:1], 0, v[34:35]
	v_lshlrev_b32_e32 v34, 1, v50
	v_lshl_add_u64 v[42:43], v[36:37], 0, v[34:35]
	global_load_dwordx4 v[38:41], v[42:43], off
	global_load_dwordx4 v[34:37], v[42:43], off offset:128
.LBB130_26:
	s_or_b64 exec, exec, s[2:3]
	s_mov_b32 s26, s24
	s_mov_b32 s27, s24
	s_mov_b32 s25, s24
	v_mov_b64_e32 v[48:49], s[26:27]
	v_mov_b64_e32 v[46:47], s[24:25]
	;; [unrolled: 1-line block ×3, first 2 shown]
	v_cmp_gt_i32_e32 vcc, s44, v52
	v_lshlrev_b32_e32 v53, 7, v52
	v_mov_b64_e32 v[44:45], v[48:49]
	s_and_saveexec_b64 s[2:3], vcc
	s_cbranch_execz .LBB130_28
; %bb.27:
	v_lshlrev_b32_e32 v42, 1, v53
	v_mov_b32_e32 v43, 0
	v_lshl_add_u64 v[44:45], s[0:1], 0, v[42:43]
	v_lshlrev_b32_e32 v42, 1, v50
	v_lshl_add_u64 v[58:59], v[44:45], 0, v[42:43]
	global_load_dwordx4 v[46:49], v[58:59], off
	global_load_dwordx4 v[42:45], v[58:59], off offset:128
.LBB130_28:
	s_or_b64 exec, exec, s[2:3]
	v_lshrrev_b32_e32 v57, 3, v50
	v_lshlrev_b32_e32 v58, 3, v62
	v_or_b32_e32 v57, v58, v57
	v_lshlrev_b32_e32 v57, 4, v57
	v_and_b32_e32 v58, 0x78, v58
	v_xor_b32_e32 v57, v57, v58
	s_branch .LBB130_31
.LBB130_29:
                                        ; implicit-def: $vgpr57
                                        ; implicit-def: $vgpr53
                                        ; implicit-def: $vgpr38_vgpr39_vgpr40_vgpr41
                                        ; implicit-def: $vgpr34_vgpr35_vgpr36_vgpr37
                                        ; implicit-def: $vgpr46_vgpr47_vgpr48_vgpr49
                                        ; implicit-def: $vgpr42_vgpr43_vgpr44_vgpr45
	s_cbranch_execz .LBB130_31
; %bb.30:
	s_waitcnt vmcnt(0)
	v_lshlrev_b32_e32 v34, 1, v50
	v_lshl_or_b32 v53, v62, 8, v34
	s_and_b32 s1, s1, 0xffff
	s_mov_b32 s3, 0x20000
	s_movk_i32 s2, 0x4000
	v_lshl_or_b32 v57, v52, 8, v34
	s_movk_i32 s16, 0x80
	buffer_load_dwordx4 v[38:41], v53, s[0:3], 0 offen
	buffer_load_dwordx4 v[34:37], v53, s[0:3], s16 offen
	;; [unrolled: 1-line block ×4, first 2 shown]
	v_lshrrev_b32_e32 v53, 3, v50
	v_lshlrev_b32_e32 v57, 3, v62
	v_or_b32_e32 v53, v57, v53
	v_lshlrev_b32_e32 v53, 4, v53
	v_and_b32_e32 v57, 0x78, v57
	v_xor_b32_e32 v57, v53, v57
	v_lshlrev_b32_e32 v53, 7, v52
.LBB130_31:
	s_movk_i32 s0, 0x1000
	v_and_or_b32 v52, v53, s0, v57
	s_waitcnt vmcnt(1)
	ds_write_b64 v57, v[38:39] offset:49152
	v_xor_b32_e32 v38, 8, v57
	ds_write_b64 v38, v[40:41] offset:49152
	s_waitcnt vmcnt(0)
	ds_write_b64 v57, v[34:35] offset:57344
	ds_write_b64 v38, v[36:37] offset:57344
	;; [unrolled: 1-line block ×3, first 2 shown]
	v_xor_b32_e32 v34, 8, v52
	ds_write_b64 v34, v[48:49] offset:49152
	ds_write_b64 v52, v[42:43] offset:57344
	;; [unrolled: 1-line block ×3, first 2 shown]
	v_or_b32_e32 v34, v77, v97
	v_lshlrev_b32_e32 v34, 3, v34
	v_lshrrev_b32_e32 v35, 5, v79
	s_movk_i32 s0, 0xf8
	v_and_or_b32 v35, v34, s0, v35
	v_lshlrev_b32_e32 v39, 4, v35
	v_lshlrev_b32_e32 v57, 11, v1
	v_and_b32_e32 v40, 0x78, v34
	v_or_b32_e32 v42, 32, v39
	v_and_b32_e32 v38, 0x1000, v57
	v_lshrrev_b32_e32 v35, 1, v79
	v_xor_b32_e32 v42, v42, v40
	v_xor_b32_e32 v34, v39, v40
	v_and_b32_e32 v41, 8, v35
	v_or_b32_e32 v42, v42, v38
	v_or_b32_e32 v34, v34, v38
	v_xor_b32_e32 v64, v42, v41
	v_or_b32_e32 v42, 64, v39
	v_xor_b32_e32 v63, v34, v41
	v_xor_b32_e32 v42, v42, v40
	s_waitcnt lgkmcnt(0)
	s_barrier
	v_or_b32_e32 v45, v42, v38
	ds_read_b64 v[42:43], v63 offset:49152
	v_lshl_or_b32 v46, v96, 8, v56
	v_lshlrev_b32_e32 v58, 1, v46
	v_add_u32_e32 v44, 0x4000, v58
	ds_read2_b64 v[34:37], v44 offset1:16
	v_or_b32_e32 v39, 0x60, v39
	v_xor_b32_e32 v39, v39, v40
	v_or_b32_e32 v38, v39, v38
	v_xor_b32_e32 v65, v45, v41
	v_xor_b32_e32 v66, v38, v41
	ds_read_b64 v[52:53], v64 offset:49152
	ds_read_b64 v[68:69], v65 offset:49152
	;; [unrolled: 1-line block ×3, first 2 shown]
	s_waitcnt lgkmcnt(3)
	v_mfma_f32_16x16x16_bf16 a[0:3], v[42:43], v[34:35], 0
	ds_read2st64_b64 v[38:41], v58 offset0:36 offset1:40
	s_lshl_b64 s[0:1], s[42:43], 8
	s_add_u32 s4, s4, s0
	v_mfma_f32_16x16x16_bf16 a[4:7], v[42:43], v[36:37], 0
	ds_read2_b64 v[34:37], v44 offset0:32 offset1:48
	s_addc_u32 s5, s5, s1
	s_add_i32 s0, s49, s47
	s_waitcnt lgkmcnt(0)
	v_mfma_f32_16x16x16_bf16 a[8:11], v[42:43], v[34:35], 0
	v_or_b32_e32 v34, 64, v46
	v_lshlrev_b32_e32 v59, 1, v34
	s_add_i32 s18, s35, -1
	v_mfma_f32_16x16x16_bf16 a[12:15], v[42:43], v[36:37], 0
	ds_read2st64_b64 v[34:37], v59 offset0:36 offset1:40
	s_add_i32 s39, s0, s48
	s_add_i32 s0, s51, s50
	v_mfma_f32_16x16x16_bf16 a[0:3], v[52:53], v[38:39], a[0:3]
	v_or_b32_e32 v38, 0x80, v46
	v_lshlrev_b32_e32 v60, 1, v38
	ds_read2st64_b64 v[42:45], v60 offset0:36 offset1:40
	s_waitcnt lgkmcnt(1)
	v_mfma_f32_16x16x16_bf16 a[4:7], v[52:53], v[34:35], a[4:7]
	v_or_b32_e32 v34, 0xc0, v46
	v_lshlrev_b32_e32 v61, 1, v34
	ds_read2st64_b64 v[46:49], v61 offset0:36 offset1:40
	s_add_i32 s37, s0, s52
	s_ashr_i32 s0, s18, 31
	s_mul_i32 s1, s18, s23
	s_mul_hi_u32 s2, s18, s22
	s_add_i32 s1, s2, s1
	s_mul_i32 s0, s0, s22
	s_waitcnt lgkmcnt(1)
	v_mfma_f32_16x16x16_bf16 a[8:11], v[52:53], v[42:43], a[8:11]
	s_add_i32 s1, s1, s0
	s_lshl_b64 s[2:3], s[38:39], 2
	s_add_u32 s10, s10, s2
	s_waitcnt lgkmcnt(0)
	v_mfma_f32_16x16x16_bf16 a[12:15], v[52:53], v[46:47], a[12:15]
	s_addc_u32 s11, s11, s3
	s_lshl_b64 s[2:3], s[36:37], 2
	s_mul_i32 s0, s18, s22
	v_mfma_f32_16x16x16_bf16 a[0:3], v[68:69], v[40:41], a[0:3]
	ds_read_b64 v[34:35], v58 offset:22528
	s_add_u32 s10, s10, s2
	s_addc_u32 s11, s11, s3
	v_mfma_f32_16x16x16_bf16 a[4:7], v[68:69], v[36:37], a[4:7]
	ds_read_b64 v[36:37], v59 offset:22528
	ds_read_b64 v[38:39], v60 offset:22528
	;; [unrolled: 1-line block ×3, first 2 shown]
	s_lshl_b64 s[0:1], s[0:1], 2
	s_add_u32 s0, s10, s0
	v_mfma_f32_16x16x16_bf16 a[8:11], v[68:69], v[44:45], a[8:11]
	s_addc_u32 s1, s11, s1
	s_load_dword s16, s[0:1], 0x0
	s_and_b64 vcc, exec, s[30:31]
	v_mfma_f32_16x16x16_bf16 a[12:15], v[68:69], v[48:49], a[12:15]
	s_waitcnt lgkmcnt(0)
	v_mfma_f32_16x16x16_bf16 a[0:3], v[70:71], v[34:35], a[0:3]
	v_mfma_f32_16x16x16_bf16 a[4:7], v[70:71], v[36:37], a[4:7]
	;; [unrolled: 1-line block ×4, first 2 shown]
	s_cbranch_vccz .LBB130_42
; %bb.32:
	v_lshlrev_b32_e32 v52, 1, v62
	s_and_b64 vcc, exec, s[6:7]
	s_cbranch_vccz .LBB130_43
; %bb.33:
	v_cmp_gt_i32_e32 vcc, s44, v52
	v_mov_b32_e32 v38, 0
	v_mov_b32_e32 v34, 0
	;; [unrolled: 1-line block ×5, first 2 shown]
	s_and_saveexec_b64 s[0:1], vcc
	s_cbranch_execz .LBB130_35
; %bb.34:
	v_mad_i64_i32 v[34:35], s[2:3], s19, v52, 0
	v_lshl_add_u64 v[34:35], v[34:35], 1, s[4:5]
	v_lshlrev_b32_e32 v36, 1, v50
	v_mov_b32_e32 v37, 0
	v_lshl_add_u64 v[34:35], v[34:35], 0, v[36:37]
	global_load_dwordx4 v[34:37], v[34:35], off
.LBB130_35:
	s_or_b64 exec, exec, s[0:1]
	v_or_b32_e32 v53, 1, v52
	v_cmp_gt_i32_e64 s[0:1], s44, v53
	v_mov_b32_e32 v39, 0
	v_mov_b32_e32 v40, 0
	;; [unrolled: 1-line block ×3, first 2 shown]
	s_and_saveexec_b64 s[2:3], s[0:1]
	s_cbranch_execz .LBB130_37
; %bb.36:
	v_mad_i64_i32 v[38:39], s[24:25], s19, v53, 0
	v_lshl_add_u64 v[38:39], v[38:39], 1, s[4:5]
	v_lshlrev_b32_e32 v40, 1, v50
	v_mov_b32_e32 v41, 0
	v_lshl_add_u64 v[38:39], v[38:39], 0, v[40:41]
	global_load_dwordx4 v[38:41], v[38:39], off
.LBB130_37:
	s_or_b64 exec, exec, s[2:3]
	v_mov_b32_e32 v49, 0
	v_mov_b32_e32 v42, 0
	;; [unrolled: 1-line block ×5, first 2 shown]
	s_and_saveexec_b64 s[2:3], vcc
	s_cbranch_execz .LBB130_39
; %bb.38:
	v_mad_i64_i32 v[42:43], s[24:25], s19, v52, 0
	v_lshl_add_u64 v[42:43], v[42:43], 1, s[4:5]
	v_lshlrev_b32_e32 v44, 1, v50
	v_mov_b32_e32 v45, 0
	v_lshl_add_u64 v[42:43], v[42:43], 0, v[44:45]
	global_load_dwordx4 v[42:45], v[42:43], off offset:128
.LBB130_39:
	s_or_b64 exec, exec, s[2:3]
	v_mov_b32_e32 v48, 0
	v_mov_b32_e32 v47, 0
	;; [unrolled: 1-line block ×3, first 2 shown]
	s_and_saveexec_b64 s[2:3], s[0:1]
	s_cbranch_execz .LBB130_41
; %bb.40:
	v_mad_i64_i32 v[46:47], s[0:1], s19, v53, 0
	v_lshl_add_u64 v[46:47], v[46:47], 1, s[4:5]
	v_lshlrev_b32_e32 v48, 1, v50
	v_mov_b32_e32 v49, 0
	v_lshl_add_u64 v[46:47], v[46:47], 0, v[48:49]
	global_load_dwordx4 v[46:49], v[46:47], off offset:128
.LBB130_41:
	s_or_b64 exec, exec, s[2:3]
	s_branch .LBB130_45
.LBB130_42:
                                        ; implicit-def: $vgpr37
                                        ; implicit-def: $vgpr41
                                        ; implicit-def: $vgpr45
                                        ; implicit-def: $vgpr49
	v_lshrrev_b32_e32 v67, 2, v79
	s_branch .LBB130_46
.LBB130_43:
                                        ; implicit-def: $vgpr37
                                        ; implicit-def: $vgpr41
                                        ; implicit-def: $vgpr45
                                        ; implicit-def: $vgpr49
	s_cbranch_execz .LBB130_45
; %bb.44:
	s_waitcnt vmcnt(0)
	v_mad_u64_u32 v[34:35], s[0:1], v52, s19, v[50:51]
	v_lshlrev_b32_e32 v52, 1, v34
	s_lshl_b32 s2, s19, 7
	s_and_b32 s1, s5, 0xffff
	s_mov_b32 s3, 0x20000
	s_mov_b32 s0, s4
	v_add_lshl_u32 v53, v34, s19, 1
	s_movk_i32 s19, 0x80
	buffer_load_dwordx4 v[34:37], v52, s[0:3], 0 offen
	buffer_load_dwordx4 v[42:45], v52, s[0:3], s19 offen
	;; [unrolled: 1-line block ×4, first 2 shown]
.LBB130_45:
	v_lshrrev_b32_e32 v67, 2, v79
	s_cbranch_execnz .LBB130_58
.LBB130_46:
	s_and_b64 vcc, exec, s[6:7]
	s_cbranch_vccz .LBB130_56
; %bb.47:
	s_waitcnt vmcnt(0)
	v_lshlrev_b32_e32 v39, 1, v62
	v_cmp_gt_i32_e32 vcc, s44, v39
	v_mov_b32_e32 v38, 0
	v_lshlrev_b32_e32 v46, 9, v62
	v_mov_b32_e32 v34, 0
	v_mov_b32_e32 v35, 0
	;; [unrolled: 1-line block ×4, first 2 shown]
	s_and_saveexec_b64 s[0:1], vcc
	s_cbranch_execz .LBB130_49
; %bb.48:
	v_mov_b32_e32 v47, 0
	v_lshl_add_u64 v[34:35], s[4:5], 0, v[46:47]
	v_lshlrev_b32_e32 v36, 1, v50
	v_mov_b32_e32 v37, v47
	v_lshl_add_u64 v[34:35], v[34:35], 0, v[36:37]
	global_load_dwordx4 v[34:37], v[34:35], off
.LBB130_49:
	s_or_b64 exec, exec, s[0:1]
	v_or_b32_e32 v39, 1, v39
	v_cmp_gt_i32_e64 s[0:1], s44, v39
	v_lshlrev_b32_e32 v52, 8, v39
	v_mov_b32_e32 v39, 0
	v_mov_b32_e32 v40, 0
	;; [unrolled: 1-line block ×3, first 2 shown]
	s_and_saveexec_b64 s[2:3], s[0:1]
	s_cbranch_execz .LBB130_51
; %bb.50:
	v_mov_b32_e32 v53, 0
	v_lshl_add_u64 v[38:39], s[4:5], 0, v[52:53]
	v_lshlrev_b32_e32 v40, 1, v50
	v_mov_b32_e32 v41, v53
	v_lshl_add_u64 v[38:39], v[38:39], 0, v[40:41]
	global_load_dwordx4 v[38:41], v[38:39], off
.LBB130_51:
	s_or_b64 exec, exec, s[2:3]
	v_mov_b32_e32 v49, 0
	v_mov_b32_e32 v42, 0
	;; [unrolled: 1-line block ×5, first 2 shown]
	s_and_saveexec_b64 s[2:3], vcc
	s_cbranch_execz .LBB130_53
; %bb.52:
	v_mov_b32_e32 v47, 0
	v_lshl_add_u64 v[42:43], s[4:5], 0, v[46:47]
	v_lshlrev_b32_e32 v46, 1, v50
	v_lshl_add_u64 v[42:43], v[42:43], 0, v[46:47]
	global_load_dwordx4 v[42:45], v[42:43], off offset:128
.LBB130_53:
	s_or_b64 exec, exec, s[2:3]
	v_mov_b32_e32 v48, 0
	v_mov_b32_e32 v47, 0
	;; [unrolled: 1-line block ×3, first 2 shown]
	s_and_saveexec_b64 s[2:3], s[0:1]
	s_cbranch_execz .LBB130_55
; %bb.54:
	v_mov_b32_e32 v53, 0
	v_lshl_add_u64 v[46:47], s[4:5], 0, v[52:53]
	v_lshlrev_b32_e32 v52, 1, v50
	v_lshl_add_u64 v[46:47], v[46:47], 0, v[52:53]
	global_load_dwordx4 v[46:49], v[46:47], off offset:128
.LBB130_55:
	s_or_b64 exec, exec, s[2:3]
	s_branch .LBB130_58
.LBB130_56:
                                        ; implicit-def: $vgpr37
                                        ; implicit-def: $vgpr41
                                        ; implicit-def: $vgpr45
                                        ; implicit-def: $vgpr49
	s_cbranch_execz .LBB130_58
; %bb.57:
	s_waitcnt vmcnt(0)
	v_lshlrev_b32_e32 v34, 1, v50
	v_lshl_or_b32 v50, v62, 9, v34
	s_and_b32 s5, s5, 0xffff
	s_mov_b32 s7, 0x20000
	s_movk_i32 s6, 0x4000
	s_movk_i32 s0, 0x80
	buffer_load_dwordx4 v[34:37], v50, s[4:7], 0 offen
	buffer_load_dwordx4 v[38:41], v50, s[4:7], 0 offen offset:256
	buffer_load_dwordx4 v[42:45], v50, s[4:7], s0 offen
	buffer_load_dwordx4 v[46:49], v50, s[4:7], s0 offen offset:256
.LBB130_58:
	ds_read_b64 v[52:53], v63 offset:57344
	v_add_u32_e32 v50, 0x6000, v58
	ds_read2_b64 v[68:71], v50 offset1:16
	ds_read_b64 v[94:95], v64 offset:57344
	ds_read_b64 v[96:97], v65 offset:57344
	;; [unrolled: 1-line block ×3, first 2 shown]
	v_and_b32_e32 v63, 6, v0
	v_xor_b32_e32 v62, v62, v63
	v_lshlrev_b32_e32 v62, 2, v62
	s_mov_b32 s0, 0x1000504
	s_mov_b32 s1, 0x3020706
	s_waitcnt lgkmcnt(3)
	v_mfma_f32_16x16x16_bf16 a[0:3], v[52:53], v[68:69], a[0:3]
	v_mfma_f32_16x16x16_bf16 a[4:7], v[52:53], v[70:71], a[4:7]
	ds_read2_b64 v[68:71], v50 offset0:32 offset1:48
	v_and_b32_e32 v50, 12, v67
	ds_read2st64_b64 v[64:67], v58 offset0:52 offset1:56
	s_waitcnt lgkmcnt(1)
	v_mfma_f32_16x16x16_bf16 a[8:11], v[52:53], v[68:69], a[8:11]
	v_mfma_f32_16x16x16_bf16 a[12:15], v[52:53], v[70:71], a[12:15]
	ds_read2st64_b64 v[68:71], v59 offset0:52 offset1:56
	ds_read2st64_b64 v[72:75], v60 offset0:52 offset1:56
	;; [unrolled: 1-line block ×3, first 2 shown]
	s_waitcnt lgkmcnt(3)
	v_mfma_f32_16x16x16_bf16 a[0:3], v[94:95], v[64:65], a[0:3]
	ds_read_b64 v[52:53], v58 offset:30720
	ds_read_b64 v[64:65], v59 offset:30720
	;; [unrolled: 1-line block ×4, first 2 shown]
	s_waitcnt lgkmcnt(6)
	v_mfma_f32_16x16x16_bf16 a[4:7], v[94:95], v[68:69], a[4:7]
	v_and_b32_e32 v68, 1, v0
	v_xor_b32_e32 v69, 0x440, v62
	v_cmp_eq_u32_e32 vcc, 0, v68
	s_waitcnt lgkmcnt(5)
	v_mfma_f32_16x16x16_bf16 a[8:11], v[94:95], v[72:73], a[8:11]
	v_cndmask_b32_e32 v62, v69, v62, vcc
	v_lshl_or_b32 v62, v63, 10, v62
	s_waitcnt lgkmcnt(4)
	v_mfma_f32_16x16x16_bf16 a[12:15], v[94:95], v[90:91], a[12:15]
	s_waitcnt vmcnt(0)
	v_perm_b32 v63, v34, v38, s0
	v_perm_b32 v34, v34, v38, s1
	;; [unrolled: 1-line block ×3, first 2 shown]
	v_mfma_f32_16x16x16_bf16 a[0:3], v[96:97], v[66:67], a[0:3]
	v_perm_b32 v66, v42, v46, s0
	ds_write2st64_b32 v62, v63, v66 offset0:128 offset1:160
	v_xor_b32_e32 v63, 8, v62
	v_add_u32_e32 v42, 0x80, v63
	ds_write2st64_b32 v42, v34, v38 offset0:128 offset1:160
	v_xor_b32_e32 v34, 16, v62
	v_perm_b32 v38, v35, v39, s0
	v_perm_b32 v42, v43, v47, s0
	v_mfma_f32_16x16x16_bf16 a[4:7], v[96:97], v[70:71], a[4:7]
	ds_write2st64_b32 v34, v38, v42 offset0:129 offset1:161
	v_xor_b32_e32 v34, 24, v62
	v_perm_b32 v35, v35, v39, s1
	v_mfma_f32_16x16x16_bf16 a[16:19], v[96:97], v[74:75], a[8:11]
	v_perm_b32 v38, v43, v47, s1
	v_add_u32_e32 v34, 0x80, v34
	ds_write2st64_b32 v34, v35, v38 offset0:129 offset1:161
	v_mfma_f32_16x16x16_bf16 a[20:23], v[96:97], v[92:93], a[12:15]
	v_xor_b32_e32 v34, 32, v62
	v_perm_b32 v35, v36, v40, s0
	v_perm_b32 v38, v44, v48, s0
	ds_write2st64_b32 v34, v35, v38 offset0:130 offset1:162
	v_xor_b32_e32 v34, 40, v62
	s_waitcnt lgkmcnt(8)
	v_mfma_f32_16x16x16_bf16 a[12:15], v[98:99], v[52:53], a[0:3]
	v_perm_b32 v35, v36, v40, s1
	v_perm_b32 v36, v44, v48, s1
	v_add_u32_e32 v34, 0x80, v34
	s_waitcnt lgkmcnt(7)
	v_mfma_f32_16x16x16_bf16 a[8:11], v[98:99], v[64:65], a[4:7]
	ds_write2st64_b32 v34, v35, v36 offset0:130 offset1:162
	v_xor_b32_e32 v34, 48, v62
	v_perm_b32 v35, v37, v41, s0
	s_waitcnt lgkmcnt(7)
	v_mfma_f32_16x16x16_bf16 a[4:7], v[98:99], v[100:101], a[16:19]
	v_perm_b32 v36, v45, v49, s0
	ds_write2st64_b32 v34, v35, v36 offset0:131 offset1:163
	v_xor_b32_e32 v34, 56, v62
	s_waitcnt lgkmcnt(7)
	v_mfma_f32_16x16x16_bf16 a[0:3], v[98:99], v[102:103], a[20:23]
	v_or_b32_e32 v48, v50, v77
	v_perm_b32 v35, v37, v41, s1
	v_perm_b32 v36, v45, v49, s1
	v_add_u32_e32 v34, 0x80, v34
	v_cmp_gt_i32_e64 s[0:1], s44, v48
	v_mov_b32_e32 v52, 0
	v_mov_b32_e32 v53, 0
	ds_write2st64_b32 v34, v35, v36 offset0:131 offset1:163
	s_and_saveexec_b64 s[2:3], s[0:1]
	s_cbranch_execz .LBB130_60
; %bb.59:
	v_add_u32_e32 v34, s34, v48
	v_ashrrev_i32_e32 v35, 31, v34
	v_mul_lo_u32 v36, v35, s22
	v_mul_lo_u32 v37, v34, s23
	v_mad_u64_u32 v[34:35], s[4:5], v34, s22, 0
	v_add3_u32 v35, v35, v37, v36
	v_lshl_add_u64 v[34:35], v[34:35], 2, s[10:11]
	global_load_dword v34, v[34:35], off
	s_waitcnt vmcnt(0)
	v_sub_f32_e32 v34, s16, v34
	v_exp_f32_e32 v53, v34
.LBB130_60:
	s_or_b64 exec, exec, s[2:3]
	v_or_b32_e32 v40, 1, v48
	v_cmp_gt_i32_e64 s[2:3], s44, v40
	s_and_saveexec_b64 s[4:5], s[2:3]
	s_cbranch_execz .LBB130_62
; %bb.61:
	v_add_u32_e32 v34, s34, v40
	v_ashrrev_i32_e32 v35, 31, v34
	v_mul_lo_u32 v36, v35, s22
	v_mul_lo_u32 v37, v34, s23
	v_mad_u64_u32 v[34:35], s[6:7], v34, s22, 0
	v_add3_u32 v35, v35, v37, v36
	v_lshl_add_u64 v[34:35], v[34:35], 2, s[10:11]
	global_load_dword v34, v[34:35], off
	s_waitcnt vmcnt(0)
	v_sub_f32_e32 v34, s16, v34
	v_exp_f32_e32 v52, v34
.LBB130_62:
	s_or_b64 exec, exec, s[4:5]
	v_or_b32_e32 v41, 2, v48
	v_cmp_gt_i32_e64 s[4:5], s44, v41
	v_mov_b32_e32 v49, 0
	v_mov_b32_e32 v62, 0
	s_and_saveexec_b64 s[6:7], s[4:5]
	s_cbranch_execz .LBB130_64
; %bb.63:
	v_add_u32_e32 v34, s34, v41
	v_ashrrev_i32_e32 v35, 31, v34
	v_mul_lo_u32 v36, v35, s22
	v_mul_lo_u32 v37, v34, s23
	v_mad_u64_u32 v[34:35], s[24:25], v34, s22, 0
	v_add3_u32 v35, v35, v37, v36
	v_lshl_add_u64 v[34:35], v[34:35], 2, s[10:11]
	global_load_dword v34, v[34:35], off
	s_waitcnt vmcnt(0)
	v_sub_f32_e32 v34, s16, v34
	v_exp_f32_e32 v62, v34
.LBB130_64:
	s_or_b64 exec, exec, s[6:7]
	v_or_b32_e32 v63, 3, v48
	v_cmp_gt_i32_e32 vcc, s44, v63
	s_and_saveexec_b64 s[6:7], vcc
	s_cbranch_execz .LBB130_66
; %bb.65:
	v_add_u32_e32 v34, s34, v63
	v_ashrrev_i32_e32 v35, 31, v34
	v_mul_lo_u32 v36, v35, s22
	v_mul_lo_u32 v37, v34, s23
	v_mad_u64_u32 v[34:35], s[22:23], v34, s22, 0
	v_add3_u32 v35, v35, v37, v36
	v_lshl_add_u64 v[34:35], v[34:35], 2, s[10:11]
	global_load_dword v34, v[34:35], off
	s_waitcnt vmcnt(0)
	v_sub_f32_e32 v34, s16, v34
	v_exp_f32_e32 v49, v34
.LBB130_66:
	s_or_b64 exec, exec, s[6:7]
	s_add_u32 s6, s8, s28
	v_accvgpr_read_b32 v37, a15
	s_addc_u32 s7, s9, s29
	v_ashrrev_i32_e32 v89, 31, v88
	v_accvgpr_read_b32 v36, a14
	v_accvgpr_read_b32 v35, a13
	;; [unrolled: 1-line block ×3, first 2 shown]
	v_lshl_add_u64 v[38:39], v[88:89], 1, s[6:7]
	v_mov_b32_e32 v45, 0
	v_lshlrev_b32_e32 v42, 8, v48
	v_mov_b32_e32 v43, 0
	s_and_saveexec_b64 s[6:7], s[0:1]
	s_cbranch_execz .LBB130_68
; %bb.67:
	v_mov_b32_e32 v43, 0
	v_lshl_add_u64 v[46:47], v[38:39], 0, v[42:43]
	global_load_ushort v43, v[46:47], off
	s_waitcnt vmcnt(0)
	v_lshlrev_b32_e32 v43, 16, v43
	v_sub_f32_e32 v34, v43, v34
	v_mul_f32_e32 v34, v53, v34
	v_lshrrev_b32_e32 v43, 16, v34
.LBB130_68:
	s_or_b64 exec, exec, s[6:7]
	v_lshlrev_b32_e32 v44, 8, v40
	s_and_saveexec_b64 s[6:7], s[2:3]
	s_cbranch_execz .LBB130_70
; %bb.69:
	v_mov_b32_e32 v45, 0
	v_lshl_add_u64 v[46:47], v[38:39], 0, v[44:45]
	global_load_ushort v34, v[46:47], off
	s_waitcnt vmcnt(0)
	v_lshlrev_b32_e32 v34, 16, v34
	v_sub_f32_e32 v34, v34, v35
	v_mul_f32_e32 v34, v52, v34
	v_lshrrev_b32_e32 v45, 16, v34
.LBB130_70:
	s_or_b64 exec, exec, s[6:7]
	v_mov_b32_e32 v64, 0
	v_lshlrev_b32_e32 v46, 8, v41
	v_mov_b32_e32 v47, 0
	s_and_saveexec_b64 s[6:7], s[4:5]
	s_cbranch_execz .LBB130_72
; %bb.71:
	v_mov_b32_e32 v47, 0
	v_lshl_add_u64 v[34:35], v[38:39], 0, v[46:47]
	global_load_ushort v34, v[34:35], off
	s_waitcnt vmcnt(0)
	v_lshlrev_b32_e32 v34, 16, v34
	v_sub_f32_e32 v34, v34, v36
	v_mul_f32_e32 v34, v62, v34
	v_lshrrev_b32_e32 v47, 16, v34
.LBB130_72:
	s_or_b64 exec, exec, s[6:7]
	v_lshlrev_b32_e32 v40, 8, v63
	s_and_saveexec_b64 s[6:7], vcc
	s_cbranch_execz .LBB130_74
; %bb.73:
	v_mov_b32_e32 v41, 0
	v_lshl_add_u64 v[34:35], v[38:39], 0, v[40:41]
	global_load_ushort v34, v[34:35], off
	s_waitcnt vmcnt(0)
	v_lshlrev_b32_e32 v34, 16, v34
	v_sub_f32_e32 v34, v34, v37
	v_mul_f32_e32 v34, v49, v34
	v_lshrrev_b32_e32 v64, 16, v34
.LBB130_74:
	s_or_b64 exec, exec, s[6:7]
	v_lshlrev_b32_e32 v63, 6, v48
	v_accvgpr_read_b32 v37, a11
	s_mov_b32 s6, 0x5040100
	v_or_b32_e32 v41, v63, v56
	v_accvgpr_read_b32 v36, a10
	v_accvgpr_read_b32 v35, a9
	;; [unrolled: 1-line block ×3, first 2 shown]
	v_perm_b32 v65, v64, v47, s6
	v_perm_b32 v64, v45, v43, s6
	v_lshlrev_b32_e32 v41, 1, v41
	v_mov_b32_e32 v45, 0
	v_mov_b32_e32 v43, 0
	ds_write_b64 v41, v[64:65] offset:24576
	s_and_saveexec_b64 s[6:7], s[0:1]
	s_cbranch_execz .LBB130_76
; %bb.75:
	v_mov_b32_e32 v43, 0
	v_lshl_add_u64 v[64:65], v[38:39], 0, v[42:43]
	global_load_ushort v41, v[64:65], off offset:32
	s_waitcnt vmcnt(0)
	v_lshlrev_b32_e32 v41, 16, v41
	v_sub_f32_e32 v34, v41, v34
	v_mul_f32_e32 v34, v53, v34
	v_lshrrev_b32_e32 v43, 16, v34
.LBB130_76:
	s_or_b64 exec, exec, s[6:7]
	s_and_saveexec_b64 s[6:7], s[2:3]
	s_cbranch_execz .LBB130_78
; %bb.77:
	v_mov_b32_e32 v45, 0
	v_lshl_add_u64 v[64:65], v[38:39], 0, v[44:45]
	global_load_ushort v34, v[64:65], off offset:32
	s_waitcnt vmcnt(0)
	v_lshlrev_b32_e32 v34, 16, v34
	v_sub_f32_e32 v34, v34, v35
	v_mul_f32_e32 v34, v52, v34
	v_lshrrev_b32_e32 v45, 16, v34
.LBB130_78:
	s_or_b64 exec, exec, s[6:7]
	v_mov_b32_e32 v41, 0
	v_mov_b32_e32 v47, 0
	s_and_saveexec_b64 s[6:7], s[4:5]
	s_cbranch_execz .LBB130_80
; %bb.79:
	v_mov_b32_e32 v47, 0
	v_lshl_add_u64 v[34:35], v[38:39], 0, v[46:47]
	global_load_ushort v34, v[34:35], off offset:32
	s_waitcnt vmcnt(0)
	v_lshlrev_b32_e32 v34, 16, v34
	v_sub_f32_e32 v34, v34, v36
	v_mul_f32_e32 v34, v62, v34
	v_lshrrev_b32_e32 v47, 16, v34
.LBB130_80:
	s_or_b64 exec, exec, s[6:7]
	s_and_saveexec_b64 s[6:7], vcc
	s_cbranch_execz .LBB130_82
; %bb.81:
	v_mov_b32_e32 v41, 0
	v_lshl_add_u64 v[34:35], v[38:39], 0, v[40:41]
	global_load_ushort v34, v[34:35], off offset:32
	s_waitcnt vmcnt(0)
	v_lshlrev_b32_e32 v34, 16, v34
	v_sub_f32_e32 v34, v34, v37
	v_mul_f32_e32 v34, v49, v34
	v_lshrrev_b32_e32 v41, 16, v34
.LBB130_82:
	s_or_b64 exec, exec, s[6:7]
	s_mov_b32 s6, 0x5040100
	v_accvgpr_read_b32 v37, a7
	v_perm_b32 v65, v41, v47, s6
	v_or_b32_e32 v41, v63, v55
	v_accvgpr_read_b32 v36, a6
	v_accvgpr_read_b32 v35, a5
	;; [unrolled: 1-line block ×3, first 2 shown]
	v_perm_b32 v64, v45, v43, s6
	v_lshlrev_b32_e32 v41, 1, v41
	v_mov_b32_e32 v45, 0
	v_mov_b32_e32 v43, 0
	ds_write_b64 v41, v[64:65] offset:24576
	s_and_saveexec_b64 s[6:7], s[0:1]
	s_cbranch_execz .LBB130_84
; %bb.83:
	v_mov_b32_e32 v43, 0
	v_lshl_add_u64 v[64:65], v[38:39], 0, v[42:43]
	global_load_ushort v41, v[64:65], off offset:64
	s_waitcnt vmcnt(0)
	v_lshlrev_b32_e32 v41, 16, v41
	v_sub_f32_e32 v34, v41, v34
	v_mul_f32_e32 v34, v53, v34
	v_lshrrev_b32_e32 v43, 16, v34
.LBB130_84:
	s_or_b64 exec, exec, s[6:7]
	s_and_saveexec_b64 s[6:7], s[2:3]
	s_cbranch_execz .LBB130_86
; %bb.85:
	v_mov_b32_e32 v45, 0
	v_lshl_add_u64 v[64:65], v[38:39], 0, v[44:45]
	global_load_ushort v34, v[64:65], off offset:64
	s_waitcnt vmcnt(0)
	v_lshlrev_b32_e32 v34, 16, v34
	v_sub_f32_e32 v34, v34, v35
	v_mul_f32_e32 v34, v52, v34
	v_lshrrev_b32_e32 v45, 16, v34
.LBB130_86:
	s_or_b64 exec, exec, s[6:7]
	v_mov_b32_e32 v41, 0
	v_mov_b32_e32 v47, 0
	s_and_saveexec_b64 s[6:7], s[4:5]
	s_cbranch_execz .LBB130_88
; %bb.87:
	v_mov_b32_e32 v47, 0
	v_lshl_add_u64 v[34:35], v[38:39], 0, v[46:47]
	global_load_ushort v34, v[34:35], off offset:64
	s_waitcnt vmcnt(0)
	v_lshlrev_b32_e32 v34, 16, v34
	v_sub_f32_e32 v34, v34, v36
	v_mul_f32_e32 v34, v62, v34
	v_lshrrev_b32_e32 v47, 16, v34
.LBB130_88:
	s_or_b64 exec, exec, s[6:7]
	s_and_saveexec_b64 s[6:7], vcc
	s_cbranch_execz .LBB130_90
; %bb.89:
	v_mov_b32_e32 v41, 0
	v_lshl_add_u64 v[34:35], v[38:39], 0, v[40:41]
	global_load_ushort v34, v[34:35], off offset:64
	s_waitcnt vmcnt(0)
	v_lshlrev_b32_e32 v34, 16, v34
	v_sub_f32_e32 v34, v34, v37
	v_mul_f32_e32 v34, v49, v34
	v_lshrrev_b32_e32 v41, 16, v34
.LBB130_90:
	s_or_b64 exec, exec, s[6:7]
	s_mov_b32 s6, 0x5040100
	v_accvgpr_read_b32 v37, a3
	v_perm_b32 v65, v41, v47, s6
	v_or_b32_e32 v41, v63, v54
	v_accvgpr_read_b32 v36, a2
	v_accvgpr_read_b32 v35, a1
	;; [unrolled: 1-line block ×3, first 2 shown]
	v_perm_b32 v64, v45, v43, s6
	v_lshlrev_b32_e32 v41, 1, v41
	v_mov_b32_e32 v45, 0
	v_mov_b32_e32 v43, 0
	ds_write_b64 v41, v[64:65] offset:24576
	s_and_saveexec_b64 s[6:7], s[0:1]
	s_cbranch_execz .LBB130_92
; %bb.91:
	v_mov_b32_e32 v43, 0
	v_lshl_add_u64 v[42:43], v[38:39], 0, v[42:43]
	global_load_ushort v41, v[42:43], off offset:96
	s_waitcnt vmcnt(0)
	v_lshlrev_b32_e32 v41, 16, v41
	v_sub_f32_e32 v34, v41, v34
	v_mul_f32_e32 v34, v53, v34
	v_lshrrev_b32_e32 v43, 16, v34
.LBB130_92:
	s_or_b64 exec, exec, s[6:7]
	s_and_saveexec_b64 s[0:1], s[2:3]
	s_cbranch_execz .LBB130_94
; %bb.93:
	v_mov_b32_e32 v45, 0
	v_lshl_add_u64 v[44:45], v[38:39], 0, v[44:45]
	global_load_ushort v34, v[44:45], off offset:96
	s_waitcnt vmcnt(0)
	v_lshlrev_b32_e32 v34, 16, v34
	v_sub_f32_e32 v34, v34, v35
	v_mul_f32_e32 v34, v52, v34
	v_lshrrev_b32_e32 v45, 16, v34
.LBB130_94:
	s_or_b64 exec, exec, s[0:1]
	v_mov_b32_e32 v41, 0
	v_mov_b32_e32 v44, 0
	s_and_saveexec_b64 s[0:1], s[4:5]
	s_cbranch_execz .LBB130_96
; %bb.95:
	v_mov_b32_e32 v47, 0
	v_lshl_add_u64 v[34:35], v[38:39], 0, v[46:47]
	global_load_ushort v34, v[34:35], off offset:96
	s_waitcnt vmcnt(0)
	v_lshlrev_b32_e32 v34, 16, v34
	v_sub_f32_e32 v34, v34, v36
	v_mul_f32_e32 v34, v62, v34
	v_lshrrev_b32_e32 v44, 16, v34
.LBB130_96:
	s_or_b64 exec, exec, s[0:1]
	v_or_b32_e32 v34, 0x6000, v58
	v_or_b32_e32 v35, 0x6000, v59
	;; [unrolled: 1-line block ×4, first 2 shown]
	s_and_saveexec_b64 s[0:1], vcc
	s_cbranch_execz .LBB130_98
; %bb.97:
	v_mov_b32_e32 v41, 0
	v_lshl_add_u64 v[38:39], v[38:39], 0, v[40:41]
	global_load_ushort v38, v[38:39], off offset:96
	s_waitcnt vmcnt(0)
	v_lshlrev_b32_e32 v38, 16, v38
	v_sub_f32_e32 v37, v38, v37
	v_mul_f32_e32 v37, v49, v37
	v_lshrrev_b32_e32 v41, 16, v37
.LBB130_98:
	s_or_b64 exec, exec, s[0:1]
	s_mov_b32 s0, 0x5040100
	v_or_b32_e32 v37, v63, v51
	v_perm_b32 v39, v41, v44, s0
	v_perm_b32 v38, v45, v43, s0
	v_lshlrev_b32_e32 v37, 1, v37
	ds_write_b64 v37, v[38:39] offset:24576
	v_and_b32_e32 v37, 7, v0
	v_and_b32_e32 v43, 8, v0
	v_lshlrev_b32_e32 v49, 3, v37
	v_lshlrev_b32_e32 v79, 7, v37
	v_lshrrev_b32_e32 v37, 1, v0
	v_and_b32_e32 v37, 24, v37
	v_mov_b32_e32 v44, 0x400
	v_cmp_eq_u32_e32 vcc, 0, v43
	s_movk_i32 s2, 0x100
	v_lshlrev_b32_e32 v51, 3, v1
	v_cndmask_b32_e64 v43, v44, 64, vcc
	v_mov_b32_e32 v44, 0xa000
	v_mov_b32_e32 v45, 0x8000
	v_cmp_gt_u32_e64 s[0:1], s2, v0
	v_xor_b32_e32 v56, v51, v37
	v_or3_b32 v43, v57, v43, v56
	v_cndmask_b32_e64 v0, v44, v45, s[0:1]
	v_or_b32_e32 v44, 0x440, v56
	v_cndmask_b32_e32 v44, v44, v56, vcc
	v_or_b32_e32 v44, v44, v57
	v_xor_b32_e32 v43, v43, v49
	v_xor_b32_e32 v90, v44, v49
	v_or_b32_e32 v92, v43, v79
	v_add3_u32 v44, v0, v90, v79
	v_or_b32_e32 v43, v0, v92
	s_waitcnt lgkmcnt(0)
	s_barrier
	ds_read_b64 v[58:59], v44
	ds_read_b64 v[74:75], v43
	v_or_b32_e32 v44, 32, v37
	v_or_b32_e32 v37, 0x60, v37
	v_xor_b32_e32 v44, v51, v44
	v_xor_b32_e32 v37, v51, v37
	v_or_b32_e32 v45, 0x440, v44
	v_xor_b32_e32 v43, 0x440, v37
	v_cndmask_b32_e32 v44, v45, v44, vcc
	v_cndmask_b32_e32 v37, v43, v37, vcc
	v_or_b32_e32 v44, v44, v57
	v_or_b32_e32 v37, v37, v57
	v_xor_b32_e32 v91, v44, v49
	v_xor_b32_e32 v93, v37, v49
	v_add3_u32 v44, v0, v91, v79
	v_add3_u32 v0, v0, v93, v79
	ds_read2_b64 v[38:41], v34 offset1:16
	ds_read_b64 v[70:71], v44
	ds_read_b64 v[56:57], v0
	ds_read2_b64 v[44:47], v34 offset0:32 offset1:48
	s_mul_i32 s0, s18, s17
	s_waitcnt lgkmcnt(3)
	v_mfma_f32_16x16x16_bf16 a[0:3], v[58:59], v[38:39], 0
	ds_read2st64_b64 v[52:55], v34 offset0:4 offset1:8
	s_mul_hi_i32 s1, s18, s17
	s_add_u32 s0, s0, s33
	v_mfma_f32_16x16x16_bf16 a[4:7], v[58:59], v[40:41], 0
	ds_read2st64_b64 v[62:65], v36 offset0:4 offset1:8
	ds_read2st64_b64 v[66:69], v42 offset0:4 offset1:8
	s_addc_u32 s1, s1, s46
	s_waitcnt lgkmcnt(3)
	v_mfma_f32_16x16x16_bf16 a[8:11], v[58:59], v[44:45], 0
	s_lshl_b64 s[0:1], s[0:1], 9
	s_add_u32 s0, s20, s0
	s_addc_u32 s1, s21, s1
	v_mfma_f32_16x16x16_bf16 a[12:15], v[58:59], v[46:47], 0
	ds_read2st64_b64 v[58:61], v35 offset0:4 offset1:8
	v_lshlrev_b32_e32 v0, 2, v48
	s_waitcnt lgkmcnt(3)
	v_mfma_f32_16x16x16_bf16 a[0:3], v[70:71], v[52:53], a[0:3]
	s_waitcnt lgkmcnt(0)
	v_mfma_f32_16x16x16_bf16 a[4:7], v[70:71], v[58:59], a[4:7]
	v_mfma_f32_16x16x16_bf16 a[8:11], v[70:71], v[62:63], a[8:11]
	;; [unrolled: 1-line block ×3, first 2 shown]
	global_load_dwordx4 v[70:73], v0, s[0:1]
	v_lshlrev_b32_e32 v0, 6, v1
	v_lshlrev_b32_e32 v1, 2, v50
	v_or3_b32 v0, v0, v1, s2
	global_load_dwordx4 v[48:51], v0, s[0:1]
	v_mfma_f32_16x16x16_bf16 a[0:3], v[74:75], v[54:55], a[0:3]
	v_exp_f32_e32 v0, s16
	s_waitcnt vmcnt(1)
	v_exp_f32_e32 v37, v73
	v_mfma_f32_16x16x16_bf16 a[4:7], v[74:75], v[60:61], a[4:7]
	v_mfma_f32_16x16x16_bf16 a[8:11], v[74:75], v[64:65], a[8:11]
	;; [unrolled: 1-line block ×3, first 2 shown]
	ds_read_b64 v[74:75], v34 offset:6144
	ds_read_b64 v[76:77], v35 offset:6144
	;; [unrolled: 1-line block ×4, first 2 shown]
	v_exp_f32_e32 v34, v70
	v_exp_f32_e32 v35, v71
	;; [unrolled: 1-line block ×3, first 2 shown]
	s_waitcnt lgkmcnt(3)
	v_mfma_f32_16x16x16_bf16 a[0:3], v[56:57], v[74:75], a[0:3]
	v_add_u32_e32 v72, v93, v79
	v_pk_mul_f32 v[34:35], v[0:1], v[34:35] op_sel_hi:[0,1]
	v_add_u32_e32 v1, v90, v79
	ds_read_b64 v[70:71], v1 offset:40960
	v_pk_mul_f32 v[36:37], v[0:1], v[36:37] op_sel_hi:[0,1]
	v_add_u32_e32 v1, v91, v79
	s_waitcnt lgkmcnt(3)
	v_mfma_f32_16x16x16_bf16 a[4:7], v[56:57], v[76:77], a[4:7]
	v_pk_mul_f32 v[22:23], v[22:23], v[34:35]
	v_pk_mul_f32 v[24:25], v[24:25], v[36:37]
	;; [unrolled: 1-line block ×3, first 2 shown]
	s_waitcnt lgkmcnt(2)
	v_mfma_f32_16x16x16_bf16 a[8:11], v[56:57], v[88:89], a[8:11]
	v_pk_mul_f32 v[20:21], v[36:37], v[20:21]
	v_pk_mul_f32 v[30:31], v[34:35], v[30:31]
	;; [unrolled: 1-line block ×3, first 2 shown]
	s_waitcnt lgkmcnt(1)
	v_mfma_f32_16x16x16_bf16 a[12:15], v[56:57], v[42:43], a[12:15]
	ds_read_b64 v[56:57], v1 offset:40960
	ds_read_b64 v[72:73], v72 offset:40960
	v_accvgpr_read_b32 v1, a0
	v_add_f32_e32 v22, v22, v1
	s_waitcnt lgkmcnt(2)
	v_mfma_f32_16x16x16_bf16 a[20:23], v[70:71], v[40:41], 0
	ds_read_b64 v[40:41], v92 offset:40960
	v_accvgpr_read_b32 v1, a1
	v_add_f32_e32 v23, v23, v1
	v_mfma_f32_16x16x16_bf16 a[16:19], v[70:71], v[38:39], 0
	v_accvgpr_read_b32 v1, a2
	v_add_f32_e32 v24, v24, v1
	v_accvgpr_read_b32 v1, a3
	s_waitcnt lgkmcnt(2)
	v_mfma_f32_16x16x16_bf16 a[0:3], v[56:57], v[52:53], a[16:19]
	v_add_f32_e32 v25, v25, v1
	v_accvgpr_read_b32 v1, a4
	v_accvgpr_read_b32 v39, a15
	;; [unrolled: 1-line block ×3, first 2 shown]
	v_mfma_f32_16x16x16_bf16 a[24:27], v[70:71], v[44:45], 0
	v_add_f32_e32 v18, v18, v1
	v_accvgpr_read_b32 v1, a5
	v_accvgpr_read_b32 v45, a13
	v_mfma_f32_16x16x16_bf16 a[14:17], v[56:57], v[58:59], a[20:23]
	v_add_f32_e32 v19, v19, v1
	v_accvgpr_read_b32 v1, a6
	v_accvgpr_read_b32 v44, a12
	s_waitcnt lgkmcnt(0)
	v_mfma_f32_16x16x16_bf16 a[0:3], v[40:41], v[54:55], a[0:3]
	v_add_f32_e32 v20, v20, v1
	v_accvgpr_read_b32 v1, a7
	v_pk_fma_f32 v[6:7], v[34:35], v[6:7], v[44:45]
	v_pk_fma_f32 v[8:9], v[36:37], v[8:9], v[38:39]
	s_waitcnt vmcnt(0)
	v_mov_b32_e32 v34, v49
	v_add_f32_e32 v21, v21, v1
	v_accvgpr_read_b32 v1, a8
	v_exp_f32_e32 v38, v48
	v_exp_f32_e32 v39, v34
	v_mfma_f32_16x16x16_bf16 a[28:31], v[70:71], v[46:47], 0
	v_add_f32_e32 v30, v30, v1
	v_accvgpr_read_b32 v1, a9
	v_mov_b32_e32 v35, v50
	v_mfma_f32_16x16x16_bf16 a[18:21], v[56:57], v[62:63], a[24:27]
	v_mov_b32_e32 v36, v51
	v_add_f32_e32 v31, v31, v1
	v_accvgpr_read_b32 v1, a10
	v_mfma_f32_16x16x16_bf16 a[14:17], v[40:41], v[60:61], a[14:17]
	v_exp_f32_e32 v34, v35
	v_exp_f32_e32 v35, v36
	v_add_f32_e32 v32, v32, v1
	v_mfma_f32_16x16x16_bf16 a[0:3], v[72:73], v[74:75], a[0:3]
	v_accvgpr_read_b32 v1, a11
	v_pk_mul_f32 v[36:37], v[0:1], v[38:39] op_sel_hi:[0,1]
	v_pk_mul_f32 v[10:11], v[10:11], v[36:37]
	v_mfma_f32_16x16x16_bf16 a[4:7], v[56:57], v[66:67], a[28:31]
	v_add_f32_e32 v33, v33, v1
	v_pk_mul_f32 v[0:1], v[0:1], v[34:35] op_sel_hi:[0,1]
	v_pk_mul_f32 v[12:13], v[12:13], v[0:1]
	v_mfma_f32_16x16x16_bf16 a[8:11], v[40:41], v[64:65], a[18:21]
	v_accvgpr_read_b32 v38, a0
	v_add_f32_e32 v10, v10, v38
	v_accvgpr_read_b32 v38, a1
	v_mfma_f32_16x16x16_bf16 a[12:15], v[72:73], v[76:77], a[14:17]
	v_add_f32_e32 v11, v11, v38
	v_accvgpr_read_b32 v38, a2
	v_add_f32_e32 v12, v12, v38
	v_accvgpr_read_b32 v38, a3
	v_mfma_f32_16x16x16_bf16 a[4:7], v[40:41], v[68:69], a[4:7]
	v_pk_mul_f32 v[14:15], v[36:37], v[14:15]
	v_add_f32_e32 v13, v13, v38
	v_accvgpr_read_b32 v38, a12
	v_mfma_f32_16x16x16_bf16 a[8:11], v[72:73], v[88:89], a[8:11]
	v_add_f32_e32 v14, v14, v38
	v_accvgpr_read_b32 v38, a13
	v_pk_mul_f32 v[16:17], v[0:1], v[16:17]
	v_add_f32_e32 v15, v15, v38
	v_accvgpr_read_b32 v38, a14
	v_add_f32_e32 v16, v16, v38
	v_accvgpr_read_b32 v38, a15
	v_pk_mul_f32 v[26:27], v[36:37], v[26:27]
	v_mfma_f32_16x16x16_bf16 a[4:7], v[72:73], v[42:43], a[4:7]
	v_add_f32_e32 v17, v17, v38
	v_accvgpr_read_b32 v38, a8
	v_add_f32_e32 v26, v26, v38
	v_accvgpr_read_b32 v38, a9
	v_pk_mul_f32 v[28:29], v[0:1], v[28:29]
	v_add_f32_e32 v27, v27, v38
	v_accvgpr_read_b32 v38, a10
	v_add_f32_e32 v28, v28, v38
	v_accvgpr_read_b32 v38, a11
	;; [unrolled: 2-line block ×3, first 2 shown]
	v_accvgpr_read_b32 v35, a7
	v_accvgpr_read_b32 v34, a6
	;; [unrolled: 1-line block ×3, first 2 shown]
	v_pk_fma_f32 v[2:3], v[36:37], v[2:3], v[38:39]
	v_pk_fma_f32 v[4:5], v[0:1], v[4:5], v[34:35]
.LBB130_99:
	s_add_u32 s0, s12, s14
	s_addc_u32 s1, s13, s15
	v_lshl_add_u64 v[0:1], v[80:81], 2, s[0:1]
	v_mov_b32_e32 v79, 0
	v_lshl_add_u64 v[0:1], v[0:1], 0, v[78:79]
	s_waitcnt vmcnt(7)
	global_store_dwordx4 v[0:1], v[22:25], off
	s_waitcnt vmcnt(7)
	global_store_dwordx4 v[0:1], v[10:13], off offset:256
	v_lshl_add_u64 v[0:1], v[82:83], 2, s[0:1]
	v_lshl_add_u64 v[0:1], v[0:1], 0, v[78:79]
	s_waitcnt vmcnt(7)
	global_store_dwordx4 v[0:1], v[18:21], off
	s_waitcnt vmcnt(7)
	global_store_dwordx4 v[0:1], v[14:17], off offset:256
	v_lshl_add_u64 v[0:1], v[86:87], 2, s[0:1]
	;; [unrolled: 6-line block ×3, first 2 shown]
	v_lshl_add_u64 v[0:1], v[0:1], 0, v[78:79]
	s_waitcnt vmcnt(7)
	global_store_dwordx4 v[0:1], v[6:9], off
	s_waitcnt vmcnt(7)
	global_store_dwordx4 v[0:1], v[2:5], off offset:256
	s_endpgm
	.section	.rodata,"a",@progbits
	.p2align	6, 0x0
	.amdhsa_kernel _ZN12_GLOBAL__N_139chunk_gated_delta_rule_fwd_h_hip_kernelILi64ELb1ELb1ELb0ELb1ELb1ELb1ELb1ELb0EEEvPK12hip_bfloat16S3_S3_PKfS5_PKvPS1_S8_PvPKiSB_iiiiilll
		.amdhsa_group_segment_fixed_size 65536
		.amdhsa_private_segment_fixed_size 0
		.amdhsa_kernarg_size 136
		.amdhsa_user_sgpr_count 2
		.amdhsa_user_sgpr_dispatch_ptr 0
		.amdhsa_user_sgpr_queue_ptr 0
		.amdhsa_user_sgpr_kernarg_segment_ptr 1
		.amdhsa_user_sgpr_dispatch_id 0
		.amdhsa_user_sgpr_kernarg_preload_length 0
		.amdhsa_user_sgpr_kernarg_preload_offset 0
		.amdhsa_user_sgpr_private_segment_size 0
		.amdhsa_uses_dynamic_stack 0
		.amdhsa_enable_private_segment 0
		.amdhsa_system_sgpr_workgroup_id_x 1
		.amdhsa_system_sgpr_workgroup_id_y 1
		.amdhsa_system_sgpr_workgroup_id_z 0
		.amdhsa_system_sgpr_workgroup_info 0
		.amdhsa_system_vgpr_workitem_id 0
		.amdhsa_next_free_vgpr 240
		.amdhsa_next_free_sgpr 67
		.amdhsa_accum_offset 200
		.amdhsa_reserve_vcc 1
		.amdhsa_float_round_mode_32 0
		.amdhsa_float_round_mode_16_64 0
		.amdhsa_float_denorm_mode_32 3
		.amdhsa_float_denorm_mode_16_64 3
		.amdhsa_dx10_clamp 1
		.amdhsa_ieee_mode 1
		.amdhsa_fp16_overflow 0
		.amdhsa_tg_split 0
		.amdhsa_exception_fp_ieee_invalid_op 0
		.amdhsa_exception_fp_denorm_src 0
		.amdhsa_exception_fp_ieee_div_zero 0
		.amdhsa_exception_fp_ieee_overflow 0
		.amdhsa_exception_fp_ieee_underflow 0
		.amdhsa_exception_fp_ieee_inexact 0
		.amdhsa_exception_int_div_zero 0
	.end_amdhsa_kernel
	.section	.text._ZN12_GLOBAL__N_139chunk_gated_delta_rule_fwd_h_hip_kernelILi64ELb1ELb1ELb0ELb1ELb1ELb1ELb1ELb0EEEvPK12hip_bfloat16S3_S3_PKfS5_PKvPS1_S8_PvPKiSB_iiiiilll,"axG",@progbits,_ZN12_GLOBAL__N_139chunk_gated_delta_rule_fwd_h_hip_kernelILi64ELb1ELb1ELb0ELb1ELb1ELb1ELb1ELb0EEEvPK12hip_bfloat16S3_S3_PKfS5_PKvPS1_S8_PvPKiSB_iiiiilll,comdat
.Lfunc_end130:
	.size	_ZN12_GLOBAL__N_139chunk_gated_delta_rule_fwd_h_hip_kernelILi64ELb1ELb1ELb0ELb1ELb1ELb1ELb1ELb0EEEvPK12hip_bfloat16S3_S3_PKfS5_PKvPS1_S8_PvPKiSB_iiiiilll, .Lfunc_end130-_ZN12_GLOBAL__N_139chunk_gated_delta_rule_fwd_h_hip_kernelILi64ELb1ELb1ELb0ELb1ELb1ELb1ELb1ELb0EEEvPK12hip_bfloat16S3_S3_PKfS5_PKvPS1_S8_PvPKiSB_iiiiilll
                                        ; -- End function
	.section	.AMDGPU.csdata,"",@progbits
; Kernel info:
; codeLenInByte = 12332
; NumSgprs: 73
; NumVgprs: 198
; NumAgprs: 40
; TotalNumVgprs: 240
; ScratchSize: 0
; MemoryBound: 0
; FloatMode: 240
; IeeeMode: 1
; LDSByteSize: 65536 bytes/workgroup (compile time only)
; SGPRBlocks: 9
; VGPRBlocks: 29
; NumSGPRsForWavesPerEU: 73
; NumVGPRsForWavesPerEU: 240
; AccumOffset: 200
; Occupancy: 1
; WaveLimiterHint : 1
; COMPUTE_PGM_RSRC2:SCRATCH_EN: 0
; COMPUTE_PGM_RSRC2:USER_SGPR: 2
; COMPUTE_PGM_RSRC2:TRAP_HANDLER: 0
; COMPUTE_PGM_RSRC2:TGID_X_EN: 1
; COMPUTE_PGM_RSRC2:TGID_Y_EN: 1
; COMPUTE_PGM_RSRC2:TGID_Z_EN: 0
; COMPUTE_PGM_RSRC2:TIDIG_COMP_CNT: 0
; COMPUTE_PGM_RSRC3_GFX90A:ACCUM_OFFSET: 49
; COMPUTE_PGM_RSRC3_GFX90A:TG_SPLIT: 0
	.section	.text._ZN12_GLOBAL__N_139chunk_gated_delta_rule_fwd_h_hip_kernelILi64ELb1ELb0ELb1ELb1ELb1ELb1ELb1ELb0EEEvPK12hip_bfloat16S3_S3_PKfS5_PKvPS1_S8_PvPKiSB_iiiiilll,"axG",@progbits,_ZN12_GLOBAL__N_139chunk_gated_delta_rule_fwd_h_hip_kernelILi64ELb1ELb0ELb1ELb1ELb1ELb1ELb1ELb0EEEvPK12hip_bfloat16S3_S3_PKfS5_PKvPS1_S8_PvPKiSB_iiiiilll,comdat
	.globl	_ZN12_GLOBAL__N_139chunk_gated_delta_rule_fwd_h_hip_kernelILi64ELb1ELb0ELb1ELb1ELb1ELb1ELb1ELb0EEEvPK12hip_bfloat16S3_S3_PKfS5_PKvPS1_S8_PvPKiSB_iiiiilll ; -- Begin function _ZN12_GLOBAL__N_139chunk_gated_delta_rule_fwd_h_hip_kernelILi64ELb1ELb0ELb1ELb1ELb1ELb1ELb1ELb0EEEvPK12hip_bfloat16S3_S3_PKfS5_PKvPS1_S8_PvPKiSB_iiiiilll
	.p2align	8
	.type	_ZN12_GLOBAL__N_139chunk_gated_delta_rule_fwd_h_hip_kernelILi64ELb1ELb0ELb1ELb1ELb1ELb1ELb1ELb0EEEvPK12hip_bfloat16S3_S3_PKfS5_PKvPS1_S8_PvPKiSB_iiiiilll,@function
_ZN12_GLOBAL__N_139chunk_gated_delta_rule_fwd_h_hip_kernelILi64ELb1ELb0ELb1ELb1ELb1ELb1ELb1ELb0EEEvPK12hip_bfloat16S3_S3_PKfS5_PKvPS1_S8_PvPKiSB_iiiiilll: ; @_ZN12_GLOBAL__N_139chunk_gated_delta_rule_fwd_h_hip_kernelILi64ELb1ELb0ELb1ELb1ELb1ELb1ELb1ELb0EEEvPK12hip_bfloat16S3_S3_PKfS5_PKvPS1_S8_PvPKiSB_iiiiilll
; %bb.0:
	s_load_dwordx4 s[12:15], s[0:1], 0x5c
	s_load_dwordx4 s[4:7], s[0:1], 0x48
	s_abs_i32 s9, s3
	s_ashr_i32 s8, s3, 31
	v_and_b32_e32 v90, 15, v0
	s_waitcnt lgkmcnt(0)
	s_abs_i32 s10, s13
	v_cvt_f32_u32_e32 v1, s10
	s_sub_i32 s16, 0, s10
	s_ashr_i32 s11, s13, 31
	s_xor_b32 s8, s8, s11
	v_rcp_iflag_f32_e32 v1, v1
	v_lshrrev_b32_e32 v88, 6, v0
	v_bfe_u32 v89, v0, 4, 2
	v_mov_b32_e32 v11, 0
	v_mul_f32_e32 v1, 0x4f7ffffe, v1
	v_cvt_u32_f32_e32 v1, v1
	v_and_b32_e32 v77, 63, v0
	v_lshrrev_b32_e32 v92, 3, v77
	v_lshlrev_b32_e32 v91, 3, v0
	v_readfirstlane_b32 s17, v1
	s_mul_i32 s16, s16, s17
	s_mul_hi_u32 s16, s17, s16
	s_add_i32 s17, s17, s16
	s_mul_hi_u32 s16, s9, s17
	s_mul_i32 s17, s16, s10
	s_sub_i32 s9, s9, s17
	s_add_i32 s18, s16, 1
	s_sub_i32 s17, s9, s10
	s_cmp_ge_u32 s9, s10
	s_cselect_b32 s16, s18, s16
	s_cselect_b32 s9, s17, s9
	s_add_i32 s17, s16, 1
	s_cmp_ge_u32 s9, s10
	s_cselect_b32 s9, s17, s16
	s_xor_b32 s9, s9, s8
	s_sub_i32 s20, s9, s8
	s_mul_i32 s24, s20, s13
	s_ashr_i32 s21, s20, 31
	s_sub_i32 s49, s3, s24
	s_lshl_b64 s[8:9], s[20:21], 2
	s_add_u32 s4, s4, s8
	s_addc_u32 s5, s5, s9
	s_add_u32 s22, s6, s8
	s_addc_u32 s23, s7, s9
	s_abs_i32 s3, s14
	v_cvt_f32_u32_e32 v1, s3
	s_load_dwordx2 s[34:35], s[4:5], 0x0
	s_lshl_b32 s40, s2, 6
	s_ashr_i32 s2, s14, 31
	v_rcp_iflag_f32_e32 v1, v1
	s_xor_b32 s2, s11, s2
	s_waitcnt lgkmcnt(0)
	s_sub_i32 s52, s35, s34
	s_ashr_i32 s4, s52, 31
	v_mul_f32_e32 v1, 0x4f7ffffe, v1
	v_cvt_u32_f32_e32 v1, v1
	s_lshr_b32 s4, s4, 26
	s_add_i32 s4, s52, s4
	s_ashr_i32 s51, s4, 6
	s_sub_i32 s4, 0, s3
	v_readfirstlane_b32 s5, v1
	s_mul_i32 s4, s4, s5
	s_mul_hi_u32 s4, s5, s4
	s_add_i32 s5, s5, s4
	s_mul_hi_u32 s4, s10, s5
	s_mul_i32 s5, s4, s3
	s_sub_i32 s5, s10, s5
	s_add_i32 s6, s4, 1
	s_sub_i32 s7, s5, s3
	s_cmp_ge_u32 s5, s3
	s_cselect_b32 s4, s6, s4
	s_cselect_b32 s5, s7, s5
	s_add_i32 s6, s4, 1
	s_cmp_ge_u32 s5, s3
	s_cselect_b32 s3, s6, s4
	s_xor_b32 s3, s3, s2
	s_sub_i32 s2, s3, s2
	s_abs_i32 s3, s2
	v_cvt_f32_u32_e32 v1, s3
	s_sub_i32 s5, 0, s3
	s_abs_i32 s4, s49
	s_xor_b32 s2, s49, s2
	v_rcp_iflag_f32_e32 v1, v1
	s_ashr_i32 s2, s2, 31
	s_load_dwordx4 s[16:19], s[0:1], 0x28
	s_load_dwordx2 s[28:29], s[0:1], 0x38
	v_or_b32_e32 v78, s40, v90
	v_mul_f32_e32 v1, 0x4f7ffffe, v1
	v_cvt_u32_f32_e32 v1, v1
	v_lshlrev_b32_e32 v2, 7, v78
	v_ashrrev_i32_e32 v3, 31, v2
	s_mul_hi_i32 s55, s49, s12
	v_readfirstlane_b32 s6, v1
	s_mul_i32 s5, s5, s6
	s_mul_hi_u32 s5, s6, s5
	s_add_i32 s6, s6, s5
	s_mul_hi_u32 s5, s4, s6
	s_mul_i32 s6, s5, s3
	s_sub_i32 s4, s4, s6
	s_add_i32 s6, s5, 1
	s_sub_i32 s7, s4, s3
	s_cmp_ge_u32 s4, s3
	s_cselect_b32 s5, s6, s5
	s_cselect_b32 s4, s7, s4
	s_add_i32 s6, s5, 1
	s_cmp_ge_u32 s4, s3
	s_cselect_b32 s3, s6, s5
	s_xor_b32 s3, s3, s2
	s_sub_i32 s53, s3, s2
	s_ashr_i32 s50, s49, 31
	s_mul_hi_i32 s3, s20, s13
	s_add_u32 s2, s24, s49
	s_addc_u32 s3, s3, s50
	s_lshl_b64 s[2:3], s[2:3], 16
	v_lshlrev_b32_e32 v1, 4, v88
	s_waitcnt lgkmcnt(0)
	s_add_u32 s2, s16, s2
	v_lshl_or_b32 v93, v89, 2, v1
	s_addc_u32 s3, s17, s3
	v_lshl_add_u64 v[4:5], v[2:3], 2, s[2:3]
	v_lshlrev_b32_e32 v10, 2, v93
	v_lshl_add_u64 v[4:5], v[4:5], 0, v[10:11]
	global_load_dwordx4 v[22:25], v[4:5], off
	global_load_dwordx4 v[30:33], v[4:5], off offset:256
	v_or_b32_e32 v4, 0x800, v2
	v_ashrrev_i32_e32 v5, 31, v4
	v_lshl_add_u64 v[4:5], v[4:5], 2, s[2:3]
	v_lshl_add_u64 v[4:5], v[4:5], 0, v[10:11]
	global_load_dwordx4 v[14:17], v[4:5], off
	global_load_dwordx4 v[26:29], v[4:5], off offset:256
	v_or_b32_e32 v4, 0x1000, v2
	v_or_b32_e32 v2, 0x1800, v2
	v_ashrrev_i32_e32 v5, 31, v4
	v_ashrrev_i32_e32 v3, 31, v2
	v_lshl_add_u64 v[4:5], v[4:5], 2, s[2:3]
	v_lshl_add_u64 v[2:3], v[2:3], 2, s[2:3]
	;; [unrolled: 1-line block ×4, first 2 shown]
	global_load_dwordx4 v[6:9], v[4:5], off
	global_load_dwordx4 v[18:21], v[4:5], off offset:256
	s_nop 0
	global_load_dwordx4 v[2:5], v[34:35], off
	global_load_dwordx4 v[10:13], v[34:35], off offset:256
	s_load_dwordx8 s[4:11], s[0:1], 0x0
	s_load_dwordx2 s[30:31], s[0:1], 0x80
	s_load_dwordx4 s[24:27], s[0:1], 0x70
	s_load_dword s54, s[22:23], 0x0
	v_or_b32_e32 v94, 64, v93
	s_cmp_lt_i32 s52, 64
	s_mul_i32 s56, s49, s12
	s_waitcnt lgkmcnt(0)
	s_mul_i32 s33, s20, s25
	s_mul_hi_u32 s45, s20, s24
	s_mul_i32 s44, s21, s24
	s_mul_i32 s38, s20, s24
	;; [unrolled: 1-line block ×3, first 2 shown]
	s_mul_hi_u32 s47, s49, s26
	s_mul_i32 s48, s50, s26
	s_mul_i32 s36, s49, s26
	s_cbranch_scc1 .LBB131_18
; %bb.1:
	s_ashr_i32 s3, s34, 31
	s_add_u32 s2, s56, s34
	s_addc_u32 s3, s55, s3
	s_lshl_b64 s[2:3], s[2:3], 8
	v_and_b32_e32 v96, 56, v91
	s_add_u32 s20, s6, s2
	v_lshl_or_b32 v95, v88, 3, v92
	v_lshlrev_b32_e32 v34, 1, v96
	s_addc_u32 s2, s7, s3
	v_lshl_or_b32 v97, v95, 8, v34
	s_and_b32 s21, s2, 0xffff
	s_mov_b32 s23, 0x20000
	s_movk_i32 s22, 0x4000
	s_movk_i32 s2, 0x80
	v_or_b32_e32 v98, 0x2000, v97
	buffer_load_dwordx4 v[36:39], v97, s[20:23], 0 offen
	buffer_load_dwordx4 v[40:43], v97, s[20:23], s2 offen
	;; [unrolled: 1-line block ×4, first 2 shown]
	v_lshlrev_b32_e32 v35, 3, v95
	v_and_or_b32 v53, v0, 7, v35
	v_and_b32_e32 v35, 0x78, v35
	v_lshlrev_b32_e32 v53, 4, v53
	v_xor_b32_e32 v99, v53, v35
	v_mul_lo_u32 v52, v95, s15
	v_or_b32_e32 v100, 0x1000, v99
	v_xor_b32_e32 v35, 8, v99
	s_cmpk_eq_i32 s15, 0x80
	s_mov_b32 s57, s34
	v_xor_b32_e32 v53, 8, v100
	s_cselect_b64 s[2:3], -1, 0
	s_cmpk_lg_i32 s15, 0x80
	s_waitcnt vmcnt(3)
	ds_write_b64 v99, v[36:37] offset:49152
	ds_write_b64 v35, v[38:39] offset:49152
	s_waitcnt vmcnt(2)
	ds_write_b64 v99, v[40:41] offset:57344
	ds_write_b64 v35, v[42:43] offset:57344
	;; [unrolled: 3-line block ×4, first 2 shown]
	v_lshl_add_u32 v35, v52, 1, v96
	s_cbranch_scc0 .LBB131_3
; %bb.2:
	v_lshlrev_b32_e32 v37, 1, v35
	v_add_lshl_u32 v36, v35, s15, 1
	s_lshl_b32 s22, s15, 7
	s_load_dwordx2 s[16:17], s[0:1], 0x20
	v_lshl_or_b32 v34, v95, 9, v34
	s_cbranch_execz .LBB131_4
	s_branch .LBB131_5
.LBB131_3:
                                        ; implicit-def: $vgpr36
                                        ; implicit-def: $vgpr37
                                        ; implicit-def: $sgpr22
	s_load_dwordx2 s[16:17], s[0:1], 0x20
	v_lshl_or_b32 v34, v95, 9, v34
.LBB131_4:
	v_or_b32_e32 v36, 0x100, v34
	s_movk_i32 s22, 0x4000
	v_mov_b32_e32 v37, v34
.LBB131_5:
	s_mul_i32 s0, s34, s14
	s_ashr_i32 s58, s53, 31
	s_mul_hi_i32 s1, s34, s14
	s_add_u32 s0, s0, s53
	s_addc_u32 s1, s1, s58
	s_lshl_b64 s[0:1], s[0:1], 8
	s_add_u32 s20, s4, s0
	s_addc_u32 s0, s5, s1
	s_and_b32 s21, s0, 0xffff
	s_movk_i32 s59, 0x80
	buffer_load_dwordx4 v[38:41], v37, s[20:23], 0 offen
	buffer_load_dwordx4 v[42:45], v37, s[20:23], s59 offen
	;; [unrolled: 1-line block ×4, first 2 shown]
	v_and_b32_e32 v37, 6, v0
	v_lshlrev_b32_e32 v36, 7, v93
	v_xor_b32_e32 v59, v95, v37
	v_and_b32_e32 v54, 1, v0
	v_lshl_or_b32 v62, v90, 3, v36
	v_lshlrev_b32_e32 v59, 2, v59
	v_lshlrev_b32_e32 v55, 2, v90
	v_or_b32_e32 v101, 0x4000, v62
	v_or_b32_e32 v102, 0x6000, v62
	v_xor_b32_e32 v62, 0x440, v59
	v_cmp_eq_u32_e32 vcc, 0, v54
	v_or_b32_e32 v57, 16, v90
	v_or_b32_e32 v58, 32, v90
	v_xor_b32_e32 v60, v93, v55
	v_xor_b32_e32 v61, v94, v55
	v_cndmask_b32_e32 v54, v62, v59, vcc
	s_mov_b32 s60, 0x1000504
	v_lshl_or_b32 v63, v57, 3, v36
	v_lshlrev_b32_e32 v57, 8, v57
	v_lshl_or_b32 v64, v58, 3, v36
	v_lshlrev_b32_e32 v60, 1, v60
	v_lshlrev_b32_e32 v61, 1, v61
	v_lshl_or_b32 v37, v37, 10, v54
	s_add_i32 s0, s45, s33
	s_mov_b32 s61, 0x3020706
	v_lshlrev_b32_e32 v56, 8, v90
	v_or_b32_e32 v105, 0x4000, v64
	v_or_b32_e32 v106, 0x6000, v64
	;; [unrolled: 1-line block ×4, first 2 shown]
	v_xor_b32_e32 v54, 8, v37
	v_xor_b32_e32 v57, 24, v37
	;; [unrolled: 1-line block ×4, first 2 shown]
	s_add_i32 s39, s0, s44
	s_add_i32 s0, s47, s46
	v_or_b32_e32 v103, 0x4000, v63
	v_or_b32_e32 v104, 0x6000, v63
	;; [unrolled: 1-line block ×4, first 2 shown]
	v_xor_b32_e32 v56, 16, v37
	v_xor_b32_e32 v59, 32, v37
	;; [unrolled: 1-line block ×3, first 2 shown]
	v_add_u32_e32 v54, 0x80, v54
	v_add_u32_e32 v57, 0x80, v57
	;; [unrolled: 1-line block ×4, first 2 shown]
	s_add_i32 s37, s0, s48
	s_lshl_b64 s[0:1], s[38:39], 2
	s_add_u32 s20, s10, s0
	s_addc_u32 s21, s11, s1
	s_lshl_b64 s[0:1], s[36:37], 2
	s_add_u32 s42, s20, s0
	s_movk_i32 s0, 0xf8
	s_addc_u32 s43, s21, s1
	s_ashr_i32 s41, s40, 31
	s_lshl_b32 s26, s15, 7
	v_mov_b32_e32 v81, 0
	s_movk_i32 s20, 0x100
	v_lshlrev_b32_e32 v80, 4, v90
	v_ashrrev_i32_e32 v79, 31, v78
	v_lshlrev_b32_e32 v58, 8, v58
	s_mov_b32 s62, 0
	s_movk_i32 s22, 0x4000
	v_or_b32_e32 v111, v58, v60
	v_or_b32_e32 v112, v58, v61
	s_mov_b32 s37, 0x7060302
	s_movk_i32 s39, 0x2000
	s_waitcnt vmcnt(1)
	v_perm_b32 v65, v38, v46, s60
	s_waitcnt vmcnt(0)
	v_perm_b32 v66, v42, v50, s60
	v_perm_b32 v38, v38, v46, s61
	;; [unrolled: 1-line block ×15, first 2 shown]
	ds_write2st64_b32 v37, v65, v66 offset0:128 offset1:160
	ds_write2st64_b32 v54, v38, v42 offset0:128 offset1:160
	;; [unrolled: 1-line block ×8, first 2 shown]
	v_or_b32_e32 v37, 48, v90
	v_lshl_or_b32 v38, v37, 3, v36
	v_lshlrev_b32_e32 v37, 8, v37
	v_or_b32_e32 v115, v37, v60
	v_or_b32_e32 v116, v37, v61
	;; [unrolled: 1-line block ×3, first 2 shown]
	v_lshlrev_b32_e32 v37, 3, v37
	v_lshrrev_b32_e32 v39, 5, v77
	v_and_or_b32 v39, v37, s0, v39
	v_lshlrev_b32_e32 v39, 4, v39
	v_or_b32_e32 v113, 0x4000, v38
	v_or_b32_e32 v114, 0x6000, v38
	v_lshrrev_b32_e32 v38, 2, v77
	v_lshlrev_b32_e32 v41, 11, v88
	v_and_b32_e32 v37, 0x78, v37
	v_or_b32_e32 v45, 32, v39
	v_and_b32_e32 v40, 12, v38
	v_and_b32_e32 v38, 0x1000, v41
	v_xor_b32_e32 v42, v39, v37
	v_lshrrev_b32_e32 v43, 1, v77
	v_xor_b32_e32 v45, v45, v37
	v_or_b32_e32 v42, v42, v38
	v_and_b32_e32 v43, 8, v43
	v_or_b32_e32 v45, v45, v38
	v_xor_b32_e32 v117, v42, v43
	v_lshlrev_b32_e32 v42, 8, v89
	v_xor_b32_e32 v119, v45, v43
	v_or_b32_e32 v45, 64, v39
	v_or_b32_e32 v39, 0x60, v39
	;; [unrolled: 1-line block ×3, first 2 shown]
	v_xor_b32_e32 v45, v45, v37
	v_xor_b32_e32 v37, v39, v37
	s_lshl_b64 s[0:1], s[40:41], 8
	v_lshlrev_b32_e32 v44, 1, v44
	v_or_b32_e32 v45, v45, v38
	v_or_b32_e32 v37, v37, v38
	s_add_u32 s0, s18, s0
	v_lshlrev_b32_e32 v38, 1, v90
	v_lshlrev_b32_e32 v47, 2, v0
	v_or_b32_e32 v118, 0x4000, v44
	v_or_b32_e32 v120, 0x4080, v44
	;; [unrolled: 1-line block ×4, first 2 shown]
	v_xor_b32_e32 v123, v45, v43
	v_xor_b32_e32 v124, v37, v43
	v_or_b32_e32 v125, 0x6000, v44
	v_or_b32_e32 v126, 0x6080, v44
	;; [unrolled: 1-line block ×4, first 2 shown]
	v_lshlrev_b32_e32 v37, 1, v35
	v_add_lshl_u32 v35, v35, s15, 1
	v_or_b32_e32 v43, 0x100, v34
	v_lshrrev_b32_e32 v44, 4, v0
	s_addc_u32 s1, s19, s1
	v_or_b32_e32 v39, 1, v38
	v_lshrrev_b32_e32 v48, 1, v0
	v_and_or_b32 v42, v47, 60, v42
	v_xor_b32_e32 v45, v44, v38
	v_xor_b32_e32 v46, v39, v44
	v_lshl_add_u64 v[38:39], s[0:1], 0, v[80:81]
	v_and_b32_e32 v48, 24, v48
	v_lshlrev_b32_e32 v42, 1, v42
	v_cndmask_b32_e64 v135, v37, v34, s[2:3]
	v_cndmask_b32_e64 v136, v35, v43, s[2:3]
	v_mov_b32_e32 v35, 0xa000
	v_mov_b32_e32 v37, 0x8000
	v_cmp_gt_u32_e64 s[0:1], s20, v0
	v_lshlrev_b32_e32 v80, 8, v44
	v_or_b32_e32 v131, 0x6000, v42
	v_or_b32_e32 v47, 32, v48
	;; [unrolled: 1-line block ×6, first 2 shown]
	v_cndmask_b32_e64 v35, v35, v37, s[0:1]
	v_lshlrev_b32_e32 v37, 3, v88
	v_lshl_or_b32 v129, v45, 3, v80
	v_and_b32_e32 v45, 8, v0
	v_xor_b32_e32 v43, v37, v48
	v_xor_b32_e32 v47, v37, v47
	;; [unrolled: 1-line block ×3, first 2 shown]
	v_mov_b32_e32 v49, 0x400
	v_cmp_eq_u32_e32 vcc, 0, v45
	v_or_b32_e32 v48, 0x440, v43
	v_or_b32_e32 v50, 0x440, v47
	v_xor_b32_e32 v42, 0x440, v37
	v_and_b32_e32 v44, 7, v0
	v_cndmask_b32_e64 v45, v49, 64, vcc
	v_cndmask_b32_e32 v48, v48, v43, vcc
	v_cndmask_b32_e32 v47, v50, v47, vcc
	;; [unrolled: 1-line block ×3, first 2 shown]
	v_lshl_or_b32 v130, v46, 3, v80
	v_lshlrev_b32_e32 v46, 3, v44
	v_or_b32_e32 v48, v48, v41
	v_or_b32_e32 v47, v47, v41
	v_or3_b32 v43, v41, v45, v43
	v_or_b32_e32 v37, v37, v41
	v_lshlrev_b32_e32 v44, 7, v44
	v_xor_b32_e32 v48, v48, v46
	v_xor_b32_e32 v47, v47, v46
	;; [unrolled: 1-line block ×4, first 2 shown]
	v_or_b32_e32 v34, v1, v40
	v_add_u32_e32 v49, v35, v48
	v_add_u32_e32 v50, v35, v47
	v_or_b32_e32 v137, v43, v44
	v_add_u32_e32 v41, v35, v37
	v_or3_b32 v40, v1, v40, 64
	v_add_u32_e32 v45, 0xa000, v48
	v_add_u32_e32 v46, 0xa000, v47
	;; [unrolled: 1-line block ×3, first 2 shown]
	v_lshlrev_b64 v[42:43], 1, v[78:79]
	v_lshl_add_u64 v[82:83], s[8:9], 0, v[42:43]
	v_lshl_add_u64 v[84:85], s[28:29], 0, v[42:43]
	;; [unrolled: 1-line block ×3, first 2 shown]
	v_lshlrev_b32_e32 v80, 1, v36
	s_movk_i32 s41, 0x3000
	v_lshlrev_b32_e32 v79, 2, v34
	v_add_u32_e32 v138, v49, v44
	v_add_u32_e32 v139, v50, v44
	;; [unrolled: 1-line block ×4, first 2 shown]
	v_lshlrev_b32_e32 v142, 2, v40
	v_add_u32_e32 v143, v45, v44
	v_add_u32_e32 v144, v46, v44
	v_add_u32_e32 v145, v37, v44
	s_waitcnt lgkmcnt(0)
	s_barrier
.LBB131_6:                              ; =>This Inner Loop Header: Depth=1
	s_add_i32 s63, s62, 1
	s_cmp_lt_i32 s63, s51
	s_mov_b64 s[24:25], 0
	s_cselect_b64 s[2:3], -1, 0
	s_cmp_ge_i32 s63, s51
	s_mov_b64 s[20:21], 0
	s_cbranch_scc1 .LBB131_8
; %bb.7:                                ;   in Loop: Header=BB131_6 Depth=1
	s_add_i32 s0, s57, 64
	s_ashr_i32 s1, s0, 31
	s_add_u32 s0, s56, s0
	s_addc_u32 s1, s55, s1
	s_lshl_b64 s[0:1], s[0:1], 8
	s_add_u32 s20, s6, s0
	s_addc_u32 s21, s7, s1
.LBB131_8:                              ;   in Loop: Header=BB131_6 Depth=1
	v_cndmask_b32_e64 v34, 0, 1, s[2:3]
	v_cmp_ne_u32_e64 s[0:1], 1, v34
	s_andn2_b64 vcc, exec, s[2:3]
	s_cbranch_vccnz .LBB131_10
; %bb.9:                                ;   in Loop: Header=BB131_6 Depth=1
	s_add_i32 s2, s57, 64
	s_mul_hi_i32 s3, s2, s14
	s_mul_i32 s2, s2, s14
	s_add_u32 s2, s2, s53
	s_addc_u32 s3, s3, s58
	s_lshl_b64 s[2:3], s[2:3], 8
	s_add_u32 s24, s4, s2
	s_addc_u32 s25, s5, s3
.LBB131_10:                             ;   in Loop: Header=BB131_6 Depth=1
	v_perm_b32 v35, v25, v24, s37
	v_perm_b32 v34, v23, v22, s37
	v_perm_b32 v37, v33, v32, s37
	v_perm_b32 v36, v31, v30, s37
	ds_write_b64 v101, v[34:35]
	ds_write_b64 v102, v[36:37]
	ds_write_b64 v107, v[34:35]
	ds_write_b64 v108, v[36:37]
	v_perm_b32 v35, v17, v16, s37
	v_perm_b32 v34, v15, v14, s37
	v_perm_b32 v37, v29, v28, s37
	v_perm_b32 v36, v27, v26, s37
	ds_write_b64 v103, v[34:35]
	ds_write_b64 v104, v[36:37]
	ds_write_b64 v109, v[34:35]
	ds_write_b64 v110, v[36:37]
	;; [unrolled: 8-line block ×4, first 2 shown]
	s_waitcnt lgkmcnt(0)
	s_barrier
	ds_read_b64 v[38:39], v117 offset:49152
	ds_read2_b64 v[34:37], v118 offset1:16
	ds_read_b64 v[50:51], v120 offset:6144
	ds_read_b64 v[52:53], v118 offset:6144
	s_waitcnt lgkmcnt(2)
	v_mfma_f32_16x16x16_bf16 a[0:3], v[38:39], v[34:35], 0
	ds_read_b64 v[54:55], v119 offset:49152
	ds_read2st64_b64 v[42:45], v121 offset0:4 offset1:8
	ds_read2st64_b64 v[46:49], v122 offset0:4 offset1:8
	v_mfma_f32_16x16x16_bf16 a[4:7], v[38:39], v[36:37], 0
	ds_read2_b64 v[34:37], v118 offset0:32 offset1:48
	s_add_i32 s64, s57, 63
	s_ashr_i32 s2, s64, 31
	s_waitcnt lgkmcnt(0)
	v_mfma_f32_16x16x16_bf16 a[8:11], v[38:39], v[34:35], 0
	s_mul_i32 s3, s64, s31
	s_mul_hi_u32 s27, s64, s30
	s_add_i32 s3, s27, s3
	v_mfma_f32_16x16x16_bf16 a[12:15], v[38:39], v[36:37], 0
	ds_read2st64_b64 v[34:37], v118 offset0:4 offset1:8
	ds_read2st64_b64 v[38:41], v120 offset0:4 offset1:8
	s_mul_i32 s2, s2, s30
	s_waitcnt lgkmcnt(1)
	v_mfma_f32_16x16x16_bf16 a[0:3], v[54:55], v[34:35], a[0:3]
	s_add_i32 s3, s3, s2
	s_mul_i32 s2, s64, s30
	s_lshl_b64 s[2:3], s[2:3], 2
	s_waitcnt lgkmcnt(0)
	v_mfma_f32_16x16x16_bf16 a[4:7], v[54:55], v[38:39], a[4:7]
	s_add_u32 s2, s42, s2
	s_addc_u32 s3, s43, s3
	s_and_b64 vcc, exec, s[0:1]
	v_mfma_f32_16x16x16_bf16 a[8:11], v[54:55], v[42:43], a[8:11]
	ds_read_b64 v[34:35], v123 offset:49152
	ds_read_b64 v[38:39], v124 offset:49152
	;; [unrolled: 1-line block ×3, first 2 shown]
	v_mov_b32_e32 v148, 0
	v_mov_b32_e32 v147, 0
	v_mfma_f32_16x16x16_bf16 a[12:15], v[54:55], v[46:47], a[12:15]
	v_mov_b32_e32 v146, 0
	v_mov_b32_e32 v46, 0
	;; [unrolled: 1-line block ×3, first 2 shown]
	s_waitcnt lgkmcnt(2)
	v_mfma_f32_16x16x16_bf16 a[0:3], v[34:35], v[36:37], a[0:3]
	v_mov_b32_e32 v36, 0
	v_mov_b32_e32 v37, 0
	v_mfma_f32_16x16x16_bf16 a[16:19], v[34:35], v[40:41], a[4:7]
	v_mov_b32_e32 v40, 0
	v_mov_b32_e32 v41, 0
	;; [unrolled: 3-line block ×3, first 2 shown]
	v_mfma_f32_16x16x16_bf16 a[24:27], v[34:35], v[48:49], a[12:15]
	ds_read_b64 v[34:35], v121 offset:6144
	v_mov_b32_e32 v48, 0
	v_mov_b32_e32 v49, 0
	s_waitcnt lgkmcnt(2)
	v_mfma_f32_16x16x16_bf16 a[4:7], v[38:39], v[52:53], a[0:3]
	v_mfma_f32_16x16x16_bf16 a[8:11], v[38:39], v[50:51], a[16:19]
	s_waitcnt lgkmcnt(0)
	v_mfma_f32_16x16x16_bf16 a[12:15], v[38:39], v[34:35], a[20:23]
	v_mov_b32_e32 v34, 0
	v_mov_b32_e32 v35, 0
	v_mfma_f32_16x16x16_bf16 a[0:3], v[38:39], v[42:43], a[24:27]
	v_mov_b32_e32 v38, 0
	v_mov_b32_e32 v39, 0
	;; [unrolled: 1-line block ×4, first 2 shown]
	s_cbranch_vccnz .LBB131_12
; %bb.11:                               ;   in Loop: Header=BB131_6 Depth=1
	s_and_b32 s21, s21, 0xffff
	buffer_load_dwordx4 v[46:49], v97, s[20:23], 0 offen
	buffer_load_dwordx4 v[42:45], v97, s[20:23], s59 offen
	;; [unrolled: 1-line block ×4, first 2 shown]
	v_mov_b32_e32 v147, v99
	v_mov_b32_e32 v146, v100
.LBB131_12:                             ;   in Loop: Header=BB131_6 Depth=1
	ds_read_b64 v[62:63], v117 offset:57344
	ds_read2_b64 v[50:53], v125 offset1:16
	ds_read_b64 v[66:67], v119 offset:57344
	ds_read_b64 v[68:69], v123 offset:57344
	;; [unrolled: 1-line block ×3, first 2 shown]
	v_add_u32_e32 v64, s57, v93
	s_waitcnt lgkmcnt(3)
	v_mfma_f32_16x16x16_bf16 a[4:7], v[62:63], v[50:51], a[4:7]
	v_mfma_f32_16x16x16_bf16 a[8:11], v[62:63], v[52:53], a[8:11]
	ds_read2_b64 v[50:53], v125 offset0:32 offset1:48
	ds_read2st64_b64 v[54:57], v125 offset0:4 offset1:8
	ds_read2st64_b64 v[58:61], v126 offset0:4 offset1:8
	s_waitcnt lgkmcnt(2)
	v_mfma_f32_16x16x16_bf16 a[12:15], v[62:63], v[50:51], a[12:15]
	v_ashrrev_i32_e32 v50, 31, v64
	v_mul_lo_u32 v65, v50, s30
	v_mad_u64_u32 v[50:51], s[20:21], v64, s30, 0
	v_mfma_f32_16x16x16_bf16 a[0:3], v[62:63], v[52:53], a[0:3]
	v_mul_lo_u32 v52, v64, s31
	v_add3_u32 v51, v51, v52, v65
	v_add_u32_e32 v52, 1, v64
	v_ashrrev_i32_e32 v53, 31, v52
	s_waitcnt lgkmcnt(1)
	v_mfma_f32_16x16x16_bf16 a[4:7], v[66:67], v[54:55], a[4:7]
	v_mul_lo_u32 v54, v53, s30
	v_mul_lo_u32 v55, v52, s31
	v_mad_u64_u32 v[52:53], s[20:21], v52, s30, 0
	v_add3_u32 v53, v53, v55, v54
	v_add_u32_e32 v54, 2, v64
	v_ashrrev_i32_e32 v55, 31, v54
	v_mul_lo_u32 v62, v55, s30
	v_mul_lo_u32 v63, v54, s31
	v_mad_u64_u32 v[54:55], s[20:21], v54, s30, 0
	v_add3_u32 v55, v55, v63, v62
	v_add_u32_e32 v62, 3, v64
	v_ashrrev_i32_e32 v63, 31, v62
	v_mul_lo_u32 v64, v63, s30
	v_mul_lo_u32 v65, v62, s31
	v_mad_u64_u32 v[62:63], s[20:21], v62, s30, 0
	s_ashr_i32 s21, s57, 31
	s_add_u32 s20, s56, s57
	s_addc_u32 s21, s55, s21
	v_lshl_add_u64 v[50:51], v[50:51], 2, s[42:43]
	v_add3_u32 v63, v63, v65, v64
	s_lshl_b64 s[20:21], s[20:21], 8
	v_lshl_add_u64 v[52:53], v[52:53], 2, s[42:43]
	v_lshl_add_u64 v[54:55], v[54:55], 2, s[42:43]
	;; [unrolled: 1-line block ×3, first 2 shown]
	global_load_dword v72, v[50:51], off
	global_load_dword v73, v[52:53], off
	;; [unrolled: 1-line block ×4, first 2 shown]
	v_lshl_add_u64 v[50:51], v[82:83], 0, s[20:21]
	v_lshl_add_u64 v[54:55], v[50:51], 0, v[80:81]
	global_load_ushort v76, v[54:55], off offset:256
	global_load_ushort v149, v[54:55], off
	ds_read2st64_b64 v[50:53], v127 offset0:4 offset1:8
	global_load_ushort v150, v[54:55], off offset:768
	global_load_ushort v151, v[54:55], off offset:512
	ds_read2st64_b64 v[62:65], v128 offset0:4 offset1:8
	global_load_ushort v152, v[54:55], off offset:288
	global_load_ushort v153, v[54:55], off offset:32
	;; [unrolled: 1-line block ×4, first 2 shown]
	s_waitcnt lgkmcnt(2)
	v_mfma_f32_16x16x16_bf16 a[8:11], v[66:67], v[58:59], a[8:11]
	global_load_ushort v156, v[54:55], off offset:320
	global_load_ushort v157, v[54:55], off offset:64
	;; [unrolled: 1-line block ×4, first 2 shown]
	s_and_b64 vcc, exec, s[0:1]
	s_waitcnt lgkmcnt(1)
	v_mfma_f32_16x16x16_bf16 a[12:15], v[66:67], v[50:51], a[12:15]
	ds_read_b64 v[50:51], v125 offset:6144
	s_waitcnt lgkmcnt(1)
	v_mfma_f32_16x16x16_bf16 a[0:3], v[66:67], v[62:63], a[0:3]
	v_lshl_add_u64 v[62:63], v[84:85], 0, s[20:21]
	v_lshl_add_u64 v[62:63], v[62:63], 0, v[80:81]
	v_mfma_f32_16x16x16_bf16 a[4:7], v[68:69], v[56:57], a[4:7]
	v_mfma_f32_16x16x16_bf16 a[8:11], v[68:69], v[60:61], a[8:11]
	;; [unrolled: 1-line block ×4, first 2 shown]
	global_load_ushort v68, v[54:55], off offset:352
	global_load_ushort v69, v[54:55], off offset:96
	ds_read_b64 v[52:53], v126 offset:6144
	ds_read_b64 v[56:57], v127 offset:6144
	;; [unrolled: 1-line block ×3, first 2 shown]
	s_load_dword s2, s[2:3], 0x0
	global_load_ushort v160, v[54:55], off offset:864
	global_load_ushort v161, v[54:55], off offset:608
	s_waitcnt lgkmcnt(0)
	v_mfma_f32_16x16x16_bf16 a[4:7], v[70:71], v[50:51], a[4:7]
	s_waitcnt vmcnt(17)
	v_sub_f32_e32 v60, s2, v74
	v_mfma_f32_16x16x16_bf16 a[0:3], v[70:71], v[58:59], a[0:3]
	v_sub_f32_e32 v58, s2, v72
	v_sub_f32_e32 v59, s2, v73
	s_waitcnt vmcnt(16)
	v_sub_f32_e32 v61, s2, v75
	v_mfma_f32_16x16x16_bf16 a[8:11], v[70:71], v[52:53], a[8:11]
	v_exp_f32_e32 v58, v58
	v_exp_f32_e32 v59, v59
	;; [unrolled: 1-line block ×4, first 2 shown]
	v_accvgpr_read_b32 v67, a5
	s_waitcnt vmcnt(15)
	v_lshlrev_b32_e32 v65, 16, v76
	s_waitcnt vmcnt(14)
	v_lshlrev_b32_e32 v64, 16, v149
	v_accvgpr_read_b32 v66, a4
	v_accvgpr_read_b32 v51, a7
	;; [unrolled: 1-line block ×3, first 2 shown]
	v_pk_add_f32 v[64:65], v[64:65], v[66:67] neg_lo:[0,1] neg_hi:[0,1]
	s_waitcnt vmcnt(13)
	v_lshlrev_b32_e32 v67, 16, v150
	s_waitcnt vmcnt(12)
	v_lshlrev_b32_e32 v66, 16, v151
	v_pk_add_f32 v[50:51], v[66:67], v[50:51] neg_lo:[0,1] neg_hi:[0,1]
	global_store_short_d16_hi v[62:63], v64, off
	global_store_short_d16_hi v[62:63], v65, off offset:256
	global_store_short_d16_hi v[62:63], v50, off offset:512
	;; [unrolled: 1-line block ×3, first 2 shown]
	v_pk_mul_f32 v[64:65], v[58:59], v[64:65]
	v_pk_mul_f32 v[50:51], v[60:61], v[50:51]
	v_accvgpr_read_b32 v67, a9
	v_perm_b32 v64, v65, v64, s37
	v_perm_b32 v65, v51, v50, s37
	s_waitcnt vmcnt(15)
	v_lshlrev_b32_e32 v51, 16, v152
	s_waitcnt vmcnt(14)
	v_lshlrev_b32_e32 v50, 16, v153
	v_accvgpr_read_b32 v66, a8
	v_accvgpr_read_b32 v53, a11
	v_mfma_f32_16x16x16_bf16 a[12:15], v[70:71], v[56:57], a[12:15]
	v_accvgpr_read_b32 v52, a10
	v_pk_add_f32 v[50:51], v[50:51], v[66:67] neg_lo:[0,1] neg_hi:[0,1]
	s_waitcnt vmcnt(13)
	v_lshlrev_b32_e32 v67, 16, v154
	s_waitcnt vmcnt(12)
	v_lshlrev_b32_e32 v66, 16, v155
	v_pk_add_f32 v[52:53], v[66:67], v[52:53] neg_lo:[0,1] neg_hi:[0,1]
	global_store_short_d16_hi v[62:63], v50, off offset:32
	global_store_short_d16_hi v[62:63], v51, off offset:288
	;; [unrolled: 1-line block ×4, first 2 shown]
	v_pk_mul_f32 v[50:51], v[58:59], v[50:51]
	v_pk_mul_f32 v[52:53], v[60:61], v[52:53]
	v_accvgpr_read_b32 v55, a15
	v_perm_b32 v53, v53, v52, s37
	v_perm_b32 v52, v51, v50, s37
	ds_write2_b64 v102, v[64:65], v[52:53] offset1:16
	v_accvgpr_read_b32 v53, a13
	s_waitcnt vmcnt(15)
	v_lshlrev_b32_e32 v51, 16, v156
	s_waitcnt vmcnt(14)
	v_lshlrev_b32_e32 v50, 16, v157
	v_accvgpr_read_b32 v52, a12
	v_accvgpr_read_b32 v54, a14
	v_pk_add_f32 v[50:51], v[50:51], v[52:53] neg_lo:[0,1] neg_hi:[0,1]
	s_waitcnt vmcnt(13)
	v_lshlrev_b32_e32 v53, 16, v158
	s_waitcnt vmcnt(12)
	v_lshlrev_b32_e32 v52, 16, v159
	v_pk_add_f32 v[52:53], v[52:53], v[54:55] neg_lo:[0,1] neg_hi:[0,1]
	global_store_short_d16_hi v[62:63], v50, off offset:64
	global_store_short_d16_hi v[62:63], v51, off offset:320
	;; [unrolled: 1-line block ×4, first 2 shown]
	v_pk_mul_f32 v[50:51], v[58:59], v[50:51]
	v_pk_mul_f32 v[52:53], v[60:61], v[52:53]
	v_accvgpr_read_b32 v55, a1
	v_perm_b32 v50, v51, v50, s37
	v_perm_b32 v51, v53, v52, s37
	s_waitcnt vmcnt(15)
	v_lshlrev_b32_e32 v53, 16, v68
	s_waitcnt vmcnt(14)
	v_lshlrev_b32_e32 v52, 16, v69
	v_accvgpr_read_b32 v54, a0
	v_accvgpr_read_b32 v57, a3
	;; [unrolled: 1-line block ×3, first 2 shown]
	v_pk_add_f32 v[52:53], v[52:53], v[54:55] neg_lo:[0,1] neg_hi:[0,1]
	s_waitcnt vmcnt(13)
	v_lshlrev_b32_e32 v55, 16, v160
	s_waitcnt vmcnt(12)
	v_lshlrev_b32_e32 v54, 16, v161
	v_pk_add_f32 v[54:55], v[54:55], v[56:57] neg_lo:[0,1] neg_hi:[0,1]
	global_store_short_d16_hi v[62:63], v52, off offset:96
	global_store_short_d16_hi v[62:63], v53, off offset:352
	;; [unrolled: 1-line block ×4, first 2 shown]
	v_pk_mul_f32 v[52:53], v[58:59], v[52:53]
	v_pk_mul_f32 v[54:55], v[60:61], v[54:55]
	v_mov_b32_e32 v149, 0
	v_perm_b32 v55, v55, v54, s37
	v_perm_b32 v54, v53, v52, s37
	ds_write2_b64 v102, v[50:51], v[54:55] offset0:32 offset1:48
	v_mov_b32_e32 v50, 0
	v_mov_b32_e32 v51, 0
	;; [unrolled: 1-line block ×16, first 2 shown]
	s_cbranch_vccnz .LBB131_14
; %bb.13:                               ;   in Loop: Header=BB131_6 Depth=1
	s_and_b32 s25, s25, 0xffff
	s_mov_b32 s27, s23
	buffer_load_dwordx4 v[62:65], v135, s[24:27], 0 offen
	buffer_load_dwordx4 v[54:57], v135, s[24:27], s59 offen
	;; [unrolled: 1-line block ×4, first 2 shown]
	v_mov_b32_e32 v148, v96
	v_mov_b32_e32 v149, v95
.LBB131_14:                             ;   in Loop: Header=BB131_6 Depth=1
	s_waitcnt lgkmcnt(0)
	s_barrier
	ds_read_b64 v[74:75], v138
	ds_read2_b64 v[66:69], v131 offset1:16
	ds_read_b64 v[166:167], v139
	ds_read_b64 v[168:169], v140
	;; [unrolled: 1-line block ×3, first 2 shown]
	ds_read2_b64 v[70:73], v131 offset0:32 offset1:48
	ds_read2st64_b64 v[150:153], v131 offset0:4 offset1:8
	ds_read2st64_b64 v[154:157], v132 offset0:4 offset1:8
	;; [unrolled: 1-line block ×4, first 2 shown]
	s_waitcnt lgkmcnt(8)
	v_mfma_f32_16x16x16_bf16 a[0:3], v[74:75], v[66:67], 0
	s_add_i32 s3, s54, s62
	s_mul_hi_i32 s21, s3, s13
	s_mul_i32 s3, s3, s13
	v_mfma_f32_16x16x16_bf16 a[4:7], v[74:75], v[68:69], 0
	s_add_u32 s20, s3, s49
	s_addc_u32 s21, s21, s50
	s_lshl_b64 s[20:21], s[20:21], 15
	s_waitcnt lgkmcnt(4)
	v_mfma_f32_16x16x16_bf16 a[8:11], v[74:75], v[70:71], 0
	s_mul_i32 s24, s64, s13
	s_mul_hi_i32 s3, s64, s13
	s_add_u32 s24, s24, s49
	v_mfma_f32_16x16x16_bf16 a[12:15], v[74:75], v[72:73], 0
	ds_read_b64 v[74:75], v131 offset:6144
	ds_read_b64 v[178:179], v132 offset:6144
	;; [unrolled: 1-line block ×4, first 2 shown]
	s_addc_u32 s25, s3, s50
	s_waitcnt lgkmcnt(7)
	v_mfma_f32_16x16x16_bf16 a[0:3], v[166:167], v[150:151], a[0:3]
	s_lshl_b64 s[24:25], s[24:25], 9
	s_add_u32 s24, s16, s24
	s_addc_u32 s25, s17, s25
	s_waitcnt lgkmcnt(6)
	v_mfma_f32_16x16x16_bf16 a[4:7], v[166:167], v[154:155], a[4:7]
	v_lshl_add_u64 v[188:189], v[86:87], 0, s[20:21]
	s_waitcnt lgkmcnt(5)
	v_mfma_f32_16x16x16_bf16 a[8:11], v[166:167], v[158:159], a[8:11]
	s_waitcnt lgkmcnt(4)
	v_mfma_f32_16x16x16_bf16 a[12:15], v[166:167], v[162:163], a[12:15]
	ds_read_b64 v[166:167], v143
	ds_read_b64 v[176:177], v144
	;; [unrolled: 1-line block ×3, first 2 shown]
	s_waitcnt lgkmcnt(2)
	v_mfma_f32_16x16x16_bf16 a[16:19], v[166:167], v[66:67], 0
	v_mfma_f32_16x16x16_bf16 a[20:23], v[166:167], v[68:69], 0
	global_load_dwordx4 v[66:69], v142, s[24:25]
	v_mfma_f32_16x16x16_bf16 a[24:27], v[166:167], v[70:71], 0
	v_mfma_f32_16x16x16_bf16 a[28:31], v[166:167], v[72:73], 0
	global_load_dwordx4 v[70:73], v79, s[24:25]
	v_mfma_f32_16x16x16_bf16 a[0:3], v[168:169], v[152:153], a[0:3]
	v_mfma_f32_16x16x16_bf16 a[4:7], v[168:169], v[156:157], a[4:7]
	;; [unrolled: 1-line block ×8, first 2 shown]
	ds_read2st64_b64 v[166:169], v129 offset1:8
	ds_read2st64_b64 v[170:173], v130 offset1:8
	ds_read_b64 v[186:187], v137 offset:40960
	s_waitcnt lgkmcnt(2)
	v_mov_b32_e32 v174, v166
	v_mfma_f32_16x16x16_bf16 a[16:19], v[176:177], v[150:151], a[16:19]
	v_mov_b32_e32 v175, v167
	v_mfma_f32_16x16x16_bf16 a[20:23], v[176:177], v[154:155], a[20:23]
	v_mfma_f32_16x16x16_bf16 a[24:27], v[176:177], v[158:159], a[24:27]
	;; [unrolled: 1-line block ×3, first 2 shown]
	v_add_co_u32_e32 v162, vcc, s39, v188
	s_waitcnt lgkmcnt(1)
	v_mov_b32_e32 v176, v170
	s_waitcnt lgkmcnt(0)
	v_mfma_f32_16x16x16_bf16 a[16:19], v[186:187], v[152:153], a[16:19]
	ds_read2st64_b64 v[150:153], v129 offset0:16 offset1:24
	v_addc_co_u32_e32 v163, vcc, 0, v189, vcc
	v_mfma_f32_16x16x16_bf16 a[20:23], v[186:187], v[156:157], a[20:23]
	ds_read2st64_b64 v[154:157], v130 offset0:16 offset1:24
	v_mov_b32_e32 v177, v171
	v_mov_b32_e32 v170, v168
	v_mfma_f32_16x16x16_bf16 a[32:35], v[186:187], v[160:161], a[24:27]
	v_mov_b32_e32 v171, v169
	s_waitcnt lgkmcnt(0)
	v_mov_b32_e32 v160, v154
	v_mov_b32_e32 v161, v155
	v_mfma_f32_16x16x16_bf16 a[36:39], v[186:187], v[164:165], a[28:31]
	v_mov_b32_e32 v154, v152
	v_mov_b32_e32 v155, v153
	;; [unrolled: 1-line block ×3, first 2 shown]
	v_mfma_f32_16x16x16_bf16 a[24:27], v[184:185], v[74:75], a[16:19]
	v_add_co_u32_e32 v74, vcc, s41, v188
	v_mov_b32_e32 v159, v151
	v_mfma_f32_16x16x16_bf16 a[28:31], v[184:185], v[178:179], a[20:23]
	v_addc_co_u32_e32 v75, vcc, 0, v189, vcc
	global_store_dwordx4 v[74:75], v[154:157], off
	v_mfma_f32_16x16x16_bf16 a[16:19], v[184:185], v[180:181], a[32:35]
	s_waitcnt vmcnt(2)
	v_mov_b32_e32 v76, v69
	v_mov_b32_e32 v75, v68
	;; [unrolled: 1-line block ×3, first 2 shown]
	v_mfma_f32_16x16x16_bf16 a[20:23], v[184:185], v[182:183], a[36:39]
	s_and_b64 vcc, exec, s[0:1]
	global_store_dwordx4 v[188:189], v[174:177], off
	global_store_dwordx4 v[162:163], v[170:173], off offset:-4096
	global_store_dwordx4 v[162:163], v[158:161], off
	s_cbranch_vccnz .LBB131_16
; %bb.15:                               ;   in Loop: Header=BB131_6 Depth=1
	v_lshrrev_b32_e32 v67, 3, v148
	v_and_b32_e32 v67, 6, v67
	v_xor_b32_e32 v68, v67, v149
	v_lshlrev_b32_e32 v68, 2, v68
	v_and_b32_e32 v69, 8, v148
	v_xor_b32_e32 v148, 0x440, v68
	v_cmp_eq_u32_e32 vcc, 0, v69
	v_perm_b32 v69, v54, v50, s60
	s_nop 0
	v_cndmask_b32_e32 v68, v148, v68, vcc
	v_lshl_or_b32 v67, v67, 10, v68
	v_perm_b32 v68, v62, v58, s60
	s_barrier
	ds_write2st64_b32 v67, v68, v69 offset0:128 offset1:160
	v_xor_b32_e32 v68, 8, v67
	v_perm_b32 v58, v62, v58, s61
	v_perm_b32 v50, v54, v50, s61
	v_add_u32_e32 v54, 0x80, v68
	ds_write2st64_b32 v54, v58, v50 offset0:128 offset1:160
	v_xor_b32_e32 v50, 16, v67
	v_perm_b32 v54, v63, v59, s60
	v_perm_b32 v58, v55, v51, s60
	ds_write2st64_b32 v50, v54, v58 offset0:129 offset1:161
	v_xor_b32_e32 v50, 24, v67
	v_perm_b32 v54, v63, v59, s61
	v_perm_b32 v51, v55, v51, s61
	v_add_u32_e32 v50, 0x80, v50
	ds_write2st64_b32 v50, v54, v51 offset0:129 offset1:161
	v_xor_b32_e32 v50, 32, v67
	v_perm_b32 v51, v64, v60, s60
	v_perm_b32 v54, v56, v52, s60
	;; [unrolled: 9-line block ×3, first 2 shown]
	ds_write2st64_b32 v50, v51, v52 offset0:131 offset1:163
	v_xor_b32_e32 v50, 56, v67
	v_perm_b32 v51, v65, v61, s61
	v_perm_b32 v52, v57, v53, s61
	v_add_u32_e32 v50, 0x80, v50
	ds_write2st64_b32 v50, v51, v52 offset0:131 offset1:163
	ds_write_b64 v147, v[46:47] offset:49152
	v_xor_b32_e32 v46, 8, v147
	ds_write_b64 v46, v[48:49] offset:49152
	ds_write_b64 v147, v[42:43] offset:57344
	;; [unrolled: 1-line block ×4, first 2 shown]
	v_xor_b32_e32 v38, 8, v146
	ds_write_b64 v38, v[40:41] offset:49152
	ds_write_b64 v146, v[34:35] offset:57344
	ds_write_b64 v38, v[36:37] offset:57344
.LBB131_16:                             ;   in Loop: Header=BB131_6 Depth=1
	v_exp_f32_e32 v68, s2
	s_waitcnt vmcnt(4)
	v_exp_f32_e32 v70, v70
	v_exp_f32_e32 v71, v71
	;; [unrolled: 1-line block ×4, first 2 shown]
	v_accvgpr_read_b32 v37, a3
	v_accvgpr_read_b32 v36, a2
	v_accvgpr_read_b32 v35, a1
	v_accvgpr_read_b32 v34, a0
	v_pk_mul_f32 v[70:71], v[68:69], v[70:71] op_sel_hi:[0,1]
	v_pk_mul_f32 v[72:73], v[68:69], v[72:73] op_sel_hi:[0,1]
	v_pk_fma_f32 v[22:23], v[22:23], v[70:71], v[34:35]
	v_pk_fma_f32 v[24:25], v[24:25], v[72:73], v[36:37]
	v_exp_f32_e32 v34, v66
	v_exp_f32_e32 v35, v74
	v_exp_f32_e32 v36, v75
	v_exp_f32_e32 v37, v76
	v_accvgpr_read_b32 v41, a7
	v_accvgpr_read_b32 v45, a11
	;; [unrolled: 1-line block ×28, first 2 shown]
	v_pk_mul_f32 v[34:35], v[68:69], v[34:35] op_sel_hi:[0,1]
	v_pk_mul_f32 v[36:37], v[68:69], v[36:37] op_sel_hi:[0,1]
	s_add_i32 s57, s57, 64
	v_pk_fma_f32 v[14:15], v[70:71], v[14:15], v[38:39]
	v_pk_fma_f32 v[16:17], v[72:73], v[16:17], v[40:41]
	v_pk_fma_f32 v[6:7], v[70:71], v[6:7], v[42:43]
	v_pk_fma_f32 v[8:9], v[72:73], v[8:9], v[44:45]
	v_pk_fma_f32 v[2:3], v[70:71], v[2:3], v[46:47]
	v_pk_fma_f32 v[4:5], v[72:73], v[4:5], v[48:49]
	v_pk_fma_f32 v[30:31], v[30:31], v[34:35], v[50:51]
	v_pk_fma_f32 v[32:33], v[32:33], v[36:37], v[52:53]
	v_pk_fma_f32 v[26:27], v[34:35], v[26:27], v[54:55]
	v_pk_fma_f32 v[28:29], v[36:37], v[28:29], v[56:57]
	v_pk_fma_f32 v[18:19], v[34:35], v[18:19], v[58:59]
	v_pk_fma_f32 v[20:21], v[36:37], v[20:21], v[60:61]
	v_pk_fma_f32 v[10:11], v[34:35], v[10:11], v[62:63]
	s_cmp_eq_u32 s51, s63
	v_pk_fma_f32 v[12:13], v[36:37], v[12:13], v[64:65]
	s_cbranch_scc1 .LBB131_18
; %bb.17:                               ;   in Loop: Header=BB131_6 Depth=1
	s_mov_b32 s62, s63
	s_branch .LBB131_6
.LBB131_18:
	s_lshl_b32 s26, s51, 6
	s_sub_i32 s27, s52, s26
	s_cmp_gt_i32 s27, 0
	s_cbranch_scc0 .LBB131_99
; %bb.19:
	s_add_i32 s26, s26, s34
	s_ashr_i32 s2, s26, 31
	s_cmpk_lg_i32 s15, 0x80
	s_cselect_b64 s[22:23], -1, 0
	s_and_b64 vcc, exec, s[22:23]
	s_cbranch_vccz .LBB131_21
; %bb.20:
	s_mul_i32 s1, s26, s14
	s_ashr_i32 s3, s53, 31
	s_mul_hi_i32 s0, s26, s14
	s_add_u32 s24, s1, s53
	s_addc_u32 s25, s0, s3
	s_cbranch_execz .LBB131_22
	s_branch .LBB131_23
.LBB131_21:
                                        ; implicit-def: $sgpr24_sgpr25
.LBB131_22:
	s_mul_i32 s1, s53, s12
	s_mul_hi_i32 s0, s53, s12
	s_add_u32 s24, s1, s26
	s_addc_u32 s25, s0, s2
.LBB131_23:
	s_add_i32 s3, s51, s54
	s_add_u32 s0, s56, s26
	s_addc_u32 s1, s55, s2
	v_lshlrev_b32_e32 v35, 6, v93
	v_lshlrev_b32_e32 v34, 2, v90
	s_mov_b32 s2, 0x7060302
	s_waitcnt vmcnt(7)
	v_perm_b32 v25, v25, v24, s2
	v_perm_b32 v24, v23, v22, s2
	s_waitcnt vmcnt(6)
	v_perm_b32 v22, v31, v30, s2
	v_or_b32_e32 v30, v35, v34
	v_xor_b32_e32 v36, v93, v34
	v_perm_b32 v23, v33, v32, s2
	v_lshlrev_b32_e32 v30, 1, v30
	ds_write2st64_b64 v30, v[24:25], v[22:23] offset0:32 offset1:48
	v_lshlrev_b32_e32 v30, 1, v36
	v_lshlrev_b32_e32 v31, 8, v90
	v_xor_b32_e32 v37, v94, v34
	v_or_b32_e32 v32, v30, v31
	ds_write_b64 v32, v[24:25]
	v_lshlrev_b32_e32 v24, 1, v37
	v_or_b32_e32 v25, v24, v31
	ds_write_b64 v25, v[22:23]
	v_or_b32_e32 v22, 16, v90
	v_lshlrev_b32_e32 v23, 2, v22
	v_or_b32_e32 v25, v35, v23
	s_waitcnt vmcnt(5)
	v_perm_b32 v17, v17, v16, s2
	v_perm_b32 v16, v15, v14, s2
	s_waitcnt vmcnt(4)
	v_perm_b32 v15, v29, v28, s2
	v_perm_b32 v14, v27, v26, s2
	v_lshlrev_b32_e32 v25, 1, v25
	v_lshlrev_b32_e32 v22, 8, v22
	ds_write2st64_b64 v25, v[16:17], v[14:15] offset0:32 offset1:48
	v_or_b32_e32 v25, v30, v22
	ds_write_b64 v25, v[16:17]
	v_or_b32_e32 v16, v24, v22
	ds_write_b64 v16, v[14:15]
	v_or_b32_e32 v14, 32, v90
	v_lshlrev_b32_e32 v22, 2, v14
	v_or_b32_e32 v15, v35, v22
	s_waitcnt vmcnt(3)
	v_perm_b32 v9, v9, v8, s2
	v_perm_b32 v8, v7, v6, s2
	s_waitcnt vmcnt(2)
	v_perm_b32 v7, v21, v20, s2
	v_perm_b32 v6, v19, v18, s2
	v_lshlrev_b32_e32 v15, 1, v15
	v_lshlrev_b32_e32 v14, 8, v14
	s_lshl_b64 s[20:21], s[0:1], 8
	ds_write2st64_b64 v15, v[8:9], v[6:7] offset0:32 offset1:48
	v_or_b32_e32 v15, v30, v14
	s_add_u32 s0, s6, s20
	ds_write_b64 v15, v[8:9]
	v_or_b32_e32 v8, v24, v14
	s_addc_u32 s1, s7, s21
	ds_write_b64 v8, v[6:7]
	v_or_b32_e32 v6, 48, v90
	s_mul_hi_i32 s6, s3, s13
	s_mul_i32 s3, s3, s13
	s_waitcnt vmcnt(1)
	v_perm_b32 v5, v5, v4, s2
	v_perm_b32 v4, v3, v2, s2
	s_waitcnt vmcnt(0)
	v_perm_b32 v3, v13, v12, s2
	v_perm_b32 v2, v11, v10, s2
	v_lshlrev_b32_e32 v19, 2, v6
	s_add_u32 s2, s3, s49
	v_or_b32_e32 v7, v35, v19
	s_addc_u32 s3, s6, s50
	v_lshlrev_b32_e32 v7, 1, v7
	v_lshlrev_b32_e32 v6, 8, v6
	s_ashr_i32 s41, s40, 31
	s_lshl_b64 s[2:3], s[2:3], 15
	ds_write2st64_b64 v7, v[4:5], v[2:3] offset0:32 offset1:48
	v_or_b32_e32 v7, v30, v6
	s_add_u32 s6, s18, s2
	ds_write_b64 v7, v[4:5]
	v_or_b32_e32 v4, v24, v6
	s_addc_u32 s7, s19, s3
	s_lshl_b64 s[2:3], s[40:41], 8
	ds_write_b64 v4, v[2:3]
	s_add_u32 s2, s6, s2
	v_lshlrev_b32_e32 v3, 1, v90
	v_lshrrev_b32_e32 v2, 4, v0
	s_addc_u32 s3, s7, s3
	v_or_b32_e32 v4, 1, v3
	v_lshlrev_b32_e32 v10, 4, v90
	v_mov_b32_e32 v11, 0
	v_xor_b32_e32 v3, v2, v3
	v_xor_b32_e32 v6, v4, v2
	v_lshl_add_u64 v[12:13], s[2:3], 0, v[10:11]
	v_lshlrev_b32_e32 v10, 8, v2
	v_lshl_or_b32 v16, v3, 3, v10
	v_lshl_or_b32 v17, v6, 3, v10
	s_waitcnt lgkmcnt(0)
	s_barrier
	ds_read2st64_b64 v[2:5], v16 offset1:8
	ds_read2st64_b64 v[6:9], v17 offset1:8
	v_lshl_add_u64 v[14:15], v[12:13], 0, v[10:11]
	s_movk_i32 s2, 0x2000
	s_cmp_lg_u32 s27, 64
	s_waitcnt lgkmcnt(1)
	v_mov_b32_e32 v10, v2
	v_mov_b32_e32 v11, v3
	s_waitcnt lgkmcnt(0)
	v_mov_b32_e32 v12, v6
	v_mov_b32_e32 v13, v7
	global_store_dwordx4 v[14:15], v[10:13], off
	v_mov_b32_e32 v6, v4
	v_mov_b32_e32 v7, v5
	ds_read2st64_b64 v[2:5], v16 offset0:16 offset1:24
	ds_read2st64_b64 v[10:13], v17 offset0:16 offset1:24
	v_add_co_u32_e32 v16, vcc, s2, v14
	s_cselect_b64 s[6:7], -1, 0
	s_nop 0
	v_addc_co_u32_e32 v17, vcc, 0, v15, vcc
	global_store_dwordx4 v[16:17], v[6:9], off offset:-4096
	v_lshl_or_b32 v24, v88, 3, v92
	s_mov_b32 s16, 0
	s_waitcnt lgkmcnt(1)
	v_mov_b32_e32 v6, v2
	v_add_co_u32_e32 v2, vcc, 0x3000, v14
	v_mov_b32_e32 v7, v3
	s_nop 0
	v_addc_co_u32_e32 v3, vcc, 0, v15, vcc
	s_waitcnt lgkmcnt(0)
	v_mov_b32_e32 v8, v10
	v_mov_b32_e32 v9, v11
	v_mov_b32_e32 v10, v4
	v_mov_b32_e32 v11, v5
	v_or_b32_e32 v20, 32, v24
	v_and_b32_e32 v18, 56, v91
	s_and_b64 vcc, exec, s[6:7]
	global_store_dwordx4 v[16:17], v[6:9], off
	global_store_dwordx4 v[2:3], v[10:13], off
	s_cbranch_vccz .LBB131_29
; %bb.24:
	s_mov_b32 s17, s16
	s_mov_b32 s18, s16
	;; [unrolled: 1-line block ×3, first 2 shown]
	v_mov_b64_e32 v[6:7], s[16:17]
	v_mov_b64_e32 v[8:9], s[18:19]
	;; [unrolled: 1-line block ×3, first 2 shown]
	v_cmp_gt_i32_e32 vcc, s27, v24
	v_mov_b64_e32 v[4:5], v[8:9]
	s_and_saveexec_b64 s[2:3], vcc
	s_cbranch_execz .LBB131_26
; %bb.25:
	v_lshlrev_b32_e32 v2, 8, v24
	v_mov_b32_e32 v3, 0
	v_lshl_add_u64 v[4:5], s[0:1], 0, v[2:3]
	v_lshlrev_b32_e32 v2, 1, v18
	v_lshl_add_u64 v[10:11], v[4:5], 0, v[2:3]
	global_load_dwordx4 v[6:9], v[10:11], off
	global_load_dwordx4 v[2:5], v[10:11], off offset:128
.LBB131_26:
	s_or_b64 exec, exec, s[2:3]
	s_mov_b32 s17, s16
	s_mov_b32 s18, s16
	;; [unrolled: 1-line block ×3, first 2 shown]
	v_mov_b64_e32 v[14:15], s[16:17]
	v_mov_b64_e32 v[16:17], s[18:19]
	;; [unrolled: 1-line block ×3, first 2 shown]
	v_cmp_gt_i32_e32 vcc, s27, v20
	v_lshlrev_b32_e32 v21, 7, v20
	v_mov_b64_e32 v[12:13], v[16:17]
	s_and_saveexec_b64 s[2:3], vcc
	s_cbranch_execz .LBB131_28
; %bb.27:
	v_lshlrev_b32_e32 v10, 1, v21
	v_mov_b32_e32 v11, 0
	v_lshl_add_u64 v[12:13], s[0:1], 0, v[10:11]
	v_lshlrev_b32_e32 v10, 1, v18
	v_lshl_add_u64 v[26:27], v[12:13], 0, v[10:11]
	global_load_dwordx4 v[14:17], v[26:27], off
	global_load_dwordx4 v[10:13], v[26:27], off offset:128
.LBB131_28:
	s_or_b64 exec, exec, s[2:3]
	v_lshrrev_b32_e32 v25, 3, v18
	v_lshlrev_b32_e32 v26, 3, v24
	v_or_b32_e32 v25, v26, v25
	v_lshlrev_b32_e32 v25, 4, v25
	v_and_b32_e32 v26, 0x78, v26
	v_xor_b32_e32 v25, v25, v26
	s_branch .LBB131_31
.LBB131_29:
                                        ; implicit-def: $vgpr25
                                        ; implicit-def: $vgpr21
                                        ; implicit-def: $vgpr6_vgpr7_vgpr8_vgpr9
                                        ; implicit-def: $vgpr2_vgpr3_vgpr4_vgpr5
                                        ; implicit-def: $vgpr14_vgpr15_vgpr16_vgpr17
                                        ; implicit-def: $vgpr10_vgpr11_vgpr12_vgpr13
	s_cbranch_execz .LBB131_31
; %bb.30:
	s_waitcnt vmcnt(0)
	v_lshlrev_b32_e32 v2, 1, v18
	v_lshl_or_b32 v21, v24, 8, v2
	s_and_b32 s1, s1, 0xffff
	s_mov_b32 s3, 0x20000
	s_movk_i32 s2, 0x4000
	v_lshl_or_b32 v25, v20, 8, v2
	s_movk_i32 s12, 0x80
	buffer_load_dwordx4 v[6:9], v21, s[0:3], 0 offen
	buffer_load_dwordx4 v[2:5], v21, s[0:3], s12 offen
	buffer_load_dwordx4 v[14:17], v25, s[0:3], 0 offen
	buffer_load_dwordx4 v[10:13], v25, s[0:3], s12 offen
	v_lshrrev_b32_e32 v21, 3, v18
	v_lshlrev_b32_e32 v25, 3, v24
	v_or_b32_e32 v21, v25, v21
	v_lshlrev_b32_e32 v21, 4, v21
	v_and_b32_e32 v25, 0x78, v25
	v_xor_b32_e32 v25, v21, v25
	v_lshlrev_b32_e32 v21, 7, v20
.LBB131_31:
	s_movk_i32 s0, 0x1000
	v_and_or_b32 v20, v21, s0, v25
	s_waitcnt vmcnt(1)
	ds_write_b64 v25, v[6:7] offset:49152
	v_xor_b32_e32 v6, 8, v25
	ds_write_b64 v6, v[8:9] offset:49152
	s_waitcnt vmcnt(0)
	ds_write_b64 v25, v[2:3] offset:57344
	ds_write_b64 v6, v[4:5] offset:57344
	;; [unrolled: 1-line block ×3, first 2 shown]
	v_xor_b32_e32 v2, 8, v20
	ds_write_b64 v2, v[16:17] offset:49152
	ds_write_b64 v20, v[10:11] offset:57344
	;; [unrolled: 1-line block ×3, first 2 shown]
	v_or_b32_e32 v2, v1, v90
	v_lshlrev_b32_e32 v3, 11, v88
	v_lshlrev_b32_e32 v2, 3, v2
	v_and_b32_e32 v6, 0x1000, v3
	v_lshrrev_b32_e32 v3, 5, v77
	s_movk_i32 s0, 0xf8
	v_and_or_b32 v3, v2, s0, v3
	v_lshlrev_b32_e32 v7, 4, v3
	v_and_b32_e32 v8, 0x78, v2
	v_or_b32_e32 v10, 32, v7
	v_lshrrev_b32_e32 v3, 1, v77
	v_xor_b32_e32 v10, v10, v8
	v_xor_b32_e32 v2, v7, v8
	v_and_b32_e32 v9, 8, v3
	v_or_b32_e32 v10, v10, v6
	v_or_b32_e32 v2, v2, v6
	v_xor_b32_e32 v27, v10, v9
	v_or_b32_e32 v10, 64, v7
	v_xor_b32_e32 v26, v2, v9
	v_xor_b32_e32 v10, v10, v8
	s_waitcnt lgkmcnt(0)
	s_barrier
	v_or_b32_e32 v13, v10, v6
	ds_read_b64 v[10:11], v26 offset:49152
	v_lshl_or_b32 v14, v89, 8, v34
	v_lshlrev_b32_e32 v25, 1, v14
	v_add_u32_e32 v12, 0x4000, v25
	ds_read2_b64 v[2:5], v12 offset1:16
	v_or_b32_e32 v7, 0x60, v7
	v_xor_b32_e32 v7, v7, v8
	v_or_b32_e32 v6, v7, v6
	v_xor_b32_e32 v28, v13, v9
	v_xor_b32_e32 v29, v6, v9
	ds_read_b64 v[20:21], v27 offset:49152
	ds_read_b64 v[36:37], v28 offset:49152
	;; [unrolled: 1-line block ×3, first 2 shown]
	s_waitcnt lgkmcnt(3)
	v_mfma_f32_16x16x16_bf16 a[0:3], v[10:11], v[2:3], 0
	ds_read2st64_b64 v[6:9], v25 offset0:36 offset1:40
	s_lshl_b64 s[0:1], s[24:25], 8
	s_add_u32 s4, s4, s0
	v_mfma_f32_16x16x16_bf16 a[4:7], v[10:11], v[4:5], 0
	ds_read2_b64 v[2:5], v12 offset0:32 offset1:48
	s_addc_u32 s5, s5, s1
	s_add_i32 s1, s45, s33
	s_waitcnt lgkmcnt(0)
	v_mfma_f32_16x16x16_bf16 a[8:11], v[10:11], v[2:3], 0
	v_or_b32_e32 v2, 64, v14
	v_lshlrev_b32_e32 v30, 1, v2
	s_add_i32 s0, s35, -1
	v_mfma_f32_16x16x16_bf16 a[12:15], v[10:11], v[4:5], 0
	ds_read2st64_b64 v[2:5], v30 offset0:36 offset1:40
	s_add_i32 s39, s1, s44
	s_add_i32 s1, s47, s46
	v_mfma_f32_16x16x16_bf16 a[0:3], v[20:21], v[6:7], a[0:3]
	v_or_b32_e32 v6, 0x80, v14
	v_lshlrev_b32_e32 v31, 1, v6
	ds_read2st64_b64 v[10:13], v31 offset0:36 offset1:40
	s_waitcnt lgkmcnt(1)
	v_mfma_f32_16x16x16_bf16 a[4:7], v[20:21], v[2:3], a[4:7]
	v_or_b32_e32 v2, 0xc0, v14
	v_lshlrev_b32_e32 v32, 1, v2
	ds_read2st64_b64 v[14:17], v32 offset0:36 offset1:40
	s_add_i32 s37, s1, s48
	s_ashr_i32 s1, s0, 31
	s_mul_i32 s2, s0, s31
	s_mul_hi_u32 s3, s0, s30
	s_add_i32 s2, s3, s2
	s_mul_i32 s1, s1, s30
	s_waitcnt lgkmcnt(1)
	v_mfma_f32_16x16x16_bf16 a[8:11], v[20:21], v[10:11], a[8:11]
	s_add_i32 s1, s2, s1
	s_lshl_b64 s[2:3], s[38:39], 2
	s_add_u32 s10, s10, s2
	s_waitcnt lgkmcnt(0)
	v_mfma_f32_16x16x16_bf16 a[12:15], v[20:21], v[14:15], a[12:15]
	s_addc_u32 s11, s11, s3
	s_lshl_b64 s[2:3], s[36:37], 2
	s_mul_i32 s0, s0, s30
	v_mfma_f32_16x16x16_bf16 a[0:3], v[36:37], v[8:9], a[0:3]
	ds_read_b64 v[2:3], v25 offset:22528
	s_add_u32 s10, s10, s2
	s_addc_u32 s11, s11, s3
	v_mfma_f32_16x16x16_bf16 a[4:7], v[36:37], v[4:5], a[4:7]
	ds_read_b64 v[4:5], v30 offset:22528
	ds_read_b64 v[6:7], v31 offset:22528
	;; [unrolled: 1-line block ×3, first 2 shown]
	s_lshl_b64 s[0:1], s[0:1], 2
	s_add_u32 s0, s10, s0
	v_mfma_f32_16x16x16_bf16 a[8:11], v[36:37], v[12:13], a[8:11]
	s_addc_u32 s1, s11, s1
	s_load_dword s12, s[0:1], 0x0
	s_and_b64 vcc, exec, s[22:23]
	v_mfma_f32_16x16x16_bf16 a[12:15], v[36:37], v[16:17], a[12:15]
	s_waitcnt lgkmcnt(0)
	v_mfma_f32_16x16x16_bf16 a[0:3], v[38:39], v[2:3], a[0:3]
	v_mfma_f32_16x16x16_bf16 a[4:7], v[38:39], v[4:5], a[4:7]
	;; [unrolled: 1-line block ×4, first 2 shown]
	s_cbranch_vccz .LBB131_42
; %bb.32:
	v_lshlrev_b32_e32 v20, 1, v24
	s_and_b64 vcc, exec, s[6:7]
	s_cbranch_vccz .LBB131_43
; %bb.33:
	v_cmp_gt_i32_e32 vcc, s27, v20
	v_mov_b32_e32 v6, 0
	v_mov_b32_e32 v2, 0
	;; [unrolled: 1-line block ×5, first 2 shown]
	s_and_saveexec_b64 s[0:1], vcc
	s_cbranch_execz .LBB131_35
; %bb.34:
	v_mad_i64_i32 v[2:3], s[2:3], s15, v20, 0
	v_lshl_add_u64 v[2:3], v[2:3], 1, s[4:5]
	v_lshlrev_b32_e32 v4, 1, v18
	v_mov_b32_e32 v5, 0
	v_lshl_add_u64 v[2:3], v[2:3], 0, v[4:5]
	global_load_dwordx4 v[2:5], v[2:3], off
.LBB131_35:
	s_or_b64 exec, exec, s[0:1]
	v_or_b32_e32 v21, 1, v20
	v_cmp_gt_i32_e64 s[0:1], s27, v21
	v_mov_b32_e32 v7, 0
	v_mov_b32_e32 v8, 0
	;; [unrolled: 1-line block ×3, first 2 shown]
	s_and_saveexec_b64 s[2:3], s[0:1]
	s_cbranch_execz .LBB131_37
; %bb.36:
	v_mad_i64_i32 v[6:7], s[16:17], s15, v21, 0
	v_lshl_add_u64 v[6:7], v[6:7], 1, s[4:5]
	v_lshlrev_b32_e32 v8, 1, v18
	v_mov_b32_e32 v9, 0
	v_lshl_add_u64 v[6:7], v[6:7], 0, v[8:9]
	global_load_dwordx4 v[6:9], v[6:7], off
.LBB131_37:
	s_or_b64 exec, exec, s[2:3]
	v_mov_b32_e32 v17, 0
	v_mov_b32_e32 v10, 0
	;; [unrolled: 1-line block ×5, first 2 shown]
	s_and_saveexec_b64 s[2:3], vcc
	s_cbranch_execz .LBB131_39
; %bb.38:
	v_mad_i64_i32 v[10:11], s[16:17], s15, v20, 0
	v_lshl_add_u64 v[10:11], v[10:11], 1, s[4:5]
	v_lshlrev_b32_e32 v12, 1, v18
	v_mov_b32_e32 v13, 0
	v_lshl_add_u64 v[10:11], v[10:11], 0, v[12:13]
	global_load_dwordx4 v[10:13], v[10:11], off offset:128
.LBB131_39:
	s_or_b64 exec, exec, s[2:3]
	v_mov_b32_e32 v16, 0
	v_mov_b32_e32 v15, 0
	;; [unrolled: 1-line block ×3, first 2 shown]
	s_and_saveexec_b64 s[2:3], s[0:1]
	s_cbranch_execz .LBB131_41
; %bb.40:
	v_mad_i64_i32 v[14:15], s[0:1], s15, v21, 0
	v_lshl_add_u64 v[14:15], v[14:15], 1, s[4:5]
	v_lshlrev_b32_e32 v16, 1, v18
	v_mov_b32_e32 v17, 0
	v_lshl_add_u64 v[14:15], v[14:15], 0, v[16:17]
	global_load_dwordx4 v[14:17], v[14:15], off offset:128
.LBB131_41:
	s_or_b64 exec, exec, s[2:3]
	s_branch .LBB131_45
.LBB131_42:
                                        ; implicit-def: $vgpr5
                                        ; implicit-def: $vgpr9
                                        ; implicit-def: $vgpr13
                                        ; implicit-def: $vgpr17
	v_lshrrev_b32_e32 v33, 2, v77
	s_branch .LBB131_46
.LBB131_43:
                                        ; implicit-def: $vgpr5
                                        ; implicit-def: $vgpr9
                                        ; implicit-def: $vgpr13
                                        ; implicit-def: $vgpr17
	s_cbranch_execz .LBB131_45
; %bb.44:
	s_waitcnt vmcnt(0)
	v_mad_u64_u32 v[2:3], s[0:1], v20, s15, v[18:19]
	v_lshlrev_b32_e32 v20, 1, v2
	s_lshl_b32 s2, s15, 7
	s_and_b32 s1, s5, 0xffff
	s_mov_b32 s3, 0x20000
	s_mov_b32 s0, s4
	v_add_lshl_u32 v21, v2, s15, 1
	s_movk_i32 s13, 0x80
	buffer_load_dwordx4 v[2:5], v20, s[0:3], 0 offen
	buffer_load_dwordx4 v[10:13], v20, s[0:3], s13 offen
	;; [unrolled: 1-line block ×4, first 2 shown]
.LBB131_45:
	v_lshrrev_b32_e32 v33, 2, v77
	s_cbranch_execnz .LBB131_58
.LBB131_46:
	s_and_b64 vcc, exec, s[6:7]
	s_cbranch_vccz .LBB131_56
; %bb.47:
	s_waitcnt vmcnt(0)
	v_lshlrev_b32_e32 v7, 1, v24
	v_cmp_gt_i32_e32 vcc, s27, v7
	v_mov_b32_e32 v6, 0
	v_lshlrev_b32_e32 v14, 9, v24
	v_mov_b32_e32 v2, 0
	v_mov_b32_e32 v3, 0
	v_mov_b32_e32 v4, 0
	v_mov_b32_e32 v5, 0
	s_and_saveexec_b64 s[0:1], vcc
	s_cbranch_execz .LBB131_49
; %bb.48:
	v_mov_b32_e32 v15, 0
	v_lshl_add_u64 v[2:3], s[4:5], 0, v[14:15]
	v_lshlrev_b32_e32 v4, 1, v18
	v_mov_b32_e32 v5, v15
	v_lshl_add_u64 v[2:3], v[2:3], 0, v[4:5]
	global_load_dwordx4 v[2:5], v[2:3], off
.LBB131_49:
	s_or_b64 exec, exec, s[0:1]
	v_or_b32_e32 v7, 1, v7
	v_cmp_gt_i32_e64 s[0:1], s27, v7
	v_lshlrev_b32_e32 v20, 8, v7
	v_mov_b32_e32 v7, 0
	v_mov_b32_e32 v8, 0
	;; [unrolled: 1-line block ×3, first 2 shown]
	s_and_saveexec_b64 s[2:3], s[0:1]
	s_cbranch_execz .LBB131_51
; %bb.50:
	v_mov_b32_e32 v21, 0
	v_lshl_add_u64 v[6:7], s[4:5], 0, v[20:21]
	v_lshlrev_b32_e32 v8, 1, v18
	v_mov_b32_e32 v9, v21
	v_lshl_add_u64 v[6:7], v[6:7], 0, v[8:9]
	global_load_dwordx4 v[6:9], v[6:7], off
.LBB131_51:
	s_or_b64 exec, exec, s[2:3]
	v_mov_b32_e32 v17, 0
	v_mov_b32_e32 v10, 0
	v_mov_b32_e32 v11, 0
	v_mov_b32_e32 v12, 0
	v_mov_b32_e32 v13, 0
	s_and_saveexec_b64 s[2:3], vcc
	s_cbranch_execz .LBB131_53
; %bb.52:
	v_mov_b32_e32 v15, 0
	v_lshl_add_u64 v[10:11], s[4:5], 0, v[14:15]
	v_lshlrev_b32_e32 v14, 1, v18
	v_lshl_add_u64 v[10:11], v[10:11], 0, v[14:15]
	global_load_dwordx4 v[10:13], v[10:11], off offset:128
.LBB131_53:
	s_or_b64 exec, exec, s[2:3]
	v_mov_b32_e32 v16, 0
	v_mov_b32_e32 v15, 0
	;; [unrolled: 1-line block ×3, first 2 shown]
	s_and_saveexec_b64 s[2:3], s[0:1]
	s_cbranch_execz .LBB131_55
; %bb.54:
	v_mov_b32_e32 v21, 0
	v_lshl_add_u64 v[14:15], s[4:5], 0, v[20:21]
	v_lshlrev_b32_e32 v20, 1, v18
	v_lshl_add_u64 v[14:15], v[14:15], 0, v[20:21]
	global_load_dwordx4 v[14:17], v[14:15], off offset:128
.LBB131_55:
	s_or_b64 exec, exec, s[2:3]
	s_branch .LBB131_58
.LBB131_56:
                                        ; implicit-def: $vgpr5
                                        ; implicit-def: $vgpr9
                                        ; implicit-def: $vgpr13
                                        ; implicit-def: $vgpr17
	s_cbranch_execz .LBB131_58
; %bb.57:
	s_waitcnt vmcnt(0)
	v_lshlrev_b32_e32 v2, 1, v18
	v_lshl_or_b32 v18, v24, 9, v2
	s_and_b32 s5, s5, 0xffff
	s_mov_b32 s7, 0x20000
	s_movk_i32 s6, 0x4000
	s_movk_i32 s0, 0x80
	buffer_load_dwordx4 v[2:5], v18, s[4:7], 0 offen
	buffer_load_dwordx4 v[6:9], v18, s[4:7], 0 offen offset:256
	buffer_load_dwordx4 v[10:13], v18, s[4:7], s0 offen
	buffer_load_dwordx4 v[14:17], v18, s[4:7], s0 offen offset:256
.LBB131_58:
	ds_read_b64 v[20:21], v26 offset:57344
	v_add_u32_e32 v18, 0x6000, v25
	ds_read2_b64 v[36:39], v18 offset1:16
	ds_read_b64 v[48:49], v27 offset:57344
	ds_read_b64 v[50:51], v28 offset:57344
	ds_read_b64 v[52:53], v29 offset:57344
	ds_read2_b64 v[26:29], v18 offset0:32 offset1:48
	v_and_b32_e32 v18, 6, v0
	v_xor_b32_e32 v24, v24, v18
	v_lshlrev_b32_e32 v24, 2, v24
	v_and_b32_e32 v0, 1, v0
	v_cmp_eq_u32_e32 vcc, 0, v0
	s_waitcnt lgkmcnt(4)
	v_mfma_f32_16x16x16_bf16 a[0:3], v[20:21], v[36:37], a[0:3]
	s_mov_b32 s0, 0x1000504
	s_mov_b32 s1, 0x3020706
	v_mfma_f32_16x16x16_bf16 a[4:7], v[20:21], v[38:39], a[4:7]
	ds_read2st64_b64 v[36:39], v25 offset0:52 offset1:56
	s_waitcnt lgkmcnt(1)
	v_mfma_f32_16x16x16_bf16 a[8:11], v[20:21], v[26:27], a[8:11]
	v_mfma_f32_16x16x16_bf16 a[12:15], v[20:21], v[28:29], a[12:15]
	ds_read2st64_b64 v[26:29], v30 offset0:52 offset1:56
	ds_read2st64_b64 v[40:43], v31 offset0:52 offset1:56
	;; [unrolled: 1-line block ×3, first 2 shown]
	s_waitcnt lgkmcnt(3)
	v_mfma_f32_16x16x16_bf16 a[0:3], v[48:49], v[36:37], a[0:3]
	ds_read_b64 v[20:21], v25 offset:30720
	ds_read_b64 v[36:37], v30 offset:30720
	;; [unrolled: 1-line block ×4, first 2 shown]
	v_xor_b32_e32 v25, 0x440, v24
	v_cndmask_b32_e32 v0, v25, v24, vcc
	s_waitcnt lgkmcnt(6)
	v_mfma_f32_16x16x16_bf16 a[4:7], v[48:49], v[26:27], a[4:7]
	v_lshl_or_b32 v0, v18, 10, v0
	s_waitcnt vmcnt(0)
	v_perm_b32 v18, v2, v6, s0
	v_perm_b32 v24, v10, v14, s0
	s_waitcnt lgkmcnt(5)
	v_mfma_f32_16x16x16_bf16 a[8:11], v[48:49], v[40:41], a[8:11]
	ds_write2st64_b32 v0, v18, v24 offset0:128 offset1:160
	v_xor_b32_e32 v18, 8, v0
	v_perm_b32 v2, v2, v6, s1
	s_waitcnt lgkmcnt(5)
	v_mfma_f32_16x16x16_bf16 a[12:15], v[48:49], v[44:45], a[12:15]
	v_perm_b32 v6, v10, v14, s1
	v_add_u32_e32 v10, 0x80, v18
	ds_write2st64_b32 v10, v2, v6 offset0:128 offset1:160
	v_mfma_f32_16x16x16_bf16 a[0:3], v[50:51], v[38:39], a[0:3]
	v_xor_b32_e32 v2, 16, v0
	v_perm_b32 v6, v3, v7, s0
	v_perm_b32 v10, v11, v15, s0
	v_mfma_f32_16x16x16_bf16 a[4:7], v[50:51], v[28:29], a[4:7]
	ds_write2st64_b32 v2, v6, v10 offset0:129 offset1:161
	v_xor_b32_e32 v2, 24, v0
	v_perm_b32 v3, v3, v7, s1
	v_mfma_f32_16x16x16_bf16 a[16:19], v[50:51], v[42:43], a[8:11]
	v_perm_b32 v6, v11, v15, s1
	v_add_u32_e32 v2, 0x80, v2
	ds_write2st64_b32 v2, v3, v6 offset0:129 offset1:161
	v_mfma_f32_16x16x16_bf16 a[20:23], v[50:51], v[46:47], a[12:15]
	v_xor_b32_e32 v2, 32, v0
	v_perm_b32 v3, v4, v8, s0
	v_perm_b32 v6, v12, v16, s0
	s_waitcnt lgkmcnt(7)
	v_mfma_f32_16x16x16_bf16 a[12:15], v[52:53], v[20:21], a[0:3]
	ds_write2st64_b32 v2, v3, v6 offset0:130 offset1:162
	v_xor_b32_e32 v2, 40, v0
	v_perm_b32 v3, v4, v8, s1
	s_waitcnt lgkmcnt(7)
	v_mfma_f32_16x16x16_bf16 a[8:11], v[52:53], v[36:37], a[4:7]
	v_perm_b32 v4, v12, v16, s1
	v_add_u32_e32 v2, 0x80, v2
	ds_write2st64_b32 v2, v3, v4 offset0:130 offset1:162
	s_waitcnt lgkmcnt(7)
	v_mfma_f32_16x16x16_bf16 a[4:7], v[52:53], v[30:31], a[16:19]
	v_xor_b32_e32 v2, 48, v0
	v_perm_b32 v3, v5, v9, s0
	v_perm_b32 v4, v13, v17, s0
	s_waitcnt lgkmcnt(6)
	v_mfma_f32_16x16x16_bf16 a[0:3], v[52:53], v[54:55], a[20:23]
	v_xor_b32_e32 v0, 56, v0
	v_and_or_b32 v21, v33, 12, v1
	ds_write2st64_b32 v2, v3, v4 offset0:131 offset1:163
	v_perm_b32 v2, v5, v9, s1
	v_perm_b32 v3, v13, v17, s1
	v_add_u32_e32 v0, 0x80, v0
	v_cmp_gt_i32_e32 vcc, s27, v21
	v_mov_b32_e32 v16, 0
	v_mov_b32_e32 v18, 0
	ds_write2st64_b32 v0, v2, v3 offset0:131 offset1:163
	s_and_saveexec_b64 s[0:1], vcc
	s_cbranch_execz .LBB131_60
; %bb.59:
	v_add_u32_e32 v0, s26, v21
	v_ashrrev_i32_e32 v1, 31, v0
	v_mul_lo_u32 v2, v1, s30
	v_mul_lo_u32 v3, v0, s31
	v_mad_u64_u32 v[0:1], s[2:3], v0, s30, 0
	v_add3_u32 v1, v1, v3, v2
	v_lshl_add_u64 v[0:1], v[0:1], 2, s[10:11]
	global_load_dword v0, v[0:1], off
	s_waitcnt vmcnt(0)
	v_sub_f32_e32 v0, s12, v0
	v_exp_f32_e32 v18, v0
.LBB131_60:
	s_or_b64 exec, exec, s[0:1]
	v_or_b32_e32 v10, 1, v21
	v_cmp_gt_i32_e64 s[2:3], s27, v10
	s_and_saveexec_b64 s[0:1], s[2:3]
	s_cbranch_execz .LBB131_62
; %bb.61:
	v_add_u32_e32 v0, s26, v10
	v_ashrrev_i32_e32 v1, 31, v0
	v_mul_lo_u32 v2, v1, s30
	v_mul_lo_u32 v3, v0, s31
	v_mad_u64_u32 v[0:1], s[4:5], v0, s30, 0
	v_add3_u32 v1, v1, v3, v2
	v_lshl_add_u64 v[0:1], v[0:1], 2, s[10:11]
	global_load_dword v0, v[0:1], off
	s_waitcnt vmcnt(0)
	v_sub_f32_e32 v0, s12, v0
	v_exp_f32_e32 v16, v0
.LBB131_62:
	s_or_b64 exec, exec, s[0:1]
	v_or_b32_e32 v12, 2, v21
	v_cmp_gt_i32_e64 s[0:1], s27, v12
	v_mov_b32_e32 v17, 0
	v_mov_b32_e32 v20, 0
	s_and_saveexec_b64 s[4:5], s[0:1]
	s_cbranch_execz .LBB131_64
; %bb.63:
	v_add_u32_e32 v0, s26, v12
	v_ashrrev_i32_e32 v1, 31, v0
	v_mul_lo_u32 v2, v1, s30
	v_mul_lo_u32 v3, v0, s31
	v_mad_u64_u32 v[0:1], s[6:7], v0, s30, 0
	v_add3_u32 v1, v1, v3, v2
	v_lshl_add_u64 v[0:1], v[0:1], 2, s[10:11]
	global_load_dword v0, v[0:1], off
	s_waitcnt vmcnt(0)
	v_sub_f32_e32 v0, s12, v0
	v_exp_f32_e32 v20, v0
.LBB131_64:
	s_or_b64 exec, exec, s[4:5]
	v_or_b32_e32 v14, 3, v21
	v_cmp_gt_i32_e64 s[4:5], s27, v14
	s_and_saveexec_b64 s[6:7], s[4:5]
	s_cbranch_execz .LBB131_66
; %bb.65:
	v_add_u32_e32 v0, s26, v14
	v_ashrrev_i32_e32 v1, 31, v0
	v_mul_lo_u32 v2, v1, s30
	v_mul_lo_u32 v3, v0, s31
	v_mad_u64_u32 v[0:1], s[14:15], v0, s30, 0
	v_add3_u32 v1, v1, v3, v2
	v_lshl_add_u64 v[0:1], v[0:1], 2, s[10:11]
	global_load_dword v0, v[0:1], off
	s_waitcnt vmcnt(0)
	v_sub_f32_e32 v0, s12, v0
	v_exp_f32_e32 v17, v0
.LBB131_66:
	s_or_b64 exec, exec, s[6:7]
	s_add_u32 s6, s8, s20
	s_addc_u32 s7, s9, s21
	s_add_u32 s8, s28, s20
	v_ashrrev_i32_e32 v79, 31, v78
	v_accvgpr_read_b32 v0, a12
	s_addc_u32 s9, s29, s21
	v_lshlrev_b64 v[4:5], 1, v[78:79]
	v_accvgpr_read_b32 v1, a13
	v_accvgpr_read_b32 v2, a14
	;; [unrolled: 1-line block ×3, first 2 shown]
	v_lshl_add_u64 v[6:7], s[6:7], 0, v[4:5]
	v_lshl_add_u64 v[4:5], s[8:9], 0, v[4:5]
	v_mov_b32_e32 v11, 0
	v_lshlrev_b32_e32 v8, 8, v21
	v_mov_b32_e32 v9, 0
	s_and_saveexec_b64 s[6:7], vcc
	s_cbranch_execz .LBB131_68
; %bb.67:
	v_mov_b32_e32 v9, 0
	v_lshl_add_u64 v[24:25], v[6:7], 0, v[8:9]
	global_load_ushort v13, v[24:25], off
	v_lshl_add_u64 v[24:25], v[4:5], 0, v[8:9]
	s_waitcnt vmcnt(0)
	v_lshlrev_b32_e32 v9, 16, v13
	v_sub_f32_e32 v0, v9, v0
	global_store_short_d16_hi v[24:25], v0, off
	v_mul_f32_e32 v0, v18, v0
	v_lshrrev_b32_e32 v9, 16, v0
.LBB131_68:
	s_or_b64 exec, exec, s[6:7]
	v_lshlrev_b32_e32 v10, 8, v10
	s_and_saveexec_b64 s[6:7], s[2:3]
	s_cbranch_execz .LBB131_70
; %bb.69:
	v_mov_b32_e32 v11, 0
	v_lshl_add_u64 v[24:25], v[6:7], 0, v[10:11]
	global_load_ushort v0, v[24:25], off
	v_lshl_add_u64 v[24:25], v[4:5], 0, v[10:11]
	s_waitcnt vmcnt(0)
	v_lshlrev_b32_e32 v0, 16, v0
	v_sub_f32_e32 v0, v0, v1
	global_store_short_d16_hi v[24:25], v0, off
	v_mul_f32_e32 v0, v16, v0
	v_lshrrev_b32_e32 v11, 16, v0
.LBB131_70:
	s_or_b64 exec, exec, s[6:7]
	v_mov_b32_e32 v15, 0
	v_lshlrev_b32_e32 v12, 8, v12
	v_mov_b32_e32 v13, 0
	s_and_saveexec_b64 s[6:7], s[0:1]
	s_cbranch_execz .LBB131_72
; %bb.71:
	v_mov_b32_e32 v13, 0
	v_lshl_add_u64 v[0:1], v[6:7], 0, v[12:13]
	global_load_ushort v24, v[0:1], off
	v_lshl_add_u64 v[0:1], v[4:5], 0, v[12:13]
	s_waitcnt vmcnt(0)
	v_lshlrev_b32_e32 v13, 16, v24
	v_sub_f32_e32 v2, v13, v2
	global_store_short_d16_hi v[0:1], v2, off
	v_mul_f32_e32 v0, v20, v2
	v_lshrrev_b32_e32 v13, 16, v0
.LBB131_72:
	s_or_b64 exec, exec, s[6:7]
	v_lshlrev_b32_e32 v14, 8, v14
	s_and_saveexec_b64 s[6:7], s[4:5]
	s_cbranch_execz .LBB131_74
; %bb.73:
	v_mov_b32_e32 v15, 0
	v_lshl_add_u64 v[0:1], v[6:7], 0, v[14:15]
	global_load_ushort v2, v[0:1], off
	v_lshl_add_u64 v[0:1], v[4:5], 0, v[14:15]
	s_waitcnt vmcnt(0)
	v_lshlrev_b32_e32 v2, 16, v2
	v_sub_f32_e32 v2, v2, v3
	global_store_short_d16_hi v[0:1], v2, off
	v_mul_f32_e32 v0, v17, v2
	v_lshrrev_b32_e32 v15, 16, v0
.LBB131_74:
	s_or_b64 exec, exec, s[6:7]
	v_lshlrev_b32_e32 v21, 6, v21
	s_mov_b32 s6, 0x5040100
	v_perm_b32 v24, v11, v9, s6
	v_or_b32_e32 v9, v21, v34
	v_accvgpr_read_b32 v0, a8
	v_perm_b32 v25, v15, v13, s6
	v_lshlrev_b32_e32 v9, 1, v9
	v_accvgpr_read_b32 v1, a9
	v_accvgpr_read_b32 v2, a10
	;; [unrolled: 1-line block ×3, first 2 shown]
	ds_write_b64 v9, v[24:25] offset:24576
	v_mov_b32_e32 v11, 0
	v_mov_b32_e32 v9, 0
	s_and_saveexec_b64 s[6:7], vcc
	s_cbranch_execz .LBB131_76
; %bb.75:
	v_mov_b32_e32 v9, 0
	v_lshl_add_u64 v[24:25], v[6:7], 0, v[8:9]
	global_load_ushort v13, v[24:25], off offset:32
	v_lshl_add_u64 v[24:25], v[4:5], 0, v[8:9]
	s_waitcnt vmcnt(0)
	v_lshlrev_b32_e32 v9, 16, v13
	v_sub_f32_e32 v0, v9, v0
	global_store_short_d16_hi v[24:25], v0, off offset:32
	v_mul_f32_e32 v0, v18, v0
	v_lshrrev_b32_e32 v9, 16, v0
.LBB131_76:
	s_or_b64 exec, exec, s[6:7]
	s_and_saveexec_b64 s[6:7], s[2:3]
	s_cbranch_execz .LBB131_78
; %bb.77:
	v_mov_b32_e32 v11, 0
	v_lshl_add_u64 v[24:25], v[6:7], 0, v[10:11]
	global_load_ushort v0, v[24:25], off offset:32
	v_lshl_add_u64 v[24:25], v[4:5], 0, v[10:11]
	s_waitcnt vmcnt(0)
	v_lshlrev_b32_e32 v0, 16, v0
	v_sub_f32_e32 v0, v0, v1
	global_store_short_d16_hi v[24:25], v0, off offset:32
	v_mul_f32_e32 v0, v16, v0
	v_lshrrev_b32_e32 v11, 16, v0
.LBB131_78:
	s_or_b64 exec, exec, s[6:7]
	v_mov_b32_e32 v15, 0
	v_mov_b32_e32 v13, 0
	s_and_saveexec_b64 s[6:7], s[0:1]
	s_cbranch_execz .LBB131_80
; %bb.79:
	v_mov_b32_e32 v13, 0
	v_lshl_add_u64 v[0:1], v[6:7], 0, v[12:13]
	global_load_ushort v24, v[0:1], off offset:32
	v_lshl_add_u64 v[0:1], v[4:5], 0, v[12:13]
	s_waitcnt vmcnt(0)
	v_lshlrev_b32_e32 v13, 16, v24
	v_sub_f32_e32 v2, v13, v2
	global_store_short_d16_hi v[0:1], v2, off offset:32
	v_mul_f32_e32 v0, v20, v2
	v_lshrrev_b32_e32 v13, 16, v0
.LBB131_80:
	s_or_b64 exec, exec, s[6:7]
	s_and_saveexec_b64 s[6:7], s[4:5]
	s_cbranch_execz .LBB131_82
; %bb.81:
	v_mov_b32_e32 v15, 0
	v_lshl_add_u64 v[0:1], v[6:7], 0, v[14:15]
	global_load_ushort v2, v[0:1], off offset:32
	v_lshl_add_u64 v[0:1], v[4:5], 0, v[14:15]
	s_waitcnt vmcnt(0)
	v_lshlrev_b32_e32 v2, 16, v2
	v_sub_f32_e32 v2, v2, v3
	global_store_short_d16_hi v[0:1], v2, off offset:32
	v_mul_f32_e32 v0, v17, v2
	v_lshrrev_b32_e32 v15, 16, v0
.LBB131_82:
	s_or_b64 exec, exec, s[6:7]
	s_mov_b32 s6, 0x5040100
	v_perm_b32 v24, v11, v9, s6
	v_or_b32_e32 v9, v21, v23
	v_accvgpr_read_b32 v0, a4
	v_perm_b32 v25, v15, v13, s6
	v_lshlrev_b32_e32 v9, 1, v9
	v_accvgpr_read_b32 v1, a5
	v_accvgpr_read_b32 v2, a6
	;; [unrolled: 1-line block ×3, first 2 shown]
	ds_write_b64 v9, v[24:25] offset:24576
	v_mov_b32_e32 v11, 0
	v_mov_b32_e32 v9, 0
	s_and_saveexec_b64 s[6:7], vcc
	s_cbranch_execz .LBB131_84
; %bb.83:
	v_mov_b32_e32 v9, 0
	v_lshl_add_u64 v[24:25], v[6:7], 0, v[8:9]
	global_load_ushort v13, v[24:25], off offset:64
	v_lshl_add_u64 v[24:25], v[4:5], 0, v[8:9]
	s_waitcnt vmcnt(0)
	v_lshlrev_b32_e32 v9, 16, v13
	v_sub_f32_e32 v0, v9, v0
	global_store_short_d16_hi v[24:25], v0, off offset:64
	v_mul_f32_e32 v0, v18, v0
	v_lshrrev_b32_e32 v9, 16, v0
.LBB131_84:
	s_or_b64 exec, exec, s[6:7]
	s_and_saveexec_b64 s[6:7], s[2:3]
	s_cbranch_execz .LBB131_86
; %bb.85:
	v_mov_b32_e32 v11, 0
	v_lshl_add_u64 v[24:25], v[6:7], 0, v[10:11]
	global_load_ushort v0, v[24:25], off offset:64
	v_lshl_add_u64 v[24:25], v[4:5], 0, v[10:11]
	s_waitcnt vmcnt(0)
	v_lshlrev_b32_e32 v0, 16, v0
	v_sub_f32_e32 v0, v0, v1
	global_store_short_d16_hi v[24:25], v0, off offset:64
	v_mul_f32_e32 v0, v16, v0
	v_lshrrev_b32_e32 v11, 16, v0
.LBB131_86:
	s_or_b64 exec, exec, s[6:7]
	v_mov_b32_e32 v15, 0
	v_mov_b32_e32 v13, 0
	s_and_saveexec_b64 s[6:7], s[0:1]
	s_cbranch_execz .LBB131_88
; %bb.87:
	v_mov_b32_e32 v13, 0
	v_lshl_add_u64 v[0:1], v[6:7], 0, v[12:13]
	global_load_ushort v23, v[0:1], off offset:64
	v_lshl_add_u64 v[0:1], v[4:5], 0, v[12:13]
	s_waitcnt vmcnt(0)
	v_lshlrev_b32_e32 v13, 16, v23
	v_sub_f32_e32 v2, v13, v2
	global_store_short_d16_hi v[0:1], v2, off offset:64
	v_mul_f32_e32 v0, v20, v2
	v_lshrrev_b32_e32 v13, 16, v0
.LBB131_88:
	s_or_b64 exec, exec, s[6:7]
	s_and_saveexec_b64 s[6:7], s[4:5]
	s_cbranch_execz .LBB131_90
; %bb.89:
	v_mov_b32_e32 v15, 0
	v_lshl_add_u64 v[0:1], v[6:7], 0, v[14:15]
	global_load_ushort v2, v[0:1], off offset:64
	v_lshl_add_u64 v[0:1], v[4:5], 0, v[14:15]
	s_waitcnt vmcnt(0)
	v_lshlrev_b32_e32 v2, 16, v2
	v_sub_f32_e32 v2, v2, v3
	global_store_short_d16_hi v[0:1], v2, off offset:64
	v_mul_f32_e32 v0, v17, v2
	v_lshrrev_b32_e32 v15, 16, v0
.LBB131_90:
	s_or_b64 exec, exec, s[6:7]
	s_mov_b32 s6, 0x5040100
	v_perm_b32 v24, v11, v9, s6
	v_or_b32_e32 v9, v21, v22
	v_accvgpr_read_b32 v0, a0
	v_perm_b32 v25, v15, v13, s6
	v_lshlrev_b32_e32 v9, 1, v9
	v_accvgpr_read_b32 v1, a1
	v_accvgpr_read_b32 v2, a2
	;; [unrolled: 1-line block ×3, first 2 shown]
	ds_write_b64 v9, v[24:25] offset:24576
	v_mov_b32_e32 v11, 0
	v_mov_b32_e32 v9, 0
	s_and_saveexec_b64 s[6:7], vcc
	s_cbranch_execz .LBB131_92
; %bb.91:
	v_mov_b32_e32 v9, 0
	v_lshl_add_u64 v[22:23], v[6:7], 0, v[8:9]
	global_load_ushort v13, v[22:23], off offset:96
	v_lshl_add_u64 v[8:9], v[4:5], 0, v[8:9]
	s_waitcnt vmcnt(0)
	v_lshlrev_b32_e32 v13, 16, v13
	v_sub_f32_e32 v0, v13, v0
	global_store_short_d16_hi v[8:9], v0, off offset:96
	v_mul_f32_e32 v0, v18, v0
	v_lshrrev_b32_e32 v9, 16, v0
.LBB131_92:
	s_or_b64 exec, exec, s[6:7]
	s_and_saveexec_b64 s[6:7], s[2:3]
	s_cbranch_execz .LBB131_94
; %bb.93:
	v_mov_b32_e32 v11, 0
	v_lshl_add_u64 v[22:23], v[6:7], 0, v[10:11]
	global_load_ushort v0, v[22:23], off offset:96
	v_lshl_add_u64 v[10:11], v[4:5], 0, v[10:11]
	s_waitcnt vmcnt(0)
	v_lshlrev_b32_e32 v0, 16, v0
	v_sub_f32_e32 v0, v0, v1
	global_store_short_d16_hi v[10:11], v0, off offset:96
	v_mul_f32_e32 v0, v16, v0
	v_lshrrev_b32_e32 v11, 16, v0
.LBB131_94:
	s_or_b64 exec, exec, s[6:7]
	v_mov_b32_e32 v0, 0
	v_mov_b32_e32 v1, 0
	s_and_saveexec_b64 s[2:3], s[0:1]
	s_cbranch_execz .LBB131_96
; %bb.95:
	v_mov_b32_e32 v13, 0
	v_lshl_add_u64 v[22:23], v[6:7], 0, v[12:13]
	global_load_ushort v1, v[22:23], off offset:96
	v_lshl_add_u64 v[12:13], v[4:5], 0, v[12:13]
	s_waitcnt vmcnt(0)
	v_lshlrev_b32_e32 v1, 16, v1
	v_sub_f32_e32 v1, v1, v2
	global_store_short_d16_hi v[12:13], v1, off offset:96
	v_mul_f32_e32 v1, v20, v1
	v_lshrrev_b32_e32 v1, 16, v1
.LBB131_96:
	s_or_b64 exec, exec, s[2:3]
	s_and_saveexec_b64 s[0:1], s[4:5]
	s_cbranch_execz .LBB131_98
; %bb.97:
	v_mov_b32_e32 v15, 0
	v_lshl_add_u64 v[6:7], v[6:7], 0, v[14:15]
	global_load_ushort v0, v[6:7], off offset:96
	v_lshl_add_u64 v[4:5], v[4:5], 0, v[14:15]
	s_waitcnt vmcnt(0)
	v_lshlrev_b32_e32 v0, 16, v0
	v_sub_f32_e32 v0, v0, v3
	global_store_short_d16_hi v[4:5], v0, off offset:96
	v_mul_f32_e32 v0, v17, v0
	v_lshrrev_b32_e32 v0, 16, v0
.LBB131_98:
	s_or_b64 exec, exec, s[0:1]
	s_mov_b32 s0, 0x5040100
	v_or_b32_e32 v2, v21, v19
	v_perm_b32 v1, v0, v1, s0
	v_perm_b32 v0, v11, v9, s0
	v_lshlrev_b32_e32 v2, 1, v2
	ds_write_b64 v2, v[0:1] offset:24576
	s_waitcnt lgkmcnt(0)
	s_barrier
.LBB131_99:
	s_endpgm
	.section	.rodata,"a",@progbits
	.p2align	6, 0x0
	.amdhsa_kernel _ZN12_GLOBAL__N_139chunk_gated_delta_rule_fwd_h_hip_kernelILi64ELb1ELb0ELb1ELb1ELb1ELb1ELb1ELb0EEEvPK12hip_bfloat16S3_S3_PKfS5_PKvPS1_S8_PvPKiSB_iiiiilll
		.amdhsa_group_segment_fixed_size 65536
		.amdhsa_private_segment_fixed_size 0
		.amdhsa_kernarg_size 136
		.amdhsa_user_sgpr_count 2
		.amdhsa_user_sgpr_dispatch_ptr 0
		.amdhsa_user_sgpr_queue_ptr 0
		.amdhsa_user_sgpr_kernarg_segment_ptr 1
		.amdhsa_user_sgpr_dispatch_id 0
		.amdhsa_user_sgpr_kernarg_preload_length 0
		.amdhsa_user_sgpr_kernarg_preload_offset 0
		.amdhsa_user_sgpr_private_segment_size 0
		.amdhsa_uses_dynamic_stack 0
		.amdhsa_enable_private_segment 0
		.amdhsa_system_sgpr_workgroup_id_x 1
		.amdhsa_system_sgpr_workgroup_id_y 1
		.amdhsa_system_sgpr_workgroup_id_z 0
		.amdhsa_system_sgpr_workgroup_info 0
		.amdhsa_system_vgpr_workitem_id 0
		.amdhsa_next_free_vgpr 232
		.amdhsa_next_free_sgpr 65
		.amdhsa_accum_offset 192
		.amdhsa_reserve_vcc 1
		.amdhsa_float_round_mode_32 0
		.amdhsa_float_round_mode_16_64 0
		.amdhsa_float_denorm_mode_32 3
		.amdhsa_float_denorm_mode_16_64 3
		.amdhsa_dx10_clamp 1
		.amdhsa_ieee_mode 1
		.amdhsa_fp16_overflow 0
		.amdhsa_tg_split 0
		.amdhsa_exception_fp_ieee_invalid_op 0
		.amdhsa_exception_fp_denorm_src 0
		.amdhsa_exception_fp_ieee_div_zero 0
		.amdhsa_exception_fp_ieee_overflow 0
		.amdhsa_exception_fp_ieee_underflow 0
		.amdhsa_exception_fp_ieee_inexact 0
		.amdhsa_exception_int_div_zero 0
	.end_amdhsa_kernel
	.section	.text._ZN12_GLOBAL__N_139chunk_gated_delta_rule_fwd_h_hip_kernelILi64ELb1ELb0ELb1ELb1ELb1ELb1ELb1ELb0EEEvPK12hip_bfloat16S3_S3_PKfS5_PKvPS1_S8_PvPKiSB_iiiiilll,"axG",@progbits,_ZN12_GLOBAL__N_139chunk_gated_delta_rule_fwd_h_hip_kernelILi64ELb1ELb0ELb1ELb1ELb1ELb1ELb1ELb0EEEvPK12hip_bfloat16S3_S3_PKfS5_PKvPS1_S8_PvPKiSB_iiiiilll,comdat
.Lfunc_end131:
	.size	_ZN12_GLOBAL__N_139chunk_gated_delta_rule_fwd_h_hip_kernelILi64ELb1ELb0ELb1ELb1ELb1ELb1ELb1ELb0EEEvPK12hip_bfloat16S3_S3_PKfS5_PKvPS1_S8_PvPKiSB_iiiiilll, .Lfunc_end131-_ZN12_GLOBAL__N_139chunk_gated_delta_rule_fwd_h_hip_kernelILi64ELb1ELb0ELb1ELb1ELb1ELb1ELb1ELb0EEEvPK12hip_bfloat16S3_S3_PKfS5_PKvPS1_S8_PvPKiSB_iiiiilll
                                        ; -- End function
	.section	.AMDGPU.csdata,"",@progbits
; Kernel info:
; codeLenInByte = 11288
; NumSgprs: 71
; NumVgprs: 190
; NumAgprs: 40
; TotalNumVgprs: 232
; ScratchSize: 0
; MemoryBound: 0
; FloatMode: 240
; IeeeMode: 1
; LDSByteSize: 65536 bytes/workgroup (compile time only)
; SGPRBlocks: 8
; VGPRBlocks: 28
; NumSGPRsForWavesPerEU: 71
; NumVGPRsForWavesPerEU: 232
; AccumOffset: 192
; Occupancy: 1
; WaveLimiterHint : 1
; COMPUTE_PGM_RSRC2:SCRATCH_EN: 0
; COMPUTE_PGM_RSRC2:USER_SGPR: 2
; COMPUTE_PGM_RSRC2:TRAP_HANDLER: 0
; COMPUTE_PGM_RSRC2:TGID_X_EN: 1
; COMPUTE_PGM_RSRC2:TGID_Y_EN: 1
; COMPUTE_PGM_RSRC2:TGID_Z_EN: 0
; COMPUTE_PGM_RSRC2:TIDIG_COMP_CNT: 0
; COMPUTE_PGM_RSRC3_GFX90A:ACCUM_OFFSET: 47
; COMPUTE_PGM_RSRC3_GFX90A:TG_SPLIT: 0
	.section	.text._ZN12_GLOBAL__N_139chunk_gated_delta_rule_fwd_h_hip_kernelILi64ELb1ELb0ELb0ELb1ELb1ELb1ELb1ELb0EEEvPK12hip_bfloat16S3_S3_PKfS5_PKvPS1_S8_PvPKiSB_iiiiilll,"axG",@progbits,_ZN12_GLOBAL__N_139chunk_gated_delta_rule_fwd_h_hip_kernelILi64ELb1ELb0ELb0ELb1ELb1ELb1ELb1ELb0EEEvPK12hip_bfloat16S3_S3_PKfS5_PKvPS1_S8_PvPKiSB_iiiiilll,comdat
	.globl	_ZN12_GLOBAL__N_139chunk_gated_delta_rule_fwd_h_hip_kernelILi64ELb1ELb0ELb0ELb1ELb1ELb1ELb1ELb0EEEvPK12hip_bfloat16S3_S3_PKfS5_PKvPS1_S8_PvPKiSB_iiiiilll ; -- Begin function _ZN12_GLOBAL__N_139chunk_gated_delta_rule_fwd_h_hip_kernelILi64ELb1ELb0ELb0ELb1ELb1ELb1ELb1ELb0EEEvPK12hip_bfloat16S3_S3_PKfS5_PKvPS1_S8_PvPKiSB_iiiiilll
	.p2align	8
	.type	_ZN12_GLOBAL__N_139chunk_gated_delta_rule_fwd_h_hip_kernelILi64ELb1ELb0ELb0ELb1ELb1ELb1ELb1ELb0EEEvPK12hip_bfloat16S3_S3_PKfS5_PKvPS1_S8_PvPKiSB_iiiiilll,@function
_ZN12_GLOBAL__N_139chunk_gated_delta_rule_fwd_h_hip_kernelILi64ELb1ELb0ELb0ELb1ELb1ELb1ELb1ELb0EEEvPK12hip_bfloat16S3_S3_PKfS5_PKvPS1_S8_PvPKiSB_iiiiilll: ; @_ZN12_GLOBAL__N_139chunk_gated_delta_rule_fwd_h_hip_kernelILi64ELb1ELb0ELb0ELb1ELb1ELb1ELb1ELb0EEEvPK12hip_bfloat16S3_S3_PKfS5_PKvPS1_S8_PvPKiSB_iiiiilll
; %bb.0:
	s_load_dwordx4 s[12:15], s[0:1], 0x5c
	s_load_dwordx4 s[20:23], s[0:1], 0x70
	s_abs_i32 s9, s3
	s_ashr_i32 s8, s3, 31
	s_load_dwordx4 s[4:7], s[0:1], 0x48
	s_waitcnt lgkmcnt(0)
	s_abs_i32 s10, s13
	v_cvt_f32_u32_e32 v1, s10
	s_sub_i32 s16, 0, s10
	s_ashr_i32 s11, s13, 31
	s_xor_b32 s8, s8, s11
	v_rcp_iflag_f32_e32 v1, v1
	v_and_b32_e32 v88, 15, v0
	v_lshrrev_b32_e32 v86, 6, v0
	v_bfe_u32 v87, v0, 4, 2
	v_mul_f32_e32 v1, 0x4f7ffffe, v1
	v_cvt_u32_f32_e32 v1, v1
	v_mov_b32_e32 v11, 0
	v_and_b32_e32 v77, 63, v0
	v_lshrrev_b32_e32 v90, 3, v77
	v_readfirstlane_b32 s17, v1
	s_mul_i32 s16, s16, s17
	s_mul_hi_u32 s16, s17, s16
	s_add_i32 s17, s17, s16
	s_mul_hi_u32 s16, s9, s17
	s_mul_i32 s17, s16, s10
	s_sub_i32 s9, s9, s17
	s_add_i32 s18, s16, 1
	s_sub_i32 s17, s9, s10
	s_cmp_ge_u32 s9, s10
	s_cselect_b32 s16, s18, s16
	s_cselect_b32 s9, s17, s9
	s_add_i32 s17, s16, 1
	s_cmp_ge_u32 s9, s10
	s_cselect_b32 s9, s17, s16
	s_load_dwordx4 s[16:19], s[0:1], 0x28
	s_xor_b32 s9, s9, s8
	s_sub_i32 s24, s9, s8
	s_mul_i32 s28, s24, s13
	s_ashr_i32 s25, s24, 31
	s_sub_i32 s47, s3, s28
	s_lshl_b64 s[8:9], s[24:25], 2
	s_add_u32 s4, s4, s8
	s_addc_u32 s5, s5, s9
	s_add_u32 s26, s6, s8
	s_addc_u32 s27, s7, s9
	s_abs_i32 s3, s14
	v_cvt_f32_u32_e32 v1, s3
	s_load_dwordx2 s[30:31], s[4:5], 0x0
	s_lshl_b32 s38, s2, 6
	s_ashr_i32 s2, s14, 31
	v_rcp_iflag_f32_e32 v1, v1
	s_xor_b32 s2, s11, s2
	s_waitcnt lgkmcnt(0)
	s_sub_i32 s50, s31, s30
	s_ashr_i32 s4, s50, 31
	v_mul_f32_e32 v1, 0x4f7ffffe, v1
	v_cvt_u32_f32_e32 v1, v1
	s_lshr_b32 s4, s4, 26
	s_add_i32 s4, s50, s4
	s_ashr_i32 s49, s4, 6
	s_sub_i32 s4, 0, s3
	v_readfirstlane_b32 s5, v1
	s_mul_i32 s4, s4, s5
	s_mul_hi_u32 s4, s5, s4
	s_add_i32 s5, s5, s4
	s_mul_hi_u32 s4, s10, s5
	s_mul_i32 s5, s4, s3
	s_sub_i32 s5, s10, s5
	s_add_i32 s6, s4, 1
	s_sub_i32 s7, s5, s3
	s_cmp_ge_u32 s5, s3
	s_cselect_b32 s4, s6, s4
	s_cselect_b32 s5, s7, s5
	s_add_i32 s6, s4, 1
	s_cmp_ge_u32 s5, s3
	s_cselect_b32 s3, s6, s4
	s_xor_b32 s3, s3, s2
	s_sub_i32 s2, s3, s2
	s_abs_i32 s3, s2
	v_cvt_f32_u32_e32 v1, s3
	s_sub_i32 s5, 0, s3
	s_abs_i32 s4, s47
	s_xor_b32 s2, s47, s2
	v_rcp_iflag_f32_e32 v1, v1
	s_ashr_i32 s2, s2, 31
	v_or_b32_e32 v78, s38, v88
	v_lshlrev_b32_e32 v2, 7, v78
	v_mul_f32_e32 v1, 0x4f7ffffe, v1
	v_cvt_u32_f32_e32 v1, v1
	v_ashrrev_i32_e32 v3, 31, v2
	s_mul_hi_i32 s53, s47, s12
	s_mul_i32 s54, s47, s12
	v_readfirstlane_b32 s6, v1
	s_mul_i32 s5, s5, s6
	s_mul_hi_u32 s5, s6, s5
	s_add_i32 s6, s6, s5
	s_mul_hi_u32 s5, s4, s6
	s_mul_i32 s6, s5, s3
	s_sub_i32 s4, s4, s6
	s_add_i32 s6, s5, 1
	s_sub_i32 s7, s4, s3
	s_cmp_ge_u32 s4, s3
	s_cselect_b32 s5, s6, s5
	s_cselect_b32 s4, s7, s4
	s_add_i32 s6, s5, 1
	s_cmp_ge_u32 s4, s3
	s_cselect_b32 s3, s6, s5
	s_xor_b32 s3, s3, s2
	s_sub_i32 s51, s3, s2
	s_ashr_i32 s48, s47, 31
	s_mul_hi_i32 s3, s24, s13
	s_add_u32 s2, s28, s47
	s_addc_u32 s3, s3, s48
	s_lshl_b64 s[2:3], s[2:3], 16
	v_lshlrev_b32_e32 v1, 4, v86
	s_add_u32 s2, s16, s2
	v_lshl_or_b32 v91, v87, 2, v1
	s_addc_u32 s3, s17, s3
	v_lshl_add_u64 v[4:5], v[2:3], 2, s[2:3]
	v_lshlrev_b32_e32 v10, 2, v91
	v_lshl_add_u64 v[4:5], v[4:5], 0, v[10:11]
	global_load_dwordx4 v[22:25], v[4:5], off
	global_load_dwordx4 v[30:33], v[4:5], off offset:256
	v_or_b32_e32 v4, 0x800, v2
	v_ashrrev_i32_e32 v5, 31, v4
	v_lshl_add_u64 v[4:5], v[4:5], 2, s[2:3]
	v_lshl_add_u64 v[4:5], v[4:5], 0, v[10:11]
	global_load_dwordx4 v[14:17], v[4:5], off
	global_load_dwordx4 v[26:29], v[4:5], off offset:256
	v_or_b32_e32 v4, 0x1000, v2
	v_or_b32_e32 v2, 0x1800, v2
	v_ashrrev_i32_e32 v5, 31, v4
	v_ashrrev_i32_e32 v3, 31, v2
	v_lshl_add_u64 v[4:5], v[4:5], 2, s[2:3]
	v_lshl_add_u64 v[2:3], v[2:3], 2, s[2:3]
	;; [unrolled: 1-line block ×4, first 2 shown]
	global_load_dwordx4 v[6:9], v[4:5], off
	global_load_dwordx4 v[18:21], v[4:5], off offset:256
	s_nop 0
	global_load_dwordx4 v[2:5], v[34:35], off
	global_load_dwordx4 v[10:13], v[34:35], off offset:256
	s_load_dwordx8 s[4:11], s[0:1], 0x0
	s_load_dwordx2 s[28:29], s[0:1], 0x80
	s_load_dword s52, s[26:27], 0x0
	v_or_b32_e32 v92, 64, v91
	s_cmp_lt_i32 s50, 64
	v_lshlrev_b32_e32 v89, 3, v0
	s_mul_i32 s33, s24, s21
	s_mul_hi_u32 s43, s24, s20
	s_mul_i32 s42, s25, s20
	s_mul_i32 s36, s24, s20
	;; [unrolled: 1-line block ×3, first 2 shown]
	s_mul_hi_u32 s45, s47, s22
	s_mul_i32 s46, s48, s22
	s_mul_i32 s34, s47, s22
	s_cbranch_scc1 .LBB132_18
; %bb.1:
	s_ashr_i32 s3, s30, 31
	s_add_u32 s2, s54, s30
	s_addc_u32 s3, s53, s3
	s_lshl_b64 s[2:3], s[2:3], 8
	v_and_b32_e32 v94, 56, v89
	s_waitcnt lgkmcnt(0)
	s_add_u32 s20, s6, s2
	v_lshl_or_b32 v93, v86, 3, v90
	v_lshlrev_b32_e32 v34, 1, v94
	s_addc_u32 s2, s7, s3
	v_lshl_or_b32 v95, v93, 8, v34
	s_and_b32 s21, s2, 0xffff
	s_mov_b32 s23, 0x20000
	s_movk_i32 s22, 0x4000
	s_movk_i32 s2, 0x80
	v_or_b32_e32 v96, 0x2000, v95
	buffer_load_dwordx4 v[36:39], v95, s[20:23], 0 offen
	buffer_load_dwordx4 v[40:43], v95, s[20:23], s2 offen
	;; [unrolled: 1-line block ×4, first 2 shown]
	v_lshlrev_b32_e32 v35, 3, v93
	v_and_or_b32 v53, v0, 7, v35
	v_and_b32_e32 v35, 0x78, v35
	v_lshlrev_b32_e32 v53, 4, v53
	v_xor_b32_e32 v97, v53, v35
	v_mul_lo_u32 v52, v93, s15
	v_or_b32_e32 v98, 0x1000, v97
	v_xor_b32_e32 v35, 8, v97
	s_cmpk_eq_i32 s15, 0x80
	s_mov_b32 s55, s30
	v_xor_b32_e32 v53, 8, v98
	s_cselect_b64 s[2:3], -1, 0
	s_cmpk_lg_i32 s15, 0x80
	s_waitcnt vmcnt(3)
	ds_write_b64 v97, v[36:37] offset:49152
	ds_write_b64 v35, v[38:39] offset:49152
	s_waitcnt vmcnt(2)
	ds_write_b64 v97, v[40:41] offset:57344
	ds_write_b64 v35, v[42:43] offset:57344
	;; [unrolled: 3-line block ×4, first 2 shown]
	v_lshl_add_u32 v35, v52, 1, v94
	s_cbranch_scc0 .LBB132_3
; %bb.2:
	v_lshlrev_b32_e32 v37, 1, v35
	v_add_lshl_u32 v36, v35, s15, 1
	s_lshl_b32 s22, s15, 7
	s_load_dwordx2 s[16:17], s[0:1], 0x20
	v_lshl_or_b32 v34, v93, 9, v34
	s_cbranch_execz .LBB132_4
	s_branch .LBB132_5
.LBB132_3:
                                        ; implicit-def: $vgpr36
                                        ; implicit-def: $vgpr37
                                        ; implicit-def: $sgpr22
	s_load_dwordx2 s[16:17], s[0:1], 0x20
	v_lshl_or_b32 v34, v93, 9, v34
.LBB132_4:
	v_or_b32_e32 v36, 0x100, v34
	s_movk_i32 s22, 0x4000
	v_mov_b32_e32 v37, v34
.LBB132_5:
	s_mul_i32 s0, s30, s14
	s_ashr_i32 s56, s51, 31
	s_mul_hi_i32 s1, s30, s14
	s_add_u32 s0, s0, s51
	s_addc_u32 s1, s1, s56
	s_lshl_b64 s[0:1], s[0:1], 8
	s_add_u32 s20, s4, s0
	s_addc_u32 s0, s5, s1
	s_and_b32 s21, s0, 0xffff
	s_movk_i32 s57, 0x80
	buffer_load_dwordx4 v[38:41], v37, s[20:23], 0 offen
	buffer_load_dwordx4 v[42:45], v37, s[20:23], s57 offen
	buffer_load_dwordx4 v[46:49], v36, s[20:23], 0 offen
	buffer_load_dwordx4 v[50:53], v36, s[20:23], s57 offen
	v_and_b32_e32 v37, 6, v0
	v_lshlrev_b32_e32 v36, 7, v91
	v_xor_b32_e32 v59, v93, v37
	v_and_b32_e32 v54, 1, v0
	v_lshl_or_b32 v62, v88, 3, v36
	v_lshlrev_b32_e32 v59, 2, v59
	v_lshlrev_b32_e32 v55, 2, v88
	v_or_b32_e32 v99, 0x4000, v62
	v_or_b32_e32 v100, 0x6000, v62
	v_xor_b32_e32 v62, 0x440, v59
	v_cmp_eq_u32_e32 vcc, 0, v54
	v_or_b32_e32 v57, 16, v88
	v_or_b32_e32 v58, 32, v88
	v_xor_b32_e32 v60, v91, v55
	v_xor_b32_e32 v61, v92, v55
	v_cndmask_b32_e32 v54, v62, v59, vcc
	s_mov_b32 s58, 0x1000504
	v_lshl_or_b32 v63, v57, 3, v36
	v_lshlrev_b32_e32 v57, 8, v57
	v_lshl_or_b32 v64, v58, 3, v36
	v_lshlrev_b32_e32 v60, 1, v60
	v_lshlrev_b32_e32 v61, 1, v61
	v_lshl_or_b32 v37, v37, 10, v54
	s_add_i32 s0, s43, s33
	s_mov_b32 s59, 0x3020706
	v_lshlrev_b32_e32 v56, 8, v88
	v_or_b32_e32 v103, 0x4000, v64
	v_or_b32_e32 v104, 0x6000, v64
	;; [unrolled: 1-line block ×4, first 2 shown]
	v_xor_b32_e32 v54, 8, v37
	v_xor_b32_e32 v57, 24, v37
	;; [unrolled: 1-line block ×4, first 2 shown]
	s_add_i32 s37, s0, s42
	s_add_i32 s0, s45, s44
	v_or_b32_e32 v101, 0x4000, v63
	v_or_b32_e32 v102, 0x6000, v63
	;; [unrolled: 1-line block ×4, first 2 shown]
	v_xor_b32_e32 v56, 16, v37
	v_xor_b32_e32 v59, 32, v37
	;; [unrolled: 1-line block ×3, first 2 shown]
	v_add_u32_e32 v54, 0x80, v54
	v_add_u32_e32 v57, 0x80, v57
	;; [unrolled: 1-line block ×4, first 2 shown]
	s_add_i32 s35, s0, s46
	s_lshl_b64 s[0:1], s[36:37], 2
	s_add_u32 s20, s10, s0
	s_addc_u32 s21, s11, s1
	s_lshl_b64 s[0:1], s[34:35], 2
	s_add_u32 s40, s20, s0
	s_movk_i32 s0, 0xf8
	s_addc_u32 s41, s21, s1
	s_ashr_i32 s39, s38, 31
	s_lshl_b32 s26, s15, 7
	v_mov_b32_e32 v81, 0
	s_movk_i32 s20, 0x100
	v_lshlrev_b32_e32 v80, 4, v88
	v_lshlrev_b32_e32 v58, 8, v58
	v_ashrrev_i32_e32 v79, 31, v78
	s_mov_b32 s60, 0
	s_movk_i32 s22, 0x4000
	v_or_b32_e32 v109, v58, v60
	v_or_b32_e32 v110, v58, v61
	v_lshl_add_u64 v[82:83], v[78:79], 1, s[8:9]
	s_mov_b32 s35, 0x7060302
	s_movk_i32 s37, 0x2000
	s_waitcnt vmcnt(1)
	v_perm_b32 v65, v38, v46, s58
	s_waitcnt vmcnt(0)
	v_perm_b32 v66, v42, v50, s58
	v_perm_b32 v38, v38, v46, s59
	;; [unrolled: 1-line block ×15, first 2 shown]
	ds_write2st64_b32 v37, v65, v66 offset0:128 offset1:160
	ds_write2st64_b32 v54, v38, v42 offset0:128 offset1:160
	;; [unrolled: 1-line block ×8, first 2 shown]
	v_or_b32_e32 v37, 48, v88
	v_lshl_or_b32 v38, v37, 3, v36
	v_lshlrev_b32_e32 v37, 8, v37
	v_or_b32_e32 v113, v37, v60
	v_or_b32_e32 v114, v37, v61
	;; [unrolled: 1-line block ×3, first 2 shown]
	v_lshlrev_b32_e32 v37, 3, v37
	v_lshrrev_b32_e32 v39, 5, v77
	v_and_or_b32 v39, v37, s0, v39
	v_lshlrev_b32_e32 v39, 4, v39
	v_or_b32_e32 v111, 0x4000, v38
	v_or_b32_e32 v112, 0x6000, v38
	v_lshrrev_b32_e32 v38, 2, v77
	v_lshlrev_b32_e32 v41, 11, v86
	v_and_b32_e32 v37, 0x78, v37
	v_or_b32_e32 v45, 32, v39
	v_and_b32_e32 v40, 12, v38
	v_and_b32_e32 v38, 0x1000, v41
	v_xor_b32_e32 v42, v39, v37
	v_lshrrev_b32_e32 v43, 1, v77
	v_xor_b32_e32 v45, v45, v37
	v_or_b32_e32 v42, v42, v38
	v_and_b32_e32 v43, 8, v43
	v_or_b32_e32 v45, v45, v38
	v_xor_b32_e32 v115, v42, v43
	v_lshlrev_b32_e32 v42, 8, v87
	v_xor_b32_e32 v117, v45, v43
	v_or_b32_e32 v45, 64, v39
	v_or_b32_e32 v39, 0x60, v39
	;; [unrolled: 1-line block ×3, first 2 shown]
	v_xor_b32_e32 v45, v45, v37
	v_xor_b32_e32 v37, v39, v37
	s_lshl_b64 s[0:1], s[38:39], 8
	v_lshlrev_b32_e32 v44, 1, v44
	v_or_b32_e32 v45, v45, v38
	v_or_b32_e32 v37, v37, v38
	s_add_u32 s0, s18, s0
	v_lshlrev_b32_e32 v38, 1, v88
	v_lshlrev_b32_e32 v47, 2, v0
	v_or_b32_e32 v116, 0x4000, v44
	v_or_b32_e32 v118, 0x4080, v44
	;; [unrolled: 1-line block ×4, first 2 shown]
	v_xor_b32_e32 v121, v45, v43
	v_xor_b32_e32 v122, v37, v43
	v_or_b32_e32 v123, 0x6000, v44
	v_or_b32_e32 v124, 0x6080, v44
	;; [unrolled: 1-line block ×4, first 2 shown]
	v_lshlrev_b32_e32 v37, 1, v35
	v_add_lshl_u32 v35, v35, s15, 1
	v_or_b32_e32 v43, 0x100, v34
	v_lshrrev_b32_e32 v44, 4, v0
	s_addc_u32 s1, s19, s1
	v_or_b32_e32 v39, 1, v38
	v_lshrrev_b32_e32 v48, 1, v0
	v_and_or_b32 v42, v47, 60, v42
	v_xor_b32_e32 v45, v44, v38
	v_xor_b32_e32 v46, v39, v44
	v_lshl_add_u64 v[38:39], s[0:1], 0, v[80:81]
	v_and_b32_e32 v48, 24, v48
	v_lshlrev_b32_e32 v42, 1, v42
	v_cndmask_b32_e64 v133, v37, v34, s[2:3]
	v_cndmask_b32_e64 v134, v35, v43, s[2:3]
	v_mov_b32_e32 v35, 0xa000
	v_mov_b32_e32 v37, 0x8000
	v_cmp_gt_u32_e64 s[0:1], s20, v0
	v_lshlrev_b32_e32 v80, 8, v44
	v_or_b32_e32 v129, 0x6000, v42
	v_or_b32_e32 v47, 32, v48
	;; [unrolled: 1-line block ×6, first 2 shown]
	v_cndmask_b32_e64 v35, v35, v37, s[0:1]
	v_lshlrev_b32_e32 v37, 3, v86
	v_lshl_or_b32 v127, v45, 3, v80
	v_and_b32_e32 v45, 8, v0
	v_xor_b32_e32 v43, v37, v48
	v_xor_b32_e32 v47, v37, v47
	;; [unrolled: 1-line block ×3, first 2 shown]
	v_mov_b32_e32 v49, 0x400
	v_cmp_eq_u32_e32 vcc, 0, v45
	v_or_b32_e32 v48, 0x440, v43
	v_or_b32_e32 v50, 0x440, v47
	v_xor_b32_e32 v42, 0x440, v37
	v_and_b32_e32 v44, 7, v0
	v_cndmask_b32_e64 v45, v49, 64, vcc
	v_cndmask_b32_e32 v48, v48, v43, vcc
	v_cndmask_b32_e32 v47, v50, v47, vcc
	;; [unrolled: 1-line block ×3, first 2 shown]
	v_lshl_or_b32 v128, v46, 3, v80
	v_lshlrev_b32_e32 v46, 3, v44
	v_or_b32_e32 v48, v48, v41
	v_or_b32_e32 v47, v47, v41
	v_or3_b32 v43, v41, v45, v43
	v_or_b32_e32 v37, v37, v41
	v_lshlrev_b32_e32 v44, 7, v44
	v_xor_b32_e32 v48, v48, v46
	v_xor_b32_e32 v47, v47, v46
	;; [unrolled: 1-line block ×4, first 2 shown]
	v_or_b32_e32 v34, v1, v40
	v_add_u32_e32 v49, v35, v48
	v_add_u32_e32 v50, v35, v47
	v_or_b32_e32 v135, v43, v44
	v_add_u32_e32 v41, v35, v37
	v_or3_b32 v40, v1, v40, 64
	v_add_u32_e32 v42, 0xa000, v48
	v_add_u32_e32 v43, 0xa000, v47
	;; [unrolled: 1-line block ×3, first 2 shown]
	v_lshl_add_u64 v[84:85], v[38:39], 0, v[80:81]
	v_lshlrev_b32_e32 v80, 1, v36
	s_movk_i32 s39, 0x3000
	v_lshlrev_b32_e32 v79, 2, v34
	v_add_u32_e32 v136, v49, v44
	v_add_u32_e32 v137, v50, v44
	;; [unrolled: 1-line block ×4, first 2 shown]
	v_lshlrev_b32_e32 v140, 2, v40
	v_add_u32_e32 v141, v42, v44
	v_add_u32_e32 v142, v43, v44
	;; [unrolled: 1-line block ×3, first 2 shown]
	s_waitcnt lgkmcnt(0)
	s_barrier
.LBB132_6:                              ; =>This Inner Loop Header: Depth=1
	s_add_i32 s61, s60, 1
	s_cmp_lt_i32 s61, s49
	s_mov_b64 s[24:25], 0
	s_cselect_b64 s[2:3], -1, 0
	s_cmp_ge_i32 s61, s49
	s_mov_b64 s[20:21], 0
	s_cbranch_scc1 .LBB132_8
; %bb.7:                                ;   in Loop: Header=BB132_6 Depth=1
	s_add_i32 s0, s55, 64
	s_ashr_i32 s1, s0, 31
	s_add_u32 s0, s54, s0
	s_addc_u32 s1, s53, s1
	s_lshl_b64 s[0:1], s[0:1], 8
	s_add_u32 s20, s6, s0
	s_addc_u32 s21, s7, s1
.LBB132_8:                              ;   in Loop: Header=BB132_6 Depth=1
	v_cndmask_b32_e64 v34, 0, 1, s[2:3]
	v_cmp_ne_u32_e64 s[0:1], 1, v34
	s_andn2_b64 vcc, exec, s[2:3]
	s_cbranch_vccnz .LBB132_10
; %bb.9:                                ;   in Loop: Header=BB132_6 Depth=1
	s_add_i32 s2, s55, 64
	s_mul_hi_i32 s3, s2, s14
	s_mul_i32 s2, s2, s14
	s_add_u32 s2, s2, s51
	s_addc_u32 s3, s3, s56
	s_lshl_b64 s[2:3], s[2:3], 8
	s_add_u32 s24, s4, s2
	s_addc_u32 s25, s5, s3
.LBB132_10:                             ;   in Loop: Header=BB132_6 Depth=1
	v_perm_b32 v35, v25, v24, s35
	v_perm_b32 v34, v23, v22, s35
	v_perm_b32 v37, v33, v32, s35
	v_perm_b32 v36, v31, v30, s35
	ds_write_b64 v99, v[34:35]
	ds_write_b64 v100, v[36:37]
	ds_write_b64 v105, v[34:35]
	ds_write_b64 v106, v[36:37]
	v_perm_b32 v35, v17, v16, s35
	v_perm_b32 v34, v15, v14, s35
	v_perm_b32 v37, v29, v28, s35
	v_perm_b32 v36, v27, v26, s35
	ds_write_b64 v101, v[34:35]
	ds_write_b64 v102, v[36:37]
	ds_write_b64 v107, v[34:35]
	ds_write_b64 v108, v[36:37]
	;; [unrolled: 8-line block ×4, first 2 shown]
	s_waitcnt lgkmcnt(0)
	s_barrier
	ds_read_b64 v[38:39], v115 offset:49152
	ds_read2_b64 v[34:37], v116 offset1:16
	ds_read_b64 v[50:51], v118 offset:6144
	ds_read_b64 v[52:53], v116 offset:6144
	s_waitcnt lgkmcnt(2)
	v_mfma_f32_16x16x16_bf16 a[0:3], v[38:39], v[34:35], 0
	ds_read_b64 v[54:55], v117 offset:49152
	ds_read2st64_b64 v[42:45], v119 offset0:4 offset1:8
	ds_read2st64_b64 v[46:49], v120 offset0:4 offset1:8
	v_mfma_f32_16x16x16_bf16 a[4:7], v[38:39], v[36:37], 0
	ds_read2_b64 v[34:37], v116 offset0:32 offset1:48
	s_add_i32 s62, s55, 63
	s_ashr_i32 s2, s62, 31
	s_waitcnt lgkmcnt(0)
	v_mfma_f32_16x16x16_bf16 a[8:11], v[38:39], v[34:35], 0
	s_mul_i32 s3, s62, s29
	s_mul_hi_u32 s27, s62, s28
	s_add_i32 s3, s27, s3
	v_mfma_f32_16x16x16_bf16 a[12:15], v[38:39], v[36:37], 0
	ds_read2st64_b64 v[34:37], v116 offset0:4 offset1:8
	ds_read2st64_b64 v[38:41], v118 offset0:4 offset1:8
	s_mul_i32 s2, s2, s28
	s_waitcnt lgkmcnt(1)
	v_mfma_f32_16x16x16_bf16 a[0:3], v[54:55], v[34:35], a[0:3]
	s_add_i32 s3, s3, s2
	s_mul_i32 s2, s62, s28
	s_lshl_b64 s[2:3], s[2:3], 2
	s_waitcnt lgkmcnt(0)
	v_mfma_f32_16x16x16_bf16 a[4:7], v[54:55], v[38:39], a[4:7]
	s_add_u32 s2, s40, s2
	s_addc_u32 s3, s41, s3
	s_and_b64 vcc, exec, s[0:1]
	v_mfma_f32_16x16x16_bf16 a[8:11], v[54:55], v[42:43], a[8:11]
	ds_read_b64 v[34:35], v121 offset:49152
	ds_read_b64 v[38:39], v122 offset:49152
	;; [unrolled: 1-line block ×3, first 2 shown]
	v_mov_b32_e32 v146, 0
	v_mov_b32_e32 v145, 0
	v_mfma_f32_16x16x16_bf16 a[12:15], v[54:55], v[46:47], a[12:15]
	v_mov_b32_e32 v144, 0
	v_mov_b32_e32 v46, 0
	v_mov_b32_e32 v47, 0
	s_waitcnt lgkmcnt(2)
	v_mfma_f32_16x16x16_bf16 a[0:3], v[34:35], v[36:37], a[0:3]
	v_mov_b32_e32 v36, 0
	v_mov_b32_e32 v37, 0
	v_mfma_f32_16x16x16_bf16 a[16:19], v[34:35], v[40:41], a[4:7]
	v_mov_b32_e32 v40, 0
	v_mov_b32_e32 v41, 0
	v_mfma_f32_16x16x16_bf16 a[20:23], v[34:35], v[44:45], a[8:11]
	v_mov_b32_e32 v44, 0
	v_mov_b32_e32 v45, 0
	v_mfma_f32_16x16x16_bf16 a[24:27], v[34:35], v[48:49], a[12:15]
	ds_read_b64 v[34:35], v119 offset:6144
	v_mov_b32_e32 v48, 0
	v_mov_b32_e32 v49, 0
	s_waitcnt lgkmcnt(2)
	v_mfma_f32_16x16x16_bf16 a[4:7], v[38:39], v[52:53], a[0:3]
	v_mfma_f32_16x16x16_bf16 a[8:11], v[38:39], v[50:51], a[16:19]
	s_waitcnt lgkmcnt(0)
	v_mfma_f32_16x16x16_bf16 a[12:15], v[38:39], v[34:35], a[20:23]
	v_mov_b32_e32 v34, 0
	v_mov_b32_e32 v35, 0
	v_mfma_f32_16x16x16_bf16 a[0:3], v[38:39], v[42:43], a[24:27]
	v_mov_b32_e32 v38, 0
	v_mov_b32_e32 v39, 0
	;; [unrolled: 1-line block ×4, first 2 shown]
	s_cbranch_vccnz .LBB132_12
; %bb.11:                               ;   in Loop: Header=BB132_6 Depth=1
	s_and_b32 s21, s21, 0xffff
	buffer_load_dwordx4 v[46:49], v95, s[20:23], 0 offen
	buffer_load_dwordx4 v[42:45], v95, s[20:23], s57 offen
	;; [unrolled: 1-line block ×4, first 2 shown]
	v_mov_b32_e32 v145, v97
	v_mov_b32_e32 v144, v98
.LBB132_12:                             ;   in Loop: Header=BB132_6 Depth=1
	ds_read_b64 v[66:67], v115 offset:57344
	ds_read2_b64 v[50:53], v123 offset1:16
	ds_read_b64 v[68:69], v117 offset:57344
	ds_read_b64 v[70:71], v121 offset:57344
	;; [unrolled: 1-line block ×3, first 2 shown]
	v_add_u32_e32 v74, s55, v91
	s_waitcnt lgkmcnt(3)
	v_mfma_f32_16x16x16_bf16 a[4:7], v[66:67], v[50:51], a[4:7]
	v_mfma_f32_16x16x16_bf16 a[8:11], v[66:67], v[52:53], a[8:11]
	ds_read2_b64 v[50:53], v123 offset0:32 offset1:48
	ds_read2st64_b64 v[54:57], v123 offset0:4 offset1:8
	ds_read2st64_b64 v[58:61], v124 offset0:4 offset1:8
	;; [unrolled: 1-line block ×3, first 2 shown]
	s_waitcnt lgkmcnt(3)
	v_mfma_f32_16x16x16_bf16 a[12:15], v[66:67], v[50:51], a[12:15]
	v_ashrrev_i32_e32 v50, 31, v74
	v_mfma_f32_16x16x16_bf16 a[0:3], v[66:67], v[52:53], a[0:3]
	v_mul_lo_u32 v52, v50, s28
	v_mul_lo_u32 v53, v74, s29
	v_mad_u64_u32 v[50:51], s[20:21], v74, s28, 0
	v_add3_u32 v51, v51, v53, v52
	v_add_u32_e32 v52, 1, v74
	v_ashrrev_i32_e32 v53, 31, v52
	s_waitcnt lgkmcnt(2)
	v_mfma_f32_16x16x16_bf16 a[4:7], v[68:69], v[54:55], a[4:7]
	v_mul_lo_u32 v54, v53, s28
	v_mul_lo_u32 v55, v52, s29
	v_mad_u64_u32 v[52:53], s[20:21], v52, s28, 0
	v_add3_u32 v53, v53, v55, v54
	v_add_u32_e32 v54, 2, v74
	v_ashrrev_i32_e32 v55, 31, v54
	s_waitcnt lgkmcnt(1)
	v_mfma_f32_16x16x16_bf16 a[8:11], v[68:69], v[58:59], a[8:11]
	v_mul_lo_u32 v58, v55, s28
	v_mul_lo_u32 v59, v54, s29
	v_mad_u64_u32 v[54:55], s[20:21], v54, s28, 0
	v_add3_u32 v55, v55, v59, v58
	v_add_u32_e32 v58, 3, v74
	v_ashrrev_i32_e32 v59, 31, v58
	v_mul_lo_u32 v66, v59, s28
	v_mul_lo_u32 v67, v58, s29
	v_mad_u64_u32 v[58:59], s[20:21], v58, s28, 0
	s_ashr_i32 s21, s55, 31
	s_add_u32 s20, s54, s55
	s_addc_u32 s21, s53, s21
	v_lshl_add_u64 v[50:51], v[50:51], 2, s[40:41]
	v_add3_u32 v59, v59, v67, v66
	s_lshl_b64 s[20:21], s[20:21], 8
	v_lshl_add_u64 v[52:53], v[52:53], 2, s[40:41]
	v_lshl_add_u64 v[54:55], v[54:55], 2, s[40:41]
	;; [unrolled: 1-line block ×3, first 2 shown]
	global_load_dword v66, v[50:51], off
	global_load_dword v67, v[52:53], off
	global_load_dword v74, v[54:55], off
	global_load_dword v75, v[58:59], off
	v_lshl_add_u64 v[50:51], v[82:83], 0, s[20:21]
	v_lshl_add_u64 v[54:55], v[50:51], 0, v[80:81]
	global_load_ushort v76, v[54:55], off offset:256
	global_load_ushort v147, v[54:55], off
	ds_read2st64_b64 v[50:53], v126 offset0:4 offset1:8
	global_load_ushort v148, v[54:55], off offset:768
	global_load_ushort v149, v[54:55], off offset:512
	s_waitcnt lgkmcnt(1)
	v_mfma_f32_16x16x16_bf16 a[12:15], v[68:69], v[62:63], a[12:15]
	s_and_b64 vcc, exec, s[0:1]
	s_waitcnt vmcnt(3)
	v_lshlrev_b32_e32 v63, 16, v76
	s_waitcnt lgkmcnt(0)
	v_mfma_f32_16x16x16_bf16 a[0:3], v[68:69], v[50:51], a[0:3]
	global_load_ushort v68, v[54:55], off offset:288
	global_load_ushort v69, v[54:55], off offset:32
	;; [unrolled: 1-line block ×8, first 2 shown]
	v_mfma_f32_16x16x16_bf16 a[4:7], v[70:71], v[56:57], a[4:7]
	ds_read_b64 v[50:51], v123 offset:6144
	s_waitcnt vmcnt(10)
	v_lshlrev_b32_e32 v62, 16, v147
	v_mov_b32_e32 v147, 0
	v_mfma_f32_16x16x16_bf16 a[8:11], v[70:71], v[60:61], a[8:11]
	v_mfma_f32_16x16x16_bf16 a[12:15], v[70:71], v[64:65], a[12:15]
	;; [unrolled: 1-line block ×3, first 2 shown]
	global_load_ushort v70, v[54:55], off offset:352
	global_load_ushort v71, v[54:55], off offset:96
	ds_read_b64 v[52:53], v124 offset:6144
	ds_read_b64 v[56:57], v125 offset:6144
	;; [unrolled: 1-line block ×3, first 2 shown]
	global_load_ushort v156, v[54:55], off offset:864
	global_load_ushort v157, v[54:55], off offset:608
	s_load_dword s2, s[2:3], 0x0
	s_waitcnt lgkmcnt(0)
	v_mfma_f32_16x16x16_bf16 a[4:7], v[72:73], v[50:51], a[4:7]
	v_sub_f32_e32 v60, s2, v74
	v_mfma_f32_16x16x16_bf16 a[0:3], v[72:73], v[58:59], a[0:3]
	v_sub_f32_e32 v58, s2, v66
	v_sub_f32_e32 v59, s2, v67
	;; [unrolled: 1-line block ×3, first 2 shown]
	v_mfma_f32_16x16x16_bf16 a[8:11], v[72:73], v[52:53], a[8:11]
	v_exp_f32_e32 v58, v58
	v_exp_f32_e32 v59, v59
	;; [unrolled: 1-line block ×4, first 2 shown]
	v_accvgpr_read_b32 v65, a5
	v_accvgpr_read_b32 v64, a4
	;; [unrolled: 1-line block ×4, first 2 shown]
	v_pk_add_f32 v[62:63], v[62:63], v[64:65] neg_lo:[0,1] neg_hi:[0,1]
	s_waitcnt vmcnt(13)
	v_lshlrev_b32_e32 v65, 16, v148
	s_waitcnt vmcnt(12)
	v_lshlrev_b32_e32 v64, 16, v149
	v_pk_add_f32 v[50:51], v[64:65], v[50:51] neg_lo:[0,1] neg_hi:[0,1]
	v_pk_mul_f32 v[62:63], v[58:59], v[62:63]
	v_pk_mul_f32 v[50:51], v[60:61], v[50:51]
	v_accvgpr_read_b32 v65, a9
	v_perm_b32 v51, v51, v50, s35
	v_perm_b32 v50, v63, v62, s35
	v_accvgpr_read_b32 v64, a8
	v_accvgpr_read_b32 v53, a11
	v_mfma_f32_16x16x16_bf16 a[12:15], v[72:73], v[56:57], a[12:15]
	v_accvgpr_read_b32 v52, a10
	v_accvgpr_read_b32 v57, a3
	;; [unrolled: 1-line block ×3, first 2 shown]
	s_waitcnt vmcnt(11)
	v_lshlrev_b32_e32 v63, 16, v68
	s_waitcnt vmcnt(10)
	v_lshlrev_b32_e32 v62, 16, v69
	v_pk_add_f32 v[62:63], v[62:63], v[64:65] neg_lo:[0,1] neg_hi:[0,1]
	s_waitcnt vmcnt(9)
	v_lshlrev_b32_e32 v65, 16, v150
	s_waitcnt vmcnt(8)
	v_lshlrev_b32_e32 v64, 16, v151
	v_pk_add_f32 v[52:53], v[64:65], v[52:53] neg_lo:[0,1] neg_hi:[0,1]
	v_pk_mul_f32 v[62:63], v[58:59], v[62:63]
	v_pk_mul_f32 v[52:53], v[60:61], v[52:53]
	v_accvgpr_read_b32 v55, a15
	v_perm_b32 v53, v53, v52, s35
	v_perm_b32 v52, v63, v62, s35
	ds_write2_b64 v100, v[50:51], v[52:53] offset1:16
	v_accvgpr_read_b32 v53, a13
	s_waitcnt vmcnt(7)
	v_lshlrev_b32_e32 v51, 16, v152
	s_waitcnt vmcnt(6)
	v_lshlrev_b32_e32 v50, 16, v153
	v_accvgpr_read_b32 v52, a12
	v_accvgpr_read_b32 v54, a14
	v_pk_add_f32 v[50:51], v[50:51], v[52:53] neg_lo:[0,1] neg_hi:[0,1]
	s_waitcnt vmcnt(5)
	v_lshlrev_b32_e32 v53, 16, v154
	s_waitcnt vmcnt(4)
	v_lshlrev_b32_e32 v52, 16, v155
	v_pk_add_f32 v[52:53], v[52:53], v[54:55] neg_lo:[0,1] neg_hi:[0,1]
	v_pk_mul_f32 v[50:51], v[58:59], v[50:51]
	v_pk_mul_f32 v[52:53], v[60:61], v[52:53]
	v_accvgpr_read_b32 v55, a1
	v_perm_b32 v53, v53, v52, s35
	v_perm_b32 v52, v51, v50, s35
	s_waitcnt vmcnt(3)
	v_lshlrev_b32_e32 v51, 16, v70
	s_waitcnt vmcnt(2)
	v_lshlrev_b32_e32 v50, 16, v71
	v_accvgpr_read_b32 v54, a0
	v_pk_add_f32 v[50:51], v[50:51], v[54:55] neg_lo:[0,1] neg_hi:[0,1]
	s_waitcnt vmcnt(1)
	v_lshlrev_b32_e32 v55, 16, v156
	s_waitcnt vmcnt(0)
	v_lshlrev_b32_e32 v54, 16, v157
	v_pk_add_f32 v[54:55], v[54:55], v[56:57] neg_lo:[0,1] neg_hi:[0,1]
	v_pk_mul_f32 v[50:51], v[58:59], v[50:51]
	v_pk_mul_f32 v[54:55], v[60:61], v[54:55]
	v_mov_b32_e32 v56, 0
	v_perm_b32 v55, v55, v54, s35
	v_perm_b32 v54, v51, v50, s35
	ds_write2_b64 v100, v[52:53], v[54:55] offset0:32 offset1:48
	v_mov_b32_e32 v50, 0
	v_mov_b32_e32 v51, 0
	;; [unrolled: 1-line block ×15, first 2 shown]
	s_cbranch_vccnz .LBB132_14
; %bb.13:                               ;   in Loop: Header=BB132_6 Depth=1
	s_and_b32 s25, s25, 0xffff
	s_mov_b32 s27, s23
	buffer_load_dwordx4 v[62:65], v133, s[24:27], 0 offen
	buffer_load_dwordx4 v[54:57], v133, s[24:27], s57 offen
	;; [unrolled: 1-line block ×4, first 2 shown]
	v_mov_b32_e32 v146, v94
	v_mov_b32_e32 v147, v93
.LBB132_14:                             ;   in Loop: Header=BB132_6 Depth=1
	s_waitcnt lgkmcnt(0)
	s_barrier
	ds_read_b64 v[74:75], v136
	ds_read2_b64 v[66:69], v129 offset1:16
	ds_read_b64 v[164:165], v137
	ds_read_b64 v[166:167], v138
	ds_read_b64 v[168:169], v139
	ds_read2_b64 v[70:73], v129 offset0:32 offset1:48
	ds_read2st64_b64 v[148:151], v129 offset0:4 offset1:8
	ds_read2st64_b64 v[152:155], v130 offset0:4 offset1:8
	;; [unrolled: 1-line block ×4, first 2 shown]
	s_waitcnt lgkmcnt(8)
	v_mfma_f32_16x16x16_bf16 a[0:3], v[74:75], v[66:67], 0
	s_add_i32 s3, s52, s60
	s_mul_hi_i32 s21, s3, s13
	s_mul_i32 s3, s3, s13
	v_mfma_f32_16x16x16_bf16 a[4:7], v[74:75], v[68:69], 0
	s_add_u32 s20, s3, s47
	s_addc_u32 s21, s21, s48
	s_lshl_b64 s[20:21], s[20:21], 15
	s_waitcnt lgkmcnt(4)
	v_mfma_f32_16x16x16_bf16 a[8:11], v[74:75], v[70:71], 0
	s_mul_i32 s24, s62, s13
	s_mul_hi_i32 s3, s62, s13
	s_add_u32 s24, s24, s47
	v_mfma_f32_16x16x16_bf16 a[12:15], v[74:75], v[72:73], 0
	ds_read_b64 v[74:75], v129 offset:6144
	ds_read_b64 v[176:177], v130 offset:6144
	;; [unrolled: 1-line block ×4, first 2 shown]
	s_addc_u32 s25, s3, s48
	s_waitcnt lgkmcnt(7)
	v_mfma_f32_16x16x16_bf16 a[0:3], v[164:165], v[148:149], a[0:3]
	s_lshl_b64 s[24:25], s[24:25], 9
	s_add_u32 s24, s16, s24
	s_addc_u32 s25, s17, s25
	s_waitcnt lgkmcnt(6)
	v_mfma_f32_16x16x16_bf16 a[4:7], v[164:165], v[152:153], a[4:7]
	v_lshl_add_u64 v[186:187], v[84:85], 0, s[20:21]
	s_waitcnt lgkmcnt(5)
	v_mfma_f32_16x16x16_bf16 a[8:11], v[164:165], v[156:157], a[8:11]
	s_waitcnt lgkmcnt(4)
	v_mfma_f32_16x16x16_bf16 a[12:15], v[164:165], v[160:161], a[12:15]
	ds_read_b64 v[164:165], v141
	ds_read_b64 v[174:175], v142
	ds_read_b64 v[182:183], v143
	s_waitcnt lgkmcnt(2)
	v_mfma_f32_16x16x16_bf16 a[16:19], v[164:165], v[66:67], 0
	v_mfma_f32_16x16x16_bf16 a[20:23], v[164:165], v[68:69], 0
	global_load_dwordx4 v[66:69], v140, s[24:25]
	v_mfma_f32_16x16x16_bf16 a[24:27], v[164:165], v[70:71], 0
	v_mfma_f32_16x16x16_bf16 a[28:31], v[164:165], v[72:73], 0
	global_load_dwordx4 v[70:73], v79, s[24:25]
	v_mfma_f32_16x16x16_bf16 a[0:3], v[166:167], v[150:151], a[0:3]
	v_mfma_f32_16x16x16_bf16 a[4:7], v[166:167], v[154:155], a[4:7]
	;; [unrolled: 1-line block ×8, first 2 shown]
	ds_read2st64_b64 v[164:167], v127 offset1:8
	ds_read2st64_b64 v[168:171], v128 offset1:8
	ds_read_b64 v[184:185], v135 offset:40960
	s_waitcnt lgkmcnt(2)
	v_mov_b32_e32 v172, v164
	v_mfma_f32_16x16x16_bf16 a[16:19], v[174:175], v[148:149], a[16:19]
	v_mov_b32_e32 v173, v165
	v_mfma_f32_16x16x16_bf16 a[20:23], v[174:175], v[152:153], a[20:23]
	v_mfma_f32_16x16x16_bf16 a[24:27], v[174:175], v[156:157], a[24:27]
	;; [unrolled: 1-line block ×3, first 2 shown]
	v_add_co_u32_e32 v160, vcc, s37, v186
	s_waitcnt lgkmcnt(1)
	v_mov_b32_e32 v174, v168
	s_waitcnt lgkmcnt(0)
	v_mfma_f32_16x16x16_bf16 a[16:19], v[184:185], v[150:151], a[16:19]
	ds_read2st64_b64 v[148:151], v127 offset0:16 offset1:24
	v_addc_co_u32_e32 v161, vcc, 0, v187, vcc
	v_mfma_f32_16x16x16_bf16 a[20:23], v[184:185], v[154:155], a[20:23]
	ds_read2st64_b64 v[152:155], v128 offset0:16 offset1:24
	v_mov_b32_e32 v175, v169
	v_mov_b32_e32 v168, v166
	v_mfma_f32_16x16x16_bf16 a[32:35], v[184:185], v[158:159], a[24:27]
	v_mov_b32_e32 v169, v167
	s_waitcnt lgkmcnt(0)
	v_mov_b32_e32 v158, v152
	v_mov_b32_e32 v159, v153
	v_mfma_f32_16x16x16_bf16 a[36:39], v[184:185], v[162:163], a[28:31]
	v_mov_b32_e32 v152, v150
	v_mov_b32_e32 v153, v151
	;; [unrolled: 1-line block ×3, first 2 shown]
	v_mfma_f32_16x16x16_bf16 a[24:27], v[182:183], v[74:75], a[16:19]
	v_add_co_u32_e32 v74, vcc, s39, v186
	v_mov_b32_e32 v157, v149
	v_mfma_f32_16x16x16_bf16 a[28:31], v[182:183], v[176:177], a[20:23]
	v_addc_co_u32_e32 v75, vcc, 0, v187, vcc
	global_store_dwordx4 v[74:75], v[152:155], off
	v_mfma_f32_16x16x16_bf16 a[16:19], v[182:183], v[178:179], a[32:35]
	s_waitcnt vmcnt(2)
	v_mov_b32_e32 v76, v69
	v_mov_b32_e32 v75, v68
	;; [unrolled: 1-line block ×3, first 2 shown]
	v_mfma_f32_16x16x16_bf16 a[20:23], v[182:183], v[180:181], a[36:39]
	s_and_b64 vcc, exec, s[0:1]
	global_store_dwordx4 v[186:187], v[172:175], off
	global_store_dwordx4 v[160:161], v[168:171], off offset:-4096
	global_store_dwordx4 v[160:161], v[156:159], off
	s_cbranch_vccnz .LBB132_16
; %bb.15:                               ;   in Loop: Header=BB132_6 Depth=1
	v_lshrrev_b32_e32 v67, 3, v146
	v_and_b32_e32 v67, 6, v67
	v_xor_b32_e32 v68, v67, v147
	v_lshlrev_b32_e32 v68, 2, v68
	v_and_b32_e32 v69, 8, v146
	v_xor_b32_e32 v146, 0x440, v68
	v_cmp_eq_u32_e32 vcc, 0, v69
	v_perm_b32 v69, v54, v50, s58
	s_nop 0
	v_cndmask_b32_e32 v68, v146, v68, vcc
	v_lshl_or_b32 v67, v67, 10, v68
	v_perm_b32 v68, v62, v58, s58
	s_barrier
	ds_write2st64_b32 v67, v68, v69 offset0:128 offset1:160
	v_xor_b32_e32 v68, 8, v67
	v_perm_b32 v58, v62, v58, s59
	v_perm_b32 v50, v54, v50, s59
	v_add_u32_e32 v54, 0x80, v68
	ds_write2st64_b32 v54, v58, v50 offset0:128 offset1:160
	v_xor_b32_e32 v50, 16, v67
	v_perm_b32 v54, v63, v59, s58
	v_perm_b32 v58, v55, v51, s58
	ds_write2st64_b32 v50, v54, v58 offset0:129 offset1:161
	v_xor_b32_e32 v50, 24, v67
	v_perm_b32 v54, v63, v59, s59
	v_perm_b32 v51, v55, v51, s59
	v_add_u32_e32 v50, 0x80, v50
	ds_write2st64_b32 v50, v54, v51 offset0:129 offset1:161
	v_xor_b32_e32 v50, 32, v67
	v_perm_b32 v51, v64, v60, s58
	v_perm_b32 v54, v56, v52, s58
	;; [unrolled: 9-line block ×3, first 2 shown]
	ds_write2st64_b32 v50, v51, v52 offset0:131 offset1:163
	v_xor_b32_e32 v50, 56, v67
	v_perm_b32 v51, v65, v61, s59
	v_perm_b32 v52, v57, v53, s59
	v_add_u32_e32 v50, 0x80, v50
	ds_write2st64_b32 v50, v51, v52 offset0:131 offset1:163
	ds_write_b64 v145, v[46:47] offset:49152
	v_xor_b32_e32 v46, 8, v145
	ds_write_b64 v46, v[48:49] offset:49152
	ds_write_b64 v145, v[42:43] offset:57344
	;; [unrolled: 1-line block ×4, first 2 shown]
	v_xor_b32_e32 v38, 8, v144
	ds_write_b64 v38, v[40:41] offset:49152
	ds_write_b64 v144, v[34:35] offset:57344
	ds_write_b64 v38, v[36:37] offset:57344
.LBB132_16:                             ;   in Loop: Header=BB132_6 Depth=1
	v_exp_f32_e32 v68, s2
	s_waitcnt vmcnt(4)
	v_exp_f32_e32 v70, v70
	v_exp_f32_e32 v71, v71
	v_exp_f32_e32 v72, v72
	v_exp_f32_e32 v73, v73
	v_accvgpr_read_b32 v37, a3
	v_accvgpr_read_b32 v36, a2
	;; [unrolled: 1-line block ×4, first 2 shown]
	v_pk_mul_f32 v[70:71], v[68:69], v[70:71] op_sel_hi:[0,1]
	v_pk_mul_f32 v[72:73], v[68:69], v[72:73] op_sel_hi:[0,1]
	v_pk_fma_f32 v[22:23], v[22:23], v[70:71], v[34:35]
	v_pk_fma_f32 v[24:25], v[24:25], v[72:73], v[36:37]
	v_exp_f32_e32 v34, v66
	v_exp_f32_e32 v35, v74
	;; [unrolled: 1-line block ×4, first 2 shown]
	v_accvgpr_read_b32 v41, a7
	v_accvgpr_read_b32 v45, a11
	;; [unrolled: 1-line block ×28, first 2 shown]
	v_pk_mul_f32 v[34:35], v[68:69], v[34:35] op_sel_hi:[0,1]
	v_pk_mul_f32 v[36:37], v[68:69], v[36:37] op_sel_hi:[0,1]
	s_add_i32 s55, s55, 64
	v_pk_fma_f32 v[14:15], v[70:71], v[14:15], v[38:39]
	v_pk_fma_f32 v[16:17], v[72:73], v[16:17], v[40:41]
	v_pk_fma_f32 v[6:7], v[70:71], v[6:7], v[42:43]
	v_pk_fma_f32 v[8:9], v[72:73], v[8:9], v[44:45]
	v_pk_fma_f32 v[2:3], v[70:71], v[2:3], v[46:47]
	v_pk_fma_f32 v[4:5], v[72:73], v[4:5], v[48:49]
	v_pk_fma_f32 v[30:31], v[30:31], v[34:35], v[50:51]
	v_pk_fma_f32 v[32:33], v[32:33], v[36:37], v[52:53]
	v_pk_fma_f32 v[26:27], v[34:35], v[26:27], v[54:55]
	v_pk_fma_f32 v[28:29], v[36:37], v[28:29], v[56:57]
	v_pk_fma_f32 v[18:19], v[34:35], v[18:19], v[58:59]
	v_pk_fma_f32 v[20:21], v[36:37], v[20:21], v[60:61]
	v_pk_fma_f32 v[10:11], v[34:35], v[10:11], v[62:63]
	s_cmp_eq_u32 s49, s61
	v_pk_fma_f32 v[12:13], v[36:37], v[12:13], v[64:65]
	s_cbranch_scc1 .LBB132_18
; %bb.17:                               ;   in Loop: Header=BB132_6 Depth=1
	s_mov_b32 s60, s61
	s_branch .LBB132_6
.LBB132_18:
	s_lshl_b32 s26, s49, 6
	s_sub_i32 s27, s50, s26
	s_cmp_gt_i32 s27, 0
	s_cbranch_scc0 .LBB132_99
; %bb.19:
	s_add_i32 s26, s26, s30
	s_ashr_i32 s2, s26, 31
	s_cmpk_lg_i32 s15, 0x80
	s_cselect_b64 s[22:23], -1, 0
	s_and_b64 vcc, exec, s[22:23]
	s_cbranch_vccz .LBB132_21
; %bb.20:
	s_mul_i32 s1, s26, s14
	s_ashr_i32 s3, s51, 31
	s_mul_hi_i32 s0, s26, s14
	s_add_u32 s24, s1, s51
	s_addc_u32 s25, s0, s3
	s_cbranch_execz .LBB132_22
	s_branch .LBB132_23
.LBB132_21:
                                        ; implicit-def: $sgpr24_sgpr25
.LBB132_22:
	s_mul_i32 s1, s51, s12
	s_mul_hi_i32 s0, s51, s12
	s_add_u32 s24, s1, s26
	s_addc_u32 s25, s0, s2
.LBB132_23:
	s_waitcnt lgkmcnt(0)
	s_add_i32 s3, s49, s52
	s_add_u32 s0, s54, s26
	s_addc_u32 s1, s53, s2
	v_lshlrev_b32_e32 v35, 6, v91
	v_lshlrev_b32_e32 v34, 2, v88
	s_mov_b32 s2, 0x7060302
	s_waitcnt vmcnt(7)
	v_perm_b32 v25, v25, v24, s2
	v_perm_b32 v24, v23, v22, s2
	s_waitcnt vmcnt(6)
	v_perm_b32 v22, v31, v30, s2
	v_or_b32_e32 v30, v35, v34
	v_xor_b32_e32 v36, v91, v34
	v_perm_b32 v23, v33, v32, s2
	v_lshlrev_b32_e32 v30, 1, v30
	ds_write2st64_b64 v30, v[24:25], v[22:23] offset0:32 offset1:48
	v_lshlrev_b32_e32 v30, 1, v36
	v_lshlrev_b32_e32 v31, 8, v88
	v_xor_b32_e32 v37, v92, v34
	v_or_b32_e32 v32, v30, v31
	ds_write_b64 v32, v[24:25]
	v_lshlrev_b32_e32 v24, 1, v37
	v_or_b32_e32 v25, v24, v31
	ds_write_b64 v25, v[22:23]
	v_or_b32_e32 v22, 16, v88
	v_lshlrev_b32_e32 v23, 2, v22
	v_or_b32_e32 v25, v35, v23
	s_waitcnt vmcnt(5)
	v_perm_b32 v17, v17, v16, s2
	v_perm_b32 v16, v15, v14, s2
	s_waitcnt vmcnt(4)
	v_perm_b32 v15, v29, v28, s2
	v_perm_b32 v14, v27, v26, s2
	v_lshlrev_b32_e32 v25, 1, v25
	v_lshlrev_b32_e32 v22, 8, v22
	ds_write2st64_b64 v25, v[16:17], v[14:15] offset0:32 offset1:48
	v_or_b32_e32 v25, v30, v22
	ds_write_b64 v25, v[16:17]
	v_or_b32_e32 v16, v24, v22
	ds_write_b64 v16, v[14:15]
	v_or_b32_e32 v14, 32, v88
	v_lshlrev_b32_e32 v22, 2, v14
	v_or_b32_e32 v15, v35, v22
	s_waitcnt vmcnt(3)
	v_perm_b32 v9, v9, v8, s2
	v_perm_b32 v8, v7, v6, s2
	s_waitcnt vmcnt(2)
	v_perm_b32 v7, v21, v20, s2
	v_perm_b32 v6, v19, v18, s2
	v_lshlrev_b32_e32 v15, 1, v15
	v_lshlrev_b32_e32 v14, 8, v14
	s_lshl_b64 s[20:21], s[0:1], 8
	ds_write2st64_b64 v15, v[8:9], v[6:7] offset0:32 offset1:48
	v_or_b32_e32 v15, v30, v14
	s_add_u32 s0, s6, s20
	ds_write_b64 v15, v[8:9]
	v_or_b32_e32 v8, v24, v14
	s_addc_u32 s1, s7, s21
	ds_write_b64 v8, v[6:7]
	v_or_b32_e32 v6, 48, v88
	s_mul_hi_i32 s6, s3, s13
	s_mul_i32 s3, s3, s13
	s_waitcnt vmcnt(1)
	v_perm_b32 v5, v5, v4, s2
	v_perm_b32 v4, v3, v2, s2
	s_waitcnt vmcnt(0)
	v_perm_b32 v3, v13, v12, s2
	v_perm_b32 v2, v11, v10, s2
	v_lshlrev_b32_e32 v19, 2, v6
	s_add_u32 s2, s3, s47
	v_or_b32_e32 v7, v35, v19
	s_addc_u32 s3, s6, s48
	v_lshlrev_b32_e32 v7, 1, v7
	v_lshlrev_b32_e32 v6, 8, v6
	s_ashr_i32 s39, s38, 31
	s_lshl_b64 s[2:3], s[2:3], 15
	ds_write2st64_b64 v7, v[4:5], v[2:3] offset0:32 offset1:48
	v_or_b32_e32 v7, v30, v6
	s_add_u32 s6, s18, s2
	ds_write_b64 v7, v[4:5]
	v_or_b32_e32 v4, v24, v6
	s_addc_u32 s7, s19, s3
	s_lshl_b64 s[2:3], s[38:39], 8
	ds_write_b64 v4, v[2:3]
	s_add_u32 s2, s6, s2
	v_lshlrev_b32_e32 v3, 1, v88
	v_lshrrev_b32_e32 v2, 4, v0
	s_addc_u32 s3, s7, s3
	v_or_b32_e32 v4, 1, v3
	v_lshlrev_b32_e32 v10, 4, v88
	v_mov_b32_e32 v11, 0
	v_xor_b32_e32 v3, v2, v3
	v_xor_b32_e32 v6, v4, v2
	v_lshl_add_u64 v[12:13], s[2:3], 0, v[10:11]
	v_lshlrev_b32_e32 v10, 8, v2
	v_lshl_or_b32 v16, v3, 3, v10
	v_lshl_or_b32 v17, v6, 3, v10
	s_waitcnt lgkmcnt(0)
	s_barrier
	ds_read2st64_b64 v[2:5], v16 offset1:8
	ds_read2st64_b64 v[6:9], v17 offset1:8
	v_lshl_add_u64 v[14:15], v[12:13], 0, v[10:11]
	s_movk_i32 s2, 0x2000
	s_cmp_lg_u32 s27, 64
	s_waitcnt lgkmcnt(1)
	v_mov_b32_e32 v10, v2
	v_mov_b32_e32 v11, v3
	s_waitcnt lgkmcnt(0)
	v_mov_b32_e32 v12, v6
	v_mov_b32_e32 v13, v7
	global_store_dwordx4 v[14:15], v[10:13], off
	v_mov_b32_e32 v6, v4
	v_mov_b32_e32 v7, v5
	ds_read2st64_b64 v[2:5], v16 offset0:16 offset1:24
	ds_read2st64_b64 v[10:13], v17 offset0:16 offset1:24
	v_add_co_u32_e32 v16, vcc, s2, v14
	s_cselect_b64 s[6:7], -1, 0
	s_nop 0
	v_addc_co_u32_e32 v17, vcc, 0, v15, vcc
	global_store_dwordx4 v[16:17], v[6:9], off offset:-4096
	v_lshl_or_b32 v24, v86, 3, v90
	s_mov_b32 s16, 0
	s_waitcnt lgkmcnt(1)
	v_mov_b32_e32 v6, v2
	v_add_co_u32_e32 v2, vcc, 0x3000, v14
	v_mov_b32_e32 v7, v3
	s_nop 0
	v_addc_co_u32_e32 v3, vcc, 0, v15, vcc
	s_waitcnt lgkmcnt(0)
	v_mov_b32_e32 v8, v10
	v_mov_b32_e32 v9, v11
	;; [unrolled: 1-line block ×4, first 2 shown]
	v_or_b32_e32 v20, 32, v24
	v_and_b32_e32 v18, 56, v89
	s_and_b64 vcc, exec, s[6:7]
	global_store_dwordx4 v[16:17], v[6:9], off
	global_store_dwordx4 v[2:3], v[10:13], off
	s_cbranch_vccz .LBB132_29
; %bb.24:
	s_mov_b32 s17, s16
	s_mov_b32 s18, s16
	;; [unrolled: 1-line block ×3, first 2 shown]
	v_mov_b64_e32 v[6:7], s[16:17]
	v_mov_b64_e32 v[8:9], s[18:19]
	;; [unrolled: 1-line block ×3, first 2 shown]
	v_cmp_gt_i32_e32 vcc, s27, v24
	v_mov_b64_e32 v[4:5], v[8:9]
	s_and_saveexec_b64 s[2:3], vcc
	s_cbranch_execz .LBB132_26
; %bb.25:
	v_lshlrev_b32_e32 v2, 8, v24
	v_mov_b32_e32 v3, 0
	v_lshl_add_u64 v[4:5], s[0:1], 0, v[2:3]
	v_lshlrev_b32_e32 v2, 1, v18
	v_lshl_add_u64 v[10:11], v[4:5], 0, v[2:3]
	global_load_dwordx4 v[6:9], v[10:11], off
	global_load_dwordx4 v[2:5], v[10:11], off offset:128
.LBB132_26:
	s_or_b64 exec, exec, s[2:3]
	s_mov_b32 s17, s16
	s_mov_b32 s18, s16
	;; [unrolled: 1-line block ×3, first 2 shown]
	v_mov_b64_e32 v[14:15], s[16:17]
	v_mov_b64_e32 v[16:17], s[18:19]
	;; [unrolled: 1-line block ×3, first 2 shown]
	v_cmp_gt_i32_e32 vcc, s27, v20
	v_lshlrev_b32_e32 v21, 7, v20
	v_mov_b64_e32 v[12:13], v[16:17]
	s_and_saveexec_b64 s[2:3], vcc
	s_cbranch_execz .LBB132_28
; %bb.27:
	v_lshlrev_b32_e32 v10, 1, v21
	v_mov_b32_e32 v11, 0
	v_lshl_add_u64 v[12:13], s[0:1], 0, v[10:11]
	v_lshlrev_b32_e32 v10, 1, v18
	v_lshl_add_u64 v[26:27], v[12:13], 0, v[10:11]
	global_load_dwordx4 v[14:17], v[26:27], off
	global_load_dwordx4 v[10:13], v[26:27], off offset:128
.LBB132_28:
	s_or_b64 exec, exec, s[2:3]
	v_lshrrev_b32_e32 v25, 3, v18
	v_lshlrev_b32_e32 v26, 3, v24
	v_or_b32_e32 v25, v26, v25
	v_lshlrev_b32_e32 v25, 4, v25
	v_and_b32_e32 v26, 0x78, v26
	v_xor_b32_e32 v25, v25, v26
	s_branch .LBB132_31
.LBB132_29:
                                        ; implicit-def: $vgpr25
                                        ; implicit-def: $vgpr21
                                        ; implicit-def: $vgpr6_vgpr7_vgpr8_vgpr9
                                        ; implicit-def: $vgpr2_vgpr3_vgpr4_vgpr5
                                        ; implicit-def: $vgpr14_vgpr15_vgpr16_vgpr17
                                        ; implicit-def: $vgpr10_vgpr11_vgpr12_vgpr13
	s_cbranch_execz .LBB132_31
; %bb.30:
	s_waitcnt vmcnt(0)
	v_lshlrev_b32_e32 v2, 1, v18
	v_lshl_or_b32 v21, v24, 8, v2
	s_and_b32 s1, s1, 0xffff
	s_mov_b32 s3, 0x20000
	s_movk_i32 s2, 0x4000
	v_lshl_or_b32 v25, v20, 8, v2
	s_movk_i32 s12, 0x80
	buffer_load_dwordx4 v[6:9], v21, s[0:3], 0 offen
	buffer_load_dwordx4 v[2:5], v21, s[0:3], s12 offen
	;; [unrolled: 1-line block ×4, first 2 shown]
	v_lshrrev_b32_e32 v21, 3, v18
	v_lshlrev_b32_e32 v25, 3, v24
	v_or_b32_e32 v21, v25, v21
	v_lshlrev_b32_e32 v21, 4, v21
	v_and_b32_e32 v25, 0x78, v25
	v_xor_b32_e32 v25, v21, v25
	v_lshlrev_b32_e32 v21, 7, v20
.LBB132_31:
	s_movk_i32 s0, 0x1000
	v_and_or_b32 v20, v21, s0, v25
	s_waitcnt vmcnt(1)
	ds_write_b64 v25, v[6:7] offset:49152
	v_xor_b32_e32 v6, 8, v25
	ds_write_b64 v6, v[8:9] offset:49152
	s_waitcnt vmcnt(0)
	ds_write_b64 v25, v[2:3] offset:57344
	ds_write_b64 v6, v[4:5] offset:57344
	;; [unrolled: 1-line block ×3, first 2 shown]
	v_xor_b32_e32 v2, 8, v20
	ds_write_b64 v2, v[16:17] offset:49152
	ds_write_b64 v20, v[10:11] offset:57344
	;; [unrolled: 1-line block ×3, first 2 shown]
	v_or_b32_e32 v2, v1, v88
	v_lshlrev_b32_e32 v3, 11, v86
	v_lshlrev_b32_e32 v2, 3, v2
	v_and_b32_e32 v6, 0x1000, v3
	v_lshrrev_b32_e32 v3, 5, v77
	s_movk_i32 s0, 0xf8
	v_and_or_b32 v3, v2, s0, v3
	v_lshlrev_b32_e32 v7, 4, v3
	v_and_b32_e32 v8, 0x78, v2
	v_or_b32_e32 v10, 32, v7
	v_lshrrev_b32_e32 v3, 1, v77
	v_xor_b32_e32 v10, v10, v8
	v_xor_b32_e32 v2, v7, v8
	v_and_b32_e32 v9, 8, v3
	v_or_b32_e32 v10, v10, v6
	v_or_b32_e32 v2, v2, v6
	v_xor_b32_e32 v27, v10, v9
	v_or_b32_e32 v10, 64, v7
	v_xor_b32_e32 v26, v2, v9
	v_xor_b32_e32 v10, v10, v8
	s_waitcnt lgkmcnt(0)
	s_barrier
	v_or_b32_e32 v13, v10, v6
	ds_read_b64 v[10:11], v26 offset:49152
	v_lshl_or_b32 v14, v87, 8, v34
	v_lshlrev_b32_e32 v25, 1, v14
	v_add_u32_e32 v12, 0x4000, v25
	ds_read2_b64 v[2:5], v12 offset1:16
	v_or_b32_e32 v7, 0x60, v7
	v_xor_b32_e32 v7, v7, v8
	v_or_b32_e32 v6, v7, v6
	v_xor_b32_e32 v28, v13, v9
	v_xor_b32_e32 v29, v6, v9
	ds_read_b64 v[20:21], v27 offset:49152
	ds_read_b64 v[36:37], v28 offset:49152
	;; [unrolled: 1-line block ×3, first 2 shown]
	s_waitcnt lgkmcnt(3)
	v_mfma_f32_16x16x16_bf16 a[0:3], v[10:11], v[2:3], 0
	ds_read2st64_b64 v[6:9], v25 offset0:36 offset1:40
	s_lshl_b64 s[0:1], s[24:25], 8
	s_add_u32 s4, s4, s0
	v_mfma_f32_16x16x16_bf16 a[4:7], v[10:11], v[4:5], 0
	ds_read2_b64 v[2:5], v12 offset0:32 offset1:48
	s_addc_u32 s5, s5, s1
	s_add_i32 s1, s43, s33
	s_waitcnt lgkmcnt(0)
	v_mfma_f32_16x16x16_bf16 a[8:11], v[10:11], v[2:3], 0
	v_or_b32_e32 v2, 64, v14
	v_lshlrev_b32_e32 v30, 1, v2
	s_add_i32 s0, s31, -1
	v_mfma_f32_16x16x16_bf16 a[12:15], v[10:11], v[4:5], 0
	ds_read2st64_b64 v[2:5], v30 offset0:36 offset1:40
	s_add_i32 s37, s1, s42
	s_add_i32 s1, s45, s44
	v_mfma_f32_16x16x16_bf16 a[0:3], v[20:21], v[6:7], a[0:3]
	v_or_b32_e32 v6, 0x80, v14
	v_lshlrev_b32_e32 v31, 1, v6
	ds_read2st64_b64 v[10:13], v31 offset0:36 offset1:40
	s_waitcnt lgkmcnt(1)
	v_mfma_f32_16x16x16_bf16 a[4:7], v[20:21], v[2:3], a[4:7]
	v_or_b32_e32 v2, 0xc0, v14
	v_lshlrev_b32_e32 v32, 1, v2
	ds_read2st64_b64 v[14:17], v32 offset0:36 offset1:40
	s_add_i32 s35, s1, s46
	s_ashr_i32 s1, s0, 31
	s_mul_i32 s2, s0, s29
	s_mul_hi_u32 s3, s0, s28
	s_add_i32 s2, s3, s2
	s_mul_i32 s1, s1, s28
	s_waitcnt lgkmcnt(1)
	v_mfma_f32_16x16x16_bf16 a[8:11], v[20:21], v[10:11], a[8:11]
	s_add_i32 s1, s2, s1
	s_lshl_b64 s[2:3], s[36:37], 2
	s_add_u32 s10, s10, s2
	s_waitcnt lgkmcnt(0)
	v_mfma_f32_16x16x16_bf16 a[12:15], v[20:21], v[14:15], a[12:15]
	s_addc_u32 s11, s11, s3
	s_lshl_b64 s[2:3], s[34:35], 2
	s_mul_i32 s0, s0, s28
	v_mfma_f32_16x16x16_bf16 a[0:3], v[36:37], v[8:9], a[0:3]
	ds_read_b64 v[2:3], v25 offset:22528
	s_add_u32 s10, s10, s2
	s_addc_u32 s11, s11, s3
	v_mfma_f32_16x16x16_bf16 a[4:7], v[36:37], v[4:5], a[4:7]
	ds_read_b64 v[4:5], v30 offset:22528
	ds_read_b64 v[6:7], v31 offset:22528
	;; [unrolled: 1-line block ×3, first 2 shown]
	s_lshl_b64 s[0:1], s[0:1], 2
	s_add_u32 s0, s10, s0
	v_mfma_f32_16x16x16_bf16 a[8:11], v[36:37], v[12:13], a[8:11]
	s_addc_u32 s1, s11, s1
	s_load_dword s12, s[0:1], 0x0
	s_and_b64 vcc, exec, s[22:23]
	v_mfma_f32_16x16x16_bf16 a[12:15], v[36:37], v[16:17], a[12:15]
	s_waitcnt lgkmcnt(0)
	v_mfma_f32_16x16x16_bf16 a[0:3], v[38:39], v[2:3], a[0:3]
	v_mfma_f32_16x16x16_bf16 a[4:7], v[38:39], v[4:5], a[4:7]
	;; [unrolled: 1-line block ×4, first 2 shown]
	s_cbranch_vccz .LBB132_42
; %bb.32:
	v_lshlrev_b32_e32 v20, 1, v24
	s_and_b64 vcc, exec, s[6:7]
	s_cbranch_vccz .LBB132_43
; %bb.33:
	v_cmp_gt_i32_e32 vcc, s27, v20
	v_mov_b32_e32 v6, 0
	v_mov_b32_e32 v2, 0
	;; [unrolled: 1-line block ×5, first 2 shown]
	s_and_saveexec_b64 s[0:1], vcc
	s_cbranch_execz .LBB132_35
; %bb.34:
	v_mad_i64_i32 v[2:3], s[2:3], s15, v20, 0
	v_lshl_add_u64 v[2:3], v[2:3], 1, s[4:5]
	v_lshlrev_b32_e32 v4, 1, v18
	v_mov_b32_e32 v5, 0
	v_lshl_add_u64 v[2:3], v[2:3], 0, v[4:5]
	global_load_dwordx4 v[2:5], v[2:3], off
.LBB132_35:
	s_or_b64 exec, exec, s[0:1]
	v_or_b32_e32 v21, 1, v20
	v_cmp_gt_i32_e64 s[0:1], s27, v21
	v_mov_b32_e32 v7, 0
	v_mov_b32_e32 v8, 0
	;; [unrolled: 1-line block ×3, first 2 shown]
	s_and_saveexec_b64 s[2:3], s[0:1]
	s_cbranch_execz .LBB132_37
; %bb.36:
	v_mad_i64_i32 v[6:7], s[16:17], s15, v21, 0
	v_lshl_add_u64 v[6:7], v[6:7], 1, s[4:5]
	v_lshlrev_b32_e32 v8, 1, v18
	v_mov_b32_e32 v9, 0
	v_lshl_add_u64 v[6:7], v[6:7], 0, v[8:9]
	global_load_dwordx4 v[6:9], v[6:7], off
.LBB132_37:
	s_or_b64 exec, exec, s[2:3]
	v_mov_b32_e32 v17, 0
	v_mov_b32_e32 v10, 0
	;; [unrolled: 1-line block ×5, first 2 shown]
	s_and_saveexec_b64 s[2:3], vcc
	s_cbranch_execz .LBB132_39
; %bb.38:
	v_mad_i64_i32 v[10:11], s[16:17], s15, v20, 0
	v_lshl_add_u64 v[10:11], v[10:11], 1, s[4:5]
	v_lshlrev_b32_e32 v12, 1, v18
	v_mov_b32_e32 v13, 0
	v_lshl_add_u64 v[10:11], v[10:11], 0, v[12:13]
	global_load_dwordx4 v[10:13], v[10:11], off offset:128
.LBB132_39:
	s_or_b64 exec, exec, s[2:3]
	v_mov_b32_e32 v16, 0
	v_mov_b32_e32 v15, 0
	;; [unrolled: 1-line block ×3, first 2 shown]
	s_and_saveexec_b64 s[2:3], s[0:1]
	s_cbranch_execz .LBB132_41
; %bb.40:
	v_mad_i64_i32 v[14:15], s[0:1], s15, v21, 0
	v_lshl_add_u64 v[14:15], v[14:15], 1, s[4:5]
	v_lshlrev_b32_e32 v16, 1, v18
	v_mov_b32_e32 v17, 0
	v_lshl_add_u64 v[14:15], v[14:15], 0, v[16:17]
	global_load_dwordx4 v[14:17], v[14:15], off offset:128
.LBB132_41:
	s_or_b64 exec, exec, s[2:3]
	s_branch .LBB132_45
.LBB132_42:
                                        ; implicit-def: $vgpr5
                                        ; implicit-def: $vgpr9
                                        ; implicit-def: $vgpr13
                                        ; implicit-def: $vgpr17
	v_lshrrev_b32_e32 v33, 2, v77
	s_branch .LBB132_46
.LBB132_43:
                                        ; implicit-def: $vgpr5
                                        ; implicit-def: $vgpr9
                                        ; implicit-def: $vgpr13
                                        ; implicit-def: $vgpr17
	s_cbranch_execz .LBB132_45
; %bb.44:
	s_waitcnt vmcnt(0)
	v_mad_u64_u32 v[2:3], s[0:1], v20, s15, v[18:19]
	v_lshlrev_b32_e32 v20, 1, v2
	s_lshl_b32 s2, s15, 7
	s_and_b32 s1, s5, 0xffff
	s_mov_b32 s3, 0x20000
	s_mov_b32 s0, s4
	v_add_lshl_u32 v21, v2, s15, 1
	s_movk_i32 s13, 0x80
	buffer_load_dwordx4 v[2:5], v20, s[0:3], 0 offen
	buffer_load_dwordx4 v[10:13], v20, s[0:3], s13 offen
	;; [unrolled: 1-line block ×4, first 2 shown]
.LBB132_45:
	v_lshrrev_b32_e32 v33, 2, v77
	s_cbranch_execnz .LBB132_58
.LBB132_46:
	s_and_b64 vcc, exec, s[6:7]
	s_cbranch_vccz .LBB132_56
; %bb.47:
	s_waitcnt vmcnt(0)
	v_lshlrev_b32_e32 v7, 1, v24
	v_cmp_gt_i32_e32 vcc, s27, v7
	v_mov_b32_e32 v6, 0
	v_lshlrev_b32_e32 v14, 9, v24
	v_mov_b32_e32 v2, 0
	v_mov_b32_e32 v3, 0
	;; [unrolled: 1-line block ×4, first 2 shown]
	s_and_saveexec_b64 s[0:1], vcc
	s_cbranch_execz .LBB132_49
; %bb.48:
	v_mov_b32_e32 v15, 0
	v_lshl_add_u64 v[2:3], s[4:5], 0, v[14:15]
	v_lshlrev_b32_e32 v4, 1, v18
	v_mov_b32_e32 v5, v15
	v_lshl_add_u64 v[2:3], v[2:3], 0, v[4:5]
	global_load_dwordx4 v[2:5], v[2:3], off
.LBB132_49:
	s_or_b64 exec, exec, s[0:1]
	v_or_b32_e32 v7, 1, v7
	v_cmp_gt_i32_e64 s[0:1], s27, v7
	v_lshlrev_b32_e32 v20, 8, v7
	v_mov_b32_e32 v7, 0
	v_mov_b32_e32 v8, 0
	;; [unrolled: 1-line block ×3, first 2 shown]
	s_and_saveexec_b64 s[2:3], s[0:1]
	s_cbranch_execz .LBB132_51
; %bb.50:
	v_mov_b32_e32 v21, 0
	v_lshl_add_u64 v[6:7], s[4:5], 0, v[20:21]
	v_lshlrev_b32_e32 v8, 1, v18
	v_mov_b32_e32 v9, v21
	v_lshl_add_u64 v[6:7], v[6:7], 0, v[8:9]
	global_load_dwordx4 v[6:9], v[6:7], off
.LBB132_51:
	s_or_b64 exec, exec, s[2:3]
	v_mov_b32_e32 v17, 0
	v_mov_b32_e32 v10, 0
	;; [unrolled: 1-line block ×5, first 2 shown]
	s_and_saveexec_b64 s[2:3], vcc
	s_cbranch_execz .LBB132_53
; %bb.52:
	v_mov_b32_e32 v15, 0
	v_lshl_add_u64 v[10:11], s[4:5], 0, v[14:15]
	v_lshlrev_b32_e32 v14, 1, v18
	v_lshl_add_u64 v[10:11], v[10:11], 0, v[14:15]
	global_load_dwordx4 v[10:13], v[10:11], off offset:128
.LBB132_53:
	s_or_b64 exec, exec, s[2:3]
	v_mov_b32_e32 v16, 0
	v_mov_b32_e32 v15, 0
	;; [unrolled: 1-line block ×3, first 2 shown]
	s_and_saveexec_b64 s[2:3], s[0:1]
	s_cbranch_execz .LBB132_55
; %bb.54:
	v_mov_b32_e32 v21, 0
	v_lshl_add_u64 v[14:15], s[4:5], 0, v[20:21]
	v_lshlrev_b32_e32 v20, 1, v18
	v_lshl_add_u64 v[14:15], v[14:15], 0, v[20:21]
	global_load_dwordx4 v[14:17], v[14:15], off offset:128
.LBB132_55:
	s_or_b64 exec, exec, s[2:3]
	s_branch .LBB132_58
.LBB132_56:
                                        ; implicit-def: $vgpr5
                                        ; implicit-def: $vgpr9
                                        ; implicit-def: $vgpr13
                                        ; implicit-def: $vgpr17
	s_cbranch_execz .LBB132_58
; %bb.57:
	s_waitcnt vmcnt(0)
	v_lshlrev_b32_e32 v2, 1, v18
	v_lshl_or_b32 v18, v24, 9, v2
	s_and_b32 s5, s5, 0xffff
	s_mov_b32 s7, 0x20000
	s_movk_i32 s6, 0x4000
	s_movk_i32 s0, 0x80
	buffer_load_dwordx4 v[2:5], v18, s[4:7], 0 offen
	buffer_load_dwordx4 v[6:9], v18, s[4:7], 0 offen offset:256
	buffer_load_dwordx4 v[10:13], v18, s[4:7], s0 offen
	buffer_load_dwordx4 v[14:17], v18, s[4:7], s0 offen offset:256
.LBB132_58:
	ds_read_b64 v[20:21], v26 offset:57344
	v_add_u32_e32 v18, 0x6000, v25
	ds_read2_b64 v[36:39], v18 offset1:16
	ds_read_b64 v[48:49], v27 offset:57344
	ds_read_b64 v[50:51], v28 offset:57344
	ds_read_b64 v[52:53], v29 offset:57344
	ds_read2_b64 v[26:29], v18 offset0:32 offset1:48
	v_and_b32_e32 v18, 6, v0
	v_xor_b32_e32 v24, v24, v18
	v_lshlrev_b32_e32 v24, 2, v24
	v_and_b32_e32 v0, 1, v0
	v_cmp_eq_u32_e32 vcc, 0, v0
	s_waitcnt lgkmcnt(4)
	v_mfma_f32_16x16x16_bf16 a[0:3], v[20:21], v[36:37], a[0:3]
	s_mov_b32 s0, 0x1000504
	s_mov_b32 s1, 0x3020706
	v_mfma_f32_16x16x16_bf16 a[4:7], v[20:21], v[38:39], a[4:7]
	ds_read2st64_b64 v[36:39], v25 offset0:52 offset1:56
	s_waitcnt lgkmcnt(1)
	v_mfma_f32_16x16x16_bf16 a[8:11], v[20:21], v[26:27], a[8:11]
	v_mfma_f32_16x16x16_bf16 a[12:15], v[20:21], v[28:29], a[12:15]
	ds_read2st64_b64 v[26:29], v30 offset0:52 offset1:56
	ds_read2st64_b64 v[40:43], v31 offset0:52 offset1:56
	;; [unrolled: 1-line block ×3, first 2 shown]
	s_waitcnt lgkmcnt(3)
	v_mfma_f32_16x16x16_bf16 a[0:3], v[48:49], v[36:37], a[0:3]
	ds_read_b64 v[20:21], v25 offset:30720
	ds_read_b64 v[36:37], v30 offset:30720
	;; [unrolled: 1-line block ×4, first 2 shown]
	v_xor_b32_e32 v25, 0x440, v24
	v_cndmask_b32_e32 v0, v25, v24, vcc
	s_waitcnt lgkmcnt(6)
	v_mfma_f32_16x16x16_bf16 a[4:7], v[48:49], v[26:27], a[4:7]
	v_lshl_or_b32 v0, v18, 10, v0
	s_waitcnt vmcnt(0)
	v_perm_b32 v18, v2, v6, s0
	v_perm_b32 v24, v10, v14, s0
	s_waitcnt lgkmcnt(5)
	v_mfma_f32_16x16x16_bf16 a[8:11], v[48:49], v[40:41], a[8:11]
	ds_write2st64_b32 v0, v18, v24 offset0:128 offset1:160
	v_xor_b32_e32 v18, 8, v0
	v_perm_b32 v2, v2, v6, s1
	s_waitcnt lgkmcnt(5)
	v_mfma_f32_16x16x16_bf16 a[12:15], v[48:49], v[44:45], a[12:15]
	v_perm_b32 v6, v10, v14, s1
	v_add_u32_e32 v10, 0x80, v18
	ds_write2st64_b32 v10, v2, v6 offset0:128 offset1:160
	v_mfma_f32_16x16x16_bf16 a[0:3], v[50:51], v[38:39], a[0:3]
	v_xor_b32_e32 v2, 16, v0
	v_perm_b32 v6, v3, v7, s0
	v_perm_b32 v10, v11, v15, s0
	v_mfma_f32_16x16x16_bf16 a[4:7], v[50:51], v[28:29], a[4:7]
	ds_write2st64_b32 v2, v6, v10 offset0:129 offset1:161
	v_xor_b32_e32 v2, 24, v0
	v_perm_b32 v3, v3, v7, s1
	v_mfma_f32_16x16x16_bf16 a[16:19], v[50:51], v[42:43], a[8:11]
	v_perm_b32 v6, v11, v15, s1
	v_add_u32_e32 v2, 0x80, v2
	ds_write2st64_b32 v2, v3, v6 offset0:129 offset1:161
	v_mfma_f32_16x16x16_bf16 a[20:23], v[50:51], v[46:47], a[12:15]
	v_xor_b32_e32 v2, 32, v0
	v_perm_b32 v3, v4, v8, s0
	v_perm_b32 v6, v12, v16, s0
	s_waitcnt lgkmcnt(7)
	v_mfma_f32_16x16x16_bf16 a[12:15], v[52:53], v[20:21], a[0:3]
	ds_write2st64_b32 v2, v3, v6 offset0:130 offset1:162
	v_xor_b32_e32 v2, 40, v0
	v_perm_b32 v3, v4, v8, s1
	s_waitcnt lgkmcnt(7)
	v_mfma_f32_16x16x16_bf16 a[8:11], v[52:53], v[36:37], a[4:7]
	v_perm_b32 v4, v12, v16, s1
	v_add_u32_e32 v2, 0x80, v2
	ds_write2st64_b32 v2, v3, v4 offset0:130 offset1:162
	s_waitcnt lgkmcnt(7)
	v_mfma_f32_16x16x16_bf16 a[4:7], v[52:53], v[30:31], a[16:19]
	v_xor_b32_e32 v2, 48, v0
	v_perm_b32 v3, v5, v9, s0
	v_perm_b32 v4, v13, v17, s0
	s_waitcnt lgkmcnt(6)
	v_mfma_f32_16x16x16_bf16 a[0:3], v[52:53], v[54:55], a[20:23]
	v_xor_b32_e32 v0, 56, v0
	v_and_or_b32 v18, v33, 12, v1
	ds_write2st64_b32 v2, v3, v4 offset0:131 offset1:163
	v_perm_b32 v2, v5, v9, s1
	v_perm_b32 v3, v13, v17, s1
	v_add_u32_e32 v0, 0x80, v0
	v_cmp_gt_i32_e32 vcc, s27, v18
	v_mov_b32_e32 v14, 0
	v_mov_b32_e32 v16, 0
	ds_write2st64_b32 v0, v2, v3 offset0:131 offset1:163
	s_and_saveexec_b64 s[0:1], vcc
	s_cbranch_execz .LBB132_60
; %bb.59:
	v_add_u32_e32 v0, s26, v18
	v_ashrrev_i32_e32 v1, 31, v0
	v_mul_lo_u32 v2, v1, s28
	v_mul_lo_u32 v3, v0, s29
	v_mad_u64_u32 v[0:1], s[2:3], v0, s28, 0
	v_add3_u32 v1, v1, v3, v2
	v_lshl_add_u64 v[0:1], v[0:1], 2, s[10:11]
	global_load_dword v0, v[0:1], off
	s_waitcnt vmcnt(0)
	v_sub_f32_e32 v0, s12, v0
	v_exp_f32_e32 v16, v0
.LBB132_60:
	s_or_b64 exec, exec, s[0:1]
	v_or_b32_e32 v8, 1, v18
	v_cmp_gt_i32_e64 s[0:1], s27, v8
	s_and_saveexec_b64 s[2:3], s[0:1]
	s_cbranch_execz .LBB132_62
; %bb.61:
	v_add_u32_e32 v0, s26, v8
	v_ashrrev_i32_e32 v1, 31, v0
	v_mul_lo_u32 v2, v1, s28
	v_mul_lo_u32 v3, v0, s29
	v_mad_u64_u32 v[0:1], s[4:5], v0, s28, 0
	v_add3_u32 v1, v1, v3, v2
	v_lshl_add_u64 v[0:1], v[0:1], 2, s[10:11]
	global_load_dword v0, v[0:1], off
	s_waitcnt vmcnt(0)
	v_sub_f32_e32 v0, s12, v0
	v_exp_f32_e32 v14, v0
.LBB132_62:
	s_or_b64 exec, exec, s[2:3]
	v_or_b32_e32 v10, 2, v18
	v_cmp_gt_i32_e64 s[2:3], s27, v10
	v_mov_b32_e32 v15, 0
	v_mov_b32_e32 v17, 0
	s_and_saveexec_b64 s[4:5], s[2:3]
	s_cbranch_execz .LBB132_64
; %bb.63:
	v_add_u32_e32 v0, s26, v10
	v_ashrrev_i32_e32 v1, 31, v0
	v_mul_lo_u32 v2, v1, s28
	v_mul_lo_u32 v3, v0, s29
	v_mad_u64_u32 v[0:1], s[6:7], v0, s28, 0
	v_add3_u32 v1, v1, v3, v2
	v_lshl_add_u64 v[0:1], v[0:1], 2, s[10:11]
	global_load_dword v0, v[0:1], off
	s_waitcnt vmcnt(0)
	v_sub_f32_e32 v0, s12, v0
	v_exp_f32_e32 v17, v0
.LBB132_64:
	s_or_b64 exec, exec, s[4:5]
	v_or_b32_e32 v12, 3, v18
	v_cmp_gt_i32_e64 s[4:5], s27, v12
	s_and_saveexec_b64 s[6:7], s[4:5]
	s_cbranch_execz .LBB132_66
; %bb.65:
	v_add_u32_e32 v0, s26, v12
	v_ashrrev_i32_e32 v1, 31, v0
	v_mul_lo_u32 v2, v1, s28
	v_mul_lo_u32 v3, v0, s29
	v_mad_u64_u32 v[0:1], s[14:15], v0, s28, 0
	v_add3_u32 v1, v1, v3, v2
	v_lshl_add_u64 v[0:1], v[0:1], 2, s[10:11]
	global_load_dword v0, v[0:1], off
	s_waitcnt vmcnt(0)
	v_sub_f32_e32 v0, s12, v0
	v_exp_f32_e32 v15, v0
.LBB132_66:
	s_or_b64 exec, exec, s[6:7]
	s_add_u32 s6, s8, s20
	v_accvgpr_read_b32 v0, a12
	s_addc_u32 s7, s9, s21
	v_ashrrev_i32_e32 v79, 31, v78
	v_accvgpr_read_b32 v1, a13
	v_accvgpr_read_b32 v2, a14
	;; [unrolled: 1-line block ×3, first 2 shown]
	v_lshl_add_u64 v[4:5], v[78:79], 1, s[6:7]
	v_mov_b32_e32 v9, 0
	v_lshlrev_b32_e32 v6, 8, v18
	v_mov_b32_e32 v7, 0
	s_and_saveexec_b64 s[6:7], vcc
	s_cbranch_execz .LBB132_68
; %bb.67:
	v_mov_b32_e32 v7, 0
	v_lshl_add_u64 v[20:21], v[4:5], 0, v[6:7]
	global_load_ushort v7, v[20:21], off
	s_waitcnt vmcnt(0)
	v_lshlrev_b32_e32 v7, 16, v7
	v_sub_f32_e32 v0, v7, v0
	v_mul_f32_e32 v0, v16, v0
	v_lshrrev_b32_e32 v7, 16, v0
.LBB132_68:
	s_or_b64 exec, exec, s[6:7]
	v_lshlrev_b32_e32 v8, 8, v8
	s_and_saveexec_b64 s[6:7], s[0:1]
	s_cbranch_execz .LBB132_70
; %bb.69:
	v_mov_b32_e32 v9, 0
	v_lshl_add_u64 v[20:21], v[4:5], 0, v[8:9]
	global_load_ushort v0, v[20:21], off
	s_waitcnt vmcnt(0)
	v_lshlrev_b32_e32 v0, 16, v0
	v_sub_f32_e32 v0, v0, v1
	v_mul_f32_e32 v0, v14, v0
	v_lshrrev_b32_e32 v9, 16, v0
.LBB132_70:
	s_or_b64 exec, exec, s[6:7]
	v_mov_b32_e32 v13, 0
	v_lshlrev_b32_e32 v10, 8, v10
	v_mov_b32_e32 v11, 0
	s_and_saveexec_b64 s[6:7], s[2:3]
	s_cbranch_execz .LBB132_72
; %bb.71:
	v_mov_b32_e32 v11, 0
	v_lshl_add_u64 v[0:1], v[4:5], 0, v[10:11]
	global_load_ushort v0, v[0:1], off
	s_waitcnt vmcnt(0)
	v_lshlrev_b32_e32 v0, 16, v0
	v_sub_f32_e32 v0, v0, v2
	v_mul_f32_e32 v0, v17, v0
	v_lshrrev_b32_e32 v11, 16, v0
.LBB132_72:
	s_or_b64 exec, exec, s[6:7]
	v_lshlrev_b32_e32 v12, 8, v12
	s_and_saveexec_b64 s[6:7], s[4:5]
	s_cbranch_execz .LBB132_74
; %bb.73:
	v_mov_b32_e32 v13, 0
	v_lshl_add_u64 v[0:1], v[4:5], 0, v[12:13]
	global_load_ushort v0, v[0:1], off
	s_waitcnt vmcnt(0)
	v_lshlrev_b32_e32 v0, 16, v0
	v_sub_f32_e32 v0, v0, v3
	v_mul_f32_e32 v0, v15, v0
	v_lshrrev_b32_e32 v13, 16, v0
.LBB132_74:
	s_or_b64 exec, exec, s[6:7]
	v_lshlrev_b32_e32 v18, 6, v18
	s_mov_b32 s6, 0x5040100
	v_perm_b32 v20, v9, v7, s6
	v_or_b32_e32 v7, v18, v34
	v_accvgpr_read_b32 v0, a8
	v_perm_b32 v21, v13, v11, s6
	v_lshlrev_b32_e32 v7, 1, v7
	v_accvgpr_read_b32 v1, a9
	v_accvgpr_read_b32 v2, a10
	;; [unrolled: 1-line block ×3, first 2 shown]
	ds_write_b64 v7, v[20:21] offset:24576
	v_mov_b32_e32 v9, 0
	v_mov_b32_e32 v7, 0
	s_and_saveexec_b64 s[6:7], vcc
	s_cbranch_execz .LBB132_76
; %bb.75:
	v_mov_b32_e32 v7, 0
	v_lshl_add_u64 v[20:21], v[4:5], 0, v[6:7]
	global_load_ushort v7, v[20:21], off offset:32
	s_waitcnt vmcnt(0)
	v_lshlrev_b32_e32 v7, 16, v7
	v_sub_f32_e32 v0, v7, v0
	v_mul_f32_e32 v0, v16, v0
	v_lshrrev_b32_e32 v7, 16, v0
.LBB132_76:
	s_or_b64 exec, exec, s[6:7]
	s_and_saveexec_b64 s[6:7], s[0:1]
	s_cbranch_execz .LBB132_78
; %bb.77:
	v_mov_b32_e32 v9, 0
	v_lshl_add_u64 v[20:21], v[4:5], 0, v[8:9]
	global_load_ushort v0, v[20:21], off offset:32
	s_waitcnt vmcnt(0)
	v_lshlrev_b32_e32 v0, 16, v0
	v_sub_f32_e32 v0, v0, v1
	v_mul_f32_e32 v0, v14, v0
	v_lshrrev_b32_e32 v9, 16, v0
.LBB132_78:
	s_or_b64 exec, exec, s[6:7]
	v_mov_b32_e32 v13, 0
	v_mov_b32_e32 v11, 0
	s_and_saveexec_b64 s[6:7], s[2:3]
	s_cbranch_execz .LBB132_80
; %bb.79:
	v_mov_b32_e32 v11, 0
	v_lshl_add_u64 v[0:1], v[4:5], 0, v[10:11]
	global_load_ushort v0, v[0:1], off offset:32
	s_waitcnt vmcnt(0)
	v_lshlrev_b32_e32 v0, 16, v0
	v_sub_f32_e32 v0, v0, v2
	v_mul_f32_e32 v0, v17, v0
	v_lshrrev_b32_e32 v11, 16, v0
.LBB132_80:
	s_or_b64 exec, exec, s[6:7]
	s_and_saveexec_b64 s[6:7], s[4:5]
	s_cbranch_execz .LBB132_82
; %bb.81:
	v_mov_b32_e32 v13, 0
	v_lshl_add_u64 v[0:1], v[4:5], 0, v[12:13]
	global_load_ushort v0, v[0:1], off offset:32
	s_waitcnt vmcnt(0)
	v_lshlrev_b32_e32 v0, 16, v0
	v_sub_f32_e32 v0, v0, v3
	v_mul_f32_e32 v0, v15, v0
	v_lshrrev_b32_e32 v13, 16, v0
.LBB132_82:
	s_or_b64 exec, exec, s[6:7]
	s_mov_b32 s6, 0x5040100
	v_perm_b32 v20, v9, v7, s6
	v_or_b32_e32 v7, v18, v23
	v_accvgpr_read_b32 v0, a4
	v_perm_b32 v21, v13, v11, s6
	v_lshlrev_b32_e32 v7, 1, v7
	v_accvgpr_read_b32 v1, a5
	v_accvgpr_read_b32 v2, a6
	;; [unrolled: 1-line block ×3, first 2 shown]
	ds_write_b64 v7, v[20:21] offset:24576
	v_mov_b32_e32 v9, 0
	v_mov_b32_e32 v7, 0
	s_and_saveexec_b64 s[6:7], vcc
	s_cbranch_execz .LBB132_84
; %bb.83:
	v_mov_b32_e32 v7, 0
	v_lshl_add_u64 v[20:21], v[4:5], 0, v[6:7]
	global_load_ushort v7, v[20:21], off offset:64
	s_waitcnt vmcnt(0)
	v_lshlrev_b32_e32 v7, 16, v7
	v_sub_f32_e32 v0, v7, v0
	v_mul_f32_e32 v0, v16, v0
	v_lshrrev_b32_e32 v7, 16, v0
.LBB132_84:
	s_or_b64 exec, exec, s[6:7]
	s_and_saveexec_b64 s[6:7], s[0:1]
	s_cbranch_execz .LBB132_86
; %bb.85:
	v_mov_b32_e32 v9, 0
	v_lshl_add_u64 v[20:21], v[4:5], 0, v[8:9]
	global_load_ushort v0, v[20:21], off offset:64
	s_waitcnt vmcnt(0)
	v_lshlrev_b32_e32 v0, 16, v0
	v_sub_f32_e32 v0, v0, v1
	v_mul_f32_e32 v0, v14, v0
	v_lshrrev_b32_e32 v9, 16, v0
.LBB132_86:
	s_or_b64 exec, exec, s[6:7]
	v_mov_b32_e32 v13, 0
	v_mov_b32_e32 v11, 0
	s_and_saveexec_b64 s[6:7], s[2:3]
	s_cbranch_execz .LBB132_88
; %bb.87:
	v_mov_b32_e32 v11, 0
	v_lshl_add_u64 v[0:1], v[4:5], 0, v[10:11]
	global_load_ushort v0, v[0:1], off offset:64
	s_waitcnt vmcnt(0)
	v_lshlrev_b32_e32 v0, 16, v0
	v_sub_f32_e32 v0, v0, v2
	v_mul_f32_e32 v0, v17, v0
	v_lshrrev_b32_e32 v11, 16, v0
.LBB132_88:
	s_or_b64 exec, exec, s[6:7]
	s_and_saveexec_b64 s[6:7], s[4:5]
	s_cbranch_execz .LBB132_90
; %bb.89:
	v_mov_b32_e32 v13, 0
	v_lshl_add_u64 v[0:1], v[4:5], 0, v[12:13]
	global_load_ushort v0, v[0:1], off offset:64
	s_waitcnt vmcnt(0)
	v_lshlrev_b32_e32 v0, 16, v0
	v_sub_f32_e32 v0, v0, v3
	v_mul_f32_e32 v0, v15, v0
	v_lshrrev_b32_e32 v13, 16, v0
.LBB132_90:
	s_or_b64 exec, exec, s[6:7]
	s_mov_b32 s6, 0x5040100
	v_perm_b32 v20, v9, v7, s6
	v_or_b32_e32 v7, v18, v22
	v_accvgpr_read_b32 v0, a0
	v_perm_b32 v21, v13, v11, s6
	v_lshlrev_b32_e32 v7, 1, v7
	v_accvgpr_read_b32 v1, a1
	v_accvgpr_read_b32 v2, a2
	;; [unrolled: 1-line block ×3, first 2 shown]
	ds_write_b64 v7, v[20:21] offset:24576
	v_mov_b32_e32 v9, 0
	v_mov_b32_e32 v7, 0
	s_and_saveexec_b64 s[6:7], vcc
	s_cbranch_execz .LBB132_92
; %bb.91:
	v_mov_b32_e32 v7, 0
	v_lshl_add_u64 v[6:7], v[4:5], 0, v[6:7]
	global_load_ushort v6, v[6:7], off offset:96
	s_waitcnt vmcnt(0)
	v_lshlrev_b32_e32 v6, 16, v6
	v_sub_f32_e32 v0, v6, v0
	v_mul_f32_e32 v0, v16, v0
	v_lshrrev_b32_e32 v7, 16, v0
.LBB132_92:
	s_or_b64 exec, exec, s[6:7]
	s_and_saveexec_b64 s[6:7], s[0:1]
	s_cbranch_execz .LBB132_94
; %bb.93:
	v_mov_b32_e32 v9, 0
	v_lshl_add_u64 v[8:9], v[4:5], 0, v[8:9]
	global_load_ushort v0, v[8:9], off offset:96
	s_waitcnt vmcnt(0)
	v_lshlrev_b32_e32 v0, 16, v0
	v_sub_f32_e32 v0, v0, v1
	v_mul_f32_e32 v0, v14, v0
	v_lshrrev_b32_e32 v9, 16, v0
.LBB132_94:
	s_or_b64 exec, exec, s[6:7]
	v_mov_b32_e32 v0, 0
	v_mov_b32_e32 v1, 0
	s_and_saveexec_b64 s[0:1], s[2:3]
	s_cbranch_execz .LBB132_96
; %bb.95:
	v_mov_b32_e32 v11, 0
	v_lshl_add_u64 v[10:11], v[4:5], 0, v[10:11]
	global_load_ushort v1, v[10:11], off offset:96
	s_waitcnt vmcnt(0)
	v_lshlrev_b32_e32 v1, 16, v1
	v_sub_f32_e32 v1, v1, v2
	v_mul_f32_e32 v1, v17, v1
	v_lshrrev_b32_e32 v1, 16, v1
.LBB132_96:
	s_or_b64 exec, exec, s[0:1]
	s_and_saveexec_b64 s[0:1], s[4:5]
	s_cbranch_execz .LBB132_98
; %bb.97:
	v_mov_b32_e32 v13, 0
	v_lshl_add_u64 v[4:5], v[4:5], 0, v[12:13]
	global_load_ushort v0, v[4:5], off offset:96
	s_waitcnt vmcnt(0)
	v_lshlrev_b32_e32 v0, 16, v0
	v_sub_f32_e32 v0, v0, v3
	v_mul_f32_e32 v0, v15, v0
	v_lshrrev_b32_e32 v0, 16, v0
.LBB132_98:
	s_or_b64 exec, exec, s[0:1]
	s_mov_b32 s0, 0x5040100
	v_or_b32_e32 v2, v18, v19
	v_perm_b32 v1, v0, v1, s0
	v_perm_b32 v0, v9, v7, s0
	v_lshlrev_b32_e32 v2, 1, v2
	ds_write_b64 v2, v[0:1] offset:24576
	s_waitcnt lgkmcnt(0)
	s_barrier
.LBB132_99:
	s_endpgm
	.section	.rodata,"a",@progbits
	.p2align	6, 0x0
	.amdhsa_kernel _ZN12_GLOBAL__N_139chunk_gated_delta_rule_fwd_h_hip_kernelILi64ELb1ELb0ELb0ELb1ELb1ELb1ELb1ELb0EEEvPK12hip_bfloat16S3_S3_PKfS5_PKvPS1_S8_PvPKiSB_iiiiilll
		.amdhsa_group_segment_fixed_size 65536
		.amdhsa_private_segment_fixed_size 0
		.amdhsa_kernarg_size 136
		.amdhsa_user_sgpr_count 2
		.amdhsa_user_sgpr_dispatch_ptr 0
		.amdhsa_user_sgpr_queue_ptr 0
		.amdhsa_user_sgpr_kernarg_segment_ptr 1
		.amdhsa_user_sgpr_dispatch_id 0
		.amdhsa_user_sgpr_kernarg_preload_length 0
		.amdhsa_user_sgpr_kernarg_preload_offset 0
		.amdhsa_user_sgpr_private_segment_size 0
		.amdhsa_uses_dynamic_stack 0
		.amdhsa_enable_private_segment 0
		.amdhsa_system_sgpr_workgroup_id_x 1
		.amdhsa_system_sgpr_workgroup_id_y 1
		.amdhsa_system_sgpr_workgroup_id_z 0
		.amdhsa_system_sgpr_workgroup_info 0
		.amdhsa_system_vgpr_workitem_id 0
		.amdhsa_next_free_vgpr 228
		.amdhsa_next_free_sgpr 63
		.amdhsa_accum_offset 188
		.amdhsa_reserve_vcc 1
		.amdhsa_float_round_mode_32 0
		.amdhsa_float_round_mode_16_64 0
		.amdhsa_float_denorm_mode_32 3
		.amdhsa_float_denorm_mode_16_64 3
		.amdhsa_dx10_clamp 1
		.amdhsa_ieee_mode 1
		.amdhsa_fp16_overflow 0
		.amdhsa_tg_split 0
		.amdhsa_exception_fp_ieee_invalid_op 0
		.amdhsa_exception_fp_denorm_src 0
		.amdhsa_exception_fp_ieee_div_zero 0
		.amdhsa_exception_fp_ieee_overflow 0
		.amdhsa_exception_fp_ieee_underflow 0
		.amdhsa_exception_fp_ieee_inexact 0
		.amdhsa_exception_int_div_zero 0
	.end_amdhsa_kernel
	.section	.text._ZN12_GLOBAL__N_139chunk_gated_delta_rule_fwd_h_hip_kernelILi64ELb1ELb0ELb0ELb1ELb1ELb1ELb1ELb0EEEvPK12hip_bfloat16S3_S3_PKfS5_PKvPS1_S8_PvPKiSB_iiiiilll,"axG",@progbits,_ZN12_GLOBAL__N_139chunk_gated_delta_rule_fwd_h_hip_kernelILi64ELb1ELb0ELb0ELb1ELb1ELb1ELb1ELb0EEEvPK12hip_bfloat16S3_S3_PKfS5_PKvPS1_S8_PvPKiSB_iiiiilll,comdat
.Lfunc_end132:
	.size	_ZN12_GLOBAL__N_139chunk_gated_delta_rule_fwd_h_hip_kernelILi64ELb1ELb0ELb0ELb1ELb1ELb1ELb1ELb0EEEvPK12hip_bfloat16S3_S3_PKfS5_PKvPS1_S8_PvPKiSB_iiiiilll, .Lfunc_end132-_ZN12_GLOBAL__N_139chunk_gated_delta_rule_fwd_h_hip_kernelILi64ELb1ELb0ELb0ELb1ELb1ELb1ELb1ELb0EEEvPK12hip_bfloat16S3_S3_PKfS5_PKvPS1_S8_PvPKiSB_iiiiilll
                                        ; -- End function
	.section	.AMDGPU.csdata,"",@progbits
; Kernel info:
; codeLenInByte = 10832
; NumSgprs: 69
; NumVgprs: 188
; NumAgprs: 40
; TotalNumVgprs: 228
; ScratchSize: 0
; MemoryBound: 0
; FloatMode: 240
; IeeeMode: 1
; LDSByteSize: 65536 bytes/workgroup (compile time only)
; SGPRBlocks: 8
; VGPRBlocks: 28
; NumSGPRsForWavesPerEU: 69
; NumVGPRsForWavesPerEU: 228
; AccumOffset: 188
; Occupancy: 1
; WaveLimiterHint : 1
; COMPUTE_PGM_RSRC2:SCRATCH_EN: 0
; COMPUTE_PGM_RSRC2:USER_SGPR: 2
; COMPUTE_PGM_RSRC2:TRAP_HANDLER: 0
; COMPUTE_PGM_RSRC2:TGID_X_EN: 1
; COMPUTE_PGM_RSRC2:TGID_Y_EN: 1
; COMPUTE_PGM_RSRC2:TGID_Z_EN: 0
; COMPUTE_PGM_RSRC2:TIDIG_COMP_CNT: 0
; COMPUTE_PGM_RSRC3_GFX90A:ACCUM_OFFSET: 46
; COMPUTE_PGM_RSRC3_GFX90A:TG_SPLIT: 0
	.section	.text._ZN12_GLOBAL__N_139chunk_gated_delta_rule_fwd_h_hip_kernelILi64ELb0ELb1ELb1ELb1ELb1ELb1ELb1ELb0EEEvPK12hip_bfloat16S3_S3_PKfS5_PKvPS1_S8_PvPKiSB_iiiiilll,"axG",@progbits,_ZN12_GLOBAL__N_139chunk_gated_delta_rule_fwd_h_hip_kernelILi64ELb0ELb1ELb1ELb1ELb1ELb1ELb1ELb0EEEvPK12hip_bfloat16S3_S3_PKfS5_PKvPS1_S8_PvPKiSB_iiiiilll,comdat
	.globl	_ZN12_GLOBAL__N_139chunk_gated_delta_rule_fwd_h_hip_kernelILi64ELb0ELb1ELb1ELb1ELb1ELb1ELb1ELb0EEEvPK12hip_bfloat16S3_S3_PKfS5_PKvPS1_S8_PvPKiSB_iiiiilll ; -- Begin function _ZN12_GLOBAL__N_139chunk_gated_delta_rule_fwd_h_hip_kernelILi64ELb0ELb1ELb1ELb1ELb1ELb1ELb1ELb0EEEvPK12hip_bfloat16S3_S3_PKfS5_PKvPS1_S8_PvPKiSB_iiiiilll
	.p2align	8
	.type	_ZN12_GLOBAL__N_139chunk_gated_delta_rule_fwd_h_hip_kernelILi64ELb0ELb1ELb1ELb1ELb1ELb1ELb1ELb0EEEvPK12hip_bfloat16S3_S3_PKfS5_PKvPS1_S8_PvPKiSB_iiiiilll,@function
_ZN12_GLOBAL__N_139chunk_gated_delta_rule_fwd_h_hip_kernelILi64ELb0ELb1ELb1ELb1ELb1ELb1ELb1ELb0EEEvPK12hip_bfloat16S3_S3_PKfS5_PKvPS1_S8_PvPKiSB_iiiiilll: ; @_ZN12_GLOBAL__N_139chunk_gated_delta_rule_fwd_h_hip_kernelILi64ELb0ELb1ELb1ELb1ELb1ELb1ELb1ELb0EEEvPK12hip_bfloat16S3_S3_PKfS5_PKvPS1_S8_PvPKiSB_iiiiilll
; %bb.0:
	s_load_dwordx4 s[20:23], s[0:1], 0x5c
	s_load_dwordx2 s[24:25], s[0:1], 0x50
	s_abs_i32 s27, s3
	s_ashr_i32 s26, s3, 31
	s_load_dwordx8 s[4:11], s[0:1], 0x30
	s_load_dwordx8 s[12:19], s[0:1], 0x0
	s_load_dwordx2 s[40:41], s[0:1], 0x20
	s_waitcnt lgkmcnt(0)
	s_abs_i32 s30, s21
	v_cvt_f32_u32_e32 v1, s30
	s_sub_i32 s28, 0, s30
	s_ashr_i32 s48, s21, 31
	s_xor_b32 s26, s26, s48
	v_rcp_iflag_f32_e32 v1, v1
	v_lshrrev_b32_e32 v77, 6, v0
	v_bfe_u32 v88, v0, 4, 2
	v_lshlrev_b32_e32 v86, 4, v77
	v_mul_f32_e32 v1, 0x4f7ffffe, v1
	v_cvt_u32_f32_e32 v1, v1
	v_lshlrev_b32_e32 v34, 2, v88
	v_and_b32_e32 v87, 63, v0
	v_mov_b32_e32 v17, 0
	v_readfirstlane_b32 s29, v1
	s_mul_i32 s28, s28, s29
	s_mul_hi_u32 s28, s29, s28
	s_add_i32 s29, s29, s28
	s_mul_hi_u32 s28, s27, s29
	s_mul_i32 s29, s28, s30
	s_sub_i32 s27, s27, s29
	s_add_i32 s29, s28, 1
	s_sub_i32 s31, s27, s30
	s_cmp_ge_u32 s27, s30
	s_cselect_b32 s28, s29, s28
	s_cselect_b32 s27, s31, s27
	s_add_i32 s29, s28, 1
	s_cmp_ge_u32 s27, s30
	s_cselect_b32 s27, s29, s28
	s_xor_b32 s27, s27, s26
	s_sub_i32 s34, s27, s26
	s_mul_i32 s26, s34, s21
	s_ashr_i32 s35, s34, 31
	s_sub_i32 s49, s3, s26
	s_lshl_b64 s[26:27], s[34:35], 2
	s_add_u32 s10, s10, s26
	s_addc_u32 s11, s11, s27
	s_add_u32 s28, s24, s26
	s_addc_u32 s29, s25, s27
	s_abs_i32 s3, s22
	v_cvt_f32_u32_e32 v1, s3
	s_load_dwordx2 s[42:43], s[10:11], 0x0
	s_nop 0
	s_load_dwordx2 s[10:11], s[0:1], 0x80
	s_load_dwordx4 s[24:27], s[0:1], 0x70
	s_sub_i32 s1, 0, s3
	v_rcp_iflag_f32_e32 v1, v1
	s_load_dword s54, s[28:29], 0x0
	s_waitcnt lgkmcnt(0)
	s_sub_i32 s58, s43, s42
	s_ashr_i32 s0, s58, 31
	v_mul_f32_e32 v1, 0x4f7ffffe, v1
	v_cvt_u32_f32_e32 v1, v1
	s_lshr_b32 s0, s0, 26
	s_add_i32 s0, s58, s0
	s_ashr_i32 s53, s0, 6
	v_readfirstlane_b32 s31, v1
	s_mul_i32 s1, s1, s31
	s_mul_hi_u32 s1, s31, s1
	s_add_i32 s31, s31, s1
	s_mul_hi_u32 s1, s30, s31
	s_mul_i32 s31, s1, s3
	s_ashr_i32 s0, s22, 31
	s_sub_i32 s30, s30, s31
	s_xor_b32 s0, s48, s0
	s_add_i32 s31, s1, 1
	s_sub_i32 s36, s30, s3
	s_cmp_ge_u32 s30, s3
	s_cselect_b32 s1, s31, s1
	s_cselect_b32 s30, s36, s30
	s_add_i32 s31, s1, 1
	s_cmp_ge_u32 s30, s3
	s_cselect_b32 s1, s31, s1
	s_xor_b32 s1, s1, s0
	s_sub_i32 s1, s1, s0
	s_abs_i32 s3, s1
	v_cvt_f32_u32_e32 v1, s3
	s_sub_i32 s29, 0, s3
	s_abs_i32 s28, s49
	s_xor_b32 s1, s49, s1
	v_rcp_iflag_f32_e32 v1, v1
	s_ashr_i32 s1, s1, 31
	s_mov_b32 s0, 0
	s_mov_b32 s33, s21
	v_mul_f32_e32 v1, 0x4f7ffffe, v1
	v_cvt_u32_f32_e32 v1, v1
	v_and_b32_e32 v89, 15, v0
	s_mul_hi_i32 s55, s49, s20
	s_mul_i32 s57, s49, s20
	v_readfirstlane_b32 s30, v1
	s_mul_i32 s29, s29, s30
	s_mul_hi_u32 s29, s30, s29
	s_add_i32 s30, s30, s29
	s_mul_hi_u32 s29, s28, s30
	s_mul_i32 s30, s29, s3
	s_sub_i32 s28, s28, s30
	s_add_i32 s30, s29, 1
	s_sub_i32 s31, s28, s3
	s_cmp_ge_u32 s28, s3
	s_cselect_b32 s29, s30, s29
	s_cselect_b32 s28, s31, s28
	s_add_i32 s30, s29, 1
	s_cmp_ge_u32 s28, s3
	s_cselect_b32 s3, s30, s29
	s_xor_b32 s3, s3, s1
	s_sub_i32 s56, s3, s1
	v_or_b32_e32 v1, v34, v86
	s_lshl_b32 s2, s2, 6
	s_mov_b32 s1, s0
	v_or_b32_e32 v92, 64, v1
	s_cmp_lt_i32 s58, 64
	v_mov_b64_e32 v[2:3], s[0:1]
	v_lshrrev_b32_e32 v91, 3, v87
	v_lshlrev_b32_e32 v90, 3, v0
	s_mul_i32 s50, s34, s25
	s_mul_hi_u32 s51, s34, s24
	s_mul_i32 s52, s35, s24
	s_mul_i32 s24, s34, s24
	v_mov_b32_e32 v16, v17
	v_mov_b32_e32 v15, v17
	;; [unrolled: 1-line block ×23, first 2 shown]
	v_mov_b64_e32 v[4:5], s[0:1]
	v_mov_b64_e32 v[6:7], s[0:1]
	;; [unrolled: 1-line block ×3, first 2 shown]
	s_cbranch_scc1 .LBB133_18
; %bb.1:
	s_ashr_i32 s60, s49, 31
	s_ashr_i32 s1, s42, 31
	s_add_u32 s0, s57, s42
	s_addc_u32 s1, s55, s1
	s_lshl_b64 s[0:1], s[0:1], 8
	v_and_b32_e32 v94, 56, v90
	s_add_u32 s28, s14, s0
	v_lshl_or_b32 v93, v77, 3, v91
	v_lshlrev_b32_e32 v2, 1, v94
	s_addc_u32 s0, s15, s1
	v_lshl_or_b32 v95, v93, 8, v2
	s_and_b32 s29, s0, 0xffff
	s_mov_b32 s31, 0x20000
	s_movk_i32 s30, 0x4000
	s_movk_i32 s0, 0x80
	v_or_b32_e32 v96, 0x2000, v95
	buffer_load_dwordx4 v[4:7], v95, s[28:31], 0 offen
	buffer_load_dwordx4 v[8:11], v95, s[28:31], s0 offen
	;; [unrolled: 1-line block ×4, first 2 shown]
	v_lshlrev_b32_e32 v3, 3, v93
	v_and_or_b32 v21, v0, 7, v3
	v_and_b32_e32 v3, 0x78, v3
	v_lshlrev_b32_e32 v21, 4, v21
	v_xor_b32_e32 v97, v21, v3
	v_mul_lo_u32 v20, v93, s23
	v_or_b32_e32 v98, 0x1000, v97
	v_xor_b32_e32 v3, 8, v97
	s_cmpk_eq_i32 s23, 0x80
	s_mov_b32 s59, s42
	v_xor_b32_e32 v21, 8, v98
	s_cselect_b64 s[0:1], -1, 0
	s_cmpk_lg_i32 s23, 0x80
	s_waitcnt vmcnt(3)
	ds_write_b64 v97, v[4:5] offset:49152
	ds_write_b64 v3, v[6:7] offset:49152
	s_waitcnt vmcnt(2)
	ds_write_b64 v97, v[8:9] offset:57344
	ds_write_b64 v3, v[10:11] offset:57344
	s_waitcnt vmcnt(1)
	ds_write_b64 v97, v[12:13] offset:53248
	ds_write_b64 v21, v[14:15] offset:49152
	s_waitcnt vmcnt(0)
	ds_write_b64 v97, v[16:17] offset:61440
	ds_write_b64 v21, v[18:19] offset:57344
	v_lshl_add_u32 v3, v20, 1, v94
	s_cbranch_scc0 .LBB133_3
; %bb.2:
	v_lshlrev_b32_e32 v5, 1, v3
	v_add_lshl_u32 v4, v3, s23, 1
	s_lshl_b32 s30, s23, 7
	v_lshl_or_b32 v2, v93, 9, v2
	s_cbranch_execz .LBB133_4
	s_branch .LBB133_5
.LBB133_3:
                                        ; implicit-def: $vgpr4
                                        ; implicit-def: $vgpr5
                                        ; implicit-def: $sgpr30
	v_lshl_or_b32 v2, v93, 9, v2
.LBB133_4:
	v_or_b32_e32 v4, 0x100, v2
	s_movk_i32 s30, 0x4000
	v_mov_b32_e32 v5, v2
.LBB133_5:
	s_mul_i32 s25, s42, s22
	s_ashr_i32 s61, s56, 31
	s_mul_hi_i32 s3, s42, s22
	s_add_u32 s28, s25, s56
	s_addc_u32 s29, s3, s61
	s_lshl_b64 s[28:29], s[28:29], 8
	s_add_u32 s28, s12, s28
	s_addc_u32 s3, s13, s29
	s_and_b32 s29, s3, 0xffff
	s_movk_i32 s62, 0x80
	buffer_load_dwordx4 v[6:9], v5, s[28:31], 0 offen
	buffer_load_dwordx4 v[10:13], v5, s[28:31], s62 offen
	;; [unrolled: 1-line block ×4, first 2 shown]
	v_and_b32_e32 v5, 6, v0
	v_lshlrev_b32_e32 v4, 7, v1
	v_xor_b32_e32 v27, v93, v5
	v_and_b32_e32 v22, 1, v0
	v_lshl_or_b32 v30, v89, 3, v4
	v_lshlrev_b32_e32 v27, 2, v27
	v_lshlrev_b32_e32 v23, 2, v89
	v_or_b32_e32 v99, 0x4000, v30
	v_or_b32_e32 v100, 0x6000, v30
	v_xor_b32_e32 v30, 0x440, v27
	v_cmp_eq_u32_e32 vcc, 0, v22
	v_or_b32_e32 v25, 16, v89
	v_or_b32_e32 v26, 32, v89
	v_xor_b32_e32 v28, v1, v23
	v_xor_b32_e32 v29, v92, v23
	v_cndmask_b32_e32 v22, v30, v27, vcc
	s_add_i32 s3, s51, s50
	s_mov_b32 s63, 0x1000504
	v_lshl_or_b32 v31, v25, 3, v4
	v_lshlrev_b32_e32 v25, 8, v25
	v_lshl_or_b32 v32, v26, 3, v4
	v_lshlrev_b32_e32 v28, 1, v28
	v_lshlrev_b32_e32 v29, 1, v29
	v_lshl_or_b32 v5, v5, 10, v22
	s_add_i32 s25, s3, s52
	s_mul_i32 s3, s49, s27
	s_mul_hi_u32 s28, s49, s26
	s_mov_b32 s64, 0x3020706
	v_lshlrev_b32_e32 v24, 8, v89
	v_or_b32_e32 v103, 0x4000, v32
	v_or_b32_e32 v104, 0x6000, v32
	;; [unrolled: 1-line block ×4, first 2 shown]
	v_xor_b32_e32 v22, 8, v5
	v_xor_b32_e32 v25, 24, v5
	;; [unrolled: 1-line block ×4, first 2 shown]
	s_add_i32 s3, s28, s3
	s_mul_i32 s28, s60, s26
	v_or_b32_e32 v101, 0x4000, v31
	v_or_b32_e32 v102, 0x6000, v31
	;; [unrolled: 1-line block ×4, first 2 shown]
	v_xor_b32_e32 v24, 16, v5
	v_xor_b32_e32 v27, 32, v5
	;; [unrolled: 1-line block ×3, first 2 shown]
	v_add_u32_e32 v22, 0x80, v22
	v_add_u32_e32 v25, 0x80, v25
	;; [unrolled: 1-line block ×4, first 2 shown]
	s_add_i32 s29, s3, s28
	s_lshl_b64 s[36:37], s[24:25], 2
	s_mul_i32 s28, s49, s26
	s_add_u32 s3, s18, s36
	s_addc_u32 s25, s19, s37
	s_lshl_b64 s[28:29], s[28:29], 2
	s_add_u32 s44, s3, s28
	s_movk_i32 s3, 0xf8
	s_addc_u32 s45, s25, s29
	s_lshl_b32 s38, s23, 7
	s_movk_i32 s25, 0x100
	v_mov_b32_e32 v79, 0
	v_lshlrev_b32_e32 v78, 4, v89
	v_lshlrev_b32_e32 v26, 8, v26
	s_mov_b32 s66, 0
	s_movk_i32 s30, 0x4000
	v_or_b32_e32 v109, v26, v28
	v_or_b32_e32 v110, v26, v29
	v_add_u32_e32 v136, v86, v34
	s_movk_i32 s65, 0x3000
	v_mov_b32_e32 v26, v79
	s_waitcnt vmcnt(1)
	v_perm_b32 v33, v6, v14, s63
	s_waitcnt vmcnt(0)
	v_perm_b32 v35, v10, v18, s63
	v_perm_b32 v6, v6, v14, s64
	;; [unrolled: 1-line block ×15, first 2 shown]
	ds_write2st64_b32 v5, v33, v35 offset0:128 offset1:160
	ds_write2st64_b32 v22, v6, v10 offset0:128 offset1:160
	;; [unrolled: 1-line block ×8, first 2 shown]
	v_or_b32_e32 v5, 48, v89
	v_lshl_or_b32 v6, v5, 3, v4
	v_lshlrev_b32_e32 v5, 8, v5
	v_or_b32_e32 v113, v5, v28
	v_or_b32_e32 v114, v5, v29
	;; [unrolled: 1-line block ×3, first 2 shown]
	v_lshlrev_b32_e32 v5, 3, v5
	v_lshrrev_b32_e32 v7, 5, v87
	v_and_or_b32 v7, v5, s3, v7
	v_lshlrev_b32_e32 v7, 4, v7
	v_or_b32_e32 v111, 0x4000, v6
	v_or_b32_e32 v112, 0x6000, v6
	v_lshrrev_b32_e32 v6, 2, v87
	v_lshlrev_b32_e32 v11, 11, v77
	v_and_b32_e32 v5, 0x78, v5
	v_or_b32_e32 v13, 32, v7
	v_and_b32_e32 v10, 12, v6
	v_and_b32_e32 v6, 0x1000, v11
	v_lshrrev_b32_e32 v9, 1, v87
	v_xor_b32_e32 v13, v13, v5
	v_xor_b32_e32 v8, v7, v5
	v_and_b32_e32 v9, 8, v9
	v_or_b32_e32 v13, v13, v6
	v_or_b32_e32 v8, v8, v6
	v_lshlrev_b32_e32 v12, 8, v88
	v_xor_b32_e32 v117, v13, v9
	v_or_b32_e32 v13, 64, v7
	v_or_b32_e32 v7, 0x60, v7
	v_xor_b32_e32 v115, v8, v9
	v_or_b32_e32 v8, v12, v23
	v_xor_b32_e32 v13, v13, v5
	v_xor_b32_e32 v5, v7, v5
	s_ashr_i32 s3, s2, 31
	v_lshlrev_b32_e32 v8, 1, v8
	v_or_b32_e32 v13, v13, v6
	v_or_b32_e32 v5, v5, v6
	s_lshl_b64 s[28:29], s[2:3], 8
	v_lshlrev_b32_e32 v17, 2, v0
	v_or_b32_e32 v116, 0x4000, v8
	v_or_b32_e32 v118, 0x4080, v8
	;; [unrolled: 1-line block ×4, first 2 shown]
	v_xor_b32_e32 v121, v13, v9
	v_xor_b32_e32 v122, v5, v9
	v_or_b32_e32 v123, 0x6000, v8
	v_or_b32_e32 v124, 0x6080, v8
	;; [unrolled: 1-line block ×4, first 2 shown]
	v_lshlrev_b32_e32 v5, 1, v3
	v_add_lshl_u32 v3, v3, s23, 1
	v_or_b32_e32 v13, 0x100, v2
	s_add_u32 s28, s4, s28
	v_lshlrev_b32_e32 v8, 1, v89
	v_lshrrev_b32_e32 v18, 1, v0
	v_and_or_b32 v12, v17, 60, v12
	v_lshrrev_b32_e32 v14, 4, v0
	s_addc_u32 s29, s5, s29
	v_or_b32_e32 v9, 1, v8
	v_and_b32_e32 v18, 24, v18
	v_lshlrev_b32_e32 v12, 1, v12
	v_cndmask_b32_e64 v133, v5, v2, s[0:1]
	v_cndmask_b32_e64 v134, v3, v13, s[0:1]
	v_mov_b32_e32 v3, 0xa000
	v_mov_b32_e32 v5, 0x8000
	v_cmp_gt_u32_e64 s[0:1], s25, v0
	v_xor_b32_e32 v15, v14, v8
	v_xor_b32_e32 v16, v9, v14
	v_lshl_add_u64 v[8:9], s[28:29], 0, v[78:79]
	v_lshlrev_b32_e32 v78, 8, v14
	v_or_b32_e32 v129, 0x6000, v12
	v_or_b32_e32 v17, 32, v18
	;; [unrolled: 1-line block ×6, first 2 shown]
	v_cndmask_b32_e64 v3, v3, v5, s[0:1]
	v_lshlrev_b32_e32 v5, 3, v77
	v_lshl_or_b32 v127, v15, 3, v78
	v_and_b32_e32 v15, 8, v0
	v_xor_b32_e32 v13, v5, v18
	v_xor_b32_e32 v17, v5, v17
	;; [unrolled: 1-line block ×3, first 2 shown]
	v_mov_b32_e32 v19, 0x400
	v_cmp_eq_u32_e32 vcc, 0, v15
	v_or_b32_e32 v18, 0x440, v13
	v_or_b32_e32 v20, 0x440, v17
	v_xor_b32_e32 v12, 0x440, v5
	v_and_b32_e32 v14, 7, v0
	v_cndmask_b32_e64 v15, v19, 64, vcc
	v_cndmask_b32_e32 v18, v18, v13, vcc
	v_cndmask_b32_e32 v17, v20, v17, vcc
	;; [unrolled: 1-line block ×3, first 2 shown]
	v_or_b32_e32 v6, s2, v89
	v_lshl_or_b32 v128, v16, 3, v78
	v_lshlrev_b32_e32 v16, 3, v14
	v_or_b32_e32 v18, v18, v11
	v_or_b32_e32 v17, v17, v11
	v_or3_b32 v13, v11, v15, v13
	v_or_b32_e32 v5, v5, v11
	v_ashrrev_i32_e32 v7, 31, v6
	v_lshlrev_b32_e32 v14, 7, v14
	v_xor_b32_e32 v18, v18, v16
	v_xor_b32_e32 v17, v17, v16
	;; [unrolled: 1-line block ×4, first 2 shown]
	v_or_b32_e32 v2, v86, v10
	v_add_u32_e32 v19, v3, v18
	v_add_u32_e32 v20, v3, v17
	v_or_b32_e32 v135, v13, v14
	v_add_u32_e32 v11, v3, v5
	v_or3_b32 v10, v86, v10, 64
	v_add_u32_e32 v12, 0xa000, v18
	v_add_u32_e32 v13, 0xa000, v17
	;; [unrolled: 1-line block ×3, first 2 shown]
	v_lshlrev_b64 v[6:7], 1, v[6:7]
	v_lshl_add_u64 v[80:81], s[16:17], 0, v[6:7]
	v_lshl_add_u64 v[82:83], s[6:7], 0, v[6:7]
	;; [unrolled: 1-line block ×3, first 2 shown]
	s_mov_b32 s3, 0x7060302
	v_lshlrev_b32_e32 v78, 1, v4
	s_movk_i32 s25, 0x2000
	v_lshlrev_b32_e32 v137, 2, v2
	v_add_u32_e32 v138, v19, v14
	v_add_u32_e32 v139, v20, v14
	v_add_u32_e32 v140, v3, v135
	v_add_u32_e32 v141, v11, v14
	v_lshlrev_b32_e32 v142, 2, v10
	v_add_u32_e32 v143, v12, v14
	v_add_u32_e32 v144, v13, v14
	;; [unrolled: 1-line block ×3, first 2 shown]
	v_mov_b32_e32 v8, v79
	v_mov_b32_e32 v9, v79
	;; [unrolled: 1-line block ×31, first 2 shown]
	s_waitcnt lgkmcnt(0)
	s_barrier
.LBB133_6:                              ; =>This Inner Loop Header: Depth=1
	s_add_i32 s67, s66, 1
	s_cmp_lt_i32 s67, s53
	s_mov_b64 s[36:37], 0
	s_cselect_b64 s[46:47], -1, 0
	s_cmp_ge_i32 s67, s53
	s_mov_b64 s[28:29], 0
	s_cbranch_scc1 .LBB133_8
; %bb.7:                                ;   in Loop: Header=BB133_6 Depth=1
	s_add_i32 s0, s59, 64
	s_ashr_i32 s1, s0, 31
	s_add_u32 s0, s57, s0
	s_addc_u32 s1, s55, s1
	s_lshl_b64 s[0:1], s[0:1], 8
	s_add_u32 s28, s14, s0
	s_addc_u32 s29, s15, s1
.LBB133_8:                              ;   in Loop: Header=BB133_6 Depth=1
	v_cndmask_b32_e64 v34, 0, 1, s[46:47]
	v_cmp_ne_u32_e64 s[0:1], 1, v34
	s_andn2_b64 vcc, exec, s[46:47]
	s_cbranch_vccnz .LBB133_10
; %bb.9:                                ;   in Loop: Header=BB133_6 Depth=1
	s_add_i32 s36, s59, 64
	s_mul_hi_i32 s37, s36, s22
	s_mul_i32 s36, s36, s22
	s_add_u32 s36, s36, s56
	s_addc_u32 s37, s37, s61
	s_lshl_b64 s[36:37], s[36:37], 8
	s_add_u32 s36, s12, s36
	s_addc_u32 s37, s13, s37
.LBB133_10:                             ;   in Loop: Header=BB133_6 Depth=1
	v_perm_b32 v35, v33, v32, s3
	v_perm_b32 v34, v31, v30, s3
	v_perm_b32 v37, v29, v28, s3
	v_perm_b32 v36, v27, v26, s3
	ds_write_b64 v99, v[34:35]
	ds_write_b64 v100, v[36:37]
	ds_write_b64 v105, v[34:35]
	ds_write_b64 v106, v[36:37]
	v_perm_b32 v35, v25, v24, s3
	v_perm_b32 v34, v23, v22, s3
	v_perm_b32 v37, v21, v20, s3
	v_perm_b32 v36, v19, v18, s3
	ds_write_b64 v101, v[34:35]
	ds_write_b64 v102, v[36:37]
	ds_write_b64 v107, v[34:35]
	ds_write_b64 v108, v[36:37]
	;; [unrolled: 8-line block ×4, first 2 shown]
	s_waitcnt lgkmcnt(0)
	s_barrier
	ds_read_b64 v[38:39], v115 offset:49152
	ds_read2_b64 v[34:37], v116 offset1:16
	ds_read_b64 v[50:51], v118 offset:6144
	ds_read_b64 v[52:53], v116 offset:6144
	s_waitcnt lgkmcnt(2)
	v_mfma_f32_16x16x16_bf16 a[0:3], v[38:39], v[34:35], 0
	ds_read_b64 v[54:55], v117 offset:49152
	ds_read2st64_b64 v[42:45], v119 offset0:4 offset1:8
	ds_read2st64_b64 v[46:49], v120 offset0:4 offset1:8
	v_mfma_f32_16x16x16_bf16 a[4:7], v[38:39], v[36:37], 0
	ds_read2_b64 v[34:37], v116 offset0:32 offset1:48
	s_add_i32 s68, s59, 63
	s_ashr_i32 s39, s68, 31
	s_waitcnt lgkmcnt(0)
	v_mfma_f32_16x16x16_bf16 a[8:11], v[38:39], v[34:35], 0
	s_mul_i32 s46, s68, s11
	s_mul_hi_u32 s47, s68, s10
	s_add_i32 s46, s47, s46
	v_mfma_f32_16x16x16_bf16 a[12:15], v[38:39], v[36:37], 0
	ds_read2st64_b64 v[34:37], v116 offset0:4 offset1:8
	ds_read2st64_b64 v[38:41], v118 offset0:4 offset1:8
	s_mul_i32 s39, s39, s10
	s_waitcnt lgkmcnt(1)
	v_mfma_f32_16x16x16_bf16 a[0:3], v[54:55], v[34:35], a[0:3]
	s_add_i32 s47, s46, s39
	s_mul_i32 s46, s68, s10
	s_lshl_b64 s[46:47], s[46:47], 2
	s_waitcnt lgkmcnt(0)
	v_mfma_f32_16x16x16_bf16 a[4:7], v[54:55], v[38:39], a[4:7]
	s_add_u32 s46, s44, s46
	s_addc_u32 s47, s45, s47
	s_and_b64 vcc, exec, s[0:1]
	v_mfma_f32_16x16x16_bf16 a[8:11], v[54:55], v[42:43], a[8:11]
	ds_read_b64 v[34:35], v121 offset:49152
	ds_read_b64 v[38:39], v122 offset:49152
	;; [unrolled: 1-line block ×3, first 2 shown]
	v_mov_b32_e32 v148, 0
	v_mov_b32_e32 v147, 0
	v_mfma_f32_16x16x16_bf16 a[12:15], v[54:55], v[46:47], a[12:15]
	v_mov_b32_e32 v146, 0
	v_mov_b32_e32 v46, 0
	;; [unrolled: 1-line block ×3, first 2 shown]
	s_waitcnt lgkmcnt(2)
	v_mfma_f32_16x16x16_bf16 a[0:3], v[34:35], v[36:37], a[0:3]
	v_mov_b32_e32 v36, 0
	v_mov_b32_e32 v37, 0
	v_mfma_f32_16x16x16_bf16 a[16:19], v[34:35], v[40:41], a[4:7]
	v_mov_b32_e32 v40, 0
	v_mov_b32_e32 v41, 0
	;; [unrolled: 3-line block ×3, first 2 shown]
	v_mfma_f32_16x16x16_bf16 a[24:27], v[34:35], v[48:49], a[12:15]
	ds_read_b64 v[34:35], v119 offset:6144
	v_mov_b32_e32 v48, 0
	v_mov_b32_e32 v49, 0
	s_waitcnt lgkmcnt(2)
	v_mfma_f32_16x16x16_bf16 a[4:7], v[38:39], v[52:53], a[0:3]
	v_mfma_f32_16x16x16_bf16 a[8:11], v[38:39], v[50:51], a[16:19]
	s_waitcnt lgkmcnt(0)
	v_mfma_f32_16x16x16_bf16 a[12:15], v[38:39], v[34:35], a[20:23]
	v_mov_b32_e32 v34, 0
	v_mov_b32_e32 v35, 0
	v_mfma_f32_16x16x16_bf16 a[0:3], v[38:39], v[42:43], a[24:27]
	v_mov_b32_e32 v38, 0
	v_mov_b32_e32 v39, 0
	;; [unrolled: 1-line block ×4, first 2 shown]
	s_cbranch_vccnz .LBB133_12
; %bb.11:                               ;   in Loop: Header=BB133_6 Depth=1
	s_and_b32 s29, s29, 0xffff
	buffer_load_dwordx4 v[46:49], v95, s[28:31], 0 offen
	buffer_load_dwordx4 v[42:45], v95, s[28:31], s62 offen
	;; [unrolled: 1-line block ×4, first 2 shown]
	v_mov_b32_e32 v147, v97
	v_mov_b32_e32 v146, v98
.LBB133_12:                             ;   in Loop: Header=BB133_6 Depth=1
	ds_read_b64 v[62:63], v115 offset:57344
	ds_read2_b64 v[50:53], v123 offset1:16
	ds_read_b64 v[66:67], v117 offset:57344
	ds_read_b64 v[68:69], v121 offset:57344
	;; [unrolled: 1-line block ×3, first 2 shown]
	v_add_u32_e32 v64, s59, v136
	s_waitcnt lgkmcnt(3)
	v_mfma_f32_16x16x16_bf16 a[4:7], v[62:63], v[50:51], a[4:7]
	v_mfma_f32_16x16x16_bf16 a[8:11], v[62:63], v[52:53], a[8:11]
	ds_read2_b64 v[50:53], v123 offset0:32 offset1:48
	ds_read2st64_b64 v[54:57], v123 offset0:4 offset1:8
	ds_read2st64_b64 v[58:61], v124 offset0:4 offset1:8
	s_waitcnt lgkmcnt(2)
	v_mfma_f32_16x16x16_bf16 a[12:15], v[62:63], v[50:51], a[12:15]
	v_ashrrev_i32_e32 v50, 31, v64
	v_mul_lo_u32 v65, v50, s10
	v_mad_u64_u32 v[50:51], s[28:29], v64, s10, 0
	v_mfma_f32_16x16x16_bf16 a[0:3], v[62:63], v[52:53], a[0:3]
	v_mul_lo_u32 v52, v64, s11
	v_add3_u32 v51, v51, v52, v65
	v_add_u32_e32 v52, 1, v64
	v_ashrrev_i32_e32 v53, 31, v52
	s_waitcnt lgkmcnt(1)
	v_mfma_f32_16x16x16_bf16 a[4:7], v[66:67], v[54:55], a[4:7]
	v_mul_lo_u32 v54, v53, s10
	v_mul_lo_u32 v55, v52, s11
	v_mad_u64_u32 v[52:53], s[28:29], v52, s10, 0
	v_add3_u32 v53, v53, v55, v54
	v_add_u32_e32 v54, 2, v64
	v_ashrrev_i32_e32 v55, 31, v54
	v_mul_lo_u32 v62, v55, s10
	v_mul_lo_u32 v63, v54, s11
	v_mad_u64_u32 v[54:55], s[28:29], v54, s10, 0
	v_add3_u32 v55, v55, v63, v62
	v_add_u32_e32 v62, 3, v64
	v_ashrrev_i32_e32 v63, 31, v62
	v_mul_lo_u32 v64, v63, s10
	v_mul_lo_u32 v65, v62, s11
	v_mad_u64_u32 v[62:63], s[28:29], v62, s10, 0
	s_ashr_i32 s29, s59, 31
	s_add_u32 s28, s57, s59
	s_addc_u32 s29, s55, s29
	v_lshl_add_u64 v[50:51], v[50:51], 2, s[44:45]
	v_add3_u32 v63, v63, v65, v64
	s_lshl_b64 s[28:29], s[28:29], 8
	v_lshl_add_u64 v[52:53], v[52:53], 2, s[44:45]
	v_lshl_add_u64 v[54:55], v[54:55], 2, s[44:45]
	;; [unrolled: 1-line block ×3, first 2 shown]
	global_load_dword v72, v[50:51], off
	global_load_dword v73, v[52:53], off
	;; [unrolled: 1-line block ×4, first 2 shown]
	v_lshl_add_u64 v[50:51], v[80:81], 0, s[28:29]
	v_lshl_add_u64 v[54:55], v[50:51], 0, v[78:79]
	global_load_ushort v76, v[54:55], off offset:256
	global_load_ushort v149, v[54:55], off
	ds_read2st64_b64 v[50:53], v125 offset0:4 offset1:8
	global_load_ushort v150, v[54:55], off offset:768
	global_load_ushort v151, v[54:55], off offset:512
	ds_read2st64_b64 v[62:65], v126 offset0:4 offset1:8
	global_load_ushort v152, v[54:55], off offset:288
	global_load_ushort v153, v[54:55], off offset:32
	;; [unrolled: 1-line block ×4, first 2 shown]
	s_waitcnt lgkmcnt(2)
	v_mfma_f32_16x16x16_bf16 a[8:11], v[66:67], v[58:59], a[8:11]
	global_load_ushort v156, v[54:55], off offset:320
	global_load_ushort v157, v[54:55], off offset:64
	;; [unrolled: 1-line block ×4, first 2 shown]
	s_and_b64 vcc, exec, s[0:1]
	s_waitcnt lgkmcnt(1)
	v_mfma_f32_16x16x16_bf16 a[12:15], v[66:67], v[50:51], a[12:15]
	ds_read_b64 v[50:51], v123 offset:6144
	s_waitcnt lgkmcnt(1)
	v_mfma_f32_16x16x16_bf16 a[0:3], v[66:67], v[62:63], a[0:3]
	v_lshl_add_u64 v[62:63], v[82:83], 0, s[28:29]
	v_lshl_add_u64 v[62:63], v[62:63], 0, v[78:79]
	v_mfma_f32_16x16x16_bf16 a[4:7], v[68:69], v[56:57], a[4:7]
	v_mfma_f32_16x16x16_bf16 a[8:11], v[68:69], v[60:61], a[8:11]
	;; [unrolled: 1-line block ×4, first 2 shown]
	global_load_ushort v68, v[54:55], off offset:352
	global_load_ushort v69, v[54:55], off offset:96
	ds_read_b64 v[52:53], v124 offset:6144
	ds_read_b64 v[56:57], v125 offset:6144
	;; [unrolled: 1-line block ×3, first 2 shown]
	s_load_dword s46, s[46:47], 0x0
	global_load_ushort v160, v[54:55], off offset:864
	global_load_ushort v161, v[54:55], off offset:608
	s_waitcnt lgkmcnt(0)
	v_mfma_f32_16x16x16_bf16 a[4:7], v[70:71], v[50:51], a[4:7]
	s_waitcnt vmcnt(17)
	v_sub_f32_e32 v60, s46, v74
	v_mfma_f32_16x16x16_bf16 a[0:3], v[70:71], v[58:59], a[0:3]
	v_sub_f32_e32 v58, s46, v72
	v_sub_f32_e32 v59, s46, v73
	s_waitcnt vmcnt(16)
	v_sub_f32_e32 v61, s46, v75
	v_mfma_f32_16x16x16_bf16 a[8:11], v[70:71], v[52:53], a[8:11]
	v_exp_f32_e32 v58, v58
	v_exp_f32_e32 v59, v59
	;; [unrolled: 1-line block ×4, first 2 shown]
	v_accvgpr_read_b32 v67, a5
	s_waitcnt vmcnt(15)
	v_lshlrev_b32_e32 v65, 16, v76
	s_waitcnt vmcnt(14)
	v_lshlrev_b32_e32 v64, 16, v149
	v_accvgpr_read_b32 v66, a4
	v_accvgpr_read_b32 v51, a7
	;; [unrolled: 1-line block ×3, first 2 shown]
	v_pk_add_f32 v[64:65], v[64:65], v[66:67] neg_lo:[0,1] neg_hi:[0,1]
	s_waitcnt vmcnt(13)
	v_lshlrev_b32_e32 v67, 16, v150
	s_waitcnt vmcnt(12)
	v_lshlrev_b32_e32 v66, 16, v151
	v_pk_add_f32 v[50:51], v[66:67], v[50:51] neg_lo:[0,1] neg_hi:[0,1]
	global_store_short_d16_hi v[62:63], v64, off
	global_store_short_d16_hi v[62:63], v65, off offset:256
	global_store_short_d16_hi v[62:63], v50, off offset:512
	;; [unrolled: 1-line block ×3, first 2 shown]
	v_pk_mul_f32 v[64:65], v[58:59], v[64:65]
	v_pk_mul_f32 v[50:51], v[60:61], v[50:51]
	v_accvgpr_read_b32 v67, a9
	v_perm_b32 v64, v65, v64, s3
	v_perm_b32 v65, v51, v50, s3
	s_waitcnt vmcnt(15)
	v_lshlrev_b32_e32 v51, 16, v152
	s_waitcnt vmcnt(14)
	v_lshlrev_b32_e32 v50, 16, v153
	v_accvgpr_read_b32 v66, a8
	v_accvgpr_read_b32 v53, a11
	v_mfma_f32_16x16x16_bf16 a[12:15], v[70:71], v[56:57], a[12:15]
	v_accvgpr_read_b32 v52, a10
	v_pk_add_f32 v[50:51], v[50:51], v[66:67] neg_lo:[0,1] neg_hi:[0,1]
	s_waitcnt vmcnt(13)
	v_lshlrev_b32_e32 v67, 16, v154
	s_waitcnt vmcnt(12)
	v_lshlrev_b32_e32 v66, 16, v155
	v_pk_add_f32 v[52:53], v[66:67], v[52:53] neg_lo:[0,1] neg_hi:[0,1]
	global_store_short_d16_hi v[62:63], v50, off offset:32
	global_store_short_d16_hi v[62:63], v51, off offset:288
	;; [unrolled: 1-line block ×4, first 2 shown]
	v_pk_mul_f32 v[50:51], v[58:59], v[50:51]
	v_pk_mul_f32 v[52:53], v[60:61], v[52:53]
	v_accvgpr_read_b32 v55, a15
	v_perm_b32 v53, v53, v52, s3
	v_perm_b32 v52, v51, v50, s3
	ds_write2_b64 v100, v[64:65], v[52:53] offset1:16
	v_accvgpr_read_b32 v53, a13
	s_waitcnt vmcnt(15)
	v_lshlrev_b32_e32 v51, 16, v156
	s_waitcnt vmcnt(14)
	v_lshlrev_b32_e32 v50, 16, v157
	v_accvgpr_read_b32 v52, a12
	v_accvgpr_read_b32 v54, a14
	v_pk_add_f32 v[50:51], v[50:51], v[52:53] neg_lo:[0,1] neg_hi:[0,1]
	s_waitcnt vmcnt(13)
	v_lshlrev_b32_e32 v53, 16, v158
	s_waitcnt vmcnt(12)
	v_lshlrev_b32_e32 v52, 16, v159
	v_pk_add_f32 v[52:53], v[52:53], v[54:55] neg_lo:[0,1] neg_hi:[0,1]
	global_store_short_d16_hi v[62:63], v50, off offset:64
	global_store_short_d16_hi v[62:63], v51, off offset:320
	;; [unrolled: 1-line block ×4, first 2 shown]
	v_pk_mul_f32 v[50:51], v[58:59], v[50:51]
	v_pk_mul_f32 v[52:53], v[60:61], v[52:53]
	v_accvgpr_read_b32 v55, a1
	v_perm_b32 v50, v51, v50, s3
	v_perm_b32 v51, v53, v52, s3
	s_waitcnt vmcnt(15)
	v_lshlrev_b32_e32 v53, 16, v68
	s_waitcnt vmcnt(14)
	v_lshlrev_b32_e32 v52, 16, v69
	v_accvgpr_read_b32 v54, a0
	v_accvgpr_read_b32 v57, a3
	;; [unrolled: 1-line block ×3, first 2 shown]
	v_pk_add_f32 v[52:53], v[52:53], v[54:55] neg_lo:[0,1] neg_hi:[0,1]
	s_waitcnt vmcnt(13)
	v_lshlrev_b32_e32 v55, 16, v160
	s_waitcnt vmcnt(12)
	v_lshlrev_b32_e32 v54, 16, v161
	v_pk_add_f32 v[54:55], v[54:55], v[56:57] neg_lo:[0,1] neg_hi:[0,1]
	global_store_short_d16_hi v[62:63], v52, off offset:96
	global_store_short_d16_hi v[62:63], v53, off offset:352
	;; [unrolled: 1-line block ×4, first 2 shown]
	v_pk_mul_f32 v[52:53], v[58:59], v[52:53]
	v_pk_mul_f32 v[54:55], v[60:61], v[54:55]
	v_mov_b32_e32 v149, 0
	v_perm_b32 v55, v55, v54, s3
	v_perm_b32 v54, v53, v52, s3
	ds_write2_b64 v100, v[50:51], v[54:55] offset0:32 offset1:48
	v_mov_b32_e32 v50, 0
	v_mov_b32_e32 v51, 0
	;; [unrolled: 1-line block ×16, first 2 shown]
	s_cbranch_vccnz .LBB133_14
; %bb.13:                               ;   in Loop: Header=BB133_6 Depth=1
	s_and_b32 s37, s37, 0xffff
	s_mov_b32 s39, s31
	buffer_load_dwordx4 v[62:65], v133, s[36:39], 0 offen
	buffer_load_dwordx4 v[54:57], v133, s[36:39], s62 offen
	;; [unrolled: 1-line block ×4, first 2 shown]
	v_mov_b32_e32 v148, v94
	v_mov_b32_e32 v149, v93
.LBB133_14:                             ;   in Loop: Header=BB133_6 Depth=1
	s_waitcnt lgkmcnt(0)
	s_barrier
	ds_read_b64 v[74:75], v138
	ds_read2_b64 v[66:69], v129 offset1:16
	ds_read_b64 v[166:167], v139
	ds_read_b64 v[168:169], v140
	;; [unrolled: 1-line block ×3, first 2 shown]
	ds_read2_b64 v[70:73], v129 offset0:32 offset1:48
	ds_read2st64_b64 v[150:153], v129 offset0:4 offset1:8
	ds_read2st64_b64 v[154:157], v130 offset0:4 offset1:8
	;; [unrolled: 1-line block ×4, first 2 shown]
	s_waitcnt lgkmcnt(8)
	v_mfma_f32_16x16x16_bf16 a[0:3], v[74:75], v[66:67], 0
	s_add_i32 s28, s54, s66
	s_mul_hi_i32 s29, s28, s33
	s_mul_i32 s28, s28, s33
	v_mfma_f32_16x16x16_bf16 a[4:7], v[74:75], v[68:69], 0
	s_add_u32 s28, s28, s49
	s_addc_u32 s29, s29, s60
	s_lshl_b64 s[28:29], s[28:29], 15
	s_waitcnt lgkmcnt(4)
	v_mfma_f32_16x16x16_bf16 a[8:11], v[74:75], v[70:71], 0
	s_mul_i32 s36, s68, s33
	s_mul_hi_i32 s37, s68, s33
	s_add_u32 s36, s36, s49
	v_mfma_f32_16x16x16_bf16 a[12:15], v[74:75], v[72:73], 0
	ds_read_b64 v[74:75], v129 offset:6144
	ds_read_b64 v[178:179], v130 offset:6144
	;; [unrolled: 1-line block ×4, first 2 shown]
	s_addc_u32 s37, s37, s60
	s_waitcnt lgkmcnt(7)
	v_mfma_f32_16x16x16_bf16 a[0:3], v[166:167], v[150:151], a[0:3]
	s_lshl_b64 s[36:37], s[36:37], 9
	s_add_u32 s36, s40, s36
	s_addc_u32 s37, s41, s37
	s_waitcnt lgkmcnt(6)
	v_mfma_f32_16x16x16_bf16 a[4:7], v[166:167], v[154:155], a[4:7]
	v_lshl_add_u64 v[188:189], v[84:85], 0, s[28:29]
	s_waitcnt lgkmcnt(5)
	v_mfma_f32_16x16x16_bf16 a[8:11], v[166:167], v[158:159], a[8:11]
	s_waitcnt lgkmcnt(4)
	v_mfma_f32_16x16x16_bf16 a[12:15], v[166:167], v[162:163], a[12:15]
	ds_read_b64 v[166:167], v143
	ds_read_b64 v[176:177], v144
	;; [unrolled: 1-line block ×3, first 2 shown]
	s_waitcnt lgkmcnt(2)
	v_mfma_f32_16x16x16_bf16 a[16:19], v[166:167], v[66:67], 0
	v_mfma_f32_16x16x16_bf16 a[20:23], v[166:167], v[68:69], 0
	global_load_dwordx4 v[66:69], v142, s[36:37]
	v_mfma_f32_16x16x16_bf16 a[24:27], v[166:167], v[70:71], 0
	v_mfma_f32_16x16x16_bf16 a[28:31], v[166:167], v[72:73], 0
	global_load_dwordx4 v[70:73], v137, s[36:37]
	v_mfma_f32_16x16x16_bf16 a[0:3], v[168:169], v[152:153], a[0:3]
	v_mfma_f32_16x16x16_bf16 a[4:7], v[168:169], v[156:157], a[4:7]
	;; [unrolled: 1-line block ×8, first 2 shown]
	ds_read2st64_b64 v[166:169], v127 offset1:8
	ds_read2st64_b64 v[170:173], v128 offset1:8
	ds_read_b64 v[186:187], v135 offset:40960
	s_waitcnt lgkmcnt(2)
	v_mov_b32_e32 v174, v166
	v_mfma_f32_16x16x16_bf16 a[16:19], v[176:177], v[150:151], a[16:19]
	v_mov_b32_e32 v175, v167
	v_mfma_f32_16x16x16_bf16 a[20:23], v[176:177], v[154:155], a[20:23]
	v_mfma_f32_16x16x16_bf16 a[24:27], v[176:177], v[158:159], a[24:27]
	;; [unrolled: 1-line block ×3, first 2 shown]
	v_add_co_u32_e32 v162, vcc, s25, v188
	s_waitcnt lgkmcnt(1)
	v_mov_b32_e32 v176, v170
	s_waitcnt lgkmcnt(0)
	v_mfma_f32_16x16x16_bf16 a[16:19], v[186:187], v[152:153], a[16:19]
	ds_read2st64_b64 v[150:153], v127 offset0:16 offset1:24
	v_addc_co_u32_e32 v163, vcc, 0, v189, vcc
	v_mfma_f32_16x16x16_bf16 a[32:35], v[186:187], v[156:157], a[20:23]
	ds_read2st64_b64 v[154:157], v128 offset0:16 offset1:24
	v_mov_b32_e32 v177, v171
	v_mov_b32_e32 v170, v168
	v_mfma_f32_16x16x16_bf16 a[24:27], v[186:187], v[160:161], a[24:27]
	v_mov_b32_e32 v171, v169
	s_waitcnt lgkmcnt(0)
	v_mov_b32_e32 v160, v154
	v_mov_b32_e32 v161, v155
	v_mfma_f32_16x16x16_bf16 a[36:39], v[186:187], v[164:165], a[28:31]
	v_mov_b32_e32 v154, v152
	v_mov_b32_e32 v155, v153
	;; [unrolled: 1-line block ×3, first 2 shown]
	v_mfma_f32_16x16x16_bf16 a[20:23], v[184:185], v[74:75], a[16:19]
	v_add_co_u32_e32 v74, vcc, s65, v188
	v_mov_b32_e32 v159, v151
	v_mfma_f32_16x16x16_bf16 a[28:31], v[184:185], v[178:179], a[32:35]
	v_addc_co_u32_e32 v75, vcc, 0, v189, vcc
	global_store_dwordx4 v[74:75], v[154:157], off
	v_mfma_f32_16x16x16_bf16 a[16:19], v[184:185], v[180:181], a[24:27]
	s_waitcnt vmcnt(2)
	v_mov_b32_e32 v76, v69
	v_mov_b32_e32 v75, v68
	v_mov_b32_e32 v74, v67
	v_mfma_f32_16x16x16_bf16 a[24:27], v[184:185], v[182:183], a[36:39]
	s_and_b64 vcc, exec, s[0:1]
	global_store_dwordx4 v[188:189], v[174:177], off
	global_store_dwordx4 v[162:163], v[170:173], off offset:-4096
	global_store_dwordx4 v[162:163], v[158:161], off
	s_cbranch_vccnz .LBB133_16
; %bb.15:                               ;   in Loop: Header=BB133_6 Depth=1
	v_lshrrev_b32_e32 v67, 3, v148
	v_and_b32_e32 v67, 6, v67
	v_xor_b32_e32 v68, v67, v149
	v_lshlrev_b32_e32 v68, 2, v68
	v_and_b32_e32 v69, 8, v148
	v_xor_b32_e32 v148, 0x440, v68
	v_cmp_eq_u32_e32 vcc, 0, v69
	v_perm_b32 v69, v54, v50, s63
	s_nop 0
	v_cndmask_b32_e32 v68, v148, v68, vcc
	v_lshl_or_b32 v67, v67, 10, v68
	v_perm_b32 v68, v62, v58, s63
	s_barrier
	ds_write2st64_b32 v67, v68, v69 offset0:128 offset1:160
	v_xor_b32_e32 v68, 8, v67
	v_perm_b32 v58, v62, v58, s64
	v_perm_b32 v50, v54, v50, s64
	v_add_u32_e32 v54, 0x80, v68
	ds_write2st64_b32 v54, v58, v50 offset0:128 offset1:160
	v_xor_b32_e32 v50, 16, v67
	v_perm_b32 v54, v63, v59, s63
	v_perm_b32 v58, v55, v51, s63
	ds_write2st64_b32 v50, v54, v58 offset0:129 offset1:161
	v_xor_b32_e32 v50, 24, v67
	v_perm_b32 v54, v63, v59, s64
	v_perm_b32 v51, v55, v51, s64
	v_add_u32_e32 v50, 0x80, v50
	ds_write2st64_b32 v50, v54, v51 offset0:129 offset1:161
	v_xor_b32_e32 v50, 32, v67
	v_perm_b32 v51, v64, v60, s63
	v_perm_b32 v54, v56, v52, s63
	;; [unrolled: 9-line block ×3, first 2 shown]
	ds_write2st64_b32 v50, v51, v52 offset0:131 offset1:163
	v_xor_b32_e32 v50, 56, v67
	v_perm_b32 v51, v65, v61, s64
	v_perm_b32 v52, v57, v53, s64
	v_add_u32_e32 v50, 0x80, v50
	ds_write2st64_b32 v50, v51, v52 offset0:131 offset1:163
	ds_write_b64 v147, v[46:47] offset:49152
	v_xor_b32_e32 v46, 8, v147
	ds_write_b64 v46, v[48:49] offset:49152
	ds_write_b64 v147, v[42:43] offset:57344
	;; [unrolled: 1-line block ×4, first 2 shown]
	v_xor_b32_e32 v38, 8, v146
	ds_write_b64 v38, v[40:41] offset:49152
	ds_write_b64 v146, v[34:35] offset:57344
	;; [unrolled: 1-line block ×3, first 2 shown]
.LBB133_16:                             ;   in Loop: Header=BB133_6 Depth=1
	v_exp_f32_e32 v68, s46
	s_waitcnt vmcnt(4)
	v_exp_f32_e32 v70, v70
	v_exp_f32_e32 v71, v71
	;; [unrolled: 1-line block ×4, first 2 shown]
	v_accvgpr_read_b32 v37, a3
	v_accvgpr_read_b32 v36, a2
	;; [unrolled: 1-line block ×4, first 2 shown]
	v_pk_mul_f32 v[70:71], v[68:69], v[70:71] op_sel_hi:[0,1]
	v_pk_mul_f32 v[72:73], v[68:69], v[72:73] op_sel_hi:[0,1]
	v_pk_fma_f32 v[30:31], v[30:31], v[70:71], v[34:35]
	v_pk_fma_f32 v[32:33], v[32:33], v[72:73], v[36:37]
	v_exp_f32_e32 v34, v66
	v_exp_f32_e32 v35, v74
	;; [unrolled: 1-line block ×4, first 2 shown]
	v_accvgpr_read_b32 v41, a7
	v_accvgpr_read_b32 v45, a11
	;; [unrolled: 1-line block ×28, first 2 shown]
	v_pk_mul_f32 v[34:35], v[68:69], v[34:35] op_sel_hi:[0,1]
	v_pk_mul_f32 v[36:37], v[68:69], v[36:37] op_sel_hi:[0,1]
	s_add_i32 s59, s59, 64
	v_pk_fma_f32 v[22:23], v[70:71], v[22:23], v[38:39]
	v_pk_fma_f32 v[24:25], v[72:73], v[24:25], v[40:41]
	;; [unrolled: 1-line block ×13, first 2 shown]
	s_cmp_eq_u32 s53, s67
	v_pk_fma_f32 v[8:9], v[36:37], v[8:9], v[64:65]
	s_cbranch_scc1 .LBB133_18
; %bb.17:                               ;   in Loop: Header=BB133_6 Depth=1
	s_mov_b32 s66, s67
	s_branch .LBB133_6
.LBB133_18:
	s_lshl_b32 s3, s53, 6
	s_sub_i32 s58, s58, s3
	s_cmp_gt_i32 s58, 0
	v_or_b32_e32 v50, s2, v89
	s_cbranch_scc1 .LBB133_20
; %bb.19:
	s_ashr_i32 s37, s49, 31
	v_or_b32_e32 v34, s2, v89
	s_cbranch_execz .LBB133_21
	s_branch .LBB133_101
.LBB133_20:
                                        ; implicit-def: $vgpr34
                                        ; implicit-def: $sgpr36_sgpr37
.LBB133_21:
	s_add_i32 s36, s3, s42
	s_ashr_i32 s3, s36, 31
	s_cmpk_lg_i32 s23, 0x80
	s_cselect_b64 s[44:45], -1, 0
	s_and_b64 vcc, exec, s[44:45]
	s_cbranch_vccz .LBB133_23
; %bb.22:
	s_mul_hi_i32 s0, s36, s22
	s_mul_i32 s1, s36, s22
	s_ashr_i32 s22, s56, 31
	s_add_u32 s46, s1, s56
	s_addc_u32 s47, s0, s22
	s_cbranch_execz .LBB133_24
	s_branch .LBB133_25
.LBB133_23:
                                        ; implicit-def: $sgpr46_sgpr47
.LBB133_24:
	s_mul_i32 s1, s56, s20
	s_mul_hi_i32 s0, s56, s20
	s_add_u32 s46, s1, s36
	s_addc_u32 s47, s0, s3
.LBB133_25:
	s_add_i32 s20, s53, s54
	s_ashr_i32 s37, s49, 31
	s_add_u32 s0, s57, s36
	v_lshlrev_b32_e32 v38, 6, v1
	v_lshlrev_b32_e32 v59, 2, v89
	s_addc_u32 s1, s55, s3
	s_mov_b32 s3, 0x7060302
	v_or_b32_e32 v41, v38, v59
	v_xor_b32_e32 v39, v1, v59
	v_perm_b32 v35, v33, v32, s3
	v_perm_b32 v34, v31, v30, s3
	;; [unrolled: 1-line block ×4, first 2 shown]
	v_lshlrev_b32_e32 v41, 1, v41
	v_xor_b32_e32 v40, v92, v59
	ds_write2st64_b64 v41, v[34:35], v[36:37] offset0:32 offset1:48
	v_lshlrev_b32_e32 v39, 1, v39
	v_lshlrev_b32_e32 v41, 8, v89
	v_or_b32_e32 v42, v39, v41
	v_lshlrev_b32_e32 v40, 1, v40
	ds_write_b64 v42, v[34:35]
	v_or_b32_e32 v34, v40, v41
	v_or_b32_e32 v41, 16, v89
	v_lshlrev_b32_e32 v57, 2, v41
	v_or_b32_e32 v42, v38, v57
	ds_write_b64 v34, v[36:37]
	v_perm_b32 v35, v25, v24, s3
	v_perm_b32 v34, v23, v22, s3
	;; [unrolled: 1-line block ×4, first 2 shown]
	v_lshlrev_b32_e32 v42, 1, v42
	v_lshlrev_b32_e32 v41, 8, v41
	ds_write2st64_b64 v42, v[34:35], v[36:37] offset0:32 offset1:48
	v_or_b32_e32 v42, v39, v41
	ds_write_b64 v42, v[34:35]
	v_or_b32_e32 v34, v40, v41
	v_or_b32_e32 v41, 32, v89
	v_lshlrev_b32_e32 v56, 2, v41
	v_or_b32_e32 v42, v38, v56
	ds_write_b64 v34, v[36:37]
	v_perm_b32 v35, v17, v16, s3
	v_perm_b32 v34, v15, v14, s3
	;; [unrolled: 1-line block ×4, first 2 shown]
	v_lshlrev_b32_e32 v42, 1, v42
	v_lshlrev_b32_e32 v41, 8, v41
	s_lshl_b64 s[38:39], s[0:1], 8
	ds_write2st64_b64 v42, v[34:35], v[36:37] offset0:32 offset1:48
	v_or_b32_e32 v42, v39, v41
	s_add_u32 s0, s14, s38
	ds_write_b64 v42, v[34:35]
	v_or_b32_e32 v34, v40, v41
	s_addc_u32 s1, s15, s39
	ds_write_b64 v34, v[36:37]
	v_perm_b32 v35, v5, v4, s3
	v_perm_b32 v34, v3, v2, s3
	;; [unrolled: 1-line block ×4, first 2 shown]
	v_or_b32_e32 v41, 48, v89
	s_mul_hi_i32 s3, s20, s21
	s_mul_i32 s20, s20, s21
	v_lshlrev_b32_e32 v53, 2, v41
	s_add_u32 s14, s20, s49
	v_or_b32_e32 v38, v38, v53
	s_addc_u32 s15, s3, s37
	v_lshlrev_b32_e32 v38, 1, v38
	s_ashr_i32 s3, s2, 31
	s_lshl_b64 s[14:15], s[14:15], 15
	ds_write2st64_b64 v38, v[34:35], v[36:37] offset0:32 offset1:48
	v_lshlrev_b32_e32 v38, 8, v41
	s_add_u32 s4, s4, s14
	v_or_b32_e32 v39, v39, v38
	s_addc_u32 s5, s5, s15
	s_lshl_b64 s[2:3], s[2:3], 8
	ds_write_b64 v39, v[34:35]
	v_or_b32_e32 v34, v40, v38
	s_add_u32 s2, s4, s2
	v_lshlrev_b32_e32 v35, 1, v89
	ds_write_b64 v34, v[36:37]
	v_lshrrev_b32_e32 v34, 4, v0
	s_addc_u32 s3, s5, s3
	v_or_b32_e32 v36, 1, v35
	v_lshlrev_b32_e32 v42, 4, v89
	v_mov_b32_e32 v43, 0
	v_xor_b32_e32 v35, v34, v35
	v_xor_b32_e32 v38, v36, v34
	v_lshl_add_u64 v[44:45], s[2:3], 0, v[42:43]
	v_lshlrev_b32_e32 v42, 8, v34
	v_lshl_or_b32 v48, v35, 3, v42
	v_lshl_or_b32 v49, v38, 3, v42
	s_waitcnt lgkmcnt(0)
	s_barrier
	ds_read2st64_b64 v[34:37], v48 offset1:8
	ds_read2st64_b64 v[38:41], v49 offset1:8
	v_lshl_add_u64 v[46:47], v[44:45], 0, v[42:43]
	s_movk_i32 s2, 0x2000
	s_cmp_lg_u32 s58, 64
	s_waitcnt lgkmcnt(1)
	v_mov_b32_e32 v42, v34
	v_mov_b32_e32 v43, v35
	s_waitcnt lgkmcnt(0)
	v_mov_b32_e32 v44, v38
	v_mov_b32_e32 v45, v39
	global_store_dwordx4 v[46:47], v[42:45], off
	v_mov_b32_e32 v38, v36
	v_mov_b32_e32 v39, v37
	ds_read2st64_b64 v[34:37], v48 offset0:16 offset1:24
	ds_read2st64_b64 v[42:45], v49 offset0:16 offset1:24
	v_add_co_u32_e32 v48, vcc, s2, v46
	s_cselect_b64 s[4:5], -1, 0
	s_nop 0
	v_addc_co_u32_e32 v49, vcc, 0, v47, vcc
	global_store_dwordx4 v[48:49], v[38:41], off offset:-4096
	v_lshl_or_b32 v51, v77, 3, v91
	s_mov_b32 s28, 0
	s_waitcnt lgkmcnt(1)
	v_mov_b32_e32 v38, v34
	v_add_co_u32_e32 v34, vcc, 0x3000, v46
	v_mov_b32_e32 v39, v35
	s_nop 0
	v_addc_co_u32_e32 v35, vcc, 0, v47, vcc
	s_waitcnt lgkmcnt(0)
	v_mov_b32_e32 v40, v42
	v_mov_b32_e32 v41, v43
	;; [unrolled: 1-line block ×4, first 2 shown]
	v_or_b32_e32 v54, 32, v51
	v_and_b32_e32 v52, 56, v90
	s_and_b64 vcc, exec, s[4:5]
	global_store_dwordx4 v[48:49], v[38:41], off
	global_store_dwordx4 v[34:35], v[42:45], off
	s_cbranch_vccz .LBB133_31
; %bb.26:
	s_mov_b32 s30, s28
	s_mov_b32 s31, s28
	;; [unrolled: 1-line block ×3, first 2 shown]
	v_mov_b64_e32 v[40:41], s[30:31]
	v_mov_b64_e32 v[38:39], s[28:29]
	;; [unrolled: 1-line block ×3, first 2 shown]
	v_cmp_gt_i32_e32 vcc, s58, v51
	v_mov_b64_e32 v[36:37], v[40:41]
	s_and_saveexec_b64 s[2:3], vcc
	s_cbranch_execz .LBB133_28
; %bb.27:
	v_lshlrev_b32_e32 v34, 8, v51
	v_mov_b32_e32 v35, 0
	v_lshl_add_u64 v[36:37], s[0:1], 0, v[34:35]
	v_lshlrev_b32_e32 v34, 1, v52
	v_lshl_add_u64 v[42:43], v[36:37], 0, v[34:35]
	global_load_dwordx4 v[38:41], v[42:43], off
	global_load_dwordx4 v[34:37], v[42:43], off offset:128
.LBB133_28:
	s_or_b64 exec, exec, s[2:3]
	s_mov_b32 s30, s28
	s_mov_b32 s31, s28
	;; [unrolled: 1-line block ×3, first 2 shown]
	v_mov_b64_e32 v[48:49], s[30:31]
	v_mov_b64_e32 v[46:47], s[28:29]
	;; [unrolled: 1-line block ×3, first 2 shown]
	v_cmp_gt_i32_e32 vcc, s58, v54
	v_lshlrev_b32_e32 v55, 7, v54
	v_mov_b64_e32 v[44:45], v[48:49]
	s_and_saveexec_b64 s[2:3], vcc
	s_cbranch_execz .LBB133_30
; %bb.29:
	v_lshlrev_b32_e32 v42, 1, v55
	v_mov_b32_e32 v43, 0
	v_lshl_add_u64 v[44:45], s[0:1], 0, v[42:43]
	v_lshlrev_b32_e32 v42, 1, v52
	v_lshl_add_u64 v[60:61], v[44:45], 0, v[42:43]
	global_load_dwordx4 v[46:49], v[60:61], off
	global_load_dwordx4 v[42:45], v[60:61], off offset:128
.LBB133_30:
	s_or_b64 exec, exec, s[2:3]
	v_lshrrev_b32_e32 v58, 3, v52
	v_lshlrev_b32_e32 v60, 3, v51
	v_or_b32_e32 v58, v60, v58
	v_lshlrev_b32_e32 v58, 4, v58
	v_and_b32_e32 v60, 0x78, v60
	v_xor_b32_e32 v58, v58, v60
	s_branch .LBB133_33
.LBB133_31:
                                        ; implicit-def: $vgpr58
                                        ; implicit-def: $vgpr55
                                        ; implicit-def: $vgpr38_vgpr39_vgpr40_vgpr41
                                        ; implicit-def: $vgpr34_vgpr35_vgpr36_vgpr37
                                        ; implicit-def: $vgpr46_vgpr47_vgpr48_vgpr49
                                        ; implicit-def: $vgpr42_vgpr43_vgpr44_vgpr45
	s_cbranch_execz .LBB133_33
; %bb.32:
	s_waitcnt vmcnt(0)
	v_lshlrev_b32_e32 v34, 1, v52
	v_lshl_or_b32 v55, v51, 8, v34
	s_and_b32 s1, s1, 0xffff
	s_mov_b32 s3, 0x20000
	s_movk_i32 s2, 0x4000
	v_lshl_or_b32 v58, v54, 8, v34
	s_movk_i32 s14, 0x80
	buffer_load_dwordx4 v[38:41], v55, s[0:3], 0 offen
	buffer_load_dwordx4 v[34:37], v55, s[0:3], s14 offen
	;; [unrolled: 1-line block ×4, first 2 shown]
	v_lshrrev_b32_e32 v55, 3, v52
	v_lshlrev_b32_e32 v58, 3, v51
	v_or_b32_e32 v55, v58, v55
	v_lshlrev_b32_e32 v55, 4, v55
	v_and_b32_e32 v58, 0x78, v58
	v_xor_b32_e32 v58, v55, v58
	v_lshlrev_b32_e32 v55, 7, v54
.LBB133_33:
	s_movk_i32 s0, 0x1000
	v_and_or_b32 v54, v55, s0, v58
	s_waitcnt vmcnt(1)
	ds_write_b64 v58, v[38:39] offset:49152
	v_xor_b32_e32 v38, 8, v58
	ds_write_b64 v38, v[40:41] offset:49152
	s_waitcnt vmcnt(0)
	ds_write_b64 v58, v[34:35] offset:57344
	ds_write_b64 v38, v[36:37] offset:57344
	;; [unrolled: 1-line block ×3, first 2 shown]
	v_xor_b32_e32 v34, 8, v54
	ds_write_b64 v34, v[48:49] offset:49152
	ds_write_b64 v54, v[42:43] offset:57344
	;; [unrolled: 1-line block ×3, first 2 shown]
	v_or_b32_e32 v34, v86, v89
	v_lshlrev_b32_e32 v34, 3, v34
	v_lshrrev_b32_e32 v35, 5, v87
	s_movk_i32 s0, 0xf8
	v_and_or_b32 v35, v34, s0, v35
	v_lshlrev_b32_e32 v39, 4, v35
	v_lshlrev_b32_e32 v58, 11, v77
	v_and_b32_e32 v40, 0x78, v34
	v_or_b32_e32 v42, 32, v39
	v_and_b32_e32 v38, 0x1000, v58
	v_lshrrev_b32_e32 v35, 1, v87
	v_xor_b32_e32 v42, v42, v40
	v_xor_b32_e32 v34, v39, v40
	v_and_b32_e32 v41, 8, v35
	v_or_b32_e32 v42, v42, v38
	v_or_b32_e32 v34, v34, v38
	v_xor_b32_e32 v65, v42, v41
	v_or_b32_e32 v42, 64, v39
	v_xor_b32_e32 v64, v34, v41
	v_xor_b32_e32 v42, v42, v40
	s_waitcnt lgkmcnt(0)
	s_barrier
	v_or_b32_e32 v45, v42, v38
	ds_read_b64 v[42:43], v64 offset:49152
	v_lshl_or_b32 v46, v88, 8, v59
	v_lshlrev_b32_e32 v60, 1, v46
	v_add_u32_e32 v44, 0x4000, v60
	ds_read2_b64 v[34:37], v44 offset1:16
	v_or_b32_e32 v39, 0x60, v39
	v_xor_b32_e32 v39, v39, v40
	v_or_b32_e32 v38, v39, v38
	v_xor_b32_e32 v66, v45, v41
	v_xor_b32_e32 v67, v38, v41
	ds_read_b64 v[54:55], v65 offset:49152
	ds_read_b64 v[68:69], v66 offset:49152
	;; [unrolled: 1-line block ×3, first 2 shown]
	s_waitcnt lgkmcnt(3)
	v_mfma_f32_16x16x16_bf16 a[0:3], v[42:43], v[34:35], 0
	ds_read2_b64 v[38:41], v44 offset0:32 offset1:48
	s_lshl_b64 s[0:1], s[46:47], 8
	s_add_u32 s12, s12, s0
	v_mfma_f32_16x16x16_bf16 a[4:7], v[42:43], v[36:37], 0
	ds_read2st64_b64 v[34:37], v60 offset0:36 offset1:40
	s_addc_u32 s13, s13, s1
	s_add_i32 s22, s43, -1
	s_waitcnt lgkmcnt(1)
	v_mfma_f32_16x16x16_bf16 a[8:11], v[42:43], v[38:39], 0
	v_or_b32_e32 v38, 64, v46
	v_lshlrev_b32_e32 v61, 1, v38
	s_add_i32 s0, s51, s50
	s_waitcnt lgkmcnt(0)
	v_mfma_f32_16x16x16_bf16 a[0:3], v[54:55], v[34:35], a[0:3]
	v_or_b32_e32 v34, 0x80, v46
	v_lshlrev_b32_e32 v62, 1, v34
	v_or_b32_e32 v34, 0xc0, v46
	v_mfma_f32_16x16x16_bf16 a[12:15], v[42:43], v[40:41], 0
	ds_read2st64_b64 v[38:41], v61 offset0:36 offset1:40
	v_lshlrev_b32_e32 v63, 1, v34
	ds_read2st64_b64 v[42:45], v62 offset0:36 offset1:40
	ds_read2st64_b64 v[46:49], v63 offset0:36 offset1:40
	s_add_i32 s25, s0, s52
	s_mul_i32 s0, s49, s27
	s_mul_hi_u32 s1, s49, s26
	s_ashr_i32 s2, s22, 31
	s_mul_i32 s3, s22, s11
	s_mul_hi_u32 s14, s22, s10
	s_waitcnt lgkmcnt(2)
	v_mfma_f32_16x16x16_bf16 a[4:7], v[54:55], v[38:39], a[4:7]
	s_add_i32 s0, s1, s0
	s_mul_i32 s1, s37, s26
	s_add_i32 s3, s14, s3
	s_mul_i32 s2, s2, s10
	s_waitcnt lgkmcnt(1)
	v_mfma_f32_16x16x16_bf16 a[8:11], v[54:55], v[42:43], a[8:11]
	s_add_i32 s1, s0, s1
	s_add_i32 s3, s3, s2
	s_lshl_b64 s[14:15], s[24:25], 2
	s_waitcnt lgkmcnt(0)
	v_mfma_f32_16x16x16_bf16 a[12:15], v[54:55], v[46:47], a[12:15]
	s_mul_i32 s0, s49, s26
	s_add_u32 s14, s18, s14
	s_addc_u32 s15, s19, s15
	s_lshl_b64 s[0:1], s[0:1], 2
	v_mfma_f32_16x16x16_bf16 a[0:3], v[68:69], v[36:37], a[0:3]
	s_mul_i32 s2, s22, s10
	ds_read_b64 v[34:35], v60 offset:22528
	s_add_u32 s18, s14, s0
	v_mfma_f32_16x16x16_bf16 a[4:7], v[68:69], v[40:41], a[4:7]
	ds_read_b64 v[36:37], v61 offset:22528
	ds_read_b64 v[38:39], v62 offset:22528
	;; [unrolled: 1-line block ×3, first 2 shown]
	s_addc_u32 s19, s15, s1
	s_lshl_b64 s[0:1], s[2:3], 2
	v_mfma_f32_16x16x16_bf16 a[8:11], v[68:69], v[44:45], a[8:11]
	s_add_u32 s0, s18, s0
	s_addc_u32 s1, s19, s1
	s_load_dword s20, s[0:1], 0x0
	v_mfma_f32_16x16x16_bf16 a[12:15], v[68:69], v[48:49], a[12:15]
	s_and_b64 vcc, exec, s[44:45]
	s_waitcnt lgkmcnt(0)
	v_mfma_f32_16x16x16_bf16 a[0:3], v[70:71], v[34:35], a[0:3]
	v_mfma_f32_16x16x16_bf16 a[4:7], v[70:71], v[36:37], a[4:7]
	v_mfma_f32_16x16x16_bf16 a[8:11], v[70:71], v[38:39], a[8:11]
	v_mfma_f32_16x16x16_bf16 a[12:15], v[70:71], v[40:41], a[12:15]
	s_cbranch_vccz .LBB133_44
; %bb.34:
	v_lshlrev_b32_e32 v54, 1, v51
	s_and_b64 vcc, exec, s[4:5]
	s_cbranch_vccz .LBB133_45
; %bb.35:
	v_cmp_gt_i32_e32 vcc, s58, v54
	v_mov_b32_e32 v38, 0
	v_mov_b32_e32 v34, 0
	;; [unrolled: 1-line block ×5, first 2 shown]
	s_and_saveexec_b64 s[0:1], vcc
	s_cbranch_execz .LBB133_37
; %bb.36:
	v_mad_i64_i32 v[34:35], s[2:3], s23, v54, 0
	v_lshl_add_u64 v[34:35], v[34:35], 1, s[12:13]
	v_lshlrev_b32_e32 v36, 1, v52
	v_mov_b32_e32 v37, 0
	v_lshl_add_u64 v[34:35], v[34:35], 0, v[36:37]
	global_load_dwordx4 v[34:37], v[34:35], off
.LBB133_37:
	s_or_b64 exec, exec, s[0:1]
	v_or_b32_e32 v55, 1, v54
	v_cmp_gt_i32_e64 s[0:1], s58, v55
	v_mov_b32_e32 v39, 0
	v_mov_b32_e32 v40, 0
	v_mov_b32_e32 v41, 0
	s_and_saveexec_b64 s[2:3], s[0:1]
	s_cbranch_execz .LBB133_39
; %bb.38:
	v_mad_i64_i32 v[38:39], s[14:15], s23, v55, 0
	v_lshl_add_u64 v[38:39], v[38:39], 1, s[12:13]
	v_lshlrev_b32_e32 v40, 1, v52
	v_mov_b32_e32 v41, 0
	v_lshl_add_u64 v[38:39], v[38:39], 0, v[40:41]
	global_load_dwordx4 v[38:41], v[38:39], off
.LBB133_39:
	s_or_b64 exec, exec, s[2:3]
	v_mov_b32_e32 v49, 0
	v_mov_b32_e32 v42, 0
	;; [unrolled: 1-line block ×5, first 2 shown]
	s_and_saveexec_b64 s[2:3], vcc
	s_cbranch_execz .LBB133_41
; %bb.40:
	v_mad_i64_i32 v[42:43], s[14:15], s23, v54, 0
	v_lshl_add_u64 v[42:43], v[42:43], 1, s[12:13]
	v_lshlrev_b32_e32 v44, 1, v52
	v_mov_b32_e32 v45, 0
	v_lshl_add_u64 v[42:43], v[42:43], 0, v[44:45]
	global_load_dwordx4 v[42:45], v[42:43], off offset:128
.LBB133_41:
	s_or_b64 exec, exec, s[2:3]
	v_mov_b32_e32 v48, 0
	v_mov_b32_e32 v47, 0
	;; [unrolled: 1-line block ×3, first 2 shown]
	s_and_saveexec_b64 s[2:3], s[0:1]
	s_cbranch_execz .LBB133_43
; %bb.42:
	v_mad_i64_i32 v[46:47], s[0:1], s23, v55, 0
	v_lshl_add_u64 v[46:47], v[46:47], 1, s[12:13]
	v_lshlrev_b32_e32 v48, 1, v52
	v_mov_b32_e32 v49, 0
	v_lshl_add_u64 v[46:47], v[46:47], 0, v[48:49]
	global_load_dwordx4 v[46:49], v[46:47], off offset:128
.LBB133_43:
	s_or_b64 exec, exec, s[2:3]
	s_branch .LBB133_47
.LBB133_44:
                                        ; implicit-def: $vgpr37
                                        ; implicit-def: $vgpr41
                                        ; implicit-def: $vgpr45
                                        ; implicit-def: $vgpr49
	v_lshrrev_b32_e32 v68, 2, v87
	s_branch .LBB133_48
.LBB133_45:
                                        ; implicit-def: $vgpr37
                                        ; implicit-def: $vgpr41
                                        ; implicit-def: $vgpr45
                                        ; implicit-def: $vgpr49
	s_cbranch_execz .LBB133_47
; %bb.46:
	s_waitcnt vmcnt(0)
	v_mad_u64_u32 v[34:35], s[0:1], v54, s23, v[52:53]
	v_lshlrev_b32_e32 v54, 1, v34
	s_lshl_b32 s2, s23, 7
	s_and_b32 s1, s13, 0xffff
	s_mov_b32 s3, 0x20000
	s_mov_b32 s0, s12
	v_add_lshl_u32 v55, v34, s23, 1
	s_movk_i32 s14, 0x80
	buffer_load_dwordx4 v[34:37], v54, s[0:3], 0 offen
	buffer_load_dwordx4 v[42:45], v54, s[0:3], s14 offen
	;; [unrolled: 1-line block ×4, first 2 shown]
.LBB133_47:
	v_lshrrev_b32_e32 v68, 2, v87
	s_cbranch_execnz .LBB133_60
.LBB133_48:
	s_and_b64 vcc, exec, s[4:5]
	s_cbranch_vccz .LBB133_58
; %bb.49:
	s_waitcnt vmcnt(0)
	v_lshlrev_b32_e32 v39, 1, v51
	v_cmp_gt_i32_e32 vcc, s58, v39
	v_mov_b32_e32 v38, 0
	v_lshlrev_b32_e32 v46, 9, v51
	v_mov_b32_e32 v34, 0
	v_mov_b32_e32 v35, 0
	;; [unrolled: 1-line block ×4, first 2 shown]
	s_and_saveexec_b64 s[0:1], vcc
	s_cbranch_execz .LBB133_51
; %bb.50:
	v_mov_b32_e32 v47, 0
	v_lshl_add_u64 v[34:35], s[12:13], 0, v[46:47]
	v_lshlrev_b32_e32 v36, 1, v52
	v_mov_b32_e32 v37, v47
	v_lshl_add_u64 v[34:35], v[34:35], 0, v[36:37]
	global_load_dwordx4 v[34:37], v[34:35], off
.LBB133_51:
	s_or_b64 exec, exec, s[0:1]
	v_or_b32_e32 v39, 1, v39
	v_cmp_gt_i32_e64 s[0:1], s58, v39
	v_lshlrev_b32_e32 v54, 8, v39
	v_mov_b32_e32 v39, 0
	v_mov_b32_e32 v40, 0
	;; [unrolled: 1-line block ×3, first 2 shown]
	s_and_saveexec_b64 s[2:3], s[0:1]
	s_cbranch_execz .LBB133_53
; %bb.52:
	v_mov_b32_e32 v55, 0
	v_lshl_add_u64 v[38:39], s[12:13], 0, v[54:55]
	v_lshlrev_b32_e32 v40, 1, v52
	v_mov_b32_e32 v41, v55
	v_lshl_add_u64 v[38:39], v[38:39], 0, v[40:41]
	global_load_dwordx4 v[38:41], v[38:39], off
.LBB133_53:
	s_or_b64 exec, exec, s[2:3]
	v_mov_b32_e32 v49, 0
	v_mov_b32_e32 v42, 0
	;; [unrolled: 1-line block ×5, first 2 shown]
	s_and_saveexec_b64 s[2:3], vcc
	s_cbranch_execz .LBB133_55
; %bb.54:
	v_mov_b32_e32 v47, 0
	v_lshl_add_u64 v[42:43], s[12:13], 0, v[46:47]
	v_lshlrev_b32_e32 v46, 1, v52
	v_lshl_add_u64 v[42:43], v[42:43], 0, v[46:47]
	global_load_dwordx4 v[42:45], v[42:43], off offset:128
.LBB133_55:
	s_or_b64 exec, exec, s[2:3]
	v_mov_b32_e32 v48, 0
	v_mov_b32_e32 v47, 0
	;; [unrolled: 1-line block ×3, first 2 shown]
	s_and_saveexec_b64 s[2:3], s[0:1]
	s_cbranch_execz .LBB133_57
; %bb.56:
	v_mov_b32_e32 v55, 0
	v_lshl_add_u64 v[46:47], s[12:13], 0, v[54:55]
	v_lshlrev_b32_e32 v54, 1, v52
	v_lshl_add_u64 v[46:47], v[46:47], 0, v[54:55]
	global_load_dwordx4 v[46:49], v[46:47], off offset:128
.LBB133_57:
	s_or_b64 exec, exec, s[2:3]
	s_branch .LBB133_60
.LBB133_58:
                                        ; implicit-def: $vgpr37
                                        ; implicit-def: $vgpr41
                                        ; implicit-def: $vgpr45
                                        ; implicit-def: $vgpr49
	s_cbranch_execz .LBB133_60
; %bb.59:
	s_waitcnt vmcnt(0)
	v_lshlrev_b32_e32 v34, 1, v52
	v_lshl_or_b32 v52, v51, 9, v34
	s_and_b32 s13, s13, 0xffff
	s_mov_b32 s15, 0x20000
	s_movk_i32 s14, 0x4000
	s_movk_i32 s0, 0x80
	buffer_load_dwordx4 v[34:37], v52, s[12:15], 0 offen
	buffer_load_dwordx4 v[38:41], v52, s[12:15], 0 offen offset:256
	buffer_load_dwordx4 v[42:45], v52, s[12:15], s0 offen
	buffer_load_dwordx4 v[46:49], v52, s[12:15], s0 offen offset:256
.LBB133_60:
	ds_read_b64 v[54:55], v64 offset:57344
	v_add_u32_e32 v52, 0x6000, v60
	ds_read2_b64 v[70:73], v52 offset1:16
	ds_read_b64 v[82:83], v65 offset:57344
	ds_read_b64 v[84:85], v66 offset:57344
	;; [unrolled: 1-line block ×3, first 2 shown]
	ds_read2_b64 v[64:67], v52 offset0:32 offset1:48
	v_and_b32_e32 v52, 12, v68
	v_and_b32_e32 v76, 6, v0
	v_xor_b32_e32 v51, v51, v76
	v_lshlrev_b32_e32 v51, 2, v51
	s_mov_b32 s0, 0x1000504
	s_waitcnt lgkmcnt(4)
	v_mfma_f32_16x16x16_bf16 a[4:7], v[54:55], v[72:73], a[4:7]
	s_mov_b32 s1, 0x3020706
	v_mfma_f32_16x16x16_bf16 a[0:3], v[54:55], v[70:71], a[0:3]
	ds_read2st64_b64 v[68:71], v60 offset0:52 offset1:56
	s_waitcnt lgkmcnt(1)
	v_mfma_f32_16x16x16_bf16 a[8:11], v[54:55], v[64:65], a[8:11]
	v_mfma_f32_16x16x16_bf16 a[12:15], v[54:55], v[66:67], a[12:15]
	ds_read2st64_b64 v[64:67], v61 offset0:52 offset1:56
	ds_read2st64_b64 v[72:75], v62 offset0:52 offset1:56
	;; [unrolled: 1-line block ×3, first 2 shown]
	s_waitcnt lgkmcnt(2)
	v_mfma_f32_16x16x16_bf16 a[4:7], v[82:83], v[64:65], a[4:7]
	v_and_b32_e32 v64, 1, v0
	v_xor_b32_e32 v65, 0x440, v51
	v_cmp_eq_u32_e32 vcc, 0, v64
	v_mfma_f32_16x16x16_bf16 a[0:3], v[82:83], v[68:69], a[0:3]
	s_waitcnt vmcnt(0)
	v_perm_b32 v64, v34, v38, s0
	v_cndmask_b32_e32 v51, v65, v51, vcc
	v_lshl_or_b32 v51, v76, 10, v51
	s_waitcnt lgkmcnt(1)
	v_mfma_f32_16x16x16_bf16 a[8:11], v[82:83], v[72:73], a[8:11]
	v_perm_b32 v65, v42, v46, s0
	ds_read_b64 v[54:55], v60 offset:30720
	ds_read_b64 v[68:69], v61 offset:30720
	;; [unrolled: 1-line block ×4, first 2 shown]
	ds_write2st64_b32 v51, v64, v65 offset0:128 offset1:160
	s_waitcnt lgkmcnt(5)
	v_mfma_f32_16x16x16_bf16 a[12:15], v[82:83], v[78:79], a[12:15]
	v_xor_b32_e32 v64, 8, v51
	v_perm_b32 v34, v34, v38, s1
	v_perm_b32 v38, v42, v46, s1
	v_add_u32_e32 v42, 0x80, v64
	ds_write2st64_b32 v42, v34, v38 offset0:128 offset1:160
	v_xor_b32_e32 v34, 16, v51
	v_perm_b32 v38, v35, v39, s0
	v_perm_b32 v42, v43, v47, s0
	v_mfma_f32_16x16x16_bf16 a[0:3], v[84:85], v[70:71], a[0:3]
	ds_write2st64_b32 v34, v38, v42 offset0:129 offset1:161
	v_xor_b32_e32 v34, 24, v51
	v_perm_b32 v35, v35, v39, s1
	v_mfma_f32_16x16x16_bf16 a[4:7], v[84:85], v[66:67], a[4:7]
	v_perm_b32 v38, v43, v47, s1
	v_add_u32_e32 v34, 0x80, v34
	ds_write2st64_b32 v34, v35, v38 offset0:129 offset1:161
	v_mfma_f32_16x16x16_bf16 a[16:19], v[84:85], v[74:75], a[8:11]
	v_xor_b32_e32 v34, 32, v51
	v_perm_b32 v35, v36, v40, s0
	v_perm_b32 v38, v44, v48, s0
	v_mfma_f32_16x16x16_bf16 a[20:23], v[84:85], v[80:81], a[12:15]
	ds_write2st64_b32 v34, v35, v38 offset0:130 offset1:162
	v_xor_b32_e32 v34, 40, v51
	v_perm_b32 v35, v36, v40, s1
	s_waitcnt lgkmcnt(8)
	v_mfma_f32_16x16x16_bf16 a[12:15], v[88:89], v[54:55], a[0:3]
	v_perm_b32 v36, v44, v48, s1
	v_add_u32_e32 v34, 0x80, v34
	ds_write2st64_b32 v34, v35, v36 offset0:130 offset1:162
	s_waitcnt lgkmcnt(8)
	v_mfma_f32_16x16x16_bf16 a[8:11], v[88:89], v[68:69], a[4:7]
	v_xor_b32_e32 v34, 48, v51
	v_perm_b32 v35, v37, v41, s0
	v_perm_b32 v36, v45, v49, s0
	s_waitcnt lgkmcnt(7)
	v_mfma_f32_16x16x16_bf16 a[4:7], v[88:89], v[90:91], a[16:19]
	ds_write2st64_b32 v34, v35, v36 offset0:131 offset1:163
	v_xor_b32_e32 v34, 56, v51
	v_or_b32_e32 v54, v52, v86
	s_waitcnt lgkmcnt(7)
	v_mfma_f32_16x16x16_bf16 a[0:3], v[88:89], v[92:93], a[20:23]
	v_perm_b32 v35, v37, v41, s1
	v_perm_b32 v36, v45, v49, s1
	v_add_u32_e32 v34, 0x80, v34
	v_cmp_gt_i32_e64 s[0:1], s58, v54
	v_mov_b32_e32 v64, 0
	v_mov_b32_e32 v65, 0
	ds_write2st64_b32 v34, v35, v36 offset0:131 offset1:163
	s_and_saveexec_b64 s[2:3], s[0:1]
	s_cbranch_execz .LBB133_62
; %bb.61:
	v_add_u32_e32 v34, s36, v54
	v_ashrrev_i32_e32 v35, 31, v34
	v_mul_lo_u32 v36, v35, s10
	v_mul_lo_u32 v37, v34, s11
	v_mad_u64_u32 v[34:35], s[4:5], v34, s10, 0
	v_add3_u32 v35, v35, v37, v36
	v_lshl_add_u64 v[34:35], v[34:35], 2, s[18:19]
	global_load_dword v34, v[34:35], off
	s_waitcnt vmcnt(0)
	v_sub_f32_e32 v34, s20, v34
	v_exp_f32_e32 v65, v34
.LBB133_62:
	s_or_b64 exec, exec, s[2:3]
	v_or_b32_e32 v46, 1, v54
	v_cmp_gt_i32_e64 s[4:5], s58, v46
	s_and_saveexec_b64 s[2:3], s[4:5]
	s_cbranch_execz .LBB133_64
; %bb.63:
	v_add_u32_e32 v34, s36, v46
	v_ashrrev_i32_e32 v35, 31, v34
	v_mul_lo_u32 v36, v35, s10
	v_mul_lo_u32 v37, v34, s11
	v_mad_u64_u32 v[34:35], s[12:13], v34, s10, 0
	v_add3_u32 v35, v35, v37, v36
	v_lshl_add_u64 v[34:35], v[34:35], 2, s[18:19]
	global_load_dword v34, v[34:35], off
	s_waitcnt vmcnt(0)
	v_sub_f32_e32 v34, s20, v34
	v_exp_f32_e32 v64, v34
.LBB133_64:
	s_or_b64 exec, exec, s[2:3]
	v_or_b32_e32 v42, 2, v54
	v_cmp_gt_i32_e64 s[2:3], s58, v42
	v_mov_b32_e32 v55, 0
	v_mov_b32_e32 v66, 0
	s_and_saveexec_b64 s[12:13], s[2:3]
	s_cbranch_execz .LBB133_66
; %bb.65:
	v_add_u32_e32 v34, s36, v42
	v_ashrrev_i32_e32 v35, 31, v34
	v_mul_lo_u32 v36, v35, s10
	v_mul_lo_u32 v37, v34, s11
	v_mad_u64_u32 v[34:35], s[14:15], v34, s10, 0
	v_add3_u32 v35, v35, v37, v36
	v_lshl_add_u64 v[34:35], v[34:35], 2, s[18:19]
	global_load_dword v34, v[34:35], off
	s_waitcnt vmcnt(0)
	v_sub_f32_e32 v34, s20, v34
	v_exp_f32_e32 v66, v34
.LBB133_66:
	s_or_b64 exec, exec, s[12:13]
	v_or_b32_e32 v43, 3, v54
	v_cmp_gt_i32_e32 vcc, s58, v43
	s_and_saveexec_b64 s[12:13], vcc
	s_cbranch_execz .LBB133_68
; %bb.67:
	v_add_u32_e32 v34, s36, v43
	v_ashrrev_i32_e32 v35, 31, v34
	v_mul_lo_u32 v36, v35, s10
	v_mul_lo_u32 v37, v34, s11
	v_mad_u64_u32 v[34:35], s[10:11], v34, s10, 0
	v_add3_u32 v35, v35, v37, v36
	v_lshl_add_u64 v[34:35], v[34:35], 2, s[18:19]
	global_load_dword v34, v[34:35], off
	s_waitcnt vmcnt(0)
	v_sub_f32_e32 v34, s20, v34
	v_exp_f32_e32 v55, v34
.LBB133_68:
	s_or_b64 exec, exec, s[12:13]
	s_add_u32 s10, s16, s38
	s_addc_u32 s11, s17, s39
	s_add_u32 s6, s6, s38
	v_ashrrev_i32_e32 v51, 31, v50
	v_accvgpr_read_b32 v37, a15
	s_addc_u32 s7, s7, s39
	v_lshlrev_b64 v[38:39], 1, v[50:51]
	v_accvgpr_read_b32 v36, a14
	v_accvgpr_read_b32 v35, a13
	;; [unrolled: 1-line block ×3, first 2 shown]
	v_lshl_add_u64 v[40:41], s[10:11], 0, v[38:39]
	v_lshl_add_u64 v[38:39], s[6:7], 0, v[38:39]
	v_mov_b32_e32 v47, 0
	v_lshlrev_b32_e32 v44, 8, v54
	v_mov_b32_e32 v45, 0
	s_and_saveexec_b64 s[6:7], s[0:1]
	s_cbranch_execz .LBB133_70
; %bb.69:
	v_mov_b32_e32 v45, 0
	v_lshl_add_u64 v[48:49], v[40:41], 0, v[44:45]
	global_load_ushort v51, v[48:49], off
	v_lshl_add_u64 v[48:49], v[38:39], 0, v[44:45]
	s_waitcnt vmcnt(0)
	v_lshlrev_b32_e32 v45, 16, v51
	v_sub_f32_e32 v34, v45, v34
	global_store_short_d16_hi v[48:49], v34, off
	v_mul_f32_e32 v34, v65, v34
	v_lshrrev_b32_e32 v45, 16, v34
.LBB133_70:
	s_or_b64 exec, exec, s[6:7]
	v_lshlrev_b32_e32 v46, 8, v46
	s_and_saveexec_b64 s[6:7], s[4:5]
	s_cbranch_execz .LBB133_72
; %bb.71:
	v_mov_b32_e32 v47, 0
	v_lshl_add_u64 v[48:49], v[40:41], 0, v[46:47]
	global_load_ushort v34, v[48:49], off
	v_lshl_add_u64 v[48:49], v[38:39], 0, v[46:47]
	s_waitcnt vmcnt(0)
	v_lshlrev_b32_e32 v34, 16, v34
	v_sub_f32_e32 v34, v34, v35
	global_store_short_d16_hi v[48:49], v34, off
	v_mul_f32_e32 v34, v64, v34
	v_lshrrev_b32_e32 v47, 16, v34
.LBB133_72:
	s_or_b64 exec, exec, s[6:7]
	v_mov_b32_e32 v67, 0
	v_lshlrev_b32_e32 v48, 8, v42
	v_mov_b32_e32 v49, 0
	s_and_saveexec_b64 s[6:7], s[2:3]
	s_cbranch_execz .LBB133_74
; %bb.73:
	v_mov_b32_e32 v49, 0
	v_lshl_add_u64 v[34:35], v[40:41], 0, v[48:49]
	global_load_ushort v42, v[34:35], off
	v_lshl_add_u64 v[34:35], v[38:39], 0, v[48:49]
	s_waitcnt vmcnt(0)
	v_lshlrev_b32_e32 v42, 16, v42
	v_sub_f32_e32 v36, v42, v36
	global_store_short_d16_hi v[34:35], v36, off
	v_mul_f32_e32 v34, v66, v36
	v_lshrrev_b32_e32 v49, 16, v34
.LBB133_74:
	s_or_b64 exec, exec, s[6:7]
	v_lshlrev_b32_e32 v42, 8, v43
	s_and_saveexec_b64 s[6:7], vcc
	s_cbranch_execz .LBB133_76
; %bb.75:
	v_mov_b32_e32 v43, 0
	v_lshl_add_u64 v[34:35], v[40:41], 0, v[42:43]
	global_load_ushort v36, v[34:35], off
	v_lshl_add_u64 v[34:35], v[38:39], 0, v[42:43]
	s_waitcnt vmcnt(0)
	v_lshlrev_b32_e32 v36, 16, v36
	v_sub_f32_e32 v36, v36, v37
	global_store_short_d16_hi v[34:35], v36, off
	v_mul_f32_e32 v34, v55, v36
	v_lshrrev_b32_e32 v67, 16, v34
.LBB133_76:
	s_or_b64 exec, exec, s[6:7]
	v_lshlrev_b32_e32 v51, 6, v54
	v_accvgpr_read_b32 v37, a11
	s_mov_b32 s6, 0x5040100
	v_or_b32_e32 v43, v51, v59
	v_accvgpr_read_b32 v36, a10
	v_accvgpr_read_b32 v35, a9
	;; [unrolled: 1-line block ×3, first 2 shown]
	v_perm_b32 v69, v67, v49, s6
	v_perm_b32 v68, v47, v45, s6
	v_lshlrev_b32_e32 v43, 1, v43
	v_mov_b32_e32 v47, 0
	v_mov_b32_e32 v45, 0
	ds_write_b64 v43, v[68:69] offset:24576
	s_and_saveexec_b64 s[6:7], s[0:1]
	s_cbranch_execz .LBB133_78
; %bb.77:
	v_mov_b32_e32 v45, 0
	v_lshl_add_u64 v[68:69], v[40:41], 0, v[44:45]
	global_load_ushort v43, v[68:69], off offset:32
	v_lshl_add_u64 v[68:69], v[38:39], 0, v[44:45]
	s_waitcnt vmcnt(0)
	v_lshlrev_b32_e32 v43, 16, v43
	v_sub_f32_e32 v34, v43, v34
	global_store_short_d16_hi v[68:69], v34, off offset:32
	v_mul_f32_e32 v34, v65, v34
	v_lshrrev_b32_e32 v45, 16, v34
.LBB133_78:
	s_or_b64 exec, exec, s[6:7]
	s_and_saveexec_b64 s[6:7], s[4:5]
	s_cbranch_execz .LBB133_80
; %bb.79:
	v_mov_b32_e32 v47, 0
	v_lshl_add_u64 v[68:69], v[40:41], 0, v[46:47]
	global_load_ushort v34, v[68:69], off offset:32
	v_lshl_add_u64 v[68:69], v[38:39], 0, v[46:47]
	s_waitcnt vmcnt(0)
	v_lshlrev_b32_e32 v34, 16, v34
	v_sub_f32_e32 v34, v34, v35
	global_store_short_d16_hi v[68:69], v34, off offset:32
	v_mul_f32_e32 v34, v64, v34
	v_lshrrev_b32_e32 v47, 16, v34
.LBB133_80:
	s_or_b64 exec, exec, s[6:7]
	v_mov_b32_e32 v43, 0
	v_mov_b32_e32 v49, 0
	s_and_saveexec_b64 s[6:7], s[2:3]
	s_cbranch_execz .LBB133_82
; %bb.81:
	v_mov_b32_e32 v49, 0
	v_lshl_add_u64 v[34:35], v[40:41], 0, v[48:49]
	global_load_ushort v59, v[34:35], off offset:32
	v_lshl_add_u64 v[34:35], v[38:39], 0, v[48:49]
	s_waitcnt vmcnt(0)
	v_lshlrev_b32_e32 v49, 16, v59
	v_sub_f32_e32 v36, v49, v36
	global_store_short_d16_hi v[34:35], v36, off offset:32
	v_mul_f32_e32 v34, v66, v36
	v_lshrrev_b32_e32 v49, 16, v34
.LBB133_82:
	s_or_b64 exec, exec, s[6:7]
	s_and_saveexec_b64 s[6:7], vcc
	s_cbranch_execz .LBB133_84
; %bb.83:
	v_mov_b32_e32 v43, 0
	v_lshl_add_u64 v[34:35], v[40:41], 0, v[42:43]
	global_load_ushort v36, v[34:35], off offset:32
	v_lshl_add_u64 v[34:35], v[38:39], 0, v[42:43]
	s_waitcnt vmcnt(0)
	v_lshlrev_b32_e32 v36, 16, v36
	v_sub_f32_e32 v36, v36, v37
	global_store_short_d16_hi v[34:35], v36, off offset:32
	v_mul_f32_e32 v34, v55, v36
	v_lshrrev_b32_e32 v43, 16, v34
.LBB133_84:
	s_or_b64 exec, exec, s[6:7]
	s_mov_b32 s6, 0x5040100
	v_accvgpr_read_b32 v37, a7
	v_perm_b32 v69, v43, v49, s6
	v_or_b32_e32 v43, v51, v57
	v_accvgpr_read_b32 v36, a6
	v_accvgpr_read_b32 v35, a5
	;; [unrolled: 1-line block ×3, first 2 shown]
	v_perm_b32 v68, v47, v45, s6
	v_lshlrev_b32_e32 v43, 1, v43
	v_mov_b32_e32 v47, 0
	v_mov_b32_e32 v45, 0
	ds_write_b64 v43, v[68:69] offset:24576
	s_and_saveexec_b64 s[6:7], s[0:1]
	s_cbranch_execz .LBB133_86
; %bb.85:
	v_mov_b32_e32 v45, 0
	v_lshl_add_u64 v[68:69], v[40:41], 0, v[44:45]
	global_load_ushort v43, v[68:69], off offset:64
	v_lshl_add_u64 v[68:69], v[38:39], 0, v[44:45]
	s_waitcnt vmcnt(0)
	v_lshlrev_b32_e32 v43, 16, v43
	v_sub_f32_e32 v34, v43, v34
	global_store_short_d16_hi v[68:69], v34, off offset:64
	v_mul_f32_e32 v34, v65, v34
	v_lshrrev_b32_e32 v45, 16, v34
.LBB133_86:
	s_or_b64 exec, exec, s[6:7]
	s_and_saveexec_b64 s[6:7], s[4:5]
	s_cbranch_execz .LBB133_88
; %bb.87:
	v_mov_b32_e32 v47, 0
	v_lshl_add_u64 v[68:69], v[40:41], 0, v[46:47]
	global_load_ushort v34, v[68:69], off offset:64
	v_lshl_add_u64 v[68:69], v[38:39], 0, v[46:47]
	s_waitcnt vmcnt(0)
	v_lshlrev_b32_e32 v34, 16, v34
	v_sub_f32_e32 v34, v34, v35
	global_store_short_d16_hi v[68:69], v34, off offset:64
	v_mul_f32_e32 v34, v64, v34
	v_lshrrev_b32_e32 v47, 16, v34
.LBB133_88:
	s_or_b64 exec, exec, s[6:7]
	v_mov_b32_e32 v43, 0
	v_mov_b32_e32 v49, 0
	s_and_saveexec_b64 s[6:7], s[2:3]
	s_cbranch_execz .LBB133_90
; %bb.89:
	v_mov_b32_e32 v49, 0
	v_lshl_add_u64 v[34:35], v[40:41], 0, v[48:49]
	global_load_ushort v57, v[34:35], off offset:64
	v_lshl_add_u64 v[34:35], v[38:39], 0, v[48:49]
	s_waitcnt vmcnt(0)
	v_lshlrev_b32_e32 v49, 16, v57
	v_sub_f32_e32 v36, v49, v36
	global_store_short_d16_hi v[34:35], v36, off offset:64
	v_mul_f32_e32 v34, v66, v36
	v_lshrrev_b32_e32 v49, 16, v34
.LBB133_90:
	s_or_b64 exec, exec, s[6:7]
	s_and_saveexec_b64 s[6:7], vcc
	s_cbranch_execz .LBB133_92
; %bb.91:
	v_mov_b32_e32 v43, 0
	v_lshl_add_u64 v[34:35], v[40:41], 0, v[42:43]
	global_load_ushort v36, v[34:35], off offset:64
	v_lshl_add_u64 v[34:35], v[38:39], 0, v[42:43]
	s_waitcnt vmcnt(0)
	v_lshlrev_b32_e32 v36, 16, v36
	v_sub_f32_e32 v36, v36, v37
	global_store_short_d16_hi v[34:35], v36, off offset:64
	v_mul_f32_e32 v34, v55, v36
	v_lshrrev_b32_e32 v43, 16, v34
.LBB133_92:
	s_or_b64 exec, exec, s[6:7]
	s_mov_b32 s6, 0x5040100
	v_accvgpr_read_b32 v37, a3
	v_perm_b32 v69, v43, v49, s6
	v_or_b32_e32 v43, v51, v56
	v_accvgpr_read_b32 v36, a2
	v_accvgpr_read_b32 v35, a1
	v_accvgpr_read_b32 v34, a0
	v_perm_b32 v68, v47, v45, s6
	v_lshlrev_b32_e32 v43, 1, v43
	v_mov_b32_e32 v47, 0
	v_mov_b32_e32 v45, 0
	ds_write_b64 v43, v[68:69] offset:24576
	s_and_saveexec_b64 s[6:7], s[0:1]
	s_cbranch_execz .LBB133_94
; %bb.93:
	v_mov_b32_e32 v45, 0
	v_lshl_add_u64 v[56:57], v[40:41], 0, v[44:45]
	global_load_ushort v43, v[56:57], off offset:96
	v_lshl_add_u64 v[44:45], v[38:39], 0, v[44:45]
	s_waitcnt vmcnt(0)
	v_lshlrev_b32_e32 v43, 16, v43
	v_sub_f32_e32 v34, v43, v34
	global_store_short_d16_hi v[44:45], v34, off offset:96
	v_mul_f32_e32 v34, v65, v34
	v_lshrrev_b32_e32 v45, 16, v34
.LBB133_94:
	s_or_b64 exec, exec, s[6:7]
	s_and_saveexec_b64 s[0:1], s[4:5]
	s_cbranch_execz .LBB133_96
; %bb.95:
	v_mov_b32_e32 v47, 0
	v_lshl_add_u64 v[56:57], v[40:41], 0, v[46:47]
	global_load_ushort v34, v[56:57], off offset:96
	v_lshl_add_u64 v[46:47], v[38:39], 0, v[46:47]
	s_waitcnt vmcnt(0)
	v_lshlrev_b32_e32 v34, 16, v34
	v_sub_f32_e32 v34, v34, v35
	global_store_short_d16_hi v[46:47], v34, off offset:96
	v_mul_f32_e32 v34, v64, v34
	v_lshrrev_b32_e32 v47, 16, v34
.LBB133_96:
	s_or_b64 exec, exec, s[0:1]
	v_mov_b32_e32 v43, 0
	v_mov_b32_e32 v46, 0
	s_and_saveexec_b64 s[0:1], s[2:3]
	s_cbranch_execz .LBB133_98
; %bb.97:
	v_mov_b32_e32 v49, 0
	v_lshl_add_u64 v[34:35], v[40:41], 0, v[48:49]
	global_load_ushort v44, v[34:35], off offset:96
	v_lshl_add_u64 v[34:35], v[38:39], 0, v[48:49]
	s_waitcnt vmcnt(0)
	v_lshlrev_b32_e32 v44, 16, v44
	v_sub_f32_e32 v36, v44, v36
	global_store_short_d16_hi v[34:35], v36, off offset:96
	v_mul_f32_e32 v34, v66, v36
	v_lshrrev_b32_e32 v46, 16, v34
.LBB133_98:
	s_or_b64 exec, exec, s[0:1]
	v_or_b32_e32 v34, 0x6000, v60
	v_or_b32_e32 v35, 0x6000, v61
	;; [unrolled: 1-line block ×4, first 2 shown]
	s_and_saveexec_b64 s[0:1], vcc
	s_cbranch_execz .LBB133_100
; %bb.99:
	v_mov_b32_e32 v43, 0
	v_lshl_add_u64 v[40:41], v[40:41], 0, v[42:43]
	global_load_ushort v40, v[40:41], off offset:96
	v_lshl_add_u64 v[38:39], v[38:39], 0, v[42:43]
	s_waitcnt vmcnt(0)
	v_lshlrev_b32_e32 v40, 16, v40
	v_sub_f32_e32 v37, v40, v37
	global_store_short_d16_hi v[38:39], v37, off offset:96
	v_mul_f32_e32 v37, v55, v37
	v_lshrrev_b32_e32 v43, 16, v37
.LBB133_100:
	s_or_b64 exec, exec, s[0:1]
	s_mov_b32 s0, 0x5040100
	v_or_b32_e32 v37, v51, v53
	v_perm_b32 v39, v43, v46, s0
	v_perm_b32 v38, v47, v45, s0
	v_lshlrev_b32_e32 v37, 1, v37
	ds_write_b64 v37, v[38:39] offset:24576
	v_and_b32_e32 v37, 7, v0
	v_and_b32_e32 v42, 8, v0
	v_lshlrev_b32_e32 v45, 3, v37
	v_lshlrev_b32_e32 v51, 7, v37
	v_lshrrev_b32_e32 v37, 1, v0
	v_and_b32_e32 v37, 24, v37
	v_mov_b32_e32 v43, 0x400
	v_cmp_eq_u32_e32 vcc, 0, v42
	s_movk_i32 s2, 0x100
	v_lshlrev_b32_e32 v55, 3, v77
	v_cndmask_b32_e64 v53, v43, 64, vcc
	v_mov_b32_e32 v42, 0xa000
	v_mov_b32_e32 v43, 0x8000
	v_cmp_gt_u32_e64 s[0:1], s2, v0
	v_xor_b32_e32 v59, v55, v37
	v_or_b32_e32 v46, 32, v37
	v_cndmask_b32_e64 v0, v42, v43, s[0:1]
	v_or_b32_e32 v42, 0x440, v59
	v_cndmask_b32_e32 v42, v42, v59, vcc
	v_or_b32_e32 v42, v42, v58
	v_xor_b32_e32 v82, v42, v45
	v_xor_b32_e32 v46, v55, v46
	v_add3_u32 v42, v0, v82, v51
	v_or_b32_e32 v47, 0x440, v46
	s_waitcnt lgkmcnt(0)
	s_barrier
	ds_read_b64 v[42:43], v42
	v_cndmask_b32_e32 v46, v47, v46, vcc
	v_or_b32_e32 v46, v46, v58
	v_xor_b32_e32 v83, v46, v45
	v_add3_u32 v46, v0, v83, v51
	ds_read_b64 v[56:57], v46
	ds_read2_b64 v[38:41], v34 offset1:16
	ds_read2_b64 v[46:49], v34 offset0:32 offset1:48
	v_or_b32_e32 v37, 0x60, v37
	v_xor_b32_e32 v37, v55, v37
	s_waitcnt lgkmcnt(1)
	v_mfma_f32_16x16x16_bf16 a[0:3], v[42:43], v[38:39], 0
	s_mul_i32 s0, s22, s21
	ds_read2st64_b64 v[60:63], v34 offset0:4 offset1:8
	s_mul_hi_i32 s1, s22, s21
	v_mfma_f32_16x16x16_bf16 a[4:7], v[42:43], v[40:41], 0
	ds_read2st64_b64 v[64:67], v35 offset0:4 offset1:8
	s_add_u32 s0, s0, s49
	ds_read2st64_b64 v[68:71], v36 offset0:4 offset1:8
	s_waitcnt lgkmcnt(3)
	v_mfma_f32_16x16x16_bf16 a[8:11], v[42:43], v[46:47], 0
	ds_read2st64_b64 v[72:75], v44 offset0:4 offset1:8
	s_addc_u32 s1, s1, s37
	s_lshl_b64 s[0:1], s[0:1], 9
	v_mfma_f32_16x16x16_bf16 a[12:15], v[42:43], v[48:49], 0
	v_or3_b32 v42, v58, v53, v59
	v_xor_b32_e32 v53, 0x440, v37
	v_cndmask_b32_e32 v37, v53, v37, vcc
	v_xor_b32_e32 v42, v42, v45
	v_or_b32_e32 v37, v37, v58
	v_or_b32_e32 v84, v42, v51
	v_xor_b32_e32 v85, v37, v45
	v_or_b32_e32 v42, v0, v84
	v_add3_u32 v0, v0, v85, v51
	s_add_u32 s0, s40, s0
	ds_read_b64 v[42:43], v42
	ds_read_b64 v[58:59], v0
	s_addc_u32 s1, s41, s1
	v_lshlrev_b32_e32 v0, 2, v54
	s_waitcnt lgkmcnt(5)
	v_mfma_f32_16x16x16_bf16 a[0:3], v[56:57], v[60:61], a[0:3]
	v_lshlrev_b32_e32 v37, 2, v52
	s_waitcnt lgkmcnt(4)
	v_mfma_f32_16x16x16_bf16 a[4:7], v[56:57], v[64:65], a[4:7]
	s_waitcnt lgkmcnt(3)
	v_mfma_f32_16x16x16_bf16 a[8:11], v[56:57], v[68:69], a[8:11]
	;; [unrolled: 2-line block ×3, first 2 shown]
	global_load_dwordx4 v[54:57], v0, s[0:1]
	v_lshlrev_b32_e32 v0, 6, v77
	v_or3_b32 v0, v0, v37, s2
	global_load_dwordx4 v[76:79], v0, s[0:1]
	s_waitcnt lgkmcnt(1)
	v_mfma_f32_16x16x16_bf16 a[0:3], v[42:43], v[62:63], a[0:3]
	v_exp_f32_e32 v0, s20
	s_waitcnt vmcnt(1)
	v_exp_f32_e32 v37, v57
	v_mfma_f32_16x16x16_bf16 a[4:7], v[42:43], v[66:67], a[4:7]
	v_mfma_f32_16x16x16_bf16 a[8:11], v[42:43], v[70:71], a[8:11]
	;; [unrolled: 1-line block ×3, first 2 shown]
	ds_read_b64 v[42:43], v34 offset:6144
	ds_read_b64 v[52:53], v35 offset:6144
	ds_read_b64 v[80:81], v36 offset:6144
	ds_read_b64 v[44:45], v44 offset:6144
	v_exp_f32_e32 v34, v54
	v_add_u32_e32 v54, v82, v51
	v_exp_f32_e32 v35, v55
	ds_read_b64 v[54:55], v54 offset:40960
	s_waitcnt lgkmcnt(4)
	v_mfma_f32_16x16x16_bf16 a[0:3], v[58:59], v[42:43], a[0:3]
	v_exp_f32_e32 v36, v56
	v_pk_mul_f32 v[34:35], v[0:1], v[34:35] op_sel_hi:[0,1]
	v_pk_mul_f32 v[30:31], v[30:31], v[34:35]
	s_waitcnt lgkmcnt(3)
	v_mfma_f32_16x16x16_bf16 a[4:7], v[58:59], v[52:53], a[4:7]
	v_pk_mul_f32 v[36:37], v[0:1], v[36:37] op_sel_hi:[0,1]
	v_pk_mul_f32 v[32:33], v[32:33], v[36:37]
	v_pk_mul_f32 v[22:23], v[34:35], v[22:23]
	s_waitcnt lgkmcnt(0)
	v_mfma_f32_16x16x16_bf16 a[20:23], v[54:55], v[40:41], 0
	v_accvgpr_read_b32 v40, a0
	v_add_f32_e32 v30, v30, v40
	v_accvgpr_read_b32 v40, a1
	v_add_f32_e32 v31, v31, v40
	;; [unrolled: 2-line block ×4, first 2 shown]
	v_accvgpr_read_b32 v40, a4
	v_add_u32_e32 v56, v83, v51
	v_add_f32_e32 v22, v22, v40
	v_accvgpr_read_b32 v40, a5
	v_mfma_f32_16x16x16_bf16 a[8:11], v[58:59], v[80:81], a[8:11]
	v_add_u32_e32 v51, v85, v51
	v_add_f32_e32 v23, v23, v40
	v_pk_mul_f32 v[24:25], v[36:37], v[24:25]
	v_mfma_f32_16x16x16_bf16 a[12:15], v[58:59], v[44:45], a[12:15]
	ds_read_b64 v[56:57], v56 offset:40960
	ds_read_b64 v[58:59], v51 offset:40960
	ds_read_b64 v[40:41], v84 offset:40960
	v_pk_mul_f32 v[14:15], v[34:35], v[14:15]
	v_mfma_f32_16x16x16_bf16 a[16:19], v[54:55], v[38:39], 0
	v_pk_mul_f32 v[16:17], v[36:37], v[16:17]
	s_nop 0
	v_accvgpr_read_b32 v39, a15
	v_mfma_f32_16x16x16_bf16 a[24:27], v[54:55], v[46:47], 0
	v_accvgpr_read_b32 v46, a6
	v_add_f32_e32 v24, v24, v46
	v_accvgpr_read_b32 v46, a7
	s_waitcnt lgkmcnt(2)
	v_mfma_f32_16x16x16_bf16 a[0:3], v[56:57], v[60:61], a[16:19]
	v_add_f32_e32 v25, v25, v46
	v_accvgpr_read_b32 v46, a8
	v_add_f32_e32 v14, v14, v46
	v_accvgpr_read_b32 v46, a9
	;; [unrolled: 2-line block ×4, first 2 shown]
	v_accvgpr_read_b32 v38, a14
	v_mfma_f32_16x16x16_bf16 a[14:17], v[56:57], v[64:65], a[20:23]
	v_add_f32_e32 v17, v17, v46
	v_accvgpr_read_b32 v47, a13
	v_accvgpr_read_b32 v46, a12
	s_waitcnt lgkmcnt(0)
	v_mfma_f32_16x16x16_bf16 a[0:3], v[40:41], v[62:63], a[0:3]
	v_pk_fma_f32 v[2:3], v[34:35], v[2:3], v[46:47]
	v_pk_fma_f32 v[4:5], v[36:37], v[4:5], v[38:39]
	s_waitcnt vmcnt(0)
	v_mov_b32_e32 v34, v77
	v_mfma_f32_16x16x16_bf16 a[28:31], v[54:55], v[48:49], 0
	v_mov_b32_e32 v35, v78
	v_mov_b32_e32 v36, v79
	v_exp_f32_e32 v38, v76
	v_exp_f32_e32 v39, v34
	v_mfma_f32_16x16x16_bf16 a[18:21], v[56:57], v[68:69], a[24:27]
	v_exp_f32_e32 v34, v35
	v_exp_f32_e32 v35, v36
	v_pk_mul_f32 v[36:37], v[0:1], v[38:39] op_sel_hi:[0,1]
	v_mfma_f32_16x16x16_bf16 a[14:17], v[40:41], v[66:67], a[14:17]
	v_pk_mul_f32 v[26:27], v[26:27], v[36:37]
	v_pk_mul_f32 v[34:35], v[0:1], v[34:35] op_sel_hi:[0,1]
	v_pk_mul_f32 v[28:29], v[28:29], v[34:35]
	v_mfma_f32_16x16x16_bf16 a[0:3], v[58:59], v[42:43], a[0:3]
	v_pk_mul_f32 v[18:19], v[36:37], v[18:19]
	v_pk_mul_f32 v[20:21], v[34:35], v[20:21]
	;; [unrolled: 1-line block ×3, first 2 shown]
	v_mfma_f32_16x16x16_bf16 a[4:7], v[56:57], v[72:73], a[28:31]
	v_pk_mul_f32 v[12:13], v[34:35], v[12:13]
	v_mfma_f32_16x16x16_bf16 a[8:11], v[40:41], v[70:71], a[18:21]
	s_nop 0
	v_accvgpr_read_b32 v0, a0
	v_add_f32_e32 v26, v26, v0
	v_accvgpr_read_b32 v0, a1
	v_mfma_f32_16x16x16_bf16 a[12:15], v[58:59], v[52:53], a[14:17]
	v_add_f32_e32 v27, v27, v0
	v_accvgpr_read_b32 v0, a2
	v_add_f32_e32 v28, v28, v0
	v_mfma_f32_16x16x16_bf16 a[4:7], v[40:41], v[74:75], a[4:7]
	v_accvgpr_read_b32 v0, a3
	v_add_f32_e32 v29, v29, v0
	v_mfma_f32_16x16x16_bf16 a[8:11], v[58:59], v[80:81], a[8:11]
	v_accvgpr_read_b32 v0, a12
	v_add_f32_e32 v18, v18, v0
	v_accvgpr_read_b32 v0, a13
	v_mfma_f32_16x16x16_bf16 a[4:7], v[58:59], v[44:45], a[4:7]
	v_add_f32_e32 v19, v19, v0
	v_accvgpr_read_b32 v0, a14
	v_add_f32_e32 v20, v20, v0
	v_accvgpr_read_b32 v0, a15
	;; [unrolled: 2-line block ×5, first 2 shown]
	v_accvgpr_read_b32 v41, a5
	v_accvgpr_read_b32 v39, a7
	;; [unrolled: 1-line block ×3, first 2 shown]
	v_add_f32_e32 v12, v12, v0
	v_accvgpr_read_b32 v0, a11
	v_accvgpr_read_b32 v40, a4
	v_add_f32_e32 v13, v13, v0
	v_pk_fma_f32 v[6:7], v[36:37], v[6:7], v[40:41]
	v_pk_fma_f32 v[8:9], v[34:35], v[8:9], v[38:39]
	v_mov_b32_e32 v34, v50
.LBB133_101:
	s_mul_i32 s0, s33, s35
	s_mul_hi_u32 s1, s33, s34
	s_add_i32 s0, s1, s0
	s_mul_i32 s1, s48, s34
	s_add_i32 s1, s0, s1
	s_mul_i32 s0, s33, s34
	s_add_u32 s0, s0, s49
	s_addc_u32 s1, s1, s37
	s_lshl_b64 s[0:1], s[0:1], 16
	s_add_u32 s0, s8, s0
	v_lshlrev_b32_e32 v34, 7, v34
	s_addc_u32 s1, s9, s1
	v_ashrrev_i32_e32 v35, 31, v34
	v_lshl_add_u64 v[36:37], v[34:35], 2, s[0:1]
	v_lshlrev_b32_e32 v0, 2, v1
	v_mov_b32_e32 v1, 0
	v_lshl_add_u64 v[36:37], v[36:37], 0, v[0:1]
	global_store_dwordx4 v[36:37], v[30:33], off
	global_store_dwordx4 v[36:37], v[26:29], off offset:256
	s_nop 1
	v_or_b32_e32 v26, 0x800, v34
	v_ashrrev_i32_e32 v27, 31, v26
	v_lshl_add_u64 v[26:27], v[26:27], 2, s[0:1]
	v_lshl_add_u64 v[26:27], v[26:27], 0, v[0:1]
	global_store_dwordx4 v[26:27], v[22:25], off
	global_store_dwordx4 v[26:27], v[18:21], off offset:256
	s_nop 1
	v_or_b32_e32 v18, 0x1000, v34
	v_ashrrev_i32_e32 v19, 31, v18
	v_lshl_add_u64 v[18:19], v[18:19], 2, s[0:1]
	;; [unrolled: 7-line block ×3, first 2 shown]
	v_lshl_add_u64 v[0:1], v[10:11], 0, v[0:1]
	global_store_dwordx4 v[0:1], v[2:5], off
	global_store_dwordx4 v[0:1], v[6:9], off offset:256
	s_endpgm
	.section	.rodata,"a",@progbits
	.p2align	6, 0x0
	.amdhsa_kernel _ZN12_GLOBAL__N_139chunk_gated_delta_rule_fwd_h_hip_kernelILi64ELb0ELb1ELb1ELb1ELb1ELb1ELb1ELb0EEEvPK12hip_bfloat16S3_S3_PKfS5_PKvPS1_S8_PvPKiSB_iiiiilll
		.amdhsa_group_segment_fixed_size 65536
		.amdhsa_private_segment_fixed_size 0
		.amdhsa_kernarg_size 136
		.amdhsa_user_sgpr_count 2
		.amdhsa_user_sgpr_dispatch_ptr 0
		.amdhsa_user_sgpr_queue_ptr 0
		.amdhsa_user_sgpr_kernarg_segment_ptr 1
		.amdhsa_user_sgpr_dispatch_id 0
		.amdhsa_user_sgpr_kernarg_preload_length 0
		.amdhsa_user_sgpr_kernarg_preload_offset 0
		.amdhsa_user_sgpr_private_segment_size 0
		.amdhsa_uses_dynamic_stack 0
		.amdhsa_enable_private_segment 0
		.amdhsa_system_sgpr_workgroup_id_x 1
		.amdhsa_system_sgpr_workgroup_id_y 1
		.amdhsa_system_sgpr_workgroup_id_z 0
		.amdhsa_system_sgpr_workgroup_info 0
		.amdhsa_system_vgpr_workitem_id 0
		.amdhsa_next_free_vgpr 232
		.amdhsa_next_free_sgpr 69
		.amdhsa_accum_offset 192
		.amdhsa_reserve_vcc 1
		.amdhsa_float_round_mode_32 0
		.amdhsa_float_round_mode_16_64 0
		.amdhsa_float_denorm_mode_32 3
		.amdhsa_float_denorm_mode_16_64 3
		.amdhsa_dx10_clamp 1
		.amdhsa_ieee_mode 1
		.amdhsa_fp16_overflow 0
		.amdhsa_tg_split 0
		.amdhsa_exception_fp_ieee_invalid_op 0
		.amdhsa_exception_fp_denorm_src 0
		.amdhsa_exception_fp_ieee_div_zero 0
		.amdhsa_exception_fp_ieee_overflow 0
		.amdhsa_exception_fp_ieee_underflow 0
		.amdhsa_exception_fp_ieee_inexact 0
		.amdhsa_exception_int_div_zero 0
	.end_amdhsa_kernel
	.section	.text._ZN12_GLOBAL__N_139chunk_gated_delta_rule_fwd_h_hip_kernelILi64ELb0ELb1ELb1ELb1ELb1ELb1ELb1ELb0EEEvPK12hip_bfloat16S3_S3_PKfS5_PKvPS1_S8_PvPKiSB_iiiiilll,"axG",@progbits,_ZN12_GLOBAL__N_139chunk_gated_delta_rule_fwd_h_hip_kernelILi64ELb0ELb1ELb1ELb1ELb1ELb1ELb1ELb0EEEvPK12hip_bfloat16S3_S3_PKfS5_PKvPS1_S8_PvPKiSB_iiiiilll,comdat
.Lfunc_end133:
	.size	_ZN12_GLOBAL__N_139chunk_gated_delta_rule_fwd_h_hip_kernelILi64ELb0ELb1ELb1ELb1ELb1ELb1ELb1ELb0EEEvPK12hip_bfloat16S3_S3_PKfS5_PKvPS1_S8_PvPKiSB_iiiiilll, .Lfunc_end133-_ZN12_GLOBAL__N_139chunk_gated_delta_rule_fwd_h_hip_kernelILi64ELb0ELb1ELb1ELb1ELb1ELb1ELb1ELb0EEEvPK12hip_bfloat16S3_S3_PKfS5_PKvPS1_S8_PvPKiSB_iiiiilll
                                        ; -- End function
	.section	.AMDGPU.csdata,"",@progbits
; Kernel info:
; codeLenInByte = 12908
; NumSgprs: 75
; NumVgprs: 190
; NumAgprs: 40
; TotalNumVgprs: 232
; ScratchSize: 0
; MemoryBound: 0
; FloatMode: 240
; IeeeMode: 1
; LDSByteSize: 65536 bytes/workgroup (compile time only)
; SGPRBlocks: 9
; VGPRBlocks: 28
; NumSGPRsForWavesPerEU: 75
; NumVGPRsForWavesPerEU: 232
; AccumOffset: 192
; Occupancy: 1
; WaveLimiterHint : 1
; COMPUTE_PGM_RSRC2:SCRATCH_EN: 0
; COMPUTE_PGM_RSRC2:USER_SGPR: 2
; COMPUTE_PGM_RSRC2:TRAP_HANDLER: 0
; COMPUTE_PGM_RSRC2:TGID_X_EN: 1
; COMPUTE_PGM_RSRC2:TGID_Y_EN: 1
; COMPUTE_PGM_RSRC2:TGID_Z_EN: 0
; COMPUTE_PGM_RSRC2:TIDIG_COMP_CNT: 0
; COMPUTE_PGM_RSRC3_GFX90A:ACCUM_OFFSET: 47
; COMPUTE_PGM_RSRC3_GFX90A:TG_SPLIT: 0
	.section	.text._ZN12_GLOBAL__N_139chunk_gated_delta_rule_fwd_h_hip_kernelILi64ELb0ELb1ELb0ELb1ELb1ELb1ELb1ELb0EEEvPK12hip_bfloat16S3_S3_PKfS5_PKvPS1_S8_PvPKiSB_iiiiilll,"axG",@progbits,_ZN12_GLOBAL__N_139chunk_gated_delta_rule_fwd_h_hip_kernelILi64ELb0ELb1ELb0ELb1ELb1ELb1ELb1ELb0EEEvPK12hip_bfloat16S3_S3_PKfS5_PKvPS1_S8_PvPKiSB_iiiiilll,comdat
	.globl	_ZN12_GLOBAL__N_139chunk_gated_delta_rule_fwd_h_hip_kernelILi64ELb0ELb1ELb0ELb1ELb1ELb1ELb1ELb0EEEvPK12hip_bfloat16S3_S3_PKfS5_PKvPS1_S8_PvPKiSB_iiiiilll ; -- Begin function _ZN12_GLOBAL__N_139chunk_gated_delta_rule_fwd_h_hip_kernelILi64ELb0ELb1ELb0ELb1ELb1ELb1ELb1ELb0EEEvPK12hip_bfloat16S3_S3_PKfS5_PKvPS1_S8_PvPKiSB_iiiiilll
	.p2align	8
	.type	_ZN12_GLOBAL__N_139chunk_gated_delta_rule_fwd_h_hip_kernelILi64ELb0ELb1ELb0ELb1ELb1ELb1ELb1ELb0EEEvPK12hip_bfloat16S3_S3_PKfS5_PKvPS1_S8_PvPKiSB_iiiiilll,@function
_ZN12_GLOBAL__N_139chunk_gated_delta_rule_fwd_h_hip_kernelILi64ELb0ELb1ELb0ELb1ELb1ELb1ELb1ELb0EEEvPK12hip_bfloat16S3_S3_PKfS5_PKvPS1_S8_PvPKiSB_iiiiilll: ; @_ZN12_GLOBAL__N_139chunk_gated_delta_rule_fwd_h_hip_kernelILi64ELb0ELb1ELb0ELb1ELb1ELb1ELb1ELb0EEEvPK12hip_bfloat16S3_S3_PKfS5_PKvPS1_S8_PvPKiSB_iiiiilll
; %bb.0:
	s_load_dwordx4 s[16:19], s[0:1], 0x5c
	s_load_dwordx8 s[4:11], s[0:1], 0x0
	s_load_dwordx4 s[20:23], s[0:1], 0x70
	s_abs_i32 s27, s3
	s_ashr_i32 s26, s3, 31
	s_waitcnt lgkmcnt(0)
	s_abs_i32 s28, s17
	v_cvt_f32_u32_e32 v1, s28
	s_sub_i32 s29, 0, s28
	s_ashr_i32 s46, s17, 31
	s_xor_b32 s26, s26, s46
	v_rcp_iflag_f32_e32 v1, v1
	s_load_dwordx2 s[36:37], s[0:1], 0x20
	s_load_dwordx2 s[40:41], s[0:1], 0x30
	s_load_dwordx4 s[12:15], s[0:1], 0x40
	s_load_dwordx2 s[24:25], s[0:1], 0x50
	v_lshrrev_b32_e32 v77, 6, v0
	v_bfe_u32 v86, v0, 4, 2
	v_mul_f32_e32 v1, 0x4f7ffffe, v1
	v_cvt_u32_f32_e32 v1, v1
	v_lshlrev_b32_e32 v84, 4, v77
	v_lshlrev_b32_e32 v34, 2, v86
	v_and_b32_e32 v85, 63, v0
	v_readfirstlane_b32 s30, v1
	s_mul_i32 s29, s29, s30
	s_mul_hi_u32 s29, s30, s29
	s_add_i32 s30, s30, s29
	s_mul_hi_u32 s29, s27, s30
	s_mul_i32 s30, s29, s28
	s_sub_i32 s27, s27, s30
	s_add_i32 s30, s29, 1
	s_sub_i32 s31, s27, s28
	s_cmp_ge_u32 s27, s28
	s_cselect_b32 s29, s30, s29
	s_cselect_b32 s27, s31, s27
	s_add_i32 s30, s29, 1
	s_cmp_ge_u32 s27, s28
	s_cselect_b32 s27, s30, s29
	s_xor_b32 s27, s27, s26
	s_sub_i32 s34, s27, s26
	s_mul_i32 s26, s34, s17
	s_ashr_i32 s35, s34, 31
	s_sub_i32 s47, s3, s26
	s_lshl_b64 s[26:27], s[34:35], 2
	s_waitcnt lgkmcnt(0)
	s_add_u32 s14, s14, s26
	s_addc_u32 s15, s15, s27
	s_add_u32 s24, s24, s26
	s_addc_u32 s25, s25, s27
	s_abs_i32 s3, s18
	v_cvt_f32_u32_e32 v1, s3
	s_load_dwordx2 s[38:39], s[14:15], 0x0
	s_load_dword s52, s[24:25], 0x0
	v_mov_b32_e32 v17, 0
	v_rcp_iflag_f32_e32 v1, v1
	s_load_dwordx2 s[14:15], s[0:1], 0x80
	s_sub_i32 s1, 0, s3
	s_waitcnt lgkmcnt(0)
	s_sub_i32 s56, s39, s38
	v_mul_f32_e32 v1, 0x4f7ffffe, v1
	v_cvt_u32_f32_e32 v1, v1
	s_ashr_i32 s0, s56, 31
	s_lshr_b32 s0, s0, 26
	s_add_i32 s0, s56, s0
	v_readfirstlane_b32 s26, v1
	s_mul_i32 s1, s1, s26
	s_mul_hi_u32 s1, s26, s1
	s_add_i32 s26, s26, s1
	s_mul_hi_u32 s1, s28, s26
	s_mul_i32 s26, s1, s3
	s_ashr_i32 s51, s0, 6
	s_ashr_i32 s0, s18, 31
	s_sub_i32 s26, s28, s26
	s_xor_b32 s0, s46, s0
	s_add_i32 s27, s1, 1
	s_sub_i32 s28, s26, s3
	s_cmp_ge_u32 s26, s3
	s_cselect_b32 s1, s27, s1
	s_cselect_b32 s26, s28, s26
	s_add_i32 s27, s1, 1
	s_cmp_ge_u32 s26, s3
	s_cselect_b32 s1, s27, s1
	s_xor_b32 s1, s1, s0
	s_sub_i32 s1, s1, s0
	s_abs_i32 s3, s1
	v_cvt_f32_u32_e32 v1, s3
	s_sub_i32 s25, 0, s3
	s_abs_i32 s24, s47
	s_xor_b32 s1, s47, s1
	v_rcp_iflag_f32_e32 v1, v1
	s_ashr_i32 s1, s1, 31
	s_mov_b32 s0, 0
	s_mov_b32 s33, s17
	v_mul_f32_e32 v1, 0x4f7ffffe, v1
	v_cvt_u32_f32_e32 v1, v1
	v_and_b32_e32 v87, 15, v0
	s_mul_hi_i32 s53, s47, s16
	s_mul_i32 s55, s47, s16
	v_readfirstlane_b32 s26, v1
	s_mul_i32 s25, s25, s26
	s_mul_hi_u32 s25, s26, s25
	s_add_i32 s26, s26, s25
	s_mul_hi_u32 s25, s24, s26
	s_mul_i32 s26, s25, s3
	s_sub_i32 s24, s24, s26
	s_add_i32 s26, s25, 1
	s_sub_i32 s27, s24, s3
	s_cmp_ge_u32 s24, s3
	s_cselect_b32 s25, s26, s25
	s_cselect_b32 s24, s27, s24
	s_add_i32 s26, s25, 1
	s_cmp_ge_u32 s24, s3
	s_cselect_b32 s3, s26, s25
	s_xor_b32 s3, s3, s1
	s_sub_i32 s54, s3, s1
	v_or_b32_e32 v1, v34, v84
	s_lshl_b32 s2, s2, 6
	s_mov_b32 s1, s0
	v_or_b32_e32 v90, 64, v1
	s_cmp_lt_i32 s56, 64
	v_mov_b64_e32 v[2:3], s[0:1]
	v_lshrrev_b32_e32 v89, 3, v85
	v_lshlrev_b32_e32 v88, 3, v0
	s_mul_i32 s48, s34, s21
	s_mul_hi_u32 s49, s34, s20
	s_mul_i32 s50, s35, s20
	s_mul_i32 s20, s34, s20
	v_mov_b32_e32 v16, v17
	v_mov_b32_e32 v15, v17
	v_mov_b32_e32 v14, v17
	v_mov_b32_e32 v13, v17
	v_mov_b32_e32 v12, v17
	v_mov_b32_e32 v11, v17
	v_mov_b32_e32 v10, v17
	v_mov_b32_e32 v25, v17
	v_mov_b32_e32 v24, v17
	v_mov_b32_e32 v23, v17
	v_mov_b32_e32 v22, v17
	v_mov_b32_e32 v21, v17
	v_mov_b32_e32 v20, v17
	v_mov_b32_e32 v19, v17
	v_mov_b32_e32 v18, v17
	v_mov_b32_e32 v33, v17
	v_mov_b32_e32 v32, v17
	v_mov_b32_e32 v31, v17
	v_mov_b32_e32 v30, v17
	v_mov_b32_e32 v29, v17
	v_mov_b32_e32 v28, v17
	v_mov_b32_e32 v27, v17
	v_mov_b32_e32 v26, v17
	v_mov_b64_e32 v[4:5], s[0:1]
	v_mov_b64_e32 v[6:7], s[0:1]
	;; [unrolled: 1-line block ×3, first 2 shown]
	s_cbranch_scc1 .LBB134_18
; %bb.1:
	s_ashr_i32 s58, s47, 31
	s_ashr_i32 s1, s38, 31
	s_add_u32 s0, s55, s38
	s_addc_u32 s1, s53, s1
	s_lshl_b64 s[0:1], s[0:1], 8
	v_and_b32_e32 v92, 56, v88
	s_add_u32 s24, s6, s0
	v_lshl_or_b32 v91, v77, 3, v89
	v_lshlrev_b32_e32 v2, 1, v92
	s_addc_u32 s0, s7, s1
	v_lshl_or_b32 v93, v91, 8, v2
	s_and_b32 s25, s0, 0xffff
	s_mov_b32 s27, 0x20000
	s_movk_i32 s26, 0x4000
	s_movk_i32 s0, 0x80
	v_or_b32_e32 v94, 0x2000, v93
	buffer_load_dwordx4 v[4:7], v93, s[24:27], 0 offen
	buffer_load_dwordx4 v[8:11], v93, s[24:27], s0 offen
	;; [unrolled: 1-line block ×4, first 2 shown]
	v_lshlrev_b32_e32 v3, 3, v91
	v_and_or_b32 v21, v0, 7, v3
	v_and_b32_e32 v3, 0x78, v3
	v_lshlrev_b32_e32 v21, 4, v21
	v_xor_b32_e32 v95, v21, v3
	v_mul_lo_u32 v20, v91, s19
	v_or_b32_e32 v96, 0x1000, v95
	v_xor_b32_e32 v3, 8, v95
	s_cmpk_eq_i32 s19, 0x80
	s_mov_b32 s57, s38
	v_xor_b32_e32 v21, 8, v96
	s_cselect_b64 s[0:1], -1, 0
	s_cmpk_lg_i32 s19, 0x80
	s_waitcnt vmcnt(3)
	ds_write_b64 v95, v[4:5] offset:49152
	ds_write_b64 v3, v[6:7] offset:49152
	s_waitcnt vmcnt(2)
	ds_write_b64 v95, v[8:9] offset:57344
	ds_write_b64 v3, v[10:11] offset:57344
	;; [unrolled: 3-line block ×4, first 2 shown]
	v_lshl_add_u32 v3, v20, 1, v92
	s_cbranch_scc0 .LBB134_3
; %bb.2:
	v_lshlrev_b32_e32 v5, 1, v3
	v_add_lshl_u32 v4, v3, s19, 1
	s_lshl_b32 s26, s19, 7
	v_lshl_or_b32 v2, v91, 9, v2
	s_cbranch_execz .LBB134_4
	s_branch .LBB134_5
.LBB134_3:
                                        ; implicit-def: $vgpr4
                                        ; implicit-def: $vgpr5
                                        ; implicit-def: $sgpr26
	v_lshl_or_b32 v2, v91, 9, v2
.LBB134_4:
	v_or_b32_e32 v4, 0x100, v2
	s_movk_i32 s26, 0x4000
	v_mov_b32_e32 v5, v2
.LBB134_5:
	s_mul_i32 s21, s38, s18
	s_ashr_i32 s59, s54, 31
	s_mul_hi_i32 s3, s38, s18
	s_add_u32 s24, s21, s54
	s_addc_u32 s25, s3, s59
	s_lshl_b64 s[24:25], s[24:25], 8
	s_add_u32 s24, s4, s24
	s_addc_u32 s3, s5, s25
	s_and_b32 s25, s3, 0xffff
	s_movk_i32 s60, 0x80
	buffer_load_dwordx4 v[6:9], v5, s[24:27], 0 offen
	buffer_load_dwordx4 v[10:13], v5, s[24:27], s60 offen
	;; [unrolled: 1-line block ×4, first 2 shown]
	v_and_b32_e32 v5, 6, v0
	v_lshlrev_b32_e32 v4, 7, v1
	v_xor_b32_e32 v27, v91, v5
	v_and_b32_e32 v22, 1, v0
	v_lshl_or_b32 v30, v87, 3, v4
	v_lshlrev_b32_e32 v27, 2, v27
	v_lshlrev_b32_e32 v23, 2, v87
	v_or_b32_e32 v97, 0x4000, v30
	v_or_b32_e32 v98, 0x6000, v30
	v_xor_b32_e32 v30, 0x440, v27
	v_cmp_eq_u32_e32 vcc, 0, v22
	v_or_b32_e32 v25, 16, v87
	v_or_b32_e32 v26, 32, v87
	v_xor_b32_e32 v28, v1, v23
	v_xor_b32_e32 v29, v90, v23
	v_cndmask_b32_e32 v22, v30, v27, vcc
	s_add_i32 s3, s49, s48
	s_mov_b32 s61, 0x1000504
	v_lshl_or_b32 v31, v25, 3, v4
	v_lshlrev_b32_e32 v25, 8, v25
	v_lshl_or_b32 v32, v26, 3, v4
	v_lshlrev_b32_e32 v28, 1, v28
	v_lshlrev_b32_e32 v29, 1, v29
	v_lshl_or_b32 v5, v5, 10, v22
	s_add_i32 s21, s3, s50
	s_mul_i32 s3, s47, s23
	s_mul_hi_u32 s24, s47, s22
	s_mov_b32 s62, 0x3020706
	v_lshlrev_b32_e32 v24, 8, v87
	v_or_b32_e32 v101, 0x4000, v32
	v_or_b32_e32 v102, 0x6000, v32
	v_or_b32_e32 v105, v25, v28
	v_or_b32_e32 v106, v25, v29
	v_xor_b32_e32 v22, 8, v5
	v_xor_b32_e32 v25, 24, v5
	;; [unrolled: 1-line block ×4, first 2 shown]
	s_add_i32 s3, s24, s3
	s_mul_i32 s24, s58, s22
	v_or_b32_e32 v99, 0x4000, v31
	v_or_b32_e32 v100, 0x6000, v31
	;; [unrolled: 1-line block ×4, first 2 shown]
	v_xor_b32_e32 v24, 16, v5
	v_xor_b32_e32 v27, 32, v5
	;; [unrolled: 1-line block ×3, first 2 shown]
	v_add_u32_e32 v22, 0x80, v22
	v_add_u32_e32 v25, 0x80, v25
	;; [unrolled: 1-line block ×4, first 2 shown]
	s_add_i32 s25, s3, s24
	s_lshl_b64 s[28:29], s[20:21], 2
	s_mul_i32 s24, s47, s22
	s_add_u32 s3, s10, s28
	s_addc_u32 s21, s11, s29
	s_lshl_b64 s[24:25], s[24:25], 2
	s_add_u32 s42, s3, s24
	s_movk_i32 s3, 0xf8
	s_addc_u32 s43, s21, s25
	s_lshl_b32 s30, s19, 7
	s_movk_i32 s21, 0x100
	v_mov_b32_e32 v79, 0
	v_lshlrev_b32_e32 v78, 4, v87
	v_lshlrev_b32_e32 v26, 8, v26
	s_mov_b32 s64, 0
	s_movk_i32 s26, 0x4000
	v_or_b32_e32 v107, v26, v28
	v_or_b32_e32 v108, v26, v29
	v_add_u32_e32 v134, v84, v34
	s_movk_i32 s63, 0x3000
	v_mov_b32_e32 v26, v79
	s_waitcnt vmcnt(1)
	v_perm_b32 v33, v6, v14, s61
	s_waitcnt vmcnt(0)
	v_perm_b32 v35, v10, v18, s61
	v_perm_b32 v6, v6, v14, s62
	;; [unrolled: 1-line block ×15, first 2 shown]
	ds_write2st64_b32 v5, v33, v35 offset0:128 offset1:160
	ds_write2st64_b32 v22, v6, v10 offset0:128 offset1:160
	;; [unrolled: 1-line block ×8, first 2 shown]
	v_or_b32_e32 v5, 48, v87
	v_lshl_or_b32 v6, v5, 3, v4
	v_lshlrev_b32_e32 v5, 8, v5
	v_or_b32_e32 v111, v5, v28
	v_or_b32_e32 v112, v5, v29
	;; [unrolled: 1-line block ×3, first 2 shown]
	v_lshlrev_b32_e32 v5, 3, v5
	v_lshrrev_b32_e32 v7, 5, v85
	v_and_or_b32 v7, v5, s3, v7
	v_lshlrev_b32_e32 v7, 4, v7
	v_or_b32_e32 v109, 0x4000, v6
	v_or_b32_e32 v110, 0x6000, v6
	v_lshrrev_b32_e32 v6, 2, v85
	v_lshlrev_b32_e32 v11, 11, v77
	v_and_b32_e32 v5, 0x78, v5
	v_or_b32_e32 v13, 32, v7
	v_and_b32_e32 v10, 12, v6
	v_and_b32_e32 v6, 0x1000, v11
	v_lshrrev_b32_e32 v9, 1, v85
	v_xor_b32_e32 v13, v13, v5
	v_xor_b32_e32 v8, v7, v5
	v_and_b32_e32 v9, 8, v9
	v_or_b32_e32 v13, v13, v6
	v_or_b32_e32 v8, v8, v6
	v_lshlrev_b32_e32 v12, 8, v86
	v_xor_b32_e32 v115, v13, v9
	v_or_b32_e32 v13, 64, v7
	v_or_b32_e32 v7, 0x60, v7
	v_xor_b32_e32 v113, v8, v9
	v_or_b32_e32 v8, v12, v23
	v_xor_b32_e32 v13, v13, v5
	v_xor_b32_e32 v5, v7, v5
	s_ashr_i32 s3, s2, 31
	v_lshlrev_b32_e32 v8, 1, v8
	v_or_b32_e32 v13, v13, v6
	v_or_b32_e32 v5, v5, v6
	s_lshl_b64 s[24:25], s[2:3], 8
	v_lshlrev_b32_e32 v17, 2, v0
	v_or_b32_e32 v114, 0x4000, v8
	v_or_b32_e32 v116, 0x4080, v8
	;; [unrolled: 1-line block ×4, first 2 shown]
	v_xor_b32_e32 v119, v13, v9
	v_xor_b32_e32 v120, v5, v9
	v_or_b32_e32 v121, 0x6000, v8
	v_or_b32_e32 v122, 0x6080, v8
	;; [unrolled: 1-line block ×4, first 2 shown]
	v_lshlrev_b32_e32 v5, 1, v3
	v_add_lshl_u32 v3, v3, s19, 1
	v_or_b32_e32 v13, 0x100, v2
	s_add_u32 s24, s40, s24
	v_lshlrev_b32_e32 v8, 1, v87
	v_lshrrev_b32_e32 v18, 1, v0
	v_and_or_b32 v12, v17, 60, v12
	v_lshrrev_b32_e32 v14, 4, v0
	s_addc_u32 s25, s41, s25
	v_or_b32_e32 v9, 1, v8
	v_and_b32_e32 v18, 24, v18
	v_lshlrev_b32_e32 v12, 1, v12
	v_cndmask_b32_e64 v131, v5, v2, s[0:1]
	v_cndmask_b32_e64 v132, v3, v13, s[0:1]
	v_mov_b32_e32 v3, 0xa000
	v_mov_b32_e32 v5, 0x8000
	v_cmp_gt_u32_e64 s[0:1], s21, v0
	v_xor_b32_e32 v15, v14, v8
	v_xor_b32_e32 v16, v9, v14
	v_lshl_add_u64 v[8:9], s[24:25], 0, v[78:79]
	v_lshlrev_b32_e32 v78, 8, v14
	v_or_b32_e32 v127, 0x6000, v12
	v_or_b32_e32 v17, 32, v18
	;; [unrolled: 1-line block ×6, first 2 shown]
	v_cndmask_b32_e64 v3, v3, v5, s[0:1]
	v_lshlrev_b32_e32 v5, 3, v77
	v_lshl_or_b32 v125, v15, 3, v78
	v_and_b32_e32 v15, 8, v0
	v_xor_b32_e32 v13, v5, v18
	v_xor_b32_e32 v17, v5, v17
	;; [unrolled: 1-line block ×3, first 2 shown]
	v_mov_b32_e32 v19, 0x400
	v_cmp_eq_u32_e32 vcc, 0, v15
	v_or_b32_e32 v18, 0x440, v13
	v_or_b32_e32 v20, 0x440, v17
	v_xor_b32_e32 v12, 0x440, v5
	v_and_b32_e32 v14, 7, v0
	v_cndmask_b32_e64 v15, v19, 64, vcc
	v_cndmask_b32_e32 v18, v18, v13, vcc
	v_cndmask_b32_e32 v17, v20, v17, vcc
	;; [unrolled: 1-line block ×3, first 2 shown]
	v_lshl_or_b32 v126, v16, 3, v78
	v_lshlrev_b32_e32 v16, 3, v14
	v_or_b32_e32 v18, v18, v11
	v_or_b32_e32 v17, v17, v11
	v_or3_b32 v13, v11, v15, v13
	v_or_b32_e32 v5, v5, v11
	v_or_b32_e32 v6, s2, v87
	v_lshlrev_b32_e32 v14, 7, v14
	v_xor_b32_e32 v18, v18, v16
	v_xor_b32_e32 v17, v17, v16
	;; [unrolled: 1-line block ×4, first 2 shown]
	v_ashrrev_i32_e32 v7, 31, v6
	v_or_b32_e32 v2, v84, v10
	v_add_u32_e32 v19, v3, v18
	v_add_u32_e32 v20, v3, v17
	v_or_b32_e32 v133, v13, v14
	v_add_u32_e32 v11, v3, v5
	v_or3_b32 v10, v84, v10, 64
	v_add_u32_e32 v12, 0xa000, v18
	v_add_u32_e32 v13, 0xa000, v17
	;; [unrolled: 1-line block ×3, first 2 shown]
	v_lshl_add_u64 v[80:81], v[6:7], 1, s[8:9]
	v_lshl_add_u64 v[82:83], v[8:9], 0, v[78:79]
	s_mov_b32 s3, 0x7060302
	v_lshlrev_b32_e32 v78, 1, v4
	s_movk_i32 s21, 0x2000
	v_lshlrev_b32_e32 v135, 2, v2
	v_add_u32_e32 v136, v19, v14
	v_add_u32_e32 v137, v20, v14
	;; [unrolled: 1-line block ×4, first 2 shown]
	v_lshlrev_b32_e32 v140, 2, v10
	v_add_u32_e32 v141, v12, v14
	v_add_u32_e32 v142, v13, v14
	;; [unrolled: 1-line block ×3, first 2 shown]
	v_mov_b32_e32 v8, v79
	v_mov_b32_e32 v9, v79
	;; [unrolled: 1-line block ×31, first 2 shown]
	s_waitcnt lgkmcnt(0)
	s_barrier
.LBB134_6:                              ; =>This Inner Loop Header: Depth=1
	s_add_i32 s65, s64, 1
	s_cmp_lt_i32 s65, s51
	s_mov_b64 s[28:29], 0
	s_cselect_b64 s[44:45], -1, 0
	s_cmp_ge_i32 s65, s51
	s_mov_b64 s[24:25], 0
	s_cbranch_scc1 .LBB134_8
; %bb.7:                                ;   in Loop: Header=BB134_6 Depth=1
	s_add_i32 s0, s57, 64
	s_ashr_i32 s1, s0, 31
	s_add_u32 s0, s55, s0
	s_addc_u32 s1, s53, s1
	s_lshl_b64 s[0:1], s[0:1], 8
	s_add_u32 s24, s6, s0
	s_addc_u32 s25, s7, s1
.LBB134_8:                              ;   in Loop: Header=BB134_6 Depth=1
	v_cndmask_b32_e64 v34, 0, 1, s[44:45]
	v_cmp_ne_u32_e64 s[0:1], 1, v34
	s_andn2_b64 vcc, exec, s[44:45]
	s_cbranch_vccnz .LBB134_10
; %bb.9:                                ;   in Loop: Header=BB134_6 Depth=1
	s_add_i32 s28, s57, 64
	s_mul_hi_i32 s29, s28, s18
	s_mul_i32 s28, s28, s18
	s_add_u32 s28, s28, s54
	s_addc_u32 s29, s29, s59
	s_lshl_b64 s[28:29], s[28:29], 8
	s_add_u32 s28, s4, s28
	s_addc_u32 s29, s5, s29
.LBB134_10:                             ;   in Loop: Header=BB134_6 Depth=1
	v_perm_b32 v35, v33, v32, s3
	v_perm_b32 v34, v31, v30, s3
	v_perm_b32 v37, v29, v28, s3
	v_perm_b32 v36, v27, v26, s3
	ds_write_b64 v97, v[34:35]
	ds_write_b64 v98, v[36:37]
	ds_write_b64 v103, v[34:35]
	ds_write_b64 v104, v[36:37]
	v_perm_b32 v35, v25, v24, s3
	v_perm_b32 v34, v23, v22, s3
	v_perm_b32 v37, v21, v20, s3
	v_perm_b32 v36, v19, v18, s3
	ds_write_b64 v99, v[34:35]
	ds_write_b64 v100, v[36:37]
	ds_write_b64 v105, v[34:35]
	ds_write_b64 v106, v[36:37]
	;; [unrolled: 8-line block ×4, first 2 shown]
	s_waitcnt lgkmcnt(0)
	s_barrier
	ds_read_b64 v[38:39], v113 offset:49152
	ds_read2_b64 v[34:37], v114 offset1:16
	ds_read_b64 v[50:51], v116 offset:6144
	ds_read_b64 v[52:53], v114 offset:6144
	s_waitcnt lgkmcnt(2)
	v_mfma_f32_16x16x16_bf16 a[0:3], v[38:39], v[34:35], 0
	ds_read_b64 v[54:55], v115 offset:49152
	ds_read2st64_b64 v[42:45], v117 offset0:4 offset1:8
	ds_read2st64_b64 v[46:49], v118 offset0:4 offset1:8
	v_mfma_f32_16x16x16_bf16 a[4:7], v[38:39], v[36:37], 0
	ds_read2_b64 v[34:37], v114 offset0:32 offset1:48
	s_add_i32 s66, s57, 63
	s_ashr_i32 s31, s66, 31
	s_waitcnt lgkmcnt(0)
	v_mfma_f32_16x16x16_bf16 a[8:11], v[38:39], v[34:35], 0
	s_mul_i32 s44, s66, s15
	s_mul_hi_u32 s45, s66, s14
	s_add_i32 s44, s45, s44
	v_mfma_f32_16x16x16_bf16 a[12:15], v[38:39], v[36:37], 0
	ds_read2st64_b64 v[34:37], v114 offset0:4 offset1:8
	ds_read2st64_b64 v[38:41], v116 offset0:4 offset1:8
	s_mul_i32 s31, s31, s14
	s_waitcnt lgkmcnt(1)
	v_mfma_f32_16x16x16_bf16 a[0:3], v[54:55], v[34:35], a[0:3]
	s_add_i32 s45, s44, s31
	s_mul_i32 s44, s66, s14
	s_lshl_b64 s[44:45], s[44:45], 2
	s_waitcnt lgkmcnt(0)
	v_mfma_f32_16x16x16_bf16 a[4:7], v[54:55], v[38:39], a[4:7]
	s_add_u32 s44, s42, s44
	s_addc_u32 s45, s43, s45
	s_and_b64 vcc, exec, s[0:1]
	v_mfma_f32_16x16x16_bf16 a[8:11], v[54:55], v[42:43], a[8:11]
	ds_read_b64 v[34:35], v119 offset:49152
	ds_read_b64 v[38:39], v120 offset:49152
	;; [unrolled: 1-line block ×3, first 2 shown]
	v_mov_b32_e32 v146, 0
	v_mov_b32_e32 v145, 0
	v_mfma_f32_16x16x16_bf16 a[12:15], v[54:55], v[46:47], a[12:15]
	v_mov_b32_e32 v144, 0
	v_mov_b32_e32 v46, 0
	;; [unrolled: 1-line block ×3, first 2 shown]
	s_waitcnt lgkmcnt(2)
	v_mfma_f32_16x16x16_bf16 a[0:3], v[34:35], v[36:37], a[0:3]
	v_mov_b32_e32 v36, 0
	v_mov_b32_e32 v37, 0
	v_mfma_f32_16x16x16_bf16 a[16:19], v[34:35], v[40:41], a[4:7]
	v_mov_b32_e32 v40, 0
	v_mov_b32_e32 v41, 0
	;; [unrolled: 3-line block ×3, first 2 shown]
	v_mfma_f32_16x16x16_bf16 a[24:27], v[34:35], v[48:49], a[12:15]
	ds_read_b64 v[34:35], v117 offset:6144
	v_mov_b32_e32 v48, 0
	v_mov_b32_e32 v49, 0
	s_waitcnt lgkmcnt(2)
	v_mfma_f32_16x16x16_bf16 a[4:7], v[38:39], v[52:53], a[0:3]
	v_mfma_f32_16x16x16_bf16 a[8:11], v[38:39], v[50:51], a[16:19]
	s_waitcnt lgkmcnt(0)
	v_mfma_f32_16x16x16_bf16 a[12:15], v[38:39], v[34:35], a[20:23]
	v_mov_b32_e32 v34, 0
	v_mov_b32_e32 v35, 0
	v_mfma_f32_16x16x16_bf16 a[0:3], v[38:39], v[42:43], a[24:27]
	v_mov_b32_e32 v38, 0
	v_mov_b32_e32 v39, 0
	;; [unrolled: 1-line block ×4, first 2 shown]
	s_cbranch_vccnz .LBB134_12
; %bb.11:                               ;   in Loop: Header=BB134_6 Depth=1
	s_and_b32 s25, s25, 0xffff
	buffer_load_dwordx4 v[46:49], v93, s[24:27], 0 offen
	buffer_load_dwordx4 v[42:45], v93, s[24:27], s60 offen
	;; [unrolled: 1-line block ×4, first 2 shown]
	v_mov_b32_e32 v145, v95
	v_mov_b32_e32 v144, v96
.LBB134_12:                             ;   in Loop: Header=BB134_6 Depth=1
	ds_read_b64 v[66:67], v113 offset:57344
	ds_read2_b64 v[50:53], v121 offset1:16
	ds_read_b64 v[68:69], v115 offset:57344
	ds_read_b64 v[70:71], v119 offset:57344
	;; [unrolled: 1-line block ×3, first 2 shown]
	v_add_u32_e32 v74, s57, v134
	s_waitcnt lgkmcnt(3)
	v_mfma_f32_16x16x16_bf16 a[4:7], v[66:67], v[50:51], a[4:7]
	v_mfma_f32_16x16x16_bf16 a[8:11], v[66:67], v[52:53], a[8:11]
	ds_read2_b64 v[50:53], v121 offset0:32 offset1:48
	ds_read2st64_b64 v[54:57], v121 offset0:4 offset1:8
	ds_read2st64_b64 v[58:61], v122 offset0:4 offset1:8
	ds_read2st64_b64 v[62:65], v123 offset0:4 offset1:8
	s_waitcnt lgkmcnt(3)
	v_mfma_f32_16x16x16_bf16 a[12:15], v[66:67], v[50:51], a[12:15]
	v_ashrrev_i32_e32 v50, 31, v74
	v_mfma_f32_16x16x16_bf16 a[0:3], v[66:67], v[52:53], a[0:3]
	v_mul_lo_u32 v52, v50, s14
	v_mul_lo_u32 v53, v74, s15
	v_mad_u64_u32 v[50:51], s[24:25], v74, s14, 0
	v_add3_u32 v51, v51, v53, v52
	v_add_u32_e32 v52, 1, v74
	v_ashrrev_i32_e32 v53, 31, v52
	s_waitcnt lgkmcnt(2)
	v_mfma_f32_16x16x16_bf16 a[4:7], v[68:69], v[54:55], a[4:7]
	v_mul_lo_u32 v54, v53, s14
	v_mul_lo_u32 v55, v52, s15
	v_mad_u64_u32 v[52:53], s[24:25], v52, s14, 0
	v_add3_u32 v53, v53, v55, v54
	v_add_u32_e32 v54, 2, v74
	v_ashrrev_i32_e32 v55, 31, v54
	s_waitcnt lgkmcnt(1)
	v_mfma_f32_16x16x16_bf16 a[8:11], v[68:69], v[58:59], a[8:11]
	v_mul_lo_u32 v58, v55, s14
	v_mul_lo_u32 v59, v54, s15
	v_mad_u64_u32 v[54:55], s[24:25], v54, s14, 0
	v_add3_u32 v55, v55, v59, v58
	v_add_u32_e32 v58, 3, v74
	v_ashrrev_i32_e32 v59, 31, v58
	v_mul_lo_u32 v66, v59, s14
	v_mul_lo_u32 v67, v58, s15
	v_mad_u64_u32 v[58:59], s[24:25], v58, s14, 0
	s_ashr_i32 s25, s57, 31
	s_add_u32 s24, s55, s57
	s_addc_u32 s25, s53, s25
	v_lshl_add_u64 v[50:51], v[50:51], 2, s[42:43]
	v_add3_u32 v59, v59, v67, v66
	s_lshl_b64 s[24:25], s[24:25], 8
	v_lshl_add_u64 v[52:53], v[52:53], 2, s[42:43]
	v_lshl_add_u64 v[54:55], v[54:55], 2, s[42:43]
	;; [unrolled: 1-line block ×3, first 2 shown]
	global_load_dword v66, v[50:51], off
	global_load_dword v67, v[52:53], off
	;; [unrolled: 1-line block ×4, first 2 shown]
	v_lshl_add_u64 v[50:51], v[80:81], 0, s[24:25]
	v_lshl_add_u64 v[54:55], v[50:51], 0, v[78:79]
	global_load_ushort v76, v[54:55], off offset:256
	global_load_ushort v147, v[54:55], off
	ds_read2st64_b64 v[50:53], v124 offset0:4 offset1:8
	global_load_ushort v148, v[54:55], off offset:768
	global_load_ushort v149, v[54:55], off offset:512
	s_waitcnt lgkmcnt(1)
	v_mfma_f32_16x16x16_bf16 a[12:15], v[68:69], v[62:63], a[12:15]
	s_and_b64 vcc, exec, s[0:1]
	s_waitcnt vmcnt(3)
	v_lshlrev_b32_e32 v63, 16, v76
	s_waitcnt lgkmcnt(0)
	v_mfma_f32_16x16x16_bf16 a[0:3], v[68:69], v[50:51], a[0:3]
	global_load_ushort v68, v[54:55], off offset:288
	global_load_ushort v69, v[54:55], off offset:32
	global_load_ushort v150, v[54:55], off offset:800
	global_load_ushort v151, v[54:55], off offset:544
	global_load_ushort v152, v[54:55], off offset:320
	global_load_ushort v153, v[54:55], off offset:64
	global_load_ushort v154, v[54:55], off offset:832
	global_load_ushort v155, v[54:55], off offset:576
	v_mfma_f32_16x16x16_bf16 a[4:7], v[70:71], v[56:57], a[4:7]
	ds_read_b64 v[50:51], v121 offset:6144
	s_waitcnt vmcnt(10)
	v_lshlrev_b32_e32 v62, 16, v147
	v_mov_b32_e32 v147, 0
	v_mfma_f32_16x16x16_bf16 a[8:11], v[70:71], v[60:61], a[8:11]
	v_mfma_f32_16x16x16_bf16 a[12:15], v[70:71], v[64:65], a[12:15]
	;; [unrolled: 1-line block ×3, first 2 shown]
	global_load_ushort v70, v[54:55], off offset:352
	global_load_ushort v71, v[54:55], off offset:96
	ds_read_b64 v[52:53], v122 offset:6144
	ds_read_b64 v[56:57], v123 offset:6144
	ds_read_b64 v[58:59], v124 offset:6144
	global_load_ushort v156, v[54:55], off offset:864
	global_load_ushort v157, v[54:55], off offset:608
	s_load_dword s24, s[44:45], 0x0
	s_waitcnt lgkmcnt(0)
	v_mfma_f32_16x16x16_bf16 a[4:7], v[72:73], v[50:51], a[4:7]
	v_sub_f32_e32 v60, s24, v74
	v_mfma_f32_16x16x16_bf16 a[0:3], v[72:73], v[58:59], a[0:3]
	v_sub_f32_e32 v58, s24, v66
	v_sub_f32_e32 v59, s24, v67
	;; [unrolled: 1-line block ×3, first 2 shown]
	v_mfma_f32_16x16x16_bf16 a[8:11], v[72:73], v[52:53], a[8:11]
	v_exp_f32_e32 v58, v58
	v_exp_f32_e32 v59, v59
	v_exp_f32_e32 v60, v60
	v_exp_f32_e32 v61, v61
	v_accvgpr_read_b32 v65, a5
	v_accvgpr_read_b32 v64, a4
	;; [unrolled: 1-line block ×4, first 2 shown]
	v_pk_add_f32 v[62:63], v[62:63], v[64:65] neg_lo:[0,1] neg_hi:[0,1]
	s_waitcnt vmcnt(13)
	v_lshlrev_b32_e32 v65, 16, v148
	s_waitcnt vmcnt(12)
	v_lshlrev_b32_e32 v64, 16, v149
	v_pk_add_f32 v[50:51], v[64:65], v[50:51] neg_lo:[0,1] neg_hi:[0,1]
	v_pk_mul_f32 v[62:63], v[58:59], v[62:63]
	v_pk_mul_f32 v[50:51], v[60:61], v[50:51]
	v_accvgpr_read_b32 v65, a9
	v_perm_b32 v51, v51, v50, s3
	v_perm_b32 v50, v63, v62, s3
	v_accvgpr_read_b32 v64, a8
	v_accvgpr_read_b32 v53, a11
	v_mfma_f32_16x16x16_bf16 a[12:15], v[72:73], v[56:57], a[12:15]
	v_accvgpr_read_b32 v52, a10
	v_accvgpr_read_b32 v57, a3
	;; [unrolled: 1-line block ×3, first 2 shown]
	s_waitcnt vmcnt(11)
	v_lshlrev_b32_e32 v63, 16, v68
	s_waitcnt vmcnt(10)
	v_lshlrev_b32_e32 v62, 16, v69
	v_pk_add_f32 v[62:63], v[62:63], v[64:65] neg_lo:[0,1] neg_hi:[0,1]
	s_waitcnt vmcnt(9)
	v_lshlrev_b32_e32 v65, 16, v150
	s_waitcnt vmcnt(8)
	v_lshlrev_b32_e32 v64, 16, v151
	v_pk_add_f32 v[52:53], v[64:65], v[52:53] neg_lo:[0,1] neg_hi:[0,1]
	v_pk_mul_f32 v[62:63], v[58:59], v[62:63]
	v_pk_mul_f32 v[52:53], v[60:61], v[52:53]
	v_accvgpr_read_b32 v55, a15
	v_perm_b32 v53, v53, v52, s3
	v_perm_b32 v52, v63, v62, s3
	ds_write2_b64 v98, v[50:51], v[52:53] offset1:16
	v_accvgpr_read_b32 v53, a13
	s_waitcnt vmcnt(7)
	v_lshlrev_b32_e32 v51, 16, v152
	s_waitcnt vmcnt(6)
	v_lshlrev_b32_e32 v50, 16, v153
	v_accvgpr_read_b32 v52, a12
	v_accvgpr_read_b32 v54, a14
	v_pk_add_f32 v[50:51], v[50:51], v[52:53] neg_lo:[0,1] neg_hi:[0,1]
	s_waitcnt vmcnt(5)
	v_lshlrev_b32_e32 v53, 16, v154
	s_waitcnt vmcnt(4)
	v_lshlrev_b32_e32 v52, 16, v155
	v_pk_add_f32 v[52:53], v[52:53], v[54:55] neg_lo:[0,1] neg_hi:[0,1]
	v_pk_mul_f32 v[50:51], v[58:59], v[50:51]
	v_pk_mul_f32 v[52:53], v[60:61], v[52:53]
	v_accvgpr_read_b32 v55, a1
	v_perm_b32 v53, v53, v52, s3
	v_perm_b32 v52, v51, v50, s3
	s_waitcnt vmcnt(3)
	v_lshlrev_b32_e32 v51, 16, v70
	s_waitcnt vmcnt(2)
	v_lshlrev_b32_e32 v50, 16, v71
	v_accvgpr_read_b32 v54, a0
	v_pk_add_f32 v[50:51], v[50:51], v[54:55] neg_lo:[0,1] neg_hi:[0,1]
	s_waitcnt vmcnt(1)
	v_lshlrev_b32_e32 v55, 16, v156
	s_waitcnt vmcnt(0)
	v_lshlrev_b32_e32 v54, 16, v157
	v_pk_add_f32 v[54:55], v[54:55], v[56:57] neg_lo:[0,1] neg_hi:[0,1]
	v_pk_mul_f32 v[50:51], v[58:59], v[50:51]
	v_pk_mul_f32 v[54:55], v[60:61], v[54:55]
	v_mov_b32_e32 v56, 0
	v_perm_b32 v55, v55, v54, s3
	v_perm_b32 v54, v51, v50, s3
	ds_write2_b64 v98, v[52:53], v[54:55] offset0:32 offset1:48
	v_mov_b32_e32 v50, 0
	v_mov_b32_e32 v51, 0
	;; [unrolled: 1-line block ×15, first 2 shown]
	s_cbranch_vccnz .LBB134_14
; %bb.13:                               ;   in Loop: Header=BB134_6 Depth=1
	s_and_b32 s29, s29, 0xffff
	s_mov_b32 s31, s27
	buffer_load_dwordx4 v[62:65], v131, s[28:31], 0 offen
	buffer_load_dwordx4 v[54:57], v131, s[28:31], s60 offen
	;; [unrolled: 1-line block ×4, first 2 shown]
	v_mov_b32_e32 v146, v92
	v_mov_b32_e32 v147, v91
.LBB134_14:                             ;   in Loop: Header=BB134_6 Depth=1
	s_waitcnt lgkmcnt(0)
	s_barrier
	ds_read_b64 v[74:75], v136
	ds_read2_b64 v[66:69], v127 offset1:16
	ds_read_b64 v[164:165], v137
	ds_read_b64 v[166:167], v138
	;; [unrolled: 1-line block ×3, first 2 shown]
	ds_read2_b64 v[70:73], v127 offset0:32 offset1:48
	ds_read2st64_b64 v[148:151], v127 offset0:4 offset1:8
	ds_read2st64_b64 v[152:155], v128 offset0:4 offset1:8
	;; [unrolled: 1-line block ×4, first 2 shown]
	s_waitcnt lgkmcnt(8)
	v_mfma_f32_16x16x16_bf16 a[0:3], v[74:75], v[66:67], 0
	s_add_i32 s25, s52, s64
	s_mul_hi_i32 s29, s25, s33
	s_mul_i32 s25, s25, s33
	v_mfma_f32_16x16x16_bf16 a[4:7], v[74:75], v[68:69], 0
	s_add_u32 s28, s25, s47
	s_addc_u32 s29, s29, s58
	s_lshl_b64 s[28:29], s[28:29], 15
	s_waitcnt lgkmcnt(4)
	v_mfma_f32_16x16x16_bf16 a[8:11], v[74:75], v[70:71], 0
	s_mul_i32 s31, s66, s33
	s_mul_hi_i32 s25, s66, s33
	s_add_u32 s44, s31, s47
	v_mfma_f32_16x16x16_bf16 a[12:15], v[74:75], v[72:73], 0
	ds_read_b64 v[74:75], v127 offset:6144
	ds_read_b64 v[176:177], v128 offset:6144
	;; [unrolled: 1-line block ×4, first 2 shown]
	s_addc_u32 s45, s25, s58
	s_waitcnt lgkmcnt(7)
	v_mfma_f32_16x16x16_bf16 a[0:3], v[164:165], v[148:149], a[0:3]
	s_lshl_b64 s[44:45], s[44:45], 9
	s_add_u32 s44, s36, s44
	s_addc_u32 s45, s37, s45
	s_waitcnt lgkmcnt(6)
	v_mfma_f32_16x16x16_bf16 a[4:7], v[164:165], v[152:153], a[4:7]
	v_lshl_add_u64 v[186:187], v[82:83], 0, s[28:29]
	s_waitcnt lgkmcnt(5)
	v_mfma_f32_16x16x16_bf16 a[8:11], v[164:165], v[156:157], a[8:11]
	s_waitcnt lgkmcnt(4)
	v_mfma_f32_16x16x16_bf16 a[12:15], v[164:165], v[160:161], a[12:15]
	ds_read_b64 v[164:165], v141
	ds_read_b64 v[174:175], v142
	;; [unrolled: 1-line block ×3, first 2 shown]
	s_waitcnt lgkmcnt(2)
	v_mfma_f32_16x16x16_bf16 a[16:19], v[164:165], v[66:67], 0
	v_mfma_f32_16x16x16_bf16 a[20:23], v[164:165], v[68:69], 0
	global_load_dwordx4 v[66:69], v140, s[44:45]
	v_mfma_f32_16x16x16_bf16 a[24:27], v[164:165], v[70:71], 0
	v_mfma_f32_16x16x16_bf16 a[28:31], v[164:165], v[72:73], 0
	global_load_dwordx4 v[70:73], v135, s[44:45]
	v_mfma_f32_16x16x16_bf16 a[0:3], v[166:167], v[150:151], a[0:3]
	v_mfma_f32_16x16x16_bf16 a[4:7], v[166:167], v[154:155], a[4:7]
	;; [unrolled: 1-line block ×8, first 2 shown]
	ds_read2st64_b64 v[164:167], v125 offset1:8
	ds_read2st64_b64 v[168:171], v126 offset1:8
	ds_read_b64 v[184:185], v133 offset:40960
	s_waitcnt lgkmcnt(2)
	v_mov_b32_e32 v172, v164
	v_mfma_f32_16x16x16_bf16 a[16:19], v[174:175], v[148:149], a[16:19]
	v_mov_b32_e32 v173, v165
	v_mfma_f32_16x16x16_bf16 a[20:23], v[174:175], v[152:153], a[20:23]
	v_mfma_f32_16x16x16_bf16 a[24:27], v[174:175], v[156:157], a[24:27]
	;; [unrolled: 1-line block ×3, first 2 shown]
	v_add_co_u32_e32 v160, vcc, s21, v186
	s_waitcnt lgkmcnt(1)
	v_mov_b32_e32 v174, v168
	s_waitcnt lgkmcnt(0)
	v_mfma_f32_16x16x16_bf16 a[16:19], v[184:185], v[150:151], a[16:19]
	ds_read2st64_b64 v[148:151], v125 offset0:16 offset1:24
	v_addc_co_u32_e32 v161, vcc, 0, v187, vcc
	v_mfma_f32_16x16x16_bf16 a[32:35], v[184:185], v[154:155], a[20:23]
	ds_read2st64_b64 v[152:155], v126 offset0:16 offset1:24
	v_mov_b32_e32 v175, v169
	v_mov_b32_e32 v168, v166
	v_mfma_f32_16x16x16_bf16 a[24:27], v[184:185], v[158:159], a[24:27]
	v_mov_b32_e32 v169, v167
	s_waitcnt lgkmcnt(0)
	v_mov_b32_e32 v158, v152
	v_mov_b32_e32 v159, v153
	v_mfma_f32_16x16x16_bf16 a[36:39], v[184:185], v[162:163], a[28:31]
	v_mov_b32_e32 v152, v150
	v_mov_b32_e32 v153, v151
	v_mov_b32_e32 v156, v148
	v_mfma_f32_16x16x16_bf16 a[20:23], v[182:183], v[74:75], a[16:19]
	v_add_co_u32_e32 v74, vcc, s63, v186
	v_mov_b32_e32 v157, v149
	v_mfma_f32_16x16x16_bf16 a[28:31], v[182:183], v[176:177], a[32:35]
	v_addc_co_u32_e32 v75, vcc, 0, v187, vcc
	global_store_dwordx4 v[74:75], v[152:155], off
	v_mfma_f32_16x16x16_bf16 a[16:19], v[182:183], v[178:179], a[24:27]
	s_waitcnt vmcnt(2)
	v_mov_b32_e32 v76, v69
	v_mov_b32_e32 v75, v68
	;; [unrolled: 1-line block ×3, first 2 shown]
	v_mfma_f32_16x16x16_bf16 a[24:27], v[182:183], v[180:181], a[36:39]
	s_and_b64 vcc, exec, s[0:1]
	global_store_dwordx4 v[186:187], v[172:175], off
	global_store_dwordx4 v[160:161], v[168:171], off offset:-4096
	global_store_dwordx4 v[160:161], v[156:159], off
	s_cbranch_vccnz .LBB134_16
; %bb.15:                               ;   in Loop: Header=BB134_6 Depth=1
	v_lshrrev_b32_e32 v67, 3, v146
	v_and_b32_e32 v67, 6, v67
	v_xor_b32_e32 v68, v67, v147
	v_lshlrev_b32_e32 v68, 2, v68
	v_and_b32_e32 v69, 8, v146
	v_xor_b32_e32 v146, 0x440, v68
	v_cmp_eq_u32_e32 vcc, 0, v69
	v_perm_b32 v69, v54, v50, s61
	s_nop 0
	v_cndmask_b32_e32 v68, v146, v68, vcc
	v_lshl_or_b32 v67, v67, 10, v68
	v_perm_b32 v68, v62, v58, s61
	s_barrier
	ds_write2st64_b32 v67, v68, v69 offset0:128 offset1:160
	v_xor_b32_e32 v68, 8, v67
	v_perm_b32 v58, v62, v58, s62
	v_perm_b32 v50, v54, v50, s62
	v_add_u32_e32 v54, 0x80, v68
	ds_write2st64_b32 v54, v58, v50 offset0:128 offset1:160
	v_xor_b32_e32 v50, 16, v67
	v_perm_b32 v54, v63, v59, s61
	v_perm_b32 v58, v55, v51, s61
	ds_write2st64_b32 v50, v54, v58 offset0:129 offset1:161
	v_xor_b32_e32 v50, 24, v67
	v_perm_b32 v54, v63, v59, s62
	v_perm_b32 v51, v55, v51, s62
	v_add_u32_e32 v50, 0x80, v50
	ds_write2st64_b32 v50, v54, v51 offset0:129 offset1:161
	v_xor_b32_e32 v50, 32, v67
	v_perm_b32 v51, v64, v60, s61
	v_perm_b32 v54, v56, v52, s61
	;; [unrolled: 9-line block ×3, first 2 shown]
	ds_write2st64_b32 v50, v51, v52 offset0:131 offset1:163
	v_xor_b32_e32 v50, 56, v67
	v_perm_b32 v51, v65, v61, s62
	v_perm_b32 v52, v57, v53, s62
	v_add_u32_e32 v50, 0x80, v50
	ds_write2st64_b32 v50, v51, v52 offset0:131 offset1:163
	ds_write_b64 v145, v[46:47] offset:49152
	v_xor_b32_e32 v46, 8, v145
	ds_write_b64 v46, v[48:49] offset:49152
	ds_write_b64 v145, v[42:43] offset:57344
	;; [unrolled: 1-line block ×4, first 2 shown]
	v_xor_b32_e32 v38, 8, v144
	ds_write_b64 v38, v[40:41] offset:49152
	ds_write_b64 v144, v[34:35] offset:57344
	;; [unrolled: 1-line block ×3, first 2 shown]
.LBB134_16:                             ;   in Loop: Header=BB134_6 Depth=1
	v_exp_f32_e32 v68, s24
	s_waitcnt vmcnt(4)
	v_exp_f32_e32 v70, v70
	v_exp_f32_e32 v71, v71
	;; [unrolled: 1-line block ×4, first 2 shown]
	v_accvgpr_read_b32 v37, a3
	v_accvgpr_read_b32 v36, a2
	;; [unrolled: 1-line block ×4, first 2 shown]
	v_pk_mul_f32 v[70:71], v[68:69], v[70:71] op_sel_hi:[0,1]
	v_pk_mul_f32 v[72:73], v[68:69], v[72:73] op_sel_hi:[0,1]
	v_pk_fma_f32 v[30:31], v[30:31], v[70:71], v[34:35]
	v_pk_fma_f32 v[32:33], v[32:33], v[72:73], v[36:37]
	v_exp_f32_e32 v34, v66
	v_exp_f32_e32 v35, v74
	v_exp_f32_e32 v36, v75
	v_exp_f32_e32 v37, v76
	v_accvgpr_read_b32 v41, a7
	v_accvgpr_read_b32 v45, a11
	;; [unrolled: 1-line block ×28, first 2 shown]
	v_pk_mul_f32 v[34:35], v[68:69], v[34:35] op_sel_hi:[0,1]
	v_pk_mul_f32 v[36:37], v[68:69], v[36:37] op_sel_hi:[0,1]
	s_add_i32 s57, s57, 64
	v_pk_fma_f32 v[22:23], v[70:71], v[22:23], v[38:39]
	v_pk_fma_f32 v[24:25], v[72:73], v[24:25], v[40:41]
	;; [unrolled: 1-line block ×13, first 2 shown]
	s_cmp_eq_u32 s51, s65
	v_pk_fma_f32 v[8:9], v[36:37], v[8:9], v[64:65]
	s_cbranch_scc1 .LBB134_18
; %bb.17:                               ;   in Loop: Header=BB134_6 Depth=1
	s_mov_b32 s64, s65
	s_branch .LBB134_6
.LBB134_18:
	s_lshl_b32 s3, s51, 6
	s_sub_i32 s56, s56, s3
	s_cmp_gt_i32 s56, 0
	v_or_b32_e32 v50, s2, v87
	s_cbranch_scc1 .LBB134_20
; %bb.19:
	s_ashr_i32 s29, s47, 31
	v_or_b32_e32 v34, s2, v87
	s_cbranch_execz .LBB134_21
	s_branch .LBB134_101
.LBB134_20:
                                        ; implicit-def: $vgpr34
                                        ; implicit-def: $sgpr28_sgpr29
.LBB134_21:
	s_add_i32 s28, s3, s38
	s_ashr_i32 s3, s28, 31
	s_cmpk_lg_i32 s19, 0x80
	s_cselect_b64 s[42:43], -1, 0
	s_and_b64 vcc, exec, s[42:43]
	s_cbranch_vccz .LBB134_23
; %bb.22:
	s_mul_hi_i32 s0, s28, s18
	s_mul_i32 s1, s28, s18
	s_ashr_i32 s18, s54, 31
	s_add_u32 s44, s1, s54
	s_addc_u32 s45, s0, s18
	s_cbranch_execz .LBB134_24
	s_branch .LBB134_25
.LBB134_23:
                                        ; implicit-def: $sgpr44_sgpr45
.LBB134_24:
	s_mul_i32 s1, s54, s16
	s_mul_hi_i32 s0, s54, s16
	s_add_u32 s44, s1, s28
	s_addc_u32 s45, s0, s3
.LBB134_25:
	s_add_i32 s16, s51, s52
	s_ashr_i32 s29, s47, 31
	s_add_u32 s0, s55, s28
	v_lshlrev_b32_e32 v38, 6, v1
	v_lshlrev_b32_e32 v58, 2, v87
	s_addc_u32 s1, s53, s3
	s_mov_b32 s3, 0x7060302
	v_or_b32_e32 v41, v38, v58
	v_xor_b32_e32 v39, v1, v58
	v_perm_b32 v35, v33, v32, s3
	v_perm_b32 v34, v31, v30, s3
	;; [unrolled: 1-line block ×4, first 2 shown]
	v_lshlrev_b32_e32 v41, 1, v41
	v_xor_b32_e32 v40, v90, v58
	ds_write2st64_b64 v41, v[34:35], v[36:37] offset0:32 offset1:48
	v_lshlrev_b32_e32 v39, 1, v39
	v_lshlrev_b32_e32 v41, 8, v87
	v_or_b32_e32 v42, v39, v41
	v_lshlrev_b32_e32 v40, 1, v40
	ds_write_b64 v42, v[34:35]
	v_or_b32_e32 v34, v40, v41
	v_or_b32_e32 v41, 16, v87
	v_lshlrev_b32_e32 v57, 2, v41
	v_or_b32_e32 v42, v38, v57
	ds_write_b64 v34, v[36:37]
	v_perm_b32 v35, v25, v24, s3
	v_perm_b32 v34, v23, v22, s3
	v_perm_b32 v37, v21, v20, s3
	v_perm_b32 v36, v19, v18, s3
	v_lshlrev_b32_e32 v42, 1, v42
	v_lshlrev_b32_e32 v41, 8, v41
	ds_write2st64_b64 v42, v[34:35], v[36:37] offset0:32 offset1:48
	v_or_b32_e32 v42, v39, v41
	ds_write_b64 v42, v[34:35]
	v_or_b32_e32 v34, v40, v41
	v_or_b32_e32 v41, 32, v87
	v_lshlrev_b32_e32 v56, 2, v41
	v_or_b32_e32 v42, v38, v56
	ds_write_b64 v34, v[36:37]
	v_perm_b32 v35, v17, v16, s3
	v_perm_b32 v34, v15, v14, s3
	;; [unrolled: 1-line block ×4, first 2 shown]
	v_lshlrev_b32_e32 v42, 1, v42
	v_lshlrev_b32_e32 v41, 8, v41
	s_lshl_b64 s[30:31], s[0:1], 8
	ds_write2st64_b64 v42, v[34:35], v[36:37] offset0:32 offset1:48
	v_or_b32_e32 v42, v39, v41
	s_add_u32 s0, s6, s30
	ds_write_b64 v42, v[34:35]
	v_or_b32_e32 v34, v40, v41
	s_addc_u32 s1, s7, s31
	ds_write_b64 v34, v[36:37]
	v_perm_b32 v35, v5, v4, s3
	v_perm_b32 v34, v3, v2, s3
	;; [unrolled: 1-line block ×4, first 2 shown]
	v_or_b32_e32 v41, 48, v87
	s_mul_hi_i32 s3, s16, s17
	s_mul_i32 s16, s16, s17
	v_lshlrev_b32_e32 v53, 2, v41
	s_add_u32 s6, s16, s47
	v_or_b32_e32 v38, v38, v53
	s_addc_u32 s7, s3, s29
	v_lshlrev_b32_e32 v38, 1, v38
	s_ashr_i32 s3, s2, 31
	s_lshl_b64 s[6:7], s[6:7], 15
	ds_write2st64_b64 v38, v[34:35], v[36:37] offset0:32 offset1:48
	v_lshlrev_b32_e32 v38, 8, v41
	s_add_u32 s6, s40, s6
	v_or_b32_e32 v39, v39, v38
	s_addc_u32 s7, s41, s7
	s_lshl_b64 s[2:3], s[2:3], 8
	ds_write_b64 v39, v[34:35]
	v_or_b32_e32 v34, v40, v38
	s_add_u32 s2, s6, s2
	v_lshlrev_b32_e32 v35, 1, v87
	ds_write_b64 v34, v[36:37]
	v_lshrrev_b32_e32 v34, 4, v0
	s_addc_u32 s3, s7, s3
	v_or_b32_e32 v36, 1, v35
	v_lshlrev_b32_e32 v42, 4, v87
	v_mov_b32_e32 v43, 0
	v_xor_b32_e32 v35, v34, v35
	v_xor_b32_e32 v38, v36, v34
	v_lshl_add_u64 v[44:45], s[2:3], 0, v[42:43]
	v_lshlrev_b32_e32 v42, 8, v34
	v_lshl_or_b32 v48, v35, 3, v42
	v_lshl_or_b32 v49, v38, 3, v42
	s_waitcnt lgkmcnt(0)
	s_barrier
	ds_read2st64_b64 v[34:37], v48 offset1:8
	ds_read2st64_b64 v[38:41], v49 offset1:8
	v_lshl_add_u64 v[46:47], v[44:45], 0, v[42:43]
	s_movk_i32 s2, 0x2000
	s_cmp_lg_u32 s56, 64
	s_waitcnt lgkmcnt(1)
	v_mov_b32_e32 v42, v34
	v_mov_b32_e32 v43, v35
	s_waitcnt lgkmcnt(0)
	v_mov_b32_e32 v44, v38
	v_mov_b32_e32 v45, v39
	global_store_dwordx4 v[46:47], v[42:45], off
	v_mov_b32_e32 v38, v36
	v_mov_b32_e32 v39, v37
	ds_read2st64_b64 v[34:37], v48 offset0:16 offset1:24
	ds_read2st64_b64 v[42:45], v49 offset0:16 offset1:24
	v_add_co_u32_e32 v48, vcc, s2, v46
	s_cselect_b64 s[6:7], -1, 0
	s_nop 0
	v_addc_co_u32_e32 v49, vcc, 0, v47, vcc
	global_store_dwordx4 v[48:49], v[38:41], off offset:-4096
	v_lshl_or_b32 v51, v77, 3, v89
	s_mov_b32 s24, 0
	s_waitcnt lgkmcnt(1)
	v_mov_b32_e32 v38, v34
	v_add_co_u32_e32 v34, vcc, 0x3000, v46
	v_mov_b32_e32 v39, v35
	s_nop 0
	v_addc_co_u32_e32 v35, vcc, 0, v47, vcc
	s_waitcnt lgkmcnt(0)
	v_mov_b32_e32 v40, v42
	v_mov_b32_e32 v41, v43
	;; [unrolled: 1-line block ×4, first 2 shown]
	v_or_b32_e32 v54, 32, v51
	v_and_b32_e32 v52, 56, v88
	s_and_b64 vcc, exec, s[6:7]
	global_store_dwordx4 v[48:49], v[38:41], off
	global_store_dwordx4 v[34:35], v[42:45], off
	s_cbranch_vccz .LBB134_31
; %bb.26:
	s_mov_b32 s26, s24
	s_mov_b32 s27, s24
	;; [unrolled: 1-line block ×3, first 2 shown]
	v_mov_b64_e32 v[40:41], s[26:27]
	v_mov_b64_e32 v[38:39], s[24:25]
	;; [unrolled: 1-line block ×3, first 2 shown]
	v_cmp_gt_i32_e32 vcc, s56, v51
	v_mov_b64_e32 v[36:37], v[40:41]
	s_and_saveexec_b64 s[2:3], vcc
	s_cbranch_execz .LBB134_28
; %bb.27:
	v_lshlrev_b32_e32 v34, 8, v51
	v_mov_b32_e32 v35, 0
	v_lshl_add_u64 v[36:37], s[0:1], 0, v[34:35]
	v_lshlrev_b32_e32 v34, 1, v52
	v_lshl_add_u64 v[42:43], v[36:37], 0, v[34:35]
	global_load_dwordx4 v[38:41], v[42:43], off
	global_load_dwordx4 v[34:37], v[42:43], off offset:128
.LBB134_28:
	s_or_b64 exec, exec, s[2:3]
	s_mov_b32 s26, s24
	s_mov_b32 s27, s24
	;; [unrolled: 1-line block ×3, first 2 shown]
	v_mov_b64_e32 v[48:49], s[26:27]
	v_mov_b64_e32 v[46:47], s[24:25]
	v_mov_b64_e32 v[42:43], v[46:47]
	v_cmp_gt_i32_e32 vcc, s56, v54
	v_lshlrev_b32_e32 v55, 7, v54
	v_mov_b64_e32 v[44:45], v[48:49]
	s_and_saveexec_b64 s[2:3], vcc
	s_cbranch_execz .LBB134_30
; %bb.29:
	v_lshlrev_b32_e32 v42, 1, v55
	v_mov_b32_e32 v43, 0
	v_lshl_add_u64 v[44:45], s[0:1], 0, v[42:43]
	v_lshlrev_b32_e32 v42, 1, v52
	v_lshl_add_u64 v[60:61], v[44:45], 0, v[42:43]
	global_load_dwordx4 v[46:49], v[60:61], off
	global_load_dwordx4 v[42:45], v[60:61], off offset:128
.LBB134_30:
	s_or_b64 exec, exec, s[2:3]
	v_lshrrev_b32_e32 v59, 3, v52
	v_lshlrev_b32_e32 v60, 3, v51
	v_or_b32_e32 v59, v60, v59
	v_lshlrev_b32_e32 v59, 4, v59
	v_and_b32_e32 v60, 0x78, v60
	v_xor_b32_e32 v59, v59, v60
	s_branch .LBB134_33
.LBB134_31:
                                        ; implicit-def: $vgpr59
                                        ; implicit-def: $vgpr55
                                        ; implicit-def: $vgpr38_vgpr39_vgpr40_vgpr41
                                        ; implicit-def: $vgpr34_vgpr35_vgpr36_vgpr37
                                        ; implicit-def: $vgpr46_vgpr47_vgpr48_vgpr49
                                        ; implicit-def: $vgpr42_vgpr43_vgpr44_vgpr45
	s_cbranch_execz .LBB134_33
; %bb.32:
	s_waitcnt vmcnt(0)
	v_lshlrev_b32_e32 v34, 1, v52
	v_lshl_or_b32 v55, v51, 8, v34
	s_and_b32 s1, s1, 0xffff
	s_mov_b32 s3, 0x20000
	s_movk_i32 s2, 0x4000
	v_lshl_or_b32 v59, v54, 8, v34
	s_movk_i32 s16, 0x80
	buffer_load_dwordx4 v[38:41], v55, s[0:3], 0 offen
	buffer_load_dwordx4 v[34:37], v55, s[0:3], s16 offen
	;; [unrolled: 1-line block ×4, first 2 shown]
	v_lshrrev_b32_e32 v55, 3, v52
	v_lshlrev_b32_e32 v59, 3, v51
	v_or_b32_e32 v55, v59, v55
	v_lshlrev_b32_e32 v55, 4, v55
	v_and_b32_e32 v59, 0x78, v59
	v_xor_b32_e32 v59, v55, v59
	v_lshlrev_b32_e32 v55, 7, v54
.LBB134_33:
	s_movk_i32 s0, 0x1000
	v_and_or_b32 v54, v55, s0, v59
	s_waitcnt vmcnt(1)
	ds_write_b64 v59, v[38:39] offset:49152
	v_xor_b32_e32 v38, 8, v59
	ds_write_b64 v38, v[40:41] offset:49152
	s_waitcnt vmcnt(0)
	ds_write_b64 v59, v[34:35] offset:57344
	ds_write_b64 v38, v[36:37] offset:57344
	;; [unrolled: 1-line block ×3, first 2 shown]
	v_xor_b32_e32 v34, 8, v54
	ds_write_b64 v34, v[48:49] offset:49152
	ds_write_b64 v54, v[42:43] offset:57344
	;; [unrolled: 1-line block ×3, first 2 shown]
	v_or_b32_e32 v34, v84, v87
	v_lshlrev_b32_e32 v34, 3, v34
	v_lshrrev_b32_e32 v35, 5, v85
	s_movk_i32 s0, 0xf8
	v_and_or_b32 v35, v34, s0, v35
	v_lshlrev_b32_e32 v39, 4, v35
	v_lshlrev_b32_e32 v59, 11, v77
	v_and_b32_e32 v40, 0x78, v34
	v_or_b32_e32 v42, 32, v39
	v_and_b32_e32 v38, 0x1000, v59
	v_lshrrev_b32_e32 v35, 1, v85
	v_xor_b32_e32 v42, v42, v40
	v_xor_b32_e32 v34, v39, v40
	v_and_b32_e32 v41, 8, v35
	v_or_b32_e32 v42, v42, v38
	v_or_b32_e32 v34, v34, v38
	v_xor_b32_e32 v65, v42, v41
	v_or_b32_e32 v42, 64, v39
	v_xor_b32_e32 v64, v34, v41
	v_xor_b32_e32 v42, v42, v40
	s_waitcnt lgkmcnt(0)
	s_barrier
	v_or_b32_e32 v45, v42, v38
	ds_read_b64 v[42:43], v64 offset:49152
	v_lshl_or_b32 v46, v86, 8, v58
	v_lshlrev_b32_e32 v60, 1, v46
	v_add_u32_e32 v44, 0x4000, v60
	ds_read2_b64 v[34:37], v44 offset1:16
	v_or_b32_e32 v39, 0x60, v39
	v_xor_b32_e32 v39, v39, v40
	v_or_b32_e32 v38, v39, v38
	v_xor_b32_e32 v66, v45, v41
	v_xor_b32_e32 v67, v38, v41
	ds_read_b64 v[54:55], v65 offset:49152
	ds_read_b64 v[68:69], v66 offset:49152
	;; [unrolled: 1-line block ×3, first 2 shown]
	s_waitcnt lgkmcnt(3)
	v_mfma_f32_16x16x16_bf16 a[0:3], v[42:43], v[34:35], 0
	ds_read2_b64 v[38:41], v44 offset0:32 offset1:48
	s_lshl_b64 s[0:1], s[44:45], 8
	s_add_u32 s4, s4, s0
	v_mfma_f32_16x16x16_bf16 a[4:7], v[42:43], v[36:37], 0
	ds_read2st64_b64 v[34:37], v60 offset0:36 offset1:40
	s_addc_u32 s5, s5, s1
	s_add_i32 s18, s39, -1
	s_waitcnt lgkmcnt(1)
	v_mfma_f32_16x16x16_bf16 a[8:11], v[42:43], v[38:39], 0
	v_or_b32_e32 v38, 64, v46
	v_lshlrev_b32_e32 v61, 1, v38
	s_add_i32 s0, s49, s48
	s_waitcnt lgkmcnt(0)
	v_mfma_f32_16x16x16_bf16 a[0:3], v[54:55], v[34:35], a[0:3]
	v_or_b32_e32 v34, 0x80, v46
	v_lshlrev_b32_e32 v62, 1, v34
	v_or_b32_e32 v34, 0xc0, v46
	v_mfma_f32_16x16x16_bf16 a[12:15], v[42:43], v[40:41], 0
	ds_read2st64_b64 v[38:41], v61 offset0:36 offset1:40
	v_lshlrev_b32_e32 v63, 1, v34
	ds_read2st64_b64 v[42:45], v62 offset0:36 offset1:40
	ds_read2st64_b64 v[46:49], v63 offset0:36 offset1:40
	s_add_i32 s21, s0, s50
	s_mul_i32 s0, s47, s23
	s_mul_hi_u32 s1, s47, s22
	s_ashr_i32 s2, s18, 31
	s_mul_i32 s3, s18, s15
	s_mul_hi_u32 s16, s18, s14
	s_waitcnt lgkmcnt(2)
	v_mfma_f32_16x16x16_bf16 a[4:7], v[54:55], v[38:39], a[4:7]
	s_add_i32 s0, s1, s0
	s_mul_i32 s1, s29, s22
	s_add_i32 s3, s16, s3
	s_mul_i32 s2, s2, s14
	s_waitcnt lgkmcnt(1)
	v_mfma_f32_16x16x16_bf16 a[8:11], v[54:55], v[42:43], a[8:11]
	s_add_i32 s1, s0, s1
	s_add_i32 s3, s3, s2
	s_lshl_b64 s[20:21], s[20:21], 2
	s_waitcnt lgkmcnt(0)
	v_mfma_f32_16x16x16_bf16 a[12:15], v[54:55], v[46:47], a[12:15]
	s_mul_i32 s0, s47, s22
	s_add_u32 s10, s10, s20
	s_addc_u32 s11, s11, s21
	s_lshl_b64 s[0:1], s[0:1], 2
	v_mfma_f32_16x16x16_bf16 a[0:3], v[68:69], v[36:37], a[0:3]
	s_mul_i32 s2, s18, s14
	ds_read_b64 v[34:35], v60 offset:22528
	s_add_u32 s10, s10, s0
	v_mfma_f32_16x16x16_bf16 a[4:7], v[68:69], v[40:41], a[4:7]
	ds_read_b64 v[36:37], v61 offset:22528
	ds_read_b64 v[38:39], v62 offset:22528
	;; [unrolled: 1-line block ×3, first 2 shown]
	s_addc_u32 s11, s11, s1
	s_lshl_b64 s[0:1], s[2:3], 2
	v_mfma_f32_16x16x16_bf16 a[8:11], v[68:69], v[44:45], a[8:11]
	s_add_u32 s0, s10, s0
	s_addc_u32 s1, s11, s1
	s_load_dword s16, s[0:1], 0x0
	v_mfma_f32_16x16x16_bf16 a[12:15], v[68:69], v[48:49], a[12:15]
	s_and_b64 vcc, exec, s[42:43]
	s_waitcnt lgkmcnt(0)
	v_mfma_f32_16x16x16_bf16 a[0:3], v[70:71], v[34:35], a[0:3]
	v_mfma_f32_16x16x16_bf16 a[4:7], v[70:71], v[36:37], a[4:7]
	;; [unrolled: 1-line block ×4, first 2 shown]
	s_cbranch_vccz .LBB134_44
; %bb.34:
	v_lshlrev_b32_e32 v54, 1, v51
	s_and_b64 vcc, exec, s[6:7]
	s_cbranch_vccz .LBB134_45
; %bb.35:
	v_cmp_gt_i32_e32 vcc, s56, v54
	v_mov_b32_e32 v38, 0
	v_mov_b32_e32 v34, 0
	;; [unrolled: 1-line block ×5, first 2 shown]
	s_and_saveexec_b64 s[0:1], vcc
	s_cbranch_execz .LBB134_37
; %bb.36:
	v_mad_i64_i32 v[34:35], s[2:3], s19, v54, 0
	v_lshl_add_u64 v[34:35], v[34:35], 1, s[4:5]
	v_lshlrev_b32_e32 v36, 1, v52
	v_mov_b32_e32 v37, 0
	v_lshl_add_u64 v[34:35], v[34:35], 0, v[36:37]
	global_load_dwordx4 v[34:37], v[34:35], off
.LBB134_37:
	s_or_b64 exec, exec, s[0:1]
	v_or_b32_e32 v55, 1, v54
	v_cmp_gt_i32_e64 s[0:1], s56, v55
	v_mov_b32_e32 v39, 0
	v_mov_b32_e32 v40, 0
	;; [unrolled: 1-line block ×3, first 2 shown]
	s_and_saveexec_b64 s[2:3], s[0:1]
	s_cbranch_execz .LBB134_39
; %bb.38:
	v_mad_i64_i32 v[38:39], s[20:21], s19, v55, 0
	v_lshl_add_u64 v[38:39], v[38:39], 1, s[4:5]
	v_lshlrev_b32_e32 v40, 1, v52
	v_mov_b32_e32 v41, 0
	v_lshl_add_u64 v[38:39], v[38:39], 0, v[40:41]
	global_load_dwordx4 v[38:41], v[38:39], off
.LBB134_39:
	s_or_b64 exec, exec, s[2:3]
	v_mov_b32_e32 v49, 0
	v_mov_b32_e32 v42, 0
	;; [unrolled: 1-line block ×5, first 2 shown]
	s_and_saveexec_b64 s[2:3], vcc
	s_cbranch_execz .LBB134_41
; %bb.40:
	v_mad_i64_i32 v[42:43], s[20:21], s19, v54, 0
	v_lshl_add_u64 v[42:43], v[42:43], 1, s[4:5]
	v_lshlrev_b32_e32 v44, 1, v52
	v_mov_b32_e32 v45, 0
	v_lshl_add_u64 v[42:43], v[42:43], 0, v[44:45]
	global_load_dwordx4 v[42:45], v[42:43], off offset:128
.LBB134_41:
	s_or_b64 exec, exec, s[2:3]
	v_mov_b32_e32 v48, 0
	v_mov_b32_e32 v47, 0
	;; [unrolled: 1-line block ×3, first 2 shown]
	s_and_saveexec_b64 s[2:3], s[0:1]
	s_cbranch_execz .LBB134_43
; %bb.42:
	v_mad_i64_i32 v[46:47], s[0:1], s19, v55, 0
	v_lshl_add_u64 v[46:47], v[46:47], 1, s[4:5]
	v_lshlrev_b32_e32 v48, 1, v52
	v_mov_b32_e32 v49, 0
	v_lshl_add_u64 v[46:47], v[46:47], 0, v[48:49]
	global_load_dwordx4 v[46:49], v[46:47], off offset:128
.LBB134_43:
	s_or_b64 exec, exec, s[2:3]
	s_branch .LBB134_47
.LBB134_44:
                                        ; implicit-def: $vgpr37
                                        ; implicit-def: $vgpr41
                                        ; implicit-def: $vgpr45
                                        ; implicit-def: $vgpr49
	v_lshrrev_b32_e32 v68, 2, v85
	s_branch .LBB134_48
.LBB134_45:
                                        ; implicit-def: $vgpr37
                                        ; implicit-def: $vgpr41
                                        ; implicit-def: $vgpr45
                                        ; implicit-def: $vgpr49
	s_cbranch_execz .LBB134_47
; %bb.46:
	s_waitcnt vmcnt(0)
	v_mad_u64_u32 v[34:35], s[0:1], v54, s19, v[52:53]
	v_lshlrev_b32_e32 v54, 1, v34
	s_lshl_b32 s2, s19, 7
	s_and_b32 s1, s5, 0xffff
	s_mov_b32 s3, 0x20000
	s_mov_b32 s0, s4
	v_add_lshl_u32 v55, v34, s19, 1
	s_movk_i32 s19, 0x80
	buffer_load_dwordx4 v[34:37], v54, s[0:3], 0 offen
	buffer_load_dwordx4 v[42:45], v54, s[0:3], s19 offen
	;; [unrolled: 1-line block ×4, first 2 shown]
.LBB134_47:
	v_lshrrev_b32_e32 v68, 2, v85
	s_cbranch_execnz .LBB134_60
.LBB134_48:
	s_and_b64 vcc, exec, s[6:7]
	s_cbranch_vccz .LBB134_58
; %bb.49:
	s_waitcnt vmcnt(0)
	v_lshlrev_b32_e32 v39, 1, v51
	v_cmp_gt_i32_e32 vcc, s56, v39
	v_mov_b32_e32 v38, 0
	v_lshlrev_b32_e32 v46, 9, v51
	v_mov_b32_e32 v34, 0
	v_mov_b32_e32 v35, 0
	;; [unrolled: 1-line block ×4, first 2 shown]
	s_and_saveexec_b64 s[0:1], vcc
	s_cbranch_execz .LBB134_51
; %bb.50:
	v_mov_b32_e32 v47, 0
	v_lshl_add_u64 v[34:35], s[4:5], 0, v[46:47]
	v_lshlrev_b32_e32 v36, 1, v52
	v_mov_b32_e32 v37, v47
	v_lshl_add_u64 v[34:35], v[34:35], 0, v[36:37]
	global_load_dwordx4 v[34:37], v[34:35], off
.LBB134_51:
	s_or_b64 exec, exec, s[0:1]
	v_or_b32_e32 v39, 1, v39
	v_cmp_gt_i32_e64 s[0:1], s56, v39
	v_lshlrev_b32_e32 v54, 8, v39
	v_mov_b32_e32 v39, 0
	v_mov_b32_e32 v40, 0
	;; [unrolled: 1-line block ×3, first 2 shown]
	s_and_saveexec_b64 s[2:3], s[0:1]
	s_cbranch_execz .LBB134_53
; %bb.52:
	v_mov_b32_e32 v55, 0
	v_lshl_add_u64 v[38:39], s[4:5], 0, v[54:55]
	v_lshlrev_b32_e32 v40, 1, v52
	v_mov_b32_e32 v41, v55
	v_lshl_add_u64 v[38:39], v[38:39], 0, v[40:41]
	global_load_dwordx4 v[38:41], v[38:39], off
.LBB134_53:
	s_or_b64 exec, exec, s[2:3]
	v_mov_b32_e32 v49, 0
	v_mov_b32_e32 v42, 0
	;; [unrolled: 1-line block ×5, first 2 shown]
	s_and_saveexec_b64 s[2:3], vcc
	s_cbranch_execz .LBB134_55
; %bb.54:
	v_mov_b32_e32 v47, 0
	v_lshl_add_u64 v[42:43], s[4:5], 0, v[46:47]
	v_lshlrev_b32_e32 v46, 1, v52
	v_lshl_add_u64 v[42:43], v[42:43], 0, v[46:47]
	global_load_dwordx4 v[42:45], v[42:43], off offset:128
.LBB134_55:
	s_or_b64 exec, exec, s[2:3]
	v_mov_b32_e32 v48, 0
	v_mov_b32_e32 v47, 0
	;; [unrolled: 1-line block ×3, first 2 shown]
	s_and_saveexec_b64 s[2:3], s[0:1]
	s_cbranch_execz .LBB134_57
; %bb.56:
	v_mov_b32_e32 v55, 0
	v_lshl_add_u64 v[46:47], s[4:5], 0, v[54:55]
	v_lshlrev_b32_e32 v54, 1, v52
	v_lshl_add_u64 v[46:47], v[46:47], 0, v[54:55]
	global_load_dwordx4 v[46:49], v[46:47], off offset:128
.LBB134_57:
	s_or_b64 exec, exec, s[2:3]
	s_branch .LBB134_60
.LBB134_58:
                                        ; implicit-def: $vgpr37
                                        ; implicit-def: $vgpr41
                                        ; implicit-def: $vgpr45
                                        ; implicit-def: $vgpr49
	s_cbranch_execz .LBB134_60
; %bb.59:
	s_waitcnt vmcnt(0)
	v_lshlrev_b32_e32 v34, 1, v52
	v_lshl_or_b32 v52, v51, 9, v34
	s_and_b32 s5, s5, 0xffff
	s_mov_b32 s7, 0x20000
	s_movk_i32 s6, 0x4000
	s_movk_i32 s0, 0x80
	buffer_load_dwordx4 v[34:37], v52, s[4:7], 0 offen
	buffer_load_dwordx4 v[38:41], v52, s[4:7], 0 offen offset:256
	buffer_load_dwordx4 v[42:45], v52, s[4:7], s0 offen
	buffer_load_dwordx4 v[46:49], v52, s[4:7], s0 offen offset:256
.LBB134_60:
	ds_read_b64 v[54:55], v64 offset:57344
	v_add_u32_e32 v52, 0x6000, v60
	ds_read2_b64 v[70:73], v52 offset1:16
	ds_read_b64 v[82:83], v65 offset:57344
	ds_read_b64 v[86:87], v66 offset:57344
	;; [unrolled: 1-line block ×3, first 2 shown]
	ds_read2_b64 v[64:67], v52 offset0:32 offset1:48
	v_and_b32_e32 v52, 12, v68
	v_and_b32_e32 v76, 6, v0
	v_xor_b32_e32 v51, v51, v76
	v_lshlrev_b32_e32 v51, 2, v51
	s_mov_b32 s0, 0x1000504
	s_waitcnt lgkmcnt(4)
	v_mfma_f32_16x16x16_bf16 a[4:7], v[54:55], v[72:73], a[4:7]
	s_mov_b32 s1, 0x3020706
	v_mfma_f32_16x16x16_bf16 a[0:3], v[54:55], v[70:71], a[0:3]
	ds_read2st64_b64 v[68:71], v60 offset0:52 offset1:56
	s_waitcnt lgkmcnt(1)
	v_mfma_f32_16x16x16_bf16 a[8:11], v[54:55], v[64:65], a[8:11]
	v_mfma_f32_16x16x16_bf16 a[12:15], v[54:55], v[66:67], a[12:15]
	ds_read2st64_b64 v[64:67], v61 offset0:52 offset1:56
	ds_read2st64_b64 v[72:75], v62 offset0:52 offset1:56
	;; [unrolled: 1-line block ×3, first 2 shown]
	s_waitcnt lgkmcnt(2)
	v_mfma_f32_16x16x16_bf16 a[4:7], v[82:83], v[64:65], a[4:7]
	v_and_b32_e32 v64, 1, v0
	v_xor_b32_e32 v65, 0x440, v51
	v_cmp_eq_u32_e32 vcc, 0, v64
	v_mfma_f32_16x16x16_bf16 a[0:3], v[82:83], v[68:69], a[0:3]
	s_waitcnt vmcnt(0)
	v_perm_b32 v64, v34, v38, s0
	v_cndmask_b32_e32 v51, v65, v51, vcc
	v_lshl_or_b32 v51, v76, 10, v51
	s_waitcnt lgkmcnt(1)
	v_mfma_f32_16x16x16_bf16 a[8:11], v[82:83], v[72:73], a[8:11]
	v_perm_b32 v65, v42, v46, s0
	ds_read_b64 v[54:55], v60 offset:30720
	ds_read_b64 v[68:69], v61 offset:30720
	;; [unrolled: 1-line block ×4, first 2 shown]
	ds_write2st64_b32 v51, v64, v65 offset0:128 offset1:160
	s_waitcnt lgkmcnt(5)
	v_mfma_f32_16x16x16_bf16 a[12:15], v[82:83], v[78:79], a[12:15]
	v_xor_b32_e32 v64, 8, v51
	v_perm_b32 v34, v34, v38, s1
	v_perm_b32 v38, v42, v46, s1
	v_add_u32_e32 v42, 0x80, v64
	ds_write2st64_b32 v42, v34, v38 offset0:128 offset1:160
	v_xor_b32_e32 v34, 16, v51
	v_perm_b32 v38, v35, v39, s0
	v_perm_b32 v42, v43, v47, s0
	v_mfma_f32_16x16x16_bf16 a[0:3], v[86:87], v[70:71], a[0:3]
	ds_write2st64_b32 v34, v38, v42 offset0:129 offset1:161
	v_xor_b32_e32 v34, 24, v51
	v_perm_b32 v35, v35, v39, s1
	v_mfma_f32_16x16x16_bf16 a[4:7], v[86:87], v[66:67], a[4:7]
	v_perm_b32 v38, v43, v47, s1
	v_add_u32_e32 v34, 0x80, v34
	ds_write2st64_b32 v34, v35, v38 offset0:129 offset1:161
	v_mfma_f32_16x16x16_bf16 a[16:19], v[86:87], v[74:75], a[8:11]
	v_xor_b32_e32 v34, 32, v51
	v_perm_b32 v35, v36, v40, s0
	v_perm_b32 v38, v44, v48, s0
	v_mfma_f32_16x16x16_bf16 a[20:23], v[86:87], v[80:81], a[12:15]
	ds_write2st64_b32 v34, v35, v38 offset0:130 offset1:162
	v_xor_b32_e32 v34, 40, v51
	v_perm_b32 v35, v36, v40, s1
	s_waitcnt lgkmcnt(8)
	v_mfma_f32_16x16x16_bf16 a[12:15], v[88:89], v[54:55], a[0:3]
	v_perm_b32 v36, v44, v48, s1
	v_add_u32_e32 v34, 0x80, v34
	ds_write2st64_b32 v34, v35, v36 offset0:130 offset1:162
	s_waitcnt lgkmcnt(8)
	v_mfma_f32_16x16x16_bf16 a[8:11], v[88:89], v[68:69], a[4:7]
	v_xor_b32_e32 v34, 48, v51
	v_perm_b32 v35, v37, v41, s0
	v_perm_b32 v36, v45, v49, s0
	s_waitcnt lgkmcnt(7)
	v_mfma_f32_16x16x16_bf16 a[4:7], v[88:89], v[90:91], a[16:19]
	ds_write2st64_b32 v34, v35, v36 offset0:131 offset1:163
	v_xor_b32_e32 v34, 56, v51
	v_or_b32_e32 v48, v52, v84
	s_waitcnt lgkmcnt(7)
	v_mfma_f32_16x16x16_bf16 a[0:3], v[88:89], v[92:93], a[20:23]
	v_perm_b32 v35, v37, v41, s1
	v_perm_b32 v36, v45, v49, s1
	v_add_u32_e32 v34, 0x80, v34
	v_cmp_gt_i32_e64 s[0:1], s56, v48
	v_mov_b32_e32 v54, 0
	v_mov_b32_e32 v55, 0
	ds_write2st64_b32 v34, v35, v36 offset0:131 offset1:163
	s_and_saveexec_b64 s[2:3], s[0:1]
	s_cbranch_execz .LBB134_62
; %bb.61:
	v_add_u32_e32 v34, s28, v48
	v_ashrrev_i32_e32 v35, 31, v34
	v_mul_lo_u32 v36, v35, s14
	v_mul_lo_u32 v37, v34, s15
	v_mad_u64_u32 v[34:35], s[4:5], v34, s14, 0
	v_add3_u32 v35, v35, v37, v36
	v_lshl_add_u64 v[34:35], v[34:35], 2, s[10:11]
	global_load_dword v34, v[34:35], off
	s_waitcnt vmcnt(0)
	v_sub_f32_e32 v34, s16, v34
	v_exp_f32_e32 v55, v34
.LBB134_62:
	s_or_b64 exec, exec, s[2:3]
	v_or_b32_e32 v40, 1, v48
	v_cmp_gt_i32_e64 s[2:3], s56, v40
	s_and_saveexec_b64 s[4:5], s[2:3]
	s_cbranch_execz .LBB134_64
; %bb.63:
	v_add_u32_e32 v34, s28, v40
	v_ashrrev_i32_e32 v35, 31, v34
	v_mul_lo_u32 v36, v35, s14
	v_mul_lo_u32 v37, v34, s15
	v_mad_u64_u32 v[34:35], s[6:7], v34, s14, 0
	v_add3_u32 v35, v35, v37, v36
	v_lshl_add_u64 v[34:35], v[34:35], 2, s[10:11]
	global_load_dword v34, v[34:35], off
	s_waitcnt vmcnt(0)
	v_sub_f32_e32 v34, s16, v34
	v_exp_f32_e32 v54, v34
.LBB134_64:
	s_or_b64 exec, exec, s[4:5]
	v_or_b32_e32 v41, 2, v48
	v_cmp_gt_i32_e64 s[4:5], s56, v41
	v_mov_b32_e32 v49, 0
	v_mov_b32_e32 v64, 0
	s_and_saveexec_b64 s[6:7], s[4:5]
	s_cbranch_execz .LBB134_66
; %bb.65:
	v_add_u32_e32 v34, s28, v41
	v_ashrrev_i32_e32 v35, 31, v34
	v_mul_lo_u32 v36, v35, s14
	v_mul_lo_u32 v37, v34, s15
	v_mad_u64_u32 v[34:35], s[20:21], v34, s14, 0
	v_add3_u32 v35, v35, v37, v36
	v_lshl_add_u64 v[34:35], v[34:35], 2, s[10:11]
	global_load_dword v34, v[34:35], off
	s_waitcnt vmcnt(0)
	v_sub_f32_e32 v34, s16, v34
	v_exp_f32_e32 v64, v34
.LBB134_66:
	s_or_b64 exec, exec, s[6:7]
	v_or_b32_e32 v65, 3, v48
	v_cmp_gt_i32_e32 vcc, s56, v65
	s_and_saveexec_b64 s[6:7], vcc
	s_cbranch_execz .LBB134_68
; %bb.67:
	v_add_u32_e32 v34, s28, v65
	v_ashrrev_i32_e32 v35, 31, v34
	v_mul_lo_u32 v36, v35, s14
	v_mul_lo_u32 v37, v34, s15
	v_mad_u64_u32 v[34:35], s[14:15], v34, s14, 0
	v_add3_u32 v35, v35, v37, v36
	v_lshl_add_u64 v[34:35], v[34:35], 2, s[10:11]
	global_load_dword v34, v[34:35], off
	s_waitcnt vmcnt(0)
	v_sub_f32_e32 v34, s16, v34
	v_exp_f32_e32 v49, v34
.LBB134_68:
	s_or_b64 exec, exec, s[6:7]
	s_add_u32 s6, s8, s30
	v_accvgpr_read_b32 v37, a15
	s_addc_u32 s7, s9, s31
	v_ashrrev_i32_e32 v51, 31, v50
	v_accvgpr_read_b32 v36, a14
	v_accvgpr_read_b32 v35, a13
	;; [unrolled: 1-line block ×3, first 2 shown]
	v_lshl_add_u64 v[38:39], v[50:51], 1, s[6:7]
	v_mov_b32_e32 v45, 0
	v_lshlrev_b32_e32 v42, 8, v48
	v_mov_b32_e32 v43, 0
	s_and_saveexec_b64 s[6:7], s[0:1]
	s_cbranch_execz .LBB134_70
; %bb.69:
	v_mov_b32_e32 v43, 0
	v_lshl_add_u64 v[46:47], v[38:39], 0, v[42:43]
	global_load_ushort v43, v[46:47], off
	s_waitcnt vmcnt(0)
	v_lshlrev_b32_e32 v43, 16, v43
	v_sub_f32_e32 v34, v43, v34
	v_mul_f32_e32 v34, v55, v34
	v_lshrrev_b32_e32 v43, 16, v34
.LBB134_70:
	s_or_b64 exec, exec, s[6:7]
	v_lshlrev_b32_e32 v44, 8, v40
	s_and_saveexec_b64 s[6:7], s[2:3]
	s_cbranch_execz .LBB134_72
; %bb.71:
	v_mov_b32_e32 v45, 0
	v_lshl_add_u64 v[46:47], v[38:39], 0, v[44:45]
	global_load_ushort v34, v[46:47], off
	s_waitcnt vmcnt(0)
	v_lshlrev_b32_e32 v34, 16, v34
	v_sub_f32_e32 v34, v34, v35
	v_mul_f32_e32 v34, v54, v34
	v_lshrrev_b32_e32 v45, 16, v34
.LBB134_72:
	s_or_b64 exec, exec, s[6:7]
	v_mov_b32_e32 v66, 0
	v_lshlrev_b32_e32 v46, 8, v41
	v_mov_b32_e32 v47, 0
	s_and_saveexec_b64 s[6:7], s[4:5]
	s_cbranch_execz .LBB134_74
; %bb.73:
	v_mov_b32_e32 v47, 0
	v_lshl_add_u64 v[34:35], v[38:39], 0, v[46:47]
	global_load_ushort v34, v[34:35], off
	s_waitcnt vmcnt(0)
	v_lshlrev_b32_e32 v34, 16, v34
	v_sub_f32_e32 v34, v34, v36
	v_mul_f32_e32 v34, v64, v34
	v_lshrrev_b32_e32 v47, 16, v34
.LBB134_74:
	s_or_b64 exec, exec, s[6:7]
	v_lshlrev_b32_e32 v40, 8, v65
	s_and_saveexec_b64 s[6:7], vcc
	s_cbranch_execz .LBB134_76
; %bb.75:
	v_mov_b32_e32 v41, 0
	v_lshl_add_u64 v[34:35], v[38:39], 0, v[40:41]
	global_load_ushort v34, v[34:35], off
	s_waitcnt vmcnt(0)
	v_lshlrev_b32_e32 v34, 16, v34
	v_sub_f32_e32 v34, v34, v37
	v_mul_f32_e32 v34, v49, v34
	v_lshrrev_b32_e32 v66, 16, v34
.LBB134_76:
	s_or_b64 exec, exec, s[6:7]
	v_lshlrev_b32_e32 v51, 6, v48
	v_accvgpr_read_b32 v37, a11
	s_mov_b32 s6, 0x5040100
	v_or_b32_e32 v41, v51, v58
	v_accvgpr_read_b32 v36, a10
	v_accvgpr_read_b32 v35, a9
	;; [unrolled: 1-line block ×3, first 2 shown]
	v_perm_b32 v67, v66, v47, s6
	v_perm_b32 v66, v45, v43, s6
	v_lshlrev_b32_e32 v41, 1, v41
	v_mov_b32_e32 v45, 0
	v_mov_b32_e32 v43, 0
	ds_write_b64 v41, v[66:67] offset:24576
	s_and_saveexec_b64 s[6:7], s[0:1]
	s_cbranch_execz .LBB134_78
; %bb.77:
	v_mov_b32_e32 v43, 0
	v_lshl_add_u64 v[66:67], v[38:39], 0, v[42:43]
	global_load_ushort v41, v[66:67], off offset:32
	s_waitcnt vmcnt(0)
	v_lshlrev_b32_e32 v41, 16, v41
	v_sub_f32_e32 v34, v41, v34
	v_mul_f32_e32 v34, v55, v34
	v_lshrrev_b32_e32 v43, 16, v34
.LBB134_78:
	s_or_b64 exec, exec, s[6:7]
	s_and_saveexec_b64 s[6:7], s[2:3]
	s_cbranch_execz .LBB134_80
; %bb.79:
	v_mov_b32_e32 v45, 0
	v_lshl_add_u64 v[66:67], v[38:39], 0, v[44:45]
	global_load_ushort v34, v[66:67], off offset:32
	s_waitcnt vmcnt(0)
	v_lshlrev_b32_e32 v34, 16, v34
	v_sub_f32_e32 v34, v34, v35
	v_mul_f32_e32 v34, v54, v34
	v_lshrrev_b32_e32 v45, 16, v34
.LBB134_80:
	s_or_b64 exec, exec, s[6:7]
	v_mov_b32_e32 v41, 0
	v_mov_b32_e32 v47, 0
	s_and_saveexec_b64 s[6:7], s[4:5]
	s_cbranch_execz .LBB134_82
; %bb.81:
	v_mov_b32_e32 v47, 0
	v_lshl_add_u64 v[34:35], v[38:39], 0, v[46:47]
	global_load_ushort v34, v[34:35], off offset:32
	s_waitcnt vmcnt(0)
	v_lshlrev_b32_e32 v34, 16, v34
	v_sub_f32_e32 v34, v34, v36
	v_mul_f32_e32 v34, v64, v34
	v_lshrrev_b32_e32 v47, 16, v34
.LBB134_82:
	s_or_b64 exec, exec, s[6:7]
	s_and_saveexec_b64 s[6:7], vcc
	s_cbranch_execz .LBB134_84
; %bb.83:
	v_mov_b32_e32 v41, 0
	v_lshl_add_u64 v[34:35], v[38:39], 0, v[40:41]
	global_load_ushort v34, v[34:35], off offset:32
	s_waitcnt vmcnt(0)
	v_lshlrev_b32_e32 v34, 16, v34
	v_sub_f32_e32 v34, v34, v37
	v_mul_f32_e32 v34, v49, v34
	v_lshrrev_b32_e32 v41, 16, v34
.LBB134_84:
	s_or_b64 exec, exec, s[6:7]
	s_mov_b32 s6, 0x5040100
	v_accvgpr_read_b32 v37, a7
	v_perm_b32 v67, v41, v47, s6
	v_or_b32_e32 v41, v51, v57
	v_accvgpr_read_b32 v36, a6
	v_accvgpr_read_b32 v35, a5
	;; [unrolled: 1-line block ×3, first 2 shown]
	v_perm_b32 v66, v45, v43, s6
	v_lshlrev_b32_e32 v41, 1, v41
	v_mov_b32_e32 v45, 0
	v_mov_b32_e32 v43, 0
	ds_write_b64 v41, v[66:67] offset:24576
	s_and_saveexec_b64 s[6:7], s[0:1]
	s_cbranch_execz .LBB134_86
; %bb.85:
	v_mov_b32_e32 v43, 0
	v_lshl_add_u64 v[66:67], v[38:39], 0, v[42:43]
	global_load_ushort v41, v[66:67], off offset:64
	s_waitcnt vmcnt(0)
	v_lshlrev_b32_e32 v41, 16, v41
	v_sub_f32_e32 v34, v41, v34
	v_mul_f32_e32 v34, v55, v34
	v_lshrrev_b32_e32 v43, 16, v34
.LBB134_86:
	s_or_b64 exec, exec, s[6:7]
	s_and_saveexec_b64 s[6:7], s[2:3]
	s_cbranch_execz .LBB134_88
; %bb.87:
	v_mov_b32_e32 v45, 0
	v_lshl_add_u64 v[66:67], v[38:39], 0, v[44:45]
	global_load_ushort v34, v[66:67], off offset:64
	s_waitcnt vmcnt(0)
	v_lshlrev_b32_e32 v34, 16, v34
	v_sub_f32_e32 v34, v34, v35
	v_mul_f32_e32 v34, v54, v34
	v_lshrrev_b32_e32 v45, 16, v34
.LBB134_88:
	s_or_b64 exec, exec, s[6:7]
	v_mov_b32_e32 v41, 0
	v_mov_b32_e32 v47, 0
	s_and_saveexec_b64 s[6:7], s[4:5]
	s_cbranch_execz .LBB134_90
; %bb.89:
	v_mov_b32_e32 v47, 0
	v_lshl_add_u64 v[34:35], v[38:39], 0, v[46:47]
	global_load_ushort v34, v[34:35], off offset:64
	s_waitcnt vmcnt(0)
	v_lshlrev_b32_e32 v34, 16, v34
	v_sub_f32_e32 v34, v34, v36
	v_mul_f32_e32 v34, v64, v34
	v_lshrrev_b32_e32 v47, 16, v34
.LBB134_90:
	s_or_b64 exec, exec, s[6:7]
	s_and_saveexec_b64 s[6:7], vcc
	s_cbranch_execz .LBB134_92
; %bb.91:
	v_mov_b32_e32 v41, 0
	v_lshl_add_u64 v[34:35], v[38:39], 0, v[40:41]
	global_load_ushort v34, v[34:35], off offset:64
	s_waitcnt vmcnt(0)
	v_lshlrev_b32_e32 v34, 16, v34
	v_sub_f32_e32 v34, v34, v37
	v_mul_f32_e32 v34, v49, v34
	v_lshrrev_b32_e32 v41, 16, v34
.LBB134_92:
	s_or_b64 exec, exec, s[6:7]
	s_mov_b32 s6, 0x5040100
	v_accvgpr_read_b32 v37, a3
	v_perm_b32 v67, v41, v47, s6
	v_or_b32_e32 v41, v51, v56
	v_accvgpr_read_b32 v36, a2
	v_accvgpr_read_b32 v35, a1
	;; [unrolled: 1-line block ×3, first 2 shown]
	v_perm_b32 v66, v45, v43, s6
	v_lshlrev_b32_e32 v41, 1, v41
	v_mov_b32_e32 v45, 0
	v_mov_b32_e32 v43, 0
	ds_write_b64 v41, v[66:67] offset:24576
	s_and_saveexec_b64 s[6:7], s[0:1]
	s_cbranch_execz .LBB134_94
; %bb.93:
	v_mov_b32_e32 v43, 0
	v_lshl_add_u64 v[42:43], v[38:39], 0, v[42:43]
	global_load_ushort v41, v[42:43], off offset:96
	s_waitcnt vmcnt(0)
	v_lshlrev_b32_e32 v41, 16, v41
	v_sub_f32_e32 v34, v41, v34
	v_mul_f32_e32 v34, v55, v34
	v_lshrrev_b32_e32 v43, 16, v34
.LBB134_94:
	s_or_b64 exec, exec, s[6:7]
	s_and_saveexec_b64 s[0:1], s[2:3]
	s_cbranch_execz .LBB134_96
; %bb.95:
	v_mov_b32_e32 v45, 0
	v_lshl_add_u64 v[44:45], v[38:39], 0, v[44:45]
	global_load_ushort v34, v[44:45], off offset:96
	s_waitcnt vmcnt(0)
	v_lshlrev_b32_e32 v34, 16, v34
	v_sub_f32_e32 v34, v34, v35
	v_mul_f32_e32 v34, v54, v34
	v_lshrrev_b32_e32 v45, 16, v34
.LBB134_96:
	s_or_b64 exec, exec, s[0:1]
	v_mov_b32_e32 v41, 0
	v_mov_b32_e32 v44, 0
	s_and_saveexec_b64 s[0:1], s[4:5]
	s_cbranch_execz .LBB134_98
; %bb.97:
	v_mov_b32_e32 v47, 0
	v_lshl_add_u64 v[34:35], v[38:39], 0, v[46:47]
	global_load_ushort v34, v[34:35], off offset:96
	s_waitcnt vmcnt(0)
	v_lshlrev_b32_e32 v34, 16, v34
	v_sub_f32_e32 v34, v34, v36
	v_mul_f32_e32 v34, v64, v34
	v_lshrrev_b32_e32 v44, 16, v34
.LBB134_98:
	s_or_b64 exec, exec, s[0:1]
	v_or_b32_e32 v34, 0x6000, v60
	v_or_b32_e32 v35, 0x6000, v61
	;; [unrolled: 1-line block ×4, first 2 shown]
	s_and_saveexec_b64 s[0:1], vcc
	s_cbranch_execz .LBB134_100
; %bb.99:
	v_mov_b32_e32 v41, 0
	v_lshl_add_u64 v[38:39], v[38:39], 0, v[40:41]
	global_load_ushort v38, v[38:39], off offset:96
	s_waitcnt vmcnt(0)
	v_lshlrev_b32_e32 v38, 16, v38
	v_sub_f32_e32 v37, v38, v37
	v_mul_f32_e32 v37, v49, v37
	v_lshrrev_b32_e32 v41, 16, v37
.LBB134_100:
	s_or_b64 exec, exec, s[0:1]
	s_mov_b32 s0, 0x5040100
	v_or_b32_e32 v37, v51, v53
	v_perm_b32 v39, v41, v44, s0
	v_perm_b32 v38, v45, v43, s0
	v_lshlrev_b32_e32 v37, 1, v37
	ds_write_b64 v37, v[38:39] offset:24576
	v_and_b32_e32 v37, 7, v0
	v_and_b32_e32 v43, 8, v0
	v_lshlrev_b32_e32 v49, 3, v37
	v_lshlrev_b32_e32 v51, 7, v37
	v_lshrrev_b32_e32 v37, 1, v0
	v_and_b32_e32 v37, 24, v37
	v_mov_b32_e32 v44, 0x400
	v_cmp_eq_u32_e32 vcc, 0, v43
	s_movk_i32 s2, 0x100
	v_lshlrev_b32_e32 v53, 3, v77
	v_cndmask_b32_e64 v43, v44, 64, vcc
	v_mov_b32_e32 v44, 0xa000
	v_mov_b32_e32 v45, 0x8000
	v_cmp_gt_u32_e64 s[0:1], s2, v0
	v_xor_b32_e32 v58, v53, v37
	v_or3_b32 v43, v59, v43, v58
	v_cndmask_b32_e64 v0, v44, v45, s[0:1]
	v_or_b32_e32 v44, 0x440, v58
	v_cndmask_b32_e32 v44, v44, v58, vcc
	v_or_b32_e32 v44, v44, v59
	v_xor_b32_e32 v43, v43, v49
	v_xor_b32_e32 v82, v44, v49
	v_or_b32_e32 v84, v43, v51
	v_add3_u32 v44, v0, v82, v51
	v_or_b32_e32 v43, v0, v84
	s_waitcnt lgkmcnt(0)
	s_barrier
	ds_read_b64 v[60:61], v44
	ds_read_b64 v[80:81], v43
	v_or_b32_e32 v44, 32, v37
	v_or_b32_e32 v37, 0x60, v37
	v_xor_b32_e32 v44, v53, v44
	v_xor_b32_e32 v37, v53, v37
	v_or_b32_e32 v45, 0x440, v44
	v_xor_b32_e32 v43, 0x440, v37
	v_cndmask_b32_e32 v44, v45, v44, vcc
	v_cndmask_b32_e32 v37, v43, v37, vcc
	v_or_b32_e32 v44, v44, v59
	v_or_b32_e32 v37, v37, v59
	v_xor_b32_e32 v83, v44, v49
	v_xor_b32_e32 v85, v37, v49
	v_add3_u32 v44, v0, v83, v51
	v_add3_u32 v0, v0, v85, v51
	ds_read2_b64 v[38:41], v34 offset1:16
	ds_read_b64 v[72:73], v44
	ds_read_b64 v[58:59], v0
	ds_read2_b64 v[44:47], v34 offset0:32 offset1:48
	s_mul_i32 s0, s18, s17
	s_waitcnt lgkmcnt(3)
	v_mfma_f32_16x16x16_bf16 a[0:3], v[60:61], v[38:39], 0
	ds_read2st64_b64 v[54:57], v34 offset0:4 offset1:8
	s_mul_hi_i32 s1, s18, s17
	s_add_u32 s0, s0, s47
	v_mfma_f32_16x16x16_bf16 a[4:7], v[60:61], v[40:41], 0
	ds_read2st64_b64 v[64:67], v36 offset0:4 offset1:8
	ds_read2st64_b64 v[68:71], v42 offset0:4 offset1:8
	s_addc_u32 s1, s1, s29
	s_waitcnt lgkmcnt(3)
	v_mfma_f32_16x16x16_bf16 a[8:11], v[60:61], v[44:45], 0
	s_lshl_b64 s[0:1], s[0:1], 9
	s_add_u32 s0, s36, s0
	s_addc_u32 s1, s37, s1
	v_mfma_f32_16x16x16_bf16 a[12:15], v[60:61], v[46:47], 0
	ds_read2st64_b64 v[60:63], v35 offset0:4 offset1:8
	v_lshlrev_b32_e32 v0, 2, v48
	v_lshlrev_b32_e32 v37, 2, v52
	s_waitcnt lgkmcnt(3)
	v_mfma_f32_16x16x16_bf16 a[0:3], v[72:73], v[54:55], a[0:3]
	s_waitcnt lgkmcnt(0)
	v_mfma_f32_16x16x16_bf16 a[4:7], v[72:73], v[60:61], a[4:7]
	v_mfma_f32_16x16x16_bf16 a[8:11], v[72:73], v[64:65], a[8:11]
	;; [unrolled: 1-line block ×3, first 2 shown]
	global_load_dwordx4 v[72:75], v0, s[0:1]
	v_lshlrev_b32_e32 v0, 6, v77
	v_or3_b32 v0, v0, v37, s2
	global_load_dwordx4 v[76:79], v0, s[0:1]
	v_mfma_f32_16x16x16_bf16 a[0:3], v[80:81], v[56:57], a[0:3]
	v_exp_f32_e32 v0, s16
	s_waitcnt vmcnt(1)
	v_exp_f32_e32 v37, v75
	v_mfma_f32_16x16x16_bf16 a[4:7], v[80:81], v[62:63], a[4:7]
	v_mfma_f32_16x16x16_bf16 a[8:11], v[80:81], v[66:67], a[8:11]
	;; [unrolled: 1-line block ×3, first 2 shown]
	ds_read_b64 v[48:49], v34 offset:6144
	ds_read_b64 v[52:53], v35 offset:6144
	;; [unrolled: 1-line block ×4, first 2 shown]
	v_exp_f32_e32 v34, v72
	v_add_u32_e32 v72, v82, v51
	v_exp_f32_e32 v35, v73
	ds_read_b64 v[72:73], v72 offset:40960
	s_waitcnt lgkmcnt(4)
	v_mfma_f32_16x16x16_bf16 a[0:3], v[58:59], v[48:49], a[0:3]
	v_exp_f32_e32 v36, v74
	v_pk_mul_f32 v[34:35], v[0:1], v[34:35] op_sel_hi:[0,1]
	v_pk_mul_f32 v[30:31], v[30:31], v[34:35]
	s_waitcnt lgkmcnt(3)
	v_mfma_f32_16x16x16_bf16 a[4:7], v[58:59], v[52:53], a[4:7]
	v_pk_mul_f32 v[36:37], v[0:1], v[36:37] op_sel_hi:[0,1]
	v_pk_mul_f32 v[32:33], v[32:33], v[36:37]
	v_pk_mul_f32 v[22:23], v[34:35], v[22:23]
	s_waitcnt lgkmcnt(0)
	v_mfma_f32_16x16x16_bf16 a[20:23], v[72:73], v[40:41], 0
	v_accvgpr_read_b32 v40, a0
	v_add_f32_e32 v30, v30, v40
	v_accvgpr_read_b32 v40, a1
	v_add_f32_e32 v31, v31, v40
	;; [unrolled: 2-line block ×4, first 2 shown]
	v_accvgpr_read_b32 v40, a4
	v_mfma_f32_16x16x16_bf16 a[8:11], v[58:59], v[80:81], a[8:11]
	v_add_f32_e32 v22, v22, v40
	v_accvgpr_read_b32 v40, a5
	v_add_f32_e32 v23, v23, v40
	v_mfma_f32_16x16x16_bf16 a[12:15], v[58:59], v[42:43], a[12:15]
	v_add_u32_e32 v58, v83, v51
	v_add_u32_e32 v51, v85, v51
	ds_read_b64 v[58:59], v58 offset:40960
	ds_read_b64 v[74:75], v51 offset:40960
	;; [unrolled: 1-line block ×3, first 2 shown]
	v_mfma_f32_16x16x16_bf16 a[16:19], v[72:73], v[38:39], 0
	v_pk_mul_f32 v[24:25], v[36:37], v[24:25]
	v_pk_mul_f32 v[14:15], v[34:35], v[14:15]
	;; [unrolled: 1-line block ×3, first 2 shown]
	v_mfma_f32_16x16x16_bf16 a[24:27], v[72:73], v[44:45], 0
	v_accvgpr_read_b32 v44, a6
	v_add_f32_e32 v24, v24, v44
	v_accvgpr_read_b32 v44, a7
	s_waitcnt lgkmcnt(2)
	v_mfma_f32_16x16x16_bf16 a[0:3], v[58:59], v[54:55], a[16:19]
	v_add_f32_e32 v25, v25, v44
	v_accvgpr_read_b32 v44, a8
	v_add_f32_e32 v14, v14, v44
	v_accvgpr_read_b32 v44, a9
	;; [unrolled: 2-line block ×4, first 2 shown]
	v_accvgpr_read_b32 v39, a15
	v_accvgpr_read_b32 v38, a14
	v_mfma_f32_16x16x16_bf16 a[14:17], v[58:59], v[60:61], a[20:23]
	v_add_f32_e32 v17, v17, v44
	v_accvgpr_read_b32 v45, a13
	v_accvgpr_read_b32 v44, a12
	s_waitcnt lgkmcnt(0)
	v_mfma_f32_16x16x16_bf16 a[0:3], v[40:41], v[56:57], a[0:3]
	v_pk_fma_f32 v[2:3], v[34:35], v[2:3], v[44:45]
	v_pk_fma_f32 v[4:5], v[36:37], v[4:5], v[38:39]
	s_waitcnt vmcnt(0)
	v_mov_b32_e32 v34, v77
	v_mfma_f32_16x16x16_bf16 a[28:31], v[72:73], v[46:47], 0
	v_mov_b32_e32 v35, v78
	v_mov_b32_e32 v36, v79
	v_exp_f32_e32 v38, v76
	v_exp_f32_e32 v39, v34
	v_mfma_f32_16x16x16_bf16 a[18:21], v[58:59], v[64:65], a[24:27]
	v_exp_f32_e32 v34, v35
	v_exp_f32_e32 v35, v36
	v_pk_mul_f32 v[36:37], v[0:1], v[38:39] op_sel_hi:[0,1]
	v_mfma_f32_16x16x16_bf16 a[14:17], v[40:41], v[62:63], a[14:17]
	v_pk_mul_f32 v[26:27], v[26:27], v[36:37]
	v_pk_mul_f32 v[34:35], v[0:1], v[34:35] op_sel_hi:[0,1]
	v_pk_mul_f32 v[28:29], v[28:29], v[34:35]
	v_mfma_f32_16x16x16_bf16 a[0:3], v[74:75], v[48:49], a[0:3]
	v_pk_mul_f32 v[18:19], v[36:37], v[18:19]
	v_pk_mul_f32 v[20:21], v[34:35], v[20:21]
	;; [unrolled: 1-line block ×3, first 2 shown]
	v_mfma_f32_16x16x16_bf16 a[4:7], v[58:59], v[68:69], a[28:31]
	v_pk_mul_f32 v[12:13], v[34:35], v[12:13]
	v_mfma_f32_16x16x16_bf16 a[8:11], v[40:41], v[66:67], a[18:21]
	s_nop 0
	v_accvgpr_read_b32 v0, a0
	v_add_f32_e32 v26, v26, v0
	v_accvgpr_read_b32 v0, a1
	v_mfma_f32_16x16x16_bf16 a[12:15], v[74:75], v[52:53], a[14:17]
	v_add_f32_e32 v27, v27, v0
	v_accvgpr_read_b32 v0, a2
	v_add_f32_e32 v28, v28, v0
	v_mfma_f32_16x16x16_bf16 a[4:7], v[40:41], v[70:71], a[4:7]
	v_accvgpr_read_b32 v0, a3
	v_add_f32_e32 v29, v29, v0
	v_mfma_f32_16x16x16_bf16 a[8:11], v[74:75], v[80:81], a[8:11]
	v_accvgpr_read_b32 v0, a12
	v_add_f32_e32 v18, v18, v0
	v_accvgpr_read_b32 v0, a13
	v_mfma_f32_16x16x16_bf16 a[4:7], v[74:75], v[42:43], a[4:7]
	v_add_f32_e32 v19, v19, v0
	v_accvgpr_read_b32 v0, a14
	v_add_f32_e32 v20, v20, v0
	v_accvgpr_read_b32 v0, a15
	;; [unrolled: 2-line block ×5, first 2 shown]
	v_accvgpr_read_b32 v41, a5
	v_accvgpr_read_b32 v39, a7
	;; [unrolled: 1-line block ×3, first 2 shown]
	v_add_f32_e32 v12, v12, v0
	v_accvgpr_read_b32 v0, a11
	v_accvgpr_read_b32 v40, a4
	v_add_f32_e32 v13, v13, v0
	v_pk_fma_f32 v[6:7], v[36:37], v[6:7], v[40:41]
	v_pk_fma_f32 v[8:9], v[34:35], v[8:9], v[38:39]
	v_mov_b32_e32 v34, v50
.LBB134_101:
	s_mul_i32 s0, s33, s35
	s_mul_hi_u32 s1, s33, s34
	s_add_i32 s0, s1, s0
	s_mul_i32 s1, s46, s34
	s_add_i32 s1, s0, s1
	s_mul_i32 s0, s33, s34
	s_add_u32 s0, s0, s47
	s_addc_u32 s1, s1, s29
	s_lshl_b64 s[0:1], s[0:1], 16
	s_add_u32 s0, s12, s0
	v_lshlrev_b32_e32 v34, 7, v34
	s_addc_u32 s1, s13, s1
	v_ashrrev_i32_e32 v35, 31, v34
	v_lshl_add_u64 v[36:37], v[34:35], 2, s[0:1]
	v_lshlrev_b32_e32 v0, 2, v1
	v_mov_b32_e32 v1, 0
	v_lshl_add_u64 v[36:37], v[36:37], 0, v[0:1]
	global_store_dwordx4 v[36:37], v[30:33], off
	global_store_dwordx4 v[36:37], v[26:29], off offset:256
	s_nop 1
	v_or_b32_e32 v26, 0x800, v34
	v_ashrrev_i32_e32 v27, 31, v26
	v_lshl_add_u64 v[26:27], v[26:27], 2, s[0:1]
	v_lshl_add_u64 v[26:27], v[26:27], 0, v[0:1]
	global_store_dwordx4 v[26:27], v[22:25], off
	global_store_dwordx4 v[26:27], v[18:21], off offset:256
	s_nop 1
	v_or_b32_e32 v18, 0x1000, v34
	v_ashrrev_i32_e32 v19, 31, v18
	v_lshl_add_u64 v[18:19], v[18:19], 2, s[0:1]
	;; [unrolled: 7-line block ×3, first 2 shown]
	v_lshl_add_u64 v[0:1], v[10:11], 0, v[0:1]
	global_store_dwordx4 v[0:1], v[2:5], off
	global_store_dwordx4 v[0:1], v[6:9], off offset:256
	s_endpgm
	.section	.rodata,"a",@progbits
	.p2align	6, 0x0
	.amdhsa_kernel _ZN12_GLOBAL__N_139chunk_gated_delta_rule_fwd_h_hip_kernelILi64ELb0ELb1ELb0ELb1ELb1ELb1ELb1ELb0EEEvPK12hip_bfloat16S3_S3_PKfS5_PKvPS1_S8_PvPKiSB_iiiiilll
		.amdhsa_group_segment_fixed_size 65536
		.amdhsa_private_segment_fixed_size 0
		.amdhsa_kernarg_size 136
		.amdhsa_user_sgpr_count 2
		.amdhsa_user_sgpr_dispatch_ptr 0
		.amdhsa_user_sgpr_queue_ptr 0
		.amdhsa_user_sgpr_kernarg_segment_ptr 1
		.amdhsa_user_sgpr_dispatch_id 0
		.amdhsa_user_sgpr_kernarg_preload_length 0
		.amdhsa_user_sgpr_kernarg_preload_offset 0
		.amdhsa_user_sgpr_private_segment_size 0
		.amdhsa_uses_dynamic_stack 0
		.amdhsa_enable_private_segment 0
		.amdhsa_system_sgpr_workgroup_id_x 1
		.amdhsa_system_sgpr_workgroup_id_y 1
		.amdhsa_system_sgpr_workgroup_id_z 0
		.amdhsa_system_sgpr_workgroup_info 0
		.amdhsa_system_vgpr_workitem_id 0
		.amdhsa_next_free_vgpr 228
		.amdhsa_next_free_sgpr 67
		.amdhsa_accum_offset 188
		.amdhsa_reserve_vcc 1
		.amdhsa_float_round_mode_32 0
		.amdhsa_float_round_mode_16_64 0
		.amdhsa_float_denorm_mode_32 3
		.amdhsa_float_denorm_mode_16_64 3
		.amdhsa_dx10_clamp 1
		.amdhsa_ieee_mode 1
		.amdhsa_fp16_overflow 0
		.amdhsa_tg_split 0
		.amdhsa_exception_fp_ieee_invalid_op 0
		.amdhsa_exception_fp_denorm_src 0
		.amdhsa_exception_fp_ieee_div_zero 0
		.amdhsa_exception_fp_ieee_overflow 0
		.amdhsa_exception_fp_ieee_underflow 0
		.amdhsa_exception_fp_ieee_inexact 0
		.amdhsa_exception_int_div_zero 0
	.end_amdhsa_kernel
	.section	.text._ZN12_GLOBAL__N_139chunk_gated_delta_rule_fwd_h_hip_kernelILi64ELb0ELb1ELb0ELb1ELb1ELb1ELb1ELb0EEEvPK12hip_bfloat16S3_S3_PKfS5_PKvPS1_S8_PvPKiSB_iiiiilll,"axG",@progbits,_ZN12_GLOBAL__N_139chunk_gated_delta_rule_fwd_h_hip_kernelILi64ELb0ELb1ELb0ELb1ELb1ELb1ELb1ELb0EEEvPK12hip_bfloat16S3_S3_PKfS5_PKvPS1_S8_PvPKiSB_iiiiilll,comdat
.Lfunc_end134:
	.size	_ZN12_GLOBAL__N_139chunk_gated_delta_rule_fwd_h_hip_kernelILi64ELb0ELb1ELb0ELb1ELb1ELb1ELb1ELb0EEEvPK12hip_bfloat16S3_S3_PKfS5_PKvPS1_S8_PvPKiSB_iiiiilll, .Lfunc_end134-_ZN12_GLOBAL__N_139chunk_gated_delta_rule_fwd_h_hip_kernelILi64ELb0ELb1ELb0ELb1ELb1ELb1ELb1ELb0EEEvPK12hip_bfloat16S3_S3_PKfS5_PKvPS1_S8_PvPKiSB_iiiiilll
                                        ; -- End function
	.section	.AMDGPU.csdata,"",@progbits
; Kernel info:
; codeLenInByte = 12452
; NumSgprs: 73
; NumVgprs: 188
; NumAgprs: 40
; TotalNumVgprs: 228
; ScratchSize: 0
; MemoryBound: 0
; FloatMode: 240
; IeeeMode: 1
; LDSByteSize: 65536 bytes/workgroup (compile time only)
; SGPRBlocks: 9
; VGPRBlocks: 28
; NumSGPRsForWavesPerEU: 73
; NumVGPRsForWavesPerEU: 228
; AccumOffset: 188
; Occupancy: 1
; WaveLimiterHint : 1
; COMPUTE_PGM_RSRC2:SCRATCH_EN: 0
; COMPUTE_PGM_RSRC2:USER_SGPR: 2
; COMPUTE_PGM_RSRC2:TRAP_HANDLER: 0
; COMPUTE_PGM_RSRC2:TGID_X_EN: 1
; COMPUTE_PGM_RSRC2:TGID_Y_EN: 1
; COMPUTE_PGM_RSRC2:TGID_Z_EN: 0
; COMPUTE_PGM_RSRC2:TIDIG_COMP_CNT: 0
; COMPUTE_PGM_RSRC3_GFX90A:ACCUM_OFFSET: 46
; COMPUTE_PGM_RSRC3_GFX90A:TG_SPLIT: 0
	.section	.text._ZN12_GLOBAL__N_139chunk_gated_delta_rule_fwd_h_hip_kernelILi64ELb0ELb0ELb1ELb1ELb1ELb1ELb1ELb0EEEvPK12hip_bfloat16S3_S3_PKfS5_PKvPS1_S8_PvPKiSB_iiiiilll,"axG",@progbits,_ZN12_GLOBAL__N_139chunk_gated_delta_rule_fwd_h_hip_kernelILi64ELb0ELb0ELb1ELb1ELb1ELb1ELb1ELb0EEEvPK12hip_bfloat16S3_S3_PKfS5_PKvPS1_S8_PvPKiSB_iiiiilll,comdat
	.globl	_ZN12_GLOBAL__N_139chunk_gated_delta_rule_fwd_h_hip_kernelILi64ELb0ELb0ELb1ELb1ELb1ELb1ELb1ELb0EEEvPK12hip_bfloat16S3_S3_PKfS5_PKvPS1_S8_PvPKiSB_iiiiilll ; -- Begin function _ZN12_GLOBAL__N_139chunk_gated_delta_rule_fwd_h_hip_kernelILi64ELb0ELb0ELb1ELb1ELb1ELb1ELb1ELb0EEEvPK12hip_bfloat16S3_S3_PKfS5_PKvPS1_S8_PvPKiSB_iiiiilll
	.p2align	8
	.type	_ZN12_GLOBAL__N_139chunk_gated_delta_rule_fwd_h_hip_kernelILi64ELb0ELb0ELb1ELb1ELb1ELb1ELb1ELb0EEEvPK12hip_bfloat16S3_S3_PKfS5_PKvPS1_S8_PvPKiSB_iiiiilll,@function
_ZN12_GLOBAL__N_139chunk_gated_delta_rule_fwd_h_hip_kernelILi64ELb0ELb0ELb1ELb1ELb1ELb1ELb1ELb0EEEvPK12hip_bfloat16S3_S3_PKfS5_PKvPS1_S8_PvPKiSB_iiiiilll: ; @_ZN12_GLOBAL__N_139chunk_gated_delta_rule_fwd_h_hip_kernelILi64ELb0ELb0ELb1ELb1ELb1ELb1ELb1ELb0EEEvPK12hip_bfloat16S3_S3_PKfS5_PKvPS1_S8_PvPKiSB_iiiiilll
; %bb.0:
	s_load_dwordx4 s[16:19], s[0:1], 0x5c
	s_load_dwordx4 s[20:23], s[0:1], 0x70
	s_abs_i32 s25, s3
	s_ashr_i32 s24, s3, 31
	s_load_dwordx4 s[12:15], s[0:1], 0x30
	s_load_dwordx4 s[28:31], s[0:1], 0x48
	s_waitcnt lgkmcnt(0)
	s_abs_i32 s34, s17
	v_cvt_f32_u32_e32 v1, s34
	s_sub_i32 s26, 0, s34
	s_ashr_i32 s35, s17, 31
	s_xor_b32 s24, s24, s35
	v_rcp_iflag_f32_e32 v1, v1
	s_load_dwordx8 s[4:11], s[0:1], 0x0
	v_lshrrev_b32_e32 v87, 6, v0
	v_bfe_u32 v88, v0, 4, 2
	v_mul_f32_e32 v1, 0x4f7ffffe, v1
	v_cvt_u32_f32_e32 v1, v1
	v_lshlrev_b32_e32 v2, 2, v88
	v_and_b32_e32 v86, 63, v0
	v_mov_b32_e32 v47, 0
	v_readfirstlane_b32 s27, v1
	s_mul_i32 s26, s26, s27
	s_mul_hi_u32 s26, s27, s26
	s_add_i32 s27, s27, s26
	s_mul_hi_u32 s26, s25, s27
	s_mul_i32 s27, s26, s34
	s_sub_i32 s25, s25, s27
	s_add_i32 s33, s26, 1
	s_sub_i32 s27, s25, s34
	s_cmp_ge_u32 s25, s34
	s_cselect_b32 s26, s33, s26
	s_cselect_b32 s25, s27, s25
	s_add_i32 s27, s26, 1
	s_cmp_ge_u32 s25, s34
	s_cselect_b32 s25, s27, s26
	s_xor_b32 s25, s25, s24
	s_sub_i32 s24, s25, s24
	s_mul_i32 s25, s24, s17
	s_sub_i32 s33, s3, s25
	s_ashr_i32 s25, s24, 31
	s_lshl_b64 s[26:27], s[24:25], 2
	s_add_u32 s28, s28, s26
	s_addc_u32 s29, s29, s27
	s_add_u32 s26, s30, s26
	s_addc_u32 s27, s31, s27
	s_abs_i32 s3, s18
	v_cvt_f32_u32_e32 v1, s3
	s_load_dwordx2 s[38:39], s[28:29], 0x0
	s_sub_i32 s29, 0, s3
	s_load_dword s48, s[26:27], 0x0
	v_rcp_iflag_f32_e32 v1, v1
	v_and_b32_e32 v45, 15, v0
	s_waitcnt lgkmcnt(0)
	s_sub_i32 s49, s39, s38
	s_ashr_i32 s28, s49, 31
	v_mul_f32_e32 v1, 0x4f7ffffe, v1
	v_cvt_u32_f32_e32 v1, v1
	s_lshr_b32 s28, s28, 26
	s_add_i32 s28, s49, s28
	s_ashr_i32 s47, s28, 6
	v_readfirstlane_b32 s30, v1
	s_mul_i32 s29, s29, s30
	s_mul_hi_u32 s29, s30, s29
	s_add_i32 s30, s30, s29
	s_mul_hi_u32 s29, s34, s30
	s_mul_i32 s30, s29, s3
	s_ashr_i32 s28, s18, 31
	s_sub_i32 s30, s34, s30
	s_xor_b32 s28, s35, s28
	s_add_i32 s31, s29, 1
	s_sub_i32 s34, s30, s3
	s_cmp_ge_u32 s30, s3
	s_cselect_b32 s29, s31, s29
	s_cselect_b32 s30, s34, s30
	s_add_i32 s31, s29, 1
	s_cmp_ge_u32 s30, s3
	s_cselect_b32 s3, s31, s29
	s_xor_b32 s3, s3, s28
	s_sub_i32 s3, s3, s28
	s_abs_i32 s28, s3
	v_cvt_f32_u32_e32 v1, s28
	s_sub_i32 s27, 0, s28
	s_abs_i32 s26, s33
	s_xor_b32 s3, s33, s3
	v_rcp_iflag_f32_e32 v1, v1
	s_ashr_i32 s3, s3, 31
	s_load_dwordx2 s[34:35], s[0:1], 0x80
	s_mul_hi_i32 s50, s33, s16
	v_mul_f32_e32 v1, 0x4f7ffffe, v1
	v_cvt_u32_f32_e32 v1, v1
	s_mul_i32 s51, s33, s16
	v_lshrrev_b32_e32 v90, 3, v86
	v_lshlrev_b32_e32 v89, 3, v0
	v_readfirstlane_b32 s29, v1
	s_mul_i32 s27, s27, s29
	s_mul_hi_u32 s27, s29, s27
	s_add_i32 s29, s29, s27
	s_mul_hi_u32 s27, s26, s29
	s_mul_i32 s29, s27, s28
	s_sub_i32 s26, s26, s29
	s_add_i32 s29, s27, 1
	s_sub_i32 s30, s26, s28
	s_cmp_ge_u32 s26, s28
	s_cselect_b32 s27, s29, s27
	s_cselect_b32 s26, s30, s26
	s_add_i32 s29, s27, 1
	s_cmp_ge_u32 s26, s28
	s_cselect_b32 s26, s29, s27
	s_xor_b32 s26, s26, s3
	v_lshlrev_b32_e32 v1, 4, v87
	s_sub_i32 s52, s26, s3
	v_or_b32_e32 v91, v2, v1
	s_lshl_b32 s36, s2, 6
	v_or_b32_e32 v92, 64, v91
	s_cmp_lt_i32 s49, 64
	s_mul_i32 s44, s24, s21
	s_mul_hi_u32 s45, s24, s20
	s_mul_i32 s46, s25, s20
	s_mul_i32 s20, s24, s20
	v_mov_b32_e32 v46, v47
	v_mov_b32_e32 v53, v47
	;; [unrolled: 1-line block ×31, first 2 shown]
	s_cbranch_scc1 .LBB135_18
; %bb.1:
	s_ashr_i32 s55, s33, 31
	s_ashr_i32 s3, s38, 31
	s_add_u32 s2, s51, s38
	s_addc_u32 s3, s50, s3
	s_lshl_b64 s[2:3], s[2:3], 8
	v_and_b32_e32 v94, 56, v89
	s_add_u32 s24, s6, s2
	v_lshl_or_b32 v93, v87, 3, v90
	v_lshlrev_b32_e32 v3, 1, v94
	s_addc_u32 s2, s7, s3
	v_lshl_or_b32 v95, v93, 8, v3
	s_and_b32 s25, s2, 0xffff
	s_mov_b32 s27, 0x20000
	s_movk_i32 s26, 0x4000
	s_movk_i32 s2, 0x80
	v_or_b32_e32 v96, 0x2000, v95
	buffer_load_dwordx4 v[4:7], v95, s[24:27], 0 offen
	buffer_load_dwordx4 v[8:11], v95, s[24:27], s2 offen
	buffer_load_dwordx4 v[12:15], v96, s[24:27], 0 offen
	buffer_load_dwordx4 v[16:19], v96, s[24:27], s2 offen
	v_lshlrev_b32_e32 v20, 3, v93
	v_and_or_b32 v22, v0, 7, v20
	v_and_b32_e32 v20, 0x78, v20
	v_lshlrev_b32_e32 v22, 4, v22
	v_xor_b32_e32 v97, v22, v20
	v_mul_lo_u32 v21, v93, s19
	v_or_b32_e32 v98, 0x1000, v97
	s_cmpk_eq_i32 s19, 0x80
	s_mov_b32 s53, s17
	s_mov_b32 s54, s38
	v_xor_b32_e32 v20, 8, v97
	v_xor_b32_e32 v22, 8, v98
	s_cselect_b64 s[2:3], -1, 0
	s_cmpk_lg_i32 s19, 0x80
	s_waitcnt vmcnt(3)
	ds_write_b64 v97, v[4:5] offset:49152
	ds_write_b64 v20, v[6:7] offset:49152
	s_waitcnt vmcnt(2)
	ds_write_b64 v97, v[8:9] offset:57344
	ds_write_b64 v20, v[10:11] offset:57344
	;; [unrolled: 3-line block ×4, first 2 shown]
	v_lshl_add_u32 v4, v21, 1, v94
	s_cbranch_scc0 .LBB135_3
; %bb.2:
	v_lshlrev_b32_e32 v6, 1, v4
	v_add_lshl_u32 v5, v4, s19, 1
	s_lshl_b32 s26, s19, 7
	s_load_dwordx2 s[40:41], s[0:1], 0x20
	v_lshl_or_b32 v3, v93, 9, v3
	s_cbranch_execz .LBB135_4
	s_branch .LBB135_5
.LBB135_3:
                                        ; implicit-def: $vgpr5
                                        ; implicit-def: $vgpr6
                                        ; implicit-def: $sgpr26
	s_load_dwordx2 s[40:41], s[0:1], 0x20
	v_lshl_or_b32 v3, v93, 9, v3
.LBB135_4:
	v_or_b32_e32 v5, 0x100, v3
	s_movk_i32 s26, 0x4000
	v_mov_b32_e32 v6, v3
.LBB135_5:
	s_mul_i32 s0, s38, s18
	s_ashr_i32 s56, s52, 31
	s_mul_hi_i32 s1, s38, s18
	s_add_u32 s0, s0, s52
	s_addc_u32 s1, s1, s56
	s_lshl_b64 s[0:1], s[0:1], 8
	s_add_u32 s24, s4, s0
	s_addc_u32 s0, s5, s1
	s_and_b32 s25, s0, 0xffff
	s_movk_i32 s57, 0x80
	buffer_load_dwordx4 v[8:11], v6, s[24:27], 0 offen
	buffer_load_dwordx4 v[12:15], v6, s[24:27], s57 offen
	;; [unrolled: 1-line block ×4, first 2 shown]
	v_and_b32_e32 v5, 6, v0
	v_lshlrev_b32_e32 v6, 7, v91
	v_xor_b32_e32 v28, v93, v5
	v_and_b32_e32 v7, 1, v0
	v_lshl_or_b32 v31, v45, 3, v6
	v_lshlrev_b32_e32 v28, 2, v28
	v_lshlrev_b32_e32 v24, 2, v45
	v_or_b32_e32 v99, 0x4000, v31
	v_or_b32_e32 v100, 0x6000, v31
	v_xor_b32_e32 v31, 0x440, v28
	v_cmp_eq_u32_e32 vcc, 0, v7
	v_or_b32_e32 v26, 16, v45
	v_or_b32_e32 v27, 32, v45
	v_xor_b32_e32 v29, v91, v24
	v_xor_b32_e32 v30, v92, v24
	v_cndmask_b32_e32 v7, v31, v28, vcc
	s_add_i32 s0, s45, s44
	s_mov_b32 s58, 0x1000504
	v_lshl_or_b32 v32, v26, 3, v6
	v_lshlrev_b32_e32 v26, 8, v26
	v_lshl_or_b32 v33, v27, 3, v6
	v_lshlrev_b32_e32 v29, 1, v29
	v_lshlrev_b32_e32 v30, 1, v30
	v_lshl_or_b32 v5, v5, 10, v7
	s_add_i32 s21, s0, s46
	s_mul_i32 s0, s33, s23
	s_mul_hi_u32 s1, s33, s22
	s_mov_b32 s59, 0x3020706
	v_lshlrev_b32_e32 v25, 8, v45
	v_or_b32_e32 v103, 0x4000, v33
	v_or_b32_e32 v104, 0x6000, v33
	;; [unrolled: 1-line block ×4, first 2 shown]
	v_xor_b32_e32 v7, 8, v5
	v_xor_b32_e32 v26, 24, v5
	;; [unrolled: 1-line block ×4, first 2 shown]
	s_add_i32 s0, s1, s0
	s_mul_i32 s1, s55, s22
	v_or_b32_e32 v101, 0x4000, v32
	v_or_b32_e32 v102, 0x6000, v32
	;; [unrolled: 1-line block ×4, first 2 shown]
	v_xor_b32_e32 v25, 16, v5
	v_xor_b32_e32 v28, 32, v5
	;; [unrolled: 1-line block ×3, first 2 shown]
	v_add_u32_e32 v7, 0x80, v7
	v_add_u32_e32 v26, 0x80, v26
	;; [unrolled: 1-line block ×4, first 2 shown]
	s_add_i32 s1, s0, s1
	s_lshl_b64 s[24:25], s[20:21], 2
	s_mul_i32 s0, s33, s22
	s_add_u32 s21, s10, s24
	s_addc_u32 s24, s11, s25
	s_lshl_b64 s[0:1], s[0:1], 2
	s_add_u32 s42, s21, s0
	s_movk_i32 s0, 0xf8
	s_addc_u32 s43, s24, s1
	s_ashr_i32 s37, s36, 31
	s_lshl_b32 s30, s19, 7
	v_mov_b32_e32 v79, 0
	s_movk_i32 s21, 0x100
	v_lshlrev_b32_e32 v78, 4, v45
	v_lshlrev_b32_e32 v27, 8, v27
	s_mov_b32 s61, 0
	s_movk_i32 s26, 0x4000
	v_or_b32_e32 v109, v27, v29
	v_or_b32_e32 v110, v27, v30
	v_add_u32_e32 v136, v1, v2
	s_movk_i32 s60, 0x3000
	v_mov_b32_e32 v70, v79
	v_mov_b32_e32 v71, v79
	;; [unrolled: 1-line block ×7, first 2 shown]
	s_waitcnt vmcnt(1)
	v_perm_b32 v34, v8, v16, s58
	s_waitcnt vmcnt(0)
	v_perm_b32 v35, v12, v20, s58
	v_perm_b32 v8, v8, v16, s59
	;; [unrolled: 1-line block ×15, first 2 shown]
	ds_write2st64_b32 v5, v34, v35 offset0:128 offset1:160
	ds_write2st64_b32 v7, v8, v12 offset0:128 offset1:160
	;; [unrolled: 1-line block ×8, first 2 shown]
	v_or_b32_e32 v5, 48, v45
	v_lshl_or_b32 v7, v5, 3, v6
	v_lshlrev_b32_e32 v5, 8, v5
	v_or_b32_e32 v113, v5, v29
	v_or_b32_e32 v114, v5, v30
	;; [unrolled: 1-line block ×3, first 2 shown]
	v_lshlrev_b32_e32 v5, 3, v5
	v_lshrrev_b32_e32 v9, 5, v86
	v_and_or_b32 v9, v5, s0, v9
	v_lshlrev_b32_e32 v9, 4, v9
	v_lshlrev_b32_e32 v11, 11, v87
	v_and_b32_e32 v5, 0x78, v5
	v_or_b32_e32 v14, 32, v9
	v_and_b32_e32 v8, 0x1000, v11
	v_xor_b32_e32 v10, v9, v5
	v_lshrrev_b32_e32 v12, 1, v86
	v_xor_b32_e32 v14, v14, v5
	v_or_b32_e32 v10, v10, v8
	v_and_b32_e32 v12, 8, v12
	v_or_b32_e32 v14, v14, v8
	v_xor_b32_e32 v115, v10, v12
	v_lshlrev_b32_e32 v10, 8, v88
	v_xor_b32_e32 v117, v14, v12
	v_or_b32_e32 v14, 64, v9
	v_or_b32_e32 v9, 0x60, v9
	;; [unrolled: 1-line block ×3, first 2 shown]
	v_xor_b32_e32 v14, v14, v5
	v_xor_b32_e32 v5, v9, v5
	v_lshlrev_b32_e32 v13, 1, v13
	v_or_b32_e32 v14, v14, v8
	v_or_b32_e32 v5, v5, v8
	s_lshl_b64 s[0:1], s[36:37], 8
	v_or_b32_e32 v116, 0x4000, v13
	v_or_b32_e32 v118, 0x4080, v13
	;; [unrolled: 1-line block ×4, first 2 shown]
	v_xor_b32_e32 v121, v14, v12
	v_xor_b32_e32 v122, v5, v12
	v_or_b32_e32 v123, 0x6000, v13
	v_or_b32_e32 v124, 0x6080, v13
	;; [unrolled: 1-line block ×4, first 2 shown]
	v_lshlrev_b32_e32 v12, 1, v4
	v_add_lshl_u32 v13, v4, s19, 1
	s_add_u32 s0, s12, s0
	v_lshlrev_b32_e32 v4, 1, v45
	v_lshrrev_b32_e32 v15, 4, v0
	s_addc_u32 s1, s13, s1
	v_or_b32_e32 v5, 1, v4
	v_lshlrev_b32_e32 v18, 2, v0
	v_or_b32_e32 v14, 0x100, v3
	v_xor_b32_e32 v16, v15, v4
	v_xor_b32_e32 v17, v5, v15
	v_lshl_add_u64 v[4:5], s[0:1], 0, v[78:79]
	v_lshlrev_b32_e32 v78, 8, v15
	v_lshrrev_b32_e32 v19, 1, v0
	v_and_or_b32 v10, v18, 60, v10
	v_cndmask_b32_e64 v133, v12, v3, s[2:3]
	v_mov_b32_e32 v3, 0xa000
	v_mov_b32_e32 v12, 0x8000
	v_cmp_gt_u32_e64 s[0:1], s21, v0
	v_lshl_or_b32 v127, v16, 3, v78
	v_and_b32_e32 v16, 8, v0
	v_and_b32_e32 v19, 24, v19
	v_lshlrev_b32_e32 v10, 1, v10
	v_cndmask_b32_e64 v3, v3, v12, s[0:1]
	v_lshlrev_b32_e32 v12, 3, v87
	v_or_b32_e32 v129, 0x6000, v10
	v_or_b32_e32 v130, 0x6080, v10
	;; [unrolled: 1-line block ×4, first 2 shown]
	v_mov_b32_e32 v10, 0x400
	v_cmp_eq_u32_e32 vcc, 0, v16
	v_cndmask_b32_e64 v134, v13, v14, s[2:3]
	v_xor_b32_e32 v13, v12, v19
	v_and_b32_e32 v15, 7, v0
	v_cndmask_b32_e64 v16, v10, 64, vcc
	v_or_b32_e32 v14, 0x440, v13
	v_lshl_or_b32 v128, v17, 3, v78
	v_lshlrev_b32_e32 v17, 3, v15
	v_or_b32_e32 v18, 32, v19
	v_or_b32_e32 v20, 0x60, v19
	v_cndmask_b32_e32 v14, v14, v13, vcc
	v_or3_b32 v13, v11, v16, v13
	v_lshlrev_b32_e32 v15, 7, v15
	v_xor_b32_e32 v18, v12, v18
	v_xor_b32_e32 v13, v13, v17
	;; [unrolled: 1-line block ×3, first 2 shown]
	v_or_b32_e32 v21, 0x440, v18
	v_or_b32_e32 v135, v13, v15
	v_xor_b32_e32 v13, 0x440, v12
	v_cndmask_b32_e32 v18, v21, v18, vcc
	v_cndmask_b32_e32 v12, v13, v12, vcc
	v_or_b32_e32 v111, 0x4000, v7
	v_or_b32_e32 v112, 0x6000, v7
	v_lshrrev_b32_e32 v7, 2, v86
	v_or_b32_e32 v8, s36, v45
	v_or_b32_e32 v14, v14, v11
	v_or_b32_e32 v18, v18, v11
	v_or_b32_e32 v11, v12, v11
	v_and_b32_e32 v7, 12, v7
	v_ashrrev_i32_e32 v9, 31, v8
	v_xor_b32_e32 v14, v14, v17
	v_xor_b32_e32 v18, v18, v17
	;; [unrolled: 1-line block ×3, first 2 shown]
	v_or_b32_e32 v10, v1, v7
	v_add_u32_e32 v19, v3, v14
	v_add_u32_e32 v21, v3, v18
	;; [unrolled: 1-line block ×3, first 2 shown]
	v_or3_b32 v12, v1, v7, 64
	v_add_u32_e32 v7, 0xa000, v14
	v_add_u32_e32 v14, 0xa000, v18
	;; [unrolled: 1-line block ×3, first 2 shown]
	v_lshlrev_b64 v[8:9], 1, v[8:9]
	v_lshl_add_u64 v[80:81], s[8:9], 0, v[8:9]
	v_lshl_add_u64 v[82:83], s[14:15], 0, v[8:9]
	;; [unrolled: 1-line block ×3, first 2 shown]
	s_mov_b32 s21, 0x7060302
	v_lshlrev_b32_e32 v78, 1, v6
	s_movk_i32 s37, 0x2000
	v_lshlrev_b32_e32 v137, 2, v10
	v_add_u32_e32 v138, v19, v15
	v_add_u32_e32 v139, v21, v15
	;; [unrolled: 1-line block ×4, first 2 shown]
	v_lshlrev_b32_e32 v142, 2, v12
	v_add_u32_e32 v143, v7, v15
	v_add_u32_e32 v144, v14, v15
	v_add_u32_e32 v145, v11, v15
	v_mov_b32_e32 v77, v79
	v_mov_b32_e32 v62, v79
	;; [unrolled: 1-line block ×25, first 2 shown]
	s_waitcnt lgkmcnt(0)
	s_barrier
.LBB135_6:                              ; =>This Inner Loop Header: Depth=1
	s_add_i32 s62, s61, 1
	s_cmp_lt_i32 s62, s47
	s_mov_b64 s[28:29], 0
	s_cselect_b64 s[2:3], -1, 0
	s_cmp_ge_i32 s62, s47
	s_mov_b64 s[24:25], 0
	s_cbranch_scc1 .LBB135_8
; %bb.7:                                ;   in Loop: Header=BB135_6 Depth=1
	s_add_i32 s0, s54, 64
	s_ashr_i32 s1, s0, 31
	s_add_u32 s0, s51, s0
	s_addc_u32 s1, s50, s1
	s_lshl_b64 s[0:1], s[0:1], 8
	s_add_u32 s24, s6, s0
	s_addc_u32 s25, s7, s1
.LBB135_8:                              ;   in Loop: Header=BB135_6 Depth=1
	v_cndmask_b32_e64 v2, 0, 1, s[2:3]
	v_cmp_ne_u32_e64 s[0:1], 1, v2
	s_andn2_b64 vcc, exec, s[2:3]
	s_cbranch_vccnz .LBB135_10
; %bb.9:                                ;   in Loop: Header=BB135_6 Depth=1
	s_add_i32 s2, s54, 64
	s_mul_hi_i32 s3, s2, s18
	s_mul_i32 s2, s2, s18
	s_add_u32 s2, s2, s52
	s_addc_u32 s3, s3, s56
	s_lshl_b64 s[2:3], s[2:3], 8
	s_add_u32 s28, s4, s2
	s_addc_u32 s29, s5, s3
.LBB135_10:                             ;   in Loop: Header=BB135_6 Depth=1
	v_perm_b32 v3, v77, v76, s21
	v_perm_b32 v2, v75, v74, s21
	v_perm_b32 v5, v73, v72, s21
	v_perm_b32 v4, v71, v70, s21
	ds_write_b64 v99, v[2:3]
	ds_write_b64 v100, v[4:5]
	ds_write_b64 v105, v[2:3]
	ds_write_b64 v106, v[4:5]
	v_perm_b32 v3, v69, v68, s21
	v_perm_b32 v2, v67, v66, s21
	v_perm_b32 v5, v65, v64, s21
	v_perm_b32 v4, v63, v62, s21
	ds_write_b64 v101, v[2:3]
	ds_write_b64 v102, v[4:5]
	ds_write_b64 v107, v[2:3]
	ds_write_b64 v108, v[4:5]
	;; [unrolled: 8-line block ×4, first 2 shown]
	s_waitcnt lgkmcnt(0)
	s_barrier
	ds_read_b64 v[6:7], v115 offset:49152
	ds_read2_b64 v[2:5], v116 offset1:16
	ds_read_b64 v[18:19], v118 offset:6144
	ds_read_b64 v[20:21], v116 offset:6144
	s_waitcnt lgkmcnt(2)
	v_mfma_f32_16x16x16_bf16 a[0:3], v[6:7], v[2:3], 0
	ds_read_b64 v[22:23], v117 offset:49152
	ds_read2st64_b64 v[10:13], v119 offset0:4 offset1:8
	ds_read2st64_b64 v[14:17], v120 offset0:4 offset1:8
	v_mfma_f32_16x16x16_bf16 a[4:7], v[6:7], v[4:5], 0
	ds_read2_b64 v[2:5], v116 offset0:32 offset1:48
	s_add_i32 s63, s54, 63
	s_ashr_i32 s2, s63, 31
	s_waitcnt lgkmcnt(0)
	v_mfma_f32_16x16x16_bf16 a[8:11], v[6:7], v[2:3], 0
	s_mul_i32 s3, s63, s35
	s_mul_hi_u32 s31, s63, s34
	s_add_i32 s3, s31, s3
	v_mfma_f32_16x16x16_bf16 a[12:15], v[6:7], v[4:5], 0
	ds_read2st64_b64 v[2:5], v116 offset0:4 offset1:8
	ds_read2st64_b64 v[6:9], v118 offset0:4 offset1:8
	s_mul_i32 s2, s2, s34
	s_waitcnt lgkmcnt(1)
	v_mfma_f32_16x16x16_bf16 a[0:3], v[22:23], v[2:3], a[0:3]
	s_add_i32 s3, s3, s2
	s_mul_i32 s2, s63, s34
	s_lshl_b64 s[2:3], s[2:3], 2
	s_waitcnt lgkmcnt(0)
	v_mfma_f32_16x16x16_bf16 a[4:7], v[22:23], v[6:7], a[4:7]
	s_add_u32 s2, s42, s2
	s_addc_u32 s3, s43, s3
	s_and_b64 vcc, exec, s[0:1]
	v_mfma_f32_16x16x16_bf16 a[8:11], v[22:23], v[10:11], a[8:11]
	ds_read_b64 v[2:3], v121 offset:49152
	ds_read_b64 v[6:7], v122 offset:49152
	;; [unrolled: 1-line block ×3, first 2 shown]
	v_mov_b32_e32 v148, 0
	v_mov_b32_e32 v147, 0
	v_mfma_f32_16x16x16_bf16 a[12:15], v[22:23], v[14:15], a[12:15]
	v_mov_b32_e32 v146, 0
	v_mov_b32_e32 v14, 0
	;; [unrolled: 1-line block ×3, first 2 shown]
	s_waitcnt lgkmcnt(2)
	v_mfma_f32_16x16x16_bf16 a[0:3], v[2:3], v[4:5], a[0:3]
	v_mov_b32_e32 v4, 0
	v_mov_b32_e32 v5, 0
	v_mfma_f32_16x16x16_bf16 a[16:19], v[2:3], v[8:9], a[4:7]
	v_mov_b32_e32 v8, 0
	v_mov_b32_e32 v9, 0
	;; [unrolled: 3-line block ×3, first 2 shown]
	v_mfma_f32_16x16x16_bf16 a[24:27], v[2:3], v[16:17], a[12:15]
	ds_read_b64 v[2:3], v119 offset:6144
	v_mov_b32_e32 v16, 0
	v_mov_b32_e32 v17, 0
	s_waitcnt lgkmcnt(2)
	v_mfma_f32_16x16x16_bf16 a[4:7], v[6:7], v[20:21], a[0:3]
	v_mfma_f32_16x16x16_bf16 a[8:11], v[6:7], v[18:19], a[16:19]
	s_waitcnt lgkmcnt(0)
	v_mfma_f32_16x16x16_bf16 a[12:15], v[6:7], v[2:3], a[20:23]
	v_mov_b32_e32 v2, 0
	v_mov_b32_e32 v3, 0
	v_mfma_f32_16x16x16_bf16 a[0:3], v[6:7], v[10:11], a[24:27]
	v_mov_b32_e32 v6, 0
	v_mov_b32_e32 v7, 0
	;; [unrolled: 1-line block ×4, first 2 shown]
	s_cbranch_vccnz .LBB135_12
; %bb.11:                               ;   in Loop: Header=BB135_6 Depth=1
	s_and_b32 s25, s25, 0xffff
	buffer_load_dwordx4 v[14:17], v95, s[24:27], 0 offen
	buffer_load_dwordx4 v[10:13], v95, s[24:27], s57 offen
	buffer_load_dwordx4 v[6:9], v96, s[24:27], 0 offen
	buffer_load_dwordx4 v[2:5], v96, s[24:27], s57 offen
	v_mov_b32_e32 v147, v97
	v_mov_b32_e32 v146, v98
.LBB135_12:                             ;   in Loop: Header=BB135_6 Depth=1
	ds_read_b64 v[30:31], v115 offset:57344
	ds_read2_b64 v[18:21], v123 offset1:16
	ds_read_b64 v[34:35], v117 offset:57344
	ds_read_b64 v[36:37], v121 offset:57344
	;; [unrolled: 1-line block ×3, first 2 shown]
	v_add_u32_e32 v32, s54, v136
	s_waitcnt lgkmcnt(3)
	v_mfma_f32_16x16x16_bf16 a[4:7], v[30:31], v[18:19], a[4:7]
	v_mfma_f32_16x16x16_bf16 a[8:11], v[30:31], v[20:21], a[8:11]
	ds_read2_b64 v[18:21], v123 offset0:32 offset1:48
	ds_read2st64_b64 v[22:25], v123 offset0:4 offset1:8
	ds_read2st64_b64 v[26:29], v124 offset0:4 offset1:8
	s_waitcnt lgkmcnt(2)
	v_mfma_f32_16x16x16_bf16 a[12:15], v[30:31], v[18:19], a[12:15]
	v_ashrrev_i32_e32 v18, 31, v32
	v_mul_lo_u32 v33, v18, s34
	v_mad_u64_u32 v[18:19], s[24:25], v32, s34, 0
	v_mfma_f32_16x16x16_bf16 a[0:3], v[30:31], v[20:21], a[0:3]
	v_mul_lo_u32 v20, v32, s35
	v_add3_u32 v19, v19, v20, v33
	v_add_u32_e32 v20, 1, v32
	v_ashrrev_i32_e32 v21, 31, v20
	s_waitcnt lgkmcnt(1)
	v_mfma_f32_16x16x16_bf16 a[4:7], v[34:35], v[22:23], a[4:7]
	v_mul_lo_u32 v22, v21, s34
	v_mul_lo_u32 v23, v20, s35
	v_mad_u64_u32 v[20:21], s[24:25], v20, s34, 0
	v_add3_u32 v21, v21, v23, v22
	v_add_u32_e32 v22, 2, v32
	v_ashrrev_i32_e32 v23, 31, v22
	v_mul_lo_u32 v30, v23, s34
	v_mul_lo_u32 v31, v22, s35
	v_mad_u64_u32 v[22:23], s[24:25], v22, s34, 0
	v_add3_u32 v23, v23, v31, v30
	v_add_u32_e32 v30, 3, v32
	v_ashrrev_i32_e32 v31, 31, v30
	v_mul_lo_u32 v32, v31, s34
	v_mul_lo_u32 v33, v30, s35
	v_mad_u64_u32 v[30:31], s[24:25], v30, s34, 0
	s_ashr_i32 s25, s54, 31
	s_add_u32 s24, s51, s54
	s_addc_u32 s25, s50, s25
	v_lshl_add_u64 v[18:19], v[18:19], 2, s[42:43]
	v_add3_u32 v31, v31, v33, v32
	s_lshl_b64 s[24:25], s[24:25], 8
	v_lshl_add_u64 v[20:21], v[20:21], 2, s[42:43]
	v_lshl_add_u64 v[22:23], v[22:23], 2, s[42:43]
	;; [unrolled: 1-line block ×3, first 2 shown]
	global_load_dword v40, v[18:19], off
	global_load_dword v41, v[20:21], off
	;; [unrolled: 1-line block ×4, first 2 shown]
	v_lshl_add_u64 v[18:19], v[80:81], 0, s[24:25]
	v_lshl_add_u64 v[22:23], v[18:19], 0, v[78:79]
	global_load_ushort v44, v[22:23], off offset:256
	global_load_ushort v149, v[22:23], off
	ds_read2st64_b64 v[18:21], v125 offset0:4 offset1:8
	global_load_ushort v150, v[22:23], off offset:768
	global_load_ushort v151, v[22:23], off offset:512
	ds_read2st64_b64 v[30:33], v126 offset0:4 offset1:8
	global_load_ushort v152, v[22:23], off offset:288
	global_load_ushort v153, v[22:23], off offset:32
	;; [unrolled: 1-line block ×4, first 2 shown]
	s_waitcnt lgkmcnt(2)
	v_mfma_f32_16x16x16_bf16 a[8:11], v[34:35], v[26:27], a[8:11]
	global_load_ushort v156, v[22:23], off offset:320
	global_load_ushort v157, v[22:23], off offset:64
	;; [unrolled: 1-line block ×4, first 2 shown]
	s_and_b64 vcc, exec, s[0:1]
	s_waitcnt lgkmcnt(1)
	v_mfma_f32_16x16x16_bf16 a[12:15], v[34:35], v[18:19], a[12:15]
	ds_read_b64 v[18:19], v123 offset:6144
	s_waitcnt lgkmcnt(1)
	v_mfma_f32_16x16x16_bf16 a[0:3], v[34:35], v[30:31], a[0:3]
	v_lshl_add_u64 v[30:31], v[82:83], 0, s[24:25]
	v_lshl_add_u64 v[30:31], v[30:31], 0, v[78:79]
	v_mfma_f32_16x16x16_bf16 a[4:7], v[36:37], v[24:25], a[4:7]
	v_mfma_f32_16x16x16_bf16 a[8:11], v[36:37], v[28:29], a[8:11]
	v_mfma_f32_16x16x16_bf16 a[12:15], v[36:37], v[20:21], a[12:15]
	v_mfma_f32_16x16x16_bf16 a[0:3], v[36:37], v[32:33], a[0:3]
	global_load_ushort v36, v[22:23], off offset:352
	global_load_ushort v37, v[22:23], off offset:96
	ds_read_b64 v[20:21], v124 offset:6144
	ds_read_b64 v[24:25], v125 offset:6144
	;; [unrolled: 1-line block ×3, first 2 shown]
	s_load_dword s2, s[2:3], 0x0
	global_load_ushort v160, v[22:23], off offset:864
	global_load_ushort v161, v[22:23], off offset:608
	s_waitcnt lgkmcnt(0)
	v_mfma_f32_16x16x16_bf16 a[4:7], v[38:39], v[18:19], a[4:7]
	s_waitcnt vmcnt(17)
	v_sub_f32_e32 v28, s2, v42
	v_mfma_f32_16x16x16_bf16 a[0:3], v[38:39], v[26:27], a[0:3]
	v_sub_f32_e32 v26, s2, v40
	v_sub_f32_e32 v27, s2, v41
	s_waitcnt vmcnt(16)
	v_sub_f32_e32 v29, s2, v43
	v_mfma_f32_16x16x16_bf16 a[8:11], v[38:39], v[20:21], a[8:11]
	v_exp_f32_e32 v26, v26
	v_exp_f32_e32 v27, v27
	;; [unrolled: 1-line block ×4, first 2 shown]
	v_accvgpr_read_b32 v35, a5
	s_waitcnt vmcnt(15)
	v_lshlrev_b32_e32 v33, 16, v44
	s_waitcnt vmcnt(14)
	v_lshlrev_b32_e32 v32, 16, v149
	v_accvgpr_read_b32 v34, a4
	v_accvgpr_read_b32 v19, a7
	;; [unrolled: 1-line block ×3, first 2 shown]
	v_pk_add_f32 v[32:33], v[32:33], v[34:35] neg_lo:[0,1] neg_hi:[0,1]
	s_waitcnt vmcnt(13)
	v_lshlrev_b32_e32 v35, 16, v150
	s_waitcnt vmcnt(12)
	v_lshlrev_b32_e32 v34, 16, v151
	v_pk_add_f32 v[18:19], v[34:35], v[18:19] neg_lo:[0,1] neg_hi:[0,1]
	global_store_short_d16_hi v[30:31], v32, off
	global_store_short_d16_hi v[30:31], v33, off offset:256
	global_store_short_d16_hi v[30:31], v18, off offset:512
	;; [unrolled: 1-line block ×3, first 2 shown]
	v_pk_mul_f32 v[32:33], v[26:27], v[32:33]
	v_pk_mul_f32 v[18:19], v[28:29], v[18:19]
	v_accvgpr_read_b32 v35, a9
	v_perm_b32 v32, v33, v32, s21
	v_perm_b32 v33, v19, v18, s21
	s_waitcnt vmcnt(15)
	v_lshlrev_b32_e32 v19, 16, v152
	s_waitcnt vmcnt(14)
	v_lshlrev_b32_e32 v18, 16, v153
	v_accvgpr_read_b32 v34, a8
	v_accvgpr_read_b32 v21, a11
	v_mfma_f32_16x16x16_bf16 a[12:15], v[38:39], v[24:25], a[12:15]
	v_accvgpr_read_b32 v20, a10
	v_pk_add_f32 v[18:19], v[18:19], v[34:35] neg_lo:[0,1] neg_hi:[0,1]
	s_waitcnt vmcnt(13)
	v_lshlrev_b32_e32 v35, 16, v154
	s_waitcnt vmcnt(12)
	v_lshlrev_b32_e32 v34, 16, v155
	v_pk_add_f32 v[20:21], v[34:35], v[20:21] neg_lo:[0,1] neg_hi:[0,1]
	global_store_short_d16_hi v[30:31], v18, off offset:32
	global_store_short_d16_hi v[30:31], v19, off offset:288
	;; [unrolled: 1-line block ×4, first 2 shown]
	v_pk_mul_f32 v[18:19], v[26:27], v[18:19]
	v_pk_mul_f32 v[20:21], v[28:29], v[20:21]
	v_accvgpr_read_b32 v23, a15
	v_perm_b32 v21, v21, v20, s21
	v_perm_b32 v20, v19, v18, s21
	ds_write2_b64 v100, v[32:33], v[20:21] offset1:16
	v_accvgpr_read_b32 v21, a13
	s_waitcnt vmcnt(15)
	v_lshlrev_b32_e32 v19, 16, v156
	s_waitcnt vmcnt(14)
	v_lshlrev_b32_e32 v18, 16, v157
	v_accvgpr_read_b32 v20, a12
	v_accvgpr_read_b32 v22, a14
	v_pk_add_f32 v[18:19], v[18:19], v[20:21] neg_lo:[0,1] neg_hi:[0,1]
	s_waitcnt vmcnt(13)
	v_lshlrev_b32_e32 v21, 16, v158
	s_waitcnt vmcnt(12)
	v_lshlrev_b32_e32 v20, 16, v159
	v_pk_add_f32 v[20:21], v[20:21], v[22:23] neg_lo:[0,1] neg_hi:[0,1]
	global_store_short_d16_hi v[30:31], v18, off offset:64
	global_store_short_d16_hi v[30:31], v19, off offset:320
	;; [unrolled: 1-line block ×4, first 2 shown]
	v_pk_mul_f32 v[18:19], v[26:27], v[18:19]
	v_pk_mul_f32 v[20:21], v[28:29], v[20:21]
	v_accvgpr_read_b32 v23, a1
	v_perm_b32 v18, v19, v18, s21
	v_perm_b32 v19, v21, v20, s21
	s_waitcnt vmcnt(15)
	v_lshlrev_b32_e32 v21, 16, v36
	s_waitcnt vmcnt(14)
	v_lshlrev_b32_e32 v20, 16, v37
	v_accvgpr_read_b32 v22, a0
	v_accvgpr_read_b32 v25, a3
	;; [unrolled: 1-line block ×3, first 2 shown]
	v_pk_add_f32 v[20:21], v[20:21], v[22:23] neg_lo:[0,1] neg_hi:[0,1]
	s_waitcnt vmcnt(13)
	v_lshlrev_b32_e32 v23, 16, v160
	s_waitcnt vmcnt(12)
	v_lshlrev_b32_e32 v22, 16, v161
	v_pk_add_f32 v[22:23], v[22:23], v[24:25] neg_lo:[0,1] neg_hi:[0,1]
	global_store_short_d16_hi v[30:31], v20, off offset:96
	global_store_short_d16_hi v[30:31], v21, off offset:352
	;; [unrolled: 1-line block ×4, first 2 shown]
	v_pk_mul_f32 v[20:21], v[26:27], v[20:21]
	v_pk_mul_f32 v[22:23], v[28:29], v[22:23]
	v_mov_b32_e32 v149, 0
	v_perm_b32 v23, v23, v22, s21
	v_perm_b32 v22, v21, v20, s21
	ds_write2_b64 v100, v[18:19], v[22:23] offset0:32 offset1:48
	v_mov_b32_e32 v18, 0
	v_mov_b32_e32 v19, 0
	;; [unrolled: 1-line block ×16, first 2 shown]
	s_cbranch_vccnz .LBB135_14
; %bb.13:                               ;   in Loop: Header=BB135_6 Depth=1
	s_and_b32 s29, s29, 0xffff
	s_mov_b32 s31, s27
	buffer_load_dwordx4 v[30:33], v133, s[28:31], 0 offen
	buffer_load_dwordx4 v[22:25], v133, s[28:31], s57 offen
	;; [unrolled: 1-line block ×4, first 2 shown]
	v_mov_b32_e32 v148, v94
	v_mov_b32_e32 v149, v93
.LBB135_14:                             ;   in Loop: Header=BB135_6 Depth=1
	s_waitcnt lgkmcnt(0)
	s_barrier
	ds_read_b64 v[42:43], v138
	ds_read2_b64 v[34:37], v129 offset1:16
	ds_read_b64 v[166:167], v139
	ds_read_b64 v[168:169], v140
	;; [unrolled: 1-line block ×3, first 2 shown]
	ds_read2_b64 v[38:41], v129 offset0:32 offset1:48
	ds_read2st64_b64 v[150:153], v129 offset0:4 offset1:8
	ds_read2st64_b64 v[154:157], v130 offset0:4 offset1:8
	;; [unrolled: 1-line block ×4, first 2 shown]
	s_waitcnt lgkmcnt(8)
	v_mfma_f32_16x16x16_bf16 a[0:3], v[42:43], v[34:35], 0
	s_add_i32 s3, s48, s61
	s_mul_hi_i32 s25, s3, s53
	s_mul_i32 s3, s3, s53
	v_mfma_f32_16x16x16_bf16 a[4:7], v[42:43], v[36:37], 0
	s_add_u32 s24, s3, s33
	s_addc_u32 s25, s25, s55
	s_lshl_b64 s[24:25], s[24:25], 15
	s_waitcnt lgkmcnt(4)
	v_mfma_f32_16x16x16_bf16 a[8:11], v[42:43], v[38:39], 0
	s_mul_i32 s28, s63, s53
	s_mul_hi_i32 s3, s63, s53
	s_add_u32 s28, s28, s33
	v_mfma_f32_16x16x16_bf16 a[12:15], v[42:43], v[40:41], 0
	ds_read_b64 v[42:43], v129 offset:6144
	ds_read_b64 v[178:179], v130 offset:6144
	;; [unrolled: 1-line block ×4, first 2 shown]
	s_addc_u32 s29, s3, s55
	s_waitcnt lgkmcnt(7)
	v_mfma_f32_16x16x16_bf16 a[0:3], v[166:167], v[150:151], a[0:3]
	s_lshl_b64 s[28:29], s[28:29], 9
	s_add_u32 s28, s40, s28
	s_addc_u32 s29, s41, s29
	s_waitcnt lgkmcnt(6)
	v_mfma_f32_16x16x16_bf16 a[4:7], v[166:167], v[154:155], a[4:7]
	v_lshl_add_u64 v[188:189], v[84:85], 0, s[24:25]
	s_waitcnt lgkmcnt(5)
	v_mfma_f32_16x16x16_bf16 a[8:11], v[166:167], v[158:159], a[8:11]
	s_waitcnt lgkmcnt(4)
	v_mfma_f32_16x16x16_bf16 a[12:15], v[166:167], v[162:163], a[12:15]
	ds_read_b64 v[166:167], v143
	ds_read_b64 v[176:177], v144
	;; [unrolled: 1-line block ×3, first 2 shown]
	s_waitcnt lgkmcnt(2)
	v_mfma_f32_16x16x16_bf16 a[16:19], v[166:167], v[34:35], 0
	v_mfma_f32_16x16x16_bf16 a[20:23], v[166:167], v[36:37], 0
	global_load_dwordx4 v[34:37], v142, s[28:29]
	v_mfma_f32_16x16x16_bf16 a[24:27], v[166:167], v[38:39], 0
	v_mfma_f32_16x16x16_bf16 a[28:31], v[166:167], v[40:41], 0
	global_load_dwordx4 v[38:41], v137, s[28:29]
	v_mfma_f32_16x16x16_bf16 a[0:3], v[168:169], v[152:153], a[0:3]
	v_mfma_f32_16x16x16_bf16 a[4:7], v[168:169], v[156:157], a[4:7]
	;; [unrolled: 1-line block ×8, first 2 shown]
	ds_read2st64_b64 v[166:169], v127 offset1:8
	ds_read2st64_b64 v[170:173], v128 offset1:8
	ds_read_b64 v[186:187], v135 offset:40960
	s_waitcnt lgkmcnt(2)
	v_mov_b32_e32 v174, v166
	v_mfma_f32_16x16x16_bf16 a[16:19], v[176:177], v[150:151], a[16:19]
	v_mov_b32_e32 v175, v167
	v_mfma_f32_16x16x16_bf16 a[20:23], v[176:177], v[154:155], a[20:23]
	v_mfma_f32_16x16x16_bf16 a[24:27], v[176:177], v[158:159], a[24:27]
	;; [unrolled: 1-line block ×3, first 2 shown]
	v_add_co_u32_e32 v162, vcc, s37, v188
	s_waitcnt lgkmcnt(1)
	v_mov_b32_e32 v176, v170
	s_waitcnt lgkmcnt(0)
	v_mfma_f32_16x16x16_bf16 a[16:19], v[186:187], v[152:153], a[16:19]
	ds_read2st64_b64 v[150:153], v127 offset0:16 offset1:24
	v_addc_co_u32_e32 v163, vcc, 0, v189, vcc
	v_mfma_f32_16x16x16_bf16 a[20:23], v[186:187], v[156:157], a[20:23]
	ds_read2st64_b64 v[154:157], v128 offset0:16 offset1:24
	v_mov_b32_e32 v177, v171
	v_mov_b32_e32 v170, v168
	v_mfma_f32_16x16x16_bf16 a[32:35], v[186:187], v[160:161], a[24:27]
	v_mov_b32_e32 v171, v169
	s_waitcnt lgkmcnt(0)
	v_mov_b32_e32 v160, v154
	v_mov_b32_e32 v161, v155
	v_mfma_f32_16x16x16_bf16 a[36:39], v[186:187], v[164:165], a[28:31]
	v_mov_b32_e32 v154, v152
	v_mov_b32_e32 v155, v153
	;; [unrolled: 1-line block ×3, first 2 shown]
	v_mfma_f32_16x16x16_bf16 a[24:27], v[184:185], v[42:43], a[16:19]
	v_add_co_u32_e32 v42, vcc, s60, v188
	v_mov_b32_e32 v159, v151
	v_mfma_f32_16x16x16_bf16 a[28:31], v[184:185], v[178:179], a[20:23]
	v_addc_co_u32_e32 v43, vcc, 0, v189, vcc
	global_store_dwordx4 v[42:43], v[154:157], off
	v_mfma_f32_16x16x16_bf16 a[16:19], v[184:185], v[180:181], a[32:35]
	s_waitcnt vmcnt(2)
	v_mov_b32_e32 v44, v37
	v_mov_b32_e32 v43, v36
	;; [unrolled: 1-line block ×3, first 2 shown]
	v_mfma_f32_16x16x16_bf16 a[20:23], v[184:185], v[182:183], a[36:39]
	s_and_b64 vcc, exec, s[0:1]
	global_store_dwordx4 v[188:189], v[174:177], off
	global_store_dwordx4 v[162:163], v[170:173], off offset:-4096
	global_store_dwordx4 v[162:163], v[158:161], off
	s_cbranch_vccnz .LBB135_16
; %bb.15:                               ;   in Loop: Header=BB135_6 Depth=1
	v_lshrrev_b32_e32 v35, 3, v148
	v_and_b32_e32 v35, 6, v35
	v_xor_b32_e32 v36, v35, v149
	v_lshlrev_b32_e32 v36, 2, v36
	v_and_b32_e32 v37, 8, v148
	v_xor_b32_e32 v148, 0x440, v36
	v_cmp_eq_u32_e32 vcc, 0, v37
	v_perm_b32 v37, v22, v18, s58
	s_nop 0
	v_cndmask_b32_e32 v36, v148, v36, vcc
	v_lshl_or_b32 v35, v35, 10, v36
	v_perm_b32 v36, v30, v26, s58
	s_barrier
	ds_write2st64_b32 v35, v36, v37 offset0:128 offset1:160
	v_xor_b32_e32 v36, 8, v35
	v_perm_b32 v26, v30, v26, s59
	v_perm_b32 v18, v22, v18, s59
	v_add_u32_e32 v22, 0x80, v36
	ds_write2st64_b32 v22, v26, v18 offset0:128 offset1:160
	v_xor_b32_e32 v18, 16, v35
	v_perm_b32 v22, v31, v27, s58
	v_perm_b32 v26, v23, v19, s58
	ds_write2st64_b32 v18, v22, v26 offset0:129 offset1:161
	v_xor_b32_e32 v18, 24, v35
	v_perm_b32 v22, v31, v27, s59
	v_perm_b32 v19, v23, v19, s59
	v_add_u32_e32 v18, 0x80, v18
	ds_write2st64_b32 v18, v22, v19 offset0:129 offset1:161
	v_xor_b32_e32 v18, 32, v35
	v_perm_b32 v19, v32, v28, s58
	v_perm_b32 v22, v24, v20, s58
	;; [unrolled: 9-line block ×3, first 2 shown]
	ds_write2st64_b32 v18, v19, v20 offset0:131 offset1:163
	v_xor_b32_e32 v18, 56, v35
	v_perm_b32 v19, v33, v29, s59
	v_perm_b32 v20, v25, v21, s59
	v_add_u32_e32 v18, 0x80, v18
	ds_write2st64_b32 v18, v19, v20 offset0:131 offset1:163
	ds_write_b64 v147, v[14:15] offset:49152
	v_xor_b32_e32 v14, 8, v147
	ds_write_b64 v14, v[16:17] offset:49152
	ds_write_b64 v147, v[10:11] offset:57344
	;; [unrolled: 1-line block ×4, first 2 shown]
	v_xor_b32_e32 v6, 8, v146
	ds_write_b64 v6, v[8:9] offset:49152
	ds_write_b64 v146, v[2:3] offset:57344
	;; [unrolled: 1-line block ×3, first 2 shown]
.LBB135_16:                             ;   in Loop: Header=BB135_6 Depth=1
	v_exp_f32_e32 v36, s2
	s_waitcnt vmcnt(4)
	v_exp_f32_e32 v38, v38
	v_exp_f32_e32 v39, v39
	;; [unrolled: 1-line block ×4, first 2 shown]
	v_accvgpr_read_b32 v5, a3
	v_accvgpr_read_b32 v4, a2
	;; [unrolled: 1-line block ×4, first 2 shown]
	v_pk_mul_f32 v[38:39], v[36:37], v[38:39] op_sel_hi:[0,1]
	v_pk_mul_f32 v[40:41], v[36:37], v[40:41] op_sel_hi:[0,1]
	v_pk_fma_f32 v[74:75], v[74:75], v[38:39], v[2:3]
	v_pk_fma_f32 v[76:77], v[76:77], v[40:41], v[4:5]
	v_exp_f32_e32 v2, v34
	v_exp_f32_e32 v3, v42
	;; [unrolled: 1-line block ×4, first 2 shown]
	v_accvgpr_read_b32 v9, a7
	v_accvgpr_read_b32 v13, a11
	v_accvgpr_read_b32 v17, a15
	v_accvgpr_read_b32 v18, a24
	v_accvgpr_read_b32 v22, a28
	v_accvgpr_read_b32 v29, a19
	v_accvgpr_read_b32 v33, a23
	v_accvgpr_read_b32 v8, a6
	v_accvgpr_read_b32 v7, a5
	v_accvgpr_read_b32 v6, a4
	v_accvgpr_read_b32 v12, a10
	v_accvgpr_read_b32 v11, a9
	v_accvgpr_read_b32 v10, a8
	v_accvgpr_read_b32 v16, a14
	v_accvgpr_read_b32 v15, a13
	v_accvgpr_read_b32 v14, a12
	v_accvgpr_read_b32 v19, a25
	v_accvgpr_read_b32 v20, a26
	v_accvgpr_read_b32 v21, a27
	v_accvgpr_read_b32 v23, a29
	v_accvgpr_read_b32 v24, a30
	v_accvgpr_read_b32 v25, a31
	v_accvgpr_read_b32 v28, a18
	v_accvgpr_read_b32 v27, a17
	v_accvgpr_read_b32 v26, a16
	v_accvgpr_read_b32 v32, a22
	v_accvgpr_read_b32 v31, a21
	v_accvgpr_read_b32 v30, a20
	v_pk_mul_f32 v[2:3], v[36:37], v[2:3] op_sel_hi:[0,1]
	v_pk_mul_f32 v[4:5], v[36:37], v[4:5] op_sel_hi:[0,1]
	s_add_i32 s54, s54, 64
	v_pk_fma_f32 v[66:67], v[38:39], v[66:67], v[6:7]
	v_pk_fma_f32 v[68:69], v[40:41], v[68:69], v[8:9]
	;; [unrolled: 1-line block ×13, first 2 shown]
	s_cmp_eq_u32 s47, s62
	v_pk_fma_f32 v[50:51], v[4:5], v[50:51], v[32:33]
	s_cbranch_scc1 .LBB135_18
; %bb.17:                               ;   in Loop: Header=BB135_6 Depth=1
	s_mov_b32 s61, s62
	s_branch .LBB135_6
.LBB135_18:
	s_lshl_b32 s0, s47, 6
	s_sub_i32 s42, s49, s0
	s_cmp_gt_i32 s42, 0
	s_cbranch_scc0 .LBB135_99
; %bb.19:
	s_add_i32 s38, s0, s38
	s_ashr_i32 s2, s38, 31
	s_cmpk_lg_i32 s19, 0x80
	s_cselect_b64 s[30:31], -1, 0
	s_and_b64 vcc, exec, s[30:31]
	s_cbranch_vccz .LBB135_21
; %bb.20:
	s_mul_i32 s1, s38, s18
	s_ashr_i32 s3, s52, 31
	s_mul_hi_i32 s0, s38, s18
	s_add_u32 s40, s1, s52
	s_addc_u32 s41, s0, s3
	s_cbranch_execz .LBB135_22
	s_branch .LBB135_23
.LBB135_21:
                                        ; implicit-def: $sgpr40_sgpr41
.LBB135_22:
	s_mul_i32 s1, s52, s16
	s_mul_hi_i32 s0, s52, s16
	s_add_u32 s40, s1, s38
	s_addc_u32 s41, s0, s2
.LBB135_23:
	s_add_i32 s3, s47, s48
	s_ashr_i32 s16, s33, 31
	s_add_u32 s0, s51, s38
	v_lshlrev_b32_e32 v6, 6, v91
	v_lshlrev_b32_e32 v24, 2, v45
	s_addc_u32 s1, s50, s2
	s_mov_b32 s2, 0x7060302
	v_or_b32_e32 v9, v6, v24
	v_xor_b32_e32 v7, v91, v24
	v_perm_b32 v3, v77, v76, s2
	v_perm_b32 v2, v75, v74, s2
	;; [unrolled: 1-line block ×4, first 2 shown]
	v_lshlrev_b32_e32 v9, 1, v9
	v_xor_b32_e32 v8, v92, v24
	ds_write2st64_b64 v9, v[2:3], v[4:5] offset0:32 offset1:48
	v_lshlrev_b32_e32 v7, 1, v7
	v_lshlrev_b32_e32 v9, 8, v45
	v_or_b32_e32 v10, v7, v9
	v_lshlrev_b32_e32 v8, 1, v8
	ds_write_b64 v10, v[2:3]
	v_or_b32_e32 v2, v8, v9
	v_or_b32_e32 v9, 16, v45
	v_lshlrev_b32_e32 v23, 2, v9
	v_or_b32_e32 v10, v6, v23
	ds_write_b64 v2, v[4:5]
	v_perm_b32 v3, v69, v68, s2
	v_perm_b32 v2, v67, v66, s2
	;; [unrolled: 1-line block ×4, first 2 shown]
	v_lshlrev_b32_e32 v10, 1, v10
	v_lshlrev_b32_e32 v9, 8, v9
	ds_write2st64_b64 v10, v[2:3], v[4:5] offset0:32 offset1:48
	v_or_b32_e32 v10, v7, v9
	ds_write_b64 v10, v[2:3]
	v_or_b32_e32 v2, v8, v9
	v_or_b32_e32 v9, 32, v45
	v_lshlrev_b32_e32 v22, 2, v9
	v_or_b32_e32 v10, v6, v22
	s_lshl_b64 s[28:29], s[0:1], 8
	ds_write_b64 v2, v[4:5]
	v_perm_b32 v3, v61, v60, s2
	v_perm_b32 v2, v59, v58, s2
	;; [unrolled: 1-line block ×4, first 2 shown]
	v_lshlrev_b32_e32 v10, 1, v10
	v_lshlrev_b32_e32 v9, 8, v9
	s_add_u32 s0, s6, s28
	ds_write2st64_b64 v10, v[2:3], v[4:5] offset0:32 offset1:48
	v_or_b32_e32 v10, v7, v9
	s_addc_u32 s1, s7, s29
	ds_write_b64 v10, v[2:3]
	v_or_b32_e32 v2, v8, v9
	v_or_b32_e32 v9, 48, v45
	s_mul_hi_i32 s6, s3, s17
	s_mul_i32 s3, s3, s17
	ds_write_b64 v2, v[4:5]
	v_perm_b32 v3, v47, v46, s2
	v_perm_b32 v2, v53, v52, s2
	;; [unrolled: 1-line block ×4, first 2 shown]
	v_lshlrev_b32_e32 v19, 2, v9
	s_add_u32 s2, s3, s33
	v_or_b32_e32 v6, v6, v19
	s_addc_u32 s3, s6, s16
	v_lshlrev_b32_e32 v6, 1, v6
	s_ashr_i32 s37, s36, 31
	s_lshl_b64 s[2:3], s[2:3], 15
	ds_write2st64_b64 v6, v[2:3], v[4:5] offset0:32 offset1:48
	v_lshlrev_b32_e32 v6, 8, v9
	s_add_u32 s6, s12, s2
	v_or_b32_e32 v7, v7, v6
	s_addc_u32 s7, s13, s3
	s_lshl_b64 s[2:3], s[36:37], 8
	ds_write_b64 v7, v[2:3]
	v_or_b32_e32 v2, v8, v6
	s_add_u32 s2, s6, s2
	v_lshlrev_b32_e32 v3, 1, v45
	ds_write_b64 v2, v[4:5]
	v_lshrrev_b32_e32 v2, 4, v0
	s_addc_u32 s3, s7, s3
	v_or_b32_e32 v4, 1, v3
	v_lshlrev_b32_e32 v10, 4, v45
	v_mov_b32_e32 v11, 0
	v_xor_b32_e32 v3, v2, v3
	v_xor_b32_e32 v6, v4, v2
	v_lshl_add_u64 v[12:13], s[2:3], 0, v[10:11]
	v_lshlrev_b32_e32 v10, 8, v2
	v_lshl_or_b32 v16, v3, 3, v10
	v_lshl_or_b32 v17, v6, 3, v10
	s_waitcnt lgkmcnt(0)
	s_barrier
	ds_read2st64_b64 v[2:5], v16 offset1:8
	ds_read2st64_b64 v[6:9], v17 offset1:8
	v_lshl_add_u64 v[14:15], v[12:13], 0, v[10:11]
	s_movk_i32 s2, 0x2000
	s_cmp_lg_u32 s42, 64
	s_waitcnt lgkmcnt(1)
	v_mov_b32_e32 v10, v2
	v_mov_b32_e32 v11, v3
	s_waitcnt lgkmcnt(0)
	v_mov_b32_e32 v12, v6
	v_mov_b32_e32 v13, v7
	global_store_dwordx4 v[14:15], v[10:13], off
	v_mov_b32_e32 v6, v4
	v_mov_b32_e32 v7, v5
	ds_read2st64_b64 v[2:5], v16 offset0:16 offset1:24
	ds_read2st64_b64 v[10:13], v17 offset0:16 offset1:24
	v_add_co_u32_e32 v16, vcc, s2, v14
	s_cselect_b64 s[6:7], -1, 0
	s_nop 0
	v_addc_co_u32_e32 v17, vcc, 0, v15, vcc
	global_store_dwordx4 v[16:17], v[6:9], off offset:-4096
	v_lshl_or_b32 v25, v87, 3, v90
	s_mov_b32 s24, 0
	s_waitcnt lgkmcnt(1)
	v_mov_b32_e32 v6, v2
	v_add_co_u32_e32 v2, vcc, 0x3000, v14
	v_mov_b32_e32 v7, v3
	s_nop 0
	v_addc_co_u32_e32 v3, vcc, 0, v15, vcc
	s_waitcnt lgkmcnt(0)
	v_mov_b32_e32 v8, v10
	v_mov_b32_e32 v9, v11
	;; [unrolled: 1-line block ×4, first 2 shown]
	v_or_b32_e32 v20, 32, v25
	v_and_b32_e32 v18, 56, v89
	s_and_b64 vcc, exec, s[6:7]
	global_store_dwordx4 v[16:17], v[6:9], off
	global_store_dwordx4 v[2:3], v[10:13], off
	s_cbranch_vccz .LBB135_29
; %bb.24:
	s_mov_b32 s25, s24
	s_mov_b32 s26, s24
	;; [unrolled: 1-line block ×3, first 2 shown]
	v_mov_b64_e32 v[6:7], s[24:25]
	v_mov_b64_e32 v[8:9], s[26:27]
	;; [unrolled: 1-line block ×3, first 2 shown]
	v_cmp_gt_i32_e32 vcc, s42, v25
	v_mov_b64_e32 v[4:5], v[8:9]
	s_and_saveexec_b64 s[2:3], vcc
	s_cbranch_execz .LBB135_26
; %bb.25:
	v_lshlrev_b32_e32 v2, 8, v25
	v_mov_b32_e32 v3, 0
	v_lshl_add_u64 v[4:5], s[0:1], 0, v[2:3]
	v_lshlrev_b32_e32 v2, 1, v18
	v_lshl_add_u64 v[10:11], v[4:5], 0, v[2:3]
	global_load_dwordx4 v[6:9], v[10:11], off
	global_load_dwordx4 v[2:5], v[10:11], off offset:128
.LBB135_26:
	s_or_b64 exec, exec, s[2:3]
	s_mov_b32 s25, s24
	s_mov_b32 s26, s24
	;; [unrolled: 1-line block ×3, first 2 shown]
	v_mov_b64_e32 v[14:15], s[24:25]
	v_mov_b64_e32 v[16:17], s[26:27]
	;; [unrolled: 1-line block ×3, first 2 shown]
	v_cmp_gt_i32_e32 vcc, s42, v20
	v_lshlrev_b32_e32 v21, 7, v20
	v_mov_b64_e32 v[12:13], v[16:17]
	s_and_saveexec_b64 s[2:3], vcc
	s_cbranch_execz .LBB135_28
; %bb.27:
	v_lshlrev_b32_e32 v10, 1, v21
	v_mov_b32_e32 v11, 0
	v_lshl_add_u64 v[12:13], s[0:1], 0, v[10:11]
	v_lshlrev_b32_e32 v10, 1, v18
	v_lshl_add_u64 v[26:27], v[12:13], 0, v[10:11]
	global_load_dwordx4 v[14:17], v[26:27], off
	global_load_dwordx4 v[10:13], v[26:27], off offset:128
.LBB135_28:
	s_or_b64 exec, exec, s[2:3]
	v_lshrrev_b32_e32 v26, 3, v18
	v_lshlrev_b32_e32 v27, 3, v25
	v_or_b32_e32 v26, v27, v26
	v_lshlrev_b32_e32 v26, 4, v26
	v_and_b32_e32 v27, 0x78, v27
	v_xor_b32_e32 v26, v26, v27
	s_branch .LBB135_31
.LBB135_29:
                                        ; implicit-def: $vgpr26
                                        ; implicit-def: $vgpr21
                                        ; implicit-def: $vgpr6_vgpr7_vgpr8_vgpr9
                                        ; implicit-def: $vgpr2_vgpr3_vgpr4_vgpr5
                                        ; implicit-def: $vgpr14_vgpr15_vgpr16_vgpr17
                                        ; implicit-def: $vgpr10_vgpr11_vgpr12_vgpr13
	s_cbranch_execz .LBB135_31
; %bb.30:
	s_waitcnt vmcnt(0)
	v_lshlrev_b32_e32 v2, 1, v18
	v_lshl_or_b32 v21, v25, 8, v2
	s_and_b32 s1, s1, 0xffff
	s_mov_b32 s3, 0x20000
	s_movk_i32 s2, 0x4000
	v_lshl_or_b32 v26, v20, 8, v2
	s_movk_i32 s12, 0x80
	buffer_load_dwordx4 v[6:9], v21, s[0:3], 0 offen
	buffer_load_dwordx4 v[2:5], v21, s[0:3], s12 offen
	buffer_load_dwordx4 v[14:17], v26, s[0:3], 0 offen
	buffer_load_dwordx4 v[10:13], v26, s[0:3], s12 offen
	v_lshrrev_b32_e32 v21, 3, v18
	v_lshlrev_b32_e32 v26, 3, v25
	v_or_b32_e32 v21, v26, v21
	v_lshlrev_b32_e32 v21, 4, v21
	v_and_b32_e32 v26, 0x78, v26
	v_xor_b32_e32 v26, v21, v26
	v_lshlrev_b32_e32 v21, 7, v20
.LBB135_31:
	s_movk_i32 s0, 0x1000
	v_and_or_b32 v20, v21, s0, v26
	s_waitcnt vmcnt(1)
	ds_write_b64 v26, v[6:7] offset:49152
	v_xor_b32_e32 v6, 8, v26
	ds_write_b64 v6, v[8:9] offset:49152
	s_waitcnt vmcnt(0)
	ds_write_b64 v26, v[2:3] offset:57344
	ds_write_b64 v6, v[4:5] offset:57344
	;; [unrolled: 1-line block ×3, first 2 shown]
	v_xor_b32_e32 v2, 8, v20
	ds_write_b64 v2, v[16:17] offset:49152
	ds_write_b64 v20, v[10:11] offset:57344
	;; [unrolled: 1-line block ×3, first 2 shown]
	v_or_b32_e32 v2, v1, v45
	v_lshlrev_b32_e32 v3, 11, v87
	v_lshlrev_b32_e32 v2, 3, v2
	v_and_b32_e32 v6, 0x1000, v3
	v_lshrrev_b32_e32 v3, 5, v86
	s_movk_i32 s0, 0xf8
	v_and_or_b32 v3, v2, s0, v3
	v_lshlrev_b32_e32 v7, 4, v3
	v_and_b32_e32 v8, 0x78, v2
	v_or_b32_e32 v10, 32, v7
	v_lshrrev_b32_e32 v3, 1, v86
	v_xor_b32_e32 v10, v10, v8
	v_xor_b32_e32 v2, v7, v8
	v_and_b32_e32 v9, 8, v3
	v_or_b32_e32 v10, v10, v6
	v_or_b32_e32 v2, v2, v6
	v_xor_b32_e32 v28, v10, v9
	v_or_b32_e32 v10, 64, v7
	v_xor_b32_e32 v27, v2, v9
	v_xor_b32_e32 v10, v10, v8
	s_waitcnt lgkmcnt(0)
	s_barrier
	v_or_b32_e32 v13, v10, v6
	ds_read_b64 v[10:11], v27 offset:49152
	v_lshl_or_b32 v14, v88, 8, v24
	v_lshlrev_b32_e32 v26, 1, v14
	v_add_u32_e32 v12, 0x4000, v26
	ds_read2_b64 v[2:5], v12 offset1:16
	v_or_b32_e32 v7, 0x60, v7
	v_xor_b32_e32 v7, v7, v8
	v_or_b32_e32 v6, v7, v6
	v_xor_b32_e32 v29, v13, v9
	v_xor_b32_e32 v30, v6, v9
	ds_read_b64 v[20:21], v28 offset:49152
	ds_read_b64 v[34:35], v29 offset:49152
	;; [unrolled: 1-line block ×3, first 2 shown]
	s_waitcnt lgkmcnt(3)
	v_mfma_f32_16x16x16_bf16 a[0:3], v[10:11], v[2:3], 0
	ds_read2_b64 v[6:9], v12 offset0:32 offset1:48
	s_lshl_b64 s[0:1], s[40:41], 8
	s_add_u32 s4, s4, s0
	v_mfma_f32_16x16x16_bf16 a[4:7], v[10:11], v[4:5], 0
	ds_read2st64_b64 v[2:5], v26 offset0:36 offset1:40
	s_addc_u32 s5, s5, s1
	s_add_i32 s2, s39, -1
	s_waitcnt lgkmcnt(1)
	v_mfma_f32_16x16x16_bf16 a[8:11], v[10:11], v[6:7], 0
	v_or_b32_e32 v6, 64, v14
	v_lshlrev_b32_e32 v31, 1, v6
	s_add_i32 s0, s45, s44
	s_waitcnt lgkmcnt(0)
	v_mfma_f32_16x16x16_bf16 a[0:3], v[20:21], v[2:3], a[0:3]
	v_or_b32_e32 v2, 0x80, v14
	v_lshlrev_b32_e32 v32, 1, v2
	v_or_b32_e32 v2, 0xc0, v14
	v_mfma_f32_16x16x16_bf16 a[12:15], v[10:11], v[8:9], 0
	ds_read2st64_b64 v[6:9], v31 offset0:36 offset1:40
	v_lshlrev_b32_e32 v33, 1, v2
	ds_read2st64_b64 v[10:13], v32 offset0:36 offset1:40
	ds_read2st64_b64 v[14:17], v33 offset0:36 offset1:40
	s_add_i32 s21, s0, s46
	s_mul_i32 s0, s33, s23
	s_mul_hi_u32 s1, s33, s22
	s_ashr_i32 s3, s2, 31
	s_mul_i32 s12, s2, s35
	s_mul_hi_u32 s13, s2, s34
	s_waitcnt lgkmcnt(2)
	v_mfma_f32_16x16x16_bf16 a[4:7], v[20:21], v[6:7], a[4:7]
	s_add_i32 s0, s1, s0
	s_mul_i32 s1, s16, s22
	s_add_i32 s12, s13, s12
	s_mul_i32 s3, s3, s34
	s_waitcnt lgkmcnt(1)
	v_mfma_f32_16x16x16_bf16 a[8:11], v[20:21], v[10:11], a[8:11]
	s_add_i32 s1, s0, s1
	s_add_i32 s3, s12, s3
	s_lshl_b64 s[12:13], s[20:21], 2
	s_waitcnt lgkmcnt(0)
	v_mfma_f32_16x16x16_bf16 a[12:15], v[20:21], v[14:15], a[12:15]
	s_mul_i32 s0, s33, s22
	s_add_u32 s10, s10, s12
	s_addc_u32 s11, s11, s13
	s_lshl_b64 s[0:1], s[0:1], 2
	v_mfma_f32_16x16x16_bf16 a[0:3], v[34:35], v[4:5], a[0:3]
	s_mul_i32 s2, s2, s34
	ds_read_b64 v[2:3], v26 offset:22528
	s_add_u32 s10, s10, s0
	v_mfma_f32_16x16x16_bf16 a[4:7], v[34:35], v[8:9], a[4:7]
	ds_read_b64 v[4:5], v31 offset:22528
	ds_read_b64 v[6:7], v32 offset:22528
	;; [unrolled: 1-line block ×3, first 2 shown]
	s_addc_u32 s11, s11, s1
	s_lshl_b64 s[0:1], s[2:3], 2
	v_mfma_f32_16x16x16_bf16 a[8:11], v[34:35], v[12:13], a[8:11]
	s_add_u32 s0, s10, s0
	s_addc_u32 s1, s11, s1
	s_load_dword s12, s[0:1], 0x0
	v_mfma_f32_16x16x16_bf16 a[12:15], v[34:35], v[16:17], a[12:15]
	s_and_b64 vcc, exec, s[30:31]
	s_waitcnt lgkmcnt(0)
	v_mfma_f32_16x16x16_bf16 a[0:3], v[36:37], v[2:3], a[0:3]
	v_mfma_f32_16x16x16_bf16 a[4:7], v[36:37], v[4:5], a[4:7]
	;; [unrolled: 1-line block ×4, first 2 shown]
	s_cbranch_vccz .LBB135_42
; %bb.32:
	v_lshlrev_b32_e32 v20, 1, v25
	s_and_b64 vcc, exec, s[6:7]
	s_cbranch_vccz .LBB135_43
; %bb.33:
	v_cmp_gt_i32_e32 vcc, s42, v20
	v_mov_b32_e32 v6, 0
	v_mov_b32_e32 v2, 0
	;; [unrolled: 1-line block ×5, first 2 shown]
	s_and_saveexec_b64 s[0:1], vcc
	s_cbranch_execz .LBB135_35
; %bb.34:
	v_mad_i64_i32 v[2:3], s[2:3], s19, v20, 0
	v_lshl_add_u64 v[2:3], v[2:3], 1, s[4:5]
	v_lshlrev_b32_e32 v4, 1, v18
	v_mov_b32_e32 v5, 0
	v_lshl_add_u64 v[2:3], v[2:3], 0, v[4:5]
	global_load_dwordx4 v[2:5], v[2:3], off
.LBB135_35:
	s_or_b64 exec, exec, s[0:1]
	v_or_b32_e32 v21, 1, v20
	v_cmp_gt_i32_e64 s[0:1], s42, v21
	v_mov_b32_e32 v7, 0
	v_mov_b32_e32 v8, 0
	;; [unrolled: 1-line block ×3, first 2 shown]
	s_and_saveexec_b64 s[2:3], s[0:1]
	s_cbranch_execz .LBB135_37
; %bb.36:
	v_mad_i64_i32 v[6:7], s[16:17], s19, v21, 0
	v_lshl_add_u64 v[6:7], v[6:7], 1, s[4:5]
	v_lshlrev_b32_e32 v8, 1, v18
	v_mov_b32_e32 v9, 0
	v_lshl_add_u64 v[6:7], v[6:7], 0, v[8:9]
	global_load_dwordx4 v[6:9], v[6:7], off
.LBB135_37:
	s_or_b64 exec, exec, s[2:3]
	v_mov_b32_e32 v17, 0
	v_mov_b32_e32 v10, 0
	;; [unrolled: 1-line block ×5, first 2 shown]
	s_and_saveexec_b64 s[2:3], vcc
	s_cbranch_execz .LBB135_39
; %bb.38:
	v_mad_i64_i32 v[10:11], s[16:17], s19, v20, 0
	v_lshl_add_u64 v[10:11], v[10:11], 1, s[4:5]
	v_lshlrev_b32_e32 v12, 1, v18
	v_mov_b32_e32 v13, 0
	v_lshl_add_u64 v[10:11], v[10:11], 0, v[12:13]
	global_load_dwordx4 v[10:13], v[10:11], off offset:128
.LBB135_39:
	s_or_b64 exec, exec, s[2:3]
	v_mov_b32_e32 v16, 0
	v_mov_b32_e32 v15, 0
	;; [unrolled: 1-line block ×3, first 2 shown]
	s_and_saveexec_b64 s[2:3], s[0:1]
	s_cbranch_execz .LBB135_41
; %bb.40:
	v_mad_i64_i32 v[14:15], s[0:1], s19, v21, 0
	v_lshl_add_u64 v[14:15], v[14:15], 1, s[4:5]
	v_lshlrev_b32_e32 v16, 1, v18
	v_mov_b32_e32 v17, 0
	v_lshl_add_u64 v[14:15], v[14:15], 0, v[16:17]
	global_load_dwordx4 v[14:17], v[14:15], off offset:128
.LBB135_41:
	s_or_b64 exec, exec, s[2:3]
	s_branch .LBB135_45
.LBB135_42:
                                        ; implicit-def: $vgpr5
                                        ; implicit-def: $vgpr9
                                        ; implicit-def: $vgpr13
                                        ; implicit-def: $vgpr17
	v_lshrrev_b32_e32 v34, 2, v86
	s_branch .LBB135_46
.LBB135_43:
                                        ; implicit-def: $vgpr5
                                        ; implicit-def: $vgpr9
                                        ; implicit-def: $vgpr13
                                        ; implicit-def: $vgpr17
	s_cbranch_execz .LBB135_45
; %bb.44:
	s_waitcnt vmcnt(0)
	v_mad_u64_u32 v[2:3], s[0:1], v20, s19, v[18:19]
	v_lshlrev_b32_e32 v20, 1, v2
	s_lshl_b32 s2, s19, 7
	s_and_b32 s1, s5, 0xffff
	s_mov_b32 s3, 0x20000
	s_mov_b32 s0, s4
	v_add_lshl_u32 v21, v2, s19, 1
	s_movk_i32 s13, 0x80
	buffer_load_dwordx4 v[2:5], v20, s[0:3], 0 offen
	buffer_load_dwordx4 v[10:13], v20, s[0:3], s13 offen
	;; [unrolled: 1-line block ×4, first 2 shown]
.LBB135_45:
	v_lshrrev_b32_e32 v34, 2, v86
	s_cbranch_execnz .LBB135_58
.LBB135_46:
	s_and_b64 vcc, exec, s[6:7]
	s_cbranch_vccz .LBB135_56
; %bb.47:
	s_waitcnt vmcnt(0)
	v_lshlrev_b32_e32 v7, 1, v25
	v_cmp_gt_i32_e32 vcc, s42, v7
	v_mov_b32_e32 v6, 0
	v_lshlrev_b32_e32 v14, 9, v25
	v_mov_b32_e32 v2, 0
	v_mov_b32_e32 v3, 0
	;; [unrolled: 1-line block ×4, first 2 shown]
	s_and_saveexec_b64 s[0:1], vcc
	s_cbranch_execz .LBB135_49
; %bb.48:
	v_mov_b32_e32 v15, 0
	v_lshl_add_u64 v[2:3], s[4:5], 0, v[14:15]
	v_lshlrev_b32_e32 v4, 1, v18
	v_mov_b32_e32 v5, v15
	v_lshl_add_u64 v[2:3], v[2:3], 0, v[4:5]
	global_load_dwordx4 v[2:5], v[2:3], off
.LBB135_49:
	s_or_b64 exec, exec, s[0:1]
	v_or_b32_e32 v7, 1, v7
	v_cmp_gt_i32_e64 s[0:1], s42, v7
	v_lshlrev_b32_e32 v20, 8, v7
	v_mov_b32_e32 v7, 0
	v_mov_b32_e32 v8, 0
	;; [unrolled: 1-line block ×3, first 2 shown]
	s_and_saveexec_b64 s[2:3], s[0:1]
	s_cbranch_execz .LBB135_51
; %bb.50:
	v_mov_b32_e32 v21, 0
	v_lshl_add_u64 v[6:7], s[4:5], 0, v[20:21]
	v_lshlrev_b32_e32 v8, 1, v18
	v_mov_b32_e32 v9, v21
	v_lshl_add_u64 v[6:7], v[6:7], 0, v[8:9]
	global_load_dwordx4 v[6:9], v[6:7], off
.LBB135_51:
	s_or_b64 exec, exec, s[2:3]
	v_mov_b32_e32 v17, 0
	v_mov_b32_e32 v10, 0
	v_mov_b32_e32 v11, 0
	v_mov_b32_e32 v12, 0
	v_mov_b32_e32 v13, 0
	s_and_saveexec_b64 s[2:3], vcc
	s_cbranch_execz .LBB135_53
; %bb.52:
	v_mov_b32_e32 v15, 0
	v_lshl_add_u64 v[10:11], s[4:5], 0, v[14:15]
	v_lshlrev_b32_e32 v14, 1, v18
	v_lshl_add_u64 v[10:11], v[10:11], 0, v[14:15]
	global_load_dwordx4 v[10:13], v[10:11], off offset:128
.LBB135_53:
	s_or_b64 exec, exec, s[2:3]
	v_mov_b32_e32 v16, 0
	v_mov_b32_e32 v15, 0
	;; [unrolled: 1-line block ×3, first 2 shown]
	s_and_saveexec_b64 s[2:3], s[0:1]
	s_cbranch_execz .LBB135_55
; %bb.54:
	v_mov_b32_e32 v21, 0
	v_lshl_add_u64 v[14:15], s[4:5], 0, v[20:21]
	v_lshlrev_b32_e32 v20, 1, v18
	v_lshl_add_u64 v[14:15], v[14:15], 0, v[20:21]
	global_load_dwordx4 v[14:17], v[14:15], off offset:128
.LBB135_55:
	s_or_b64 exec, exec, s[2:3]
	s_branch .LBB135_58
.LBB135_56:
                                        ; implicit-def: $vgpr5
                                        ; implicit-def: $vgpr9
                                        ; implicit-def: $vgpr13
                                        ; implicit-def: $vgpr17
	s_cbranch_execz .LBB135_58
; %bb.57:
	s_waitcnt vmcnt(0)
	v_lshlrev_b32_e32 v2, 1, v18
	v_lshl_or_b32 v18, v25, 9, v2
	s_and_b32 s5, s5, 0xffff
	s_mov_b32 s7, 0x20000
	s_movk_i32 s6, 0x4000
	s_movk_i32 s0, 0x80
	buffer_load_dwordx4 v[2:5], v18, s[4:7], 0 offen
	buffer_load_dwordx4 v[6:9], v18, s[4:7], 0 offen offset:256
	buffer_load_dwordx4 v[10:13], v18, s[4:7], s0 offen
	buffer_load_dwordx4 v[14:17], v18, s[4:7], s0 offen offset:256
.LBB135_58:
	ds_read_b64 v[20:21], v27 offset:57344
	v_add_u32_e32 v18, 0x6000, v26
	ds_read2_b64 v[36:39], v18 offset1:16
	ds_read_b64 v[54:55], v28 offset:57344
	ds_read_b64 v[28:29], v29 offset:57344
	;; [unrolled: 1-line block ×3, first 2 shown]
	ds_read2st64_b64 v[40:43], v26 offset0:52 offset1:56
	s_mov_b32 s0, 0x1000504
	s_mov_b32 s1, 0x3020706
	s_waitcnt lgkmcnt(4)
	v_mfma_f32_16x16x16_bf16 a[0:3], v[20:21], v[36:37], a[0:3]
	v_mfma_f32_16x16x16_bf16 a[4:7], v[20:21], v[38:39], a[4:7]
	ds_read2_b64 v[36:39], v18 offset0:32 offset1:48
	v_and_b32_e32 v18, 6, v0
	v_xor_b32_e32 v25, v25, v18
	s_waitcnt lgkmcnt(0)
	v_mfma_f32_16x16x16_bf16 a[8:11], v[20:21], v[36:37], a[8:11]
	v_lshlrev_b32_e32 v25, 2, v25
	v_and_b32_e32 v0, 1, v0
	v_xor_b32_e32 v35, 0x440, v25
	v_mfma_f32_16x16x16_bf16 a[12:15], v[20:21], v[38:39], a[12:15]
	ds_read2st64_b64 v[36:39], v31 offset0:52 offset1:56
	ds_read2st64_b64 v[46:49], v32 offset0:52 offset1:56
	;; [unrolled: 1-line block ×3, first 2 shown]
	v_cmp_eq_u32_e32 vcc, 0, v0
	ds_read_b64 v[20:21], v26 offset:30720
	ds_read_b64 v[26:27], v31 offset:30720
	;; [unrolled: 1-line block ×4, first 2 shown]
	v_mfma_f32_16x16x16_bf16 a[0:3], v[54:55], v[40:41], a[0:3]
	v_cndmask_b32_e32 v0, v35, v25, vcc
	v_lshl_or_b32 v0, v18, 10, v0
	s_waitcnt vmcnt(0)
	v_perm_b32 v18, v2, v6, s0
	s_waitcnt lgkmcnt(6)
	v_mfma_f32_16x16x16_bf16 a[4:7], v[54:55], v[36:37], a[4:7]
	v_perm_b32 v25, v10, v14, s0
	ds_write2st64_b32 v0, v18, v25 offset0:128 offset1:160
	v_xor_b32_e32 v18, 8, v0
	s_waitcnt lgkmcnt(6)
	v_mfma_f32_16x16x16_bf16 a[8:11], v[54:55], v[46:47], a[8:11]
	v_perm_b32 v2, v2, v6, s1
	v_perm_b32 v6, v10, v14, s1
	v_add_u32_e32 v10, 0x80, v18
	s_waitcnt lgkmcnt(5)
	v_mfma_f32_16x16x16_bf16 a[12:15], v[54:55], v[50:51], a[12:15]
	ds_write2st64_b32 v10, v2, v6 offset0:128 offset1:160
	v_xor_b32_e32 v2, 16, v0
	v_perm_b32 v6, v3, v7, s0
	v_mfma_f32_16x16x16_bf16 a[0:3], v[28:29], v[42:43], a[0:3]
	v_perm_b32 v10, v11, v15, s0
	ds_write2st64_b32 v2, v6, v10 offset0:129 offset1:161
	v_xor_b32_e32 v2, 24, v0
	v_mfma_f32_16x16x16_bf16 a[4:7], v[28:29], v[38:39], a[4:7]
	v_perm_b32 v3, v3, v7, s1
	v_perm_b32 v6, v11, v15, s1
	v_add_u32_e32 v2, 0x80, v2
	v_mfma_f32_16x16x16_bf16 a[16:19], v[28:29], v[48:49], a[8:11]
	ds_write2st64_b32 v2, v3, v6 offset0:129 offset1:161
	v_xor_b32_e32 v2, 32, v0
	v_perm_b32 v3, v4, v8, s0
	v_mfma_f32_16x16x16_bf16 a[20:23], v[28:29], v[52:53], a[12:15]
	v_perm_b32 v6, v12, v16, s0
	ds_write2st64_b32 v2, v3, v6 offset0:130 offset1:162
	v_xor_b32_e32 v2, 40, v0
	s_waitcnt lgkmcnt(8)
	v_mfma_f32_16x16x16_bf16 a[12:15], v[56:57], v[20:21], a[0:3]
	v_perm_b32 v3, v4, v8, s1
	v_perm_b32 v4, v12, v16, s1
	v_add_u32_e32 v2, 0x80, v2
	s_waitcnt lgkmcnt(7)
	v_mfma_f32_16x16x16_bf16 a[8:11], v[56:57], v[26:27], a[4:7]
	ds_write2st64_b32 v2, v3, v4 offset0:130 offset1:162
	v_xor_b32_e32 v2, 48, v0
	v_perm_b32 v3, v5, v9, s0
	s_waitcnt lgkmcnt(7)
	v_mfma_f32_16x16x16_bf16 a[4:7], v[56:57], v[30:31], a[16:19]
	v_perm_b32 v4, v13, v17, s0
	v_xor_b32_e32 v0, 56, v0
	v_and_or_b32 v21, v34, 12, v1
	s_waitcnt lgkmcnt(6)
	v_mfma_f32_16x16x16_bf16 a[0:3], v[56:57], v[32:33], a[20:23]
	ds_write2st64_b32 v2, v3, v4 offset0:131 offset1:163
	v_perm_b32 v2, v5, v9, s1
	v_perm_b32 v3, v13, v17, s1
	v_add_u32_e32 v0, 0x80, v0
	v_cmp_gt_i32_e32 vcc, s42, v21
	v_mov_b32_e32 v16, 0
	v_mov_b32_e32 v18, 0
	ds_write2st64_b32 v0, v2, v3 offset0:131 offset1:163
	s_and_saveexec_b64 s[0:1], vcc
	s_cbranch_execz .LBB135_60
; %bb.59:
	v_add_u32_e32 v0, s38, v21
	v_ashrrev_i32_e32 v1, 31, v0
	v_mul_lo_u32 v2, v1, s34
	v_mul_lo_u32 v3, v0, s35
	v_mad_u64_u32 v[0:1], s[2:3], v0, s34, 0
	v_add3_u32 v1, v1, v3, v2
	v_lshl_add_u64 v[0:1], v[0:1], 2, s[10:11]
	global_load_dword v0, v[0:1], off
	s_waitcnt vmcnt(0)
	v_sub_f32_e32 v0, s12, v0
	v_exp_f32_e32 v18, v0
.LBB135_60:
	s_or_b64 exec, exec, s[0:1]
	v_or_b32_e32 v10, 1, v21
	v_cmp_gt_i32_e64 s[2:3], s42, v10
	s_and_saveexec_b64 s[0:1], s[2:3]
	s_cbranch_execz .LBB135_62
; %bb.61:
	v_add_u32_e32 v0, s38, v10
	v_ashrrev_i32_e32 v1, 31, v0
	v_mul_lo_u32 v2, v1, s34
	v_mul_lo_u32 v3, v0, s35
	v_mad_u64_u32 v[0:1], s[4:5], v0, s34, 0
	v_add3_u32 v1, v1, v3, v2
	v_lshl_add_u64 v[0:1], v[0:1], 2, s[10:11]
	global_load_dword v0, v[0:1], off
	s_waitcnt vmcnt(0)
	v_sub_f32_e32 v0, s12, v0
	v_exp_f32_e32 v16, v0
.LBB135_62:
	s_or_b64 exec, exec, s[0:1]
	v_or_b32_e32 v12, 2, v21
	v_cmp_gt_i32_e64 s[0:1], s42, v12
	v_mov_b32_e32 v17, 0
	v_mov_b32_e32 v20, 0
	s_and_saveexec_b64 s[4:5], s[0:1]
	s_cbranch_execz .LBB135_64
; %bb.63:
	v_add_u32_e32 v0, s38, v12
	v_ashrrev_i32_e32 v1, 31, v0
	v_mul_lo_u32 v2, v1, s34
	v_mul_lo_u32 v3, v0, s35
	v_mad_u64_u32 v[0:1], s[6:7], v0, s34, 0
	v_add3_u32 v1, v1, v3, v2
	v_lshl_add_u64 v[0:1], v[0:1], 2, s[10:11]
	global_load_dword v0, v[0:1], off
	s_waitcnt vmcnt(0)
	v_sub_f32_e32 v0, s12, v0
	v_exp_f32_e32 v20, v0
.LBB135_64:
	s_or_b64 exec, exec, s[4:5]
	v_or_b32_e32 v14, 3, v21
	v_cmp_gt_i32_e64 s[4:5], s42, v14
	s_and_saveexec_b64 s[6:7], s[4:5]
	s_cbranch_execz .LBB135_66
; %bb.65:
	v_add_u32_e32 v0, s38, v14
	v_ashrrev_i32_e32 v1, 31, v0
	v_mul_lo_u32 v2, v1, s34
	v_mul_lo_u32 v3, v0, s35
	v_mad_u64_u32 v[0:1], s[16:17], v0, s34, 0
	v_add3_u32 v1, v1, v3, v2
	v_lshl_add_u64 v[0:1], v[0:1], 2, s[10:11]
	global_load_dword v0, v[0:1], off
	s_waitcnt vmcnt(0)
	v_sub_f32_e32 v0, s12, v0
	v_exp_f32_e32 v17, v0
.LBB135_66:
	s_or_b64 exec, exec, s[6:7]
	s_add_u32 s6, s8, s28
	v_or_b32_e32 v4, s36, v45
	s_addc_u32 s7, s9, s29
	s_add_u32 s8, s14, s28
	v_ashrrev_i32_e32 v5, 31, v4
	v_accvgpr_read_b32 v0, a12
	s_addc_u32 s9, s15, s29
	v_lshlrev_b64 v[4:5], 1, v[4:5]
	v_accvgpr_read_b32 v1, a13
	v_accvgpr_read_b32 v2, a14
	v_accvgpr_read_b32 v3, a15
	v_lshl_add_u64 v[6:7], s[6:7], 0, v[4:5]
	v_lshl_add_u64 v[4:5], s[8:9], 0, v[4:5]
	v_mov_b32_e32 v11, 0
	v_lshlrev_b32_e32 v8, 8, v21
	v_mov_b32_e32 v9, 0
	s_and_saveexec_b64 s[6:7], vcc
	s_cbranch_execz .LBB135_68
; %bb.67:
	v_mov_b32_e32 v9, 0
	v_lshl_add_u64 v[26:27], v[6:7], 0, v[8:9]
	global_load_ushort v13, v[26:27], off
	v_lshl_add_u64 v[26:27], v[4:5], 0, v[8:9]
	s_waitcnt vmcnt(0)
	v_lshlrev_b32_e32 v9, 16, v13
	v_sub_f32_e32 v0, v9, v0
	global_store_short_d16_hi v[26:27], v0, off
	v_mul_f32_e32 v0, v18, v0
	v_lshrrev_b32_e32 v9, 16, v0
.LBB135_68:
	s_or_b64 exec, exec, s[6:7]
	v_lshlrev_b32_e32 v10, 8, v10
	s_and_saveexec_b64 s[6:7], s[2:3]
	s_cbranch_execz .LBB135_70
; %bb.69:
	v_mov_b32_e32 v11, 0
	v_lshl_add_u64 v[26:27], v[6:7], 0, v[10:11]
	global_load_ushort v0, v[26:27], off
	v_lshl_add_u64 v[26:27], v[4:5], 0, v[10:11]
	s_waitcnt vmcnt(0)
	v_lshlrev_b32_e32 v0, 16, v0
	v_sub_f32_e32 v0, v0, v1
	global_store_short_d16_hi v[26:27], v0, off
	v_mul_f32_e32 v0, v16, v0
	v_lshrrev_b32_e32 v11, 16, v0
.LBB135_70:
	s_or_b64 exec, exec, s[6:7]
	v_mov_b32_e32 v15, 0
	v_lshlrev_b32_e32 v12, 8, v12
	v_mov_b32_e32 v13, 0
	s_and_saveexec_b64 s[6:7], s[0:1]
	s_cbranch_execz .LBB135_72
; %bb.71:
	v_mov_b32_e32 v13, 0
	v_lshl_add_u64 v[0:1], v[6:7], 0, v[12:13]
	global_load_ushort v25, v[0:1], off
	v_lshl_add_u64 v[0:1], v[4:5], 0, v[12:13]
	s_waitcnt vmcnt(0)
	v_lshlrev_b32_e32 v13, 16, v25
	v_sub_f32_e32 v2, v13, v2
	global_store_short_d16_hi v[0:1], v2, off
	v_mul_f32_e32 v0, v20, v2
	v_lshrrev_b32_e32 v13, 16, v0
.LBB135_72:
	s_or_b64 exec, exec, s[6:7]
	v_lshlrev_b32_e32 v14, 8, v14
	s_and_saveexec_b64 s[6:7], s[4:5]
	s_cbranch_execz .LBB135_74
; %bb.73:
	v_mov_b32_e32 v15, 0
	v_lshl_add_u64 v[0:1], v[6:7], 0, v[14:15]
	global_load_ushort v2, v[0:1], off
	v_lshl_add_u64 v[0:1], v[4:5], 0, v[14:15]
	s_waitcnt vmcnt(0)
	v_lshlrev_b32_e32 v2, 16, v2
	v_sub_f32_e32 v2, v2, v3
	global_store_short_d16_hi v[0:1], v2, off
	v_mul_f32_e32 v0, v17, v2
	v_lshrrev_b32_e32 v15, 16, v0
.LBB135_74:
	s_or_b64 exec, exec, s[6:7]
	v_lshlrev_b32_e32 v21, 6, v21
	s_mov_b32 s6, 0x5040100
	v_perm_b32 v26, v11, v9, s6
	v_or_b32_e32 v9, v21, v24
	v_accvgpr_read_b32 v0, a8
	v_perm_b32 v27, v15, v13, s6
	v_lshlrev_b32_e32 v9, 1, v9
	v_accvgpr_read_b32 v1, a9
	v_accvgpr_read_b32 v2, a10
	v_accvgpr_read_b32 v3, a11
	ds_write_b64 v9, v[26:27] offset:24576
	v_mov_b32_e32 v11, 0
	v_mov_b32_e32 v9, 0
	s_and_saveexec_b64 s[6:7], vcc
	s_cbranch_execz .LBB135_76
; %bb.75:
	v_mov_b32_e32 v9, 0
	v_lshl_add_u64 v[24:25], v[6:7], 0, v[8:9]
	global_load_ushort v13, v[24:25], off offset:32
	v_lshl_add_u64 v[24:25], v[4:5], 0, v[8:9]
	s_waitcnt vmcnt(0)
	v_lshlrev_b32_e32 v9, 16, v13
	v_sub_f32_e32 v0, v9, v0
	global_store_short_d16_hi v[24:25], v0, off offset:32
	v_mul_f32_e32 v0, v18, v0
	v_lshrrev_b32_e32 v9, 16, v0
.LBB135_76:
	s_or_b64 exec, exec, s[6:7]
	s_and_saveexec_b64 s[6:7], s[2:3]
	s_cbranch_execz .LBB135_78
; %bb.77:
	v_mov_b32_e32 v11, 0
	v_lshl_add_u64 v[24:25], v[6:7], 0, v[10:11]
	global_load_ushort v0, v[24:25], off offset:32
	v_lshl_add_u64 v[24:25], v[4:5], 0, v[10:11]
	s_waitcnt vmcnt(0)
	v_lshlrev_b32_e32 v0, 16, v0
	v_sub_f32_e32 v0, v0, v1
	global_store_short_d16_hi v[24:25], v0, off offset:32
	v_mul_f32_e32 v0, v16, v0
	v_lshrrev_b32_e32 v11, 16, v0
.LBB135_78:
	s_or_b64 exec, exec, s[6:7]
	v_mov_b32_e32 v15, 0
	v_mov_b32_e32 v13, 0
	s_and_saveexec_b64 s[6:7], s[0:1]
	s_cbranch_execz .LBB135_80
; %bb.79:
	v_mov_b32_e32 v13, 0
	v_lshl_add_u64 v[0:1], v[6:7], 0, v[12:13]
	global_load_ushort v24, v[0:1], off offset:32
	v_lshl_add_u64 v[0:1], v[4:5], 0, v[12:13]
	s_waitcnt vmcnt(0)
	v_lshlrev_b32_e32 v13, 16, v24
	v_sub_f32_e32 v2, v13, v2
	global_store_short_d16_hi v[0:1], v2, off offset:32
	v_mul_f32_e32 v0, v20, v2
	v_lshrrev_b32_e32 v13, 16, v0
.LBB135_80:
	s_or_b64 exec, exec, s[6:7]
	s_and_saveexec_b64 s[6:7], s[4:5]
	s_cbranch_execz .LBB135_82
; %bb.81:
	v_mov_b32_e32 v15, 0
	v_lshl_add_u64 v[0:1], v[6:7], 0, v[14:15]
	global_load_ushort v2, v[0:1], off offset:32
	v_lshl_add_u64 v[0:1], v[4:5], 0, v[14:15]
	s_waitcnt vmcnt(0)
	v_lshlrev_b32_e32 v2, 16, v2
	v_sub_f32_e32 v2, v2, v3
	global_store_short_d16_hi v[0:1], v2, off offset:32
	v_mul_f32_e32 v0, v17, v2
	v_lshrrev_b32_e32 v15, 16, v0
.LBB135_82:
	s_or_b64 exec, exec, s[6:7]
	s_mov_b32 s6, 0x5040100
	v_perm_b32 v24, v11, v9, s6
	v_or_b32_e32 v9, v21, v23
	v_accvgpr_read_b32 v0, a4
	v_perm_b32 v25, v15, v13, s6
	v_lshlrev_b32_e32 v9, 1, v9
	v_accvgpr_read_b32 v1, a5
	v_accvgpr_read_b32 v2, a6
	;; [unrolled: 1-line block ×3, first 2 shown]
	ds_write_b64 v9, v[24:25] offset:24576
	v_mov_b32_e32 v11, 0
	v_mov_b32_e32 v9, 0
	s_and_saveexec_b64 s[6:7], vcc
	s_cbranch_execz .LBB135_84
; %bb.83:
	v_mov_b32_e32 v9, 0
	v_lshl_add_u64 v[24:25], v[6:7], 0, v[8:9]
	global_load_ushort v13, v[24:25], off offset:64
	v_lshl_add_u64 v[24:25], v[4:5], 0, v[8:9]
	s_waitcnt vmcnt(0)
	v_lshlrev_b32_e32 v9, 16, v13
	v_sub_f32_e32 v0, v9, v0
	global_store_short_d16_hi v[24:25], v0, off offset:64
	v_mul_f32_e32 v0, v18, v0
	v_lshrrev_b32_e32 v9, 16, v0
.LBB135_84:
	s_or_b64 exec, exec, s[6:7]
	s_and_saveexec_b64 s[6:7], s[2:3]
	s_cbranch_execz .LBB135_86
; %bb.85:
	v_mov_b32_e32 v11, 0
	v_lshl_add_u64 v[24:25], v[6:7], 0, v[10:11]
	global_load_ushort v0, v[24:25], off offset:64
	v_lshl_add_u64 v[24:25], v[4:5], 0, v[10:11]
	s_waitcnt vmcnt(0)
	v_lshlrev_b32_e32 v0, 16, v0
	v_sub_f32_e32 v0, v0, v1
	global_store_short_d16_hi v[24:25], v0, off offset:64
	v_mul_f32_e32 v0, v16, v0
	v_lshrrev_b32_e32 v11, 16, v0
.LBB135_86:
	s_or_b64 exec, exec, s[6:7]
	v_mov_b32_e32 v15, 0
	v_mov_b32_e32 v13, 0
	s_and_saveexec_b64 s[6:7], s[0:1]
	s_cbranch_execz .LBB135_88
; %bb.87:
	v_mov_b32_e32 v13, 0
	v_lshl_add_u64 v[0:1], v[6:7], 0, v[12:13]
	global_load_ushort v23, v[0:1], off offset:64
	v_lshl_add_u64 v[0:1], v[4:5], 0, v[12:13]
	s_waitcnt vmcnt(0)
	v_lshlrev_b32_e32 v13, 16, v23
	v_sub_f32_e32 v2, v13, v2
	global_store_short_d16_hi v[0:1], v2, off offset:64
	v_mul_f32_e32 v0, v20, v2
	v_lshrrev_b32_e32 v13, 16, v0
.LBB135_88:
	s_or_b64 exec, exec, s[6:7]
	s_and_saveexec_b64 s[6:7], s[4:5]
	s_cbranch_execz .LBB135_90
; %bb.89:
	v_mov_b32_e32 v15, 0
	v_lshl_add_u64 v[0:1], v[6:7], 0, v[14:15]
	global_load_ushort v2, v[0:1], off offset:64
	v_lshl_add_u64 v[0:1], v[4:5], 0, v[14:15]
	s_waitcnt vmcnt(0)
	v_lshlrev_b32_e32 v2, 16, v2
	v_sub_f32_e32 v2, v2, v3
	global_store_short_d16_hi v[0:1], v2, off offset:64
	v_mul_f32_e32 v0, v17, v2
	v_lshrrev_b32_e32 v15, 16, v0
.LBB135_90:
	s_or_b64 exec, exec, s[6:7]
	s_mov_b32 s6, 0x5040100
	v_perm_b32 v24, v11, v9, s6
	v_or_b32_e32 v9, v21, v22
	v_accvgpr_read_b32 v0, a0
	v_perm_b32 v25, v15, v13, s6
	v_lshlrev_b32_e32 v9, 1, v9
	v_accvgpr_read_b32 v1, a1
	v_accvgpr_read_b32 v2, a2
	;; [unrolled: 1-line block ×3, first 2 shown]
	ds_write_b64 v9, v[24:25] offset:24576
	v_mov_b32_e32 v11, 0
	v_mov_b32_e32 v9, 0
	s_and_saveexec_b64 s[6:7], vcc
	s_cbranch_execz .LBB135_92
; %bb.91:
	v_mov_b32_e32 v9, 0
	v_lshl_add_u64 v[22:23], v[6:7], 0, v[8:9]
	global_load_ushort v13, v[22:23], off offset:96
	v_lshl_add_u64 v[8:9], v[4:5], 0, v[8:9]
	s_waitcnt vmcnt(0)
	v_lshlrev_b32_e32 v13, 16, v13
	v_sub_f32_e32 v0, v13, v0
	global_store_short_d16_hi v[8:9], v0, off offset:96
	v_mul_f32_e32 v0, v18, v0
	v_lshrrev_b32_e32 v9, 16, v0
.LBB135_92:
	s_or_b64 exec, exec, s[6:7]
	s_and_saveexec_b64 s[6:7], s[2:3]
	s_cbranch_execz .LBB135_94
; %bb.93:
	v_mov_b32_e32 v11, 0
	v_lshl_add_u64 v[22:23], v[6:7], 0, v[10:11]
	global_load_ushort v0, v[22:23], off offset:96
	v_lshl_add_u64 v[10:11], v[4:5], 0, v[10:11]
	s_waitcnt vmcnt(0)
	v_lshlrev_b32_e32 v0, 16, v0
	v_sub_f32_e32 v0, v0, v1
	global_store_short_d16_hi v[10:11], v0, off offset:96
	v_mul_f32_e32 v0, v16, v0
	v_lshrrev_b32_e32 v11, 16, v0
.LBB135_94:
	s_or_b64 exec, exec, s[6:7]
	v_mov_b32_e32 v0, 0
	v_mov_b32_e32 v1, 0
	s_and_saveexec_b64 s[2:3], s[0:1]
	s_cbranch_execz .LBB135_96
; %bb.95:
	v_mov_b32_e32 v13, 0
	v_lshl_add_u64 v[22:23], v[6:7], 0, v[12:13]
	global_load_ushort v1, v[22:23], off offset:96
	v_lshl_add_u64 v[12:13], v[4:5], 0, v[12:13]
	s_waitcnt vmcnt(0)
	v_lshlrev_b32_e32 v1, 16, v1
	v_sub_f32_e32 v1, v1, v2
	global_store_short_d16_hi v[12:13], v1, off offset:96
	v_mul_f32_e32 v1, v20, v1
	v_lshrrev_b32_e32 v1, 16, v1
.LBB135_96:
	s_or_b64 exec, exec, s[2:3]
	s_and_saveexec_b64 s[0:1], s[4:5]
	s_cbranch_execz .LBB135_98
; %bb.97:
	v_mov_b32_e32 v15, 0
	v_lshl_add_u64 v[6:7], v[6:7], 0, v[14:15]
	global_load_ushort v0, v[6:7], off offset:96
	v_lshl_add_u64 v[4:5], v[4:5], 0, v[14:15]
	s_waitcnt vmcnt(0)
	v_lshlrev_b32_e32 v0, 16, v0
	v_sub_f32_e32 v0, v0, v3
	global_store_short_d16_hi v[4:5], v0, off offset:96
	v_mul_f32_e32 v0, v17, v0
	v_lshrrev_b32_e32 v0, 16, v0
.LBB135_98:
	s_or_b64 exec, exec, s[0:1]
	s_mov_b32 s0, 0x5040100
	v_or_b32_e32 v2, v21, v19
	v_perm_b32 v1, v0, v1, s0
	v_perm_b32 v0, v11, v9, s0
	v_lshlrev_b32_e32 v2, 1, v2
	ds_write_b64 v2, v[0:1] offset:24576
	s_waitcnt lgkmcnt(0)
	s_barrier
.LBB135_99:
	s_endpgm
	.section	.rodata,"a",@progbits
	.p2align	6, 0x0
	.amdhsa_kernel _ZN12_GLOBAL__N_139chunk_gated_delta_rule_fwd_h_hip_kernelILi64ELb0ELb0ELb1ELb1ELb1ELb1ELb1ELb0EEEvPK12hip_bfloat16S3_S3_PKfS5_PKvPS1_S8_PvPKiSB_iiiiilll
		.amdhsa_group_segment_fixed_size 65536
		.amdhsa_private_segment_fixed_size 0
		.amdhsa_kernarg_size 136
		.amdhsa_user_sgpr_count 2
		.amdhsa_user_sgpr_dispatch_ptr 0
		.amdhsa_user_sgpr_queue_ptr 0
		.amdhsa_user_sgpr_kernarg_segment_ptr 1
		.amdhsa_user_sgpr_dispatch_id 0
		.amdhsa_user_sgpr_kernarg_preload_length 0
		.amdhsa_user_sgpr_kernarg_preload_offset 0
		.amdhsa_user_sgpr_private_segment_size 0
		.amdhsa_uses_dynamic_stack 0
		.amdhsa_enable_private_segment 0
		.amdhsa_system_sgpr_workgroup_id_x 1
		.amdhsa_system_sgpr_workgroup_id_y 1
		.amdhsa_system_sgpr_workgroup_id_z 0
		.amdhsa_system_sgpr_workgroup_info 0
		.amdhsa_system_vgpr_workitem_id 0
		.amdhsa_next_free_vgpr 232
		.amdhsa_next_free_sgpr 64
		.amdhsa_accum_offset 192
		.amdhsa_reserve_vcc 1
		.amdhsa_float_round_mode_32 0
		.amdhsa_float_round_mode_16_64 0
		.amdhsa_float_denorm_mode_32 3
		.amdhsa_float_denorm_mode_16_64 3
		.amdhsa_dx10_clamp 1
		.amdhsa_ieee_mode 1
		.amdhsa_fp16_overflow 0
		.amdhsa_tg_split 0
		.amdhsa_exception_fp_ieee_invalid_op 0
		.amdhsa_exception_fp_denorm_src 0
		.amdhsa_exception_fp_ieee_div_zero 0
		.amdhsa_exception_fp_ieee_overflow 0
		.amdhsa_exception_fp_ieee_underflow 0
		.amdhsa_exception_fp_ieee_inexact 0
		.amdhsa_exception_int_div_zero 0
	.end_amdhsa_kernel
	.section	.text._ZN12_GLOBAL__N_139chunk_gated_delta_rule_fwd_h_hip_kernelILi64ELb0ELb0ELb1ELb1ELb1ELb1ELb1ELb0EEEvPK12hip_bfloat16S3_S3_PKfS5_PKvPS1_S8_PvPKiSB_iiiiilll,"axG",@progbits,_ZN12_GLOBAL__N_139chunk_gated_delta_rule_fwd_h_hip_kernelILi64ELb0ELb0ELb1ELb1ELb1ELb1ELb1ELb0EEEvPK12hip_bfloat16S3_S3_PKfS5_PKvPS1_S8_PvPKiSB_iiiiilll,comdat
.Lfunc_end135:
	.size	_ZN12_GLOBAL__N_139chunk_gated_delta_rule_fwd_h_hip_kernelILi64ELb0ELb0ELb1ELb1ELb1ELb1ELb1ELb0EEEvPK12hip_bfloat16S3_S3_PKfS5_PKvPS1_S8_PvPKiSB_iiiiilll, .Lfunc_end135-_ZN12_GLOBAL__N_139chunk_gated_delta_rule_fwd_h_hip_kernelILi64ELb0ELb0ELb1ELb1ELb1ELb1ELb1ELb0EEEvPK12hip_bfloat16S3_S3_PKfS5_PKvPS1_S8_PvPKiSB_iiiiilll
                                        ; -- End function
	.section	.AMDGPU.csdata,"",@progbits
; Kernel info:
; codeLenInByte = 11320
; NumSgprs: 70
; NumVgprs: 190
; NumAgprs: 40
; TotalNumVgprs: 232
; ScratchSize: 0
; MemoryBound: 0
; FloatMode: 240
; IeeeMode: 1
; LDSByteSize: 65536 bytes/workgroup (compile time only)
; SGPRBlocks: 8
; VGPRBlocks: 28
; NumSGPRsForWavesPerEU: 70
; NumVGPRsForWavesPerEU: 232
; AccumOffset: 192
; Occupancy: 1
; WaveLimiterHint : 1
; COMPUTE_PGM_RSRC2:SCRATCH_EN: 0
; COMPUTE_PGM_RSRC2:USER_SGPR: 2
; COMPUTE_PGM_RSRC2:TRAP_HANDLER: 0
; COMPUTE_PGM_RSRC2:TGID_X_EN: 1
; COMPUTE_PGM_RSRC2:TGID_Y_EN: 1
; COMPUTE_PGM_RSRC2:TGID_Z_EN: 0
; COMPUTE_PGM_RSRC2:TIDIG_COMP_CNT: 0
; COMPUTE_PGM_RSRC3_GFX90A:ACCUM_OFFSET: 47
; COMPUTE_PGM_RSRC3_GFX90A:TG_SPLIT: 0
	.section	.text._ZN12_GLOBAL__N_139chunk_gated_delta_rule_fwd_h_hip_kernelILi64ELb0ELb0ELb0ELb1ELb1ELb1ELb1ELb0EEEvPK12hip_bfloat16S3_S3_PKfS5_PKvPS1_S8_PvPKiSB_iiiiilll,"axG",@progbits,_ZN12_GLOBAL__N_139chunk_gated_delta_rule_fwd_h_hip_kernelILi64ELb0ELb0ELb0ELb1ELb1ELb1ELb1ELb0EEEvPK12hip_bfloat16S3_S3_PKfS5_PKvPS1_S8_PvPKiSB_iiiiilll,comdat
	.globl	_ZN12_GLOBAL__N_139chunk_gated_delta_rule_fwd_h_hip_kernelILi64ELb0ELb0ELb0ELb1ELb1ELb1ELb1ELb0EEEvPK12hip_bfloat16S3_S3_PKfS5_PKvPS1_S8_PvPKiSB_iiiiilll ; -- Begin function _ZN12_GLOBAL__N_139chunk_gated_delta_rule_fwd_h_hip_kernelILi64ELb0ELb0ELb0ELb1ELb1ELb1ELb1ELb0EEEvPK12hip_bfloat16S3_S3_PKfS5_PKvPS1_S8_PvPKiSB_iiiiilll
	.p2align	8
	.type	_ZN12_GLOBAL__N_139chunk_gated_delta_rule_fwd_h_hip_kernelILi64ELb0ELb0ELb0ELb1ELb1ELb1ELb1ELb0EEEvPK12hip_bfloat16S3_S3_PKfS5_PKvPS1_S8_PvPKiSB_iiiiilll,@function
_ZN12_GLOBAL__N_139chunk_gated_delta_rule_fwd_h_hip_kernelILi64ELb0ELb0ELb0ELb1ELb1ELb1ELb1ELb0EEEvPK12hip_bfloat16S3_S3_PKfS5_PKvPS1_S8_PvPKiSB_iiiiilll: ; @_ZN12_GLOBAL__N_139chunk_gated_delta_rule_fwd_h_hip_kernelILi64ELb0ELb0ELb0ELb1ELb1ELb1ELb1ELb0EEEvPK12hip_bfloat16S3_S3_PKfS5_PKvPS1_S8_PvPKiSB_iiiiilll
; %bb.0:
	s_load_dwordx4 s[12:15], s[0:1], 0x5c
	s_load_dwordx4 s[16:19], s[0:1], 0x70
	s_abs_i32 s21, s3
	s_ashr_i32 s20, s3, 31
	s_load_dwordx2 s[36:37], s[0:1], 0x30
	s_load_dwordx4 s[24:27], s[0:1], 0x48
	s_waitcnt lgkmcnt(0)
	s_abs_i32 s28, s13
	v_cvt_f32_u32_e32 v1, s28
	s_sub_i32 s22, 0, s28
	s_ashr_i32 s29, s13, 31
	s_xor_b32 s20, s20, s29
	v_rcp_iflag_f32_e32 v1, v1
	s_load_dwordx8 s[4:11], s[0:1], 0x0
	v_lshrrev_b32_e32 v85, 6, v0
	v_bfe_u32 v86, v0, 4, 2
	v_mul_f32_e32 v1, 0x4f7ffffe, v1
	v_cvt_u32_f32_e32 v1, v1
	v_lshlrev_b32_e32 v2, 2, v86
	v_and_b32_e32 v84, 63, v0
	v_mov_b32_e32 v47, 0
	v_readfirstlane_b32 s23, v1
	s_mul_i32 s22, s22, s23
	s_mul_hi_u32 s22, s23, s22
	s_add_i32 s23, s23, s22
	s_mul_hi_u32 s22, s21, s23
	s_mul_i32 s23, s22, s28
	s_sub_i32 s21, s21, s23
	s_add_i32 s30, s22, 1
	s_sub_i32 s23, s21, s28
	s_cmp_ge_u32 s21, s28
	s_cselect_b32 s22, s30, s22
	s_cselect_b32 s21, s23, s21
	s_add_i32 s23, s22, 1
	s_cmp_ge_u32 s21, s28
	s_cselect_b32 s21, s23, s22
	s_xor_b32 s21, s21, s20
	s_sub_i32 s20, s21, s20
	s_mul_i32 s21, s20, s13
	s_sub_i32 s33, s3, s21
	s_ashr_i32 s21, s20, 31
	s_lshl_b64 s[22:23], s[20:21], 2
	s_add_u32 s24, s24, s22
	s_addc_u32 s25, s25, s23
	s_add_u32 s22, s26, s22
	s_addc_u32 s23, s27, s23
	s_abs_i32 s3, s14
	v_cvt_f32_u32_e32 v1, s3
	s_load_dwordx2 s[34:35], s[24:25], 0x0
	s_sub_i32 s25, 0, s3
	s_load_dword s46, s[22:23], 0x0
	v_rcp_iflag_f32_e32 v1, v1
	v_and_b32_e32 v45, 15, v0
	s_waitcnt lgkmcnt(0)
	s_sub_i32 s47, s35, s34
	s_ashr_i32 s24, s47, 31
	v_mul_f32_e32 v1, 0x4f7ffffe, v1
	v_cvt_u32_f32_e32 v1, v1
	s_lshr_b32 s24, s24, 26
	s_add_i32 s24, s47, s24
	s_ashr_i32 s45, s24, 6
	v_readfirstlane_b32 s26, v1
	s_mul_i32 s25, s25, s26
	s_mul_hi_u32 s25, s26, s25
	s_add_i32 s26, s26, s25
	s_mul_hi_u32 s25, s28, s26
	s_mul_i32 s26, s25, s3
	s_ashr_i32 s24, s14, 31
	s_sub_i32 s26, s28, s26
	s_xor_b32 s24, s29, s24
	s_add_i32 s27, s25, 1
	s_sub_i32 s28, s26, s3
	s_cmp_ge_u32 s26, s3
	s_cselect_b32 s25, s27, s25
	s_cselect_b32 s26, s28, s26
	s_add_i32 s27, s25, 1
	s_cmp_ge_u32 s26, s3
	s_cselect_b32 s3, s27, s25
	s_xor_b32 s3, s3, s24
	s_sub_i32 s3, s3, s24
	s_abs_i32 s24, s3
	v_cvt_f32_u32_e32 v1, s24
	s_sub_i32 s23, 0, s24
	s_abs_i32 s22, s33
	s_xor_b32 s3, s33, s3
	v_rcp_iflag_f32_e32 v1, v1
	s_ashr_i32 s3, s3, 31
	s_load_dwordx2 s[28:29], s[0:1], 0x80
	s_mul_hi_i32 s48, s33, s12
	v_mul_f32_e32 v1, 0x4f7ffffe, v1
	v_cvt_u32_f32_e32 v1, v1
	s_mul_i32 s49, s33, s12
	v_lshrrev_b32_e32 v88, 3, v84
	v_lshlrev_b32_e32 v87, 3, v0
	v_readfirstlane_b32 s25, v1
	s_mul_i32 s23, s23, s25
	s_mul_hi_u32 s23, s25, s23
	s_add_i32 s25, s25, s23
	s_mul_hi_u32 s23, s22, s25
	s_mul_i32 s25, s23, s24
	s_sub_i32 s22, s22, s25
	s_add_i32 s25, s23, 1
	s_sub_i32 s26, s22, s24
	s_cmp_ge_u32 s22, s24
	s_cselect_b32 s23, s25, s23
	s_cselect_b32 s22, s26, s22
	s_add_i32 s25, s23, 1
	s_cmp_ge_u32 s22, s24
	s_cselect_b32 s22, s25, s23
	s_xor_b32 s22, s22, s3
	v_lshlrev_b32_e32 v1, 4, v85
	s_sub_i32 s50, s22, s3
	v_or_b32_e32 v89, v2, v1
	s_lshl_b32 s30, s2, 6
	v_or_b32_e32 v90, 64, v89
	s_cmp_lt_i32 s47, 64
	s_mul_i32 s42, s20, s17
	s_mul_hi_u32 s43, s20, s16
	s_mul_i32 s44, s21, s16
	s_mul_i32 s16, s20, s16
	v_mov_b32_e32 v46, v47
	v_mov_b32_e32 v53, v47
	;; [unrolled: 1-line block ×31, first 2 shown]
	s_cbranch_scc1 .LBB136_18
; %bb.1:
	s_ashr_i32 s53, s33, 31
	s_ashr_i32 s3, s34, 31
	s_add_u32 s2, s49, s34
	s_addc_u32 s3, s48, s3
	s_lshl_b64 s[2:3], s[2:3], 8
	v_and_b32_e32 v92, 56, v87
	s_add_u32 s20, s6, s2
	v_lshl_or_b32 v91, v85, 3, v88
	v_lshlrev_b32_e32 v3, 1, v92
	s_addc_u32 s2, s7, s3
	v_lshl_or_b32 v93, v91, 8, v3
	s_and_b32 s21, s2, 0xffff
	s_mov_b32 s23, 0x20000
	s_movk_i32 s22, 0x4000
	s_movk_i32 s2, 0x80
	v_or_b32_e32 v94, 0x2000, v93
	buffer_load_dwordx4 v[4:7], v93, s[20:23], 0 offen
	buffer_load_dwordx4 v[8:11], v93, s[20:23], s2 offen
	;; [unrolled: 1-line block ×4, first 2 shown]
	v_lshlrev_b32_e32 v20, 3, v91
	v_and_or_b32 v22, v0, 7, v20
	v_and_b32_e32 v20, 0x78, v20
	v_lshlrev_b32_e32 v22, 4, v22
	v_xor_b32_e32 v95, v22, v20
	v_mul_lo_u32 v21, v91, s15
	v_or_b32_e32 v96, 0x1000, v95
	s_cmpk_eq_i32 s15, 0x80
	s_mov_b32 s51, s13
	s_mov_b32 s52, s34
	v_xor_b32_e32 v20, 8, v95
	v_xor_b32_e32 v22, 8, v96
	s_cselect_b64 s[2:3], -1, 0
	s_cmpk_lg_i32 s15, 0x80
	s_waitcnt vmcnt(3)
	ds_write_b64 v95, v[4:5] offset:49152
	ds_write_b64 v20, v[6:7] offset:49152
	s_waitcnt vmcnt(2)
	ds_write_b64 v95, v[8:9] offset:57344
	ds_write_b64 v20, v[10:11] offset:57344
	;; [unrolled: 3-line block ×4, first 2 shown]
	v_lshl_add_u32 v4, v21, 1, v92
	s_cbranch_scc0 .LBB136_3
; %bb.2:
	v_lshlrev_b32_e32 v6, 1, v4
	v_add_lshl_u32 v5, v4, s15, 1
	s_lshl_b32 s22, s15, 7
	s_load_dwordx2 s[38:39], s[0:1], 0x20
	v_lshl_or_b32 v3, v91, 9, v3
	s_cbranch_execz .LBB136_4
	s_branch .LBB136_5
.LBB136_3:
                                        ; implicit-def: $vgpr5
                                        ; implicit-def: $vgpr6
                                        ; implicit-def: $sgpr22
	s_load_dwordx2 s[38:39], s[0:1], 0x20
	v_lshl_or_b32 v3, v91, 9, v3
.LBB136_4:
	v_or_b32_e32 v5, 0x100, v3
	s_movk_i32 s22, 0x4000
	v_mov_b32_e32 v6, v3
.LBB136_5:
	s_mul_i32 s0, s34, s14
	s_ashr_i32 s54, s50, 31
	s_mul_hi_i32 s1, s34, s14
	s_add_u32 s0, s0, s50
	s_addc_u32 s1, s1, s54
	s_lshl_b64 s[0:1], s[0:1], 8
	s_add_u32 s20, s4, s0
	s_addc_u32 s0, s5, s1
	s_and_b32 s21, s0, 0xffff
	s_movk_i32 s55, 0x80
	buffer_load_dwordx4 v[8:11], v6, s[20:23], 0 offen
	buffer_load_dwordx4 v[12:15], v6, s[20:23], s55 offen
	buffer_load_dwordx4 v[16:19], v5, s[20:23], 0 offen
	buffer_load_dwordx4 v[20:23], v5, s[20:23], s55 offen
	v_and_b32_e32 v5, 6, v0
	v_lshlrev_b32_e32 v6, 7, v89
	v_xor_b32_e32 v28, v91, v5
	v_and_b32_e32 v7, 1, v0
	v_lshl_or_b32 v31, v45, 3, v6
	v_lshlrev_b32_e32 v28, 2, v28
	v_lshlrev_b32_e32 v24, 2, v45
	v_or_b32_e32 v97, 0x4000, v31
	v_or_b32_e32 v98, 0x6000, v31
	v_xor_b32_e32 v31, 0x440, v28
	v_cmp_eq_u32_e32 vcc, 0, v7
	v_or_b32_e32 v26, 16, v45
	v_or_b32_e32 v27, 32, v45
	v_xor_b32_e32 v29, v89, v24
	v_xor_b32_e32 v30, v90, v24
	v_cndmask_b32_e32 v7, v31, v28, vcc
	s_add_i32 s0, s43, s42
	s_mov_b32 s56, 0x1000504
	v_lshl_or_b32 v32, v26, 3, v6
	v_lshlrev_b32_e32 v26, 8, v26
	v_lshl_or_b32 v33, v27, 3, v6
	v_lshlrev_b32_e32 v29, 1, v29
	v_lshlrev_b32_e32 v30, 1, v30
	v_lshl_or_b32 v5, v5, 10, v7
	s_add_i32 s17, s0, s44
	s_mul_i32 s0, s33, s19
	s_mul_hi_u32 s1, s33, s18
	s_mov_b32 s57, 0x3020706
	v_lshlrev_b32_e32 v25, 8, v45
	v_or_b32_e32 v101, 0x4000, v33
	v_or_b32_e32 v102, 0x6000, v33
	;; [unrolled: 1-line block ×4, first 2 shown]
	v_xor_b32_e32 v7, 8, v5
	v_xor_b32_e32 v26, 24, v5
	;; [unrolled: 1-line block ×4, first 2 shown]
	s_add_i32 s0, s1, s0
	s_mul_i32 s1, s53, s18
	v_or_b32_e32 v99, 0x4000, v32
	v_or_b32_e32 v100, 0x6000, v32
	v_or_b32_e32 v103, v25, v29
	v_or_b32_e32 v104, v25, v30
	v_xor_b32_e32 v25, 16, v5
	v_xor_b32_e32 v28, 32, v5
	;; [unrolled: 1-line block ×3, first 2 shown]
	v_add_u32_e32 v7, 0x80, v7
	v_add_u32_e32 v26, 0x80, v26
	;; [unrolled: 1-line block ×4, first 2 shown]
	s_add_i32 s1, s0, s1
	s_lshl_b64 s[20:21], s[16:17], 2
	s_mul_i32 s0, s33, s18
	s_add_u32 s17, s10, s20
	s_addc_u32 s20, s11, s21
	s_lshl_b64 s[0:1], s[0:1], 2
	s_add_u32 s40, s17, s0
	s_movk_i32 s0, 0xf8
	s_addc_u32 s41, s20, s1
	s_ashr_i32 s31, s30, 31
	s_lshl_b32 s26, s15, 7
	v_mov_b32_e32 v79, 0
	s_movk_i32 s17, 0x100
	v_lshlrev_b32_e32 v78, 4, v45
	v_lshlrev_b32_e32 v27, 8, v27
	s_mov_b32 s59, 0
	s_movk_i32 s22, 0x4000
	v_or_b32_e32 v107, v27, v29
	v_or_b32_e32 v108, v27, v30
	v_add_u32_e32 v134, v1, v2
	s_movk_i32 s58, 0x3000
	v_mov_b32_e32 v70, v79
	v_mov_b32_e32 v71, v79
	;; [unrolled: 1-line block ×7, first 2 shown]
	s_waitcnt vmcnt(1)
	v_perm_b32 v34, v8, v16, s56
	s_waitcnt vmcnt(0)
	v_perm_b32 v35, v12, v20, s56
	v_perm_b32 v8, v8, v16, s57
	;; [unrolled: 1-line block ×15, first 2 shown]
	ds_write2st64_b32 v5, v34, v35 offset0:128 offset1:160
	ds_write2st64_b32 v7, v8, v12 offset0:128 offset1:160
	;; [unrolled: 1-line block ×8, first 2 shown]
	v_or_b32_e32 v5, 48, v45
	v_lshl_or_b32 v7, v5, 3, v6
	v_lshlrev_b32_e32 v5, 8, v5
	v_or_b32_e32 v111, v5, v29
	v_or_b32_e32 v112, v5, v30
	;; [unrolled: 1-line block ×3, first 2 shown]
	v_lshlrev_b32_e32 v5, 3, v5
	v_lshrrev_b32_e32 v9, 5, v84
	v_and_or_b32 v9, v5, s0, v9
	v_lshlrev_b32_e32 v9, 4, v9
	v_lshlrev_b32_e32 v11, 11, v85
	v_and_b32_e32 v5, 0x78, v5
	v_or_b32_e32 v14, 32, v9
	v_and_b32_e32 v8, 0x1000, v11
	v_xor_b32_e32 v10, v9, v5
	v_lshrrev_b32_e32 v12, 1, v84
	v_xor_b32_e32 v14, v14, v5
	v_or_b32_e32 v10, v10, v8
	v_and_b32_e32 v12, 8, v12
	v_or_b32_e32 v14, v14, v8
	v_xor_b32_e32 v113, v10, v12
	v_lshlrev_b32_e32 v10, 8, v86
	v_xor_b32_e32 v115, v14, v12
	v_or_b32_e32 v14, 64, v9
	v_or_b32_e32 v9, 0x60, v9
	;; [unrolled: 1-line block ×3, first 2 shown]
	v_xor_b32_e32 v14, v14, v5
	v_xor_b32_e32 v5, v9, v5
	v_lshlrev_b32_e32 v13, 1, v13
	v_or_b32_e32 v14, v14, v8
	v_or_b32_e32 v5, v5, v8
	s_lshl_b64 s[0:1], s[30:31], 8
	v_or_b32_e32 v114, 0x4000, v13
	v_or_b32_e32 v116, 0x4080, v13
	;; [unrolled: 1-line block ×4, first 2 shown]
	v_xor_b32_e32 v119, v14, v12
	v_xor_b32_e32 v120, v5, v12
	v_or_b32_e32 v121, 0x6000, v13
	v_or_b32_e32 v122, 0x6080, v13
	;; [unrolled: 1-line block ×4, first 2 shown]
	v_lshlrev_b32_e32 v12, 1, v4
	v_add_lshl_u32 v13, v4, s15, 1
	s_add_u32 s0, s36, s0
	v_lshlrev_b32_e32 v4, 1, v45
	v_lshrrev_b32_e32 v15, 4, v0
	s_addc_u32 s1, s37, s1
	v_or_b32_e32 v5, 1, v4
	v_lshlrev_b32_e32 v18, 2, v0
	v_or_b32_e32 v14, 0x100, v3
	v_xor_b32_e32 v16, v15, v4
	v_xor_b32_e32 v17, v5, v15
	v_lshl_add_u64 v[4:5], s[0:1], 0, v[78:79]
	v_lshlrev_b32_e32 v78, 8, v15
	v_lshrrev_b32_e32 v19, 1, v0
	v_and_or_b32 v10, v18, 60, v10
	v_cndmask_b32_e64 v131, v12, v3, s[2:3]
	v_mov_b32_e32 v3, 0xa000
	v_mov_b32_e32 v12, 0x8000
	v_cmp_gt_u32_e64 s[0:1], s17, v0
	v_lshl_or_b32 v125, v16, 3, v78
	v_and_b32_e32 v16, 8, v0
	v_and_b32_e32 v19, 24, v19
	v_lshlrev_b32_e32 v10, 1, v10
	v_cndmask_b32_e64 v3, v3, v12, s[0:1]
	v_lshlrev_b32_e32 v12, 3, v85
	v_or_b32_e32 v127, 0x6000, v10
	v_or_b32_e32 v128, 0x6080, v10
	;; [unrolled: 1-line block ×4, first 2 shown]
	v_mov_b32_e32 v10, 0x400
	v_cmp_eq_u32_e32 vcc, 0, v16
	v_cndmask_b32_e64 v132, v13, v14, s[2:3]
	v_xor_b32_e32 v13, v12, v19
	v_and_b32_e32 v15, 7, v0
	v_cndmask_b32_e64 v16, v10, 64, vcc
	v_or_b32_e32 v14, 0x440, v13
	v_lshl_or_b32 v126, v17, 3, v78
	v_lshlrev_b32_e32 v17, 3, v15
	v_or_b32_e32 v18, 32, v19
	v_or_b32_e32 v20, 0x60, v19
	v_cndmask_b32_e32 v14, v14, v13, vcc
	v_or3_b32 v13, v11, v16, v13
	v_lshlrev_b32_e32 v15, 7, v15
	v_xor_b32_e32 v18, v12, v18
	v_xor_b32_e32 v13, v13, v17
	;; [unrolled: 1-line block ×3, first 2 shown]
	v_or_b32_e32 v21, 0x440, v18
	v_or_b32_e32 v133, v13, v15
	v_xor_b32_e32 v13, 0x440, v12
	v_cndmask_b32_e32 v18, v21, v18, vcc
	v_cndmask_b32_e32 v12, v13, v12, vcc
	v_or_b32_e32 v109, 0x4000, v7
	v_or_b32_e32 v110, 0x6000, v7
	v_lshrrev_b32_e32 v7, 2, v84
	v_or_b32_e32 v14, v14, v11
	v_or_b32_e32 v18, v18, v11
	v_or_b32_e32 v11, v12, v11
	v_and_b32_e32 v7, 12, v7
	v_or_b32_e32 v8, s30, v45
	v_xor_b32_e32 v14, v14, v17
	v_xor_b32_e32 v18, v18, v17
	;; [unrolled: 1-line block ×3, first 2 shown]
	v_ashrrev_i32_e32 v9, 31, v8
	v_or_b32_e32 v10, v1, v7
	v_add_u32_e32 v19, v3, v14
	v_add_u32_e32 v21, v3, v18
	;; [unrolled: 1-line block ×3, first 2 shown]
	v_or3_b32 v12, v1, v7, 64
	v_add_u32_e32 v7, 0xa000, v14
	v_add_u32_e32 v14, 0xa000, v18
	;; [unrolled: 1-line block ×3, first 2 shown]
	v_lshl_add_u64 v[80:81], v[8:9], 1, s[8:9]
	v_lshl_add_u64 v[82:83], v[4:5], 0, v[78:79]
	s_mov_b32 s17, 0x7060302
	v_lshlrev_b32_e32 v78, 1, v6
	s_movk_i32 s31, 0x2000
	v_lshlrev_b32_e32 v135, 2, v10
	v_add_u32_e32 v136, v19, v15
	v_add_u32_e32 v137, v21, v15
	;; [unrolled: 1-line block ×4, first 2 shown]
	v_lshlrev_b32_e32 v140, 2, v12
	v_add_u32_e32 v141, v7, v15
	v_add_u32_e32 v142, v14, v15
	;; [unrolled: 1-line block ×3, first 2 shown]
	v_mov_b32_e32 v77, v79
	v_mov_b32_e32 v62, v79
	;; [unrolled: 1-line block ×25, first 2 shown]
	s_waitcnt lgkmcnt(0)
	s_barrier
.LBB136_6:                              ; =>This Inner Loop Header: Depth=1
	s_add_i32 s60, s59, 1
	s_cmp_lt_i32 s60, s45
	s_mov_b64 s[24:25], 0
	s_cselect_b64 s[2:3], -1, 0
	s_cmp_ge_i32 s60, s45
	s_mov_b64 s[20:21], 0
	s_cbranch_scc1 .LBB136_8
; %bb.7:                                ;   in Loop: Header=BB136_6 Depth=1
	s_add_i32 s0, s52, 64
	s_ashr_i32 s1, s0, 31
	s_add_u32 s0, s49, s0
	s_addc_u32 s1, s48, s1
	s_lshl_b64 s[0:1], s[0:1], 8
	s_add_u32 s20, s6, s0
	s_addc_u32 s21, s7, s1
.LBB136_8:                              ;   in Loop: Header=BB136_6 Depth=1
	v_cndmask_b32_e64 v2, 0, 1, s[2:3]
	v_cmp_ne_u32_e64 s[0:1], 1, v2
	s_andn2_b64 vcc, exec, s[2:3]
	s_cbranch_vccnz .LBB136_10
; %bb.9:                                ;   in Loop: Header=BB136_6 Depth=1
	s_add_i32 s2, s52, 64
	s_mul_hi_i32 s3, s2, s14
	s_mul_i32 s2, s2, s14
	s_add_u32 s2, s2, s50
	s_addc_u32 s3, s3, s54
	s_lshl_b64 s[2:3], s[2:3], 8
	s_add_u32 s24, s4, s2
	s_addc_u32 s25, s5, s3
.LBB136_10:                             ;   in Loop: Header=BB136_6 Depth=1
	v_perm_b32 v3, v77, v76, s17
	v_perm_b32 v2, v75, v74, s17
	v_perm_b32 v5, v73, v72, s17
	v_perm_b32 v4, v71, v70, s17
	ds_write_b64 v97, v[2:3]
	ds_write_b64 v98, v[4:5]
	ds_write_b64 v103, v[2:3]
	ds_write_b64 v104, v[4:5]
	v_perm_b32 v3, v69, v68, s17
	v_perm_b32 v2, v67, v66, s17
	v_perm_b32 v5, v65, v64, s17
	v_perm_b32 v4, v63, v62, s17
	ds_write_b64 v99, v[2:3]
	ds_write_b64 v100, v[4:5]
	ds_write_b64 v105, v[2:3]
	ds_write_b64 v106, v[4:5]
	;; [unrolled: 8-line block ×4, first 2 shown]
	s_waitcnt lgkmcnt(0)
	s_barrier
	ds_read_b64 v[6:7], v113 offset:49152
	ds_read2_b64 v[2:5], v114 offset1:16
	ds_read_b64 v[18:19], v116 offset:6144
	ds_read_b64 v[20:21], v114 offset:6144
	s_waitcnt lgkmcnt(2)
	v_mfma_f32_16x16x16_bf16 a[0:3], v[6:7], v[2:3], 0
	ds_read_b64 v[22:23], v115 offset:49152
	ds_read2st64_b64 v[10:13], v117 offset0:4 offset1:8
	ds_read2st64_b64 v[14:17], v118 offset0:4 offset1:8
	v_mfma_f32_16x16x16_bf16 a[4:7], v[6:7], v[4:5], 0
	ds_read2_b64 v[2:5], v114 offset0:32 offset1:48
	s_add_i32 s61, s52, 63
	s_ashr_i32 s2, s61, 31
	s_waitcnt lgkmcnt(0)
	v_mfma_f32_16x16x16_bf16 a[8:11], v[6:7], v[2:3], 0
	s_mul_i32 s3, s61, s29
	s_mul_hi_u32 s27, s61, s28
	s_add_i32 s3, s27, s3
	v_mfma_f32_16x16x16_bf16 a[12:15], v[6:7], v[4:5], 0
	ds_read2st64_b64 v[2:5], v114 offset0:4 offset1:8
	ds_read2st64_b64 v[6:9], v116 offset0:4 offset1:8
	s_mul_i32 s2, s2, s28
	s_waitcnt lgkmcnt(1)
	v_mfma_f32_16x16x16_bf16 a[0:3], v[22:23], v[2:3], a[0:3]
	s_add_i32 s3, s3, s2
	s_mul_i32 s2, s61, s28
	s_lshl_b64 s[2:3], s[2:3], 2
	s_waitcnt lgkmcnt(0)
	v_mfma_f32_16x16x16_bf16 a[4:7], v[22:23], v[6:7], a[4:7]
	s_add_u32 s2, s40, s2
	s_addc_u32 s3, s41, s3
	s_and_b64 vcc, exec, s[0:1]
	v_mfma_f32_16x16x16_bf16 a[8:11], v[22:23], v[10:11], a[8:11]
	ds_read_b64 v[2:3], v119 offset:49152
	ds_read_b64 v[6:7], v120 offset:49152
	;; [unrolled: 1-line block ×3, first 2 shown]
	v_mov_b32_e32 v146, 0
	v_mov_b32_e32 v145, 0
	v_mfma_f32_16x16x16_bf16 a[12:15], v[22:23], v[14:15], a[12:15]
	v_mov_b32_e32 v144, 0
	v_mov_b32_e32 v14, 0
	v_mov_b32_e32 v15, 0
	s_waitcnt lgkmcnt(2)
	v_mfma_f32_16x16x16_bf16 a[0:3], v[2:3], v[4:5], a[0:3]
	v_mov_b32_e32 v4, 0
	v_mov_b32_e32 v5, 0
	v_mfma_f32_16x16x16_bf16 a[16:19], v[2:3], v[8:9], a[4:7]
	v_mov_b32_e32 v8, 0
	v_mov_b32_e32 v9, 0
	;; [unrolled: 3-line block ×3, first 2 shown]
	v_mfma_f32_16x16x16_bf16 a[24:27], v[2:3], v[16:17], a[12:15]
	ds_read_b64 v[2:3], v117 offset:6144
	v_mov_b32_e32 v16, 0
	v_mov_b32_e32 v17, 0
	s_waitcnt lgkmcnt(2)
	v_mfma_f32_16x16x16_bf16 a[4:7], v[6:7], v[20:21], a[0:3]
	v_mfma_f32_16x16x16_bf16 a[8:11], v[6:7], v[18:19], a[16:19]
	s_waitcnt lgkmcnt(0)
	v_mfma_f32_16x16x16_bf16 a[12:15], v[6:7], v[2:3], a[20:23]
	v_mov_b32_e32 v2, 0
	v_mov_b32_e32 v3, 0
	v_mfma_f32_16x16x16_bf16 a[0:3], v[6:7], v[10:11], a[24:27]
	v_mov_b32_e32 v6, 0
	v_mov_b32_e32 v7, 0
	v_mov_b32_e32 v10, 0
	v_mov_b32_e32 v11, 0
	s_cbranch_vccnz .LBB136_12
; %bb.11:                               ;   in Loop: Header=BB136_6 Depth=1
	s_and_b32 s21, s21, 0xffff
	buffer_load_dwordx4 v[14:17], v93, s[20:23], 0 offen
	buffer_load_dwordx4 v[10:13], v93, s[20:23], s55 offen
	;; [unrolled: 1-line block ×4, first 2 shown]
	v_mov_b32_e32 v145, v95
	v_mov_b32_e32 v144, v96
.LBB136_12:                             ;   in Loop: Header=BB136_6 Depth=1
	ds_read_b64 v[34:35], v113 offset:57344
	ds_read2_b64 v[18:21], v121 offset1:16
	ds_read_b64 v[36:37], v115 offset:57344
	ds_read_b64 v[38:39], v119 offset:57344
	;; [unrolled: 1-line block ×3, first 2 shown]
	v_add_u32_e32 v42, s52, v134
	s_waitcnt lgkmcnt(3)
	v_mfma_f32_16x16x16_bf16 a[4:7], v[34:35], v[18:19], a[4:7]
	v_mfma_f32_16x16x16_bf16 a[8:11], v[34:35], v[20:21], a[8:11]
	ds_read2_b64 v[18:21], v121 offset0:32 offset1:48
	ds_read2st64_b64 v[22:25], v121 offset0:4 offset1:8
	ds_read2st64_b64 v[26:29], v122 offset0:4 offset1:8
	;; [unrolled: 1-line block ×3, first 2 shown]
	s_waitcnt lgkmcnt(3)
	v_mfma_f32_16x16x16_bf16 a[12:15], v[34:35], v[18:19], a[12:15]
	v_ashrrev_i32_e32 v18, 31, v42
	v_mfma_f32_16x16x16_bf16 a[0:3], v[34:35], v[20:21], a[0:3]
	v_mul_lo_u32 v20, v18, s28
	v_mul_lo_u32 v21, v42, s29
	v_mad_u64_u32 v[18:19], s[20:21], v42, s28, 0
	v_add3_u32 v19, v19, v21, v20
	v_add_u32_e32 v20, 1, v42
	v_ashrrev_i32_e32 v21, 31, v20
	s_waitcnt lgkmcnt(2)
	v_mfma_f32_16x16x16_bf16 a[4:7], v[36:37], v[22:23], a[4:7]
	v_mul_lo_u32 v22, v21, s28
	v_mul_lo_u32 v23, v20, s29
	v_mad_u64_u32 v[20:21], s[20:21], v20, s28, 0
	v_add3_u32 v21, v21, v23, v22
	v_add_u32_e32 v22, 2, v42
	v_ashrrev_i32_e32 v23, 31, v22
	s_waitcnt lgkmcnt(1)
	v_mfma_f32_16x16x16_bf16 a[8:11], v[36:37], v[26:27], a[8:11]
	v_mul_lo_u32 v26, v23, s28
	v_mul_lo_u32 v27, v22, s29
	v_mad_u64_u32 v[22:23], s[20:21], v22, s28, 0
	v_add3_u32 v23, v23, v27, v26
	v_add_u32_e32 v26, 3, v42
	v_ashrrev_i32_e32 v27, 31, v26
	v_mul_lo_u32 v34, v27, s28
	v_mul_lo_u32 v35, v26, s29
	v_mad_u64_u32 v[26:27], s[20:21], v26, s28, 0
	s_ashr_i32 s21, s52, 31
	s_add_u32 s20, s49, s52
	s_addc_u32 s21, s48, s21
	v_lshl_add_u64 v[18:19], v[18:19], 2, s[40:41]
	v_add3_u32 v27, v27, v35, v34
	s_lshl_b64 s[20:21], s[20:21], 8
	v_lshl_add_u64 v[20:21], v[20:21], 2, s[40:41]
	v_lshl_add_u64 v[22:23], v[22:23], 2, s[40:41]
	v_lshl_add_u64 v[26:27], v[26:27], 2, s[40:41]
	global_load_dword v34, v[18:19], off
	global_load_dword v35, v[20:21], off
	;; [unrolled: 1-line block ×4, first 2 shown]
	v_lshl_add_u64 v[18:19], v[80:81], 0, s[20:21]
	v_lshl_add_u64 v[22:23], v[18:19], 0, v[78:79]
	global_load_ushort v44, v[22:23], off offset:256
	global_load_ushort v147, v[22:23], off
	ds_read2st64_b64 v[18:21], v124 offset0:4 offset1:8
	global_load_ushort v148, v[22:23], off offset:768
	global_load_ushort v149, v[22:23], off offset:512
	s_waitcnt lgkmcnt(1)
	v_mfma_f32_16x16x16_bf16 a[12:15], v[36:37], v[30:31], a[12:15]
	s_and_b64 vcc, exec, s[0:1]
	s_waitcnt vmcnt(3)
	v_lshlrev_b32_e32 v31, 16, v44
	s_waitcnt lgkmcnt(0)
	v_mfma_f32_16x16x16_bf16 a[0:3], v[36:37], v[18:19], a[0:3]
	global_load_ushort v36, v[22:23], off offset:288
	global_load_ushort v37, v[22:23], off offset:32
	;; [unrolled: 1-line block ×8, first 2 shown]
	v_mfma_f32_16x16x16_bf16 a[4:7], v[38:39], v[24:25], a[4:7]
	ds_read_b64 v[18:19], v121 offset:6144
	s_waitcnt vmcnt(10)
	v_lshlrev_b32_e32 v30, 16, v147
	v_mov_b32_e32 v147, 0
	v_mfma_f32_16x16x16_bf16 a[8:11], v[38:39], v[28:29], a[8:11]
	v_mfma_f32_16x16x16_bf16 a[12:15], v[38:39], v[32:33], a[12:15]
	;; [unrolled: 1-line block ×3, first 2 shown]
	global_load_ushort v38, v[22:23], off offset:352
	global_load_ushort v39, v[22:23], off offset:96
	ds_read_b64 v[20:21], v122 offset:6144
	ds_read_b64 v[24:25], v123 offset:6144
	;; [unrolled: 1-line block ×3, first 2 shown]
	global_load_ushort v156, v[22:23], off offset:864
	global_load_ushort v157, v[22:23], off offset:608
	s_load_dword s2, s[2:3], 0x0
	s_waitcnt lgkmcnt(0)
	v_mfma_f32_16x16x16_bf16 a[4:7], v[40:41], v[18:19], a[4:7]
	v_sub_f32_e32 v28, s2, v42
	v_mfma_f32_16x16x16_bf16 a[0:3], v[40:41], v[26:27], a[0:3]
	v_sub_f32_e32 v26, s2, v34
	v_sub_f32_e32 v27, s2, v35
	;; [unrolled: 1-line block ×3, first 2 shown]
	v_mfma_f32_16x16x16_bf16 a[8:11], v[40:41], v[20:21], a[8:11]
	v_exp_f32_e32 v26, v26
	v_exp_f32_e32 v27, v27
	;; [unrolled: 1-line block ×4, first 2 shown]
	v_accvgpr_read_b32 v33, a5
	v_accvgpr_read_b32 v32, a4
	;; [unrolled: 1-line block ×4, first 2 shown]
	v_pk_add_f32 v[30:31], v[30:31], v[32:33] neg_lo:[0,1] neg_hi:[0,1]
	s_waitcnt vmcnt(13)
	v_lshlrev_b32_e32 v33, 16, v148
	s_waitcnt vmcnt(12)
	v_lshlrev_b32_e32 v32, 16, v149
	v_pk_add_f32 v[18:19], v[32:33], v[18:19] neg_lo:[0,1] neg_hi:[0,1]
	v_pk_mul_f32 v[30:31], v[26:27], v[30:31]
	v_pk_mul_f32 v[18:19], v[28:29], v[18:19]
	v_accvgpr_read_b32 v33, a9
	v_perm_b32 v19, v19, v18, s17
	v_perm_b32 v18, v31, v30, s17
	v_accvgpr_read_b32 v32, a8
	v_accvgpr_read_b32 v21, a11
	v_mfma_f32_16x16x16_bf16 a[12:15], v[40:41], v[24:25], a[12:15]
	v_accvgpr_read_b32 v20, a10
	v_accvgpr_read_b32 v25, a3
	;; [unrolled: 1-line block ×3, first 2 shown]
	s_waitcnt vmcnt(11)
	v_lshlrev_b32_e32 v31, 16, v36
	s_waitcnt vmcnt(10)
	v_lshlrev_b32_e32 v30, 16, v37
	v_pk_add_f32 v[30:31], v[30:31], v[32:33] neg_lo:[0,1] neg_hi:[0,1]
	s_waitcnt vmcnt(9)
	v_lshlrev_b32_e32 v33, 16, v150
	s_waitcnt vmcnt(8)
	v_lshlrev_b32_e32 v32, 16, v151
	v_pk_add_f32 v[20:21], v[32:33], v[20:21] neg_lo:[0,1] neg_hi:[0,1]
	v_pk_mul_f32 v[30:31], v[26:27], v[30:31]
	v_pk_mul_f32 v[20:21], v[28:29], v[20:21]
	v_accvgpr_read_b32 v23, a15
	v_perm_b32 v21, v21, v20, s17
	v_perm_b32 v20, v31, v30, s17
	ds_write2_b64 v98, v[18:19], v[20:21] offset1:16
	v_accvgpr_read_b32 v21, a13
	s_waitcnt vmcnt(7)
	v_lshlrev_b32_e32 v19, 16, v152
	s_waitcnt vmcnt(6)
	v_lshlrev_b32_e32 v18, 16, v153
	v_accvgpr_read_b32 v20, a12
	v_accvgpr_read_b32 v22, a14
	v_pk_add_f32 v[18:19], v[18:19], v[20:21] neg_lo:[0,1] neg_hi:[0,1]
	s_waitcnt vmcnt(5)
	v_lshlrev_b32_e32 v21, 16, v154
	s_waitcnt vmcnt(4)
	v_lshlrev_b32_e32 v20, 16, v155
	v_pk_add_f32 v[20:21], v[20:21], v[22:23] neg_lo:[0,1] neg_hi:[0,1]
	v_pk_mul_f32 v[18:19], v[26:27], v[18:19]
	v_pk_mul_f32 v[20:21], v[28:29], v[20:21]
	v_accvgpr_read_b32 v23, a1
	v_perm_b32 v21, v21, v20, s17
	v_perm_b32 v20, v19, v18, s17
	s_waitcnt vmcnt(3)
	v_lshlrev_b32_e32 v19, 16, v38
	s_waitcnt vmcnt(2)
	v_lshlrev_b32_e32 v18, 16, v39
	v_accvgpr_read_b32 v22, a0
	v_pk_add_f32 v[18:19], v[18:19], v[22:23] neg_lo:[0,1] neg_hi:[0,1]
	s_waitcnt vmcnt(1)
	v_lshlrev_b32_e32 v23, 16, v156
	s_waitcnt vmcnt(0)
	v_lshlrev_b32_e32 v22, 16, v157
	v_pk_add_f32 v[22:23], v[22:23], v[24:25] neg_lo:[0,1] neg_hi:[0,1]
	v_pk_mul_f32 v[18:19], v[26:27], v[18:19]
	v_pk_mul_f32 v[22:23], v[28:29], v[22:23]
	v_mov_b32_e32 v24, 0
	v_perm_b32 v23, v23, v22, s17
	v_perm_b32 v22, v19, v18, s17
	ds_write2_b64 v98, v[20:21], v[22:23] offset0:32 offset1:48
	v_mov_b32_e32 v18, 0
	v_mov_b32_e32 v19, 0
	;; [unrolled: 1-line block ×15, first 2 shown]
	s_cbranch_vccnz .LBB136_14
; %bb.13:                               ;   in Loop: Header=BB136_6 Depth=1
	s_and_b32 s25, s25, 0xffff
	s_mov_b32 s27, s23
	buffer_load_dwordx4 v[30:33], v131, s[24:27], 0 offen
	buffer_load_dwordx4 v[22:25], v131, s[24:27], s55 offen
	;; [unrolled: 1-line block ×4, first 2 shown]
	v_mov_b32_e32 v146, v92
	v_mov_b32_e32 v147, v91
.LBB136_14:                             ;   in Loop: Header=BB136_6 Depth=1
	s_waitcnt lgkmcnt(0)
	s_barrier
	ds_read_b64 v[42:43], v136
	ds_read2_b64 v[34:37], v127 offset1:16
	ds_read_b64 v[164:165], v137
	ds_read_b64 v[166:167], v138
	;; [unrolled: 1-line block ×3, first 2 shown]
	ds_read2_b64 v[38:41], v127 offset0:32 offset1:48
	ds_read2st64_b64 v[148:151], v127 offset0:4 offset1:8
	ds_read2st64_b64 v[152:155], v128 offset0:4 offset1:8
	;; [unrolled: 1-line block ×4, first 2 shown]
	s_waitcnt lgkmcnt(8)
	v_mfma_f32_16x16x16_bf16 a[0:3], v[42:43], v[34:35], 0
	s_add_i32 s3, s46, s59
	s_mul_hi_i32 s21, s3, s51
	s_mul_i32 s3, s3, s51
	v_mfma_f32_16x16x16_bf16 a[4:7], v[42:43], v[36:37], 0
	s_add_u32 s20, s3, s33
	s_addc_u32 s21, s21, s53
	s_lshl_b64 s[20:21], s[20:21], 15
	s_waitcnt lgkmcnt(4)
	v_mfma_f32_16x16x16_bf16 a[8:11], v[42:43], v[38:39], 0
	s_mul_i32 s24, s61, s51
	s_mul_hi_i32 s3, s61, s51
	s_add_u32 s24, s24, s33
	v_mfma_f32_16x16x16_bf16 a[12:15], v[42:43], v[40:41], 0
	ds_read_b64 v[42:43], v127 offset:6144
	ds_read_b64 v[176:177], v128 offset:6144
	;; [unrolled: 1-line block ×4, first 2 shown]
	s_addc_u32 s25, s3, s53
	s_waitcnt lgkmcnt(7)
	v_mfma_f32_16x16x16_bf16 a[0:3], v[164:165], v[148:149], a[0:3]
	s_lshl_b64 s[24:25], s[24:25], 9
	s_add_u32 s24, s38, s24
	s_addc_u32 s25, s39, s25
	s_waitcnt lgkmcnt(6)
	v_mfma_f32_16x16x16_bf16 a[4:7], v[164:165], v[152:153], a[4:7]
	v_lshl_add_u64 v[186:187], v[82:83], 0, s[20:21]
	s_waitcnt lgkmcnt(5)
	v_mfma_f32_16x16x16_bf16 a[8:11], v[164:165], v[156:157], a[8:11]
	s_waitcnt lgkmcnt(4)
	v_mfma_f32_16x16x16_bf16 a[12:15], v[164:165], v[160:161], a[12:15]
	ds_read_b64 v[164:165], v141
	ds_read_b64 v[174:175], v142
	;; [unrolled: 1-line block ×3, first 2 shown]
	s_waitcnt lgkmcnt(2)
	v_mfma_f32_16x16x16_bf16 a[16:19], v[164:165], v[34:35], 0
	v_mfma_f32_16x16x16_bf16 a[20:23], v[164:165], v[36:37], 0
	global_load_dwordx4 v[34:37], v140, s[24:25]
	v_mfma_f32_16x16x16_bf16 a[24:27], v[164:165], v[38:39], 0
	v_mfma_f32_16x16x16_bf16 a[28:31], v[164:165], v[40:41], 0
	global_load_dwordx4 v[38:41], v135, s[24:25]
	v_mfma_f32_16x16x16_bf16 a[0:3], v[166:167], v[150:151], a[0:3]
	v_mfma_f32_16x16x16_bf16 a[4:7], v[166:167], v[154:155], a[4:7]
	;; [unrolled: 1-line block ×8, first 2 shown]
	ds_read2st64_b64 v[164:167], v125 offset1:8
	ds_read2st64_b64 v[168:171], v126 offset1:8
	ds_read_b64 v[184:185], v133 offset:40960
	s_waitcnt lgkmcnt(2)
	v_mov_b32_e32 v172, v164
	v_mfma_f32_16x16x16_bf16 a[16:19], v[174:175], v[148:149], a[16:19]
	v_mov_b32_e32 v173, v165
	v_mfma_f32_16x16x16_bf16 a[20:23], v[174:175], v[152:153], a[20:23]
	v_mfma_f32_16x16x16_bf16 a[24:27], v[174:175], v[156:157], a[24:27]
	v_mfma_f32_16x16x16_bf16 a[28:31], v[174:175], v[160:161], a[28:31]
	v_add_co_u32_e32 v160, vcc, s31, v186
	s_waitcnt lgkmcnt(1)
	v_mov_b32_e32 v174, v168
	s_waitcnt lgkmcnt(0)
	v_mfma_f32_16x16x16_bf16 a[16:19], v[184:185], v[150:151], a[16:19]
	ds_read2st64_b64 v[148:151], v125 offset0:16 offset1:24
	v_addc_co_u32_e32 v161, vcc, 0, v187, vcc
	v_mfma_f32_16x16x16_bf16 a[20:23], v[184:185], v[154:155], a[20:23]
	ds_read2st64_b64 v[152:155], v126 offset0:16 offset1:24
	v_mov_b32_e32 v175, v169
	v_mov_b32_e32 v168, v166
	v_mfma_f32_16x16x16_bf16 a[32:35], v[184:185], v[158:159], a[24:27]
	v_mov_b32_e32 v169, v167
	s_waitcnt lgkmcnt(0)
	v_mov_b32_e32 v158, v152
	v_mov_b32_e32 v159, v153
	v_mfma_f32_16x16x16_bf16 a[36:39], v[184:185], v[162:163], a[28:31]
	v_mov_b32_e32 v152, v150
	v_mov_b32_e32 v153, v151
	;; [unrolled: 1-line block ×3, first 2 shown]
	v_mfma_f32_16x16x16_bf16 a[24:27], v[182:183], v[42:43], a[16:19]
	v_add_co_u32_e32 v42, vcc, s58, v186
	v_mov_b32_e32 v157, v149
	v_mfma_f32_16x16x16_bf16 a[28:31], v[182:183], v[176:177], a[20:23]
	v_addc_co_u32_e32 v43, vcc, 0, v187, vcc
	global_store_dwordx4 v[42:43], v[152:155], off
	v_mfma_f32_16x16x16_bf16 a[16:19], v[182:183], v[178:179], a[32:35]
	s_waitcnt vmcnt(2)
	v_mov_b32_e32 v44, v37
	v_mov_b32_e32 v43, v36
	;; [unrolled: 1-line block ×3, first 2 shown]
	v_mfma_f32_16x16x16_bf16 a[20:23], v[182:183], v[180:181], a[36:39]
	s_and_b64 vcc, exec, s[0:1]
	global_store_dwordx4 v[186:187], v[172:175], off
	global_store_dwordx4 v[160:161], v[168:171], off offset:-4096
	global_store_dwordx4 v[160:161], v[156:159], off
	s_cbranch_vccnz .LBB136_16
; %bb.15:                               ;   in Loop: Header=BB136_6 Depth=1
	v_lshrrev_b32_e32 v35, 3, v146
	v_and_b32_e32 v35, 6, v35
	v_xor_b32_e32 v36, v35, v147
	v_lshlrev_b32_e32 v36, 2, v36
	v_and_b32_e32 v37, 8, v146
	v_xor_b32_e32 v146, 0x440, v36
	v_cmp_eq_u32_e32 vcc, 0, v37
	v_perm_b32 v37, v22, v18, s56
	s_nop 0
	v_cndmask_b32_e32 v36, v146, v36, vcc
	v_lshl_or_b32 v35, v35, 10, v36
	v_perm_b32 v36, v30, v26, s56
	s_barrier
	ds_write2st64_b32 v35, v36, v37 offset0:128 offset1:160
	v_xor_b32_e32 v36, 8, v35
	v_perm_b32 v26, v30, v26, s57
	v_perm_b32 v18, v22, v18, s57
	v_add_u32_e32 v22, 0x80, v36
	ds_write2st64_b32 v22, v26, v18 offset0:128 offset1:160
	v_xor_b32_e32 v18, 16, v35
	v_perm_b32 v22, v31, v27, s56
	v_perm_b32 v26, v23, v19, s56
	ds_write2st64_b32 v18, v22, v26 offset0:129 offset1:161
	v_xor_b32_e32 v18, 24, v35
	v_perm_b32 v22, v31, v27, s57
	v_perm_b32 v19, v23, v19, s57
	v_add_u32_e32 v18, 0x80, v18
	ds_write2st64_b32 v18, v22, v19 offset0:129 offset1:161
	v_xor_b32_e32 v18, 32, v35
	v_perm_b32 v19, v32, v28, s56
	v_perm_b32 v22, v24, v20, s56
	ds_write2st64_b32 v18, v19, v22 offset0:130 offset1:162
	v_xor_b32_e32 v18, 40, v35
	v_perm_b32 v19, v32, v28, s57
	v_perm_b32 v20, v24, v20, s57
	v_add_u32_e32 v18, 0x80, v18
	ds_write2st64_b32 v18, v19, v20 offset0:130 offset1:162
	v_xor_b32_e32 v18, 48, v35
	v_perm_b32 v19, v33, v29, s56
	v_perm_b32 v20, v25, v21, s56
	ds_write2st64_b32 v18, v19, v20 offset0:131 offset1:163
	v_xor_b32_e32 v18, 56, v35
	v_perm_b32 v19, v33, v29, s57
	v_perm_b32 v20, v25, v21, s57
	v_add_u32_e32 v18, 0x80, v18
	ds_write2st64_b32 v18, v19, v20 offset0:131 offset1:163
	ds_write_b64 v145, v[14:15] offset:49152
	v_xor_b32_e32 v14, 8, v145
	ds_write_b64 v14, v[16:17] offset:49152
	ds_write_b64 v145, v[10:11] offset:57344
	;; [unrolled: 1-line block ×4, first 2 shown]
	v_xor_b32_e32 v6, 8, v144
	ds_write_b64 v6, v[8:9] offset:49152
	ds_write_b64 v144, v[2:3] offset:57344
	;; [unrolled: 1-line block ×3, first 2 shown]
.LBB136_16:                             ;   in Loop: Header=BB136_6 Depth=1
	v_exp_f32_e32 v36, s2
	s_waitcnt vmcnt(4)
	v_exp_f32_e32 v38, v38
	v_exp_f32_e32 v39, v39
	;; [unrolled: 1-line block ×4, first 2 shown]
	v_accvgpr_read_b32 v5, a3
	v_accvgpr_read_b32 v4, a2
	;; [unrolled: 1-line block ×4, first 2 shown]
	v_pk_mul_f32 v[38:39], v[36:37], v[38:39] op_sel_hi:[0,1]
	v_pk_mul_f32 v[40:41], v[36:37], v[40:41] op_sel_hi:[0,1]
	v_pk_fma_f32 v[74:75], v[74:75], v[38:39], v[2:3]
	v_pk_fma_f32 v[76:77], v[76:77], v[40:41], v[4:5]
	v_exp_f32_e32 v2, v34
	v_exp_f32_e32 v3, v42
	;; [unrolled: 1-line block ×4, first 2 shown]
	v_accvgpr_read_b32 v9, a7
	v_accvgpr_read_b32 v13, a11
	;; [unrolled: 1-line block ×28, first 2 shown]
	v_pk_mul_f32 v[2:3], v[36:37], v[2:3] op_sel_hi:[0,1]
	v_pk_mul_f32 v[4:5], v[36:37], v[4:5] op_sel_hi:[0,1]
	s_add_i32 s52, s52, 64
	v_pk_fma_f32 v[66:67], v[38:39], v[66:67], v[6:7]
	v_pk_fma_f32 v[68:69], v[40:41], v[68:69], v[8:9]
	;; [unrolled: 1-line block ×13, first 2 shown]
	s_cmp_eq_u32 s45, s60
	v_pk_fma_f32 v[50:51], v[4:5], v[50:51], v[32:33]
	s_cbranch_scc1 .LBB136_18
; %bb.17:                               ;   in Loop: Header=BB136_6 Depth=1
	s_mov_b32 s59, s60
	s_branch .LBB136_6
.LBB136_18:
	s_lshl_b32 s0, s45, 6
	s_sub_i32 s40, s47, s0
	s_cmp_gt_i32 s40, 0
	s_cbranch_scc0 .LBB136_99
; %bb.19:
	s_add_i32 s34, s0, s34
	s_ashr_i32 s2, s34, 31
	s_cmpk_lg_i32 s15, 0x80
	s_cselect_b64 s[26:27], -1, 0
	s_and_b64 vcc, exec, s[26:27]
	s_cbranch_vccz .LBB136_21
; %bb.20:
	s_mul_i32 s1, s34, s14
	s_ashr_i32 s3, s50, 31
	s_mul_hi_i32 s0, s34, s14
	s_add_u32 s38, s1, s50
	s_addc_u32 s39, s0, s3
	s_cbranch_execz .LBB136_22
	s_branch .LBB136_23
.LBB136_21:
                                        ; implicit-def: $sgpr38_sgpr39
.LBB136_22:
	s_mul_i32 s1, s50, s12
	s_mul_hi_i32 s0, s50, s12
	s_add_u32 s38, s1, s34
	s_addc_u32 s39, s0, s2
.LBB136_23:
	s_add_i32 s3, s45, s46
	s_ashr_i32 s12, s33, 31
	s_add_u32 s0, s49, s34
	v_lshlrev_b32_e32 v6, 6, v89
	v_lshlrev_b32_e32 v24, 2, v45
	s_addc_u32 s1, s48, s2
	s_mov_b32 s2, 0x7060302
	v_or_b32_e32 v9, v6, v24
	v_xor_b32_e32 v7, v89, v24
	v_perm_b32 v3, v77, v76, s2
	v_perm_b32 v2, v75, v74, s2
	;; [unrolled: 1-line block ×4, first 2 shown]
	v_lshlrev_b32_e32 v9, 1, v9
	v_xor_b32_e32 v8, v90, v24
	ds_write2st64_b64 v9, v[2:3], v[4:5] offset0:32 offset1:48
	v_lshlrev_b32_e32 v7, 1, v7
	v_lshlrev_b32_e32 v9, 8, v45
	v_or_b32_e32 v10, v7, v9
	v_lshlrev_b32_e32 v8, 1, v8
	ds_write_b64 v10, v[2:3]
	v_or_b32_e32 v2, v8, v9
	v_or_b32_e32 v9, 16, v45
	v_lshlrev_b32_e32 v23, 2, v9
	v_or_b32_e32 v10, v6, v23
	ds_write_b64 v2, v[4:5]
	v_perm_b32 v3, v69, v68, s2
	v_perm_b32 v2, v67, v66, s2
	;; [unrolled: 1-line block ×4, first 2 shown]
	v_lshlrev_b32_e32 v10, 1, v10
	v_lshlrev_b32_e32 v9, 8, v9
	ds_write2st64_b64 v10, v[2:3], v[4:5] offset0:32 offset1:48
	v_or_b32_e32 v10, v7, v9
	ds_write_b64 v10, v[2:3]
	v_or_b32_e32 v2, v8, v9
	v_or_b32_e32 v9, 32, v45
	v_lshlrev_b32_e32 v22, 2, v9
	v_or_b32_e32 v10, v6, v22
	s_lshl_b64 s[24:25], s[0:1], 8
	ds_write_b64 v2, v[4:5]
	v_perm_b32 v3, v61, v60, s2
	v_perm_b32 v2, v59, v58, s2
	;; [unrolled: 1-line block ×4, first 2 shown]
	v_lshlrev_b32_e32 v10, 1, v10
	v_lshlrev_b32_e32 v9, 8, v9
	s_add_u32 s0, s6, s24
	ds_write2st64_b64 v10, v[2:3], v[4:5] offset0:32 offset1:48
	v_or_b32_e32 v10, v7, v9
	s_addc_u32 s1, s7, s25
	ds_write_b64 v10, v[2:3]
	v_or_b32_e32 v2, v8, v9
	v_or_b32_e32 v9, 48, v45
	s_mul_hi_i32 s6, s3, s13
	s_mul_i32 s3, s3, s13
	ds_write_b64 v2, v[4:5]
	v_perm_b32 v3, v47, v46, s2
	v_perm_b32 v2, v53, v52, s2
	;; [unrolled: 1-line block ×4, first 2 shown]
	v_lshlrev_b32_e32 v19, 2, v9
	s_add_u32 s2, s3, s33
	v_or_b32_e32 v6, v6, v19
	s_addc_u32 s3, s6, s12
	v_lshlrev_b32_e32 v6, 1, v6
	s_ashr_i32 s31, s30, 31
	s_lshl_b64 s[2:3], s[2:3], 15
	ds_write2st64_b64 v6, v[2:3], v[4:5] offset0:32 offset1:48
	v_lshlrev_b32_e32 v6, 8, v9
	s_add_u32 s6, s36, s2
	v_or_b32_e32 v7, v7, v6
	s_addc_u32 s7, s37, s3
	s_lshl_b64 s[2:3], s[30:31], 8
	ds_write_b64 v7, v[2:3]
	v_or_b32_e32 v2, v8, v6
	s_add_u32 s2, s6, s2
	v_lshlrev_b32_e32 v3, 1, v45
	ds_write_b64 v2, v[4:5]
	v_lshrrev_b32_e32 v2, 4, v0
	s_addc_u32 s3, s7, s3
	v_or_b32_e32 v4, 1, v3
	v_lshlrev_b32_e32 v10, 4, v45
	v_mov_b32_e32 v11, 0
	v_xor_b32_e32 v3, v2, v3
	v_xor_b32_e32 v6, v4, v2
	v_lshl_add_u64 v[12:13], s[2:3], 0, v[10:11]
	v_lshlrev_b32_e32 v10, 8, v2
	v_lshl_or_b32 v16, v3, 3, v10
	v_lshl_or_b32 v17, v6, 3, v10
	s_waitcnt lgkmcnt(0)
	s_barrier
	ds_read2st64_b64 v[2:5], v16 offset1:8
	ds_read2st64_b64 v[6:9], v17 offset1:8
	v_lshl_add_u64 v[14:15], v[12:13], 0, v[10:11]
	s_movk_i32 s2, 0x2000
	s_cmp_lg_u32 s40, 64
	s_waitcnt lgkmcnt(1)
	v_mov_b32_e32 v10, v2
	v_mov_b32_e32 v11, v3
	s_waitcnt lgkmcnt(0)
	v_mov_b32_e32 v12, v6
	v_mov_b32_e32 v13, v7
	global_store_dwordx4 v[14:15], v[10:13], off
	v_mov_b32_e32 v6, v4
	v_mov_b32_e32 v7, v5
	ds_read2st64_b64 v[2:5], v16 offset0:16 offset1:24
	ds_read2st64_b64 v[10:13], v17 offset0:16 offset1:24
	v_add_co_u32_e32 v16, vcc, s2, v14
	s_cselect_b64 s[6:7], -1, 0
	s_nop 0
	v_addc_co_u32_e32 v17, vcc, 0, v15, vcc
	global_store_dwordx4 v[16:17], v[6:9], off offset:-4096
	v_lshl_or_b32 v25, v85, 3, v88
	s_mov_b32 s20, 0
	s_waitcnt lgkmcnt(1)
	v_mov_b32_e32 v6, v2
	v_add_co_u32_e32 v2, vcc, 0x3000, v14
	v_mov_b32_e32 v7, v3
	s_nop 0
	v_addc_co_u32_e32 v3, vcc, 0, v15, vcc
	s_waitcnt lgkmcnt(0)
	v_mov_b32_e32 v8, v10
	v_mov_b32_e32 v9, v11
	v_mov_b32_e32 v10, v4
	v_mov_b32_e32 v11, v5
	v_or_b32_e32 v20, 32, v25
	v_and_b32_e32 v18, 56, v87
	s_and_b64 vcc, exec, s[6:7]
	global_store_dwordx4 v[16:17], v[6:9], off
	global_store_dwordx4 v[2:3], v[10:13], off
	s_cbranch_vccz .LBB136_29
; %bb.24:
	s_mov_b32 s21, s20
	s_mov_b32 s22, s20
	;; [unrolled: 1-line block ×3, first 2 shown]
	v_mov_b64_e32 v[6:7], s[20:21]
	v_mov_b64_e32 v[8:9], s[22:23]
	;; [unrolled: 1-line block ×3, first 2 shown]
	v_cmp_gt_i32_e32 vcc, s40, v25
	v_mov_b64_e32 v[4:5], v[8:9]
	s_and_saveexec_b64 s[2:3], vcc
	s_cbranch_execz .LBB136_26
; %bb.25:
	v_lshlrev_b32_e32 v2, 8, v25
	v_mov_b32_e32 v3, 0
	v_lshl_add_u64 v[4:5], s[0:1], 0, v[2:3]
	v_lshlrev_b32_e32 v2, 1, v18
	v_lshl_add_u64 v[10:11], v[4:5], 0, v[2:3]
	global_load_dwordx4 v[6:9], v[10:11], off
	global_load_dwordx4 v[2:5], v[10:11], off offset:128
.LBB136_26:
	s_or_b64 exec, exec, s[2:3]
	s_mov_b32 s21, s20
	s_mov_b32 s22, s20
	s_mov_b32 s23, s20
	v_mov_b64_e32 v[14:15], s[20:21]
	v_mov_b64_e32 v[16:17], s[22:23]
	v_mov_b64_e32 v[10:11], v[14:15]
	v_cmp_gt_i32_e32 vcc, s40, v20
	v_lshlrev_b32_e32 v21, 7, v20
	v_mov_b64_e32 v[12:13], v[16:17]
	s_and_saveexec_b64 s[2:3], vcc
	s_cbranch_execz .LBB136_28
; %bb.27:
	v_lshlrev_b32_e32 v10, 1, v21
	v_mov_b32_e32 v11, 0
	v_lshl_add_u64 v[12:13], s[0:1], 0, v[10:11]
	v_lshlrev_b32_e32 v10, 1, v18
	v_lshl_add_u64 v[26:27], v[12:13], 0, v[10:11]
	global_load_dwordx4 v[14:17], v[26:27], off
	global_load_dwordx4 v[10:13], v[26:27], off offset:128
.LBB136_28:
	s_or_b64 exec, exec, s[2:3]
	v_lshrrev_b32_e32 v26, 3, v18
	v_lshlrev_b32_e32 v27, 3, v25
	v_or_b32_e32 v26, v27, v26
	v_lshlrev_b32_e32 v26, 4, v26
	v_and_b32_e32 v27, 0x78, v27
	v_xor_b32_e32 v26, v26, v27
	s_branch .LBB136_31
.LBB136_29:
                                        ; implicit-def: $vgpr26
                                        ; implicit-def: $vgpr21
                                        ; implicit-def: $vgpr6_vgpr7_vgpr8_vgpr9
                                        ; implicit-def: $vgpr2_vgpr3_vgpr4_vgpr5
                                        ; implicit-def: $vgpr14_vgpr15_vgpr16_vgpr17
                                        ; implicit-def: $vgpr10_vgpr11_vgpr12_vgpr13
	s_cbranch_execz .LBB136_31
; %bb.30:
	s_waitcnt vmcnt(0)
	v_lshlrev_b32_e32 v2, 1, v18
	v_lshl_or_b32 v21, v25, 8, v2
	s_and_b32 s1, s1, 0xffff
	s_mov_b32 s3, 0x20000
	s_movk_i32 s2, 0x4000
	v_lshl_or_b32 v26, v20, 8, v2
	s_movk_i32 s13, 0x80
	buffer_load_dwordx4 v[6:9], v21, s[0:3], 0 offen
	buffer_load_dwordx4 v[2:5], v21, s[0:3], s13 offen
	buffer_load_dwordx4 v[14:17], v26, s[0:3], 0 offen
	buffer_load_dwordx4 v[10:13], v26, s[0:3], s13 offen
	v_lshrrev_b32_e32 v21, 3, v18
	v_lshlrev_b32_e32 v26, 3, v25
	v_or_b32_e32 v21, v26, v21
	v_lshlrev_b32_e32 v21, 4, v21
	v_and_b32_e32 v26, 0x78, v26
	v_xor_b32_e32 v26, v21, v26
	v_lshlrev_b32_e32 v21, 7, v20
.LBB136_31:
	s_movk_i32 s0, 0x1000
	v_and_or_b32 v20, v21, s0, v26
	s_waitcnt vmcnt(1)
	ds_write_b64 v26, v[6:7] offset:49152
	v_xor_b32_e32 v6, 8, v26
	ds_write_b64 v6, v[8:9] offset:49152
	s_waitcnt vmcnt(0)
	ds_write_b64 v26, v[2:3] offset:57344
	ds_write_b64 v6, v[4:5] offset:57344
	ds_write_b64 v20, v[14:15] offset:49152
	v_xor_b32_e32 v2, 8, v20
	ds_write_b64 v2, v[16:17] offset:49152
	ds_write_b64 v20, v[10:11] offset:57344
	;; [unrolled: 1-line block ×3, first 2 shown]
	v_or_b32_e32 v2, v1, v45
	v_lshlrev_b32_e32 v3, 11, v85
	v_lshlrev_b32_e32 v2, 3, v2
	v_and_b32_e32 v6, 0x1000, v3
	v_lshrrev_b32_e32 v3, 5, v84
	s_movk_i32 s0, 0xf8
	v_and_or_b32 v3, v2, s0, v3
	v_lshlrev_b32_e32 v7, 4, v3
	v_and_b32_e32 v8, 0x78, v2
	v_or_b32_e32 v10, 32, v7
	v_lshrrev_b32_e32 v3, 1, v84
	v_xor_b32_e32 v10, v10, v8
	v_xor_b32_e32 v2, v7, v8
	v_and_b32_e32 v9, 8, v3
	v_or_b32_e32 v10, v10, v6
	v_or_b32_e32 v2, v2, v6
	v_xor_b32_e32 v28, v10, v9
	v_or_b32_e32 v10, 64, v7
	v_xor_b32_e32 v27, v2, v9
	v_xor_b32_e32 v10, v10, v8
	s_waitcnt lgkmcnt(0)
	s_barrier
	v_or_b32_e32 v13, v10, v6
	ds_read_b64 v[10:11], v27 offset:49152
	v_lshl_or_b32 v14, v86, 8, v24
	v_lshlrev_b32_e32 v26, 1, v14
	v_add_u32_e32 v12, 0x4000, v26
	ds_read2_b64 v[2:5], v12 offset1:16
	v_or_b32_e32 v7, 0x60, v7
	v_xor_b32_e32 v7, v7, v8
	v_or_b32_e32 v6, v7, v6
	v_xor_b32_e32 v29, v13, v9
	v_xor_b32_e32 v30, v6, v9
	ds_read_b64 v[20:21], v28 offset:49152
	ds_read_b64 v[34:35], v29 offset:49152
	;; [unrolled: 1-line block ×3, first 2 shown]
	s_waitcnt lgkmcnt(3)
	v_mfma_f32_16x16x16_bf16 a[0:3], v[10:11], v[2:3], 0
	ds_read2_b64 v[6:9], v12 offset0:32 offset1:48
	s_lshl_b64 s[0:1], s[38:39], 8
	s_add_u32 s4, s4, s0
	v_mfma_f32_16x16x16_bf16 a[4:7], v[10:11], v[4:5], 0
	ds_read2st64_b64 v[2:5], v26 offset0:36 offset1:40
	s_addc_u32 s5, s5, s1
	s_add_i32 s0, s43, s42
	s_waitcnt lgkmcnt(1)
	v_mfma_f32_16x16x16_bf16 a[8:11], v[10:11], v[6:7], 0
	v_or_b32_e32 v6, 64, v14
	v_lshlrev_b32_e32 v31, 1, v6
	s_add_i32 s2, s35, -1
	s_waitcnt lgkmcnt(0)
	v_mfma_f32_16x16x16_bf16 a[0:3], v[20:21], v[2:3], a[0:3]
	v_or_b32_e32 v2, 0x80, v14
	v_lshlrev_b32_e32 v32, 1, v2
	v_or_b32_e32 v2, 0xc0, v14
	v_mfma_f32_16x16x16_bf16 a[12:15], v[10:11], v[8:9], 0
	ds_read2st64_b64 v[6:9], v31 offset0:36 offset1:40
	v_lshlrev_b32_e32 v33, 1, v2
	ds_read2st64_b64 v[10:13], v32 offset0:36 offset1:40
	ds_read2st64_b64 v[14:17], v33 offset0:36 offset1:40
	s_add_i32 s17, s0, s44
	s_mul_i32 s0, s33, s19
	s_mul_hi_u32 s1, s33, s18
	s_add_i32 s0, s1, s0
	s_mul_i32 s1, s12, s18
	s_ashr_i32 s3, s2, 31
	s_mul_i32 s12, s2, s29
	s_mul_hi_u32 s13, s2, s28
	s_waitcnt lgkmcnt(2)
	v_mfma_f32_16x16x16_bf16 a[4:7], v[20:21], v[6:7], a[4:7]
	s_add_i32 s12, s13, s12
	s_mul_i32 s3, s3, s28
	s_add_i32 s1, s0, s1
	s_waitcnt lgkmcnt(1)
	v_mfma_f32_16x16x16_bf16 a[8:11], v[20:21], v[10:11], a[8:11]
	s_add_i32 s3, s12, s3
	s_lshl_b64 s[12:13], s[16:17], 2
	s_mul_i32 s0, s33, s18
	s_waitcnt lgkmcnt(0)
	v_mfma_f32_16x16x16_bf16 a[12:15], v[20:21], v[14:15], a[12:15]
	s_add_u32 s10, s10, s12
	s_addc_u32 s11, s11, s13
	s_lshl_b64 s[0:1], s[0:1], 2
	v_mfma_f32_16x16x16_bf16 a[0:3], v[34:35], v[4:5], a[0:3]
	s_mul_i32 s2, s2, s28
	ds_read_b64 v[2:3], v26 offset:22528
	s_add_u32 s10, s10, s0
	v_mfma_f32_16x16x16_bf16 a[4:7], v[34:35], v[8:9], a[4:7]
	ds_read_b64 v[4:5], v31 offset:22528
	ds_read_b64 v[6:7], v32 offset:22528
	;; [unrolled: 1-line block ×3, first 2 shown]
	s_addc_u32 s11, s11, s1
	s_lshl_b64 s[0:1], s[2:3], 2
	v_mfma_f32_16x16x16_bf16 a[8:11], v[34:35], v[12:13], a[8:11]
	s_add_u32 s0, s10, s0
	s_addc_u32 s1, s11, s1
	s_load_dword s12, s[0:1], 0x0
	v_mfma_f32_16x16x16_bf16 a[12:15], v[34:35], v[16:17], a[12:15]
	s_and_b64 vcc, exec, s[26:27]
	s_waitcnt lgkmcnt(0)
	v_mfma_f32_16x16x16_bf16 a[0:3], v[36:37], v[2:3], a[0:3]
	v_mfma_f32_16x16x16_bf16 a[4:7], v[36:37], v[4:5], a[4:7]
	;; [unrolled: 1-line block ×4, first 2 shown]
	s_cbranch_vccz .LBB136_42
; %bb.32:
	v_lshlrev_b32_e32 v20, 1, v25
	s_and_b64 vcc, exec, s[6:7]
	s_cbranch_vccz .LBB136_43
; %bb.33:
	v_cmp_gt_i32_e32 vcc, s40, v20
	v_mov_b32_e32 v6, 0
	v_mov_b32_e32 v2, 0
	;; [unrolled: 1-line block ×5, first 2 shown]
	s_and_saveexec_b64 s[0:1], vcc
	s_cbranch_execz .LBB136_35
; %bb.34:
	v_mad_i64_i32 v[2:3], s[2:3], s15, v20, 0
	v_lshl_add_u64 v[2:3], v[2:3], 1, s[4:5]
	v_lshlrev_b32_e32 v4, 1, v18
	v_mov_b32_e32 v5, 0
	v_lshl_add_u64 v[2:3], v[2:3], 0, v[4:5]
	global_load_dwordx4 v[2:5], v[2:3], off
.LBB136_35:
	s_or_b64 exec, exec, s[0:1]
	v_or_b32_e32 v21, 1, v20
	v_cmp_gt_i32_e64 s[0:1], s40, v21
	v_mov_b32_e32 v7, 0
	v_mov_b32_e32 v8, 0
	;; [unrolled: 1-line block ×3, first 2 shown]
	s_and_saveexec_b64 s[2:3], s[0:1]
	s_cbranch_execz .LBB136_37
; %bb.36:
	v_mad_i64_i32 v[6:7], s[16:17], s15, v21, 0
	v_lshl_add_u64 v[6:7], v[6:7], 1, s[4:5]
	v_lshlrev_b32_e32 v8, 1, v18
	v_mov_b32_e32 v9, 0
	v_lshl_add_u64 v[6:7], v[6:7], 0, v[8:9]
	global_load_dwordx4 v[6:9], v[6:7], off
.LBB136_37:
	s_or_b64 exec, exec, s[2:3]
	v_mov_b32_e32 v17, 0
	v_mov_b32_e32 v10, 0
	;; [unrolled: 1-line block ×5, first 2 shown]
	s_and_saveexec_b64 s[2:3], vcc
	s_cbranch_execz .LBB136_39
; %bb.38:
	v_mad_i64_i32 v[10:11], s[16:17], s15, v20, 0
	v_lshl_add_u64 v[10:11], v[10:11], 1, s[4:5]
	v_lshlrev_b32_e32 v12, 1, v18
	v_mov_b32_e32 v13, 0
	v_lshl_add_u64 v[10:11], v[10:11], 0, v[12:13]
	global_load_dwordx4 v[10:13], v[10:11], off offset:128
.LBB136_39:
	s_or_b64 exec, exec, s[2:3]
	v_mov_b32_e32 v16, 0
	v_mov_b32_e32 v15, 0
	;; [unrolled: 1-line block ×3, first 2 shown]
	s_and_saveexec_b64 s[2:3], s[0:1]
	s_cbranch_execz .LBB136_41
; %bb.40:
	v_mad_i64_i32 v[14:15], s[0:1], s15, v21, 0
	v_lshl_add_u64 v[14:15], v[14:15], 1, s[4:5]
	v_lshlrev_b32_e32 v16, 1, v18
	v_mov_b32_e32 v17, 0
	v_lshl_add_u64 v[14:15], v[14:15], 0, v[16:17]
	global_load_dwordx4 v[14:17], v[14:15], off offset:128
.LBB136_41:
	s_or_b64 exec, exec, s[2:3]
	s_branch .LBB136_45
.LBB136_42:
                                        ; implicit-def: $vgpr5
                                        ; implicit-def: $vgpr9
                                        ; implicit-def: $vgpr13
                                        ; implicit-def: $vgpr17
	v_lshrrev_b32_e32 v34, 2, v84
	s_branch .LBB136_46
.LBB136_43:
                                        ; implicit-def: $vgpr5
                                        ; implicit-def: $vgpr9
                                        ; implicit-def: $vgpr13
                                        ; implicit-def: $vgpr17
	s_cbranch_execz .LBB136_45
; %bb.44:
	s_waitcnt vmcnt(0)
	v_mad_u64_u32 v[2:3], s[0:1], v20, s15, v[18:19]
	v_lshlrev_b32_e32 v20, 1, v2
	s_lshl_b32 s2, s15, 7
	s_and_b32 s1, s5, 0xffff
	s_mov_b32 s3, 0x20000
	s_mov_b32 s0, s4
	v_add_lshl_u32 v21, v2, s15, 1
	s_movk_i32 s13, 0x80
	buffer_load_dwordx4 v[2:5], v20, s[0:3], 0 offen
	buffer_load_dwordx4 v[10:13], v20, s[0:3], s13 offen
	;; [unrolled: 1-line block ×4, first 2 shown]
.LBB136_45:
	v_lshrrev_b32_e32 v34, 2, v84
	s_cbranch_execnz .LBB136_58
.LBB136_46:
	s_and_b64 vcc, exec, s[6:7]
	s_cbranch_vccz .LBB136_56
; %bb.47:
	s_waitcnt vmcnt(0)
	v_lshlrev_b32_e32 v7, 1, v25
	v_cmp_gt_i32_e32 vcc, s40, v7
	v_mov_b32_e32 v6, 0
	v_lshlrev_b32_e32 v14, 9, v25
	v_mov_b32_e32 v2, 0
	v_mov_b32_e32 v3, 0
	;; [unrolled: 1-line block ×4, first 2 shown]
	s_and_saveexec_b64 s[0:1], vcc
	s_cbranch_execz .LBB136_49
; %bb.48:
	v_mov_b32_e32 v15, 0
	v_lshl_add_u64 v[2:3], s[4:5], 0, v[14:15]
	v_lshlrev_b32_e32 v4, 1, v18
	v_mov_b32_e32 v5, v15
	v_lshl_add_u64 v[2:3], v[2:3], 0, v[4:5]
	global_load_dwordx4 v[2:5], v[2:3], off
.LBB136_49:
	s_or_b64 exec, exec, s[0:1]
	v_or_b32_e32 v7, 1, v7
	v_cmp_gt_i32_e64 s[0:1], s40, v7
	v_lshlrev_b32_e32 v20, 8, v7
	v_mov_b32_e32 v7, 0
	v_mov_b32_e32 v8, 0
	;; [unrolled: 1-line block ×3, first 2 shown]
	s_and_saveexec_b64 s[2:3], s[0:1]
	s_cbranch_execz .LBB136_51
; %bb.50:
	v_mov_b32_e32 v21, 0
	v_lshl_add_u64 v[6:7], s[4:5], 0, v[20:21]
	v_lshlrev_b32_e32 v8, 1, v18
	v_mov_b32_e32 v9, v21
	v_lshl_add_u64 v[6:7], v[6:7], 0, v[8:9]
	global_load_dwordx4 v[6:9], v[6:7], off
.LBB136_51:
	s_or_b64 exec, exec, s[2:3]
	v_mov_b32_e32 v17, 0
	v_mov_b32_e32 v10, 0
	;; [unrolled: 1-line block ×5, first 2 shown]
	s_and_saveexec_b64 s[2:3], vcc
	s_cbranch_execz .LBB136_53
; %bb.52:
	v_mov_b32_e32 v15, 0
	v_lshl_add_u64 v[10:11], s[4:5], 0, v[14:15]
	v_lshlrev_b32_e32 v14, 1, v18
	v_lshl_add_u64 v[10:11], v[10:11], 0, v[14:15]
	global_load_dwordx4 v[10:13], v[10:11], off offset:128
.LBB136_53:
	s_or_b64 exec, exec, s[2:3]
	v_mov_b32_e32 v16, 0
	v_mov_b32_e32 v15, 0
	;; [unrolled: 1-line block ×3, first 2 shown]
	s_and_saveexec_b64 s[2:3], s[0:1]
	s_cbranch_execz .LBB136_55
; %bb.54:
	v_mov_b32_e32 v21, 0
	v_lshl_add_u64 v[14:15], s[4:5], 0, v[20:21]
	v_lshlrev_b32_e32 v20, 1, v18
	v_lshl_add_u64 v[14:15], v[14:15], 0, v[20:21]
	global_load_dwordx4 v[14:17], v[14:15], off offset:128
.LBB136_55:
	s_or_b64 exec, exec, s[2:3]
	s_branch .LBB136_58
.LBB136_56:
                                        ; implicit-def: $vgpr5
                                        ; implicit-def: $vgpr9
                                        ; implicit-def: $vgpr13
                                        ; implicit-def: $vgpr17
	s_cbranch_execz .LBB136_58
; %bb.57:
	s_waitcnt vmcnt(0)
	v_lshlrev_b32_e32 v2, 1, v18
	v_lshl_or_b32 v18, v25, 9, v2
	s_and_b32 s5, s5, 0xffff
	s_mov_b32 s7, 0x20000
	s_movk_i32 s6, 0x4000
	s_movk_i32 s0, 0x80
	buffer_load_dwordx4 v[2:5], v18, s[4:7], 0 offen
	buffer_load_dwordx4 v[6:9], v18, s[4:7], 0 offen offset:256
	buffer_load_dwordx4 v[10:13], v18, s[4:7], s0 offen
	buffer_load_dwordx4 v[14:17], v18, s[4:7], s0 offen offset:256
.LBB136_58:
	ds_read_b64 v[20:21], v27 offset:57344
	v_add_u32_e32 v18, 0x6000, v26
	ds_read2_b64 v[36:39], v18 offset1:16
	ds_read_b64 v[54:55], v28 offset:57344
	ds_read_b64 v[28:29], v29 offset:57344
	;; [unrolled: 1-line block ×3, first 2 shown]
	ds_read2st64_b64 v[40:43], v26 offset0:52 offset1:56
	s_mov_b32 s0, 0x1000504
	s_mov_b32 s1, 0x3020706
	s_waitcnt lgkmcnt(4)
	v_mfma_f32_16x16x16_bf16 a[0:3], v[20:21], v[36:37], a[0:3]
	v_mfma_f32_16x16x16_bf16 a[4:7], v[20:21], v[38:39], a[4:7]
	ds_read2_b64 v[36:39], v18 offset0:32 offset1:48
	v_and_b32_e32 v18, 6, v0
	v_xor_b32_e32 v25, v25, v18
	s_waitcnt lgkmcnt(0)
	v_mfma_f32_16x16x16_bf16 a[8:11], v[20:21], v[36:37], a[8:11]
	v_lshlrev_b32_e32 v25, 2, v25
	v_and_b32_e32 v0, 1, v0
	v_xor_b32_e32 v35, 0x440, v25
	v_mfma_f32_16x16x16_bf16 a[12:15], v[20:21], v[38:39], a[12:15]
	ds_read2st64_b64 v[36:39], v31 offset0:52 offset1:56
	ds_read2st64_b64 v[46:49], v32 offset0:52 offset1:56
	;; [unrolled: 1-line block ×3, first 2 shown]
	v_cmp_eq_u32_e32 vcc, 0, v0
	ds_read_b64 v[20:21], v26 offset:30720
	ds_read_b64 v[26:27], v31 offset:30720
	;; [unrolled: 1-line block ×4, first 2 shown]
	v_mfma_f32_16x16x16_bf16 a[0:3], v[54:55], v[40:41], a[0:3]
	v_cndmask_b32_e32 v0, v35, v25, vcc
	v_lshl_or_b32 v0, v18, 10, v0
	s_waitcnt vmcnt(0)
	v_perm_b32 v18, v2, v6, s0
	s_waitcnt lgkmcnt(6)
	v_mfma_f32_16x16x16_bf16 a[4:7], v[54:55], v[36:37], a[4:7]
	v_perm_b32 v25, v10, v14, s0
	ds_write2st64_b32 v0, v18, v25 offset0:128 offset1:160
	v_xor_b32_e32 v18, 8, v0
	s_waitcnt lgkmcnt(6)
	v_mfma_f32_16x16x16_bf16 a[8:11], v[54:55], v[46:47], a[8:11]
	v_perm_b32 v2, v2, v6, s1
	v_perm_b32 v6, v10, v14, s1
	v_add_u32_e32 v10, 0x80, v18
	s_waitcnt lgkmcnt(5)
	v_mfma_f32_16x16x16_bf16 a[12:15], v[54:55], v[50:51], a[12:15]
	ds_write2st64_b32 v10, v2, v6 offset0:128 offset1:160
	v_xor_b32_e32 v2, 16, v0
	v_perm_b32 v6, v3, v7, s0
	v_mfma_f32_16x16x16_bf16 a[0:3], v[28:29], v[42:43], a[0:3]
	v_perm_b32 v10, v11, v15, s0
	ds_write2st64_b32 v2, v6, v10 offset0:129 offset1:161
	v_xor_b32_e32 v2, 24, v0
	v_mfma_f32_16x16x16_bf16 a[4:7], v[28:29], v[38:39], a[4:7]
	v_perm_b32 v3, v3, v7, s1
	v_perm_b32 v6, v11, v15, s1
	v_add_u32_e32 v2, 0x80, v2
	v_mfma_f32_16x16x16_bf16 a[16:19], v[28:29], v[48:49], a[8:11]
	ds_write2st64_b32 v2, v3, v6 offset0:129 offset1:161
	v_xor_b32_e32 v2, 32, v0
	v_perm_b32 v3, v4, v8, s0
	v_mfma_f32_16x16x16_bf16 a[20:23], v[28:29], v[52:53], a[12:15]
	v_perm_b32 v6, v12, v16, s0
	ds_write2st64_b32 v2, v3, v6 offset0:130 offset1:162
	v_xor_b32_e32 v2, 40, v0
	s_waitcnt lgkmcnt(8)
	v_mfma_f32_16x16x16_bf16 a[12:15], v[56:57], v[20:21], a[0:3]
	v_perm_b32 v3, v4, v8, s1
	v_perm_b32 v4, v12, v16, s1
	v_add_u32_e32 v2, 0x80, v2
	s_waitcnt lgkmcnt(7)
	v_mfma_f32_16x16x16_bf16 a[8:11], v[56:57], v[26:27], a[4:7]
	ds_write2st64_b32 v2, v3, v4 offset0:130 offset1:162
	v_xor_b32_e32 v2, 48, v0
	v_perm_b32 v3, v5, v9, s0
	s_waitcnt lgkmcnt(7)
	v_mfma_f32_16x16x16_bf16 a[4:7], v[56:57], v[30:31], a[16:19]
	v_perm_b32 v4, v13, v17, s0
	v_xor_b32_e32 v0, 56, v0
	v_and_or_b32 v18, v34, 12, v1
	s_waitcnt lgkmcnt(6)
	v_mfma_f32_16x16x16_bf16 a[0:3], v[56:57], v[32:33], a[20:23]
	ds_write2st64_b32 v2, v3, v4 offset0:131 offset1:163
	v_perm_b32 v2, v5, v9, s1
	v_perm_b32 v3, v13, v17, s1
	v_add_u32_e32 v0, 0x80, v0
	v_cmp_gt_i32_e32 vcc, s40, v18
	v_mov_b32_e32 v14, 0
	v_mov_b32_e32 v16, 0
	ds_write2st64_b32 v0, v2, v3 offset0:131 offset1:163
	s_and_saveexec_b64 s[0:1], vcc
	s_cbranch_execz .LBB136_60
; %bb.59:
	v_add_u32_e32 v0, s34, v18
	v_ashrrev_i32_e32 v1, 31, v0
	v_mul_lo_u32 v2, v1, s28
	v_mul_lo_u32 v3, v0, s29
	v_mad_u64_u32 v[0:1], s[2:3], v0, s28, 0
	v_add3_u32 v1, v1, v3, v2
	v_lshl_add_u64 v[0:1], v[0:1], 2, s[10:11]
	global_load_dword v0, v[0:1], off
	s_waitcnt vmcnt(0)
	v_sub_f32_e32 v0, s12, v0
	v_exp_f32_e32 v16, v0
.LBB136_60:
	s_or_b64 exec, exec, s[0:1]
	v_or_b32_e32 v8, 1, v18
	v_cmp_gt_i32_e64 s[0:1], s40, v8
	s_and_saveexec_b64 s[2:3], s[0:1]
	s_cbranch_execz .LBB136_62
; %bb.61:
	v_add_u32_e32 v0, s34, v8
	v_ashrrev_i32_e32 v1, 31, v0
	v_mul_lo_u32 v2, v1, s28
	v_mul_lo_u32 v3, v0, s29
	v_mad_u64_u32 v[0:1], s[4:5], v0, s28, 0
	v_add3_u32 v1, v1, v3, v2
	v_lshl_add_u64 v[0:1], v[0:1], 2, s[10:11]
	global_load_dword v0, v[0:1], off
	s_waitcnt vmcnt(0)
	v_sub_f32_e32 v0, s12, v0
	v_exp_f32_e32 v14, v0
.LBB136_62:
	s_or_b64 exec, exec, s[2:3]
	v_or_b32_e32 v10, 2, v18
	v_cmp_gt_i32_e64 s[2:3], s40, v10
	v_mov_b32_e32 v15, 0
	v_mov_b32_e32 v17, 0
	s_and_saveexec_b64 s[4:5], s[2:3]
	s_cbranch_execz .LBB136_64
; %bb.63:
	v_add_u32_e32 v0, s34, v10
	v_ashrrev_i32_e32 v1, 31, v0
	v_mul_lo_u32 v2, v1, s28
	v_mul_lo_u32 v3, v0, s29
	v_mad_u64_u32 v[0:1], s[6:7], v0, s28, 0
	v_add3_u32 v1, v1, v3, v2
	v_lshl_add_u64 v[0:1], v[0:1], 2, s[10:11]
	global_load_dword v0, v[0:1], off
	s_waitcnt vmcnt(0)
	v_sub_f32_e32 v0, s12, v0
	v_exp_f32_e32 v17, v0
.LBB136_64:
	s_or_b64 exec, exec, s[4:5]
	v_or_b32_e32 v12, 3, v18
	v_cmp_gt_i32_e64 s[4:5], s40, v12
	s_and_saveexec_b64 s[6:7], s[4:5]
	s_cbranch_execz .LBB136_66
; %bb.65:
	v_add_u32_e32 v0, s34, v12
	v_ashrrev_i32_e32 v1, 31, v0
	v_mul_lo_u32 v2, v1, s28
	v_mul_lo_u32 v3, v0, s29
	v_mad_u64_u32 v[0:1], s[14:15], v0, s28, 0
	v_add3_u32 v1, v1, v3, v2
	v_lshl_add_u64 v[0:1], v[0:1], 2, s[10:11]
	global_load_dword v0, v[0:1], off
	s_waitcnt vmcnt(0)
	v_sub_f32_e32 v0, s12, v0
	v_exp_f32_e32 v15, v0
.LBB136_66:
	s_or_b64 exec, exec, s[6:7]
	v_or_b32_e32 v4, s30, v45
	s_add_u32 s6, s8, s24
	v_accvgpr_read_b32 v0, a12
	s_addc_u32 s7, s9, s25
	v_ashrrev_i32_e32 v5, 31, v4
	v_accvgpr_read_b32 v1, a13
	v_accvgpr_read_b32 v2, a14
	;; [unrolled: 1-line block ×3, first 2 shown]
	v_lshl_add_u64 v[4:5], v[4:5], 1, s[6:7]
	v_mov_b32_e32 v9, 0
	v_lshlrev_b32_e32 v6, 8, v18
	v_mov_b32_e32 v7, 0
	s_and_saveexec_b64 s[6:7], vcc
	s_cbranch_execz .LBB136_68
; %bb.67:
	v_mov_b32_e32 v7, 0
	v_lshl_add_u64 v[20:21], v[4:5], 0, v[6:7]
	global_load_ushort v7, v[20:21], off
	s_waitcnt vmcnt(0)
	v_lshlrev_b32_e32 v7, 16, v7
	v_sub_f32_e32 v0, v7, v0
	v_mul_f32_e32 v0, v16, v0
	v_lshrrev_b32_e32 v7, 16, v0
.LBB136_68:
	s_or_b64 exec, exec, s[6:7]
	v_lshlrev_b32_e32 v8, 8, v8
	s_and_saveexec_b64 s[6:7], s[0:1]
	s_cbranch_execz .LBB136_70
; %bb.69:
	v_mov_b32_e32 v9, 0
	v_lshl_add_u64 v[20:21], v[4:5], 0, v[8:9]
	global_load_ushort v0, v[20:21], off
	s_waitcnt vmcnt(0)
	v_lshlrev_b32_e32 v0, 16, v0
	v_sub_f32_e32 v0, v0, v1
	v_mul_f32_e32 v0, v14, v0
	v_lshrrev_b32_e32 v9, 16, v0
.LBB136_70:
	s_or_b64 exec, exec, s[6:7]
	v_mov_b32_e32 v13, 0
	v_lshlrev_b32_e32 v10, 8, v10
	v_mov_b32_e32 v11, 0
	s_and_saveexec_b64 s[6:7], s[2:3]
	s_cbranch_execz .LBB136_72
; %bb.71:
	v_mov_b32_e32 v11, 0
	v_lshl_add_u64 v[0:1], v[4:5], 0, v[10:11]
	global_load_ushort v0, v[0:1], off
	s_waitcnt vmcnt(0)
	v_lshlrev_b32_e32 v0, 16, v0
	v_sub_f32_e32 v0, v0, v2
	v_mul_f32_e32 v0, v17, v0
	v_lshrrev_b32_e32 v11, 16, v0
.LBB136_72:
	s_or_b64 exec, exec, s[6:7]
	v_lshlrev_b32_e32 v12, 8, v12
	s_and_saveexec_b64 s[6:7], s[4:5]
	s_cbranch_execz .LBB136_74
; %bb.73:
	v_mov_b32_e32 v13, 0
	v_lshl_add_u64 v[0:1], v[4:5], 0, v[12:13]
	global_load_ushort v0, v[0:1], off
	s_waitcnt vmcnt(0)
	v_lshlrev_b32_e32 v0, 16, v0
	v_sub_f32_e32 v0, v0, v3
	v_mul_f32_e32 v0, v15, v0
	v_lshrrev_b32_e32 v13, 16, v0
.LBB136_74:
	s_or_b64 exec, exec, s[6:7]
	v_lshlrev_b32_e32 v18, 6, v18
	s_mov_b32 s6, 0x5040100
	v_perm_b32 v20, v9, v7, s6
	v_or_b32_e32 v7, v18, v24
	v_accvgpr_read_b32 v0, a8
	v_perm_b32 v21, v13, v11, s6
	v_lshlrev_b32_e32 v7, 1, v7
	v_accvgpr_read_b32 v1, a9
	v_accvgpr_read_b32 v2, a10
	;; [unrolled: 1-line block ×3, first 2 shown]
	ds_write_b64 v7, v[20:21] offset:24576
	v_mov_b32_e32 v9, 0
	v_mov_b32_e32 v7, 0
	s_and_saveexec_b64 s[6:7], vcc
	s_cbranch_execz .LBB136_76
; %bb.75:
	v_mov_b32_e32 v7, 0
	v_lshl_add_u64 v[20:21], v[4:5], 0, v[6:7]
	global_load_ushort v7, v[20:21], off offset:32
	s_waitcnt vmcnt(0)
	v_lshlrev_b32_e32 v7, 16, v7
	v_sub_f32_e32 v0, v7, v0
	v_mul_f32_e32 v0, v16, v0
	v_lshrrev_b32_e32 v7, 16, v0
.LBB136_76:
	s_or_b64 exec, exec, s[6:7]
	s_and_saveexec_b64 s[6:7], s[0:1]
	s_cbranch_execz .LBB136_78
; %bb.77:
	v_mov_b32_e32 v9, 0
	v_lshl_add_u64 v[20:21], v[4:5], 0, v[8:9]
	global_load_ushort v0, v[20:21], off offset:32
	s_waitcnt vmcnt(0)
	v_lshlrev_b32_e32 v0, 16, v0
	v_sub_f32_e32 v0, v0, v1
	v_mul_f32_e32 v0, v14, v0
	v_lshrrev_b32_e32 v9, 16, v0
.LBB136_78:
	s_or_b64 exec, exec, s[6:7]
	v_mov_b32_e32 v13, 0
	v_mov_b32_e32 v11, 0
	s_and_saveexec_b64 s[6:7], s[2:3]
	s_cbranch_execz .LBB136_80
; %bb.79:
	v_mov_b32_e32 v11, 0
	v_lshl_add_u64 v[0:1], v[4:5], 0, v[10:11]
	global_load_ushort v0, v[0:1], off offset:32
	s_waitcnt vmcnt(0)
	v_lshlrev_b32_e32 v0, 16, v0
	v_sub_f32_e32 v0, v0, v2
	v_mul_f32_e32 v0, v17, v0
	v_lshrrev_b32_e32 v11, 16, v0
.LBB136_80:
	s_or_b64 exec, exec, s[6:7]
	s_and_saveexec_b64 s[6:7], s[4:5]
	s_cbranch_execz .LBB136_82
; %bb.81:
	v_mov_b32_e32 v13, 0
	v_lshl_add_u64 v[0:1], v[4:5], 0, v[12:13]
	global_load_ushort v0, v[0:1], off offset:32
	s_waitcnt vmcnt(0)
	v_lshlrev_b32_e32 v0, 16, v0
	v_sub_f32_e32 v0, v0, v3
	v_mul_f32_e32 v0, v15, v0
	v_lshrrev_b32_e32 v13, 16, v0
.LBB136_82:
	s_or_b64 exec, exec, s[6:7]
	s_mov_b32 s6, 0x5040100
	v_perm_b32 v20, v9, v7, s6
	v_or_b32_e32 v7, v18, v23
	v_accvgpr_read_b32 v0, a4
	v_perm_b32 v21, v13, v11, s6
	v_lshlrev_b32_e32 v7, 1, v7
	v_accvgpr_read_b32 v1, a5
	v_accvgpr_read_b32 v2, a6
	;; [unrolled: 1-line block ×3, first 2 shown]
	ds_write_b64 v7, v[20:21] offset:24576
	v_mov_b32_e32 v9, 0
	v_mov_b32_e32 v7, 0
	s_and_saveexec_b64 s[6:7], vcc
	s_cbranch_execz .LBB136_84
; %bb.83:
	v_mov_b32_e32 v7, 0
	v_lshl_add_u64 v[20:21], v[4:5], 0, v[6:7]
	global_load_ushort v7, v[20:21], off offset:64
	s_waitcnt vmcnt(0)
	v_lshlrev_b32_e32 v7, 16, v7
	v_sub_f32_e32 v0, v7, v0
	v_mul_f32_e32 v0, v16, v0
	v_lshrrev_b32_e32 v7, 16, v0
.LBB136_84:
	s_or_b64 exec, exec, s[6:7]
	s_and_saveexec_b64 s[6:7], s[0:1]
	s_cbranch_execz .LBB136_86
; %bb.85:
	v_mov_b32_e32 v9, 0
	v_lshl_add_u64 v[20:21], v[4:5], 0, v[8:9]
	global_load_ushort v0, v[20:21], off offset:64
	s_waitcnt vmcnt(0)
	v_lshlrev_b32_e32 v0, 16, v0
	v_sub_f32_e32 v0, v0, v1
	v_mul_f32_e32 v0, v14, v0
	v_lshrrev_b32_e32 v9, 16, v0
.LBB136_86:
	s_or_b64 exec, exec, s[6:7]
	v_mov_b32_e32 v13, 0
	v_mov_b32_e32 v11, 0
	s_and_saveexec_b64 s[6:7], s[2:3]
	s_cbranch_execz .LBB136_88
; %bb.87:
	v_mov_b32_e32 v11, 0
	v_lshl_add_u64 v[0:1], v[4:5], 0, v[10:11]
	global_load_ushort v0, v[0:1], off offset:64
	s_waitcnt vmcnt(0)
	v_lshlrev_b32_e32 v0, 16, v0
	v_sub_f32_e32 v0, v0, v2
	v_mul_f32_e32 v0, v17, v0
	v_lshrrev_b32_e32 v11, 16, v0
.LBB136_88:
	s_or_b64 exec, exec, s[6:7]
	s_and_saveexec_b64 s[6:7], s[4:5]
	s_cbranch_execz .LBB136_90
; %bb.89:
	v_mov_b32_e32 v13, 0
	v_lshl_add_u64 v[0:1], v[4:5], 0, v[12:13]
	global_load_ushort v0, v[0:1], off offset:64
	s_waitcnt vmcnt(0)
	v_lshlrev_b32_e32 v0, 16, v0
	v_sub_f32_e32 v0, v0, v3
	v_mul_f32_e32 v0, v15, v0
	v_lshrrev_b32_e32 v13, 16, v0
.LBB136_90:
	s_or_b64 exec, exec, s[6:7]
	s_mov_b32 s6, 0x5040100
	v_perm_b32 v20, v9, v7, s6
	v_or_b32_e32 v7, v18, v22
	v_accvgpr_read_b32 v0, a0
	v_perm_b32 v21, v13, v11, s6
	v_lshlrev_b32_e32 v7, 1, v7
	v_accvgpr_read_b32 v1, a1
	v_accvgpr_read_b32 v2, a2
	;; [unrolled: 1-line block ×3, first 2 shown]
	ds_write_b64 v7, v[20:21] offset:24576
	v_mov_b32_e32 v9, 0
	v_mov_b32_e32 v7, 0
	s_and_saveexec_b64 s[6:7], vcc
	s_cbranch_execz .LBB136_92
; %bb.91:
	v_mov_b32_e32 v7, 0
	v_lshl_add_u64 v[6:7], v[4:5], 0, v[6:7]
	global_load_ushort v6, v[6:7], off offset:96
	s_waitcnt vmcnt(0)
	v_lshlrev_b32_e32 v6, 16, v6
	v_sub_f32_e32 v0, v6, v0
	v_mul_f32_e32 v0, v16, v0
	v_lshrrev_b32_e32 v7, 16, v0
.LBB136_92:
	s_or_b64 exec, exec, s[6:7]
	s_and_saveexec_b64 s[6:7], s[0:1]
	s_cbranch_execz .LBB136_94
; %bb.93:
	v_mov_b32_e32 v9, 0
	v_lshl_add_u64 v[8:9], v[4:5], 0, v[8:9]
	global_load_ushort v0, v[8:9], off offset:96
	s_waitcnt vmcnt(0)
	v_lshlrev_b32_e32 v0, 16, v0
	v_sub_f32_e32 v0, v0, v1
	v_mul_f32_e32 v0, v14, v0
	v_lshrrev_b32_e32 v9, 16, v0
.LBB136_94:
	s_or_b64 exec, exec, s[6:7]
	v_mov_b32_e32 v0, 0
	v_mov_b32_e32 v1, 0
	s_and_saveexec_b64 s[0:1], s[2:3]
	s_cbranch_execz .LBB136_96
; %bb.95:
	v_mov_b32_e32 v11, 0
	v_lshl_add_u64 v[10:11], v[4:5], 0, v[10:11]
	global_load_ushort v1, v[10:11], off offset:96
	s_waitcnt vmcnt(0)
	v_lshlrev_b32_e32 v1, 16, v1
	v_sub_f32_e32 v1, v1, v2
	v_mul_f32_e32 v1, v17, v1
	v_lshrrev_b32_e32 v1, 16, v1
.LBB136_96:
	s_or_b64 exec, exec, s[0:1]
	s_and_saveexec_b64 s[0:1], s[4:5]
	s_cbranch_execz .LBB136_98
; %bb.97:
	v_mov_b32_e32 v13, 0
	v_lshl_add_u64 v[4:5], v[4:5], 0, v[12:13]
	global_load_ushort v0, v[4:5], off offset:96
	s_waitcnt vmcnt(0)
	v_lshlrev_b32_e32 v0, 16, v0
	v_sub_f32_e32 v0, v0, v3
	v_mul_f32_e32 v0, v15, v0
	v_lshrrev_b32_e32 v0, 16, v0
.LBB136_98:
	s_or_b64 exec, exec, s[0:1]
	s_mov_b32 s0, 0x5040100
	v_or_b32_e32 v2, v18, v19
	v_perm_b32 v1, v0, v1, s0
	v_perm_b32 v0, v9, v7, s0
	v_lshlrev_b32_e32 v2, 1, v2
	ds_write_b64 v2, v[0:1] offset:24576
	s_waitcnt lgkmcnt(0)
	s_barrier
.LBB136_99:
	s_endpgm
	.section	.rodata,"a",@progbits
	.p2align	6, 0x0
	.amdhsa_kernel _ZN12_GLOBAL__N_139chunk_gated_delta_rule_fwd_h_hip_kernelILi64ELb0ELb0ELb0ELb1ELb1ELb1ELb1ELb0EEEvPK12hip_bfloat16S3_S3_PKfS5_PKvPS1_S8_PvPKiSB_iiiiilll
		.amdhsa_group_segment_fixed_size 65536
		.amdhsa_private_segment_fixed_size 0
		.amdhsa_kernarg_size 136
		.amdhsa_user_sgpr_count 2
		.amdhsa_user_sgpr_dispatch_ptr 0
		.amdhsa_user_sgpr_queue_ptr 0
		.amdhsa_user_sgpr_kernarg_segment_ptr 1
		.amdhsa_user_sgpr_dispatch_id 0
		.amdhsa_user_sgpr_kernarg_preload_length 0
		.amdhsa_user_sgpr_kernarg_preload_offset 0
		.amdhsa_user_sgpr_private_segment_size 0
		.amdhsa_uses_dynamic_stack 0
		.amdhsa_enable_private_segment 0
		.amdhsa_system_sgpr_workgroup_id_x 1
		.amdhsa_system_sgpr_workgroup_id_y 1
		.amdhsa_system_sgpr_workgroup_id_z 0
		.amdhsa_system_sgpr_workgroup_info 0
		.amdhsa_system_vgpr_workitem_id 0
		.amdhsa_next_free_vgpr 228
		.amdhsa_next_free_sgpr 62
		.amdhsa_accum_offset 188
		.amdhsa_reserve_vcc 1
		.amdhsa_float_round_mode_32 0
		.amdhsa_float_round_mode_16_64 0
		.amdhsa_float_denorm_mode_32 3
		.amdhsa_float_denorm_mode_16_64 3
		.amdhsa_dx10_clamp 1
		.amdhsa_ieee_mode 1
		.amdhsa_fp16_overflow 0
		.amdhsa_tg_split 0
		.amdhsa_exception_fp_ieee_invalid_op 0
		.amdhsa_exception_fp_denorm_src 0
		.amdhsa_exception_fp_ieee_div_zero 0
		.amdhsa_exception_fp_ieee_overflow 0
		.amdhsa_exception_fp_ieee_underflow 0
		.amdhsa_exception_fp_ieee_inexact 0
		.amdhsa_exception_int_div_zero 0
	.end_amdhsa_kernel
	.section	.text._ZN12_GLOBAL__N_139chunk_gated_delta_rule_fwd_h_hip_kernelILi64ELb0ELb0ELb0ELb1ELb1ELb1ELb1ELb0EEEvPK12hip_bfloat16S3_S3_PKfS5_PKvPS1_S8_PvPKiSB_iiiiilll,"axG",@progbits,_ZN12_GLOBAL__N_139chunk_gated_delta_rule_fwd_h_hip_kernelILi64ELb0ELb0ELb0ELb1ELb1ELb1ELb1ELb0EEEvPK12hip_bfloat16S3_S3_PKfS5_PKvPS1_S8_PvPKiSB_iiiiilll,comdat
.Lfunc_end136:
	.size	_ZN12_GLOBAL__N_139chunk_gated_delta_rule_fwd_h_hip_kernelILi64ELb0ELb0ELb0ELb1ELb1ELb1ELb1ELb0EEEvPK12hip_bfloat16S3_S3_PKfS5_PKvPS1_S8_PvPKiSB_iiiiilll, .Lfunc_end136-_ZN12_GLOBAL__N_139chunk_gated_delta_rule_fwd_h_hip_kernelILi64ELb0ELb0ELb0ELb1ELb1ELb1ELb1ELb0EEEvPK12hip_bfloat16S3_S3_PKfS5_PKvPS1_S8_PvPKiSB_iiiiilll
                                        ; -- End function
	.section	.AMDGPU.csdata,"",@progbits
; Kernel info:
; codeLenInByte = 10872
; NumSgprs: 68
; NumVgprs: 188
; NumAgprs: 40
; TotalNumVgprs: 228
; ScratchSize: 0
; MemoryBound: 0
; FloatMode: 240
; IeeeMode: 1
; LDSByteSize: 65536 bytes/workgroup (compile time only)
; SGPRBlocks: 8
; VGPRBlocks: 28
; NumSGPRsForWavesPerEU: 68
; NumVGPRsForWavesPerEU: 228
; AccumOffset: 188
; Occupancy: 1
; WaveLimiterHint : 1
; COMPUTE_PGM_RSRC2:SCRATCH_EN: 0
; COMPUTE_PGM_RSRC2:USER_SGPR: 2
; COMPUTE_PGM_RSRC2:TRAP_HANDLER: 0
; COMPUTE_PGM_RSRC2:TGID_X_EN: 1
; COMPUTE_PGM_RSRC2:TGID_Y_EN: 1
; COMPUTE_PGM_RSRC2:TGID_Z_EN: 0
; COMPUTE_PGM_RSRC2:TIDIG_COMP_CNT: 0
; COMPUTE_PGM_RSRC3_GFX90A:ACCUM_OFFSET: 46
; COMPUTE_PGM_RSRC3_GFX90A:TG_SPLIT: 0
	.section	.text._ZN12_GLOBAL__N_139chunk_gated_delta_rule_fwd_h_hip_kernelILi64ELb1ELb1ELb1ELb0ELb1ELb1ELb1ELb0EEEvPK12hip_bfloat16S3_S3_PKfS5_PKvPS1_S8_PvPKiSB_iiiiilll,"axG",@progbits,_ZN12_GLOBAL__N_139chunk_gated_delta_rule_fwd_h_hip_kernelILi64ELb1ELb1ELb1ELb0ELb1ELb1ELb1ELb0EEEvPK12hip_bfloat16S3_S3_PKfS5_PKvPS1_S8_PvPKiSB_iiiiilll,comdat
	.globl	_ZN12_GLOBAL__N_139chunk_gated_delta_rule_fwd_h_hip_kernelILi64ELb1ELb1ELb1ELb0ELb1ELb1ELb1ELb0EEEvPK12hip_bfloat16S3_S3_PKfS5_PKvPS1_S8_PvPKiSB_iiiiilll ; -- Begin function _ZN12_GLOBAL__N_139chunk_gated_delta_rule_fwd_h_hip_kernelILi64ELb1ELb1ELb1ELb0ELb1ELb1ELb1ELb0EEEvPK12hip_bfloat16S3_S3_PKfS5_PKvPS1_S8_PvPKiSB_iiiiilll
	.p2align	8
	.type	_ZN12_GLOBAL__N_139chunk_gated_delta_rule_fwd_h_hip_kernelILi64ELb1ELb1ELb1ELb0ELb1ELb1ELb1ELb0EEEvPK12hip_bfloat16S3_S3_PKfS5_PKvPS1_S8_PvPKiSB_iiiiilll,@function
_ZN12_GLOBAL__N_139chunk_gated_delta_rule_fwd_h_hip_kernelILi64ELb1ELb1ELb1ELb0ELb1ELb1ELb1ELb0EEEvPK12hip_bfloat16S3_S3_PKfS5_PKvPS1_S8_PvPKiSB_iiiiilll: ; @_ZN12_GLOBAL__N_139chunk_gated_delta_rule_fwd_h_hip_kernelILi64ELb1ELb1ELb1ELb0ELb1ELb1ELb1ELb0EEEvPK12hip_bfloat16S3_S3_PKfS5_PKvPS1_S8_PvPKiSB_iiiiilll
; %bb.0:
	s_load_dwordx4 s[24:27], s[0:1], 0x5c
	s_abs_i32 s6, s3
	s_ashr_i32 s5, s3, 31
	v_and_b32_e32 v99, 15, v0
	v_bfe_u32 v98, v0, 4, 2
	s_waitcnt lgkmcnt(0)
	s_abs_i32 s4, s25
	v_cvt_f32_u32_e32 v1, s4
	s_sub_i32 s8, 0, s4
	s_ashr_i32 s7, s25, 31
	s_xor_b32 s5, s5, s7
	v_rcp_iflag_f32_e32 v1, v1
	v_mov_b32_e32 v79, 0
	v_lshlrev_b32_e32 v100, 3, v0
	v_mul_f32_e32 v1, 0x4f7ffffe, v1
	v_cvt_u32_f32_e32 v1, v1
	s_nop 0
	v_readfirstlane_b32 s9, v1
	s_mul_i32 s8, s8, s9
	s_mul_hi_u32 s8, s9, s8
	s_add_i32 s9, s9, s8
	s_mul_hi_u32 s8, s6, s9
	s_mul_i32 s9, s8, s4
	s_sub_i32 s6, s6, s9
	s_add_i32 s10, s8, 1
	s_sub_i32 s9, s6, s4
	s_cmp_ge_u32 s6, s4
	s_cselect_b32 s8, s10, s8
	s_cselect_b32 s6, s9, s6
	s_add_i32 s9, s8, 1
	s_cmp_ge_u32 s6, s4
	s_cselect_b32 s6, s9, s8
	s_xor_b32 s6, s6, s5
	s_sub_i32 s58, s6, s5
	s_mul_i32 s6, s58, s25
	s_sub_i32 s33, s3, s6
	s_abs_i32 s3, s26
	v_cvt_f32_u32_e32 v1, s3
	s_add_i32 s8, s24, 63
	s_ashr_i32 s9, s8, 31
	s_lshr_b32 s5, s9, 26
	v_rcp_iflag_f32_e32 v1, v1
	s_ashr_i32 s57, s24, 31
	s_add_i32 s8, s8, s5
	s_lshr_b32 s5, s57, 26
	v_mul_f32_e32 v1, 0x4f7ffffe, v1
	v_cvt_u32_f32_e32 v1, v1
	s_add_i32 s5, s24, s5
	s_ashr_i32 s60, s26, 31
	s_ashr_i32 s28, s8, 6
	;; [unrolled: 1-line block ×3, first 2 shown]
	s_xor_b32 s5, s7, s60
	s_sub_i32 s7, 0, s3
	v_readfirstlane_b32 s8, v1
	s_mul_i32 s7, s7, s8
	s_mul_hi_u32 s7, s8, s7
	s_add_i32 s8, s8, s7
	s_mul_hi_u32 s7, s4, s8
	s_mul_i32 s8, s7, s3
	s_sub_i32 s4, s4, s8
	s_lshl_b32 s2, s2, 6
	s_add_i32 s8, s7, 1
	s_sub_i32 s9, s4, s3
	s_cmp_ge_u32 s4, s3
	s_cselect_b32 s7, s8, s7
	s_cselect_b32 s4, s9, s4
	s_add_i32 s8, s7, 1
	s_cmp_ge_u32 s4, s3
	s_cselect_b32 s3, s8, s7
	s_xor_b32 s3, s3, s5
	s_sub_i32 s3, s3, s5
	s_abs_i32 s4, s3
	v_cvt_f32_u32_e32 v1, s4
	s_sub_i32 s7, 0, s4
	s_abs_i32 s5, s33
	s_xor_b32 s3, s33, s3
	v_rcp_iflag_f32_e32 v2, v1
	s_ashr_i32 s3, s3, 31
	s_load_dwordx8 s[8:15], s[0:1], 0x20
	v_lshrrev_b32_e32 v1, 6, v0
	v_mul_f32_e32 v2, 0x4f7ffffe, v2
	v_cvt_u32_f32_e32 v2, v2
	v_or_b32_e32 v88, s2, v99
	v_lshlrev_b32_e32 v77, 4, v1
	v_lshlrev_b32_e32 v80, 7, v88
	v_readfirstlane_b32 s16, v2
	s_mul_i32 s7, s7, s16
	s_mul_hi_u32 s7, s16, s7
	s_add_i32 s16, s16, s7
	s_mul_hi_u32 s7, s5, s16
	s_mul_i32 s16, s7, s4
	s_sub_i32 s5, s5, s16
	s_add_i32 s16, s7, 1
	s_sub_i32 s17, s5, s4
	s_cmp_ge_u32 s5, s4
	s_cselect_b32 s7, s16, s7
	s_cselect_b32 s5, s17, s5
	s_add_i32 s16, s7, 1
	s_cmp_ge_u32 s5, s4
	s_cselect_b32 s4, s16, s7
	s_xor_b32 s4, s4, s3
	s_sub_i32 s61, s4, s3
	s_ashr_i32 s3, s58, 31
	s_ashr_i32 s50, s33, 31
	s_mul_hi_i32 s4, s58, s25
	s_add_u32 s42, s6, s33
	s_addc_u32 s43, s4, s50
	s_lshl_b64 s[34:35], s[42:43], 16
	s_waitcnt lgkmcnt(0)
	s_add_u32 s4, s10, s34
	v_lshl_or_b32 v102, v98, 2, v77
	s_addc_u32 s5, s11, s35
	v_ashrrev_i32_e32 v81, 31, v80
	v_lshl_add_u64 v[2:3], v[80:81], 2, s[4:5]
	v_lshlrev_b32_e32 v78, 2, v102
	v_or_b32_e32 v82, 0x800, v80
	v_lshl_add_u64 v[2:3], v[2:3], 0, v[78:79]
	v_ashrrev_i32_e32 v83, 31, v82
	global_load_dwordx4 v[22:25], v[2:3], off
	global_load_dwordx4 v[10:13], v[2:3], off offset:256
	v_lshl_add_u64 v[2:3], v[82:83], 2, s[4:5]
	v_or_b32_e32 v86, 0x1000, v80
	v_lshl_add_u64 v[2:3], v[2:3], 0, v[78:79]
	v_ashrrev_i32_e32 v87, 31, v86
	global_load_dwordx4 v[18:21], v[2:3], off
	global_load_dwordx4 v[14:17], v[2:3], off offset:256
	v_lshl_add_u64 v[2:3], v[86:87], 2, s[4:5]
	;; [unrolled: 6-line block ×3, first 2 shown]
	v_lshl_add_u64 v[34:35], v[2:3], 0, v[78:79]
	global_load_dwordx4 v[6:9], v[34:35], off
	global_load_dwordx4 v[2:5], v[34:35], off offset:256
	s_load_dwordx2 s[10:11], s[0:1], 0x40
	s_load_dwordx8 s[16:23], s[0:1], 0x0
	s_load_dwordx2 s[36:37], s[0:1], 0x80
	s_load_dwordx4 s[4:7], s[0:1], 0x70
	v_and_b32_e32 v79, 63, v0
	s_mul_i32 s51, s58, s24
	s_mul_i32 s62, s58, s28
	v_or_b32_e32 v103, 64, v102
	s_cmp_lt_i32 s24, 64
	v_lshrrev_b32_e32 v101, 3, v79
	s_mul_i32 s63, s43, s24
	s_mul_hi_u32 s64, s42, s24
	s_mul_i32 s44, s42, s24
	s_waitcnt lgkmcnt(0)
	s_mul_i32 s43, s58, s5
	s_mul_hi_u32 s53, s58, s4
	s_mul_i32 s52, s3, s4
	s_mul_i32 s40, s58, s4
	;; [unrolled: 1-line block ×3, first 2 shown]
	s_mul_hi_u32 s55, s33, s6
	s_mul_i32 s56, s50, s6
	s_mul_i32 s38, s33, s6
	s_cbranch_scc1 .LBB137_18
; %bb.1:
	s_add_i32 s45, s64, s63
	s_lshl_b64 s[0:1], s[44:45], 8
	v_and_b32_e32 v105, 56, v100
	s_add_u32 s4, s18, s0
	v_lshl_or_b32 v104, v1, 3, v101
	v_lshlrev_b32_e32 v34, 1, v105
	s_addc_u32 s0, s19, s1
	v_lshl_or_b32 v106, v104, 8, v34
	s_and_b32 s5, s0, 0xffff
	s_mov_b32 s7, 0x20000
	s_movk_i32 s6, 0x4000
	s_movk_i32 s0, 0x80
	v_or_b32_e32 v107, 0x2000, v106
	buffer_load_dwordx4 v[36:39], v106, s[4:7], 0 offen
	buffer_load_dwordx4 v[40:43], v106, s[4:7], s0 offen
	;; [unrolled: 1-line block ×4, first 2 shown]
	v_lshlrev_b32_e32 v35, 3, v104
	v_and_or_b32 v53, v0, 7, v35
	v_and_b32_e32 v35, 0x78, v35
	v_lshlrev_b32_e32 v53, 4, v53
	v_xor_b32_e32 v108, v53, v35
	v_mul_lo_u32 v52, v104, s27
	v_or_b32_e32 v109, 0x1000, v108
	v_xor_b32_e32 v35, 8, v108
	s_cmpk_eq_i32 s27, 0x80
	s_mov_b32 s65, s26
	v_xor_b32_e32 v53, 8, v109
	s_cselect_b64 s[0:1], -1, 0
	s_cmpk_lg_i32 s27, 0x80
	s_waitcnt vmcnt(3)
	ds_write_b64 v108, v[36:37] offset:49152
	ds_write_b64 v35, v[38:39] offset:49152
	s_waitcnt vmcnt(2)
	ds_write_b64 v108, v[40:41] offset:57344
	ds_write_b64 v35, v[42:43] offset:57344
	;; [unrolled: 3-line block ×4, first 2 shown]
	v_lshl_add_u32 v35, v52, 1, v105
	s_cbranch_scc0 .LBB137_3
; %bb.2:
	v_lshlrev_b32_e32 v37, 1, v35
	v_add_lshl_u32 v36, v35, s27, 1
	s_lshl_b32 s6, s27, 7
	v_lshl_or_b32 v34, v104, 9, v34
	s_cbranch_execz .LBB137_4
	s_branch .LBB137_5
.LBB137_3:
                                        ; implicit-def: $vgpr36
                                        ; implicit-def: $vgpr37
                                        ; implicit-def: $sgpr6
	v_lshl_or_b32 v34, v104, 9, v34
.LBB137_4:
	v_or_b32_e32 v36, 0x100, v34
	s_movk_i32 s6, 0x4000
	v_mov_b32_e32 v37, v34
.LBB137_5:
	s_mul_hi_u32 s4, s26, s24
	s_mul_i32 s5, s60, s24
	s_add_i32 s4, s4, s5
	s_mul_i32 s5, s26, s24
	s_mul_i32 s7, s5, s3
	s_mul_hi_u32 s28, s5, s58
	s_add_i32 s7, s28, s7
	s_mul_i32 s4, s4, s58
	s_add_i32 s7, s7, s4
	s_mul_i32 s5, s5, s58
	s_ashr_i32 s66, s61, 31
	s_add_u32 s4, s5, s61
	s_addc_u32 s5, s7, s66
	s_lshl_b64 s[4:5], s[4:5], 8
	s_add_u32 s4, s16, s4
	s_addc_u32 s5, s17, s5
	s_and_b32 s5, s5, 0xffff
	s_mov_b32 s7, 0x20000
	s_movk_i32 s67, 0x80
	buffer_load_dwordx4 v[38:41], v37, s[4:7], 0 offen
	buffer_load_dwordx4 v[42:45], v37, s[4:7], s67 offen
	;; [unrolled: 1-line block ×4, first 2 shown]
	v_and_b32_e32 v37, 6, v0
	v_lshlrev_b32_e32 v36, 7, v102
	v_xor_b32_e32 v58, v104, v37
	v_and_b32_e32 v54, 1, v0
	v_lshl_or_b32 v61, v99, 3, v36
	v_lshlrev_b32_e32 v58, 2, v58
	v_or_b32_e32 v110, 0x4000, v61
	v_or_b32_e32 v111, 0x6000, v61
	v_xor_b32_e32 v61, 0x440, v58
	v_cmp_eq_u32_e32 vcc, 0, v54
	v_lshlrev_b32_e32 v55, 2, v99
	v_or_b32_e32 v57, 16, v99
	v_cndmask_b32_e32 v54, v61, v58, vcc
	s_mov_b32 s69, 0x1000504
	v_xor_b32_e32 v59, v102, v55
	v_xor_b32_e32 v60, v103, v55
	v_lshl_or_b32 v62, v57, 3, v36
	v_lshl_or_b32 v37, v37, 10, v54
	s_mov_b32 s70, 0x3020706
	v_lshlrev_b32_e32 v56, 8, v99
	v_lshlrev_b32_e32 v59, 1, v59
	;; [unrolled: 1-line block ×3, first 2 shown]
	v_or_b32_e32 v112, 0x4000, v62
	v_or_b32_e32 v113, 0x6000, v62
	v_xor_b32_e32 v54, 8, v37
	v_xor_b32_e32 v58, 24, v37
	;; [unrolled: 1-line block ×4, first 2 shown]
	s_mul_i32 s3, s3, s24
	s_mul_hi_u32 s4, s58, s24
	v_or_b32_e32 v114, v56, v59
	v_or_b32_e32 v115, v56, v60
	v_xor_b32_e32 v56, 16, v37
	v_xor_b32_e32 v61, 32, v37
	v_xor_b32_e32 v63, 48, v37
	v_add_u32_e32 v54, 0x80, v54
	v_add_u32_e32 v58, 0x80, v58
	;; [unrolled: 1-line block ×4, first 2 shown]
	s_add_i32 s71, s4, s3
	s_add_i32 s3, s53, s43
	;; [unrolled: 1-line block ×5, first 2 shown]
	s_lshl_b64 s[4:5], s[40:41], 2
	s_add_u32 s3, s22, s4
	s_addc_u32 s28, s23, s5
	s_lshl_b64 s[4:5], s[38:39], 2
	s_add_u32 s46, s3, s4
	s_movk_i32 s3, 0xf8
	s_addc_u32 s47, s28, s5
	s_lshl_b32 s30, s27, 7
	s_movk_i32 s28, 0x100
	v_mov_b32_e32 v91, 0
	v_lshlrev_b32_e32 v90, 4, v99
	v_ashrrev_i32_e32 v89, 31, v88
	s_mov_b32 s68, 0
	s_movk_i32 s6, 0x4000
	s_mov_b32 s39, 0x7060302
	s_movk_i32 s41, 0x2000
	s_movk_i32 s72, 0x3000
	s_mov_b32 s74, 0
	s_waitcnt vmcnt(1)
	v_perm_b32 v65, v38, v46, s69
	s_waitcnt vmcnt(0)
	v_perm_b32 v66, v42, v50, s69
	v_perm_b32 v38, v38, v46, s70
	;; [unrolled: 1-line block ×15, first 2 shown]
	ds_write2st64_b32 v37, v65, v66 offset0:128 offset1:160
	ds_write2st64_b32 v54, v38, v42 offset0:128 offset1:160
	;; [unrolled: 1-line block ×8, first 2 shown]
	v_lshlrev_b32_e32 v37, 8, v57
	v_or_b32_e32 v116, v37, v59
	v_or_b32_e32 v117, v37, v60
	;; [unrolled: 1-line block ×3, first 2 shown]
	v_lshl_or_b32 v38, v37, 3, v36
	v_lshlrev_b32_e32 v37, 8, v37
	v_or_b32_e32 v120, v37, v59
	v_or_b32_e32 v121, v37, v60
	v_or_b32_e32 v37, 48, v99
	v_or_b32_e32 v118, 0x4000, v38
	v_or_b32_e32 v119, 0x6000, v38
	v_lshl_or_b32 v38, v37, 3, v36
	v_lshlrev_b32_e32 v37, 8, v37
	v_or_b32_e32 v124, v37, v59
	v_or_b32_e32 v125, v37, v60
	;; [unrolled: 1-line block ×3, first 2 shown]
	v_lshlrev_b32_e32 v37, 3, v37
	v_lshrrev_b32_e32 v39, 5, v79
	v_and_or_b32 v39, v37, s3, v39
	v_lshlrev_b32_e32 v39, 4, v39
	v_or_b32_e32 v122, 0x4000, v38
	v_or_b32_e32 v123, 0x6000, v38
	v_lshrrev_b32_e32 v38, 2, v79
	v_lshlrev_b32_e32 v41, 11, v1
	v_and_b32_e32 v37, 0x78, v37
	v_or_b32_e32 v45, 32, v39
	v_and_b32_e32 v40, 12, v38
	v_and_b32_e32 v38, 0x1000, v41
	v_lshrrev_b32_e32 v43, 1, v79
	v_xor_b32_e32 v45, v45, v37
	v_xor_b32_e32 v42, v39, v37
	v_and_b32_e32 v43, 8, v43
	v_or_b32_e32 v45, v45, v38
	v_or_b32_e32 v42, v42, v38
	v_xor_b32_e32 v128, v45, v43
	v_or_b32_e32 v45, 64, v39
	v_or_b32_e32 v39, 0x60, v39
	v_xor_b32_e32 v126, v42, v43
	v_lshlrev_b32_e32 v42, 8, v98
	v_xor_b32_e32 v45, v45, v37
	v_xor_b32_e32 v37, v39, v37
	s_ashr_i32 s3, s2, 31
	v_or_b32_e32 v44, v42, v55
	v_or_b32_e32 v45, v45, v38
	;; [unrolled: 1-line block ×3, first 2 shown]
	s_lshl_b64 s[4:5], s[2:3], 8
	v_lshlrev_b32_e32 v47, 2, v0
	v_lshlrev_b32_e32 v44, 1, v44
	v_xor_b32_e32 v132, v45, v43
	v_xor_b32_e32 v133, v37, v43
	v_lshlrev_b32_e32 v37, 1, v35
	v_add_lshl_u32 v35, v35, s27, 1
	v_or_b32_e32 v43, 0x100, v34
	s_add_u32 s4, s12, s4
	v_lshlrev_b32_e32 v38, 1, v99
	v_lshrrev_b32_e32 v48, 1, v0
	v_and_or_b32 v42, v47, 60, v42
	v_or_b32_e32 v127, 0x4000, v44
	v_or_b32_e32 v129, 0x4080, v44
	;; [unrolled: 1-line block ×8, first 2 shown]
	v_lshrrev_b32_e32 v44, 4, v0
	s_addc_u32 s5, s13, s5
	v_or_b32_e32 v39, 1, v38
	v_and_b32_e32 v48, 24, v48
	v_lshlrev_b32_e32 v42, 1, v42
	v_cndmask_b32_e64 v144, v37, v34, s[0:1]
	v_cndmask_b32_e64 v145, v35, v43, s[0:1]
	v_mov_b32_e32 v35, 0xa000
	v_mov_b32_e32 v37, 0x8000
	v_cmp_gt_u32_e64 s[0:1], s28, v0
	v_xor_b32_e32 v45, v44, v38
	v_xor_b32_e32 v46, v39, v44
	v_lshl_add_u64 v[38:39], s[4:5], 0, v[90:91]
	v_lshlrev_b32_e32 v90, 8, v44
	v_or_b32_e32 v140, 0x6000, v42
	v_or_b32_e32 v47, 32, v48
	;; [unrolled: 1-line block ×6, first 2 shown]
	v_cndmask_b32_e64 v35, v35, v37, s[0:1]
	v_lshlrev_b32_e32 v37, 3, v1
	v_lshl_or_b32 v138, v45, 3, v90
	v_and_b32_e32 v45, 8, v0
	v_xor_b32_e32 v43, v37, v48
	v_xor_b32_e32 v47, v37, v47
	;; [unrolled: 1-line block ×3, first 2 shown]
	v_mov_b32_e32 v49, 0x400
	v_cmp_eq_u32_e32 vcc, 0, v45
	v_or_b32_e32 v48, 0x440, v43
	v_or_b32_e32 v50, 0x440, v47
	v_xor_b32_e32 v42, 0x440, v37
	v_and_b32_e32 v44, 7, v0
	v_cndmask_b32_e64 v45, v49, 64, vcc
	v_cndmask_b32_e32 v48, v48, v43, vcc
	v_cndmask_b32_e32 v47, v50, v47, vcc
	;; [unrolled: 1-line block ×3, first 2 shown]
	v_lshl_or_b32 v139, v46, 3, v90
	v_lshlrev_b32_e32 v46, 3, v44
	v_or_b32_e32 v48, v48, v41
	v_or_b32_e32 v47, v47, v41
	v_or3_b32 v43, v41, v45, v43
	v_or_b32_e32 v37, v37, v41
	v_lshlrev_b32_e32 v44, 7, v44
	v_xor_b32_e32 v48, v48, v46
	v_xor_b32_e32 v47, v47, v46
	;; [unrolled: 1-line block ×4, first 2 shown]
	v_or_b32_e32 v34, v77, v40
	v_add_u32_e32 v49, v35, v48
	v_add_u32_e32 v50, v35, v47
	v_or_b32_e32 v146, v43, v44
	v_add_u32_e32 v41, v35, v37
	v_or3_b32 v40, v77, v40, 64
	v_add_u32_e32 v45, 0xa000, v48
	v_add_u32_e32 v46, 0xa000, v47
	;; [unrolled: 1-line block ×3, first 2 shown]
	v_lshlrev_b64 v[42:43], 1, v[88:89]
	v_lshl_add_u64 v[92:93], s[20:21], 0, v[42:43]
	v_lshl_add_u64 v[94:95], s[14:15], 0, v[42:43]
	v_lshl_add_u64 v[96:97], v[38:39], 0, v[90:91]
	s_add_i32 s3, s51, 63
	v_lshlrev_b32_e32 v90, 1, v36
	v_lshlrev_b32_e32 v89, 2, v34
	v_add_u32_e32 v147, v49, v44
	v_add_u32_e32 v148, v50, v44
	;; [unrolled: 1-line block ×4, first 2 shown]
	v_lshlrev_b32_e32 v151, 2, v40
	v_add_u32_e32 v152, v45, v44
	v_add_u32_e32 v153, v46, v44
	;; [unrolled: 1-line block ×3, first 2 shown]
	s_waitcnt lgkmcnt(0)
	s_barrier
.LBB137_6:                              ; =>This Inner Loop Header: Depth=1
	s_add_i32 s73, s74, 1
	s_cmp_lt_i32 s73, s59
	s_mov_b64 s[28:29], 0
	s_cselect_b64 s[48:49], -1, 0
	s_cmp_ge_i32 s73, s59
	s_mov_b64 s[4:5], 0
	s_cbranch_scc1 .LBB137_8
; %bb.7:                                ;   in Loop: Header=BB137_6 Depth=1
	s_add_i32 s0, s68, 64
	s_add_u32 s0, s44, s0
	s_addc_u32 s1, s45, 0
	s_lshl_b64 s[0:1], s[0:1], 8
	s_add_u32 s4, s18, s0
	s_addc_u32 s5, s19, s1
.LBB137_8:                              ;   in Loop: Header=BB137_6 Depth=1
	v_cndmask_b32_e64 v34, 0, 1, s[48:49]
	v_cmp_ne_u32_e64 s[0:1], 1, v34
	s_andn2_b64 vcc, exec, s[48:49]
	s_cbranch_vccnz .LBB137_10
; %bb.9:                                ;   in Loop: Header=BB137_6 Depth=1
	s_add_i32 s28, s68, 64
	s_add_u32 s28, s51, s28
	s_addc_u32 s29, s71, 0
	s_mul_i32 s31, s28, s60
	s_mul_hi_u32 s48, s28, s65
	s_add_i32 s31, s48, s31
	s_mul_i32 s29, s29, s65
	s_add_i32 s31, s31, s29
	s_mul_i32 s28, s28, s65
	s_add_u32 s28, s28, s61
	s_addc_u32 s29, s31, s66
	s_lshl_b64 s[28:29], s[28:29], 8
	s_add_u32 s28, s16, s28
	s_addc_u32 s29, s17, s29
.LBB137_10:                             ;   in Loop: Header=BB137_6 Depth=1
	v_perm_b32 v35, v25, v24, s39
	v_perm_b32 v34, v23, v22, s39
	v_perm_b32 v37, v13, v12, s39
	v_perm_b32 v36, v11, v10, s39
	ds_write_b64 v110, v[34:35]
	ds_write_b64 v111, v[36:37]
	ds_write_b64 v114, v[34:35]
	ds_write_b64 v115, v[36:37]
	v_perm_b32 v35, v21, v20, s39
	v_perm_b32 v34, v19, v18, s39
	v_perm_b32 v37, v17, v16, s39
	v_perm_b32 v36, v15, v14, s39
	ds_write_b64 v112, v[34:35]
	ds_write_b64 v113, v[36:37]
	ds_write_b64 v116, v[34:35]
	ds_write_b64 v117, v[36:37]
	;; [unrolled: 8-line block ×4, first 2 shown]
	s_waitcnt lgkmcnt(0)
	s_barrier
	ds_read_b64 v[38:39], v126 offset:49152
	ds_read2_b64 v[34:37], v127 offset1:16
	ds_read_b64 v[50:51], v129 offset:6144
	ds_read_b64 v[52:53], v127 offset:6144
	s_waitcnt lgkmcnt(2)
	v_mfma_f32_16x16x16_bf16 a[0:3], v[38:39], v[34:35], 0
	ds_read_b64 v[54:55], v128 offset:49152
	ds_read2st64_b64 v[42:45], v130 offset0:4 offset1:8
	ds_read2st64_b64 v[46:49], v131 offset0:4 offset1:8
	v_mfma_f32_16x16x16_bf16 a[4:7], v[38:39], v[36:37], 0
	ds_read2_b64 v[34:37], v127 offset0:32 offset1:48
	s_add_i32 s31, s68, 63
	s_mul_i32 s48, s31, s37
	s_waitcnt lgkmcnt(0)
	v_mfma_f32_16x16x16_bf16 a[8:11], v[38:39], v[34:35], 0
	s_mul_hi_u32 s49, s31, s36
	s_add_i32 s49, s49, s48
	s_mul_i32 s48, s31, s36
	v_mfma_f32_16x16x16_bf16 a[12:15], v[38:39], v[36:37], 0
	ds_read2st64_b64 v[34:37], v127 offset0:4 offset1:8
	ds_read2st64_b64 v[38:41], v129 offset0:4 offset1:8
	s_lshl_b64 s[48:49], s[48:49], 2
	s_waitcnt lgkmcnt(1)
	v_mfma_f32_16x16x16_bf16 a[0:3], v[54:55], v[34:35], a[0:3]
	s_add_u32 s48, s46, s48
	s_addc_u32 s49, s47, s49
	s_and_b64 vcc, exec, s[0:1]
	s_waitcnt lgkmcnt(0)
	v_mfma_f32_16x16x16_bf16 a[4:7], v[54:55], v[38:39], a[4:7]
	v_mov_b32_e32 v157, 0
	v_mov_b32_e32 v156, 0
	;; [unrolled: 1-line block ×3, first 2 shown]
	v_mfma_f32_16x16x16_bf16 a[8:11], v[54:55], v[42:43], a[8:11]
	ds_read_b64 v[34:35], v132 offset:49152
	ds_read_b64 v[38:39], v133 offset:49152
	;; [unrolled: 1-line block ×3, first 2 shown]
	v_mfma_f32_16x16x16_bf16 a[12:15], v[54:55], v[46:47], a[12:15]
	v_mov_b32_e32 v46, 0
	v_mov_b32_e32 v47, 0
	s_waitcnt lgkmcnt(2)
	v_mfma_f32_16x16x16_bf16 a[0:3], v[34:35], v[36:37], a[0:3]
	v_mov_b32_e32 v36, 0
	v_mov_b32_e32 v37, 0
	v_mfma_f32_16x16x16_bf16 a[16:19], v[34:35], v[40:41], a[4:7]
	v_mov_b32_e32 v40, 0
	v_mov_b32_e32 v41, 0
	;; [unrolled: 3-line block ×3, first 2 shown]
	v_mfma_f32_16x16x16_bf16 a[24:27], v[34:35], v[48:49], a[12:15]
	ds_read_b64 v[34:35], v130 offset:6144
	v_mov_b32_e32 v48, 0
	v_mov_b32_e32 v49, 0
	s_waitcnt lgkmcnt(2)
	v_mfma_f32_16x16x16_bf16 a[4:7], v[38:39], v[52:53], a[0:3]
	v_mfma_f32_16x16x16_bf16 a[8:11], v[38:39], v[50:51], a[16:19]
	s_waitcnt lgkmcnt(0)
	v_mfma_f32_16x16x16_bf16 a[12:15], v[38:39], v[34:35], a[20:23]
	v_mov_b32_e32 v34, 0
	v_mov_b32_e32 v35, 0
	v_mfma_f32_16x16x16_bf16 a[0:3], v[38:39], v[42:43], a[24:27]
	v_mov_b32_e32 v38, 0
	v_mov_b32_e32 v39, 0
	;; [unrolled: 1-line block ×4, first 2 shown]
	s_cbranch_vccnz .LBB137_12
; %bb.11:                               ;   in Loop: Header=BB137_6 Depth=1
	s_and_b32 s5, s5, 0xffff
	buffer_load_dwordx4 v[46:49], v106, s[4:7], 0 offen
	buffer_load_dwordx4 v[42:45], v106, s[4:7], s67 offen
	;; [unrolled: 1-line block ×4, first 2 shown]
	v_mov_b32_e32 v156, v108
	v_mov_b32_e32 v155, v109
.LBB137_12:                             ;   in Loop: Header=BB137_6 Depth=1
	ds_read_b64 v[62:63], v126 offset:57344
	ds_read2_b64 v[50:53], v134 offset1:16
	ds_read_b64 v[66:67], v128 offset:57344
	ds_read_b64 v[68:69], v132 offset:57344
	;; [unrolled: 1-line block ×3, first 2 shown]
	v_add_u32_e32 v64, s68, v102
	s_waitcnt lgkmcnt(3)
	v_mfma_f32_16x16x16_bf16 a[4:7], v[62:63], v[50:51], a[4:7]
	v_mfma_f32_16x16x16_bf16 a[8:11], v[62:63], v[52:53], a[8:11]
	ds_read2_b64 v[50:53], v134 offset0:32 offset1:48
	ds_read2st64_b64 v[54:57], v134 offset0:4 offset1:8
	ds_read2st64_b64 v[58:61], v135 offset0:4 offset1:8
	s_waitcnt lgkmcnt(2)
	v_mfma_f32_16x16x16_bf16 a[12:15], v[62:63], v[50:51], a[12:15]
	v_ashrrev_i32_e32 v50, 31, v64
	v_mul_lo_u32 v65, v50, s36
	v_mad_u64_u32 v[50:51], s[4:5], v64, s36, 0
	v_mfma_f32_16x16x16_bf16 a[0:3], v[62:63], v[52:53], a[0:3]
	v_mul_lo_u32 v52, v64, s37
	v_add3_u32 v51, v51, v52, v65
	v_add_u32_e32 v52, 1, v64
	v_ashrrev_i32_e32 v53, 31, v52
	s_waitcnt lgkmcnt(1)
	v_mfma_f32_16x16x16_bf16 a[4:7], v[66:67], v[54:55], a[4:7]
	v_mul_lo_u32 v54, v53, s36
	v_mul_lo_u32 v55, v52, s37
	v_mad_u64_u32 v[52:53], s[4:5], v52, s36, 0
	v_add3_u32 v53, v53, v55, v54
	v_add_u32_e32 v54, 2, v64
	v_ashrrev_i32_e32 v55, 31, v54
	v_mul_lo_u32 v62, v55, s36
	v_mul_lo_u32 v63, v54, s37
	v_mad_u64_u32 v[54:55], s[4:5], v54, s36, 0
	v_add3_u32 v55, v55, v63, v62
	v_add_u32_e32 v62, 3, v64
	v_ashrrev_i32_e32 v63, 31, v62
	v_mul_lo_u32 v64, v63, s36
	v_mul_lo_u32 v65, v62, s37
	v_mad_u64_u32 v[62:63], s[4:5], v62, s36, 0
	s_add_u32 s4, s44, s68
	v_lshl_add_u64 v[50:51], v[50:51], 2, s[46:47]
	v_add3_u32 v63, v63, v65, v64
	s_addc_u32 s5, s45, 0
	v_lshl_add_u64 v[52:53], v[52:53], 2, s[46:47]
	global_load_dword v72, v[50:51], off
	v_lshl_add_u64 v[50:51], v[62:63], 2, s[46:47]
	s_lshl_b64 s[4:5], s[4:5], 8
	v_lshl_add_u64 v[54:55], v[54:55], 2, s[46:47]
	global_load_dword v73, v[52:53], off
	global_load_dword v74, v[54:55], off
	;; [unrolled: 1-line block ×3, first 2 shown]
	v_lshl_add_u64 v[50:51], v[92:93], 0, s[4:5]
	v_lshl_add_u64 v[54:55], v[50:51], 0, v[90:91]
	global_load_ushort v76, v[54:55], off offset:256
	global_load_ushort v158, v[54:55], off
	ds_read2st64_b64 v[50:53], v136 offset0:4 offset1:8
	global_load_ushort v159, v[54:55], off offset:768
	global_load_ushort v160, v[54:55], off offset:512
	ds_read2st64_b64 v[62:65], v137 offset0:4 offset1:8
	global_load_ushort v161, v[54:55], off offset:288
	global_load_ushort v162, v[54:55], off offset:32
	;; [unrolled: 1-line block ×4, first 2 shown]
	s_waitcnt lgkmcnt(2)
	v_mfma_f32_16x16x16_bf16 a[8:11], v[66:67], v[58:59], a[8:11]
	global_load_ushort v165, v[54:55], off offset:320
	global_load_ushort v166, v[54:55], off offset:64
	;; [unrolled: 1-line block ×4, first 2 shown]
	s_and_b64 vcc, exec, s[0:1]
	s_waitcnt lgkmcnt(1)
	v_mfma_f32_16x16x16_bf16 a[12:15], v[66:67], v[50:51], a[12:15]
	ds_read_b64 v[50:51], v134 offset:6144
	s_waitcnt lgkmcnt(1)
	v_mfma_f32_16x16x16_bf16 a[0:3], v[66:67], v[62:63], a[0:3]
	v_lshl_add_u64 v[62:63], v[94:95], 0, s[4:5]
	v_lshl_add_u64 v[62:63], v[62:63], 0, v[90:91]
	v_mfma_f32_16x16x16_bf16 a[4:7], v[68:69], v[56:57], a[4:7]
	v_mfma_f32_16x16x16_bf16 a[8:11], v[68:69], v[60:61], a[8:11]
	;; [unrolled: 1-line block ×4, first 2 shown]
	global_load_ushort v68, v[54:55], off offset:352
	global_load_ushort v69, v[54:55], off offset:96
	ds_read_b64 v[52:53], v135 offset:6144
	ds_read_b64 v[56:57], v136 offset:6144
	;; [unrolled: 1-line block ×3, first 2 shown]
	s_load_dword s48, s[48:49], 0x0
	global_load_ushort v169, v[54:55], off offset:864
	global_load_ushort v170, v[54:55], off offset:608
	s_waitcnt lgkmcnt(0)
	v_mfma_f32_16x16x16_bf16 a[4:7], v[70:71], v[50:51], a[4:7]
	s_waitcnt vmcnt(17)
	v_sub_f32_e32 v60, s48, v74
	v_mfma_f32_16x16x16_bf16 a[0:3], v[70:71], v[58:59], a[0:3]
	v_sub_f32_e32 v58, s48, v72
	v_sub_f32_e32 v59, s48, v73
	s_waitcnt vmcnt(16)
	v_sub_f32_e32 v61, s48, v75
	v_mfma_f32_16x16x16_bf16 a[8:11], v[70:71], v[52:53], a[8:11]
	v_exp_f32_e32 v58, v58
	v_exp_f32_e32 v59, v59
	;; [unrolled: 1-line block ×4, first 2 shown]
	v_accvgpr_read_b32 v67, a5
	s_waitcnt vmcnt(15)
	v_lshlrev_b32_e32 v65, 16, v76
	s_waitcnt vmcnt(14)
	v_lshlrev_b32_e32 v64, 16, v158
	v_accvgpr_read_b32 v66, a4
	v_accvgpr_read_b32 v51, a7
	;; [unrolled: 1-line block ×3, first 2 shown]
	v_pk_add_f32 v[64:65], v[64:65], v[66:67] neg_lo:[0,1] neg_hi:[0,1]
	s_waitcnt vmcnt(13)
	v_lshlrev_b32_e32 v67, 16, v159
	s_waitcnt vmcnt(12)
	v_lshlrev_b32_e32 v66, 16, v160
	v_pk_add_f32 v[50:51], v[66:67], v[50:51] neg_lo:[0,1] neg_hi:[0,1]
	global_store_short_d16_hi v[62:63], v64, off
	global_store_short_d16_hi v[62:63], v65, off offset:256
	global_store_short_d16_hi v[62:63], v50, off offset:512
	;; [unrolled: 1-line block ×3, first 2 shown]
	v_pk_mul_f32 v[64:65], v[58:59], v[64:65]
	v_pk_mul_f32 v[50:51], v[60:61], v[50:51]
	v_accvgpr_read_b32 v67, a9
	v_perm_b32 v64, v65, v64, s39
	v_perm_b32 v65, v51, v50, s39
	s_waitcnt vmcnt(15)
	v_lshlrev_b32_e32 v51, 16, v161
	s_waitcnt vmcnt(14)
	v_lshlrev_b32_e32 v50, 16, v162
	v_accvgpr_read_b32 v66, a8
	v_accvgpr_read_b32 v53, a11
	v_mfma_f32_16x16x16_bf16 a[12:15], v[70:71], v[56:57], a[12:15]
	v_accvgpr_read_b32 v52, a10
	v_pk_add_f32 v[50:51], v[50:51], v[66:67] neg_lo:[0,1] neg_hi:[0,1]
	s_waitcnt vmcnt(13)
	v_lshlrev_b32_e32 v67, 16, v163
	s_waitcnt vmcnt(12)
	v_lshlrev_b32_e32 v66, 16, v164
	v_pk_add_f32 v[52:53], v[66:67], v[52:53] neg_lo:[0,1] neg_hi:[0,1]
	global_store_short_d16_hi v[62:63], v50, off offset:32
	global_store_short_d16_hi v[62:63], v51, off offset:288
	;; [unrolled: 1-line block ×4, first 2 shown]
	v_pk_mul_f32 v[50:51], v[58:59], v[50:51]
	v_pk_mul_f32 v[52:53], v[60:61], v[52:53]
	v_accvgpr_read_b32 v55, a15
	v_perm_b32 v53, v53, v52, s39
	v_perm_b32 v52, v51, v50, s39
	ds_write2_b64 v111, v[64:65], v[52:53] offset1:16
	v_accvgpr_read_b32 v53, a13
	s_waitcnt vmcnt(15)
	v_lshlrev_b32_e32 v51, 16, v165
	s_waitcnt vmcnt(14)
	v_lshlrev_b32_e32 v50, 16, v166
	v_accvgpr_read_b32 v52, a12
	v_accvgpr_read_b32 v54, a14
	v_pk_add_f32 v[50:51], v[50:51], v[52:53] neg_lo:[0,1] neg_hi:[0,1]
	s_waitcnt vmcnt(13)
	v_lshlrev_b32_e32 v53, 16, v167
	s_waitcnt vmcnt(12)
	v_lshlrev_b32_e32 v52, 16, v168
	v_pk_add_f32 v[52:53], v[52:53], v[54:55] neg_lo:[0,1] neg_hi:[0,1]
	global_store_short_d16_hi v[62:63], v50, off offset:64
	global_store_short_d16_hi v[62:63], v51, off offset:320
	;; [unrolled: 1-line block ×4, first 2 shown]
	v_pk_mul_f32 v[50:51], v[58:59], v[50:51]
	v_pk_mul_f32 v[52:53], v[60:61], v[52:53]
	v_accvgpr_read_b32 v55, a1
	v_perm_b32 v50, v51, v50, s39
	v_perm_b32 v51, v53, v52, s39
	s_waitcnt vmcnt(15)
	v_lshlrev_b32_e32 v53, 16, v68
	s_waitcnt vmcnt(14)
	v_lshlrev_b32_e32 v52, 16, v69
	v_accvgpr_read_b32 v54, a0
	v_accvgpr_read_b32 v57, a3
	v_accvgpr_read_b32 v56, a2
	v_pk_add_f32 v[52:53], v[52:53], v[54:55] neg_lo:[0,1] neg_hi:[0,1]
	s_waitcnt vmcnt(13)
	v_lshlrev_b32_e32 v55, 16, v169
	s_waitcnt vmcnt(12)
	v_lshlrev_b32_e32 v54, 16, v170
	v_pk_add_f32 v[54:55], v[54:55], v[56:57] neg_lo:[0,1] neg_hi:[0,1]
	global_store_short_d16_hi v[62:63], v52, off offset:96
	global_store_short_d16_hi v[62:63], v53, off offset:352
	;; [unrolled: 1-line block ×4, first 2 shown]
	v_pk_mul_f32 v[52:53], v[58:59], v[52:53]
	v_pk_mul_f32 v[54:55], v[60:61], v[54:55]
	v_mov_b32_e32 v158, 0
	v_perm_b32 v55, v55, v54, s39
	v_perm_b32 v54, v53, v52, s39
	ds_write2_b64 v111, v[50:51], v[54:55] offset0:32 offset1:48
	v_mov_b32_e32 v50, 0
	v_mov_b32_e32 v51, 0
	;; [unrolled: 1-line block ×16, first 2 shown]
	s_cbranch_vccnz .LBB137_14
; %bb.13:                               ;   in Loop: Header=BB137_6 Depth=1
	s_and_b32 s29, s29, 0xffff
	s_mov_b32 s31, s7
	buffer_load_dwordx4 v[62:65], v144, s[28:31], 0 offen
	buffer_load_dwordx4 v[54:57], v144, s[28:31], s67 offen
	;; [unrolled: 1-line block ×4, first 2 shown]
	v_mov_b32_e32 v157, v105
	v_mov_b32_e32 v158, v104
.LBB137_14:                             ;   in Loop: Header=BB137_6 Depth=1
	s_waitcnt lgkmcnt(0)
	s_barrier
	ds_read_b64 v[74:75], v147
	ds_read2_b64 v[66:69], v140 offset1:16
	ds_read_b64 v[176:177], v148
	ds_read_b64 v[178:179], v149
	;; [unrolled: 1-line block ×3, first 2 shown]
	ds_read2_b64 v[70:73], v140 offset0:32 offset1:48
	ds_read2st64_b64 v[160:163], v140 offset0:4 offset1:8
	ds_read2st64_b64 v[164:167], v141 offset0:4 offset1:8
	ds_read2st64_b64 v[168:171], v142 offset0:4 offset1:8
	ds_read2st64_b64 v[172:175], v143 offset0:4 offset1:8
	s_waitcnt lgkmcnt(8)
	v_mfma_f32_16x16x16_bf16 a[0:3], v[74:75], v[66:67], 0
	s_add_i32 s4, s62, s74
	s_mul_hi_i32 s5, s4, s25
	s_mul_i32 s4, s4, s25
	v_mfma_f32_16x16x16_bf16 a[4:7], v[74:75], v[68:69], 0
	s_add_u32 s4, s4, s33
	s_addc_u32 s5, s5, s50
	s_add_i32 s28, s3, s68
	s_waitcnt lgkmcnt(4)
	v_mfma_f32_16x16x16_bf16 a[8:11], v[74:75], v[70:71], 0
	s_lshl_b64 s[4:5], s[4:5], 15
	s_mul_hi_i32 s29, s28, s25
	s_mul_i32 s28, s28, s25
	v_mfma_f32_16x16x16_bf16 a[12:15], v[74:75], v[72:73], 0
	ds_read_b64 v[74:75], v140 offset:6144
	ds_read_b64 v[188:189], v141 offset:6144
	;; [unrolled: 1-line block ×4, first 2 shown]
	s_add_u32 s28, s28, s33
	s_waitcnt lgkmcnt(7)
	v_mfma_f32_16x16x16_bf16 a[0:3], v[176:177], v[160:161], a[0:3]
	s_addc_u32 s29, s29, s50
	s_lshl_b64 s[28:29], s[28:29], 9
	s_add_u32 s28, s8, s28
	s_waitcnt lgkmcnt(6)
	v_mfma_f32_16x16x16_bf16 a[4:7], v[176:177], v[164:165], a[4:7]
	s_addc_u32 s29, s9, s29
	v_lshl_add_u64 v[198:199], v[96:97], 0, s[4:5]
	s_waitcnt lgkmcnt(5)
	v_mfma_f32_16x16x16_bf16 a[8:11], v[176:177], v[168:169], a[8:11]
	s_waitcnt lgkmcnt(4)
	v_mfma_f32_16x16x16_bf16 a[12:15], v[176:177], v[172:173], a[12:15]
	ds_read_b64 v[176:177], v152
	ds_read_b64 v[186:187], v153
	;; [unrolled: 1-line block ×3, first 2 shown]
	s_waitcnt lgkmcnt(2)
	v_mfma_f32_16x16x16_bf16 a[16:19], v[176:177], v[66:67], 0
	v_mfma_f32_16x16x16_bf16 a[20:23], v[176:177], v[68:69], 0
	global_load_dwordx4 v[66:69], v151, s[28:29]
	v_mfma_f32_16x16x16_bf16 a[24:27], v[176:177], v[70:71], 0
	v_mfma_f32_16x16x16_bf16 a[28:31], v[176:177], v[72:73], 0
	global_load_dwordx4 v[70:73], v89, s[28:29]
	v_mfma_f32_16x16x16_bf16 a[0:3], v[178:179], v[162:163], a[0:3]
	v_mfma_f32_16x16x16_bf16 a[4:7], v[178:179], v[166:167], a[4:7]
	;; [unrolled: 1-line block ×8, first 2 shown]
	ds_read2st64_b64 v[176:179], v138 offset1:8
	ds_read2st64_b64 v[180:183], v139 offset1:8
	ds_read_b64 v[196:197], v146 offset:40960
	s_waitcnt lgkmcnt(2)
	v_mov_b32_e32 v184, v176
	v_mfma_f32_16x16x16_bf16 a[16:19], v[186:187], v[160:161], a[16:19]
	v_mov_b32_e32 v185, v177
	v_mfma_f32_16x16x16_bf16 a[20:23], v[186:187], v[164:165], a[20:23]
	v_mfma_f32_16x16x16_bf16 a[24:27], v[186:187], v[168:169], a[24:27]
	;; [unrolled: 1-line block ×3, first 2 shown]
	v_add_co_u32_e32 v172, vcc, s41, v198
	s_waitcnt lgkmcnt(1)
	v_mov_b32_e32 v186, v180
	s_waitcnt lgkmcnt(0)
	v_mfma_f32_16x16x16_bf16 a[16:19], v[196:197], v[162:163], a[16:19]
	ds_read2st64_b64 v[160:163], v138 offset0:16 offset1:24
	v_addc_co_u32_e32 v173, vcc, 0, v199, vcc
	v_mfma_f32_16x16x16_bf16 a[32:35], v[196:197], v[166:167], a[20:23]
	ds_read2st64_b64 v[164:167], v139 offset0:16 offset1:24
	v_mov_b32_e32 v187, v181
	v_mov_b32_e32 v180, v178
	v_mfma_f32_16x16x16_bf16 a[24:27], v[196:197], v[170:171], a[24:27]
	v_mov_b32_e32 v181, v179
	s_waitcnt lgkmcnt(0)
	v_mov_b32_e32 v170, v164
	v_mov_b32_e32 v171, v165
	v_mfma_f32_16x16x16_bf16 a[36:39], v[196:197], v[174:175], a[28:31]
	v_mov_b32_e32 v164, v162
	v_mov_b32_e32 v165, v163
	;; [unrolled: 1-line block ×3, first 2 shown]
	v_mfma_f32_16x16x16_bf16 a[20:23], v[194:195], v[74:75], a[16:19]
	v_add_co_u32_e32 v74, vcc, s72, v198
	v_mov_b32_e32 v169, v161
	v_mfma_f32_16x16x16_bf16 a[28:31], v[194:195], v[188:189], a[32:35]
	v_addc_co_u32_e32 v75, vcc, 0, v199, vcc
	global_store_dwordx4 v[74:75], v[164:167], off
	v_mfma_f32_16x16x16_bf16 a[16:19], v[194:195], v[190:191], a[24:27]
	s_waitcnt vmcnt(2)
	v_mov_b32_e32 v76, v69
	v_mov_b32_e32 v75, v68
	;; [unrolled: 1-line block ×3, first 2 shown]
	v_mfma_f32_16x16x16_bf16 a[24:27], v[194:195], v[192:193], a[36:39]
	s_and_b64 vcc, exec, s[0:1]
	global_store_dwordx4 v[198:199], v[184:187], off
	global_store_dwordx4 v[172:173], v[180:183], off offset:-4096
	global_store_dwordx4 v[172:173], v[168:171], off
	s_cbranch_vccnz .LBB137_16
; %bb.15:                               ;   in Loop: Header=BB137_6 Depth=1
	v_lshrrev_b32_e32 v67, 3, v157
	v_and_b32_e32 v67, 6, v67
	v_xor_b32_e32 v68, v67, v158
	v_lshlrev_b32_e32 v68, 2, v68
	v_and_b32_e32 v69, 8, v157
	v_xor_b32_e32 v157, 0x440, v68
	v_cmp_eq_u32_e32 vcc, 0, v69
	v_perm_b32 v69, v54, v50, s69
	s_nop 0
	v_cndmask_b32_e32 v68, v157, v68, vcc
	v_lshl_or_b32 v67, v67, 10, v68
	v_perm_b32 v68, v62, v58, s69
	s_barrier
	ds_write2st64_b32 v67, v68, v69 offset0:128 offset1:160
	v_xor_b32_e32 v68, 8, v67
	v_perm_b32 v58, v62, v58, s70
	v_perm_b32 v50, v54, v50, s70
	v_add_u32_e32 v54, 0x80, v68
	ds_write2st64_b32 v54, v58, v50 offset0:128 offset1:160
	v_xor_b32_e32 v50, 16, v67
	v_perm_b32 v54, v63, v59, s69
	v_perm_b32 v58, v55, v51, s69
	ds_write2st64_b32 v50, v54, v58 offset0:129 offset1:161
	v_xor_b32_e32 v50, 24, v67
	v_perm_b32 v54, v63, v59, s70
	v_perm_b32 v51, v55, v51, s70
	v_add_u32_e32 v50, 0x80, v50
	ds_write2st64_b32 v50, v54, v51 offset0:129 offset1:161
	v_xor_b32_e32 v50, 32, v67
	v_perm_b32 v51, v64, v60, s69
	v_perm_b32 v54, v56, v52, s69
	;; [unrolled: 9-line block ×3, first 2 shown]
	ds_write2st64_b32 v50, v51, v52 offset0:131 offset1:163
	v_xor_b32_e32 v50, 56, v67
	v_perm_b32 v51, v65, v61, s70
	v_perm_b32 v52, v57, v53, s70
	v_add_u32_e32 v50, 0x80, v50
	ds_write2st64_b32 v50, v51, v52 offset0:131 offset1:163
	ds_write_b64 v156, v[46:47] offset:49152
	v_xor_b32_e32 v46, 8, v156
	ds_write_b64 v46, v[48:49] offset:49152
	ds_write_b64 v156, v[42:43] offset:57344
	;; [unrolled: 1-line block ×4, first 2 shown]
	v_xor_b32_e32 v38, 8, v155
	ds_write_b64 v38, v[40:41] offset:49152
	ds_write_b64 v155, v[34:35] offset:57344
	;; [unrolled: 1-line block ×3, first 2 shown]
.LBB137_16:                             ;   in Loop: Header=BB137_6 Depth=1
	v_exp_f32_e32 v68, s48
	s_waitcnt vmcnt(4)
	v_exp_f32_e32 v70, v70
	v_exp_f32_e32 v71, v71
	;; [unrolled: 1-line block ×4, first 2 shown]
	v_accvgpr_read_b32 v37, a3
	v_accvgpr_read_b32 v36, a2
	;; [unrolled: 1-line block ×4, first 2 shown]
	v_pk_mul_f32 v[70:71], v[68:69], v[70:71] op_sel_hi:[0,1]
	v_pk_mul_f32 v[72:73], v[68:69], v[72:73] op_sel_hi:[0,1]
	v_pk_fma_f32 v[22:23], v[22:23], v[70:71], v[34:35]
	v_pk_fma_f32 v[24:25], v[24:25], v[72:73], v[36:37]
	v_exp_f32_e32 v34, v66
	v_exp_f32_e32 v35, v74
	;; [unrolled: 1-line block ×4, first 2 shown]
	v_accvgpr_read_b32 v41, a7
	v_accvgpr_read_b32 v45, a11
	;; [unrolled: 1-line block ×28, first 2 shown]
	v_pk_mul_f32 v[34:35], v[68:69], v[34:35] op_sel_hi:[0,1]
	v_pk_mul_f32 v[36:37], v[68:69], v[36:37] op_sel_hi:[0,1]
	s_add_i32 s68, s68, 64
	v_pk_fma_f32 v[18:19], v[70:71], v[18:19], v[38:39]
	v_pk_fma_f32 v[20:21], v[72:73], v[20:21], v[40:41]
	;; [unrolled: 1-line block ×13, first 2 shown]
	s_cmp_eq_u32 s59, s73
	v_pk_fma_f32 v[4:5], v[36:37], v[4:5], v[64:65]
	s_cbranch_scc1 .LBB137_18
; %bb.17:                               ;   in Loop: Header=BB137_6 Depth=1
	s_mov_b32 s74, s73
	s_branch .LBB137_6
.LBB137_18:
	s_lshl_b32 s45, s59, 6
	s_sub_i32 s48, s24, s45
	s_cmp_gt_i32 s48, 0
	s_cbranch_scc0 .LBB137_99
; %bb.19:
	s_ashr_i32 s3, s45, 31
	s_cmpk_lg_i32 s27, 0x80
	s_cselect_b64 s[30:31], -1, 0
	s_and_b64 vcc, exec, s[30:31]
	s_cbranch_vccz .LBB137_21
; %bb.20:
	s_mul_hi_i32 s0, s58, s24
	s_add_u32 s1, s51, s45
	s_addc_u32 s0, s0, s3
	s_mul_i32 s4, s1, s60
	s_mul_hi_u32 s5, s1, s26
	s_add_i32 s4, s5, s4
	s_mul_i32 s0, s0, s26
	s_add_i32 s4, s4, s0
	s_mul_i32 s1, s1, s26
	s_ashr_i32 s0, s61, 31
	s_add_u32 s46, s1, s61
	s_addc_u32 s47, s4, s0
	s_cbranch_execz .LBB137_22
	s_branch .LBB137_23
.LBB137_21:
                                        ; implicit-def: $sgpr46_sgpr47
.LBB137_22:
	s_mul_hi_i32 s0, s58, s26
	s_mul_i32 s58, s58, s26
	s_ashr_i32 s1, s61, 31
	s_add_u32 s4, s58, s61
	s_addc_u32 s0, s0, s1
	s_mul_i32 s1, s4, s57
	s_mul_hi_u32 s5, s4, s24
	s_add_i32 s1, s5, s1
	s_mul_i32 s0, s0, s24
	s_add_i32 s1, s1, s0
	s_mul_i32 s4, s4, s24
	s_add_u32 s46, s4, s45
	s_addc_u32 s47, s1, s3
.LBB137_23:
	s_mul_i32 s0, s42, s57
	s_add_i32 s0, s64, s0
	s_add_i32 s4, s62, s59
	s_add_i32 s1, s0, s63
	s_add_u32 s0, s44, s45
	v_lshlrev_b32_e32 v38, 6, v102
	v_lshlrev_b32_e32 v57, 2, v99
	s_addc_u32 s1, s1, s3
	s_mov_b32 s3, 0x7060302
	v_or_b32_e32 v41, v38, v57
	v_xor_b32_e32 v39, v102, v57
	s_waitcnt vmcnt(7)
	v_perm_b32 v35, v25, v24, s3
	v_perm_b32 v34, v23, v22, s3
	s_waitcnt vmcnt(6)
	v_perm_b32 v37, v13, v12, s3
	v_perm_b32 v36, v11, v10, s3
	v_lshlrev_b32_e32 v41, 1, v41
	v_xor_b32_e32 v40, v103, v57
	ds_write2st64_b64 v41, v[34:35], v[36:37] offset0:32 offset1:48
	v_lshlrev_b32_e32 v39, 1, v39
	v_lshlrev_b32_e32 v41, 8, v99
	v_or_b32_e32 v42, v39, v41
	v_lshlrev_b32_e32 v40, 1, v40
	ds_write_b64 v42, v[34:35]
	v_or_b32_e32 v34, v40, v41
	v_or_b32_e32 v41, 16, v99
	v_lshlrev_b32_e32 v55, 2, v41
	v_or_b32_e32 v42, v38, v55
	ds_write_b64 v34, v[36:37]
	s_waitcnt vmcnt(5)
	v_perm_b32 v35, v21, v20, s3
	v_perm_b32 v34, v19, v18, s3
	s_waitcnt vmcnt(4)
	v_perm_b32 v37, v17, v16, s3
	v_perm_b32 v36, v15, v14, s3
	v_lshlrev_b32_e32 v42, 1, v42
	v_lshlrev_b32_e32 v41, 8, v41
	ds_write2st64_b64 v42, v[34:35], v[36:37] offset0:32 offset1:48
	v_or_b32_e32 v42, v39, v41
	ds_write_b64 v42, v[34:35]
	v_or_b32_e32 v34, v40, v41
	v_or_b32_e32 v41, 32, v99
	v_lshlrev_b32_e32 v54, 2, v41
	v_or_b32_e32 v42, v38, v54
	ds_write_b64 v34, v[36:37]
	s_waitcnt vmcnt(3)
	v_perm_b32 v35, v33, v32, s3
	v_perm_b32 v34, v31, v30, s3
	s_waitcnt vmcnt(2)
	v_perm_b32 v37, v29, v28, s3
	v_perm_b32 v36, v27, v26, s3
	v_lshlrev_b32_e32 v42, 1, v42
	v_lshlrev_b32_e32 v41, 8, v41
	s_lshl_b64 s[28:29], s[0:1], 8
	ds_write2st64_b64 v42, v[34:35], v[36:37] offset0:32 offset1:48
	v_or_b32_e32 v42, v39, v41
	s_add_u32 s0, s18, s28
	ds_write_b64 v42, v[34:35]
	v_or_b32_e32 v34, v40, v41
	s_addc_u32 s1, s19, s29
	ds_write_b64 v34, v[36:37]
	s_waitcnt vmcnt(1)
	v_perm_b32 v35, v9, v8, s3
	v_perm_b32 v34, v7, v6, s3
	s_waitcnt vmcnt(0)
	v_perm_b32 v37, v5, v4, s3
	v_perm_b32 v36, v3, v2, s3
	v_or_b32_e32 v41, 48, v99
	s_mul_hi_i32 s3, s4, s25
	s_mul_i32 s4, s4, s25
	v_lshlrev_b32_e32 v51, 2, v41
	s_add_u32 s4, s4, s33
	v_or_b32_e32 v38, v38, v51
	s_addc_u32 s5, s3, s50
	v_lshlrev_b32_e32 v38, 1, v38
	s_ashr_i32 s3, s2, 31
	s_lshl_b64 s[4:5], s[4:5], 15
	ds_write2st64_b64 v38, v[34:35], v[36:37] offset0:32 offset1:48
	v_lshlrev_b32_e32 v38, 8, v41
	s_add_u32 s4, s12, s4
	v_or_b32_e32 v39, v39, v38
	s_addc_u32 s5, s13, s5
	s_lshl_b64 s[2:3], s[2:3], 8
	ds_write_b64 v39, v[34:35]
	v_or_b32_e32 v34, v40, v38
	s_add_u32 s2, s4, s2
	v_lshlrev_b32_e32 v35, 1, v99
	ds_write_b64 v34, v[36:37]
	v_lshrrev_b32_e32 v34, 4, v0
	s_addc_u32 s3, s5, s3
	v_or_b32_e32 v36, 1, v35
	v_lshlrev_b32_e32 v42, 4, v99
	v_mov_b32_e32 v43, 0
	v_xor_b32_e32 v35, v34, v35
	v_xor_b32_e32 v38, v36, v34
	v_lshl_add_u64 v[44:45], s[2:3], 0, v[42:43]
	v_lshlrev_b32_e32 v42, 8, v34
	v_lshl_or_b32 v48, v35, 3, v42
	v_lshl_or_b32 v49, v38, 3, v42
	s_waitcnt lgkmcnt(0)
	s_barrier
	ds_read2st64_b64 v[34:37], v48 offset1:8
	ds_read2st64_b64 v[38:41], v49 offset1:8
	v_lshl_add_u64 v[46:47], v[44:45], 0, v[42:43]
	s_movk_i32 s2, 0x2000
	s_cmp_lg_u32 s48, 64
	s_waitcnt lgkmcnt(1)
	v_mov_b32_e32 v42, v34
	v_mov_b32_e32 v43, v35
	s_waitcnt lgkmcnt(0)
	v_mov_b32_e32 v44, v38
	v_mov_b32_e32 v45, v39
	global_store_dwordx4 v[46:47], v[42:45], off
	v_mov_b32_e32 v38, v36
	v_mov_b32_e32 v39, v37
	ds_read2st64_b64 v[34:37], v48 offset0:16 offset1:24
	ds_read2st64_b64 v[42:45], v49 offset0:16 offset1:24
	v_add_co_u32_e32 v48, vcc, s2, v46
	s_cselect_b64 s[18:19], -1, 0
	s_nop 0
	v_addc_co_u32_e32 v49, vcc, 0, v47, vcc
	global_store_dwordx4 v[48:49], v[38:41], off offset:-4096
	v_lshl_or_b32 v62, v1, 3, v101
	s_mov_b32 s4, 0
	s_waitcnt lgkmcnt(1)
	v_mov_b32_e32 v38, v34
	v_add_co_u32_e32 v34, vcc, 0x3000, v46
	v_mov_b32_e32 v39, v35
	s_nop 0
	v_addc_co_u32_e32 v35, vcc, 0, v47, vcc
	s_waitcnt lgkmcnt(0)
	v_mov_b32_e32 v40, v42
	v_mov_b32_e32 v41, v43
	;; [unrolled: 1-line block ×4, first 2 shown]
	v_or_b32_e32 v52, 32, v62
	v_and_b32_e32 v50, 56, v100
	s_and_b64 vcc, exec, s[18:19]
	global_store_dwordx4 v[48:49], v[38:41], off
	global_store_dwordx4 v[34:35], v[42:45], off
	s_cbranch_vccz .LBB137_29
; %bb.24:
	s_mov_b32 s6, s4
	s_mov_b32 s7, s4
	;; [unrolled: 1-line block ×3, first 2 shown]
	v_mov_b64_e32 v[40:41], s[6:7]
	v_mov_b64_e32 v[38:39], s[4:5]
	;; [unrolled: 1-line block ×3, first 2 shown]
	v_cmp_gt_i32_e32 vcc, s48, v62
	v_mov_b64_e32 v[36:37], v[40:41]
	s_and_saveexec_b64 s[2:3], vcc
	s_cbranch_execz .LBB137_26
; %bb.25:
	v_lshlrev_b32_e32 v34, 8, v62
	v_mov_b32_e32 v35, 0
	v_lshl_add_u64 v[36:37], s[0:1], 0, v[34:35]
	v_lshlrev_b32_e32 v34, 1, v50
	v_lshl_add_u64 v[42:43], v[36:37], 0, v[34:35]
	global_load_dwordx4 v[38:41], v[42:43], off
	global_load_dwordx4 v[34:37], v[42:43], off offset:128
.LBB137_26:
	s_or_b64 exec, exec, s[2:3]
	s_mov_b32 s6, s4
	s_mov_b32 s7, s4
	;; [unrolled: 1-line block ×3, first 2 shown]
	v_mov_b64_e32 v[48:49], s[6:7]
	v_mov_b64_e32 v[46:47], s[4:5]
	;; [unrolled: 1-line block ×3, first 2 shown]
	v_cmp_gt_i32_e32 vcc, s48, v52
	v_lshlrev_b32_e32 v53, 7, v52
	v_mov_b64_e32 v[44:45], v[48:49]
	s_and_saveexec_b64 s[2:3], vcc
	s_cbranch_execz .LBB137_28
; %bb.27:
	v_lshlrev_b32_e32 v42, 1, v53
	v_mov_b32_e32 v43, 0
	v_lshl_add_u64 v[44:45], s[0:1], 0, v[42:43]
	v_lshlrev_b32_e32 v42, 1, v50
	v_lshl_add_u64 v[58:59], v[44:45], 0, v[42:43]
	global_load_dwordx4 v[46:49], v[58:59], off
	global_load_dwordx4 v[42:45], v[58:59], off offset:128
.LBB137_28:
	s_or_b64 exec, exec, s[2:3]
	v_lshrrev_b32_e32 v56, 3, v50
	v_lshlrev_b32_e32 v58, 3, v62
	v_or_b32_e32 v56, v58, v56
	v_lshlrev_b32_e32 v56, 4, v56
	v_and_b32_e32 v58, 0x78, v58
	v_xor_b32_e32 v56, v56, v58
	s_branch .LBB137_31
.LBB137_29:
                                        ; implicit-def: $vgpr56
                                        ; implicit-def: $vgpr53
                                        ; implicit-def: $vgpr38_vgpr39_vgpr40_vgpr41
                                        ; implicit-def: $vgpr34_vgpr35_vgpr36_vgpr37
                                        ; implicit-def: $vgpr46_vgpr47_vgpr48_vgpr49
                                        ; implicit-def: $vgpr42_vgpr43_vgpr44_vgpr45
	s_cbranch_execz .LBB137_31
; %bb.30:
	s_waitcnt vmcnt(0)
	v_lshlrev_b32_e32 v34, 1, v50
	v_lshl_or_b32 v53, v62, 8, v34
	s_and_b32 s1, s1, 0xffff
	s_mov_b32 s3, 0x20000
	s_movk_i32 s2, 0x4000
	v_lshl_or_b32 v56, v52, 8, v34
	s_movk_i32 s4, 0x80
	buffer_load_dwordx4 v[38:41], v53, s[0:3], 0 offen
	buffer_load_dwordx4 v[34:37], v53, s[0:3], s4 offen
	;; [unrolled: 1-line block ×4, first 2 shown]
	v_lshrrev_b32_e32 v53, 3, v50
	v_lshlrev_b32_e32 v56, 3, v62
	v_or_b32_e32 v53, v56, v53
	v_lshlrev_b32_e32 v53, 4, v53
	v_and_b32_e32 v56, 0x78, v56
	v_xor_b32_e32 v56, v53, v56
	v_lshlrev_b32_e32 v53, 7, v52
.LBB137_31:
	s_movk_i32 s0, 0x1000
	v_and_or_b32 v52, v53, s0, v56
	s_waitcnt vmcnt(1)
	ds_write_b64 v56, v[38:39] offset:49152
	v_xor_b32_e32 v38, 8, v56
	ds_write_b64 v38, v[40:41] offset:49152
	s_waitcnt vmcnt(0)
	ds_write_b64 v56, v[34:35] offset:57344
	ds_write_b64 v38, v[36:37] offset:57344
	;; [unrolled: 1-line block ×3, first 2 shown]
	v_xor_b32_e32 v34, 8, v52
	ds_write_b64 v34, v[48:49] offset:49152
	ds_write_b64 v52, v[42:43] offset:57344
	;; [unrolled: 1-line block ×3, first 2 shown]
	v_or_b32_e32 v34, v77, v99
	v_lshlrev_b32_e32 v34, 3, v34
	v_lshrrev_b32_e32 v35, 5, v79
	s_movk_i32 s0, 0xf8
	v_and_or_b32 v35, v34, s0, v35
	v_lshlrev_b32_e32 v39, 4, v35
	v_lshlrev_b32_e32 v56, 11, v1
	v_and_b32_e32 v40, 0x78, v34
	v_or_b32_e32 v42, 32, v39
	v_and_b32_e32 v38, 0x1000, v56
	v_lshrrev_b32_e32 v35, 1, v79
	v_xor_b32_e32 v42, v42, v40
	v_xor_b32_e32 v34, v39, v40
	v_and_b32_e32 v41, 8, v35
	v_or_b32_e32 v42, v42, v38
	v_or_b32_e32 v34, v34, v38
	v_xor_b32_e32 v64, v42, v41
	v_or_b32_e32 v42, 64, v39
	v_xor_b32_e32 v63, v34, v41
	v_xor_b32_e32 v42, v42, v40
	s_waitcnt lgkmcnt(0)
	s_barrier
	v_or_b32_e32 v45, v42, v38
	ds_read_b64 v[42:43], v63 offset:49152
	v_lshl_or_b32 v46, v98, 8, v57
	v_lshlrev_b32_e32 v58, 1, v46
	v_add_u32_e32 v44, 0x4000, v58
	ds_read2_b64 v[34:37], v44 offset1:16
	v_or_b32_e32 v39, 0x60, v39
	v_xor_b32_e32 v39, v39, v40
	v_or_b32_e32 v38, v39, v38
	v_xor_b32_e32 v65, v45, v41
	v_xor_b32_e32 v66, v38, v41
	ds_read_b64 v[52:53], v64 offset:49152
	ds_read_b64 v[68:69], v65 offset:49152
	;; [unrolled: 1-line block ×3, first 2 shown]
	s_waitcnt lgkmcnt(3)
	v_mfma_f32_16x16x16_bf16 a[0:3], v[42:43], v[34:35], 0
	ds_read2st64_b64 v[38:41], v58 offset0:36 offset1:40
	s_lshl_b64 s[0:1], s[46:47], 8
	s_add_u32 s4, s16, s0
	v_mfma_f32_16x16x16_bf16 a[4:7], v[42:43], v[36:37], 0
	ds_read2_b64 v[34:37], v44 offset0:32 offset1:48
	s_addc_u32 s5, s17, s1
	s_add_i32 s0, s53, s43
	s_waitcnt lgkmcnt(0)
	v_mfma_f32_16x16x16_bf16 a[8:11], v[42:43], v[34:35], 0
	v_or_b32_e32 v34, 64, v46
	v_lshlrev_b32_e32 v59, 1, v34
	s_add_i32 s17, s24, -1
	v_mfma_f32_16x16x16_bf16 a[12:15], v[42:43], v[36:37], 0
	ds_read2st64_b64 v[34:37], v59 offset0:36 offset1:40
	s_add_i32 s41, s0, s52
	s_add_i32 s0, s55, s54
	v_mfma_f32_16x16x16_bf16 a[0:3], v[52:53], v[38:39], a[0:3]
	v_or_b32_e32 v38, 0x80, v46
	v_lshlrev_b32_e32 v60, 1, v38
	ds_read2st64_b64 v[42:45], v60 offset0:36 offset1:40
	s_waitcnt lgkmcnt(1)
	v_mfma_f32_16x16x16_bf16 a[4:7], v[52:53], v[34:35], a[4:7]
	v_or_b32_e32 v34, 0xc0, v46
	v_lshlrev_b32_e32 v61, 1, v34
	ds_read2st64_b64 v[46:49], v61 offset0:36 offset1:40
	s_add_i32 s39, s0, s56
	s_ashr_i32 s0, s17, 31
	s_mul_i32 s1, s17, s37
	s_mul_hi_u32 s2, s17, s36
	s_add_i32 s1, s2, s1
	s_mul_i32 s0, s0, s36
	s_waitcnt lgkmcnt(1)
	v_mfma_f32_16x16x16_bf16 a[8:11], v[52:53], v[42:43], a[8:11]
	s_add_i32 s1, s1, s0
	s_lshl_b64 s[2:3], s[40:41], 2
	s_add_u32 s6, s22, s2
	s_waitcnt lgkmcnt(0)
	v_mfma_f32_16x16x16_bf16 a[12:15], v[52:53], v[46:47], a[12:15]
	s_addc_u32 s7, s23, s3
	s_lshl_b64 s[2:3], s[38:39], 2
	s_mul_i32 s0, s17, s36
	v_mfma_f32_16x16x16_bf16 a[0:3], v[68:69], v[40:41], a[0:3]
	ds_read_b64 v[34:35], v58 offset:22528
	s_add_u32 s12, s6, s2
	s_addc_u32 s13, s7, s3
	v_mfma_f32_16x16x16_bf16 a[4:7], v[68:69], v[36:37], a[4:7]
	ds_read_b64 v[36:37], v59 offset:22528
	ds_read_b64 v[38:39], v60 offset:22528
	;; [unrolled: 1-line block ×3, first 2 shown]
	s_lshl_b64 s[0:1], s[0:1], 2
	s_add_u32 s0, s12, s0
	v_mfma_f32_16x16x16_bf16 a[8:11], v[68:69], v[44:45], a[8:11]
	s_addc_u32 s1, s13, s1
	s_load_dword s16, s[0:1], 0x0
	s_and_b64 vcc, exec, s[30:31]
	v_mfma_f32_16x16x16_bf16 a[12:15], v[68:69], v[48:49], a[12:15]
	s_waitcnt lgkmcnt(0)
	v_mfma_f32_16x16x16_bf16 a[0:3], v[70:71], v[34:35], a[0:3]
	v_mfma_f32_16x16x16_bf16 a[4:7], v[70:71], v[36:37], a[4:7]
	;; [unrolled: 1-line block ×4, first 2 shown]
	s_cbranch_vccz .LBB137_42
; %bb.32:
	v_lshlrev_b32_e32 v52, 1, v62
	s_and_b64 vcc, exec, s[18:19]
	s_cbranch_vccz .LBB137_43
; %bb.33:
	v_cmp_gt_i32_e32 vcc, s48, v52
	v_mov_b32_e32 v38, 0
	v_mov_b32_e32 v34, 0
	;; [unrolled: 1-line block ×5, first 2 shown]
	s_and_saveexec_b64 s[0:1], vcc
	s_cbranch_execz .LBB137_35
; %bb.34:
	v_mad_i64_i32 v[34:35], s[2:3], s27, v52, 0
	v_lshl_add_u64 v[34:35], v[34:35], 1, s[4:5]
	v_lshlrev_b32_e32 v36, 1, v50
	v_mov_b32_e32 v37, 0
	v_lshl_add_u64 v[34:35], v[34:35], 0, v[36:37]
	global_load_dwordx4 v[34:37], v[34:35], off
.LBB137_35:
	s_or_b64 exec, exec, s[0:1]
	v_or_b32_e32 v53, 1, v52
	v_cmp_gt_i32_e64 s[0:1], s48, v53
	v_mov_b32_e32 v39, 0
	v_mov_b32_e32 v40, 0
	;; [unrolled: 1-line block ×3, first 2 shown]
	s_and_saveexec_b64 s[2:3], s[0:1]
	s_cbranch_execz .LBB137_37
; %bb.36:
	v_mad_i64_i32 v[38:39], s[6:7], s27, v53, 0
	v_lshl_add_u64 v[38:39], v[38:39], 1, s[4:5]
	v_lshlrev_b32_e32 v40, 1, v50
	v_mov_b32_e32 v41, 0
	v_lshl_add_u64 v[38:39], v[38:39], 0, v[40:41]
	global_load_dwordx4 v[38:41], v[38:39], off
.LBB137_37:
	s_or_b64 exec, exec, s[2:3]
	v_mov_b32_e32 v49, 0
	v_mov_b32_e32 v42, 0
	;; [unrolled: 1-line block ×5, first 2 shown]
	s_and_saveexec_b64 s[2:3], vcc
	s_cbranch_execz .LBB137_39
; %bb.38:
	v_mad_i64_i32 v[42:43], s[6:7], s27, v52, 0
	v_lshl_add_u64 v[42:43], v[42:43], 1, s[4:5]
	v_lshlrev_b32_e32 v44, 1, v50
	v_mov_b32_e32 v45, 0
	v_lshl_add_u64 v[42:43], v[42:43], 0, v[44:45]
	global_load_dwordx4 v[42:45], v[42:43], off offset:128
.LBB137_39:
	s_or_b64 exec, exec, s[2:3]
	v_mov_b32_e32 v48, 0
	v_mov_b32_e32 v47, 0
	;; [unrolled: 1-line block ×3, first 2 shown]
	s_and_saveexec_b64 s[2:3], s[0:1]
	s_cbranch_execz .LBB137_41
; %bb.40:
	v_mad_i64_i32 v[46:47], s[0:1], s27, v53, 0
	v_lshl_add_u64 v[46:47], v[46:47], 1, s[4:5]
	v_lshlrev_b32_e32 v48, 1, v50
	v_mov_b32_e32 v49, 0
	v_lshl_add_u64 v[46:47], v[46:47], 0, v[48:49]
	global_load_dwordx4 v[46:49], v[46:47], off offset:128
.LBB137_41:
	s_or_b64 exec, exec, s[2:3]
	s_branch .LBB137_45
.LBB137_42:
                                        ; implicit-def: $vgpr37
                                        ; implicit-def: $vgpr41
                                        ; implicit-def: $vgpr45
                                        ; implicit-def: $vgpr49
	v_lshrrev_b32_e32 v67, 2, v79
	s_branch .LBB137_46
.LBB137_43:
                                        ; implicit-def: $vgpr37
                                        ; implicit-def: $vgpr41
                                        ; implicit-def: $vgpr45
                                        ; implicit-def: $vgpr49
	s_cbranch_execz .LBB137_45
; %bb.44:
	s_waitcnt vmcnt(0)
	v_mad_u64_u32 v[34:35], s[0:1], v52, s27, v[50:51]
	v_lshlrev_b32_e32 v52, 1, v34
	s_lshl_b32 s2, s27, 7
	s_and_b32 s1, s5, 0xffff
	s_mov_b32 s3, 0x20000
	s_mov_b32 s0, s4
	v_add_lshl_u32 v53, v34, s27, 1
	s_movk_i32 s6, 0x80
	buffer_load_dwordx4 v[34:37], v52, s[0:3], 0 offen
	buffer_load_dwordx4 v[42:45], v52, s[0:3], s6 offen
	;; [unrolled: 1-line block ×4, first 2 shown]
.LBB137_45:
	v_lshrrev_b32_e32 v67, 2, v79
	s_cbranch_execnz .LBB137_58
.LBB137_46:
	s_and_b64 vcc, exec, s[18:19]
	s_cbranch_vccz .LBB137_56
; %bb.47:
	s_waitcnt vmcnt(0)
	v_lshlrev_b32_e32 v39, 1, v62
	v_cmp_gt_i32_e32 vcc, s48, v39
	v_mov_b32_e32 v38, 0
	v_lshlrev_b32_e32 v46, 9, v62
	v_mov_b32_e32 v34, 0
	v_mov_b32_e32 v35, 0
	;; [unrolled: 1-line block ×4, first 2 shown]
	s_and_saveexec_b64 s[0:1], vcc
	s_cbranch_execz .LBB137_49
; %bb.48:
	v_mov_b32_e32 v47, 0
	v_lshl_add_u64 v[34:35], s[4:5], 0, v[46:47]
	v_lshlrev_b32_e32 v36, 1, v50
	v_mov_b32_e32 v37, v47
	v_lshl_add_u64 v[34:35], v[34:35], 0, v[36:37]
	global_load_dwordx4 v[34:37], v[34:35], off
.LBB137_49:
	s_or_b64 exec, exec, s[0:1]
	v_or_b32_e32 v39, 1, v39
	v_cmp_gt_i32_e64 s[0:1], s48, v39
	v_lshlrev_b32_e32 v52, 8, v39
	v_mov_b32_e32 v39, 0
	v_mov_b32_e32 v40, 0
	;; [unrolled: 1-line block ×3, first 2 shown]
	s_and_saveexec_b64 s[2:3], s[0:1]
	s_cbranch_execz .LBB137_51
; %bb.50:
	v_mov_b32_e32 v53, 0
	v_lshl_add_u64 v[38:39], s[4:5], 0, v[52:53]
	v_lshlrev_b32_e32 v40, 1, v50
	v_mov_b32_e32 v41, v53
	v_lshl_add_u64 v[38:39], v[38:39], 0, v[40:41]
	global_load_dwordx4 v[38:41], v[38:39], off
.LBB137_51:
	s_or_b64 exec, exec, s[2:3]
	v_mov_b32_e32 v49, 0
	v_mov_b32_e32 v42, 0
	;; [unrolled: 1-line block ×5, first 2 shown]
	s_and_saveexec_b64 s[2:3], vcc
	s_cbranch_execz .LBB137_53
; %bb.52:
	v_mov_b32_e32 v47, 0
	v_lshl_add_u64 v[42:43], s[4:5], 0, v[46:47]
	v_lshlrev_b32_e32 v46, 1, v50
	v_lshl_add_u64 v[42:43], v[42:43], 0, v[46:47]
	global_load_dwordx4 v[42:45], v[42:43], off offset:128
.LBB137_53:
	s_or_b64 exec, exec, s[2:3]
	v_mov_b32_e32 v48, 0
	v_mov_b32_e32 v47, 0
	;; [unrolled: 1-line block ×3, first 2 shown]
	s_and_saveexec_b64 s[2:3], s[0:1]
	s_cbranch_execz .LBB137_55
; %bb.54:
	v_mov_b32_e32 v53, 0
	v_lshl_add_u64 v[46:47], s[4:5], 0, v[52:53]
	v_lshlrev_b32_e32 v52, 1, v50
	v_lshl_add_u64 v[46:47], v[46:47], 0, v[52:53]
	global_load_dwordx4 v[46:49], v[46:47], off offset:128
.LBB137_55:
	s_or_b64 exec, exec, s[2:3]
	s_branch .LBB137_58
.LBB137_56:
                                        ; implicit-def: $vgpr37
                                        ; implicit-def: $vgpr41
                                        ; implicit-def: $vgpr45
                                        ; implicit-def: $vgpr49
	s_cbranch_execz .LBB137_58
; %bb.57:
	s_waitcnt vmcnt(0)
	v_lshlrev_b32_e32 v34, 1, v50
	v_lshl_or_b32 v50, v62, 9, v34
	s_and_b32 s5, s5, 0xffff
	s_mov_b32 s7, 0x20000
	s_movk_i32 s6, 0x4000
	s_movk_i32 s0, 0x80
	buffer_load_dwordx4 v[34:37], v50, s[4:7], 0 offen
	buffer_load_dwordx4 v[38:41], v50, s[4:7], 0 offen offset:256
	buffer_load_dwordx4 v[42:45], v50, s[4:7], s0 offen
	buffer_load_dwordx4 v[46:49], v50, s[4:7], s0 offen offset:256
.LBB137_58:
	ds_read_b64 v[52:53], v63 offset:57344
	v_add_u32_e32 v50, 0x6000, v58
	ds_read2_b64 v[68:71], v50 offset1:16
	ds_read_b64 v[94:95], v64 offset:57344
	ds_read_b64 v[96:97], v65 offset:57344
	;; [unrolled: 1-line block ×3, first 2 shown]
	v_and_b32_e32 v63, 6, v0
	v_xor_b32_e32 v62, v62, v63
	v_lshlrev_b32_e32 v62, 2, v62
	s_mov_b32 s0, 0x1000504
	s_mov_b32 s1, 0x3020706
	s_waitcnt lgkmcnt(3)
	v_mfma_f32_16x16x16_bf16 a[0:3], v[52:53], v[68:69], a[0:3]
	v_mfma_f32_16x16x16_bf16 a[4:7], v[52:53], v[70:71], a[4:7]
	ds_read2_b64 v[68:71], v50 offset0:32 offset1:48
	v_and_b32_e32 v50, 12, v67
	ds_read2st64_b64 v[64:67], v58 offset0:52 offset1:56
	s_waitcnt lgkmcnt(1)
	v_mfma_f32_16x16x16_bf16 a[8:11], v[52:53], v[68:69], a[8:11]
	v_mfma_f32_16x16x16_bf16 a[12:15], v[52:53], v[70:71], a[12:15]
	ds_read2st64_b64 v[68:71], v59 offset0:52 offset1:56
	ds_read2st64_b64 v[72:75], v60 offset0:52 offset1:56
	;; [unrolled: 1-line block ×3, first 2 shown]
	s_waitcnt lgkmcnt(3)
	v_mfma_f32_16x16x16_bf16 a[0:3], v[94:95], v[64:65], a[0:3]
	ds_read_b64 v[52:53], v58 offset:30720
	ds_read_b64 v[64:65], v59 offset:30720
	;; [unrolled: 1-line block ×4, first 2 shown]
	s_waitcnt lgkmcnt(6)
	v_mfma_f32_16x16x16_bf16 a[4:7], v[94:95], v[68:69], a[4:7]
	v_and_b32_e32 v68, 1, v0
	v_xor_b32_e32 v69, 0x440, v62
	v_cmp_eq_u32_e32 vcc, 0, v68
	s_waitcnt lgkmcnt(5)
	v_mfma_f32_16x16x16_bf16 a[8:11], v[94:95], v[72:73], a[8:11]
	v_cndmask_b32_e32 v62, v69, v62, vcc
	v_lshl_or_b32 v62, v63, 10, v62
	s_waitcnt lgkmcnt(4)
	v_mfma_f32_16x16x16_bf16 a[12:15], v[94:95], v[90:91], a[12:15]
	s_waitcnt vmcnt(0)
	v_perm_b32 v63, v34, v38, s0
	v_perm_b32 v34, v34, v38, s1
	;; [unrolled: 1-line block ×3, first 2 shown]
	v_mfma_f32_16x16x16_bf16 a[0:3], v[96:97], v[66:67], a[0:3]
	v_perm_b32 v66, v42, v46, s0
	ds_write2st64_b32 v62, v63, v66 offset0:128 offset1:160
	v_xor_b32_e32 v63, 8, v62
	v_add_u32_e32 v42, 0x80, v63
	ds_write2st64_b32 v42, v34, v38 offset0:128 offset1:160
	v_xor_b32_e32 v34, 16, v62
	v_perm_b32 v38, v35, v39, s0
	v_perm_b32 v42, v43, v47, s0
	v_mfma_f32_16x16x16_bf16 a[4:7], v[96:97], v[70:71], a[4:7]
	ds_write2st64_b32 v34, v38, v42 offset0:129 offset1:161
	v_xor_b32_e32 v34, 24, v62
	v_perm_b32 v35, v35, v39, s1
	v_mfma_f32_16x16x16_bf16 a[16:19], v[96:97], v[74:75], a[8:11]
	v_perm_b32 v38, v43, v47, s1
	v_add_u32_e32 v34, 0x80, v34
	ds_write2st64_b32 v34, v35, v38 offset0:129 offset1:161
	v_mfma_f32_16x16x16_bf16 a[20:23], v[96:97], v[92:93], a[12:15]
	v_xor_b32_e32 v34, 32, v62
	v_perm_b32 v35, v36, v40, s0
	v_perm_b32 v38, v44, v48, s0
	ds_write2st64_b32 v34, v35, v38 offset0:130 offset1:162
	v_xor_b32_e32 v34, 40, v62
	s_waitcnt lgkmcnt(8)
	v_mfma_f32_16x16x16_bf16 a[12:15], v[98:99], v[52:53], a[0:3]
	v_perm_b32 v35, v36, v40, s1
	v_perm_b32 v36, v44, v48, s1
	v_add_u32_e32 v34, 0x80, v34
	s_waitcnt lgkmcnt(7)
	v_mfma_f32_16x16x16_bf16 a[8:11], v[98:99], v[64:65], a[4:7]
	ds_write2st64_b32 v34, v35, v36 offset0:130 offset1:162
	v_xor_b32_e32 v34, 48, v62
	v_perm_b32 v35, v37, v41, s0
	s_waitcnt lgkmcnt(7)
	v_mfma_f32_16x16x16_bf16 a[4:7], v[98:99], v[100:101], a[16:19]
	v_perm_b32 v36, v45, v49, s0
	ds_write2st64_b32 v34, v35, v36 offset0:131 offset1:163
	v_xor_b32_e32 v34, 56, v62
	s_waitcnt lgkmcnt(7)
	v_mfma_f32_16x16x16_bf16 a[0:3], v[98:99], v[102:103], a[20:23]
	v_or_b32_e32 v52, v50, v77
	v_perm_b32 v35, v37, v41, s1
	v_perm_b32 v36, v45, v49, s1
	v_add_u32_e32 v34, 0x80, v34
	v_cmp_gt_i32_e64 s[0:1], s48, v52
	v_mov_b32_e32 v62, 0
	v_mov_b32_e32 v63, 0
	ds_write2st64_b32 v34, v35, v36 offset0:131 offset1:163
	s_and_saveexec_b64 s[2:3], s[0:1]
	s_cbranch_execz .LBB137_60
; %bb.59:
	v_add_u32_e32 v34, s45, v52
	v_ashrrev_i32_e32 v35, 31, v34
	v_mul_lo_u32 v36, v35, s36
	v_mul_lo_u32 v37, v34, s37
	v_mad_u64_u32 v[34:35], s[4:5], v34, s36, 0
	v_add3_u32 v35, v35, v37, v36
	v_lshl_add_u64 v[34:35], v[34:35], 2, s[12:13]
	global_load_dword v34, v[34:35], off
	s_waitcnt vmcnt(0)
	v_sub_f32_e32 v34, s16, v34
	v_exp_f32_e32 v63, v34
.LBB137_60:
	s_or_b64 exec, exec, s[2:3]
	v_or_b32_e32 v46, 1, v52
	v_cmp_gt_i32_e64 s[4:5], s48, v46
	s_and_saveexec_b64 s[2:3], s[4:5]
	s_cbranch_execz .LBB137_62
; %bb.61:
	v_add_u32_e32 v34, s45, v46
	v_ashrrev_i32_e32 v35, 31, v34
	v_mul_lo_u32 v36, v35, s36
	v_mul_lo_u32 v37, v34, s37
	v_mad_u64_u32 v[34:35], s[6:7], v34, s36, 0
	v_add3_u32 v35, v35, v37, v36
	v_lshl_add_u64 v[34:35], v[34:35], 2, s[12:13]
	global_load_dword v34, v[34:35], off
	s_waitcnt vmcnt(0)
	v_sub_f32_e32 v34, s16, v34
	v_exp_f32_e32 v62, v34
.LBB137_62:
	s_or_b64 exec, exec, s[2:3]
	v_or_b32_e32 v42, 2, v52
	v_cmp_gt_i32_e64 s[2:3], s48, v42
	v_mov_b32_e32 v53, 0
	v_mov_b32_e32 v64, 0
	s_and_saveexec_b64 s[6:7], s[2:3]
	s_cbranch_execz .LBB137_64
; %bb.63:
	v_add_u32_e32 v34, s45, v42
	v_ashrrev_i32_e32 v35, 31, v34
	v_mul_lo_u32 v36, v35, s36
	v_mul_lo_u32 v37, v34, s37
	v_mad_u64_u32 v[34:35], s[18:19], v34, s36, 0
	v_add3_u32 v35, v35, v37, v36
	v_lshl_add_u64 v[34:35], v[34:35], 2, s[12:13]
	global_load_dword v34, v[34:35], off
	s_waitcnt vmcnt(0)
	v_sub_f32_e32 v34, s16, v34
	v_exp_f32_e32 v64, v34
.LBB137_64:
	s_or_b64 exec, exec, s[6:7]
	v_or_b32_e32 v43, 3, v52
	v_cmp_gt_i32_e32 vcc, s48, v43
	s_and_saveexec_b64 s[6:7], vcc
	s_cbranch_execz .LBB137_66
; %bb.65:
	v_add_u32_e32 v34, s45, v43
	v_ashrrev_i32_e32 v35, 31, v34
	v_mul_lo_u32 v36, v35, s36
	v_mul_lo_u32 v37, v34, s37
	v_mad_u64_u32 v[34:35], s[18:19], v34, s36, 0
	v_add3_u32 v35, v35, v37, v36
	v_lshl_add_u64 v[34:35], v[34:35], 2, s[12:13]
	global_load_dword v34, v[34:35], off
	s_waitcnt vmcnt(0)
	v_sub_f32_e32 v34, s16, v34
	v_exp_f32_e32 v53, v34
.LBB137_66:
	s_or_b64 exec, exec, s[6:7]
	s_add_u32 s6, s20, s28
	s_addc_u32 s7, s21, s29
	s_add_u32 s12, s14, s28
	v_ashrrev_i32_e32 v89, 31, v88
	v_accvgpr_read_b32 v37, a15
	s_addc_u32 s13, s15, s29
	v_lshlrev_b64 v[38:39], 1, v[88:89]
	v_accvgpr_read_b32 v36, a14
	v_accvgpr_read_b32 v35, a13
	;; [unrolled: 1-line block ×3, first 2 shown]
	v_lshl_add_u64 v[40:41], s[6:7], 0, v[38:39]
	v_lshl_add_u64 v[38:39], s[12:13], 0, v[38:39]
	v_mov_b32_e32 v47, 0
	v_lshlrev_b32_e32 v44, 8, v52
	v_mov_b32_e32 v45, 0
	s_and_saveexec_b64 s[6:7], s[0:1]
	s_cbranch_execz .LBB137_68
; %bb.67:
	v_mov_b32_e32 v45, 0
	v_lshl_add_u64 v[48:49], v[40:41], 0, v[44:45]
	global_load_ushort v65, v[48:49], off
	v_lshl_add_u64 v[48:49], v[38:39], 0, v[44:45]
	s_waitcnt vmcnt(0)
	v_lshlrev_b32_e32 v45, 16, v65
	v_sub_f32_e32 v34, v45, v34
	global_store_short_d16_hi v[48:49], v34, off
	v_mul_f32_e32 v34, v63, v34
	v_lshrrev_b32_e32 v45, 16, v34
.LBB137_68:
	s_or_b64 exec, exec, s[6:7]
	v_lshlrev_b32_e32 v46, 8, v46
	s_and_saveexec_b64 s[6:7], s[4:5]
	s_cbranch_execz .LBB137_70
; %bb.69:
	v_mov_b32_e32 v47, 0
	v_lshl_add_u64 v[48:49], v[40:41], 0, v[46:47]
	global_load_ushort v34, v[48:49], off
	v_lshl_add_u64 v[48:49], v[38:39], 0, v[46:47]
	s_waitcnt vmcnt(0)
	v_lshlrev_b32_e32 v34, 16, v34
	v_sub_f32_e32 v34, v34, v35
	global_store_short_d16_hi v[48:49], v34, off
	v_mul_f32_e32 v34, v62, v34
	v_lshrrev_b32_e32 v47, 16, v34
.LBB137_70:
	s_or_b64 exec, exec, s[6:7]
	v_mov_b32_e32 v66, 0
	v_lshlrev_b32_e32 v48, 8, v42
	v_mov_b32_e32 v49, 0
	s_and_saveexec_b64 s[6:7], s[2:3]
	s_cbranch_execz .LBB137_72
; %bb.71:
	v_mov_b32_e32 v49, 0
	v_lshl_add_u64 v[34:35], v[40:41], 0, v[48:49]
	global_load_ushort v42, v[34:35], off
	v_lshl_add_u64 v[34:35], v[38:39], 0, v[48:49]
	s_waitcnt vmcnt(0)
	v_lshlrev_b32_e32 v42, 16, v42
	v_sub_f32_e32 v36, v42, v36
	global_store_short_d16_hi v[34:35], v36, off
	v_mul_f32_e32 v34, v64, v36
	v_lshrrev_b32_e32 v49, 16, v34
.LBB137_72:
	s_or_b64 exec, exec, s[6:7]
	v_lshlrev_b32_e32 v42, 8, v43
	s_and_saveexec_b64 s[6:7], vcc
	s_cbranch_execz .LBB137_74
; %bb.73:
	v_mov_b32_e32 v43, 0
	v_lshl_add_u64 v[34:35], v[40:41], 0, v[42:43]
	global_load_ushort v36, v[34:35], off
	v_lshl_add_u64 v[34:35], v[38:39], 0, v[42:43]
	s_waitcnt vmcnt(0)
	v_lshlrev_b32_e32 v36, 16, v36
	v_sub_f32_e32 v36, v36, v37
	global_store_short_d16_hi v[34:35], v36, off
	v_mul_f32_e32 v34, v53, v36
	v_lshrrev_b32_e32 v66, 16, v34
.LBB137_74:
	s_or_b64 exec, exec, s[6:7]
	v_lshlrev_b32_e32 v65, 6, v52
	v_accvgpr_read_b32 v37, a11
	s_mov_b32 s6, 0x5040100
	v_or_b32_e32 v43, v65, v57
	v_accvgpr_read_b32 v36, a10
	v_accvgpr_read_b32 v35, a9
	;; [unrolled: 1-line block ×3, first 2 shown]
	v_perm_b32 v67, v66, v49, s6
	v_perm_b32 v66, v47, v45, s6
	v_lshlrev_b32_e32 v43, 1, v43
	v_mov_b32_e32 v47, 0
	v_mov_b32_e32 v45, 0
	ds_write_b64 v43, v[66:67] offset:24576
	s_and_saveexec_b64 s[6:7], s[0:1]
	s_cbranch_execz .LBB137_76
; %bb.75:
	v_mov_b32_e32 v45, 0
	v_lshl_add_u64 v[66:67], v[40:41], 0, v[44:45]
	global_load_ushort v43, v[66:67], off offset:32
	v_lshl_add_u64 v[66:67], v[38:39], 0, v[44:45]
	s_waitcnt vmcnt(0)
	v_lshlrev_b32_e32 v43, 16, v43
	v_sub_f32_e32 v34, v43, v34
	global_store_short_d16_hi v[66:67], v34, off offset:32
	v_mul_f32_e32 v34, v63, v34
	v_lshrrev_b32_e32 v45, 16, v34
.LBB137_76:
	s_or_b64 exec, exec, s[6:7]
	s_and_saveexec_b64 s[6:7], s[4:5]
	s_cbranch_execz .LBB137_78
; %bb.77:
	v_mov_b32_e32 v47, 0
	v_lshl_add_u64 v[66:67], v[40:41], 0, v[46:47]
	global_load_ushort v34, v[66:67], off offset:32
	v_lshl_add_u64 v[66:67], v[38:39], 0, v[46:47]
	s_waitcnt vmcnt(0)
	v_lshlrev_b32_e32 v34, 16, v34
	v_sub_f32_e32 v34, v34, v35
	global_store_short_d16_hi v[66:67], v34, off offset:32
	v_mul_f32_e32 v34, v62, v34
	v_lshrrev_b32_e32 v47, 16, v34
.LBB137_78:
	s_or_b64 exec, exec, s[6:7]
	v_mov_b32_e32 v43, 0
	v_mov_b32_e32 v49, 0
	s_and_saveexec_b64 s[6:7], s[2:3]
	s_cbranch_execz .LBB137_80
; %bb.79:
	v_mov_b32_e32 v49, 0
	v_lshl_add_u64 v[34:35], v[40:41], 0, v[48:49]
	global_load_ushort v57, v[34:35], off offset:32
	v_lshl_add_u64 v[34:35], v[38:39], 0, v[48:49]
	s_waitcnt vmcnt(0)
	v_lshlrev_b32_e32 v49, 16, v57
	v_sub_f32_e32 v36, v49, v36
	global_store_short_d16_hi v[34:35], v36, off offset:32
	v_mul_f32_e32 v34, v64, v36
	v_lshrrev_b32_e32 v49, 16, v34
.LBB137_80:
	s_or_b64 exec, exec, s[6:7]
	s_and_saveexec_b64 s[6:7], vcc
	s_cbranch_execz .LBB137_82
; %bb.81:
	v_mov_b32_e32 v43, 0
	v_lshl_add_u64 v[34:35], v[40:41], 0, v[42:43]
	global_load_ushort v36, v[34:35], off offset:32
	v_lshl_add_u64 v[34:35], v[38:39], 0, v[42:43]
	s_waitcnt vmcnt(0)
	v_lshlrev_b32_e32 v36, 16, v36
	v_sub_f32_e32 v36, v36, v37
	global_store_short_d16_hi v[34:35], v36, off offset:32
	v_mul_f32_e32 v34, v53, v36
	v_lshrrev_b32_e32 v43, 16, v34
.LBB137_82:
	s_or_b64 exec, exec, s[6:7]
	s_mov_b32 s6, 0x5040100
	v_accvgpr_read_b32 v37, a7
	v_perm_b32 v67, v43, v49, s6
	v_or_b32_e32 v43, v65, v55
	v_accvgpr_read_b32 v36, a6
	v_accvgpr_read_b32 v35, a5
	;; [unrolled: 1-line block ×3, first 2 shown]
	v_perm_b32 v66, v47, v45, s6
	v_lshlrev_b32_e32 v43, 1, v43
	v_mov_b32_e32 v47, 0
	v_mov_b32_e32 v45, 0
	ds_write_b64 v43, v[66:67] offset:24576
	s_and_saveexec_b64 s[6:7], s[0:1]
	s_cbranch_execz .LBB137_84
; %bb.83:
	v_mov_b32_e32 v45, 0
	v_lshl_add_u64 v[66:67], v[40:41], 0, v[44:45]
	global_load_ushort v43, v[66:67], off offset:64
	v_lshl_add_u64 v[66:67], v[38:39], 0, v[44:45]
	s_waitcnt vmcnt(0)
	v_lshlrev_b32_e32 v43, 16, v43
	v_sub_f32_e32 v34, v43, v34
	global_store_short_d16_hi v[66:67], v34, off offset:64
	v_mul_f32_e32 v34, v63, v34
	v_lshrrev_b32_e32 v45, 16, v34
.LBB137_84:
	s_or_b64 exec, exec, s[6:7]
	s_and_saveexec_b64 s[6:7], s[4:5]
	s_cbranch_execz .LBB137_86
; %bb.85:
	v_mov_b32_e32 v47, 0
	v_lshl_add_u64 v[66:67], v[40:41], 0, v[46:47]
	global_load_ushort v34, v[66:67], off offset:64
	v_lshl_add_u64 v[66:67], v[38:39], 0, v[46:47]
	s_waitcnt vmcnt(0)
	v_lshlrev_b32_e32 v34, 16, v34
	v_sub_f32_e32 v34, v34, v35
	global_store_short_d16_hi v[66:67], v34, off offset:64
	v_mul_f32_e32 v34, v62, v34
	v_lshrrev_b32_e32 v47, 16, v34
.LBB137_86:
	s_or_b64 exec, exec, s[6:7]
	v_mov_b32_e32 v43, 0
	v_mov_b32_e32 v49, 0
	s_and_saveexec_b64 s[6:7], s[2:3]
	s_cbranch_execz .LBB137_88
; %bb.87:
	v_mov_b32_e32 v49, 0
	v_lshl_add_u64 v[34:35], v[40:41], 0, v[48:49]
	global_load_ushort v55, v[34:35], off offset:64
	v_lshl_add_u64 v[34:35], v[38:39], 0, v[48:49]
	s_waitcnt vmcnt(0)
	v_lshlrev_b32_e32 v49, 16, v55
	v_sub_f32_e32 v36, v49, v36
	global_store_short_d16_hi v[34:35], v36, off offset:64
	v_mul_f32_e32 v34, v64, v36
	v_lshrrev_b32_e32 v49, 16, v34
.LBB137_88:
	s_or_b64 exec, exec, s[6:7]
	s_and_saveexec_b64 s[6:7], vcc
	s_cbranch_execz .LBB137_90
; %bb.89:
	v_mov_b32_e32 v43, 0
	v_lshl_add_u64 v[34:35], v[40:41], 0, v[42:43]
	global_load_ushort v36, v[34:35], off offset:64
	v_lshl_add_u64 v[34:35], v[38:39], 0, v[42:43]
	s_waitcnt vmcnt(0)
	v_lshlrev_b32_e32 v36, 16, v36
	v_sub_f32_e32 v36, v36, v37
	global_store_short_d16_hi v[34:35], v36, off offset:64
	v_mul_f32_e32 v34, v53, v36
	v_lshrrev_b32_e32 v43, 16, v34
.LBB137_90:
	s_or_b64 exec, exec, s[6:7]
	s_mov_b32 s6, 0x5040100
	v_accvgpr_read_b32 v37, a3
	v_perm_b32 v67, v43, v49, s6
	v_or_b32_e32 v43, v65, v54
	v_accvgpr_read_b32 v36, a2
	v_accvgpr_read_b32 v35, a1
	;; [unrolled: 1-line block ×3, first 2 shown]
	v_perm_b32 v66, v47, v45, s6
	v_lshlrev_b32_e32 v43, 1, v43
	v_mov_b32_e32 v47, 0
	v_mov_b32_e32 v45, 0
	ds_write_b64 v43, v[66:67] offset:24576
	s_and_saveexec_b64 s[6:7], s[0:1]
	s_cbranch_execz .LBB137_92
; %bb.91:
	v_mov_b32_e32 v45, 0
	v_lshl_add_u64 v[54:55], v[40:41], 0, v[44:45]
	global_load_ushort v43, v[54:55], off offset:96
	v_lshl_add_u64 v[44:45], v[38:39], 0, v[44:45]
	s_waitcnt vmcnt(0)
	v_lshlrev_b32_e32 v43, 16, v43
	v_sub_f32_e32 v34, v43, v34
	global_store_short_d16_hi v[44:45], v34, off offset:96
	v_mul_f32_e32 v34, v63, v34
	v_lshrrev_b32_e32 v45, 16, v34
.LBB137_92:
	s_or_b64 exec, exec, s[6:7]
	s_and_saveexec_b64 s[0:1], s[4:5]
	s_cbranch_execz .LBB137_94
; %bb.93:
	v_mov_b32_e32 v47, 0
	v_lshl_add_u64 v[54:55], v[40:41], 0, v[46:47]
	global_load_ushort v34, v[54:55], off offset:96
	v_lshl_add_u64 v[46:47], v[38:39], 0, v[46:47]
	s_waitcnt vmcnt(0)
	v_lshlrev_b32_e32 v34, 16, v34
	v_sub_f32_e32 v34, v34, v35
	global_store_short_d16_hi v[46:47], v34, off offset:96
	v_mul_f32_e32 v34, v62, v34
	v_lshrrev_b32_e32 v47, 16, v34
.LBB137_94:
	s_or_b64 exec, exec, s[0:1]
	v_mov_b32_e32 v43, 0
	v_mov_b32_e32 v46, 0
	s_and_saveexec_b64 s[0:1], s[2:3]
	s_cbranch_execz .LBB137_96
; %bb.95:
	v_mov_b32_e32 v49, 0
	v_lshl_add_u64 v[34:35], v[40:41], 0, v[48:49]
	global_load_ushort v44, v[34:35], off offset:96
	v_lshl_add_u64 v[34:35], v[38:39], 0, v[48:49]
	s_waitcnt vmcnt(0)
	v_lshlrev_b32_e32 v44, 16, v44
	v_sub_f32_e32 v36, v44, v36
	global_store_short_d16_hi v[34:35], v36, off offset:96
	v_mul_f32_e32 v34, v64, v36
	v_lshrrev_b32_e32 v46, 16, v34
.LBB137_96:
	s_or_b64 exec, exec, s[0:1]
	v_or_b32_e32 v34, 0x6000, v58
	v_or_b32_e32 v35, 0x6000, v59
	;; [unrolled: 1-line block ×4, first 2 shown]
	s_and_saveexec_b64 s[0:1], vcc
	s_cbranch_execz .LBB137_98
; %bb.97:
	v_mov_b32_e32 v43, 0
	v_lshl_add_u64 v[40:41], v[40:41], 0, v[42:43]
	global_load_ushort v40, v[40:41], off offset:96
	v_lshl_add_u64 v[38:39], v[38:39], 0, v[42:43]
	s_waitcnt vmcnt(0)
	v_lshlrev_b32_e32 v40, 16, v40
	v_sub_f32_e32 v37, v40, v37
	global_store_short_d16_hi v[38:39], v37, off offset:96
	v_mul_f32_e32 v37, v53, v37
	v_lshrrev_b32_e32 v43, 16, v37
.LBB137_98:
	s_or_b64 exec, exec, s[0:1]
	s_mov_b32 s0, 0x5040100
	v_or_b32_e32 v37, v65, v51
	v_perm_b32 v39, v43, v46, s0
	v_perm_b32 v38, v47, v45, s0
	v_lshlrev_b32_e32 v37, 1, v37
	ds_write_b64 v37, v[38:39] offset:24576
	v_and_b32_e32 v37, 7, v0
	v_and_b32_e32 v42, 8, v0
	v_lshlrev_b32_e32 v45, 3, v37
	v_lshlrev_b32_e32 v79, 7, v37
	v_lshrrev_b32_e32 v37, 1, v0
	v_and_b32_e32 v37, 24, v37
	v_mov_b32_e32 v43, 0x400
	v_cmp_eq_u32_e32 vcc, 0, v42
	s_movk_i32 s2, 0x100
	v_lshlrev_b32_e32 v53, 3, v1
	v_cndmask_b32_e64 v51, v43, 64, vcc
	v_mov_b32_e32 v42, 0xa000
	v_mov_b32_e32 v43, 0x8000
	v_cmp_gt_u32_e64 s[0:1], s2, v0
	v_xor_b32_e32 v57, v53, v37
	v_or_b32_e32 v46, 32, v37
	v_cndmask_b32_e64 v0, v42, v43, s[0:1]
	v_or_b32_e32 v42, 0x440, v57
	v_cndmask_b32_e32 v42, v42, v57, vcc
	v_or_b32_e32 v42, v42, v56
	v_xor_b32_e32 v90, v42, v45
	v_xor_b32_e32 v46, v53, v46
	v_add3_u32 v42, v0, v90, v79
	v_or_b32_e32 v47, 0x440, v46
	s_waitcnt lgkmcnt(0)
	s_barrier
	ds_read_b64 v[42:43], v42
	v_cndmask_b32_e32 v46, v47, v46, vcc
	v_or_b32_e32 v46, v46, v56
	v_xor_b32_e32 v91, v46, v45
	v_add3_u32 v46, v0, v91, v79
	ds_read_b64 v[54:55], v46
	ds_read2_b64 v[38:41], v34 offset1:16
	ds_read2_b64 v[46:49], v34 offset0:32 offset1:48
	v_or_b32_e32 v37, 0x60, v37
	s_add_i32 s0, s17, s51
	v_xor_b32_e32 v37, v53, v37
	s_waitcnt lgkmcnt(1)
	v_mfma_f32_16x16x16_bf16 a[0:3], v[42:43], v[38:39], 0
	s_mul_hi_i32 s1, s0, s25
	s_mul_i32 s0, s0, s25
	ds_read2st64_b64 v[58:61], v34 offset0:4 offset1:8
	v_mfma_f32_16x16x16_bf16 a[4:7], v[42:43], v[40:41], 0
	ds_read2st64_b64 v[62:65], v35 offset0:4 offset1:8
	s_add_u32 s0, s0, s33
	ds_read2st64_b64 v[66:69], v36 offset0:4 offset1:8
	s_waitcnt lgkmcnt(3)
	v_mfma_f32_16x16x16_bf16 a[8:11], v[42:43], v[46:47], 0
	ds_read2st64_b64 v[70:73], v44 offset0:4 offset1:8
	s_addc_u32 s1, s1, s50
	s_lshl_b64 s[0:1], s[0:1], 9
	v_mfma_f32_16x16x16_bf16 a[12:15], v[42:43], v[48:49], 0
	v_or3_b32 v42, v56, v51, v57
	v_xor_b32_e32 v51, 0x440, v37
	v_cndmask_b32_e32 v37, v51, v37, vcc
	v_xor_b32_e32 v42, v42, v45
	v_or_b32_e32 v37, v37, v56
	v_or_b32_e32 v92, v42, v79
	v_xor_b32_e32 v93, v37, v45
	v_or_b32_e32 v42, v0, v92
	v_add3_u32 v0, v0, v93, v79
	s_add_u32 s0, s8, s0
	ds_read_b64 v[42:43], v42
	ds_read_b64 v[56:57], v0
	s_addc_u32 s1, s9, s1
	v_lshlrev_b32_e32 v0, 2, v52
	s_waitcnt lgkmcnt(5)
	v_mfma_f32_16x16x16_bf16 a[0:3], v[54:55], v[58:59], a[0:3]
	s_waitcnt lgkmcnt(4)
	v_mfma_f32_16x16x16_bf16 a[4:7], v[54:55], v[62:63], a[4:7]
	;; [unrolled: 2-line block ×4, first 2 shown]
	global_load_dwordx4 v[52:55], v0, s[0:1]
	v_lshlrev_b32_e32 v0, 6, v1
	v_lshlrev_b32_e32 v1, 2, v50
	v_or3_b32 v0, v0, v1, s2
	global_load_dwordx4 v[74:77], v0, s[0:1]
	s_waitcnt lgkmcnt(1)
	v_mfma_f32_16x16x16_bf16 a[0:3], v[42:43], v[60:61], a[0:3]
	v_exp_f32_e32 v0, s16
	s_waitcnt vmcnt(1)
	v_exp_f32_e32 v37, v55
	v_mfma_f32_16x16x16_bf16 a[4:7], v[42:43], v[64:65], a[4:7]
	v_mfma_f32_16x16x16_bf16 a[8:11], v[42:43], v[68:69], a[8:11]
	;; [unrolled: 1-line block ×3, first 2 shown]
	ds_read_b64 v[42:43], v34 offset:6144
	ds_read_b64 v[50:51], v35 offset:6144
	;; [unrolled: 1-line block ×4, first 2 shown]
	v_exp_f32_e32 v34, v52
	v_exp_f32_e32 v35, v53
	v_exp_f32_e32 v36, v54
	s_waitcnt lgkmcnt(3)
	v_mfma_f32_16x16x16_bf16 a[0:3], v[56:57], v[42:43], a[0:3]
	v_pk_mul_f32 v[34:35], v[0:1], v[34:35] op_sel_hi:[0,1]
	v_add_u32_e32 v1, v90, v79
	ds_read_b64 v[52:53], v1 offset:40960
	s_waitcnt lgkmcnt(3)
	v_mfma_f32_16x16x16_bf16 a[4:7], v[56:57], v[50:51], a[4:7]
	v_pk_mul_f32 v[36:37], v[0:1], v[36:37] op_sel_hi:[0,1]
	v_add_u32_e32 v1, v91, v79
	v_pk_mul_f32 v[22:23], v[22:23], v[34:35]
	s_waitcnt lgkmcnt(2)
	v_mfma_f32_16x16x16_bf16 a[8:11], v[56:57], v[88:89], a[8:11]
	v_pk_mul_f32 v[24:25], v[24:25], v[36:37]
	v_pk_mul_f32 v[18:19], v[34:35], v[18:19]
	;; [unrolled: 1-line block ×3, first 2 shown]
	s_waitcnt lgkmcnt(1)
	v_mfma_f32_16x16x16_bf16 a[12:15], v[56:57], v[44:45], a[12:15]
	v_add_u32_e32 v56, v93, v79
	ds_read_b64 v[54:55], v1 offset:40960
	ds_read_b64 v[56:57], v56 offset:40960
	v_accvgpr_read_b32 v1, a0
	s_waitcnt lgkmcnt(2)
	v_mfma_f32_16x16x16_bf16 a[20:23], v[52:53], v[40:41], 0
	ds_read_b64 v[40:41], v92 offset:40960
	v_add_f32_e32 v22, v22, v1
	v_accvgpr_read_b32 v1, a1
	v_mfma_f32_16x16x16_bf16 a[16:19], v[52:53], v[38:39], 0
	v_add_f32_e32 v23, v23, v1
	v_accvgpr_read_b32 v1, a2
	v_add_f32_e32 v24, v24, v1
	v_accvgpr_read_b32 v1, a3
	s_waitcnt lgkmcnt(2)
	v_mfma_f32_16x16x16_bf16 a[0:3], v[54:55], v[58:59], a[16:19]
	v_add_f32_e32 v25, v25, v1
	v_accvgpr_read_b32 v1, a4
	v_accvgpr_read_b32 v39, a15
	;; [unrolled: 1-line block ×3, first 2 shown]
	v_mfma_f32_16x16x16_bf16 a[24:27], v[52:53], v[46:47], 0
	v_add_f32_e32 v18, v18, v1
	v_accvgpr_read_b32 v1, a5
	v_accvgpr_read_b32 v47, a13
	v_mfma_f32_16x16x16_bf16 a[14:17], v[54:55], v[62:63], a[20:23]
	v_add_f32_e32 v19, v19, v1
	v_accvgpr_read_b32 v1, a6
	v_accvgpr_read_b32 v46, a12
	s_waitcnt lgkmcnt(0)
	v_mfma_f32_16x16x16_bf16 a[0:3], v[40:41], v[60:61], a[0:3]
	v_pk_mul_f32 v[30:31], v[34:35], v[30:31]
	v_pk_mul_f32 v[32:33], v[36:37], v[32:33]
	v_add_f32_e32 v20, v20, v1
	v_accvgpr_read_b32 v1, a7
	v_pk_fma_f32 v[6:7], v[34:35], v[6:7], v[46:47]
	v_pk_fma_f32 v[8:9], v[36:37], v[8:9], v[38:39]
	s_waitcnt vmcnt(0)
	v_mov_b32_e32 v34, v75
	v_add_f32_e32 v21, v21, v1
	v_accvgpr_read_b32 v1, a8
	v_exp_f32_e32 v38, v74
	v_exp_f32_e32 v39, v34
	v_mfma_f32_16x16x16_bf16 a[28:31], v[52:53], v[48:49], 0
	v_add_f32_e32 v30, v30, v1
	v_accvgpr_read_b32 v1, a9
	v_mov_b32_e32 v35, v76
	v_mfma_f32_16x16x16_bf16 a[18:21], v[54:55], v[66:67], a[24:27]
	v_mov_b32_e32 v36, v77
	v_add_f32_e32 v31, v31, v1
	v_accvgpr_read_b32 v1, a10
	v_mfma_f32_16x16x16_bf16 a[14:17], v[40:41], v[64:65], a[14:17]
	v_exp_f32_e32 v34, v35
	v_exp_f32_e32 v35, v36
	v_add_f32_e32 v32, v32, v1
	v_mfma_f32_16x16x16_bf16 a[0:3], v[56:57], v[42:43], a[0:3]
	v_accvgpr_read_b32 v1, a11
	v_pk_mul_f32 v[36:37], v[0:1], v[38:39] op_sel_hi:[0,1]
	v_pk_mul_f32 v[10:11], v[10:11], v[36:37]
	v_mfma_f32_16x16x16_bf16 a[4:7], v[54:55], v[70:71], a[28:31]
	v_add_f32_e32 v33, v33, v1
	v_pk_mul_f32 v[0:1], v[0:1], v[34:35] op_sel_hi:[0,1]
	v_pk_mul_f32 v[12:13], v[12:13], v[0:1]
	v_mfma_f32_16x16x16_bf16 a[8:11], v[40:41], v[68:69], a[18:21]
	v_accvgpr_read_b32 v38, a0
	v_add_f32_e32 v10, v10, v38
	v_accvgpr_read_b32 v38, a1
	v_mfma_f32_16x16x16_bf16 a[12:15], v[56:57], v[50:51], a[14:17]
	v_add_f32_e32 v11, v11, v38
	v_accvgpr_read_b32 v38, a2
	v_add_f32_e32 v12, v12, v38
	v_accvgpr_read_b32 v38, a3
	v_mfma_f32_16x16x16_bf16 a[4:7], v[40:41], v[72:73], a[4:7]
	v_pk_mul_f32 v[14:15], v[36:37], v[14:15]
	v_add_f32_e32 v13, v13, v38
	v_accvgpr_read_b32 v38, a12
	v_mfma_f32_16x16x16_bf16 a[8:11], v[56:57], v[88:89], a[8:11]
	v_add_f32_e32 v14, v14, v38
	v_accvgpr_read_b32 v38, a13
	v_pk_mul_f32 v[16:17], v[0:1], v[16:17]
	v_add_f32_e32 v15, v15, v38
	v_accvgpr_read_b32 v38, a14
	v_add_f32_e32 v16, v16, v38
	v_accvgpr_read_b32 v38, a15
	v_pk_mul_f32 v[26:27], v[36:37], v[26:27]
	v_mfma_f32_16x16x16_bf16 a[4:7], v[56:57], v[44:45], a[4:7]
	v_add_f32_e32 v17, v17, v38
	v_accvgpr_read_b32 v38, a8
	v_add_f32_e32 v26, v26, v38
	v_accvgpr_read_b32 v38, a9
	v_pk_mul_f32 v[28:29], v[0:1], v[28:29]
	v_add_f32_e32 v27, v27, v38
	v_accvgpr_read_b32 v38, a10
	v_add_f32_e32 v28, v28, v38
	v_accvgpr_read_b32 v38, a11
	;; [unrolled: 2-line block ×3, first 2 shown]
	v_accvgpr_read_b32 v35, a7
	v_accvgpr_read_b32 v34, a6
	;; [unrolled: 1-line block ×3, first 2 shown]
	v_pk_fma_f32 v[2:3], v[36:37], v[2:3], v[38:39]
	v_pk_fma_f32 v[4:5], v[0:1], v[4:5], v[34:35]
.LBB137_99:
	s_add_u32 s0, s10, s34
	s_addc_u32 s1, s11, s35
	v_lshl_add_u64 v[0:1], v[80:81], 2, s[0:1]
	v_mov_b32_e32 v79, 0
	v_lshl_add_u64 v[0:1], v[0:1], 0, v[78:79]
	s_waitcnt vmcnt(7)
	global_store_dwordx4 v[0:1], v[22:25], off
	s_waitcnt vmcnt(7)
	global_store_dwordx4 v[0:1], v[10:13], off offset:256
	v_lshl_add_u64 v[0:1], v[82:83], 2, s[0:1]
	v_lshl_add_u64 v[0:1], v[0:1], 0, v[78:79]
	s_waitcnt vmcnt(7)
	global_store_dwordx4 v[0:1], v[18:21], off
	s_waitcnt vmcnt(7)
	global_store_dwordx4 v[0:1], v[14:17], off offset:256
	v_lshl_add_u64 v[0:1], v[86:87], 2, s[0:1]
	;; [unrolled: 6-line block ×3, first 2 shown]
	v_lshl_add_u64 v[0:1], v[0:1], 0, v[78:79]
	s_waitcnt vmcnt(7)
	global_store_dwordx4 v[0:1], v[6:9], off
	s_waitcnt vmcnt(7)
	global_store_dwordx4 v[0:1], v[2:5], off offset:256
	s_endpgm
	.section	.rodata,"a",@progbits
	.p2align	6, 0x0
	.amdhsa_kernel _ZN12_GLOBAL__N_139chunk_gated_delta_rule_fwd_h_hip_kernelILi64ELb1ELb1ELb1ELb0ELb1ELb1ELb1ELb0EEEvPK12hip_bfloat16S3_S3_PKfS5_PKvPS1_S8_PvPKiSB_iiiiilll
		.amdhsa_group_segment_fixed_size 65536
		.amdhsa_private_segment_fixed_size 0
		.amdhsa_kernarg_size 136
		.amdhsa_user_sgpr_count 2
		.amdhsa_user_sgpr_dispatch_ptr 0
		.amdhsa_user_sgpr_queue_ptr 0
		.amdhsa_user_sgpr_kernarg_segment_ptr 1
		.amdhsa_user_sgpr_dispatch_id 0
		.amdhsa_user_sgpr_kernarg_preload_length 0
		.amdhsa_user_sgpr_kernarg_preload_offset 0
		.amdhsa_user_sgpr_private_segment_size 0
		.amdhsa_uses_dynamic_stack 0
		.amdhsa_enable_private_segment 0
		.amdhsa_system_sgpr_workgroup_id_x 1
		.amdhsa_system_sgpr_workgroup_id_y 1
		.amdhsa_system_sgpr_workgroup_id_z 0
		.amdhsa_system_sgpr_workgroup_info 0
		.amdhsa_system_vgpr_workitem_id 0
		.amdhsa_next_free_vgpr 240
		.amdhsa_next_free_sgpr 75
		.amdhsa_accum_offset 200
		.amdhsa_reserve_vcc 1
		.amdhsa_float_round_mode_32 0
		.amdhsa_float_round_mode_16_64 0
		.amdhsa_float_denorm_mode_32 3
		.amdhsa_float_denorm_mode_16_64 3
		.amdhsa_dx10_clamp 1
		.amdhsa_ieee_mode 1
		.amdhsa_fp16_overflow 0
		.amdhsa_tg_split 0
		.amdhsa_exception_fp_ieee_invalid_op 0
		.amdhsa_exception_fp_denorm_src 0
		.amdhsa_exception_fp_ieee_div_zero 0
		.amdhsa_exception_fp_ieee_overflow 0
		.amdhsa_exception_fp_ieee_underflow 0
		.amdhsa_exception_fp_ieee_inexact 0
		.amdhsa_exception_int_div_zero 0
	.end_amdhsa_kernel
	.section	.text._ZN12_GLOBAL__N_139chunk_gated_delta_rule_fwd_h_hip_kernelILi64ELb1ELb1ELb1ELb0ELb1ELb1ELb1ELb0EEEvPK12hip_bfloat16S3_S3_PKfS5_PKvPS1_S8_PvPKiSB_iiiiilll,"axG",@progbits,_ZN12_GLOBAL__N_139chunk_gated_delta_rule_fwd_h_hip_kernelILi64ELb1ELb1ELb1ELb0ELb1ELb1ELb1ELb0EEEvPK12hip_bfloat16S3_S3_PKfS5_PKvPS1_S8_PvPKiSB_iiiiilll,comdat
.Lfunc_end137:
	.size	_ZN12_GLOBAL__N_139chunk_gated_delta_rule_fwd_h_hip_kernelILi64ELb1ELb1ELb1ELb0ELb1ELb1ELb1ELb0EEEvPK12hip_bfloat16S3_S3_PKfS5_PKvPS1_S8_PvPKiSB_iiiiilll, .Lfunc_end137-_ZN12_GLOBAL__N_139chunk_gated_delta_rule_fwd_h_hip_kernelILi64ELb1ELb1ELb1ELb0ELb1ELb1ELb1ELb0EEEvPK12hip_bfloat16S3_S3_PKfS5_PKvPS1_S8_PvPKiSB_iiiiilll
                                        ; -- End function
	.section	.AMDGPU.csdata,"",@progbits
; Kernel info:
; codeLenInByte = 12904
; NumSgprs: 81
; NumVgprs: 200
; NumAgprs: 40
; TotalNumVgprs: 240
; ScratchSize: 0
; MemoryBound: 0
; FloatMode: 240
; IeeeMode: 1
; LDSByteSize: 65536 bytes/workgroup (compile time only)
; SGPRBlocks: 10
; VGPRBlocks: 29
; NumSGPRsForWavesPerEU: 81
; NumVGPRsForWavesPerEU: 240
; AccumOffset: 200
; Occupancy: 1
; WaveLimiterHint : 1
; COMPUTE_PGM_RSRC2:SCRATCH_EN: 0
; COMPUTE_PGM_RSRC2:USER_SGPR: 2
; COMPUTE_PGM_RSRC2:TRAP_HANDLER: 0
; COMPUTE_PGM_RSRC2:TGID_X_EN: 1
; COMPUTE_PGM_RSRC2:TGID_Y_EN: 1
; COMPUTE_PGM_RSRC2:TGID_Z_EN: 0
; COMPUTE_PGM_RSRC2:TIDIG_COMP_CNT: 0
; COMPUTE_PGM_RSRC3_GFX90A:ACCUM_OFFSET: 49
; COMPUTE_PGM_RSRC3_GFX90A:TG_SPLIT: 0
	.section	.text._ZN12_GLOBAL__N_139chunk_gated_delta_rule_fwd_h_hip_kernelILi64ELb1ELb1ELb0ELb0ELb1ELb1ELb1ELb0EEEvPK12hip_bfloat16S3_S3_PKfS5_PKvPS1_S8_PvPKiSB_iiiiilll,"axG",@progbits,_ZN12_GLOBAL__N_139chunk_gated_delta_rule_fwd_h_hip_kernelILi64ELb1ELb1ELb0ELb0ELb1ELb1ELb1ELb0EEEvPK12hip_bfloat16S3_S3_PKfS5_PKvPS1_S8_PvPKiSB_iiiiilll,comdat
	.globl	_ZN12_GLOBAL__N_139chunk_gated_delta_rule_fwd_h_hip_kernelILi64ELb1ELb1ELb0ELb0ELb1ELb1ELb1ELb0EEEvPK12hip_bfloat16S3_S3_PKfS5_PKvPS1_S8_PvPKiSB_iiiiilll ; -- Begin function _ZN12_GLOBAL__N_139chunk_gated_delta_rule_fwd_h_hip_kernelILi64ELb1ELb1ELb0ELb0ELb1ELb1ELb1ELb0EEEvPK12hip_bfloat16S3_S3_PKfS5_PKvPS1_S8_PvPKiSB_iiiiilll
	.p2align	8
	.type	_ZN12_GLOBAL__N_139chunk_gated_delta_rule_fwd_h_hip_kernelILi64ELb1ELb1ELb0ELb0ELb1ELb1ELb1ELb0EEEvPK12hip_bfloat16S3_S3_PKfS5_PKvPS1_S8_PvPKiSB_iiiiilll,@function
_ZN12_GLOBAL__N_139chunk_gated_delta_rule_fwd_h_hip_kernelILi64ELb1ELb1ELb0ELb0ELb1ELb1ELb1ELb0EEEvPK12hip_bfloat16S3_S3_PKfS5_PKvPS1_S8_PvPKiSB_iiiiilll: ; @_ZN12_GLOBAL__N_139chunk_gated_delta_rule_fwd_h_hip_kernelILi64ELb1ELb1ELb0ELb0ELb1ELb1ELb1ELb0EEEvPK12hip_bfloat16S3_S3_PKfS5_PKvPS1_S8_PvPKiSB_iiiiilll
; %bb.0:
	s_load_dwordx4 s[12:15], s[0:1], 0x5c
	s_abs_i32 s6, s3
	s_ashr_i32 s5, s3, 31
	s_load_dwordx4 s[16:19], s[0:1], 0x20
	s_load_dwordx2 s[38:39], s[0:1], 0x30
	v_and_b32_e32 v97, 15, v0
	s_waitcnt lgkmcnt(0)
	s_abs_i32 s4, s13
	v_cvt_f32_u32_e32 v1, s4
	s_sub_i32 s8, 0, s4
	s_ashr_i32 s7, s13, 31
	s_xor_b32 s5, s5, s7
	v_rcp_iflag_f32_e32 v1, v1
	v_bfe_u32 v96, v0, 4, 2
	v_mov_b32_e32 v79, 0
	v_lshlrev_b32_e32 v98, 3, v0
	v_mul_f32_e32 v1, 0x4f7ffffe, v1
	v_cvt_u32_f32_e32 v1, v1
	s_nop 0
	v_readfirstlane_b32 s9, v1
	s_mul_i32 s8, s8, s9
	s_mul_hi_u32 s8, s9, s8
	s_add_i32 s9, s9, s8
	s_mul_hi_u32 s8, s6, s9
	s_mul_i32 s9, s8, s4
	s_sub_i32 s6, s6, s9
	s_add_i32 s10, s8, 1
	s_sub_i32 s9, s6, s4
	s_cmp_ge_u32 s6, s4
	s_cselect_b32 s8, s10, s8
	s_cselect_b32 s6, s9, s6
	s_add_i32 s9, s8, 1
	s_cmp_ge_u32 s6, s4
	s_cselect_b32 s6, s9, s8
	s_xor_b32 s6, s6, s5
	s_sub_i32 s56, s6, s5
	s_mul_i32 s6, s56, s13
	s_sub_i32 s33, s3, s6
	s_abs_i32 s3, s14
	v_cvt_f32_u32_e32 v1, s3
	s_add_i32 s8, s12, 63
	s_ashr_i32 s9, s8, 31
	s_lshr_b32 s5, s9, 26
	v_rcp_iflag_f32_e32 v1, v1
	s_ashr_i32 s55, s12, 31
	s_add_i32 s8, s8, s5
	s_lshr_b32 s5, s55, 26
	v_mul_f32_e32 v1, 0x4f7ffffe, v1
	v_cvt_u32_f32_e32 v1, v1
	s_add_i32 s5, s12, s5
	s_ashr_i32 s58, s14, 31
	s_ashr_i32 s24, s8, 6
	;; [unrolled: 1-line block ×3, first 2 shown]
	s_xor_b32 s5, s7, s58
	s_sub_i32 s7, 0, s3
	v_readfirstlane_b32 s8, v1
	s_mul_i32 s7, s7, s8
	s_mul_hi_u32 s7, s8, s7
	s_add_i32 s8, s8, s7
	s_mul_hi_u32 s7, s4, s8
	s_mul_i32 s8, s7, s3
	s_sub_i32 s4, s4, s8
	s_lshl_b32 s2, s2, 6
	s_add_i32 s8, s7, 1
	s_sub_i32 s9, s4, s3
	s_cmp_ge_u32 s4, s3
	s_cselect_b32 s7, s8, s7
	s_cselect_b32 s4, s9, s4
	s_add_i32 s8, s7, 1
	s_cmp_ge_u32 s4, s3
	s_cselect_b32 s3, s8, s7
	s_xor_b32 s3, s3, s5
	s_sub_i32 s3, s3, s5
	s_abs_i32 s4, s3
	v_cvt_f32_u32_e32 v1, s4
	s_sub_i32 s7, 0, s4
	s_abs_i32 s5, s33
	s_xor_b32 s3, s33, s3
	v_rcp_iflag_f32_e32 v2, v1
	s_ashr_i32 s3, s3, 31
	v_lshrrev_b32_e32 v1, 6, v0
	v_or_b32_e32 v88, s2, v97
	v_mul_f32_e32 v2, 0x4f7ffffe, v2
	v_cvt_u32_f32_e32 v2, v2
	v_lshlrev_b32_e32 v77, 4, v1
	v_lshlrev_b32_e32 v80, 7, v88
	v_lshl_or_b32 v100, v96, 2, v77
	v_readfirstlane_b32 s8, v2
	s_mul_i32 s7, s7, s8
	s_mul_hi_u32 s7, s8, s7
	s_add_i32 s8, s8, s7
	s_mul_hi_u32 s7, s5, s8
	s_mul_i32 s8, s7, s4
	s_sub_i32 s5, s5, s8
	s_add_i32 s8, s7, 1
	s_sub_i32 s9, s5, s4
	s_cmp_ge_u32 s5, s4
	s_cselect_b32 s7, s8, s7
	s_cselect_b32 s5, s9, s5
	s_add_i32 s8, s7, 1
	s_cmp_ge_u32 s5, s4
	s_cselect_b32 s4, s8, s7
	s_xor_b32 s4, s4, s3
	s_sub_i32 s59, s4, s3
	s_ashr_i32 s3, s56, 31
	s_ashr_i32 s48, s33, 31
	s_mul_hi_i32 s4, s56, s13
	s_add_u32 s40, s6, s33
	s_addc_u32 s41, s4, s48
	s_lshl_b64 s[28:29], s[40:41], 16
	s_add_u32 s4, s18, s28
	s_addc_u32 s5, s19, s29
	v_ashrrev_i32_e32 v81, 31, v80
	v_lshl_add_u64 v[2:3], v[80:81], 2, s[4:5]
	v_lshlrev_b32_e32 v78, 2, v100
	v_or_b32_e32 v82, 0x800, v80
	v_lshl_add_u64 v[2:3], v[2:3], 0, v[78:79]
	v_ashrrev_i32_e32 v83, 31, v82
	global_load_dwordx4 v[22:25], v[2:3], off
	global_load_dwordx4 v[10:13], v[2:3], off offset:256
	v_lshl_add_u64 v[2:3], v[82:83], 2, s[4:5]
	v_or_b32_e32 v86, 0x1000, v80
	v_lshl_add_u64 v[2:3], v[2:3], 0, v[78:79]
	v_ashrrev_i32_e32 v87, 31, v86
	global_load_dwordx4 v[18:21], v[2:3], off
	global_load_dwordx4 v[14:17], v[2:3], off offset:256
	v_lshl_add_u64 v[2:3], v[86:87], 2, s[4:5]
	;; [unrolled: 6-line block ×3, first 2 shown]
	v_lshl_add_u64 v[34:35], v[2:3], 0, v[78:79]
	global_load_dwordx4 v[6:9], v[34:35], off
	global_load_dwordx4 v[2:5], v[34:35], off offset:256
	s_load_dwordx2 s[18:19], s[0:1], 0x40
	s_load_dwordx8 s[4:11], s[0:1], 0x0
	s_load_dwordx2 s[30:31], s[0:1], 0x80
	s_load_dwordx4 s[20:23], s[0:1], 0x70
	v_and_b32_e32 v79, 63, v0
	s_mul_i32 s49, s56, s12
	s_mul_i32 s60, s56, s24
	v_or_b32_e32 v101, 64, v100
	s_cmp_lt_i32 s12, 64
	v_lshrrev_b32_e32 v99, 3, v79
	s_mul_i32 s61, s41, s12
	s_mul_hi_u32 s62, s40, s12
	s_mul_i32 s42, s40, s12
	s_waitcnt lgkmcnt(0)
	s_mul_i32 s41, s56, s21
	s_mul_hi_u32 s51, s56, s20
	s_mul_i32 s50, s3, s20
	s_mul_i32 s36, s56, s20
	;; [unrolled: 1-line block ×3, first 2 shown]
	s_mul_hi_u32 s53, s33, s22
	s_mul_i32 s54, s48, s22
	s_mul_i32 s34, s33, s22
	s_cbranch_scc1 .LBB138_18
; %bb.1:
	s_add_i32 s43, s62, s61
	s_lshl_b64 s[0:1], s[42:43], 8
	v_and_b32_e32 v103, 56, v98
	s_add_u32 s20, s6, s0
	v_lshl_or_b32 v102, v1, 3, v99
	v_lshlrev_b32_e32 v34, 1, v103
	s_addc_u32 s0, s7, s1
	v_lshl_or_b32 v104, v102, 8, v34
	s_and_b32 s21, s0, 0xffff
	s_mov_b32 s23, 0x20000
	s_movk_i32 s22, 0x4000
	s_movk_i32 s0, 0x80
	v_or_b32_e32 v105, 0x2000, v104
	buffer_load_dwordx4 v[36:39], v104, s[20:23], 0 offen
	buffer_load_dwordx4 v[40:43], v104, s[20:23], s0 offen
	;; [unrolled: 1-line block ×4, first 2 shown]
	v_lshlrev_b32_e32 v35, 3, v102
	v_and_or_b32 v53, v0, 7, v35
	v_and_b32_e32 v35, 0x78, v35
	v_lshlrev_b32_e32 v53, 4, v53
	v_xor_b32_e32 v106, v53, v35
	v_mul_lo_u32 v52, v102, s15
	v_or_b32_e32 v107, 0x1000, v106
	v_xor_b32_e32 v35, 8, v106
	s_cmpk_eq_i32 s15, 0x80
	s_mov_b32 s63, s14
	v_xor_b32_e32 v53, 8, v107
	s_cselect_b64 s[0:1], -1, 0
	s_cmpk_lg_i32 s15, 0x80
	s_waitcnt vmcnt(3)
	ds_write_b64 v106, v[36:37] offset:49152
	ds_write_b64 v35, v[38:39] offset:49152
	s_waitcnt vmcnt(2)
	ds_write_b64 v106, v[40:41] offset:57344
	ds_write_b64 v35, v[42:43] offset:57344
	s_waitcnt vmcnt(1)
	ds_write_b64 v106, v[44:45] offset:53248
	ds_write_b64 v53, v[46:47] offset:49152
	s_waitcnt vmcnt(0)
	ds_write_b64 v106, v[48:49] offset:61440
	ds_write_b64 v53, v[50:51] offset:57344
	v_lshl_add_u32 v35, v52, 1, v103
	s_cbranch_scc0 .LBB138_3
; %bb.2:
	v_lshlrev_b32_e32 v37, 1, v35
	v_add_lshl_u32 v36, v35, s15, 1
	s_lshl_b32 s22, s15, 7
	v_lshl_or_b32 v34, v102, 9, v34
	s_cbranch_execz .LBB138_4
	s_branch .LBB138_5
.LBB138_3:
                                        ; implicit-def: $vgpr36
                                        ; implicit-def: $vgpr37
                                        ; implicit-def: $sgpr22
	v_lshl_or_b32 v34, v102, 9, v34
.LBB138_4:
	v_or_b32_e32 v36, 0x100, v34
	s_movk_i32 s22, 0x4000
	v_mov_b32_e32 v37, v34
.LBB138_5:
	s_mul_hi_u32 s20, s14, s12
	s_mul_i32 s21, s58, s12
	s_add_i32 s20, s20, s21
	s_mul_i32 s21, s14, s12
	s_mul_i32 s23, s21, s3
	s_mul_hi_u32 s24, s21, s56
	s_add_i32 s23, s24, s23
	s_mul_i32 s20, s20, s56
	s_add_i32 s23, s23, s20
	s_mul_i32 s21, s21, s56
	s_ashr_i32 s64, s59, 31
	s_add_u32 s20, s21, s59
	s_addc_u32 s21, s23, s64
	s_lshl_b64 s[20:21], s[20:21], 8
	s_add_u32 s20, s4, s20
	s_addc_u32 s21, s5, s21
	s_and_b32 s21, s21, 0xffff
	s_mov_b32 s23, 0x20000
	s_movk_i32 s65, 0x80
	buffer_load_dwordx4 v[38:41], v37, s[20:23], 0 offen
	buffer_load_dwordx4 v[42:45], v37, s[20:23], s65 offen
	buffer_load_dwordx4 v[46:49], v36, s[20:23], 0 offen
	buffer_load_dwordx4 v[50:53], v36, s[20:23], s65 offen
	v_and_b32_e32 v37, 6, v0
	v_lshlrev_b32_e32 v36, 7, v100
	v_xor_b32_e32 v58, v102, v37
	v_and_b32_e32 v54, 1, v0
	v_lshl_or_b32 v61, v97, 3, v36
	v_lshlrev_b32_e32 v58, 2, v58
	v_or_b32_e32 v108, 0x4000, v61
	v_or_b32_e32 v109, 0x6000, v61
	v_xor_b32_e32 v61, 0x440, v58
	v_cmp_eq_u32_e32 vcc, 0, v54
	v_lshlrev_b32_e32 v55, 2, v97
	v_or_b32_e32 v57, 16, v97
	v_cndmask_b32_e32 v54, v61, v58, vcc
	s_mov_b32 s67, 0x1000504
	v_xor_b32_e32 v59, v100, v55
	v_xor_b32_e32 v60, v101, v55
	v_lshl_or_b32 v62, v57, 3, v36
	v_lshl_or_b32 v37, v37, 10, v54
	s_mov_b32 s68, 0x3020706
	v_lshlrev_b32_e32 v56, 8, v97
	v_lshlrev_b32_e32 v59, 1, v59
	;; [unrolled: 1-line block ×3, first 2 shown]
	v_or_b32_e32 v110, 0x4000, v62
	v_or_b32_e32 v111, 0x6000, v62
	v_xor_b32_e32 v54, 8, v37
	v_xor_b32_e32 v58, 24, v37
	;; [unrolled: 1-line block ×4, first 2 shown]
	s_mul_i32 s3, s3, s12
	s_mul_hi_u32 s20, s56, s12
	v_or_b32_e32 v112, v56, v59
	v_or_b32_e32 v113, v56, v60
	v_xor_b32_e32 v56, 16, v37
	v_xor_b32_e32 v61, 32, v37
	;; [unrolled: 1-line block ×3, first 2 shown]
	v_add_u32_e32 v54, 0x80, v54
	v_add_u32_e32 v58, 0x80, v58
	;; [unrolled: 1-line block ×4, first 2 shown]
	s_add_i32 s69, s20, s3
	s_add_i32 s3, s51, s41
	;; [unrolled: 1-line block ×5, first 2 shown]
	s_lshl_b64 s[20:21], s[36:37], 2
	s_add_u32 s3, s10, s20
	s_addc_u32 s24, s11, s21
	s_lshl_b64 s[20:21], s[34:35], 2
	s_add_u32 s44, s3, s20
	s_movk_i32 s3, 0xf8
	s_addc_u32 s45, s24, s21
	s_lshl_b32 s26, s15, 7
	s_movk_i32 s24, 0x100
	v_mov_b32_e32 v91, 0
	v_lshlrev_b32_e32 v90, 4, v97
	v_ashrrev_i32_e32 v89, 31, v88
	s_mov_b32 s66, 0
	s_movk_i32 s22, 0x4000
	v_lshl_add_u64 v[92:93], v[88:89], 1, s[8:9]
	s_mov_b32 s35, 0x7060302
	s_movk_i32 s37, 0x2000
	s_movk_i32 s70, 0x3000
	s_mov_b32 s72, 0
	s_waitcnt vmcnt(1)
	v_perm_b32 v65, v38, v46, s67
	s_waitcnt vmcnt(0)
	v_perm_b32 v66, v42, v50, s67
	v_perm_b32 v38, v38, v46, s68
	;; [unrolled: 1-line block ×15, first 2 shown]
	ds_write2st64_b32 v37, v65, v66 offset0:128 offset1:160
	ds_write2st64_b32 v54, v38, v42 offset0:128 offset1:160
	;; [unrolled: 1-line block ×8, first 2 shown]
	v_lshlrev_b32_e32 v37, 8, v57
	v_or_b32_e32 v114, v37, v59
	v_or_b32_e32 v115, v37, v60
	;; [unrolled: 1-line block ×3, first 2 shown]
	v_lshl_or_b32 v38, v37, 3, v36
	v_lshlrev_b32_e32 v37, 8, v37
	v_or_b32_e32 v118, v37, v59
	v_or_b32_e32 v119, v37, v60
	;; [unrolled: 1-line block ×5, first 2 shown]
	v_lshl_or_b32 v38, v37, 3, v36
	v_lshlrev_b32_e32 v37, 8, v37
	v_or_b32_e32 v122, v37, v59
	v_or_b32_e32 v123, v37, v60
	;; [unrolled: 1-line block ×3, first 2 shown]
	v_lshlrev_b32_e32 v37, 3, v37
	v_lshrrev_b32_e32 v39, 5, v79
	v_and_or_b32 v39, v37, s3, v39
	v_lshlrev_b32_e32 v39, 4, v39
	v_or_b32_e32 v120, 0x4000, v38
	v_or_b32_e32 v121, 0x6000, v38
	v_lshrrev_b32_e32 v38, 2, v79
	v_lshlrev_b32_e32 v41, 11, v1
	v_and_b32_e32 v37, 0x78, v37
	v_or_b32_e32 v45, 32, v39
	v_and_b32_e32 v40, 12, v38
	v_and_b32_e32 v38, 0x1000, v41
	v_lshrrev_b32_e32 v43, 1, v79
	v_xor_b32_e32 v45, v45, v37
	v_xor_b32_e32 v42, v39, v37
	v_and_b32_e32 v43, 8, v43
	v_or_b32_e32 v45, v45, v38
	v_or_b32_e32 v42, v42, v38
	v_xor_b32_e32 v126, v45, v43
	v_or_b32_e32 v45, 64, v39
	v_or_b32_e32 v39, 0x60, v39
	v_xor_b32_e32 v124, v42, v43
	v_lshlrev_b32_e32 v42, 8, v96
	v_xor_b32_e32 v45, v45, v37
	v_xor_b32_e32 v37, v39, v37
	s_ashr_i32 s3, s2, 31
	v_or_b32_e32 v44, v42, v55
	v_or_b32_e32 v45, v45, v38
	;; [unrolled: 1-line block ×3, first 2 shown]
	s_lshl_b64 s[20:21], s[2:3], 8
	v_lshlrev_b32_e32 v47, 2, v0
	v_lshlrev_b32_e32 v44, 1, v44
	v_xor_b32_e32 v130, v45, v43
	v_xor_b32_e32 v131, v37, v43
	v_lshlrev_b32_e32 v37, 1, v35
	v_add_lshl_u32 v35, v35, s15, 1
	v_or_b32_e32 v43, 0x100, v34
	s_add_u32 s20, s38, s20
	v_lshlrev_b32_e32 v38, 1, v97
	v_lshrrev_b32_e32 v48, 1, v0
	v_and_or_b32 v42, v47, 60, v42
	v_or_b32_e32 v125, 0x4000, v44
	v_or_b32_e32 v127, 0x4080, v44
	;; [unrolled: 1-line block ×8, first 2 shown]
	v_lshrrev_b32_e32 v44, 4, v0
	s_addc_u32 s21, s39, s21
	v_or_b32_e32 v39, 1, v38
	v_and_b32_e32 v48, 24, v48
	v_lshlrev_b32_e32 v42, 1, v42
	v_cndmask_b32_e64 v142, v37, v34, s[0:1]
	v_cndmask_b32_e64 v143, v35, v43, s[0:1]
	v_mov_b32_e32 v35, 0xa000
	v_mov_b32_e32 v37, 0x8000
	v_cmp_gt_u32_e64 s[0:1], s24, v0
	v_xor_b32_e32 v45, v44, v38
	v_xor_b32_e32 v46, v39, v44
	v_lshl_add_u64 v[38:39], s[20:21], 0, v[90:91]
	v_lshlrev_b32_e32 v90, 8, v44
	v_or_b32_e32 v138, 0x6000, v42
	v_or_b32_e32 v47, 32, v48
	;; [unrolled: 1-line block ×6, first 2 shown]
	v_cndmask_b32_e64 v35, v35, v37, s[0:1]
	v_lshlrev_b32_e32 v37, 3, v1
	v_lshl_or_b32 v136, v45, 3, v90
	v_and_b32_e32 v45, 8, v0
	v_xor_b32_e32 v43, v37, v48
	v_xor_b32_e32 v47, v37, v47
	;; [unrolled: 1-line block ×3, first 2 shown]
	v_mov_b32_e32 v49, 0x400
	v_cmp_eq_u32_e32 vcc, 0, v45
	v_or_b32_e32 v48, 0x440, v43
	v_or_b32_e32 v50, 0x440, v47
	v_xor_b32_e32 v42, 0x440, v37
	v_and_b32_e32 v44, 7, v0
	v_cndmask_b32_e64 v45, v49, 64, vcc
	v_cndmask_b32_e32 v48, v48, v43, vcc
	v_cndmask_b32_e32 v47, v50, v47, vcc
	v_cndmask_b32_e32 v37, v42, v37, vcc
	v_lshl_or_b32 v137, v46, 3, v90
	v_lshlrev_b32_e32 v46, 3, v44
	v_or_b32_e32 v48, v48, v41
	v_or_b32_e32 v47, v47, v41
	v_or3_b32 v43, v41, v45, v43
	v_or_b32_e32 v37, v37, v41
	v_lshlrev_b32_e32 v44, 7, v44
	v_xor_b32_e32 v48, v48, v46
	v_xor_b32_e32 v47, v47, v46
	;; [unrolled: 1-line block ×4, first 2 shown]
	v_or_b32_e32 v34, v77, v40
	v_add_u32_e32 v49, v35, v48
	v_add_u32_e32 v50, v35, v47
	v_or_b32_e32 v144, v43, v44
	v_add_u32_e32 v41, v35, v37
	v_or3_b32 v40, v77, v40, 64
	v_add_u32_e32 v42, 0xa000, v48
	v_add_u32_e32 v43, 0xa000, v47
	;; [unrolled: 1-line block ×3, first 2 shown]
	v_lshl_add_u64 v[94:95], v[38:39], 0, v[90:91]
	s_add_i32 s3, s49, 63
	v_lshlrev_b32_e32 v90, 1, v36
	v_lshlrev_b32_e32 v89, 2, v34
	v_add_u32_e32 v145, v49, v44
	v_add_u32_e32 v146, v50, v44
	;; [unrolled: 1-line block ×4, first 2 shown]
	v_lshlrev_b32_e32 v149, 2, v40
	v_add_u32_e32 v150, v42, v44
	v_add_u32_e32 v151, v43, v44
	;; [unrolled: 1-line block ×3, first 2 shown]
	s_waitcnt lgkmcnt(0)
	s_barrier
.LBB138_6:                              ; =>This Inner Loop Header: Depth=1
	s_add_i32 s71, s72, 1
	s_cmp_lt_i32 s71, s57
	s_mov_b64 s[24:25], 0
	s_cselect_b64 s[46:47], -1, 0
	s_cmp_ge_i32 s71, s57
	s_mov_b64 s[20:21], 0
	s_cbranch_scc1 .LBB138_8
; %bb.7:                                ;   in Loop: Header=BB138_6 Depth=1
	s_add_i32 s0, s66, 64
	s_add_u32 s0, s42, s0
	s_addc_u32 s1, s43, 0
	s_lshl_b64 s[0:1], s[0:1], 8
	s_add_u32 s20, s6, s0
	s_addc_u32 s21, s7, s1
.LBB138_8:                              ;   in Loop: Header=BB138_6 Depth=1
	v_cndmask_b32_e64 v34, 0, 1, s[46:47]
	v_cmp_ne_u32_e64 s[0:1], 1, v34
	s_andn2_b64 vcc, exec, s[46:47]
	s_cbranch_vccnz .LBB138_10
; %bb.9:                                ;   in Loop: Header=BB138_6 Depth=1
	s_add_i32 s24, s66, 64
	s_add_u32 s24, s49, s24
	s_addc_u32 s25, s69, 0
	s_mul_i32 s27, s24, s58
	s_mul_hi_u32 s46, s24, s63
	s_add_i32 s27, s46, s27
	s_mul_i32 s25, s25, s63
	s_add_i32 s27, s27, s25
	s_mul_i32 s24, s24, s63
	s_add_u32 s24, s24, s59
	s_addc_u32 s25, s27, s64
	s_lshl_b64 s[24:25], s[24:25], 8
	s_add_u32 s24, s4, s24
	s_addc_u32 s25, s5, s25
.LBB138_10:                             ;   in Loop: Header=BB138_6 Depth=1
	v_perm_b32 v35, v25, v24, s35
	v_perm_b32 v34, v23, v22, s35
	v_perm_b32 v37, v13, v12, s35
	v_perm_b32 v36, v11, v10, s35
	ds_write_b64 v108, v[34:35]
	ds_write_b64 v109, v[36:37]
	ds_write_b64 v112, v[34:35]
	ds_write_b64 v113, v[36:37]
	v_perm_b32 v35, v21, v20, s35
	v_perm_b32 v34, v19, v18, s35
	v_perm_b32 v37, v17, v16, s35
	v_perm_b32 v36, v15, v14, s35
	ds_write_b64 v110, v[34:35]
	ds_write_b64 v111, v[36:37]
	ds_write_b64 v114, v[34:35]
	ds_write_b64 v115, v[36:37]
	;; [unrolled: 8-line block ×4, first 2 shown]
	s_waitcnt lgkmcnt(0)
	s_barrier
	ds_read_b64 v[38:39], v124 offset:49152
	ds_read2_b64 v[34:37], v125 offset1:16
	ds_read_b64 v[50:51], v127 offset:6144
	ds_read_b64 v[52:53], v125 offset:6144
	s_waitcnt lgkmcnt(2)
	v_mfma_f32_16x16x16_bf16 a[0:3], v[38:39], v[34:35], 0
	ds_read_b64 v[54:55], v126 offset:49152
	ds_read2st64_b64 v[42:45], v128 offset0:4 offset1:8
	ds_read2st64_b64 v[46:49], v129 offset0:4 offset1:8
	v_mfma_f32_16x16x16_bf16 a[4:7], v[38:39], v[36:37], 0
	ds_read2_b64 v[34:37], v125 offset0:32 offset1:48
	s_add_i32 s27, s66, 63
	s_mul_i32 s46, s27, s31
	s_waitcnt lgkmcnt(0)
	v_mfma_f32_16x16x16_bf16 a[8:11], v[38:39], v[34:35], 0
	s_mul_hi_u32 s47, s27, s30
	s_add_i32 s47, s47, s46
	s_mul_i32 s46, s27, s30
	v_mfma_f32_16x16x16_bf16 a[12:15], v[38:39], v[36:37], 0
	ds_read2st64_b64 v[34:37], v125 offset0:4 offset1:8
	ds_read2st64_b64 v[38:41], v127 offset0:4 offset1:8
	s_lshl_b64 s[46:47], s[46:47], 2
	s_waitcnt lgkmcnt(1)
	v_mfma_f32_16x16x16_bf16 a[0:3], v[54:55], v[34:35], a[0:3]
	s_add_u32 s46, s44, s46
	s_addc_u32 s47, s45, s47
	s_and_b64 vcc, exec, s[0:1]
	s_waitcnt lgkmcnt(0)
	v_mfma_f32_16x16x16_bf16 a[4:7], v[54:55], v[38:39], a[4:7]
	v_mov_b32_e32 v155, 0
	v_mov_b32_e32 v154, 0
	;; [unrolled: 1-line block ×3, first 2 shown]
	v_mfma_f32_16x16x16_bf16 a[8:11], v[54:55], v[42:43], a[8:11]
	ds_read_b64 v[34:35], v130 offset:49152
	ds_read_b64 v[38:39], v131 offset:49152
	;; [unrolled: 1-line block ×3, first 2 shown]
	v_mfma_f32_16x16x16_bf16 a[12:15], v[54:55], v[46:47], a[12:15]
	v_mov_b32_e32 v46, 0
	v_mov_b32_e32 v47, 0
	s_waitcnt lgkmcnt(2)
	v_mfma_f32_16x16x16_bf16 a[0:3], v[34:35], v[36:37], a[0:3]
	v_mov_b32_e32 v36, 0
	v_mov_b32_e32 v37, 0
	v_mfma_f32_16x16x16_bf16 a[16:19], v[34:35], v[40:41], a[4:7]
	v_mov_b32_e32 v40, 0
	v_mov_b32_e32 v41, 0
	;; [unrolled: 3-line block ×3, first 2 shown]
	v_mfma_f32_16x16x16_bf16 a[24:27], v[34:35], v[48:49], a[12:15]
	ds_read_b64 v[34:35], v128 offset:6144
	v_mov_b32_e32 v48, 0
	v_mov_b32_e32 v49, 0
	s_waitcnt lgkmcnt(2)
	v_mfma_f32_16x16x16_bf16 a[4:7], v[38:39], v[52:53], a[0:3]
	v_mfma_f32_16x16x16_bf16 a[8:11], v[38:39], v[50:51], a[16:19]
	s_waitcnt lgkmcnt(0)
	v_mfma_f32_16x16x16_bf16 a[12:15], v[38:39], v[34:35], a[20:23]
	v_mov_b32_e32 v34, 0
	v_mov_b32_e32 v35, 0
	v_mfma_f32_16x16x16_bf16 a[0:3], v[38:39], v[42:43], a[24:27]
	v_mov_b32_e32 v38, 0
	v_mov_b32_e32 v39, 0
	;; [unrolled: 1-line block ×4, first 2 shown]
	s_cbranch_vccnz .LBB138_12
; %bb.11:                               ;   in Loop: Header=BB138_6 Depth=1
	s_and_b32 s21, s21, 0xffff
	buffer_load_dwordx4 v[46:49], v104, s[20:23], 0 offen
	buffer_load_dwordx4 v[42:45], v104, s[20:23], s65 offen
	;; [unrolled: 1-line block ×4, first 2 shown]
	v_mov_b32_e32 v154, v106
	v_mov_b32_e32 v153, v107
.LBB138_12:                             ;   in Loop: Header=BB138_6 Depth=1
	ds_read_b64 v[66:67], v124 offset:57344
	ds_read2_b64 v[50:53], v132 offset1:16
	ds_read_b64 v[68:69], v126 offset:57344
	ds_read_b64 v[70:71], v130 offset:57344
	;; [unrolled: 1-line block ×3, first 2 shown]
	v_add_u32_e32 v74, s66, v100
	s_waitcnt lgkmcnt(3)
	v_mfma_f32_16x16x16_bf16 a[4:7], v[66:67], v[50:51], a[4:7]
	v_mfma_f32_16x16x16_bf16 a[8:11], v[66:67], v[52:53], a[8:11]
	ds_read2_b64 v[50:53], v132 offset0:32 offset1:48
	ds_read2st64_b64 v[54:57], v132 offset0:4 offset1:8
	ds_read2st64_b64 v[58:61], v133 offset0:4 offset1:8
	;; [unrolled: 1-line block ×3, first 2 shown]
	s_waitcnt lgkmcnt(3)
	v_mfma_f32_16x16x16_bf16 a[12:15], v[66:67], v[50:51], a[12:15]
	v_ashrrev_i32_e32 v50, 31, v74
	v_mfma_f32_16x16x16_bf16 a[0:3], v[66:67], v[52:53], a[0:3]
	v_mul_lo_u32 v52, v50, s30
	v_mul_lo_u32 v53, v74, s31
	v_mad_u64_u32 v[50:51], s[20:21], v74, s30, 0
	v_add3_u32 v51, v51, v53, v52
	v_add_u32_e32 v52, 1, v74
	v_ashrrev_i32_e32 v53, 31, v52
	s_waitcnt lgkmcnt(2)
	v_mfma_f32_16x16x16_bf16 a[4:7], v[68:69], v[54:55], a[4:7]
	v_mul_lo_u32 v54, v53, s30
	v_mul_lo_u32 v55, v52, s31
	v_mad_u64_u32 v[52:53], s[20:21], v52, s30, 0
	v_add3_u32 v53, v53, v55, v54
	v_add_u32_e32 v54, 2, v74
	v_ashrrev_i32_e32 v55, 31, v54
	s_waitcnt lgkmcnt(1)
	v_mfma_f32_16x16x16_bf16 a[8:11], v[68:69], v[58:59], a[8:11]
	v_mul_lo_u32 v58, v55, s30
	v_mul_lo_u32 v59, v54, s31
	v_mad_u64_u32 v[54:55], s[20:21], v54, s30, 0
	v_add3_u32 v55, v55, v59, v58
	v_add_u32_e32 v58, 3, v74
	v_ashrrev_i32_e32 v59, 31, v58
	v_mul_lo_u32 v66, v59, s30
	v_mul_lo_u32 v67, v58, s31
	v_mad_u64_u32 v[58:59], s[20:21], v58, s30, 0
	s_add_u32 s20, s42, s66
	s_addc_u32 s21, s43, 0
	v_lshl_add_u64 v[50:51], v[50:51], 2, s[44:45]
	v_add3_u32 v59, v59, v67, v66
	s_lshl_b64 s[20:21], s[20:21], 8
	v_lshl_add_u64 v[52:53], v[52:53], 2, s[44:45]
	v_lshl_add_u64 v[54:55], v[54:55], 2, s[44:45]
	;; [unrolled: 1-line block ×3, first 2 shown]
	global_load_dword v66, v[50:51], off
	global_load_dword v67, v[52:53], off
	;; [unrolled: 1-line block ×4, first 2 shown]
	v_lshl_add_u64 v[50:51], v[92:93], 0, s[20:21]
	v_lshl_add_u64 v[54:55], v[50:51], 0, v[90:91]
	global_load_ushort v76, v[54:55], off offset:256
	global_load_ushort v156, v[54:55], off
	ds_read2st64_b64 v[50:53], v135 offset0:4 offset1:8
	global_load_ushort v157, v[54:55], off offset:768
	global_load_ushort v158, v[54:55], off offset:512
	s_waitcnt lgkmcnt(1)
	v_mfma_f32_16x16x16_bf16 a[12:15], v[68:69], v[62:63], a[12:15]
	s_and_b64 vcc, exec, s[0:1]
	s_waitcnt vmcnt(3)
	v_lshlrev_b32_e32 v63, 16, v76
	s_waitcnt lgkmcnt(0)
	v_mfma_f32_16x16x16_bf16 a[0:3], v[68:69], v[50:51], a[0:3]
	global_load_ushort v68, v[54:55], off offset:288
	global_load_ushort v69, v[54:55], off offset:32
	;; [unrolled: 1-line block ×8, first 2 shown]
	v_mfma_f32_16x16x16_bf16 a[4:7], v[70:71], v[56:57], a[4:7]
	ds_read_b64 v[50:51], v132 offset:6144
	s_waitcnt vmcnt(10)
	v_lshlrev_b32_e32 v62, 16, v156
	v_mov_b32_e32 v156, 0
	v_mfma_f32_16x16x16_bf16 a[8:11], v[70:71], v[60:61], a[8:11]
	v_mfma_f32_16x16x16_bf16 a[12:15], v[70:71], v[64:65], a[12:15]
	v_mfma_f32_16x16x16_bf16 a[0:3], v[70:71], v[52:53], a[0:3]
	global_load_ushort v70, v[54:55], off offset:352
	global_load_ushort v71, v[54:55], off offset:96
	ds_read_b64 v[52:53], v133 offset:6144
	ds_read_b64 v[56:57], v134 offset:6144
	ds_read_b64 v[58:59], v135 offset:6144
	global_load_ushort v165, v[54:55], off offset:864
	global_load_ushort v166, v[54:55], off offset:608
	s_load_dword s20, s[46:47], 0x0
	s_waitcnt lgkmcnt(0)
	v_mfma_f32_16x16x16_bf16 a[4:7], v[72:73], v[50:51], a[4:7]
	v_sub_f32_e32 v60, s20, v74
	v_mfma_f32_16x16x16_bf16 a[0:3], v[72:73], v[58:59], a[0:3]
	v_sub_f32_e32 v58, s20, v66
	v_sub_f32_e32 v59, s20, v67
	;; [unrolled: 1-line block ×3, first 2 shown]
	v_mfma_f32_16x16x16_bf16 a[8:11], v[72:73], v[52:53], a[8:11]
	v_exp_f32_e32 v58, v58
	v_exp_f32_e32 v59, v59
	v_exp_f32_e32 v60, v60
	v_exp_f32_e32 v61, v61
	v_accvgpr_read_b32 v65, a5
	v_accvgpr_read_b32 v64, a4
	v_accvgpr_read_b32 v51, a7
	v_accvgpr_read_b32 v50, a6
	v_pk_add_f32 v[62:63], v[62:63], v[64:65] neg_lo:[0,1] neg_hi:[0,1]
	s_waitcnt vmcnt(13)
	v_lshlrev_b32_e32 v65, 16, v157
	s_waitcnt vmcnt(12)
	v_lshlrev_b32_e32 v64, 16, v158
	v_pk_add_f32 v[50:51], v[64:65], v[50:51] neg_lo:[0,1] neg_hi:[0,1]
	v_pk_mul_f32 v[62:63], v[58:59], v[62:63]
	v_pk_mul_f32 v[50:51], v[60:61], v[50:51]
	v_accvgpr_read_b32 v65, a9
	v_perm_b32 v51, v51, v50, s35
	v_perm_b32 v50, v63, v62, s35
	v_accvgpr_read_b32 v64, a8
	v_accvgpr_read_b32 v53, a11
	v_mfma_f32_16x16x16_bf16 a[12:15], v[72:73], v[56:57], a[12:15]
	v_accvgpr_read_b32 v52, a10
	v_accvgpr_read_b32 v57, a3
	;; [unrolled: 1-line block ×3, first 2 shown]
	s_waitcnt vmcnt(11)
	v_lshlrev_b32_e32 v63, 16, v68
	s_waitcnt vmcnt(10)
	v_lshlrev_b32_e32 v62, 16, v69
	v_pk_add_f32 v[62:63], v[62:63], v[64:65] neg_lo:[0,1] neg_hi:[0,1]
	s_waitcnt vmcnt(9)
	v_lshlrev_b32_e32 v65, 16, v159
	s_waitcnt vmcnt(8)
	v_lshlrev_b32_e32 v64, 16, v160
	v_pk_add_f32 v[52:53], v[64:65], v[52:53] neg_lo:[0,1] neg_hi:[0,1]
	v_pk_mul_f32 v[62:63], v[58:59], v[62:63]
	v_pk_mul_f32 v[52:53], v[60:61], v[52:53]
	v_accvgpr_read_b32 v55, a15
	v_perm_b32 v53, v53, v52, s35
	v_perm_b32 v52, v63, v62, s35
	ds_write2_b64 v109, v[50:51], v[52:53] offset1:16
	v_accvgpr_read_b32 v53, a13
	s_waitcnt vmcnt(7)
	v_lshlrev_b32_e32 v51, 16, v161
	s_waitcnt vmcnt(6)
	v_lshlrev_b32_e32 v50, 16, v162
	v_accvgpr_read_b32 v52, a12
	v_accvgpr_read_b32 v54, a14
	v_pk_add_f32 v[50:51], v[50:51], v[52:53] neg_lo:[0,1] neg_hi:[0,1]
	s_waitcnt vmcnt(5)
	v_lshlrev_b32_e32 v53, 16, v163
	s_waitcnt vmcnt(4)
	v_lshlrev_b32_e32 v52, 16, v164
	v_pk_add_f32 v[52:53], v[52:53], v[54:55] neg_lo:[0,1] neg_hi:[0,1]
	v_pk_mul_f32 v[50:51], v[58:59], v[50:51]
	v_pk_mul_f32 v[52:53], v[60:61], v[52:53]
	v_accvgpr_read_b32 v55, a1
	v_perm_b32 v53, v53, v52, s35
	v_perm_b32 v52, v51, v50, s35
	s_waitcnt vmcnt(3)
	v_lshlrev_b32_e32 v51, 16, v70
	s_waitcnt vmcnt(2)
	v_lshlrev_b32_e32 v50, 16, v71
	v_accvgpr_read_b32 v54, a0
	v_pk_add_f32 v[50:51], v[50:51], v[54:55] neg_lo:[0,1] neg_hi:[0,1]
	s_waitcnt vmcnt(1)
	v_lshlrev_b32_e32 v55, 16, v165
	s_waitcnt vmcnt(0)
	v_lshlrev_b32_e32 v54, 16, v166
	v_pk_add_f32 v[54:55], v[54:55], v[56:57] neg_lo:[0,1] neg_hi:[0,1]
	v_pk_mul_f32 v[50:51], v[58:59], v[50:51]
	v_pk_mul_f32 v[54:55], v[60:61], v[54:55]
	v_mov_b32_e32 v56, 0
	v_perm_b32 v55, v55, v54, s35
	v_perm_b32 v54, v51, v50, s35
	ds_write2_b64 v109, v[52:53], v[54:55] offset0:32 offset1:48
	v_mov_b32_e32 v50, 0
	v_mov_b32_e32 v51, 0
	;; [unrolled: 1-line block ×15, first 2 shown]
	s_cbranch_vccnz .LBB138_14
; %bb.13:                               ;   in Loop: Header=BB138_6 Depth=1
	s_and_b32 s25, s25, 0xffff
	s_mov_b32 s27, s23
	buffer_load_dwordx4 v[62:65], v142, s[24:27], 0 offen
	buffer_load_dwordx4 v[54:57], v142, s[24:27], s65 offen
	;; [unrolled: 1-line block ×4, first 2 shown]
	v_mov_b32_e32 v155, v103
	v_mov_b32_e32 v156, v102
.LBB138_14:                             ;   in Loop: Header=BB138_6 Depth=1
	s_waitcnt lgkmcnt(0)
	s_barrier
	ds_read_b64 v[74:75], v145
	ds_read2_b64 v[66:69], v138 offset1:16
	ds_read_b64 v[174:175], v146
	ds_read_b64 v[176:177], v147
	;; [unrolled: 1-line block ×3, first 2 shown]
	ds_read2_b64 v[70:73], v138 offset0:32 offset1:48
	ds_read2st64_b64 v[158:161], v138 offset0:4 offset1:8
	ds_read2st64_b64 v[162:165], v139 offset0:4 offset1:8
	;; [unrolled: 1-line block ×4, first 2 shown]
	s_waitcnt lgkmcnt(8)
	v_mfma_f32_16x16x16_bf16 a[0:3], v[74:75], v[66:67], 0
	s_add_i32 s21, s60, s72
	s_mul_hi_i32 s25, s21, s13
	s_mul_i32 s21, s21, s13
	v_mfma_f32_16x16x16_bf16 a[4:7], v[74:75], v[68:69], 0
	s_add_u32 s24, s21, s33
	s_addc_u32 s25, s25, s48
	s_add_i32 s21, s3, s66
	s_waitcnt lgkmcnt(4)
	v_mfma_f32_16x16x16_bf16 a[8:11], v[74:75], v[70:71], 0
	s_lshl_b64 s[24:25], s[24:25], 15
	s_mul_hi_i32 s27, s21, s13
	s_mul_i32 s21, s21, s13
	v_mfma_f32_16x16x16_bf16 a[12:15], v[74:75], v[72:73], 0
	ds_read_b64 v[74:75], v138 offset:6144
	ds_read_b64 v[186:187], v139 offset:6144
	;; [unrolled: 1-line block ×4, first 2 shown]
	s_add_u32 s46, s21, s33
	s_waitcnt lgkmcnt(7)
	v_mfma_f32_16x16x16_bf16 a[0:3], v[174:175], v[158:159], a[0:3]
	s_addc_u32 s47, s27, s48
	s_lshl_b64 s[46:47], s[46:47], 9
	s_add_u32 s46, s16, s46
	s_waitcnt lgkmcnt(6)
	v_mfma_f32_16x16x16_bf16 a[4:7], v[174:175], v[162:163], a[4:7]
	s_addc_u32 s47, s17, s47
	v_lshl_add_u64 v[196:197], v[94:95], 0, s[24:25]
	s_waitcnt lgkmcnt(5)
	v_mfma_f32_16x16x16_bf16 a[8:11], v[174:175], v[166:167], a[8:11]
	s_waitcnt lgkmcnt(4)
	v_mfma_f32_16x16x16_bf16 a[12:15], v[174:175], v[170:171], a[12:15]
	ds_read_b64 v[174:175], v150
	ds_read_b64 v[184:185], v151
	;; [unrolled: 1-line block ×3, first 2 shown]
	s_waitcnt lgkmcnt(2)
	v_mfma_f32_16x16x16_bf16 a[16:19], v[174:175], v[66:67], 0
	v_mfma_f32_16x16x16_bf16 a[20:23], v[174:175], v[68:69], 0
	global_load_dwordx4 v[66:69], v149, s[46:47]
	v_mfma_f32_16x16x16_bf16 a[24:27], v[174:175], v[70:71], 0
	v_mfma_f32_16x16x16_bf16 a[28:31], v[174:175], v[72:73], 0
	global_load_dwordx4 v[70:73], v89, s[46:47]
	v_mfma_f32_16x16x16_bf16 a[0:3], v[176:177], v[160:161], a[0:3]
	v_mfma_f32_16x16x16_bf16 a[4:7], v[176:177], v[164:165], a[4:7]
	;; [unrolled: 1-line block ×8, first 2 shown]
	ds_read2st64_b64 v[174:177], v136 offset1:8
	ds_read2st64_b64 v[178:181], v137 offset1:8
	ds_read_b64 v[194:195], v144 offset:40960
	s_waitcnt lgkmcnt(2)
	v_mov_b32_e32 v182, v174
	v_mfma_f32_16x16x16_bf16 a[16:19], v[184:185], v[158:159], a[16:19]
	v_mov_b32_e32 v183, v175
	v_mfma_f32_16x16x16_bf16 a[20:23], v[184:185], v[162:163], a[20:23]
	v_mfma_f32_16x16x16_bf16 a[24:27], v[184:185], v[166:167], a[24:27]
	;; [unrolled: 1-line block ×3, first 2 shown]
	v_add_co_u32_e32 v170, vcc, s37, v196
	s_waitcnt lgkmcnt(1)
	v_mov_b32_e32 v184, v178
	s_waitcnt lgkmcnt(0)
	v_mfma_f32_16x16x16_bf16 a[16:19], v[194:195], v[160:161], a[16:19]
	ds_read2st64_b64 v[158:161], v136 offset0:16 offset1:24
	v_addc_co_u32_e32 v171, vcc, 0, v197, vcc
	v_mfma_f32_16x16x16_bf16 a[32:35], v[194:195], v[164:165], a[20:23]
	ds_read2st64_b64 v[162:165], v137 offset0:16 offset1:24
	v_mov_b32_e32 v185, v179
	v_mov_b32_e32 v178, v176
	v_mfma_f32_16x16x16_bf16 a[24:27], v[194:195], v[168:169], a[24:27]
	v_mov_b32_e32 v179, v177
	s_waitcnt lgkmcnt(0)
	v_mov_b32_e32 v168, v162
	v_mov_b32_e32 v169, v163
	v_mfma_f32_16x16x16_bf16 a[36:39], v[194:195], v[172:173], a[28:31]
	v_mov_b32_e32 v162, v160
	v_mov_b32_e32 v163, v161
	;; [unrolled: 1-line block ×3, first 2 shown]
	v_mfma_f32_16x16x16_bf16 a[20:23], v[192:193], v[74:75], a[16:19]
	v_add_co_u32_e32 v74, vcc, s70, v196
	v_mov_b32_e32 v167, v159
	v_mfma_f32_16x16x16_bf16 a[28:31], v[192:193], v[186:187], a[32:35]
	v_addc_co_u32_e32 v75, vcc, 0, v197, vcc
	global_store_dwordx4 v[74:75], v[162:165], off
	v_mfma_f32_16x16x16_bf16 a[16:19], v[192:193], v[188:189], a[24:27]
	s_waitcnt vmcnt(2)
	v_mov_b32_e32 v76, v69
	v_mov_b32_e32 v75, v68
	;; [unrolled: 1-line block ×3, first 2 shown]
	v_mfma_f32_16x16x16_bf16 a[24:27], v[192:193], v[190:191], a[36:39]
	s_and_b64 vcc, exec, s[0:1]
	global_store_dwordx4 v[196:197], v[182:185], off
	global_store_dwordx4 v[170:171], v[178:181], off offset:-4096
	global_store_dwordx4 v[170:171], v[166:169], off
	s_cbranch_vccnz .LBB138_16
; %bb.15:                               ;   in Loop: Header=BB138_6 Depth=1
	v_lshrrev_b32_e32 v67, 3, v155
	v_and_b32_e32 v67, 6, v67
	v_xor_b32_e32 v68, v67, v156
	v_lshlrev_b32_e32 v68, 2, v68
	v_and_b32_e32 v69, 8, v155
	v_xor_b32_e32 v155, 0x440, v68
	v_cmp_eq_u32_e32 vcc, 0, v69
	v_perm_b32 v69, v54, v50, s67
	s_nop 0
	v_cndmask_b32_e32 v68, v155, v68, vcc
	v_lshl_or_b32 v67, v67, 10, v68
	v_perm_b32 v68, v62, v58, s67
	s_barrier
	ds_write2st64_b32 v67, v68, v69 offset0:128 offset1:160
	v_xor_b32_e32 v68, 8, v67
	v_perm_b32 v58, v62, v58, s68
	v_perm_b32 v50, v54, v50, s68
	v_add_u32_e32 v54, 0x80, v68
	ds_write2st64_b32 v54, v58, v50 offset0:128 offset1:160
	v_xor_b32_e32 v50, 16, v67
	v_perm_b32 v54, v63, v59, s67
	v_perm_b32 v58, v55, v51, s67
	ds_write2st64_b32 v50, v54, v58 offset0:129 offset1:161
	v_xor_b32_e32 v50, 24, v67
	v_perm_b32 v54, v63, v59, s68
	v_perm_b32 v51, v55, v51, s68
	v_add_u32_e32 v50, 0x80, v50
	ds_write2st64_b32 v50, v54, v51 offset0:129 offset1:161
	v_xor_b32_e32 v50, 32, v67
	v_perm_b32 v51, v64, v60, s67
	v_perm_b32 v54, v56, v52, s67
	;; [unrolled: 9-line block ×3, first 2 shown]
	ds_write2st64_b32 v50, v51, v52 offset0:131 offset1:163
	v_xor_b32_e32 v50, 56, v67
	v_perm_b32 v51, v65, v61, s68
	v_perm_b32 v52, v57, v53, s68
	v_add_u32_e32 v50, 0x80, v50
	ds_write2st64_b32 v50, v51, v52 offset0:131 offset1:163
	ds_write_b64 v154, v[46:47] offset:49152
	v_xor_b32_e32 v46, 8, v154
	ds_write_b64 v46, v[48:49] offset:49152
	ds_write_b64 v154, v[42:43] offset:57344
	;; [unrolled: 1-line block ×4, first 2 shown]
	v_xor_b32_e32 v38, 8, v153
	ds_write_b64 v38, v[40:41] offset:49152
	ds_write_b64 v153, v[34:35] offset:57344
	;; [unrolled: 1-line block ×3, first 2 shown]
.LBB138_16:                             ;   in Loop: Header=BB138_6 Depth=1
	v_exp_f32_e32 v68, s20
	s_waitcnt vmcnt(4)
	v_exp_f32_e32 v70, v70
	v_exp_f32_e32 v71, v71
	;; [unrolled: 1-line block ×4, first 2 shown]
	v_accvgpr_read_b32 v37, a3
	v_accvgpr_read_b32 v36, a2
	;; [unrolled: 1-line block ×4, first 2 shown]
	v_pk_mul_f32 v[70:71], v[68:69], v[70:71] op_sel_hi:[0,1]
	v_pk_mul_f32 v[72:73], v[68:69], v[72:73] op_sel_hi:[0,1]
	v_pk_fma_f32 v[22:23], v[22:23], v[70:71], v[34:35]
	v_pk_fma_f32 v[24:25], v[24:25], v[72:73], v[36:37]
	v_exp_f32_e32 v34, v66
	v_exp_f32_e32 v35, v74
	;; [unrolled: 1-line block ×4, first 2 shown]
	v_accvgpr_read_b32 v41, a7
	v_accvgpr_read_b32 v45, a11
	;; [unrolled: 1-line block ×28, first 2 shown]
	v_pk_mul_f32 v[34:35], v[68:69], v[34:35] op_sel_hi:[0,1]
	v_pk_mul_f32 v[36:37], v[68:69], v[36:37] op_sel_hi:[0,1]
	s_add_i32 s66, s66, 64
	v_pk_fma_f32 v[18:19], v[70:71], v[18:19], v[38:39]
	v_pk_fma_f32 v[20:21], v[72:73], v[20:21], v[40:41]
	v_pk_fma_f32 v[30:31], v[70:71], v[30:31], v[42:43]
	v_pk_fma_f32 v[32:33], v[72:73], v[32:33], v[44:45]
	v_pk_fma_f32 v[6:7], v[70:71], v[6:7], v[46:47]
	v_pk_fma_f32 v[8:9], v[72:73], v[8:9], v[48:49]
	v_pk_fma_f32 v[10:11], v[10:11], v[34:35], v[50:51]
	v_pk_fma_f32 v[12:13], v[12:13], v[36:37], v[52:53]
	v_pk_fma_f32 v[14:15], v[34:35], v[14:15], v[54:55]
	v_pk_fma_f32 v[16:17], v[36:37], v[16:17], v[56:57]
	v_pk_fma_f32 v[26:27], v[34:35], v[26:27], v[58:59]
	v_pk_fma_f32 v[28:29], v[36:37], v[28:29], v[60:61]
	v_pk_fma_f32 v[2:3], v[34:35], v[2:3], v[62:63]
	s_cmp_eq_u32 s57, s71
	v_pk_fma_f32 v[4:5], v[36:37], v[4:5], v[64:65]
	s_cbranch_scc1 .LBB138_18
; %bb.17:                               ;   in Loop: Header=BB138_6 Depth=1
	s_mov_b32 s72, s71
	s_branch .LBB138_6
.LBB138_18:
	s_lshl_b32 s43, s57, 6
	s_sub_i32 s46, s12, s43
	s_cmp_gt_i32 s46, 0
	s_cbranch_scc0 .LBB138_99
; %bb.19:
	s_ashr_i32 s3, s43, 31
	s_cmpk_lg_i32 s15, 0x80
	s_cselect_b64 s[26:27], -1, 0
	s_and_b64 vcc, exec, s[26:27]
	s_cbranch_vccz .LBB138_21
; %bb.20:
	s_mul_hi_i32 s0, s56, s12
	s_add_u32 s1, s49, s43
	s_addc_u32 s0, s0, s3
	s_mul_i32 s20, s1, s58
	s_mul_hi_u32 s21, s1, s14
	s_add_i32 s20, s21, s20
	s_mul_i32 s0, s0, s14
	s_add_i32 s20, s20, s0
	s_mul_i32 s1, s1, s14
	s_ashr_i32 s0, s59, 31
	s_add_u32 s44, s1, s59
	s_addc_u32 s45, s20, s0
	s_cbranch_execz .LBB138_22
	s_branch .LBB138_23
.LBB138_21:
                                        ; implicit-def: $sgpr44_sgpr45
.LBB138_22:
	s_mul_hi_i32 s0, s56, s14
	s_mul_i32 s56, s56, s14
	s_ashr_i32 s1, s59, 31
	s_add_u32 s14, s56, s59
	s_addc_u32 s0, s0, s1
	s_mul_i32 s1, s14, s55
	s_mul_hi_u32 s20, s14, s12
	s_add_i32 s1, s20, s1
	s_mul_i32 s0, s0, s12
	s_add_i32 s1, s1, s0
	s_mul_i32 s14, s14, s12
	s_add_u32 s44, s14, s43
	s_addc_u32 s45, s1, s3
.LBB138_23:
	s_mul_i32 s0, s40, s55
	s_add_i32 s0, s62, s0
	s_add_i32 s14, s60, s57
	;; [unrolled: 1-line block ×3, first 2 shown]
	s_add_u32 s0, s42, s43
	v_lshlrev_b32_e32 v38, 6, v100
	v_lshlrev_b32_e32 v57, 2, v97
	s_addc_u32 s1, s1, s3
	s_mov_b32 s3, 0x7060302
	v_or_b32_e32 v41, v38, v57
	v_xor_b32_e32 v39, v100, v57
	s_waitcnt vmcnt(7)
	v_perm_b32 v35, v25, v24, s3
	v_perm_b32 v34, v23, v22, s3
	s_waitcnt vmcnt(6)
	v_perm_b32 v37, v13, v12, s3
	v_perm_b32 v36, v11, v10, s3
	v_lshlrev_b32_e32 v41, 1, v41
	v_xor_b32_e32 v40, v101, v57
	ds_write2st64_b64 v41, v[34:35], v[36:37] offset0:32 offset1:48
	v_lshlrev_b32_e32 v39, 1, v39
	v_lshlrev_b32_e32 v41, 8, v97
	v_or_b32_e32 v42, v39, v41
	v_lshlrev_b32_e32 v40, 1, v40
	ds_write_b64 v42, v[34:35]
	v_or_b32_e32 v34, v40, v41
	v_or_b32_e32 v41, 16, v97
	v_lshlrev_b32_e32 v55, 2, v41
	v_or_b32_e32 v42, v38, v55
	ds_write_b64 v34, v[36:37]
	s_waitcnt vmcnt(5)
	v_perm_b32 v35, v21, v20, s3
	v_perm_b32 v34, v19, v18, s3
	s_waitcnt vmcnt(4)
	v_perm_b32 v37, v17, v16, s3
	v_perm_b32 v36, v15, v14, s3
	v_lshlrev_b32_e32 v42, 1, v42
	v_lshlrev_b32_e32 v41, 8, v41
	ds_write2st64_b64 v42, v[34:35], v[36:37] offset0:32 offset1:48
	v_or_b32_e32 v42, v39, v41
	ds_write_b64 v42, v[34:35]
	v_or_b32_e32 v34, v40, v41
	v_or_b32_e32 v41, 32, v97
	v_lshlrev_b32_e32 v54, 2, v41
	v_or_b32_e32 v42, v38, v54
	ds_write_b64 v34, v[36:37]
	s_waitcnt vmcnt(3)
	v_perm_b32 v35, v33, v32, s3
	v_perm_b32 v34, v31, v30, s3
	s_waitcnt vmcnt(2)
	v_perm_b32 v37, v29, v28, s3
	v_perm_b32 v36, v27, v26, s3
	v_lshlrev_b32_e32 v42, 1, v42
	v_lshlrev_b32_e32 v41, 8, v41
	s_lshl_b64 s[24:25], s[0:1], 8
	ds_write2st64_b64 v42, v[34:35], v[36:37] offset0:32 offset1:48
	v_or_b32_e32 v42, v39, v41
	s_add_u32 s0, s6, s24
	ds_write_b64 v42, v[34:35]
	v_or_b32_e32 v34, v40, v41
	s_addc_u32 s1, s7, s25
	ds_write_b64 v34, v[36:37]
	s_waitcnt vmcnt(1)
	v_perm_b32 v35, v9, v8, s3
	v_perm_b32 v34, v7, v6, s3
	s_waitcnt vmcnt(0)
	v_perm_b32 v37, v5, v4, s3
	v_perm_b32 v36, v3, v2, s3
	v_or_b32_e32 v41, 48, v97
	s_mul_hi_i32 s3, s14, s13
	s_mul_i32 s14, s14, s13
	v_lshlrev_b32_e32 v51, 2, v41
	s_add_u32 s6, s14, s33
	v_or_b32_e32 v38, v38, v51
	s_addc_u32 s7, s3, s48
	v_lshlrev_b32_e32 v38, 1, v38
	s_ashr_i32 s3, s2, 31
	s_lshl_b64 s[6:7], s[6:7], 15
	ds_write2st64_b64 v38, v[34:35], v[36:37] offset0:32 offset1:48
	v_lshlrev_b32_e32 v38, 8, v41
	s_add_u32 s6, s38, s6
	v_or_b32_e32 v39, v39, v38
	s_addc_u32 s7, s39, s7
	s_lshl_b64 s[2:3], s[2:3], 8
	ds_write_b64 v39, v[34:35]
	v_or_b32_e32 v34, v40, v38
	s_add_u32 s2, s6, s2
	v_lshlrev_b32_e32 v35, 1, v97
	ds_write_b64 v34, v[36:37]
	v_lshrrev_b32_e32 v34, 4, v0
	s_addc_u32 s3, s7, s3
	v_or_b32_e32 v36, 1, v35
	v_lshlrev_b32_e32 v42, 4, v97
	v_mov_b32_e32 v43, 0
	v_xor_b32_e32 v35, v34, v35
	v_xor_b32_e32 v38, v36, v34
	v_lshl_add_u64 v[44:45], s[2:3], 0, v[42:43]
	v_lshlrev_b32_e32 v42, 8, v34
	v_lshl_or_b32 v48, v35, 3, v42
	v_lshl_or_b32 v49, v38, 3, v42
	s_waitcnt lgkmcnt(0)
	s_barrier
	ds_read2st64_b64 v[34:37], v48 offset1:8
	ds_read2st64_b64 v[38:41], v49 offset1:8
	v_lshl_add_u64 v[46:47], v[44:45], 0, v[42:43]
	s_movk_i32 s2, 0x2000
	s_cmp_lg_u32 s46, 64
	s_waitcnt lgkmcnt(1)
	v_mov_b32_e32 v42, v34
	v_mov_b32_e32 v43, v35
	s_waitcnt lgkmcnt(0)
	v_mov_b32_e32 v44, v38
	v_mov_b32_e32 v45, v39
	global_store_dwordx4 v[46:47], v[42:45], off
	v_mov_b32_e32 v38, v36
	v_mov_b32_e32 v39, v37
	ds_read2st64_b64 v[34:37], v48 offset0:16 offset1:24
	ds_read2st64_b64 v[42:45], v49 offset0:16 offset1:24
	v_add_co_u32_e32 v48, vcc, s2, v46
	s_cselect_b64 s[6:7], -1, 0
	s_nop 0
	v_addc_co_u32_e32 v49, vcc, 0, v47, vcc
	global_store_dwordx4 v[48:49], v[38:41], off offset:-4096
	v_lshl_or_b32 v62, v1, 3, v99
	s_mov_b32 s20, 0
	s_waitcnt lgkmcnt(1)
	v_mov_b32_e32 v38, v34
	v_add_co_u32_e32 v34, vcc, 0x3000, v46
	v_mov_b32_e32 v39, v35
	s_nop 0
	v_addc_co_u32_e32 v35, vcc, 0, v47, vcc
	s_waitcnt lgkmcnt(0)
	v_mov_b32_e32 v40, v42
	v_mov_b32_e32 v41, v43
	;; [unrolled: 1-line block ×4, first 2 shown]
	v_or_b32_e32 v52, 32, v62
	v_and_b32_e32 v50, 56, v98
	s_and_b64 vcc, exec, s[6:7]
	global_store_dwordx4 v[48:49], v[38:41], off
	global_store_dwordx4 v[34:35], v[42:45], off
	s_cbranch_vccz .LBB138_29
; %bb.24:
	s_mov_b32 s22, s20
	s_mov_b32 s23, s20
	;; [unrolled: 1-line block ×3, first 2 shown]
	v_mov_b64_e32 v[40:41], s[22:23]
	v_mov_b64_e32 v[38:39], s[20:21]
	;; [unrolled: 1-line block ×3, first 2 shown]
	v_cmp_gt_i32_e32 vcc, s46, v62
	v_mov_b64_e32 v[36:37], v[40:41]
	s_and_saveexec_b64 s[2:3], vcc
	s_cbranch_execz .LBB138_26
; %bb.25:
	v_lshlrev_b32_e32 v34, 8, v62
	v_mov_b32_e32 v35, 0
	v_lshl_add_u64 v[36:37], s[0:1], 0, v[34:35]
	v_lshlrev_b32_e32 v34, 1, v50
	v_lshl_add_u64 v[42:43], v[36:37], 0, v[34:35]
	global_load_dwordx4 v[38:41], v[42:43], off
	global_load_dwordx4 v[34:37], v[42:43], off offset:128
.LBB138_26:
	s_or_b64 exec, exec, s[2:3]
	s_mov_b32 s22, s20
	s_mov_b32 s23, s20
	s_mov_b32 s21, s20
	v_mov_b64_e32 v[48:49], s[22:23]
	v_mov_b64_e32 v[46:47], s[20:21]
	;; [unrolled: 1-line block ×3, first 2 shown]
	v_cmp_gt_i32_e32 vcc, s46, v52
	v_lshlrev_b32_e32 v53, 7, v52
	v_mov_b64_e32 v[44:45], v[48:49]
	s_and_saveexec_b64 s[2:3], vcc
	s_cbranch_execz .LBB138_28
; %bb.27:
	v_lshlrev_b32_e32 v42, 1, v53
	v_mov_b32_e32 v43, 0
	v_lshl_add_u64 v[44:45], s[0:1], 0, v[42:43]
	v_lshlrev_b32_e32 v42, 1, v50
	v_lshl_add_u64 v[58:59], v[44:45], 0, v[42:43]
	global_load_dwordx4 v[46:49], v[58:59], off
	global_load_dwordx4 v[42:45], v[58:59], off offset:128
.LBB138_28:
	s_or_b64 exec, exec, s[2:3]
	v_lshrrev_b32_e32 v56, 3, v50
	v_lshlrev_b32_e32 v58, 3, v62
	v_or_b32_e32 v56, v58, v56
	v_lshlrev_b32_e32 v56, 4, v56
	v_and_b32_e32 v58, 0x78, v58
	v_xor_b32_e32 v56, v56, v58
	s_branch .LBB138_31
.LBB138_29:
                                        ; implicit-def: $vgpr56
                                        ; implicit-def: $vgpr53
                                        ; implicit-def: $vgpr38_vgpr39_vgpr40_vgpr41
                                        ; implicit-def: $vgpr34_vgpr35_vgpr36_vgpr37
                                        ; implicit-def: $vgpr46_vgpr47_vgpr48_vgpr49
                                        ; implicit-def: $vgpr42_vgpr43_vgpr44_vgpr45
	s_cbranch_execz .LBB138_31
; %bb.30:
	s_waitcnt vmcnt(0)
	v_lshlrev_b32_e32 v34, 1, v50
	v_lshl_or_b32 v53, v62, 8, v34
	s_and_b32 s1, s1, 0xffff
	s_mov_b32 s3, 0x20000
	s_movk_i32 s2, 0x4000
	v_lshl_or_b32 v56, v52, 8, v34
	s_movk_i32 s14, 0x80
	buffer_load_dwordx4 v[38:41], v53, s[0:3], 0 offen
	buffer_load_dwordx4 v[34:37], v53, s[0:3], s14 offen
	;; [unrolled: 1-line block ×4, first 2 shown]
	v_lshrrev_b32_e32 v53, 3, v50
	v_lshlrev_b32_e32 v56, 3, v62
	v_or_b32_e32 v53, v56, v53
	v_lshlrev_b32_e32 v53, 4, v53
	v_and_b32_e32 v56, 0x78, v56
	v_xor_b32_e32 v56, v53, v56
	v_lshlrev_b32_e32 v53, 7, v52
.LBB138_31:
	s_movk_i32 s0, 0x1000
	v_and_or_b32 v52, v53, s0, v56
	s_waitcnt vmcnt(1)
	ds_write_b64 v56, v[38:39] offset:49152
	v_xor_b32_e32 v38, 8, v56
	ds_write_b64 v38, v[40:41] offset:49152
	s_waitcnt vmcnt(0)
	ds_write_b64 v56, v[34:35] offset:57344
	ds_write_b64 v38, v[36:37] offset:57344
	;; [unrolled: 1-line block ×3, first 2 shown]
	v_xor_b32_e32 v34, 8, v52
	ds_write_b64 v34, v[48:49] offset:49152
	ds_write_b64 v52, v[42:43] offset:57344
	;; [unrolled: 1-line block ×3, first 2 shown]
	v_or_b32_e32 v34, v77, v97
	v_lshlrev_b32_e32 v34, 3, v34
	v_lshrrev_b32_e32 v35, 5, v79
	s_movk_i32 s0, 0xf8
	v_and_or_b32 v35, v34, s0, v35
	v_lshlrev_b32_e32 v39, 4, v35
	v_lshlrev_b32_e32 v56, 11, v1
	v_and_b32_e32 v40, 0x78, v34
	v_or_b32_e32 v42, 32, v39
	v_and_b32_e32 v38, 0x1000, v56
	v_lshrrev_b32_e32 v35, 1, v79
	v_xor_b32_e32 v42, v42, v40
	v_xor_b32_e32 v34, v39, v40
	v_and_b32_e32 v41, 8, v35
	v_or_b32_e32 v42, v42, v38
	v_or_b32_e32 v34, v34, v38
	v_xor_b32_e32 v64, v42, v41
	v_or_b32_e32 v42, 64, v39
	v_xor_b32_e32 v63, v34, v41
	v_xor_b32_e32 v42, v42, v40
	s_waitcnt lgkmcnt(0)
	s_barrier
	v_or_b32_e32 v45, v42, v38
	ds_read_b64 v[42:43], v63 offset:49152
	v_lshl_or_b32 v46, v96, 8, v57
	v_lshlrev_b32_e32 v58, 1, v46
	v_add_u32_e32 v44, 0x4000, v58
	ds_read2_b64 v[34:37], v44 offset1:16
	v_or_b32_e32 v39, 0x60, v39
	v_xor_b32_e32 v39, v39, v40
	v_or_b32_e32 v38, v39, v38
	v_xor_b32_e32 v65, v45, v41
	v_xor_b32_e32 v66, v38, v41
	ds_read_b64 v[52:53], v64 offset:49152
	ds_read_b64 v[68:69], v65 offset:49152
	;; [unrolled: 1-line block ×3, first 2 shown]
	s_waitcnt lgkmcnt(3)
	v_mfma_f32_16x16x16_bf16 a[0:3], v[42:43], v[34:35], 0
	ds_read2st64_b64 v[38:41], v58 offset0:36 offset1:40
	s_lshl_b64 s[0:1], s[44:45], 8
	s_add_u32 s4, s4, s0
	v_mfma_f32_16x16x16_bf16 a[4:7], v[42:43], v[36:37], 0
	ds_read2_b64 v[34:37], v44 offset0:32 offset1:48
	s_addc_u32 s5, s5, s1
	s_add_i32 s0, s51, s41
	s_waitcnt lgkmcnt(0)
	v_mfma_f32_16x16x16_bf16 a[8:11], v[42:43], v[34:35], 0
	v_or_b32_e32 v34, 64, v46
	v_lshlrev_b32_e32 v59, 1, v34
	s_add_i32 s14, s12, -1
	v_mfma_f32_16x16x16_bf16 a[12:15], v[42:43], v[36:37], 0
	ds_read2st64_b64 v[34:37], v59 offset0:36 offset1:40
	s_add_i32 s37, s0, s50
	s_add_i32 s0, s53, s52
	v_mfma_f32_16x16x16_bf16 a[0:3], v[52:53], v[38:39], a[0:3]
	v_or_b32_e32 v38, 0x80, v46
	v_lshlrev_b32_e32 v60, 1, v38
	ds_read2st64_b64 v[42:45], v60 offset0:36 offset1:40
	s_waitcnt lgkmcnt(1)
	v_mfma_f32_16x16x16_bf16 a[4:7], v[52:53], v[34:35], a[4:7]
	v_or_b32_e32 v34, 0xc0, v46
	v_lshlrev_b32_e32 v61, 1, v34
	ds_read2st64_b64 v[46:49], v61 offset0:36 offset1:40
	s_add_i32 s35, s0, s54
	s_ashr_i32 s0, s14, 31
	s_mul_i32 s1, s14, s31
	s_mul_hi_u32 s2, s14, s30
	s_add_i32 s1, s2, s1
	s_mul_i32 s0, s0, s30
	s_waitcnt lgkmcnt(1)
	v_mfma_f32_16x16x16_bf16 a[8:11], v[52:53], v[42:43], a[8:11]
	s_add_i32 s1, s1, s0
	s_lshl_b64 s[2:3], s[36:37], 2
	s_add_u32 s10, s10, s2
	s_waitcnt lgkmcnt(0)
	v_mfma_f32_16x16x16_bf16 a[12:15], v[52:53], v[46:47], a[12:15]
	s_addc_u32 s11, s11, s3
	s_lshl_b64 s[2:3], s[34:35], 2
	s_mul_i32 s0, s14, s30
	v_mfma_f32_16x16x16_bf16 a[0:3], v[68:69], v[40:41], a[0:3]
	ds_read_b64 v[34:35], v58 offset:22528
	s_add_u32 s10, s10, s2
	s_addc_u32 s11, s11, s3
	v_mfma_f32_16x16x16_bf16 a[4:7], v[68:69], v[36:37], a[4:7]
	ds_read_b64 v[36:37], v59 offset:22528
	ds_read_b64 v[38:39], v60 offset:22528
	;; [unrolled: 1-line block ×3, first 2 shown]
	s_lshl_b64 s[0:1], s[0:1], 2
	s_add_u32 s0, s10, s0
	v_mfma_f32_16x16x16_bf16 a[8:11], v[68:69], v[44:45], a[8:11]
	s_addc_u32 s1, s11, s1
	s_load_dword s12, s[0:1], 0x0
	s_and_b64 vcc, exec, s[26:27]
	v_mfma_f32_16x16x16_bf16 a[12:15], v[68:69], v[48:49], a[12:15]
	s_waitcnt lgkmcnt(0)
	v_mfma_f32_16x16x16_bf16 a[0:3], v[70:71], v[34:35], a[0:3]
	v_mfma_f32_16x16x16_bf16 a[4:7], v[70:71], v[36:37], a[4:7]
	;; [unrolled: 1-line block ×4, first 2 shown]
	s_cbranch_vccz .LBB138_42
; %bb.32:
	v_lshlrev_b32_e32 v52, 1, v62
	s_and_b64 vcc, exec, s[6:7]
	s_cbranch_vccz .LBB138_43
; %bb.33:
	v_cmp_gt_i32_e32 vcc, s46, v52
	v_mov_b32_e32 v38, 0
	v_mov_b32_e32 v34, 0
	;; [unrolled: 1-line block ×5, first 2 shown]
	s_and_saveexec_b64 s[0:1], vcc
	s_cbranch_execz .LBB138_35
; %bb.34:
	v_mad_i64_i32 v[34:35], s[2:3], s15, v52, 0
	v_lshl_add_u64 v[34:35], v[34:35], 1, s[4:5]
	v_lshlrev_b32_e32 v36, 1, v50
	v_mov_b32_e32 v37, 0
	v_lshl_add_u64 v[34:35], v[34:35], 0, v[36:37]
	global_load_dwordx4 v[34:37], v[34:35], off
.LBB138_35:
	s_or_b64 exec, exec, s[0:1]
	v_or_b32_e32 v53, 1, v52
	v_cmp_gt_i32_e64 s[0:1], s46, v53
	v_mov_b32_e32 v39, 0
	v_mov_b32_e32 v40, 0
	;; [unrolled: 1-line block ×3, first 2 shown]
	s_and_saveexec_b64 s[2:3], s[0:1]
	s_cbranch_execz .LBB138_37
; %bb.36:
	v_mad_i64_i32 v[38:39], s[20:21], s15, v53, 0
	v_lshl_add_u64 v[38:39], v[38:39], 1, s[4:5]
	v_lshlrev_b32_e32 v40, 1, v50
	v_mov_b32_e32 v41, 0
	v_lshl_add_u64 v[38:39], v[38:39], 0, v[40:41]
	global_load_dwordx4 v[38:41], v[38:39], off
.LBB138_37:
	s_or_b64 exec, exec, s[2:3]
	v_mov_b32_e32 v49, 0
	v_mov_b32_e32 v42, 0
	v_mov_b32_e32 v43, 0
	v_mov_b32_e32 v44, 0
	v_mov_b32_e32 v45, 0
	s_and_saveexec_b64 s[2:3], vcc
	s_cbranch_execz .LBB138_39
; %bb.38:
	v_mad_i64_i32 v[42:43], s[20:21], s15, v52, 0
	v_lshl_add_u64 v[42:43], v[42:43], 1, s[4:5]
	v_lshlrev_b32_e32 v44, 1, v50
	v_mov_b32_e32 v45, 0
	v_lshl_add_u64 v[42:43], v[42:43], 0, v[44:45]
	global_load_dwordx4 v[42:45], v[42:43], off offset:128
.LBB138_39:
	s_or_b64 exec, exec, s[2:3]
	v_mov_b32_e32 v48, 0
	v_mov_b32_e32 v47, 0
	;; [unrolled: 1-line block ×3, first 2 shown]
	s_and_saveexec_b64 s[2:3], s[0:1]
	s_cbranch_execz .LBB138_41
; %bb.40:
	v_mad_i64_i32 v[46:47], s[0:1], s15, v53, 0
	v_lshl_add_u64 v[46:47], v[46:47], 1, s[4:5]
	v_lshlrev_b32_e32 v48, 1, v50
	v_mov_b32_e32 v49, 0
	v_lshl_add_u64 v[46:47], v[46:47], 0, v[48:49]
	global_load_dwordx4 v[46:49], v[46:47], off offset:128
.LBB138_41:
	s_or_b64 exec, exec, s[2:3]
	s_branch .LBB138_45
.LBB138_42:
                                        ; implicit-def: $vgpr37
                                        ; implicit-def: $vgpr41
                                        ; implicit-def: $vgpr45
                                        ; implicit-def: $vgpr49
	v_lshrrev_b32_e32 v67, 2, v79
	s_branch .LBB138_46
.LBB138_43:
                                        ; implicit-def: $vgpr37
                                        ; implicit-def: $vgpr41
                                        ; implicit-def: $vgpr45
                                        ; implicit-def: $vgpr49
	s_cbranch_execz .LBB138_45
; %bb.44:
	s_waitcnt vmcnt(0)
	v_mad_u64_u32 v[34:35], s[0:1], v52, s15, v[50:51]
	v_lshlrev_b32_e32 v52, 1, v34
	s_lshl_b32 s2, s15, 7
	s_and_b32 s1, s5, 0xffff
	s_mov_b32 s3, 0x20000
	s_mov_b32 s0, s4
	v_add_lshl_u32 v53, v34, s15, 1
	s_movk_i32 s15, 0x80
	buffer_load_dwordx4 v[34:37], v52, s[0:3], 0 offen
	buffer_load_dwordx4 v[42:45], v52, s[0:3], s15 offen
	;; [unrolled: 1-line block ×4, first 2 shown]
.LBB138_45:
	v_lshrrev_b32_e32 v67, 2, v79
	s_cbranch_execnz .LBB138_58
.LBB138_46:
	s_and_b64 vcc, exec, s[6:7]
	s_cbranch_vccz .LBB138_56
; %bb.47:
	s_waitcnt vmcnt(0)
	v_lshlrev_b32_e32 v39, 1, v62
	v_cmp_gt_i32_e32 vcc, s46, v39
	v_mov_b32_e32 v38, 0
	v_lshlrev_b32_e32 v46, 9, v62
	v_mov_b32_e32 v34, 0
	v_mov_b32_e32 v35, 0
	;; [unrolled: 1-line block ×4, first 2 shown]
	s_and_saveexec_b64 s[0:1], vcc
	s_cbranch_execz .LBB138_49
; %bb.48:
	v_mov_b32_e32 v47, 0
	v_lshl_add_u64 v[34:35], s[4:5], 0, v[46:47]
	v_lshlrev_b32_e32 v36, 1, v50
	v_mov_b32_e32 v37, v47
	v_lshl_add_u64 v[34:35], v[34:35], 0, v[36:37]
	global_load_dwordx4 v[34:37], v[34:35], off
.LBB138_49:
	s_or_b64 exec, exec, s[0:1]
	v_or_b32_e32 v39, 1, v39
	v_cmp_gt_i32_e64 s[0:1], s46, v39
	v_lshlrev_b32_e32 v52, 8, v39
	v_mov_b32_e32 v39, 0
	v_mov_b32_e32 v40, 0
	v_mov_b32_e32 v41, 0
	s_and_saveexec_b64 s[2:3], s[0:1]
	s_cbranch_execz .LBB138_51
; %bb.50:
	v_mov_b32_e32 v53, 0
	v_lshl_add_u64 v[38:39], s[4:5], 0, v[52:53]
	v_lshlrev_b32_e32 v40, 1, v50
	v_mov_b32_e32 v41, v53
	v_lshl_add_u64 v[38:39], v[38:39], 0, v[40:41]
	global_load_dwordx4 v[38:41], v[38:39], off
.LBB138_51:
	s_or_b64 exec, exec, s[2:3]
	v_mov_b32_e32 v49, 0
	v_mov_b32_e32 v42, 0
	;; [unrolled: 1-line block ×5, first 2 shown]
	s_and_saveexec_b64 s[2:3], vcc
	s_cbranch_execz .LBB138_53
; %bb.52:
	v_mov_b32_e32 v47, 0
	v_lshl_add_u64 v[42:43], s[4:5], 0, v[46:47]
	v_lshlrev_b32_e32 v46, 1, v50
	v_lshl_add_u64 v[42:43], v[42:43], 0, v[46:47]
	global_load_dwordx4 v[42:45], v[42:43], off offset:128
.LBB138_53:
	s_or_b64 exec, exec, s[2:3]
	v_mov_b32_e32 v48, 0
	v_mov_b32_e32 v47, 0
	;; [unrolled: 1-line block ×3, first 2 shown]
	s_and_saveexec_b64 s[2:3], s[0:1]
	s_cbranch_execz .LBB138_55
; %bb.54:
	v_mov_b32_e32 v53, 0
	v_lshl_add_u64 v[46:47], s[4:5], 0, v[52:53]
	v_lshlrev_b32_e32 v52, 1, v50
	v_lshl_add_u64 v[46:47], v[46:47], 0, v[52:53]
	global_load_dwordx4 v[46:49], v[46:47], off offset:128
.LBB138_55:
	s_or_b64 exec, exec, s[2:3]
	s_branch .LBB138_58
.LBB138_56:
                                        ; implicit-def: $vgpr37
                                        ; implicit-def: $vgpr41
                                        ; implicit-def: $vgpr45
                                        ; implicit-def: $vgpr49
	s_cbranch_execz .LBB138_58
; %bb.57:
	s_waitcnt vmcnt(0)
	v_lshlrev_b32_e32 v34, 1, v50
	v_lshl_or_b32 v50, v62, 9, v34
	s_and_b32 s5, s5, 0xffff
	s_mov_b32 s7, 0x20000
	s_movk_i32 s6, 0x4000
	s_movk_i32 s0, 0x80
	buffer_load_dwordx4 v[34:37], v50, s[4:7], 0 offen
	buffer_load_dwordx4 v[38:41], v50, s[4:7], 0 offen offset:256
	buffer_load_dwordx4 v[42:45], v50, s[4:7], s0 offen
	buffer_load_dwordx4 v[46:49], v50, s[4:7], s0 offen offset:256
.LBB138_58:
	ds_read_b64 v[52:53], v63 offset:57344
	v_add_u32_e32 v50, 0x6000, v58
	ds_read2_b64 v[68:71], v50 offset1:16
	ds_read_b64 v[94:95], v64 offset:57344
	ds_read_b64 v[96:97], v65 offset:57344
	;; [unrolled: 1-line block ×3, first 2 shown]
	v_and_b32_e32 v63, 6, v0
	v_xor_b32_e32 v62, v62, v63
	v_lshlrev_b32_e32 v62, 2, v62
	s_mov_b32 s0, 0x1000504
	s_mov_b32 s1, 0x3020706
	s_waitcnt lgkmcnt(3)
	v_mfma_f32_16x16x16_bf16 a[0:3], v[52:53], v[68:69], a[0:3]
	v_mfma_f32_16x16x16_bf16 a[4:7], v[52:53], v[70:71], a[4:7]
	ds_read2_b64 v[68:71], v50 offset0:32 offset1:48
	v_and_b32_e32 v50, 12, v67
	ds_read2st64_b64 v[64:67], v58 offset0:52 offset1:56
	s_waitcnt lgkmcnt(1)
	v_mfma_f32_16x16x16_bf16 a[8:11], v[52:53], v[68:69], a[8:11]
	v_mfma_f32_16x16x16_bf16 a[12:15], v[52:53], v[70:71], a[12:15]
	ds_read2st64_b64 v[68:71], v59 offset0:52 offset1:56
	ds_read2st64_b64 v[72:75], v60 offset0:52 offset1:56
	;; [unrolled: 1-line block ×3, first 2 shown]
	s_waitcnt lgkmcnt(3)
	v_mfma_f32_16x16x16_bf16 a[0:3], v[94:95], v[64:65], a[0:3]
	ds_read_b64 v[52:53], v58 offset:30720
	ds_read_b64 v[64:65], v59 offset:30720
	;; [unrolled: 1-line block ×4, first 2 shown]
	s_waitcnt lgkmcnt(6)
	v_mfma_f32_16x16x16_bf16 a[4:7], v[94:95], v[68:69], a[4:7]
	v_and_b32_e32 v68, 1, v0
	v_xor_b32_e32 v69, 0x440, v62
	v_cmp_eq_u32_e32 vcc, 0, v68
	s_waitcnt lgkmcnt(5)
	v_mfma_f32_16x16x16_bf16 a[8:11], v[94:95], v[72:73], a[8:11]
	v_cndmask_b32_e32 v62, v69, v62, vcc
	v_lshl_or_b32 v62, v63, 10, v62
	s_waitcnt lgkmcnt(4)
	v_mfma_f32_16x16x16_bf16 a[12:15], v[94:95], v[90:91], a[12:15]
	s_waitcnt vmcnt(0)
	v_perm_b32 v63, v34, v38, s0
	v_perm_b32 v34, v34, v38, s1
	;; [unrolled: 1-line block ×3, first 2 shown]
	v_mfma_f32_16x16x16_bf16 a[0:3], v[96:97], v[66:67], a[0:3]
	v_perm_b32 v66, v42, v46, s0
	ds_write2st64_b32 v62, v63, v66 offset0:128 offset1:160
	v_xor_b32_e32 v63, 8, v62
	v_add_u32_e32 v42, 0x80, v63
	ds_write2st64_b32 v42, v34, v38 offset0:128 offset1:160
	v_xor_b32_e32 v34, 16, v62
	v_perm_b32 v38, v35, v39, s0
	v_perm_b32 v42, v43, v47, s0
	v_mfma_f32_16x16x16_bf16 a[4:7], v[96:97], v[70:71], a[4:7]
	ds_write2st64_b32 v34, v38, v42 offset0:129 offset1:161
	v_xor_b32_e32 v34, 24, v62
	v_perm_b32 v35, v35, v39, s1
	v_mfma_f32_16x16x16_bf16 a[16:19], v[96:97], v[74:75], a[8:11]
	v_perm_b32 v38, v43, v47, s1
	v_add_u32_e32 v34, 0x80, v34
	ds_write2st64_b32 v34, v35, v38 offset0:129 offset1:161
	v_mfma_f32_16x16x16_bf16 a[20:23], v[96:97], v[92:93], a[12:15]
	v_xor_b32_e32 v34, 32, v62
	v_perm_b32 v35, v36, v40, s0
	v_perm_b32 v38, v44, v48, s0
	ds_write2st64_b32 v34, v35, v38 offset0:130 offset1:162
	v_xor_b32_e32 v34, 40, v62
	s_waitcnt lgkmcnt(8)
	v_mfma_f32_16x16x16_bf16 a[12:15], v[98:99], v[52:53], a[0:3]
	v_perm_b32 v35, v36, v40, s1
	v_perm_b32 v36, v44, v48, s1
	v_add_u32_e32 v34, 0x80, v34
	s_waitcnt lgkmcnt(7)
	v_mfma_f32_16x16x16_bf16 a[8:11], v[98:99], v[64:65], a[4:7]
	ds_write2st64_b32 v34, v35, v36 offset0:130 offset1:162
	v_xor_b32_e32 v34, 48, v62
	v_perm_b32 v35, v37, v41, s0
	s_waitcnt lgkmcnt(7)
	v_mfma_f32_16x16x16_bf16 a[4:7], v[98:99], v[100:101], a[16:19]
	v_perm_b32 v36, v45, v49, s0
	ds_write2st64_b32 v34, v35, v36 offset0:131 offset1:163
	v_xor_b32_e32 v34, 56, v62
	s_waitcnt lgkmcnt(7)
	v_mfma_f32_16x16x16_bf16 a[0:3], v[98:99], v[102:103], a[20:23]
	v_or_b32_e32 v48, v50, v77
	v_perm_b32 v35, v37, v41, s1
	v_perm_b32 v36, v45, v49, s1
	v_add_u32_e32 v34, 0x80, v34
	v_cmp_gt_i32_e64 s[0:1], s46, v48
	v_mov_b32_e32 v52, 0
	v_mov_b32_e32 v53, 0
	ds_write2st64_b32 v34, v35, v36 offset0:131 offset1:163
	s_and_saveexec_b64 s[2:3], s[0:1]
	s_cbranch_execz .LBB138_60
; %bb.59:
	v_add_u32_e32 v34, s43, v48
	v_ashrrev_i32_e32 v35, 31, v34
	v_mul_lo_u32 v36, v35, s30
	v_mul_lo_u32 v37, v34, s31
	v_mad_u64_u32 v[34:35], s[4:5], v34, s30, 0
	v_add3_u32 v35, v35, v37, v36
	v_lshl_add_u64 v[34:35], v[34:35], 2, s[10:11]
	global_load_dword v34, v[34:35], off
	s_waitcnt vmcnt(0)
	v_sub_f32_e32 v34, s12, v34
	v_exp_f32_e32 v53, v34
.LBB138_60:
	s_or_b64 exec, exec, s[2:3]
	v_or_b32_e32 v40, 1, v48
	v_cmp_gt_i32_e64 s[2:3], s46, v40
	s_and_saveexec_b64 s[4:5], s[2:3]
	s_cbranch_execz .LBB138_62
; %bb.61:
	v_add_u32_e32 v34, s43, v40
	v_ashrrev_i32_e32 v35, 31, v34
	v_mul_lo_u32 v36, v35, s30
	v_mul_lo_u32 v37, v34, s31
	v_mad_u64_u32 v[34:35], s[6:7], v34, s30, 0
	v_add3_u32 v35, v35, v37, v36
	v_lshl_add_u64 v[34:35], v[34:35], 2, s[10:11]
	global_load_dword v34, v[34:35], off
	s_waitcnt vmcnt(0)
	v_sub_f32_e32 v34, s12, v34
	v_exp_f32_e32 v52, v34
.LBB138_62:
	s_or_b64 exec, exec, s[4:5]
	v_or_b32_e32 v41, 2, v48
	v_cmp_gt_i32_e64 s[4:5], s46, v41
	v_mov_b32_e32 v49, 0
	v_mov_b32_e32 v62, 0
	s_and_saveexec_b64 s[6:7], s[4:5]
	s_cbranch_execz .LBB138_64
; %bb.63:
	v_add_u32_e32 v34, s43, v41
	v_ashrrev_i32_e32 v35, 31, v34
	v_mul_lo_u32 v36, v35, s30
	v_mul_lo_u32 v37, v34, s31
	v_mad_u64_u32 v[34:35], s[20:21], v34, s30, 0
	v_add3_u32 v35, v35, v37, v36
	v_lshl_add_u64 v[34:35], v[34:35], 2, s[10:11]
	global_load_dword v34, v[34:35], off
	s_waitcnt vmcnt(0)
	v_sub_f32_e32 v34, s12, v34
	v_exp_f32_e32 v62, v34
.LBB138_64:
	s_or_b64 exec, exec, s[6:7]
	v_or_b32_e32 v63, 3, v48
	v_cmp_gt_i32_e32 vcc, s46, v63
	s_and_saveexec_b64 s[6:7], vcc
	s_cbranch_execz .LBB138_66
; %bb.65:
	v_add_u32_e32 v34, s43, v63
	v_ashrrev_i32_e32 v35, 31, v34
	v_mul_lo_u32 v36, v35, s30
	v_mul_lo_u32 v37, v34, s31
	v_mad_u64_u32 v[34:35], s[20:21], v34, s30, 0
	v_add3_u32 v35, v35, v37, v36
	v_lshl_add_u64 v[34:35], v[34:35], 2, s[10:11]
	global_load_dword v34, v[34:35], off
	s_waitcnt vmcnt(0)
	v_sub_f32_e32 v34, s12, v34
	v_exp_f32_e32 v49, v34
.LBB138_66:
	s_or_b64 exec, exec, s[6:7]
	s_add_u32 s6, s8, s24
	v_accvgpr_read_b32 v37, a15
	s_addc_u32 s7, s9, s25
	v_ashrrev_i32_e32 v89, 31, v88
	v_accvgpr_read_b32 v36, a14
	v_accvgpr_read_b32 v35, a13
	;; [unrolled: 1-line block ×3, first 2 shown]
	v_lshl_add_u64 v[38:39], v[88:89], 1, s[6:7]
	v_mov_b32_e32 v45, 0
	v_lshlrev_b32_e32 v42, 8, v48
	v_mov_b32_e32 v43, 0
	s_and_saveexec_b64 s[6:7], s[0:1]
	s_cbranch_execz .LBB138_68
; %bb.67:
	v_mov_b32_e32 v43, 0
	v_lshl_add_u64 v[46:47], v[38:39], 0, v[42:43]
	global_load_ushort v43, v[46:47], off
	s_waitcnt vmcnt(0)
	v_lshlrev_b32_e32 v43, 16, v43
	v_sub_f32_e32 v34, v43, v34
	v_mul_f32_e32 v34, v53, v34
	v_lshrrev_b32_e32 v43, 16, v34
.LBB138_68:
	s_or_b64 exec, exec, s[6:7]
	v_lshlrev_b32_e32 v44, 8, v40
	s_and_saveexec_b64 s[6:7], s[2:3]
	s_cbranch_execz .LBB138_70
; %bb.69:
	v_mov_b32_e32 v45, 0
	v_lshl_add_u64 v[46:47], v[38:39], 0, v[44:45]
	global_load_ushort v34, v[46:47], off
	s_waitcnt vmcnt(0)
	v_lshlrev_b32_e32 v34, 16, v34
	v_sub_f32_e32 v34, v34, v35
	v_mul_f32_e32 v34, v52, v34
	v_lshrrev_b32_e32 v45, 16, v34
.LBB138_70:
	s_or_b64 exec, exec, s[6:7]
	v_mov_b32_e32 v64, 0
	v_lshlrev_b32_e32 v46, 8, v41
	v_mov_b32_e32 v47, 0
	s_and_saveexec_b64 s[6:7], s[4:5]
	s_cbranch_execz .LBB138_72
; %bb.71:
	v_mov_b32_e32 v47, 0
	v_lshl_add_u64 v[34:35], v[38:39], 0, v[46:47]
	global_load_ushort v34, v[34:35], off
	s_waitcnt vmcnt(0)
	v_lshlrev_b32_e32 v34, 16, v34
	v_sub_f32_e32 v34, v34, v36
	v_mul_f32_e32 v34, v62, v34
	v_lshrrev_b32_e32 v47, 16, v34
.LBB138_72:
	s_or_b64 exec, exec, s[6:7]
	v_lshlrev_b32_e32 v40, 8, v63
	s_and_saveexec_b64 s[6:7], vcc
	s_cbranch_execz .LBB138_74
; %bb.73:
	v_mov_b32_e32 v41, 0
	v_lshl_add_u64 v[34:35], v[38:39], 0, v[40:41]
	global_load_ushort v34, v[34:35], off
	s_waitcnt vmcnt(0)
	v_lshlrev_b32_e32 v34, 16, v34
	v_sub_f32_e32 v34, v34, v37
	v_mul_f32_e32 v34, v49, v34
	v_lshrrev_b32_e32 v64, 16, v34
.LBB138_74:
	s_or_b64 exec, exec, s[6:7]
	v_lshlrev_b32_e32 v63, 6, v48
	v_accvgpr_read_b32 v37, a11
	s_mov_b32 s6, 0x5040100
	v_or_b32_e32 v41, v63, v57
	v_accvgpr_read_b32 v36, a10
	v_accvgpr_read_b32 v35, a9
	;; [unrolled: 1-line block ×3, first 2 shown]
	v_perm_b32 v65, v64, v47, s6
	v_perm_b32 v64, v45, v43, s6
	v_lshlrev_b32_e32 v41, 1, v41
	v_mov_b32_e32 v45, 0
	v_mov_b32_e32 v43, 0
	ds_write_b64 v41, v[64:65] offset:24576
	s_and_saveexec_b64 s[6:7], s[0:1]
	s_cbranch_execz .LBB138_76
; %bb.75:
	v_mov_b32_e32 v43, 0
	v_lshl_add_u64 v[64:65], v[38:39], 0, v[42:43]
	global_load_ushort v41, v[64:65], off offset:32
	s_waitcnt vmcnt(0)
	v_lshlrev_b32_e32 v41, 16, v41
	v_sub_f32_e32 v34, v41, v34
	v_mul_f32_e32 v34, v53, v34
	v_lshrrev_b32_e32 v43, 16, v34
.LBB138_76:
	s_or_b64 exec, exec, s[6:7]
	s_and_saveexec_b64 s[6:7], s[2:3]
	s_cbranch_execz .LBB138_78
; %bb.77:
	v_mov_b32_e32 v45, 0
	v_lshl_add_u64 v[64:65], v[38:39], 0, v[44:45]
	global_load_ushort v34, v[64:65], off offset:32
	s_waitcnt vmcnt(0)
	v_lshlrev_b32_e32 v34, 16, v34
	v_sub_f32_e32 v34, v34, v35
	v_mul_f32_e32 v34, v52, v34
	v_lshrrev_b32_e32 v45, 16, v34
.LBB138_78:
	s_or_b64 exec, exec, s[6:7]
	v_mov_b32_e32 v41, 0
	v_mov_b32_e32 v47, 0
	s_and_saveexec_b64 s[6:7], s[4:5]
	s_cbranch_execz .LBB138_80
; %bb.79:
	v_mov_b32_e32 v47, 0
	v_lshl_add_u64 v[34:35], v[38:39], 0, v[46:47]
	global_load_ushort v34, v[34:35], off offset:32
	s_waitcnt vmcnt(0)
	v_lshlrev_b32_e32 v34, 16, v34
	v_sub_f32_e32 v34, v34, v36
	v_mul_f32_e32 v34, v62, v34
	v_lshrrev_b32_e32 v47, 16, v34
.LBB138_80:
	s_or_b64 exec, exec, s[6:7]
	s_and_saveexec_b64 s[6:7], vcc
	s_cbranch_execz .LBB138_82
; %bb.81:
	v_mov_b32_e32 v41, 0
	v_lshl_add_u64 v[34:35], v[38:39], 0, v[40:41]
	global_load_ushort v34, v[34:35], off offset:32
	s_waitcnt vmcnt(0)
	v_lshlrev_b32_e32 v34, 16, v34
	v_sub_f32_e32 v34, v34, v37
	v_mul_f32_e32 v34, v49, v34
	v_lshrrev_b32_e32 v41, 16, v34
.LBB138_82:
	s_or_b64 exec, exec, s[6:7]
	s_mov_b32 s6, 0x5040100
	v_accvgpr_read_b32 v37, a7
	v_perm_b32 v65, v41, v47, s6
	v_or_b32_e32 v41, v63, v55
	v_accvgpr_read_b32 v36, a6
	v_accvgpr_read_b32 v35, a5
	;; [unrolled: 1-line block ×3, first 2 shown]
	v_perm_b32 v64, v45, v43, s6
	v_lshlrev_b32_e32 v41, 1, v41
	v_mov_b32_e32 v45, 0
	v_mov_b32_e32 v43, 0
	ds_write_b64 v41, v[64:65] offset:24576
	s_and_saveexec_b64 s[6:7], s[0:1]
	s_cbranch_execz .LBB138_84
; %bb.83:
	v_mov_b32_e32 v43, 0
	v_lshl_add_u64 v[64:65], v[38:39], 0, v[42:43]
	global_load_ushort v41, v[64:65], off offset:64
	s_waitcnt vmcnt(0)
	v_lshlrev_b32_e32 v41, 16, v41
	v_sub_f32_e32 v34, v41, v34
	v_mul_f32_e32 v34, v53, v34
	v_lshrrev_b32_e32 v43, 16, v34
.LBB138_84:
	s_or_b64 exec, exec, s[6:7]
	s_and_saveexec_b64 s[6:7], s[2:3]
	s_cbranch_execz .LBB138_86
; %bb.85:
	v_mov_b32_e32 v45, 0
	v_lshl_add_u64 v[64:65], v[38:39], 0, v[44:45]
	global_load_ushort v34, v[64:65], off offset:64
	s_waitcnt vmcnt(0)
	v_lshlrev_b32_e32 v34, 16, v34
	v_sub_f32_e32 v34, v34, v35
	v_mul_f32_e32 v34, v52, v34
	v_lshrrev_b32_e32 v45, 16, v34
.LBB138_86:
	s_or_b64 exec, exec, s[6:7]
	v_mov_b32_e32 v41, 0
	v_mov_b32_e32 v47, 0
	s_and_saveexec_b64 s[6:7], s[4:5]
	s_cbranch_execz .LBB138_88
; %bb.87:
	v_mov_b32_e32 v47, 0
	v_lshl_add_u64 v[34:35], v[38:39], 0, v[46:47]
	global_load_ushort v34, v[34:35], off offset:64
	s_waitcnt vmcnt(0)
	v_lshlrev_b32_e32 v34, 16, v34
	v_sub_f32_e32 v34, v34, v36
	v_mul_f32_e32 v34, v62, v34
	v_lshrrev_b32_e32 v47, 16, v34
.LBB138_88:
	s_or_b64 exec, exec, s[6:7]
	s_and_saveexec_b64 s[6:7], vcc
	s_cbranch_execz .LBB138_90
; %bb.89:
	v_mov_b32_e32 v41, 0
	v_lshl_add_u64 v[34:35], v[38:39], 0, v[40:41]
	global_load_ushort v34, v[34:35], off offset:64
	s_waitcnt vmcnt(0)
	v_lshlrev_b32_e32 v34, 16, v34
	v_sub_f32_e32 v34, v34, v37
	v_mul_f32_e32 v34, v49, v34
	v_lshrrev_b32_e32 v41, 16, v34
.LBB138_90:
	s_or_b64 exec, exec, s[6:7]
	s_mov_b32 s6, 0x5040100
	v_accvgpr_read_b32 v37, a3
	v_perm_b32 v65, v41, v47, s6
	v_or_b32_e32 v41, v63, v54
	v_accvgpr_read_b32 v36, a2
	v_accvgpr_read_b32 v35, a1
	;; [unrolled: 1-line block ×3, first 2 shown]
	v_perm_b32 v64, v45, v43, s6
	v_lshlrev_b32_e32 v41, 1, v41
	v_mov_b32_e32 v45, 0
	v_mov_b32_e32 v43, 0
	ds_write_b64 v41, v[64:65] offset:24576
	s_and_saveexec_b64 s[6:7], s[0:1]
	s_cbranch_execz .LBB138_92
; %bb.91:
	v_mov_b32_e32 v43, 0
	v_lshl_add_u64 v[42:43], v[38:39], 0, v[42:43]
	global_load_ushort v41, v[42:43], off offset:96
	s_waitcnt vmcnt(0)
	v_lshlrev_b32_e32 v41, 16, v41
	v_sub_f32_e32 v34, v41, v34
	v_mul_f32_e32 v34, v53, v34
	v_lshrrev_b32_e32 v43, 16, v34
.LBB138_92:
	s_or_b64 exec, exec, s[6:7]
	s_and_saveexec_b64 s[0:1], s[2:3]
	s_cbranch_execz .LBB138_94
; %bb.93:
	v_mov_b32_e32 v45, 0
	v_lshl_add_u64 v[44:45], v[38:39], 0, v[44:45]
	global_load_ushort v34, v[44:45], off offset:96
	s_waitcnt vmcnt(0)
	v_lshlrev_b32_e32 v34, 16, v34
	v_sub_f32_e32 v34, v34, v35
	v_mul_f32_e32 v34, v52, v34
	v_lshrrev_b32_e32 v45, 16, v34
.LBB138_94:
	s_or_b64 exec, exec, s[0:1]
	v_mov_b32_e32 v41, 0
	v_mov_b32_e32 v44, 0
	s_and_saveexec_b64 s[0:1], s[4:5]
	s_cbranch_execz .LBB138_96
; %bb.95:
	v_mov_b32_e32 v47, 0
	v_lshl_add_u64 v[34:35], v[38:39], 0, v[46:47]
	global_load_ushort v34, v[34:35], off offset:96
	s_waitcnt vmcnt(0)
	v_lshlrev_b32_e32 v34, 16, v34
	v_sub_f32_e32 v34, v34, v36
	v_mul_f32_e32 v34, v62, v34
	v_lshrrev_b32_e32 v44, 16, v34
.LBB138_96:
	s_or_b64 exec, exec, s[0:1]
	v_or_b32_e32 v34, 0x6000, v58
	v_or_b32_e32 v35, 0x6000, v59
	;; [unrolled: 1-line block ×4, first 2 shown]
	s_and_saveexec_b64 s[0:1], vcc
	s_cbranch_execz .LBB138_98
; %bb.97:
	v_mov_b32_e32 v41, 0
	v_lshl_add_u64 v[38:39], v[38:39], 0, v[40:41]
	global_load_ushort v38, v[38:39], off offset:96
	s_waitcnt vmcnt(0)
	v_lshlrev_b32_e32 v38, 16, v38
	v_sub_f32_e32 v37, v38, v37
	v_mul_f32_e32 v37, v49, v37
	v_lshrrev_b32_e32 v41, 16, v37
.LBB138_98:
	s_or_b64 exec, exec, s[0:1]
	s_mov_b32 s0, 0x5040100
	v_or_b32_e32 v37, v63, v51
	v_perm_b32 v39, v41, v44, s0
	v_perm_b32 v38, v45, v43, s0
	v_lshlrev_b32_e32 v37, 1, v37
	ds_write_b64 v37, v[38:39] offset:24576
	v_and_b32_e32 v37, 7, v0
	v_and_b32_e32 v43, 8, v0
	v_lshlrev_b32_e32 v49, 3, v37
	v_lshlrev_b32_e32 v79, 7, v37
	v_lshrrev_b32_e32 v37, 1, v0
	v_and_b32_e32 v37, 24, v37
	v_mov_b32_e32 v44, 0x400
	v_cmp_eq_u32_e32 vcc, 0, v43
	s_movk_i32 s2, 0x100
	v_lshlrev_b32_e32 v51, 3, v1
	v_cndmask_b32_e64 v43, v44, 64, vcc
	v_mov_b32_e32 v44, 0xa000
	v_mov_b32_e32 v45, 0x8000
	v_cmp_gt_u32_e64 s[0:1], s2, v0
	v_xor_b32_e32 v57, v51, v37
	v_or3_b32 v43, v56, v43, v57
	v_cndmask_b32_e64 v0, v44, v45, s[0:1]
	v_or_b32_e32 v44, 0x440, v57
	v_cndmask_b32_e32 v44, v44, v57, vcc
	v_or_b32_e32 v44, v44, v56
	v_xor_b32_e32 v43, v43, v49
	v_xor_b32_e32 v90, v44, v49
	v_or_b32_e32 v92, v43, v79
	v_add3_u32 v44, v0, v90, v79
	v_or_b32_e32 v43, v0, v92
	s_waitcnt lgkmcnt(0)
	s_barrier
	ds_read_b64 v[58:59], v44
	ds_read_b64 v[74:75], v43
	v_or_b32_e32 v44, 32, v37
	v_or_b32_e32 v37, 0x60, v37
	v_xor_b32_e32 v44, v51, v44
	v_xor_b32_e32 v37, v51, v37
	v_or_b32_e32 v45, 0x440, v44
	v_xor_b32_e32 v43, 0x440, v37
	v_cndmask_b32_e32 v44, v45, v44, vcc
	v_cndmask_b32_e32 v37, v43, v37, vcc
	v_or_b32_e32 v44, v44, v56
	v_or_b32_e32 v37, v37, v56
	v_xor_b32_e32 v91, v44, v49
	v_xor_b32_e32 v93, v37, v49
	v_add3_u32 v44, v0, v91, v79
	v_add3_u32 v0, v0, v93, v79
	ds_read2_b64 v[38:41], v34 offset1:16
	ds_read_b64 v[70:71], v44
	ds_read_b64 v[56:57], v0
	ds_read2_b64 v[44:47], v34 offset0:32 offset1:48
	s_add_i32 s0, s14, s49
	s_mul_hi_i32 s1, s0, s13
	s_mul_i32 s0, s0, s13
	s_waitcnt lgkmcnt(3)
	v_mfma_f32_16x16x16_bf16 a[0:3], v[58:59], v[38:39], 0
	ds_read2st64_b64 v[52:55], v34 offset0:4 offset1:8
	s_add_u32 s0, s0, s33
	ds_read2st64_b64 v[62:65], v36 offset0:4 offset1:8
	v_mfma_f32_16x16x16_bf16 a[4:7], v[58:59], v[40:41], 0
	ds_read2st64_b64 v[66:69], v42 offset0:4 offset1:8
	s_addc_u32 s1, s1, s48
	s_lshl_b64 s[0:1], s[0:1], 9
	s_waitcnt lgkmcnt(3)
	v_mfma_f32_16x16x16_bf16 a[8:11], v[58:59], v[44:45], 0
	s_add_u32 s0, s16, s0
	s_addc_u32 s1, s17, s1
	v_lshlrev_b32_e32 v0, 2, v48
	v_mfma_f32_16x16x16_bf16 a[12:15], v[58:59], v[46:47], 0
	ds_read2st64_b64 v[58:61], v35 offset0:4 offset1:8
	s_waitcnt lgkmcnt(3)
	v_mfma_f32_16x16x16_bf16 a[0:3], v[70:71], v[52:53], a[0:3]
	s_waitcnt lgkmcnt(0)
	v_mfma_f32_16x16x16_bf16 a[4:7], v[70:71], v[58:59], a[4:7]
	v_mfma_f32_16x16x16_bf16 a[8:11], v[70:71], v[62:63], a[8:11]
	;; [unrolled: 1-line block ×3, first 2 shown]
	global_load_dwordx4 v[70:73], v0, s[0:1]
	v_lshlrev_b32_e32 v0, 6, v1
	v_lshlrev_b32_e32 v1, 2, v50
	v_or3_b32 v0, v0, v1, s2
	global_load_dwordx4 v[48:51], v0, s[0:1]
	v_mfma_f32_16x16x16_bf16 a[0:3], v[74:75], v[54:55], a[0:3]
	v_exp_f32_e32 v0, s12
	s_waitcnt vmcnt(1)
	v_exp_f32_e32 v37, v73
	v_mfma_f32_16x16x16_bf16 a[4:7], v[74:75], v[60:61], a[4:7]
	v_mfma_f32_16x16x16_bf16 a[8:11], v[74:75], v[64:65], a[8:11]
	;; [unrolled: 1-line block ×3, first 2 shown]
	ds_read_b64 v[74:75], v34 offset:6144
	ds_read_b64 v[76:77], v35 offset:6144
	;; [unrolled: 1-line block ×4, first 2 shown]
	v_exp_f32_e32 v34, v70
	v_exp_f32_e32 v35, v71
	;; [unrolled: 1-line block ×3, first 2 shown]
	s_waitcnt lgkmcnt(3)
	v_mfma_f32_16x16x16_bf16 a[0:3], v[56:57], v[74:75], a[0:3]
	v_add_u32_e32 v72, v93, v79
	v_pk_mul_f32 v[34:35], v[0:1], v[34:35] op_sel_hi:[0,1]
	v_add_u32_e32 v1, v90, v79
	ds_read_b64 v[70:71], v1 offset:40960
	v_pk_mul_f32 v[36:37], v[0:1], v[36:37] op_sel_hi:[0,1]
	v_add_u32_e32 v1, v91, v79
	s_waitcnt lgkmcnt(3)
	v_mfma_f32_16x16x16_bf16 a[4:7], v[56:57], v[76:77], a[4:7]
	v_pk_mul_f32 v[22:23], v[22:23], v[34:35]
	v_pk_mul_f32 v[24:25], v[24:25], v[36:37]
	;; [unrolled: 1-line block ×3, first 2 shown]
	s_waitcnt lgkmcnt(2)
	v_mfma_f32_16x16x16_bf16 a[8:11], v[56:57], v[88:89], a[8:11]
	v_pk_mul_f32 v[20:21], v[36:37], v[20:21]
	v_pk_mul_f32 v[30:31], v[34:35], v[30:31]
	;; [unrolled: 1-line block ×3, first 2 shown]
	s_waitcnt lgkmcnt(1)
	v_mfma_f32_16x16x16_bf16 a[12:15], v[56:57], v[42:43], a[12:15]
	ds_read_b64 v[56:57], v1 offset:40960
	ds_read_b64 v[72:73], v72 offset:40960
	v_accvgpr_read_b32 v1, a0
	v_add_f32_e32 v22, v22, v1
	s_waitcnt lgkmcnt(2)
	v_mfma_f32_16x16x16_bf16 a[20:23], v[70:71], v[40:41], 0
	ds_read_b64 v[40:41], v92 offset:40960
	v_accvgpr_read_b32 v1, a1
	v_add_f32_e32 v23, v23, v1
	v_mfma_f32_16x16x16_bf16 a[16:19], v[70:71], v[38:39], 0
	v_accvgpr_read_b32 v1, a2
	v_add_f32_e32 v24, v24, v1
	v_accvgpr_read_b32 v1, a3
	s_waitcnt lgkmcnt(2)
	v_mfma_f32_16x16x16_bf16 a[0:3], v[56:57], v[52:53], a[16:19]
	v_add_f32_e32 v25, v25, v1
	v_accvgpr_read_b32 v1, a4
	v_accvgpr_read_b32 v39, a15
	;; [unrolled: 1-line block ×3, first 2 shown]
	v_mfma_f32_16x16x16_bf16 a[24:27], v[70:71], v[44:45], 0
	v_add_f32_e32 v18, v18, v1
	v_accvgpr_read_b32 v1, a5
	v_accvgpr_read_b32 v45, a13
	v_mfma_f32_16x16x16_bf16 a[14:17], v[56:57], v[58:59], a[20:23]
	v_add_f32_e32 v19, v19, v1
	v_accvgpr_read_b32 v1, a6
	v_accvgpr_read_b32 v44, a12
	s_waitcnt lgkmcnt(0)
	v_mfma_f32_16x16x16_bf16 a[0:3], v[40:41], v[54:55], a[0:3]
	v_add_f32_e32 v20, v20, v1
	v_accvgpr_read_b32 v1, a7
	v_pk_fma_f32 v[6:7], v[34:35], v[6:7], v[44:45]
	v_pk_fma_f32 v[8:9], v[36:37], v[8:9], v[38:39]
	s_waitcnt vmcnt(0)
	v_mov_b32_e32 v34, v49
	v_add_f32_e32 v21, v21, v1
	v_accvgpr_read_b32 v1, a8
	v_exp_f32_e32 v38, v48
	v_exp_f32_e32 v39, v34
	v_mfma_f32_16x16x16_bf16 a[28:31], v[70:71], v[46:47], 0
	v_add_f32_e32 v30, v30, v1
	v_accvgpr_read_b32 v1, a9
	v_mov_b32_e32 v35, v50
	v_mfma_f32_16x16x16_bf16 a[18:21], v[56:57], v[62:63], a[24:27]
	v_mov_b32_e32 v36, v51
	v_add_f32_e32 v31, v31, v1
	v_accvgpr_read_b32 v1, a10
	v_mfma_f32_16x16x16_bf16 a[14:17], v[40:41], v[60:61], a[14:17]
	v_exp_f32_e32 v34, v35
	v_exp_f32_e32 v35, v36
	v_add_f32_e32 v32, v32, v1
	v_mfma_f32_16x16x16_bf16 a[0:3], v[72:73], v[74:75], a[0:3]
	v_accvgpr_read_b32 v1, a11
	v_pk_mul_f32 v[36:37], v[0:1], v[38:39] op_sel_hi:[0,1]
	v_pk_mul_f32 v[10:11], v[10:11], v[36:37]
	v_mfma_f32_16x16x16_bf16 a[4:7], v[56:57], v[66:67], a[28:31]
	v_add_f32_e32 v33, v33, v1
	v_pk_mul_f32 v[0:1], v[0:1], v[34:35] op_sel_hi:[0,1]
	v_pk_mul_f32 v[12:13], v[12:13], v[0:1]
	v_mfma_f32_16x16x16_bf16 a[8:11], v[40:41], v[64:65], a[18:21]
	v_accvgpr_read_b32 v38, a0
	v_add_f32_e32 v10, v10, v38
	v_accvgpr_read_b32 v38, a1
	v_mfma_f32_16x16x16_bf16 a[12:15], v[72:73], v[76:77], a[14:17]
	v_add_f32_e32 v11, v11, v38
	v_accvgpr_read_b32 v38, a2
	v_add_f32_e32 v12, v12, v38
	v_accvgpr_read_b32 v38, a3
	v_mfma_f32_16x16x16_bf16 a[4:7], v[40:41], v[68:69], a[4:7]
	v_pk_mul_f32 v[14:15], v[36:37], v[14:15]
	v_add_f32_e32 v13, v13, v38
	v_accvgpr_read_b32 v38, a12
	v_mfma_f32_16x16x16_bf16 a[8:11], v[72:73], v[88:89], a[8:11]
	v_add_f32_e32 v14, v14, v38
	v_accvgpr_read_b32 v38, a13
	v_pk_mul_f32 v[16:17], v[0:1], v[16:17]
	v_add_f32_e32 v15, v15, v38
	v_accvgpr_read_b32 v38, a14
	v_add_f32_e32 v16, v16, v38
	v_accvgpr_read_b32 v38, a15
	v_pk_mul_f32 v[26:27], v[36:37], v[26:27]
	v_mfma_f32_16x16x16_bf16 a[4:7], v[72:73], v[42:43], a[4:7]
	v_add_f32_e32 v17, v17, v38
	v_accvgpr_read_b32 v38, a8
	v_add_f32_e32 v26, v26, v38
	v_accvgpr_read_b32 v38, a9
	v_pk_mul_f32 v[28:29], v[0:1], v[28:29]
	v_add_f32_e32 v27, v27, v38
	v_accvgpr_read_b32 v38, a10
	v_add_f32_e32 v28, v28, v38
	v_accvgpr_read_b32 v38, a11
	;; [unrolled: 2-line block ×3, first 2 shown]
	v_accvgpr_read_b32 v35, a7
	v_accvgpr_read_b32 v34, a6
	;; [unrolled: 1-line block ×3, first 2 shown]
	v_pk_fma_f32 v[2:3], v[36:37], v[2:3], v[38:39]
	v_pk_fma_f32 v[4:5], v[0:1], v[4:5], v[34:35]
.LBB138_99:
	s_add_u32 s0, s18, s28
	s_addc_u32 s1, s19, s29
	v_lshl_add_u64 v[0:1], v[80:81], 2, s[0:1]
	v_mov_b32_e32 v79, 0
	v_lshl_add_u64 v[0:1], v[0:1], 0, v[78:79]
	s_waitcnt vmcnt(7)
	global_store_dwordx4 v[0:1], v[22:25], off
	s_waitcnt vmcnt(7)
	global_store_dwordx4 v[0:1], v[10:13], off offset:256
	v_lshl_add_u64 v[0:1], v[82:83], 2, s[0:1]
	v_lshl_add_u64 v[0:1], v[0:1], 0, v[78:79]
	s_waitcnt vmcnt(7)
	global_store_dwordx4 v[0:1], v[18:21], off
	s_waitcnt vmcnt(7)
	global_store_dwordx4 v[0:1], v[14:17], off offset:256
	v_lshl_add_u64 v[0:1], v[86:87], 2, s[0:1]
	;; [unrolled: 6-line block ×3, first 2 shown]
	v_lshl_add_u64 v[0:1], v[0:1], 0, v[78:79]
	s_waitcnt vmcnt(7)
	global_store_dwordx4 v[0:1], v[6:9], off
	s_waitcnt vmcnt(7)
	global_store_dwordx4 v[0:1], v[2:5], off offset:256
	s_endpgm
	.section	.rodata,"a",@progbits
	.p2align	6, 0x0
	.amdhsa_kernel _ZN12_GLOBAL__N_139chunk_gated_delta_rule_fwd_h_hip_kernelILi64ELb1ELb1ELb0ELb0ELb1ELb1ELb1ELb0EEEvPK12hip_bfloat16S3_S3_PKfS5_PKvPS1_S8_PvPKiSB_iiiiilll
		.amdhsa_group_segment_fixed_size 65536
		.amdhsa_private_segment_fixed_size 0
		.amdhsa_kernarg_size 136
		.amdhsa_user_sgpr_count 2
		.amdhsa_user_sgpr_dispatch_ptr 0
		.amdhsa_user_sgpr_queue_ptr 0
		.amdhsa_user_sgpr_kernarg_segment_ptr 1
		.amdhsa_user_sgpr_dispatch_id 0
		.amdhsa_user_sgpr_kernarg_preload_length 0
		.amdhsa_user_sgpr_kernarg_preload_offset 0
		.amdhsa_user_sgpr_private_segment_size 0
		.amdhsa_uses_dynamic_stack 0
		.amdhsa_enable_private_segment 0
		.amdhsa_system_sgpr_workgroup_id_x 1
		.amdhsa_system_sgpr_workgroup_id_y 1
		.amdhsa_system_sgpr_workgroup_id_z 0
		.amdhsa_system_sgpr_workgroup_info 0
		.amdhsa_system_vgpr_workitem_id 0
		.amdhsa_next_free_vgpr 240
		.amdhsa_next_free_sgpr 73
		.amdhsa_accum_offset 200
		.amdhsa_reserve_vcc 1
		.amdhsa_float_round_mode_32 0
		.amdhsa_float_round_mode_16_64 0
		.amdhsa_float_denorm_mode_32 3
		.amdhsa_float_denorm_mode_16_64 3
		.amdhsa_dx10_clamp 1
		.amdhsa_ieee_mode 1
		.amdhsa_fp16_overflow 0
		.amdhsa_tg_split 0
		.amdhsa_exception_fp_ieee_invalid_op 0
		.amdhsa_exception_fp_denorm_src 0
		.amdhsa_exception_fp_ieee_div_zero 0
		.amdhsa_exception_fp_ieee_overflow 0
		.amdhsa_exception_fp_ieee_underflow 0
		.amdhsa_exception_fp_ieee_inexact 0
		.amdhsa_exception_int_div_zero 0
	.end_amdhsa_kernel
	.section	.text._ZN12_GLOBAL__N_139chunk_gated_delta_rule_fwd_h_hip_kernelILi64ELb1ELb1ELb0ELb0ELb1ELb1ELb1ELb0EEEvPK12hip_bfloat16S3_S3_PKfS5_PKvPS1_S8_PvPKiSB_iiiiilll,"axG",@progbits,_ZN12_GLOBAL__N_139chunk_gated_delta_rule_fwd_h_hip_kernelILi64ELb1ELb1ELb0ELb0ELb1ELb1ELb1ELb0EEEvPK12hip_bfloat16S3_S3_PKfS5_PKvPS1_S8_PvPKiSB_iiiiilll,comdat
.Lfunc_end138:
	.size	_ZN12_GLOBAL__N_139chunk_gated_delta_rule_fwd_h_hip_kernelILi64ELb1ELb1ELb0ELb0ELb1ELb1ELb1ELb0EEEvPK12hip_bfloat16S3_S3_PKfS5_PKvPS1_S8_PvPKiSB_iiiiilll, .Lfunc_end138-_ZN12_GLOBAL__N_139chunk_gated_delta_rule_fwd_h_hip_kernelILi64ELb1ELb1ELb0ELb0ELb1ELb1ELb1ELb0EEEvPK12hip_bfloat16S3_S3_PKfS5_PKvPS1_S8_PvPKiSB_iiiiilll
                                        ; -- End function
	.section	.AMDGPU.csdata,"",@progbits
; Kernel info:
; codeLenInByte = 12448
; NumSgprs: 79
; NumVgprs: 198
; NumAgprs: 40
; TotalNumVgprs: 240
; ScratchSize: 0
; MemoryBound: 0
; FloatMode: 240
; IeeeMode: 1
; LDSByteSize: 65536 bytes/workgroup (compile time only)
; SGPRBlocks: 9
; VGPRBlocks: 29
; NumSGPRsForWavesPerEU: 79
; NumVGPRsForWavesPerEU: 240
; AccumOffset: 200
; Occupancy: 1
; WaveLimiterHint : 1
; COMPUTE_PGM_RSRC2:SCRATCH_EN: 0
; COMPUTE_PGM_RSRC2:USER_SGPR: 2
; COMPUTE_PGM_RSRC2:TRAP_HANDLER: 0
; COMPUTE_PGM_RSRC2:TGID_X_EN: 1
; COMPUTE_PGM_RSRC2:TGID_Y_EN: 1
; COMPUTE_PGM_RSRC2:TGID_Z_EN: 0
; COMPUTE_PGM_RSRC2:TIDIG_COMP_CNT: 0
; COMPUTE_PGM_RSRC3_GFX90A:ACCUM_OFFSET: 49
; COMPUTE_PGM_RSRC3_GFX90A:TG_SPLIT: 0
	.section	.text._ZN12_GLOBAL__N_139chunk_gated_delta_rule_fwd_h_hip_kernelILi64ELb1ELb0ELb1ELb0ELb1ELb1ELb1ELb0EEEvPK12hip_bfloat16S3_S3_PKfS5_PKvPS1_S8_PvPKiSB_iiiiilll,"axG",@progbits,_ZN12_GLOBAL__N_139chunk_gated_delta_rule_fwd_h_hip_kernelILi64ELb1ELb0ELb1ELb0ELb1ELb1ELb1ELb0EEEvPK12hip_bfloat16S3_S3_PKfS5_PKvPS1_S8_PvPKiSB_iiiiilll,comdat
	.globl	_ZN12_GLOBAL__N_139chunk_gated_delta_rule_fwd_h_hip_kernelILi64ELb1ELb0ELb1ELb0ELb1ELb1ELb1ELb0EEEvPK12hip_bfloat16S3_S3_PKfS5_PKvPS1_S8_PvPKiSB_iiiiilll ; -- Begin function _ZN12_GLOBAL__N_139chunk_gated_delta_rule_fwd_h_hip_kernelILi64ELb1ELb0ELb1ELb0ELb1ELb1ELb1ELb0EEEvPK12hip_bfloat16S3_S3_PKfS5_PKvPS1_S8_PvPKiSB_iiiiilll
	.p2align	8
	.type	_ZN12_GLOBAL__N_139chunk_gated_delta_rule_fwd_h_hip_kernelILi64ELb1ELb0ELb1ELb0ELb1ELb1ELb1ELb0EEEvPK12hip_bfloat16S3_S3_PKfS5_PKvPS1_S8_PvPKiSB_iiiiilll,@function
_ZN12_GLOBAL__N_139chunk_gated_delta_rule_fwd_h_hip_kernelILi64ELb1ELb0ELb1ELb0ELb1ELb1ELb1ELb0EEEvPK12hip_bfloat16S3_S3_PKfS5_PKvPS1_S8_PvPKiSB_iiiiilll: ; @_ZN12_GLOBAL__N_139chunk_gated_delta_rule_fwd_h_hip_kernelILi64ELb1ELb0ELb1ELb0ELb1ELb1ELb1ELb0EEEvPK12hip_bfloat16S3_S3_PKfS5_PKvPS1_S8_PvPKiSB_iiiiilll
; %bb.0:
	s_load_dwordx4 s[12:15], s[0:1], 0x5c
	s_load_dwordx4 s[20:23], s[0:1], 0x70
	s_abs_i32 s6, s3
	s_ashr_i32 s5, s3, 31
	s_load_dwordx4 s[16:19], s[0:1], 0x28
	s_load_dwordx2 s[28:29], s[0:1], 0x38
	s_waitcnt lgkmcnt(0)
	s_abs_i32 s4, s13
	v_cvt_f32_u32_e32 v1, s4
	s_sub_i32 s8, 0, s4
	s_ashr_i32 s7, s13, 31
	s_xor_b32 s5, s5, s7
	v_rcp_iflag_f32_e32 v1, v1
	v_and_b32_e32 v90, 15, v0
	v_lshrrev_b32_e32 v88, 6, v0
	v_bfe_u32 v89, v0, 4, 2
	v_mul_f32_e32 v1, 0x4f7ffffe, v1
	v_cvt_u32_f32_e32 v1, v1
	v_mov_b32_e32 v11, 0
	v_and_b32_e32 v77, 63, v0
	v_lshrrev_b32_e32 v92, 3, v77
	v_readfirstlane_b32 s9, v1
	s_mul_i32 s8, s8, s9
	s_mul_hi_u32 s8, s9, s8
	s_add_i32 s9, s9, s8
	s_mul_hi_u32 s8, s6, s9
	s_mul_i32 s9, s8, s4
	s_sub_i32 s6, s6, s9
	s_add_i32 s10, s8, 1
	s_sub_i32 s9, s6, s4
	s_cmp_ge_u32 s6, s4
	s_cselect_b32 s8, s10, s8
	s_cselect_b32 s6, s9, s6
	s_add_i32 s9, s8, 1
	s_cmp_ge_u32 s6, s4
	s_cselect_b32 s6, s9, s8
	s_xor_b32 s6, s6, s5
	s_add_i32 s8, s12, 63
	s_sub_i32 s53, s6, s5
	s_ashr_i32 s9, s8, 31
	s_mul_i32 s5, s53, s13
	s_sub_i32 s50, s3, s5
	s_lshr_b32 s3, s9, 26
	s_add_i32 s8, s8, s3
	s_abs_i32 s3, s14
	v_cvt_f32_u32_e32 v1, s3
	s_ashr_i32 s52, s12, 31
	s_lshr_b32 s6, s52, 26
	s_add_i32 s6, s12, s6
	v_rcp_iflag_f32_e32 v1, v1
	s_ashr_i32 s55, s14, 31
	s_ashr_i32 s54, s6, 6
	s_lshl_b32 s38, s2, 6
	v_mul_f32_e32 v1, 0x4f7ffffe, v1
	v_cvt_u32_f32_e32 v1, v1
	s_xor_b32 s2, s7, s55
	s_sub_i32 s6, 0, s3
	s_ashr_i32 s25, s8, 6
	v_readfirstlane_b32 s7, v1
	s_mul_i32 s6, s6, s7
	s_mul_hi_u32 s6, s7, s6
	s_add_i32 s7, s7, s6
	s_mul_hi_u32 s6, s4, s7
	s_mul_i32 s7, s6, s3
	s_sub_i32 s4, s4, s7
	s_add_i32 s7, s6, 1
	s_sub_i32 s8, s4, s3
	s_cmp_ge_u32 s4, s3
	s_cselect_b32 s6, s7, s6
	s_cselect_b32 s4, s8, s4
	s_add_i32 s7, s6, 1
	s_cmp_ge_u32 s4, s3
	s_cselect_b32 s3, s7, s6
	s_xor_b32 s3, s3, s2
	s_sub_i32 s2, s3, s2
	s_abs_i32 s3, s2
	v_cvt_f32_u32_e32 v1, s3
	s_sub_i32 s6, 0, s3
	s_abs_i32 s4, s50
	s_xor_b32 s2, s50, s2
	v_rcp_iflag_f32_e32 v1, v1
	s_ashr_i32 s2, s2, 31
	v_or_b32_e32 v78, s38, v90
	v_lshlrev_b32_e32 v2, 7, v78
	v_mul_f32_e32 v1, 0x4f7ffffe, v1
	v_cvt_u32_f32_e32 v1, v1
	v_ashrrev_i32_e32 v3, 31, v2
	s_mul_i32 s57, s53, s25
	v_lshlrev_b32_e32 v91, 3, v0
	v_readfirstlane_b32 s7, v1
	s_mul_i32 s6, s6, s7
	s_mul_hi_u32 s6, s7, s6
	s_add_i32 s7, s7, s6
	s_mul_hi_u32 s6, s4, s7
	s_mul_i32 s7, s6, s3
	s_sub_i32 s4, s4, s7
	s_add_i32 s7, s6, 1
	s_sub_i32 s8, s4, s3
	s_cmp_ge_u32 s4, s3
	s_cselect_b32 s6, s7, s6
	s_cselect_b32 s4, s8, s4
	s_add_i32 s7, s6, 1
	s_cmp_ge_u32 s4, s3
	s_cselect_b32 s3, s7, s6
	s_xor_b32 s3, s3, s2
	s_sub_i32 s56, s3, s2
	s_ashr_i32 s24, s53, 31
	s_ashr_i32 s51, s50, 31
	s_mul_hi_i32 s2, s53, s13
	s_add_u32 s40, s5, s50
	s_addc_u32 s41, s2, s51
	s_lshl_b64 s[2:3], s[40:41], 16
	v_lshlrev_b32_e32 v1, 4, v88
	s_add_u32 s2, s16, s2
	v_lshl_or_b32 v93, v89, 2, v1
	s_addc_u32 s3, s17, s3
	v_lshl_add_u64 v[4:5], v[2:3], 2, s[2:3]
	v_lshlrev_b32_e32 v10, 2, v93
	v_lshl_add_u64 v[4:5], v[4:5], 0, v[10:11]
	global_load_dwordx4 v[22:25], v[4:5], off
	global_load_dwordx4 v[30:33], v[4:5], off offset:256
	v_or_b32_e32 v4, 0x800, v2
	v_ashrrev_i32_e32 v5, 31, v4
	v_lshl_add_u64 v[4:5], v[4:5], 2, s[2:3]
	v_lshl_add_u64 v[4:5], v[4:5], 0, v[10:11]
	global_load_dwordx4 v[14:17], v[4:5], off
	global_load_dwordx4 v[26:29], v[4:5], off offset:256
	v_or_b32_e32 v4, 0x1000, v2
	v_or_b32_e32 v2, 0x1800, v2
	v_ashrrev_i32_e32 v5, 31, v4
	v_ashrrev_i32_e32 v3, 31, v2
	v_lshl_add_u64 v[4:5], v[4:5], 2, s[2:3]
	v_lshl_add_u64 v[2:3], v[2:3], 2, s[2:3]
	;; [unrolled: 1-line block ×4, first 2 shown]
	global_load_dwordx4 v[6:9], v[4:5], off
	global_load_dwordx4 v[18:21], v[4:5], off offset:256
	s_nop 0
	global_load_dwordx4 v[2:5], v[34:35], off
	global_load_dwordx4 v[10:13], v[34:35], off offset:256
	s_load_dwordx8 s[4:11], s[0:1], 0x0
	s_load_dwordx2 s[30:31], s[0:1], 0x80
	v_or_b32_e32 v94, 64, v93
	s_cmp_lt_i32 s12, 64
	s_mul_i32 s58, s41, s12
	s_mul_hi_u32 s59, s40, s12
	s_mul_i32 s16, s40, s12
	s_mul_i32 s33, s53, s21
	s_mul_hi_u32 s46, s53, s20
	s_mul_i32 s41, s24, s20
	s_mul_i32 s36, s53, s20
	;; [unrolled: 1-line block ×3, first 2 shown]
	s_mul_hi_u32 s48, s50, s22
	s_mul_i32 s49, s51, s22
	s_mul_i32 s34, s50, s22
	s_cbranch_scc1 .LBB139_18
; %bb.1:
	s_add_i32 s17, s59, s58
	s_lshl_b64 s[2:3], s[16:17], 8
	v_and_b32_e32 v96, 56, v91
	s_waitcnt lgkmcnt(0)
	s_add_u32 s20, s6, s2
	v_lshl_or_b32 v95, v88, 3, v92
	v_lshlrev_b32_e32 v34, 1, v96
	s_addc_u32 s2, s7, s3
	v_lshl_or_b32 v97, v95, 8, v34
	s_and_b32 s21, s2, 0xffff
	s_mov_b32 s23, 0x20000
	s_movk_i32 s22, 0x4000
	s_movk_i32 s2, 0x80
	v_or_b32_e32 v98, 0x2000, v97
	buffer_load_dwordx4 v[36:39], v97, s[20:23], 0 offen
	buffer_load_dwordx4 v[40:43], v97, s[20:23], s2 offen
	;; [unrolled: 1-line block ×4, first 2 shown]
	v_lshlrev_b32_e32 v35, 3, v95
	v_and_or_b32 v53, v0, 7, v35
	v_and_b32_e32 v35, 0x78, v35
	v_lshlrev_b32_e32 v53, 4, v53
	v_xor_b32_e32 v99, v53, v35
	v_mul_lo_u32 v52, v95, s15
	v_or_b32_e32 v100, 0x1000, v99
	v_xor_b32_e32 v35, 8, v99
	s_cmpk_eq_i32 s15, 0x80
	s_mov_b32 s60, s14
	v_xor_b32_e32 v53, 8, v100
	s_cselect_b64 s[2:3], -1, 0
	s_cmpk_lg_i32 s15, 0x80
	s_waitcnt vmcnt(3)
	ds_write_b64 v99, v[36:37] offset:49152
	ds_write_b64 v35, v[38:39] offset:49152
	s_waitcnt vmcnt(2)
	ds_write_b64 v99, v[40:41] offset:57344
	ds_write_b64 v35, v[42:43] offset:57344
	;; [unrolled: 3-line block ×4, first 2 shown]
	v_lshl_add_u32 v35, v52, 1, v96
	s_cbranch_scc0 .LBB139_3
; %bb.2:
	v_lshlrev_b32_e32 v37, 1, v35
	v_add_lshl_u32 v36, v35, s15, 1
	s_lshl_b32 s22, s15, 7
	s_load_dwordx2 s[42:43], s[0:1], 0x20
	v_lshl_or_b32 v34, v95, 9, v34
	s_cbranch_execz .LBB139_4
	s_branch .LBB139_5
.LBB139_3:
                                        ; implicit-def: $vgpr36
                                        ; implicit-def: $vgpr37
                                        ; implicit-def: $sgpr22
	s_load_dwordx2 s[42:43], s[0:1], 0x20
	v_lshl_or_b32 v34, v95, 9, v34
.LBB139_4:
	v_or_b32_e32 v36, 0x100, v34
	s_movk_i32 s22, 0x4000
	v_mov_b32_e32 v37, v34
.LBB139_5:
	s_mul_hi_u32 s0, s14, s12
	s_mul_i32 s1, s55, s12
	s_add_i32 s0, s0, s1
	s_mul_i32 s1, s14, s12
	s_mul_i32 s20, s1, s24
	s_mul_hi_u32 s21, s1, s53
	s_add_i32 s20, s21, s20
	s_mul_i32 s0, s0, s53
	s_add_i32 s20, s20, s0
	s_mul_i32 s1, s1, s53
	s_ashr_i32 s61, s56, 31
	s_add_u32 s0, s1, s56
	s_addc_u32 s1, s20, s61
	s_lshl_b64 s[0:1], s[0:1], 8
	s_add_u32 s20, s4, s0
	s_addc_u32 s0, s5, s1
	s_and_b32 s21, s0, 0xffff
	s_movk_i32 s62, 0x80
	buffer_load_dwordx4 v[38:41], v37, s[20:23], 0 offen
	buffer_load_dwordx4 v[42:45], v37, s[20:23], s62 offen
	;; [unrolled: 1-line block ×4, first 2 shown]
	v_and_b32_e32 v37, 6, v0
	v_lshlrev_b32_e32 v36, 7, v93
	v_xor_b32_e32 v58, v95, v37
	v_and_b32_e32 v54, 1, v0
	v_lshl_or_b32 v61, v90, 3, v36
	v_lshlrev_b32_e32 v58, 2, v58
	v_or_b32_e32 v101, 0x4000, v61
	v_or_b32_e32 v102, 0x6000, v61
	v_xor_b32_e32 v61, 0x440, v58
	v_cmp_eq_u32_e32 vcc, 0, v54
	v_lshlrev_b32_e32 v55, 2, v90
	s_mov_b32 s65, 0x1000504
	v_cndmask_b32_e32 v54, v61, v58, vcc
	v_xor_b32_e32 v59, v93, v55
	v_xor_b32_e32 v60, v94, v55
	v_lshl_or_b32 v37, v37, 10, v54
	s_mov_b32 s66, 0x3020706
	v_lshlrev_b32_e32 v56, 8, v90
	v_or_b32_e32 v57, 16, v90
	v_lshlrev_b32_e32 v59, 1, v59
	v_lshlrev_b32_e32 v60, 1, v60
	v_xor_b32_e32 v54, 8, v37
	v_xor_b32_e32 v58, 24, v37
	v_xor_b32_e32 v63, 40, v37
	v_xor_b32_e32 v65, 56, v37
	s_mul_i32 s24, s24, s12
	s_mul_hi_u32 s0, s53, s12
	v_or_b32_e32 v104, v56, v59
	v_or_b32_e32 v105, v56, v60
	v_xor_b32_e32 v56, 16, v37
	v_xor_b32_e32 v61, 32, v37
	;; [unrolled: 1-line block ×3, first 2 shown]
	v_add_u32_e32 v54, 0x80, v54
	v_add_u32_e32 v58, 0x80, v58
	;; [unrolled: 1-line block ×4, first 2 shown]
	s_add_i32 s67, s0, s24
	s_add_i32 s0, s46, s33
	;; [unrolled: 1-line block ×5, first 2 shown]
	s_lshl_b64 s[0:1], s[36:37], 2
	s_add_u32 s20, s10, s0
	s_addc_u32 s21, s11, s1
	s_lshl_b64 s[0:1], s[34:35], 2
	s_add_u32 s44, s20, s0
	s_movk_i32 s0, 0xf8
	s_addc_u32 s45, s21, s1
	s_ashr_i32 s39, s38, 31
	s_lshl_b32 s26, s15, 7
	v_mov_b32_e32 v81, 0
	s_movk_i32 s20, 0x100
	v_lshlrev_b32_e32 v80, 4, v90
	v_ashrrev_i32_e32 v79, 31, v78
	s_mul_i32 s63, s53, s12
	v_lshl_or_b32 v62, v57, 3, v36
	s_mov_b32 s64, 0
	v_or_b32_e32 v103, 0x4000, v62
	s_movk_i32 s22, 0x4000
	v_or_b32_e32 v106, 0x6000, v62
	s_mov_b32 s37, 0x7060302
	s_movk_i32 s68, 0x3000
	s_mov_b32 s70, 0
	s_waitcnt vmcnt(1)
	v_perm_b32 v66, v38, v46, s65
	s_waitcnt vmcnt(0)
	v_perm_b32 v67, v42, v50, s65
	v_perm_b32 v38, v38, v46, s66
	;; [unrolled: 1-line block ×15, first 2 shown]
	ds_write2st64_b32 v37, v66, v67 offset0:128 offset1:160
	ds_write2st64_b32 v54, v38, v42 offset0:128 offset1:160
	;; [unrolled: 1-line block ×8, first 2 shown]
	v_lshlrev_b32_e32 v37, 8, v57
	v_or_b32_e32 v107, v37, v59
	v_or_b32_e32 v108, v37, v60
	;; [unrolled: 1-line block ×3, first 2 shown]
	v_lshl_or_b32 v38, v37, 3, v36
	v_lshlrev_b32_e32 v37, 8, v37
	v_or_b32_e32 v111, v37, v59
	v_or_b32_e32 v112, v37, v60
	v_or_b32_e32 v37, 48, v90
	v_or_b32_e32 v109, 0x4000, v38
	v_or_b32_e32 v110, 0x6000, v38
	v_lshl_or_b32 v38, v37, 3, v36
	v_lshlrev_b32_e32 v37, 8, v37
	v_or_b32_e32 v115, v37, v59
	v_or_b32_e32 v116, v37, v60
	;; [unrolled: 1-line block ×3, first 2 shown]
	v_lshlrev_b32_e32 v37, 3, v37
	v_lshrrev_b32_e32 v39, 5, v77
	v_and_or_b32 v39, v37, s0, v39
	v_lshlrev_b32_e32 v39, 4, v39
	v_or_b32_e32 v113, 0x4000, v38
	v_or_b32_e32 v114, 0x6000, v38
	v_lshrrev_b32_e32 v38, 2, v77
	v_lshlrev_b32_e32 v41, 11, v88
	v_and_b32_e32 v37, 0x78, v37
	v_or_b32_e32 v45, 32, v39
	v_and_b32_e32 v40, 12, v38
	v_and_b32_e32 v38, 0x1000, v41
	v_xor_b32_e32 v42, v39, v37
	v_lshrrev_b32_e32 v43, 1, v77
	v_xor_b32_e32 v45, v45, v37
	v_or_b32_e32 v42, v42, v38
	v_and_b32_e32 v43, 8, v43
	v_or_b32_e32 v45, v45, v38
	v_xor_b32_e32 v117, v42, v43
	v_lshlrev_b32_e32 v42, 8, v89
	v_xor_b32_e32 v119, v45, v43
	v_or_b32_e32 v45, 64, v39
	v_or_b32_e32 v39, 0x60, v39
	;; [unrolled: 1-line block ×3, first 2 shown]
	v_xor_b32_e32 v45, v45, v37
	v_xor_b32_e32 v37, v39, v37
	s_lshl_b64 s[0:1], s[38:39], 8
	v_lshlrev_b32_e32 v44, 1, v44
	v_or_b32_e32 v45, v45, v38
	v_or_b32_e32 v37, v37, v38
	s_add_u32 s0, s18, s0
	v_lshlrev_b32_e32 v38, 1, v90
	v_lshlrev_b32_e32 v47, 2, v0
	v_or_b32_e32 v118, 0x4000, v44
	v_or_b32_e32 v120, 0x4080, v44
	;; [unrolled: 1-line block ×4, first 2 shown]
	v_xor_b32_e32 v123, v45, v43
	v_xor_b32_e32 v124, v37, v43
	v_or_b32_e32 v125, 0x6000, v44
	v_or_b32_e32 v126, 0x6080, v44
	;; [unrolled: 1-line block ×4, first 2 shown]
	v_lshlrev_b32_e32 v37, 1, v35
	v_add_lshl_u32 v35, v35, s15, 1
	v_or_b32_e32 v43, 0x100, v34
	v_lshrrev_b32_e32 v44, 4, v0
	s_addc_u32 s1, s19, s1
	v_or_b32_e32 v39, 1, v38
	v_lshrrev_b32_e32 v48, 1, v0
	v_and_or_b32 v42, v47, 60, v42
	v_xor_b32_e32 v45, v44, v38
	v_xor_b32_e32 v46, v39, v44
	v_lshl_add_u64 v[38:39], s[0:1], 0, v[80:81]
	v_and_b32_e32 v48, 24, v48
	v_lshlrev_b32_e32 v42, 1, v42
	v_cndmask_b32_e64 v135, v37, v34, s[2:3]
	v_cndmask_b32_e64 v136, v35, v43, s[2:3]
	v_mov_b32_e32 v35, 0xa000
	v_mov_b32_e32 v37, 0x8000
	v_cmp_gt_u32_e64 s[0:1], s20, v0
	v_lshlrev_b32_e32 v80, 8, v44
	v_or_b32_e32 v131, 0x6000, v42
	v_or_b32_e32 v47, 32, v48
	;; [unrolled: 1-line block ×6, first 2 shown]
	v_cndmask_b32_e64 v35, v35, v37, s[0:1]
	v_lshlrev_b32_e32 v37, 3, v88
	v_lshl_or_b32 v129, v45, 3, v80
	v_and_b32_e32 v45, 8, v0
	v_xor_b32_e32 v43, v37, v48
	v_xor_b32_e32 v47, v37, v47
	;; [unrolled: 1-line block ×3, first 2 shown]
	v_mov_b32_e32 v49, 0x400
	v_cmp_eq_u32_e32 vcc, 0, v45
	v_or_b32_e32 v48, 0x440, v43
	v_or_b32_e32 v50, 0x440, v47
	v_xor_b32_e32 v42, 0x440, v37
	v_and_b32_e32 v44, 7, v0
	v_cndmask_b32_e64 v45, v49, 64, vcc
	v_cndmask_b32_e32 v48, v48, v43, vcc
	v_cndmask_b32_e32 v47, v50, v47, vcc
	;; [unrolled: 1-line block ×3, first 2 shown]
	v_lshl_or_b32 v130, v46, 3, v80
	v_lshlrev_b32_e32 v46, 3, v44
	v_or_b32_e32 v48, v48, v41
	v_or_b32_e32 v47, v47, v41
	v_or3_b32 v43, v41, v45, v43
	v_or_b32_e32 v37, v37, v41
	v_lshlrev_b32_e32 v44, 7, v44
	v_xor_b32_e32 v48, v48, v46
	v_xor_b32_e32 v47, v47, v46
	;; [unrolled: 1-line block ×4, first 2 shown]
	v_or_b32_e32 v34, v1, v40
	v_add_u32_e32 v49, v35, v48
	v_add_u32_e32 v50, v35, v47
	v_or_b32_e32 v137, v43, v44
	v_add_u32_e32 v41, v35, v37
	v_or3_b32 v40, v1, v40, 64
	v_add_u32_e32 v45, 0xa000, v48
	v_add_u32_e32 v46, 0xa000, v47
	;; [unrolled: 1-line block ×3, first 2 shown]
	v_lshlrev_b64 v[42:43], 1, v[78:79]
	v_lshl_add_u64 v[82:83], s[8:9], 0, v[42:43]
	v_lshl_add_u64 v[84:85], s[28:29], 0, v[42:43]
	;; [unrolled: 1-line block ×3, first 2 shown]
	s_add_i32 s35, s63, 63
	v_lshlrev_b32_e32 v80, 1, v36
	s_movk_i32 s39, 0x2000
	v_lshlrev_b32_e32 v79, 2, v34
	v_add_u32_e32 v138, v49, v44
	v_add_u32_e32 v139, v50, v44
	;; [unrolled: 1-line block ×4, first 2 shown]
	v_lshlrev_b32_e32 v142, 2, v40
	v_add_u32_e32 v143, v45, v44
	v_add_u32_e32 v144, v46, v44
	;; [unrolled: 1-line block ×3, first 2 shown]
	s_waitcnt lgkmcnt(0)
	s_barrier
.LBB139_6:                              ; =>This Inner Loop Header: Depth=1
	s_add_i32 s69, s70, 1
	s_cmp_lt_i32 s69, s54
	s_mov_b64 s[24:25], 0
	s_cselect_b64 s[2:3], -1, 0
	s_cmp_ge_i32 s69, s54
	s_mov_b64 s[20:21], 0
	s_cbranch_scc1 .LBB139_8
; %bb.7:                                ;   in Loop: Header=BB139_6 Depth=1
	s_add_i32 s0, s64, 64
	s_add_u32 s0, s16, s0
	s_addc_u32 s1, s17, 0
	s_lshl_b64 s[0:1], s[0:1], 8
	s_add_u32 s20, s6, s0
	s_addc_u32 s21, s7, s1
.LBB139_8:                              ;   in Loop: Header=BB139_6 Depth=1
	v_cndmask_b32_e64 v34, 0, 1, s[2:3]
	v_cmp_ne_u32_e64 s[0:1], 1, v34
	s_andn2_b64 vcc, exec, s[2:3]
	s_cbranch_vccnz .LBB139_10
; %bb.9:                                ;   in Loop: Header=BB139_6 Depth=1
	s_add_i32 s2, s64, 64
	s_add_u32 s2, s63, s2
	s_addc_u32 s3, s67, 0
	s_mul_i32 s24, s2, s55
	s_mul_hi_u32 s25, s2, s60
	s_add_i32 s24, s25, s24
	s_mul_i32 s3, s3, s60
	s_add_i32 s24, s24, s3
	s_mul_i32 s2, s2, s60
	s_add_u32 s2, s2, s56
	s_addc_u32 s3, s24, s61
	s_lshl_b64 s[2:3], s[2:3], 8
	s_add_u32 s24, s4, s2
	s_addc_u32 s25, s5, s3
.LBB139_10:                             ;   in Loop: Header=BB139_6 Depth=1
	v_perm_b32 v35, v25, v24, s37
	v_perm_b32 v34, v23, v22, s37
	v_perm_b32 v37, v33, v32, s37
	v_perm_b32 v36, v31, v30, s37
	ds_write_b64 v101, v[34:35]
	ds_write_b64 v102, v[36:37]
	ds_write_b64 v104, v[34:35]
	ds_write_b64 v105, v[36:37]
	v_perm_b32 v35, v17, v16, s37
	v_perm_b32 v34, v15, v14, s37
	v_perm_b32 v37, v29, v28, s37
	v_perm_b32 v36, v27, v26, s37
	ds_write_b64 v103, v[34:35]
	ds_write_b64 v106, v[36:37]
	ds_write_b64 v107, v[34:35]
	ds_write_b64 v108, v[36:37]
	;; [unrolled: 8-line block ×4, first 2 shown]
	s_waitcnt lgkmcnt(0)
	s_barrier
	ds_read_b64 v[38:39], v117 offset:49152
	ds_read2_b64 v[34:37], v118 offset1:16
	ds_read_b64 v[50:51], v120 offset:6144
	ds_read_b64 v[52:53], v118 offset:6144
	s_waitcnt lgkmcnt(2)
	v_mfma_f32_16x16x16_bf16 a[0:3], v[38:39], v[34:35], 0
	ds_read_b64 v[54:55], v119 offset:49152
	ds_read2st64_b64 v[42:45], v121 offset0:4 offset1:8
	ds_read2st64_b64 v[46:49], v122 offset0:4 offset1:8
	v_mfma_f32_16x16x16_bf16 a[4:7], v[38:39], v[36:37], 0
	ds_read2_b64 v[34:37], v118 offset0:32 offset1:48
	s_add_i32 s2, s64, 63
	s_mul_i32 s3, s2, s31
	s_waitcnt lgkmcnt(0)
	v_mfma_f32_16x16x16_bf16 a[8:11], v[38:39], v[34:35], 0
	s_mul_hi_u32 s27, s2, s30
	s_add_i32 s3, s27, s3
	s_mul_i32 s2, s2, s30
	v_mfma_f32_16x16x16_bf16 a[12:15], v[38:39], v[36:37], 0
	ds_read2st64_b64 v[34:37], v118 offset0:4 offset1:8
	ds_read2st64_b64 v[38:41], v120 offset0:4 offset1:8
	s_lshl_b64 s[2:3], s[2:3], 2
	s_waitcnt lgkmcnt(1)
	v_mfma_f32_16x16x16_bf16 a[0:3], v[54:55], v[34:35], a[0:3]
	s_add_u32 s2, s44, s2
	s_addc_u32 s3, s45, s3
	s_and_b64 vcc, exec, s[0:1]
	s_waitcnt lgkmcnt(0)
	v_mfma_f32_16x16x16_bf16 a[4:7], v[54:55], v[38:39], a[4:7]
	v_mov_b32_e32 v148, 0
	v_mov_b32_e32 v147, 0
	;; [unrolled: 1-line block ×3, first 2 shown]
	v_mfma_f32_16x16x16_bf16 a[8:11], v[54:55], v[42:43], a[8:11]
	ds_read_b64 v[34:35], v123 offset:49152
	ds_read_b64 v[38:39], v124 offset:49152
	;; [unrolled: 1-line block ×3, first 2 shown]
	v_mfma_f32_16x16x16_bf16 a[12:15], v[54:55], v[46:47], a[12:15]
	v_mov_b32_e32 v46, 0
	v_mov_b32_e32 v47, 0
	s_waitcnt lgkmcnt(2)
	v_mfma_f32_16x16x16_bf16 a[0:3], v[34:35], v[36:37], a[0:3]
	v_mov_b32_e32 v36, 0
	v_mov_b32_e32 v37, 0
	v_mfma_f32_16x16x16_bf16 a[16:19], v[34:35], v[40:41], a[4:7]
	v_mov_b32_e32 v40, 0
	v_mov_b32_e32 v41, 0
	;; [unrolled: 3-line block ×3, first 2 shown]
	v_mfma_f32_16x16x16_bf16 a[24:27], v[34:35], v[48:49], a[12:15]
	ds_read_b64 v[34:35], v121 offset:6144
	v_mov_b32_e32 v48, 0
	v_mov_b32_e32 v49, 0
	s_waitcnt lgkmcnt(2)
	v_mfma_f32_16x16x16_bf16 a[4:7], v[38:39], v[52:53], a[0:3]
	v_mfma_f32_16x16x16_bf16 a[8:11], v[38:39], v[50:51], a[16:19]
	s_waitcnt lgkmcnt(0)
	v_mfma_f32_16x16x16_bf16 a[12:15], v[38:39], v[34:35], a[20:23]
	v_mov_b32_e32 v34, 0
	v_mov_b32_e32 v35, 0
	v_mfma_f32_16x16x16_bf16 a[0:3], v[38:39], v[42:43], a[24:27]
	v_mov_b32_e32 v38, 0
	v_mov_b32_e32 v39, 0
	;; [unrolled: 1-line block ×4, first 2 shown]
	s_cbranch_vccnz .LBB139_12
; %bb.11:                               ;   in Loop: Header=BB139_6 Depth=1
	s_and_b32 s21, s21, 0xffff
	buffer_load_dwordx4 v[46:49], v97, s[20:23], 0 offen
	buffer_load_dwordx4 v[42:45], v97, s[20:23], s62 offen
	;; [unrolled: 1-line block ×4, first 2 shown]
	v_mov_b32_e32 v147, v99
	v_mov_b32_e32 v146, v100
.LBB139_12:                             ;   in Loop: Header=BB139_6 Depth=1
	ds_read_b64 v[62:63], v117 offset:57344
	ds_read2_b64 v[50:53], v125 offset1:16
	ds_read_b64 v[66:67], v119 offset:57344
	ds_read_b64 v[68:69], v123 offset:57344
	;; [unrolled: 1-line block ×3, first 2 shown]
	v_add_u32_e32 v64, s64, v93
	s_waitcnt lgkmcnt(3)
	v_mfma_f32_16x16x16_bf16 a[4:7], v[62:63], v[50:51], a[4:7]
	v_mfma_f32_16x16x16_bf16 a[8:11], v[62:63], v[52:53], a[8:11]
	ds_read2_b64 v[50:53], v125 offset0:32 offset1:48
	ds_read2st64_b64 v[54:57], v125 offset0:4 offset1:8
	ds_read2st64_b64 v[58:61], v126 offset0:4 offset1:8
	s_waitcnt lgkmcnt(2)
	v_mfma_f32_16x16x16_bf16 a[12:15], v[62:63], v[50:51], a[12:15]
	v_ashrrev_i32_e32 v50, 31, v64
	v_mul_lo_u32 v65, v50, s30
	v_mad_u64_u32 v[50:51], s[20:21], v64, s30, 0
	v_mfma_f32_16x16x16_bf16 a[0:3], v[62:63], v[52:53], a[0:3]
	v_mul_lo_u32 v52, v64, s31
	v_add3_u32 v51, v51, v52, v65
	v_add_u32_e32 v52, 1, v64
	v_ashrrev_i32_e32 v53, 31, v52
	s_waitcnt lgkmcnt(1)
	v_mfma_f32_16x16x16_bf16 a[4:7], v[66:67], v[54:55], a[4:7]
	v_mul_lo_u32 v54, v53, s30
	v_mul_lo_u32 v55, v52, s31
	v_mad_u64_u32 v[52:53], s[20:21], v52, s30, 0
	v_add3_u32 v53, v53, v55, v54
	v_add_u32_e32 v54, 2, v64
	v_ashrrev_i32_e32 v55, 31, v54
	v_mul_lo_u32 v62, v55, s30
	v_mul_lo_u32 v63, v54, s31
	v_mad_u64_u32 v[54:55], s[20:21], v54, s30, 0
	v_add3_u32 v55, v55, v63, v62
	v_add_u32_e32 v62, 3, v64
	v_ashrrev_i32_e32 v63, 31, v62
	v_mul_lo_u32 v64, v63, s30
	v_mul_lo_u32 v65, v62, s31
	v_mad_u64_u32 v[62:63], s[20:21], v62, s30, 0
	s_add_u32 s20, s16, s64
	v_lshl_add_u64 v[50:51], v[50:51], 2, s[44:45]
	v_add3_u32 v63, v63, v65, v64
	s_addc_u32 s21, s17, 0
	v_lshl_add_u64 v[52:53], v[52:53], 2, s[44:45]
	global_load_dword v72, v[50:51], off
	v_lshl_add_u64 v[50:51], v[62:63], 2, s[44:45]
	s_lshl_b64 s[20:21], s[20:21], 8
	v_lshl_add_u64 v[54:55], v[54:55], 2, s[44:45]
	global_load_dword v73, v[52:53], off
	global_load_dword v74, v[54:55], off
	;; [unrolled: 1-line block ×3, first 2 shown]
	v_lshl_add_u64 v[50:51], v[82:83], 0, s[20:21]
	v_lshl_add_u64 v[54:55], v[50:51], 0, v[80:81]
	global_load_ushort v76, v[54:55], off offset:256
	global_load_ushort v149, v[54:55], off
	ds_read2st64_b64 v[50:53], v127 offset0:4 offset1:8
	global_load_ushort v150, v[54:55], off offset:768
	global_load_ushort v151, v[54:55], off offset:512
	ds_read2st64_b64 v[62:65], v128 offset0:4 offset1:8
	global_load_ushort v152, v[54:55], off offset:288
	global_load_ushort v153, v[54:55], off offset:32
	global_load_ushort v154, v[54:55], off offset:800
	global_load_ushort v155, v[54:55], off offset:544
	s_waitcnt lgkmcnt(2)
	v_mfma_f32_16x16x16_bf16 a[8:11], v[66:67], v[58:59], a[8:11]
	global_load_ushort v156, v[54:55], off offset:320
	global_load_ushort v157, v[54:55], off offset:64
	;; [unrolled: 1-line block ×4, first 2 shown]
	s_and_b64 vcc, exec, s[0:1]
	s_waitcnt lgkmcnt(1)
	v_mfma_f32_16x16x16_bf16 a[12:15], v[66:67], v[50:51], a[12:15]
	ds_read_b64 v[50:51], v125 offset:6144
	s_waitcnt lgkmcnt(1)
	v_mfma_f32_16x16x16_bf16 a[0:3], v[66:67], v[62:63], a[0:3]
	v_lshl_add_u64 v[62:63], v[84:85], 0, s[20:21]
	v_lshl_add_u64 v[62:63], v[62:63], 0, v[80:81]
	v_mfma_f32_16x16x16_bf16 a[4:7], v[68:69], v[56:57], a[4:7]
	v_mfma_f32_16x16x16_bf16 a[8:11], v[68:69], v[60:61], a[8:11]
	;; [unrolled: 1-line block ×4, first 2 shown]
	global_load_ushort v68, v[54:55], off offset:352
	global_load_ushort v69, v[54:55], off offset:96
	ds_read_b64 v[52:53], v126 offset:6144
	ds_read_b64 v[56:57], v127 offset:6144
	;; [unrolled: 1-line block ×3, first 2 shown]
	s_load_dword s2, s[2:3], 0x0
	global_load_ushort v160, v[54:55], off offset:864
	global_load_ushort v161, v[54:55], off offset:608
	s_waitcnt lgkmcnt(0)
	v_mfma_f32_16x16x16_bf16 a[4:7], v[70:71], v[50:51], a[4:7]
	s_waitcnt vmcnt(17)
	v_sub_f32_e32 v60, s2, v74
	v_mfma_f32_16x16x16_bf16 a[0:3], v[70:71], v[58:59], a[0:3]
	v_sub_f32_e32 v58, s2, v72
	v_sub_f32_e32 v59, s2, v73
	s_waitcnt vmcnt(16)
	v_sub_f32_e32 v61, s2, v75
	v_mfma_f32_16x16x16_bf16 a[8:11], v[70:71], v[52:53], a[8:11]
	v_exp_f32_e32 v58, v58
	v_exp_f32_e32 v59, v59
	;; [unrolled: 1-line block ×4, first 2 shown]
	v_accvgpr_read_b32 v67, a5
	s_waitcnt vmcnt(15)
	v_lshlrev_b32_e32 v65, 16, v76
	s_waitcnt vmcnt(14)
	v_lshlrev_b32_e32 v64, 16, v149
	v_accvgpr_read_b32 v66, a4
	v_accvgpr_read_b32 v51, a7
	;; [unrolled: 1-line block ×3, first 2 shown]
	v_pk_add_f32 v[64:65], v[64:65], v[66:67] neg_lo:[0,1] neg_hi:[0,1]
	s_waitcnt vmcnt(13)
	v_lshlrev_b32_e32 v67, 16, v150
	s_waitcnt vmcnt(12)
	v_lshlrev_b32_e32 v66, 16, v151
	v_pk_add_f32 v[50:51], v[66:67], v[50:51] neg_lo:[0,1] neg_hi:[0,1]
	global_store_short_d16_hi v[62:63], v64, off
	global_store_short_d16_hi v[62:63], v65, off offset:256
	global_store_short_d16_hi v[62:63], v50, off offset:512
	;; [unrolled: 1-line block ×3, first 2 shown]
	v_pk_mul_f32 v[64:65], v[58:59], v[64:65]
	v_pk_mul_f32 v[50:51], v[60:61], v[50:51]
	v_accvgpr_read_b32 v67, a9
	v_perm_b32 v64, v65, v64, s37
	v_perm_b32 v65, v51, v50, s37
	s_waitcnt vmcnt(15)
	v_lshlrev_b32_e32 v51, 16, v152
	s_waitcnt vmcnt(14)
	v_lshlrev_b32_e32 v50, 16, v153
	v_accvgpr_read_b32 v66, a8
	v_accvgpr_read_b32 v53, a11
	v_mfma_f32_16x16x16_bf16 a[12:15], v[70:71], v[56:57], a[12:15]
	v_accvgpr_read_b32 v52, a10
	v_pk_add_f32 v[50:51], v[50:51], v[66:67] neg_lo:[0,1] neg_hi:[0,1]
	s_waitcnt vmcnt(13)
	v_lshlrev_b32_e32 v67, 16, v154
	s_waitcnt vmcnt(12)
	v_lshlrev_b32_e32 v66, 16, v155
	v_pk_add_f32 v[52:53], v[66:67], v[52:53] neg_lo:[0,1] neg_hi:[0,1]
	global_store_short_d16_hi v[62:63], v50, off offset:32
	global_store_short_d16_hi v[62:63], v51, off offset:288
	;; [unrolled: 1-line block ×4, first 2 shown]
	v_pk_mul_f32 v[50:51], v[58:59], v[50:51]
	v_pk_mul_f32 v[52:53], v[60:61], v[52:53]
	v_accvgpr_read_b32 v55, a15
	v_perm_b32 v53, v53, v52, s37
	v_perm_b32 v52, v51, v50, s37
	ds_write2_b64 v102, v[64:65], v[52:53] offset1:16
	v_accvgpr_read_b32 v53, a13
	s_waitcnt vmcnt(15)
	v_lshlrev_b32_e32 v51, 16, v156
	s_waitcnt vmcnt(14)
	v_lshlrev_b32_e32 v50, 16, v157
	v_accvgpr_read_b32 v52, a12
	v_accvgpr_read_b32 v54, a14
	v_pk_add_f32 v[50:51], v[50:51], v[52:53] neg_lo:[0,1] neg_hi:[0,1]
	s_waitcnt vmcnt(13)
	v_lshlrev_b32_e32 v53, 16, v158
	s_waitcnt vmcnt(12)
	v_lshlrev_b32_e32 v52, 16, v159
	v_pk_add_f32 v[52:53], v[52:53], v[54:55] neg_lo:[0,1] neg_hi:[0,1]
	global_store_short_d16_hi v[62:63], v50, off offset:64
	global_store_short_d16_hi v[62:63], v51, off offset:320
	;; [unrolled: 1-line block ×4, first 2 shown]
	v_pk_mul_f32 v[50:51], v[58:59], v[50:51]
	v_pk_mul_f32 v[52:53], v[60:61], v[52:53]
	v_accvgpr_read_b32 v55, a1
	v_perm_b32 v50, v51, v50, s37
	v_perm_b32 v51, v53, v52, s37
	s_waitcnt vmcnt(15)
	v_lshlrev_b32_e32 v53, 16, v68
	s_waitcnt vmcnt(14)
	v_lshlrev_b32_e32 v52, 16, v69
	v_accvgpr_read_b32 v54, a0
	v_accvgpr_read_b32 v57, a3
	;; [unrolled: 1-line block ×3, first 2 shown]
	v_pk_add_f32 v[52:53], v[52:53], v[54:55] neg_lo:[0,1] neg_hi:[0,1]
	s_waitcnt vmcnt(13)
	v_lshlrev_b32_e32 v55, 16, v160
	s_waitcnt vmcnt(12)
	v_lshlrev_b32_e32 v54, 16, v161
	v_pk_add_f32 v[54:55], v[54:55], v[56:57] neg_lo:[0,1] neg_hi:[0,1]
	global_store_short_d16_hi v[62:63], v52, off offset:96
	global_store_short_d16_hi v[62:63], v53, off offset:352
	;; [unrolled: 1-line block ×4, first 2 shown]
	v_pk_mul_f32 v[52:53], v[58:59], v[52:53]
	v_pk_mul_f32 v[54:55], v[60:61], v[54:55]
	v_mov_b32_e32 v149, 0
	v_perm_b32 v55, v55, v54, s37
	v_perm_b32 v54, v53, v52, s37
	ds_write2_b64 v102, v[50:51], v[54:55] offset0:32 offset1:48
	v_mov_b32_e32 v50, 0
	v_mov_b32_e32 v51, 0
	;; [unrolled: 1-line block ×16, first 2 shown]
	s_cbranch_vccnz .LBB139_14
; %bb.13:                               ;   in Loop: Header=BB139_6 Depth=1
	s_and_b32 s25, s25, 0xffff
	s_mov_b32 s27, s23
	buffer_load_dwordx4 v[62:65], v135, s[24:27], 0 offen
	buffer_load_dwordx4 v[54:57], v135, s[24:27], s62 offen
	;; [unrolled: 1-line block ×4, first 2 shown]
	v_mov_b32_e32 v148, v96
	v_mov_b32_e32 v149, v95
.LBB139_14:                             ;   in Loop: Header=BB139_6 Depth=1
	s_waitcnt lgkmcnt(0)
	s_barrier
	ds_read_b64 v[74:75], v138
	ds_read2_b64 v[66:69], v131 offset1:16
	ds_read_b64 v[166:167], v139
	ds_read_b64 v[168:169], v140
	ds_read_b64 v[170:171], v141
	ds_read2_b64 v[70:73], v131 offset0:32 offset1:48
	ds_read2st64_b64 v[150:153], v131 offset0:4 offset1:8
	ds_read2st64_b64 v[154:157], v132 offset0:4 offset1:8
	ds_read2st64_b64 v[158:161], v133 offset0:4 offset1:8
	ds_read2st64_b64 v[162:165], v134 offset0:4 offset1:8
	s_waitcnt lgkmcnt(8)
	v_mfma_f32_16x16x16_bf16 a[0:3], v[74:75], v[66:67], 0
	s_add_i32 s3, s57, s70
	s_mul_hi_i32 s21, s3, s13
	s_mul_i32 s3, s3, s13
	v_mfma_f32_16x16x16_bf16 a[4:7], v[74:75], v[68:69], 0
	s_add_u32 s20, s3, s50
	s_addc_u32 s21, s21, s51
	s_add_i32 s3, s35, s64
	s_waitcnt lgkmcnt(4)
	v_mfma_f32_16x16x16_bf16 a[8:11], v[74:75], v[70:71], 0
	s_lshl_b64 s[20:21], s[20:21], 15
	s_mul_hi_i32 s25, s3, s13
	s_mul_i32 s3, s3, s13
	v_mfma_f32_16x16x16_bf16 a[12:15], v[74:75], v[72:73], 0
	ds_read_b64 v[74:75], v131 offset:6144
	ds_read_b64 v[178:179], v132 offset:6144
	;; [unrolled: 1-line block ×4, first 2 shown]
	s_add_u32 s24, s3, s50
	s_waitcnt lgkmcnt(7)
	v_mfma_f32_16x16x16_bf16 a[0:3], v[166:167], v[150:151], a[0:3]
	s_addc_u32 s25, s25, s51
	s_lshl_b64 s[24:25], s[24:25], 9
	s_add_u32 s24, s42, s24
	s_waitcnt lgkmcnt(6)
	v_mfma_f32_16x16x16_bf16 a[4:7], v[166:167], v[154:155], a[4:7]
	s_addc_u32 s25, s43, s25
	v_lshl_add_u64 v[188:189], v[86:87], 0, s[20:21]
	s_waitcnt lgkmcnt(5)
	v_mfma_f32_16x16x16_bf16 a[8:11], v[166:167], v[158:159], a[8:11]
	s_waitcnt lgkmcnt(4)
	v_mfma_f32_16x16x16_bf16 a[12:15], v[166:167], v[162:163], a[12:15]
	ds_read_b64 v[166:167], v143
	ds_read_b64 v[176:177], v144
	ds_read_b64 v[184:185], v145
	s_waitcnt lgkmcnt(2)
	v_mfma_f32_16x16x16_bf16 a[16:19], v[166:167], v[66:67], 0
	v_mfma_f32_16x16x16_bf16 a[20:23], v[166:167], v[68:69], 0
	global_load_dwordx4 v[66:69], v142, s[24:25]
	v_mfma_f32_16x16x16_bf16 a[24:27], v[166:167], v[70:71], 0
	v_mfma_f32_16x16x16_bf16 a[28:31], v[166:167], v[72:73], 0
	global_load_dwordx4 v[70:73], v79, s[24:25]
	v_mfma_f32_16x16x16_bf16 a[0:3], v[168:169], v[152:153], a[0:3]
	v_mfma_f32_16x16x16_bf16 a[4:7], v[168:169], v[156:157], a[4:7]
	;; [unrolled: 1-line block ×8, first 2 shown]
	ds_read2st64_b64 v[166:169], v129 offset1:8
	ds_read2st64_b64 v[170:173], v130 offset1:8
	ds_read_b64 v[186:187], v137 offset:40960
	s_waitcnt lgkmcnt(2)
	v_mov_b32_e32 v174, v166
	v_mfma_f32_16x16x16_bf16 a[16:19], v[176:177], v[150:151], a[16:19]
	v_mov_b32_e32 v175, v167
	v_mfma_f32_16x16x16_bf16 a[20:23], v[176:177], v[154:155], a[20:23]
	v_mfma_f32_16x16x16_bf16 a[24:27], v[176:177], v[158:159], a[24:27]
	;; [unrolled: 1-line block ×3, first 2 shown]
	v_add_co_u32_e32 v162, vcc, s39, v188
	s_waitcnt lgkmcnt(1)
	v_mov_b32_e32 v176, v170
	s_waitcnt lgkmcnt(0)
	v_mfma_f32_16x16x16_bf16 a[16:19], v[186:187], v[152:153], a[16:19]
	ds_read2st64_b64 v[150:153], v129 offset0:16 offset1:24
	v_addc_co_u32_e32 v163, vcc, 0, v189, vcc
	v_mfma_f32_16x16x16_bf16 a[20:23], v[186:187], v[156:157], a[20:23]
	ds_read2st64_b64 v[154:157], v130 offset0:16 offset1:24
	v_mov_b32_e32 v177, v171
	v_mov_b32_e32 v170, v168
	v_mfma_f32_16x16x16_bf16 a[32:35], v[186:187], v[160:161], a[24:27]
	v_mov_b32_e32 v171, v169
	s_waitcnt lgkmcnt(0)
	v_mov_b32_e32 v160, v154
	v_mov_b32_e32 v161, v155
	v_mfma_f32_16x16x16_bf16 a[36:39], v[186:187], v[164:165], a[28:31]
	v_mov_b32_e32 v154, v152
	v_mov_b32_e32 v155, v153
	;; [unrolled: 1-line block ×3, first 2 shown]
	v_mfma_f32_16x16x16_bf16 a[24:27], v[184:185], v[74:75], a[16:19]
	v_add_co_u32_e32 v74, vcc, s68, v188
	v_mov_b32_e32 v159, v151
	v_mfma_f32_16x16x16_bf16 a[28:31], v[184:185], v[178:179], a[20:23]
	v_addc_co_u32_e32 v75, vcc, 0, v189, vcc
	global_store_dwordx4 v[74:75], v[154:157], off
	v_mfma_f32_16x16x16_bf16 a[16:19], v[184:185], v[180:181], a[32:35]
	s_waitcnt vmcnt(2)
	v_mov_b32_e32 v76, v69
	v_mov_b32_e32 v75, v68
	;; [unrolled: 1-line block ×3, first 2 shown]
	v_mfma_f32_16x16x16_bf16 a[20:23], v[184:185], v[182:183], a[36:39]
	s_and_b64 vcc, exec, s[0:1]
	global_store_dwordx4 v[188:189], v[174:177], off
	global_store_dwordx4 v[162:163], v[170:173], off offset:-4096
	global_store_dwordx4 v[162:163], v[158:161], off
	s_cbranch_vccnz .LBB139_16
; %bb.15:                               ;   in Loop: Header=BB139_6 Depth=1
	v_lshrrev_b32_e32 v67, 3, v148
	v_and_b32_e32 v67, 6, v67
	v_xor_b32_e32 v68, v67, v149
	v_lshlrev_b32_e32 v68, 2, v68
	v_and_b32_e32 v69, 8, v148
	v_xor_b32_e32 v148, 0x440, v68
	v_cmp_eq_u32_e32 vcc, 0, v69
	v_perm_b32 v69, v54, v50, s65
	s_nop 0
	v_cndmask_b32_e32 v68, v148, v68, vcc
	v_lshl_or_b32 v67, v67, 10, v68
	v_perm_b32 v68, v62, v58, s65
	s_barrier
	ds_write2st64_b32 v67, v68, v69 offset0:128 offset1:160
	v_xor_b32_e32 v68, 8, v67
	v_perm_b32 v58, v62, v58, s66
	v_perm_b32 v50, v54, v50, s66
	v_add_u32_e32 v54, 0x80, v68
	ds_write2st64_b32 v54, v58, v50 offset0:128 offset1:160
	v_xor_b32_e32 v50, 16, v67
	v_perm_b32 v54, v63, v59, s65
	v_perm_b32 v58, v55, v51, s65
	ds_write2st64_b32 v50, v54, v58 offset0:129 offset1:161
	v_xor_b32_e32 v50, 24, v67
	v_perm_b32 v54, v63, v59, s66
	v_perm_b32 v51, v55, v51, s66
	v_add_u32_e32 v50, 0x80, v50
	ds_write2st64_b32 v50, v54, v51 offset0:129 offset1:161
	v_xor_b32_e32 v50, 32, v67
	v_perm_b32 v51, v64, v60, s65
	v_perm_b32 v54, v56, v52, s65
	;; [unrolled: 9-line block ×3, first 2 shown]
	ds_write2st64_b32 v50, v51, v52 offset0:131 offset1:163
	v_xor_b32_e32 v50, 56, v67
	v_perm_b32 v51, v65, v61, s66
	v_perm_b32 v52, v57, v53, s66
	v_add_u32_e32 v50, 0x80, v50
	ds_write2st64_b32 v50, v51, v52 offset0:131 offset1:163
	ds_write_b64 v147, v[46:47] offset:49152
	v_xor_b32_e32 v46, 8, v147
	ds_write_b64 v46, v[48:49] offset:49152
	ds_write_b64 v147, v[42:43] offset:57344
	;; [unrolled: 1-line block ×4, first 2 shown]
	v_xor_b32_e32 v38, 8, v146
	ds_write_b64 v38, v[40:41] offset:49152
	ds_write_b64 v146, v[34:35] offset:57344
	;; [unrolled: 1-line block ×3, first 2 shown]
.LBB139_16:                             ;   in Loop: Header=BB139_6 Depth=1
	v_exp_f32_e32 v68, s2
	s_waitcnt vmcnt(4)
	v_exp_f32_e32 v70, v70
	v_exp_f32_e32 v71, v71
	;; [unrolled: 1-line block ×4, first 2 shown]
	v_accvgpr_read_b32 v37, a3
	v_accvgpr_read_b32 v36, a2
	v_accvgpr_read_b32 v35, a1
	v_accvgpr_read_b32 v34, a0
	v_pk_mul_f32 v[70:71], v[68:69], v[70:71] op_sel_hi:[0,1]
	v_pk_mul_f32 v[72:73], v[68:69], v[72:73] op_sel_hi:[0,1]
	v_pk_fma_f32 v[22:23], v[22:23], v[70:71], v[34:35]
	v_pk_fma_f32 v[24:25], v[24:25], v[72:73], v[36:37]
	v_exp_f32_e32 v34, v66
	v_exp_f32_e32 v35, v74
	;; [unrolled: 1-line block ×4, first 2 shown]
	v_accvgpr_read_b32 v41, a7
	v_accvgpr_read_b32 v45, a11
	;; [unrolled: 1-line block ×28, first 2 shown]
	v_pk_mul_f32 v[34:35], v[68:69], v[34:35] op_sel_hi:[0,1]
	v_pk_mul_f32 v[36:37], v[68:69], v[36:37] op_sel_hi:[0,1]
	s_add_i32 s64, s64, 64
	v_pk_fma_f32 v[14:15], v[70:71], v[14:15], v[38:39]
	v_pk_fma_f32 v[16:17], v[72:73], v[16:17], v[40:41]
	;; [unrolled: 1-line block ×13, first 2 shown]
	s_cmp_eq_u32 s54, s69
	v_pk_fma_f32 v[12:13], v[36:37], v[12:13], v[64:65]
	s_cbranch_scc1 .LBB139_18
; %bb.17:                               ;   in Loop: Header=BB139_6 Depth=1
	s_mov_b32 s70, s69
	s_branch .LBB139_6
.LBB139_18:
	s_lshl_b32 s26, s54, 6
	s_sub_i32 s27, s12, s26
	s_cmp_gt_i32 s27, 0
	s_cbranch_scc0 .LBB139_99
; %bb.19:
	s_ashr_i32 s2, s26, 31
	s_cmpk_lg_i32 s15, 0x80
	s_cselect_b64 s[22:23], -1, 0
	s_and_b64 vcc, exec, s[22:23]
	s_cbranch_vccz .LBB139_21
; %bb.20:
	s_mul_i32 s1, s53, s12
	s_mul_hi_i32 s0, s53, s12
	s_add_u32 s1, s1, s26
	s_addc_u32 s0, s0, s2
	s_mul_i32 s3, s1, s55
	s_mul_hi_u32 s17, s1, s14
	s_add_i32 s3, s17, s3
	s_mul_i32 s0, s0, s14
	s_add_i32 s3, s3, s0
	s_mul_i32 s1, s1, s14
	s_ashr_i32 s0, s56, 31
	s_add_u32 s24, s1, s56
	s_addc_u32 s25, s3, s0
	s_cbranch_execz .LBB139_22
	s_branch .LBB139_23
.LBB139_21:
                                        ; implicit-def: $sgpr24_sgpr25
.LBB139_22:
	s_mul_hi_i32 s0, s53, s14
	s_mul_i32 s53, s53, s14
	s_ashr_i32 s1, s56, 31
	s_add_u32 s3, s53, s56
	s_addc_u32 s0, s0, s1
	s_mul_i32 s1, s3, s52
	s_mul_hi_u32 s14, s3, s12
	s_add_i32 s1, s14, s1
	s_mul_i32 s0, s0, s12
	s_add_i32 s1, s1, s0
	s_mul_i32 s3, s3, s12
	s_add_u32 s24, s3, s26
	s_addc_u32 s25, s1, s2
.LBB139_23:
	s_mul_i32 s0, s40, s52
	s_add_i32 s0, s59, s0
	s_add_i32 s3, s57, s54
	s_add_i32 s1, s0, s58
	s_add_u32 s0, s16, s26
	s_addc_u32 s1, s1, s2
	v_lshlrev_b32_e32 v35, 6, v93
	v_lshlrev_b32_e32 v34, 2, v90
	s_mov_b32 s2, 0x7060302
	s_waitcnt vmcnt(7)
	v_perm_b32 v25, v25, v24, s2
	v_perm_b32 v24, v23, v22, s2
	s_waitcnt vmcnt(6)
	v_perm_b32 v22, v31, v30, s2
	v_or_b32_e32 v30, v35, v34
	v_xor_b32_e32 v36, v93, v34
	v_perm_b32 v23, v33, v32, s2
	v_lshlrev_b32_e32 v30, 1, v30
	ds_write2st64_b64 v30, v[24:25], v[22:23] offset0:32 offset1:48
	v_lshlrev_b32_e32 v30, 1, v36
	v_lshlrev_b32_e32 v31, 8, v90
	v_xor_b32_e32 v37, v94, v34
	v_or_b32_e32 v32, v30, v31
	ds_write_b64 v32, v[24:25]
	v_lshlrev_b32_e32 v24, 1, v37
	v_or_b32_e32 v25, v24, v31
	ds_write_b64 v25, v[22:23]
	v_or_b32_e32 v22, 16, v90
	v_lshlrev_b32_e32 v23, 2, v22
	v_or_b32_e32 v25, v35, v23
	s_waitcnt vmcnt(5)
	v_perm_b32 v17, v17, v16, s2
	v_perm_b32 v16, v15, v14, s2
	s_waitcnt vmcnt(4)
	v_perm_b32 v15, v29, v28, s2
	v_perm_b32 v14, v27, v26, s2
	v_lshlrev_b32_e32 v25, 1, v25
	v_lshlrev_b32_e32 v22, 8, v22
	ds_write2st64_b64 v25, v[16:17], v[14:15] offset0:32 offset1:48
	v_or_b32_e32 v25, v30, v22
	ds_write_b64 v25, v[16:17]
	v_or_b32_e32 v16, v24, v22
	ds_write_b64 v16, v[14:15]
	v_or_b32_e32 v14, 32, v90
	v_lshlrev_b32_e32 v22, 2, v14
	v_or_b32_e32 v15, v35, v22
	s_waitcnt vmcnt(3)
	v_perm_b32 v9, v9, v8, s2
	v_perm_b32 v8, v7, v6, s2
	s_waitcnt vmcnt(2)
	v_perm_b32 v7, v21, v20, s2
	v_perm_b32 v6, v19, v18, s2
	v_lshlrev_b32_e32 v15, 1, v15
	v_lshlrev_b32_e32 v14, 8, v14
	s_lshl_b64 s[20:21], s[0:1], 8
	ds_write2st64_b64 v15, v[8:9], v[6:7] offset0:32 offset1:48
	v_or_b32_e32 v15, v30, v14
	s_waitcnt lgkmcnt(0)
	s_add_u32 s0, s6, s20
	ds_write_b64 v15, v[8:9]
	v_or_b32_e32 v8, v24, v14
	s_addc_u32 s1, s7, s21
	ds_write_b64 v8, v[6:7]
	v_or_b32_e32 v6, 48, v90
	s_mul_hi_i32 s6, s3, s13
	s_mul_i32 s3, s3, s13
	s_waitcnt vmcnt(1)
	v_perm_b32 v5, v5, v4, s2
	v_perm_b32 v4, v3, v2, s2
	s_waitcnt vmcnt(0)
	v_perm_b32 v3, v13, v12, s2
	v_perm_b32 v2, v11, v10, s2
	v_lshlrev_b32_e32 v19, 2, v6
	s_add_u32 s2, s3, s50
	v_or_b32_e32 v7, v35, v19
	s_addc_u32 s3, s6, s51
	v_lshlrev_b32_e32 v7, 1, v7
	v_lshlrev_b32_e32 v6, 8, v6
	s_ashr_i32 s39, s38, 31
	s_lshl_b64 s[2:3], s[2:3], 15
	ds_write2st64_b64 v7, v[4:5], v[2:3] offset0:32 offset1:48
	v_or_b32_e32 v7, v30, v6
	s_add_u32 s6, s18, s2
	ds_write_b64 v7, v[4:5]
	v_or_b32_e32 v4, v24, v6
	s_addc_u32 s7, s19, s3
	s_lshl_b64 s[2:3], s[38:39], 8
	ds_write_b64 v4, v[2:3]
	s_add_u32 s2, s6, s2
	v_lshlrev_b32_e32 v3, 1, v90
	v_lshrrev_b32_e32 v2, 4, v0
	s_addc_u32 s3, s7, s3
	v_or_b32_e32 v4, 1, v3
	v_lshlrev_b32_e32 v10, 4, v90
	v_mov_b32_e32 v11, 0
	v_xor_b32_e32 v3, v2, v3
	v_xor_b32_e32 v6, v4, v2
	v_lshl_add_u64 v[12:13], s[2:3], 0, v[10:11]
	v_lshlrev_b32_e32 v10, 8, v2
	v_lshl_or_b32 v16, v3, 3, v10
	v_lshl_or_b32 v17, v6, 3, v10
	s_waitcnt lgkmcnt(0)
	s_barrier
	ds_read2st64_b64 v[2:5], v16 offset1:8
	ds_read2st64_b64 v[6:9], v17 offset1:8
	v_lshl_add_u64 v[14:15], v[12:13], 0, v[10:11]
	s_movk_i32 s2, 0x2000
	s_cmp_lg_u32 s27, 64
	s_waitcnt lgkmcnt(1)
	v_mov_b32_e32 v10, v2
	v_mov_b32_e32 v11, v3
	s_waitcnt lgkmcnt(0)
	v_mov_b32_e32 v12, v6
	v_mov_b32_e32 v13, v7
	global_store_dwordx4 v[14:15], v[10:13], off
	v_mov_b32_e32 v6, v4
	v_mov_b32_e32 v7, v5
	ds_read2st64_b64 v[2:5], v16 offset0:16 offset1:24
	ds_read2st64_b64 v[10:13], v17 offset0:16 offset1:24
	v_add_co_u32_e32 v16, vcc, s2, v14
	s_cselect_b64 s[6:7], -1, 0
	s_nop 0
	v_addc_co_u32_e32 v17, vcc, 0, v15, vcc
	global_store_dwordx4 v[16:17], v[6:9], off offset:-4096
	v_lshl_or_b32 v24, v88, 3, v92
	s_mov_b32 s16, 0
	s_waitcnt lgkmcnt(1)
	v_mov_b32_e32 v6, v2
	v_add_co_u32_e32 v2, vcc, 0x3000, v14
	v_mov_b32_e32 v7, v3
	s_nop 0
	v_addc_co_u32_e32 v3, vcc, 0, v15, vcc
	s_waitcnt lgkmcnt(0)
	v_mov_b32_e32 v8, v10
	v_mov_b32_e32 v9, v11
	;; [unrolled: 1-line block ×4, first 2 shown]
	v_or_b32_e32 v20, 32, v24
	v_and_b32_e32 v18, 56, v91
	s_and_b64 vcc, exec, s[6:7]
	global_store_dwordx4 v[16:17], v[6:9], off
	global_store_dwordx4 v[2:3], v[10:13], off
	s_cbranch_vccz .LBB139_29
; %bb.24:
	s_mov_b32 s17, s16
	s_mov_b32 s18, s16
	;; [unrolled: 1-line block ×3, first 2 shown]
	v_mov_b64_e32 v[6:7], s[16:17]
	v_mov_b64_e32 v[8:9], s[18:19]
	;; [unrolled: 1-line block ×3, first 2 shown]
	v_cmp_gt_i32_e32 vcc, s27, v24
	v_mov_b64_e32 v[4:5], v[8:9]
	s_and_saveexec_b64 s[2:3], vcc
	s_cbranch_execz .LBB139_26
; %bb.25:
	v_lshlrev_b32_e32 v2, 8, v24
	v_mov_b32_e32 v3, 0
	v_lshl_add_u64 v[4:5], s[0:1], 0, v[2:3]
	v_lshlrev_b32_e32 v2, 1, v18
	v_lshl_add_u64 v[10:11], v[4:5], 0, v[2:3]
	global_load_dwordx4 v[6:9], v[10:11], off
	global_load_dwordx4 v[2:5], v[10:11], off offset:128
.LBB139_26:
	s_or_b64 exec, exec, s[2:3]
	s_mov_b32 s17, s16
	s_mov_b32 s18, s16
	;; [unrolled: 1-line block ×3, first 2 shown]
	v_mov_b64_e32 v[14:15], s[16:17]
	v_mov_b64_e32 v[16:17], s[18:19]
	;; [unrolled: 1-line block ×3, first 2 shown]
	v_cmp_gt_i32_e32 vcc, s27, v20
	v_lshlrev_b32_e32 v21, 7, v20
	v_mov_b64_e32 v[12:13], v[16:17]
	s_and_saveexec_b64 s[2:3], vcc
	s_cbranch_execz .LBB139_28
; %bb.27:
	v_lshlrev_b32_e32 v10, 1, v21
	v_mov_b32_e32 v11, 0
	v_lshl_add_u64 v[12:13], s[0:1], 0, v[10:11]
	v_lshlrev_b32_e32 v10, 1, v18
	v_lshl_add_u64 v[26:27], v[12:13], 0, v[10:11]
	global_load_dwordx4 v[14:17], v[26:27], off
	global_load_dwordx4 v[10:13], v[26:27], off offset:128
.LBB139_28:
	s_or_b64 exec, exec, s[2:3]
	v_lshrrev_b32_e32 v25, 3, v18
	v_lshlrev_b32_e32 v26, 3, v24
	v_or_b32_e32 v25, v26, v25
	v_lshlrev_b32_e32 v25, 4, v25
	v_and_b32_e32 v26, 0x78, v26
	v_xor_b32_e32 v25, v25, v26
	s_branch .LBB139_31
.LBB139_29:
                                        ; implicit-def: $vgpr25
                                        ; implicit-def: $vgpr21
                                        ; implicit-def: $vgpr6_vgpr7_vgpr8_vgpr9
                                        ; implicit-def: $vgpr2_vgpr3_vgpr4_vgpr5
                                        ; implicit-def: $vgpr14_vgpr15_vgpr16_vgpr17
                                        ; implicit-def: $vgpr10_vgpr11_vgpr12_vgpr13
	s_cbranch_execz .LBB139_31
; %bb.30:
	s_waitcnt vmcnt(0)
	v_lshlrev_b32_e32 v2, 1, v18
	v_lshl_or_b32 v21, v24, 8, v2
	s_and_b32 s1, s1, 0xffff
	s_mov_b32 s3, 0x20000
	s_movk_i32 s2, 0x4000
	v_lshl_or_b32 v25, v20, 8, v2
	s_movk_i32 s13, 0x80
	buffer_load_dwordx4 v[6:9], v21, s[0:3], 0 offen
	buffer_load_dwordx4 v[2:5], v21, s[0:3], s13 offen
	;; [unrolled: 1-line block ×4, first 2 shown]
	v_lshrrev_b32_e32 v21, 3, v18
	v_lshlrev_b32_e32 v25, 3, v24
	v_or_b32_e32 v21, v25, v21
	v_lshlrev_b32_e32 v21, 4, v21
	v_and_b32_e32 v25, 0x78, v25
	v_xor_b32_e32 v25, v21, v25
	v_lshlrev_b32_e32 v21, 7, v20
.LBB139_31:
	s_movk_i32 s0, 0x1000
	v_and_or_b32 v20, v21, s0, v25
	s_waitcnt vmcnt(1)
	ds_write_b64 v25, v[6:7] offset:49152
	v_xor_b32_e32 v6, 8, v25
	ds_write_b64 v6, v[8:9] offset:49152
	s_waitcnt vmcnt(0)
	ds_write_b64 v25, v[2:3] offset:57344
	ds_write_b64 v6, v[4:5] offset:57344
	;; [unrolled: 1-line block ×3, first 2 shown]
	v_xor_b32_e32 v2, 8, v20
	ds_write_b64 v2, v[16:17] offset:49152
	ds_write_b64 v20, v[10:11] offset:57344
	;; [unrolled: 1-line block ×3, first 2 shown]
	v_or_b32_e32 v2, v1, v90
	v_lshlrev_b32_e32 v3, 11, v88
	v_lshlrev_b32_e32 v2, 3, v2
	v_and_b32_e32 v6, 0x1000, v3
	v_lshrrev_b32_e32 v3, 5, v77
	s_movk_i32 s0, 0xf8
	v_and_or_b32 v3, v2, s0, v3
	v_lshlrev_b32_e32 v7, 4, v3
	v_and_b32_e32 v8, 0x78, v2
	v_or_b32_e32 v10, 32, v7
	v_lshrrev_b32_e32 v3, 1, v77
	v_xor_b32_e32 v10, v10, v8
	v_xor_b32_e32 v2, v7, v8
	v_and_b32_e32 v9, 8, v3
	v_or_b32_e32 v10, v10, v6
	v_or_b32_e32 v2, v2, v6
	v_xor_b32_e32 v27, v10, v9
	v_or_b32_e32 v10, 64, v7
	v_xor_b32_e32 v26, v2, v9
	v_xor_b32_e32 v10, v10, v8
	s_waitcnt lgkmcnt(0)
	s_barrier
	v_or_b32_e32 v13, v10, v6
	ds_read_b64 v[10:11], v26 offset:49152
	v_lshl_or_b32 v14, v89, 8, v34
	v_lshlrev_b32_e32 v25, 1, v14
	v_add_u32_e32 v12, 0x4000, v25
	ds_read2_b64 v[2:5], v12 offset1:16
	v_or_b32_e32 v7, 0x60, v7
	v_xor_b32_e32 v7, v7, v8
	v_or_b32_e32 v6, v7, v6
	v_xor_b32_e32 v28, v13, v9
	v_xor_b32_e32 v29, v6, v9
	ds_read_b64 v[20:21], v27 offset:49152
	ds_read_b64 v[36:37], v28 offset:49152
	ds_read_b64 v[38:39], v29 offset:49152
	s_waitcnt lgkmcnt(3)
	v_mfma_f32_16x16x16_bf16 a[0:3], v[10:11], v[2:3], 0
	ds_read2st64_b64 v[6:9], v25 offset0:36 offset1:40
	s_lshl_b64 s[0:1], s[24:25], 8
	s_add_u32 s4, s4, s0
	v_mfma_f32_16x16x16_bf16 a[4:7], v[10:11], v[4:5], 0
	ds_read2_b64 v[2:5], v12 offset0:32 offset1:48
	s_addc_u32 s5, s5, s1
	s_add_i32 s1, s46, s33
	s_waitcnt lgkmcnt(0)
	v_mfma_f32_16x16x16_bf16 a[8:11], v[10:11], v[2:3], 0
	v_or_b32_e32 v2, 64, v14
	v_lshlrev_b32_e32 v30, 1, v2
	s_add_i32 s0, s12, -1
	v_mfma_f32_16x16x16_bf16 a[12:15], v[10:11], v[4:5], 0
	ds_read2st64_b64 v[2:5], v30 offset0:36 offset1:40
	s_add_i32 s37, s1, s41
	s_add_i32 s1, s48, s47
	v_mfma_f32_16x16x16_bf16 a[0:3], v[20:21], v[6:7], a[0:3]
	v_or_b32_e32 v6, 0x80, v14
	v_lshlrev_b32_e32 v31, 1, v6
	ds_read2st64_b64 v[10:13], v31 offset0:36 offset1:40
	s_waitcnt lgkmcnt(1)
	v_mfma_f32_16x16x16_bf16 a[4:7], v[20:21], v[2:3], a[4:7]
	v_or_b32_e32 v2, 0xc0, v14
	v_lshlrev_b32_e32 v32, 1, v2
	ds_read2st64_b64 v[14:17], v32 offset0:36 offset1:40
	s_add_i32 s35, s1, s49
	s_ashr_i32 s1, s0, 31
	s_mul_i32 s2, s0, s31
	s_mul_hi_u32 s3, s0, s30
	s_add_i32 s2, s3, s2
	s_mul_i32 s1, s1, s30
	s_waitcnt lgkmcnt(1)
	v_mfma_f32_16x16x16_bf16 a[8:11], v[20:21], v[10:11], a[8:11]
	s_add_i32 s1, s2, s1
	s_lshl_b64 s[2:3], s[36:37], 2
	s_add_u32 s10, s10, s2
	s_waitcnt lgkmcnt(0)
	v_mfma_f32_16x16x16_bf16 a[12:15], v[20:21], v[14:15], a[12:15]
	s_addc_u32 s11, s11, s3
	s_lshl_b64 s[2:3], s[34:35], 2
	s_mul_i32 s0, s0, s30
	v_mfma_f32_16x16x16_bf16 a[0:3], v[36:37], v[8:9], a[0:3]
	ds_read_b64 v[2:3], v25 offset:22528
	s_add_u32 s10, s10, s2
	s_addc_u32 s11, s11, s3
	v_mfma_f32_16x16x16_bf16 a[4:7], v[36:37], v[4:5], a[4:7]
	ds_read_b64 v[4:5], v30 offset:22528
	ds_read_b64 v[6:7], v31 offset:22528
	;; [unrolled: 1-line block ×3, first 2 shown]
	s_lshl_b64 s[0:1], s[0:1], 2
	s_add_u32 s0, s10, s0
	v_mfma_f32_16x16x16_bf16 a[8:11], v[36:37], v[12:13], a[8:11]
	s_addc_u32 s1, s11, s1
	s_load_dword s12, s[0:1], 0x0
	s_and_b64 vcc, exec, s[22:23]
	v_mfma_f32_16x16x16_bf16 a[12:15], v[36:37], v[16:17], a[12:15]
	s_waitcnt lgkmcnt(0)
	v_mfma_f32_16x16x16_bf16 a[0:3], v[38:39], v[2:3], a[0:3]
	v_mfma_f32_16x16x16_bf16 a[4:7], v[38:39], v[4:5], a[4:7]
	;; [unrolled: 1-line block ×4, first 2 shown]
	s_cbranch_vccz .LBB139_42
; %bb.32:
	v_lshlrev_b32_e32 v20, 1, v24
	s_and_b64 vcc, exec, s[6:7]
	s_cbranch_vccz .LBB139_43
; %bb.33:
	v_cmp_gt_i32_e32 vcc, s27, v20
	v_mov_b32_e32 v6, 0
	v_mov_b32_e32 v2, 0
	;; [unrolled: 1-line block ×5, first 2 shown]
	s_and_saveexec_b64 s[0:1], vcc
	s_cbranch_execz .LBB139_35
; %bb.34:
	v_mad_i64_i32 v[2:3], s[2:3], s15, v20, 0
	v_lshl_add_u64 v[2:3], v[2:3], 1, s[4:5]
	v_lshlrev_b32_e32 v4, 1, v18
	v_mov_b32_e32 v5, 0
	v_lshl_add_u64 v[2:3], v[2:3], 0, v[4:5]
	global_load_dwordx4 v[2:5], v[2:3], off
.LBB139_35:
	s_or_b64 exec, exec, s[0:1]
	v_or_b32_e32 v21, 1, v20
	v_cmp_gt_i32_e64 s[0:1], s27, v21
	v_mov_b32_e32 v7, 0
	v_mov_b32_e32 v8, 0
	;; [unrolled: 1-line block ×3, first 2 shown]
	s_and_saveexec_b64 s[2:3], s[0:1]
	s_cbranch_execz .LBB139_37
; %bb.36:
	v_mad_i64_i32 v[6:7], s[16:17], s15, v21, 0
	v_lshl_add_u64 v[6:7], v[6:7], 1, s[4:5]
	v_lshlrev_b32_e32 v8, 1, v18
	v_mov_b32_e32 v9, 0
	v_lshl_add_u64 v[6:7], v[6:7], 0, v[8:9]
	global_load_dwordx4 v[6:9], v[6:7], off
.LBB139_37:
	s_or_b64 exec, exec, s[2:3]
	v_mov_b32_e32 v17, 0
	v_mov_b32_e32 v10, 0
	;; [unrolled: 1-line block ×5, first 2 shown]
	s_and_saveexec_b64 s[2:3], vcc
	s_cbranch_execz .LBB139_39
; %bb.38:
	v_mad_i64_i32 v[10:11], s[16:17], s15, v20, 0
	v_lshl_add_u64 v[10:11], v[10:11], 1, s[4:5]
	v_lshlrev_b32_e32 v12, 1, v18
	v_mov_b32_e32 v13, 0
	v_lshl_add_u64 v[10:11], v[10:11], 0, v[12:13]
	global_load_dwordx4 v[10:13], v[10:11], off offset:128
.LBB139_39:
	s_or_b64 exec, exec, s[2:3]
	v_mov_b32_e32 v16, 0
	v_mov_b32_e32 v15, 0
	;; [unrolled: 1-line block ×3, first 2 shown]
	s_and_saveexec_b64 s[2:3], s[0:1]
	s_cbranch_execz .LBB139_41
; %bb.40:
	v_mad_i64_i32 v[14:15], s[0:1], s15, v21, 0
	v_lshl_add_u64 v[14:15], v[14:15], 1, s[4:5]
	v_lshlrev_b32_e32 v16, 1, v18
	v_mov_b32_e32 v17, 0
	v_lshl_add_u64 v[14:15], v[14:15], 0, v[16:17]
	global_load_dwordx4 v[14:17], v[14:15], off offset:128
.LBB139_41:
	s_or_b64 exec, exec, s[2:3]
	s_branch .LBB139_45
.LBB139_42:
                                        ; implicit-def: $vgpr5
                                        ; implicit-def: $vgpr9
                                        ; implicit-def: $vgpr13
                                        ; implicit-def: $vgpr17
	v_lshrrev_b32_e32 v33, 2, v77
	s_branch .LBB139_46
.LBB139_43:
                                        ; implicit-def: $vgpr5
                                        ; implicit-def: $vgpr9
                                        ; implicit-def: $vgpr13
                                        ; implicit-def: $vgpr17
	s_cbranch_execz .LBB139_45
; %bb.44:
	s_waitcnt vmcnt(0)
	v_mad_u64_u32 v[2:3], s[0:1], v20, s15, v[18:19]
	v_lshlrev_b32_e32 v20, 1, v2
	s_lshl_b32 s2, s15, 7
	s_and_b32 s1, s5, 0xffff
	s_mov_b32 s3, 0x20000
	s_mov_b32 s0, s4
	v_add_lshl_u32 v21, v2, s15, 1
	s_movk_i32 s13, 0x80
	buffer_load_dwordx4 v[2:5], v20, s[0:3], 0 offen
	buffer_load_dwordx4 v[10:13], v20, s[0:3], s13 offen
	;; [unrolled: 1-line block ×4, first 2 shown]
.LBB139_45:
	v_lshrrev_b32_e32 v33, 2, v77
	s_cbranch_execnz .LBB139_58
.LBB139_46:
	s_and_b64 vcc, exec, s[6:7]
	s_cbranch_vccz .LBB139_56
; %bb.47:
	s_waitcnt vmcnt(0)
	v_lshlrev_b32_e32 v7, 1, v24
	v_cmp_gt_i32_e32 vcc, s27, v7
	v_mov_b32_e32 v6, 0
	v_lshlrev_b32_e32 v14, 9, v24
	v_mov_b32_e32 v2, 0
	v_mov_b32_e32 v3, 0
	;; [unrolled: 1-line block ×4, first 2 shown]
	s_and_saveexec_b64 s[0:1], vcc
	s_cbranch_execz .LBB139_49
; %bb.48:
	v_mov_b32_e32 v15, 0
	v_lshl_add_u64 v[2:3], s[4:5], 0, v[14:15]
	v_lshlrev_b32_e32 v4, 1, v18
	v_mov_b32_e32 v5, v15
	v_lshl_add_u64 v[2:3], v[2:3], 0, v[4:5]
	global_load_dwordx4 v[2:5], v[2:3], off
.LBB139_49:
	s_or_b64 exec, exec, s[0:1]
	v_or_b32_e32 v7, 1, v7
	v_cmp_gt_i32_e64 s[0:1], s27, v7
	v_lshlrev_b32_e32 v20, 8, v7
	v_mov_b32_e32 v7, 0
	v_mov_b32_e32 v8, 0
	;; [unrolled: 1-line block ×3, first 2 shown]
	s_and_saveexec_b64 s[2:3], s[0:1]
	s_cbranch_execz .LBB139_51
; %bb.50:
	v_mov_b32_e32 v21, 0
	v_lshl_add_u64 v[6:7], s[4:5], 0, v[20:21]
	v_lshlrev_b32_e32 v8, 1, v18
	v_mov_b32_e32 v9, v21
	v_lshl_add_u64 v[6:7], v[6:7], 0, v[8:9]
	global_load_dwordx4 v[6:9], v[6:7], off
.LBB139_51:
	s_or_b64 exec, exec, s[2:3]
	v_mov_b32_e32 v17, 0
	v_mov_b32_e32 v10, 0
	;; [unrolled: 1-line block ×5, first 2 shown]
	s_and_saveexec_b64 s[2:3], vcc
	s_cbranch_execz .LBB139_53
; %bb.52:
	v_mov_b32_e32 v15, 0
	v_lshl_add_u64 v[10:11], s[4:5], 0, v[14:15]
	v_lshlrev_b32_e32 v14, 1, v18
	v_lshl_add_u64 v[10:11], v[10:11], 0, v[14:15]
	global_load_dwordx4 v[10:13], v[10:11], off offset:128
.LBB139_53:
	s_or_b64 exec, exec, s[2:3]
	v_mov_b32_e32 v16, 0
	v_mov_b32_e32 v15, 0
	;; [unrolled: 1-line block ×3, first 2 shown]
	s_and_saveexec_b64 s[2:3], s[0:1]
	s_cbranch_execz .LBB139_55
; %bb.54:
	v_mov_b32_e32 v21, 0
	v_lshl_add_u64 v[14:15], s[4:5], 0, v[20:21]
	v_lshlrev_b32_e32 v20, 1, v18
	v_lshl_add_u64 v[14:15], v[14:15], 0, v[20:21]
	global_load_dwordx4 v[14:17], v[14:15], off offset:128
.LBB139_55:
	s_or_b64 exec, exec, s[2:3]
	s_branch .LBB139_58
.LBB139_56:
                                        ; implicit-def: $vgpr5
                                        ; implicit-def: $vgpr9
                                        ; implicit-def: $vgpr13
                                        ; implicit-def: $vgpr17
	s_cbranch_execz .LBB139_58
; %bb.57:
	s_waitcnt vmcnt(0)
	v_lshlrev_b32_e32 v2, 1, v18
	v_lshl_or_b32 v18, v24, 9, v2
	s_and_b32 s5, s5, 0xffff
	s_mov_b32 s7, 0x20000
	s_movk_i32 s6, 0x4000
	s_movk_i32 s0, 0x80
	buffer_load_dwordx4 v[2:5], v18, s[4:7], 0 offen
	buffer_load_dwordx4 v[6:9], v18, s[4:7], 0 offen offset:256
	buffer_load_dwordx4 v[10:13], v18, s[4:7], s0 offen
	buffer_load_dwordx4 v[14:17], v18, s[4:7], s0 offen offset:256
.LBB139_58:
	ds_read_b64 v[20:21], v26 offset:57344
	v_add_u32_e32 v18, 0x6000, v25
	ds_read2_b64 v[36:39], v18 offset1:16
	ds_read_b64 v[48:49], v27 offset:57344
	ds_read_b64 v[50:51], v28 offset:57344
	;; [unrolled: 1-line block ×3, first 2 shown]
	ds_read2_b64 v[26:29], v18 offset0:32 offset1:48
	v_and_b32_e32 v18, 6, v0
	v_xor_b32_e32 v24, v24, v18
	v_lshlrev_b32_e32 v24, 2, v24
	v_and_b32_e32 v0, 1, v0
	v_cmp_eq_u32_e32 vcc, 0, v0
	s_waitcnt lgkmcnt(4)
	v_mfma_f32_16x16x16_bf16 a[0:3], v[20:21], v[36:37], a[0:3]
	s_mov_b32 s0, 0x1000504
	s_mov_b32 s1, 0x3020706
	v_mfma_f32_16x16x16_bf16 a[4:7], v[20:21], v[38:39], a[4:7]
	ds_read2st64_b64 v[36:39], v25 offset0:52 offset1:56
	s_waitcnt lgkmcnt(1)
	v_mfma_f32_16x16x16_bf16 a[8:11], v[20:21], v[26:27], a[8:11]
	v_mfma_f32_16x16x16_bf16 a[12:15], v[20:21], v[28:29], a[12:15]
	ds_read2st64_b64 v[26:29], v30 offset0:52 offset1:56
	ds_read2st64_b64 v[40:43], v31 offset0:52 offset1:56
	;; [unrolled: 1-line block ×3, first 2 shown]
	s_waitcnt lgkmcnt(3)
	v_mfma_f32_16x16x16_bf16 a[0:3], v[48:49], v[36:37], a[0:3]
	ds_read_b64 v[20:21], v25 offset:30720
	ds_read_b64 v[36:37], v30 offset:30720
	;; [unrolled: 1-line block ×4, first 2 shown]
	v_xor_b32_e32 v25, 0x440, v24
	v_cndmask_b32_e32 v0, v25, v24, vcc
	s_waitcnt lgkmcnt(6)
	v_mfma_f32_16x16x16_bf16 a[4:7], v[48:49], v[26:27], a[4:7]
	v_lshl_or_b32 v0, v18, 10, v0
	s_waitcnt vmcnt(0)
	v_perm_b32 v18, v2, v6, s0
	v_perm_b32 v24, v10, v14, s0
	s_waitcnt lgkmcnt(5)
	v_mfma_f32_16x16x16_bf16 a[8:11], v[48:49], v[40:41], a[8:11]
	ds_write2st64_b32 v0, v18, v24 offset0:128 offset1:160
	v_xor_b32_e32 v18, 8, v0
	v_perm_b32 v2, v2, v6, s1
	s_waitcnt lgkmcnt(5)
	v_mfma_f32_16x16x16_bf16 a[12:15], v[48:49], v[44:45], a[12:15]
	v_perm_b32 v6, v10, v14, s1
	v_add_u32_e32 v10, 0x80, v18
	ds_write2st64_b32 v10, v2, v6 offset0:128 offset1:160
	v_mfma_f32_16x16x16_bf16 a[0:3], v[50:51], v[38:39], a[0:3]
	v_xor_b32_e32 v2, 16, v0
	v_perm_b32 v6, v3, v7, s0
	v_perm_b32 v10, v11, v15, s0
	v_mfma_f32_16x16x16_bf16 a[4:7], v[50:51], v[28:29], a[4:7]
	ds_write2st64_b32 v2, v6, v10 offset0:129 offset1:161
	v_xor_b32_e32 v2, 24, v0
	v_perm_b32 v3, v3, v7, s1
	v_mfma_f32_16x16x16_bf16 a[16:19], v[50:51], v[42:43], a[8:11]
	v_perm_b32 v6, v11, v15, s1
	v_add_u32_e32 v2, 0x80, v2
	ds_write2st64_b32 v2, v3, v6 offset0:129 offset1:161
	v_mfma_f32_16x16x16_bf16 a[20:23], v[50:51], v[46:47], a[12:15]
	v_xor_b32_e32 v2, 32, v0
	v_perm_b32 v3, v4, v8, s0
	v_perm_b32 v6, v12, v16, s0
	s_waitcnt lgkmcnt(7)
	v_mfma_f32_16x16x16_bf16 a[12:15], v[52:53], v[20:21], a[0:3]
	ds_write2st64_b32 v2, v3, v6 offset0:130 offset1:162
	v_xor_b32_e32 v2, 40, v0
	v_perm_b32 v3, v4, v8, s1
	s_waitcnt lgkmcnt(7)
	v_mfma_f32_16x16x16_bf16 a[8:11], v[52:53], v[36:37], a[4:7]
	v_perm_b32 v4, v12, v16, s1
	v_add_u32_e32 v2, 0x80, v2
	ds_write2st64_b32 v2, v3, v4 offset0:130 offset1:162
	s_waitcnt lgkmcnt(7)
	v_mfma_f32_16x16x16_bf16 a[4:7], v[52:53], v[30:31], a[16:19]
	v_xor_b32_e32 v2, 48, v0
	v_perm_b32 v3, v5, v9, s0
	v_perm_b32 v4, v13, v17, s0
	s_waitcnt lgkmcnt(6)
	v_mfma_f32_16x16x16_bf16 a[0:3], v[52:53], v[54:55], a[20:23]
	v_xor_b32_e32 v0, 56, v0
	v_and_or_b32 v21, v33, 12, v1
	ds_write2st64_b32 v2, v3, v4 offset0:131 offset1:163
	v_perm_b32 v2, v5, v9, s1
	v_perm_b32 v3, v13, v17, s1
	v_add_u32_e32 v0, 0x80, v0
	v_cmp_gt_i32_e32 vcc, s27, v21
	v_mov_b32_e32 v16, 0
	v_mov_b32_e32 v18, 0
	ds_write2st64_b32 v0, v2, v3 offset0:131 offset1:163
	s_and_saveexec_b64 s[0:1], vcc
	s_cbranch_execz .LBB139_60
; %bb.59:
	v_add_u32_e32 v0, s26, v21
	v_ashrrev_i32_e32 v1, 31, v0
	v_mul_lo_u32 v2, v1, s30
	v_mul_lo_u32 v3, v0, s31
	v_mad_u64_u32 v[0:1], s[2:3], v0, s30, 0
	v_add3_u32 v1, v1, v3, v2
	v_lshl_add_u64 v[0:1], v[0:1], 2, s[10:11]
	global_load_dword v0, v[0:1], off
	s_waitcnt vmcnt(0)
	v_sub_f32_e32 v0, s12, v0
	v_exp_f32_e32 v18, v0
.LBB139_60:
	s_or_b64 exec, exec, s[0:1]
	v_or_b32_e32 v10, 1, v21
	v_cmp_gt_i32_e64 s[2:3], s27, v10
	s_and_saveexec_b64 s[0:1], s[2:3]
	s_cbranch_execz .LBB139_62
; %bb.61:
	v_add_u32_e32 v0, s26, v10
	v_ashrrev_i32_e32 v1, 31, v0
	v_mul_lo_u32 v2, v1, s30
	v_mul_lo_u32 v3, v0, s31
	v_mad_u64_u32 v[0:1], s[4:5], v0, s30, 0
	v_add3_u32 v1, v1, v3, v2
	v_lshl_add_u64 v[0:1], v[0:1], 2, s[10:11]
	global_load_dword v0, v[0:1], off
	s_waitcnt vmcnt(0)
	v_sub_f32_e32 v0, s12, v0
	v_exp_f32_e32 v16, v0
.LBB139_62:
	s_or_b64 exec, exec, s[0:1]
	v_or_b32_e32 v12, 2, v21
	v_cmp_gt_i32_e64 s[0:1], s27, v12
	v_mov_b32_e32 v17, 0
	v_mov_b32_e32 v20, 0
	s_and_saveexec_b64 s[4:5], s[0:1]
	s_cbranch_execz .LBB139_64
; %bb.63:
	v_add_u32_e32 v0, s26, v12
	v_ashrrev_i32_e32 v1, 31, v0
	v_mul_lo_u32 v2, v1, s30
	v_mul_lo_u32 v3, v0, s31
	v_mad_u64_u32 v[0:1], s[6:7], v0, s30, 0
	v_add3_u32 v1, v1, v3, v2
	v_lshl_add_u64 v[0:1], v[0:1], 2, s[10:11]
	global_load_dword v0, v[0:1], off
	s_waitcnt vmcnt(0)
	v_sub_f32_e32 v0, s12, v0
	v_exp_f32_e32 v20, v0
.LBB139_64:
	s_or_b64 exec, exec, s[4:5]
	v_or_b32_e32 v14, 3, v21
	v_cmp_gt_i32_e64 s[4:5], s27, v14
	s_and_saveexec_b64 s[6:7], s[4:5]
	s_cbranch_execz .LBB139_66
; %bb.65:
	v_add_u32_e32 v0, s26, v14
	v_ashrrev_i32_e32 v1, 31, v0
	v_mul_lo_u32 v2, v1, s30
	v_mul_lo_u32 v3, v0, s31
	v_mad_u64_u32 v[0:1], s[14:15], v0, s30, 0
	v_add3_u32 v1, v1, v3, v2
	v_lshl_add_u64 v[0:1], v[0:1], 2, s[10:11]
	global_load_dword v0, v[0:1], off
	s_waitcnt vmcnt(0)
	v_sub_f32_e32 v0, s12, v0
	v_exp_f32_e32 v17, v0
.LBB139_66:
	s_or_b64 exec, exec, s[6:7]
	s_add_u32 s6, s8, s20
	s_addc_u32 s7, s9, s21
	s_add_u32 s8, s28, s20
	v_ashrrev_i32_e32 v79, 31, v78
	v_accvgpr_read_b32 v0, a12
	s_addc_u32 s9, s29, s21
	v_lshlrev_b64 v[4:5], 1, v[78:79]
	v_accvgpr_read_b32 v1, a13
	v_accvgpr_read_b32 v2, a14
	;; [unrolled: 1-line block ×3, first 2 shown]
	v_lshl_add_u64 v[6:7], s[6:7], 0, v[4:5]
	v_lshl_add_u64 v[4:5], s[8:9], 0, v[4:5]
	v_mov_b32_e32 v11, 0
	v_lshlrev_b32_e32 v8, 8, v21
	v_mov_b32_e32 v9, 0
	s_and_saveexec_b64 s[6:7], vcc
	s_cbranch_execz .LBB139_68
; %bb.67:
	v_mov_b32_e32 v9, 0
	v_lshl_add_u64 v[24:25], v[6:7], 0, v[8:9]
	global_load_ushort v13, v[24:25], off
	v_lshl_add_u64 v[24:25], v[4:5], 0, v[8:9]
	s_waitcnt vmcnt(0)
	v_lshlrev_b32_e32 v9, 16, v13
	v_sub_f32_e32 v0, v9, v0
	global_store_short_d16_hi v[24:25], v0, off
	v_mul_f32_e32 v0, v18, v0
	v_lshrrev_b32_e32 v9, 16, v0
.LBB139_68:
	s_or_b64 exec, exec, s[6:7]
	v_lshlrev_b32_e32 v10, 8, v10
	s_and_saveexec_b64 s[6:7], s[2:3]
	s_cbranch_execz .LBB139_70
; %bb.69:
	v_mov_b32_e32 v11, 0
	v_lshl_add_u64 v[24:25], v[6:7], 0, v[10:11]
	global_load_ushort v0, v[24:25], off
	v_lshl_add_u64 v[24:25], v[4:5], 0, v[10:11]
	s_waitcnt vmcnt(0)
	v_lshlrev_b32_e32 v0, 16, v0
	v_sub_f32_e32 v0, v0, v1
	global_store_short_d16_hi v[24:25], v0, off
	v_mul_f32_e32 v0, v16, v0
	v_lshrrev_b32_e32 v11, 16, v0
.LBB139_70:
	s_or_b64 exec, exec, s[6:7]
	v_mov_b32_e32 v15, 0
	v_lshlrev_b32_e32 v12, 8, v12
	v_mov_b32_e32 v13, 0
	s_and_saveexec_b64 s[6:7], s[0:1]
	s_cbranch_execz .LBB139_72
; %bb.71:
	v_mov_b32_e32 v13, 0
	v_lshl_add_u64 v[0:1], v[6:7], 0, v[12:13]
	global_load_ushort v24, v[0:1], off
	v_lshl_add_u64 v[0:1], v[4:5], 0, v[12:13]
	s_waitcnt vmcnt(0)
	v_lshlrev_b32_e32 v13, 16, v24
	v_sub_f32_e32 v2, v13, v2
	global_store_short_d16_hi v[0:1], v2, off
	v_mul_f32_e32 v0, v20, v2
	v_lshrrev_b32_e32 v13, 16, v0
.LBB139_72:
	s_or_b64 exec, exec, s[6:7]
	v_lshlrev_b32_e32 v14, 8, v14
	s_and_saveexec_b64 s[6:7], s[4:5]
	s_cbranch_execz .LBB139_74
; %bb.73:
	v_mov_b32_e32 v15, 0
	v_lshl_add_u64 v[0:1], v[6:7], 0, v[14:15]
	global_load_ushort v2, v[0:1], off
	v_lshl_add_u64 v[0:1], v[4:5], 0, v[14:15]
	s_waitcnt vmcnt(0)
	v_lshlrev_b32_e32 v2, 16, v2
	v_sub_f32_e32 v2, v2, v3
	global_store_short_d16_hi v[0:1], v2, off
	v_mul_f32_e32 v0, v17, v2
	v_lshrrev_b32_e32 v15, 16, v0
.LBB139_74:
	s_or_b64 exec, exec, s[6:7]
	v_lshlrev_b32_e32 v21, 6, v21
	s_mov_b32 s6, 0x5040100
	v_perm_b32 v24, v11, v9, s6
	v_or_b32_e32 v9, v21, v34
	v_accvgpr_read_b32 v0, a8
	v_perm_b32 v25, v15, v13, s6
	v_lshlrev_b32_e32 v9, 1, v9
	v_accvgpr_read_b32 v1, a9
	v_accvgpr_read_b32 v2, a10
	;; [unrolled: 1-line block ×3, first 2 shown]
	ds_write_b64 v9, v[24:25] offset:24576
	v_mov_b32_e32 v11, 0
	v_mov_b32_e32 v9, 0
	s_and_saveexec_b64 s[6:7], vcc
	s_cbranch_execz .LBB139_76
; %bb.75:
	v_mov_b32_e32 v9, 0
	v_lshl_add_u64 v[24:25], v[6:7], 0, v[8:9]
	global_load_ushort v13, v[24:25], off offset:32
	v_lshl_add_u64 v[24:25], v[4:5], 0, v[8:9]
	s_waitcnt vmcnt(0)
	v_lshlrev_b32_e32 v9, 16, v13
	v_sub_f32_e32 v0, v9, v0
	global_store_short_d16_hi v[24:25], v0, off offset:32
	v_mul_f32_e32 v0, v18, v0
	v_lshrrev_b32_e32 v9, 16, v0
.LBB139_76:
	s_or_b64 exec, exec, s[6:7]
	s_and_saveexec_b64 s[6:7], s[2:3]
	s_cbranch_execz .LBB139_78
; %bb.77:
	v_mov_b32_e32 v11, 0
	v_lshl_add_u64 v[24:25], v[6:7], 0, v[10:11]
	global_load_ushort v0, v[24:25], off offset:32
	v_lshl_add_u64 v[24:25], v[4:5], 0, v[10:11]
	s_waitcnt vmcnt(0)
	v_lshlrev_b32_e32 v0, 16, v0
	v_sub_f32_e32 v0, v0, v1
	global_store_short_d16_hi v[24:25], v0, off offset:32
	v_mul_f32_e32 v0, v16, v0
	v_lshrrev_b32_e32 v11, 16, v0
.LBB139_78:
	s_or_b64 exec, exec, s[6:7]
	v_mov_b32_e32 v15, 0
	v_mov_b32_e32 v13, 0
	s_and_saveexec_b64 s[6:7], s[0:1]
	s_cbranch_execz .LBB139_80
; %bb.79:
	v_mov_b32_e32 v13, 0
	v_lshl_add_u64 v[0:1], v[6:7], 0, v[12:13]
	global_load_ushort v24, v[0:1], off offset:32
	v_lshl_add_u64 v[0:1], v[4:5], 0, v[12:13]
	s_waitcnt vmcnt(0)
	v_lshlrev_b32_e32 v13, 16, v24
	v_sub_f32_e32 v2, v13, v2
	global_store_short_d16_hi v[0:1], v2, off offset:32
	v_mul_f32_e32 v0, v20, v2
	v_lshrrev_b32_e32 v13, 16, v0
.LBB139_80:
	s_or_b64 exec, exec, s[6:7]
	s_and_saveexec_b64 s[6:7], s[4:5]
	s_cbranch_execz .LBB139_82
; %bb.81:
	v_mov_b32_e32 v15, 0
	v_lshl_add_u64 v[0:1], v[6:7], 0, v[14:15]
	global_load_ushort v2, v[0:1], off offset:32
	v_lshl_add_u64 v[0:1], v[4:5], 0, v[14:15]
	s_waitcnt vmcnt(0)
	v_lshlrev_b32_e32 v2, 16, v2
	v_sub_f32_e32 v2, v2, v3
	global_store_short_d16_hi v[0:1], v2, off offset:32
	v_mul_f32_e32 v0, v17, v2
	v_lshrrev_b32_e32 v15, 16, v0
.LBB139_82:
	s_or_b64 exec, exec, s[6:7]
	s_mov_b32 s6, 0x5040100
	v_perm_b32 v24, v11, v9, s6
	v_or_b32_e32 v9, v21, v23
	v_accvgpr_read_b32 v0, a4
	v_perm_b32 v25, v15, v13, s6
	v_lshlrev_b32_e32 v9, 1, v9
	v_accvgpr_read_b32 v1, a5
	v_accvgpr_read_b32 v2, a6
	;; [unrolled: 1-line block ×3, first 2 shown]
	ds_write_b64 v9, v[24:25] offset:24576
	v_mov_b32_e32 v11, 0
	v_mov_b32_e32 v9, 0
	s_and_saveexec_b64 s[6:7], vcc
	s_cbranch_execz .LBB139_84
; %bb.83:
	v_mov_b32_e32 v9, 0
	v_lshl_add_u64 v[24:25], v[6:7], 0, v[8:9]
	global_load_ushort v13, v[24:25], off offset:64
	v_lshl_add_u64 v[24:25], v[4:5], 0, v[8:9]
	s_waitcnt vmcnt(0)
	v_lshlrev_b32_e32 v9, 16, v13
	v_sub_f32_e32 v0, v9, v0
	global_store_short_d16_hi v[24:25], v0, off offset:64
	v_mul_f32_e32 v0, v18, v0
	v_lshrrev_b32_e32 v9, 16, v0
.LBB139_84:
	s_or_b64 exec, exec, s[6:7]
	s_and_saveexec_b64 s[6:7], s[2:3]
	s_cbranch_execz .LBB139_86
; %bb.85:
	v_mov_b32_e32 v11, 0
	v_lshl_add_u64 v[24:25], v[6:7], 0, v[10:11]
	global_load_ushort v0, v[24:25], off offset:64
	v_lshl_add_u64 v[24:25], v[4:5], 0, v[10:11]
	s_waitcnt vmcnt(0)
	v_lshlrev_b32_e32 v0, 16, v0
	v_sub_f32_e32 v0, v0, v1
	global_store_short_d16_hi v[24:25], v0, off offset:64
	v_mul_f32_e32 v0, v16, v0
	v_lshrrev_b32_e32 v11, 16, v0
.LBB139_86:
	s_or_b64 exec, exec, s[6:7]
	v_mov_b32_e32 v15, 0
	v_mov_b32_e32 v13, 0
	s_and_saveexec_b64 s[6:7], s[0:1]
	s_cbranch_execz .LBB139_88
; %bb.87:
	v_mov_b32_e32 v13, 0
	v_lshl_add_u64 v[0:1], v[6:7], 0, v[12:13]
	global_load_ushort v23, v[0:1], off offset:64
	v_lshl_add_u64 v[0:1], v[4:5], 0, v[12:13]
	s_waitcnt vmcnt(0)
	v_lshlrev_b32_e32 v13, 16, v23
	v_sub_f32_e32 v2, v13, v2
	global_store_short_d16_hi v[0:1], v2, off offset:64
	v_mul_f32_e32 v0, v20, v2
	v_lshrrev_b32_e32 v13, 16, v0
.LBB139_88:
	s_or_b64 exec, exec, s[6:7]
	s_and_saveexec_b64 s[6:7], s[4:5]
	s_cbranch_execz .LBB139_90
; %bb.89:
	v_mov_b32_e32 v15, 0
	v_lshl_add_u64 v[0:1], v[6:7], 0, v[14:15]
	global_load_ushort v2, v[0:1], off offset:64
	v_lshl_add_u64 v[0:1], v[4:5], 0, v[14:15]
	s_waitcnt vmcnt(0)
	v_lshlrev_b32_e32 v2, 16, v2
	v_sub_f32_e32 v2, v2, v3
	global_store_short_d16_hi v[0:1], v2, off offset:64
	v_mul_f32_e32 v0, v17, v2
	v_lshrrev_b32_e32 v15, 16, v0
.LBB139_90:
	s_or_b64 exec, exec, s[6:7]
	s_mov_b32 s6, 0x5040100
	v_perm_b32 v24, v11, v9, s6
	v_or_b32_e32 v9, v21, v22
	v_accvgpr_read_b32 v0, a0
	v_perm_b32 v25, v15, v13, s6
	v_lshlrev_b32_e32 v9, 1, v9
	v_accvgpr_read_b32 v1, a1
	v_accvgpr_read_b32 v2, a2
	;; [unrolled: 1-line block ×3, first 2 shown]
	ds_write_b64 v9, v[24:25] offset:24576
	v_mov_b32_e32 v11, 0
	v_mov_b32_e32 v9, 0
	s_and_saveexec_b64 s[6:7], vcc
	s_cbranch_execz .LBB139_92
; %bb.91:
	v_mov_b32_e32 v9, 0
	v_lshl_add_u64 v[22:23], v[6:7], 0, v[8:9]
	global_load_ushort v13, v[22:23], off offset:96
	v_lshl_add_u64 v[8:9], v[4:5], 0, v[8:9]
	s_waitcnt vmcnt(0)
	v_lshlrev_b32_e32 v13, 16, v13
	v_sub_f32_e32 v0, v13, v0
	global_store_short_d16_hi v[8:9], v0, off offset:96
	v_mul_f32_e32 v0, v18, v0
	v_lshrrev_b32_e32 v9, 16, v0
.LBB139_92:
	s_or_b64 exec, exec, s[6:7]
	s_and_saveexec_b64 s[6:7], s[2:3]
	s_cbranch_execz .LBB139_94
; %bb.93:
	v_mov_b32_e32 v11, 0
	v_lshl_add_u64 v[22:23], v[6:7], 0, v[10:11]
	global_load_ushort v0, v[22:23], off offset:96
	v_lshl_add_u64 v[10:11], v[4:5], 0, v[10:11]
	s_waitcnt vmcnt(0)
	v_lshlrev_b32_e32 v0, 16, v0
	v_sub_f32_e32 v0, v0, v1
	global_store_short_d16_hi v[10:11], v0, off offset:96
	v_mul_f32_e32 v0, v16, v0
	v_lshrrev_b32_e32 v11, 16, v0
.LBB139_94:
	s_or_b64 exec, exec, s[6:7]
	v_mov_b32_e32 v0, 0
	v_mov_b32_e32 v1, 0
	s_and_saveexec_b64 s[2:3], s[0:1]
	s_cbranch_execz .LBB139_96
; %bb.95:
	v_mov_b32_e32 v13, 0
	v_lshl_add_u64 v[22:23], v[6:7], 0, v[12:13]
	global_load_ushort v1, v[22:23], off offset:96
	v_lshl_add_u64 v[12:13], v[4:5], 0, v[12:13]
	s_waitcnt vmcnt(0)
	v_lshlrev_b32_e32 v1, 16, v1
	v_sub_f32_e32 v1, v1, v2
	global_store_short_d16_hi v[12:13], v1, off offset:96
	v_mul_f32_e32 v1, v20, v1
	v_lshrrev_b32_e32 v1, 16, v1
.LBB139_96:
	s_or_b64 exec, exec, s[2:3]
	s_and_saveexec_b64 s[0:1], s[4:5]
	s_cbranch_execz .LBB139_98
; %bb.97:
	v_mov_b32_e32 v15, 0
	v_lshl_add_u64 v[6:7], v[6:7], 0, v[14:15]
	global_load_ushort v0, v[6:7], off offset:96
	v_lshl_add_u64 v[4:5], v[4:5], 0, v[14:15]
	s_waitcnt vmcnt(0)
	v_lshlrev_b32_e32 v0, 16, v0
	v_sub_f32_e32 v0, v0, v3
	global_store_short_d16_hi v[4:5], v0, off offset:96
	v_mul_f32_e32 v0, v17, v0
	v_lshrrev_b32_e32 v0, 16, v0
.LBB139_98:
	s_or_b64 exec, exec, s[0:1]
	s_mov_b32 s0, 0x5040100
	v_or_b32_e32 v2, v21, v19
	v_perm_b32 v1, v0, v1, s0
	v_perm_b32 v0, v11, v9, s0
	v_lshlrev_b32_e32 v2, 1, v2
	ds_write_b64 v2, v[0:1] offset:24576
	s_waitcnt lgkmcnt(0)
	s_barrier
.LBB139_99:
	s_endpgm
	.section	.rodata,"a",@progbits
	.p2align	6, 0x0
	.amdhsa_kernel _ZN12_GLOBAL__N_139chunk_gated_delta_rule_fwd_h_hip_kernelILi64ELb1ELb0ELb1ELb0ELb1ELb1ELb1ELb0EEEvPK12hip_bfloat16S3_S3_PKfS5_PKvPS1_S8_PvPKiSB_iiiiilll
		.amdhsa_group_segment_fixed_size 65536
		.amdhsa_private_segment_fixed_size 0
		.amdhsa_kernarg_size 136
		.amdhsa_user_sgpr_count 2
		.amdhsa_user_sgpr_dispatch_ptr 0
		.amdhsa_user_sgpr_queue_ptr 0
		.amdhsa_user_sgpr_kernarg_segment_ptr 1
		.amdhsa_user_sgpr_dispatch_id 0
		.amdhsa_user_sgpr_kernarg_preload_length 0
		.amdhsa_user_sgpr_kernarg_preload_offset 0
		.amdhsa_user_sgpr_private_segment_size 0
		.amdhsa_uses_dynamic_stack 0
		.amdhsa_enable_private_segment 0
		.amdhsa_system_sgpr_workgroup_id_x 1
		.amdhsa_system_sgpr_workgroup_id_y 1
		.amdhsa_system_sgpr_workgroup_id_z 0
		.amdhsa_system_sgpr_workgroup_info 0
		.amdhsa_system_vgpr_workitem_id 0
		.amdhsa_next_free_vgpr 232
		.amdhsa_next_free_sgpr 71
		.amdhsa_accum_offset 192
		.amdhsa_reserve_vcc 1
		.amdhsa_float_round_mode_32 0
		.amdhsa_float_round_mode_16_64 0
		.amdhsa_float_denorm_mode_32 3
		.amdhsa_float_denorm_mode_16_64 3
		.amdhsa_dx10_clamp 1
		.amdhsa_ieee_mode 1
		.amdhsa_fp16_overflow 0
		.amdhsa_tg_split 0
		.amdhsa_exception_fp_ieee_invalid_op 0
		.amdhsa_exception_fp_denorm_src 0
		.amdhsa_exception_fp_ieee_div_zero 0
		.amdhsa_exception_fp_ieee_overflow 0
		.amdhsa_exception_fp_ieee_underflow 0
		.amdhsa_exception_fp_ieee_inexact 0
		.amdhsa_exception_int_div_zero 0
	.end_amdhsa_kernel
	.section	.text._ZN12_GLOBAL__N_139chunk_gated_delta_rule_fwd_h_hip_kernelILi64ELb1ELb0ELb1ELb0ELb1ELb1ELb1ELb0EEEvPK12hip_bfloat16S3_S3_PKfS5_PKvPS1_S8_PvPKiSB_iiiiilll,"axG",@progbits,_ZN12_GLOBAL__N_139chunk_gated_delta_rule_fwd_h_hip_kernelILi64ELb1ELb0ELb1ELb0ELb1ELb1ELb1ELb0EEEvPK12hip_bfloat16S3_S3_PKfS5_PKvPS1_S8_PvPKiSB_iiiiilll,comdat
.Lfunc_end139:
	.size	_ZN12_GLOBAL__N_139chunk_gated_delta_rule_fwd_h_hip_kernelILi64ELb1ELb0ELb1ELb0ELb1ELb1ELb1ELb0EEEvPK12hip_bfloat16S3_S3_PKfS5_PKvPS1_S8_PvPKiSB_iiiiilll, .Lfunc_end139-_ZN12_GLOBAL__N_139chunk_gated_delta_rule_fwd_h_hip_kernelILi64ELb1ELb0ELb1ELb0ELb1ELb1ELb1ELb0EEEvPK12hip_bfloat16S3_S3_PKfS5_PKvPS1_S8_PvPKiSB_iiiiilll
                                        ; -- End function
	.section	.AMDGPU.csdata,"",@progbits
; Kernel info:
; codeLenInByte = 11396
; NumSgprs: 77
; NumVgprs: 190
; NumAgprs: 40
; TotalNumVgprs: 232
; ScratchSize: 0
; MemoryBound: 0
; FloatMode: 240
; IeeeMode: 1
; LDSByteSize: 65536 bytes/workgroup (compile time only)
; SGPRBlocks: 9
; VGPRBlocks: 28
; NumSGPRsForWavesPerEU: 77
; NumVGPRsForWavesPerEU: 232
; AccumOffset: 192
; Occupancy: 1
; WaveLimiterHint : 1
; COMPUTE_PGM_RSRC2:SCRATCH_EN: 0
; COMPUTE_PGM_RSRC2:USER_SGPR: 2
; COMPUTE_PGM_RSRC2:TRAP_HANDLER: 0
; COMPUTE_PGM_RSRC2:TGID_X_EN: 1
; COMPUTE_PGM_RSRC2:TGID_Y_EN: 1
; COMPUTE_PGM_RSRC2:TGID_Z_EN: 0
; COMPUTE_PGM_RSRC2:TIDIG_COMP_CNT: 0
; COMPUTE_PGM_RSRC3_GFX90A:ACCUM_OFFSET: 47
; COMPUTE_PGM_RSRC3_GFX90A:TG_SPLIT: 0
	.section	.text._ZN12_GLOBAL__N_139chunk_gated_delta_rule_fwd_h_hip_kernelILi64ELb1ELb0ELb0ELb0ELb1ELb1ELb1ELb0EEEvPK12hip_bfloat16S3_S3_PKfS5_PKvPS1_S8_PvPKiSB_iiiiilll,"axG",@progbits,_ZN12_GLOBAL__N_139chunk_gated_delta_rule_fwd_h_hip_kernelILi64ELb1ELb0ELb0ELb0ELb1ELb1ELb1ELb0EEEvPK12hip_bfloat16S3_S3_PKfS5_PKvPS1_S8_PvPKiSB_iiiiilll,comdat
	.globl	_ZN12_GLOBAL__N_139chunk_gated_delta_rule_fwd_h_hip_kernelILi64ELb1ELb0ELb0ELb0ELb1ELb1ELb1ELb0EEEvPK12hip_bfloat16S3_S3_PKfS5_PKvPS1_S8_PvPKiSB_iiiiilll ; -- Begin function _ZN12_GLOBAL__N_139chunk_gated_delta_rule_fwd_h_hip_kernelILi64ELb1ELb0ELb0ELb0ELb1ELb1ELb1ELb0EEEvPK12hip_bfloat16S3_S3_PKfS5_PKvPS1_S8_PvPKiSB_iiiiilll
	.p2align	8
	.type	_ZN12_GLOBAL__N_139chunk_gated_delta_rule_fwd_h_hip_kernelILi64ELb1ELb0ELb0ELb0ELb1ELb1ELb1ELb0EEEvPK12hip_bfloat16S3_S3_PKfS5_PKvPS1_S8_PvPKiSB_iiiiilll,@function
_ZN12_GLOBAL__N_139chunk_gated_delta_rule_fwd_h_hip_kernelILi64ELb1ELb0ELb0ELb0ELb1ELb1ELb1ELb0EEEvPK12hip_bfloat16S3_S3_PKfS5_PKvPS1_S8_PvPKiSB_iiiiilll: ; @_ZN12_GLOBAL__N_139chunk_gated_delta_rule_fwd_h_hip_kernelILi64ELb1ELb0ELb0ELb0ELb1ELb1ELb1ELb0EEEvPK12hip_bfloat16S3_S3_PKfS5_PKvPS1_S8_PvPKiSB_iiiiilll
; %bb.0:
	s_load_dwordx4 s[12:15], s[0:1], 0x5c
	s_load_dwordx4 s[16:19], s[0:1], 0x28
	s_abs_i32 s6, s3
	s_ashr_i32 s5, s3, 31
	v_and_b32_e32 v88, 15, v0
	s_waitcnt lgkmcnt(0)
	s_abs_i32 s4, s13
	v_cvt_f32_u32_e32 v1, s4
	s_sub_i32 s8, 0, s4
	s_ashr_i32 s7, s13, 31
	s_xor_b32 s5, s5, s7
	v_rcp_iflag_f32_e32 v1, v1
	v_lshrrev_b32_e32 v86, 6, v0
	v_bfe_u32 v87, v0, 4, 2
	v_mov_b32_e32 v11, 0
	v_mul_f32_e32 v1, 0x4f7ffffe, v1
	v_cvt_u32_f32_e32 v1, v1
	v_and_b32_e32 v77, 63, v0
	v_lshrrev_b32_e32 v90, 3, v77
	v_lshlrev_b32_e32 v89, 3, v0
	v_readfirstlane_b32 s9, v1
	s_mul_i32 s8, s8, s9
	s_mul_hi_u32 s8, s9, s8
	s_add_i32 s9, s9, s8
	s_mul_hi_u32 s8, s6, s9
	s_mul_i32 s9, s8, s4
	s_sub_i32 s6, s6, s9
	s_add_i32 s10, s8, 1
	s_sub_i32 s9, s6, s4
	s_cmp_ge_u32 s6, s4
	s_cselect_b32 s8, s10, s8
	s_cselect_b32 s6, s9, s6
	s_add_i32 s9, s8, 1
	s_cmp_ge_u32 s6, s4
	s_cselect_b32 s6, s9, s8
	s_xor_b32 s6, s6, s5
	s_sub_i32 s51, s6, s5
	s_mul_i32 s6, s51, s13
	s_sub_i32 s48, s3, s6
	s_abs_i32 s3, s14
	v_cvt_f32_u32_e32 v1, s3
	s_add_i32 s8, s12, 63
	s_ashr_i32 s9, s8, 31
	s_lshr_b32 s5, s9, 26
	v_rcp_iflag_f32_e32 v1, v1
	s_ashr_i32 s50, s12, 31
	s_add_i32 s8, s8, s5
	s_lshr_b32 s5, s50, 26
	v_mul_f32_e32 v1, 0x4f7ffffe, v1
	v_cvt_u32_f32_e32 v1, v1
	s_add_i32 s5, s12, s5
	s_ashr_i32 s53, s14, 31
	s_ashr_i32 s52, s5, 6
	s_lshl_b32 s36, s2, 6
	s_xor_b32 s2, s7, s53
	s_sub_i32 s5, 0, s3
	v_readfirstlane_b32 s7, v1
	s_mul_i32 s5, s5, s7
	s_mul_hi_u32 s5, s7, s5
	s_add_i32 s7, s7, s5
	s_mul_hi_u32 s5, s4, s7
	s_mul_i32 s7, s5, s3
	s_sub_i32 s4, s4, s7
	s_ashr_i32 s25, s8, 6
	s_add_i32 s7, s5, 1
	s_sub_i32 s8, s4, s3
	s_cmp_ge_u32 s4, s3
	s_cselect_b32 s5, s7, s5
	s_cselect_b32 s4, s8, s4
	s_add_i32 s7, s5, 1
	s_cmp_ge_u32 s4, s3
	s_cselect_b32 s3, s7, s5
	s_xor_b32 s3, s3, s2
	s_sub_i32 s2, s3, s2
	s_abs_i32 s3, s2
	v_cvt_f32_u32_e32 v1, s3
	s_sub_i32 s5, 0, s3
	s_abs_i32 s4, s48
	s_xor_b32 s2, s48, s2
	v_rcp_iflag_f32_e32 v1, v1
	s_ashr_i32 s2, s2, 31
	v_or_b32_e32 v78, s36, v88
	v_lshlrev_b32_e32 v2, 7, v78
	v_mul_f32_e32 v1, 0x4f7ffffe, v1
	v_cvt_u32_f32_e32 v1, v1
	v_ashrrev_i32_e32 v3, 31, v2
	s_mul_i32 s55, s51, s25
	v_readfirstlane_b32 s7, v1
	s_mul_i32 s5, s5, s7
	s_mul_hi_u32 s5, s7, s5
	s_add_i32 s7, s7, s5
	s_mul_hi_u32 s5, s4, s7
	s_mul_i32 s7, s5, s3
	s_sub_i32 s4, s4, s7
	s_add_i32 s7, s5, 1
	s_sub_i32 s8, s4, s3
	s_cmp_ge_u32 s4, s3
	s_cselect_b32 s5, s7, s5
	s_cselect_b32 s4, s8, s4
	s_add_i32 s7, s5, 1
	s_cmp_ge_u32 s4, s3
	s_cselect_b32 s3, s7, s5
	s_xor_b32 s3, s3, s2
	s_sub_i32 s54, s3, s2
	s_ashr_i32 s24, s51, 31
	s_ashr_i32 s49, s48, 31
	s_mul_hi_i32 s2, s51, s13
	s_add_u32 s38, s6, s48
	s_addc_u32 s39, s2, s49
	s_lshl_b64 s[2:3], s[38:39], 16
	v_lshlrev_b32_e32 v1, 4, v86
	s_add_u32 s2, s16, s2
	v_lshl_or_b32 v91, v87, 2, v1
	s_addc_u32 s3, s17, s3
	v_lshl_add_u64 v[4:5], v[2:3], 2, s[2:3]
	v_lshlrev_b32_e32 v10, 2, v91
	v_lshl_add_u64 v[4:5], v[4:5], 0, v[10:11]
	global_load_dwordx4 v[22:25], v[4:5], off
	global_load_dwordx4 v[30:33], v[4:5], off offset:256
	v_or_b32_e32 v4, 0x800, v2
	v_ashrrev_i32_e32 v5, 31, v4
	v_lshl_add_u64 v[4:5], v[4:5], 2, s[2:3]
	v_lshl_add_u64 v[4:5], v[4:5], 0, v[10:11]
	global_load_dwordx4 v[14:17], v[4:5], off
	global_load_dwordx4 v[26:29], v[4:5], off offset:256
	v_or_b32_e32 v4, 0x1000, v2
	v_or_b32_e32 v2, 0x1800, v2
	v_ashrrev_i32_e32 v5, 31, v4
	v_ashrrev_i32_e32 v3, 31, v2
	v_lshl_add_u64 v[4:5], v[4:5], 2, s[2:3]
	v_lshl_add_u64 v[2:3], v[2:3], 2, s[2:3]
	;; [unrolled: 1-line block ×4, first 2 shown]
	global_load_dwordx4 v[6:9], v[4:5], off
	global_load_dwordx4 v[18:21], v[4:5], off offset:256
	s_nop 0
	global_load_dwordx4 v[2:5], v[34:35], off
	global_load_dwordx4 v[10:13], v[34:35], off offset:256
	s_load_dwordx8 s[4:11], s[0:1], 0x0
	s_load_dwordx2 s[28:29], s[0:1], 0x80
	s_load_dwordx4 s[20:23], s[0:1], 0x70
	v_or_b32_e32 v92, 64, v91
	s_cmp_lt_i32 s12, 64
	s_mul_i32 s56, s39, s12
	s_mul_hi_u32 s57, s38, s12
	s_mul_i32 s16, s38, s12
	s_waitcnt lgkmcnt(0)
	s_mul_i32 s33, s51, s21
	s_mul_hi_u32 s44, s51, s20
	s_mul_i32 s39, s24, s20
	s_mul_i32 s34, s51, s20
	;; [unrolled: 1-line block ×3, first 2 shown]
	s_mul_hi_u32 s46, s48, s22
	s_mul_i32 s47, s49, s22
	s_mul_i32 s30, s48, s22
	s_cbranch_scc1 .LBB140_18
; %bb.1:
	s_add_i32 s17, s57, s56
	s_lshl_b64 s[2:3], s[16:17], 8
	v_and_b32_e32 v94, 56, v89
	s_add_u32 s20, s6, s2
	v_lshl_or_b32 v93, v86, 3, v90
	v_lshlrev_b32_e32 v34, 1, v94
	s_addc_u32 s2, s7, s3
	v_lshl_or_b32 v95, v93, 8, v34
	s_and_b32 s21, s2, 0xffff
	s_mov_b32 s23, 0x20000
	s_movk_i32 s22, 0x4000
	s_movk_i32 s2, 0x80
	v_or_b32_e32 v96, 0x2000, v95
	buffer_load_dwordx4 v[36:39], v95, s[20:23], 0 offen
	buffer_load_dwordx4 v[40:43], v95, s[20:23], s2 offen
	;; [unrolled: 1-line block ×4, first 2 shown]
	v_lshlrev_b32_e32 v35, 3, v93
	v_and_or_b32 v53, v0, 7, v35
	v_and_b32_e32 v35, 0x78, v35
	v_lshlrev_b32_e32 v53, 4, v53
	v_xor_b32_e32 v97, v53, v35
	v_mul_lo_u32 v52, v93, s15
	v_or_b32_e32 v98, 0x1000, v97
	v_xor_b32_e32 v35, 8, v97
	s_cmpk_eq_i32 s15, 0x80
	s_mov_b32 s58, s14
	v_xor_b32_e32 v53, 8, v98
	s_cselect_b64 s[2:3], -1, 0
	s_cmpk_lg_i32 s15, 0x80
	s_waitcnt vmcnt(3)
	ds_write_b64 v97, v[36:37] offset:49152
	ds_write_b64 v35, v[38:39] offset:49152
	s_waitcnt vmcnt(2)
	ds_write_b64 v97, v[40:41] offset:57344
	ds_write_b64 v35, v[42:43] offset:57344
	;; [unrolled: 3-line block ×4, first 2 shown]
	v_lshl_add_u32 v35, v52, 1, v94
	s_cbranch_scc0 .LBB140_3
; %bb.2:
	v_lshlrev_b32_e32 v37, 1, v35
	v_add_lshl_u32 v36, v35, s15, 1
	s_lshl_b32 s22, s15, 7
	s_load_dwordx2 s[40:41], s[0:1], 0x20
	v_lshl_or_b32 v34, v93, 9, v34
	s_cbranch_execz .LBB140_4
	s_branch .LBB140_5
.LBB140_3:
                                        ; implicit-def: $vgpr36
                                        ; implicit-def: $vgpr37
                                        ; implicit-def: $sgpr22
	s_load_dwordx2 s[40:41], s[0:1], 0x20
	v_lshl_or_b32 v34, v93, 9, v34
.LBB140_4:
	v_or_b32_e32 v36, 0x100, v34
	s_movk_i32 s22, 0x4000
	v_mov_b32_e32 v37, v34
.LBB140_5:
	s_mul_hi_u32 s0, s14, s12
	s_mul_i32 s1, s53, s12
	s_add_i32 s0, s0, s1
	s_mul_i32 s1, s14, s12
	s_mul_i32 s20, s1, s24
	s_mul_hi_u32 s21, s1, s51
	s_add_i32 s20, s21, s20
	s_mul_i32 s0, s0, s51
	s_add_i32 s20, s20, s0
	s_mul_i32 s1, s1, s51
	s_ashr_i32 s59, s54, 31
	s_add_u32 s0, s1, s54
	s_addc_u32 s1, s20, s59
	s_lshl_b64 s[0:1], s[0:1], 8
	s_add_u32 s20, s4, s0
	s_addc_u32 s0, s5, s1
	s_and_b32 s21, s0, 0xffff
	s_movk_i32 s60, 0x80
	buffer_load_dwordx4 v[38:41], v37, s[20:23], 0 offen
	buffer_load_dwordx4 v[42:45], v37, s[20:23], s60 offen
	;; [unrolled: 1-line block ×4, first 2 shown]
	v_and_b32_e32 v37, 6, v0
	v_lshlrev_b32_e32 v36, 7, v91
	v_xor_b32_e32 v58, v93, v37
	v_and_b32_e32 v54, 1, v0
	v_lshl_or_b32 v61, v88, 3, v36
	v_lshlrev_b32_e32 v58, 2, v58
	v_or_b32_e32 v99, 0x4000, v61
	v_or_b32_e32 v100, 0x6000, v61
	v_xor_b32_e32 v61, 0x440, v58
	v_cmp_eq_u32_e32 vcc, 0, v54
	v_lshlrev_b32_e32 v55, 2, v88
	s_mov_b32 s63, 0x1000504
	v_cndmask_b32_e32 v54, v61, v58, vcc
	v_xor_b32_e32 v59, v91, v55
	v_xor_b32_e32 v60, v92, v55
	v_lshl_or_b32 v37, v37, 10, v54
	s_mov_b32 s64, 0x3020706
	v_lshlrev_b32_e32 v56, 8, v88
	v_or_b32_e32 v57, 16, v88
	v_lshlrev_b32_e32 v59, 1, v59
	v_lshlrev_b32_e32 v60, 1, v60
	v_xor_b32_e32 v54, 8, v37
	v_xor_b32_e32 v58, 24, v37
	;; [unrolled: 1-line block ×4, first 2 shown]
	s_mul_i32 s24, s24, s12
	s_mul_hi_u32 s0, s51, s12
	v_or_b32_e32 v102, v56, v59
	v_or_b32_e32 v103, v56, v60
	v_xor_b32_e32 v56, 16, v37
	v_xor_b32_e32 v61, 32, v37
	;; [unrolled: 1-line block ×3, first 2 shown]
	v_add_u32_e32 v54, 0x80, v54
	v_add_u32_e32 v58, 0x80, v58
	;; [unrolled: 1-line block ×4, first 2 shown]
	s_add_i32 s65, s0, s24
	s_add_i32 s0, s44, s33
	;; [unrolled: 1-line block ×5, first 2 shown]
	s_lshl_b64 s[0:1], s[34:35], 2
	s_add_u32 s20, s10, s0
	s_addc_u32 s21, s11, s1
	s_lshl_b64 s[0:1], s[30:31], 2
	s_add_u32 s42, s20, s0
	s_movk_i32 s0, 0xf8
	s_addc_u32 s43, s21, s1
	s_ashr_i32 s37, s36, 31
	s_lshl_b32 s26, s15, 7
	v_mov_b32_e32 v81, 0
	s_movk_i32 s20, 0x100
	v_lshlrev_b32_e32 v80, 4, v88
	s_mul_i32 s61, s51, s12
	v_lshl_or_b32 v62, v57, 3, v36
	v_ashrrev_i32_e32 v79, 31, v78
	s_mov_b32 s62, 0
	v_or_b32_e32 v101, 0x4000, v62
	s_movk_i32 s22, 0x4000
	v_or_b32_e32 v104, 0x6000, v62
	v_lshl_add_u64 v[82:83], v[78:79], 1, s[8:9]
	s_mov_b32 s35, 0x7060302
	s_movk_i32 s66, 0x3000
	s_mov_b32 s68, 0
	s_waitcnt vmcnt(1)
	v_perm_b32 v66, v38, v46, s63
	s_waitcnt vmcnt(0)
	v_perm_b32 v67, v42, v50, s63
	v_perm_b32 v38, v38, v46, s64
	;; [unrolled: 1-line block ×15, first 2 shown]
	ds_write2st64_b32 v37, v66, v67 offset0:128 offset1:160
	ds_write2st64_b32 v54, v38, v42 offset0:128 offset1:160
	;; [unrolled: 1-line block ×8, first 2 shown]
	v_lshlrev_b32_e32 v37, 8, v57
	v_or_b32_e32 v105, v37, v59
	v_or_b32_e32 v106, v37, v60
	;; [unrolled: 1-line block ×3, first 2 shown]
	v_lshl_or_b32 v38, v37, 3, v36
	v_lshlrev_b32_e32 v37, 8, v37
	v_or_b32_e32 v109, v37, v59
	v_or_b32_e32 v110, v37, v60
	;; [unrolled: 1-line block ×5, first 2 shown]
	v_lshl_or_b32 v38, v37, 3, v36
	v_lshlrev_b32_e32 v37, 8, v37
	v_or_b32_e32 v113, v37, v59
	v_or_b32_e32 v114, v37, v60
	v_or_b32_e32 v37, v1, v88
	v_lshlrev_b32_e32 v37, 3, v37
	v_lshrrev_b32_e32 v39, 5, v77
	v_and_or_b32 v39, v37, s0, v39
	v_lshlrev_b32_e32 v39, 4, v39
	v_or_b32_e32 v111, 0x4000, v38
	v_or_b32_e32 v112, 0x6000, v38
	v_lshrrev_b32_e32 v38, 2, v77
	v_lshlrev_b32_e32 v41, 11, v86
	v_and_b32_e32 v37, 0x78, v37
	v_or_b32_e32 v45, 32, v39
	v_and_b32_e32 v40, 12, v38
	v_and_b32_e32 v38, 0x1000, v41
	v_xor_b32_e32 v42, v39, v37
	v_lshrrev_b32_e32 v43, 1, v77
	v_xor_b32_e32 v45, v45, v37
	v_or_b32_e32 v42, v42, v38
	v_and_b32_e32 v43, 8, v43
	v_or_b32_e32 v45, v45, v38
	v_xor_b32_e32 v115, v42, v43
	v_lshlrev_b32_e32 v42, 8, v87
	v_xor_b32_e32 v117, v45, v43
	v_or_b32_e32 v45, 64, v39
	v_or_b32_e32 v39, 0x60, v39
	;; [unrolled: 1-line block ×3, first 2 shown]
	v_xor_b32_e32 v45, v45, v37
	v_xor_b32_e32 v37, v39, v37
	s_lshl_b64 s[0:1], s[36:37], 8
	v_lshlrev_b32_e32 v44, 1, v44
	v_or_b32_e32 v45, v45, v38
	v_or_b32_e32 v37, v37, v38
	s_add_u32 s0, s18, s0
	v_lshlrev_b32_e32 v38, 1, v88
	v_lshlrev_b32_e32 v47, 2, v0
	v_or_b32_e32 v116, 0x4000, v44
	v_or_b32_e32 v118, 0x4080, v44
	;; [unrolled: 1-line block ×4, first 2 shown]
	v_xor_b32_e32 v121, v45, v43
	v_xor_b32_e32 v122, v37, v43
	v_or_b32_e32 v123, 0x6000, v44
	v_or_b32_e32 v124, 0x6080, v44
	v_or_b32_e32 v125, 0x6100, v44
	v_or_b32_e32 v126, 0x6180, v44
	v_lshlrev_b32_e32 v37, 1, v35
	v_add_lshl_u32 v35, v35, s15, 1
	v_or_b32_e32 v43, 0x100, v34
	v_lshrrev_b32_e32 v44, 4, v0
	s_addc_u32 s1, s19, s1
	v_or_b32_e32 v39, 1, v38
	v_lshrrev_b32_e32 v48, 1, v0
	v_and_or_b32 v42, v47, 60, v42
	v_xor_b32_e32 v45, v44, v38
	v_xor_b32_e32 v46, v39, v44
	v_lshl_add_u64 v[38:39], s[0:1], 0, v[80:81]
	v_and_b32_e32 v48, 24, v48
	v_lshlrev_b32_e32 v42, 1, v42
	v_cndmask_b32_e64 v133, v37, v34, s[2:3]
	v_cndmask_b32_e64 v134, v35, v43, s[2:3]
	v_mov_b32_e32 v35, 0xa000
	v_mov_b32_e32 v37, 0x8000
	v_cmp_gt_u32_e64 s[0:1], s20, v0
	v_lshlrev_b32_e32 v80, 8, v44
	v_or_b32_e32 v129, 0x6000, v42
	v_or_b32_e32 v47, 32, v48
	;; [unrolled: 1-line block ×6, first 2 shown]
	v_cndmask_b32_e64 v35, v35, v37, s[0:1]
	v_lshlrev_b32_e32 v37, 3, v86
	v_lshl_or_b32 v127, v45, 3, v80
	v_and_b32_e32 v45, 8, v0
	v_xor_b32_e32 v43, v37, v48
	v_xor_b32_e32 v47, v37, v47
	;; [unrolled: 1-line block ×3, first 2 shown]
	v_mov_b32_e32 v49, 0x400
	v_cmp_eq_u32_e32 vcc, 0, v45
	v_or_b32_e32 v48, 0x440, v43
	v_or_b32_e32 v50, 0x440, v47
	v_xor_b32_e32 v42, 0x440, v37
	v_and_b32_e32 v44, 7, v0
	v_cndmask_b32_e64 v45, v49, 64, vcc
	v_cndmask_b32_e32 v48, v48, v43, vcc
	v_cndmask_b32_e32 v47, v50, v47, vcc
	v_cndmask_b32_e32 v37, v42, v37, vcc
	v_lshl_or_b32 v128, v46, 3, v80
	v_lshlrev_b32_e32 v46, 3, v44
	v_or_b32_e32 v48, v48, v41
	v_or_b32_e32 v47, v47, v41
	v_or3_b32 v43, v41, v45, v43
	v_or_b32_e32 v37, v37, v41
	v_lshlrev_b32_e32 v44, 7, v44
	v_xor_b32_e32 v48, v48, v46
	v_xor_b32_e32 v47, v47, v46
	;; [unrolled: 1-line block ×4, first 2 shown]
	v_or_b32_e32 v34, v1, v40
	v_add_u32_e32 v49, v35, v48
	v_add_u32_e32 v50, v35, v47
	v_or_b32_e32 v135, v43, v44
	v_add_u32_e32 v41, v35, v37
	v_or3_b32 v40, v1, v40, 64
	v_add_u32_e32 v42, 0xa000, v48
	v_add_u32_e32 v43, 0xa000, v47
	;; [unrolled: 1-line block ×3, first 2 shown]
	v_lshl_add_u64 v[84:85], v[38:39], 0, v[80:81]
	s_add_i32 s31, s61, 63
	v_lshlrev_b32_e32 v80, 1, v36
	s_movk_i32 s37, 0x2000
	v_lshlrev_b32_e32 v79, 2, v34
	v_add_u32_e32 v136, v49, v44
	v_add_u32_e32 v137, v50, v44
	;; [unrolled: 1-line block ×4, first 2 shown]
	v_lshlrev_b32_e32 v140, 2, v40
	v_add_u32_e32 v141, v42, v44
	v_add_u32_e32 v142, v43, v44
	;; [unrolled: 1-line block ×3, first 2 shown]
	s_waitcnt lgkmcnt(0)
	s_barrier
.LBB140_6:                              ; =>This Inner Loop Header: Depth=1
	s_add_i32 s67, s68, 1
	s_cmp_lt_i32 s67, s52
	s_mov_b64 s[24:25], 0
	s_cselect_b64 s[2:3], -1, 0
	s_cmp_ge_i32 s67, s52
	s_mov_b64 s[20:21], 0
	s_cbranch_scc1 .LBB140_8
; %bb.7:                                ;   in Loop: Header=BB140_6 Depth=1
	s_add_i32 s0, s62, 64
	s_add_u32 s0, s16, s0
	s_addc_u32 s1, s17, 0
	s_lshl_b64 s[0:1], s[0:1], 8
	s_add_u32 s20, s6, s0
	s_addc_u32 s21, s7, s1
.LBB140_8:                              ;   in Loop: Header=BB140_6 Depth=1
	v_cndmask_b32_e64 v34, 0, 1, s[2:3]
	v_cmp_ne_u32_e64 s[0:1], 1, v34
	s_andn2_b64 vcc, exec, s[2:3]
	s_cbranch_vccnz .LBB140_10
; %bb.9:                                ;   in Loop: Header=BB140_6 Depth=1
	s_add_i32 s2, s62, 64
	s_add_u32 s2, s61, s2
	s_addc_u32 s3, s65, 0
	s_mul_i32 s24, s2, s53
	s_mul_hi_u32 s25, s2, s58
	s_add_i32 s24, s25, s24
	s_mul_i32 s3, s3, s58
	s_add_i32 s24, s24, s3
	s_mul_i32 s2, s2, s58
	s_add_u32 s2, s2, s54
	s_addc_u32 s3, s24, s59
	s_lshl_b64 s[2:3], s[2:3], 8
	s_add_u32 s24, s4, s2
	s_addc_u32 s25, s5, s3
.LBB140_10:                             ;   in Loop: Header=BB140_6 Depth=1
	v_perm_b32 v35, v25, v24, s35
	v_perm_b32 v34, v23, v22, s35
	v_perm_b32 v37, v33, v32, s35
	v_perm_b32 v36, v31, v30, s35
	ds_write_b64 v99, v[34:35]
	ds_write_b64 v100, v[36:37]
	ds_write_b64 v102, v[34:35]
	ds_write_b64 v103, v[36:37]
	v_perm_b32 v35, v17, v16, s35
	v_perm_b32 v34, v15, v14, s35
	v_perm_b32 v37, v29, v28, s35
	v_perm_b32 v36, v27, v26, s35
	ds_write_b64 v101, v[34:35]
	ds_write_b64 v104, v[36:37]
	ds_write_b64 v105, v[34:35]
	ds_write_b64 v106, v[36:37]
	;; [unrolled: 8-line block ×4, first 2 shown]
	s_waitcnt lgkmcnt(0)
	s_barrier
	ds_read_b64 v[38:39], v115 offset:49152
	ds_read2_b64 v[34:37], v116 offset1:16
	ds_read_b64 v[50:51], v118 offset:6144
	ds_read_b64 v[52:53], v116 offset:6144
	s_waitcnt lgkmcnt(2)
	v_mfma_f32_16x16x16_bf16 a[0:3], v[38:39], v[34:35], 0
	ds_read_b64 v[54:55], v117 offset:49152
	ds_read2st64_b64 v[42:45], v119 offset0:4 offset1:8
	ds_read2st64_b64 v[46:49], v120 offset0:4 offset1:8
	v_mfma_f32_16x16x16_bf16 a[4:7], v[38:39], v[36:37], 0
	ds_read2_b64 v[34:37], v116 offset0:32 offset1:48
	s_add_i32 s2, s62, 63
	s_mul_i32 s3, s2, s29
	s_waitcnt lgkmcnt(0)
	v_mfma_f32_16x16x16_bf16 a[8:11], v[38:39], v[34:35], 0
	s_mul_hi_u32 s27, s2, s28
	s_add_i32 s3, s27, s3
	s_mul_i32 s2, s2, s28
	v_mfma_f32_16x16x16_bf16 a[12:15], v[38:39], v[36:37], 0
	ds_read2st64_b64 v[34:37], v116 offset0:4 offset1:8
	ds_read2st64_b64 v[38:41], v118 offset0:4 offset1:8
	s_lshl_b64 s[2:3], s[2:3], 2
	s_waitcnt lgkmcnt(1)
	v_mfma_f32_16x16x16_bf16 a[0:3], v[54:55], v[34:35], a[0:3]
	s_add_u32 s2, s42, s2
	s_addc_u32 s3, s43, s3
	s_and_b64 vcc, exec, s[0:1]
	s_waitcnt lgkmcnt(0)
	v_mfma_f32_16x16x16_bf16 a[4:7], v[54:55], v[38:39], a[4:7]
	v_mov_b32_e32 v146, 0
	v_mov_b32_e32 v145, 0
	;; [unrolled: 1-line block ×3, first 2 shown]
	v_mfma_f32_16x16x16_bf16 a[8:11], v[54:55], v[42:43], a[8:11]
	ds_read_b64 v[34:35], v121 offset:49152
	ds_read_b64 v[38:39], v122 offset:49152
	;; [unrolled: 1-line block ×3, first 2 shown]
	v_mfma_f32_16x16x16_bf16 a[12:15], v[54:55], v[46:47], a[12:15]
	v_mov_b32_e32 v46, 0
	v_mov_b32_e32 v47, 0
	s_waitcnt lgkmcnt(2)
	v_mfma_f32_16x16x16_bf16 a[0:3], v[34:35], v[36:37], a[0:3]
	v_mov_b32_e32 v36, 0
	v_mov_b32_e32 v37, 0
	v_mfma_f32_16x16x16_bf16 a[16:19], v[34:35], v[40:41], a[4:7]
	v_mov_b32_e32 v40, 0
	v_mov_b32_e32 v41, 0
	;; [unrolled: 3-line block ×3, first 2 shown]
	v_mfma_f32_16x16x16_bf16 a[24:27], v[34:35], v[48:49], a[12:15]
	ds_read_b64 v[34:35], v119 offset:6144
	v_mov_b32_e32 v48, 0
	v_mov_b32_e32 v49, 0
	s_waitcnt lgkmcnt(2)
	v_mfma_f32_16x16x16_bf16 a[4:7], v[38:39], v[52:53], a[0:3]
	v_mfma_f32_16x16x16_bf16 a[8:11], v[38:39], v[50:51], a[16:19]
	s_waitcnt lgkmcnt(0)
	v_mfma_f32_16x16x16_bf16 a[12:15], v[38:39], v[34:35], a[20:23]
	v_mov_b32_e32 v34, 0
	v_mov_b32_e32 v35, 0
	v_mfma_f32_16x16x16_bf16 a[0:3], v[38:39], v[42:43], a[24:27]
	v_mov_b32_e32 v38, 0
	v_mov_b32_e32 v39, 0
	;; [unrolled: 1-line block ×4, first 2 shown]
	s_cbranch_vccnz .LBB140_12
; %bb.11:                               ;   in Loop: Header=BB140_6 Depth=1
	s_and_b32 s21, s21, 0xffff
	buffer_load_dwordx4 v[46:49], v95, s[20:23], 0 offen
	buffer_load_dwordx4 v[42:45], v95, s[20:23], s60 offen
	;; [unrolled: 1-line block ×4, first 2 shown]
	v_mov_b32_e32 v145, v97
	v_mov_b32_e32 v144, v98
.LBB140_12:                             ;   in Loop: Header=BB140_6 Depth=1
	ds_read_b64 v[66:67], v115 offset:57344
	ds_read2_b64 v[50:53], v123 offset1:16
	ds_read_b64 v[68:69], v117 offset:57344
	ds_read_b64 v[70:71], v121 offset:57344
	;; [unrolled: 1-line block ×3, first 2 shown]
	v_add_u32_e32 v74, s62, v91
	s_waitcnt lgkmcnt(3)
	v_mfma_f32_16x16x16_bf16 a[4:7], v[66:67], v[50:51], a[4:7]
	v_mfma_f32_16x16x16_bf16 a[8:11], v[66:67], v[52:53], a[8:11]
	ds_read2_b64 v[50:53], v123 offset0:32 offset1:48
	ds_read2st64_b64 v[54:57], v123 offset0:4 offset1:8
	ds_read2st64_b64 v[58:61], v124 offset0:4 offset1:8
	;; [unrolled: 1-line block ×3, first 2 shown]
	s_waitcnt lgkmcnt(3)
	v_mfma_f32_16x16x16_bf16 a[12:15], v[66:67], v[50:51], a[12:15]
	v_ashrrev_i32_e32 v50, 31, v74
	v_mfma_f32_16x16x16_bf16 a[0:3], v[66:67], v[52:53], a[0:3]
	v_mul_lo_u32 v52, v50, s28
	v_mul_lo_u32 v53, v74, s29
	v_mad_u64_u32 v[50:51], s[20:21], v74, s28, 0
	v_add3_u32 v51, v51, v53, v52
	v_add_u32_e32 v52, 1, v74
	v_ashrrev_i32_e32 v53, 31, v52
	s_waitcnt lgkmcnt(2)
	v_mfma_f32_16x16x16_bf16 a[4:7], v[68:69], v[54:55], a[4:7]
	v_mul_lo_u32 v54, v53, s28
	v_mul_lo_u32 v55, v52, s29
	v_mad_u64_u32 v[52:53], s[20:21], v52, s28, 0
	v_add3_u32 v53, v53, v55, v54
	v_add_u32_e32 v54, 2, v74
	v_ashrrev_i32_e32 v55, 31, v54
	s_waitcnt lgkmcnt(1)
	v_mfma_f32_16x16x16_bf16 a[8:11], v[68:69], v[58:59], a[8:11]
	v_mul_lo_u32 v58, v55, s28
	v_mul_lo_u32 v59, v54, s29
	v_mad_u64_u32 v[54:55], s[20:21], v54, s28, 0
	v_add3_u32 v55, v55, v59, v58
	v_add_u32_e32 v58, 3, v74
	v_ashrrev_i32_e32 v59, 31, v58
	v_mul_lo_u32 v66, v59, s28
	v_mul_lo_u32 v67, v58, s29
	v_mad_u64_u32 v[58:59], s[20:21], v58, s28, 0
	s_add_u32 s20, s16, s62
	s_addc_u32 s21, s17, 0
	v_lshl_add_u64 v[50:51], v[50:51], 2, s[42:43]
	v_add3_u32 v59, v59, v67, v66
	s_lshl_b64 s[20:21], s[20:21], 8
	v_lshl_add_u64 v[52:53], v[52:53], 2, s[42:43]
	v_lshl_add_u64 v[54:55], v[54:55], 2, s[42:43]
	;; [unrolled: 1-line block ×3, first 2 shown]
	global_load_dword v66, v[50:51], off
	global_load_dword v67, v[52:53], off
	;; [unrolled: 1-line block ×4, first 2 shown]
	v_lshl_add_u64 v[50:51], v[82:83], 0, s[20:21]
	v_lshl_add_u64 v[54:55], v[50:51], 0, v[80:81]
	global_load_ushort v76, v[54:55], off offset:256
	global_load_ushort v147, v[54:55], off
	ds_read2st64_b64 v[50:53], v126 offset0:4 offset1:8
	global_load_ushort v148, v[54:55], off offset:768
	global_load_ushort v149, v[54:55], off offset:512
	s_waitcnt lgkmcnt(1)
	v_mfma_f32_16x16x16_bf16 a[12:15], v[68:69], v[62:63], a[12:15]
	s_and_b64 vcc, exec, s[0:1]
	s_waitcnt vmcnt(3)
	v_lshlrev_b32_e32 v63, 16, v76
	s_waitcnt lgkmcnt(0)
	v_mfma_f32_16x16x16_bf16 a[0:3], v[68:69], v[50:51], a[0:3]
	global_load_ushort v68, v[54:55], off offset:288
	global_load_ushort v69, v[54:55], off offset:32
	global_load_ushort v150, v[54:55], off offset:800
	global_load_ushort v151, v[54:55], off offset:544
	global_load_ushort v152, v[54:55], off offset:320
	global_load_ushort v153, v[54:55], off offset:64
	global_load_ushort v154, v[54:55], off offset:832
	global_load_ushort v155, v[54:55], off offset:576
	v_mfma_f32_16x16x16_bf16 a[4:7], v[70:71], v[56:57], a[4:7]
	ds_read_b64 v[50:51], v123 offset:6144
	s_waitcnt vmcnt(10)
	v_lshlrev_b32_e32 v62, 16, v147
	v_mov_b32_e32 v147, 0
	v_mfma_f32_16x16x16_bf16 a[8:11], v[70:71], v[60:61], a[8:11]
	v_mfma_f32_16x16x16_bf16 a[12:15], v[70:71], v[64:65], a[12:15]
	;; [unrolled: 1-line block ×3, first 2 shown]
	global_load_ushort v70, v[54:55], off offset:352
	global_load_ushort v71, v[54:55], off offset:96
	ds_read_b64 v[52:53], v124 offset:6144
	ds_read_b64 v[56:57], v125 offset:6144
	;; [unrolled: 1-line block ×3, first 2 shown]
	global_load_ushort v156, v[54:55], off offset:864
	global_load_ushort v157, v[54:55], off offset:608
	s_load_dword s2, s[2:3], 0x0
	s_waitcnt lgkmcnt(0)
	v_mfma_f32_16x16x16_bf16 a[4:7], v[72:73], v[50:51], a[4:7]
	v_sub_f32_e32 v60, s2, v74
	v_mfma_f32_16x16x16_bf16 a[0:3], v[72:73], v[58:59], a[0:3]
	v_sub_f32_e32 v58, s2, v66
	v_sub_f32_e32 v59, s2, v67
	;; [unrolled: 1-line block ×3, first 2 shown]
	v_mfma_f32_16x16x16_bf16 a[8:11], v[72:73], v[52:53], a[8:11]
	v_exp_f32_e32 v58, v58
	v_exp_f32_e32 v59, v59
	;; [unrolled: 1-line block ×4, first 2 shown]
	v_accvgpr_read_b32 v65, a5
	v_accvgpr_read_b32 v64, a4
	;; [unrolled: 1-line block ×4, first 2 shown]
	v_pk_add_f32 v[62:63], v[62:63], v[64:65] neg_lo:[0,1] neg_hi:[0,1]
	s_waitcnt vmcnt(13)
	v_lshlrev_b32_e32 v65, 16, v148
	s_waitcnt vmcnt(12)
	v_lshlrev_b32_e32 v64, 16, v149
	v_pk_add_f32 v[50:51], v[64:65], v[50:51] neg_lo:[0,1] neg_hi:[0,1]
	v_pk_mul_f32 v[62:63], v[58:59], v[62:63]
	v_pk_mul_f32 v[50:51], v[60:61], v[50:51]
	v_accvgpr_read_b32 v65, a9
	v_perm_b32 v51, v51, v50, s35
	v_perm_b32 v50, v63, v62, s35
	v_accvgpr_read_b32 v64, a8
	v_accvgpr_read_b32 v53, a11
	v_mfma_f32_16x16x16_bf16 a[12:15], v[72:73], v[56:57], a[12:15]
	v_accvgpr_read_b32 v52, a10
	v_accvgpr_read_b32 v57, a3
	;; [unrolled: 1-line block ×3, first 2 shown]
	s_waitcnt vmcnt(11)
	v_lshlrev_b32_e32 v63, 16, v68
	s_waitcnt vmcnt(10)
	v_lshlrev_b32_e32 v62, 16, v69
	v_pk_add_f32 v[62:63], v[62:63], v[64:65] neg_lo:[0,1] neg_hi:[0,1]
	s_waitcnt vmcnt(9)
	v_lshlrev_b32_e32 v65, 16, v150
	s_waitcnt vmcnt(8)
	v_lshlrev_b32_e32 v64, 16, v151
	v_pk_add_f32 v[52:53], v[64:65], v[52:53] neg_lo:[0,1] neg_hi:[0,1]
	v_pk_mul_f32 v[62:63], v[58:59], v[62:63]
	v_pk_mul_f32 v[52:53], v[60:61], v[52:53]
	v_accvgpr_read_b32 v55, a15
	v_perm_b32 v53, v53, v52, s35
	v_perm_b32 v52, v63, v62, s35
	ds_write2_b64 v100, v[50:51], v[52:53] offset1:16
	v_accvgpr_read_b32 v53, a13
	s_waitcnt vmcnt(7)
	v_lshlrev_b32_e32 v51, 16, v152
	s_waitcnt vmcnt(6)
	v_lshlrev_b32_e32 v50, 16, v153
	v_accvgpr_read_b32 v52, a12
	v_accvgpr_read_b32 v54, a14
	v_pk_add_f32 v[50:51], v[50:51], v[52:53] neg_lo:[0,1] neg_hi:[0,1]
	s_waitcnt vmcnt(5)
	v_lshlrev_b32_e32 v53, 16, v154
	s_waitcnt vmcnt(4)
	v_lshlrev_b32_e32 v52, 16, v155
	v_pk_add_f32 v[52:53], v[52:53], v[54:55] neg_lo:[0,1] neg_hi:[0,1]
	v_pk_mul_f32 v[50:51], v[58:59], v[50:51]
	v_pk_mul_f32 v[52:53], v[60:61], v[52:53]
	v_accvgpr_read_b32 v55, a1
	v_perm_b32 v53, v53, v52, s35
	v_perm_b32 v52, v51, v50, s35
	s_waitcnt vmcnt(3)
	v_lshlrev_b32_e32 v51, 16, v70
	s_waitcnt vmcnt(2)
	v_lshlrev_b32_e32 v50, 16, v71
	v_accvgpr_read_b32 v54, a0
	v_pk_add_f32 v[50:51], v[50:51], v[54:55] neg_lo:[0,1] neg_hi:[0,1]
	s_waitcnt vmcnt(1)
	v_lshlrev_b32_e32 v55, 16, v156
	s_waitcnt vmcnt(0)
	v_lshlrev_b32_e32 v54, 16, v157
	v_pk_add_f32 v[54:55], v[54:55], v[56:57] neg_lo:[0,1] neg_hi:[0,1]
	v_pk_mul_f32 v[50:51], v[58:59], v[50:51]
	v_pk_mul_f32 v[54:55], v[60:61], v[54:55]
	v_mov_b32_e32 v56, 0
	v_perm_b32 v55, v55, v54, s35
	v_perm_b32 v54, v51, v50, s35
	ds_write2_b64 v100, v[52:53], v[54:55] offset0:32 offset1:48
	v_mov_b32_e32 v50, 0
	v_mov_b32_e32 v51, 0
	;; [unrolled: 1-line block ×15, first 2 shown]
	s_cbranch_vccnz .LBB140_14
; %bb.13:                               ;   in Loop: Header=BB140_6 Depth=1
	s_and_b32 s25, s25, 0xffff
	s_mov_b32 s27, s23
	buffer_load_dwordx4 v[62:65], v133, s[24:27], 0 offen
	buffer_load_dwordx4 v[54:57], v133, s[24:27], s60 offen
	;; [unrolled: 1-line block ×4, first 2 shown]
	v_mov_b32_e32 v146, v94
	v_mov_b32_e32 v147, v93
.LBB140_14:                             ;   in Loop: Header=BB140_6 Depth=1
	s_waitcnt lgkmcnt(0)
	s_barrier
	ds_read_b64 v[74:75], v136
	ds_read2_b64 v[66:69], v129 offset1:16
	ds_read_b64 v[164:165], v137
	ds_read_b64 v[166:167], v138
	;; [unrolled: 1-line block ×3, first 2 shown]
	ds_read2_b64 v[70:73], v129 offset0:32 offset1:48
	ds_read2st64_b64 v[148:151], v129 offset0:4 offset1:8
	ds_read2st64_b64 v[152:155], v130 offset0:4 offset1:8
	;; [unrolled: 1-line block ×4, first 2 shown]
	s_waitcnt lgkmcnt(8)
	v_mfma_f32_16x16x16_bf16 a[0:3], v[74:75], v[66:67], 0
	s_add_i32 s3, s55, s68
	s_mul_hi_i32 s21, s3, s13
	s_mul_i32 s3, s3, s13
	v_mfma_f32_16x16x16_bf16 a[4:7], v[74:75], v[68:69], 0
	s_add_u32 s20, s3, s48
	s_addc_u32 s21, s21, s49
	s_add_i32 s3, s31, s62
	s_waitcnt lgkmcnt(4)
	v_mfma_f32_16x16x16_bf16 a[8:11], v[74:75], v[70:71], 0
	s_lshl_b64 s[20:21], s[20:21], 15
	s_mul_hi_i32 s25, s3, s13
	s_mul_i32 s3, s3, s13
	v_mfma_f32_16x16x16_bf16 a[12:15], v[74:75], v[72:73], 0
	ds_read_b64 v[74:75], v129 offset:6144
	ds_read_b64 v[176:177], v130 offset:6144
	;; [unrolled: 1-line block ×4, first 2 shown]
	s_add_u32 s24, s3, s48
	s_waitcnt lgkmcnt(7)
	v_mfma_f32_16x16x16_bf16 a[0:3], v[164:165], v[148:149], a[0:3]
	s_addc_u32 s25, s25, s49
	s_lshl_b64 s[24:25], s[24:25], 9
	s_add_u32 s24, s40, s24
	s_waitcnt lgkmcnt(6)
	v_mfma_f32_16x16x16_bf16 a[4:7], v[164:165], v[152:153], a[4:7]
	s_addc_u32 s25, s41, s25
	v_lshl_add_u64 v[186:187], v[84:85], 0, s[20:21]
	s_waitcnt lgkmcnt(5)
	v_mfma_f32_16x16x16_bf16 a[8:11], v[164:165], v[156:157], a[8:11]
	s_waitcnt lgkmcnt(4)
	v_mfma_f32_16x16x16_bf16 a[12:15], v[164:165], v[160:161], a[12:15]
	ds_read_b64 v[164:165], v141
	ds_read_b64 v[174:175], v142
	;; [unrolled: 1-line block ×3, first 2 shown]
	s_waitcnt lgkmcnt(2)
	v_mfma_f32_16x16x16_bf16 a[16:19], v[164:165], v[66:67], 0
	v_mfma_f32_16x16x16_bf16 a[20:23], v[164:165], v[68:69], 0
	global_load_dwordx4 v[66:69], v140, s[24:25]
	v_mfma_f32_16x16x16_bf16 a[24:27], v[164:165], v[70:71], 0
	v_mfma_f32_16x16x16_bf16 a[28:31], v[164:165], v[72:73], 0
	global_load_dwordx4 v[70:73], v79, s[24:25]
	v_mfma_f32_16x16x16_bf16 a[0:3], v[166:167], v[150:151], a[0:3]
	v_mfma_f32_16x16x16_bf16 a[4:7], v[166:167], v[154:155], a[4:7]
	;; [unrolled: 1-line block ×8, first 2 shown]
	ds_read2st64_b64 v[164:167], v127 offset1:8
	ds_read2st64_b64 v[168:171], v128 offset1:8
	ds_read_b64 v[184:185], v135 offset:40960
	s_waitcnt lgkmcnt(2)
	v_mov_b32_e32 v172, v164
	v_mfma_f32_16x16x16_bf16 a[16:19], v[174:175], v[148:149], a[16:19]
	v_mov_b32_e32 v173, v165
	v_mfma_f32_16x16x16_bf16 a[20:23], v[174:175], v[152:153], a[20:23]
	v_mfma_f32_16x16x16_bf16 a[24:27], v[174:175], v[156:157], a[24:27]
	;; [unrolled: 1-line block ×3, first 2 shown]
	v_add_co_u32_e32 v160, vcc, s37, v186
	s_waitcnt lgkmcnt(1)
	v_mov_b32_e32 v174, v168
	s_waitcnt lgkmcnt(0)
	v_mfma_f32_16x16x16_bf16 a[16:19], v[184:185], v[150:151], a[16:19]
	ds_read2st64_b64 v[148:151], v127 offset0:16 offset1:24
	v_addc_co_u32_e32 v161, vcc, 0, v187, vcc
	v_mfma_f32_16x16x16_bf16 a[20:23], v[184:185], v[154:155], a[20:23]
	ds_read2st64_b64 v[152:155], v128 offset0:16 offset1:24
	v_mov_b32_e32 v175, v169
	v_mov_b32_e32 v168, v166
	v_mfma_f32_16x16x16_bf16 a[32:35], v[184:185], v[158:159], a[24:27]
	v_mov_b32_e32 v169, v167
	s_waitcnt lgkmcnt(0)
	v_mov_b32_e32 v158, v152
	v_mov_b32_e32 v159, v153
	v_mfma_f32_16x16x16_bf16 a[36:39], v[184:185], v[162:163], a[28:31]
	v_mov_b32_e32 v152, v150
	v_mov_b32_e32 v153, v151
	;; [unrolled: 1-line block ×3, first 2 shown]
	v_mfma_f32_16x16x16_bf16 a[24:27], v[182:183], v[74:75], a[16:19]
	v_add_co_u32_e32 v74, vcc, s66, v186
	v_mov_b32_e32 v157, v149
	v_mfma_f32_16x16x16_bf16 a[28:31], v[182:183], v[176:177], a[20:23]
	v_addc_co_u32_e32 v75, vcc, 0, v187, vcc
	global_store_dwordx4 v[74:75], v[152:155], off
	v_mfma_f32_16x16x16_bf16 a[16:19], v[182:183], v[178:179], a[32:35]
	s_waitcnt vmcnt(2)
	v_mov_b32_e32 v76, v69
	v_mov_b32_e32 v75, v68
	;; [unrolled: 1-line block ×3, first 2 shown]
	v_mfma_f32_16x16x16_bf16 a[20:23], v[182:183], v[180:181], a[36:39]
	s_and_b64 vcc, exec, s[0:1]
	global_store_dwordx4 v[186:187], v[172:175], off
	global_store_dwordx4 v[160:161], v[168:171], off offset:-4096
	global_store_dwordx4 v[160:161], v[156:159], off
	s_cbranch_vccnz .LBB140_16
; %bb.15:                               ;   in Loop: Header=BB140_6 Depth=1
	v_lshrrev_b32_e32 v67, 3, v146
	v_and_b32_e32 v67, 6, v67
	v_xor_b32_e32 v68, v67, v147
	v_lshlrev_b32_e32 v68, 2, v68
	v_and_b32_e32 v69, 8, v146
	v_xor_b32_e32 v146, 0x440, v68
	v_cmp_eq_u32_e32 vcc, 0, v69
	v_perm_b32 v69, v54, v50, s63
	s_nop 0
	v_cndmask_b32_e32 v68, v146, v68, vcc
	v_lshl_or_b32 v67, v67, 10, v68
	v_perm_b32 v68, v62, v58, s63
	s_barrier
	ds_write2st64_b32 v67, v68, v69 offset0:128 offset1:160
	v_xor_b32_e32 v68, 8, v67
	v_perm_b32 v58, v62, v58, s64
	v_perm_b32 v50, v54, v50, s64
	v_add_u32_e32 v54, 0x80, v68
	ds_write2st64_b32 v54, v58, v50 offset0:128 offset1:160
	v_xor_b32_e32 v50, 16, v67
	v_perm_b32 v54, v63, v59, s63
	v_perm_b32 v58, v55, v51, s63
	ds_write2st64_b32 v50, v54, v58 offset0:129 offset1:161
	v_xor_b32_e32 v50, 24, v67
	v_perm_b32 v54, v63, v59, s64
	v_perm_b32 v51, v55, v51, s64
	v_add_u32_e32 v50, 0x80, v50
	ds_write2st64_b32 v50, v54, v51 offset0:129 offset1:161
	v_xor_b32_e32 v50, 32, v67
	v_perm_b32 v51, v64, v60, s63
	v_perm_b32 v54, v56, v52, s63
	;; [unrolled: 9-line block ×3, first 2 shown]
	ds_write2st64_b32 v50, v51, v52 offset0:131 offset1:163
	v_xor_b32_e32 v50, 56, v67
	v_perm_b32 v51, v65, v61, s64
	v_perm_b32 v52, v57, v53, s64
	v_add_u32_e32 v50, 0x80, v50
	ds_write2st64_b32 v50, v51, v52 offset0:131 offset1:163
	ds_write_b64 v145, v[46:47] offset:49152
	v_xor_b32_e32 v46, 8, v145
	ds_write_b64 v46, v[48:49] offset:49152
	ds_write_b64 v145, v[42:43] offset:57344
	;; [unrolled: 1-line block ×4, first 2 shown]
	v_xor_b32_e32 v38, 8, v144
	ds_write_b64 v38, v[40:41] offset:49152
	ds_write_b64 v144, v[34:35] offset:57344
	;; [unrolled: 1-line block ×3, first 2 shown]
.LBB140_16:                             ;   in Loop: Header=BB140_6 Depth=1
	v_exp_f32_e32 v68, s2
	s_waitcnt vmcnt(4)
	v_exp_f32_e32 v70, v70
	v_exp_f32_e32 v71, v71
	;; [unrolled: 1-line block ×4, first 2 shown]
	v_accvgpr_read_b32 v37, a3
	v_accvgpr_read_b32 v36, a2
	;; [unrolled: 1-line block ×4, first 2 shown]
	v_pk_mul_f32 v[70:71], v[68:69], v[70:71] op_sel_hi:[0,1]
	v_pk_mul_f32 v[72:73], v[68:69], v[72:73] op_sel_hi:[0,1]
	v_pk_fma_f32 v[22:23], v[22:23], v[70:71], v[34:35]
	v_pk_fma_f32 v[24:25], v[24:25], v[72:73], v[36:37]
	v_exp_f32_e32 v34, v66
	v_exp_f32_e32 v35, v74
	;; [unrolled: 1-line block ×4, first 2 shown]
	v_accvgpr_read_b32 v41, a7
	v_accvgpr_read_b32 v45, a11
	;; [unrolled: 1-line block ×28, first 2 shown]
	v_pk_mul_f32 v[34:35], v[68:69], v[34:35] op_sel_hi:[0,1]
	v_pk_mul_f32 v[36:37], v[68:69], v[36:37] op_sel_hi:[0,1]
	s_add_i32 s62, s62, 64
	v_pk_fma_f32 v[14:15], v[70:71], v[14:15], v[38:39]
	v_pk_fma_f32 v[16:17], v[72:73], v[16:17], v[40:41]
	;; [unrolled: 1-line block ×13, first 2 shown]
	s_cmp_eq_u32 s52, s67
	v_pk_fma_f32 v[12:13], v[36:37], v[12:13], v[64:65]
	s_cbranch_scc1 .LBB140_18
; %bb.17:                               ;   in Loop: Header=BB140_6 Depth=1
	s_mov_b32 s68, s67
	s_branch .LBB140_6
.LBB140_18:
	s_lshl_b32 s26, s52, 6
	s_sub_i32 s27, s12, s26
	s_cmp_gt_i32 s27, 0
	s_cbranch_scc0 .LBB140_99
; %bb.19:
	s_ashr_i32 s2, s26, 31
	s_cmpk_lg_i32 s15, 0x80
	s_cselect_b64 s[22:23], -1, 0
	s_and_b64 vcc, exec, s[22:23]
	s_cbranch_vccz .LBB140_21
; %bb.20:
	s_mul_i32 s1, s51, s12
	s_mul_hi_i32 s0, s51, s12
	s_add_u32 s1, s1, s26
	s_addc_u32 s0, s0, s2
	s_mul_i32 s3, s1, s53
	s_mul_hi_u32 s17, s1, s14
	s_add_i32 s3, s17, s3
	s_mul_i32 s0, s0, s14
	s_add_i32 s3, s3, s0
	s_mul_i32 s1, s1, s14
	s_ashr_i32 s0, s54, 31
	s_add_u32 s24, s1, s54
	s_addc_u32 s25, s3, s0
	s_cbranch_execz .LBB140_22
	s_branch .LBB140_23
.LBB140_21:
                                        ; implicit-def: $sgpr24_sgpr25
.LBB140_22:
	s_mul_hi_i32 s0, s51, s14
	s_mul_i32 s51, s51, s14
	s_ashr_i32 s1, s54, 31
	s_add_u32 s3, s51, s54
	s_addc_u32 s0, s0, s1
	s_mul_i32 s1, s3, s50
	s_mul_hi_u32 s14, s3, s12
	s_add_i32 s1, s14, s1
	s_mul_i32 s0, s0, s12
	s_add_i32 s1, s1, s0
	s_mul_i32 s3, s3, s12
	s_add_u32 s24, s3, s26
	s_addc_u32 s25, s1, s2
.LBB140_23:
	s_mul_i32 s0, s38, s50
	s_add_i32 s0, s57, s0
	s_add_i32 s3, s55, s52
	s_add_i32 s1, s0, s56
	s_add_u32 s0, s16, s26
	s_addc_u32 s1, s1, s2
	v_lshlrev_b32_e32 v35, 6, v91
	v_lshlrev_b32_e32 v34, 2, v88
	s_mov_b32 s2, 0x7060302
	s_waitcnt vmcnt(7)
	v_perm_b32 v25, v25, v24, s2
	v_perm_b32 v24, v23, v22, s2
	s_waitcnt vmcnt(6)
	v_perm_b32 v22, v31, v30, s2
	v_or_b32_e32 v30, v35, v34
	v_xor_b32_e32 v36, v91, v34
	v_perm_b32 v23, v33, v32, s2
	v_lshlrev_b32_e32 v30, 1, v30
	ds_write2st64_b64 v30, v[24:25], v[22:23] offset0:32 offset1:48
	v_lshlrev_b32_e32 v30, 1, v36
	v_lshlrev_b32_e32 v31, 8, v88
	v_xor_b32_e32 v37, v92, v34
	v_or_b32_e32 v32, v30, v31
	ds_write_b64 v32, v[24:25]
	v_lshlrev_b32_e32 v24, 1, v37
	v_or_b32_e32 v25, v24, v31
	ds_write_b64 v25, v[22:23]
	v_or_b32_e32 v22, 16, v88
	v_lshlrev_b32_e32 v23, 2, v22
	v_or_b32_e32 v25, v35, v23
	s_waitcnt vmcnt(5)
	v_perm_b32 v17, v17, v16, s2
	v_perm_b32 v16, v15, v14, s2
	s_waitcnt vmcnt(4)
	v_perm_b32 v15, v29, v28, s2
	v_perm_b32 v14, v27, v26, s2
	v_lshlrev_b32_e32 v25, 1, v25
	v_lshlrev_b32_e32 v22, 8, v22
	ds_write2st64_b64 v25, v[16:17], v[14:15] offset0:32 offset1:48
	v_or_b32_e32 v25, v30, v22
	ds_write_b64 v25, v[16:17]
	v_or_b32_e32 v16, v24, v22
	ds_write_b64 v16, v[14:15]
	v_or_b32_e32 v14, 32, v88
	v_lshlrev_b32_e32 v22, 2, v14
	v_or_b32_e32 v15, v35, v22
	s_waitcnt vmcnt(3)
	v_perm_b32 v9, v9, v8, s2
	v_perm_b32 v8, v7, v6, s2
	s_waitcnt vmcnt(2)
	v_perm_b32 v7, v21, v20, s2
	v_perm_b32 v6, v19, v18, s2
	v_lshlrev_b32_e32 v15, 1, v15
	v_lshlrev_b32_e32 v14, 8, v14
	s_lshl_b64 s[20:21], s[0:1], 8
	ds_write2st64_b64 v15, v[8:9], v[6:7] offset0:32 offset1:48
	v_or_b32_e32 v15, v30, v14
	s_add_u32 s0, s6, s20
	ds_write_b64 v15, v[8:9]
	v_or_b32_e32 v8, v24, v14
	s_addc_u32 s1, s7, s21
	ds_write_b64 v8, v[6:7]
	v_or_b32_e32 v6, 48, v88
	s_mul_hi_i32 s6, s3, s13
	s_mul_i32 s3, s3, s13
	s_waitcnt vmcnt(1)
	v_perm_b32 v5, v5, v4, s2
	v_perm_b32 v4, v3, v2, s2
	s_waitcnt vmcnt(0)
	v_perm_b32 v3, v13, v12, s2
	v_perm_b32 v2, v11, v10, s2
	v_lshlrev_b32_e32 v19, 2, v6
	s_add_u32 s2, s3, s48
	v_or_b32_e32 v7, v35, v19
	s_addc_u32 s3, s6, s49
	v_lshlrev_b32_e32 v7, 1, v7
	v_lshlrev_b32_e32 v6, 8, v6
	s_ashr_i32 s37, s36, 31
	s_lshl_b64 s[2:3], s[2:3], 15
	ds_write2st64_b64 v7, v[4:5], v[2:3] offset0:32 offset1:48
	v_or_b32_e32 v7, v30, v6
	s_add_u32 s6, s18, s2
	ds_write_b64 v7, v[4:5]
	v_or_b32_e32 v4, v24, v6
	s_addc_u32 s7, s19, s3
	s_lshl_b64 s[2:3], s[36:37], 8
	ds_write_b64 v4, v[2:3]
	s_add_u32 s2, s6, s2
	v_lshlrev_b32_e32 v3, 1, v88
	v_lshrrev_b32_e32 v2, 4, v0
	s_addc_u32 s3, s7, s3
	v_or_b32_e32 v4, 1, v3
	v_lshlrev_b32_e32 v10, 4, v88
	v_mov_b32_e32 v11, 0
	v_xor_b32_e32 v3, v2, v3
	v_xor_b32_e32 v6, v4, v2
	v_lshl_add_u64 v[12:13], s[2:3], 0, v[10:11]
	v_lshlrev_b32_e32 v10, 8, v2
	v_lshl_or_b32 v16, v3, 3, v10
	v_lshl_or_b32 v17, v6, 3, v10
	s_waitcnt lgkmcnt(0)
	s_barrier
	ds_read2st64_b64 v[2:5], v16 offset1:8
	ds_read2st64_b64 v[6:9], v17 offset1:8
	v_lshl_add_u64 v[14:15], v[12:13], 0, v[10:11]
	s_movk_i32 s2, 0x2000
	s_cmp_lg_u32 s27, 64
	s_waitcnt lgkmcnt(1)
	v_mov_b32_e32 v10, v2
	v_mov_b32_e32 v11, v3
	s_waitcnt lgkmcnt(0)
	v_mov_b32_e32 v12, v6
	v_mov_b32_e32 v13, v7
	global_store_dwordx4 v[14:15], v[10:13], off
	v_mov_b32_e32 v6, v4
	v_mov_b32_e32 v7, v5
	ds_read2st64_b64 v[2:5], v16 offset0:16 offset1:24
	ds_read2st64_b64 v[10:13], v17 offset0:16 offset1:24
	v_add_co_u32_e32 v16, vcc, s2, v14
	s_cselect_b64 s[6:7], -1, 0
	s_nop 0
	v_addc_co_u32_e32 v17, vcc, 0, v15, vcc
	global_store_dwordx4 v[16:17], v[6:9], off offset:-4096
	v_lshl_or_b32 v24, v86, 3, v90
	s_mov_b32 s16, 0
	s_waitcnt lgkmcnt(1)
	v_mov_b32_e32 v6, v2
	v_add_co_u32_e32 v2, vcc, 0x3000, v14
	v_mov_b32_e32 v7, v3
	s_nop 0
	v_addc_co_u32_e32 v3, vcc, 0, v15, vcc
	s_waitcnt lgkmcnt(0)
	v_mov_b32_e32 v8, v10
	v_mov_b32_e32 v9, v11
	;; [unrolled: 1-line block ×4, first 2 shown]
	v_or_b32_e32 v20, 32, v24
	v_and_b32_e32 v18, 56, v89
	s_and_b64 vcc, exec, s[6:7]
	global_store_dwordx4 v[16:17], v[6:9], off
	global_store_dwordx4 v[2:3], v[10:13], off
	s_cbranch_vccz .LBB140_29
; %bb.24:
	s_mov_b32 s17, s16
	s_mov_b32 s18, s16
	;; [unrolled: 1-line block ×3, first 2 shown]
	v_mov_b64_e32 v[6:7], s[16:17]
	v_mov_b64_e32 v[8:9], s[18:19]
	;; [unrolled: 1-line block ×3, first 2 shown]
	v_cmp_gt_i32_e32 vcc, s27, v24
	v_mov_b64_e32 v[4:5], v[8:9]
	s_and_saveexec_b64 s[2:3], vcc
	s_cbranch_execz .LBB140_26
; %bb.25:
	v_lshlrev_b32_e32 v2, 8, v24
	v_mov_b32_e32 v3, 0
	v_lshl_add_u64 v[4:5], s[0:1], 0, v[2:3]
	v_lshlrev_b32_e32 v2, 1, v18
	v_lshl_add_u64 v[10:11], v[4:5], 0, v[2:3]
	global_load_dwordx4 v[6:9], v[10:11], off
	global_load_dwordx4 v[2:5], v[10:11], off offset:128
.LBB140_26:
	s_or_b64 exec, exec, s[2:3]
	s_mov_b32 s17, s16
	s_mov_b32 s18, s16
	;; [unrolled: 1-line block ×3, first 2 shown]
	v_mov_b64_e32 v[14:15], s[16:17]
	v_mov_b64_e32 v[16:17], s[18:19]
	;; [unrolled: 1-line block ×3, first 2 shown]
	v_cmp_gt_i32_e32 vcc, s27, v20
	v_lshlrev_b32_e32 v21, 7, v20
	v_mov_b64_e32 v[12:13], v[16:17]
	s_and_saveexec_b64 s[2:3], vcc
	s_cbranch_execz .LBB140_28
; %bb.27:
	v_lshlrev_b32_e32 v10, 1, v21
	v_mov_b32_e32 v11, 0
	v_lshl_add_u64 v[12:13], s[0:1], 0, v[10:11]
	v_lshlrev_b32_e32 v10, 1, v18
	v_lshl_add_u64 v[26:27], v[12:13], 0, v[10:11]
	global_load_dwordx4 v[14:17], v[26:27], off
	global_load_dwordx4 v[10:13], v[26:27], off offset:128
.LBB140_28:
	s_or_b64 exec, exec, s[2:3]
	v_lshrrev_b32_e32 v25, 3, v18
	v_lshlrev_b32_e32 v26, 3, v24
	v_or_b32_e32 v25, v26, v25
	v_lshlrev_b32_e32 v25, 4, v25
	v_and_b32_e32 v26, 0x78, v26
	v_xor_b32_e32 v25, v25, v26
	s_branch .LBB140_31
.LBB140_29:
                                        ; implicit-def: $vgpr25
                                        ; implicit-def: $vgpr21
                                        ; implicit-def: $vgpr6_vgpr7_vgpr8_vgpr9
                                        ; implicit-def: $vgpr2_vgpr3_vgpr4_vgpr5
                                        ; implicit-def: $vgpr14_vgpr15_vgpr16_vgpr17
                                        ; implicit-def: $vgpr10_vgpr11_vgpr12_vgpr13
	s_cbranch_execz .LBB140_31
; %bb.30:
	s_waitcnt vmcnt(0)
	v_lshlrev_b32_e32 v2, 1, v18
	v_lshl_or_b32 v21, v24, 8, v2
	s_and_b32 s1, s1, 0xffff
	s_mov_b32 s3, 0x20000
	s_movk_i32 s2, 0x4000
	v_lshl_or_b32 v25, v20, 8, v2
	s_movk_i32 s13, 0x80
	buffer_load_dwordx4 v[6:9], v21, s[0:3], 0 offen
	buffer_load_dwordx4 v[2:5], v21, s[0:3], s13 offen
	;; [unrolled: 1-line block ×4, first 2 shown]
	v_lshrrev_b32_e32 v21, 3, v18
	v_lshlrev_b32_e32 v25, 3, v24
	v_or_b32_e32 v21, v25, v21
	v_lshlrev_b32_e32 v21, 4, v21
	v_and_b32_e32 v25, 0x78, v25
	v_xor_b32_e32 v25, v21, v25
	v_lshlrev_b32_e32 v21, 7, v20
.LBB140_31:
	s_movk_i32 s0, 0x1000
	v_and_or_b32 v20, v21, s0, v25
	s_waitcnt vmcnt(1)
	ds_write_b64 v25, v[6:7] offset:49152
	v_xor_b32_e32 v6, 8, v25
	ds_write_b64 v6, v[8:9] offset:49152
	s_waitcnt vmcnt(0)
	ds_write_b64 v25, v[2:3] offset:57344
	ds_write_b64 v6, v[4:5] offset:57344
	;; [unrolled: 1-line block ×3, first 2 shown]
	v_xor_b32_e32 v2, 8, v20
	ds_write_b64 v2, v[16:17] offset:49152
	ds_write_b64 v20, v[10:11] offset:57344
	;; [unrolled: 1-line block ×3, first 2 shown]
	v_or_b32_e32 v2, v1, v88
	v_lshlrev_b32_e32 v3, 11, v86
	v_lshlrev_b32_e32 v2, 3, v2
	v_and_b32_e32 v6, 0x1000, v3
	v_lshrrev_b32_e32 v3, 5, v77
	s_movk_i32 s0, 0xf8
	v_and_or_b32 v3, v2, s0, v3
	v_lshlrev_b32_e32 v7, 4, v3
	v_and_b32_e32 v8, 0x78, v2
	v_or_b32_e32 v10, 32, v7
	v_lshrrev_b32_e32 v3, 1, v77
	v_xor_b32_e32 v10, v10, v8
	v_xor_b32_e32 v2, v7, v8
	v_and_b32_e32 v9, 8, v3
	v_or_b32_e32 v10, v10, v6
	v_or_b32_e32 v2, v2, v6
	v_xor_b32_e32 v27, v10, v9
	v_or_b32_e32 v10, 64, v7
	v_xor_b32_e32 v26, v2, v9
	v_xor_b32_e32 v10, v10, v8
	s_waitcnt lgkmcnt(0)
	s_barrier
	v_or_b32_e32 v13, v10, v6
	ds_read_b64 v[10:11], v26 offset:49152
	v_lshl_or_b32 v14, v87, 8, v34
	v_lshlrev_b32_e32 v25, 1, v14
	v_add_u32_e32 v12, 0x4000, v25
	ds_read2_b64 v[2:5], v12 offset1:16
	v_or_b32_e32 v7, 0x60, v7
	v_xor_b32_e32 v7, v7, v8
	v_or_b32_e32 v6, v7, v6
	v_xor_b32_e32 v28, v13, v9
	v_xor_b32_e32 v29, v6, v9
	ds_read_b64 v[20:21], v27 offset:49152
	ds_read_b64 v[36:37], v28 offset:49152
	;; [unrolled: 1-line block ×3, first 2 shown]
	s_waitcnt lgkmcnt(3)
	v_mfma_f32_16x16x16_bf16 a[0:3], v[10:11], v[2:3], 0
	ds_read2st64_b64 v[6:9], v25 offset0:36 offset1:40
	s_lshl_b64 s[0:1], s[24:25], 8
	s_add_u32 s4, s4, s0
	v_mfma_f32_16x16x16_bf16 a[4:7], v[10:11], v[4:5], 0
	ds_read2_b64 v[2:5], v12 offset0:32 offset1:48
	s_addc_u32 s5, s5, s1
	s_add_i32 s1, s44, s33
	s_waitcnt lgkmcnt(0)
	v_mfma_f32_16x16x16_bf16 a[8:11], v[10:11], v[2:3], 0
	v_or_b32_e32 v2, 64, v14
	v_lshlrev_b32_e32 v30, 1, v2
	s_add_i32 s0, s12, -1
	v_mfma_f32_16x16x16_bf16 a[12:15], v[10:11], v[4:5], 0
	ds_read2st64_b64 v[2:5], v30 offset0:36 offset1:40
	s_add_i32 s35, s1, s39
	s_add_i32 s1, s46, s45
	v_mfma_f32_16x16x16_bf16 a[0:3], v[20:21], v[6:7], a[0:3]
	v_or_b32_e32 v6, 0x80, v14
	v_lshlrev_b32_e32 v31, 1, v6
	ds_read2st64_b64 v[10:13], v31 offset0:36 offset1:40
	s_waitcnt lgkmcnt(1)
	v_mfma_f32_16x16x16_bf16 a[4:7], v[20:21], v[2:3], a[4:7]
	v_or_b32_e32 v2, 0xc0, v14
	v_lshlrev_b32_e32 v32, 1, v2
	ds_read2st64_b64 v[14:17], v32 offset0:36 offset1:40
	s_add_i32 s31, s1, s47
	s_ashr_i32 s1, s0, 31
	s_mul_i32 s2, s0, s29
	s_mul_hi_u32 s3, s0, s28
	s_add_i32 s2, s3, s2
	s_mul_i32 s1, s1, s28
	s_waitcnt lgkmcnt(1)
	v_mfma_f32_16x16x16_bf16 a[8:11], v[20:21], v[10:11], a[8:11]
	s_add_i32 s1, s2, s1
	s_lshl_b64 s[2:3], s[34:35], 2
	s_add_u32 s10, s10, s2
	s_waitcnt lgkmcnt(0)
	v_mfma_f32_16x16x16_bf16 a[12:15], v[20:21], v[14:15], a[12:15]
	s_addc_u32 s11, s11, s3
	s_lshl_b64 s[2:3], s[30:31], 2
	s_mul_i32 s0, s0, s28
	v_mfma_f32_16x16x16_bf16 a[0:3], v[36:37], v[8:9], a[0:3]
	ds_read_b64 v[2:3], v25 offset:22528
	s_add_u32 s10, s10, s2
	s_addc_u32 s11, s11, s3
	v_mfma_f32_16x16x16_bf16 a[4:7], v[36:37], v[4:5], a[4:7]
	ds_read_b64 v[4:5], v30 offset:22528
	ds_read_b64 v[6:7], v31 offset:22528
	;; [unrolled: 1-line block ×3, first 2 shown]
	s_lshl_b64 s[0:1], s[0:1], 2
	s_add_u32 s0, s10, s0
	v_mfma_f32_16x16x16_bf16 a[8:11], v[36:37], v[12:13], a[8:11]
	s_addc_u32 s1, s11, s1
	s_load_dword s12, s[0:1], 0x0
	s_and_b64 vcc, exec, s[22:23]
	v_mfma_f32_16x16x16_bf16 a[12:15], v[36:37], v[16:17], a[12:15]
	s_waitcnt lgkmcnt(0)
	v_mfma_f32_16x16x16_bf16 a[0:3], v[38:39], v[2:3], a[0:3]
	v_mfma_f32_16x16x16_bf16 a[4:7], v[38:39], v[4:5], a[4:7]
	;; [unrolled: 1-line block ×4, first 2 shown]
	s_cbranch_vccz .LBB140_42
; %bb.32:
	v_lshlrev_b32_e32 v20, 1, v24
	s_and_b64 vcc, exec, s[6:7]
	s_cbranch_vccz .LBB140_43
; %bb.33:
	v_cmp_gt_i32_e32 vcc, s27, v20
	v_mov_b32_e32 v6, 0
	v_mov_b32_e32 v2, 0
	;; [unrolled: 1-line block ×5, first 2 shown]
	s_and_saveexec_b64 s[0:1], vcc
	s_cbranch_execz .LBB140_35
; %bb.34:
	v_mad_i64_i32 v[2:3], s[2:3], s15, v20, 0
	v_lshl_add_u64 v[2:3], v[2:3], 1, s[4:5]
	v_lshlrev_b32_e32 v4, 1, v18
	v_mov_b32_e32 v5, 0
	v_lshl_add_u64 v[2:3], v[2:3], 0, v[4:5]
	global_load_dwordx4 v[2:5], v[2:3], off
.LBB140_35:
	s_or_b64 exec, exec, s[0:1]
	v_or_b32_e32 v21, 1, v20
	v_cmp_gt_i32_e64 s[0:1], s27, v21
	v_mov_b32_e32 v7, 0
	v_mov_b32_e32 v8, 0
	;; [unrolled: 1-line block ×3, first 2 shown]
	s_and_saveexec_b64 s[2:3], s[0:1]
	s_cbranch_execz .LBB140_37
; %bb.36:
	v_mad_i64_i32 v[6:7], s[16:17], s15, v21, 0
	v_lshl_add_u64 v[6:7], v[6:7], 1, s[4:5]
	v_lshlrev_b32_e32 v8, 1, v18
	v_mov_b32_e32 v9, 0
	v_lshl_add_u64 v[6:7], v[6:7], 0, v[8:9]
	global_load_dwordx4 v[6:9], v[6:7], off
.LBB140_37:
	s_or_b64 exec, exec, s[2:3]
	v_mov_b32_e32 v17, 0
	v_mov_b32_e32 v10, 0
	;; [unrolled: 1-line block ×5, first 2 shown]
	s_and_saveexec_b64 s[2:3], vcc
	s_cbranch_execz .LBB140_39
; %bb.38:
	v_mad_i64_i32 v[10:11], s[16:17], s15, v20, 0
	v_lshl_add_u64 v[10:11], v[10:11], 1, s[4:5]
	v_lshlrev_b32_e32 v12, 1, v18
	v_mov_b32_e32 v13, 0
	v_lshl_add_u64 v[10:11], v[10:11], 0, v[12:13]
	global_load_dwordx4 v[10:13], v[10:11], off offset:128
.LBB140_39:
	s_or_b64 exec, exec, s[2:3]
	v_mov_b32_e32 v16, 0
	v_mov_b32_e32 v15, 0
	;; [unrolled: 1-line block ×3, first 2 shown]
	s_and_saveexec_b64 s[2:3], s[0:1]
	s_cbranch_execz .LBB140_41
; %bb.40:
	v_mad_i64_i32 v[14:15], s[0:1], s15, v21, 0
	v_lshl_add_u64 v[14:15], v[14:15], 1, s[4:5]
	v_lshlrev_b32_e32 v16, 1, v18
	v_mov_b32_e32 v17, 0
	v_lshl_add_u64 v[14:15], v[14:15], 0, v[16:17]
	global_load_dwordx4 v[14:17], v[14:15], off offset:128
.LBB140_41:
	s_or_b64 exec, exec, s[2:3]
	s_branch .LBB140_45
.LBB140_42:
                                        ; implicit-def: $vgpr5
                                        ; implicit-def: $vgpr9
                                        ; implicit-def: $vgpr13
                                        ; implicit-def: $vgpr17
	v_lshrrev_b32_e32 v33, 2, v77
	s_branch .LBB140_46
.LBB140_43:
                                        ; implicit-def: $vgpr5
                                        ; implicit-def: $vgpr9
                                        ; implicit-def: $vgpr13
                                        ; implicit-def: $vgpr17
	s_cbranch_execz .LBB140_45
; %bb.44:
	s_waitcnt vmcnt(0)
	v_mad_u64_u32 v[2:3], s[0:1], v20, s15, v[18:19]
	v_lshlrev_b32_e32 v20, 1, v2
	s_lshl_b32 s2, s15, 7
	s_and_b32 s1, s5, 0xffff
	s_mov_b32 s3, 0x20000
	s_mov_b32 s0, s4
	v_add_lshl_u32 v21, v2, s15, 1
	s_movk_i32 s13, 0x80
	buffer_load_dwordx4 v[2:5], v20, s[0:3], 0 offen
	buffer_load_dwordx4 v[10:13], v20, s[0:3], s13 offen
	;; [unrolled: 1-line block ×4, first 2 shown]
.LBB140_45:
	v_lshrrev_b32_e32 v33, 2, v77
	s_cbranch_execnz .LBB140_58
.LBB140_46:
	s_and_b64 vcc, exec, s[6:7]
	s_cbranch_vccz .LBB140_56
; %bb.47:
	s_waitcnt vmcnt(0)
	v_lshlrev_b32_e32 v7, 1, v24
	v_cmp_gt_i32_e32 vcc, s27, v7
	v_mov_b32_e32 v6, 0
	v_lshlrev_b32_e32 v14, 9, v24
	v_mov_b32_e32 v2, 0
	v_mov_b32_e32 v3, 0
	;; [unrolled: 1-line block ×4, first 2 shown]
	s_and_saveexec_b64 s[0:1], vcc
	s_cbranch_execz .LBB140_49
; %bb.48:
	v_mov_b32_e32 v15, 0
	v_lshl_add_u64 v[2:3], s[4:5], 0, v[14:15]
	v_lshlrev_b32_e32 v4, 1, v18
	v_mov_b32_e32 v5, v15
	v_lshl_add_u64 v[2:3], v[2:3], 0, v[4:5]
	global_load_dwordx4 v[2:5], v[2:3], off
.LBB140_49:
	s_or_b64 exec, exec, s[0:1]
	v_or_b32_e32 v7, 1, v7
	v_cmp_gt_i32_e64 s[0:1], s27, v7
	v_lshlrev_b32_e32 v20, 8, v7
	v_mov_b32_e32 v7, 0
	v_mov_b32_e32 v8, 0
	;; [unrolled: 1-line block ×3, first 2 shown]
	s_and_saveexec_b64 s[2:3], s[0:1]
	s_cbranch_execz .LBB140_51
; %bb.50:
	v_mov_b32_e32 v21, 0
	v_lshl_add_u64 v[6:7], s[4:5], 0, v[20:21]
	v_lshlrev_b32_e32 v8, 1, v18
	v_mov_b32_e32 v9, v21
	v_lshl_add_u64 v[6:7], v[6:7], 0, v[8:9]
	global_load_dwordx4 v[6:9], v[6:7], off
.LBB140_51:
	s_or_b64 exec, exec, s[2:3]
	v_mov_b32_e32 v17, 0
	v_mov_b32_e32 v10, 0
	;; [unrolled: 1-line block ×5, first 2 shown]
	s_and_saveexec_b64 s[2:3], vcc
	s_cbranch_execz .LBB140_53
; %bb.52:
	v_mov_b32_e32 v15, 0
	v_lshl_add_u64 v[10:11], s[4:5], 0, v[14:15]
	v_lshlrev_b32_e32 v14, 1, v18
	v_lshl_add_u64 v[10:11], v[10:11], 0, v[14:15]
	global_load_dwordx4 v[10:13], v[10:11], off offset:128
.LBB140_53:
	s_or_b64 exec, exec, s[2:3]
	v_mov_b32_e32 v16, 0
	v_mov_b32_e32 v15, 0
	;; [unrolled: 1-line block ×3, first 2 shown]
	s_and_saveexec_b64 s[2:3], s[0:1]
	s_cbranch_execz .LBB140_55
; %bb.54:
	v_mov_b32_e32 v21, 0
	v_lshl_add_u64 v[14:15], s[4:5], 0, v[20:21]
	v_lshlrev_b32_e32 v20, 1, v18
	v_lshl_add_u64 v[14:15], v[14:15], 0, v[20:21]
	global_load_dwordx4 v[14:17], v[14:15], off offset:128
.LBB140_55:
	s_or_b64 exec, exec, s[2:3]
	s_branch .LBB140_58
.LBB140_56:
                                        ; implicit-def: $vgpr5
                                        ; implicit-def: $vgpr9
                                        ; implicit-def: $vgpr13
                                        ; implicit-def: $vgpr17
	s_cbranch_execz .LBB140_58
; %bb.57:
	s_waitcnt vmcnt(0)
	v_lshlrev_b32_e32 v2, 1, v18
	v_lshl_or_b32 v18, v24, 9, v2
	s_and_b32 s5, s5, 0xffff
	s_mov_b32 s7, 0x20000
	s_movk_i32 s6, 0x4000
	s_movk_i32 s0, 0x80
	buffer_load_dwordx4 v[2:5], v18, s[4:7], 0 offen
	buffer_load_dwordx4 v[6:9], v18, s[4:7], 0 offen offset:256
	buffer_load_dwordx4 v[10:13], v18, s[4:7], s0 offen
	buffer_load_dwordx4 v[14:17], v18, s[4:7], s0 offen offset:256
.LBB140_58:
	ds_read_b64 v[20:21], v26 offset:57344
	v_add_u32_e32 v18, 0x6000, v25
	ds_read2_b64 v[36:39], v18 offset1:16
	ds_read_b64 v[48:49], v27 offset:57344
	ds_read_b64 v[50:51], v28 offset:57344
	;; [unrolled: 1-line block ×3, first 2 shown]
	ds_read2_b64 v[26:29], v18 offset0:32 offset1:48
	v_and_b32_e32 v18, 6, v0
	v_xor_b32_e32 v24, v24, v18
	v_lshlrev_b32_e32 v24, 2, v24
	v_and_b32_e32 v0, 1, v0
	v_cmp_eq_u32_e32 vcc, 0, v0
	s_waitcnt lgkmcnt(4)
	v_mfma_f32_16x16x16_bf16 a[0:3], v[20:21], v[36:37], a[0:3]
	s_mov_b32 s0, 0x1000504
	s_mov_b32 s1, 0x3020706
	v_mfma_f32_16x16x16_bf16 a[4:7], v[20:21], v[38:39], a[4:7]
	ds_read2st64_b64 v[36:39], v25 offset0:52 offset1:56
	s_waitcnt lgkmcnt(1)
	v_mfma_f32_16x16x16_bf16 a[8:11], v[20:21], v[26:27], a[8:11]
	v_mfma_f32_16x16x16_bf16 a[12:15], v[20:21], v[28:29], a[12:15]
	ds_read2st64_b64 v[26:29], v30 offset0:52 offset1:56
	ds_read2st64_b64 v[40:43], v31 offset0:52 offset1:56
	ds_read2st64_b64 v[44:47], v32 offset0:52 offset1:56
	s_waitcnt lgkmcnt(3)
	v_mfma_f32_16x16x16_bf16 a[0:3], v[48:49], v[36:37], a[0:3]
	ds_read_b64 v[20:21], v25 offset:30720
	ds_read_b64 v[36:37], v30 offset:30720
	;; [unrolled: 1-line block ×4, first 2 shown]
	v_xor_b32_e32 v25, 0x440, v24
	v_cndmask_b32_e32 v0, v25, v24, vcc
	s_waitcnt lgkmcnt(6)
	v_mfma_f32_16x16x16_bf16 a[4:7], v[48:49], v[26:27], a[4:7]
	v_lshl_or_b32 v0, v18, 10, v0
	s_waitcnt vmcnt(0)
	v_perm_b32 v18, v2, v6, s0
	v_perm_b32 v24, v10, v14, s0
	s_waitcnt lgkmcnt(5)
	v_mfma_f32_16x16x16_bf16 a[8:11], v[48:49], v[40:41], a[8:11]
	ds_write2st64_b32 v0, v18, v24 offset0:128 offset1:160
	v_xor_b32_e32 v18, 8, v0
	v_perm_b32 v2, v2, v6, s1
	s_waitcnt lgkmcnt(5)
	v_mfma_f32_16x16x16_bf16 a[12:15], v[48:49], v[44:45], a[12:15]
	v_perm_b32 v6, v10, v14, s1
	v_add_u32_e32 v10, 0x80, v18
	ds_write2st64_b32 v10, v2, v6 offset0:128 offset1:160
	v_mfma_f32_16x16x16_bf16 a[0:3], v[50:51], v[38:39], a[0:3]
	v_xor_b32_e32 v2, 16, v0
	v_perm_b32 v6, v3, v7, s0
	v_perm_b32 v10, v11, v15, s0
	v_mfma_f32_16x16x16_bf16 a[4:7], v[50:51], v[28:29], a[4:7]
	ds_write2st64_b32 v2, v6, v10 offset0:129 offset1:161
	v_xor_b32_e32 v2, 24, v0
	v_perm_b32 v3, v3, v7, s1
	v_mfma_f32_16x16x16_bf16 a[16:19], v[50:51], v[42:43], a[8:11]
	v_perm_b32 v6, v11, v15, s1
	v_add_u32_e32 v2, 0x80, v2
	ds_write2st64_b32 v2, v3, v6 offset0:129 offset1:161
	v_mfma_f32_16x16x16_bf16 a[20:23], v[50:51], v[46:47], a[12:15]
	v_xor_b32_e32 v2, 32, v0
	v_perm_b32 v3, v4, v8, s0
	v_perm_b32 v6, v12, v16, s0
	s_waitcnt lgkmcnt(7)
	v_mfma_f32_16x16x16_bf16 a[12:15], v[52:53], v[20:21], a[0:3]
	ds_write2st64_b32 v2, v3, v6 offset0:130 offset1:162
	v_xor_b32_e32 v2, 40, v0
	v_perm_b32 v3, v4, v8, s1
	s_waitcnt lgkmcnt(7)
	v_mfma_f32_16x16x16_bf16 a[8:11], v[52:53], v[36:37], a[4:7]
	v_perm_b32 v4, v12, v16, s1
	v_add_u32_e32 v2, 0x80, v2
	ds_write2st64_b32 v2, v3, v4 offset0:130 offset1:162
	s_waitcnt lgkmcnt(7)
	v_mfma_f32_16x16x16_bf16 a[4:7], v[52:53], v[30:31], a[16:19]
	v_xor_b32_e32 v2, 48, v0
	v_perm_b32 v3, v5, v9, s0
	v_perm_b32 v4, v13, v17, s0
	s_waitcnt lgkmcnt(6)
	v_mfma_f32_16x16x16_bf16 a[0:3], v[52:53], v[54:55], a[20:23]
	v_xor_b32_e32 v0, 56, v0
	v_and_or_b32 v18, v33, 12, v1
	ds_write2st64_b32 v2, v3, v4 offset0:131 offset1:163
	v_perm_b32 v2, v5, v9, s1
	v_perm_b32 v3, v13, v17, s1
	v_add_u32_e32 v0, 0x80, v0
	v_cmp_gt_i32_e32 vcc, s27, v18
	v_mov_b32_e32 v14, 0
	v_mov_b32_e32 v16, 0
	ds_write2st64_b32 v0, v2, v3 offset0:131 offset1:163
	s_and_saveexec_b64 s[0:1], vcc
	s_cbranch_execz .LBB140_60
; %bb.59:
	v_add_u32_e32 v0, s26, v18
	v_ashrrev_i32_e32 v1, 31, v0
	v_mul_lo_u32 v2, v1, s28
	v_mul_lo_u32 v3, v0, s29
	v_mad_u64_u32 v[0:1], s[2:3], v0, s28, 0
	v_add3_u32 v1, v1, v3, v2
	v_lshl_add_u64 v[0:1], v[0:1], 2, s[10:11]
	global_load_dword v0, v[0:1], off
	s_waitcnt vmcnt(0)
	v_sub_f32_e32 v0, s12, v0
	v_exp_f32_e32 v16, v0
.LBB140_60:
	s_or_b64 exec, exec, s[0:1]
	v_or_b32_e32 v8, 1, v18
	v_cmp_gt_i32_e64 s[0:1], s27, v8
	s_and_saveexec_b64 s[2:3], s[0:1]
	s_cbranch_execz .LBB140_62
; %bb.61:
	v_add_u32_e32 v0, s26, v8
	v_ashrrev_i32_e32 v1, 31, v0
	v_mul_lo_u32 v2, v1, s28
	v_mul_lo_u32 v3, v0, s29
	v_mad_u64_u32 v[0:1], s[4:5], v0, s28, 0
	v_add3_u32 v1, v1, v3, v2
	v_lshl_add_u64 v[0:1], v[0:1], 2, s[10:11]
	global_load_dword v0, v[0:1], off
	s_waitcnt vmcnt(0)
	v_sub_f32_e32 v0, s12, v0
	v_exp_f32_e32 v14, v0
.LBB140_62:
	s_or_b64 exec, exec, s[2:3]
	v_or_b32_e32 v10, 2, v18
	v_cmp_gt_i32_e64 s[2:3], s27, v10
	v_mov_b32_e32 v15, 0
	v_mov_b32_e32 v17, 0
	s_and_saveexec_b64 s[4:5], s[2:3]
	s_cbranch_execz .LBB140_64
; %bb.63:
	v_add_u32_e32 v0, s26, v10
	v_ashrrev_i32_e32 v1, 31, v0
	v_mul_lo_u32 v2, v1, s28
	v_mul_lo_u32 v3, v0, s29
	v_mad_u64_u32 v[0:1], s[6:7], v0, s28, 0
	v_add3_u32 v1, v1, v3, v2
	v_lshl_add_u64 v[0:1], v[0:1], 2, s[10:11]
	global_load_dword v0, v[0:1], off
	s_waitcnt vmcnt(0)
	v_sub_f32_e32 v0, s12, v0
	v_exp_f32_e32 v17, v0
.LBB140_64:
	s_or_b64 exec, exec, s[4:5]
	v_or_b32_e32 v12, 3, v18
	v_cmp_gt_i32_e64 s[4:5], s27, v12
	s_and_saveexec_b64 s[6:7], s[4:5]
	s_cbranch_execz .LBB140_66
; %bb.65:
	v_add_u32_e32 v0, s26, v12
	v_ashrrev_i32_e32 v1, 31, v0
	v_mul_lo_u32 v2, v1, s28
	v_mul_lo_u32 v3, v0, s29
	v_mad_u64_u32 v[0:1], s[14:15], v0, s28, 0
	v_add3_u32 v1, v1, v3, v2
	v_lshl_add_u64 v[0:1], v[0:1], 2, s[10:11]
	global_load_dword v0, v[0:1], off
	s_waitcnt vmcnt(0)
	v_sub_f32_e32 v0, s12, v0
	v_exp_f32_e32 v15, v0
.LBB140_66:
	s_or_b64 exec, exec, s[6:7]
	s_add_u32 s6, s8, s20
	v_accvgpr_read_b32 v0, a12
	s_addc_u32 s7, s9, s21
	v_ashrrev_i32_e32 v79, 31, v78
	v_accvgpr_read_b32 v1, a13
	v_accvgpr_read_b32 v2, a14
	;; [unrolled: 1-line block ×3, first 2 shown]
	v_lshl_add_u64 v[4:5], v[78:79], 1, s[6:7]
	v_mov_b32_e32 v9, 0
	v_lshlrev_b32_e32 v6, 8, v18
	v_mov_b32_e32 v7, 0
	s_and_saveexec_b64 s[6:7], vcc
	s_cbranch_execz .LBB140_68
; %bb.67:
	v_mov_b32_e32 v7, 0
	v_lshl_add_u64 v[20:21], v[4:5], 0, v[6:7]
	global_load_ushort v7, v[20:21], off
	s_waitcnt vmcnt(0)
	v_lshlrev_b32_e32 v7, 16, v7
	v_sub_f32_e32 v0, v7, v0
	v_mul_f32_e32 v0, v16, v0
	v_lshrrev_b32_e32 v7, 16, v0
.LBB140_68:
	s_or_b64 exec, exec, s[6:7]
	v_lshlrev_b32_e32 v8, 8, v8
	s_and_saveexec_b64 s[6:7], s[0:1]
	s_cbranch_execz .LBB140_70
; %bb.69:
	v_mov_b32_e32 v9, 0
	v_lshl_add_u64 v[20:21], v[4:5], 0, v[8:9]
	global_load_ushort v0, v[20:21], off
	s_waitcnt vmcnt(0)
	v_lshlrev_b32_e32 v0, 16, v0
	v_sub_f32_e32 v0, v0, v1
	v_mul_f32_e32 v0, v14, v0
	v_lshrrev_b32_e32 v9, 16, v0
.LBB140_70:
	s_or_b64 exec, exec, s[6:7]
	v_mov_b32_e32 v13, 0
	v_lshlrev_b32_e32 v10, 8, v10
	v_mov_b32_e32 v11, 0
	s_and_saveexec_b64 s[6:7], s[2:3]
	s_cbranch_execz .LBB140_72
; %bb.71:
	v_mov_b32_e32 v11, 0
	v_lshl_add_u64 v[0:1], v[4:5], 0, v[10:11]
	global_load_ushort v0, v[0:1], off
	s_waitcnt vmcnt(0)
	v_lshlrev_b32_e32 v0, 16, v0
	v_sub_f32_e32 v0, v0, v2
	v_mul_f32_e32 v0, v17, v0
	v_lshrrev_b32_e32 v11, 16, v0
.LBB140_72:
	s_or_b64 exec, exec, s[6:7]
	v_lshlrev_b32_e32 v12, 8, v12
	s_and_saveexec_b64 s[6:7], s[4:5]
	s_cbranch_execz .LBB140_74
; %bb.73:
	v_mov_b32_e32 v13, 0
	v_lshl_add_u64 v[0:1], v[4:5], 0, v[12:13]
	global_load_ushort v0, v[0:1], off
	s_waitcnt vmcnt(0)
	v_lshlrev_b32_e32 v0, 16, v0
	v_sub_f32_e32 v0, v0, v3
	v_mul_f32_e32 v0, v15, v0
	v_lshrrev_b32_e32 v13, 16, v0
.LBB140_74:
	s_or_b64 exec, exec, s[6:7]
	v_lshlrev_b32_e32 v18, 6, v18
	s_mov_b32 s6, 0x5040100
	v_perm_b32 v20, v9, v7, s6
	v_or_b32_e32 v7, v18, v34
	v_accvgpr_read_b32 v0, a8
	v_perm_b32 v21, v13, v11, s6
	v_lshlrev_b32_e32 v7, 1, v7
	v_accvgpr_read_b32 v1, a9
	v_accvgpr_read_b32 v2, a10
	v_accvgpr_read_b32 v3, a11
	ds_write_b64 v7, v[20:21] offset:24576
	v_mov_b32_e32 v9, 0
	v_mov_b32_e32 v7, 0
	s_and_saveexec_b64 s[6:7], vcc
	s_cbranch_execz .LBB140_76
; %bb.75:
	v_mov_b32_e32 v7, 0
	v_lshl_add_u64 v[20:21], v[4:5], 0, v[6:7]
	global_load_ushort v7, v[20:21], off offset:32
	s_waitcnt vmcnt(0)
	v_lshlrev_b32_e32 v7, 16, v7
	v_sub_f32_e32 v0, v7, v0
	v_mul_f32_e32 v0, v16, v0
	v_lshrrev_b32_e32 v7, 16, v0
.LBB140_76:
	s_or_b64 exec, exec, s[6:7]
	s_and_saveexec_b64 s[6:7], s[0:1]
	s_cbranch_execz .LBB140_78
; %bb.77:
	v_mov_b32_e32 v9, 0
	v_lshl_add_u64 v[20:21], v[4:5], 0, v[8:9]
	global_load_ushort v0, v[20:21], off offset:32
	s_waitcnt vmcnt(0)
	v_lshlrev_b32_e32 v0, 16, v0
	v_sub_f32_e32 v0, v0, v1
	v_mul_f32_e32 v0, v14, v0
	v_lshrrev_b32_e32 v9, 16, v0
.LBB140_78:
	s_or_b64 exec, exec, s[6:7]
	v_mov_b32_e32 v13, 0
	v_mov_b32_e32 v11, 0
	s_and_saveexec_b64 s[6:7], s[2:3]
	s_cbranch_execz .LBB140_80
; %bb.79:
	v_mov_b32_e32 v11, 0
	v_lshl_add_u64 v[0:1], v[4:5], 0, v[10:11]
	global_load_ushort v0, v[0:1], off offset:32
	s_waitcnt vmcnt(0)
	v_lshlrev_b32_e32 v0, 16, v0
	v_sub_f32_e32 v0, v0, v2
	v_mul_f32_e32 v0, v17, v0
	v_lshrrev_b32_e32 v11, 16, v0
.LBB140_80:
	s_or_b64 exec, exec, s[6:7]
	s_and_saveexec_b64 s[6:7], s[4:5]
	s_cbranch_execz .LBB140_82
; %bb.81:
	v_mov_b32_e32 v13, 0
	v_lshl_add_u64 v[0:1], v[4:5], 0, v[12:13]
	global_load_ushort v0, v[0:1], off offset:32
	s_waitcnt vmcnt(0)
	v_lshlrev_b32_e32 v0, 16, v0
	v_sub_f32_e32 v0, v0, v3
	v_mul_f32_e32 v0, v15, v0
	v_lshrrev_b32_e32 v13, 16, v0
.LBB140_82:
	s_or_b64 exec, exec, s[6:7]
	s_mov_b32 s6, 0x5040100
	v_perm_b32 v20, v9, v7, s6
	v_or_b32_e32 v7, v18, v23
	v_accvgpr_read_b32 v0, a4
	v_perm_b32 v21, v13, v11, s6
	v_lshlrev_b32_e32 v7, 1, v7
	v_accvgpr_read_b32 v1, a5
	v_accvgpr_read_b32 v2, a6
	;; [unrolled: 1-line block ×3, first 2 shown]
	ds_write_b64 v7, v[20:21] offset:24576
	v_mov_b32_e32 v9, 0
	v_mov_b32_e32 v7, 0
	s_and_saveexec_b64 s[6:7], vcc
	s_cbranch_execz .LBB140_84
; %bb.83:
	v_mov_b32_e32 v7, 0
	v_lshl_add_u64 v[20:21], v[4:5], 0, v[6:7]
	global_load_ushort v7, v[20:21], off offset:64
	s_waitcnt vmcnt(0)
	v_lshlrev_b32_e32 v7, 16, v7
	v_sub_f32_e32 v0, v7, v0
	v_mul_f32_e32 v0, v16, v0
	v_lshrrev_b32_e32 v7, 16, v0
.LBB140_84:
	s_or_b64 exec, exec, s[6:7]
	s_and_saveexec_b64 s[6:7], s[0:1]
	s_cbranch_execz .LBB140_86
; %bb.85:
	v_mov_b32_e32 v9, 0
	v_lshl_add_u64 v[20:21], v[4:5], 0, v[8:9]
	global_load_ushort v0, v[20:21], off offset:64
	s_waitcnt vmcnt(0)
	v_lshlrev_b32_e32 v0, 16, v0
	v_sub_f32_e32 v0, v0, v1
	v_mul_f32_e32 v0, v14, v0
	v_lshrrev_b32_e32 v9, 16, v0
.LBB140_86:
	s_or_b64 exec, exec, s[6:7]
	v_mov_b32_e32 v13, 0
	v_mov_b32_e32 v11, 0
	s_and_saveexec_b64 s[6:7], s[2:3]
	s_cbranch_execz .LBB140_88
; %bb.87:
	v_mov_b32_e32 v11, 0
	v_lshl_add_u64 v[0:1], v[4:5], 0, v[10:11]
	global_load_ushort v0, v[0:1], off offset:64
	s_waitcnt vmcnt(0)
	v_lshlrev_b32_e32 v0, 16, v0
	v_sub_f32_e32 v0, v0, v2
	v_mul_f32_e32 v0, v17, v0
	v_lshrrev_b32_e32 v11, 16, v0
.LBB140_88:
	s_or_b64 exec, exec, s[6:7]
	s_and_saveexec_b64 s[6:7], s[4:5]
	s_cbranch_execz .LBB140_90
; %bb.89:
	v_mov_b32_e32 v13, 0
	v_lshl_add_u64 v[0:1], v[4:5], 0, v[12:13]
	global_load_ushort v0, v[0:1], off offset:64
	s_waitcnt vmcnt(0)
	v_lshlrev_b32_e32 v0, 16, v0
	v_sub_f32_e32 v0, v0, v3
	v_mul_f32_e32 v0, v15, v0
	v_lshrrev_b32_e32 v13, 16, v0
.LBB140_90:
	s_or_b64 exec, exec, s[6:7]
	s_mov_b32 s6, 0x5040100
	v_perm_b32 v20, v9, v7, s6
	v_or_b32_e32 v7, v18, v22
	v_accvgpr_read_b32 v0, a0
	v_perm_b32 v21, v13, v11, s6
	v_lshlrev_b32_e32 v7, 1, v7
	v_accvgpr_read_b32 v1, a1
	v_accvgpr_read_b32 v2, a2
	;; [unrolled: 1-line block ×3, first 2 shown]
	ds_write_b64 v7, v[20:21] offset:24576
	v_mov_b32_e32 v9, 0
	v_mov_b32_e32 v7, 0
	s_and_saveexec_b64 s[6:7], vcc
	s_cbranch_execz .LBB140_92
; %bb.91:
	v_mov_b32_e32 v7, 0
	v_lshl_add_u64 v[6:7], v[4:5], 0, v[6:7]
	global_load_ushort v6, v[6:7], off offset:96
	s_waitcnt vmcnt(0)
	v_lshlrev_b32_e32 v6, 16, v6
	v_sub_f32_e32 v0, v6, v0
	v_mul_f32_e32 v0, v16, v0
	v_lshrrev_b32_e32 v7, 16, v0
.LBB140_92:
	s_or_b64 exec, exec, s[6:7]
	s_and_saveexec_b64 s[6:7], s[0:1]
	s_cbranch_execz .LBB140_94
; %bb.93:
	v_mov_b32_e32 v9, 0
	v_lshl_add_u64 v[8:9], v[4:5], 0, v[8:9]
	global_load_ushort v0, v[8:9], off offset:96
	s_waitcnt vmcnt(0)
	v_lshlrev_b32_e32 v0, 16, v0
	v_sub_f32_e32 v0, v0, v1
	v_mul_f32_e32 v0, v14, v0
	v_lshrrev_b32_e32 v9, 16, v0
.LBB140_94:
	s_or_b64 exec, exec, s[6:7]
	v_mov_b32_e32 v0, 0
	v_mov_b32_e32 v1, 0
	s_and_saveexec_b64 s[0:1], s[2:3]
	s_cbranch_execz .LBB140_96
; %bb.95:
	v_mov_b32_e32 v11, 0
	v_lshl_add_u64 v[10:11], v[4:5], 0, v[10:11]
	global_load_ushort v1, v[10:11], off offset:96
	s_waitcnt vmcnt(0)
	v_lshlrev_b32_e32 v1, 16, v1
	v_sub_f32_e32 v1, v1, v2
	v_mul_f32_e32 v1, v17, v1
	v_lshrrev_b32_e32 v1, 16, v1
.LBB140_96:
	s_or_b64 exec, exec, s[0:1]
	s_and_saveexec_b64 s[0:1], s[4:5]
	s_cbranch_execz .LBB140_98
; %bb.97:
	v_mov_b32_e32 v13, 0
	v_lshl_add_u64 v[4:5], v[4:5], 0, v[12:13]
	global_load_ushort v0, v[4:5], off offset:96
	s_waitcnt vmcnt(0)
	v_lshlrev_b32_e32 v0, 16, v0
	v_sub_f32_e32 v0, v0, v3
	v_mul_f32_e32 v0, v15, v0
	v_lshrrev_b32_e32 v0, 16, v0
.LBB140_98:
	s_or_b64 exec, exec, s[0:1]
	s_mov_b32 s0, 0x5040100
	v_or_b32_e32 v2, v18, v19
	v_perm_b32 v1, v0, v1, s0
	v_perm_b32 v0, v9, v7, s0
	v_lshlrev_b32_e32 v2, 1, v2
	ds_write_b64 v2, v[0:1] offset:24576
	s_waitcnt lgkmcnt(0)
	s_barrier
.LBB140_99:
	s_endpgm
	.section	.rodata,"a",@progbits
	.p2align	6, 0x0
	.amdhsa_kernel _ZN12_GLOBAL__N_139chunk_gated_delta_rule_fwd_h_hip_kernelILi64ELb1ELb0ELb0ELb0ELb1ELb1ELb1ELb0EEEvPK12hip_bfloat16S3_S3_PKfS5_PKvPS1_S8_PvPKiSB_iiiiilll
		.amdhsa_group_segment_fixed_size 65536
		.amdhsa_private_segment_fixed_size 0
		.amdhsa_kernarg_size 136
		.amdhsa_user_sgpr_count 2
		.amdhsa_user_sgpr_dispatch_ptr 0
		.amdhsa_user_sgpr_queue_ptr 0
		.amdhsa_user_sgpr_kernarg_segment_ptr 1
		.amdhsa_user_sgpr_dispatch_id 0
		.amdhsa_user_sgpr_kernarg_preload_length 0
		.amdhsa_user_sgpr_kernarg_preload_offset 0
		.amdhsa_user_sgpr_private_segment_size 0
		.amdhsa_uses_dynamic_stack 0
		.amdhsa_enable_private_segment 0
		.amdhsa_system_sgpr_workgroup_id_x 1
		.amdhsa_system_sgpr_workgroup_id_y 1
		.amdhsa_system_sgpr_workgroup_id_z 0
		.amdhsa_system_sgpr_workgroup_info 0
		.amdhsa_system_vgpr_workitem_id 0
		.amdhsa_next_free_vgpr 228
		.amdhsa_next_free_sgpr 69
		.amdhsa_accum_offset 188
		.amdhsa_reserve_vcc 1
		.amdhsa_float_round_mode_32 0
		.amdhsa_float_round_mode_16_64 0
		.amdhsa_float_denorm_mode_32 3
		.amdhsa_float_denorm_mode_16_64 3
		.amdhsa_dx10_clamp 1
		.amdhsa_ieee_mode 1
		.amdhsa_fp16_overflow 0
		.amdhsa_tg_split 0
		.amdhsa_exception_fp_ieee_invalid_op 0
		.amdhsa_exception_fp_denorm_src 0
		.amdhsa_exception_fp_ieee_div_zero 0
		.amdhsa_exception_fp_ieee_overflow 0
		.amdhsa_exception_fp_ieee_underflow 0
		.amdhsa_exception_fp_ieee_inexact 0
		.amdhsa_exception_int_div_zero 0
	.end_amdhsa_kernel
	.section	.text._ZN12_GLOBAL__N_139chunk_gated_delta_rule_fwd_h_hip_kernelILi64ELb1ELb0ELb0ELb0ELb1ELb1ELb1ELb0EEEvPK12hip_bfloat16S3_S3_PKfS5_PKvPS1_S8_PvPKiSB_iiiiilll,"axG",@progbits,_ZN12_GLOBAL__N_139chunk_gated_delta_rule_fwd_h_hip_kernelILi64ELb1ELb0ELb0ELb0ELb1ELb1ELb1ELb0EEEvPK12hip_bfloat16S3_S3_PKfS5_PKvPS1_S8_PvPKiSB_iiiiilll,comdat
.Lfunc_end140:
	.size	_ZN12_GLOBAL__N_139chunk_gated_delta_rule_fwd_h_hip_kernelILi64ELb1ELb0ELb0ELb0ELb1ELb1ELb1ELb0EEEvPK12hip_bfloat16S3_S3_PKfS5_PKvPS1_S8_PvPKiSB_iiiiilll, .Lfunc_end140-_ZN12_GLOBAL__N_139chunk_gated_delta_rule_fwd_h_hip_kernelILi64ELb1ELb0ELb0ELb0ELb1ELb1ELb1ELb0EEEvPK12hip_bfloat16S3_S3_PKfS5_PKvPS1_S8_PvPKiSB_iiiiilll
                                        ; -- End function
	.section	.AMDGPU.csdata,"",@progbits
; Kernel info:
; codeLenInByte = 10936
; NumSgprs: 75
; NumVgprs: 188
; NumAgprs: 40
; TotalNumVgprs: 228
; ScratchSize: 0
; MemoryBound: 0
; FloatMode: 240
; IeeeMode: 1
; LDSByteSize: 65536 bytes/workgroup (compile time only)
; SGPRBlocks: 9
; VGPRBlocks: 28
; NumSGPRsForWavesPerEU: 75
; NumVGPRsForWavesPerEU: 228
; AccumOffset: 188
; Occupancy: 1
; WaveLimiterHint : 1
; COMPUTE_PGM_RSRC2:SCRATCH_EN: 0
; COMPUTE_PGM_RSRC2:USER_SGPR: 2
; COMPUTE_PGM_RSRC2:TRAP_HANDLER: 0
; COMPUTE_PGM_RSRC2:TGID_X_EN: 1
; COMPUTE_PGM_RSRC2:TGID_Y_EN: 1
; COMPUTE_PGM_RSRC2:TGID_Z_EN: 0
; COMPUTE_PGM_RSRC2:TIDIG_COMP_CNT: 0
; COMPUTE_PGM_RSRC3_GFX90A:ACCUM_OFFSET: 46
; COMPUTE_PGM_RSRC3_GFX90A:TG_SPLIT: 0
	.section	.text._ZN12_GLOBAL__N_139chunk_gated_delta_rule_fwd_h_hip_kernelILi64ELb0ELb1ELb1ELb0ELb1ELb1ELb1ELb0EEEvPK12hip_bfloat16S3_S3_PKfS5_PKvPS1_S8_PvPKiSB_iiiiilll,"axG",@progbits,_ZN12_GLOBAL__N_139chunk_gated_delta_rule_fwd_h_hip_kernelILi64ELb0ELb1ELb1ELb0ELb1ELb1ELb1ELb0EEEvPK12hip_bfloat16S3_S3_PKfS5_PKvPS1_S8_PvPKiSB_iiiiilll,comdat
	.globl	_ZN12_GLOBAL__N_139chunk_gated_delta_rule_fwd_h_hip_kernelILi64ELb0ELb1ELb1ELb0ELb1ELb1ELb1ELb0EEEvPK12hip_bfloat16S3_S3_PKfS5_PKvPS1_S8_PvPKiSB_iiiiilll ; -- Begin function _ZN12_GLOBAL__N_139chunk_gated_delta_rule_fwd_h_hip_kernelILi64ELb0ELb1ELb1ELb0ELb1ELb1ELb1ELb0EEEvPK12hip_bfloat16S3_S3_PKfS5_PKvPS1_S8_PvPKiSB_iiiiilll
	.p2align	8
	.type	_ZN12_GLOBAL__N_139chunk_gated_delta_rule_fwd_h_hip_kernelILi64ELb0ELb1ELb1ELb0ELb1ELb1ELb1ELb0EEEvPK12hip_bfloat16S3_S3_PKfS5_PKvPS1_S8_PvPKiSB_iiiiilll,@function
_ZN12_GLOBAL__N_139chunk_gated_delta_rule_fwd_h_hip_kernelILi64ELb0ELb1ELb1ELb0ELb1ELb1ELb1ELb0EEEvPK12hip_bfloat16S3_S3_PKfS5_PKvPS1_S8_PvPKiSB_iiiiilll: ; @_ZN12_GLOBAL__N_139chunk_gated_delta_rule_fwd_h_hip_kernelILi64ELb0ELb1ELb1ELb0ELb1ELb1ELb1ELb0EEEvPK12hip_bfloat16S3_S3_PKfS5_PKvPS1_S8_PvPKiSB_iiiiilll
; %bb.0:
	s_load_dwordx4 s[12:15], s[0:1], 0x5c
	s_load_dwordx2 s[34:35], s[0:1], 0x40
	s_abs_i32 s22, s3
	s_ashr_i32 s21, s3, 31
	s_load_dwordx8 s[4:11], s[0:1], 0x0
	s_load_dwordx2 s[36:37], s[0:1], 0x20
	s_load_dwordx4 s[16:19], s[0:1], 0x30
	s_waitcnt lgkmcnt(0)
	s_abs_i32 s20, s13
	v_cvt_f32_u32_e32 v1, s20
	s_sub_i32 s24, 0, s20
	s_ashr_i32 s23, s13, 31
	s_xor_b32 s21, s21, s23
	v_rcp_iflag_f32_e32 v1, v1
	v_lshrrev_b32_e32 v77, 6, v0
	v_bfe_u32 v88, v0, 4, 2
	v_lshlrev_b32_e32 v86, 4, v77
	v_mul_f32_e32 v1, 0x4f7ffffe, v1
	v_cvt_u32_f32_e32 v1, v1
	v_lshlrev_b32_e32 v34, 2, v88
	v_and_b32_e32 v87, 63, v0
	v_mov_b32_e32 v17, 0
	v_readfirstlane_b32 s25, v1
	s_mul_i32 s24, s24, s25
	s_mul_hi_u32 s24, s25, s24
	s_add_i32 s25, s25, s24
	s_mul_hi_u32 s24, s22, s25
	s_mul_i32 s25, s24, s20
	s_sub_i32 s22, s22, s25
	s_add_i32 s25, s24, 1
	s_sub_i32 s26, s22, s20
	s_cmp_ge_u32 s22, s20
	s_cselect_b32 s24, s25, s24
	s_cselect_b32 s22, s26, s22
	s_add_i32 s25, s24, 1
	s_cmp_ge_u32 s22, s20
	s_cselect_b32 s22, s25, s24
	s_xor_b32 s22, s22, s21
	s_sub_i32 s52, s22, s21
	s_abs_i32 s21, s14
	v_cvt_f32_u32_e32 v1, s21
	s_ashr_i32 s51, s12, 31
	s_lshr_b32 s22, s51, 26
	s_add_i32 s22, s12, s22
	v_rcp_iflag_f32_e32 v1, v1
	s_ashr_i32 s54, s14, 31
	s_ashr_i32 s53, s22, 6
	s_xor_b32 s22, s23, s54
	v_mul_f32_e32 v1, 0x4f7ffffe, v1
	v_cvt_u32_f32_e32 v1, v1
	s_sub_i32 s23, 0, s21
	s_mul_i32 s50, s52, s13
	s_sub_i32 s33, s3, s50
	v_readfirstlane_b32 s24, v1
	s_mul_i32 s23, s23, s24
	s_mul_hi_u32 s23, s24, s23
	s_add_i32 s24, s24, s23
	s_mul_hi_u32 s23, s20, s24
	s_mul_i32 s24, s23, s21
	s_sub_i32 s20, s20, s24
	s_add_i32 s3, s12, 63
	s_add_i32 s24, s23, 1
	s_sub_i32 s25, s20, s21
	s_cmp_ge_u32 s20, s21
	s_cselect_b32 s23, s24, s23
	s_cselect_b32 s20, s25, s20
	s_add_i32 s24, s23, 1
	s_cmp_ge_u32 s20, s21
	s_cselect_b32 s20, s24, s23
	s_xor_b32 s20, s20, s22
	s_sub_i32 s24, s20, s22
	s_abs_i32 s25, s24
	v_cvt_f32_u32_e32 v1, s25
	s_sub_i32 s26, 0, s25
	s_load_dwordx2 s[38:39], s[0:1], 0x80
	s_load_dwordx4 s[20:23], s[0:1], 0x70
	s_xor_b32 s1, s33, s24
	v_rcp_iflag_f32_e32 v1, v1
	s_abs_i32 s24, s33
	s_ashr_i32 s1, s1, 31
	s_mov_b32 s0, 0
	v_mul_f32_e32 v1, 0x4f7ffffe, v1
	v_cvt_u32_f32_e32 v1, v1
	s_mul_i32 s48, s52, s12
	v_and_b32_e32 v89, 15, v0
	s_mul_hi_i32 s56, s52, s13
	v_readfirstlane_b32 s27, v1
	s_mul_i32 s26, s26, s27
	s_mul_hi_u32 s26, s27, s26
	s_add_i32 s27, s27, s26
	s_mul_hi_u32 s26, s24, s27
	s_mul_i32 s27, s26, s25
	s_sub_i32 s24, s24, s27
	s_add_i32 s27, s26, 1
	s_sub_i32 s28, s24, s25
	s_cmp_ge_u32 s24, s25
	s_cselect_b32 s26, s27, s26
	s_cselect_b32 s24, s28, s24
	s_add_i32 s27, s26, 1
	s_cmp_ge_u32 s24, s25
	s_cselect_b32 s24, s27, s26
	s_xor_b32 s24, s24, s1
	s_sub_i32 s57, s24, s1
	s_ashr_i32 s1, s3, 31
	s_lshr_b32 s1, s1, 26
	s_add_i32 s3, s3, s1
	s_ashr_i32 s1, s3, 6
	v_or_b32_e32 v1, v34, v86
	s_mul_i32 s55, s52, s1
	s_lshl_b32 s2, s2, 6
	s_mov_b32 s1, s0
	v_or_b32_e32 v92, 64, v1
	s_cmp_lt_i32 s12, 64
	v_mov_b64_e32 v[2:3], s[0:1]
	v_lshrrev_b32_e32 v91, 3, v87
	v_lshlrev_b32_e32 v90, 3, v0
	s_waitcnt lgkmcnt(0)
	s_mul_i32 s21, s52, s21
	s_mul_hi_u32 s49, s52, s20
	s_mul_i32 s40, s52, s20
	v_mov_b32_e32 v16, v17
	v_mov_b32_e32 v15, v17
	;; [unrolled: 1-line block ×23, first 2 shown]
	v_mov_b64_e32 v[4:5], s[0:1]
	v_mov_b64_e32 v[6:7], s[0:1]
	;; [unrolled: 1-line block ×3, first 2 shown]
	s_cbranch_scc1 .LBB141_18
; %bb.1:
	s_ashr_i32 s3, s52, 31
	s_ashr_i32 s59, s33, 31
	s_add_u32 s0, s50, s33
	s_addc_u32 s1, s56, s59
	s_mul_i32 s1, s12, s1
	s_mul_hi_u32 s24, s12, s0
	s_add_i32 s43, s24, s1
	s_mul_i32 s42, s12, s0
	s_lshl_b64 s[0:1], s[42:43], 8
	v_and_b32_e32 v94, 56, v90
	s_add_u32 s24, s6, s0
	v_lshl_or_b32 v93, v77, 3, v91
	v_lshlrev_b32_e32 v2, 1, v94
	s_addc_u32 s0, s7, s1
	v_lshl_or_b32 v95, v93, 8, v2
	s_and_b32 s25, s0, 0xffff
	s_mov_b32 s27, 0x20000
	s_movk_i32 s26, 0x4000
	s_movk_i32 s0, 0x80
	v_or_b32_e32 v96, 0x2000, v95
	buffer_load_dwordx4 v[4:7], v95, s[24:27], 0 offen
	buffer_load_dwordx4 v[8:11], v95, s[24:27], s0 offen
	;; [unrolled: 1-line block ×4, first 2 shown]
	v_lshlrev_b32_e32 v3, 3, v93
	v_and_or_b32 v21, v0, 7, v3
	v_and_b32_e32 v3, 0x78, v3
	v_lshlrev_b32_e32 v21, 4, v21
	v_xor_b32_e32 v97, v21, v3
	v_mul_lo_u32 v20, v93, s15
	v_or_b32_e32 v98, 0x1000, v97
	v_xor_b32_e32 v3, 8, v97
	s_cmpk_eq_i32 s15, 0x80
	s_mov_b32 s58, s14
	v_xor_b32_e32 v21, 8, v98
	s_cselect_b64 s[0:1], -1, 0
	s_cmpk_lg_i32 s15, 0x80
	s_waitcnt vmcnt(3)
	ds_write_b64 v97, v[4:5] offset:49152
	ds_write_b64 v3, v[6:7] offset:49152
	s_waitcnt vmcnt(2)
	ds_write_b64 v97, v[8:9] offset:57344
	ds_write_b64 v3, v[10:11] offset:57344
	;; [unrolled: 3-line block ×4, first 2 shown]
	v_lshl_add_u32 v3, v20, 1, v94
	s_cbranch_scc0 .LBB141_3
; %bb.2:
	v_lshlrev_b32_e32 v5, 1, v3
	v_add_lshl_u32 v4, v3, s15, 1
	s_lshl_b32 s26, s15, 7
	v_lshl_or_b32 v2, v93, 9, v2
	s_cbranch_execz .LBB141_4
	s_branch .LBB141_5
.LBB141_3:
                                        ; implicit-def: $vgpr4
                                        ; implicit-def: $vgpr5
                                        ; implicit-def: $sgpr26
	v_lshl_or_b32 v2, v93, 9, v2
.LBB141_4:
	v_or_b32_e32 v4, 0x100, v2
	s_movk_i32 s26, 0x4000
	v_mov_b32_e32 v5, v2
.LBB141_5:
	s_mul_hi_u32 s24, s14, s12
	s_mul_i32 s25, s54, s12
	s_add_i32 s24, s24, s25
	s_mul_i32 s25, s14, s12
	s_mul_i32 s27, s25, s3
	s_mul_hi_u32 s28, s25, s52
	s_add_i32 s27, s28, s27
	s_mul_i32 s24, s24, s52
	s_add_i32 s27, s27, s24
	s_mul_i32 s25, s25, s52
	s_ashr_i32 s60, s57, 31
	s_add_u32 s24, s25, s57
	s_addc_u32 s25, s27, s60
	s_lshl_b64 s[24:25], s[24:25], 8
	s_add_u32 s24, s4, s24
	s_addc_u32 s25, s5, s25
	s_and_b32 s25, s25, 0xffff
	s_mov_b32 s27, 0x20000
	s_movk_i32 s61, 0x80
	buffer_load_dwordx4 v[6:9], v5, s[24:27], 0 offen
	buffer_load_dwordx4 v[10:13], v5, s[24:27], s61 offen
	;; [unrolled: 1-line block ×4, first 2 shown]
	v_and_b32_e32 v5, 6, v0
	v_lshlrev_b32_e32 v4, 7, v1
	v_xor_b32_e32 v26, v93, v5
	v_and_b32_e32 v22, 1, v0
	v_lshl_or_b32 v29, v89, 3, v4
	v_lshlrev_b32_e32 v26, 2, v26
	v_or_b32_e32 v99, 0x4000, v29
	v_or_b32_e32 v100, 0x6000, v29
	v_xor_b32_e32 v29, 0x440, v26
	v_cmp_eq_u32_e32 vcc, 0, v22
	v_lshlrev_b32_e32 v23, 2, v89
	v_or_b32_e32 v25, 16, v89
	v_cndmask_b32_e32 v22, v29, v26, vcc
	s_mov_b32 s63, 0x1000504
	v_xor_b32_e32 v27, v1, v23
	v_xor_b32_e32 v28, v92, v23
	v_lshl_or_b32 v30, v25, 3, v4
	v_lshl_or_b32 v5, v5, 10, v22
	s_mov_b32 s64, 0x3020706
	s_mul_i32 s24, s3, s12
	s_mul_hi_u32 s25, s52, s12
	v_lshlrev_b32_e32 v24, 8, v89
	v_lshlrev_b32_e32 v27, 1, v27
	v_lshlrev_b32_e32 v28, 1, v28
	v_or_b32_e32 v101, 0x4000, v30
	v_or_b32_e32 v102, 0x6000, v30
	v_xor_b32_e32 v22, 8, v5
	v_xor_b32_e32 v26, 24, v5
	;; [unrolled: 1-line block ×4, first 2 shown]
	v_or_b32_e32 v103, v24, v27
	v_or_b32_e32 v104, v24, v28
	v_xor_b32_e32 v24, 16, v5
	v_xor_b32_e32 v29, 32, v5
	;; [unrolled: 1-line block ×3, first 2 shown]
	v_add_u32_e32 v22, 0x80, v22
	v_add_u32_e32 v26, 0x80, v26
	;; [unrolled: 1-line block ×4, first 2 shown]
	s_add_i32 s65, s25, s24
	s_add_i32 s24, s49, s21
	s_mul_i32 s3, s3, s20
	s_add_i32 s41, s24, s3
	s_mul_i32 s3, s33, s23
	s_mul_hi_u32 s24, s33, s22
	s_add_i32 s3, s24, s3
	s_mul_i32 s24, s59, s22
	s_add_i32 s25, s3, s24
	s_lshl_b64 s[28:29], s[40:41], 2
	s_mul_i32 s24, s33, s22
	s_add_u32 s3, s10, s28
	s_addc_u32 s28, s11, s29
	s_lshl_b64 s[24:25], s[24:25], 2
	s_add_u32 s44, s3, s24
	s_movk_i32 s3, 0xf8
	s_addc_u32 s45, s28, s25
	s_lshl_b32 s30, s15, 7
	s_movk_i32 s28, 0x100
	v_mov_b32_e32 v79, 0
	v_lshlrev_b32_e32 v78, 4, v89
	s_mov_b32 s62, 0
	s_movk_i32 s26, 0x4000
	v_add_u32_e32 v136, v86, v34
	s_mov_b32 s41, 0x7060302
	s_movk_i32 s66, 0x2000
	s_movk_i32 s67, 0x3000
	s_mov_b32 s69, 0
	s_waitcnt vmcnt(1)
	v_perm_b32 v33, v6, v14, s63
	s_waitcnt vmcnt(0)
	v_perm_b32 v35, v10, v18, s63
	v_perm_b32 v6, v6, v14, s64
	v_perm_b32 v10, v10, v18, s64
	v_perm_b32 v14, v7, v15, s63
	v_perm_b32 v18, v11, v19, s63
	v_perm_b32 v7, v7, v15, s64
	v_perm_b32 v11, v11, v19, s64
	v_perm_b32 v15, v8, v16, s63
	v_perm_b32 v19, v12, v20, s63
	v_perm_b32 v8, v8, v16, s64
	v_perm_b32 v12, v12, v20, s64
	v_perm_b32 v16, v9, v17, s63
	v_perm_b32 v20, v13, v21, s63
	v_perm_b32 v9, v9, v17, s64
	v_perm_b32 v13, v13, v21, s64
	ds_write2st64_b32 v5, v33, v35 offset0:128 offset1:160
	ds_write2st64_b32 v22, v6, v10 offset0:128 offset1:160
	;; [unrolled: 1-line block ×8, first 2 shown]
	v_lshlrev_b32_e32 v5, 8, v25
	v_or_b32_e32 v105, v5, v27
	v_or_b32_e32 v106, v5, v28
	;; [unrolled: 1-line block ×3, first 2 shown]
	v_lshl_or_b32 v6, v5, 3, v4
	v_lshlrev_b32_e32 v5, 8, v5
	v_or_b32_e32 v109, v5, v27
	v_or_b32_e32 v110, v5, v28
	;; [unrolled: 1-line block ×5, first 2 shown]
	v_lshl_or_b32 v6, v5, 3, v4
	v_lshlrev_b32_e32 v5, 8, v5
	v_or_b32_e32 v113, v5, v27
	v_or_b32_e32 v114, v5, v28
	;; [unrolled: 1-line block ×3, first 2 shown]
	v_lshlrev_b32_e32 v5, 3, v5
	v_lshrrev_b32_e32 v7, 5, v87
	v_and_or_b32 v7, v5, s3, v7
	v_lshlrev_b32_e32 v7, 4, v7
	v_or_b32_e32 v111, 0x4000, v6
	v_or_b32_e32 v112, 0x6000, v6
	v_lshrrev_b32_e32 v6, 2, v87
	v_lshlrev_b32_e32 v11, 11, v77
	v_and_b32_e32 v5, 0x78, v5
	v_or_b32_e32 v13, 32, v7
	v_and_b32_e32 v10, 12, v6
	v_and_b32_e32 v6, 0x1000, v11
	v_lshrrev_b32_e32 v9, 1, v87
	v_xor_b32_e32 v13, v13, v5
	v_xor_b32_e32 v8, v7, v5
	v_and_b32_e32 v9, 8, v9
	v_or_b32_e32 v13, v13, v6
	v_or_b32_e32 v8, v8, v6
	v_lshlrev_b32_e32 v12, 8, v88
	v_xor_b32_e32 v117, v13, v9
	v_or_b32_e32 v13, 64, v7
	v_or_b32_e32 v7, 0x60, v7
	v_xor_b32_e32 v115, v8, v9
	v_or_b32_e32 v8, v12, v23
	v_xor_b32_e32 v13, v13, v5
	v_xor_b32_e32 v5, v7, v5
	s_ashr_i32 s3, s2, 31
	v_lshlrev_b32_e32 v8, 1, v8
	v_or_b32_e32 v13, v13, v6
	v_or_b32_e32 v5, v5, v6
	s_lshl_b64 s[24:25], s[2:3], 8
	v_lshlrev_b32_e32 v17, 2, v0
	v_or_b32_e32 v116, 0x4000, v8
	v_or_b32_e32 v118, 0x4080, v8
	v_or_b32_e32 v119, 0x4100, v8
	v_or_b32_e32 v120, 0x4180, v8
	v_xor_b32_e32 v121, v13, v9
	v_xor_b32_e32 v122, v5, v9
	v_or_b32_e32 v123, 0x6000, v8
	v_or_b32_e32 v124, 0x6080, v8
	;; [unrolled: 1-line block ×4, first 2 shown]
	v_lshlrev_b32_e32 v5, 1, v3
	v_add_lshl_u32 v3, v3, s15, 1
	v_or_b32_e32 v13, 0x100, v2
	s_add_u32 s24, s16, s24
	v_lshlrev_b32_e32 v8, 1, v89
	v_lshrrev_b32_e32 v18, 1, v0
	v_and_or_b32 v12, v17, 60, v12
	v_lshrrev_b32_e32 v14, 4, v0
	s_addc_u32 s25, s17, s25
	v_or_b32_e32 v9, 1, v8
	v_and_b32_e32 v18, 24, v18
	v_lshlrev_b32_e32 v12, 1, v12
	v_cndmask_b32_e64 v133, v5, v2, s[0:1]
	v_cndmask_b32_e64 v134, v3, v13, s[0:1]
	v_mov_b32_e32 v3, 0xa000
	v_mov_b32_e32 v5, 0x8000
	v_cmp_gt_u32_e64 s[0:1], s28, v0
	v_xor_b32_e32 v15, v14, v8
	v_xor_b32_e32 v16, v9, v14
	v_lshl_add_u64 v[8:9], s[24:25], 0, v[78:79]
	v_lshlrev_b32_e32 v78, 8, v14
	v_or_b32_e32 v129, 0x6000, v12
	v_or_b32_e32 v17, 32, v18
	;; [unrolled: 1-line block ×6, first 2 shown]
	v_cndmask_b32_e64 v3, v3, v5, s[0:1]
	v_lshlrev_b32_e32 v5, 3, v77
	v_lshl_or_b32 v127, v15, 3, v78
	v_and_b32_e32 v15, 8, v0
	v_xor_b32_e32 v13, v5, v18
	v_xor_b32_e32 v17, v5, v17
	v_xor_b32_e32 v5, v5, v12
	v_mov_b32_e32 v19, 0x400
	v_cmp_eq_u32_e32 vcc, 0, v15
	v_or_b32_e32 v18, 0x440, v13
	v_or_b32_e32 v20, 0x440, v17
	v_xor_b32_e32 v12, 0x440, v5
	v_and_b32_e32 v14, 7, v0
	v_cndmask_b32_e64 v15, v19, 64, vcc
	v_cndmask_b32_e32 v18, v18, v13, vcc
	v_cndmask_b32_e32 v17, v20, v17, vcc
	;; [unrolled: 1-line block ×3, first 2 shown]
	v_or_b32_e32 v6, s2, v89
	v_lshl_or_b32 v128, v16, 3, v78
	v_lshlrev_b32_e32 v16, 3, v14
	v_or_b32_e32 v18, v18, v11
	v_or_b32_e32 v17, v17, v11
	v_or3_b32 v13, v11, v15, v13
	v_or_b32_e32 v5, v5, v11
	v_ashrrev_i32_e32 v7, 31, v6
	v_lshlrev_b32_e32 v14, 7, v14
	v_xor_b32_e32 v18, v18, v16
	v_xor_b32_e32 v17, v17, v16
	v_xor_b32_e32 v13, v13, v16
	v_xor_b32_e32 v5, v5, v16
	v_or_b32_e32 v2, v86, v10
	v_add_u32_e32 v19, v3, v18
	v_add_u32_e32 v20, v3, v17
	v_or_b32_e32 v135, v13, v14
	v_add_u32_e32 v11, v3, v5
	v_or3_b32 v10, v86, v10, 64
	v_add_u32_e32 v12, 0xa000, v18
	v_add_u32_e32 v13, 0xa000, v17
	;; [unrolled: 1-line block ×3, first 2 shown]
	v_lshlrev_b64 v[6:7], 1, v[6:7]
	v_lshl_add_u64 v[80:81], s[8:9], 0, v[6:7]
	v_lshl_add_u64 v[82:83], s[18:19], 0, v[6:7]
	;; [unrolled: 1-line block ×3, first 2 shown]
	s_add_i32 s3, s48, 63
	v_lshlrev_b32_e32 v78, 1, v4
	v_lshlrev_b32_e32 v137, 2, v2
	v_add_u32_e32 v138, v19, v14
	v_add_u32_e32 v139, v20, v14
	;; [unrolled: 1-line block ×4, first 2 shown]
	v_lshlrev_b32_e32 v142, 2, v10
	v_add_u32_e32 v143, v12, v14
	v_add_u32_e32 v144, v13, v14
	;; [unrolled: 1-line block ×3, first 2 shown]
	v_mov_b32_e32 v8, v79
	v_mov_b32_e32 v9, v79
	;; [unrolled: 1-line block ×32, first 2 shown]
	s_waitcnt lgkmcnt(0)
	s_barrier
.LBB141_6:                              ; =>This Inner Loop Header: Depth=1
	s_add_i32 s68, s69, 1
	s_cmp_lt_i32 s68, s53
	s_mov_b64 s[28:29], 0
	s_cselect_b64 s[46:47], -1, 0
	s_cmp_ge_i32 s68, s53
	s_mov_b64 s[24:25], 0
	s_cbranch_scc1 .LBB141_8
; %bb.7:                                ;   in Loop: Header=BB141_6 Depth=1
	s_add_i32 s0, s62, 64
	s_add_u32 s0, s42, s0
	s_addc_u32 s1, s43, 0
	s_lshl_b64 s[0:1], s[0:1], 8
	s_add_u32 s24, s6, s0
	s_addc_u32 s25, s7, s1
.LBB141_8:                              ;   in Loop: Header=BB141_6 Depth=1
	v_cndmask_b32_e64 v34, 0, 1, s[46:47]
	v_cmp_ne_u32_e64 s[0:1], 1, v34
	s_andn2_b64 vcc, exec, s[46:47]
	s_cbranch_vccnz .LBB141_10
; %bb.9:                                ;   in Loop: Header=BB141_6 Depth=1
	s_add_i32 s28, s62, 64
	s_add_u32 s28, s48, s28
	s_addc_u32 s29, s65, 0
	s_mul_i32 s31, s28, s54
	s_mul_hi_u32 s46, s28, s58
	s_add_i32 s31, s46, s31
	s_mul_i32 s29, s29, s58
	s_add_i32 s31, s31, s29
	s_mul_i32 s28, s28, s58
	s_add_u32 s28, s28, s57
	s_addc_u32 s29, s31, s60
	s_lshl_b64 s[28:29], s[28:29], 8
	s_add_u32 s28, s4, s28
	s_addc_u32 s29, s5, s29
.LBB141_10:                             ;   in Loop: Header=BB141_6 Depth=1
	v_perm_b32 v35, v33, v32, s41
	v_perm_b32 v34, v31, v30, s41
	v_perm_b32 v37, v29, v28, s41
	v_perm_b32 v36, v27, v26, s41
	ds_write_b64 v99, v[34:35]
	ds_write_b64 v100, v[36:37]
	ds_write_b64 v103, v[34:35]
	ds_write_b64 v104, v[36:37]
	v_perm_b32 v35, v25, v24, s41
	v_perm_b32 v34, v23, v22, s41
	v_perm_b32 v37, v21, v20, s41
	v_perm_b32 v36, v19, v18, s41
	ds_write_b64 v101, v[34:35]
	ds_write_b64 v102, v[36:37]
	ds_write_b64 v105, v[34:35]
	ds_write_b64 v106, v[36:37]
	;; [unrolled: 8-line block ×4, first 2 shown]
	s_waitcnt lgkmcnt(0)
	s_barrier
	ds_read_b64 v[38:39], v115 offset:49152
	ds_read2_b64 v[34:37], v116 offset1:16
	ds_read_b64 v[50:51], v118 offset:6144
	ds_read_b64 v[52:53], v116 offset:6144
	s_waitcnt lgkmcnt(2)
	v_mfma_f32_16x16x16_bf16 a[0:3], v[38:39], v[34:35], 0
	ds_read_b64 v[54:55], v117 offset:49152
	ds_read2st64_b64 v[42:45], v119 offset0:4 offset1:8
	ds_read2st64_b64 v[46:49], v120 offset0:4 offset1:8
	v_mfma_f32_16x16x16_bf16 a[4:7], v[38:39], v[36:37], 0
	ds_read2_b64 v[34:37], v116 offset0:32 offset1:48
	s_add_i32 s31, s62, 63
	s_mul_i32 s46, s31, s39
	s_waitcnt lgkmcnt(0)
	v_mfma_f32_16x16x16_bf16 a[8:11], v[38:39], v[34:35], 0
	s_mul_hi_u32 s47, s31, s38
	s_add_i32 s47, s47, s46
	s_mul_i32 s46, s31, s38
	v_mfma_f32_16x16x16_bf16 a[12:15], v[38:39], v[36:37], 0
	ds_read2st64_b64 v[34:37], v116 offset0:4 offset1:8
	ds_read2st64_b64 v[38:41], v118 offset0:4 offset1:8
	s_lshl_b64 s[46:47], s[46:47], 2
	s_waitcnt lgkmcnt(1)
	v_mfma_f32_16x16x16_bf16 a[0:3], v[54:55], v[34:35], a[0:3]
	s_add_u32 s46, s44, s46
	s_addc_u32 s47, s45, s47
	s_and_b64 vcc, exec, s[0:1]
	s_waitcnt lgkmcnt(0)
	v_mfma_f32_16x16x16_bf16 a[4:7], v[54:55], v[38:39], a[4:7]
	v_mov_b32_e32 v148, 0
	v_mov_b32_e32 v147, 0
	;; [unrolled: 1-line block ×3, first 2 shown]
	v_mfma_f32_16x16x16_bf16 a[8:11], v[54:55], v[42:43], a[8:11]
	ds_read_b64 v[34:35], v121 offset:49152
	ds_read_b64 v[38:39], v122 offset:49152
	;; [unrolled: 1-line block ×3, first 2 shown]
	v_mfma_f32_16x16x16_bf16 a[12:15], v[54:55], v[46:47], a[12:15]
	v_mov_b32_e32 v46, 0
	v_mov_b32_e32 v47, 0
	s_waitcnt lgkmcnt(2)
	v_mfma_f32_16x16x16_bf16 a[0:3], v[34:35], v[36:37], a[0:3]
	v_mov_b32_e32 v36, 0
	v_mov_b32_e32 v37, 0
	v_mfma_f32_16x16x16_bf16 a[16:19], v[34:35], v[40:41], a[4:7]
	v_mov_b32_e32 v40, 0
	v_mov_b32_e32 v41, 0
	;; [unrolled: 3-line block ×3, first 2 shown]
	v_mfma_f32_16x16x16_bf16 a[24:27], v[34:35], v[48:49], a[12:15]
	ds_read_b64 v[34:35], v119 offset:6144
	v_mov_b32_e32 v48, 0
	v_mov_b32_e32 v49, 0
	s_waitcnt lgkmcnt(2)
	v_mfma_f32_16x16x16_bf16 a[4:7], v[38:39], v[52:53], a[0:3]
	v_mfma_f32_16x16x16_bf16 a[8:11], v[38:39], v[50:51], a[16:19]
	s_waitcnt lgkmcnt(0)
	v_mfma_f32_16x16x16_bf16 a[12:15], v[38:39], v[34:35], a[20:23]
	v_mov_b32_e32 v34, 0
	v_mov_b32_e32 v35, 0
	v_mfma_f32_16x16x16_bf16 a[0:3], v[38:39], v[42:43], a[24:27]
	v_mov_b32_e32 v38, 0
	v_mov_b32_e32 v39, 0
	;; [unrolled: 1-line block ×4, first 2 shown]
	s_cbranch_vccnz .LBB141_12
; %bb.11:                               ;   in Loop: Header=BB141_6 Depth=1
	s_and_b32 s25, s25, 0xffff
	buffer_load_dwordx4 v[46:49], v95, s[24:27], 0 offen
	buffer_load_dwordx4 v[42:45], v95, s[24:27], s61 offen
	;; [unrolled: 1-line block ×4, first 2 shown]
	v_mov_b32_e32 v147, v97
	v_mov_b32_e32 v146, v98
.LBB141_12:                             ;   in Loop: Header=BB141_6 Depth=1
	ds_read_b64 v[62:63], v115 offset:57344
	ds_read2_b64 v[50:53], v123 offset1:16
	ds_read_b64 v[66:67], v117 offset:57344
	ds_read_b64 v[68:69], v121 offset:57344
	;; [unrolled: 1-line block ×3, first 2 shown]
	v_add_u32_e32 v64, s62, v136
	s_waitcnt lgkmcnt(3)
	v_mfma_f32_16x16x16_bf16 a[4:7], v[62:63], v[50:51], a[4:7]
	v_mfma_f32_16x16x16_bf16 a[8:11], v[62:63], v[52:53], a[8:11]
	ds_read2_b64 v[50:53], v123 offset0:32 offset1:48
	ds_read2st64_b64 v[54:57], v123 offset0:4 offset1:8
	ds_read2st64_b64 v[58:61], v124 offset0:4 offset1:8
	s_waitcnt lgkmcnt(2)
	v_mfma_f32_16x16x16_bf16 a[12:15], v[62:63], v[50:51], a[12:15]
	v_ashrrev_i32_e32 v50, 31, v64
	v_mul_lo_u32 v65, v50, s38
	v_mad_u64_u32 v[50:51], s[24:25], v64, s38, 0
	v_mfma_f32_16x16x16_bf16 a[0:3], v[62:63], v[52:53], a[0:3]
	v_mul_lo_u32 v52, v64, s39
	v_add3_u32 v51, v51, v52, v65
	v_add_u32_e32 v52, 1, v64
	v_ashrrev_i32_e32 v53, 31, v52
	s_waitcnt lgkmcnt(1)
	v_mfma_f32_16x16x16_bf16 a[4:7], v[66:67], v[54:55], a[4:7]
	v_mul_lo_u32 v54, v53, s38
	v_mul_lo_u32 v55, v52, s39
	v_mad_u64_u32 v[52:53], s[24:25], v52, s38, 0
	v_add3_u32 v53, v53, v55, v54
	v_add_u32_e32 v54, 2, v64
	v_ashrrev_i32_e32 v55, 31, v54
	v_mul_lo_u32 v62, v55, s38
	v_mul_lo_u32 v63, v54, s39
	v_mad_u64_u32 v[54:55], s[24:25], v54, s38, 0
	v_add3_u32 v55, v55, v63, v62
	v_add_u32_e32 v62, 3, v64
	v_ashrrev_i32_e32 v63, 31, v62
	v_mul_lo_u32 v64, v63, s38
	v_mul_lo_u32 v65, v62, s39
	v_mad_u64_u32 v[62:63], s[24:25], v62, s38, 0
	s_add_u32 s24, s42, s62
	v_lshl_add_u64 v[50:51], v[50:51], 2, s[44:45]
	v_add3_u32 v63, v63, v65, v64
	s_addc_u32 s25, s43, 0
	v_lshl_add_u64 v[52:53], v[52:53], 2, s[44:45]
	global_load_dword v72, v[50:51], off
	v_lshl_add_u64 v[50:51], v[62:63], 2, s[44:45]
	s_lshl_b64 s[24:25], s[24:25], 8
	v_lshl_add_u64 v[54:55], v[54:55], 2, s[44:45]
	global_load_dword v73, v[52:53], off
	global_load_dword v74, v[54:55], off
	;; [unrolled: 1-line block ×3, first 2 shown]
	v_lshl_add_u64 v[50:51], v[80:81], 0, s[24:25]
	v_lshl_add_u64 v[54:55], v[50:51], 0, v[78:79]
	global_load_ushort v76, v[54:55], off offset:256
	global_load_ushort v149, v[54:55], off
	ds_read2st64_b64 v[50:53], v125 offset0:4 offset1:8
	global_load_ushort v150, v[54:55], off offset:768
	global_load_ushort v151, v[54:55], off offset:512
	ds_read2st64_b64 v[62:65], v126 offset0:4 offset1:8
	global_load_ushort v152, v[54:55], off offset:288
	global_load_ushort v153, v[54:55], off offset:32
	;; [unrolled: 1-line block ×4, first 2 shown]
	s_waitcnt lgkmcnt(2)
	v_mfma_f32_16x16x16_bf16 a[8:11], v[66:67], v[58:59], a[8:11]
	global_load_ushort v156, v[54:55], off offset:320
	global_load_ushort v157, v[54:55], off offset:64
	;; [unrolled: 1-line block ×4, first 2 shown]
	s_and_b64 vcc, exec, s[0:1]
	s_waitcnt lgkmcnt(1)
	v_mfma_f32_16x16x16_bf16 a[12:15], v[66:67], v[50:51], a[12:15]
	ds_read_b64 v[50:51], v123 offset:6144
	s_waitcnt lgkmcnt(1)
	v_mfma_f32_16x16x16_bf16 a[0:3], v[66:67], v[62:63], a[0:3]
	v_lshl_add_u64 v[62:63], v[82:83], 0, s[24:25]
	v_lshl_add_u64 v[62:63], v[62:63], 0, v[78:79]
	v_mfma_f32_16x16x16_bf16 a[4:7], v[68:69], v[56:57], a[4:7]
	v_mfma_f32_16x16x16_bf16 a[8:11], v[68:69], v[60:61], a[8:11]
	;; [unrolled: 1-line block ×4, first 2 shown]
	global_load_ushort v68, v[54:55], off offset:352
	global_load_ushort v69, v[54:55], off offset:96
	ds_read_b64 v[52:53], v124 offset:6144
	ds_read_b64 v[56:57], v125 offset:6144
	;; [unrolled: 1-line block ×3, first 2 shown]
	s_load_dword s46, s[46:47], 0x0
	global_load_ushort v160, v[54:55], off offset:864
	global_load_ushort v161, v[54:55], off offset:608
	s_waitcnt lgkmcnt(0)
	v_mfma_f32_16x16x16_bf16 a[4:7], v[70:71], v[50:51], a[4:7]
	s_waitcnt vmcnt(17)
	v_sub_f32_e32 v60, s46, v74
	v_mfma_f32_16x16x16_bf16 a[0:3], v[70:71], v[58:59], a[0:3]
	v_sub_f32_e32 v58, s46, v72
	v_sub_f32_e32 v59, s46, v73
	s_waitcnt vmcnt(16)
	v_sub_f32_e32 v61, s46, v75
	v_mfma_f32_16x16x16_bf16 a[8:11], v[70:71], v[52:53], a[8:11]
	v_exp_f32_e32 v58, v58
	v_exp_f32_e32 v59, v59
	;; [unrolled: 1-line block ×4, first 2 shown]
	v_accvgpr_read_b32 v67, a5
	s_waitcnt vmcnt(15)
	v_lshlrev_b32_e32 v65, 16, v76
	s_waitcnt vmcnt(14)
	v_lshlrev_b32_e32 v64, 16, v149
	v_accvgpr_read_b32 v66, a4
	v_accvgpr_read_b32 v51, a7
	;; [unrolled: 1-line block ×3, first 2 shown]
	v_pk_add_f32 v[64:65], v[64:65], v[66:67] neg_lo:[0,1] neg_hi:[0,1]
	s_waitcnt vmcnt(13)
	v_lshlrev_b32_e32 v67, 16, v150
	s_waitcnt vmcnt(12)
	v_lshlrev_b32_e32 v66, 16, v151
	v_pk_add_f32 v[50:51], v[66:67], v[50:51] neg_lo:[0,1] neg_hi:[0,1]
	global_store_short_d16_hi v[62:63], v64, off
	global_store_short_d16_hi v[62:63], v65, off offset:256
	global_store_short_d16_hi v[62:63], v50, off offset:512
	;; [unrolled: 1-line block ×3, first 2 shown]
	v_pk_mul_f32 v[64:65], v[58:59], v[64:65]
	v_pk_mul_f32 v[50:51], v[60:61], v[50:51]
	v_accvgpr_read_b32 v67, a9
	v_perm_b32 v64, v65, v64, s41
	v_perm_b32 v65, v51, v50, s41
	s_waitcnt vmcnt(15)
	v_lshlrev_b32_e32 v51, 16, v152
	s_waitcnt vmcnt(14)
	v_lshlrev_b32_e32 v50, 16, v153
	v_accvgpr_read_b32 v66, a8
	v_accvgpr_read_b32 v53, a11
	v_mfma_f32_16x16x16_bf16 a[12:15], v[70:71], v[56:57], a[12:15]
	v_accvgpr_read_b32 v52, a10
	v_pk_add_f32 v[50:51], v[50:51], v[66:67] neg_lo:[0,1] neg_hi:[0,1]
	s_waitcnt vmcnt(13)
	v_lshlrev_b32_e32 v67, 16, v154
	s_waitcnt vmcnt(12)
	v_lshlrev_b32_e32 v66, 16, v155
	v_pk_add_f32 v[52:53], v[66:67], v[52:53] neg_lo:[0,1] neg_hi:[0,1]
	global_store_short_d16_hi v[62:63], v50, off offset:32
	global_store_short_d16_hi v[62:63], v51, off offset:288
	;; [unrolled: 1-line block ×4, first 2 shown]
	v_pk_mul_f32 v[50:51], v[58:59], v[50:51]
	v_pk_mul_f32 v[52:53], v[60:61], v[52:53]
	v_accvgpr_read_b32 v55, a15
	v_perm_b32 v53, v53, v52, s41
	v_perm_b32 v52, v51, v50, s41
	ds_write2_b64 v100, v[64:65], v[52:53] offset1:16
	v_accvgpr_read_b32 v53, a13
	s_waitcnt vmcnt(15)
	v_lshlrev_b32_e32 v51, 16, v156
	s_waitcnt vmcnt(14)
	v_lshlrev_b32_e32 v50, 16, v157
	v_accvgpr_read_b32 v52, a12
	v_accvgpr_read_b32 v54, a14
	v_pk_add_f32 v[50:51], v[50:51], v[52:53] neg_lo:[0,1] neg_hi:[0,1]
	s_waitcnt vmcnt(13)
	v_lshlrev_b32_e32 v53, 16, v158
	s_waitcnt vmcnt(12)
	v_lshlrev_b32_e32 v52, 16, v159
	v_pk_add_f32 v[52:53], v[52:53], v[54:55] neg_lo:[0,1] neg_hi:[0,1]
	global_store_short_d16_hi v[62:63], v50, off offset:64
	global_store_short_d16_hi v[62:63], v51, off offset:320
	;; [unrolled: 1-line block ×4, first 2 shown]
	v_pk_mul_f32 v[50:51], v[58:59], v[50:51]
	v_pk_mul_f32 v[52:53], v[60:61], v[52:53]
	v_accvgpr_read_b32 v55, a1
	v_perm_b32 v50, v51, v50, s41
	v_perm_b32 v51, v53, v52, s41
	s_waitcnt vmcnt(15)
	v_lshlrev_b32_e32 v53, 16, v68
	s_waitcnt vmcnt(14)
	v_lshlrev_b32_e32 v52, 16, v69
	v_accvgpr_read_b32 v54, a0
	v_accvgpr_read_b32 v57, a3
	;; [unrolled: 1-line block ×3, first 2 shown]
	v_pk_add_f32 v[52:53], v[52:53], v[54:55] neg_lo:[0,1] neg_hi:[0,1]
	s_waitcnt vmcnt(13)
	v_lshlrev_b32_e32 v55, 16, v160
	s_waitcnt vmcnt(12)
	v_lshlrev_b32_e32 v54, 16, v161
	v_pk_add_f32 v[54:55], v[54:55], v[56:57] neg_lo:[0,1] neg_hi:[0,1]
	global_store_short_d16_hi v[62:63], v52, off offset:96
	global_store_short_d16_hi v[62:63], v53, off offset:352
	;; [unrolled: 1-line block ×4, first 2 shown]
	v_pk_mul_f32 v[52:53], v[58:59], v[52:53]
	v_pk_mul_f32 v[54:55], v[60:61], v[54:55]
	v_mov_b32_e32 v149, 0
	v_perm_b32 v55, v55, v54, s41
	v_perm_b32 v54, v53, v52, s41
	ds_write2_b64 v100, v[50:51], v[54:55] offset0:32 offset1:48
	v_mov_b32_e32 v50, 0
	v_mov_b32_e32 v51, 0
	;; [unrolled: 1-line block ×16, first 2 shown]
	s_cbranch_vccnz .LBB141_14
; %bb.13:                               ;   in Loop: Header=BB141_6 Depth=1
	s_and_b32 s29, s29, 0xffff
	s_mov_b32 s31, s27
	buffer_load_dwordx4 v[62:65], v133, s[28:31], 0 offen
	buffer_load_dwordx4 v[54:57], v133, s[28:31], s61 offen
	;; [unrolled: 1-line block ×4, first 2 shown]
	v_mov_b32_e32 v148, v94
	v_mov_b32_e32 v149, v93
.LBB141_14:                             ;   in Loop: Header=BB141_6 Depth=1
	s_waitcnt lgkmcnt(0)
	s_barrier
	ds_read_b64 v[74:75], v138
	ds_read2_b64 v[66:69], v129 offset1:16
	ds_read_b64 v[166:167], v139
	ds_read_b64 v[168:169], v140
	;; [unrolled: 1-line block ×3, first 2 shown]
	ds_read2_b64 v[70:73], v129 offset0:32 offset1:48
	ds_read2st64_b64 v[150:153], v129 offset0:4 offset1:8
	ds_read2st64_b64 v[154:157], v130 offset0:4 offset1:8
	;; [unrolled: 1-line block ×4, first 2 shown]
	s_waitcnt lgkmcnt(8)
	v_mfma_f32_16x16x16_bf16 a[0:3], v[74:75], v[66:67], 0
	s_add_i32 s24, s55, s69
	s_mul_hi_i32 s25, s24, s13
	s_mul_i32 s24, s24, s13
	v_mfma_f32_16x16x16_bf16 a[4:7], v[74:75], v[68:69], 0
	s_add_u32 s24, s24, s33
	s_addc_u32 s25, s25, s59
	s_add_i32 s28, s3, s62
	s_waitcnt lgkmcnt(4)
	v_mfma_f32_16x16x16_bf16 a[8:11], v[74:75], v[70:71], 0
	s_lshl_b64 s[24:25], s[24:25], 15
	s_mul_hi_i32 s29, s28, s13
	s_mul_i32 s28, s28, s13
	v_mfma_f32_16x16x16_bf16 a[12:15], v[74:75], v[72:73], 0
	ds_read_b64 v[74:75], v129 offset:6144
	ds_read_b64 v[178:179], v130 offset:6144
	;; [unrolled: 1-line block ×4, first 2 shown]
	s_add_u32 s28, s28, s33
	s_waitcnt lgkmcnt(7)
	v_mfma_f32_16x16x16_bf16 a[0:3], v[166:167], v[150:151], a[0:3]
	s_addc_u32 s29, s29, s59
	s_lshl_b64 s[28:29], s[28:29], 9
	s_add_u32 s28, s36, s28
	s_waitcnt lgkmcnt(6)
	v_mfma_f32_16x16x16_bf16 a[4:7], v[166:167], v[154:155], a[4:7]
	s_addc_u32 s29, s37, s29
	v_lshl_add_u64 v[188:189], v[84:85], 0, s[24:25]
	s_waitcnt lgkmcnt(5)
	v_mfma_f32_16x16x16_bf16 a[8:11], v[166:167], v[158:159], a[8:11]
	s_waitcnt lgkmcnt(4)
	v_mfma_f32_16x16x16_bf16 a[12:15], v[166:167], v[162:163], a[12:15]
	ds_read_b64 v[166:167], v143
	ds_read_b64 v[176:177], v144
	;; [unrolled: 1-line block ×3, first 2 shown]
	s_waitcnt lgkmcnt(2)
	v_mfma_f32_16x16x16_bf16 a[16:19], v[166:167], v[66:67], 0
	v_mfma_f32_16x16x16_bf16 a[20:23], v[166:167], v[68:69], 0
	global_load_dwordx4 v[66:69], v142, s[28:29]
	v_mfma_f32_16x16x16_bf16 a[24:27], v[166:167], v[70:71], 0
	v_mfma_f32_16x16x16_bf16 a[28:31], v[166:167], v[72:73], 0
	global_load_dwordx4 v[70:73], v137, s[28:29]
	v_mfma_f32_16x16x16_bf16 a[0:3], v[168:169], v[152:153], a[0:3]
	v_mfma_f32_16x16x16_bf16 a[4:7], v[168:169], v[156:157], a[4:7]
	;; [unrolled: 1-line block ×8, first 2 shown]
	ds_read2st64_b64 v[166:169], v127 offset1:8
	ds_read2st64_b64 v[170:173], v128 offset1:8
	ds_read_b64 v[186:187], v135 offset:40960
	s_waitcnt lgkmcnt(2)
	v_mov_b32_e32 v174, v166
	v_mfma_f32_16x16x16_bf16 a[16:19], v[176:177], v[150:151], a[16:19]
	v_mov_b32_e32 v175, v167
	v_mfma_f32_16x16x16_bf16 a[20:23], v[176:177], v[154:155], a[20:23]
	v_mfma_f32_16x16x16_bf16 a[24:27], v[176:177], v[158:159], a[24:27]
	;; [unrolled: 1-line block ×3, first 2 shown]
	v_add_co_u32_e32 v162, vcc, s66, v188
	s_waitcnt lgkmcnt(1)
	v_mov_b32_e32 v176, v170
	s_waitcnt lgkmcnt(0)
	v_mfma_f32_16x16x16_bf16 a[16:19], v[186:187], v[152:153], a[16:19]
	ds_read2st64_b64 v[150:153], v127 offset0:16 offset1:24
	v_addc_co_u32_e32 v163, vcc, 0, v189, vcc
	v_mfma_f32_16x16x16_bf16 a[32:35], v[186:187], v[156:157], a[20:23]
	ds_read2st64_b64 v[154:157], v128 offset0:16 offset1:24
	v_mov_b32_e32 v177, v171
	v_mov_b32_e32 v170, v168
	v_mfma_f32_16x16x16_bf16 a[24:27], v[186:187], v[160:161], a[24:27]
	v_mov_b32_e32 v171, v169
	s_waitcnt lgkmcnt(0)
	v_mov_b32_e32 v160, v154
	v_mov_b32_e32 v161, v155
	v_mfma_f32_16x16x16_bf16 a[36:39], v[186:187], v[164:165], a[28:31]
	v_mov_b32_e32 v154, v152
	v_mov_b32_e32 v155, v153
	;; [unrolled: 1-line block ×3, first 2 shown]
	v_mfma_f32_16x16x16_bf16 a[20:23], v[184:185], v[74:75], a[16:19]
	v_add_co_u32_e32 v74, vcc, s67, v188
	v_mov_b32_e32 v159, v151
	v_mfma_f32_16x16x16_bf16 a[28:31], v[184:185], v[178:179], a[32:35]
	v_addc_co_u32_e32 v75, vcc, 0, v189, vcc
	global_store_dwordx4 v[74:75], v[154:157], off
	v_mfma_f32_16x16x16_bf16 a[16:19], v[184:185], v[180:181], a[24:27]
	s_waitcnt vmcnt(2)
	v_mov_b32_e32 v76, v69
	v_mov_b32_e32 v75, v68
	;; [unrolled: 1-line block ×3, first 2 shown]
	v_mfma_f32_16x16x16_bf16 a[24:27], v[184:185], v[182:183], a[36:39]
	s_and_b64 vcc, exec, s[0:1]
	global_store_dwordx4 v[188:189], v[174:177], off
	global_store_dwordx4 v[162:163], v[170:173], off offset:-4096
	global_store_dwordx4 v[162:163], v[158:161], off
	s_cbranch_vccnz .LBB141_16
; %bb.15:                               ;   in Loop: Header=BB141_6 Depth=1
	v_lshrrev_b32_e32 v67, 3, v148
	v_and_b32_e32 v67, 6, v67
	v_xor_b32_e32 v68, v67, v149
	v_lshlrev_b32_e32 v68, 2, v68
	v_and_b32_e32 v69, 8, v148
	v_xor_b32_e32 v148, 0x440, v68
	v_cmp_eq_u32_e32 vcc, 0, v69
	v_perm_b32 v69, v54, v50, s63
	s_nop 0
	v_cndmask_b32_e32 v68, v148, v68, vcc
	v_lshl_or_b32 v67, v67, 10, v68
	v_perm_b32 v68, v62, v58, s63
	s_barrier
	ds_write2st64_b32 v67, v68, v69 offset0:128 offset1:160
	v_xor_b32_e32 v68, 8, v67
	v_perm_b32 v58, v62, v58, s64
	v_perm_b32 v50, v54, v50, s64
	v_add_u32_e32 v54, 0x80, v68
	ds_write2st64_b32 v54, v58, v50 offset0:128 offset1:160
	v_xor_b32_e32 v50, 16, v67
	v_perm_b32 v54, v63, v59, s63
	v_perm_b32 v58, v55, v51, s63
	ds_write2st64_b32 v50, v54, v58 offset0:129 offset1:161
	v_xor_b32_e32 v50, 24, v67
	v_perm_b32 v54, v63, v59, s64
	v_perm_b32 v51, v55, v51, s64
	v_add_u32_e32 v50, 0x80, v50
	ds_write2st64_b32 v50, v54, v51 offset0:129 offset1:161
	v_xor_b32_e32 v50, 32, v67
	v_perm_b32 v51, v64, v60, s63
	v_perm_b32 v54, v56, v52, s63
	;; [unrolled: 9-line block ×3, first 2 shown]
	ds_write2st64_b32 v50, v51, v52 offset0:131 offset1:163
	v_xor_b32_e32 v50, 56, v67
	v_perm_b32 v51, v65, v61, s64
	v_perm_b32 v52, v57, v53, s64
	v_add_u32_e32 v50, 0x80, v50
	ds_write2st64_b32 v50, v51, v52 offset0:131 offset1:163
	ds_write_b64 v147, v[46:47] offset:49152
	v_xor_b32_e32 v46, 8, v147
	ds_write_b64 v46, v[48:49] offset:49152
	ds_write_b64 v147, v[42:43] offset:57344
	;; [unrolled: 1-line block ×4, first 2 shown]
	v_xor_b32_e32 v38, 8, v146
	ds_write_b64 v38, v[40:41] offset:49152
	ds_write_b64 v146, v[34:35] offset:57344
	;; [unrolled: 1-line block ×3, first 2 shown]
.LBB141_16:                             ;   in Loop: Header=BB141_6 Depth=1
	v_exp_f32_e32 v68, s46
	s_waitcnt vmcnt(4)
	v_exp_f32_e32 v70, v70
	v_exp_f32_e32 v71, v71
	;; [unrolled: 1-line block ×4, first 2 shown]
	v_accvgpr_read_b32 v37, a3
	v_accvgpr_read_b32 v36, a2
	;; [unrolled: 1-line block ×4, first 2 shown]
	v_pk_mul_f32 v[70:71], v[68:69], v[70:71] op_sel_hi:[0,1]
	v_pk_mul_f32 v[72:73], v[68:69], v[72:73] op_sel_hi:[0,1]
	v_pk_fma_f32 v[30:31], v[30:31], v[70:71], v[34:35]
	v_pk_fma_f32 v[32:33], v[32:33], v[72:73], v[36:37]
	v_exp_f32_e32 v34, v66
	v_exp_f32_e32 v35, v74
	v_exp_f32_e32 v36, v75
	v_exp_f32_e32 v37, v76
	v_accvgpr_read_b32 v41, a7
	v_accvgpr_read_b32 v45, a11
	;; [unrolled: 1-line block ×28, first 2 shown]
	v_pk_mul_f32 v[34:35], v[68:69], v[34:35] op_sel_hi:[0,1]
	v_pk_mul_f32 v[36:37], v[68:69], v[36:37] op_sel_hi:[0,1]
	s_add_i32 s62, s62, 64
	v_pk_fma_f32 v[22:23], v[70:71], v[22:23], v[38:39]
	v_pk_fma_f32 v[24:25], v[72:73], v[24:25], v[40:41]
	;; [unrolled: 1-line block ×13, first 2 shown]
	s_cmp_eq_u32 s53, s68
	v_pk_fma_f32 v[8:9], v[36:37], v[8:9], v[64:65]
	s_cbranch_scc1 .LBB141_18
; %bb.17:                               ;   in Loop: Header=BB141_6 Depth=1
	s_mov_b32 s69, s68
	s_branch .LBB141_6
.LBB141_18:
	s_lshl_b32 s46, s53, 6
	s_sub_i32 s47, s12, s46
	s_cmp_gt_i32 s47, 0
	v_or_b32_e32 v50, s2, v89
	s_cbranch_scc1 .LBB141_20
; %bb.19:
	s_ashr_i32 s0, s33, 31
	s_add_u32 s28, s50, s33
	s_addc_u32 s29, s56, s0
	v_or_b32_e32 v34, s2, v89
	s_cbranch_execz .LBB141_21
	s_branch .LBB141_101
.LBB141_20:
                                        ; implicit-def: $sgpr28_sgpr29
                                        ; implicit-def: $vgpr34
.LBB141_21:
	s_ashr_i32 s41, s52, 31
	s_ashr_i32 s3, s46, 31
	s_cmpk_lg_i32 s15, 0x80
	s_cselect_b64 s[42:43], -1, 0
	s_and_b64 vcc, exec, s[42:43]
	s_cbranch_vccz .LBB141_23
; %bb.22:
	s_mul_hi_i32 s0, s52, s12
	s_add_u32 s1, s48, s46
	s_addc_u32 s0, s0, s3
	s_mul_i32 s24, s1, s54
	s_mul_hi_u32 s25, s1, s14
	s_add_i32 s24, s25, s24
	s_mul_i32 s0, s0, s14
	s_add_i32 s24, s24, s0
	s_mul_i32 s1, s1, s14
	s_ashr_i32 s0, s57, 31
	s_add_u32 s44, s1, s57
	s_addc_u32 s45, s24, s0
	s_cbranch_execz .LBB141_24
	s_branch .LBB141_25
.LBB141_23:
                                        ; implicit-def: $sgpr44_sgpr45
.LBB141_24:
	s_mul_hi_i32 s0, s52, s14
	s_mul_i32 s52, s52, s14
	s_ashr_i32 s1, s57, 31
	s_add_u32 s14, s52, s57
	s_addc_u32 s0, s0, s1
	s_mul_i32 s1, s14, s51
	s_mul_hi_u32 s24, s14, s12
	s_add_i32 s1, s24, s1
	s_mul_i32 s0, s0, s12
	s_add_i32 s1, s1, s0
	s_mul_i32 s14, s14, s12
	s_add_u32 s44, s14, s46
	s_addc_u32 s45, s1, s3
.LBB141_25:
	s_add_i32 s24, s55, s53
	s_ashr_i32 s14, s33, 31
	s_add_u32 s28, s50, s33
	s_addc_u32 s29, s56, s14
	s_mul_i32 s0, s28, s51
	s_mul_hi_u32 s1, s28, s12
	s_add_i32 s0, s1, s0
	s_mul_i32 s1, s29, s12
	s_add_i32 s1, s0, s1
	s_mul_i32 s0, s28, s12
	s_add_u32 s0, s0, s46
	v_lshlrev_b32_e32 v38, 6, v1
	v_lshlrev_b32_e32 v59, 2, v89
	s_addc_u32 s1, s1, s3
	s_mov_b32 s3, 0x7060302
	v_or_b32_e32 v41, v38, v59
	v_xor_b32_e32 v39, v1, v59
	v_perm_b32 v35, v33, v32, s3
	v_perm_b32 v34, v31, v30, s3
	;; [unrolled: 1-line block ×4, first 2 shown]
	v_lshlrev_b32_e32 v41, 1, v41
	v_xor_b32_e32 v40, v92, v59
	ds_write2st64_b64 v41, v[34:35], v[36:37] offset0:32 offset1:48
	v_lshlrev_b32_e32 v39, 1, v39
	v_lshlrev_b32_e32 v41, 8, v89
	v_or_b32_e32 v42, v39, v41
	v_lshlrev_b32_e32 v40, 1, v40
	ds_write_b64 v42, v[34:35]
	v_or_b32_e32 v34, v40, v41
	v_or_b32_e32 v41, 16, v89
	v_lshlrev_b32_e32 v57, 2, v41
	v_or_b32_e32 v42, v38, v57
	ds_write_b64 v34, v[36:37]
	v_perm_b32 v35, v25, v24, s3
	v_perm_b32 v34, v23, v22, s3
	;; [unrolled: 1-line block ×4, first 2 shown]
	v_lshlrev_b32_e32 v42, 1, v42
	v_lshlrev_b32_e32 v41, 8, v41
	ds_write2st64_b64 v42, v[34:35], v[36:37] offset0:32 offset1:48
	v_or_b32_e32 v42, v39, v41
	ds_write_b64 v42, v[34:35]
	v_or_b32_e32 v34, v40, v41
	v_or_b32_e32 v41, 32, v89
	v_lshlrev_b32_e32 v56, 2, v41
	v_or_b32_e32 v42, v38, v56
	ds_write_b64 v34, v[36:37]
	v_perm_b32 v35, v17, v16, s3
	v_perm_b32 v34, v15, v14, s3
	;; [unrolled: 1-line block ×4, first 2 shown]
	v_lshlrev_b32_e32 v42, 1, v42
	v_lshlrev_b32_e32 v41, 8, v41
	s_lshl_b64 s[30:31], s[0:1], 8
	ds_write2st64_b64 v42, v[34:35], v[36:37] offset0:32 offset1:48
	v_or_b32_e32 v42, v39, v41
	s_add_u32 s0, s6, s30
	ds_write_b64 v42, v[34:35]
	v_or_b32_e32 v34, v40, v41
	s_addc_u32 s1, s7, s31
	ds_write_b64 v34, v[36:37]
	v_perm_b32 v35, v5, v4, s3
	v_perm_b32 v34, v3, v2, s3
	;; [unrolled: 1-line block ×4, first 2 shown]
	v_or_b32_e32 v41, 48, v89
	s_mul_hi_i32 s3, s24, s13
	s_mul_i32 s24, s24, s13
	v_lshlrev_b32_e32 v53, 2, v41
	s_add_u32 s6, s24, s33
	v_or_b32_e32 v38, v38, v53
	s_addc_u32 s7, s3, s14
	v_lshlrev_b32_e32 v38, 1, v38
	s_ashr_i32 s3, s2, 31
	s_lshl_b64 s[6:7], s[6:7], 15
	ds_write2st64_b64 v38, v[34:35], v[36:37] offset0:32 offset1:48
	v_lshlrev_b32_e32 v38, 8, v41
	s_add_u32 s6, s16, s6
	v_or_b32_e32 v39, v39, v38
	s_addc_u32 s7, s17, s7
	s_lshl_b64 s[2:3], s[2:3], 8
	ds_write_b64 v39, v[34:35]
	v_or_b32_e32 v34, v40, v38
	s_add_u32 s2, s6, s2
	v_lshlrev_b32_e32 v35, 1, v89
	ds_write_b64 v34, v[36:37]
	v_lshrrev_b32_e32 v34, 4, v0
	s_addc_u32 s3, s7, s3
	v_or_b32_e32 v36, 1, v35
	v_lshlrev_b32_e32 v42, 4, v89
	v_mov_b32_e32 v43, 0
	v_xor_b32_e32 v35, v34, v35
	v_xor_b32_e32 v38, v36, v34
	v_lshl_add_u64 v[44:45], s[2:3], 0, v[42:43]
	v_lshlrev_b32_e32 v42, 8, v34
	v_lshl_or_b32 v48, v35, 3, v42
	v_lshl_or_b32 v49, v38, 3, v42
	s_waitcnt lgkmcnt(0)
	s_barrier
	ds_read2st64_b64 v[34:37], v48 offset1:8
	ds_read2st64_b64 v[38:41], v49 offset1:8
	v_lshl_add_u64 v[46:47], v[44:45], 0, v[42:43]
	s_movk_i32 s2, 0x2000
	s_cmp_lg_u32 s47, 64
	s_waitcnt lgkmcnt(1)
	v_mov_b32_e32 v42, v34
	v_mov_b32_e32 v43, v35
	s_waitcnt lgkmcnt(0)
	v_mov_b32_e32 v44, v38
	v_mov_b32_e32 v45, v39
	global_store_dwordx4 v[46:47], v[42:45], off
	v_mov_b32_e32 v38, v36
	v_mov_b32_e32 v39, v37
	ds_read2st64_b64 v[34:37], v48 offset0:16 offset1:24
	ds_read2st64_b64 v[42:45], v49 offset0:16 offset1:24
	v_add_co_u32_e32 v48, vcc, s2, v46
	s_cselect_b64 s[6:7], -1, 0
	s_nop 0
	v_addc_co_u32_e32 v49, vcc, 0, v47, vcc
	global_store_dwordx4 v[48:49], v[38:41], off offset:-4096
	v_lshl_or_b32 v51, v77, 3, v91
	s_mov_b32 s24, 0
	s_waitcnt lgkmcnt(1)
	v_mov_b32_e32 v38, v34
	v_add_co_u32_e32 v34, vcc, 0x3000, v46
	v_mov_b32_e32 v39, v35
	s_nop 0
	v_addc_co_u32_e32 v35, vcc, 0, v47, vcc
	s_waitcnt lgkmcnt(0)
	v_mov_b32_e32 v40, v42
	v_mov_b32_e32 v41, v43
	;; [unrolled: 1-line block ×4, first 2 shown]
	v_or_b32_e32 v54, 32, v51
	v_and_b32_e32 v52, 56, v90
	s_and_b64 vcc, exec, s[6:7]
	global_store_dwordx4 v[48:49], v[38:41], off
	global_store_dwordx4 v[34:35], v[42:45], off
	s_cbranch_vccz .LBB141_31
; %bb.26:
	s_mov_b32 s26, s24
	s_mov_b32 s27, s24
	;; [unrolled: 1-line block ×3, first 2 shown]
	v_mov_b64_e32 v[40:41], s[26:27]
	v_mov_b64_e32 v[38:39], s[24:25]
	;; [unrolled: 1-line block ×3, first 2 shown]
	v_cmp_gt_i32_e32 vcc, s47, v51
	v_mov_b64_e32 v[36:37], v[40:41]
	s_and_saveexec_b64 s[2:3], vcc
	s_cbranch_execz .LBB141_28
; %bb.27:
	v_lshlrev_b32_e32 v34, 8, v51
	v_mov_b32_e32 v35, 0
	v_lshl_add_u64 v[36:37], s[0:1], 0, v[34:35]
	v_lshlrev_b32_e32 v34, 1, v52
	v_lshl_add_u64 v[42:43], v[36:37], 0, v[34:35]
	global_load_dwordx4 v[38:41], v[42:43], off
	global_load_dwordx4 v[34:37], v[42:43], off offset:128
.LBB141_28:
	s_or_b64 exec, exec, s[2:3]
	s_mov_b32 s26, s24
	s_mov_b32 s27, s24
	;; [unrolled: 1-line block ×3, first 2 shown]
	v_mov_b64_e32 v[48:49], s[26:27]
	v_mov_b64_e32 v[46:47], s[24:25]
	;; [unrolled: 1-line block ×3, first 2 shown]
	v_cmp_gt_i32_e32 vcc, s47, v54
	v_lshlrev_b32_e32 v55, 7, v54
	v_mov_b64_e32 v[44:45], v[48:49]
	s_and_saveexec_b64 s[2:3], vcc
	s_cbranch_execz .LBB141_30
; %bb.29:
	v_lshlrev_b32_e32 v42, 1, v55
	v_mov_b32_e32 v43, 0
	v_lshl_add_u64 v[44:45], s[0:1], 0, v[42:43]
	v_lshlrev_b32_e32 v42, 1, v52
	v_lshl_add_u64 v[60:61], v[44:45], 0, v[42:43]
	global_load_dwordx4 v[46:49], v[60:61], off
	global_load_dwordx4 v[42:45], v[60:61], off offset:128
.LBB141_30:
	s_or_b64 exec, exec, s[2:3]
	v_lshrrev_b32_e32 v58, 3, v52
	v_lshlrev_b32_e32 v60, 3, v51
	v_or_b32_e32 v58, v60, v58
	v_lshlrev_b32_e32 v58, 4, v58
	v_and_b32_e32 v60, 0x78, v60
	v_xor_b32_e32 v58, v58, v60
	s_branch .LBB141_33
.LBB141_31:
                                        ; implicit-def: $vgpr58
                                        ; implicit-def: $vgpr55
                                        ; implicit-def: $vgpr38_vgpr39_vgpr40_vgpr41
                                        ; implicit-def: $vgpr34_vgpr35_vgpr36_vgpr37
                                        ; implicit-def: $vgpr46_vgpr47_vgpr48_vgpr49
                                        ; implicit-def: $vgpr42_vgpr43_vgpr44_vgpr45
	s_cbranch_execz .LBB141_33
; %bb.32:
	s_waitcnt vmcnt(0)
	v_lshlrev_b32_e32 v34, 1, v52
	v_lshl_or_b32 v55, v51, 8, v34
	s_and_b32 s1, s1, 0xffff
	s_mov_b32 s3, 0x20000
	s_movk_i32 s2, 0x4000
	v_lshl_or_b32 v58, v54, 8, v34
	s_movk_i32 s16, 0x80
	buffer_load_dwordx4 v[38:41], v55, s[0:3], 0 offen
	buffer_load_dwordx4 v[34:37], v55, s[0:3], s16 offen
	;; [unrolled: 1-line block ×4, first 2 shown]
	v_lshrrev_b32_e32 v55, 3, v52
	v_lshlrev_b32_e32 v58, 3, v51
	v_or_b32_e32 v55, v58, v55
	v_lshlrev_b32_e32 v55, 4, v55
	v_and_b32_e32 v58, 0x78, v58
	v_xor_b32_e32 v58, v55, v58
	v_lshlrev_b32_e32 v55, 7, v54
.LBB141_33:
	s_movk_i32 s0, 0x1000
	v_and_or_b32 v54, v55, s0, v58
	s_waitcnt vmcnt(1)
	ds_write_b64 v58, v[38:39] offset:49152
	v_xor_b32_e32 v38, 8, v58
	ds_write_b64 v38, v[40:41] offset:49152
	s_waitcnt vmcnt(0)
	ds_write_b64 v58, v[34:35] offset:57344
	ds_write_b64 v38, v[36:37] offset:57344
	;; [unrolled: 1-line block ×3, first 2 shown]
	v_xor_b32_e32 v34, 8, v54
	ds_write_b64 v34, v[48:49] offset:49152
	ds_write_b64 v54, v[42:43] offset:57344
	;; [unrolled: 1-line block ×3, first 2 shown]
	v_or_b32_e32 v34, v86, v89
	v_lshlrev_b32_e32 v34, 3, v34
	v_lshrrev_b32_e32 v35, 5, v87
	s_movk_i32 s0, 0xf8
	v_and_or_b32 v35, v34, s0, v35
	v_lshlrev_b32_e32 v39, 4, v35
	v_lshlrev_b32_e32 v58, 11, v77
	v_and_b32_e32 v40, 0x78, v34
	v_or_b32_e32 v42, 32, v39
	v_and_b32_e32 v38, 0x1000, v58
	v_lshrrev_b32_e32 v35, 1, v87
	v_xor_b32_e32 v42, v42, v40
	v_xor_b32_e32 v34, v39, v40
	v_and_b32_e32 v41, 8, v35
	v_or_b32_e32 v42, v42, v38
	v_or_b32_e32 v34, v34, v38
	v_xor_b32_e32 v65, v42, v41
	v_or_b32_e32 v42, 64, v39
	v_xor_b32_e32 v64, v34, v41
	v_xor_b32_e32 v42, v42, v40
	s_waitcnt lgkmcnt(0)
	s_barrier
	v_or_b32_e32 v45, v42, v38
	ds_read_b64 v[42:43], v64 offset:49152
	v_lshl_or_b32 v46, v88, 8, v59
	v_lshlrev_b32_e32 v60, 1, v46
	v_add_u32_e32 v44, 0x4000, v60
	ds_read2_b64 v[34:37], v44 offset1:16
	v_or_b32_e32 v39, 0x60, v39
	v_xor_b32_e32 v39, v39, v40
	v_or_b32_e32 v38, v39, v38
	v_xor_b32_e32 v66, v45, v41
	v_xor_b32_e32 v67, v38, v41
	ds_read_b64 v[54:55], v65 offset:49152
	ds_read_b64 v[68:69], v66 offset:49152
	ds_read_b64 v[70:71], v67 offset:49152
	s_waitcnt lgkmcnt(3)
	v_mfma_f32_16x16x16_bf16 a[0:3], v[42:43], v[34:35], 0
	ds_read2_b64 v[38:41], v44 offset0:32 offset1:48
	s_lshl_b64 s[0:1], s[44:45], 8
	s_add_u32 s4, s4, s0
	v_mfma_f32_16x16x16_bf16 a[4:7], v[42:43], v[36:37], 0
	ds_read2st64_b64 v[34:37], v60 offset0:36 offset1:40
	s_addc_u32 s5, s5, s1
	s_add_i32 s16, s12, -1
	s_waitcnt lgkmcnt(1)
	v_mfma_f32_16x16x16_bf16 a[8:11], v[42:43], v[38:39], 0
	v_or_b32_e32 v38, 64, v46
	v_lshlrev_b32_e32 v61, 1, v38
	s_add_i32 s0, s49, s21
	s_waitcnt lgkmcnt(0)
	v_mfma_f32_16x16x16_bf16 a[0:3], v[54:55], v[34:35], a[0:3]
	v_or_b32_e32 v34, 0x80, v46
	v_lshlrev_b32_e32 v62, 1, v34
	v_or_b32_e32 v34, 0xc0, v46
	v_mfma_f32_16x16x16_bf16 a[12:15], v[42:43], v[40:41], 0
	ds_read2st64_b64 v[38:41], v61 offset0:36 offset1:40
	v_lshlrev_b32_e32 v63, 1, v34
	ds_read2st64_b64 v[42:45], v62 offset0:36 offset1:40
	ds_read2st64_b64 v[46:49], v63 offset0:36 offset1:40
	s_mul_i32 s41, s41, s20
	s_add_i32 s41, s0, s41
	s_mul_i32 s0, s33, s23
	s_mul_hi_u32 s1, s33, s22
	s_ashr_i32 s2, s16, 31
	s_mul_i32 s3, s16, s39
	s_mul_hi_u32 s12, s16, s38
	s_waitcnt lgkmcnt(2)
	v_mfma_f32_16x16x16_bf16 a[4:7], v[54:55], v[38:39], a[4:7]
	s_add_i32 s0, s1, s0
	s_mul_i32 s1, s14, s22
	s_add_i32 s3, s12, s3
	s_mul_i32 s2, s2, s38
	s_waitcnt lgkmcnt(1)
	v_mfma_f32_16x16x16_bf16 a[8:11], v[54:55], v[42:43], a[8:11]
	s_add_i32 s1, s0, s1
	s_add_i32 s3, s3, s2
	s_lshl_b64 s[20:21], s[40:41], 2
	s_waitcnt lgkmcnt(0)
	v_mfma_f32_16x16x16_bf16 a[12:15], v[54:55], v[46:47], a[12:15]
	s_mul_i32 s0, s33, s22
	s_add_u32 s10, s10, s20
	s_addc_u32 s11, s11, s21
	s_lshl_b64 s[0:1], s[0:1], 2
	v_mfma_f32_16x16x16_bf16 a[0:3], v[68:69], v[36:37], a[0:3]
	s_mul_i32 s2, s16, s38
	ds_read_b64 v[34:35], v60 offset:22528
	s_add_u32 s10, s10, s0
	v_mfma_f32_16x16x16_bf16 a[4:7], v[68:69], v[40:41], a[4:7]
	ds_read_b64 v[36:37], v61 offset:22528
	ds_read_b64 v[38:39], v62 offset:22528
	;; [unrolled: 1-line block ×3, first 2 shown]
	s_addc_u32 s11, s11, s1
	s_lshl_b64 s[0:1], s[2:3], 2
	v_mfma_f32_16x16x16_bf16 a[8:11], v[68:69], v[44:45], a[8:11]
	s_add_u32 s0, s10, s0
	s_addc_u32 s1, s11, s1
	s_load_dword s12, s[0:1], 0x0
	v_mfma_f32_16x16x16_bf16 a[12:15], v[68:69], v[48:49], a[12:15]
	s_and_b64 vcc, exec, s[42:43]
	s_waitcnt lgkmcnt(0)
	v_mfma_f32_16x16x16_bf16 a[0:3], v[70:71], v[34:35], a[0:3]
	v_mfma_f32_16x16x16_bf16 a[4:7], v[70:71], v[36:37], a[4:7]
	;; [unrolled: 1-line block ×4, first 2 shown]
	s_cbranch_vccz .LBB141_44
; %bb.34:
	v_lshlrev_b32_e32 v54, 1, v51
	s_and_b64 vcc, exec, s[6:7]
	s_cbranch_vccz .LBB141_45
; %bb.35:
	v_cmp_gt_i32_e32 vcc, s47, v54
	v_mov_b32_e32 v38, 0
	v_mov_b32_e32 v34, 0
	;; [unrolled: 1-line block ×5, first 2 shown]
	s_and_saveexec_b64 s[0:1], vcc
	s_cbranch_execz .LBB141_37
; %bb.36:
	v_mad_i64_i32 v[34:35], s[2:3], s15, v54, 0
	v_lshl_add_u64 v[34:35], v[34:35], 1, s[4:5]
	v_lshlrev_b32_e32 v36, 1, v52
	v_mov_b32_e32 v37, 0
	v_lshl_add_u64 v[34:35], v[34:35], 0, v[36:37]
	global_load_dwordx4 v[34:37], v[34:35], off
.LBB141_37:
	s_or_b64 exec, exec, s[0:1]
	v_or_b32_e32 v55, 1, v54
	v_cmp_gt_i32_e64 s[0:1], s47, v55
	v_mov_b32_e32 v39, 0
	v_mov_b32_e32 v40, 0
	;; [unrolled: 1-line block ×3, first 2 shown]
	s_and_saveexec_b64 s[2:3], s[0:1]
	s_cbranch_execz .LBB141_39
; %bb.38:
	v_mad_i64_i32 v[38:39], s[20:21], s15, v55, 0
	v_lshl_add_u64 v[38:39], v[38:39], 1, s[4:5]
	v_lshlrev_b32_e32 v40, 1, v52
	v_mov_b32_e32 v41, 0
	v_lshl_add_u64 v[38:39], v[38:39], 0, v[40:41]
	global_load_dwordx4 v[38:41], v[38:39], off
.LBB141_39:
	s_or_b64 exec, exec, s[2:3]
	v_mov_b32_e32 v49, 0
	v_mov_b32_e32 v42, 0
	;; [unrolled: 1-line block ×5, first 2 shown]
	s_and_saveexec_b64 s[2:3], vcc
	s_cbranch_execz .LBB141_41
; %bb.40:
	v_mad_i64_i32 v[42:43], s[20:21], s15, v54, 0
	v_lshl_add_u64 v[42:43], v[42:43], 1, s[4:5]
	v_lshlrev_b32_e32 v44, 1, v52
	v_mov_b32_e32 v45, 0
	v_lshl_add_u64 v[42:43], v[42:43], 0, v[44:45]
	global_load_dwordx4 v[42:45], v[42:43], off offset:128
.LBB141_41:
	s_or_b64 exec, exec, s[2:3]
	v_mov_b32_e32 v48, 0
	v_mov_b32_e32 v47, 0
	;; [unrolled: 1-line block ×3, first 2 shown]
	s_and_saveexec_b64 s[2:3], s[0:1]
	s_cbranch_execz .LBB141_43
; %bb.42:
	v_mad_i64_i32 v[46:47], s[0:1], s15, v55, 0
	v_lshl_add_u64 v[46:47], v[46:47], 1, s[4:5]
	v_lshlrev_b32_e32 v48, 1, v52
	v_mov_b32_e32 v49, 0
	v_lshl_add_u64 v[46:47], v[46:47], 0, v[48:49]
	global_load_dwordx4 v[46:49], v[46:47], off offset:128
.LBB141_43:
	s_or_b64 exec, exec, s[2:3]
	s_branch .LBB141_47
.LBB141_44:
                                        ; implicit-def: $vgpr37
                                        ; implicit-def: $vgpr41
                                        ; implicit-def: $vgpr45
                                        ; implicit-def: $vgpr49
	v_lshrrev_b32_e32 v68, 2, v87
	s_branch .LBB141_48
.LBB141_45:
                                        ; implicit-def: $vgpr37
                                        ; implicit-def: $vgpr41
                                        ; implicit-def: $vgpr45
                                        ; implicit-def: $vgpr49
	s_cbranch_execz .LBB141_47
; %bb.46:
	s_waitcnt vmcnt(0)
	v_mad_u64_u32 v[34:35], s[0:1], v54, s15, v[52:53]
	v_lshlrev_b32_e32 v54, 1, v34
	s_lshl_b32 s2, s15, 7
	s_and_b32 s1, s5, 0xffff
	s_mov_b32 s3, 0x20000
	s_mov_b32 s0, s4
	v_add_lshl_u32 v55, v34, s15, 1
	s_movk_i32 s15, 0x80
	buffer_load_dwordx4 v[34:37], v54, s[0:3], 0 offen
	buffer_load_dwordx4 v[42:45], v54, s[0:3], s15 offen
	;; [unrolled: 1-line block ×4, first 2 shown]
.LBB141_47:
	v_lshrrev_b32_e32 v68, 2, v87
	s_cbranch_execnz .LBB141_60
.LBB141_48:
	s_and_b64 vcc, exec, s[6:7]
	s_cbranch_vccz .LBB141_58
; %bb.49:
	s_waitcnt vmcnt(0)
	v_lshlrev_b32_e32 v39, 1, v51
	v_cmp_gt_i32_e32 vcc, s47, v39
	v_mov_b32_e32 v38, 0
	v_lshlrev_b32_e32 v46, 9, v51
	v_mov_b32_e32 v34, 0
	v_mov_b32_e32 v35, 0
	;; [unrolled: 1-line block ×4, first 2 shown]
	s_and_saveexec_b64 s[0:1], vcc
	s_cbranch_execz .LBB141_51
; %bb.50:
	v_mov_b32_e32 v47, 0
	v_lshl_add_u64 v[34:35], s[4:5], 0, v[46:47]
	v_lshlrev_b32_e32 v36, 1, v52
	v_mov_b32_e32 v37, v47
	v_lshl_add_u64 v[34:35], v[34:35], 0, v[36:37]
	global_load_dwordx4 v[34:37], v[34:35], off
.LBB141_51:
	s_or_b64 exec, exec, s[0:1]
	v_or_b32_e32 v39, 1, v39
	v_cmp_gt_i32_e64 s[0:1], s47, v39
	v_lshlrev_b32_e32 v54, 8, v39
	v_mov_b32_e32 v39, 0
	v_mov_b32_e32 v40, 0
	;; [unrolled: 1-line block ×3, first 2 shown]
	s_and_saveexec_b64 s[2:3], s[0:1]
	s_cbranch_execz .LBB141_53
; %bb.52:
	v_mov_b32_e32 v55, 0
	v_lshl_add_u64 v[38:39], s[4:5], 0, v[54:55]
	v_lshlrev_b32_e32 v40, 1, v52
	v_mov_b32_e32 v41, v55
	v_lshl_add_u64 v[38:39], v[38:39], 0, v[40:41]
	global_load_dwordx4 v[38:41], v[38:39], off
.LBB141_53:
	s_or_b64 exec, exec, s[2:3]
	v_mov_b32_e32 v49, 0
	v_mov_b32_e32 v42, 0
	;; [unrolled: 1-line block ×5, first 2 shown]
	s_and_saveexec_b64 s[2:3], vcc
	s_cbranch_execz .LBB141_55
; %bb.54:
	v_mov_b32_e32 v47, 0
	v_lshl_add_u64 v[42:43], s[4:5], 0, v[46:47]
	v_lshlrev_b32_e32 v46, 1, v52
	v_lshl_add_u64 v[42:43], v[42:43], 0, v[46:47]
	global_load_dwordx4 v[42:45], v[42:43], off offset:128
.LBB141_55:
	s_or_b64 exec, exec, s[2:3]
	v_mov_b32_e32 v48, 0
	v_mov_b32_e32 v47, 0
	;; [unrolled: 1-line block ×3, first 2 shown]
	s_and_saveexec_b64 s[2:3], s[0:1]
	s_cbranch_execz .LBB141_57
; %bb.56:
	v_mov_b32_e32 v55, 0
	v_lshl_add_u64 v[46:47], s[4:5], 0, v[54:55]
	v_lshlrev_b32_e32 v54, 1, v52
	v_lshl_add_u64 v[46:47], v[46:47], 0, v[54:55]
	global_load_dwordx4 v[46:49], v[46:47], off offset:128
.LBB141_57:
	s_or_b64 exec, exec, s[2:3]
	s_branch .LBB141_60
.LBB141_58:
                                        ; implicit-def: $vgpr37
                                        ; implicit-def: $vgpr41
                                        ; implicit-def: $vgpr45
                                        ; implicit-def: $vgpr49
	s_cbranch_execz .LBB141_60
; %bb.59:
	s_waitcnt vmcnt(0)
	v_lshlrev_b32_e32 v34, 1, v52
	v_lshl_or_b32 v52, v51, 9, v34
	s_and_b32 s5, s5, 0xffff
	s_mov_b32 s7, 0x20000
	s_movk_i32 s6, 0x4000
	s_movk_i32 s0, 0x80
	buffer_load_dwordx4 v[34:37], v52, s[4:7], 0 offen
	buffer_load_dwordx4 v[38:41], v52, s[4:7], 0 offen offset:256
	buffer_load_dwordx4 v[42:45], v52, s[4:7], s0 offen
	buffer_load_dwordx4 v[46:49], v52, s[4:7], s0 offen offset:256
.LBB141_60:
	ds_read_b64 v[54:55], v64 offset:57344
	v_add_u32_e32 v52, 0x6000, v60
	ds_read2_b64 v[70:73], v52 offset1:16
	ds_read_b64 v[82:83], v65 offset:57344
	ds_read_b64 v[84:85], v66 offset:57344
	;; [unrolled: 1-line block ×3, first 2 shown]
	ds_read2_b64 v[64:67], v52 offset0:32 offset1:48
	v_and_b32_e32 v52, 12, v68
	v_and_b32_e32 v76, 6, v0
	v_xor_b32_e32 v51, v51, v76
	v_lshlrev_b32_e32 v51, 2, v51
	s_mov_b32 s0, 0x1000504
	s_waitcnt lgkmcnt(4)
	v_mfma_f32_16x16x16_bf16 a[4:7], v[54:55], v[72:73], a[4:7]
	s_mov_b32 s1, 0x3020706
	v_mfma_f32_16x16x16_bf16 a[0:3], v[54:55], v[70:71], a[0:3]
	ds_read2st64_b64 v[68:71], v60 offset0:52 offset1:56
	s_waitcnt lgkmcnt(1)
	v_mfma_f32_16x16x16_bf16 a[8:11], v[54:55], v[64:65], a[8:11]
	v_mfma_f32_16x16x16_bf16 a[12:15], v[54:55], v[66:67], a[12:15]
	ds_read2st64_b64 v[64:67], v61 offset0:52 offset1:56
	ds_read2st64_b64 v[72:75], v62 offset0:52 offset1:56
	;; [unrolled: 1-line block ×3, first 2 shown]
	s_waitcnt lgkmcnt(2)
	v_mfma_f32_16x16x16_bf16 a[4:7], v[82:83], v[64:65], a[4:7]
	v_and_b32_e32 v64, 1, v0
	v_xor_b32_e32 v65, 0x440, v51
	v_cmp_eq_u32_e32 vcc, 0, v64
	v_mfma_f32_16x16x16_bf16 a[0:3], v[82:83], v[68:69], a[0:3]
	s_waitcnt vmcnt(0)
	v_perm_b32 v64, v34, v38, s0
	v_cndmask_b32_e32 v51, v65, v51, vcc
	v_lshl_or_b32 v51, v76, 10, v51
	s_waitcnt lgkmcnt(1)
	v_mfma_f32_16x16x16_bf16 a[8:11], v[82:83], v[72:73], a[8:11]
	v_perm_b32 v65, v42, v46, s0
	ds_read_b64 v[54:55], v60 offset:30720
	ds_read_b64 v[68:69], v61 offset:30720
	;; [unrolled: 1-line block ×4, first 2 shown]
	ds_write2st64_b32 v51, v64, v65 offset0:128 offset1:160
	s_waitcnt lgkmcnt(5)
	v_mfma_f32_16x16x16_bf16 a[12:15], v[82:83], v[78:79], a[12:15]
	v_xor_b32_e32 v64, 8, v51
	v_perm_b32 v34, v34, v38, s1
	v_perm_b32 v38, v42, v46, s1
	v_add_u32_e32 v42, 0x80, v64
	ds_write2st64_b32 v42, v34, v38 offset0:128 offset1:160
	v_xor_b32_e32 v34, 16, v51
	v_perm_b32 v38, v35, v39, s0
	v_perm_b32 v42, v43, v47, s0
	v_mfma_f32_16x16x16_bf16 a[0:3], v[84:85], v[70:71], a[0:3]
	ds_write2st64_b32 v34, v38, v42 offset0:129 offset1:161
	v_xor_b32_e32 v34, 24, v51
	v_perm_b32 v35, v35, v39, s1
	v_mfma_f32_16x16x16_bf16 a[4:7], v[84:85], v[66:67], a[4:7]
	v_perm_b32 v38, v43, v47, s1
	v_add_u32_e32 v34, 0x80, v34
	ds_write2st64_b32 v34, v35, v38 offset0:129 offset1:161
	v_mfma_f32_16x16x16_bf16 a[16:19], v[84:85], v[74:75], a[8:11]
	v_xor_b32_e32 v34, 32, v51
	v_perm_b32 v35, v36, v40, s0
	v_perm_b32 v38, v44, v48, s0
	v_mfma_f32_16x16x16_bf16 a[20:23], v[84:85], v[80:81], a[12:15]
	ds_write2st64_b32 v34, v35, v38 offset0:130 offset1:162
	v_xor_b32_e32 v34, 40, v51
	v_perm_b32 v35, v36, v40, s1
	s_waitcnt lgkmcnt(8)
	v_mfma_f32_16x16x16_bf16 a[12:15], v[88:89], v[54:55], a[0:3]
	v_perm_b32 v36, v44, v48, s1
	v_add_u32_e32 v34, 0x80, v34
	ds_write2st64_b32 v34, v35, v36 offset0:130 offset1:162
	s_waitcnt lgkmcnt(8)
	v_mfma_f32_16x16x16_bf16 a[8:11], v[88:89], v[68:69], a[4:7]
	v_xor_b32_e32 v34, 48, v51
	v_perm_b32 v35, v37, v41, s0
	v_perm_b32 v36, v45, v49, s0
	s_waitcnt lgkmcnt(7)
	v_mfma_f32_16x16x16_bf16 a[4:7], v[88:89], v[90:91], a[16:19]
	ds_write2st64_b32 v34, v35, v36 offset0:131 offset1:163
	v_xor_b32_e32 v34, 56, v51
	v_or_b32_e32 v54, v52, v86
	s_waitcnt lgkmcnt(7)
	v_mfma_f32_16x16x16_bf16 a[0:3], v[88:89], v[92:93], a[20:23]
	v_perm_b32 v35, v37, v41, s1
	v_perm_b32 v36, v45, v49, s1
	v_add_u32_e32 v34, 0x80, v34
	v_cmp_gt_i32_e64 s[0:1], s47, v54
	v_mov_b32_e32 v64, 0
	v_mov_b32_e32 v65, 0
	ds_write2st64_b32 v34, v35, v36 offset0:131 offset1:163
	s_and_saveexec_b64 s[2:3], s[0:1]
	s_cbranch_execz .LBB141_62
; %bb.61:
	v_add_u32_e32 v34, s46, v54
	v_ashrrev_i32_e32 v35, 31, v34
	v_mul_lo_u32 v36, v35, s38
	v_mul_lo_u32 v37, v34, s39
	v_mad_u64_u32 v[34:35], s[4:5], v34, s38, 0
	v_add3_u32 v35, v35, v37, v36
	v_lshl_add_u64 v[34:35], v[34:35], 2, s[10:11]
	global_load_dword v34, v[34:35], off
	s_waitcnt vmcnt(0)
	v_sub_f32_e32 v34, s12, v34
	v_exp_f32_e32 v65, v34
.LBB141_62:
	s_or_b64 exec, exec, s[2:3]
	v_or_b32_e32 v46, 1, v54
	v_cmp_gt_i32_e64 s[4:5], s47, v46
	s_and_saveexec_b64 s[2:3], s[4:5]
	s_cbranch_execz .LBB141_64
; %bb.63:
	v_add_u32_e32 v34, s46, v46
	v_ashrrev_i32_e32 v35, 31, v34
	v_mul_lo_u32 v36, v35, s38
	v_mul_lo_u32 v37, v34, s39
	v_mad_u64_u32 v[34:35], s[6:7], v34, s38, 0
	v_add3_u32 v35, v35, v37, v36
	v_lshl_add_u64 v[34:35], v[34:35], 2, s[10:11]
	global_load_dword v34, v[34:35], off
	s_waitcnt vmcnt(0)
	v_sub_f32_e32 v34, s12, v34
	v_exp_f32_e32 v64, v34
.LBB141_64:
	s_or_b64 exec, exec, s[2:3]
	v_or_b32_e32 v42, 2, v54
	v_cmp_gt_i32_e64 s[2:3], s47, v42
	v_mov_b32_e32 v55, 0
	v_mov_b32_e32 v66, 0
	s_and_saveexec_b64 s[6:7], s[2:3]
	s_cbranch_execz .LBB141_66
; %bb.65:
	v_add_u32_e32 v34, s46, v42
	v_ashrrev_i32_e32 v35, 31, v34
	v_mul_lo_u32 v36, v35, s38
	v_mul_lo_u32 v37, v34, s39
	v_mad_u64_u32 v[34:35], s[20:21], v34, s38, 0
	v_add3_u32 v35, v35, v37, v36
	v_lshl_add_u64 v[34:35], v[34:35], 2, s[10:11]
	global_load_dword v34, v[34:35], off
	s_waitcnt vmcnt(0)
	v_sub_f32_e32 v34, s12, v34
	v_exp_f32_e32 v66, v34
.LBB141_66:
	s_or_b64 exec, exec, s[6:7]
	v_or_b32_e32 v43, 3, v54
	v_cmp_gt_i32_e32 vcc, s47, v43
	s_and_saveexec_b64 s[6:7], vcc
	s_cbranch_execz .LBB141_68
; %bb.67:
	v_add_u32_e32 v34, s46, v43
	v_ashrrev_i32_e32 v35, 31, v34
	v_mul_lo_u32 v36, v35, s38
	v_mul_lo_u32 v37, v34, s39
	v_mad_u64_u32 v[34:35], s[20:21], v34, s38, 0
	v_add3_u32 v35, v35, v37, v36
	v_lshl_add_u64 v[34:35], v[34:35], 2, s[10:11]
	global_load_dword v34, v[34:35], off
	s_waitcnt vmcnt(0)
	v_sub_f32_e32 v34, s12, v34
	v_exp_f32_e32 v55, v34
.LBB141_68:
	s_or_b64 exec, exec, s[6:7]
	s_add_u32 s6, s8, s30
	s_addc_u32 s7, s9, s31
	s_add_u32 s8, s18, s30
	v_ashrrev_i32_e32 v51, 31, v50
	v_accvgpr_read_b32 v37, a15
	s_addc_u32 s9, s19, s31
	v_lshlrev_b64 v[38:39], 1, v[50:51]
	v_accvgpr_read_b32 v36, a14
	v_accvgpr_read_b32 v35, a13
	;; [unrolled: 1-line block ×3, first 2 shown]
	v_lshl_add_u64 v[40:41], s[6:7], 0, v[38:39]
	v_lshl_add_u64 v[38:39], s[8:9], 0, v[38:39]
	v_mov_b32_e32 v47, 0
	v_lshlrev_b32_e32 v44, 8, v54
	v_mov_b32_e32 v45, 0
	s_and_saveexec_b64 s[6:7], s[0:1]
	s_cbranch_execz .LBB141_70
; %bb.69:
	v_mov_b32_e32 v45, 0
	v_lshl_add_u64 v[48:49], v[40:41], 0, v[44:45]
	global_load_ushort v51, v[48:49], off
	v_lshl_add_u64 v[48:49], v[38:39], 0, v[44:45]
	s_waitcnt vmcnt(0)
	v_lshlrev_b32_e32 v45, 16, v51
	v_sub_f32_e32 v34, v45, v34
	global_store_short_d16_hi v[48:49], v34, off
	v_mul_f32_e32 v34, v65, v34
	v_lshrrev_b32_e32 v45, 16, v34
.LBB141_70:
	s_or_b64 exec, exec, s[6:7]
	v_lshlrev_b32_e32 v46, 8, v46
	s_and_saveexec_b64 s[6:7], s[4:5]
	s_cbranch_execz .LBB141_72
; %bb.71:
	v_mov_b32_e32 v47, 0
	v_lshl_add_u64 v[48:49], v[40:41], 0, v[46:47]
	global_load_ushort v34, v[48:49], off
	v_lshl_add_u64 v[48:49], v[38:39], 0, v[46:47]
	s_waitcnt vmcnt(0)
	v_lshlrev_b32_e32 v34, 16, v34
	v_sub_f32_e32 v34, v34, v35
	global_store_short_d16_hi v[48:49], v34, off
	v_mul_f32_e32 v34, v64, v34
	v_lshrrev_b32_e32 v47, 16, v34
.LBB141_72:
	s_or_b64 exec, exec, s[6:7]
	v_mov_b32_e32 v67, 0
	v_lshlrev_b32_e32 v48, 8, v42
	v_mov_b32_e32 v49, 0
	s_and_saveexec_b64 s[6:7], s[2:3]
	s_cbranch_execz .LBB141_74
; %bb.73:
	v_mov_b32_e32 v49, 0
	v_lshl_add_u64 v[34:35], v[40:41], 0, v[48:49]
	global_load_ushort v42, v[34:35], off
	v_lshl_add_u64 v[34:35], v[38:39], 0, v[48:49]
	s_waitcnt vmcnt(0)
	v_lshlrev_b32_e32 v42, 16, v42
	v_sub_f32_e32 v36, v42, v36
	global_store_short_d16_hi v[34:35], v36, off
	v_mul_f32_e32 v34, v66, v36
	v_lshrrev_b32_e32 v49, 16, v34
.LBB141_74:
	s_or_b64 exec, exec, s[6:7]
	v_lshlrev_b32_e32 v42, 8, v43
	s_and_saveexec_b64 s[6:7], vcc
	s_cbranch_execz .LBB141_76
; %bb.75:
	v_mov_b32_e32 v43, 0
	v_lshl_add_u64 v[34:35], v[40:41], 0, v[42:43]
	global_load_ushort v36, v[34:35], off
	v_lshl_add_u64 v[34:35], v[38:39], 0, v[42:43]
	s_waitcnt vmcnt(0)
	v_lshlrev_b32_e32 v36, 16, v36
	v_sub_f32_e32 v36, v36, v37
	global_store_short_d16_hi v[34:35], v36, off
	v_mul_f32_e32 v34, v55, v36
	v_lshrrev_b32_e32 v67, 16, v34
.LBB141_76:
	s_or_b64 exec, exec, s[6:7]
	v_lshlrev_b32_e32 v51, 6, v54
	v_accvgpr_read_b32 v37, a11
	s_mov_b32 s6, 0x5040100
	v_or_b32_e32 v43, v51, v59
	v_accvgpr_read_b32 v36, a10
	v_accvgpr_read_b32 v35, a9
	;; [unrolled: 1-line block ×3, first 2 shown]
	v_perm_b32 v69, v67, v49, s6
	v_perm_b32 v68, v47, v45, s6
	v_lshlrev_b32_e32 v43, 1, v43
	v_mov_b32_e32 v47, 0
	v_mov_b32_e32 v45, 0
	ds_write_b64 v43, v[68:69] offset:24576
	s_and_saveexec_b64 s[6:7], s[0:1]
	s_cbranch_execz .LBB141_78
; %bb.77:
	v_mov_b32_e32 v45, 0
	v_lshl_add_u64 v[68:69], v[40:41], 0, v[44:45]
	global_load_ushort v43, v[68:69], off offset:32
	v_lshl_add_u64 v[68:69], v[38:39], 0, v[44:45]
	s_waitcnt vmcnt(0)
	v_lshlrev_b32_e32 v43, 16, v43
	v_sub_f32_e32 v34, v43, v34
	global_store_short_d16_hi v[68:69], v34, off offset:32
	v_mul_f32_e32 v34, v65, v34
	v_lshrrev_b32_e32 v45, 16, v34
.LBB141_78:
	s_or_b64 exec, exec, s[6:7]
	s_and_saveexec_b64 s[6:7], s[4:5]
	s_cbranch_execz .LBB141_80
; %bb.79:
	v_mov_b32_e32 v47, 0
	v_lshl_add_u64 v[68:69], v[40:41], 0, v[46:47]
	global_load_ushort v34, v[68:69], off offset:32
	v_lshl_add_u64 v[68:69], v[38:39], 0, v[46:47]
	s_waitcnt vmcnt(0)
	v_lshlrev_b32_e32 v34, 16, v34
	v_sub_f32_e32 v34, v34, v35
	global_store_short_d16_hi v[68:69], v34, off offset:32
	v_mul_f32_e32 v34, v64, v34
	v_lshrrev_b32_e32 v47, 16, v34
.LBB141_80:
	s_or_b64 exec, exec, s[6:7]
	v_mov_b32_e32 v43, 0
	v_mov_b32_e32 v49, 0
	s_and_saveexec_b64 s[6:7], s[2:3]
	s_cbranch_execz .LBB141_82
; %bb.81:
	v_mov_b32_e32 v49, 0
	v_lshl_add_u64 v[34:35], v[40:41], 0, v[48:49]
	global_load_ushort v59, v[34:35], off offset:32
	v_lshl_add_u64 v[34:35], v[38:39], 0, v[48:49]
	s_waitcnt vmcnt(0)
	v_lshlrev_b32_e32 v49, 16, v59
	v_sub_f32_e32 v36, v49, v36
	global_store_short_d16_hi v[34:35], v36, off offset:32
	v_mul_f32_e32 v34, v66, v36
	v_lshrrev_b32_e32 v49, 16, v34
.LBB141_82:
	s_or_b64 exec, exec, s[6:7]
	s_and_saveexec_b64 s[6:7], vcc
	s_cbranch_execz .LBB141_84
; %bb.83:
	v_mov_b32_e32 v43, 0
	v_lshl_add_u64 v[34:35], v[40:41], 0, v[42:43]
	global_load_ushort v36, v[34:35], off offset:32
	v_lshl_add_u64 v[34:35], v[38:39], 0, v[42:43]
	s_waitcnt vmcnt(0)
	v_lshlrev_b32_e32 v36, 16, v36
	v_sub_f32_e32 v36, v36, v37
	global_store_short_d16_hi v[34:35], v36, off offset:32
	v_mul_f32_e32 v34, v55, v36
	v_lshrrev_b32_e32 v43, 16, v34
.LBB141_84:
	s_or_b64 exec, exec, s[6:7]
	s_mov_b32 s6, 0x5040100
	v_accvgpr_read_b32 v37, a7
	v_perm_b32 v69, v43, v49, s6
	v_or_b32_e32 v43, v51, v57
	v_accvgpr_read_b32 v36, a6
	v_accvgpr_read_b32 v35, a5
	;; [unrolled: 1-line block ×3, first 2 shown]
	v_perm_b32 v68, v47, v45, s6
	v_lshlrev_b32_e32 v43, 1, v43
	v_mov_b32_e32 v47, 0
	v_mov_b32_e32 v45, 0
	ds_write_b64 v43, v[68:69] offset:24576
	s_and_saveexec_b64 s[6:7], s[0:1]
	s_cbranch_execz .LBB141_86
; %bb.85:
	v_mov_b32_e32 v45, 0
	v_lshl_add_u64 v[68:69], v[40:41], 0, v[44:45]
	global_load_ushort v43, v[68:69], off offset:64
	v_lshl_add_u64 v[68:69], v[38:39], 0, v[44:45]
	s_waitcnt vmcnt(0)
	v_lshlrev_b32_e32 v43, 16, v43
	v_sub_f32_e32 v34, v43, v34
	global_store_short_d16_hi v[68:69], v34, off offset:64
	v_mul_f32_e32 v34, v65, v34
	v_lshrrev_b32_e32 v45, 16, v34
.LBB141_86:
	s_or_b64 exec, exec, s[6:7]
	s_and_saveexec_b64 s[6:7], s[4:5]
	s_cbranch_execz .LBB141_88
; %bb.87:
	v_mov_b32_e32 v47, 0
	v_lshl_add_u64 v[68:69], v[40:41], 0, v[46:47]
	global_load_ushort v34, v[68:69], off offset:64
	v_lshl_add_u64 v[68:69], v[38:39], 0, v[46:47]
	s_waitcnt vmcnt(0)
	v_lshlrev_b32_e32 v34, 16, v34
	v_sub_f32_e32 v34, v34, v35
	global_store_short_d16_hi v[68:69], v34, off offset:64
	v_mul_f32_e32 v34, v64, v34
	v_lshrrev_b32_e32 v47, 16, v34
.LBB141_88:
	s_or_b64 exec, exec, s[6:7]
	v_mov_b32_e32 v43, 0
	v_mov_b32_e32 v49, 0
	s_and_saveexec_b64 s[6:7], s[2:3]
	s_cbranch_execz .LBB141_90
; %bb.89:
	v_mov_b32_e32 v49, 0
	v_lshl_add_u64 v[34:35], v[40:41], 0, v[48:49]
	global_load_ushort v57, v[34:35], off offset:64
	v_lshl_add_u64 v[34:35], v[38:39], 0, v[48:49]
	s_waitcnt vmcnt(0)
	v_lshlrev_b32_e32 v49, 16, v57
	v_sub_f32_e32 v36, v49, v36
	global_store_short_d16_hi v[34:35], v36, off offset:64
	v_mul_f32_e32 v34, v66, v36
	v_lshrrev_b32_e32 v49, 16, v34
.LBB141_90:
	s_or_b64 exec, exec, s[6:7]
	s_and_saveexec_b64 s[6:7], vcc
	s_cbranch_execz .LBB141_92
; %bb.91:
	v_mov_b32_e32 v43, 0
	v_lshl_add_u64 v[34:35], v[40:41], 0, v[42:43]
	global_load_ushort v36, v[34:35], off offset:64
	v_lshl_add_u64 v[34:35], v[38:39], 0, v[42:43]
	s_waitcnt vmcnt(0)
	v_lshlrev_b32_e32 v36, 16, v36
	v_sub_f32_e32 v36, v36, v37
	global_store_short_d16_hi v[34:35], v36, off offset:64
	v_mul_f32_e32 v34, v55, v36
	v_lshrrev_b32_e32 v43, 16, v34
.LBB141_92:
	s_or_b64 exec, exec, s[6:7]
	s_mov_b32 s6, 0x5040100
	v_accvgpr_read_b32 v37, a3
	v_perm_b32 v69, v43, v49, s6
	v_or_b32_e32 v43, v51, v56
	v_accvgpr_read_b32 v36, a2
	v_accvgpr_read_b32 v35, a1
	v_accvgpr_read_b32 v34, a0
	v_perm_b32 v68, v47, v45, s6
	v_lshlrev_b32_e32 v43, 1, v43
	v_mov_b32_e32 v47, 0
	v_mov_b32_e32 v45, 0
	ds_write_b64 v43, v[68:69] offset:24576
	s_and_saveexec_b64 s[6:7], s[0:1]
	s_cbranch_execz .LBB141_94
; %bb.93:
	v_mov_b32_e32 v45, 0
	v_lshl_add_u64 v[56:57], v[40:41], 0, v[44:45]
	global_load_ushort v43, v[56:57], off offset:96
	v_lshl_add_u64 v[44:45], v[38:39], 0, v[44:45]
	s_waitcnt vmcnt(0)
	v_lshlrev_b32_e32 v43, 16, v43
	v_sub_f32_e32 v34, v43, v34
	global_store_short_d16_hi v[44:45], v34, off offset:96
	v_mul_f32_e32 v34, v65, v34
	v_lshrrev_b32_e32 v45, 16, v34
.LBB141_94:
	s_or_b64 exec, exec, s[6:7]
	s_and_saveexec_b64 s[0:1], s[4:5]
	s_cbranch_execz .LBB141_96
; %bb.95:
	v_mov_b32_e32 v47, 0
	v_lshl_add_u64 v[56:57], v[40:41], 0, v[46:47]
	global_load_ushort v34, v[56:57], off offset:96
	v_lshl_add_u64 v[46:47], v[38:39], 0, v[46:47]
	s_waitcnt vmcnt(0)
	v_lshlrev_b32_e32 v34, 16, v34
	v_sub_f32_e32 v34, v34, v35
	global_store_short_d16_hi v[46:47], v34, off offset:96
	v_mul_f32_e32 v34, v64, v34
	v_lshrrev_b32_e32 v47, 16, v34
.LBB141_96:
	s_or_b64 exec, exec, s[0:1]
	v_mov_b32_e32 v43, 0
	v_mov_b32_e32 v46, 0
	s_and_saveexec_b64 s[0:1], s[2:3]
	s_cbranch_execz .LBB141_98
; %bb.97:
	v_mov_b32_e32 v49, 0
	v_lshl_add_u64 v[34:35], v[40:41], 0, v[48:49]
	global_load_ushort v44, v[34:35], off offset:96
	v_lshl_add_u64 v[34:35], v[38:39], 0, v[48:49]
	s_waitcnt vmcnt(0)
	v_lshlrev_b32_e32 v44, 16, v44
	v_sub_f32_e32 v36, v44, v36
	global_store_short_d16_hi v[34:35], v36, off offset:96
	v_mul_f32_e32 v34, v66, v36
	v_lshrrev_b32_e32 v46, 16, v34
.LBB141_98:
	s_or_b64 exec, exec, s[0:1]
	v_or_b32_e32 v34, 0x6000, v60
	v_or_b32_e32 v35, 0x6000, v61
	;; [unrolled: 1-line block ×4, first 2 shown]
	s_and_saveexec_b64 s[0:1], vcc
	s_cbranch_execz .LBB141_100
; %bb.99:
	v_mov_b32_e32 v43, 0
	v_lshl_add_u64 v[40:41], v[40:41], 0, v[42:43]
	global_load_ushort v40, v[40:41], off offset:96
	v_lshl_add_u64 v[38:39], v[38:39], 0, v[42:43]
	s_waitcnt vmcnt(0)
	v_lshlrev_b32_e32 v40, 16, v40
	v_sub_f32_e32 v37, v40, v37
	global_store_short_d16_hi v[38:39], v37, off offset:96
	v_mul_f32_e32 v37, v55, v37
	v_lshrrev_b32_e32 v43, 16, v37
.LBB141_100:
	s_or_b64 exec, exec, s[0:1]
	s_mov_b32 s0, 0x5040100
	v_or_b32_e32 v37, v51, v53
	v_perm_b32 v39, v43, v46, s0
	v_perm_b32 v38, v47, v45, s0
	v_lshlrev_b32_e32 v37, 1, v37
	ds_write_b64 v37, v[38:39] offset:24576
	v_and_b32_e32 v37, 7, v0
	v_and_b32_e32 v42, 8, v0
	v_lshlrev_b32_e32 v45, 3, v37
	v_lshlrev_b32_e32 v51, 7, v37
	v_lshrrev_b32_e32 v37, 1, v0
	v_and_b32_e32 v37, 24, v37
	v_mov_b32_e32 v43, 0x400
	v_cmp_eq_u32_e32 vcc, 0, v42
	s_movk_i32 s2, 0x100
	v_lshlrev_b32_e32 v55, 3, v77
	v_cndmask_b32_e64 v53, v43, 64, vcc
	v_mov_b32_e32 v42, 0xa000
	v_mov_b32_e32 v43, 0x8000
	v_cmp_gt_u32_e64 s[0:1], s2, v0
	v_xor_b32_e32 v59, v55, v37
	v_or_b32_e32 v46, 32, v37
	v_cndmask_b32_e64 v0, v42, v43, s[0:1]
	v_or_b32_e32 v42, 0x440, v59
	v_cndmask_b32_e32 v42, v42, v59, vcc
	v_or_b32_e32 v42, v42, v58
	v_xor_b32_e32 v82, v42, v45
	v_xor_b32_e32 v46, v55, v46
	v_add3_u32 v42, v0, v82, v51
	v_or_b32_e32 v47, 0x440, v46
	s_waitcnt lgkmcnt(0)
	s_barrier
	ds_read_b64 v[42:43], v42
	v_cndmask_b32_e32 v46, v47, v46, vcc
	v_or_b32_e32 v46, v46, v58
	v_xor_b32_e32 v83, v46, v45
	v_add3_u32 v46, v0, v83, v51
	ds_read_b64 v[56:57], v46
	ds_read2_b64 v[38:41], v34 offset1:16
	ds_read2_b64 v[46:49], v34 offset0:32 offset1:48
	v_or_b32_e32 v37, 0x60, v37
	s_add_i32 s0, s16, s48
	v_xor_b32_e32 v37, v55, v37
	s_waitcnt lgkmcnt(1)
	v_mfma_f32_16x16x16_bf16 a[0:3], v[42:43], v[38:39], 0
	s_mul_hi_i32 s1, s0, s13
	s_mul_i32 s0, s0, s13
	ds_read2st64_b64 v[60:63], v34 offset0:4 offset1:8
	v_mfma_f32_16x16x16_bf16 a[4:7], v[42:43], v[40:41], 0
	ds_read2st64_b64 v[64:67], v35 offset0:4 offset1:8
	s_add_u32 s0, s0, s33
	ds_read2st64_b64 v[68:71], v36 offset0:4 offset1:8
	s_waitcnt lgkmcnt(3)
	v_mfma_f32_16x16x16_bf16 a[8:11], v[42:43], v[46:47], 0
	ds_read2st64_b64 v[72:75], v44 offset0:4 offset1:8
	s_addc_u32 s1, s1, s14
	s_lshl_b64 s[0:1], s[0:1], 9
	v_mfma_f32_16x16x16_bf16 a[12:15], v[42:43], v[48:49], 0
	v_or3_b32 v42, v58, v53, v59
	v_xor_b32_e32 v53, 0x440, v37
	v_cndmask_b32_e32 v37, v53, v37, vcc
	v_xor_b32_e32 v42, v42, v45
	v_or_b32_e32 v37, v37, v58
	v_or_b32_e32 v84, v42, v51
	v_xor_b32_e32 v85, v37, v45
	v_or_b32_e32 v42, v0, v84
	v_add3_u32 v0, v0, v85, v51
	s_add_u32 s0, s36, s0
	ds_read_b64 v[42:43], v42
	ds_read_b64 v[58:59], v0
	s_addc_u32 s1, s37, s1
	v_lshlrev_b32_e32 v0, 2, v54
	s_waitcnt lgkmcnt(5)
	v_mfma_f32_16x16x16_bf16 a[0:3], v[56:57], v[60:61], a[0:3]
	v_lshlrev_b32_e32 v37, 2, v52
	s_waitcnt lgkmcnt(4)
	v_mfma_f32_16x16x16_bf16 a[4:7], v[56:57], v[64:65], a[4:7]
	s_waitcnt lgkmcnt(3)
	v_mfma_f32_16x16x16_bf16 a[8:11], v[56:57], v[68:69], a[8:11]
	;; [unrolled: 2-line block ×3, first 2 shown]
	global_load_dwordx4 v[54:57], v0, s[0:1]
	v_lshlrev_b32_e32 v0, 6, v77
	v_or3_b32 v0, v0, v37, s2
	global_load_dwordx4 v[76:79], v0, s[0:1]
	s_waitcnt lgkmcnt(1)
	v_mfma_f32_16x16x16_bf16 a[0:3], v[42:43], v[62:63], a[0:3]
	v_exp_f32_e32 v0, s12
	s_waitcnt vmcnt(1)
	v_exp_f32_e32 v37, v57
	v_mfma_f32_16x16x16_bf16 a[4:7], v[42:43], v[66:67], a[4:7]
	v_mfma_f32_16x16x16_bf16 a[8:11], v[42:43], v[70:71], a[8:11]
	;; [unrolled: 1-line block ×3, first 2 shown]
	ds_read_b64 v[42:43], v34 offset:6144
	ds_read_b64 v[52:53], v35 offset:6144
	;; [unrolled: 1-line block ×4, first 2 shown]
	v_exp_f32_e32 v34, v54
	v_add_u32_e32 v54, v82, v51
	v_exp_f32_e32 v35, v55
	ds_read_b64 v[54:55], v54 offset:40960
	s_waitcnt lgkmcnt(4)
	v_mfma_f32_16x16x16_bf16 a[0:3], v[58:59], v[42:43], a[0:3]
	v_exp_f32_e32 v36, v56
	v_pk_mul_f32 v[34:35], v[0:1], v[34:35] op_sel_hi:[0,1]
	v_pk_mul_f32 v[30:31], v[30:31], v[34:35]
	s_waitcnt lgkmcnt(3)
	v_mfma_f32_16x16x16_bf16 a[4:7], v[58:59], v[52:53], a[4:7]
	v_pk_mul_f32 v[36:37], v[0:1], v[36:37] op_sel_hi:[0,1]
	v_pk_mul_f32 v[32:33], v[32:33], v[36:37]
	v_pk_mul_f32 v[22:23], v[34:35], v[22:23]
	s_waitcnt lgkmcnt(0)
	v_mfma_f32_16x16x16_bf16 a[20:23], v[54:55], v[40:41], 0
	v_accvgpr_read_b32 v40, a0
	v_add_f32_e32 v30, v30, v40
	v_accvgpr_read_b32 v40, a1
	v_add_f32_e32 v31, v31, v40
	v_accvgpr_read_b32 v40, a2
	v_add_f32_e32 v32, v32, v40
	v_accvgpr_read_b32 v40, a3
	v_add_f32_e32 v33, v33, v40
	v_accvgpr_read_b32 v40, a4
	v_add_u32_e32 v56, v83, v51
	v_add_f32_e32 v22, v22, v40
	v_accvgpr_read_b32 v40, a5
	v_mfma_f32_16x16x16_bf16 a[8:11], v[58:59], v[80:81], a[8:11]
	v_add_u32_e32 v51, v85, v51
	v_add_f32_e32 v23, v23, v40
	v_pk_mul_f32 v[24:25], v[36:37], v[24:25]
	v_mfma_f32_16x16x16_bf16 a[12:15], v[58:59], v[44:45], a[12:15]
	ds_read_b64 v[56:57], v56 offset:40960
	ds_read_b64 v[58:59], v51 offset:40960
	;; [unrolled: 1-line block ×3, first 2 shown]
	v_pk_mul_f32 v[14:15], v[34:35], v[14:15]
	v_mfma_f32_16x16x16_bf16 a[16:19], v[54:55], v[38:39], 0
	v_pk_mul_f32 v[16:17], v[36:37], v[16:17]
	s_nop 0
	v_accvgpr_read_b32 v39, a15
	v_mfma_f32_16x16x16_bf16 a[24:27], v[54:55], v[46:47], 0
	v_accvgpr_read_b32 v46, a6
	v_add_f32_e32 v24, v24, v46
	v_accvgpr_read_b32 v46, a7
	s_waitcnt lgkmcnt(2)
	v_mfma_f32_16x16x16_bf16 a[0:3], v[56:57], v[60:61], a[16:19]
	v_add_f32_e32 v25, v25, v46
	v_accvgpr_read_b32 v46, a8
	v_add_f32_e32 v14, v14, v46
	v_accvgpr_read_b32 v46, a9
	v_add_f32_e32 v15, v15, v46
	v_accvgpr_read_b32 v46, a10
	v_add_f32_e32 v16, v16, v46
	v_accvgpr_read_b32 v46, a11
	v_accvgpr_read_b32 v38, a14
	v_mfma_f32_16x16x16_bf16 a[14:17], v[56:57], v[64:65], a[20:23]
	v_add_f32_e32 v17, v17, v46
	v_accvgpr_read_b32 v47, a13
	v_accvgpr_read_b32 v46, a12
	s_waitcnt lgkmcnt(0)
	v_mfma_f32_16x16x16_bf16 a[0:3], v[40:41], v[62:63], a[0:3]
	v_pk_fma_f32 v[2:3], v[34:35], v[2:3], v[46:47]
	v_pk_fma_f32 v[4:5], v[36:37], v[4:5], v[38:39]
	s_waitcnt vmcnt(0)
	v_mov_b32_e32 v34, v77
	v_mfma_f32_16x16x16_bf16 a[28:31], v[54:55], v[48:49], 0
	v_mov_b32_e32 v35, v78
	v_mov_b32_e32 v36, v79
	v_exp_f32_e32 v38, v76
	v_exp_f32_e32 v39, v34
	v_mfma_f32_16x16x16_bf16 a[18:21], v[56:57], v[68:69], a[24:27]
	v_exp_f32_e32 v34, v35
	v_exp_f32_e32 v35, v36
	v_pk_mul_f32 v[36:37], v[0:1], v[38:39] op_sel_hi:[0,1]
	v_mfma_f32_16x16x16_bf16 a[14:17], v[40:41], v[66:67], a[14:17]
	v_pk_mul_f32 v[26:27], v[26:27], v[36:37]
	v_pk_mul_f32 v[34:35], v[0:1], v[34:35] op_sel_hi:[0,1]
	v_pk_mul_f32 v[28:29], v[28:29], v[34:35]
	v_mfma_f32_16x16x16_bf16 a[0:3], v[58:59], v[42:43], a[0:3]
	v_pk_mul_f32 v[18:19], v[36:37], v[18:19]
	v_pk_mul_f32 v[20:21], v[34:35], v[20:21]
	;; [unrolled: 1-line block ×3, first 2 shown]
	v_mfma_f32_16x16x16_bf16 a[4:7], v[56:57], v[72:73], a[28:31]
	v_pk_mul_f32 v[12:13], v[34:35], v[12:13]
	v_mfma_f32_16x16x16_bf16 a[8:11], v[40:41], v[70:71], a[18:21]
	s_nop 0
	v_accvgpr_read_b32 v0, a0
	v_add_f32_e32 v26, v26, v0
	v_accvgpr_read_b32 v0, a1
	v_mfma_f32_16x16x16_bf16 a[12:15], v[58:59], v[52:53], a[14:17]
	v_add_f32_e32 v27, v27, v0
	v_accvgpr_read_b32 v0, a2
	v_add_f32_e32 v28, v28, v0
	v_mfma_f32_16x16x16_bf16 a[4:7], v[40:41], v[74:75], a[4:7]
	v_accvgpr_read_b32 v0, a3
	v_add_f32_e32 v29, v29, v0
	v_mfma_f32_16x16x16_bf16 a[8:11], v[58:59], v[80:81], a[8:11]
	v_accvgpr_read_b32 v0, a12
	v_add_f32_e32 v18, v18, v0
	v_accvgpr_read_b32 v0, a13
	v_mfma_f32_16x16x16_bf16 a[4:7], v[58:59], v[44:45], a[4:7]
	v_add_f32_e32 v19, v19, v0
	v_accvgpr_read_b32 v0, a14
	v_add_f32_e32 v20, v20, v0
	v_accvgpr_read_b32 v0, a15
	;; [unrolled: 2-line block ×5, first 2 shown]
	v_accvgpr_read_b32 v41, a5
	v_accvgpr_read_b32 v39, a7
	;; [unrolled: 1-line block ×3, first 2 shown]
	v_add_f32_e32 v12, v12, v0
	v_accvgpr_read_b32 v0, a11
	v_accvgpr_read_b32 v40, a4
	v_add_f32_e32 v13, v13, v0
	v_pk_fma_f32 v[6:7], v[36:37], v[6:7], v[40:41]
	v_pk_fma_f32 v[8:9], v[34:35], v[8:9], v[38:39]
	v_mov_b32_e32 v34, v50
.LBB141_101:
	s_lshl_b64 s[0:1], s[28:29], 16
	s_add_u32 s0, s34, s0
	v_lshlrev_b32_e32 v34, 7, v34
	s_addc_u32 s1, s35, s1
	v_ashrrev_i32_e32 v35, 31, v34
	v_lshl_add_u64 v[36:37], v[34:35], 2, s[0:1]
	v_lshlrev_b32_e32 v0, 2, v1
	v_mov_b32_e32 v1, 0
	v_lshl_add_u64 v[36:37], v[36:37], 0, v[0:1]
	global_store_dwordx4 v[36:37], v[30:33], off
	global_store_dwordx4 v[36:37], v[26:29], off offset:256
	s_nop 1
	v_or_b32_e32 v26, 0x800, v34
	v_ashrrev_i32_e32 v27, 31, v26
	v_lshl_add_u64 v[26:27], v[26:27], 2, s[0:1]
	v_lshl_add_u64 v[26:27], v[26:27], 0, v[0:1]
	global_store_dwordx4 v[26:27], v[22:25], off
	global_store_dwordx4 v[26:27], v[18:21], off offset:256
	s_nop 1
	v_or_b32_e32 v18, 0x1000, v34
	v_ashrrev_i32_e32 v19, 31, v18
	v_lshl_add_u64 v[18:19], v[18:19], 2, s[0:1]
	;; [unrolled: 7-line block ×3, first 2 shown]
	v_lshl_add_u64 v[0:1], v[10:11], 0, v[0:1]
	global_store_dwordx4 v[0:1], v[2:5], off
	global_store_dwordx4 v[0:1], v[6:9], off offset:256
	s_endpgm
	.section	.rodata,"a",@progbits
	.p2align	6, 0x0
	.amdhsa_kernel _ZN12_GLOBAL__N_139chunk_gated_delta_rule_fwd_h_hip_kernelILi64ELb0ELb1ELb1ELb0ELb1ELb1ELb1ELb0EEEvPK12hip_bfloat16S3_S3_PKfS5_PKvPS1_S8_PvPKiSB_iiiiilll
		.amdhsa_group_segment_fixed_size 65536
		.amdhsa_private_segment_fixed_size 0
		.amdhsa_kernarg_size 136
		.amdhsa_user_sgpr_count 2
		.amdhsa_user_sgpr_dispatch_ptr 0
		.amdhsa_user_sgpr_queue_ptr 0
		.amdhsa_user_sgpr_kernarg_segment_ptr 1
		.amdhsa_user_sgpr_dispatch_id 0
		.amdhsa_user_sgpr_kernarg_preload_length 0
		.amdhsa_user_sgpr_kernarg_preload_offset 0
		.amdhsa_user_sgpr_private_segment_size 0
		.amdhsa_uses_dynamic_stack 0
		.amdhsa_enable_private_segment 0
		.amdhsa_system_sgpr_workgroup_id_x 1
		.amdhsa_system_sgpr_workgroup_id_y 1
		.amdhsa_system_sgpr_workgroup_id_z 0
		.amdhsa_system_sgpr_workgroup_info 0
		.amdhsa_system_vgpr_workitem_id 0
		.amdhsa_next_free_vgpr 232
		.amdhsa_next_free_sgpr 70
		.amdhsa_accum_offset 192
		.amdhsa_reserve_vcc 1
		.amdhsa_float_round_mode_32 0
		.amdhsa_float_round_mode_16_64 0
		.amdhsa_float_denorm_mode_32 3
		.amdhsa_float_denorm_mode_16_64 3
		.amdhsa_dx10_clamp 1
		.amdhsa_ieee_mode 1
		.amdhsa_fp16_overflow 0
		.amdhsa_tg_split 0
		.amdhsa_exception_fp_ieee_invalid_op 0
		.amdhsa_exception_fp_denorm_src 0
		.amdhsa_exception_fp_ieee_div_zero 0
		.amdhsa_exception_fp_ieee_overflow 0
		.amdhsa_exception_fp_ieee_underflow 0
		.amdhsa_exception_fp_ieee_inexact 0
		.amdhsa_exception_int_div_zero 0
	.end_amdhsa_kernel
	.section	.text._ZN12_GLOBAL__N_139chunk_gated_delta_rule_fwd_h_hip_kernelILi64ELb0ELb1ELb1ELb0ELb1ELb1ELb1ELb0EEEvPK12hip_bfloat16S3_S3_PKfS5_PKvPS1_S8_PvPKiSB_iiiiilll,"axG",@progbits,_ZN12_GLOBAL__N_139chunk_gated_delta_rule_fwd_h_hip_kernelILi64ELb0ELb1ELb1ELb0ELb1ELb1ELb1ELb0EEEvPK12hip_bfloat16S3_S3_PKfS5_PKvPS1_S8_PvPKiSB_iiiiilll,comdat
.Lfunc_end141:
	.size	_ZN12_GLOBAL__N_139chunk_gated_delta_rule_fwd_h_hip_kernelILi64ELb0ELb1ELb1ELb0ELb1ELb1ELb1ELb0EEEvPK12hip_bfloat16S3_S3_PKfS5_PKvPS1_S8_PvPKiSB_iiiiilll, .Lfunc_end141-_ZN12_GLOBAL__N_139chunk_gated_delta_rule_fwd_h_hip_kernelILi64ELb0ELb1ELb1ELb0ELb1ELb1ELb1ELb0EEEvPK12hip_bfloat16S3_S3_PKfS5_PKvPS1_S8_PvPKiSB_iiiiilll
                                        ; -- End function
	.section	.AMDGPU.csdata,"",@progbits
; Kernel info:
; codeLenInByte = 13044
; NumSgprs: 76
; NumVgprs: 190
; NumAgprs: 40
; TotalNumVgprs: 232
; ScratchSize: 0
; MemoryBound: 0
; FloatMode: 240
; IeeeMode: 1
; LDSByteSize: 65536 bytes/workgroup (compile time only)
; SGPRBlocks: 9
; VGPRBlocks: 28
; NumSGPRsForWavesPerEU: 76
; NumVGPRsForWavesPerEU: 232
; AccumOffset: 192
; Occupancy: 1
; WaveLimiterHint : 1
; COMPUTE_PGM_RSRC2:SCRATCH_EN: 0
; COMPUTE_PGM_RSRC2:USER_SGPR: 2
; COMPUTE_PGM_RSRC2:TRAP_HANDLER: 0
; COMPUTE_PGM_RSRC2:TGID_X_EN: 1
; COMPUTE_PGM_RSRC2:TGID_Y_EN: 1
; COMPUTE_PGM_RSRC2:TGID_Z_EN: 0
; COMPUTE_PGM_RSRC2:TIDIG_COMP_CNT: 0
; COMPUTE_PGM_RSRC3_GFX90A:ACCUM_OFFSET: 47
; COMPUTE_PGM_RSRC3_GFX90A:TG_SPLIT: 0
	.section	.text._ZN12_GLOBAL__N_139chunk_gated_delta_rule_fwd_h_hip_kernelILi64ELb0ELb1ELb0ELb0ELb1ELb1ELb1ELb0EEEvPK12hip_bfloat16S3_S3_PKfS5_PKvPS1_S8_PvPKiSB_iiiiilll,"axG",@progbits,_ZN12_GLOBAL__N_139chunk_gated_delta_rule_fwd_h_hip_kernelILi64ELb0ELb1ELb0ELb0ELb1ELb1ELb1ELb0EEEvPK12hip_bfloat16S3_S3_PKfS5_PKvPS1_S8_PvPKiSB_iiiiilll,comdat
	.globl	_ZN12_GLOBAL__N_139chunk_gated_delta_rule_fwd_h_hip_kernelILi64ELb0ELb1ELb0ELb0ELb1ELb1ELb1ELb0EEEvPK12hip_bfloat16S3_S3_PKfS5_PKvPS1_S8_PvPKiSB_iiiiilll ; -- Begin function _ZN12_GLOBAL__N_139chunk_gated_delta_rule_fwd_h_hip_kernelILi64ELb0ELb1ELb0ELb0ELb1ELb1ELb1ELb0EEEvPK12hip_bfloat16S3_S3_PKfS5_PKvPS1_S8_PvPKiSB_iiiiilll
	.p2align	8
	.type	_ZN12_GLOBAL__N_139chunk_gated_delta_rule_fwd_h_hip_kernelILi64ELb0ELb1ELb0ELb0ELb1ELb1ELb1ELb0EEEvPK12hip_bfloat16S3_S3_PKfS5_PKvPS1_S8_PvPKiSB_iiiiilll,@function
_ZN12_GLOBAL__N_139chunk_gated_delta_rule_fwd_h_hip_kernelILi64ELb0ELb1ELb0ELb0ELb1ELb1ELb1ELb0EEEvPK12hip_bfloat16S3_S3_PKfS5_PKvPS1_S8_PvPKiSB_iiiiilll: ; @_ZN12_GLOBAL__N_139chunk_gated_delta_rule_fwd_h_hip_kernelILi64ELb0ELb1ELb0ELb0ELb1ELb1ELb1ELb0EEEvPK12hip_bfloat16S3_S3_PKfS5_PKvPS1_S8_PvPKiSB_iiiiilll
; %bb.0:
	s_load_dwordx4 s[12:15], s[0:1], 0x5c
	s_load_dwordx8 s[4:11], s[0:1], 0x0
	s_load_dwordx4 s[16:19], s[0:1], 0x70
	s_abs_i32 s23, s3
	s_ashr_i32 s21, s3, 31
	s_waitcnt lgkmcnt(0)
	s_abs_i32 s20, s13
	v_cvt_f32_u32_e32 v1, s20
	s_sub_i32 s24, 0, s20
	s_ashr_i32 s22, s13, 31
	s_xor_b32 s21, s21, s22
	v_rcp_iflag_f32_e32 v1, v1
	s_load_dwordx2 s[30:31], s[0:1], 0x20
	s_load_dwordx2 s[28:29], s[0:1], 0x40
	;; [unrolled: 1-line block ×4, first 2 shown]
	v_lshrrev_b32_e32 v77, 6, v0
	v_mul_f32_e32 v1, 0x4f7ffffe, v1
	v_cvt_u32_f32_e32 v1, v1
	v_bfe_u32 v86, v0, 4, 2
	s_mov_b32 s0, 0
	v_lshlrev_b32_e32 v84, 4, v77
	v_readfirstlane_b32 s25, v1
	s_mul_i32 s24, s24, s25
	s_mul_hi_u32 s24, s25, s24
	s_add_i32 s25, s25, s24
	s_mul_hi_u32 s24, s23, s25
	s_mul_i32 s25, s24, s20
	s_sub_i32 s23, s23, s25
	s_add_i32 s25, s24, 1
	s_sub_i32 s26, s23, s20
	s_cmp_ge_u32 s23, s20
	s_cselect_b32 s24, s25, s24
	s_cselect_b32 s23, s26, s23
	s_add_i32 s25, s24, 1
	s_cmp_ge_u32 s23, s20
	s_cselect_b32 s23, s25, s24
	s_xor_b32 s23, s23, s21
	s_sub_i32 s50, s23, s21
	s_abs_i32 s21, s14
	v_cvt_f32_u32_e32 v1, s21
	s_ashr_i32 s49, s12, 31
	s_lshr_b32 s23, s49, 26
	s_add_i32 s23, s12, s23
	v_rcp_iflag_f32_e32 v1, v1
	s_ashr_i32 s51, s23, 6
	s_sub_i32 s23, 0, s21
	s_mul_i32 s48, s50, s13
	v_mul_f32_e32 v1, 0x4f7ffffe, v1
	v_cvt_u32_f32_e32 v1, v1
	s_ashr_i32 s52, s14, 31
	s_sub_i32 s33, s3, s48
	s_add_i32 s3, s12, 63
	v_readfirstlane_b32 s24, v1
	s_mul_i32 s23, s23, s24
	s_mul_hi_u32 s23, s24, s23
	s_add_i32 s24, s24, s23
	s_mul_hi_u32 s23, s20, s24
	s_mul_i32 s24, s23, s21
	s_sub_i32 s20, s20, s24
	s_xor_b32 s22, s22, s52
	s_add_i32 s24, s23, 1
	s_sub_i32 s25, s20, s21
	s_cmp_ge_u32 s20, s21
	s_cselect_b32 s23, s24, s23
	s_cselect_b32 s20, s25, s20
	s_add_i32 s24, s23, 1
	s_cmp_ge_u32 s20, s21
	s_cselect_b32 s20, s24, s23
	s_xor_b32 s20, s20, s22
	s_sub_i32 s20, s20, s22
	s_abs_i32 s21, s20
	v_cvt_f32_u32_e32 v1, s21
	s_sub_i32 s22, 0, s21
	s_xor_b32 s1, s33, s20
	s_abs_i32 s20, s33
	v_rcp_iflag_f32_e32 v1, v1
	s_ashr_i32 s1, s1, 31
	v_lshlrev_b32_e32 v34, 2, v86
	v_and_b32_e32 v85, 63, v0
	v_mul_f32_e32 v1, 0x4f7ffffe, v1
	v_cvt_u32_f32_e32 v1, v1
	v_mov_b32_e32 v17, 0
	s_mul_i32 s46, s50, s12
	v_and_b32_e32 v87, 15, v0
	v_readfirstlane_b32 s23, v1
	s_mul_i32 s22, s22, s23
	s_mul_hi_u32 s22, s23, s22
	s_add_i32 s23, s23, s22
	s_mul_hi_u32 s22, s20, s23
	s_mul_i32 s23, s22, s21
	s_sub_i32 s20, s20, s23
	s_add_i32 s23, s22, 1
	s_sub_i32 s24, s20, s21
	s_cmp_ge_u32 s20, s21
	s_cselect_b32 s22, s23, s22
	s_cselect_b32 s20, s24, s20
	s_add_i32 s23, s22, 1
	s_cmp_ge_u32 s20, s21
	s_cselect_b32 s20, s23, s22
	s_xor_b32 s20, s20, s1
	s_sub_i32 s55, s20, s1
	s_ashr_i32 s1, s3, 31
	s_lshr_b32 s1, s1, 26
	s_add_i32 s3, s3, s1
	s_ashr_i32 s1, s3, 6
	v_or_b32_e32 v1, v34, v84
	s_mul_i32 s53, s50, s1
	s_lshl_b32 s2, s2, 6
	s_mov_b32 s1, s0
	v_or_b32_e32 v90, 64, v1
	s_cmp_lt_i32 s12, 64
	v_mov_b64_e32 v[2:3], s[0:1]
	s_mul_hi_i32 s54, s50, s13
	v_lshrrev_b32_e32 v89, 3, v85
	v_lshlrev_b32_e32 v88, 3, v0
	s_mul_i32 s17, s50, s17
	s_mul_hi_u32 s47, s50, s16
	s_mul_i32 s36, s50, s16
	v_mov_b32_e32 v16, v17
	v_mov_b32_e32 v15, v17
	;; [unrolled: 1-line block ×23, first 2 shown]
	v_mov_b64_e32 v[4:5], s[0:1]
	v_mov_b64_e32 v[6:7], s[0:1]
	;; [unrolled: 1-line block ×3, first 2 shown]
	s_cbranch_scc1 .LBB142_18
; %bb.1:
	s_ashr_i32 s3, s50, 31
	s_ashr_i32 s57, s33, 31
	s_add_u32 s0, s48, s33
	s_addc_u32 s1, s54, s57
	s_mul_i32 s1, s12, s1
	s_mul_hi_u32 s20, s12, s0
	s_add_i32 s41, s20, s1
	s_mul_i32 s40, s12, s0
	s_lshl_b64 s[0:1], s[40:41], 8
	v_and_b32_e32 v92, 56, v88
	s_add_u32 s20, s6, s0
	v_lshl_or_b32 v91, v77, 3, v89
	v_lshlrev_b32_e32 v2, 1, v92
	s_addc_u32 s0, s7, s1
	v_lshl_or_b32 v93, v91, 8, v2
	s_and_b32 s21, s0, 0xffff
	s_mov_b32 s23, 0x20000
	s_movk_i32 s22, 0x4000
	s_movk_i32 s0, 0x80
	v_or_b32_e32 v94, 0x2000, v93
	buffer_load_dwordx4 v[4:7], v93, s[20:23], 0 offen
	buffer_load_dwordx4 v[8:11], v93, s[20:23], s0 offen
	;; [unrolled: 1-line block ×4, first 2 shown]
	v_lshlrev_b32_e32 v3, 3, v91
	v_and_or_b32 v21, v0, 7, v3
	v_and_b32_e32 v3, 0x78, v3
	v_lshlrev_b32_e32 v21, 4, v21
	v_xor_b32_e32 v95, v21, v3
	v_mul_lo_u32 v20, v91, s15
	v_or_b32_e32 v96, 0x1000, v95
	v_xor_b32_e32 v3, 8, v95
	s_cmpk_eq_i32 s15, 0x80
	s_mov_b32 s56, s14
	v_xor_b32_e32 v21, 8, v96
	s_cselect_b64 s[0:1], -1, 0
	s_cmpk_lg_i32 s15, 0x80
	s_waitcnt vmcnt(3)
	ds_write_b64 v95, v[4:5] offset:49152
	ds_write_b64 v3, v[6:7] offset:49152
	s_waitcnt vmcnt(2)
	ds_write_b64 v95, v[8:9] offset:57344
	ds_write_b64 v3, v[10:11] offset:57344
	;; [unrolled: 3-line block ×4, first 2 shown]
	v_lshl_add_u32 v3, v20, 1, v92
	s_cbranch_scc0 .LBB142_3
; %bb.2:
	v_lshlrev_b32_e32 v5, 1, v3
	v_add_lshl_u32 v4, v3, s15, 1
	s_lshl_b32 s22, s15, 7
	v_lshl_or_b32 v2, v91, 9, v2
	s_cbranch_execz .LBB142_4
	s_branch .LBB142_5
.LBB142_3:
                                        ; implicit-def: $vgpr4
                                        ; implicit-def: $vgpr5
                                        ; implicit-def: $sgpr22
	v_lshl_or_b32 v2, v91, 9, v2
.LBB142_4:
	v_or_b32_e32 v4, 0x100, v2
	s_movk_i32 s22, 0x4000
	v_mov_b32_e32 v5, v2
.LBB142_5:
	s_mul_hi_u32 s20, s14, s12
	s_mul_i32 s21, s52, s12
	s_add_i32 s20, s20, s21
	s_mul_i32 s21, s14, s12
	s_mul_i32 s23, s21, s3
	s_mul_hi_u32 s24, s21, s50
	s_add_i32 s23, s24, s23
	s_mul_i32 s20, s20, s50
	s_add_i32 s23, s23, s20
	s_mul_i32 s21, s21, s50
	s_ashr_i32 s58, s55, 31
	s_add_u32 s20, s21, s55
	s_addc_u32 s21, s23, s58
	s_lshl_b64 s[20:21], s[20:21], 8
	s_add_u32 s20, s4, s20
	s_addc_u32 s21, s5, s21
	s_and_b32 s21, s21, 0xffff
	s_mov_b32 s23, 0x20000
	s_movk_i32 s59, 0x80
	buffer_load_dwordx4 v[6:9], v5, s[20:23], 0 offen
	buffer_load_dwordx4 v[10:13], v5, s[20:23], s59 offen
	;; [unrolled: 1-line block ×4, first 2 shown]
	v_and_b32_e32 v5, 6, v0
	v_lshlrev_b32_e32 v4, 7, v1
	v_xor_b32_e32 v26, v91, v5
	v_and_b32_e32 v22, 1, v0
	v_lshl_or_b32 v29, v87, 3, v4
	v_lshlrev_b32_e32 v26, 2, v26
	v_or_b32_e32 v97, 0x4000, v29
	v_or_b32_e32 v98, 0x6000, v29
	v_xor_b32_e32 v29, 0x440, v26
	v_cmp_eq_u32_e32 vcc, 0, v22
	v_lshlrev_b32_e32 v23, 2, v87
	v_or_b32_e32 v25, 16, v87
	v_cndmask_b32_e32 v22, v29, v26, vcc
	s_mov_b32 s61, 0x1000504
	v_xor_b32_e32 v27, v1, v23
	v_xor_b32_e32 v28, v90, v23
	v_lshl_or_b32 v30, v25, 3, v4
	v_lshl_or_b32 v5, v5, 10, v22
	s_mov_b32 s62, 0x3020706
	s_mul_i32 s20, s3, s12
	s_mul_hi_u32 s21, s50, s12
	v_lshlrev_b32_e32 v24, 8, v87
	v_lshlrev_b32_e32 v27, 1, v27
	;; [unrolled: 1-line block ×3, first 2 shown]
	v_or_b32_e32 v99, 0x4000, v30
	v_or_b32_e32 v100, 0x6000, v30
	v_xor_b32_e32 v22, 8, v5
	v_xor_b32_e32 v26, 24, v5
	;; [unrolled: 1-line block ×4, first 2 shown]
	v_or_b32_e32 v101, v24, v27
	v_or_b32_e32 v102, v24, v28
	v_xor_b32_e32 v24, 16, v5
	v_xor_b32_e32 v29, 32, v5
	;; [unrolled: 1-line block ×3, first 2 shown]
	v_add_u32_e32 v22, 0x80, v22
	v_add_u32_e32 v26, 0x80, v26
	;; [unrolled: 1-line block ×4, first 2 shown]
	s_add_i32 s63, s21, s20
	s_add_i32 s20, s47, s17
	s_mul_i32 s3, s3, s16
	s_add_i32 s37, s20, s3
	s_mul_i32 s3, s33, s19
	s_mul_hi_u32 s20, s33, s18
	s_add_i32 s3, s20, s3
	s_mul_i32 s20, s57, s18
	s_add_i32 s21, s3, s20
	s_lshl_b64 s[24:25], s[36:37], 2
	s_mul_i32 s20, s33, s18
	s_add_u32 s3, s10, s24
	s_addc_u32 s24, s11, s25
	s_lshl_b64 s[20:21], s[20:21], 2
	s_add_u32 s42, s3, s20
	s_movk_i32 s3, 0xf8
	s_addc_u32 s43, s24, s21
	s_lshl_b32 s26, s15, 7
	s_movk_i32 s24, 0x100
	v_mov_b32_e32 v79, 0
	v_lshlrev_b32_e32 v78, 4, v87
	s_mov_b32 s60, 0
	s_movk_i32 s22, 0x4000
	v_add_u32_e32 v134, v84, v34
	s_mov_b32 s37, 0x7060302
	s_movk_i32 s64, 0x2000
	s_movk_i32 s65, 0x3000
	s_mov_b32 s67, 0
	s_waitcnt vmcnt(1)
	v_perm_b32 v33, v6, v14, s61
	s_waitcnt vmcnt(0)
	v_perm_b32 v35, v10, v18, s61
	v_perm_b32 v6, v6, v14, s62
	v_perm_b32 v10, v10, v18, s62
	v_perm_b32 v14, v7, v15, s61
	v_perm_b32 v18, v11, v19, s61
	v_perm_b32 v7, v7, v15, s62
	v_perm_b32 v11, v11, v19, s62
	v_perm_b32 v15, v8, v16, s61
	v_perm_b32 v19, v12, v20, s61
	v_perm_b32 v8, v8, v16, s62
	v_perm_b32 v12, v12, v20, s62
	v_perm_b32 v16, v9, v17, s61
	v_perm_b32 v20, v13, v21, s61
	v_perm_b32 v9, v9, v17, s62
	v_perm_b32 v13, v13, v21, s62
	ds_write2st64_b32 v5, v33, v35 offset0:128 offset1:160
	ds_write2st64_b32 v22, v6, v10 offset0:128 offset1:160
	;; [unrolled: 1-line block ×8, first 2 shown]
	v_lshlrev_b32_e32 v5, 8, v25
	v_or_b32_e32 v103, v5, v27
	v_or_b32_e32 v104, v5, v28
	;; [unrolled: 1-line block ×3, first 2 shown]
	v_lshl_or_b32 v6, v5, 3, v4
	v_lshlrev_b32_e32 v5, 8, v5
	v_or_b32_e32 v107, v5, v27
	v_or_b32_e32 v108, v5, v28
	;; [unrolled: 1-line block ×5, first 2 shown]
	v_lshl_or_b32 v6, v5, 3, v4
	v_lshlrev_b32_e32 v5, 8, v5
	v_or_b32_e32 v111, v5, v27
	v_or_b32_e32 v112, v5, v28
	;; [unrolled: 1-line block ×3, first 2 shown]
	v_lshlrev_b32_e32 v5, 3, v5
	v_lshrrev_b32_e32 v7, 5, v85
	v_and_or_b32 v7, v5, s3, v7
	v_lshlrev_b32_e32 v7, 4, v7
	v_or_b32_e32 v109, 0x4000, v6
	v_or_b32_e32 v110, 0x6000, v6
	v_lshrrev_b32_e32 v6, 2, v85
	v_lshlrev_b32_e32 v11, 11, v77
	v_and_b32_e32 v5, 0x78, v5
	v_or_b32_e32 v13, 32, v7
	v_and_b32_e32 v10, 12, v6
	v_and_b32_e32 v6, 0x1000, v11
	v_lshrrev_b32_e32 v9, 1, v85
	v_xor_b32_e32 v13, v13, v5
	v_xor_b32_e32 v8, v7, v5
	v_and_b32_e32 v9, 8, v9
	v_or_b32_e32 v13, v13, v6
	v_or_b32_e32 v8, v8, v6
	v_lshlrev_b32_e32 v12, 8, v86
	v_xor_b32_e32 v115, v13, v9
	v_or_b32_e32 v13, 64, v7
	v_or_b32_e32 v7, 0x60, v7
	v_xor_b32_e32 v113, v8, v9
	v_or_b32_e32 v8, v12, v23
	v_xor_b32_e32 v13, v13, v5
	v_xor_b32_e32 v5, v7, v5
	s_ashr_i32 s3, s2, 31
	v_lshlrev_b32_e32 v8, 1, v8
	v_or_b32_e32 v13, v13, v6
	v_or_b32_e32 v5, v5, v6
	s_lshl_b64 s[20:21], s[2:3], 8
	v_lshlrev_b32_e32 v17, 2, v0
	v_or_b32_e32 v114, 0x4000, v8
	v_or_b32_e32 v116, 0x4080, v8
	;; [unrolled: 1-line block ×4, first 2 shown]
	v_xor_b32_e32 v119, v13, v9
	v_xor_b32_e32 v120, v5, v9
	v_or_b32_e32 v121, 0x6000, v8
	v_or_b32_e32 v122, 0x6080, v8
	;; [unrolled: 1-line block ×4, first 2 shown]
	v_lshlrev_b32_e32 v5, 1, v3
	v_add_lshl_u32 v3, v3, s15, 1
	v_or_b32_e32 v13, 0x100, v2
	s_waitcnt lgkmcnt(0)
	s_add_u32 s20, s38, s20
	v_lshlrev_b32_e32 v8, 1, v87
	v_lshrrev_b32_e32 v18, 1, v0
	v_and_or_b32 v12, v17, 60, v12
	v_lshrrev_b32_e32 v14, 4, v0
	s_addc_u32 s21, s39, s21
	v_or_b32_e32 v9, 1, v8
	v_and_b32_e32 v18, 24, v18
	v_lshlrev_b32_e32 v12, 1, v12
	v_cndmask_b32_e64 v131, v5, v2, s[0:1]
	v_cndmask_b32_e64 v132, v3, v13, s[0:1]
	v_mov_b32_e32 v3, 0xa000
	v_mov_b32_e32 v5, 0x8000
	v_cmp_gt_u32_e64 s[0:1], s24, v0
	v_xor_b32_e32 v15, v14, v8
	v_xor_b32_e32 v16, v9, v14
	v_lshl_add_u64 v[8:9], s[20:21], 0, v[78:79]
	v_lshlrev_b32_e32 v78, 8, v14
	v_or_b32_e32 v127, 0x6000, v12
	v_or_b32_e32 v17, 32, v18
	;; [unrolled: 1-line block ×6, first 2 shown]
	v_cndmask_b32_e64 v3, v3, v5, s[0:1]
	v_lshlrev_b32_e32 v5, 3, v77
	v_lshl_or_b32 v125, v15, 3, v78
	v_and_b32_e32 v15, 8, v0
	v_xor_b32_e32 v13, v5, v18
	v_xor_b32_e32 v17, v5, v17
	;; [unrolled: 1-line block ×3, first 2 shown]
	v_mov_b32_e32 v19, 0x400
	v_cmp_eq_u32_e32 vcc, 0, v15
	v_or_b32_e32 v18, 0x440, v13
	v_or_b32_e32 v20, 0x440, v17
	v_xor_b32_e32 v12, 0x440, v5
	v_and_b32_e32 v14, 7, v0
	v_cndmask_b32_e64 v15, v19, 64, vcc
	v_cndmask_b32_e32 v18, v18, v13, vcc
	v_cndmask_b32_e32 v17, v20, v17, vcc
	;; [unrolled: 1-line block ×3, first 2 shown]
	v_lshl_or_b32 v126, v16, 3, v78
	v_lshlrev_b32_e32 v16, 3, v14
	v_or_b32_e32 v18, v18, v11
	v_or_b32_e32 v17, v17, v11
	v_or3_b32 v13, v11, v15, v13
	v_or_b32_e32 v5, v5, v11
	v_or_b32_e32 v6, s2, v87
	v_lshlrev_b32_e32 v14, 7, v14
	v_xor_b32_e32 v18, v18, v16
	v_xor_b32_e32 v17, v17, v16
	;; [unrolled: 1-line block ×4, first 2 shown]
	v_ashrrev_i32_e32 v7, 31, v6
	v_or_b32_e32 v2, v84, v10
	v_add_u32_e32 v19, v3, v18
	v_add_u32_e32 v20, v3, v17
	v_or_b32_e32 v133, v13, v14
	v_add_u32_e32 v11, v3, v5
	v_or3_b32 v10, v84, v10, 64
	v_add_u32_e32 v12, 0xa000, v18
	v_add_u32_e32 v13, 0xa000, v17
	;; [unrolled: 1-line block ×3, first 2 shown]
	v_lshl_add_u64 v[80:81], v[6:7], 1, s[8:9]
	v_lshl_add_u64 v[82:83], v[8:9], 0, v[78:79]
	s_add_i32 s3, s46, 63
	v_lshlrev_b32_e32 v78, 1, v4
	v_lshlrev_b32_e32 v135, 2, v2
	v_add_u32_e32 v136, v19, v14
	v_add_u32_e32 v137, v20, v14
	;; [unrolled: 1-line block ×4, first 2 shown]
	v_lshlrev_b32_e32 v140, 2, v10
	v_add_u32_e32 v141, v12, v14
	v_add_u32_e32 v142, v13, v14
	;; [unrolled: 1-line block ×3, first 2 shown]
	v_mov_b32_e32 v8, v79
	v_mov_b32_e32 v9, v79
	;; [unrolled: 1-line block ×32, first 2 shown]
	s_barrier
.LBB142_6:                              ; =>This Inner Loop Header: Depth=1
	s_add_i32 s66, s67, 1
	s_cmp_lt_i32 s66, s51
	s_mov_b64 s[24:25], 0
	s_cselect_b64 s[44:45], -1, 0
	s_cmp_ge_i32 s66, s51
	s_mov_b64 s[20:21], 0
	s_cbranch_scc1 .LBB142_8
; %bb.7:                                ;   in Loop: Header=BB142_6 Depth=1
	s_add_i32 s0, s60, 64
	s_add_u32 s0, s40, s0
	s_addc_u32 s1, s41, 0
	s_lshl_b64 s[0:1], s[0:1], 8
	s_add_u32 s20, s6, s0
	s_addc_u32 s21, s7, s1
.LBB142_8:                              ;   in Loop: Header=BB142_6 Depth=1
	v_cndmask_b32_e64 v34, 0, 1, s[44:45]
	v_cmp_ne_u32_e64 s[0:1], 1, v34
	s_andn2_b64 vcc, exec, s[44:45]
	s_cbranch_vccnz .LBB142_10
; %bb.9:                                ;   in Loop: Header=BB142_6 Depth=1
	s_add_i32 s24, s60, 64
	s_add_u32 s24, s46, s24
	s_addc_u32 s25, s63, 0
	s_mul_i32 s27, s24, s52
	s_mul_hi_u32 s44, s24, s56
	s_add_i32 s27, s44, s27
	s_mul_i32 s25, s25, s56
	s_add_i32 s27, s27, s25
	s_mul_i32 s24, s24, s56
	s_add_u32 s24, s24, s55
	s_addc_u32 s25, s27, s58
	s_lshl_b64 s[24:25], s[24:25], 8
	s_add_u32 s24, s4, s24
	s_addc_u32 s25, s5, s25
.LBB142_10:                             ;   in Loop: Header=BB142_6 Depth=1
	v_perm_b32 v35, v33, v32, s37
	v_perm_b32 v34, v31, v30, s37
	v_perm_b32 v37, v29, v28, s37
	v_perm_b32 v36, v27, v26, s37
	ds_write_b64 v97, v[34:35]
	ds_write_b64 v98, v[36:37]
	ds_write_b64 v101, v[34:35]
	ds_write_b64 v102, v[36:37]
	v_perm_b32 v35, v25, v24, s37
	v_perm_b32 v34, v23, v22, s37
	v_perm_b32 v37, v21, v20, s37
	v_perm_b32 v36, v19, v18, s37
	ds_write_b64 v99, v[34:35]
	ds_write_b64 v100, v[36:37]
	ds_write_b64 v103, v[34:35]
	ds_write_b64 v104, v[36:37]
	;; [unrolled: 8-line block ×4, first 2 shown]
	s_waitcnt lgkmcnt(0)
	s_barrier
	ds_read_b64 v[38:39], v113 offset:49152
	ds_read2_b64 v[34:37], v114 offset1:16
	ds_read_b64 v[50:51], v116 offset:6144
	ds_read_b64 v[52:53], v114 offset:6144
	s_waitcnt lgkmcnt(2)
	v_mfma_f32_16x16x16_bf16 a[0:3], v[38:39], v[34:35], 0
	ds_read_b64 v[54:55], v115 offset:49152
	ds_read2st64_b64 v[42:45], v117 offset0:4 offset1:8
	ds_read2st64_b64 v[46:49], v118 offset0:4 offset1:8
	v_mfma_f32_16x16x16_bf16 a[4:7], v[38:39], v[36:37], 0
	ds_read2_b64 v[34:37], v114 offset0:32 offset1:48
	s_add_i32 s27, s60, 63
	s_mul_i32 s44, s27, s35
	s_waitcnt lgkmcnt(0)
	v_mfma_f32_16x16x16_bf16 a[8:11], v[38:39], v[34:35], 0
	s_mul_hi_u32 s45, s27, s34
	s_add_i32 s45, s45, s44
	s_mul_i32 s44, s27, s34
	v_mfma_f32_16x16x16_bf16 a[12:15], v[38:39], v[36:37], 0
	ds_read2st64_b64 v[34:37], v114 offset0:4 offset1:8
	ds_read2st64_b64 v[38:41], v116 offset0:4 offset1:8
	s_lshl_b64 s[44:45], s[44:45], 2
	s_waitcnt lgkmcnt(1)
	v_mfma_f32_16x16x16_bf16 a[0:3], v[54:55], v[34:35], a[0:3]
	s_add_u32 s44, s42, s44
	s_addc_u32 s45, s43, s45
	s_and_b64 vcc, exec, s[0:1]
	s_waitcnt lgkmcnt(0)
	v_mfma_f32_16x16x16_bf16 a[4:7], v[54:55], v[38:39], a[4:7]
	v_mov_b32_e32 v146, 0
	v_mov_b32_e32 v145, 0
	;; [unrolled: 1-line block ×3, first 2 shown]
	v_mfma_f32_16x16x16_bf16 a[8:11], v[54:55], v[42:43], a[8:11]
	ds_read_b64 v[34:35], v119 offset:49152
	ds_read_b64 v[38:39], v120 offset:49152
	;; [unrolled: 1-line block ×3, first 2 shown]
	v_mfma_f32_16x16x16_bf16 a[12:15], v[54:55], v[46:47], a[12:15]
	v_mov_b32_e32 v46, 0
	v_mov_b32_e32 v47, 0
	s_waitcnt lgkmcnt(2)
	v_mfma_f32_16x16x16_bf16 a[0:3], v[34:35], v[36:37], a[0:3]
	v_mov_b32_e32 v36, 0
	v_mov_b32_e32 v37, 0
	v_mfma_f32_16x16x16_bf16 a[16:19], v[34:35], v[40:41], a[4:7]
	v_mov_b32_e32 v40, 0
	v_mov_b32_e32 v41, 0
	;; [unrolled: 3-line block ×3, first 2 shown]
	v_mfma_f32_16x16x16_bf16 a[24:27], v[34:35], v[48:49], a[12:15]
	ds_read_b64 v[34:35], v117 offset:6144
	v_mov_b32_e32 v48, 0
	v_mov_b32_e32 v49, 0
	s_waitcnt lgkmcnt(2)
	v_mfma_f32_16x16x16_bf16 a[4:7], v[38:39], v[52:53], a[0:3]
	v_mfma_f32_16x16x16_bf16 a[8:11], v[38:39], v[50:51], a[16:19]
	s_waitcnt lgkmcnt(0)
	v_mfma_f32_16x16x16_bf16 a[12:15], v[38:39], v[34:35], a[20:23]
	v_mov_b32_e32 v34, 0
	v_mov_b32_e32 v35, 0
	v_mfma_f32_16x16x16_bf16 a[0:3], v[38:39], v[42:43], a[24:27]
	v_mov_b32_e32 v38, 0
	v_mov_b32_e32 v39, 0
	;; [unrolled: 1-line block ×4, first 2 shown]
	s_cbranch_vccnz .LBB142_12
; %bb.11:                               ;   in Loop: Header=BB142_6 Depth=1
	s_and_b32 s21, s21, 0xffff
	buffer_load_dwordx4 v[46:49], v93, s[20:23], 0 offen
	buffer_load_dwordx4 v[42:45], v93, s[20:23], s59 offen
	;; [unrolled: 1-line block ×4, first 2 shown]
	v_mov_b32_e32 v145, v95
	v_mov_b32_e32 v144, v96
.LBB142_12:                             ;   in Loop: Header=BB142_6 Depth=1
	ds_read_b64 v[66:67], v113 offset:57344
	ds_read2_b64 v[50:53], v121 offset1:16
	ds_read_b64 v[68:69], v115 offset:57344
	ds_read_b64 v[70:71], v119 offset:57344
	;; [unrolled: 1-line block ×3, first 2 shown]
	v_add_u32_e32 v74, s60, v134
	s_waitcnt lgkmcnt(3)
	v_mfma_f32_16x16x16_bf16 a[4:7], v[66:67], v[50:51], a[4:7]
	v_mfma_f32_16x16x16_bf16 a[8:11], v[66:67], v[52:53], a[8:11]
	ds_read2_b64 v[50:53], v121 offset0:32 offset1:48
	ds_read2st64_b64 v[54:57], v121 offset0:4 offset1:8
	ds_read2st64_b64 v[58:61], v122 offset0:4 offset1:8
	ds_read2st64_b64 v[62:65], v123 offset0:4 offset1:8
	s_waitcnt lgkmcnt(3)
	v_mfma_f32_16x16x16_bf16 a[12:15], v[66:67], v[50:51], a[12:15]
	v_ashrrev_i32_e32 v50, 31, v74
	v_mfma_f32_16x16x16_bf16 a[0:3], v[66:67], v[52:53], a[0:3]
	v_mul_lo_u32 v52, v50, s34
	v_mul_lo_u32 v53, v74, s35
	v_mad_u64_u32 v[50:51], s[20:21], v74, s34, 0
	v_add3_u32 v51, v51, v53, v52
	v_add_u32_e32 v52, 1, v74
	v_ashrrev_i32_e32 v53, 31, v52
	s_waitcnt lgkmcnt(2)
	v_mfma_f32_16x16x16_bf16 a[4:7], v[68:69], v[54:55], a[4:7]
	v_mul_lo_u32 v54, v53, s34
	v_mul_lo_u32 v55, v52, s35
	v_mad_u64_u32 v[52:53], s[20:21], v52, s34, 0
	v_add3_u32 v53, v53, v55, v54
	v_add_u32_e32 v54, 2, v74
	v_ashrrev_i32_e32 v55, 31, v54
	s_waitcnt lgkmcnt(1)
	v_mfma_f32_16x16x16_bf16 a[8:11], v[68:69], v[58:59], a[8:11]
	v_mul_lo_u32 v58, v55, s34
	v_mul_lo_u32 v59, v54, s35
	v_mad_u64_u32 v[54:55], s[20:21], v54, s34, 0
	v_add3_u32 v55, v55, v59, v58
	v_add_u32_e32 v58, 3, v74
	v_ashrrev_i32_e32 v59, 31, v58
	v_mul_lo_u32 v66, v59, s34
	v_mul_lo_u32 v67, v58, s35
	v_mad_u64_u32 v[58:59], s[20:21], v58, s34, 0
	s_add_u32 s20, s40, s60
	s_addc_u32 s21, s41, 0
	v_lshl_add_u64 v[50:51], v[50:51], 2, s[42:43]
	v_add3_u32 v59, v59, v67, v66
	s_lshl_b64 s[20:21], s[20:21], 8
	v_lshl_add_u64 v[52:53], v[52:53], 2, s[42:43]
	v_lshl_add_u64 v[54:55], v[54:55], 2, s[42:43]
	;; [unrolled: 1-line block ×3, first 2 shown]
	global_load_dword v66, v[50:51], off
	global_load_dword v67, v[52:53], off
	;; [unrolled: 1-line block ×4, first 2 shown]
	v_lshl_add_u64 v[50:51], v[80:81], 0, s[20:21]
	v_lshl_add_u64 v[54:55], v[50:51], 0, v[78:79]
	global_load_ushort v76, v[54:55], off offset:256
	global_load_ushort v147, v[54:55], off
	ds_read2st64_b64 v[50:53], v124 offset0:4 offset1:8
	global_load_ushort v148, v[54:55], off offset:768
	global_load_ushort v149, v[54:55], off offset:512
	s_waitcnt lgkmcnt(1)
	v_mfma_f32_16x16x16_bf16 a[12:15], v[68:69], v[62:63], a[12:15]
	s_and_b64 vcc, exec, s[0:1]
	s_waitcnt vmcnt(3)
	v_lshlrev_b32_e32 v63, 16, v76
	s_waitcnt lgkmcnt(0)
	v_mfma_f32_16x16x16_bf16 a[0:3], v[68:69], v[50:51], a[0:3]
	global_load_ushort v68, v[54:55], off offset:288
	global_load_ushort v69, v[54:55], off offset:32
	;; [unrolled: 1-line block ×8, first 2 shown]
	v_mfma_f32_16x16x16_bf16 a[4:7], v[70:71], v[56:57], a[4:7]
	ds_read_b64 v[50:51], v121 offset:6144
	s_waitcnt vmcnt(10)
	v_lshlrev_b32_e32 v62, 16, v147
	v_mov_b32_e32 v147, 0
	v_mfma_f32_16x16x16_bf16 a[8:11], v[70:71], v[60:61], a[8:11]
	v_mfma_f32_16x16x16_bf16 a[12:15], v[70:71], v[64:65], a[12:15]
	;; [unrolled: 1-line block ×3, first 2 shown]
	global_load_ushort v70, v[54:55], off offset:352
	global_load_ushort v71, v[54:55], off offset:96
	ds_read_b64 v[52:53], v122 offset:6144
	ds_read_b64 v[56:57], v123 offset:6144
	;; [unrolled: 1-line block ×3, first 2 shown]
	global_load_ushort v156, v[54:55], off offset:864
	global_load_ushort v157, v[54:55], off offset:608
	s_load_dword s20, s[44:45], 0x0
	s_waitcnt lgkmcnt(0)
	v_mfma_f32_16x16x16_bf16 a[4:7], v[72:73], v[50:51], a[4:7]
	v_sub_f32_e32 v60, s20, v74
	v_mfma_f32_16x16x16_bf16 a[0:3], v[72:73], v[58:59], a[0:3]
	v_sub_f32_e32 v58, s20, v66
	v_sub_f32_e32 v59, s20, v67
	;; [unrolled: 1-line block ×3, first 2 shown]
	v_mfma_f32_16x16x16_bf16 a[8:11], v[72:73], v[52:53], a[8:11]
	v_exp_f32_e32 v58, v58
	v_exp_f32_e32 v59, v59
	;; [unrolled: 1-line block ×4, first 2 shown]
	v_accvgpr_read_b32 v65, a5
	v_accvgpr_read_b32 v64, a4
	;; [unrolled: 1-line block ×4, first 2 shown]
	v_pk_add_f32 v[62:63], v[62:63], v[64:65] neg_lo:[0,1] neg_hi:[0,1]
	s_waitcnt vmcnt(13)
	v_lshlrev_b32_e32 v65, 16, v148
	s_waitcnt vmcnt(12)
	v_lshlrev_b32_e32 v64, 16, v149
	v_pk_add_f32 v[50:51], v[64:65], v[50:51] neg_lo:[0,1] neg_hi:[0,1]
	v_pk_mul_f32 v[62:63], v[58:59], v[62:63]
	v_pk_mul_f32 v[50:51], v[60:61], v[50:51]
	v_accvgpr_read_b32 v65, a9
	v_perm_b32 v51, v51, v50, s37
	v_perm_b32 v50, v63, v62, s37
	v_accvgpr_read_b32 v64, a8
	v_accvgpr_read_b32 v53, a11
	v_mfma_f32_16x16x16_bf16 a[12:15], v[72:73], v[56:57], a[12:15]
	v_accvgpr_read_b32 v52, a10
	v_accvgpr_read_b32 v57, a3
	v_accvgpr_read_b32 v56, a2
	s_waitcnt vmcnt(11)
	v_lshlrev_b32_e32 v63, 16, v68
	s_waitcnt vmcnt(10)
	v_lshlrev_b32_e32 v62, 16, v69
	v_pk_add_f32 v[62:63], v[62:63], v[64:65] neg_lo:[0,1] neg_hi:[0,1]
	s_waitcnt vmcnt(9)
	v_lshlrev_b32_e32 v65, 16, v150
	s_waitcnt vmcnt(8)
	v_lshlrev_b32_e32 v64, 16, v151
	v_pk_add_f32 v[52:53], v[64:65], v[52:53] neg_lo:[0,1] neg_hi:[0,1]
	v_pk_mul_f32 v[62:63], v[58:59], v[62:63]
	v_pk_mul_f32 v[52:53], v[60:61], v[52:53]
	v_accvgpr_read_b32 v55, a15
	v_perm_b32 v53, v53, v52, s37
	v_perm_b32 v52, v63, v62, s37
	ds_write2_b64 v98, v[50:51], v[52:53] offset1:16
	v_accvgpr_read_b32 v53, a13
	s_waitcnt vmcnt(7)
	v_lshlrev_b32_e32 v51, 16, v152
	s_waitcnt vmcnt(6)
	v_lshlrev_b32_e32 v50, 16, v153
	v_accvgpr_read_b32 v52, a12
	v_accvgpr_read_b32 v54, a14
	v_pk_add_f32 v[50:51], v[50:51], v[52:53] neg_lo:[0,1] neg_hi:[0,1]
	s_waitcnt vmcnt(5)
	v_lshlrev_b32_e32 v53, 16, v154
	s_waitcnt vmcnt(4)
	v_lshlrev_b32_e32 v52, 16, v155
	v_pk_add_f32 v[52:53], v[52:53], v[54:55] neg_lo:[0,1] neg_hi:[0,1]
	v_pk_mul_f32 v[50:51], v[58:59], v[50:51]
	v_pk_mul_f32 v[52:53], v[60:61], v[52:53]
	v_accvgpr_read_b32 v55, a1
	v_perm_b32 v53, v53, v52, s37
	v_perm_b32 v52, v51, v50, s37
	s_waitcnt vmcnt(3)
	v_lshlrev_b32_e32 v51, 16, v70
	s_waitcnt vmcnt(2)
	v_lshlrev_b32_e32 v50, 16, v71
	v_accvgpr_read_b32 v54, a0
	v_pk_add_f32 v[50:51], v[50:51], v[54:55] neg_lo:[0,1] neg_hi:[0,1]
	s_waitcnt vmcnt(1)
	v_lshlrev_b32_e32 v55, 16, v156
	s_waitcnt vmcnt(0)
	v_lshlrev_b32_e32 v54, 16, v157
	v_pk_add_f32 v[54:55], v[54:55], v[56:57] neg_lo:[0,1] neg_hi:[0,1]
	v_pk_mul_f32 v[50:51], v[58:59], v[50:51]
	v_pk_mul_f32 v[54:55], v[60:61], v[54:55]
	v_mov_b32_e32 v56, 0
	v_perm_b32 v55, v55, v54, s37
	v_perm_b32 v54, v51, v50, s37
	ds_write2_b64 v98, v[52:53], v[54:55] offset0:32 offset1:48
	v_mov_b32_e32 v50, 0
	v_mov_b32_e32 v51, 0
	;; [unrolled: 1-line block ×15, first 2 shown]
	s_cbranch_vccnz .LBB142_14
; %bb.13:                               ;   in Loop: Header=BB142_6 Depth=1
	s_and_b32 s25, s25, 0xffff
	s_mov_b32 s27, s23
	buffer_load_dwordx4 v[62:65], v131, s[24:27], 0 offen
	buffer_load_dwordx4 v[54:57], v131, s[24:27], s59 offen
	;; [unrolled: 1-line block ×4, first 2 shown]
	v_mov_b32_e32 v146, v92
	v_mov_b32_e32 v147, v91
.LBB142_14:                             ;   in Loop: Header=BB142_6 Depth=1
	s_waitcnt lgkmcnt(0)
	s_barrier
	ds_read_b64 v[74:75], v136
	ds_read2_b64 v[66:69], v127 offset1:16
	ds_read_b64 v[164:165], v137
	ds_read_b64 v[166:167], v138
	;; [unrolled: 1-line block ×3, first 2 shown]
	ds_read2_b64 v[70:73], v127 offset0:32 offset1:48
	ds_read2st64_b64 v[148:151], v127 offset0:4 offset1:8
	ds_read2st64_b64 v[152:155], v128 offset0:4 offset1:8
	;; [unrolled: 1-line block ×4, first 2 shown]
	s_waitcnt lgkmcnt(8)
	v_mfma_f32_16x16x16_bf16 a[0:3], v[74:75], v[66:67], 0
	s_add_i32 s21, s53, s67
	s_mul_hi_i32 s25, s21, s13
	s_mul_i32 s21, s21, s13
	v_mfma_f32_16x16x16_bf16 a[4:7], v[74:75], v[68:69], 0
	s_add_u32 s24, s21, s33
	s_addc_u32 s25, s25, s57
	s_add_i32 s21, s3, s60
	s_waitcnt lgkmcnt(4)
	v_mfma_f32_16x16x16_bf16 a[8:11], v[74:75], v[70:71], 0
	s_lshl_b64 s[24:25], s[24:25], 15
	s_mul_hi_i32 s27, s21, s13
	s_mul_i32 s21, s21, s13
	v_mfma_f32_16x16x16_bf16 a[12:15], v[74:75], v[72:73], 0
	ds_read_b64 v[74:75], v127 offset:6144
	ds_read_b64 v[176:177], v128 offset:6144
	;; [unrolled: 1-line block ×4, first 2 shown]
	s_add_u32 s44, s21, s33
	s_waitcnt lgkmcnt(7)
	v_mfma_f32_16x16x16_bf16 a[0:3], v[164:165], v[148:149], a[0:3]
	s_addc_u32 s45, s27, s57
	s_lshl_b64 s[44:45], s[44:45], 9
	s_add_u32 s44, s30, s44
	s_waitcnt lgkmcnt(6)
	v_mfma_f32_16x16x16_bf16 a[4:7], v[164:165], v[152:153], a[4:7]
	s_addc_u32 s45, s31, s45
	v_lshl_add_u64 v[186:187], v[82:83], 0, s[24:25]
	s_waitcnt lgkmcnt(5)
	v_mfma_f32_16x16x16_bf16 a[8:11], v[164:165], v[156:157], a[8:11]
	s_waitcnt lgkmcnt(4)
	v_mfma_f32_16x16x16_bf16 a[12:15], v[164:165], v[160:161], a[12:15]
	ds_read_b64 v[164:165], v141
	ds_read_b64 v[174:175], v142
	;; [unrolled: 1-line block ×3, first 2 shown]
	s_waitcnt lgkmcnt(2)
	v_mfma_f32_16x16x16_bf16 a[16:19], v[164:165], v[66:67], 0
	v_mfma_f32_16x16x16_bf16 a[20:23], v[164:165], v[68:69], 0
	global_load_dwordx4 v[66:69], v140, s[44:45]
	v_mfma_f32_16x16x16_bf16 a[24:27], v[164:165], v[70:71], 0
	v_mfma_f32_16x16x16_bf16 a[28:31], v[164:165], v[72:73], 0
	global_load_dwordx4 v[70:73], v135, s[44:45]
	v_mfma_f32_16x16x16_bf16 a[0:3], v[166:167], v[150:151], a[0:3]
	v_mfma_f32_16x16x16_bf16 a[4:7], v[166:167], v[154:155], a[4:7]
	;; [unrolled: 1-line block ×8, first 2 shown]
	ds_read2st64_b64 v[164:167], v125 offset1:8
	ds_read2st64_b64 v[168:171], v126 offset1:8
	ds_read_b64 v[184:185], v133 offset:40960
	s_waitcnt lgkmcnt(2)
	v_mov_b32_e32 v172, v164
	v_mfma_f32_16x16x16_bf16 a[16:19], v[174:175], v[148:149], a[16:19]
	v_mov_b32_e32 v173, v165
	v_mfma_f32_16x16x16_bf16 a[20:23], v[174:175], v[152:153], a[20:23]
	v_mfma_f32_16x16x16_bf16 a[24:27], v[174:175], v[156:157], a[24:27]
	;; [unrolled: 1-line block ×3, first 2 shown]
	v_add_co_u32_e32 v160, vcc, s64, v186
	s_waitcnt lgkmcnt(1)
	v_mov_b32_e32 v174, v168
	s_waitcnt lgkmcnt(0)
	v_mfma_f32_16x16x16_bf16 a[16:19], v[184:185], v[150:151], a[16:19]
	ds_read2st64_b64 v[148:151], v125 offset0:16 offset1:24
	v_addc_co_u32_e32 v161, vcc, 0, v187, vcc
	v_mfma_f32_16x16x16_bf16 a[32:35], v[184:185], v[154:155], a[20:23]
	ds_read2st64_b64 v[152:155], v126 offset0:16 offset1:24
	v_mov_b32_e32 v175, v169
	v_mov_b32_e32 v168, v166
	v_mfma_f32_16x16x16_bf16 a[24:27], v[184:185], v[158:159], a[24:27]
	v_mov_b32_e32 v169, v167
	s_waitcnt lgkmcnt(0)
	v_mov_b32_e32 v158, v152
	v_mov_b32_e32 v159, v153
	v_mfma_f32_16x16x16_bf16 a[36:39], v[184:185], v[162:163], a[28:31]
	v_mov_b32_e32 v152, v150
	v_mov_b32_e32 v153, v151
	;; [unrolled: 1-line block ×3, first 2 shown]
	v_mfma_f32_16x16x16_bf16 a[20:23], v[182:183], v[74:75], a[16:19]
	v_add_co_u32_e32 v74, vcc, s65, v186
	v_mov_b32_e32 v157, v149
	v_mfma_f32_16x16x16_bf16 a[28:31], v[182:183], v[176:177], a[32:35]
	v_addc_co_u32_e32 v75, vcc, 0, v187, vcc
	global_store_dwordx4 v[74:75], v[152:155], off
	v_mfma_f32_16x16x16_bf16 a[16:19], v[182:183], v[178:179], a[24:27]
	s_waitcnt vmcnt(2)
	v_mov_b32_e32 v76, v69
	v_mov_b32_e32 v75, v68
	;; [unrolled: 1-line block ×3, first 2 shown]
	v_mfma_f32_16x16x16_bf16 a[24:27], v[182:183], v[180:181], a[36:39]
	s_and_b64 vcc, exec, s[0:1]
	global_store_dwordx4 v[186:187], v[172:175], off
	global_store_dwordx4 v[160:161], v[168:171], off offset:-4096
	global_store_dwordx4 v[160:161], v[156:159], off
	s_cbranch_vccnz .LBB142_16
; %bb.15:                               ;   in Loop: Header=BB142_6 Depth=1
	v_lshrrev_b32_e32 v67, 3, v146
	v_and_b32_e32 v67, 6, v67
	v_xor_b32_e32 v68, v67, v147
	v_lshlrev_b32_e32 v68, 2, v68
	v_and_b32_e32 v69, 8, v146
	v_xor_b32_e32 v146, 0x440, v68
	v_cmp_eq_u32_e32 vcc, 0, v69
	v_perm_b32 v69, v54, v50, s61
	s_nop 0
	v_cndmask_b32_e32 v68, v146, v68, vcc
	v_lshl_or_b32 v67, v67, 10, v68
	v_perm_b32 v68, v62, v58, s61
	s_barrier
	ds_write2st64_b32 v67, v68, v69 offset0:128 offset1:160
	v_xor_b32_e32 v68, 8, v67
	v_perm_b32 v58, v62, v58, s62
	v_perm_b32 v50, v54, v50, s62
	v_add_u32_e32 v54, 0x80, v68
	ds_write2st64_b32 v54, v58, v50 offset0:128 offset1:160
	v_xor_b32_e32 v50, 16, v67
	v_perm_b32 v54, v63, v59, s61
	v_perm_b32 v58, v55, v51, s61
	ds_write2st64_b32 v50, v54, v58 offset0:129 offset1:161
	v_xor_b32_e32 v50, 24, v67
	v_perm_b32 v54, v63, v59, s62
	v_perm_b32 v51, v55, v51, s62
	v_add_u32_e32 v50, 0x80, v50
	ds_write2st64_b32 v50, v54, v51 offset0:129 offset1:161
	v_xor_b32_e32 v50, 32, v67
	v_perm_b32 v51, v64, v60, s61
	v_perm_b32 v54, v56, v52, s61
	;; [unrolled: 9-line block ×3, first 2 shown]
	ds_write2st64_b32 v50, v51, v52 offset0:131 offset1:163
	v_xor_b32_e32 v50, 56, v67
	v_perm_b32 v51, v65, v61, s62
	v_perm_b32 v52, v57, v53, s62
	v_add_u32_e32 v50, 0x80, v50
	ds_write2st64_b32 v50, v51, v52 offset0:131 offset1:163
	ds_write_b64 v145, v[46:47] offset:49152
	v_xor_b32_e32 v46, 8, v145
	ds_write_b64 v46, v[48:49] offset:49152
	ds_write_b64 v145, v[42:43] offset:57344
	;; [unrolled: 1-line block ×4, first 2 shown]
	v_xor_b32_e32 v38, 8, v144
	ds_write_b64 v38, v[40:41] offset:49152
	ds_write_b64 v144, v[34:35] offset:57344
	;; [unrolled: 1-line block ×3, first 2 shown]
.LBB142_16:                             ;   in Loop: Header=BB142_6 Depth=1
	v_exp_f32_e32 v68, s20
	s_waitcnt vmcnt(4)
	v_exp_f32_e32 v70, v70
	v_exp_f32_e32 v71, v71
	;; [unrolled: 1-line block ×4, first 2 shown]
	v_accvgpr_read_b32 v37, a3
	v_accvgpr_read_b32 v36, a2
	v_accvgpr_read_b32 v35, a1
	v_accvgpr_read_b32 v34, a0
	v_pk_mul_f32 v[70:71], v[68:69], v[70:71] op_sel_hi:[0,1]
	v_pk_mul_f32 v[72:73], v[68:69], v[72:73] op_sel_hi:[0,1]
	v_pk_fma_f32 v[30:31], v[30:31], v[70:71], v[34:35]
	v_pk_fma_f32 v[32:33], v[32:33], v[72:73], v[36:37]
	v_exp_f32_e32 v34, v66
	v_exp_f32_e32 v35, v74
	;; [unrolled: 1-line block ×4, first 2 shown]
	v_accvgpr_read_b32 v41, a7
	v_accvgpr_read_b32 v45, a11
	;; [unrolled: 1-line block ×28, first 2 shown]
	v_pk_mul_f32 v[34:35], v[68:69], v[34:35] op_sel_hi:[0,1]
	v_pk_mul_f32 v[36:37], v[68:69], v[36:37] op_sel_hi:[0,1]
	s_add_i32 s60, s60, 64
	v_pk_fma_f32 v[22:23], v[70:71], v[22:23], v[38:39]
	v_pk_fma_f32 v[24:25], v[72:73], v[24:25], v[40:41]
	;; [unrolled: 1-line block ×13, first 2 shown]
	s_cmp_eq_u32 s51, s66
	v_pk_fma_f32 v[8:9], v[36:37], v[8:9], v[64:65]
	s_cbranch_scc1 .LBB142_18
; %bb.17:                               ;   in Loop: Header=BB142_6 Depth=1
	s_mov_b32 s67, s66
	s_branch .LBB142_6
.LBB142_18:
	s_lshl_b32 s44, s51, 6
	s_sub_i32 s45, s12, s44
	s_cmp_gt_i32 s45, 0
	v_or_b32_e32 v50, s2, v87
	s_cbranch_scc1 .LBB142_20
; %bb.19:
	s_ashr_i32 s0, s33, 31
	s_add_u32 s24, s48, s33
	s_addc_u32 s25, s54, s0
	v_or_b32_e32 v34, s2, v87
	s_cbranch_execz .LBB142_21
	s_branch .LBB142_101
.LBB142_20:
                                        ; implicit-def: $sgpr24_sgpr25
                                        ; implicit-def: $vgpr34
.LBB142_21:
	s_ashr_i32 s37, s50, 31
	s_ashr_i32 s3, s44, 31
	s_cmpk_lg_i32 s15, 0x80
	s_cselect_b64 s[40:41], -1, 0
	s_and_b64 vcc, exec, s[40:41]
	s_cbranch_vccz .LBB142_23
; %bb.22:
	s_mul_hi_i32 s0, s50, s12
	s_add_u32 s1, s46, s44
	s_addc_u32 s0, s0, s3
	s_mul_i32 s20, s1, s52
	s_mul_hi_u32 s21, s1, s14
	s_add_i32 s20, s21, s20
	s_mul_i32 s0, s0, s14
	s_add_i32 s20, s20, s0
	s_mul_i32 s1, s1, s14
	s_ashr_i32 s0, s55, 31
	s_add_u32 s42, s1, s55
	s_addc_u32 s43, s20, s0
	s_cbranch_execz .LBB142_24
	s_branch .LBB142_25
.LBB142_23:
                                        ; implicit-def: $sgpr42_sgpr43
.LBB142_24:
	s_mul_hi_i32 s0, s50, s14
	s_mul_i32 s50, s50, s14
	s_ashr_i32 s1, s55, 31
	s_add_u32 s14, s50, s55
	s_addc_u32 s0, s0, s1
	s_mul_i32 s1, s14, s49
	s_mul_hi_u32 s20, s14, s12
	s_add_i32 s1, s20, s1
	s_mul_i32 s0, s0, s12
	s_add_i32 s1, s1, s0
	s_mul_i32 s14, s14, s12
	s_add_u32 s42, s14, s44
	s_addc_u32 s43, s1, s3
.LBB142_25:
	s_add_i32 s20, s53, s51
	s_ashr_i32 s14, s33, 31
	s_add_u32 s24, s48, s33
	s_addc_u32 s25, s54, s14
	s_mul_i32 s0, s24, s49
	s_mul_hi_u32 s1, s24, s12
	s_add_i32 s0, s1, s0
	s_mul_i32 s1, s25, s12
	s_add_i32 s1, s0, s1
	s_mul_i32 s0, s24, s12
	s_add_u32 s0, s0, s44
	v_lshlrev_b32_e32 v38, 6, v1
	v_lshlrev_b32_e32 v58, 2, v87
	s_addc_u32 s1, s1, s3
	s_mov_b32 s3, 0x7060302
	v_or_b32_e32 v41, v38, v58
	v_xor_b32_e32 v39, v1, v58
	v_perm_b32 v35, v33, v32, s3
	v_perm_b32 v34, v31, v30, s3
	;; [unrolled: 1-line block ×4, first 2 shown]
	v_lshlrev_b32_e32 v41, 1, v41
	v_xor_b32_e32 v40, v90, v58
	ds_write2st64_b64 v41, v[34:35], v[36:37] offset0:32 offset1:48
	v_lshlrev_b32_e32 v39, 1, v39
	v_lshlrev_b32_e32 v41, 8, v87
	v_or_b32_e32 v42, v39, v41
	v_lshlrev_b32_e32 v40, 1, v40
	ds_write_b64 v42, v[34:35]
	v_or_b32_e32 v34, v40, v41
	v_or_b32_e32 v41, 16, v87
	v_lshlrev_b32_e32 v57, 2, v41
	v_or_b32_e32 v42, v38, v57
	ds_write_b64 v34, v[36:37]
	v_perm_b32 v35, v25, v24, s3
	v_perm_b32 v34, v23, v22, s3
	;; [unrolled: 1-line block ×4, first 2 shown]
	v_lshlrev_b32_e32 v42, 1, v42
	v_lshlrev_b32_e32 v41, 8, v41
	ds_write2st64_b64 v42, v[34:35], v[36:37] offset0:32 offset1:48
	v_or_b32_e32 v42, v39, v41
	ds_write_b64 v42, v[34:35]
	v_or_b32_e32 v34, v40, v41
	v_or_b32_e32 v41, 32, v87
	v_lshlrev_b32_e32 v56, 2, v41
	v_or_b32_e32 v42, v38, v56
	ds_write_b64 v34, v[36:37]
	v_perm_b32 v35, v17, v16, s3
	v_perm_b32 v34, v15, v14, s3
	v_perm_b32 v37, v13, v12, s3
	v_perm_b32 v36, v11, v10, s3
	v_lshlrev_b32_e32 v42, 1, v42
	v_lshlrev_b32_e32 v41, 8, v41
	s_lshl_b64 s[26:27], s[0:1], 8
	ds_write2st64_b64 v42, v[34:35], v[36:37] offset0:32 offset1:48
	v_or_b32_e32 v42, v39, v41
	s_add_u32 s0, s6, s26
	ds_write_b64 v42, v[34:35]
	v_or_b32_e32 v34, v40, v41
	s_addc_u32 s1, s7, s27
	ds_write_b64 v34, v[36:37]
	v_perm_b32 v35, v5, v4, s3
	v_perm_b32 v34, v3, v2, s3
	v_perm_b32 v37, v9, v8, s3
	v_perm_b32 v36, v7, v6, s3
	v_or_b32_e32 v41, 48, v87
	s_mul_hi_i32 s3, s20, s13
	s_mul_i32 s20, s20, s13
	v_lshlrev_b32_e32 v53, 2, v41
	s_add_u32 s6, s20, s33
	v_or_b32_e32 v38, v38, v53
	s_addc_u32 s7, s3, s14
	v_lshlrev_b32_e32 v38, 1, v38
	s_ashr_i32 s3, s2, 31
	s_lshl_b64 s[6:7], s[6:7], 15
	ds_write2st64_b64 v38, v[34:35], v[36:37] offset0:32 offset1:48
	v_lshlrev_b32_e32 v38, 8, v41
	s_waitcnt lgkmcnt(0)
	s_add_u32 s6, s38, s6
	v_or_b32_e32 v39, v39, v38
	s_addc_u32 s7, s39, s7
	s_lshl_b64 s[2:3], s[2:3], 8
	ds_write_b64 v39, v[34:35]
	v_or_b32_e32 v34, v40, v38
	s_add_u32 s2, s6, s2
	v_lshlrev_b32_e32 v35, 1, v87
	ds_write_b64 v34, v[36:37]
	v_lshrrev_b32_e32 v34, 4, v0
	s_addc_u32 s3, s7, s3
	v_or_b32_e32 v36, 1, v35
	v_lshlrev_b32_e32 v42, 4, v87
	v_mov_b32_e32 v43, 0
	v_xor_b32_e32 v35, v34, v35
	v_xor_b32_e32 v38, v36, v34
	v_lshl_add_u64 v[44:45], s[2:3], 0, v[42:43]
	v_lshlrev_b32_e32 v42, 8, v34
	v_lshl_or_b32 v48, v35, 3, v42
	v_lshl_or_b32 v49, v38, 3, v42
	s_waitcnt lgkmcnt(0)
	s_barrier
	ds_read2st64_b64 v[34:37], v48 offset1:8
	ds_read2st64_b64 v[38:41], v49 offset1:8
	v_lshl_add_u64 v[46:47], v[44:45], 0, v[42:43]
	s_movk_i32 s2, 0x2000
	s_cmp_lg_u32 s45, 64
	s_waitcnt lgkmcnt(1)
	v_mov_b32_e32 v42, v34
	v_mov_b32_e32 v43, v35
	s_waitcnt lgkmcnt(0)
	v_mov_b32_e32 v44, v38
	v_mov_b32_e32 v45, v39
	global_store_dwordx4 v[46:47], v[42:45], off
	v_mov_b32_e32 v38, v36
	v_mov_b32_e32 v39, v37
	ds_read2st64_b64 v[34:37], v48 offset0:16 offset1:24
	ds_read2st64_b64 v[42:45], v49 offset0:16 offset1:24
	v_add_co_u32_e32 v48, vcc, s2, v46
	s_cselect_b64 s[6:7], -1, 0
	s_nop 0
	v_addc_co_u32_e32 v49, vcc, 0, v47, vcc
	global_store_dwordx4 v[48:49], v[38:41], off offset:-4096
	v_lshl_or_b32 v51, v77, 3, v89
	s_mov_b32 s20, 0
	s_waitcnt lgkmcnt(1)
	v_mov_b32_e32 v38, v34
	v_add_co_u32_e32 v34, vcc, 0x3000, v46
	v_mov_b32_e32 v39, v35
	s_nop 0
	v_addc_co_u32_e32 v35, vcc, 0, v47, vcc
	s_waitcnt lgkmcnt(0)
	v_mov_b32_e32 v40, v42
	v_mov_b32_e32 v41, v43
	;; [unrolled: 1-line block ×4, first 2 shown]
	v_or_b32_e32 v54, 32, v51
	v_and_b32_e32 v52, 56, v88
	s_and_b64 vcc, exec, s[6:7]
	global_store_dwordx4 v[48:49], v[38:41], off
	global_store_dwordx4 v[34:35], v[42:45], off
	s_cbranch_vccz .LBB142_31
; %bb.26:
	s_mov_b32 s22, s20
	s_mov_b32 s23, s20
	;; [unrolled: 1-line block ×3, first 2 shown]
	v_mov_b64_e32 v[40:41], s[22:23]
	v_mov_b64_e32 v[38:39], s[20:21]
	;; [unrolled: 1-line block ×3, first 2 shown]
	v_cmp_gt_i32_e32 vcc, s45, v51
	v_mov_b64_e32 v[36:37], v[40:41]
	s_and_saveexec_b64 s[2:3], vcc
	s_cbranch_execz .LBB142_28
; %bb.27:
	v_lshlrev_b32_e32 v34, 8, v51
	v_mov_b32_e32 v35, 0
	v_lshl_add_u64 v[36:37], s[0:1], 0, v[34:35]
	v_lshlrev_b32_e32 v34, 1, v52
	v_lshl_add_u64 v[42:43], v[36:37], 0, v[34:35]
	global_load_dwordx4 v[38:41], v[42:43], off
	global_load_dwordx4 v[34:37], v[42:43], off offset:128
.LBB142_28:
	s_or_b64 exec, exec, s[2:3]
	s_mov_b32 s22, s20
	s_mov_b32 s23, s20
	;; [unrolled: 1-line block ×3, first 2 shown]
	v_mov_b64_e32 v[48:49], s[22:23]
	v_mov_b64_e32 v[46:47], s[20:21]
	;; [unrolled: 1-line block ×3, first 2 shown]
	v_cmp_gt_i32_e32 vcc, s45, v54
	v_lshlrev_b32_e32 v55, 7, v54
	v_mov_b64_e32 v[44:45], v[48:49]
	s_and_saveexec_b64 s[2:3], vcc
	s_cbranch_execz .LBB142_30
; %bb.29:
	v_lshlrev_b32_e32 v42, 1, v55
	v_mov_b32_e32 v43, 0
	v_lshl_add_u64 v[44:45], s[0:1], 0, v[42:43]
	v_lshlrev_b32_e32 v42, 1, v52
	v_lshl_add_u64 v[60:61], v[44:45], 0, v[42:43]
	global_load_dwordx4 v[46:49], v[60:61], off
	global_load_dwordx4 v[42:45], v[60:61], off offset:128
.LBB142_30:
	s_or_b64 exec, exec, s[2:3]
	v_lshrrev_b32_e32 v59, 3, v52
	v_lshlrev_b32_e32 v60, 3, v51
	v_or_b32_e32 v59, v60, v59
	v_lshlrev_b32_e32 v59, 4, v59
	v_and_b32_e32 v60, 0x78, v60
	v_xor_b32_e32 v59, v59, v60
	s_branch .LBB142_33
.LBB142_31:
                                        ; implicit-def: $vgpr59
                                        ; implicit-def: $vgpr55
                                        ; implicit-def: $vgpr38_vgpr39_vgpr40_vgpr41
                                        ; implicit-def: $vgpr34_vgpr35_vgpr36_vgpr37
                                        ; implicit-def: $vgpr46_vgpr47_vgpr48_vgpr49
                                        ; implicit-def: $vgpr42_vgpr43_vgpr44_vgpr45
	s_cbranch_execz .LBB142_33
; %bb.32:
	s_waitcnt vmcnt(0)
	v_lshlrev_b32_e32 v34, 1, v52
	v_lshl_or_b32 v55, v51, 8, v34
	s_and_b32 s1, s1, 0xffff
	s_mov_b32 s3, 0x20000
	s_movk_i32 s2, 0x4000
	v_lshl_or_b32 v59, v54, 8, v34
	s_movk_i32 s20, 0x80
	buffer_load_dwordx4 v[38:41], v55, s[0:3], 0 offen
	buffer_load_dwordx4 v[34:37], v55, s[0:3], s20 offen
	;; [unrolled: 1-line block ×4, first 2 shown]
	v_lshrrev_b32_e32 v55, 3, v52
	v_lshlrev_b32_e32 v59, 3, v51
	v_or_b32_e32 v55, v59, v55
	v_lshlrev_b32_e32 v55, 4, v55
	v_and_b32_e32 v59, 0x78, v59
	v_xor_b32_e32 v59, v55, v59
	v_lshlrev_b32_e32 v55, 7, v54
.LBB142_33:
	s_movk_i32 s0, 0x1000
	v_and_or_b32 v54, v55, s0, v59
	s_waitcnt vmcnt(1)
	ds_write_b64 v59, v[38:39] offset:49152
	v_xor_b32_e32 v38, 8, v59
	ds_write_b64 v38, v[40:41] offset:49152
	s_waitcnt vmcnt(0)
	ds_write_b64 v59, v[34:35] offset:57344
	ds_write_b64 v38, v[36:37] offset:57344
	;; [unrolled: 1-line block ×3, first 2 shown]
	v_xor_b32_e32 v34, 8, v54
	ds_write_b64 v34, v[48:49] offset:49152
	ds_write_b64 v54, v[42:43] offset:57344
	;; [unrolled: 1-line block ×3, first 2 shown]
	v_or_b32_e32 v34, v84, v87
	v_lshlrev_b32_e32 v34, 3, v34
	v_lshrrev_b32_e32 v35, 5, v85
	s_movk_i32 s0, 0xf8
	v_and_or_b32 v35, v34, s0, v35
	v_lshlrev_b32_e32 v39, 4, v35
	v_lshlrev_b32_e32 v59, 11, v77
	v_and_b32_e32 v40, 0x78, v34
	v_or_b32_e32 v42, 32, v39
	v_and_b32_e32 v38, 0x1000, v59
	v_lshrrev_b32_e32 v35, 1, v85
	v_xor_b32_e32 v42, v42, v40
	v_xor_b32_e32 v34, v39, v40
	v_and_b32_e32 v41, 8, v35
	v_or_b32_e32 v42, v42, v38
	v_or_b32_e32 v34, v34, v38
	v_xor_b32_e32 v65, v42, v41
	v_or_b32_e32 v42, 64, v39
	v_xor_b32_e32 v64, v34, v41
	v_xor_b32_e32 v42, v42, v40
	s_waitcnt lgkmcnt(0)
	s_barrier
	v_or_b32_e32 v45, v42, v38
	ds_read_b64 v[42:43], v64 offset:49152
	v_lshl_or_b32 v46, v86, 8, v58
	v_lshlrev_b32_e32 v60, 1, v46
	v_add_u32_e32 v44, 0x4000, v60
	ds_read2_b64 v[34:37], v44 offset1:16
	v_or_b32_e32 v39, 0x60, v39
	v_xor_b32_e32 v39, v39, v40
	v_or_b32_e32 v38, v39, v38
	v_xor_b32_e32 v66, v45, v41
	v_xor_b32_e32 v67, v38, v41
	ds_read_b64 v[54:55], v65 offset:49152
	ds_read_b64 v[68:69], v66 offset:49152
	;; [unrolled: 1-line block ×3, first 2 shown]
	s_waitcnt lgkmcnt(3)
	v_mfma_f32_16x16x16_bf16 a[0:3], v[42:43], v[34:35], 0
	ds_read2_b64 v[38:41], v44 offset0:32 offset1:48
	s_lshl_b64 s[0:1], s[42:43], 8
	s_add_u32 s4, s4, s0
	v_mfma_f32_16x16x16_bf16 a[4:7], v[42:43], v[36:37], 0
	ds_read2st64_b64 v[34:37], v60 offset0:36 offset1:40
	s_addc_u32 s5, s5, s1
	s_add_i32 s20, s12, -1
	s_waitcnt lgkmcnt(1)
	v_mfma_f32_16x16x16_bf16 a[8:11], v[42:43], v[38:39], 0
	v_or_b32_e32 v38, 64, v46
	v_lshlrev_b32_e32 v61, 1, v38
	s_add_i32 s0, s47, s17
	s_waitcnt lgkmcnt(0)
	v_mfma_f32_16x16x16_bf16 a[0:3], v[54:55], v[34:35], a[0:3]
	v_or_b32_e32 v34, 0x80, v46
	v_lshlrev_b32_e32 v62, 1, v34
	v_or_b32_e32 v34, 0xc0, v46
	v_mfma_f32_16x16x16_bf16 a[12:15], v[42:43], v[40:41], 0
	ds_read2st64_b64 v[38:41], v61 offset0:36 offset1:40
	v_lshlrev_b32_e32 v63, 1, v34
	ds_read2st64_b64 v[42:45], v62 offset0:36 offset1:40
	ds_read2st64_b64 v[46:49], v63 offset0:36 offset1:40
	s_mul_i32 s37, s37, s16
	s_add_i32 s37, s0, s37
	s_mul_i32 s0, s33, s19
	s_mul_hi_u32 s1, s33, s18
	s_ashr_i32 s2, s20, 31
	s_mul_i32 s3, s20, s35
	s_mul_hi_u32 s12, s20, s34
	s_waitcnt lgkmcnt(2)
	v_mfma_f32_16x16x16_bf16 a[4:7], v[54:55], v[38:39], a[4:7]
	s_add_i32 s0, s1, s0
	s_mul_i32 s1, s14, s18
	s_add_i32 s3, s12, s3
	s_mul_i32 s2, s2, s34
	s_waitcnt lgkmcnt(1)
	v_mfma_f32_16x16x16_bf16 a[8:11], v[54:55], v[42:43], a[8:11]
	s_add_i32 s1, s0, s1
	s_add_i32 s3, s3, s2
	s_lshl_b64 s[16:17], s[36:37], 2
	s_waitcnt lgkmcnt(0)
	v_mfma_f32_16x16x16_bf16 a[12:15], v[54:55], v[46:47], a[12:15]
	s_mul_i32 s0, s33, s18
	s_add_u32 s10, s10, s16
	s_addc_u32 s11, s11, s17
	s_lshl_b64 s[0:1], s[0:1], 2
	v_mfma_f32_16x16x16_bf16 a[0:3], v[68:69], v[36:37], a[0:3]
	s_mul_i32 s2, s20, s34
	ds_read_b64 v[34:35], v60 offset:22528
	s_add_u32 s10, s10, s0
	v_mfma_f32_16x16x16_bf16 a[4:7], v[68:69], v[40:41], a[4:7]
	ds_read_b64 v[36:37], v61 offset:22528
	ds_read_b64 v[38:39], v62 offset:22528
	;; [unrolled: 1-line block ×3, first 2 shown]
	s_addc_u32 s11, s11, s1
	s_lshl_b64 s[0:1], s[2:3], 2
	v_mfma_f32_16x16x16_bf16 a[8:11], v[68:69], v[44:45], a[8:11]
	s_add_u32 s0, s10, s0
	s_addc_u32 s1, s11, s1
	s_load_dword s12, s[0:1], 0x0
	v_mfma_f32_16x16x16_bf16 a[12:15], v[68:69], v[48:49], a[12:15]
	s_and_b64 vcc, exec, s[40:41]
	s_waitcnt lgkmcnt(0)
	v_mfma_f32_16x16x16_bf16 a[0:3], v[70:71], v[34:35], a[0:3]
	v_mfma_f32_16x16x16_bf16 a[4:7], v[70:71], v[36:37], a[4:7]
	;; [unrolled: 1-line block ×4, first 2 shown]
	s_cbranch_vccz .LBB142_44
; %bb.34:
	v_lshlrev_b32_e32 v54, 1, v51
	s_and_b64 vcc, exec, s[6:7]
	s_cbranch_vccz .LBB142_45
; %bb.35:
	v_cmp_gt_i32_e32 vcc, s45, v54
	v_mov_b32_e32 v38, 0
	v_mov_b32_e32 v34, 0
	;; [unrolled: 1-line block ×5, first 2 shown]
	s_and_saveexec_b64 s[0:1], vcc
	s_cbranch_execz .LBB142_37
; %bb.36:
	v_mad_i64_i32 v[34:35], s[2:3], s15, v54, 0
	v_lshl_add_u64 v[34:35], v[34:35], 1, s[4:5]
	v_lshlrev_b32_e32 v36, 1, v52
	v_mov_b32_e32 v37, 0
	v_lshl_add_u64 v[34:35], v[34:35], 0, v[36:37]
	global_load_dwordx4 v[34:37], v[34:35], off
.LBB142_37:
	s_or_b64 exec, exec, s[0:1]
	v_or_b32_e32 v55, 1, v54
	v_cmp_gt_i32_e64 s[0:1], s45, v55
	v_mov_b32_e32 v39, 0
	v_mov_b32_e32 v40, 0
	;; [unrolled: 1-line block ×3, first 2 shown]
	s_and_saveexec_b64 s[2:3], s[0:1]
	s_cbranch_execz .LBB142_39
; %bb.38:
	v_mad_i64_i32 v[38:39], s[16:17], s15, v55, 0
	v_lshl_add_u64 v[38:39], v[38:39], 1, s[4:5]
	v_lshlrev_b32_e32 v40, 1, v52
	v_mov_b32_e32 v41, 0
	v_lshl_add_u64 v[38:39], v[38:39], 0, v[40:41]
	global_load_dwordx4 v[38:41], v[38:39], off
.LBB142_39:
	s_or_b64 exec, exec, s[2:3]
	v_mov_b32_e32 v49, 0
	v_mov_b32_e32 v42, 0
	v_mov_b32_e32 v43, 0
	v_mov_b32_e32 v44, 0
	v_mov_b32_e32 v45, 0
	s_and_saveexec_b64 s[2:3], vcc
	s_cbranch_execz .LBB142_41
; %bb.40:
	v_mad_i64_i32 v[42:43], s[16:17], s15, v54, 0
	v_lshl_add_u64 v[42:43], v[42:43], 1, s[4:5]
	v_lshlrev_b32_e32 v44, 1, v52
	v_mov_b32_e32 v45, 0
	v_lshl_add_u64 v[42:43], v[42:43], 0, v[44:45]
	global_load_dwordx4 v[42:45], v[42:43], off offset:128
.LBB142_41:
	s_or_b64 exec, exec, s[2:3]
	v_mov_b32_e32 v48, 0
	v_mov_b32_e32 v47, 0
	;; [unrolled: 1-line block ×3, first 2 shown]
	s_and_saveexec_b64 s[2:3], s[0:1]
	s_cbranch_execz .LBB142_43
; %bb.42:
	v_mad_i64_i32 v[46:47], s[0:1], s15, v55, 0
	v_lshl_add_u64 v[46:47], v[46:47], 1, s[4:5]
	v_lshlrev_b32_e32 v48, 1, v52
	v_mov_b32_e32 v49, 0
	v_lshl_add_u64 v[46:47], v[46:47], 0, v[48:49]
	global_load_dwordx4 v[46:49], v[46:47], off offset:128
.LBB142_43:
	s_or_b64 exec, exec, s[2:3]
	s_branch .LBB142_47
.LBB142_44:
                                        ; implicit-def: $vgpr37
                                        ; implicit-def: $vgpr41
                                        ; implicit-def: $vgpr45
                                        ; implicit-def: $vgpr49
	v_lshrrev_b32_e32 v68, 2, v85
	s_branch .LBB142_48
.LBB142_45:
                                        ; implicit-def: $vgpr37
                                        ; implicit-def: $vgpr41
                                        ; implicit-def: $vgpr45
                                        ; implicit-def: $vgpr49
	s_cbranch_execz .LBB142_47
; %bb.46:
	s_waitcnt vmcnt(0)
	v_mad_u64_u32 v[34:35], s[0:1], v54, s15, v[52:53]
	v_lshlrev_b32_e32 v54, 1, v34
	s_lshl_b32 s2, s15, 7
	s_and_b32 s1, s5, 0xffff
	s_mov_b32 s3, 0x20000
	s_mov_b32 s0, s4
	v_add_lshl_u32 v55, v34, s15, 1
	s_movk_i32 s15, 0x80
	buffer_load_dwordx4 v[34:37], v54, s[0:3], 0 offen
	buffer_load_dwordx4 v[42:45], v54, s[0:3], s15 offen
	;; [unrolled: 1-line block ×4, first 2 shown]
.LBB142_47:
	v_lshrrev_b32_e32 v68, 2, v85
	s_cbranch_execnz .LBB142_60
.LBB142_48:
	s_and_b64 vcc, exec, s[6:7]
	s_cbranch_vccz .LBB142_58
; %bb.49:
	s_waitcnt vmcnt(0)
	v_lshlrev_b32_e32 v39, 1, v51
	v_cmp_gt_i32_e32 vcc, s45, v39
	v_mov_b32_e32 v38, 0
	v_lshlrev_b32_e32 v46, 9, v51
	v_mov_b32_e32 v34, 0
	v_mov_b32_e32 v35, 0
	;; [unrolled: 1-line block ×4, first 2 shown]
	s_and_saveexec_b64 s[0:1], vcc
	s_cbranch_execz .LBB142_51
; %bb.50:
	v_mov_b32_e32 v47, 0
	v_lshl_add_u64 v[34:35], s[4:5], 0, v[46:47]
	v_lshlrev_b32_e32 v36, 1, v52
	v_mov_b32_e32 v37, v47
	v_lshl_add_u64 v[34:35], v[34:35], 0, v[36:37]
	global_load_dwordx4 v[34:37], v[34:35], off
.LBB142_51:
	s_or_b64 exec, exec, s[0:1]
	v_or_b32_e32 v39, 1, v39
	v_cmp_gt_i32_e64 s[0:1], s45, v39
	v_lshlrev_b32_e32 v54, 8, v39
	v_mov_b32_e32 v39, 0
	v_mov_b32_e32 v40, 0
	;; [unrolled: 1-line block ×3, first 2 shown]
	s_and_saveexec_b64 s[2:3], s[0:1]
	s_cbranch_execz .LBB142_53
; %bb.52:
	v_mov_b32_e32 v55, 0
	v_lshl_add_u64 v[38:39], s[4:5], 0, v[54:55]
	v_lshlrev_b32_e32 v40, 1, v52
	v_mov_b32_e32 v41, v55
	v_lshl_add_u64 v[38:39], v[38:39], 0, v[40:41]
	global_load_dwordx4 v[38:41], v[38:39], off
.LBB142_53:
	s_or_b64 exec, exec, s[2:3]
	v_mov_b32_e32 v49, 0
	v_mov_b32_e32 v42, 0
	;; [unrolled: 1-line block ×5, first 2 shown]
	s_and_saveexec_b64 s[2:3], vcc
	s_cbranch_execz .LBB142_55
; %bb.54:
	v_mov_b32_e32 v47, 0
	v_lshl_add_u64 v[42:43], s[4:5], 0, v[46:47]
	v_lshlrev_b32_e32 v46, 1, v52
	v_lshl_add_u64 v[42:43], v[42:43], 0, v[46:47]
	global_load_dwordx4 v[42:45], v[42:43], off offset:128
.LBB142_55:
	s_or_b64 exec, exec, s[2:3]
	v_mov_b32_e32 v48, 0
	v_mov_b32_e32 v47, 0
	;; [unrolled: 1-line block ×3, first 2 shown]
	s_and_saveexec_b64 s[2:3], s[0:1]
	s_cbranch_execz .LBB142_57
; %bb.56:
	v_mov_b32_e32 v55, 0
	v_lshl_add_u64 v[46:47], s[4:5], 0, v[54:55]
	v_lshlrev_b32_e32 v54, 1, v52
	v_lshl_add_u64 v[46:47], v[46:47], 0, v[54:55]
	global_load_dwordx4 v[46:49], v[46:47], off offset:128
.LBB142_57:
	s_or_b64 exec, exec, s[2:3]
	s_branch .LBB142_60
.LBB142_58:
                                        ; implicit-def: $vgpr37
                                        ; implicit-def: $vgpr41
                                        ; implicit-def: $vgpr45
                                        ; implicit-def: $vgpr49
	s_cbranch_execz .LBB142_60
; %bb.59:
	s_waitcnt vmcnt(0)
	v_lshlrev_b32_e32 v34, 1, v52
	v_lshl_or_b32 v52, v51, 9, v34
	s_and_b32 s5, s5, 0xffff
	s_mov_b32 s7, 0x20000
	s_movk_i32 s6, 0x4000
	s_movk_i32 s0, 0x80
	buffer_load_dwordx4 v[34:37], v52, s[4:7], 0 offen
	buffer_load_dwordx4 v[38:41], v52, s[4:7], 0 offen offset:256
	buffer_load_dwordx4 v[42:45], v52, s[4:7], s0 offen
	buffer_load_dwordx4 v[46:49], v52, s[4:7], s0 offen offset:256
.LBB142_60:
	ds_read_b64 v[54:55], v64 offset:57344
	v_add_u32_e32 v52, 0x6000, v60
	ds_read2_b64 v[70:73], v52 offset1:16
	ds_read_b64 v[82:83], v65 offset:57344
	ds_read_b64 v[86:87], v66 offset:57344
	;; [unrolled: 1-line block ×3, first 2 shown]
	ds_read2_b64 v[64:67], v52 offset0:32 offset1:48
	v_and_b32_e32 v52, 12, v68
	v_and_b32_e32 v76, 6, v0
	v_xor_b32_e32 v51, v51, v76
	v_lshlrev_b32_e32 v51, 2, v51
	s_mov_b32 s0, 0x1000504
	s_waitcnt lgkmcnt(4)
	v_mfma_f32_16x16x16_bf16 a[4:7], v[54:55], v[72:73], a[4:7]
	s_mov_b32 s1, 0x3020706
	v_mfma_f32_16x16x16_bf16 a[0:3], v[54:55], v[70:71], a[0:3]
	ds_read2st64_b64 v[68:71], v60 offset0:52 offset1:56
	s_waitcnt lgkmcnt(1)
	v_mfma_f32_16x16x16_bf16 a[8:11], v[54:55], v[64:65], a[8:11]
	v_mfma_f32_16x16x16_bf16 a[12:15], v[54:55], v[66:67], a[12:15]
	ds_read2st64_b64 v[64:67], v61 offset0:52 offset1:56
	ds_read2st64_b64 v[72:75], v62 offset0:52 offset1:56
	;; [unrolled: 1-line block ×3, first 2 shown]
	s_waitcnt lgkmcnt(2)
	v_mfma_f32_16x16x16_bf16 a[4:7], v[82:83], v[64:65], a[4:7]
	v_and_b32_e32 v64, 1, v0
	v_xor_b32_e32 v65, 0x440, v51
	v_cmp_eq_u32_e32 vcc, 0, v64
	v_mfma_f32_16x16x16_bf16 a[0:3], v[82:83], v[68:69], a[0:3]
	s_waitcnt vmcnt(0)
	v_perm_b32 v64, v34, v38, s0
	v_cndmask_b32_e32 v51, v65, v51, vcc
	v_lshl_or_b32 v51, v76, 10, v51
	s_waitcnt lgkmcnt(1)
	v_mfma_f32_16x16x16_bf16 a[8:11], v[82:83], v[72:73], a[8:11]
	v_perm_b32 v65, v42, v46, s0
	ds_read_b64 v[54:55], v60 offset:30720
	ds_read_b64 v[68:69], v61 offset:30720
	;; [unrolled: 1-line block ×4, first 2 shown]
	ds_write2st64_b32 v51, v64, v65 offset0:128 offset1:160
	s_waitcnt lgkmcnt(5)
	v_mfma_f32_16x16x16_bf16 a[12:15], v[82:83], v[78:79], a[12:15]
	v_xor_b32_e32 v64, 8, v51
	v_perm_b32 v34, v34, v38, s1
	v_perm_b32 v38, v42, v46, s1
	v_add_u32_e32 v42, 0x80, v64
	ds_write2st64_b32 v42, v34, v38 offset0:128 offset1:160
	v_xor_b32_e32 v34, 16, v51
	v_perm_b32 v38, v35, v39, s0
	v_perm_b32 v42, v43, v47, s0
	v_mfma_f32_16x16x16_bf16 a[0:3], v[86:87], v[70:71], a[0:3]
	ds_write2st64_b32 v34, v38, v42 offset0:129 offset1:161
	v_xor_b32_e32 v34, 24, v51
	v_perm_b32 v35, v35, v39, s1
	v_mfma_f32_16x16x16_bf16 a[4:7], v[86:87], v[66:67], a[4:7]
	v_perm_b32 v38, v43, v47, s1
	v_add_u32_e32 v34, 0x80, v34
	ds_write2st64_b32 v34, v35, v38 offset0:129 offset1:161
	v_mfma_f32_16x16x16_bf16 a[16:19], v[86:87], v[74:75], a[8:11]
	v_xor_b32_e32 v34, 32, v51
	v_perm_b32 v35, v36, v40, s0
	v_perm_b32 v38, v44, v48, s0
	v_mfma_f32_16x16x16_bf16 a[20:23], v[86:87], v[80:81], a[12:15]
	ds_write2st64_b32 v34, v35, v38 offset0:130 offset1:162
	v_xor_b32_e32 v34, 40, v51
	v_perm_b32 v35, v36, v40, s1
	s_waitcnt lgkmcnt(8)
	v_mfma_f32_16x16x16_bf16 a[12:15], v[88:89], v[54:55], a[0:3]
	v_perm_b32 v36, v44, v48, s1
	v_add_u32_e32 v34, 0x80, v34
	ds_write2st64_b32 v34, v35, v36 offset0:130 offset1:162
	s_waitcnt lgkmcnt(8)
	v_mfma_f32_16x16x16_bf16 a[8:11], v[88:89], v[68:69], a[4:7]
	v_xor_b32_e32 v34, 48, v51
	v_perm_b32 v35, v37, v41, s0
	v_perm_b32 v36, v45, v49, s0
	s_waitcnt lgkmcnt(7)
	v_mfma_f32_16x16x16_bf16 a[4:7], v[88:89], v[90:91], a[16:19]
	ds_write2st64_b32 v34, v35, v36 offset0:131 offset1:163
	v_xor_b32_e32 v34, 56, v51
	v_or_b32_e32 v48, v52, v84
	s_waitcnt lgkmcnt(7)
	v_mfma_f32_16x16x16_bf16 a[0:3], v[88:89], v[92:93], a[20:23]
	v_perm_b32 v35, v37, v41, s1
	v_perm_b32 v36, v45, v49, s1
	v_add_u32_e32 v34, 0x80, v34
	v_cmp_gt_i32_e64 s[0:1], s45, v48
	v_mov_b32_e32 v54, 0
	v_mov_b32_e32 v55, 0
	ds_write2st64_b32 v34, v35, v36 offset0:131 offset1:163
	s_and_saveexec_b64 s[2:3], s[0:1]
	s_cbranch_execz .LBB142_62
; %bb.61:
	v_add_u32_e32 v34, s44, v48
	v_ashrrev_i32_e32 v35, 31, v34
	v_mul_lo_u32 v36, v35, s34
	v_mul_lo_u32 v37, v34, s35
	v_mad_u64_u32 v[34:35], s[4:5], v34, s34, 0
	v_add3_u32 v35, v35, v37, v36
	v_lshl_add_u64 v[34:35], v[34:35], 2, s[10:11]
	global_load_dword v34, v[34:35], off
	s_waitcnt vmcnt(0)
	v_sub_f32_e32 v34, s12, v34
	v_exp_f32_e32 v55, v34
.LBB142_62:
	s_or_b64 exec, exec, s[2:3]
	v_or_b32_e32 v40, 1, v48
	v_cmp_gt_i32_e64 s[2:3], s45, v40
	s_and_saveexec_b64 s[4:5], s[2:3]
	s_cbranch_execz .LBB142_64
; %bb.63:
	v_add_u32_e32 v34, s44, v40
	v_ashrrev_i32_e32 v35, 31, v34
	v_mul_lo_u32 v36, v35, s34
	v_mul_lo_u32 v37, v34, s35
	v_mad_u64_u32 v[34:35], s[6:7], v34, s34, 0
	v_add3_u32 v35, v35, v37, v36
	v_lshl_add_u64 v[34:35], v[34:35], 2, s[10:11]
	global_load_dword v34, v[34:35], off
	s_waitcnt vmcnt(0)
	v_sub_f32_e32 v34, s12, v34
	v_exp_f32_e32 v54, v34
.LBB142_64:
	s_or_b64 exec, exec, s[4:5]
	v_or_b32_e32 v41, 2, v48
	v_cmp_gt_i32_e64 s[4:5], s45, v41
	v_mov_b32_e32 v49, 0
	v_mov_b32_e32 v64, 0
	s_and_saveexec_b64 s[6:7], s[4:5]
	s_cbranch_execz .LBB142_66
; %bb.65:
	v_add_u32_e32 v34, s44, v41
	v_ashrrev_i32_e32 v35, 31, v34
	v_mul_lo_u32 v36, v35, s34
	v_mul_lo_u32 v37, v34, s35
	v_mad_u64_u32 v[34:35], s[16:17], v34, s34, 0
	v_add3_u32 v35, v35, v37, v36
	v_lshl_add_u64 v[34:35], v[34:35], 2, s[10:11]
	global_load_dword v34, v[34:35], off
	s_waitcnt vmcnt(0)
	v_sub_f32_e32 v34, s12, v34
	v_exp_f32_e32 v64, v34
.LBB142_66:
	s_or_b64 exec, exec, s[6:7]
	v_or_b32_e32 v65, 3, v48
	v_cmp_gt_i32_e32 vcc, s45, v65
	s_and_saveexec_b64 s[6:7], vcc
	s_cbranch_execz .LBB142_68
; %bb.67:
	v_add_u32_e32 v34, s44, v65
	v_ashrrev_i32_e32 v35, 31, v34
	v_mul_lo_u32 v36, v35, s34
	v_mul_lo_u32 v37, v34, s35
	v_mad_u64_u32 v[34:35], s[16:17], v34, s34, 0
	v_add3_u32 v35, v35, v37, v36
	v_lshl_add_u64 v[34:35], v[34:35], 2, s[10:11]
	global_load_dword v34, v[34:35], off
	s_waitcnt vmcnt(0)
	v_sub_f32_e32 v34, s12, v34
	v_exp_f32_e32 v49, v34
.LBB142_68:
	s_or_b64 exec, exec, s[6:7]
	s_add_u32 s6, s8, s26
	v_accvgpr_read_b32 v37, a15
	s_addc_u32 s7, s9, s27
	v_ashrrev_i32_e32 v51, 31, v50
	v_accvgpr_read_b32 v36, a14
	v_accvgpr_read_b32 v35, a13
	;; [unrolled: 1-line block ×3, first 2 shown]
	v_lshl_add_u64 v[38:39], v[50:51], 1, s[6:7]
	v_mov_b32_e32 v45, 0
	v_lshlrev_b32_e32 v42, 8, v48
	v_mov_b32_e32 v43, 0
	s_and_saveexec_b64 s[6:7], s[0:1]
	s_cbranch_execz .LBB142_70
; %bb.69:
	v_mov_b32_e32 v43, 0
	v_lshl_add_u64 v[46:47], v[38:39], 0, v[42:43]
	global_load_ushort v43, v[46:47], off
	s_waitcnt vmcnt(0)
	v_lshlrev_b32_e32 v43, 16, v43
	v_sub_f32_e32 v34, v43, v34
	v_mul_f32_e32 v34, v55, v34
	v_lshrrev_b32_e32 v43, 16, v34
.LBB142_70:
	s_or_b64 exec, exec, s[6:7]
	v_lshlrev_b32_e32 v44, 8, v40
	s_and_saveexec_b64 s[6:7], s[2:3]
	s_cbranch_execz .LBB142_72
; %bb.71:
	v_mov_b32_e32 v45, 0
	v_lshl_add_u64 v[46:47], v[38:39], 0, v[44:45]
	global_load_ushort v34, v[46:47], off
	s_waitcnt vmcnt(0)
	v_lshlrev_b32_e32 v34, 16, v34
	v_sub_f32_e32 v34, v34, v35
	v_mul_f32_e32 v34, v54, v34
	v_lshrrev_b32_e32 v45, 16, v34
.LBB142_72:
	s_or_b64 exec, exec, s[6:7]
	v_mov_b32_e32 v66, 0
	v_lshlrev_b32_e32 v46, 8, v41
	v_mov_b32_e32 v47, 0
	s_and_saveexec_b64 s[6:7], s[4:5]
	s_cbranch_execz .LBB142_74
; %bb.73:
	v_mov_b32_e32 v47, 0
	v_lshl_add_u64 v[34:35], v[38:39], 0, v[46:47]
	global_load_ushort v34, v[34:35], off
	s_waitcnt vmcnt(0)
	v_lshlrev_b32_e32 v34, 16, v34
	v_sub_f32_e32 v34, v34, v36
	v_mul_f32_e32 v34, v64, v34
	v_lshrrev_b32_e32 v47, 16, v34
.LBB142_74:
	s_or_b64 exec, exec, s[6:7]
	v_lshlrev_b32_e32 v40, 8, v65
	s_and_saveexec_b64 s[6:7], vcc
	s_cbranch_execz .LBB142_76
; %bb.75:
	v_mov_b32_e32 v41, 0
	v_lshl_add_u64 v[34:35], v[38:39], 0, v[40:41]
	global_load_ushort v34, v[34:35], off
	s_waitcnt vmcnt(0)
	v_lshlrev_b32_e32 v34, 16, v34
	v_sub_f32_e32 v34, v34, v37
	v_mul_f32_e32 v34, v49, v34
	v_lshrrev_b32_e32 v66, 16, v34
.LBB142_76:
	s_or_b64 exec, exec, s[6:7]
	v_lshlrev_b32_e32 v51, 6, v48
	v_accvgpr_read_b32 v37, a11
	s_mov_b32 s6, 0x5040100
	v_or_b32_e32 v41, v51, v58
	v_accvgpr_read_b32 v36, a10
	v_accvgpr_read_b32 v35, a9
	;; [unrolled: 1-line block ×3, first 2 shown]
	v_perm_b32 v67, v66, v47, s6
	v_perm_b32 v66, v45, v43, s6
	v_lshlrev_b32_e32 v41, 1, v41
	v_mov_b32_e32 v45, 0
	v_mov_b32_e32 v43, 0
	ds_write_b64 v41, v[66:67] offset:24576
	s_and_saveexec_b64 s[6:7], s[0:1]
	s_cbranch_execz .LBB142_78
; %bb.77:
	v_mov_b32_e32 v43, 0
	v_lshl_add_u64 v[66:67], v[38:39], 0, v[42:43]
	global_load_ushort v41, v[66:67], off offset:32
	s_waitcnt vmcnt(0)
	v_lshlrev_b32_e32 v41, 16, v41
	v_sub_f32_e32 v34, v41, v34
	v_mul_f32_e32 v34, v55, v34
	v_lshrrev_b32_e32 v43, 16, v34
.LBB142_78:
	s_or_b64 exec, exec, s[6:7]
	s_and_saveexec_b64 s[6:7], s[2:3]
	s_cbranch_execz .LBB142_80
; %bb.79:
	v_mov_b32_e32 v45, 0
	v_lshl_add_u64 v[66:67], v[38:39], 0, v[44:45]
	global_load_ushort v34, v[66:67], off offset:32
	s_waitcnt vmcnt(0)
	v_lshlrev_b32_e32 v34, 16, v34
	v_sub_f32_e32 v34, v34, v35
	v_mul_f32_e32 v34, v54, v34
	v_lshrrev_b32_e32 v45, 16, v34
.LBB142_80:
	s_or_b64 exec, exec, s[6:7]
	v_mov_b32_e32 v41, 0
	v_mov_b32_e32 v47, 0
	s_and_saveexec_b64 s[6:7], s[4:5]
	s_cbranch_execz .LBB142_82
; %bb.81:
	v_mov_b32_e32 v47, 0
	v_lshl_add_u64 v[34:35], v[38:39], 0, v[46:47]
	global_load_ushort v34, v[34:35], off offset:32
	s_waitcnt vmcnt(0)
	v_lshlrev_b32_e32 v34, 16, v34
	v_sub_f32_e32 v34, v34, v36
	v_mul_f32_e32 v34, v64, v34
	v_lshrrev_b32_e32 v47, 16, v34
.LBB142_82:
	s_or_b64 exec, exec, s[6:7]
	s_and_saveexec_b64 s[6:7], vcc
	s_cbranch_execz .LBB142_84
; %bb.83:
	v_mov_b32_e32 v41, 0
	v_lshl_add_u64 v[34:35], v[38:39], 0, v[40:41]
	global_load_ushort v34, v[34:35], off offset:32
	s_waitcnt vmcnt(0)
	v_lshlrev_b32_e32 v34, 16, v34
	v_sub_f32_e32 v34, v34, v37
	v_mul_f32_e32 v34, v49, v34
	v_lshrrev_b32_e32 v41, 16, v34
.LBB142_84:
	s_or_b64 exec, exec, s[6:7]
	s_mov_b32 s6, 0x5040100
	v_accvgpr_read_b32 v37, a7
	v_perm_b32 v67, v41, v47, s6
	v_or_b32_e32 v41, v51, v57
	v_accvgpr_read_b32 v36, a6
	v_accvgpr_read_b32 v35, a5
	;; [unrolled: 1-line block ×3, first 2 shown]
	v_perm_b32 v66, v45, v43, s6
	v_lshlrev_b32_e32 v41, 1, v41
	v_mov_b32_e32 v45, 0
	v_mov_b32_e32 v43, 0
	ds_write_b64 v41, v[66:67] offset:24576
	s_and_saveexec_b64 s[6:7], s[0:1]
	s_cbranch_execz .LBB142_86
; %bb.85:
	v_mov_b32_e32 v43, 0
	v_lshl_add_u64 v[66:67], v[38:39], 0, v[42:43]
	global_load_ushort v41, v[66:67], off offset:64
	s_waitcnt vmcnt(0)
	v_lshlrev_b32_e32 v41, 16, v41
	v_sub_f32_e32 v34, v41, v34
	v_mul_f32_e32 v34, v55, v34
	v_lshrrev_b32_e32 v43, 16, v34
.LBB142_86:
	s_or_b64 exec, exec, s[6:7]
	s_and_saveexec_b64 s[6:7], s[2:3]
	s_cbranch_execz .LBB142_88
; %bb.87:
	v_mov_b32_e32 v45, 0
	v_lshl_add_u64 v[66:67], v[38:39], 0, v[44:45]
	global_load_ushort v34, v[66:67], off offset:64
	s_waitcnt vmcnt(0)
	v_lshlrev_b32_e32 v34, 16, v34
	v_sub_f32_e32 v34, v34, v35
	v_mul_f32_e32 v34, v54, v34
	v_lshrrev_b32_e32 v45, 16, v34
.LBB142_88:
	s_or_b64 exec, exec, s[6:7]
	v_mov_b32_e32 v41, 0
	v_mov_b32_e32 v47, 0
	s_and_saveexec_b64 s[6:7], s[4:5]
	s_cbranch_execz .LBB142_90
; %bb.89:
	v_mov_b32_e32 v47, 0
	v_lshl_add_u64 v[34:35], v[38:39], 0, v[46:47]
	global_load_ushort v34, v[34:35], off offset:64
	s_waitcnt vmcnt(0)
	v_lshlrev_b32_e32 v34, 16, v34
	v_sub_f32_e32 v34, v34, v36
	v_mul_f32_e32 v34, v64, v34
	v_lshrrev_b32_e32 v47, 16, v34
.LBB142_90:
	s_or_b64 exec, exec, s[6:7]
	s_and_saveexec_b64 s[6:7], vcc
	s_cbranch_execz .LBB142_92
; %bb.91:
	v_mov_b32_e32 v41, 0
	v_lshl_add_u64 v[34:35], v[38:39], 0, v[40:41]
	global_load_ushort v34, v[34:35], off offset:64
	s_waitcnt vmcnt(0)
	v_lshlrev_b32_e32 v34, 16, v34
	v_sub_f32_e32 v34, v34, v37
	v_mul_f32_e32 v34, v49, v34
	v_lshrrev_b32_e32 v41, 16, v34
.LBB142_92:
	s_or_b64 exec, exec, s[6:7]
	s_mov_b32 s6, 0x5040100
	v_accvgpr_read_b32 v37, a3
	v_perm_b32 v67, v41, v47, s6
	v_or_b32_e32 v41, v51, v56
	v_accvgpr_read_b32 v36, a2
	v_accvgpr_read_b32 v35, a1
	;; [unrolled: 1-line block ×3, first 2 shown]
	v_perm_b32 v66, v45, v43, s6
	v_lshlrev_b32_e32 v41, 1, v41
	v_mov_b32_e32 v45, 0
	v_mov_b32_e32 v43, 0
	ds_write_b64 v41, v[66:67] offset:24576
	s_and_saveexec_b64 s[6:7], s[0:1]
	s_cbranch_execz .LBB142_94
; %bb.93:
	v_mov_b32_e32 v43, 0
	v_lshl_add_u64 v[42:43], v[38:39], 0, v[42:43]
	global_load_ushort v41, v[42:43], off offset:96
	s_waitcnt vmcnt(0)
	v_lshlrev_b32_e32 v41, 16, v41
	v_sub_f32_e32 v34, v41, v34
	v_mul_f32_e32 v34, v55, v34
	v_lshrrev_b32_e32 v43, 16, v34
.LBB142_94:
	s_or_b64 exec, exec, s[6:7]
	s_and_saveexec_b64 s[0:1], s[2:3]
	s_cbranch_execz .LBB142_96
; %bb.95:
	v_mov_b32_e32 v45, 0
	v_lshl_add_u64 v[44:45], v[38:39], 0, v[44:45]
	global_load_ushort v34, v[44:45], off offset:96
	s_waitcnt vmcnt(0)
	v_lshlrev_b32_e32 v34, 16, v34
	v_sub_f32_e32 v34, v34, v35
	v_mul_f32_e32 v34, v54, v34
	v_lshrrev_b32_e32 v45, 16, v34
.LBB142_96:
	s_or_b64 exec, exec, s[0:1]
	v_mov_b32_e32 v41, 0
	v_mov_b32_e32 v44, 0
	s_and_saveexec_b64 s[0:1], s[4:5]
	s_cbranch_execz .LBB142_98
; %bb.97:
	v_mov_b32_e32 v47, 0
	v_lshl_add_u64 v[34:35], v[38:39], 0, v[46:47]
	global_load_ushort v34, v[34:35], off offset:96
	s_waitcnt vmcnt(0)
	v_lshlrev_b32_e32 v34, 16, v34
	v_sub_f32_e32 v34, v34, v36
	v_mul_f32_e32 v34, v64, v34
	v_lshrrev_b32_e32 v44, 16, v34
.LBB142_98:
	s_or_b64 exec, exec, s[0:1]
	v_or_b32_e32 v34, 0x6000, v60
	v_or_b32_e32 v35, 0x6000, v61
	;; [unrolled: 1-line block ×4, first 2 shown]
	s_and_saveexec_b64 s[0:1], vcc
	s_cbranch_execz .LBB142_100
; %bb.99:
	v_mov_b32_e32 v41, 0
	v_lshl_add_u64 v[38:39], v[38:39], 0, v[40:41]
	global_load_ushort v38, v[38:39], off offset:96
	s_waitcnt vmcnt(0)
	v_lshlrev_b32_e32 v38, 16, v38
	v_sub_f32_e32 v37, v38, v37
	v_mul_f32_e32 v37, v49, v37
	v_lshrrev_b32_e32 v41, 16, v37
.LBB142_100:
	s_or_b64 exec, exec, s[0:1]
	s_mov_b32 s0, 0x5040100
	v_or_b32_e32 v37, v51, v53
	v_perm_b32 v39, v41, v44, s0
	v_perm_b32 v38, v45, v43, s0
	v_lshlrev_b32_e32 v37, 1, v37
	ds_write_b64 v37, v[38:39] offset:24576
	v_and_b32_e32 v37, 7, v0
	v_and_b32_e32 v43, 8, v0
	v_lshlrev_b32_e32 v49, 3, v37
	v_lshlrev_b32_e32 v51, 7, v37
	v_lshrrev_b32_e32 v37, 1, v0
	v_and_b32_e32 v37, 24, v37
	v_mov_b32_e32 v44, 0x400
	v_cmp_eq_u32_e32 vcc, 0, v43
	s_movk_i32 s2, 0x100
	v_lshlrev_b32_e32 v53, 3, v77
	v_cndmask_b32_e64 v43, v44, 64, vcc
	v_mov_b32_e32 v44, 0xa000
	v_mov_b32_e32 v45, 0x8000
	v_cmp_gt_u32_e64 s[0:1], s2, v0
	v_xor_b32_e32 v58, v53, v37
	v_or3_b32 v43, v59, v43, v58
	v_cndmask_b32_e64 v0, v44, v45, s[0:1]
	v_or_b32_e32 v44, 0x440, v58
	v_cndmask_b32_e32 v44, v44, v58, vcc
	v_or_b32_e32 v44, v44, v59
	v_xor_b32_e32 v43, v43, v49
	v_xor_b32_e32 v82, v44, v49
	v_or_b32_e32 v84, v43, v51
	v_add3_u32 v44, v0, v82, v51
	v_or_b32_e32 v43, v0, v84
	s_waitcnt lgkmcnt(0)
	s_barrier
	ds_read_b64 v[60:61], v44
	ds_read_b64 v[80:81], v43
	v_or_b32_e32 v44, 32, v37
	v_or_b32_e32 v37, 0x60, v37
	v_xor_b32_e32 v44, v53, v44
	v_xor_b32_e32 v37, v53, v37
	v_or_b32_e32 v45, 0x440, v44
	v_xor_b32_e32 v43, 0x440, v37
	v_cndmask_b32_e32 v44, v45, v44, vcc
	v_cndmask_b32_e32 v37, v43, v37, vcc
	v_or_b32_e32 v44, v44, v59
	v_or_b32_e32 v37, v37, v59
	v_xor_b32_e32 v83, v44, v49
	v_xor_b32_e32 v85, v37, v49
	v_add3_u32 v44, v0, v83, v51
	v_add3_u32 v0, v0, v85, v51
	ds_read2_b64 v[38:41], v34 offset1:16
	ds_read_b64 v[72:73], v44
	ds_read_b64 v[58:59], v0
	ds_read2_b64 v[44:47], v34 offset0:32 offset1:48
	s_add_i32 s0, s20, s46
	s_mul_hi_i32 s1, s0, s13
	s_mul_i32 s0, s0, s13
	s_waitcnt lgkmcnt(3)
	v_mfma_f32_16x16x16_bf16 a[0:3], v[60:61], v[38:39], 0
	ds_read2st64_b64 v[54:57], v34 offset0:4 offset1:8
	s_add_u32 s0, s0, s33
	ds_read2st64_b64 v[64:67], v36 offset0:4 offset1:8
	v_mfma_f32_16x16x16_bf16 a[4:7], v[60:61], v[40:41], 0
	ds_read2st64_b64 v[68:71], v42 offset0:4 offset1:8
	s_addc_u32 s1, s1, s14
	s_lshl_b64 s[0:1], s[0:1], 9
	s_waitcnt lgkmcnt(3)
	v_mfma_f32_16x16x16_bf16 a[8:11], v[60:61], v[44:45], 0
	s_add_u32 s0, s30, s0
	s_addc_u32 s1, s31, s1
	v_lshlrev_b32_e32 v0, 2, v48
	v_mfma_f32_16x16x16_bf16 a[12:15], v[60:61], v[46:47], 0
	ds_read2st64_b64 v[60:63], v35 offset0:4 offset1:8
	v_lshlrev_b32_e32 v37, 2, v52
	s_waitcnt lgkmcnt(3)
	v_mfma_f32_16x16x16_bf16 a[0:3], v[72:73], v[54:55], a[0:3]
	s_waitcnt lgkmcnt(0)
	v_mfma_f32_16x16x16_bf16 a[4:7], v[72:73], v[60:61], a[4:7]
	v_mfma_f32_16x16x16_bf16 a[8:11], v[72:73], v[64:65], a[8:11]
	;; [unrolled: 1-line block ×3, first 2 shown]
	global_load_dwordx4 v[72:75], v0, s[0:1]
	v_lshlrev_b32_e32 v0, 6, v77
	v_or3_b32 v0, v0, v37, s2
	global_load_dwordx4 v[76:79], v0, s[0:1]
	v_mfma_f32_16x16x16_bf16 a[0:3], v[80:81], v[56:57], a[0:3]
	v_exp_f32_e32 v0, s12
	s_waitcnt vmcnt(1)
	v_exp_f32_e32 v37, v75
	v_mfma_f32_16x16x16_bf16 a[4:7], v[80:81], v[62:63], a[4:7]
	v_mfma_f32_16x16x16_bf16 a[8:11], v[80:81], v[66:67], a[8:11]
	;; [unrolled: 1-line block ×3, first 2 shown]
	ds_read_b64 v[48:49], v34 offset:6144
	ds_read_b64 v[52:53], v35 offset:6144
	;; [unrolled: 1-line block ×4, first 2 shown]
	v_exp_f32_e32 v34, v72
	v_add_u32_e32 v72, v82, v51
	v_exp_f32_e32 v35, v73
	ds_read_b64 v[72:73], v72 offset:40960
	s_waitcnt lgkmcnt(4)
	v_mfma_f32_16x16x16_bf16 a[0:3], v[58:59], v[48:49], a[0:3]
	v_exp_f32_e32 v36, v74
	v_pk_mul_f32 v[34:35], v[0:1], v[34:35] op_sel_hi:[0,1]
	v_pk_mul_f32 v[30:31], v[30:31], v[34:35]
	s_waitcnt lgkmcnt(3)
	v_mfma_f32_16x16x16_bf16 a[4:7], v[58:59], v[52:53], a[4:7]
	v_pk_mul_f32 v[36:37], v[0:1], v[36:37] op_sel_hi:[0,1]
	v_pk_mul_f32 v[32:33], v[32:33], v[36:37]
	v_pk_mul_f32 v[22:23], v[34:35], v[22:23]
	s_waitcnt lgkmcnt(0)
	v_mfma_f32_16x16x16_bf16 a[20:23], v[72:73], v[40:41], 0
	v_accvgpr_read_b32 v40, a0
	v_add_f32_e32 v30, v30, v40
	v_accvgpr_read_b32 v40, a1
	v_add_f32_e32 v31, v31, v40
	;; [unrolled: 2-line block ×4, first 2 shown]
	v_accvgpr_read_b32 v40, a4
	v_mfma_f32_16x16x16_bf16 a[8:11], v[58:59], v[80:81], a[8:11]
	v_add_f32_e32 v22, v22, v40
	v_accvgpr_read_b32 v40, a5
	v_add_f32_e32 v23, v23, v40
	v_mfma_f32_16x16x16_bf16 a[12:15], v[58:59], v[42:43], a[12:15]
	v_add_u32_e32 v58, v83, v51
	v_add_u32_e32 v51, v85, v51
	ds_read_b64 v[58:59], v58 offset:40960
	ds_read_b64 v[74:75], v51 offset:40960
	ds_read_b64 v[40:41], v84 offset:40960
	v_mfma_f32_16x16x16_bf16 a[16:19], v[72:73], v[38:39], 0
	v_pk_mul_f32 v[24:25], v[36:37], v[24:25]
	v_pk_mul_f32 v[14:15], v[34:35], v[14:15]
	;; [unrolled: 1-line block ×3, first 2 shown]
	v_mfma_f32_16x16x16_bf16 a[24:27], v[72:73], v[44:45], 0
	v_accvgpr_read_b32 v44, a6
	v_add_f32_e32 v24, v24, v44
	v_accvgpr_read_b32 v44, a7
	s_waitcnt lgkmcnt(2)
	v_mfma_f32_16x16x16_bf16 a[0:3], v[58:59], v[54:55], a[16:19]
	v_add_f32_e32 v25, v25, v44
	v_accvgpr_read_b32 v44, a8
	v_add_f32_e32 v14, v14, v44
	v_accvgpr_read_b32 v44, a9
	;; [unrolled: 2-line block ×4, first 2 shown]
	v_accvgpr_read_b32 v39, a15
	v_accvgpr_read_b32 v38, a14
	v_mfma_f32_16x16x16_bf16 a[14:17], v[58:59], v[60:61], a[20:23]
	v_add_f32_e32 v17, v17, v44
	v_accvgpr_read_b32 v45, a13
	v_accvgpr_read_b32 v44, a12
	s_waitcnt lgkmcnt(0)
	v_mfma_f32_16x16x16_bf16 a[0:3], v[40:41], v[56:57], a[0:3]
	v_pk_fma_f32 v[2:3], v[34:35], v[2:3], v[44:45]
	v_pk_fma_f32 v[4:5], v[36:37], v[4:5], v[38:39]
	s_waitcnt vmcnt(0)
	v_mov_b32_e32 v34, v77
	v_mfma_f32_16x16x16_bf16 a[28:31], v[72:73], v[46:47], 0
	v_mov_b32_e32 v35, v78
	v_mov_b32_e32 v36, v79
	v_exp_f32_e32 v38, v76
	v_exp_f32_e32 v39, v34
	v_mfma_f32_16x16x16_bf16 a[18:21], v[58:59], v[64:65], a[24:27]
	v_exp_f32_e32 v34, v35
	v_exp_f32_e32 v35, v36
	v_pk_mul_f32 v[36:37], v[0:1], v[38:39] op_sel_hi:[0,1]
	v_mfma_f32_16x16x16_bf16 a[14:17], v[40:41], v[62:63], a[14:17]
	v_pk_mul_f32 v[26:27], v[26:27], v[36:37]
	v_pk_mul_f32 v[34:35], v[0:1], v[34:35] op_sel_hi:[0,1]
	v_pk_mul_f32 v[28:29], v[28:29], v[34:35]
	v_mfma_f32_16x16x16_bf16 a[0:3], v[74:75], v[48:49], a[0:3]
	v_pk_mul_f32 v[18:19], v[36:37], v[18:19]
	v_pk_mul_f32 v[20:21], v[34:35], v[20:21]
	;; [unrolled: 1-line block ×3, first 2 shown]
	v_mfma_f32_16x16x16_bf16 a[4:7], v[58:59], v[68:69], a[28:31]
	v_pk_mul_f32 v[12:13], v[34:35], v[12:13]
	v_mfma_f32_16x16x16_bf16 a[8:11], v[40:41], v[66:67], a[18:21]
	s_nop 0
	v_accvgpr_read_b32 v0, a0
	v_add_f32_e32 v26, v26, v0
	v_accvgpr_read_b32 v0, a1
	v_mfma_f32_16x16x16_bf16 a[12:15], v[74:75], v[52:53], a[14:17]
	v_add_f32_e32 v27, v27, v0
	v_accvgpr_read_b32 v0, a2
	v_add_f32_e32 v28, v28, v0
	v_mfma_f32_16x16x16_bf16 a[4:7], v[40:41], v[70:71], a[4:7]
	v_accvgpr_read_b32 v0, a3
	v_add_f32_e32 v29, v29, v0
	v_mfma_f32_16x16x16_bf16 a[8:11], v[74:75], v[80:81], a[8:11]
	v_accvgpr_read_b32 v0, a12
	v_add_f32_e32 v18, v18, v0
	v_accvgpr_read_b32 v0, a13
	v_mfma_f32_16x16x16_bf16 a[4:7], v[74:75], v[42:43], a[4:7]
	v_add_f32_e32 v19, v19, v0
	v_accvgpr_read_b32 v0, a14
	v_add_f32_e32 v20, v20, v0
	v_accvgpr_read_b32 v0, a15
	;; [unrolled: 2-line block ×5, first 2 shown]
	v_accvgpr_read_b32 v41, a5
	v_accvgpr_read_b32 v39, a7
	;; [unrolled: 1-line block ×3, first 2 shown]
	v_add_f32_e32 v12, v12, v0
	v_accvgpr_read_b32 v0, a11
	v_accvgpr_read_b32 v40, a4
	v_add_f32_e32 v13, v13, v0
	v_pk_fma_f32 v[6:7], v[36:37], v[6:7], v[40:41]
	v_pk_fma_f32 v[8:9], v[34:35], v[8:9], v[38:39]
	v_mov_b32_e32 v34, v50
.LBB142_101:
	s_lshl_b64 s[0:1], s[24:25], 16
	s_waitcnt lgkmcnt(0)
	s_add_u32 s0, s28, s0
	v_lshlrev_b32_e32 v34, 7, v34
	s_addc_u32 s1, s29, s1
	v_ashrrev_i32_e32 v35, 31, v34
	v_lshl_add_u64 v[36:37], v[34:35], 2, s[0:1]
	v_lshlrev_b32_e32 v0, 2, v1
	v_mov_b32_e32 v1, 0
	v_lshl_add_u64 v[36:37], v[36:37], 0, v[0:1]
	global_store_dwordx4 v[36:37], v[30:33], off
	global_store_dwordx4 v[36:37], v[26:29], off offset:256
	s_nop 1
	v_or_b32_e32 v26, 0x800, v34
	v_ashrrev_i32_e32 v27, 31, v26
	v_lshl_add_u64 v[26:27], v[26:27], 2, s[0:1]
	v_lshl_add_u64 v[26:27], v[26:27], 0, v[0:1]
	global_store_dwordx4 v[26:27], v[22:25], off
	global_store_dwordx4 v[26:27], v[18:21], off offset:256
	s_nop 1
	v_or_b32_e32 v18, 0x1000, v34
	v_ashrrev_i32_e32 v19, 31, v18
	v_lshl_add_u64 v[18:19], v[18:19], 2, s[0:1]
	;; [unrolled: 7-line block ×3, first 2 shown]
	v_lshl_add_u64 v[0:1], v[10:11], 0, v[0:1]
	global_store_dwordx4 v[0:1], v[2:5], off
	global_store_dwordx4 v[0:1], v[6:9], off offset:256
	s_endpgm
	.section	.rodata,"a",@progbits
	.p2align	6, 0x0
	.amdhsa_kernel _ZN12_GLOBAL__N_139chunk_gated_delta_rule_fwd_h_hip_kernelILi64ELb0ELb1ELb0ELb0ELb1ELb1ELb1ELb0EEEvPK12hip_bfloat16S3_S3_PKfS5_PKvPS1_S8_PvPKiSB_iiiiilll
		.amdhsa_group_segment_fixed_size 65536
		.amdhsa_private_segment_fixed_size 0
		.amdhsa_kernarg_size 136
		.amdhsa_user_sgpr_count 2
		.amdhsa_user_sgpr_dispatch_ptr 0
		.amdhsa_user_sgpr_queue_ptr 0
		.amdhsa_user_sgpr_kernarg_segment_ptr 1
		.amdhsa_user_sgpr_dispatch_id 0
		.amdhsa_user_sgpr_kernarg_preload_length 0
		.amdhsa_user_sgpr_kernarg_preload_offset 0
		.amdhsa_user_sgpr_private_segment_size 0
		.amdhsa_uses_dynamic_stack 0
		.amdhsa_enable_private_segment 0
		.amdhsa_system_sgpr_workgroup_id_x 1
		.amdhsa_system_sgpr_workgroup_id_y 1
		.amdhsa_system_sgpr_workgroup_id_z 0
		.amdhsa_system_sgpr_workgroup_info 0
		.amdhsa_system_vgpr_workitem_id 0
		.amdhsa_next_free_vgpr 228
		.amdhsa_next_free_sgpr 68
		.amdhsa_accum_offset 188
		.amdhsa_reserve_vcc 1
		.amdhsa_float_round_mode_32 0
		.amdhsa_float_round_mode_16_64 0
		.amdhsa_float_denorm_mode_32 3
		.amdhsa_float_denorm_mode_16_64 3
		.amdhsa_dx10_clamp 1
		.amdhsa_ieee_mode 1
		.amdhsa_fp16_overflow 0
		.amdhsa_tg_split 0
		.amdhsa_exception_fp_ieee_invalid_op 0
		.amdhsa_exception_fp_denorm_src 0
		.amdhsa_exception_fp_ieee_div_zero 0
		.amdhsa_exception_fp_ieee_overflow 0
		.amdhsa_exception_fp_ieee_underflow 0
		.amdhsa_exception_fp_ieee_inexact 0
		.amdhsa_exception_int_div_zero 0
	.end_amdhsa_kernel
	.section	.text._ZN12_GLOBAL__N_139chunk_gated_delta_rule_fwd_h_hip_kernelILi64ELb0ELb1ELb0ELb0ELb1ELb1ELb1ELb0EEEvPK12hip_bfloat16S3_S3_PKfS5_PKvPS1_S8_PvPKiSB_iiiiilll,"axG",@progbits,_ZN12_GLOBAL__N_139chunk_gated_delta_rule_fwd_h_hip_kernelILi64ELb0ELb1ELb0ELb0ELb1ELb1ELb1ELb0EEEvPK12hip_bfloat16S3_S3_PKfS5_PKvPS1_S8_PvPKiSB_iiiiilll,comdat
.Lfunc_end142:
	.size	_ZN12_GLOBAL__N_139chunk_gated_delta_rule_fwd_h_hip_kernelILi64ELb0ELb1ELb0ELb0ELb1ELb1ELb1ELb0EEEvPK12hip_bfloat16S3_S3_PKfS5_PKvPS1_S8_PvPKiSB_iiiiilll, .Lfunc_end142-_ZN12_GLOBAL__N_139chunk_gated_delta_rule_fwd_h_hip_kernelILi64ELb0ELb1ELb0ELb0ELb1ELb1ELb1ELb0EEEvPK12hip_bfloat16S3_S3_PKfS5_PKvPS1_S8_PvPKiSB_iiiiilll
                                        ; -- End function
	.section	.AMDGPU.csdata,"",@progbits
; Kernel info:
; codeLenInByte = 12584
; NumSgprs: 74
; NumVgprs: 188
; NumAgprs: 40
; TotalNumVgprs: 228
; ScratchSize: 0
; MemoryBound: 0
; FloatMode: 240
; IeeeMode: 1
; LDSByteSize: 65536 bytes/workgroup (compile time only)
; SGPRBlocks: 9
; VGPRBlocks: 28
; NumSGPRsForWavesPerEU: 74
; NumVGPRsForWavesPerEU: 228
; AccumOffset: 188
; Occupancy: 1
; WaveLimiterHint : 1
; COMPUTE_PGM_RSRC2:SCRATCH_EN: 0
; COMPUTE_PGM_RSRC2:USER_SGPR: 2
; COMPUTE_PGM_RSRC2:TRAP_HANDLER: 0
; COMPUTE_PGM_RSRC2:TGID_X_EN: 1
; COMPUTE_PGM_RSRC2:TGID_Y_EN: 1
; COMPUTE_PGM_RSRC2:TGID_Z_EN: 0
; COMPUTE_PGM_RSRC2:TIDIG_COMP_CNT: 0
; COMPUTE_PGM_RSRC3_GFX90A:ACCUM_OFFSET: 46
; COMPUTE_PGM_RSRC3_GFX90A:TG_SPLIT: 0
	.section	.text._ZN12_GLOBAL__N_139chunk_gated_delta_rule_fwd_h_hip_kernelILi64ELb0ELb0ELb1ELb0ELb1ELb1ELb1ELb0EEEvPK12hip_bfloat16S3_S3_PKfS5_PKvPS1_S8_PvPKiSB_iiiiilll,"axG",@progbits,_ZN12_GLOBAL__N_139chunk_gated_delta_rule_fwd_h_hip_kernelILi64ELb0ELb0ELb1ELb0ELb1ELb1ELb1ELb0EEEvPK12hip_bfloat16S3_S3_PKfS5_PKvPS1_S8_PvPKiSB_iiiiilll,comdat
	.globl	_ZN12_GLOBAL__N_139chunk_gated_delta_rule_fwd_h_hip_kernelILi64ELb0ELb0ELb1ELb0ELb1ELb1ELb1ELb0EEEvPK12hip_bfloat16S3_S3_PKfS5_PKvPS1_S8_PvPKiSB_iiiiilll ; -- Begin function _ZN12_GLOBAL__N_139chunk_gated_delta_rule_fwd_h_hip_kernelILi64ELb0ELb0ELb1ELb0ELb1ELb1ELb1ELb0EEEvPK12hip_bfloat16S3_S3_PKfS5_PKvPS1_S8_PvPKiSB_iiiiilll
	.p2align	8
	.type	_ZN12_GLOBAL__N_139chunk_gated_delta_rule_fwd_h_hip_kernelILi64ELb0ELb0ELb1ELb0ELb1ELb1ELb1ELb0EEEvPK12hip_bfloat16S3_S3_PKfS5_PKvPS1_S8_PvPKiSB_iiiiilll,@function
_ZN12_GLOBAL__N_139chunk_gated_delta_rule_fwd_h_hip_kernelILi64ELb0ELb0ELb1ELb0ELb1ELb1ELb1ELb0EEEvPK12hip_bfloat16S3_S3_PKfS5_PKvPS1_S8_PvPKiSB_iiiiilll: ; @_ZN12_GLOBAL__N_139chunk_gated_delta_rule_fwd_h_hip_kernelILi64ELb0ELb0ELb1ELb0ELb1ELb1ELb1ELb0EEEvPK12hip_bfloat16S3_S3_PKfS5_PKvPS1_S8_PvPKiSB_iiiiilll
; %bb.0:
	s_load_dwordx4 s[16:19], s[0:1], 0x5c
	s_load_dwordx4 s[12:15], s[0:1], 0x30
	s_abs_i32 s22, s3
	s_ashr_i32 s21, s3, 31
	s_load_dwordx8 s[4:11], s[0:1], 0x0
	s_waitcnt lgkmcnt(0)
	s_abs_i32 s20, s17
	v_cvt_f32_u32_e32 v1, s20
	s_sub_i32 s24, 0, s20
	s_ashr_i32 s23, s17, 31
	s_xor_b32 s21, s21, s23
	v_rcp_iflag_f32_e32 v1, v1
	v_lshrrev_b32_e32 v87, 6, v0
	v_bfe_u32 v88, v0, 4, 2
	v_lshlrev_b32_e32 v2, 2, v88
	v_mul_f32_e32 v1, 0x4f7ffffe, v1
	v_cvt_u32_f32_e32 v1, v1
	v_and_b32_e32 v86, 63, v0
	v_mov_b32_e32 v47, 0
	v_and_b32_e32 v45, 15, v0
	v_readfirstlane_b32 s25, v1
	s_mul_i32 s24, s24, s25
	s_mul_hi_u32 s24, s25, s24
	s_add_i32 s25, s25, s24
	s_mul_hi_u32 s24, s22, s25
	s_mul_i32 s25, s24, s20
	s_sub_i32 s22, s22, s25
	s_add_i32 s26, s24, 1
	s_sub_i32 s25, s22, s20
	s_cmp_ge_u32 s22, s20
	s_cselect_b32 s24, s26, s24
	s_cselect_b32 s22, s25, s22
	s_add_i32 s25, s24, 1
	s_cmp_ge_u32 s22, s20
	s_cselect_b32 s22, s25, s24
	s_abs_i32 s24, s18
	v_cvt_f32_u32_e32 v1, s24
	s_xor_b32 s22, s22, s21
	s_ashr_i32 s48, s16, 31
	s_sub_i32 s50, s22, s21
	v_rcp_iflag_f32_e32 v1, v1
	s_lshr_b32 s21, s48, 26
	s_add_i32 s21, s16, s21
	s_ashr_i32 s51, s18, 31
	v_mul_f32_e32 v1, 0x4f7ffffe, v1
	v_cvt_u32_f32_e32 v1, v1
	s_ashr_i32 s49, s21, 6
	s_xor_b32 s21, s23, s51
	s_sub_i32 s22, 0, s24
	v_readfirstlane_b32 s23, v1
	s_mul_i32 s22, s22, s23
	s_mul_hi_u32 s22, s23, s22
	s_add_i32 s23, s23, s22
	s_mul_hi_u32 s22, s20, s23
	s_mul_i32 s23, s22, s24
	s_mul_i32 s47, s50, s17
	s_sub_i32 s20, s20, s23
	s_sub_i32 s33, s3, s47
	s_add_i32 s3, s16, 63
	s_add_i32 s23, s22, 1
	s_sub_i32 s25, s20, s24
	s_cmp_ge_u32 s20, s24
	s_cselect_b32 s22, s23, s22
	s_cselect_b32 s20, s25, s20
	s_add_i32 s23, s22, 1
	s_cmp_ge_u32 s20, s24
	s_cselect_b32 s20, s23, s22
	s_xor_b32 s20, s20, s21
	s_sub_i32 s24, s20, s21
	s_abs_i32 s25, s24
	v_cvt_f32_u32_e32 v1, s25
	s_sub_i32 s27, 0, s25
	s_abs_i32 s26, s33
	s_xor_b32 s24, s33, s24
	v_rcp_iflag_f32_e32 v1, v1
	s_ashr_i32 s24, s24, 31
	s_load_dwordx2 s[34:35], s[0:1], 0x80
	s_load_dwordx4 s[20:23], s[0:1], 0x70
	s_mul_hi_i32 s53, s50, s17
	v_mul_f32_e32 v1, 0x4f7ffffe, v1
	v_cvt_u32_f32_e32 v1, v1
	v_lshrrev_b32_e32 v90, 3, v86
	v_lshlrev_b32_e32 v89, 3, v0
	s_waitcnt lgkmcnt(0)
	s_mul_i32 s21, s50, s21
	v_readfirstlane_b32 s28, v1
	s_mul_i32 s27, s27, s28
	s_mul_hi_u32 s27, s28, s27
	s_add_i32 s28, s28, s27
	s_mul_hi_u32 s27, s26, s28
	s_mul_i32 s28, s27, s25
	s_sub_i32 s26, s26, s28
	s_add_i32 s28, s27, 1
	s_sub_i32 s29, s26, s25
	s_cmp_ge_u32 s26, s25
	s_cselect_b32 s27, s28, s27
	s_cselect_b32 s26, s29, s26
	s_add_i32 s28, s27, 1
	s_cmp_ge_u32 s26, s25
	s_cselect_b32 s25, s28, s27
	s_xor_b32 s25, s25, s24
	s_sub_i32 s54, s25, s24
	s_ashr_i32 s24, s3, 31
	s_lshr_b32 s24, s24, 26
	v_lshlrev_b32_e32 v1, 4, v87
	s_add_i32 s3, s3, s24
	v_or_b32_e32 v91, v2, v1
	s_ashr_i32 s3, s3, 6
	s_lshl_b32 s36, s2, 6
	s_mul_i32 s52, s50, s3
	v_or_b32_e32 v92, 64, v91
	s_cmp_lt_i32 s16, 64
	s_mul_hi_u32 s46, s50, s20
	s_mul_i32 s38, s50, s20
	v_mov_b32_e32 v46, v47
	v_mov_b32_e32 v53, v47
	v_mov_b32_e32 v52, v47
	v_mov_b32_e32 v51, v47
	v_mov_b32_e32 v50, v47
	v_mov_b32_e32 v49, v47
	v_mov_b32_e32 v48, v47
	v_mov_b32_e32 v61, v47
	v_mov_b32_e32 v60, v47
	v_mov_b32_e32 v59, v47
	v_mov_b32_e32 v58, v47
	v_mov_b32_e32 v57, v47
	v_mov_b32_e32 v56, v47
	v_mov_b32_e32 v55, v47
	v_mov_b32_e32 v54, v47
	v_mov_b32_e32 v69, v47
	v_mov_b32_e32 v68, v47
	v_mov_b32_e32 v67, v47
	v_mov_b32_e32 v66, v47
	v_mov_b32_e32 v65, v47
	v_mov_b32_e32 v64, v47
	v_mov_b32_e32 v63, v47
	v_mov_b32_e32 v62, v47
	v_mov_b32_e32 v77, v47
	v_mov_b32_e32 v76, v47
	v_mov_b32_e32 v75, v47
	v_mov_b32_e32 v74, v47
	v_mov_b32_e32 v73, v47
	v_mov_b32_e32 v72, v47
	v_mov_b32_e32 v71, v47
	v_mov_b32_e32 v70, v47
	s_cbranch_scc1 .LBB143_18
; %bb.1:
	s_ashr_i32 s28, s50, 31
	s_ashr_i32 s56, s33, 31
	s_add_u32 s2, s47, s33
	s_addc_u32 s3, s53, s56
	s_mul_i32 s3, s16, s3
	s_mul_hi_u32 s24, s16, s2
	s_add_i32 s41, s24, s3
	s_mul_i32 s40, s16, s2
	s_lshl_b64 s[2:3], s[40:41], 8
	v_and_b32_e32 v94, 56, v89
	s_add_u32 s24, s6, s2
	v_lshl_or_b32 v93, v87, 3, v90
	v_lshlrev_b32_e32 v3, 1, v94
	s_addc_u32 s2, s7, s3
	v_lshl_or_b32 v95, v93, 8, v3
	s_and_b32 s25, s2, 0xffff
	s_mov_b32 s27, 0x20000
	s_movk_i32 s26, 0x4000
	s_movk_i32 s2, 0x80
	v_or_b32_e32 v96, 0x2000, v95
	buffer_load_dwordx4 v[4:7], v95, s[24:27], 0 offen
	buffer_load_dwordx4 v[8:11], v95, s[24:27], s2 offen
	;; [unrolled: 1-line block ×4, first 2 shown]
	v_lshlrev_b32_e32 v20, 3, v93
	v_and_or_b32 v22, v0, 7, v20
	v_and_b32_e32 v20, 0x78, v20
	v_lshlrev_b32_e32 v22, 4, v22
	v_xor_b32_e32 v97, v22, v20
	v_mul_lo_u32 v21, v93, s19
	v_or_b32_e32 v98, 0x1000, v97
	s_cmpk_eq_i32 s19, 0x80
	s_mov_b32 s55, s18
	v_xor_b32_e32 v20, 8, v97
	v_xor_b32_e32 v22, 8, v98
	s_cselect_b64 s[2:3], -1, 0
	s_cmpk_lg_i32 s19, 0x80
	s_waitcnt vmcnt(3)
	ds_write_b64 v97, v[4:5] offset:49152
	ds_write_b64 v20, v[6:7] offset:49152
	s_waitcnt vmcnt(2)
	ds_write_b64 v97, v[8:9] offset:57344
	ds_write_b64 v20, v[10:11] offset:57344
	;; [unrolled: 3-line block ×4, first 2 shown]
	v_lshl_add_u32 v4, v21, 1, v94
	s_cbranch_scc0 .LBB143_3
; %bb.2:
	v_lshlrev_b32_e32 v6, 1, v4
	v_add_lshl_u32 v5, v4, s19, 1
	s_lshl_b32 s26, s19, 7
	s_load_dwordx2 s[42:43], s[0:1], 0x20
	v_lshl_or_b32 v3, v93, 9, v3
	s_cbranch_execz .LBB143_4
	s_branch .LBB143_5
.LBB143_3:
                                        ; implicit-def: $vgpr5
                                        ; implicit-def: $vgpr6
                                        ; implicit-def: $sgpr26
	s_load_dwordx2 s[42:43], s[0:1], 0x20
	v_lshl_or_b32 v3, v93, 9, v3
.LBB143_4:
	v_or_b32_e32 v5, 0x100, v3
	s_movk_i32 s26, 0x4000
	v_mov_b32_e32 v6, v3
.LBB143_5:
	s_mul_hi_u32 s0, s18, s16
	s_mul_i32 s1, s51, s16
	s_add_i32 s0, s0, s1
	s_mul_i32 s1, s18, s16
	s_mul_i32 s24, s1, s28
	s_mul_hi_u32 s25, s1, s50
	s_add_i32 s24, s25, s24
	s_mul_i32 s0, s0, s50
	s_add_i32 s24, s24, s0
	s_mul_i32 s1, s1, s50
	s_ashr_i32 s57, s54, 31
	s_add_u32 s0, s1, s54
	s_addc_u32 s1, s24, s57
	s_lshl_b64 s[0:1], s[0:1], 8
	s_add_u32 s24, s4, s0
	s_addc_u32 s0, s5, s1
	s_and_b32 s25, s0, 0xffff
	s_movk_i32 s58, 0x80
	buffer_load_dwordx4 v[8:11], v6, s[24:27], 0 offen
	buffer_load_dwordx4 v[12:15], v6, s[24:27], s58 offen
	;; [unrolled: 1-line block ×4, first 2 shown]
	v_and_b32_e32 v5, 6, v0
	v_lshlrev_b32_e32 v6, 7, v91
	v_xor_b32_e32 v27, v93, v5
	v_and_b32_e32 v7, 1, v0
	v_lshl_or_b32 v30, v45, 3, v6
	v_lshlrev_b32_e32 v27, 2, v27
	v_or_b32_e32 v99, 0x4000, v30
	v_or_b32_e32 v100, 0x6000, v30
	v_xor_b32_e32 v30, 0x440, v27
	v_cmp_eq_u32_e32 vcc, 0, v7
	v_lshlrev_b32_e32 v24, 2, v45
	s_mov_b32 s61, 0x1000504
	v_cndmask_b32_e32 v7, v30, v27, vcc
	v_xor_b32_e32 v28, v91, v24
	v_xor_b32_e32 v29, v92, v24
	v_lshl_or_b32 v5, v5, 10, v7
	s_mov_b32 s62, 0x3020706
	s_mul_i32 s0, s28, s16
	s_mul_hi_u32 s1, s50, s16
	v_lshlrev_b32_e32 v25, 8, v45
	v_or_b32_e32 v26, 16, v45
	v_lshlrev_b32_e32 v28, 1, v28
	v_lshlrev_b32_e32 v29, 1, v29
	v_xor_b32_e32 v7, 8, v5
	v_xor_b32_e32 v27, 24, v5
	;; [unrolled: 1-line block ×4, first 2 shown]
	v_or_b32_e32 v102, v25, v28
	v_or_b32_e32 v103, v25, v29
	v_xor_b32_e32 v25, 16, v5
	v_xor_b32_e32 v30, 32, v5
	;; [unrolled: 1-line block ×3, first 2 shown]
	v_add_u32_e32 v7, 0x80, v7
	v_add_u32_e32 v27, 0x80, v27
	;; [unrolled: 1-line block ×4, first 2 shown]
	s_add_i32 s63, s1, s0
	s_add_i32 s0, s46, s21
	s_mul_i32 s28, s28, s20
	s_add_i32 s39, s0, s28
	s_mul_i32 s0, s33, s23
	s_mul_hi_u32 s1, s33, s22
	s_add_i32 s0, s1, s0
	s_mul_i32 s1, s56, s22
	s_add_i32 s1, s0, s1
	s_lshl_b64 s[24:25], s[38:39], 2
	s_mul_i32 s0, s33, s22
	s_add_u32 s24, s10, s24
	s_addc_u32 s25, s11, s25
	s_lshl_b64 s[0:1], s[0:1], 2
	s_add_u32 s44, s24, s0
	s_movk_i32 s0, 0xf8
	s_addc_u32 s45, s25, s1
	s_ashr_i32 s37, s36, 31
	s_lshl_b32 s30, s19, 7
	v_mov_b32_e32 v79, 0
	s_movk_i32 s24, 0x100
	v_lshlrev_b32_e32 v78, 4, v45
	s_mul_i32 s59, s50, s16
	v_lshl_or_b32 v31, v26, 3, v6
	s_mov_b32 s60, 0
	v_or_b32_e32 v101, 0x4000, v31
	s_movk_i32 s26, 0x4000
	v_or_b32_e32 v104, 0x6000, v31
	v_add_u32_e32 v136, v1, v2
	s_mov_b32 s39, 0x7060302
	s_movk_i32 s64, 0x2000
	s_movk_i32 s65, 0x3000
	s_mov_b32 s67, 0
	v_mov_b32_e32 v70, v79
	v_mov_b32_e32 v71, v79
	;; [unrolled: 1-line block ×9, first 2 shown]
	s_waitcnt vmcnt(1)
	v_perm_b32 v35, v8, v16, s61
	s_waitcnt vmcnt(0)
	v_perm_b32 v36, v12, v20, s61
	v_perm_b32 v8, v8, v16, s62
	;; [unrolled: 1-line block ×15, first 2 shown]
	ds_write2st64_b32 v5, v35, v36 offset0:128 offset1:160
	ds_write2st64_b32 v7, v8, v12 offset0:128 offset1:160
	;; [unrolled: 1-line block ×8, first 2 shown]
	v_lshlrev_b32_e32 v5, 8, v26
	v_or_b32_e32 v105, v5, v28
	v_or_b32_e32 v106, v5, v29
	v_or_b32_e32 v5, 32, v45
	v_lshl_or_b32 v7, v5, 3, v6
	v_lshlrev_b32_e32 v5, 8, v5
	v_or_b32_e32 v109, v5, v28
	v_or_b32_e32 v110, v5, v29
	v_or_b32_e32 v5, 48, v45
	v_or_b32_e32 v107, 0x4000, v7
	v_or_b32_e32 v108, 0x6000, v7
	v_lshl_or_b32 v7, v5, 3, v6
	v_lshlrev_b32_e32 v5, 8, v5
	v_or_b32_e32 v113, v5, v28
	v_or_b32_e32 v114, v5, v29
	v_or_b32_e32 v5, v1, v45
	v_lshlrev_b32_e32 v5, 3, v5
	v_lshrrev_b32_e32 v9, 5, v86
	v_and_or_b32 v9, v5, s0, v9
	v_lshlrev_b32_e32 v9, 4, v9
	v_lshlrev_b32_e32 v11, 11, v87
	v_and_b32_e32 v5, 0x78, v5
	v_or_b32_e32 v14, 32, v9
	v_and_b32_e32 v8, 0x1000, v11
	v_xor_b32_e32 v10, v9, v5
	v_lshrrev_b32_e32 v12, 1, v86
	v_xor_b32_e32 v14, v14, v5
	v_or_b32_e32 v10, v10, v8
	v_and_b32_e32 v12, 8, v12
	v_or_b32_e32 v14, v14, v8
	v_xor_b32_e32 v115, v10, v12
	v_lshlrev_b32_e32 v10, 8, v88
	v_xor_b32_e32 v117, v14, v12
	v_or_b32_e32 v14, 64, v9
	v_or_b32_e32 v9, 0x60, v9
	;; [unrolled: 1-line block ×3, first 2 shown]
	v_xor_b32_e32 v14, v14, v5
	v_xor_b32_e32 v5, v9, v5
	v_lshlrev_b32_e32 v13, 1, v13
	v_or_b32_e32 v14, v14, v8
	v_or_b32_e32 v5, v5, v8
	s_lshl_b64 s[0:1], s[36:37], 8
	v_or_b32_e32 v116, 0x4000, v13
	v_or_b32_e32 v118, 0x4080, v13
	;; [unrolled: 1-line block ×4, first 2 shown]
	v_xor_b32_e32 v121, v14, v12
	v_xor_b32_e32 v122, v5, v12
	v_or_b32_e32 v123, 0x6000, v13
	v_or_b32_e32 v124, 0x6080, v13
	v_or_b32_e32 v125, 0x6100, v13
	v_or_b32_e32 v126, 0x6180, v13
	v_lshlrev_b32_e32 v12, 1, v4
	v_add_lshl_u32 v13, v4, s19, 1
	s_add_u32 s0, s12, s0
	v_lshlrev_b32_e32 v4, 1, v45
	v_lshrrev_b32_e32 v15, 4, v0
	s_addc_u32 s1, s13, s1
	v_or_b32_e32 v5, 1, v4
	v_lshlrev_b32_e32 v18, 2, v0
	v_or_b32_e32 v14, 0x100, v3
	v_xor_b32_e32 v16, v15, v4
	v_xor_b32_e32 v17, v5, v15
	v_lshl_add_u64 v[4:5], s[0:1], 0, v[78:79]
	v_lshlrev_b32_e32 v78, 8, v15
	v_lshrrev_b32_e32 v19, 1, v0
	v_and_or_b32 v10, v18, 60, v10
	v_cndmask_b32_e64 v133, v12, v3, s[2:3]
	v_mov_b32_e32 v3, 0xa000
	v_mov_b32_e32 v12, 0x8000
	v_cmp_gt_u32_e64 s[0:1], s24, v0
	v_lshl_or_b32 v127, v16, 3, v78
	v_and_b32_e32 v16, 8, v0
	v_and_b32_e32 v19, 24, v19
	v_lshlrev_b32_e32 v10, 1, v10
	v_cndmask_b32_e64 v3, v3, v12, s[0:1]
	v_lshlrev_b32_e32 v12, 3, v87
	v_or_b32_e32 v129, 0x6000, v10
	v_or_b32_e32 v130, 0x6080, v10
	;; [unrolled: 1-line block ×4, first 2 shown]
	v_mov_b32_e32 v10, 0x400
	v_cmp_eq_u32_e32 vcc, 0, v16
	v_cndmask_b32_e64 v134, v13, v14, s[2:3]
	v_xor_b32_e32 v13, v12, v19
	v_and_b32_e32 v15, 7, v0
	v_cndmask_b32_e64 v16, v10, 64, vcc
	v_or_b32_e32 v14, 0x440, v13
	v_lshl_or_b32 v128, v17, 3, v78
	v_lshlrev_b32_e32 v17, 3, v15
	v_or_b32_e32 v18, 32, v19
	v_or_b32_e32 v20, 0x60, v19
	v_cndmask_b32_e32 v14, v14, v13, vcc
	v_or3_b32 v13, v11, v16, v13
	v_lshlrev_b32_e32 v15, 7, v15
	v_xor_b32_e32 v18, v12, v18
	v_xor_b32_e32 v13, v13, v17
	;; [unrolled: 1-line block ×3, first 2 shown]
	v_or_b32_e32 v21, 0x440, v18
	v_or_b32_e32 v135, v13, v15
	v_xor_b32_e32 v13, 0x440, v12
	v_cndmask_b32_e32 v18, v21, v18, vcc
	v_cndmask_b32_e32 v12, v13, v12, vcc
	v_or_b32_e32 v111, 0x4000, v7
	v_or_b32_e32 v112, 0x6000, v7
	v_lshrrev_b32_e32 v7, 2, v86
	v_or_b32_e32 v8, s36, v45
	v_or_b32_e32 v14, v14, v11
	v_or_b32_e32 v18, v18, v11
	v_or_b32_e32 v11, v12, v11
	v_and_b32_e32 v7, 12, v7
	v_ashrrev_i32_e32 v9, 31, v8
	v_xor_b32_e32 v14, v14, v17
	v_xor_b32_e32 v18, v18, v17
	v_xor_b32_e32 v11, v11, v17
	v_or_b32_e32 v10, v1, v7
	v_add_u32_e32 v19, v3, v14
	v_add_u32_e32 v21, v3, v18
	;; [unrolled: 1-line block ×3, first 2 shown]
	v_or3_b32 v12, v1, v7, 64
	v_add_u32_e32 v7, 0xa000, v14
	v_add_u32_e32 v14, 0xa000, v18
	;; [unrolled: 1-line block ×3, first 2 shown]
	v_lshlrev_b64 v[8:9], 1, v[8:9]
	v_lshl_add_u64 v[80:81], s[8:9], 0, v[8:9]
	v_lshl_add_u64 v[82:83], s[14:15], 0, v[8:9]
	;; [unrolled: 1-line block ×3, first 2 shown]
	s_add_i32 s37, s59, 63
	v_lshlrev_b32_e32 v78, 1, v6
	v_lshlrev_b32_e32 v137, 2, v10
	v_add_u32_e32 v138, v19, v15
	v_add_u32_e32 v139, v21, v15
	;; [unrolled: 1-line block ×4, first 2 shown]
	v_lshlrev_b32_e32 v142, 2, v12
	v_add_u32_e32 v143, v7, v15
	v_add_u32_e32 v144, v14, v15
	;; [unrolled: 1-line block ×3, first 2 shown]
	v_mov_b32_e32 v63, v79
	v_mov_b32_e32 v64, v79
	;; [unrolled: 1-line block ×23, first 2 shown]
	s_waitcnt lgkmcnt(0)
	s_barrier
.LBB143_6:                              ; =>This Inner Loop Header: Depth=1
	s_add_i32 s66, s67, 1
	s_cmp_lt_i32 s66, s49
	s_mov_b64 s[28:29], 0
	s_cselect_b64 s[2:3], -1, 0
	s_cmp_ge_i32 s66, s49
	s_mov_b64 s[24:25], 0
	s_cbranch_scc1 .LBB143_8
; %bb.7:                                ;   in Loop: Header=BB143_6 Depth=1
	s_add_i32 s0, s60, 64
	s_add_u32 s0, s40, s0
	s_addc_u32 s1, s41, 0
	s_lshl_b64 s[0:1], s[0:1], 8
	s_add_u32 s24, s6, s0
	s_addc_u32 s25, s7, s1
.LBB143_8:                              ;   in Loop: Header=BB143_6 Depth=1
	v_cndmask_b32_e64 v2, 0, 1, s[2:3]
	v_cmp_ne_u32_e64 s[0:1], 1, v2
	s_andn2_b64 vcc, exec, s[2:3]
	s_cbranch_vccnz .LBB143_10
; %bb.9:                                ;   in Loop: Header=BB143_6 Depth=1
	s_add_i32 s2, s60, 64
	s_add_u32 s2, s59, s2
	s_addc_u32 s3, s63, 0
	s_mul_i32 s28, s2, s51
	s_mul_hi_u32 s29, s2, s55
	s_add_i32 s28, s29, s28
	s_mul_i32 s3, s3, s55
	s_add_i32 s28, s28, s3
	s_mul_i32 s2, s2, s55
	s_add_u32 s2, s2, s54
	s_addc_u32 s3, s28, s57
	s_lshl_b64 s[2:3], s[2:3], 8
	s_add_u32 s28, s4, s2
	s_addc_u32 s29, s5, s3
.LBB143_10:                             ;   in Loop: Header=BB143_6 Depth=1
	v_perm_b32 v3, v77, v76, s39
	v_perm_b32 v2, v75, v74, s39
	v_perm_b32 v5, v73, v72, s39
	v_perm_b32 v4, v71, v70, s39
	ds_write_b64 v99, v[2:3]
	ds_write_b64 v100, v[4:5]
	ds_write_b64 v102, v[2:3]
	ds_write_b64 v103, v[4:5]
	v_perm_b32 v3, v69, v68, s39
	v_perm_b32 v2, v67, v66, s39
	v_perm_b32 v5, v65, v64, s39
	v_perm_b32 v4, v63, v62, s39
	ds_write_b64 v101, v[2:3]
	ds_write_b64 v104, v[4:5]
	ds_write_b64 v105, v[2:3]
	ds_write_b64 v106, v[4:5]
	;; [unrolled: 8-line block ×4, first 2 shown]
	s_waitcnt lgkmcnt(0)
	s_barrier
	ds_read_b64 v[6:7], v115 offset:49152
	ds_read2_b64 v[2:5], v116 offset1:16
	ds_read_b64 v[18:19], v118 offset:6144
	ds_read_b64 v[20:21], v116 offset:6144
	s_waitcnt lgkmcnt(2)
	v_mfma_f32_16x16x16_bf16 a[0:3], v[6:7], v[2:3], 0
	ds_read_b64 v[22:23], v117 offset:49152
	ds_read2st64_b64 v[10:13], v119 offset0:4 offset1:8
	ds_read2st64_b64 v[14:17], v120 offset0:4 offset1:8
	v_mfma_f32_16x16x16_bf16 a[4:7], v[6:7], v[4:5], 0
	ds_read2_b64 v[2:5], v116 offset0:32 offset1:48
	s_add_i32 s2, s60, 63
	s_mul_i32 s3, s2, s35
	s_waitcnt lgkmcnt(0)
	v_mfma_f32_16x16x16_bf16 a[8:11], v[6:7], v[2:3], 0
	s_mul_hi_u32 s31, s2, s34
	s_add_i32 s3, s31, s3
	s_mul_i32 s2, s2, s34
	v_mfma_f32_16x16x16_bf16 a[12:15], v[6:7], v[4:5], 0
	ds_read2st64_b64 v[2:5], v116 offset0:4 offset1:8
	ds_read2st64_b64 v[6:9], v118 offset0:4 offset1:8
	s_lshl_b64 s[2:3], s[2:3], 2
	s_waitcnt lgkmcnt(1)
	v_mfma_f32_16x16x16_bf16 a[0:3], v[22:23], v[2:3], a[0:3]
	s_add_u32 s2, s44, s2
	s_addc_u32 s3, s45, s3
	s_and_b64 vcc, exec, s[0:1]
	s_waitcnt lgkmcnt(0)
	v_mfma_f32_16x16x16_bf16 a[4:7], v[22:23], v[6:7], a[4:7]
	v_mov_b32_e32 v148, 0
	v_mov_b32_e32 v147, 0
	;; [unrolled: 1-line block ×3, first 2 shown]
	v_mfma_f32_16x16x16_bf16 a[8:11], v[22:23], v[10:11], a[8:11]
	ds_read_b64 v[2:3], v121 offset:49152
	ds_read_b64 v[6:7], v122 offset:49152
	;; [unrolled: 1-line block ×3, first 2 shown]
	v_mfma_f32_16x16x16_bf16 a[12:15], v[22:23], v[14:15], a[12:15]
	v_mov_b32_e32 v14, 0
	v_mov_b32_e32 v15, 0
	s_waitcnt lgkmcnt(2)
	v_mfma_f32_16x16x16_bf16 a[0:3], v[2:3], v[4:5], a[0:3]
	v_mov_b32_e32 v4, 0
	v_mov_b32_e32 v5, 0
	v_mfma_f32_16x16x16_bf16 a[16:19], v[2:3], v[8:9], a[4:7]
	v_mov_b32_e32 v8, 0
	v_mov_b32_e32 v9, 0
	;; [unrolled: 3-line block ×3, first 2 shown]
	v_mfma_f32_16x16x16_bf16 a[24:27], v[2:3], v[16:17], a[12:15]
	ds_read_b64 v[2:3], v119 offset:6144
	v_mov_b32_e32 v16, 0
	v_mov_b32_e32 v17, 0
	s_waitcnt lgkmcnt(2)
	v_mfma_f32_16x16x16_bf16 a[4:7], v[6:7], v[20:21], a[0:3]
	v_mfma_f32_16x16x16_bf16 a[8:11], v[6:7], v[18:19], a[16:19]
	s_waitcnt lgkmcnt(0)
	v_mfma_f32_16x16x16_bf16 a[12:15], v[6:7], v[2:3], a[20:23]
	v_mov_b32_e32 v2, 0
	v_mov_b32_e32 v3, 0
	v_mfma_f32_16x16x16_bf16 a[0:3], v[6:7], v[10:11], a[24:27]
	v_mov_b32_e32 v6, 0
	v_mov_b32_e32 v7, 0
	v_mov_b32_e32 v10, 0
	v_mov_b32_e32 v11, 0
	s_cbranch_vccnz .LBB143_12
; %bb.11:                               ;   in Loop: Header=BB143_6 Depth=1
	s_and_b32 s25, s25, 0xffff
	buffer_load_dwordx4 v[14:17], v95, s[24:27], 0 offen
	buffer_load_dwordx4 v[10:13], v95, s[24:27], s58 offen
	;; [unrolled: 1-line block ×4, first 2 shown]
	v_mov_b32_e32 v147, v97
	v_mov_b32_e32 v146, v98
.LBB143_12:                             ;   in Loop: Header=BB143_6 Depth=1
	ds_read_b64 v[30:31], v115 offset:57344
	ds_read2_b64 v[18:21], v123 offset1:16
	ds_read_b64 v[34:35], v117 offset:57344
	ds_read_b64 v[36:37], v121 offset:57344
	;; [unrolled: 1-line block ×3, first 2 shown]
	v_add_u32_e32 v32, s60, v136
	s_waitcnt lgkmcnt(3)
	v_mfma_f32_16x16x16_bf16 a[4:7], v[30:31], v[18:19], a[4:7]
	v_mfma_f32_16x16x16_bf16 a[8:11], v[30:31], v[20:21], a[8:11]
	ds_read2_b64 v[18:21], v123 offset0:32 offset1:48
	ds_read2st64_b64 v[22:25], v123 offset0:4 offset1:8
	ds_read2st64_b64 v[26:29], v124 offset0:4 offset1:8
	s_waitcnt lgkmcnt(2)
	v_mfma_f32_16x16x16_bf16 a[12:15], v[30:31], v[18:19], a[12:15]
	v_ashrrev_i32_e32 v18, 31, v32
	v_mul_lo_u32 v33, v18, s34
	v_mad_u64_u32 v[18:19], s[24:25], v32, s34, 0
	v_mfma_f32_16x16x16_bf16 a[0:3], v[30:31], v[20:21], a[0:3]
	v_mul_lo_u32 v20, v32, s35
	v_add3_u32 v19, v19, v20, v33
	v_add_u32_e32 v20, 1, v32
	v_ashrrev_i32_e32 v21, 31, v20
	s_waitcnt lgkmcnt(1)
	v_mfma_f32_16x16x16_bf16 a[4:7], v[34:35], v[22:23], a[4:7]
	v_mul_lo_u32 v22, v21, s34
	v_mul_lo_u32 v23, v20, s35
	v_mad_u64_u32 v[20:21], s[24:25], v20, s34, 0
	v_add3_u32 v21, v21, v23, v22
	v_add_u32_e32 v22, 2, v32
	v_ashrrev_i32_e32 v23, 31, v22
	v_mul_lo_u32 v30, v23, s34
	v_mul_lo_u32 v31, v22, s35
	v_mad_u64_u32 v[22:23], s[24:25], v22, s34, 0
	v_add3_u32 v23, v23, v31, v30
	v_add_u32_e32 v30, 3, v32
	v_ashrrev_i32_e32 v31, 31, v30
	v_mul_lo_u32 v32, v31, s34
	v_mul_lo_u32 v33, v30, s35
	v_mad_u64_u32 v[30:31], s[24:25], v30, s34, 0
	s_add_u32 s24, s40, s60
	v_lshl_add_u64 v[18:19], v[18:19], 2, s[44:45]
	v_add3_u32 v31, v31, v33, v32
	s_addc_u32 s25, s41, 0
	v_lshl_add_u64 v[20:21], v[20:21], 2, s[44:45]
	global_load_dword v40, v[18:19], off
	v_lshl_add_u64 v[18:19], v[30:31], 2, s[44:45]
	s_lshl_b64 s[24:25], s[24:25], 8
	v_lshl_add_u64 v[22:23], v[22:23], 2, s[44:45]
	global_load_dword v41, v[20:21], off
	global_load_dword v42, v[22:23], off
	;; [unrolled: 1-line block ×3, first 2 shown]
	v_lshl_add_u64 v[18:19], v[80:81], 0, s[24:25]
	v_lshl_add_u64 v[22:23], v[18:19], 0, v[78:79]
	global_load_ushort v44, v[22:23], off offset:256
	global_load_ushort v149, v[22:23], off
	ds_read2st64_b64 v[18:21], v125 offset0:4 offset1:8
	global_load_ushort v150, v[22:23], off offset:768
	global_load_ushort v151, v[22:23], off offset:512
	ds_read2st64_b64 v[30:33], v126 offset0:4 offset1:8
	global_load_ushort v152, v[22:23], off offset:288
	global_load_ushort v153, v[22:23], off offset:32
	;; [unrolled: 1-line block ×4, first 2 shown]
	s_waitcnt lgkmcnt(2)
	v_mfma_f32_16x16x16_bf16 a[8:11], v[34:35], v[26:27], a[8:11]
	global_load_ushort v156, v[22:23], off offset:320
	global_load_ushort v157, v[22:23], off offset:64
	;; [unrolled: 1-line block ×4, first 2 shown]
	s_and_b64 vcc, exec, s[0:1]
	s_waitcnt lgkmcnt(1)
	v_mfma_f32_16x16x16_bf16 a[12:15], v[34:35], v[18:19], a[12:15]
	ds_read_b64 v[18:19], v123 offset:6144
	s_waitcnt lgkmcnt(1)
	v_mfma_f32_16x16x16_bf16 a[0:3], v[34:35], v[30:31], a[0:3]
	v_lshl_add_u64 v[30:31], v[82:83], 0, s[24:25]
	v_lshl_add_u64 v[30:31], v[30:31], 0, v[78:79]
	v_mfma_f32_16x16x16_bf16 a[4:7], v[36:37], v[24:25], a[4:7]
	v_mfma_f32_16x16x16_bf16 a[8:11], v[36:37], v[28:29], a[8:11]
	;; [unrolled: 1-line block ×4, first 2 shown]
	global_load_ushort v36, v[22:23], off offset:352
	global_load_ushort v37, v[22:23], off offset:96
	ds_read_b64 v[20:21], v124 offset:6144
	ds_read_b64 v[24:25], v125 offset:6144
	ds_read_b64 v[26:27], v126 offset:6144
	s_load_dword s2, s[2:3], 0x0
	global_load_ushort v160, v[22:23], off offset:864
	global_load_ushort v161, v[22:23], off offset:608
	s_waitcnt lgkmcnt(0)
	v_mfma_f32_16x16x16_bf16 a[4:7], v[38:39], v[18:19], a[4:7]
	s_waitcnt vmcnt(17)
	v_sub_f32_e32 v28, s2, v42
	v_mfma_f32_16x16x16_bf16 a[0:3], v[38:39], v[26:27], a[0:3]
	v_sub_f32_e32 v26, s2, v40
	v_sub_f32_e32 v27, s2, v41
	s_waitcnt vmcnt(16)
	v_sub_f32_e32 v29, s2, v43
	v_mfma_f32_16x16x16_bf16 a[8:11], v[38:39], v[20:21], a[8:11]
	v_exp_f32_e32 v26, v26
	v_exp_f32_e32 v27, v27
	;; [unrolled: 1-line block ×4, first 2 shown]
	v_accvgpr_read_b32 v35, a5
	s_waitcnt vmcnt(15)
	v_lshlrev_b32_e32 v33, 16, v44
	s_waitcnt vmcnt(14)
	v_lshlrev_b32_e32 v32, 16, v149
	v_accvgpr_read_b32 v34, a4
	v_accvgpr_read_b32 v19, a7
	;; [unrolled: 1-line block ×3, first 2 shown]
	v_pk_add_f32 v[32:33], v[32:33], v[34:35] neg_lo:[0,1] neg_hi:[0,1]
	s_waitcnt vmcnt(13)
	v_lshlrev_b32_e32 v35, 16, v150
	s_waitcnt vmcnt(12)
	v_lshlrev_b32_e32 v34, 16, v151
	v_pk_add_f32 v[18:19], v[34:35], v[18:19] neg_lo:[0,1] neg_hi:[0,1]
	global_store_short_d16_hi v[30:31], v32, off
	global_store_short_d16_hi v[30:31], v33, off offset:256
	global_store_short_d16_hi v[30:31], v18, off offset:512
	;; [unrolled: 1-line block ×3, first 2 shown]
	v_pk_mul_f32 v[32:33], v[26:27], v[32:33]
	v_pk_mul_f32 v[18:19], v[28:29], v[18:19]
	v_accvgpr_read_b32 v35, a9
	v_perm_b32 v32, v33, v32, s39
	v_perm_b32 v33, v19, v18, s39
	s_waitcnt vmcnt(15)
	v_lshlrev_b32_e32 v19, 16, v152
	s_waitcnt vmcnt(14)
	v_lshlrev_b32_e32 v18, 16, v153
	v_accvgpr_read_b32 v34, a8
	v_accvgpr_read_b32 v21, a11
	v_mfma_f32_16x16x16_bf16 a[12:15], v[38:39], v[24:25], a[12:15]
	v_accvgpr_read_b32 v20, a10
	v_pk_add_f32 v[18:19], v[18:19], v[34:35] neg_lo:[0,1] neg_hi:[0,1]
	s_waitcnt vmcnt(13)
	v_lshlrev_b32_e32 v35, 16, v154
	s_waitcnt vmcnt(12)
	v_lshlrev_b32_e32 v34, 16, v155
	v_pk_add_f32 v[20:21], v[34:35], v[20:21] neg_lo:[0,1] neg_hi:[0,1]
	global_store_short_d16_hi v[30:31], v18, off offset:32
	global_store_short_d16_hi v[30:31], v19, off offset:288
	;; [unrolled: 1-line block ×4, first 2 shown]
	v_pk_mul_f32 v[18:19], v[26:27], v[18:19]
	v_pk_mul_f32 v[20:21], v[28:29], v[20:21]
	v_accvgpr_read_b32 v23, a15
	v_perm_b32 v21, v21, v20, s39
	v_perm_b32 v20, v19, v18, s39
	ds_write2_b64 v100, v[32:33], v[20:21] offset1:16
	v_accvgpr_read_b32 v21, a13
	s_waitcnt vmcnt(15)
	v_lshlrev_b32_e32 v19, 16, v156
	s_waitcnt vmcnt(14)
	v_lshlrev_b32_e32 v18, 16, v157
	v_accvgpr_read_b32 v20, a12
	v_accvgpr_read_b32 v22, a14
	v_pk_add_f32 v[18:19], v[18:19], v[20:21] neg_lo:[0,1] neg_hi:[0,1]
	s_waitcnt vmcnt(13)
	v_lshlrev_b32_e32 v21, 16, v158
	s_waitcnt vmcnt(12)
	v_lshlrev_b32_e32 v20, 16, v159
	v_pk_add_f32 v[20:21], v[20:21], v[22:23] neg_lo:[0,1] neg_hi:[0,1]
	global_store_short_d16_hi v[30:31], v18, off offset:64
	global_store_short_d16_hi v[30:31], v19, off offset:320
	;; [unrolled: 1-line block ×4, first 2 shown]
	v_pk_mul_f32 v[18:19], v[26:27], v[18:19]
	v_pk_mul_f32 v[20:21], v[28:29], v[20:21]
	v_accvgpr_read_b32 v23, a1
	v_perm_b32 v18, v19, v18, s39
	v_perm_b32 v19, v21, v20, s39
	s_waitcnt vmcnt(15)
	v_lshlrev_b32_e32 v21, 16, v36
	s_waitcnt vmcnt(14)
	v_lshlrev_b32_e32 v20, 16, v37
	v_accvgpr_read_b32 v22, a0
	v_accvgpr_read_b32 v25, a3
	;; [unrolled: 1-line block ×3, first 2 shown]
	v_pk_add_f32 v[20:21], v[20:21], v[22:23] neg_lo:[0,1] neg_hi:[0,1]
	s_waitcnt vmcnt(13)
	v_lshlrev_b32_e32 v23, 16, v160
	s_waitcnt vmcnt(12)
	v_lshlrev_b32_e32 v22, 16, v161
	v_pk_add_f32 v[22:23], v[22:23], v[24:25] neg_lo:[0,1] neg_hi:[0,1]
	global_store_short_d16_hi v[30:31], v20, off offset:96
	global_store_short_d16_hi v[30:31], v21, off offset:352
	;; [unrolled: 1-line block ×4, first 2 shown]
	v_pk_mul_f32 v[20:21], v[26:27], v[20:21]
	v_pk_mul_f32 v[22:23], v[28:29], v[22:23]
	v_mov_b32_e32 v149, 0
	v_perm_b32 v23, v23, v22, s39
	v_perm_b32 v22, v21, v20, s39
	ds_write2_b64 v100, v[18:19], v[22:23] offset0:32 offset1:48
	v_mov_b32_e32 v18, 0
	v_mov_b32_e32 v19, 0
	;; [unrolled: 1-line block ×16, first 2 shown]
	s_cbranch_vccnz .LBB143_14
; %bb.13:                               ;   in Loop: Header=BB143_6 Depth=1
	s_and_b32 s29, s29, 0xffff
	s_mov_b32 s31, s27
	buffer_load_dwordx4 v[30:33], v133, s[28:31], 0 offen
	buffer_load_dwordx4 v[22:25], v133, s[28:31], s58 offen
	;; [unrolled: 1-line block ×4, first 2 shown]
	v_mov_b32_e32 v148, v94
	v_mov_b32_e32 v149, v93
.LBB143_14:                             ;   in Loop: Header=BB143_6 Depth=1
	s_waitcnt lgkmcnt(0)
	s_barrier
	ds_read_b64 v[42:43], v138
	ds_read2_b64 v[34:37], v129 offset1:16
	ds_read_b64 v[166:167], v139
	ds_read_b64 v[168:169], v140
	;; [unrolled: 1-line block ×3, first 2 shown]
	ds_read2_b64 v[38:41], v129 offset0:32 offset1:48
	ds_read2st64_b64 v[150:153], v129 offset0:4 offset1:8
	ds_read2st64_b64 v[154:157], v130 offset0:4 offset1:8
	;; [unrolled: 1-line block ×4, first 2 shown]
	s_waitcnt lgkmcnt(8)
	v_mfma_f32_16x16x16_bf16 a[0:3], v[42:43], v[34:35], 0
	s_add_i32 s3, s52, s67
	s_mul_hi_i32 s25, s3, s17
	s_mul_i32 s3, s3, s17
	v_mfma_f32_16x16x16_bf16 a[4:7], v[42:43], v[36:37], 0
	s_add_u32 s24, s3, s33
	s_addc_u32 s25, s25, s56
	s_add_i32 s3, s37, s60
	s_waitcnt lgkmcnt(4)
	v_mfma_f32_16x16x16_bf16 a[8:11], v[42:43], v[38:39], 0
	s_lshl_b64 s[24:25], s[24:25], 15
	s_mul_hi_i32 s29, s3, s17
	s_mul_i32 s3, s3, s17
	v_mfma_f32_16x16x16_bf16 a[12:15], v[42:43], v[40:41], 0
	ds_read_b64 v[42:43], v129 offset:6144
	ds_read_b64 v[178:179], v130 offset:6144
	;; [unrolled: 1-line block ×4, first 2 shown]
	s_add_u32 s28, s3, s33
	s_waitcnt lgkmcnt(7)
	v_mfma_f32_16x16x16_bf16 a[0:3], v[166:167], v[150:151], a[0:3]
	s_addc_u32 s29, s29, s56
	s_lshl_b64 s[28:29], s[28:29], 9
	s_add_u32 s28, s42, s28
	s_waitcnt lgkmcnt(6)
	v_mfma_f32_16x16x16_bf16 a[4:7], v[166:167], v[154:155], a[4:7]
	s_addc_u32 s29, s43, s29
	v_lshl_add_u64 v[188:189], v[84:85], 0, s[24:25]
	s_waitcnt lgkmcnt(5)
	v_mfma_f32_16x16x16_bf16 a[8:11], v[166:167], v[158:159], a[8:11]
	s_waitcnt lgkmcnt(4)
	v_mfma_f32_16x16x16_bf16 a[12:15], v[166:167], v[162:163], a[12:15]
	ds_read_b64 v[166:167], v143
	ds_read_b64 v[176:177], v144
	;; [unrolled: 1-line block ×3, first 2 shown]
	s_waitcnt lgkmcnt(2)
	v_mfma_f32_16x16x16_bf16 a[16:19], v[166:167], v[34:35], 0
	v_mfma_f32_16x16x16_bf16 a[20:23], v[166:167], v[36:37], 0
	global_load_dwordx4 v[34:37], v142, s[28:29]
	v_mfma_f32_16x16x16_bf16 a[24:27], v[166:167], v[38:39], 0
	v_mfma_f32_16x16x16_bf16 a[28:31], v[166:167], v[40:41], 0
	global_load_dwordx4 v[38:41], v137, s[28:29]
	v_mfma_f32_16x16x16_bf16 a[0:3], v[168:169], v[152:153], a[0:3]
	v_mfma_f32_16x16x16_bf16 a[4:7], v[168:169], v[156:157], a[4:7]
	v_mfma_f32_16x16x16_bf16 a[8:11], v[168:169], v[160:161], a[8:11]
	v_mfma_f32_16x16x16_bf16 a[12:15], v[168:169], v[164:165], a[12:15]
	v_mfma_f32_16x16x16_bf16 a[0:3], v[170:171], v[42:43], a[0:3]
	v_mfma_f32_16x16x16_bf16 a[4:7], v[170:171], v[178:179], a[4:7]
	v_mfma_f32_16x16x16_bf16 a[8:11], v[170:171], v[180:181], a[8:11]
	v_mfma_f32_16x16x16_bf16 a[12:15], v[170:171], v[182:183], a[12:15]
	ds_read2st64_b64 v[166:169], v127 offset1:8
	ds_read2st64_b64 v[170:173], v128 offset1:8
	ds_read_b64 v[186:187], v135 offset:40960
	s_waitcnt lgkmcnt(2)
	v_mov_b32_e32 v174, v166
	v_mfma_f32_16x16x16_bf16 a[16:19], v[176:177], v[150:151], a[16:19]
	v_mov_b32_e32 v175, v167
	v_mfma_f32_16x16x16_bf16 a[20:23], v[176:177], v[154:155], a[20:23]
	v_mfma_f32_16x16x16_bf16 a[24:27], v[176:177], v[158:159], a[24:27]
	v_mfma_f32_16x16x16_bf16 a[28:31], v[176:177], v[162:163], a[28:31]
	v_add_co_u32_e32 v162, vcc, s64, v188
	s_waitcnt lgkmcnt(1)
	v_mov_b32_e32 v176, v170
	s_waitcnt lgkmcnt(0)
	v_mfma_f32_16x16x16_bf16 a[16:19], v[186:187], v[152:153], a[16:19]
	ds_read2st64_b64 v[150:153], v127 offset0:16 offset1:24
	v_addc_co_u32_e32 v163, vcc, 0, v189, vcc
	v_mfma_f32_16x16x16_bf16 a[20:23], v[186:187], v[156:157], a[20:23]
	ds_read2st64_b64 v[154:157], v128 offset0:16 offset1:24
	v_mov_b32_e32 v177, v171
	v_mov_b32_e32 v170, v168
	v_mfma_f32_16x16x16_bf16 a[32:35], v[186:187], v[160:161], a[24:27]
	v_mov_b32_e32 v171, v169
	s_waitcnt lgkmcnt(0)
	v_mov_b32_e32 v160, v154
	v_mov_b32_e32 v161, v155
	v_mfma_f32_16x16x16_bf16 a[36:39], v[186:187], v[164:165], a[28:31]
	v_mov_b32_e32 v154, v152
	v_mov_b32_e32 v155, v153
	;; [unrolled: 1-line block ×3, first 2 shown]
	v_mfma_f32_16x16x16_bf16 a[24:27], v[184:185], v[42:43], a[16:19]
	v_add_co_u32_e32 v42, vcc, s65, v188
	v_mov_b32_e32 v159, v151
	v_mfma_f32_16x16x16_bf16 a[28:31], v[184:185], v[178:179], a[20:23]
	v_addc_co_u32_e32 v43, vcc, 0, v189, vcc
	global_store_dwordx4 v[42:43], v[154:157], off
	v_mfma_f32_16x16x16_bf16 a[16:19], v[184:185], v[180:181], a[32:35]
	s_waitcnt vmcnt(2)
	v_mov_b32_e32 v44, v37
	v_mov_b32_e32 v43, v36
	;; [unrolled: 1-line block ×3, first 2 shown]
	v_mfma_f32_16x16x16_bf16 a[20:23], v[184:185], v[182:183], a[36:39]
	s_and_b64 vcc, exec, s[0:1]
	global_store_dwordx4 v[188:189], v[174:177], off
	global_store_dwordx4 v[162:163], v[170:173], off offset:-4096
	global_store_dwordx4 v[162:163], v[158:161], off
	s_cbranch_vccnz .LBB143_16
; %bb.15:                               ;   in Loop: Header=BB143_6 Depth=1
	v_lshrrev_b32_e32 v35, 3, v148
	v_and_b32_e32 v35, 6, v35
	v_xor_b32_e32 v36, v35, v149
	v_lshlrev_b32_e32 v36, 2, v36
	v_and_b32_e32 v37, 8, v148
	v_xor_b32_e32 v148, 0x440, v36
	v_cmp_eq_u32_e32 vcc, 0, v37
	v_perm_b32 v37, v22, v18, s61
	s_nop 0
	v_cndmask_b32_e32 v36, v148, v36, vcc
	v_lshl_or_b32 v35, v35, 10, v36
	v_perm_b32 v36, v30, v26, s61
	s_barrier
	ds_write2st64_b32 v35, v36, v37 offset0:128 offset1:160
	v_xor_b32_e32 v36, 8, v35
	v_perm_b32 v26, v30, v26, s62
	v_perm_b32 v18, v22, v18, s62
	v_add_u32_e32 v22, 0x80, v36
	ds_write2st64_b32 v22, v26, v18 offset0:128 offset1:160
	v_xor_b32_e32 v18, 16, v35
	v_perm_b32 v22, v31, v27, s61
	v_perm_b32 v26, v23, v19, s61
	ds_write2st64_b32 v18, v22, v26 offset0:129 offset1:161
	v_xor_b32_e32 v18, 24, v35
	v_perm_b32 v22, v31, v27, s62
	v_perm_b32 v19, v23, v19, s62
	v_add_u32_e32 v18, 0x80, v18
	ds_write2st64_b32 v18, v22, v19 offset0:129 offset1:161
	v_xor_b32_e32 v18, 32, v35
	v_perm_b32 v19, v32, v28, s61
	v_perm_b32 v22, v24, v20, s61
	;; [unrolled: 9-line block ×3, first 2 shown]
	ds_write2st64_b32 v18, v19, v20 offset0:131 offset1:163
	v_xor_b32_e32 v18, 56, v35
	v_perm_b32 v19, v33, v29, s62
	v_perm_b32 v20, v25, v21, s62
	v_add_u32_e32 v18, 0x80, v18
	ds_write2st64_b32 v18, v19, v20 offset0:131 offset1:163
	ds_write_b64 v147, v[14:15] offset:49152
	v_xor_b32_e32 v14, 8, v147
	ds_write_b64 v14, v[16:17] offset:49152
	ds_write_b64 v147, v[10:11] offset:57344
	;; [unrolled: 1-line block ×4, first 2 shown]
	v_xor_b32_e32 v6, 8, v146
	ds_write_b64 v6, v[8:9] offset:49152
	ds_write_b64 v146, v[2:3] offset:57344
	ds_write_b64 v6, v[4:5] offset:57344
.LBB143_16:                             ;   in Loop: Header=BB143_6 Depth=1
	v_exp_f32_e32 v36, s2
	s_waitcnt vmcnt(4)
	v_exp_f32_e32 v38, v38
	v_exp_f32_e32 v39, v39
	;; [unrolled: 1-line block ×4, first 2 shown]
	v_accvgpr_read_b32 v5, a3
	v_accvgpr_read_b32 v4, a2
	;; [unrolled: 1-line block ×4, first 2 shown]
	v_pk_mul_f32 v[38:39], v[36:37], v[38:39] op_sel_hi:[0,1]
	v_pk_mul_f32 v[40:41], v[36:37], v[40:41] op_sel_hi:[0,1]
	v_pk_fma_f32 v[74:75], v[74:75], v[38:39], v[2:3]
	v_pk_fma_f32 v[76:77], v[76:77], v[40:41], v[4:5]
	v_exp_f32_e32 v2, v34
	v_exp_f32_e32 v3, v42
	;; [unrolled: 1-line block ×4, first 2 shown]
	v_accvgpr_read_b32 v9, a7
	v_accvgpr_read_b32 v13, a11
	;; [unrolled: 1-line block ×28, first 2 shown]
	v_pk_mul_f32 v[2:3], v[36:37], v[2:3] op_sel_hi:[0,1]
	v_pk_mul_f32 v[4:5], v[36:37], v[4:5] op_sel_hi:[0,1]
	s_add_i32 s60, s60, 64
	v_pk_fma_f32 v[66:67], v[38:39], v[66:67], v[6:7]
	v_pk_fma_f32 v[68:69], v[40:41], v[68:69], v[8:9]
	v_pk_fma_f32 v[58:59], v[38:39], v[58:59], v[10:11]
	v_pk_fma_f32 v[60:61], v[40:41], v[60:61], v[12:13]
	v_pk_fma_f32 v[52:53], v[38:39], v[52:53], v[14:15]
	v_pk_fma_f32 v[46:47], v[40:41], v[46:47], v[16:17]
	v_pk_fma_f32 v[70:71], v[70:71], v[2:3], v[18:19]
	v_pk_fma_f32 v[72:73], v[72:73], v[4:5], v[20:21]
	v_pk_fma_f32 v[62:63], v[2:3], v[62:63], v[22:23]
	v_pk_fma_f32 v[64:65], v[4:5], v[64:65], v[24:25]
	v_pk_fma_f32 v[54:55], v[2:3], v[54:55], v[26:27]
	v_pk_fma_f32 v[56:57], v[4:5], v[56:57], v[28:29]
	v_pk_fma_f32 v[48:49], v[2:3], v[48:49], v[30:31]
	s_cmp_eq_u32 s49, s66
	v_pk_fma_f32 v[50:51], v[4:5], v[50:51], v[32:33]
	s_cbranch_scc1 .LBB143_18
; %bb.17:                               ;   in Loop: Header=BB143_6 Depth=1
	s_mov_b32 s67, s66
	s_branch .LBB143_6
.LBB143_18:
	s_lshl_b32 s42, s49, 6
	s_sub_i32 s43, s16, s42
	s_cmp_gt_i32 s43, 0
	s_cbranch_scc0 .LBB143_99
; %bb.19:
	s_ashr_i32 s39, s50, 31
	s_ashr_i32 s2, s42, 31
	s_cmpk_lg_i32 s19, 0x80
	s_cselect_b64 s[30:31], -1, 0
	s_and_b64 vcc, exec, s[30:31]
	s_cbranch_vccz .LBB143_21
; %bb.20:
	s_mul_i32 s1, s50, s16
	s_mul_hi_i32 s0, s50, s16
	s_add_u32 s1, s1, s42
	s_addc_u32 s0, s0, s2
	s_mul_i32 s3, s1, s51
	s_mul_hi_u32 s24, s1, s18
	s_add_i32 s3, s24, s3
	s_mul_i32 s0, s0, s18
	s_add_i32 s3, s3, s0
	s_mul_i32 s1, s1, s18
	s_ashr_i32 s0, s54, 31
	s_add_u32 s40, s1, s54
	s_addc_u32 s41, s3, s0
	s_cbranch_execz .LBB143_22
	s_branch .LBB143_23
.LBB143_21:
                                        ; implicit-def: $sgpr40_sgpr41
.LBB143_22:
	s_mul_hi_i32 s0, s50, s18
	s_mul_i32 s50, s50, s18
	s_ashr_i32 s1, s54, 31
	s_add_u32 s3, s50, s54
	s_addc_u32 s0, s0, s1
	s_mul_i32 s1, s3, s48
	s_mul_hi_u32 s18, s3, s16
	s_add_i32 s1, s18, s1
	s_mul_i32 s0, s0, s16
	s_add_i32 s1, s1, s0
	s_mul_i32 s3, s3, s16
	s_add_u32 s40, s3, s42
	s_addc_u32 s41, s1, s2
.LBB143_23:
	s_add_i32 s3, s52, s49
	s_ashr_i32 s18, s33, 31
	s_add_u32 s0, s47, s33
	s_addc_u32 s1, s53, s18
	s_mul_i32 s24, s0, s48
	s_mul_hi_u32 s25, s0, s16
	s_add_i32 s24, s25, s24
	s_mul_i32 s1, s1, s16
	s_add_i32 s24, s24, s1
	s_mul_i32 s0, s0, s16
	s_add_u32 s0, s0, s42
	v_lshlrev_b32_e32 v6, 6, v91
	v_lshlrev_b32_e32 v24, 2, v45
	s_addc_u32 s1, s24, s2
	s_mov_b32 s2, 0x7060302
	v_or_b32_e32 v9, v6, v24
	v_xor_b32_e32 v7, v91, v24
	v_perm_b32 v3, v77, v76, s2
	v_perm_b32 v2, v75, v74, s2
	;; [unrolled: 1-line block ×4, first 2 shown]
	v_lshlrev_b32_e32 v9, 1, v9
	v_xor_b32_e32 v8, v92, v24
	ds_write2st64_b64 v9, v[2:3], v[4:5] offset0:32 offset1:48
	v_lshlrev_b32_e32 v7, 1, v7
	v_lshlrev_b32_e32 v9, 8, v45
	v_or_b32_e32 v10, v7, v9
	v_lshlrev_b32_e32 v8, 1, v8
	ds_write_b64 v10, v[2:3]
	v_or_b32_e32 v2, v8, v9
	v_or_b32_e32 v9, 16, v45
	v_lshlrev_b32_e32 v23, 2, v9
	v_or_b32_e32 v10, v6, v23
	ds_write_b64 v2, v[4:5]
	v_perm_b32 v3, v69, v68, s2
	v_perm_b32 v2, v67, v66, s2
	v_perm_b32 v5, v65, v64, s2
	v_perm_b32 v4, v63, v62, s2
	v_lshlrev_b32_e32 v10, 1, v10
	v_lshlrev_b32_e32 v9, 8, v9
	ds_write2st64_b64 v10, v[2:3], v[4:5] offset0:32 offset1:48
	v_or_b32_e32 v10, v7, v9
	ds_write_b64 v10, v[2:3]
	v_or_b32_e32 v2, v8, v9
	v_or_b32_e32 v9, 32, v45
	v_lshlrev_b32_e32 v22, 2, v9
	v_or_b32_e32 v10, v6, v22
	s_lshl_b64 s[28:29], s[0:1], 8
	ds_write_b64 v2, v[4:5]
	v_perm_b32 v3, v61, v60, s2
	v_perm_b32 v2, v59, v58, s2
	v_perm_b32 v5, v57, v56, s2
	v_perm_b32 v4, v55, v54, s2
	v_lshlrev_b32_e32 v10, 1, v10
	v_lshlrev_b32_e32 v9, 8, v9
	s_add_u32 s0, s6, s28
	ds_write2st64_b64 v10, v[2:3], v[4:5] offset0:32 offset1:48
	v_or_b32_e32 v10, v7, v9
	s_addc_u32 s1, s7, s29
	ds_write_b64 v10, v[2:3]
	v_or_b32_e32 v2, v8, v9
	v_or_b32_e32 v9, 48, v45
	s_mul_hi_i32 s6, s3, s17
	s_mul_i32 s3, s3, s17
	ds_write_b64 v2, v[4:5]
	v_perm_b32 v3, v47, v46, s2
	v_perm_b32 v2, v53, v52, s2
	;; [unrolled: 1-line block ×4, first 2 shown]
	v_lshlrev_b32_e32 v19, 2, v9
	s_add_u32 s2, s3, s33
	v_or_b32_e32 v6, v6, v19
	s_addc_u32 s3, s6, s18
	v_lshlrev_b32_e32 v6, 1, v6
	s_ashr_i32 s37, s36, 31
	s_lshl_b64 s[2:3], s[2:3], 15
	ds_write2st64_b64 v6, v[2:3], v[4:5] offset0:32 offset1:48
	v_lshlrev_b32_e32 v6, 8, v9
	s_add_u32 s6, s12, s2
	v_or_b32_e32 v7, v7, v6
	s_addc_u32 s7, s13, s3
	s_lshl_b64 s[2:3], s[36:37], 8
	ds_write_b64 v7, v[2:3]
	v_or_b32_e32 v2, v8, v6
	s_add_u32 s2, s6, s2
	v_lshlrev_b32_e32 v3, 1, v45
	ds_write_b64 v2, v[4:5]
	v_lshrrev_b32_e32 v2, 4, v0
	s_addc_u32 s3, s7, s3
	v_or_b32_e32 v4, 1, v3
	v_lshlrev_b32_e32 v10, 4, v45
	v_mov_b32_e32 v11, 0
	v_xor_b32_e32 v3, v2, v3
	v_xor_b32_e32 v6, v4, v2
	v_lshl_add_u64 v[12:13], s[2:3], 0, v[10:11]
	v_lshlrev_b32_e32 v10, 8, v2
	v_lshl_or_b32 v16, v3, 3, v10
	v_lshl_or_b32 v17, v6, 3, v10
	s_waitcnt lgkmcnt(0)
	s_barrier
	ds_read2st64_b64 v[2:5], v16 offset1:8
	ds_read2st64_b64 v[6:9], v17 offset1:8
	v_lshl_add_u64 v[14:15], v[12:13], 0, v[10:11]
	s_movk_i32 s2, 0x2000
	s_cmp_lg_u32 s43, 64
	s_waitcnt lgkmcnt(1)
	v_mov_b32_e32 v10, v2
	v_mov_b32_e32 v11, v3
	s_waitcnt lgkmcnt(0)
	v_mov_b32_e32 v12, v6
	v_mov_b32_e32 v13, v7
	global_store_dwordx4 v[14:15], v[10:13], off
	v_mov_b32_e32 v6, v4
	v_mov_b32_e32 v7, v5
	ds_read2st64_b64 v[2:5], v16 offset0:16 offset1:24
	ds_read2st64_b64 v[10:13], v17 offset0:16 offset1:24
	v_add_co_u32_e32 v16, vcc, s2, v14
	s_cselect_b64 s[6:7], -1, 0
	s_nop 0
	v_addc_co_u32_e32 v17, vcc, 0, v15, vcc
	global_store_dwordx4 v[16:17], v[6:9], off offset:-4096
	v_lshl_or_b32 v25, v87, 3, v90
	s_mov_b32 s24, 0
	s_waitcnt lgkmcnt(1)
	v_mov_b32_e32 v6, v2
	v_add_co_u32_e32 v2, vcc, 0x3000, v14
	v_mov_b32_e32 v7, v3
	s_nop 0
	v_addc_co_u32_e32 v3, vcc, 0, v15, vcc
	s_waitcnt lgkmcnt(0)
	v_mov_b32_e32 v8, v10
	v_mov_b32_e32 v9, v11
	;; [unrolled: 1-line block ×4, first 2 shown]
	v_or_b32_e32 v20, 32, v25
	v_and_b32_e32 v18, 56, v89
	s_and_b64 vcc, exec, s[6:7]
	global_store_dwordx4 v[16:17], v[6:9], off
	global_store_dwordx4 v[2:3], v[10:13], off
	s_cbranch_vccz .LBB143_29
; %bb.24:
	s_mov_b32 s25, s24
	s_mov_b32 s26, s24
	;; [unrolled: 1-line block ×3, first 2 shown]
	v_mov_b64_e32 v[6:7], s[24:25]
	v_mov_b64_e32 v[8:9], s[26:27]
	;; [unrolled: 1-line block ×3, first 2 shown]
	v_cmp_gt_i32_e32 vcc, s43, v25
	v_mov_b64_e32 v[4:5], v[8:9]
	s_and_saveexec_b64 s[2:3], vcc
	s_cbranch_execz .LBB143_26
; %bb.25:
	v_lshlrev_b32_e32 v2, 8, v25
	v_mov_b32_e32 v3, 0
	v_lshl_add_u64 v[4:5], s[0:1], 0, v[2:3]
	v_lshlrev_b32_e32 v2, 1, v18
	v_lshl_add_u64 v[10:11], v[4:5], 0, v[2:3]
	global_load_dwordx4 v[6:9], v[10:11], off
	global_load_dwordx4 v[2:5], v[10:11], off offset:128
.LBB143_26:
	s_or_b64 exec, exec, s[2:3]
	s_mov_b32 s25, s24
	s_mov_b32 s26, s24
	;; [unrolled: 1-line block ×3, first 2 shown]
	v_mov_b64_e32 v[14:15], s[24:25]
	v_mov_b64_e32 v[16:17], s[26:27]
	;; [unrolled: 1-line block ×3, first 2 shown]
	v_cmp_gt_i32_e32 vcc, s43, v20
	v_lshlrev_b32_e32 v21, 7, v20
	v_mov_b64_e32 v[12:13], v[16:17]
	s_and_saveexec_b64 s[2:3], vcc
	s_cbranch_execz .LBB143_28
; %bb.27:
	v_lshlrev_b32_e32 v10, 1, v21
	v_mov_b32_e32 v11, 0
	v_lshl_add_u64 v[12:13], s[0:1], 0, v[10:11]
	v_lshlrev_b32_e32 v10, 1, v18
	v_lshl_add_u64 v[26:27], v[12:13], 0, v[10:11]
	global_load_dwordx4 v[14:17], v[26:27], off
	global_load_dwordx4 v[10:13], v[26:27], off offset:128
.LBB143_28:
	s_or_b64 exec, exec, s[2:3]
	v_lshrrev_b32_e32 v26, 3, v18
	v_lshlrev_b32_e32 v27, 3, v25
	v_or_b32_e32 v26, v27, v26
	v_lshlrev_b32_e32 v26, 4, v26
	v_and_b32_e32 v27, 0x78, v27
	v_xor_b32_e32 v26, v26, v27
	s_branch .LBB143_31
.LBB143_29:
                                        ; implicit-def: $vgpr26
                                        ; implicit-def: $vgpr21
                                        ; implicit-def: $vgpr6_vgpr7_vgpr8_vgpr9
                                        ; implicit-def: $vgpr2_vgpr3_vgpr4_vgpr5
                                        ; implicit-def: $vgpr14_vgpr15_vgpr16_vgpr17
                                        ; implicit-def: $vgpr10_vgpr11_vgpr12_vgpr13
	s_cbranch_execz .LBB143_31
; %bb.30:
	s_waitcnt vmcnt(0)
	v_lshlrev_b32_e32 v2, 1, v18
	v_lshl_or_b32 v21, v25, 8, v2
	s_and_b32 s1, s1, 0xffff
	s_mov_b32 s3, 0x20000
	s_movk_i32 s2, 0x4000
	v_lshl_or_b32 v26, v20, 8, v2
	s_movk_i32 s12, 0x80
	buffer_load_dwordx4 v[6:9], v21, s[0:3], 0 offen
	buffer_load_dwordx4 v[2:5], v21, s[0:3], s12 offen
	;; [unrolled: 1-line block ×4, first 2 shown]
	v_lshrrev_b32_e32 v21, 3, v18
	v_lshlrev_b32_e32 v26, 3, v25
	v_or_b32_e32 v21, v26, v21
	v_lshlrev_b32_e32 v21, 4, v21
	v_and_b32_e32 v26, 0x78, v26
	v_xor_b32_e32 v26, v21, v26
	v_lshlrev_b32_e32 v21, 7, v20
.LBB143_31:
	s_movk_i32 s0, 0x1000
	v_and_or_b32 v20, v21, s0, v26
	s_waitcnt vmcnt(1)
	ds_write_b64 v26, v[6:7] offset:49152
	v_xor_b32_e32 v6, 8, v26
	ds_write_b64 v6, v[8:9] offset:49152
	s_waitcnt vmcnt(0)
	ds_write_b64 v26, v[2:3] offset:57344
	ds_write_b64 v6, v[4:5] offset:57344
	;; [unrolled: 1-line block ×3, first 2 shown]
	v_xor_b32_e32 v2, 8, v20
	ds_write_b64 v2, v[16:17] offset:49152
	ds_write_b64 v20, v[10:11] offset:57344
	;; [unrolled: 1-line block ×3, first 2 shown]
	v_or_b32_e32 v2, v1, v45
	v_lshlrev_b32_e32 v3, 11, v87
	v_lshlrev_b32_e32 v2, 3, v2
	v_and_b32_e32 v6, 0x1000, v3
	v_lshrrev_b32_e32 v3, 5, v86
	s_movk_i32 s0, 0xf8
	v_and_or_b32 v3, v2, s0, v3
	v_lshlrev_b32_e32 v7, 4, v3
	v_and_b32_e32 v8, 0x78, v2
	v_or_b32_e32 v10, 32, v7
	v_lshrrev_b32_e32 v3, 1, v86
	v_xor_b32_e32 v10, v10, v8
	v_xor_b32_e32 v2, v7, v8
	v_and_b32_e32 v9, 8, v3
	v_or_b32_e32 v10, v10, v6
	v_or_b32_e32 v2, v2, v6
	v_xor_b32_e32 v28, v10, v9
	v_or_b32_e32 v10, 64, v7
	v_xor_b32_e32 v27, v2, v9
	v_xor_b32_e32 v10, v10, v8
	s_waitcnt lgkmcnt(0)
	s_barrier
	v_or_b32_e32 v13, v10, v6
	ds_read_b64 v[10:11], v27 offset:49152
	v_lshl_or_b32 v14, v88, 8, v24
	v_lshlrev_b32_e32 v26, 1, v14
	v_add_u32_e32 v12, 0x4000, v26
	ds_read2_b64 v[2:5], v12 offset1:16
	v_or_b32_e32 v7, 0x60, v7
	v_xor_b32_e32 v7, v7, v8
	v_or_b32_e32 v6, v7, v6
	v_xor_b32_e32 v29, v13, v9
	v_xor_b32_e32 v30, v6, v9
	ds_read_b64 v[20:21], v28 offset:49152
	ds_read_b64 v[34:35], v29 offset:49152
	;; [unrolled: 1-line block ×3, first 2 shown]
	s_waitcnt lgkmcnt(3)
	v_mfma_f32_16x16x16_bf16 a[0:3], v[10:11], v[2:3], 0
	ds_read2_b64 v[6:9], v12 offset0:32 offset1:48
	s_lshl_b64 s[0:1], s[40:41], 8
	s_add_u32 s4, s4, s0
	v_mfma_f32_16x16x16_bf16 a[4:7], v[10:11], v[4:5], 0
	ds_read2st64_b64 v[2:5], v26 offset0:36 offset1:40
	s_addc_u32 s5, s5, s1
	s_add_i32 s2, s16, -1
	s_waitcnt lgkmcnt(1)
	v_mfma_f32_16x16x16_bf16 a[8:11], v[10:11], v[6:7], 0
	v_or_b32_e32 v6, 64, v14
	v_lshlrev_b32_e32 v31, 1, v6
	s_add_i32 s0, s46, s21
	s_waitcnt lgkmcnt(0)
	v_mfma_f32_16x16x16_bf16 a[0:3], v[20:21], v[2:3], a[0:3]
	v_or_b32_e32 v2, 0x80, v14
	v_lshlrev_b32_e32 v32, 1, v2
	v_or_b32_e32 v2, 0xc0, v14
	v_mfma_f32_16x16x16_bf16 a[12:15], v[10:11], v[8:9], 0
	ds_read2st64_b64 v[6:9], v31 offset0:36 offset1:40
	v_lshlrev_b32_e32 v33, 1, v2
	ds_read2st64_b64 v[10:13], v32 offset0:36 offset1:40
	ds_read2st64_b64 v[14:17], v33 offset0:36 offset1:40
	s_mul_i32 s39, s39, s20
	s_add_i32 s39, s0, s39
	s_mul_i32 s0, s33, s23
	s_mul_hi_u32 s1, s33, s22
	s_ashr_i32 s3, s2, 31
	s_mul_i32 s12, s2, s35
	s_mul_hi_u32 s13, s2, s34
	s_waitcnt lgkmcnt(2)
	v_mfma_f32_16x16x16_bf16 a[4:7], v[20:21], v[6:7], a[4:7]
	s_add_i32 s0, s1, s0
	s_mul_i32 s1, s18, s22
	s_add_i32 s12, s13, s12
	s_mul_i32 s3, s3, s34
	s_waitcnt lgkmcnt(1)
	v_mfma_f32_16x16x16_bf16 a[8:11], v[20:21], v[10:11], a[8:11]
	s_add_i32 s1, s0, s1
	s_add_i32 s3, s12, s3
	s_lshl_b64 s[12:13], s[38:39], 2
	s_waitcnt lgkmcnt(0)
	v_mfma_f32_16x16x16_bf16 a[12:15], v[20:21], v[14:15], a[12:15]
	s_mul_i32 s0, s33, s22
	s_add_u32 s10, s10, s12
	s_addc_u32 s11, s11, s13
	s_lshl_b64 s[0:1], s[0:1], 2
	v_mfma_f32_16x16x16_bf16 a[0:3], v[34:35], v[4:5], a[0:3]
	s_mul_i32 s2, s2, s34
	ds_read_b64 v[2:3], v26 offset:22528
	s_add_u32 s10, s10, s0
	v_mfma_f32_16x16x16_bf16 a[4:7], v[34:35], v[8:9], a[4:7]
	ds_read_b64 v[4:5], v31 offset:22528
	ds_read_b64 v[6:7], v32 offset:22528
	;; [unrolled: 1-line block ×3, first 2 shown]
	s_addc_u32 s11, s11, s1
	s_lshl_b64 s[0:1], s[2:3], 2
	v_mfma_f32_16x16x16_bf16 a[8:11], v[34:35], v[12:13], a[8:11]
	s_add_u32 s0, s10, s0
	s_addc_u32 s1, s11, s1
	s_load_dword s12, s[0:1], 0x0
	v_mfma_f32_16x16x16_bf16 a[12:15], v[34:35], v[16:17], a[12:15]
	s_and_b64 vcc, exec, s[30:31]
	s_waitcnt lgkmcnt(0)
	v_mfma_f32_16x16x16_bf16 a[0:3], v[36:37], v[2:3], a[0:3]
	v_mfma_f32_16x16x16_bf16 a[4:7], v[36:37], v[4:5], a[4:7]
	;; [unrolled: 1-line block ×4, first 2 shown]
	s_cbranch_vccz .LBB143_42
; %bb.32:
	v_lshlrev_b32_e32 v20, 1, v25
	s_and_b64 vcc, exec, s[6:7]
	s_cbranch_vccz .LBB143_43
; %bb.33:
	v_cmp_gt_i32_e32 vcc, s43, v20
	v_mov_b32_e32 v6, 0
	v_mov_b32_e32 v2, 0
	;; [unrolled: 1-line block ×5, first 2 shown]
	s_and_saveexec_b64 s[0:1], vcc
	s_cbranch_execz .LBB143_35
; %bb.34:
	v_mad_i64_i32 v[2:3], s[2:3], s19, v20, 0
	v_lshl_add_u64 v[2:3], v[2:3], 1, s[4:5]
	v_lshlrev_b32_e32 v4, 1, v18
	v_mov_b32_e32 v5, 0
	v_lshl_add_u64 v[2:3], v[2:3], 0, v[4:5]
	global_load_dwordx4 v[2:5], v[2:3], off
.LBB143_35:
	s_or_b64 exec, exec, s[0:1]
	v_or_b32_e32 v21, 1, v20
	v_cmp_gt_i32_e64 s[0:1], s43, v21
	v_mov_b32_e32 v7, 0
	v_mov_b32_e32 v8, 0
	;; [unrolled: 1-line block ×3, first 2 shown]
	s_and_saveexec_b64 s[2:3], s[0:1]
	s_cbranch_execz .LBB143_37
; %bb.36:
	v_mad_i64_i32 v[6:7], s[16:17], s19, v21, 0
	v_lshl_add_u64 v[6:7], v[6:7], 1, s[4:5]
	v_lshlrev_b32_e32 v8, 1, v18
	v_mov_b32_e32 v9, 0
	v_lshl_add_u64 v[6:7], v[6:7], 0, v[8:9]
	global_load_dwordx4 v[6:9], v[6:7], off
.LBB143_37:
	s_or_b64 exec, exec, s[2:3]
	v_mov_b32_e32 v17, 0
	v_mov_b32_e32 v10, 0
	v_mov_b32_e32 v11, 0
	v_mov_b32_e32 v12, 0
	v_mov_b32_e32 v13, 0
	s_and_saveexec_b64 s[2:3], vcc
	s_cbranch_execz .LBB143_39
; %bb.38:
	v_mad_i64_i32 v[10:11], s[16:17], s19, v20, 0
	v_lshl_add_u64 v[10:11], v[10:11], 1, s[4:5]
	v_lshlrev_b32_e32 v12, 1, v18
	v_mov_b32_e32 v13, 0
	v_lshl_add_u64 v[10:11], v[10:11], 0, v[12:13]
	global_load_dwordx4 v[10:13], v[10:11], off offset:128
.LBB143_39:
	s_or_b64 exec, exec, s[2:3]
	v_mov_b32_e32 v16, 0
	v_mov_b32_e32 v15, 0
	;; [unrolled: 1-line block ×3, first 2 shown]
	s_and_saveexec_b64 s[2:3], s[0:1]
	s_cbranch_execz .LBB143_41
; %bb.40:
	v_mad_i64_i32 v[14:15], s[0:1], s19, v21, 0
	v_lshl_add_u64 v[14:15], v[14:15], 1, s[4:5]
	v_lshlrev_b32_e32 v16, 1, v18
	v_mov_b32_e32 v17, 0
	v_lshl_add_u64 v[14:15], v[14:15], 0, v[16:17]
	global_load_dwordx4 v[14:17], v[14:15], off offset:128
.LBB143_41:
	s_or_b64 exec, exec, s[2:3]
	s_branch .LBB143_45
.LBB143_42:
                                        ; implicit-def: $vgpr5
                                        ; implicit-def: $vgpr9
                                        ; implicit-def: $vgpr13
                                        ; implicit-def: $vgpr17
	v_lshrrev_b32_e32 v34, 2, v86
	s_branch .LBB143_46
.LBB143_43:
                                        ; implicit-def: $vgpr5
                                        ; implicit-def: $vgpr9
                                        ; implicit-def: $vgpr13
                                        ; implicit-def: $vgpr17
	s_cbranch_execz .LBB143_45
; %bb.44:
	s_waitcnt vmcnt(0)
	v_mad_u64_u32 v[2:3], s[0:1], v20, s19, v[18:19]
	v_lshlrev_b32_e32 v20, 1, v2
	s_lshl_b32 s2, s19, 7
	s_and_b32 s1, s5, 0xffff
	s_mov_b32 s3, 0x20000
	s_mov_b32 s0, s4
	v_add_lshl_u32 v21, v2, s19, 1
	s_movk_i32 s13, 0x80
	buffer_load_dwordx4 v[2:5], v20, s[0:3], 0 offen
	buffer_load_dwordx4 v[10:13], v20, s[0:3], s13 offen
	;; [unrolled: 1-line block ×4, first 2 shown]
.LBB143_45:
	v_lshrrev_b32_e32 v34, 2, v86
	s_cbranch_execnz .LBB143_58
.LBB143_46:
	s_and_b64 vcc, exec, s[6:7]
	s_cbranch_vccz .LBB143_56
; %bb.47:
	s_waitcnt vmcnt(0)
	v_lshlrev_b32_e32 v7, 1, v25
	v_cmp_gt_i32_e32 vcc, s43, v7
	v_mov_b32_e32 v6, 0
	v_lshlrev_b32_e32 v14, 9, v25
	v_mov_b32_e32 v2, 0
	v_mov_b32_e32 v3, 0
	;; [unrolled: 1-line block ×4, first 2 shown]
	s_and_saveexec_b64 s[0:1], vcc
	s_cbranch_execz .LBB143_49
; %bb.48:
	v_mov_b32_e32 v15, 0
	v_lshl_add_u64 v[2:3], s[4:5], 0, v[14:15]
	v_lshlrev_b32_e32 v4, 1, v18
	v_mov_b32_e32 v5, v15
	v_lshl_add_u64 v[2:3], v[2:3], 0, v[4:5]
	global_load_dwordx4 v[2:5], v[2:3], off
.LBB143_49:
	s_or_b64 exec, exec, s[0:1]
	v_or_b32_e32 v7, 1, v7
	v_cmp_gt_i32_e64 s[0:1], s43, v7
	v_lshlrev_b32_e32 v20, 8, v7
	v_mov_b32_e32 v7, 0
	v_mov_b32_e32 v8, 0
	;; [unrolled: 1-line block ×3, first 2 shown]
	s_and_saveexec_b64 s[2:3], s[0:1]
	s_cbranch_execz .LBB143_51
; %bb.50:
	v_mov_b32_e32 v21, 0
	v_lshl_add_u64 v[6:7], s[4:5], 0, v[20:21]
	v_lshlrev_b32_e32 v8, 1, v18
	v_mov_b32_e32 v9, v21
	v_lshl_add_u64 v[6:7], v[6:7], 0, v[8:9]
	global_load_dwordx4 v[6:9], v[6:7], off
.LBB143_51:
	s_or_b64 exec, exec, s[2:3]
	v_mov_b32_e32 v17, 0
	v_mov_b32_e32 v10, 0
	;; [unrolled: 1-line block ×5, first 2 shown]
	s_and_saveexec_b64 s[2:3], vcc
	s_cbranch_execz .LBB143_53
; %bb.52:
	v_mov_b32_e32 v15, 0
	v_lshl_add_u64 v[10:11], s[4:5], 0, v[14:15]
	v_lshlrev_b32_e32 v14, 1, v18
	v_lshl_add_u64 v[10:11], v[10:11], 0, v[14:15]
	global_load_dwordx4 v[10:13], v[10:11], off offset:128
.LBB143_53:
	s_or_b64 exec, exec, s[2:3]
	v_mov_b32_e32 v16, 0
	v_mov_b32_e32 v15, 0
	;; [unrolled: 1-line block ×3, first 2 shown]
	s_and_saveexec_b64 s[2:3], s[0:1]
	s_cbranch_execz .LBB143_55
; %bb.54:
	v_mov_b32_e32 v21, 0
	v_lshl_add_u64 v[14:15], s[4:5], 0, v[20:21]
	v_lshlrev_b32_e32 v20, 1, v18
	v_lshl_add_u64 v[14:15], v[14:15], 0, v[20:21]
	global_load_dwordx4 v[14:17], v[14:15], off offset:128
.LBB143_55:
	s_or_b64 exec, exec, s[2:3]
	s_branch .LBB143_58
.LBB143_56:
                                        ; implicit-def: $vgpr5
                                        ; implicit-def: $vgpr9
                                        ; implicit-def: $vgpr13
                                        ; implicit-def: $vgpr17
	s_cbranch_execz .LBB143_58
; %bb.57:
	s_waitcnt vmcnt(0)
	v_lshlrev_b32_e32 v2, 1, v18
	v_lshl_or_b32 v18, v25, 9, v2
	s_and_b32 s5, s5, 0xffff
	s_mov_b32 s7, 0x20000
	s_movk_i32 s6, 0x4000
	s_movk_i32 s0, 0x80
	buffer_load_dwordx4 v[2:5], v18, s[4:7], 0 offen
	buffer_load_dwordx4 v[6:9], v18, s[4:7], 0 offen offset:256
	buffer_load_dwordx4 v[10:13], v18, s[4:7], s0 offen
	buffer_load_dwordx4 v[14:17], v18, s[4:7], s0 offen offset:256
.LBB143_58:
	ds_read_b64 v[20:21], v27 offset:57344
	v_add_u32_e32 v18, 0x6000, v26
	ds_read2_b64 v[36:39], v18 offset1:16
	ds_read_b64 v[54:55], v28 offset:57344
	ds_read_b64 v[28:29], v29 offset:57344
	;; [unrolled: 1-line block ×3, first 2 shown]
	ds_read2st64_b64 v[40:43], v26 offset0:52 offset1:56
	s_mov_b32 s0, 0x1000504
	s_mov_b32 s1, 0x3020706
	s_waitcnt lgkmcnt(4)
	v_mfma_f32_16x16x16_bf16 a[0:3], v[20:21], v[36:37], a[0:3]
	v_mfma_f32_16x16x16_bf16 a[4:7], v[20:21], v[38:39], a[4:7]
	ds_read2_b64 v[36:39], v18 offset0:32 offset1:48
	v_and_b32_e32 v18, 6, v0
	v_xor_b32_e32 v25, v25, v18
	s_waitcnt lgkmcnt(0)
	v_mfma_f32_16x16x16_bf16 a[8:11], v[20:21], v[36:37], a[8:11]
	v_lshlrev_b32_e32 v25, 2, v25
	v_and_b32_e32 v0, 1, v0
	v_xor_b32_e32 v35, 0x440, v25
	v_mfma_f32_16x16x16_bf16 a[12:15], v[20:21], v[38:39], a[12:15]
	ds_read2st64_b64 v[36:39], v31 offset0:52 offset1:56
	ds_read2st64_b64 v[46:49], v32 offset0:52 offset1:56
	;; [unrolled: 1-line block ×3, first 2 shown]
	v_cmp_eq_u32_e32 vcc, 0, v0
	ds_read_b64 v[20:21], v26 offset:30720
	ds_read_b64 v[26:27], v31 offset:30720
	ds_read_b64 v[30:31], v32 offset:30720
	ds_read_b64 v[32:33], v33 offset:30720
	v_mfma_f32_16x16x16_bf16 a[0:3], v[54:55], v[40:41], a[0:3]
	v_cndmask_b32_e32 v0, v35, v25, vcc
	v_lshl_or_b32 v0, v18, 10, v0
	s_waitcnt vmcnt(0)
	v_perm_b32 v18, v2, v6, s0
	s_waitcnt lgkmcnt(6)
	v_mfma_f32_16x16x16_bf16 a[4:7], v[54:55], v[36:37], a[4:7]
	v_perm_b32 v25, v10, v14, s0
	ds_write2st64_b32 v0, v18, v25 offset0:128 offset1:160
	v_xor_b32_e32 v18, 8, v0
	s_waitcnt lgkmcnt(6)
	v_mfma_f32_16x16x16_bf16 a[8:11], v[54:55], v[46:47], a[8:11]
	v_perm_b32 v2, v2, v6, s1
	v_perm_b32 v6, v10, v14, s1
	v_add_u32_e32 v10, 0x80, v18
	s_waitcnt lgkmcnt(5)
	v_mfma_f32_16x16x16_bf16 a[12:15], v[54:55], v[50:51], a[12:15]
	ds_write2st64_b32 v10, v2, v6 offset0:128 offset1:160
	v_xor_b32_e32 v2, 16, v0
	v_perm_b32 v6, v3, v7, s0
	v_mfma_f32_16x16x16_bf16 a[0:3], v[28:29], v[42:43], a[0:3]
	v_perm_b32 v10, v11, v15, s0
	ds_write2st64_b32 v2, v6, v10 offset0:129 offset1:161
	v_xor_b32_e32 v2, 24, v0
	v_mfma_f32_16x16x16_bf16 a[4:7], v[28:29], v[38:39], a[4:7]
	v_perm_b32 v3, v3, v7, s1
	v_perm_b32 v6, v11, v15, s1
	v_add_u32_e32 v2, 0x80, v2
	v_mfma_f32_16x16x16_bf16 a[16:19], v[28:29], v[48:49], a[8:11]
	ds_write2st64_b32 v2, v3, v6 offset0:129 offset1:161
	v_xor_b32_e32 v2, 32, v0
	v_perm_b32 v3, v4, v8, s0
	v_mfma_f32_16x16x16_bf16 a[20:23], v[28:29], v[52:53], a[12:15]
	v_perm_b32 v6, v12, v16, s0
	ds_write2st64_b32 v2, v3, v6 offset0:130 offset1:162
	v_xor_b32_e32 v2, 40, v0
	s_waitcnt lgkmcnt(8)
	v_mfma_f32_16x16x16_bf16 a[12:15], v[56:57], v[20:21], a[0:3]
	v_perm_b32 v3, v4, v8, s1
	v_perm_b32 v4, v12, v16, s1
	v_add_u32_e32 v2, 0x80, v2
	s_waitcnt lgkmcnt(7)
	v_mfma_f32_16x16x16_bf16 a[8:11], v[56:57], v[26:27], a[4:7]
	ds_write2st64_b32 v2, v3, v4 offset0:130 offset1:162
	v_xor_b32_e32 v2, 48, v0
	v_perm_b32 v3, v5, v9, s0
	s_waitcnt lgkmcnt(7)
	v_mfma_f32_16x16x16_bf16 a[4:7], v[56:57], v[30:31], a[16:19]
	v_perm_b32 v4, v13, v17, s0
	v_xor_b32_e32 v0, 56, v0
	v_and_or_b32 v21, v34, 12, v1
	s_waitcnt lgkmcnt(6)
	v_mfma_f32_16x16x16_bf16 a[0:3], v[56:57], v[32:33], a[20:23]
	ds_write2st64_b32 v2, v3, v4 offset0:131 offset1:163
	v_perm_b32 v2, v5, v9, s1
	v_perm_b32 v3, v13, v17, s1
	v_add_u32_e32 v0, 0x80, v0
	v_cmp_gt_i32_e32 vcc, s43, v21
	v_mov_b32_e32 v16, 0
	v_mov_b32_e32 v18, 0
	ds_write2st64_b32 v0, v2, v3 offset0:131 offset1:163
	s_and_saveexec_b64 s[0:1], vcc
	s_cbranch_execz .LBB143_60
; %bb.59:
	v_add_u32_e32 v0, s42, v21
	v_ashrrev_i32_e32 v1, 31, v0
	v_mul_lo_u32 v2, v1, s34
	v_mul_lo_u32 v3, v0, s35
	v_mad_u64_u32 v[0:1], s[2:3], v0, s34, 0
	v_add3_u32 v1, v1, v3, v2
	v_lshl_add_u64 v[0:1], v[0:1], 2, s[10:11]
	global_load_dword v0, v[0:1], off
	s_waitcnt vmcnt(0)
	v_sub_f32_e32 v0, s12, v0
	v_exp_f32_e32 v18, v0
.LBB143_60:
	s_or_b64 exec, exec, s[0:1]
	v_or_b32_e32 v10, 1, v21
	v_cmp_gt_i32_e64 s[2:3], s43, v10
	s_and_saveexec_b64 s[0:1], s[2:3]
	s_cbranch_execz .LBB143_62
; %bb.61:
	v_add_u32_e32 v0, s42, v10
	v_ashrrev_i32_e32 v1, 31, v0
	v_mul_lo_u32 v2, v1, s34
	v_mul_lo_u32 v3, v0, s35
	v_mad_u64_u32 v[0:1], s[4:5], v0, s34, 0
	v_add3_u32 v1, v1, v3, v2
	v_lshl_add_u64 v[0:1], v[0:1], 2, s[10:11]
	global_load_dword v0, v[0:1], off
	s_waitcnt vmcnt(0)
	v_sub_f32_e32 v0, s12, v0
	v_exp_f32_e32 v16, v0
.LBB143_62:
	s_or_b64 exec, exec, s[0:1]
	v_or_b32_e32 v12, 2, v21
	v_cmp_gt_i32_e64 s[0:1], s43, v12
	v_mov_b32_e32 v17, 0
	v_mov_b32_e32 v20, 0
	s_and_saveexec_b64 s[4:5], s[0:1]
	s_cbranch_execz .LBB143_64
; %bb.63:
	v_add_u32_e32 v0, s42, v12
	v_ashrrev_i32_e32 v1, 31, v0
	v_mul_lo_u32 v2, v1, s34
	v_mul_lo_u32 v3, v0, s35
	v_mad_u64_u32 v[0:1], s[6:7], v0, s34, 0
	v_add3_u32 v1, v1, v3, v2
	v_lshl_add_u64 v[0:1], v[0:1], 2, s[10:11]
	global_load_dword v0, v[0:1], off
	s_waitcnt vmcnt(0)
	v_sub_f32_e32 v0, s12, v0
	v_exp_f32_e32 v20, v0
.LBB143_64:
	s_or_b64 exec, exec, s[4:5]
	v_or_b32_e32 v14, 3, v21
	v_cmp_gt_i32_e64 s[4:5], s43, v14
	s_and_saveexec_b64 s[6:7], s[4:5]
	s_cbranch_execz .LBB143_66
; %bb.65:
	v_add_u32_e32 v0, s42, v14
	v_ashrrev_i32_e32 v1, 31, v0
	v_mul_lo_u32 v2, v1, s34
	v_mul_lo_u32 v3, v0, s35
	v_mad_u64_u32 v[0:1], s[16:17], v0, s34, 0
	v_add3_u32 v1, v1, v3, v2
	v_lshl_add_u64 v[0:1], v[0:1], 2, s[10:11]
	global_load_dword v0, v[0:1], off
	s_waitcnt vmcnt(0)
	v_sub_f32_e32 v0, s12, v0
	v_exp_f32_e32 v17, v0
.LBB143_66:
	s_or_b64 exec, exec, s[6:7]
	s_add_u32 s6, s8, s28
	v_or_b32_e32 v4, s36, v45
	s_addc_u32 s7, s9, s29
	s_add_u32 s8, s14, s28
	v_ashrrev_i32_e32 v5, 31, v4
	v_accvgpr_read_b32 v0, a12
	s_addc_u32 s9, s15, s29
	v_lshlrev_b64 v[4:5], 1, v[4:5]
	v_accvgpr_read_b32 v1, a13
	v_accvgpr_read_b32 v2, a14
	;; [unrolled: 1-line block ×3, first 2 shown]
	v_lshl_add_u64 v[6:7], s[6:7], 0, v[4:5]
	v_lshl_add_u64 v[4:5], s[8:9], 0, v[4:5]
	v_mov_b32_e32 v11, 0
	v_lshlrev_b32_e32 v8, 8, v21
	v_mov_b32_e32 v9, 0
	s_and_saveexec_b64 s[6:7], vcc
	s_cbranch_execz .LBB143_68
; %bb.67:
	v_mov_b32_e32 v9, 0
	v_lshl_add_u64 v[26:27], v[6:7], 0, v[8:9]
	global_load_ushort v13, v[26:27], off
	v_lshl_add_u64 v[26:27], v[4:5], 0, v[8:9]
	s_waitcnt vmcnt(0)
	v_lshlrev_b32_e32 v9, 16, v13
	v_sub_f32_e32 v0, v9, v0
	global_store_short_d16_hi v[26:27], v0, off
	v_mul_f32_e32 v0, v18, v0
	v_lshrrev_b32_e32 v9, 16, v0
.LBB143_68:
	s_or_b64 exec, exec, s[6:7]
	v_lshlrev_b32_e32 v10, 8, v10
	s_and_saveexec_b64 s[6:7], s[2:3]
	s_cbranch_execz .LBB143_70
; %bb.69:
	v_mov_b32_e32 v11, 0
	v_lshl_add_u64 v[26:27], v[6:7], 0, v[10:11]
	global_load_ushort v0, v[26:27], off
	v_lshl_add_u64 v[26:27], v[4:5], 0, v[10:11]
	s_waitcnt vmcnt(0)
	v_lshlrev_b32_e32 v0, 16, v0
	v_sub_f32_e32 v0, v0, v1
	global_store_short_d16_hi v[26:27], v0, off
	v_mul_f32_e32 v0, v16, v0
	v_lshrrev_b32_e32 v11, 16, v0
.LBB143_70:
	s_or_b64 exec, exec, s[6:7]
	v_mov_b32_e32 v15, 0
	v_lshlrev_b32_e32 v12, 8, v12
	v_mov_b32_e32 v13, 0
	s_and_saveexec_b64 s[6:7], s[0:1]
	s_cbranch_execz .LBB143_72
; %bb.71:
	v_mov_b32_e32 v13, 0
	v_lshl_add_u64 v[0:1], v[6:7], 0, v[12:13]
	global_load_ushort v25, v[0:1], off
	v_lshl_add_u64 v[0:1], v[4:5], 0, v[12:13]
	s_waitcnt vmcnt(0)
	v_lshlrev_b32_e32 v13, 16, v25
	v_sub_f32_e32 v2, v13, v2
	global_store_short_d16_hi v[0:1], v2, off
	v_mul_f32_e32 v0, v20, v2
	v_lshrrev_b32_e32 v13, 16, v0
.LBB143_72:
	s_or_b64 exec, exec, s[6:7]
	v_lshlrev_b32_e32 v14, 8, v14
	s_and_saveexec_b64 s[6:7], s[4:5]
	s_cbranch_execz .LBB143_74
; %bb.73:
	v_mov_b32_e32 v15, 0
	v_lshl_add_u64 v[0:1], v[6:7], 0, v[14:15]
	global_load_ushort v2, v[0:1], off
	v_lshl_add_u64 v[0:1], v[4:5], 0, v[14:15]
	s_waitcnt vmcnt(0)
	v_lshlrev_b32_e32 v2, 16, v2
	v_sub_f32_e32 v2, v2, v3
	global_store_short_d16_hi v[0:1], v2, off
	v_mul_f32_e32 v0, v17, v2
	v_lshrrev_b32_e32 v15, 16, v0
.LBB143_74:
	s_or_b64 exec, exec, s[6:7]
	v_lshlrev_b32_e32 v21, 6, v21
	s_mov_b32 s6, 0x5040100
	v_perm_b32 v26, v11, v9, s6
	v_or_b32_e32 v9, v21, v24
	v_accvgpr_read_b32 v0, a8
	v_perm_b32 v27, v15, v13, s6
	v_lshlrev_b32_e32 v9, 1, v9
	v_accvgpr_read_b32 v1, a9
	v_accvgpr_read_b32 v2, a10
	;; [unrolled: 1-line block ×3, first 2 shown]
	ds_write_b64 v9, v[26:27] offset:24576
	v_mov_b32_e32 v11, 0
	v_mov_b32_e32 v9, 0
	s_and_saveexec_b64 s[6:7], vcc
	s_cbranch_execz .LBB143_76
; %bb.75:
	v_mov_b32_e32 v9, 0
	v_lshl_add_u64 v[24:25], v[6:7], 0, v[8:9]
	global_load_ushort v13, v[24:25], off offset:32
	v_lshl_add_u64 v[24:25], v[4:5], 0, v[8:9]
	s_waitcnt vmcnt(0)
	v_lshlrev_b32_e32 v9, 16, v13
	v_sub_f32_e32 v0, v9, v0
	global_store_short_d16_hi v[24:25], v0, off offset:32
	v_mul_f32_e32 v0, v18, v0
	v_lshrrev_b32_e32 v9, 16, v0
.LBB143_76:
	s_or_b64 exec, exec, s[6:7]
	s_and_saveexec_b64 s[6:7], s[2:3]
	s_cbranch_execz .LBB143_78
; %bb.77:
	v_mov_b32_e32 v11, 0
	v_lshl_add_u64 v[24:25], v[6:7], 0, v[10:11]
	global_load_ushort v0, v[24:25], off offset:32
	v_lshl_add_u64 v[24:25], v[4:5], 0, v[10:11]
	s_waitcnt vmcnt(0)
	v_lshlrev_b32_e32 v0, 16, v0
	v_sub_f32_e32 v0, v0, v1
	global_store_short_d16_hi v[24:25], v0, off offset:32
	v_mul_f32_e32 v0, v16, v0
	v_lshrrev_b32_e32 v11, 16, v0
.LBB143_78:
	s_or_b64 exec, exec, s[6:7]
	v_mov_b32_e32 v15, 0
	v_mov_b32_e32 v13, 0
	s_and_saveexec_b64 s[6:7], s[0:1]
	s_cbranch_execz .LBB143_80
; %bb.79:
	v_mov_b32_e32 v13, 0
	v_lshl_add_u64 v[0:1], v[6:7], 0, v[12:13]
	global_load_ushort v24, v[0:1], off offset:32
	v_lshl_add_u64 v[0:1], v[4:5], 0, v[12:13]
	s_waitcnt vmcnt(0)
	v_lshlrev_b32_e32 v13, 16, v24
	v_sub_f32_e32 v2, v13, v2
	global_store_short_d16_hi v[0:1], v2, off offset:32
	v_mul_f32_e32 v0, v20, v2
	v_lshrrev_b32_e32 v13, 16, v0
.LBB143_80:
	s_or_b64 exec, exec, s[6:7]
	s_and_saveexec_b64 s[6:7], s[4:5]
	s_cbranch_execz .LBB143_82
; %bb.81:
	v_mov_b32_e32 v15, 0
	v_lshl_add_u64 v[0:1], v[6:7], 0, v[14:15]
	global_load_ushort v2, v[0:1], off offset:32
	v_lshl_add_u64 v[0:1], v[4:5], 0, v[14:15]
	s_waitcnt vmcnt(0)
	v_lshlrev_b32_e32 v2, 16, v2
	v_sub_f32_e32 v2, v2, v3
	global_store_short_d16_hi v[0:1], v2, off offset:32
	v_mul_f32_e32 v0, v17, v2
	v_lshrrev_b32_e32 v15, 16, v0
.LBB143_82:
	s_or_b64 exec, exec, s[6:7]
	s_mov_b32 s6, 0x5040100
	v_perm_b32 v24, v11, v9, s6
	v_or_b32_e32 v9, v21, v23
	v_accvgpr_read_b32 v0, a4
	v_perm_b32 v25, v15, v13, s6
	v_lshlrev_b32_e32 v9, 1, v9
	v_accvgpr_read_b32 v1, a5
	v_accvgpr_read_b32 v2, a6
	;; [unrolled: 1-line block ×3, first 2 shown]
	ds_write_b64 v9, v[24:25] offset:24576
	v_mov_b32_e32 v11, 0
	v_mov_b32_e32 v9, 0
	s_and_saveexec_b64 s[6:7], vcc
	s_cbranch_execz .LBB143_84
; %bb.83:
	v_mov_b32_e32 v9, 0
	v_lshl_add_u64 v[24:25], v[6:7], 0, v[8:9]
	global_load_ushort v13, v[24:25], off offset:64
	v_lshl_add_u64 v[24:25], v[4:5], 0, v[8:9]
	s_waitcnt vmcnt(0)
	v_lshlrev_b32_e32 v9, 16, v13
	v_sub_f32_e32 v0, v9, v0
	global_store_short_d16_hi v[24:25], v0, off offset:64
	v_mul_f32_e32 v0, v18, v0
	v_lshrrev_b32_e32 v9, 16, v0
.LBB143_84:
	s_or_b64 exec, exec, s[6:7]
	s_and_saveexec_b64 s[6:7], s[2:3]
	s_cbranch_execz .LBB143_86
; %bb.85:
	v_mov_b32_e32 v11, 0
	v_lshl_add_u64 v[24:25], v[6:7], 0, v[10:11]
	global_load_ushort v0, v[24:25], off offset:64
	v_lshl_add_u64 v[24:25], v[4:5], 0, v[10:11]
	s_waitcnt vmcnt(0)
	v_lshlrev_b32_e32 v0, 16, v0
	v_sub_f32_e32 v0, v0, v1
	global_store_short_d16_hi v[24:25], v0, off offset:64
	v_mul_f32_e32 v0, v16, v0
	v_lshrrev_b32_e32 v11, 16, v0
.LBB143_86:
	s_or_b64 exec, exec, s[6:7]
	v_mov_b32_e32 v15, 0
	v_mov_b32_e32 v13, 0
	s_and_saveexec_b64 s[6:7], s[0:1]
	s_cbranch_execz .LBB143_88
; %bb.87:
	v_mov_b32_e32 v13, 0
	v_lshl_add_u64 v[0:1], v[6:7], 0, v[12:13]
	global_load_ushort v23, v[0:1], off offset:64
	v_lshl_add_u64 v[0:1], v[4:5], 0, v[12:13]
	s_waitcnt vmcnt(0)
	v_lshlrev_b32_e32 v13, 16, v23
	v_sub_f32_e32 v2, v13, v2
	global_store_short_d16_hi v[0:1], v2, off offset:64
	v_mul_f32_e32 v0, v20, v2
	v_lshrrev_b32_e32 v13, 16, v0
.LBB143_88:
	s_or_b64 exec, exec, s[6:7]
	s_and_saveexec_b64 s[6:7], s[4:5]
	s_cbranch_execz .LBB143_90
; %bb.89:
	v_mov_b32_e32 v15, 0
	v_lshl_add_u64 v[0:1], v[6:7], 0, v[14:15]
	global_load_ushort v2, v[0:1], off offset:64
	v_lshl_add_u64 v[0:1], v[4:5], 0, v[14:15]
	s_waitcnt vmcnt(0)
	v_lshlrev_b32_e32 v2, 16, v2
	v_sub_f32_e32 v2, v2, v3
	global_store_short_d16_hi v[0:1], v2, off offset:64
	v_mul_f32_e32 v0, v17, v2
	v_lshrrev_b32_e32 v15, 16, v0
.LBB143_90:
	s_or_b64 exec, exec, s[6:7]
	s_mov_b32 s6, 0x5040100
	v_perm_b32 v24, v11, v9, s6
	v_or_b32_e32 v9, v21, v22
	v_accvgpr_read_b32 v0, a0
	v_perm_b32 v25, v15, v13, s6
	v_lshlrev_b32_e32 v9, 1, v9
	v_accvgpr_read_b32 v1, a1
	v_accvgpr_read_b32 v2, a2
	;; [unrolled: 1-line block ×3, first 2 shown]
	ds_write_b64 v9, v[24:25] offset:24576
	v_mov_b32_e32 v11, 0
	v_mov_b32_e32 v9, 0
	s_and_saveexec_b64 s[6:7], vcc
	s_cbranch_execz .LBB143_92
; %bb.91:
	v_mov_b32_e32 v9, 0
	v_lshl_add_u64 v[22:23], v[6:7], 0, v[8:9]
	global_load_ushort v13, v[22:23], off offset:96
	v_lshl_add_u64 v[8:9], v[4:5], 0, v[8:9]
	s_waitcnt vmcnt(0)
	v_lshlrev_b32_e32 v13, 16, v13
	v_sub_f32_e32 v0, v13, v0
	global_store_short_d16_hi v[8:9], v0, off offset:96
	v_mul_f32_e32 v0, v18, v0
	v_lshrrev_b32_e32 v9, 16, v0
.LBB143_92:
	s_or_b64 exec, exec, s[6:7]
	s_and_saveexec_b64 s[6:7], s[2:3]
	s_cbranch_execz .LBB143_94
; %bb.93:
	v_mov_b32_e32 v11, 0
	v_lshl_add_u64 v[22:23], v[6:7], 0, v[10:11]
	global_load_ushort v0, v[22:23], off offset:96
	v_lshl_add_u64 v[10:11], v[4:5], 0, v[10:11]
	s_waitcnt vmcnt(0)
	v_lshlrev_b32_e32 v0, 16, v0
	v_sub_f32_e32 v0, v0, v1
	global_store_short_d16_hi v[10:11], v0, off offset:96
	v_mul_f32_e32 v0, v16, v0
	v_lshrrev_b32_e32 v11, 16, v0
.LBB143_94:
	s_or_b64 exec, exec, s[6:7]
	v_mov_b32_e32 v0, 0
	v_mov_b32_e32 v1, 0
	s_and_saveexec_b64 s[2:3], s[0:1]
	s_cbranch_execz .LBB143_96
; %bb.95:
	v_mov_b32_e32 v13, 0
	v_lshl_add_u64 v[22:23], v[6:7], 0, v[12:13]
	global_load_ushort v1, v[22:23], off offset:96
	v_lshl_add_u64 v[12:13], v[4:5], 0, v[12:13]
	s_waitcnt vmcnt(0)
	v_lshlrev_b32_e32 v1, 16, v1
	v_sub_f32_e32 v1, v1, v2
	global_store_short_d16_hi v[12:13], v1, off offset:96
	v_mul_f32_e32 v1, v20, v1
	v_lshrrev_b32_e32 v1, 16, v1
.LBB143_96:
	s_or_b64 exec, exec, s[2:3]
	s_and_saveexec_b64 s[0:1], s[4:5]
	s_cbranch_execz .LBB143_98
; %bb.97:
	v_mov_b32_e32 v15, 0
	v_lshl_add_u64 v[6:7], v[6:7], 0, v[14:15]
	global_load_ushort v0, v[6:7], off offset:96
	v_lshl_add_u64 v[4:5], v[4:5], 0, v[14:15]
	s_waitcnt vmcnt(0)
	v_lshlrev_b32_e32 v0, 16, v0
	v_sub_f32_e32 v0, v0, v3
	global_store_short_d16_hi v[4:5], v0, off offset:96
	v_mul_f32_e32 v0, v17, v0
	v_lshrrev_b32_e32 v0, 16, v0
.LBB143_98:
	s_or_b64 exec, exec, s[0:1]
	s_mov_b32 s0, 0x5040100
	v_or_b32_e32 v2, v21, v19
	v_perm_b32 v1, v0, v1, s0
	v_perm_b32 v0, v11, v9, s0
	v_lshlrev_b32_e32 v2, 1, v2
	ds_write_b64 v2, v[0:1] offset:24576
	s_waitcnt lgkmcnt(0)
	s_barrier
.LBB143_99:
	s_endpgm
	.section	.rodata,"a",@progbits
	.p2align	6, 0x0
	.amdhsa_kernel _ZN12_GLOBAL__N_139chunk_gated_delta_rule_fwd_h_hip_kernelILi64ELb0ELb0ELb1ELb0ELb1ELb1ELb1ELb0EEEvPK12hip_bfloat16S3_S3_PKfS5_PKvPS1_S8_PvPKiSB_iiiiilll
		.amdhsa_group_segment_fixed_size 65536
		.amdhsa_private_segment_fixed_size 0
		.amdhsa_kernarg_size 136
		.amdhsa_user_sgpr_count 2
		.amdhsa_user_sgpr_dispatch_ptr 0
		.amdhsa_user_sgpr_queue_ptr 0
		.amdhsa_user_sgpr_kernarg_segment_ptr 1
		.amdhsa_user_sgpr_dispatch_id 0
		.amdhsa_user_sgpr_kernarg_preload_length 0
		.amdhsa_user_sgpr_kernarg_preload_offset 0
		.amdhsa_user_sgpr_private_segment_size 0
		.amdhsa_uses_dynamic_stack 0
		.amdhsa_enable_private_segment 0
		.amdhsa_system_sgpr_workgroup_id_x 1
		.amdhsa_system_sgpr_workgroup_id_y 1
		.amdhsa_system_sgpr_workgroup_id_z 0
		.amdhsa_system_sgpr_workgroup_info 0
		.amdhsa_system_vgpr_workitem_id 0
		.amdhsa_next_free_vgpr 232
		.amdhsa_next_free_sgpr 68
		.amdhsa_accum_offset 192
		.amdhsa_reserve_vcc 1
		.amdhsa_float_round_mode_32 0
		.amdhsa_float_round_mode_16_64 0
		.amdhsa_float_denorm_mode_32 3
		.amdhsa_float_denorm_mode_16_64 3
		.amdhsa_dx10_clamp 1
		.amdhsa_ieee_mode 1
		.amdhsa_fp16_overflow 0
		.amdhsa_tg_split 0
		.amdhsa_exception_fp_ieee_invalid_op 0
		.amdhsa_exception_fp_denorm_src 0
		.amdhsa_exception_fp_ieee_div_zero 0
		.amdhsa_exception_fp_ieee_overflow 0
		.amdhsa_exception_fp_ieee_underflow 0
		.amdhsa_exception_fp_ieee_inexact 0
		.amdhsa_exception_int_div_zero 0
	.end_amdhsa_kernel
	.section	.text._ZN12_GLOBAL__N_139chunk_gated_delta_rule_fwd_h_hip_kernelILi64ELb0ELb0ELb1ELb0ELb1ELb1ELb1ELb0EEEvPK12hip_bfloat16S3_S3_PKfS5_PKvPS1_S8_PvPKiSB_iiiiilll,"axG",@progbits,_ZN12_GLOBAL__N_139chunk_gated_delta_rule_fwd_h_hip_kernelILi64ELb0ELb0ELb1ELb0ELb1ELb1ELb1ELb0EEEvPK12hip_bfloat16S3_S3_PKfS5_PKvPS1_S8_PvPKiSB_iiiiilll,comdat
.Lfunc_end143:
	.size	_ZN12_GLOBAL__N_139chunk_gated_delta_rule_fwd_h_hip_kernelILi64ELb0ELb0ELb1ELb0ELb1ELb1ELb1ELb0EEEvPK12hip_bfloat16S3_S3_PKfS5_PKvPS1_S8_PvPKiSB_iiiiilll, .Lfunc_end143-_ZN12_GLOBAL__N_139chunk_gated_delta_rule_fwd_h_hip_kernelILi64ELb0ELb0ELb1ELb0ELb1ELb1ELb1ELb0EEEvPK12hip_bfloat16S3_S3_PKfS5_PKvPS1_S8_PvPKiSB_iiiiilll
                                        ; -- End function
	.section	.AMDGPU.csdata,"",@progbits
; Kernel info:
; codeLenInByte = 11468
; NumSgprs: 74
; NumVgprs: 190
; NumAgprs: 40
; TotalNumVgprs: 232
; ScratchSize: 0
; MemoryBound: 0
; FloatMode: 240
; IeeeMode: 1
; LDSByteSize: 65536 bytes/workgroup (compile time only)
; SGPRBlocks: 9
; VGPRBlocks: 28
; NumSGPRsForWavesPerEU: 74
; NumVGPRsForWavesPerEU: 232
; AccumOffset: 192
; Occupancy: 1
; WaveLimiterHint : 1
; COMPUTE_PGM_RSRC2:SCRATCH_EN: 0
; COMPUTE_PGM_RSRC2:USER_SGPR: 2
; COMPUTE_PGM_RSRC2:TRAP_HANDLER: 0
; COMPUTE_PGM_RSRC2:TGID_X_EN: 1
; COMPUTE_PGM_RSRC2:TGID_Y_EN: 1
; COMPUTE_PGM_RSRC2:TGID_Z_EN: 0
; COMPUTE_PGM_RSRC2:TIDIG_COMP_CNT: 0
; COMPUTE_PGM_RSRC3_GFX90A:ACCUM_OFFSET: 47
; COMPUTE_PGM_RSRC3_GFX90A:TG_SPLIT: 0
	.section	.text._ZN12_GLOBAL__N_139chunk_gated_delta_rule_fwd_h_hip_kernelILi64ELb0ELb0ELb0ELb0ELb1ELb1ELb1ELb0EEEvPK12hip_bfloat16S3_S3_PKfS5_PKvPS1_S8_PvPKiSB_iiiiilll,"axG",@progbits,_ZN12_GLOBAL__N_139chunk_gated_delta_rule_fwd_h_hip_kernelILi64ELb0ELb0ELb0ELb0ELb1ELb1ELb1ELb0EEEvPK12hip_bfloat16S3_S3_PKfS5_PKvPS1_S8_PvPKiSB_iiiiilll,comdat
	.globl	_ZN12_GLOBAL__N_139chunk_gated_delta_rule_fwd_h_hip_kernelILi64ELb0ELb0ELb0ELb0ELb1ELb1ELb1ELb0EEEvPK12hip_bfloat16S3_S3_PKfS5_PKvPS1_S8_PvPKiSB_iiiiilll ; -- Begin function _ZN12_GLOBAL__N_139chunk_gated_delta_rule_fwd_h_hip_kernelILi64ELb0ELb0ELb0ELb0ELb1ELb1ELb1ELb0EEEvPK12hip_bfloat16S3_S3_PKfS5_PKvPS1_S8_PvPKiSB_iiiiilll
	.p2align	8
	.type	_ZN12_GLOBAL__N_139chunk_gated_delta_rule_fwd_h_hip_kernelILi64ELb0ELb0ELb0ELb0ELb1ELb1ELb1ELb0EEEvPK12hip_bfloat16S3_S3_PKfS5_PKvPS1_S8_PvPKiSB_iiiiilll,@function
_ZN12_GLOBAL__N_139chunk_gated_delta_rule_fwd_h_hip_kernelILi64ELb0ELb0ELb0ELb0ELb1ELb1ELb1ELb0EEEvPK12hip_bfloat16S3_S3_PKfS5_PKvPS1_S8_PvPKiSB_iiiiilll: ; @_ZN12_GLOBAL__N_139chunk_gated_delta_rule_fwd_h_hip_kernelILi64ELb0ELb0ELb0ELb0ELb1ELb1ELb1ELb0EEEvPK12hip_bfloat16S3_S3_PKfS5_PKvPS1_S8_PvPKiSB_iiiiilll
; %bb.0:
	s_load_dwordx4 s[12:15], s[0:1], 0x5c
	s_load_dwordx2 s[36:37], s[0:1], 0x30
	s_abs_i32 s18, s3
	s_ashr_i32 s17, s3, 31
	s_load_dwordx8 s[4:11], s[0:1], 0x0
	s_waitcnt lgkmcnt(0)
	s_abs_i32 s16, s13
	v_cvt_f32_u32_e32 v1, s16
	s_sub_i32 s20, 0, s16
	s_ashr_i32 s19, s13, 31
	s_xor_b32 s17, s17, s19
	v_rcp_iflag_f32_e32 v1, v1
	v_lshrrev_b32_e32 v85, 6, v0
	v_bfe_u32 v86, v0, 4, 2
	v_lshlrev_b32_e32 v2, 2, v86
	v_mul_f32_e32 v1, 0x4f7ffffe, v1
	v_cvt_u32_f32_e32 v1, v1
	v_and_b32_e32 v84, 63, v0
	v_mov_b32_e32 v47, 0
	v_and_b32_e32 v45, 15, v0
	v_readfirstlane_b32 s21, v1
	s_mul_i32 s20, s20, s21
	s_mul_hi_u32 s20, s21, s20
	s_add_i32 s21, s21, s20
	s_mul_hi_u32 s20, s18, s21
	s_mul_i32 s21, s20, s16
	s_sub_i32 s18, s18, s21
	s_add_i32 s22, s20, 1
	s_sub_i32 s21, s18, s16
	s_cmp_ge_u32 s18, s16
	s_cselect_b32 s20, s22, s20
	s_cselect_b32 s18, s21, s18
	s_add_i32 s21, s20, 1
	s_cmp_ge_u32 s18, s16
	s_cselect_b32 s18, s21, s20
	s_abs_i32 s20, s14
	v_cvt_f32_u32_e32 v1, s20
	s_xor_b32 s18, s18, s17
	s_ashr_i32 s46, s12, 31
	s_sub_i32 s48, s18, s17
	v_rcp_iflag_f32_e32 v1, v1
	s_lshr_b32 s17, s46, 26
	s_add_i32 s17, s12, s17
	s_ashr_i32 s49, s14, 31
	v_mul_f32_e32 v1, 0x4f7ffffe, v1
	v_cvt_u32_f32_e32 v1, v1
	s_ashr_i32 s47, s17, 6
	s_xor_b32 s17, s19, s49
	s_sub_i32 s18, 0, s20
	v_readfirstlane_b32 s19, v1
	s_mul_i32 s18, s18, s19
	s_mul_hi_u32 s18, s19, s18
	s_add_i32 s19, s19, s18
	s_mul_hi_u32 s18, s16, s19
	s_mul_i32 s19, s18, s20
	s_mul_i32 s45, s48, s13
	s_sub_i32 s16, s16, s19
	s_sub_i32 s33, s3, s45
	s_add_i32 s3, s12, 63
	s_add_i32 s19, s18, 1
	s_sub_i32 s21, s16, s20
	s_cmp_ge_u32 s16, s20
	s_cselect_b32 s18, s19, s18
	s_cselect_b32 s16, s21, s16
	s_add_i32 s19, s18, 1
	s_cmp_ge_u32 s16, s20
	s_cselect_b32 s16, s19, s18
	s_xor_b32 s16, s16, s17
	s_sub_i32 s20, s16, s17
	s_abs_i32 s21, s20
	v_cvt_f32_u32_e32 v1, s21
	s_sub_i32 s23, 0, s21
	s_abs_i32 s22, s33
	s_xor_b32 s20, s33, s20
	v_rcp_iflag_f32_e32 v1, v1
	s_ashr_i32 s20, s20, 31
	s_load_dwordx2 s[28:29], s[0:1], 0x80
	s_load_dwordx4 s[16:19], s[0:1], 0x70
	s_mul_hi_i32 s51, s48, s13
	v_mul_f32_e32 v1, 0x4f7ffffe, v1
	v_cvt_u32_f32_e32 v1, v1
	v_lshrrev_b32_e32 v88, 3, v84
	v_lshlrev_b32_e32 v87, 3, v0
	s_waitcnt lgkmcnt(0)
	s_mul_i32 s17, s48, s17
	v_readfirstlane_b32 s24, v1
	s_mul_i32 s23, s23, s24
	s_mul_hi_u32 s23, s24, s23
	s_add_i32 s24, s24, s23
	s_mul_hi_u32 s23, s22, s24
	s_mul_i32 s24, s23, s21
	s_sub_i32 s22, s22, s24
	s_add_i32 s24, s23, 1
	s_sub_i32 s25, s22, s21
	s_cmp_ge_u32 s22, s21
	s_cselect_b32 s23, s24, s23
	s_cselect_b32 s22, s25, s22
	s_add_i32 s24, s23, 1
	s_cmp_ge_u32 s22, s21
	s_cselect_b32 s21, s24, s23
	s_xor_b32 s21, s21, s20
	s_sub_i32 s52, s21, s20
	s_ashr_i32 s20, s3, 31
	s_lshr_b32 s20, s20, 26
	v_lshlrev_b32_e32 v1, 4, v85
	s_add_i32 s3, s3, s20
	v_or_b32_e32 v89, v2, v1
	s_ashr_i32 s3, s3, 6
	s_lshl_b32 s30, s2, 6
	s_mul_i32 s50, s48, s3
	v_or_b32_e32 v90, 64, v89
	s_cmp_lt_i32 s12, 64
	s_mul_hi_u32 s44, s48, s16
	s_mul_i32 s34, s48, s16
	v_mov_b32_e32 v46, v47
	v_mov_b32_e32 v53, v47
	;; [unrolled: 1-line block ×31, first 2 shown]
	s_cbranch_scc1 .LBB144_18
; %bb.1:
	s_ashr_i32 s24, s48, 31
	s_ashr_i32 s54, s33, 31
	s_add_u32 s2, s45, s33
	s_addc_u32 s3, s51, s54
	s_mul_i32 s3, s12, s3
	s_mul_hi_u32 s20, s12, s2
	s_add_i32 s39, s20, s3
	s_mul_i32 s38, s12, s2
	s_lshl_b64 s[2:3], s[38:39], 8
	v_and_b32_e32 v92, 56, v87
	s_add_u32 s20, s6, s2
	v_lshl_or_b32 v91, v85, 3, v88
	v_lshlrev_b32_e32 v3, 1, v92
	s_addc_u32 s2, s7, s3
	v_lshl_or_b32 v93, v91, 8, v3
	s_and_b32 s21, s2, 0xffff
	s_mov_b32 s23, 0x20000
	s_movk_i32 s22, 0x4000
	s_movk_i32 s2, 0x80
	v_or_b32_e32 v94, 0x2000, v93
	buffer_load_dwordx4 v[4:7], v93, s[20:23], 0 offen
	buffer_load_dwordx4 v[8:11], v93, s[20:23], s2 offen
	buffer_load_dwordx4 v[12:15], v94, s[20:23], 0 offen
	buffer_load_dwordx4 v[16:19], v94, s[20:23], s2 offen
	v_lshlrev_b32_e32 v20, 3, v91
	v_and_or_b32 v22, v0, 7, v20
	v_and_b32_e32 v20, 0x78, v20
	v_lshlrev_b32_e32 v22, 4, v22
	v_xor_b32_e32 v95, v22, v20
	v_mul_lo_u32 v21, v91, s15
	v_or_b32_e32 v96, 0x1000, v95
	s_cmpk_eq_i32 s15, 0x80
	s_mov_b32 s53, s14
	v_xor_b32_e32 v20, 8, v95
	v_xor_b32_e32 v22, 8, v96
	s_cselect_b64 s[2:3], -1, 0
	s_cmpk_lg_i32 s15, 0x80
	s_waitcnt vmcnt(3)
	ds_write_b64 v95, v[4:5] offset:49152
	ds_write_b64 v20, v[6:7] offset:49152
	s_waitcnt vmcnt(2)
	ds_write_b64 v95, v[8:9] offset:57344
	ds_write_b64 v20, v[10:11] offset:57344
	;; [unrolled: 3-line block ×4, first 2 shown]
	v_lshl_add_u32 v4, v21, 1, v92
	s_cbranch_scc0 .LBB144_3
; %bb.2:
	v_lshlrev_b32_e32 v6, 1, v4
	v_add_lshl_u32 v5, v4, s15, 1
	s_lshl_b32 s22, s15, 7
	s_load_dwordx2 s[40:41], s[0:1], 0x20
	v_lshl_or_b32 v3, v91, 9, v3
	s_cbranch_execz .LBB144_4
	s_branch .LBB144_5
.LBB144_3:
                                        ; implicit-def: $vgpr5
                                        ; implicit-def: $vgpr6
                                        ; implicit-def: $sgpr22
	s_load_dwordx2 s[40:41], s[0:1], 0x20
	v_lshl_or_b32 v3, v91, 9, v3
.LBB144_4:
	v_or_b32_e32 v5, 0x100, v3
	s_movk_i32 s22, 0x4000
	v_mov_b32_e32 v6, v3
.LBB144_5:
	s_mul_hi_u32 s0, s14, s12
	s_mul_i32 s1, s49, s12
	s_add_i32 s0, s0, s1
	s_mul_i32 s1, s14, s12
	s_mul_i32 s20, s1, s24
	s_mul_hi_u32 s21, s1, s48
	s_add_i32 s20, s21, s20
	s_mul_i32 s0, s0, s48
	s_add_i32 s20, s20, s0
	s_mul_i32 s1, s1, s48
	s_ashr_i32 s55, s52, 31
	s_add_u32 s0, s1, s52
	s_addc_u32 s1, s20, s55
	s_lshl_b64 s[0:1], s[0:1], 8
	s_add_u32 s20, s4, s0
	s_addc_u32 s0, s5, s1
	s_and_b32 s21, s0, 0xffff
	s_movk_i32 s56, 0x80
	buffer_load_dwordx4 v[8:11], v6, s[20:23], 0 offen
	buffer_load_dwordx4 v[12:15], v6, s[20:23], s56 offen
	;; [unrolled: 1-line block ×4, first 2 shown]
	v_and_b32_e32 v5, 6, v0
	v_lshlrev_b32_e32 v6, 7, v89
	v_xor_b32_e32 v27, v91, v5
	v_and_b32_e32 v7, 1, v0
	v_lshl_or_b32 v30, v45, 3, v6
	v_lshlrev_b32_e32 v27, 2, v27
	v_or_b32_e32 v97, 0x4000, v30
	v_or_b32_e32 v98, 0x6000, v30
	v_xor_b32_e32 v30, 0x440, v27
	v_cmp_eq_u32_e32 vcc, 0, v7
	v_lshlrev_b32_e32 v24, 2, v45
	s_mov_b32 s59, 0x1000504
	v_cndmask_b32_e32 v7, v30, v27, vcc
	v_xor_b32_e32 v28, v89, v24
	v_xor_b32_e32 v29, v90, v24
	v_lshl_or_b32 v5, v5, 10, v7
	s_mov_b32 s60, 0x3020706
	s_mul_i32 s0, s24, s12
	s_mul_hi_u32 s1, s48, s12
	v_lshlrev_b32_e32 v25, 8, v45
	v_or_b32_e32 v26, 16, v45
	v_lshlrev_b32_e32 v28, 1, v28
	v_lshlrev_b32_e32 v29, 1, v29
	v_xor_b32_e32 v7, 8, v5
	v_xor_b32_e32 v27, 24, v5
	;; [unrolled: 1-line block ×4, first 2 shown]
	v_or_b32_e32 v100, v25, v28
	v_or_b32_e32 v101, v25, v29
	v_xor_b32_e32 v25, 16, v5
	v_xor_b32_e32 v30, 32, v5
	;; [unrolled: 1-line block ×3, first 2 shown]
	v_add_u32_e32 v7, 0x80, v7
	v_add_u32_e32 v27, 0x80, v27
	;; [unrolled: 1-line block ×4, first 2 shown]
	s_add_i32 s61, s1, s0
	s_add_i32 s0, s44, s17
	s_mul_i32 s24, s24, s16
	s_add_i32 s35, s0, s24
	s_mul_i32 s0, s33, s19
	s_mul_hi_u32 s1, s33, s18
	s_add_i32 s0, s1, s0
	s_mul_i32 s1, s54, s18
	s_add_i32 s1, s0, s1
	s_lshl_b64 s[20:21], s[34:35], 2
	s_mul_i32 s0, s33, s18
	s_add_u32 s20, s10, s20
	s_addc_u32 s21, s11, s21
	s_lshl_b64 s[0:1], s[0:1], 2
	s_add_u32 s42, s20, s0
	s_movk_i32 s0, 0xf8
	s_addc_u32 s43, s21, s1
	s_ashr_i32 s31, s30, 31
	s_lshl_b32 s26, s15, 7
	v_mov_b32_e32 v79, 0
	s_movk_i32 s20, 0x100
	v_lshlrev_b32_e32 v78, 4, v45
	s_mul_i32 s57, s48, s12
	v_lshl_or_b32 v31, v26, 3, v6
	s_mov_b32 s58, 0
	v_or_b32_e32 v99, 0x4000, v31
	s_movk_i32 s22, 0x4000
	v_or_b32_e32 v102, 0x6000, v31
	v_add_u32_e32 v134, v1, v2
	s_mov_b32 s35, 0x7060302
	s_movk_i32 s62, 0x2000
	s_movk_i32 s63, 0x3000
	s_mov_b32 s65, 0
	v_mov_b32_e32 v70, v79
	v_mov_b32_e32 v71, v79
	;; [unrolled: 1-line block ×9, first 2 shown]
	s_waitcnt vmcnt(1)
	v_perm_b32 v35, v8, v16, s59
	s_waitcnt vmcnt(0)
	v_perm_b32 v36, v12, v20, s59
	v_perm_b32 v8, v8, v16, s60
	;; [unrolled: 1-line block ×15, first 2 shown]
	ds_write2st64_b32 v5, v35, v36 offset0:128 offset1:160
	ds_write2st64_b32 v7, v8, v12 offset0:128 offset1:160
	;; [unrolled: 1-line block ×8, first 2 shown]
	v_lshlrev_b32_e32 v5, 8, v26
	v_or_b32_e32 v103, v5, v28
	v_or_b32_e32 v104, v5, v29
	;; [unrolled: 1-line block ×3, first 2 shown]
	v_lshl_or_b32 v7, v5, 3, v6
	v_lshlrev_b32_e32 v5, 8, v5
	v_or_b32_e32 v107, v5, v28
	v_or_b32_e32 v108, v5, v29
	;; [unrolled: 1-line block ×5, first 2 shown]
	v_lshl_or_b32 v7, v5, 3, v6
	v_lshlrev_b32_e32 v5, 8, v5
	v_or_b32_e32 v111, v5, v28
	v_or_b32_e32 v112, v5, v29
	;; [unrolled: 1-line block ×3, first 2 shown]
	v_lshlrev_b32_e32 v5, 3, v5
	v_lshrrev_b32_e32 v9, 5, v84
	v_and_or_b32 v9, v5, s0, v9
	v_lshlrev_b32_e32 v9, 4, v9
	v_lshlrev_b32_e32 v11, 11, v85
	v_and_b32_e32 v5, 0x78, v5
	v_or_b32_e32 v14, 32, v9
	v_and_b32_e32 v8, 0x1000, v11
	v_xor_b32_e32 v10, v9, v5
	v_lshrrev_b32_e32 v12, 1, v84
	v_xor_b32_e32 v14, v14, v5
	v_or_b32_e32 v10, v10, v8
	v_and_b32_e32 v12, 8, v12
	v_or_b32_e32 v14, v14, v8
	v_xor_b32_e32 v113, v10, v12
	v_lshlrev_b32_e32 v10, 8, v86
	v_xor_b32_e32 v115, v14, v12
	v_or_b32_e32 v14, 64, v9
	v_or_b32_e32 v9, 0x60, v9
	;; [unrolled: 1-line block ×3, first 2 shown]
	v_xor_b32_e32 v14, v14, v5
	v_xor_b32_e32 v5, v9, v5
	v_lshlrev_b32_e32 v13, 1, v13
	v_or_b32_e32 v14, v14, v8
	v_or_b32_e32 v5, v5, v8
	s_lshl_b64 s[0:1], s[30:31], 8
	v_or_b32_e32 v114, 0x4000, v13
	v_or_b32_e32 v116, 0x4080, v13
	;; [unrolled: 1-line block ×4, first 2 shown]
	v_xor_b32_e32 v119, v14, v12
	v_xor_b32_e32 v120, v5, v12
	v_or_b32_e32 v121, 0x6000, v13
	v_or_b32_e32 v122, 0x6080, v13
	;; [unrolled: 1-line block ×4, first 2 shown]
	v_lshlrev_b32_e32 v12, 1, v4
	v_add_lshl_u32 v13, v4, s15, 1
	s_add_u32 s0, s36, s0
	v_lshlrev_b32_e32 v4, 1, v45
	v_lshrrev_b32_e32 v15, 4, v0
	s_addc_u32 s1, s37, s1
	v_or_b32_e32 v5, 1, v4
	v_lshlrev_b32_e32 v18, 2, v0
	v_or_b32_e32 v14, 0x100, v3
	v_xor_b32_e32 v16, v15, v4
	v_xor_b32_e32 v17, v5, v15
	v_lshl_add_u64 v[4:5], s[0:1], 0, v[78:79]
	v_lshlrev_b32_e32 v78, 8, v15
	v_lshrrev_b32_e32 v19, 1, v0
	v_and_or_b32 v10, v18, 60, v10
	v_cndmask_b32_e64 v131, v12, v3, s[2:3]
	v_mov_b32_e32 v3, 0xa000
	v_mov_b32_e32 v12, 0x8000
	v_cmp_gt_u32_e64 s[0:1], s20, v0
	v_lshl_or_b32 v125, v16, 3, v78
	v_and_b32_e32 v16, 8, v0
	v_and_b32_e32 v19, 24, v19
	v_lshlrev_b32_e32 v10, 1, v10
	v_cndmask_b32_e64 v3, v3, v12, s[0:1]
	v_lshlrev_b32_e32 v12, 3, v85
	v_or_b32_e32 v127, 0x6000, v10
	v_or_b32_e32 v128, 0x6080, v10
	;; [unrolled: 1-line block ×4, first 2 shown]
	v_mov_b32_e32 v10, 0x400
	v_cmp_eq_u32_e32 vcc, 0, v16
	v_cndmask_b32_e64 v132, v13, v14, s[2:3]
	v_xor_b32_e32 v13, v12, v19
	v_and_b32_e32 v15, 7, v0
	v_cndmask_b32_e64 v16, v10, 64, vcc
	v_or_b32_e32 v14, 0x440, v13
	v_lshl_or_b32 v126, v17, 3, v78
	v_lshlrev_b32_e32 v17, 3, v15
	v_or_b32_e32 v18, 32, v19
	v_or_b32_e32 v20, 0x60, v19
	v_cndmask_b32_e32 v14, v14, v13, vcc
	v_or3_b32 v13, v11, v16, v13
	v_lshlrev_b32_e32 v15, 7, v15
	v_xor_b32_e32 v18, v12, v18
	v_xor_b32_e32 v13, v13, v17
	;; [unrolled: 1-line block ×3, first 2 shown]
	v_or_b32_e32 v21, 0x440, v18
	v_or_b32_e32 v133, v13, v15
	v_xor_b32_e32 v13, 0x440, v12
	v_cndmask_b32_e32 v18, v21, v18, vcc
	v_cndmask_b32_e32 v12, v13, v12, vcc
	v_or_b32_e32 v109, 0x4000, v7
	v_or_b32_e32 v110, 0x6000, v7
	v_lshrrev_b32_e32 v7, 2, v84
	v_or_b32_e32 v14, v14, v11
	v_or_b32_e32 v18, v18, v11
	;; [unrolled: 1-line block ×3, first 2 shown]
	v_and_b32_e32 v7, 12, v7
	v_or_b32_e32 v8, s30, v45
	v_xor_b32_e32 v14, v14, v17
	v_xor_b32_e32 v18, v18, v17
	;; [unrolled: 1-line block ×3, first 2 shown]
	v_ashrrev_i32_e32 v9, 31, v8
	v_or_b32_e32 v10, v1, v7
	v_add_u32_e32 v19, v3, v14
	v_add_u32_e32 v21, v3, v18
	;; [unrolled: 1-line block ×3, first 2 shown]
	v_or3_b32 v12, v1, v7, 64
	v_add_u32_e32 v7, 0xa000, v14
	v_add_u32_e32 v14, 0xa000, v18
	;; [unrolled: 1-line block ×3, first 2 shown]
	v_lshl_add_u64 v[80:81], v[8:9], 1, s[8:9]
	v_lshl_add_u64 v[82:83], v[4:5], 0, v[78:79]
	s_add_i32 s31, s57, 63
	v_lshlrev_b32_e32 v78, 1, v6
	v_lshlrev_b32_e32 v135, 2, v10
	v_add_u32_e32 v136, v19, v15
	v_add_u32_e32 v137, v21, v15
	;; [unrolled: 1-line block ×4, first 2 shown]
	v_lshlrev_b32_e32 v140, 2, v12
	v_add_u32_e32 v141, v7, v15
	v_add_u32_e32 v142, v14, v15
	;; [unrolled: 1-line block ×3, first 2 shown]
	v_mov_b32_e32 v63, v79
	v_mov_b32_e32 v64, v79
	;; [unrolled: 1-line block ×23, first 2 shown]
	s_waitcnt lgkmcnt(0)
	s_barrier
.LBB144_6:                              ; =>This Inner Loop Header: Depth=1
	s_add_i32 s64, s65, 1
	s_cmp_lt_i32 s64, s47
	s_mov_b64 s[24:25], 0
	s_cselect_b64 s[2:3], -1, 0
	s_cmp_ge_i32 s64, s47
	s_mov_b64 s[20:21], 0
	s_cbranch_scc1 .LBB144_8
; %bb.7:                                ;   in Loop: Header=BB144_6 Depth=1
	s_add_i32 s0, s58, 64
	s_add_u32 s0, s38, s0
	s_addc_u32 s1, s39, 0
	s_lshl_b64 s[0:1], s[0:1], 8
	s_add_u32 s20, s6, s0
	s_addc_u32 s21, s7, s1
.LBB144_8:                              ;   in Loop: Header=BB144_6 Depth=1
	v_cndmask_b32_e64 v2, 0, 1, s[2:3]
	v_cmp_ne_u32_e64 s[0:1], 1, v2
	s_andn2_b64 vcc, exec, s[2:3]
	s_cbranch_vccnz .LBB144_10
; %bb.9:                                ;   in Loop: Header=BB144_6 Depth=1
	s_add_i32 s2, s58, 64
	s_add_u32 s2, s57, s2
	s_addc_u32 s3, s61, 0
	s_mul_i32 s24, s2, s49
	s_mul_hi_u32 s25, s2, s53
	s_add_i32 s24, s25, s24
	s_mul_i32 s3, s3, s53
	s_add_i32 s24, s24, s3
	s_mul_i32 s2, s2, s53
	s_add_u32 s2, s2, s52
	s_addc_u32 s3, s24, s55
	s_lshl_b64 s[2:3], s[2:3], 8
	s_add_u32 s24, s4, s2
	s_addc_u32 s25, s5, s3
.LBB144_10:                             ;   in Loop: Header=BB144_6 Depth=1
	v_perm_b32 v3, v77, v76, s35
	v_perm_b32 v2, v75, v74, s35
	v_perm_b32 v5, v73, v72, s35
	v_perm_b32 v4, v71, v70, s35
	ds_write_b64 v97, v[2:3]
	ds_write_b64 v98, v[4:5]
	ds_write_b64 v100, v[2:3]
	ds_write_b64 v101, v[4:5]
	v_perm_b32 v3, v69, v68, s35
	v_perm_b32 v2, v67, v66, s35
	v_perm_b32 v5, v65, v64, s35
	v_perm_b32 v4, v63, v62, s35
	ds_write_b64 v99, v[2:3]
	ds_write_b64 v102, v[4:5]
	ds_write_b64 v103, v[2:3]
	ds_write_b64 v104, v[4:5]
	;; [unrolled: 8-line block ×4, first 2 shown]
	s_waitcnt lgkmcnt(0)
	s_barrier
	ds_read_b64 v[6:7], v113 offset:49152
	ds_read2_b64 v[2:5], v114 offset1:16
	ds_read_b64 v[18:19], v116 offset:6144
	ds_read_b64 v[20:21], v114 offset:6144
	s_waitcnt lgkmcnt(2)
	v_mfma_f32_16x16x16_bf16 a[0:3], v[6:7], v[2:3], 0
	ds_read_b64 v[22:23], v115 offset:49152
	ds_read2st64_b64 v[10:13], v117 offset0:4 offset1:8
	ds_read2st64_b64 v[14:17], v118 offset0:4 offset1:8
	v_mfma_f32_16x16x16_bf16 a[4:7], v[6:7], v[4:5], 0
	ds_read2_b64 v[2:5], v114 offset0:32 offset1:48
	s_add_i32 s2, s58, 63
	s_mul_i32 s3, s2, s29
	s_waitcnt lgkmcnt(0)
	v_mfma_f32_16x16x16_bf16 a[8:11], v[6:7], v[2:3], 0
	s_mul_hi_u32 s27, s2, s28
	s_add_i32 s3, s27, s3
	s_mul_i32 s2, s2, s28
	v_mfma_f32_16x16x16_bf16 a[12:15], v[6:7], v[4:5], 0
	ds_read2st64_b64 v[2:5], v114 offset0:4 offset1:8
	ds_read2st64_b64 v[6:9], v116 offset0:4 offset1:8
	s_lshl_b64 s[2:3], s[2:3], 2
	s_waitcnt lgkmcnt(1)
	v_mfma_f32_16x16x16_bf16 a[0:3], v[22:23], v[2:3], a[0:3]
	s_add_u32 s2, s42, s2
	s_addc_u32 s3, s43, s3
	s_and_b64 vcc, exec, s[0:1]
	s_waitcnt lgkmcnt(0)
	v_mfma_f32_16x16x16_bf16 a[4:7], v[22:23], v[6:7], a[4:7]
	v_mov_b32_e32 v146, 0
	v_mov_b32_e32 v145, 0
	;; [unrolled: 1-line block ×3, first 2 shown]
	v_mfma_f32_16x16x16_bf16 a[8:11], v[22:23], v[10:11], a[8:11]
	ds_read_b64 v[2:3], v119 offset:49152
	ds_read_b64 v[6:7], v120 offset:49152
	;; [unrolled: 1-line block ×3, first 2 shown]
	v_mfma_f32_16x16x16_bf16 a[12:15], v[22:23], v[14:15], a[12:15]
	v_mov_b32_e32 v14, 0
	v_mov_b32_e32 v15, 0
	s_waitcnt lgkmcnt(2)
	v_mfma_f32_16x16x16_bf16 a[0:3], v[2:3], v[4:5], a[0:3]
	v_mov_b32_e32 v4, 0
	v_mov_b32_e32 v5, 0
	v_mfma_f32_16x16x16_bf16 a[16:19], v[2:3], v[8:9], a[4:7]
	v_mov_b32_e32 v8, 0
	v_mov_b32_e32 v9, 0
	;; [unrolled: 3-line block ×3, first 2 shown]
	v_mfma_f32_16x16x16_bf16 a[24:27], v[2:3], v[16:17], a[12:15]
	ds_read_b64 v[2:3], v117 offset:6144
	v_mov_b32_e32 v16, 0
	v_mov_b32_e32 v17, 0
	s_waitcnt lgkmcnt(2)
	v_mfma_f32_16x16x16_bf16 a[4:7], v[6:7], v[20:21], a[0:3]
	v_mfma_f32_16x16x16_bf16 a[8:11], v[6:7], v[18:19], a[16:19]
	s_waitcnt lgkmcnt(0)
	v_mfma_f32_16x16x16_bf16 a[12:15], v[6:7], v[2:3], a[20:23]
	v_mov_b32_e32 v2, 0
	v_mov_b32_e32 v3, 0
	v_mfma_f32_16x16x16_bf16 a[0:3], v[6:7], v[10:11], a[24:27]
	v_mov_b32_e32 v6, 0
	v_mov_b32_e32 v7, 0
	;; [unrolled: 1-line block ×4, first 2 shown]
	s_cbranch_vccnz .LBB144_12
; %bb.11:                               ;   in Loop: Header=BB144_6 Depth=1
	s_and_b32 s21, s21, 0xffff
	buffer_load_dwordx4 v[14:17], v93, s[20:23], 0 offen
	buffer_load_dwordx4 v[10:13], v93, s[20:23], s56 offen
	;; [unrolled: 1-line block ×4, first 2 shown]
	v_mov_b32_e32 v145, v95
	v_mov_b32_e32 v144, v96
.LBB144_12:                             ;   in Loop: Header=BB144_6 Depth=1
	ds_read_b64 v[34:35], v113 offset:57344
	ds_read2_b64 v[18:21], v121 offset1:16
	ds_read_b64 v[36:37], v115 offset:57344
	ds_read_b64 v[38:39], v119 offset:57344
	;; [unrolled: 1-line block ×3, first 2 shown]
	v_add_u32_e32 v42, s58, v134
	s_waitcnt lgkmcnt(3)
	v_mfma_f32_16x16x16_bf16 a[4:7], v[34:35], v[18:19], a[4:7]
	v_mfma_f32_16x16x16_bf16 a[8:11], v[34:35], v[20:21], a[8:11]
	ds_read2_b64 v[18:21], v121 offset0:32 offset1:48
	ds_read2st64_b64 v[22:25], v121 offset0:4 offset1:8
	ds_read2st64_b64 v[26:29], v122 offset0:4 offset1:8
	;; [unrolled: 1-line block ×3, first 2 shown]
	s_waitcnt lgkmcnt(3)
	v_mfma_f32_16x16x16_bf16 a[12:15], v[34:35], v[18:19], a[12:15]
	v_ashrrev_i32_e32 v18, 31, v42
	v_mfma_f32_16x16x16_bf16 a[0:3], v[34:35], v[20:21], a[0:3]
	v_mul_lo_u32 v20, v18, s28
	v_mul_lo_u32 v21, v42, s29
	v_mad_u64_u32 v[18:19], s[20:21], v42, s28, 0
	v_add3_u32 v19, v19, v21, v20
	v_add_u32_e32 v20, 1, v42
	v_ashrrev_i32_e32 v21, 31, v20
	s_waitcnt lgkmcnt(2)
	v_mfma_f32_16x16x16_bf16 a[4:7], v[36:37], v[22:23], a[4:7]
	v_mul_lo_u32 v22, v21, s28
	v_mul_lo_u32 v23, v20, s29
	v_mad_u64_u32 v[20:21], s[20:21], v20, s28, 0
	v_add3_u32 v21, v21, v23, v22
	v_add_u32_e32 v22, 2, v42
	v_ashrrev_i32_e32 v23, 31, v22
	s_waitcnt lgkmcnt(1)
	v_mfma_f32_16x16x16_bf16 a[8:11], v[36:37], v[26:27], a[8:11]
	v_mul_lo_u32 v26, v23, s28
	v_mul_lo_u32 v27, v22, s29
	v_mad_u64_u32 v[22:23], s[20:21], v22, s28, 0
	v_add3_u32 v23, v23, v27, v26
	v_add_u32_e32 v26, 3, v42
	v_ashrrev_i32_e32 v27, 31, v26
	v_mul_lo_u32 v34, v27, s28
	v_mul_lo_u32 v35, v26, s29
	v_mad_u64_u32 v[26:27], s[20:21], v26, s28, 0
	s_add_u32 s20, s38, s58
	s_addc_u32 s21, s39, 0
	v_lshl_add_u64 v[18:19], v[18:19], 2, s[42:43]
	v_add3_u32 v27, v27, v35, v34
	s_lshl_b64 s[20:21], s[20:21], 8
	v_lshl_add_u64 v[20:21], v[20:21], 2, s[42:43]
	v_lshl_add_u64 v[22:23], v[22:23], 2, s[42:43]
	;; [unrolled: 1-line block ×3, first 2 shown]
	global_load_dword v34, v[18:19], off
	global_load_dword v35, v[20:21], off
	;; [unrolled: 1-line block ×4, first 2 shown]
	v_lshl_add_u64 v[18:19], v[80:81], 0, s[20:21]
	v_lshl_add_u64 v[22:23], v[18:19], 0, v[78:79]
	global_load_ushort v44, v[22:23], off offset:256
	global_load_ushort v147, v[22:23], off
	ds_read2st64_b64 v[18:21], v124 offset0:4 offset1:8
	global_load_ushort v148, v[22:23], off offset:768
	global_load_ushort v149, v[22:23], off offset:512
	s_waitcnt lgkmcnt(1)
	v_mfma_f32_16x16x16_bf16 a[12:15], v[36:37], v[30:31], a[12:15]
	s_and_b64 vcc, exec, s[0:1]
	s_waitcnt vmcnt(3)
	v_lshlrev_b32_e32 v31, 16, v44
	s_waitcnt lgkmcnt(0)
	v_mfma_f32_16x16x16_bf16 a[0:3], v[36:37], v[18:19], a[0:3]
	global_load_ushort v36, v[22:23], off offset:288
	global_load_ushort v37, v[22:23], off offset:32
	;; [unrolled: 1-line block ×8, first 2 shown]
	v_mfma_f32_16x16x16_bf16 a[4:7], v[38:39], v[24:25], a[4:7]
	ds_read_b64 v[18:19], v121 offset:6144
	s_waitcnt vmcnt(10)
	v_lshlrev_b32_e32 v30, 16, v147
	v_mov_b32_e32 v147, 0
	v_mfma_f32_16x16x16_bf16 a[8:11], v[38:39], v[28:29], a[8:11]
	v_mfma_f32_16x16x16_bf16 a[12:15], v[38:39], v[32:33], a[12:15]
	;; [unrolled: 1-line block ×3, first 2 shown]
	global_load_ushort v38, v[22:23], off offset:352
	global_load_ushort v39, v[22:23], off offset:96
	ds_read_b64 v[20:21], v122 offset:6144
	ds_read_b64 v[24:25], v123 offset:6144
	ds_read_b64 v[26:27], v124 offset:6144
	global_load_ushort v156, v[22:23], off offset:864
	global_load_ushort v157, v[22:23], off offset:608
	s_load_dword s2, s[2:3], 0x0
	s_waitcnt lgkmcnt(0)
	v_mfma_f32_16x16x16_bf16 a[4:7], v[40:41], v[18:19], a[4:7]
	v_sub_f32_e32 v28, s2, v42
	v_mfma_f32_16x16x16_bf16 a[0:3], v[40:41], v[26:27], a[0:3]
	v_sub_f32_e32 v26, s2, v34
	v_sub_f32_e32 v27, s2, v35
	;; [unrolled: 1-line block ×3, first 2 shown]
	v_mfma_f32_16x16x16_bf16 a[8:11], v[40:41], v[20:21], a[8:11]
	v_exp_f32_e32 v26, v26
	v_exp_f32_e32 v27, v27
	;; [unrolled: 1-line block ×4, first 2 shown]
	v_accvgpr_read_b32 v33, a5
	v_accvgpr_read_b32 v32, a4
	;; [unrolled: 1-line block ×4, first 2 shown]
	v_pk_add_f32 v[30:31], v[30:31], v[32:33] neg_lo:[0,1] neg_hi:[0,1]
	s_waitcnt vmcnt(13)
	v_lshlrev_b32_e32 v33, 16, v148
	s_waitcnt vmcnt(12)
	v_lshlrev_b32_e32 v32, 16, v149
	v_pk_add_f32 v[18:19], v[32:33], v[18:19] neg_lo:[0,1] neg_hi:[0,1]
	v_pk_mul_f32 v[30:31], v[26:27], v[30:31]
	v_pk_mul_f32 v[18:19], v[28:29], v[18:19]
	v_accvgpr_read_b32 v33, a9
	v_perm_b32 v19, v19, v18, s35
	v_perm_b32 v18, v31, v30, s35
	v_accvgpr_read_b32 v32, a8
	v_accvgpr_read_b32 v21, a11
	v_mfma_f32_16x16x16_bf16 a[12:15], v[40:41], v[24:25], a[12:15]
	v_accvgpr_read_b32 v20, a10
	v_accvgpr_read_b32 v25, a3
	;; [unrolled: 1-line block ×3, first 2 shown]
	s_waitcnt vmcnt(11)
	v_lshlrev_b32_e32 v31, 16, v36
	s_waitcnt vmcnt(10)
	v_lshlrev_b32_e32 v30, 16, v37
	v_pk_add_f32 v[30:31], v[30:31], v[32:33] neg_lo:[0,1] neg_hi:[0,1]
	s_waitcnt vmcnt(9)
	v_lshlrev_b32_e32 v33, 16, v150
	s_waitcnt vmcnt(8)
	v_lshlrev_b32_e32 v32, 16, v151
	v_pk_add_f32 v[20:21], v[32:33], v[20:21] neg_lo:[0,1] neg_hi:[0,1]
	v_pk_mul_f32 v[30:31], v[26:27], v[30:31]
	v_pk_mul_f32 v[20:21], v[28:29], v[20:21]
	v_accvgpr_read_b32 v23, a15
	v_perm_b32 v21, v21, v20, s35
	v_perm_b32 v20, v31, v30, s35
	ds_write2_b64 v98, v[18:19], v[20:21] offset1:16
	v_accvgpr_read_b32 v21, a13
	s_waitcnt vmcnt(7)
	v_lshlrev_b32_e32 v19, 16, v152
	s_waitcnt vmcnt(6)
	v_lshlrev_b32_e32 v18, 16, v153
	v_accvgpr_read_b32 v20, a12
	v_accvgpr_read_b32 v22, a14
	v_pk_add_f32 v[18:19], v[18:19], v[20:21] neg_lo:[0,1] neg_hi:[0,1]
	s_waitcnt vmcnt(5)
	v_lshlrev_b32_e32 v21, 16, v154
	s_waitcnt vmcnt(4)
	v_lshlrev_b32_e32 v20, 16, v155
	v_pk_add_f32 v[20:21], v[20:21], v[22:23] neg_lo:[0,1] neg_hi:[0,1]
	v_pk_mul_f32 v[18:19], v[26:27], v[18:19]
	v_pk_mul_f32 v[20:21], v[28:29], v[20:21]
	v_accvgpr_read_b32 v23, a1
	v_perm_b32 v21, v21, v20, s35
	v_perm_b32 v20, v19, v18, s35
	s_waitcnt vmcnt(3)
	v_lshlrev_b32_e32 v19, 16, v38
	s_waitcnt vmcnt(2)
	v_lshlrev_b32_e32 v18, 16, v39
	v_accvgpr_read_b32 v22, a0
	v_pk_add_f32 v[18:19], v[18:19], v[22:23] neg_lo:[0,1] neg_hi:[0,1]
	s_waitcnt vmcnt(1)
	v_lshlrev_b32_e32 v23, 16, v156
	s_waitcnt vmcnt(0)
	v_lshlrev_b32_e32 v22, 16, v157
	v_pk_add_f32 v[22:23], v[22:23], v[24:25] neg_lo:[0,1] neg_hi:[0,1]
	v_pk_mul_f32 v[18:19], v[26:27], v[18:19]
	v_pk_mul_f32 v[22:23], v[28:29], v[22:23]
	v_mov_b32_e32 v24, 0
	v_perm_b32 v23, v23, v22, s35
	v_perm_b32 v22, v19, v18, s35
	ds_write2_b64 v98, v[20:21], v[22:23] offset0:32 offset1:48
	v_mov_b32_e32 v18, 0
	v_mov_b32_e32 v19, 0
	;; [unrolled: 1-line block ×15, first 2 shown]
	s_cbranch_vccnz .LBB144_14
; %bb.13:                               ;   in Loop: Header=BB144_6 Depth=1
	s_and_b32 s25, s25, 0xffff
	s_mov_b32 s27, s23
	buffer_load_dwordx4 v[30:33], v131, s[24:27], 0 offen
	buffer_load_dwordx4 v[22:25], v131, s[24:27], s56 offen
	;; [unrolled: 1-line block ×4, first 2 shown]
	v_mov_b32_e32 v146, v92
	v_mov_b32_e32 v147, v91
.LBB144_14:                             ;   in Loop: Header=BB144_6 Depth=1
	s_waitcnt lgkmcnt(0)
	s_barrier
	ds_read_b64 v[42:43], v136
	ds_read2_b64 v[34:37], v127 offset1:16
	ds_read_b64 v[164:165], v137
	ds_read_b64 v[166:167], v138
	;; [unrolled: 1-line block ×3, first 2 shown]
	ds_read2_b64 v[38:41], v127 offset0:32 offset1:48
	ds_read2st64_b64 v[148:151], v127 offset0:4 offset1:8
	ds_read2st64_b64 v[152:155], v128 offset0:4 offset1:8
	ds_read2st64_b64 v[156:159], v129 offset0:4 offset1:8
	ds_read2st64_b64 v[160:163], v130 offset0:4 offset1:8
	s_waitcnt lgkmcnt(8)
	v_mfma_f32_16x16x16_bf16 a[0:3], v[42:43], v[34:35], 0
	s_add_i32 s3, s50, s65
	s_mul_hi_i32 s21, s3, s13
	s_mul_i32 s3, s3, s13
	v_mfma_f32_16x16x16_bf16 a[4:7], v[42:43], v[36:37], 0
	s_add_u32 s20, s3, s33
	s_addc_u32 s21, s21, s54
	s_add_i32 s3, s31, s58
	s_waitcnt lgkmcnt(4)
	v_mfma_f32_16x16x16_bf16 a[8:11], v[42:43], v[38:39], 0
	s_lshl_b64 s[20:21], s[20:21], 15
	s_mul_hi_i32 s25, s3, s13
	s_mul_i32 s3, s3, s13
	v_mfma_f32_16x16x16_bf16 a[12:15], v[42:43], v[40:41], 0
	ds_read_b64 v[42:43], v127 offset:6144
	ds_read_b64 v[176:177], v128 offset:6144
	;; [unrolled: 1-line block ×4, first 2 shown]
	s_add_u32 s24, s3, s33
	s_waitcnt lgkmcnt(7)
	v_mfma_f32_16x16x16_bf16 a[0:3], v[164:165], v[148:149], a[0:3]
	s_addc_u32 s25, s25, s54
	s_lshl_b64 s[24:25], s[24:25], 9
	s_add_u32 s24, s40, s24
	s_waitcnt lgkmcnt(6)
	v_mfma_f32_16x16x16_bf16 a[4:7], v[164:165], v[152:153], a[4:7]
	s_addc_u32 s25, s41, s25
	v_lshl_add_u64 v[186:187], v[82:83], 0, s[20:21]
	s_waitcnt lgkmcnt(5)
	v_mfma_f32_16x16x16_bf16 a[8:11], v[164:165], v[156:157], a[8:11]
	s_waitcnt lgkmcnt(4)
	v_mfma_f32_16x16x16_bf16 a[12:15], v[164:165], v[160:161], a[12:15]
	ds_read_b64 v[164:165], v141
	ds_read_b64 v[174:175], v142
	ds_read_b64 v[182:183], v143
	s_waitcnt lgkmcnt(2)
	v_mfma_f32_16x16x16_bf16 a[16:19], v[164:165], v[34:35], 0
	v_mfma_f32_16x16x16_bf16 a[20:23], v[164:165], v[36:37], 0
	global_load_dwordx4 v[34:37], v140, s[24:25]
	v_mfma_f32_16x16x16_bf16 a[24:27], v[164:165], v[38:39], 0
	v_mfma_f32_16x16x16_bf16 a[28:31], v[164:165], v[40:41], 0
	global_load_dwordx4 v[38:41], v135, s[24:25]
	v_mfma_f32_16x16x16_bf16 a[0:3], v[166:167], v[150:151], a[0:3]
	v_mfma_f32_16x16x16_bf16 a[4:7], v[166:167], v[154:155], a[4:7]
	;; [unrolled: 1-line block ×8, first 2 shown]
	ds_read2st64_b64 v[164:167], v125 offset1:8
	ds_read2st64_b64 v[168:171], v126 offset1:8
	ds_read_b64 v[184:185], v133 offset:40960
	s_waitcnt lgkmcnt(2)
	v_mov_b32_e32 v172, v164
	v_mfma_f32_16x16x16_bf16 a[16:19], v[174:175], v[148:149], a[16:19]
	v_mov_b32_e32 v173, v165
	v_mfma_f32_16x16x16_bf16 a[20:23], v[174:175], v[152:153], a[20:23]
	v_mfma_f32_16x16x16_bf16 a[24:27], v[174:175], v[156:157], a[24:27]
	;; [unrolled: 1-line block ×3, first 2 shown]
	v_add_co_u32_e32 v160, vcc, s62, v186
	s_waitcnt lgkmcnt(1)
	v_mov_b32_e32 v174, v168
	s_waitcnt lgkmcnt(0)
	v_mfma_f32_16x16x16_bf16 a[16:19], v[184:185], v[150:151], a[16:19]
	ds_read2st64_b64 v[148:151], v125 offset0:16 offset1:24
	v_addc_co_u32_e32 v161, vcc, 0, v187, vcc
	v_mfma_f32_16x16x16_bf16 a[20:23], v[184:185], v[154:155], a[20:23]
	ds_read2st64_b64 v[152:155], v126 offset0:16 offset1:24
	v_mov_b32_e32 v175, v169
	v_mov_b32_e32 v168, v166
	v_mfma_f32_16x16x16_bf16 a[32:35], v[184:185], v[158:159], a[24:27]
	v_mov_b32_e32 v169, v167
	s_waitcnt lgkmcnt(0)
	v_mov_b32_e32 v158, v152
	v_mov_b32_e32 v159, v153
	v_mfma_f32_16x16x16_bf16 a[36:39], v[184:185], v[162:163], a[28:31]
	v_mov_b32_e32 v152, v150
	v_mov_b32_e32 v153, v151
	;; [unrolled: 1-line block ×3, first 2 shown]
	v_mfma_f32_16x16x16_bf16 a[24:27], v[182:183], v[42:43], a[16:19]
	v_add_co_u32_e32 v42, vcc, s63, v186
	v_mov_b32_e32 v157, v149
	v_mfma_f32_16x16x16_bf16 a[28:31], v[182:183], v[176:177], a[20:23]
	v_addc_co_u32_e32 v43, vcc, 0, v187, vcc
	global_store_dwordx4 v[42:43], v[152:155], off
	v_mfma_f32_16x16x16_bf16 a[16:19], v[182:183], v[178:179], a[32:35]
	s_waitcnt vmcnt(2)
	v_mov_b32_e32 v44, v37
	v_mov_b32_e32 v43, v36
	;; [unrolled: 1-line block ×3, first 2 shown]
	v_mfma_f32_16x16x16_bf16 a[20:23], v[182:183], v[180:181], a[36:39]
	s_and_b64 vcc, exec, s[0:1]
	global_store_dwordx4 v[186:187], v[172:175], off
	global_store_dwordx4 v[160:161], v[168:171], off offset:-4096
	global_store_dwordx4 v[160:161], v[156:159], off
	s_cbranch_vccnz .LBB144_16
; %bb.15:                               ;   in Loop: Header=BB144_6 Depth=1
	v_lshrrev_b32_e32 v35, 3, v146
	v_and_b32_e32 v35, 6, v35
	v_xor_b32_e32 v36, v35, v147
	v_lshlrev_b32_e32 v36, 2, v36
	v_and_b32_e32 v37, 8, v146
	v_xor_b32_e32 v146, 0x440, v36
	v_cmp_eq_u32_e32 vcc, 0, v37
	v_perm_b32 v37, v22, v18, s59
	s_nop 0
	v_cndmask_b32_e32 v36, v146, v36, vcc
	v_lshl_or_b32 v35, v35, 10, v36
	v_perm_b32 v36, v30, v26, s59
	s_barrier
	ds_write2st64_b32 v35, v36, v37 offset0:128 offset1:160
	v_xor_b32_e32 v36, 8, v35
	v_perm_b32 v26, v30, v26, s60
	v_perm_b32 v18, v22, v18, s60
	v_add_u32_e32 v22, 0x80, v36
	ds_write2st64_b32 v22, v26, v18 offset0:128 offset1:160
	v_xor_b32_e32 v18, 16, v35
	v_perm_b32 v22, v31, v27, s59
	v_perm_b32 v26, v23, v19, s59
	ds_write2st64_b32 v18, v22, v26 offset0:129 offset1:161
	v_xor_b32_e32 v18, 24, v35
	v_perm_b32 v22, v31, v27, s60
	v_perm_b32 v19, v23, v19, s60
	v_add_u32_e32 v18, 0x80, v18
	ds_write2st64_b32 v18, v22, v19 offset0:129 offset1:161
	v_xor_b32_e32 v18, 32, v35
	v_perm_b32 v19, v32, v28, s59
	v_perm_b32 v22, v24, v20, s59
	;; [unrolled: 9-line block ×3, first 2 shown]
	ds_write2st64_b32 v18, v19, v20 offset0:131 offset1:163
	v_xor_b32_e32 v18, 56, v35
	v_perm_b32 v19, v33, v29, s60
	v_perm_b32 v20, v25, v21, s60
	v_add_u32_e32 v18, 0x80, v18
	ds_write2st64_b32 v18, v19, v20 offset0:131 offset1:163
	ds_write_b64 v145, v[14:15] offset:49152
	v_xor_b32_e32 v14, 8, v145
	ds_write_b64 v14, v[16:17] offset:49152
	ds_write_b64 v145, v[10:11] offset:57344
	;; [unrolled: 1-line block ×4, first 2 shown]
	v_xor_b32_e32 v6, 8, v144
	ds_write_b64 v6, v[8:9] offset:49152
	ds_write_b64 v144, v[2:3] offset:57344
	;; [unrolled: 1-line block ×3, first 2 shown]
.LBB144_16:                             ;   in Loop: Header=BB144_6 Depth=1
	v_exp_f32_e32 v36, s2
	s_waitcnt vmcnt(4)
	v_exp_f32_e32 v38, v38
	v_exp_f32_e32 v39, v39
	;; [unrolled: 1-line block ×4, first 2 shown]
	v_accvgpr_read_b32 v5, a3
	v_accvgpr_read_b32 v4, a2
	;; [unrolled: 1-line block ×4, first 2 shown]
	v_pk_mul_f32 v[38:39], v[36:37], v[38:39] op_sel_hi:[0,1]
	v_pk_mul_f32 v[40:41], v[36:37], v[40:41] op_sel_hi:[0,1]
	v_pk_fma_f32 v[74:75], v[74:75], v[38:39], v[2:3]
	v_pk_fma_f32 v[76:77], v[76:77], v[40:41], v[4:5]
	v_exp_f32_e32 v2, v34
	v_exp_f32_e32 v3, v42
	;; [unrolled: 1-line block ×4, first 2 shown]
	v_accvgpr_read_b32 v9, a7
	v_accvgpr_read_b32 v13, a11
	;; [unrolled: 1-line block ×28, first 2 shown]
	v_pk_mul_f32 v[2:3], v[36:37], v[2:3] op_sel_hi:[0,1]
	v_pk_mul_f32 v[4:5], v[36:37], v[4:5] op_sel_hi:[0,1]
	s_add_i32 s58, s58, 64
	v_pk_fma_f32 v[66:67], v[38:39], v[66:67], v[6:7]
	v_pk_fma_f32 v[68:69], v[40:41], v[68:69], v[8:9]
	;; [unrolled: 1-line block ×13, first 2 shown]
	s_cmp_eq_u32 s47, s64
	v_pk_fma_f32 v[50:51], v[4:5], v[50:51], v[32:33]
	s_cbranch_scc1 .LBB144_18
; %bb.17:                               ;   in Loop: Header=BB144_6 Depth=1
	s_mov_b32 s65, s64
	s_branch .LBB144_6
.LBB144_18:
	s_lshl_b32 s40, s47, 6
	s_sub_i32 s41, s12, s40
	s_cmp_gt_i32 s41, 0
	s_cbranch_scc0 .LBB144_99
; %bb.19:
	s_ashr_i32 s35, s48, 31
	s_ashr_i32 s2, s40, 31
	s_cmpk_lg_i32 s15, 0x80
	s_cselect_b64 s[26:27], -1, 0
	s_and_b64 vcc, exec, s[26:27]
	s_cbranch_vccz .LBB144_21
; %bb.20:
	s_mul_i32 s1, s48, s12
	s_mul_hi_i32 s0, s48, s12
	s_add_u32 s1, s1, s40
	s_addc_u32 s0, s0, s2
	s_mul_i32 s3, s1, s49
	s_mul_hi_u32 s20, s1, s14
	s_add_i32 s3, s20, s3
	s_mul_i32 s0, s0, s14
	s_add_i32 s3, s3, s0
	s_mul_i32 s1, s1, s14
	s_ashr_i32 s0, s52, 31
	s_add_u32 s38, s1, s52
	s_addc_u32 s39, s3, s0
	s_cbranch_execz .LBB144_22
	s_branch .LBB144_23
.LBB144_21:
                                        ; implicit-def: $sgpr38_sgpr39
.LBB144_22:
	s_mul_hi_i32 s0, s48, s14
	s_mul_i32 s48, s48, s14
	s_ashr_i32 s1, s52, 31
	s_add_u32 s3, s48, s52
	s_addc_u32 s0, s0, s1
	s_mul_i32 s1, s3, s46
	s_mul_hi_u32 s14, s3, s12
	s_add_i32 s1, s14, s1
	s_mul_i32 s0, s0, s12
	s_add_i32 s1, s1, s0
	s_mul_i32 s3, s3, s12
	s_add_u32 s38, s3, s40
	s_addc_u32 s39, s1, s2
.LBB144_23:
	s_add_i32 s3, s50, s47
	s_ashr_i32 s14, s33, 31
	s_add_u32 s0, s45, s33
	s_addc_u32 s1, s51, s14
	s_mul_i32 s20, s0, s46
	s_mul_hi_u32 s21, s0, s12
	s_add_i32 s20, s21, s20
	s_mul_i32 s1, s1, s12
	s_add_i32 s20, s20, s1
	s_mul_i32 s0, s0, s12
	s_add_u32 s0, s0, s40
	v_lshlrev_b32_e32 v6, 6, v89
	v_lshlrev_b32_e32 v24, 2, v45
	s_addc_u32 s1, s20, s2
	s_mov_b32 s2, 0x7060302
	v_or_b32_e32 v9, v6, v24
	v_xor_b32_e32 v7, v89, v24
	v_perm_b32 v3, v77, v76, s2
	v_perm_b32 v2, v75, v74, s2
	;; [unrolled: 1-line block ×4, first 2 shown]
	v_lshlrev_b32_e32 v9, 1, v9
	v_xor_b32_e32 v8, v90, v24
	ds_write2st64_b64 v9, v[2:3], v[4:5] offset0:32 offset1:48
	v_lshlrev_b32_e32 v7, 1, v7
	v_lshlrev_b32_e32 v9, 8, v45
	v_or_b32_e32 v10, v7, v9
	v_lshlrev_b32_e32 v8, 1, v8
	ds_write_b64 v10, v[2:3]
	v_or_b32_e32 v2, v8, v9
	v_or_b32_e32 v9, 16, v45
	v_lshlrev_b32_e32 v23, 2, v9
	v_or_b32_e32 v10, v6, v23
	ds_write_b64 v2, v[4:5]
	v_perm_b32 v3, v69, v68, s2
	v_perm_b32 v2, v67, v66, s2
	;; [unrolled: 1-line block ×4, first 2 shown]
	v_lshlrev_b32_e32 v10, 1, v10
	v_lshlrev_b32_e32 v9, 8, v9
	ds_write2st64_b64 v10, v[2:3], v[4:5] offset0:32 offset1:48
	v_or_b32_e32 v10, v7, v9
	ds_write_b64 v10, v[2:3]
	v_or_b32_e32 v2, v8, v9
	v_or_b32_e32 v9, 32, v45
	v_lshlrev_b32_e32 v22, 2, v9
	v_or_b32_e32 v10, v6, v22
	s_lshl_b64 s[24:25], s[0:1], 8
	ds_write_b64 v2, v[4:5]
	v_perm_b32 v3, v61, v60, s2
	v_perm_b32 v2, v59, v58, s2
	;; [unrolled: 1-line block ×4, first 2 shown]
	v_lshlrev_b32_e32 v10, 1, v10
	v_lshlrev_b32_e32 v9, 8, v9
	s_add_u32 s0, s6, s24
	ds_write2st64_b64 v10, v[2:3], v[4:5] offset0:32 offset1:48
	v_or_b32_e32 v10, v7, v9
	s_addc_u32 s1, s7, s25
	ds_write_b64 v10, v[2:3]
	v_or_b32_e32 v2, v8, v9
	v_or_b32_e32 v9, 48, v45
	s_mul_hi_i32 s6, s3, s13
	s_mul_i32 s3, s3, s13
	ds_write_b64 v2, v[4:5]
	v_perm_b32 v3, v47, v46, s2
	v_perm_b32 v2, v53, v52, s2
	;; [unrolled: 1-line block ×4, first 2 shown]
	v_lshlrev_b32_e32 v19, 2, v9
	s_add_u32 s2, s3, s33
	v_or_b32_e32 v6, v6, v19
	s_addc_u32 s3, s6, s14
	v_lshlrev_b32_e32 v6, 1, v6
	s_ashr_i32 s31, s30, 31
	s_lshl_b64 s[2:3], s[2:3], 15
	ds_write2st64_b64 v6, v[2:3], v[4:5] offset0:32 offset1:48
	v_lshlrev_b32_e32 v6, 8, v9
	s_add_u32 s6, s36, s2
	v_or_b32_e32 v7, v7, v6
	s_addc_u32 s7, s37, s3
	s_lshl_b64 s[2:3], s[30:31], 8
	ds_write_b64 v7, v[2:3]
	v_or_b32_e32 v2, v8, v6
	s_add_u32 s2, s6, s2
	v_lshlrev_b32_e32 v3, 1, v45
	ds_write_b64 v2, v[4:5]
	v_lshrrev_b32_e32 v2, 4, v0
	s_addc_u32 s3, s7, s3
	v_or_b32_e32 v4, 1, v3
	v_lshlrev_b32_e32 v10, 4, v45
	v_mov_b32_e32 v11, 0
	v_xor_b32_e32 v3, v2, v3
	v_xor_b32_e32 v6, v4, v2
	v_lshl_add_u64 v[12:13], s[2:3], 0, v[10:11]
	v_lshlrev_b32_e32 v10, 8, v2
	v_lshl_or_b32 v16, v3, 3, v10
	v_lshl_or_b32 v17, v6, 3, v10
	s_waitcnt lgkmcnt(0)
	s_barrier
	ds_read2st64_b64 v[2:5], v16 offset1:8
	ds_read2st64_b64 v[6:9], v17 offset1:8
	v_lshl_add_u64 v[14:15], v[12:13], 0, v[10:11]
	s_movk_i32 s2, 0x2000
	s_cmp_lg_u32 s41, 64
	s_waitcnt lgkmcnt(1)
	v_mov_b32_e32 v10, v2
	v_mov_b32_e32 v11, v3
	s_waitcnt lgkmcnt(0)
	v_mov_b32_e32 v12, v6
	v_mov_b32_e32 v13, v7
	global_store_dwordx4 v[14:15], v[10:13], off
	v_mov_b32_e32 v6, v4
	v_mov_b32_e32 v7, v5
	ds_read2st64_b64 v[2:5], v16 offset0:16 offset1:24
	ds_read2st64_b64 v[10:13], v17 offset0:16 offset1:24
	v_add_co_u32_e32 v16, vcc, s2, v14
	s_cselect_b64 s[6:7], -1, 0
	s_nop 0
	v_addc_co_u32_e32 v17, vcc, 0, v15, vcc
	global_store_dwordx4 v[16:17], v[6:9], off offset:-4096
	v_lshl_or_b32 v25, v85, 3, v88
	s_mov_b32 s20, 0
	s_waitcnt lgkmcnt(1)
	v_mov_b32_e32 v6, v2
	v_add_co_u32_e32 v2, vcc, 0x3000, v14
	v_mov_b32_e32 v7, v3
	s_nop 0
	v_addc_co_u32_e32 v3, vcc, 0, v15, vcc
	s_waitcnt lgkmcnt(0)
	v_mov_b32_e32 v8, v10
	v_mov_b32_e32 v9, v11
	v_mov_b32_e32 v10, v4
	v_mov_b32_e32 v11, v5
	v_or_b32_e32 v20, 32, v25
	v_and_b32_e32 v18, 56, v87
	s_and_b64 vcc, exec, s[6:7]
	global_store_dwordx4 v[16:17], v[6:9], off
	global_store_dwordx4 v[2:3], v[10:13], off
	s_cbranch_vccz .LBB144_29
; %bb.24:
	s_mov_b32 s21, s20
	s_mov_b32 s22, s20
	;; [unrolled: 1-line block ×3, first 2 shown]
	v_mov_b64_e32 v[6:7], s[20:21]
	v_mov_b64_e32 v[8:9], s[22:23]
	;; [unrolled: 1-line block ×3, first 2 shown]
	v_cmp_gt_i32_e32 vcc, s41, v25
	v_mov_b64_e32 v[4:5], v[8:9]
	s_and_saveexec_b64 s[2:3], vcc
	s_cbranch_execz .LBB144_26
; %bb.25:
	v_lshlrev_b32_e32 v2, 8, v25
	v_mov_b32_e32 v3, 0
	v_lshl_add_u64 v[4:5], s[0:1], 0, v[2:3]
	v_lshlrev_b32_e32 v2, 1, v18
	v_lshl_add_u64 v[10:11], v[4:5], 0, v[2:3]
	global_load_dwordx4 v[6:9], v[10:11], off
	global_load_dwordx4 v[2:5], v[10:11], off offset:128
.LBB144_26:
	s_or_b64 exec, exec, s[2:3]
	s_mov_b32 s21, s20
	s_mov_b32 s22, s20
	;; [unrolled: 1-line block ×3, first 2 shown]
	v_mov_b64_e32 v[14:15], s[20:21]
	v_mov_b64_e32 v[16:17], s[22:23]
	;; [unrolled: 1-line block ×3, first 2 shown]
	v_cmp_gt_i32_e32 vcc, s41, v20
	v_lshlrev_b32_e32 v21, 7, v20
	v_mov_b64_e32 v[12:13], v[16:17]
	s_and_saveexec_b64 s[2:3], vcc
	s_cbranch_execz .LBB144_28
; %bb.27:
	v_lshlrev_b32_e32 v10, 1, v21
	v_mov_b32_e32 v11, 0
	v_lshl_add_u64 v[12:13], s[0:1], 0, v[10:11]
	v_lshlrev_b32_e32 v10, 1, v18
	v_lshl_add_u64 v[26:27], v[12:13], 0, v[10:11]
	global_load_dwordx4 v[14:17], v[26:27], off
	global_load_dwordx4 v[10:13], v[26:27], off offset:128
.LBB144_28:
	s_or_b64 exec, exec, s[2:3]
	v_lshrrev_b32_e32 v26, 3, v18
	v_lshlrev_b32_e32 v27, 3, v25
	v_or_b32_e32 v26, v27, v26
	v_lshlrev_b32_e32 v26, 4, v26
	v_and_b32_e32 v27, 0x78, v27
	v_xor_b32_e32 v26, v26, v27
	s_branch .LBB144_31
.LBB144_29:
                                        ; implicit-def: $vgpr26
                                        ; implicit-def: $vgpr21
                                        ; implicit-def: $vgpr6_vgpr7_vgpr8_vgpr9
                                        ; implicit-def: $vgpr2_vgpr3_vgpr4_vgpr5
                                        ; implicit-def: $vgpr14_vgpr15_vgpr16_vgpr17
                                        ; implicit-def: $vgpr10_vgpr11_vgpr12_vgpr13
	s_cbranch_execz .LBB144_31
; %bb.30:
	s_waitcnt vmcnt(0)
	v_lshlrev_b32_e32 v2, 1, v18
	v_lshl_or_b32 v21, v25, 8, v2
	s_and_b32 s1, s1, 0xffff
	s_mov_b32 s3, 0x20000
	s_movk_i32 s2, 0x4000
	v_lshl_or_b32 v26, v20, 8, v2
	s_movk_i32 s13, 0x80
	buffer_load_dwordx4 v[6:9], v21, s[0:3], 0 offen
	buffer_load_dwordx4 v[2:5], v21, s[0:3], s13 offen
	;; [unrolled: 1-line block ×4, first 2 shown]
	v_lshrrev_b32_e32 v21, 3, v18
	v_lshlrev_b32_e32 v26, 3, v25
	v_or_b32_e32 v21, v26, v21
	v_lshlrev_b32_e32 v21, 4, v21
	v_and_b32_e32 v26, 0x78, v26
	v_xor_b32_e32 v26, v21, v26
	v_lshlrev_b32_e32 v21, 7, v20
.LBB144_31:
	s_movk_i32 s0, 0x1000
	v_and_or_b32 v20, v21, s0, v26
	s_waitcnt vmcnt(1)
	ds_write_b64 v26, v[6:7] offset:49152
	v_xor_b32_e32 v6, 8, v26
	ds_write_b64 v6, v[8:9] offset:49152
	s_waitcnt vmcnt(0)
	ds_write_b64 v26, v[2:3] offset:57344
	ds_write_b64 v6, v[4:5] offset:57344
	;; [unrolled: 1-line block ×3, first 2 shown]
	v_xor_b32_e32 v2, 8, v20
	ds_write_b64 v2, v[16:17] offset:49152
	ds_write_b64 v20, v[10:11] offset:57344
	;; [unrolled: 1-line block ×3, first 2 shown]
	v_or_b32_e32 v2, v1, v45
	v_lshlrev_b32_e32 v3, 11, v85
	v_lshlrev_b32_e32 v2, 3, v2
	v_and_b32_e32 v6, 0x1000, v3
	v_lshrrev_b32_e32 v3, 5, v84
	s_movk_i32 s0, 0xf8
	v_and_or_b32 v3, v2, s0, v3
	v_lshlrev_b32_e32 v7, 4, v3
	v_and_b32_e32 v8, 0x78, v2
	v_or_b32_e32 v10, 32, v7
	v_lshrrev_b32_e32 v3, 1, v84
	v_xor_b32_e32 v10, v10, v8
	v_xor_b32_e32 v2, v7, v8
	v_and_b32_e32 v9, 8, v3
	v_or_b32_e32 v10, v10, v6
	v_or_b32_e32 v2, v2, v6
	v_xor_b32_e32 v28, v10, v9
	v_or_b32_e32 v10, 64, v7
	v_xor_b32_e32 v27, v2, v9
	v_xor_b32_e32 v10, v10, v8
	s_waitcnt lgkmcnt(0)
	s_barrier
	v_or_b32_e32 v13, v10, v6
	ds_read_b64 v[10:11], v27 offset:49152
	v_lshl_or_b32 v14, v86, 8, v24
	v_lshlrev_b32_e32 v26, 1, v14
	v_add_u32_e32 v12, 0x4000, v26
	ds_read2_b64 v[2:5], v12 offset1:16
	v_or_b32_e32 v7, 0x60, v7
	v_xor_b32_e32 v7, v7, v8
	v_or_b32_e32 v6, v7, v6
	v_xor_b32_e32 v29, v13, v9
	v_xor_b32_e32 v30, v6, v9
	ds_read_b64 v[20:21], v28 offset:49152
	ds_read_b64 v[34:35], v29 offset:49152
	;; [unrolled: 1-line block ×3, first 2 shown]
	s_waitcnt lgkmcnt(3)
	v_mfma_f32_16x16x16_bf16 a[0:3], v[10:11], v[2:3], 0
	ds_read2_b64 v[6:9], v12 offset0:32 offset1:48
	s_lshl_b64 s[0:1], s[38:39], 8
	s_add_u32 s4, s4, s0
	v_mfma_f32_16x16x16_bf16 a[4:7], v[10:11], v[4:5], 0
	ds_read2st64_b64 v[2:5], v26 offset0:36 offset1:40
	s_addc_u32 s5, s5, s1
	s_add_i32 s2, s12, -1
	s_waitcnt lgkmcnt(1)
	v_mfma_f32_16x16x16_bf16 a[8:11], v[10:11], v[6:7], 0
	v_or_b32_e32 v6, 64, v14
	v_lshlrev_b32_e32 v31, 1, v6
	s_add_i32 s0, s44, s17
	s_waitcnt lgkmcnt(0)
	v_mfma_f32_16x16x16_bf16 a[0:3], v[20:21], v[2:3], a[0:3]
	v_or_b32_e32 v2, 0x80, v14
	v_lshlrev_b32_e32 v32, 1, v2
	v_or_b32_e32 v2, 0xc0, v14
	v_mfma_f32_16x16x16_bf16 a[12:15], v[10:11], v[8:9], 0
	ds_read2st64_b64 v[6:9], v31 offset0:36 offset1:40
	v_lshlrev_b32_e32 v33, 1, v2
	ds_read2st64_b64 v[10:13], v32 offset0:36 offset1:40
	ds_read2st64_b64 v[14:17], v33 offset0:36 offset1:40
	s_mul_i32 s35, s35, s16
	s_add_i32 s35, s0, s35
	s_mul_i32 s0, s33, s19
	s_mul_hi_u32 s1, s33, s18
	s_ashr_i32 s3, s2, 31
	s_mul_i32 s12, s2, s29
	s_mul_hi_u32 s13, s2, s28
	s_waitcnt lgkmcnt(2)
	v_mfma_f32_16x16x16_bf16 a[4:7], v[20:21], v[6:7], a[4:7]
	s_add_i32 s0, s1, s0
	s_mul_i32 s1, s14, s18
	s_add_i32 s12, s13, s12
	s_mul_i32 s3, s3, s28
	s_waitcnt lgkmcnt(1)
	v_mfma_f32_16x16x16_bf16 a[8:11], v[20:21], v[10:11], a[8:11]
	s_add_i32 s1, s0, s1
	s_add_i32 s3, s12, s3
	s_lshl_b64 s[12:13], s[34:35], 2
	s_waitcnt lgkmcnt(0)
	v_mfma_f32_16x16x16_bf16 a[12:15], v[20:21], v[14:15], a[12:15]
	s_mul_i32 s0, s33, s18
	s_add_u32 s10, s10, s12
	s_addc_u32 s11, s11, s13
	s_lshl_b64 s[0:1], s[0:1], 2
	v_mfma_f32_16x16x16_bf16 a[0:3], v[34:35], v[4:5], a[0:3]
	s_mul_i32 s2, s2, s28
	ds_read_b64 v[2:3], v26 offset:22528
	s_add_u32 s10, s10, s0
	v_mfma_f32_16x16x16_bf16 a[4:7], v[34:35], v[8:9], a[4:7]
	ds_read_b64 v[4:5], v31 offset:22528
	ds_read_b64 v[6:7], v32 offset:22528
	;; [unrolled: 1-line block ×3, first 2 shown]
	s_addc_u32 s11, s11, s1
	s_lshl_b64 s[0:1], s[2:3], 2
	v_mfma_f32_16x16x16_bf16 a[8:11], v[34:35], v[12:13], a[8:11]
	s_add_u32 s0, s10, s0
	s_addc_u32 s1, s11, s1
	s_load_dword s12, s[0:1], 0x0
	v_mfma_f32_16x16x16_bf16 a[12:15], v[34:35], v[16:17], a[12:15]
	s_and_b64 vcc, exec, s[26:27]
	s_waitcnt lgkmcnt(0)
	v_mfma_f32_16x16x16_bf16 a[0:3], v[36:37], v[2:3], a[0:3]
	v_mfma_f32_16x16x16_bf16 a[4:7], v[36:37], v[4:5], a[4:7]
	;; [unrolled: 1-line block ×4, first 2 shown]
	s_cbranch_vccz .LBB144_42
; %bb.32:
	v_lshlrev_b32_e32 v20, 1, v25
	s_and_b64 vcc, exec, s[6:7]
	s_cbranch_vccz .LBB144_43
; %bb.33:
	v_cmp_gt_i32_e32 vcc, s41, v20
	v_mov_b32_e32 v6, 0
	v_mov_b32_e32 v2, 0
	;; [unrolled: 1-line block ×5, first 2 shown]
	s_and_saveexec_b64 s[0:1], vcc
	s_cbranch_execz .LBB144_35
; %bb.34:
	v_mad_i64_i32 v[2:3], s[2:3], s15, v20, 0
	v_lshl_add_u64 v[2:3], v[2:3], 1, s[4:5]
	v_lshlrev_b32_e32 v4, 1, v18
	v_mov_b32_e32 v5, 0
	v_lshl_add_u64 v[2:3], v[2:3], 0, v[4:5]
	global_load_dwordx4 v[2:5], v[2:3], off
.LBB144_35:
	s_or_b64 exec, exec, s[0:1]
	v_or_b32_e32 v21, 1, v20
	v_cmp_gt_i32_e64 s[0:1], s41, v21
	v_mov_b32_e32 v7, 0
	v_mov_b32_e32 v8, 0
	;; [unrolled: 1-line block ×3, first 2 shown]
	s_and_saveexec_b64 s[2:3], s[0:1]
	s_cbranch_execz .LBB144_37
; %bb.36:
	v_mad_i64_i32 v[6:7], s[16:17], s15, v21, 0
	v_lshl_add_u64 v[6:7], v[6:7], 1, s[4:5]
	v_lshlrev_b32_e32 v8, 1, v18
	v_mov_b32_e32 v9, 0
	v_lshl_add_u64 v[6:7], v[6:7], 0, v[8:9]
	global_load_dwordx4 v[6:9], v[6:7], off
.LBB144_37:
	s_or_b64 exec, exec, s[2:3]
	v_mov_b32_e32 v17, 0
	v_mov_b32_e32 v10, 0
	;; [unrolled: 1-line block ×5, first 2 shown]
	s_and_saveexec_b64 s[2:3], vcc
	s_cbranch_execz .LBB144_39
; %bb.38:
	v_mad_i64_i32 v[10:11], s[16:17], s15, v20, 0
	v_lshl_add_u64 v[10:11], v[10:11], 1, s[4:5]
	v_lshlrev_b32_e32 v12, 1, v18
	v_mov_b32_e32 v13, 0
	v_lshl_add_u64 v[10:11], v[10:11], 0, v[12:13]
	global_load_dwordx4 v[10:13], v[10:11], off offset:128
.LBB144_39:
	s_or_b64 exec, exec, s[2:3]
	v_mov_b32_e32 v16, 0
	v_mov_b32_e32 v15, 0
	;; [unrolled: 1-line block ×3, first 2 shown]
	s_and_saveexec_b64 s[2:3], s[0:1]
	s_cbranch_execz .LBB144_41
; %bb.40:
	v_mad_i64_i32 v[14:15], s[0:1], s15, v21, 0
	v_lshl_add_u64 v[14:15], v[14:15], 1, s[4:5]
	v_lshlrev_b32_e32 v16, 1, v18
	v_mov_b32_e32 v17, 0
	v_lshl_add_u64 v[14:15], v[14:15], 0, v[16:17]
	global_load_dwordx4 v[14:17], v[14:15], off offset:128
.LBB144_41:
	s_or_b64 exec, exec, s[2:3]
	s_branch .LBB144_45
.LBB144_42:
                                        ; implicit-def: $vgpr5
                                        ; implicit-def: $vgpr9
                                        ; implicit-def: $vgpr13
                                        ; implicit-def: $vgpr17
	v_lshrrev_b32_e32 v34, 2, v84
	s_branch .LBB144_46
.LBB144_43:
                                        ; implicit-def: $vgpr5
                                        ; implicit-def: $vgpr9
                                        ; implicit-def: $vgpr13
                                        ; implicit-def: $vgpr17
	s_cbranch_execz .LBB144_45
; %bb.44:
	s_waitcnt vmcnt(0)
	v_mad_u64_u32 v[2:3], s[0:1], v20, s15, v[18:19]
	v_lshlrev_b32_e32 v20, 1, v2
	s_lshl_b32 s2, s15, 7
	s_and_b32 s1, s5, 0xffff
	s_mov_b32 s3, 0x20000
	s_mov_b32 s0, s4
	v_add_lshl_u32 v21, v2, s15, 1
	s_movk_i32 s13, 0x80
	buffer_load_dwordx4 v[2:5], v20, s[0:3], 0 offen
	buffer_load_dwordx4 v[10:13], v20, s[0:3], s13 offen
	;; [unrolled: 1-line block ×4, first 2 shown]
.LBB144_45:
	v_lshrrev_b32_e32 v34, 2, v84
	s_cbranch_execnz .LBB144_58
.LBB144_46:
	s_and_b64 vcc, exec, s[6:7]
	s_cbranch_vccz .LBB144_56
; %bb.47:
	s_waitcnt vmcnt(0)
	v_lshlrev_b32_e32 v7, 1, v25
	v_cmp_gt_i32_e32 vcc, s41, v7
	v_mov_b32_e32 v6, 0
	v_lshlrev_b32_e32 v14, 9, v25
	v_mov_b32_e32 v2, 0
	v_mov_b32_e32 v3, 0
	;; [unrolled: 1-line block ×4, first 2 shown]
	s_and_saveexec_b64 s[0:1], vcc
	s_cbranch_execz .LBB144_49
; %bb.48:
	v_mov_b32_e32 v15, 0
	v_lshl_add_u64 v[2:3], s[4:5], 0, v[14:15]
	v_lshlrev_b32_e32 v4, 1, v18
	v_mov_b32_e32 v5, v15
	v_lshl_add_u64 v[2:3], v[2:3], 0, v[4:5]
	global_load_dwordx4 v[2:5], v[2:3], off
.LBB144_49:
	s_or_b64 exec, exec, s[0:1]
	v_or_b32_e32 v7, 1, v7
	v_cmp_gt_i32_e64 s[0:1], s41, v7
	v_lshlrev_b32_e32 v20, 8, v7
	v_mov_b32_e32 v7, 0
	v_mov_b32_e32 v8, 0
	;; [unrolled: 1-line block ×3, first 2 shown]
	s_and_saveexec_b64 s[2:3], s[0:1]
	s_cbranch_execz .LBB144_51
; %bb.50:
	v_mov_b32_e32 v21, 0
	v_lshl_add_u64 v[6:7], s[4:5], 0, v[20:21]
	v_lshlrev_b32_e32 v8, 1, v18
	v_mov_b32_e32 v9, v21
	v_lshl_add_u64 v[6:7], v[6:7], 0, v[8:9]
	global_load_dwordx4 v[6:9], v[6:7], off
.LBB144_51:
	s_or_b64 exec, exec, s[2:3]
	v_mov_b32_e32 v17, 0
	v_mov_b32_e32 v10, 0
	;; [unrolled: 1-line block ×5, first 2 shown]
	s_and_saveexec_b64 s[2:3], vcc
	s_cbranch_execz .LBB144_53
; %bb.52:
	v_mov_b32_e32 v15, 0
	v_lshl_add_u64 v[10:11], s[4:5], 0, v[14:15]
	v_lshlrev_b32_e32 v14, 1, v18
	v_lshl_add_u64 v[10:11], v[10:11], 0, v[14:15]
	global_load_dwordx4 v[10:13], v[10:11], off offset:128
.LBB144_53:
	s_or_b64 exec, exec, s[2:3]
	v_mov_b32_e32 v16, 0
	v_mov_b32_e32 v15, 0
	;; [unrolled: 1-line block ×3, first 2 shown]
	s_and_saveexec_b64 s[2:3], s[0:1]
	s_cbranch_execz .LBB144_55
; %bb.54:
	v_mov_b32_e32 v21, 0
	v_lshl_add_u64 v[14:15], s[4:5], 0, v[20:21]
	v_lshlrev_b32_e32 v20, 1, v18
	v_lshl_add_u64 v[14:15], v[14:15], 0, v[20:21]
	global_load_dwordx4 v[14:17], v[14:15], off offset:128
.LBB144_55:
	s_or_b64 exec, exec, s[2:3]
	s_branch .LBB144_58
.LBB144_56:
                                        ; implicit-def: $vgpr5
                                        ; implicit-def: $vgpr9
                                        ; implicit-def: $vgpr13
                                        ; implicit-def: $vgpr17
	s_cbranch_execz .LBB144_58
; %bb.57:
	s_waitcnt vmcnt(0)
	v_lshlrev_b32_e32 v2, 1, v18
	v_lshl_or_b32 v18, v25, 9, v2
	s_and_b32 s5, s5, 0xffff
	s_mov_b32 s7, 0x20000
	s_movk_i32 s6, 0x4000
	s_movk_i32 s0, 0x80
	buffer_load_dwordx4 v[2:5], v18, s[4:7], 0 offen
	buffer_load_dwordx4 v[6:9], v18, s[4:7], 0 offen offset:256
	buffer_load_dwordx4 v[10:13], v18, s[4:7], s0 offen
	buffer_load_dwordx4 v[14:17], v18, s[4:7], s0 offen offset:256
.LBB144_58:
	ds_read_b64 v[20:21], v27 offset:57344
	v_add_u32_e32 v18, 0x6000, v26
	ds_read2_b64 v[36:39], v18 offset1:16
	ds_read_b64 v[54:55], v28 offset:57344
	ds_read_b64 v[28:29], v29 offset:57344
	;; [unrolled: 1-line block ×3, first 2 shown]
	ds_read2st64_b64 v[40:43], v26 offset0:52 offset1:56
	s_mov_b32 s0, 0x1000504
	s_mov_b32 s1, 0x3020706
	s_waitcnt lgkmcnt(4)
	v_mfma_f32_16x16x16_bf16 a[0:3], v[20:21], v[36:37], a[0:3]
	v_mfma_f32_16x16x16_bf16 a[4:7], v[20:21], v[38:39], a[4:7]
	ds_read2_b64 v[36:39], v18 offset0:32 offset1:48
	v_and_b32_e32 v18, 6, v0
	v_xor_b32_e32 v25, v25, v18
	s_waitcnt lgkmcnt(0)
	v_mfma_f32_16x16x16_bf16 a[8:11], v[20:21], v[36:37], a[8:11]
	v_lshlrev_b32_e32 v25, 2, v25
	v_and_b32_e32 v0, 1, v0
	v_xor_b32_e32 v35, 0x440, v25
	v_mfma_f32_16x16x16_bf16 a[12:15], v[20:21], v[38:39], a[12:15]
	ds_read2st64_b64 v[36:39], v31 offset0:52 offset1:56
	ds_read2st64_b64 v[46:49], v32 offset0:52 offset1:56
	;; [unrolled: 1-line block ×3, first 2 shown]
	v_cmp_eq_u32_e32 vcc, 0, v0
	ds_read_b64 v[20:21], v26 offset:30720
	ds_read_b64 v[26:27], v31 offset:30720
	;; [unrolled: 1-line block ×4, first 2 shown]
	v_mfma_f32_16x16x16_bf16 a[0:3], v[54:55], v[40:41], a[0:3]
	v_cndmask_b32_e32 v0, v35, v25, vcc
	v_lshl_or_b32 v0, v18, 10, v0
	s_waitcnt vmcnt(0)
	v_perm_b32 v18, v2, v6, s0
	s_waitcnt lgkmcnt(6)
	v_mfma_f32_16x16x16_bf16 a[4:7], v[54:55], v[36:37], a[4:7]
	v_perm_b32 v25, v10, v14, s0
	ds_write2st64_b32 v0, v18, v25 offset0:128 offset1:160
	v_xor_b32_e32 v18, 8, v0
	s_waitcnt lgkmcnt(6)
	v_mfma_f32_16x16x16_bf16 a[8:11], v[54:55], v[46:47], a[8:11]
	v_perm_b32 v2, v2, v6, s1
	v_perm_b32 v6, v10, v14, s1
	v_add_u32_e32 v10, 0x80, v18
	s_waitcnt lgkmcnt(5)
	v_mfma_f32_16x16x16_bf16 a[12:15], v[54:55], v[50:51], a[12:15]
	ds_write2st64_b32 v10, v2, v6 offset0:128 offset1:160
	v_xor_b32_e32 v2, 16, v0
	v_perm_b32 v6, v3, v7, s0
	v_mfma_f32_16x16x16_bf16 a[0:3], v[28:29], v[42:43], a[0:3]
	v_perm_b32 v10, v11, v15, s0
	ds_write2st64_b32 v2, v6, v10 offset0:129 offset1:161
	v_xor_b32_e32 v2, 24, v0
	v_mfma_f32_16x16x16_bf16 a[4:7], v[28:29], v[38:39], a[4:7]
	v_perm_b32 v3, v3, v7, s1
	v_perm_b32 v6, v11, v15, s1
	v_add_u32_e32 v2, 0x80, v2
	v_mfma_f32_16x16x16_bf16 a[16:19], v[28:29], v[48:49], a[8:11]
	ds_write2st64_b32 v2, v3, v6 offset0:129 offset1:161
	v_xor_b32_e32 v2, 32, v0
	v_perm_b32 v3, v4, v8, s0
	v_mfma_f32_16x16x16_bf16 a[20:23], v[28:29], v[52:53], a[12:15]
	v_perm_b32 v6, v12, v16, s0
	ds_write2st64_b32 v2, v3, v6 offset0:130 offset1:162
	v_xor_b32_e32 v2, 40, v0
	s_waitcnt lgkmcnt(8)
	v_mfma_f32_16x16x16_bf16 a[12:15], v[56:57], v[20:21], a[0:3]
	v_perm_b32 v3, v4, v8, s1
	v_perm_b32 v4, v12, v16, s1
	v_add_u32_e32 v2, 0x80, v2
	s_waitcnt lgkmcnt(7)
	v_mfma_f32_16x16x16_bf16 a[8:11], v[56:57], v[26:27], a[4:7]
	ds_write2st64_b32 v2, v3, v4 offset0:130 offset1:162
	v_xor_b32_e32 v2, 48, v0
	v_perm_b32 v3, v5, v9, s0
	s_waitcnt lgkmcnt(7)
	v_mfma_f32_16x16x16_bf16 a[4:7], v[56:57], v[30:31], a[16:19]
	v_perm_b32 v4, v13, v17, s0
	v_xor_b32_e32 v0, 56, v0
	v_and_or_b32 v18, v34, 12, v1
	s_waitcnt lgkmcnt(6)
	v_mfma_f32_16x16x16_bf16 a[0:3], v[56:57], v[32:33], a[20:23]
	ds_write2st64_b32 v2, v3, v4 offset0:131 offset1:163
	v_perm_b32 v2, v5, v9, s1
	v_perm_b32 v3, v13, v17, s1
	v_add_u32_e32 v0, 0x80, v0
	v_cmp_gt_i32_e32 vcc, s41, v18
	v_mov_b32_e32 v14, 0
	v_mov_b32_e32 v16, 0
	ds_write2st64_b32 v0, v2, v3 offset0:131 offset1:163
	s_and_saveexec_b64 s[0:1], vcc
	s_cbranch_execz .LBB144_60
; %bb.59:
	v_add_u32_e32 v0, s40, v18
	v_ashrrev_i32_e32 v1, 31, v0
	v_mul_lo_u32 v2, v1, s28
	v_mul_lo_u32 v3, v0, s29
	v_mad_u64_u32 v[0:1], s[2:3], v0, s28, 0
	v_add3_u32 v1, v1, v3, v2
	v_lshl_add_u64 v[0:1], v[0:1], 2, s[10:11]
	global_load_dword v0, v[0:1], off
	s_waitcnt vmcnt(0)
	v_sub_f32_e32 v0, s12, v0
	v_exp_f32_e32 v16, v0
.LBB144_60:
	s_or_b64 exec, exec, s[0:1]
	v_or_b32_e32 v8, 1, v18
	v_cmp_gt_i32_e64 s[0:1], s41, v8
	s_and_saveexec_b64 s[2:3], s[0:1]
	s_cbranch_execz .LBB144_62
; %bb.61:
	v_add_u32_e32 v0, s40, v8
	v_ashrrev_i32_e32 v1, 31, v0
	v_mul_lo_u32 v2, v1, s28
	v_mul_lo_u32 v3, v0, s29
	v_mad_u64_u32 v[0:1], s[4:5], v0, s28, 0
	v_add3_u32 v1, v1, v3, v2
	v_lshl_add_u64 v[0:1], v[0:1], 2, s[10:11]
	global_load_dword v0, v[0:1], off
	s_waitcnt vmcnt(0)
	v_sub_f32_e32 v0, s12, v0
	v_exp_f32_e32 v14, v0
.LBB144_62:
	s_or_b64 exec, exec, s[2:3]
	v_or_b32_e32 v10, 2, v18
	v_cmp_gt_i32_e64 s[2:3], s41, v10
	v_mov_b32_e32 v15, 0
	v_mov_b32_e32 v17, 0
	s_and_saveexec_b64 s[4:5], s[2:3]
	s_cbranch_execz .LBB144_64
; %bb.63:
	v_add_u32_e32 v0, s40, v10
	v_ashrrev_i32_e32 v1, 31, v0
	v_mul_lo_u32 v2, v1, s28
	v_mul_lo_u32 v3, v0, s29
	v_mad_u64_u32 v[0:1], s[6:7], v0, s28, 0
	v_add3_u32 v1, v1, v3, v2
	v_lshl_add_u64 v[0:1], v[0:1], 2, s[10:11]
	global_load_dword v0, v[0:1], off
	s_waitcnt vmcnt(0)
	v_sub_f32_e32 v0, s12, v0
	v_exp_f32_e32 v17, v0
.LBB144_64:
	s_or_b64 exec, exec, s[4:5]
	v_or_b32_e32 v12, 3, v18
	v_cmp_gt_i32_e64 s[4:5], s41, v12
	s_and_saveexec_b64 s[6:7], s[4:5]
	s_cbranch_execz .LBB144_66
; %bb.65:
	v_add_u32_e32 v0, s40, v12
	v_ashrrev_i32_e32 v1, 31, v0
	v_mul_lo_u32 v2, v1, s28
	v_mul_lo_u32 v3, v0, s29
	v_mad_u64_u32 v[0:1], s[14:15], v0, s28, 0
	v_add3_u32 v1, v1, v3, v2
	v_lshl_add_u64 v[0:1], v[0:1], 2, s[10:11]
	global_load_dword v0, v[0:1], off
	s_waitcnt vmcnt(0)
	v_sub_f32_e32 v0, s12, v0
	v_exp_f32_e32 v15, v0
.LBB144_66:
	s_or_b64 exec, exec, s[6:7]
	v_or_b32_e32 v4, s30, v45
	s_add_u32 s6, s8, s24
	v_accvgpr_read_b32 v0, a12
	s_addc_u32 s7, s9, s25
	v_ashrrev_i32_e32 v5, 31, v4
	v_accvgpr_read_b32 v1, a13
	v_accvgpr_read_b32 v2, a14
	;; [unrolled: 1-line block ×3, first 2 shown]
	v_lshl_add_u64 v[4:5], v[4:5], 1, s[6:7]
	v_mov_b32_e32 v9, 0
	v_lshlrev_b32_e32 v6, 8, v18
	v_mov_b32_e32 v7, 0
	s_and_saveexec_b64 s[6:7], vcc
	s_cbranch_execz .LBB144_68
; %bb.67:
	v_mov_b32_e32 v7, 0
	v_lshl_add_u64 v[20:21], v[4:5], 0, v[6:7]
	global_load_ushort v7, v[20:21], off
	s_waitcnt vmcnt(0)
	v_lshlrev_b32_e32 v7, 16, v7
	v_sub_f32_e32 v0, v7, v0
	v_mul_f32_e32 v0, v16, v0
	v_lshrrev_b32_e32 v7, 16, v0
.LBB144_68:
	s_or_b64 exec, exec, s[6:7]
	v_lshlrev_b32_e32 v8, 8, v8
	s_and_saveexec_b64 s[6:7], s[0:1]
	s_cbranch_execz .LBB144_70
; %bb.69:
	v_mov_b32_e32 v9, 0
	v_lshl_add_u64 v[20:21], v[4:5], 0, v[8:9]
	global_load_ushort v0, v[20:21], off
	s_waitcnt vmcnt(0)
	v_lshlrev_b32_e32 v0, 16, v0
	v_sub_f32_e32 v0, v0, v1
	v_mul_f32_e32 v0, v14, v0
	v_lshrrev_b32_e32 v9, 16, v0
.LBB144_70:
	s_or_b64 exec, exec, s[6:7]
	v_mov_b32_e32 v13, 0
	v_lshlrev_b32_e32 v10, 8, v10
	v_mov_b32_e32 v11, 0
	s_and_saveexec_b64 s[6:7], s[2:3]
	s_cbranch_execz .LBB144_72
; %bb.71:
	v_mov_b32_e32 v11, 0
	v_lshl_add_u64 v[0:1], v[4:5], 0, v[10:11]
	global_load_ushort v0, v[0:1], off
	s_waitcnt vmcnt(0)
	v_lshlrev_b32_e32 v0, 16, v0
	v_sub_f32_e32 v0, v0, v2
	v_mul_f32_e32 v0, v17, v0
	v_lshrrev_b32_e32 v11, 16, v0
.LBB144_72:
	s_or_b64 exec, exec, s[6:7]
	v_lshlrev_b32_e32 v12, 8, v12
	s_and_saveexec_b64 s[6:7], s[4:5]
	s_cbranch_execz .LBB144_74
; %bb.73:
	v_mov_b32_e32 v13, 0
	v_lshl_add_u64 v[0:1], v[4:5], 0, v[12:13]
	global_load_ushort v0, v[0:1], off
	s_waitcnt vmcnt(0)
	v_lshlrev_b32_e32 v0, 16, v0
	v_sub_f32_e32 v0, v0, v3
	v_mul_f32_e32 v0, v15, v0
	v_lshrrev_b32_e32 v13, 16, v0
.LBB144_74:
	s_or_b64 exec, exec, s[6:7]
	v_lshlrev_b32_e32 v18, 6, v18
	s_mov_b32 s6, 0x5040100
	v_perm_b32 v20, v9, v7, s6
	v_or_b32_e32 v7, v18, v24
	v_accvgpr_read_b32 v0, a8
	v_perm_b32 v21, v13, v11, s6
	v_lshlrev_b32_e32 v7, 1, v7
	v_accvgpr_read_b32 v1, a9
	v_accvgpr_read_b32 v2, a10
	;; [unrolled: 1-line block ×3, first 2 shown]
	ds_write_b64 v7, v[20:21] offset:24576
	v_mov_b32_e32 v9, 0
	v_mov_b32_e32 v7, 0
	s_and_saveexec_b64 s[6:7], vcc
	s_cbranch_execz .LBB144_76
; %bb.75:
	v_mov_b32_e32 v7, 0
	v_lshl_add_u64 v[20:21], v[4:5], 0, v[6:7]
	global_load_ushort v7, v[20:21], off offset:32
	s_waitcnt vmcnt(0)
	v_lshlrev_b32_e32 v7, 16, v7
	v_sub_f32_e32 v0, v7, v0
	v_mul_f32_e32 v0, v16, v0
	v_lshrrev_b32_e32 v7, 16, v0
.LBB144_76:
	s_or_b64 exec, exec, s[6:7]
	s_and_saveexec_b64 s[6:7], s[0:1]
	s_cbranch_execz .LBB144_78
; %bb.77:
	v_mov_b32_e32 v9, 0
	v_lshl_add_u64 v[20:21], v[4:5], 0, v[8:9]
	global_load_ushort v0, v[20:21], off offset:32
	s_waitcnt vmcnt(0)
	v_lshlrev_b32_e32 v0, 16, v0
	v_sub_f32_e32 v0, v0, v1
	v_mul_f32_e32 v0, v14, v0
	v_lshrrev_b32_e32 v9, 16, v0
.LBB144_78:
	s_or_b64 exec, exec, s[6:7]
	v_mov_b32_e32 v13, 0
	v_mov_b32_e32 v11, 0
	s_and_saveexec_b64 s[6:7], s[2:3]
	s_cbranch_execz .LBB144_80
; %bb.79:
	v_mov_b32_e32 v11, 0
	v_lshl_add_u64 v[0:1], v[4:5], 0, v[10:11]
	global_load_ushort v0, v[0:1], off offset:32
	s_waitcnt vmcnt(0)
	v_lshlrev_b32_e32 v0, 16, v0
	v_sub_f32_e32 v0, v0, v2
	v_mul_f32_e32 v0, v17, v0
	v_lshrrev_b32_e32 v11, 16, v0
.LBB144_80:
	s_or_b64 exec, exec, s[6:7]
	s_and_saveexec_b64 s[6:7], s[4:5]
	s_cbranch_execz .LBB144_82
; %bb.81:
	v_mov_b32_e32 v13, 0
	v_lshl_add_u64 v[0:1], v[4:5], 0, v[12:13]
	global_load_ushort v0, v[0:1], off offset:32
	s_waitcnt vmcnt(0)
	v_lshlrev_b32_e32 v0, 16, v0
	v_sub_f32_e32 v0, v0, v3
	v_mul_f32_e32 v0, v15, v0
	v_lshrrev_b32_e32 v13, 16, v0
.LBB144_82:
	s_or_b64 exec, exec, s[6:7]
	s_mov_b32 s6, 0x5040100
	v_perm_b32 v20, v9, v7, s6
	v_or_b32_e32 v7, v18, v23
	v_accvgpr_read_b32 v0, a4
	v_perm_b32 v21, v13, v11, s6
	v_lshlrev_b32_e32 v7, 1, v7
	v_accvgpr_read_b32 v1, a5
	v_accvgpr_read_b32 v2, a6
	;; [unrolled: 1-line block ×3, first 2 shown]
	ds_write_b64 v7, v[20:21] offset:24576
	v_mov_b32_e32 v9, 0
	v_mov_b32_e32 v7, 0
	s_and_saveexec_b64 s[6:7], vcc
	s_cbranch_execz .LBB144_84
; %bb.83:
	v_mov_b32_e32 v7, 0
	v_lshl_add_u64 v[20:21], v[4:5], 0, v[6:7]
	global_load_ushort v7, v[20:21], off offset:64
	s_waitcnt vmcnt(0)
	v_lshlrev_b32_e32 v7, 16, v7
	v_sub_f32_e32 v0, v7, v0
	v_mul_f32_e32 v0, v16, v0
	v_lshrrev_b32_e32 v7, 16, v0
.LBB144_84:
	s_or_b64 exec, exec, s[6:7]
	s_and_saveexec_b64 s[6:7], s[0:1]
	s_cbranch_execz .LBB144_86
; %bb.85:
	v_mov_b32_e32 v9, 0
	v_lshl_add_u64 v[20:21], v[4:5], 0, v[8:9]
	global_load_ushort v0, v[20:21], off offset:64
	s_waitcnt vmcnt(0)
	v_lshlrev_b32_e32 v0, 16, v0
	v_sub_f32_e32 v0, v0, v1
	v_mul_f32_e32 v0, v14, v0
	v_lshrrev_b32_e32 v9, 16, v0
.LBB144_86:
	s_or_b64 exec, exec, s[6:7]
	v_mov_b32_e32 v13, 0
	v_mov_b32_e32 v11, 0
	s_and_saveexec_b64 s[6:7], s[2:3]
	s_cbranch_execz .LBB144_88
; %bb.87:
	v_mov_b32_e32 v11, 0
	v_lshl_add_u64 v[0:1], v[4:5], 0, v[10:11]
	global_load_ushort v0, v[0:1], off offset:64
	s_waitcnt vmcnt(0)
	v_lshlrev_b32_e32 v0, 16, v0
	v_sub_f32_e32 v0, v0, v2
	v_mul_f32_e32 v0, v17, v0
	v_lshrrev_b32_e32 v11, 16, v0
.LBB144_88:
	s_or_b64 exec, exec, s[6:7]
	s_and_saveexec_b64 s[6:7], s[4:5]
	s_cbranch_execz .LBB144_90
; %bb.89:
	v_mov_b32_e32 v13, 0
	v_lshl_add_u64 v[0:1], v[4:5], 0, v[12:13]
	global_load_ushort v0, v[0:1], off offset:64
	s_waitcnt vmcnt(0)
	v_lshlrev_b32_e32 v0, 16, v0
	v_sub_f32_e32 v0, v0, v3
	v_mul_f32_e32 v0, v15, v0
	v_lshrrev_b32_e32 v13, 16, v0
.LBB144_90:
	s_or_b64 exec, exec, s[6:7]
	s_mov_b32 s6, 0x5040100
	v_perm_b32 v20, v9, v7, s6
	v_or_b32_e32 v7, v18, v22
	v_accvgpr_read_b32 v0, a0
	v_perm_b32 v21, v13, v11, s6
	v_lshlrev_b32_e32 v7, 1, v7
	v_accvgpr_read_b32 v1, a1
	v_accvgpr_read_b32 v2, a2
	;; [unrolled: 1-line block ×3, first 2 shown]
	ds_write_b64 v7, v[20:21] offset:24576
	v_mov_b32_e32 v9, 0
	v_mov_b32_e32 v7, 0
	s_and_saveexec_b64 s[6:7], vcc
	s_cbranch_execz .LBB144_92
; %bb.91:
	v_mov_b32_e32 v7, 0
	v_lshl_add_u64 v[6:7], v[4:5], 0, v[6:7]
	global_load_ushort v6, v[6:7], off offset:96
	s_waitcnt vmcnt(0)
	v_lshlrev_b32_e32 v6, 16, v6
	v_sub_f32_e32 v0, v6, v0
	v_mul_f32_e32 v0, v16, v0
	v_lshrrev_b32_e32 v7, 16, v0
.LBB144_92:
	s_or_b64 exec, exec, s[6:7]
	s_and_saveexec_b64 s[6:7], s[0:1]
	s_cbranch_execz .LBB144_94
; %bb.93:
	v_mov_b32_e32 v9, 0
	v_lshl_add_u64 v[8:9], v[4:5], 0, v[8:9]
	global_load_ushort v0, v[8:9], off offset:96
	s_waitcnt vmcnt(0)
	v_lshlrev_b32_e32 v0, 16, v0
	v_sub_f32_e32 v0, v0, v1
	v_mul_f32_e32 v0, v14, v0
	v_lshrrev_b32_e32 v9, 16, v0
.LBB144_94:
	s_or_b64 exec, exec, s[6:7]
	v_mov_b32_e32 v0, 0
	v_mov_b32_e32 v1, 0
	s_and_saveexec_b64 s[0:1], s[2:3]
	s_cbranch_execz .LBB144_96
; %bb.95:
	v_mov_b32_e32 v11, 0
	v_lshl_add_u64 v[10:11], v[4:5], 0, v[10:11]
	global_load_ushort v1, v[10:11], off offset:96
	s_waitcnt vmcnt(0)
	v_lshlrev_b32_e32 v1, 16, v1
	v_sub_f32_e32 v1, v1, v2
	v_mul_f32_e32 v1, v17, v1
	v_lshrrev_b32_e32 v1, 16, v1
.LBB144_96:
	s_or_b64 exec, exec, s[0:1]
	s_and_saveexec_b64 s[0:1], s[4:5]
	s_cbranch_execz .LBB144_98
; %bb.97:
	v_mov_b32_e32 v13, 0
	v_lshl_add_u64 v[4:5], v[4:5], 0, v[12:13]
	global_load_ushort v0, v[4:5], off offset:96
	s_waitcnt vmcnt(0)
	v_lshlrev_b32_e32 v0, 16, v0
	v_sub_f32_e32 v0, v0, v3
	v_mul_f32_e32 v0, v15, v0
	v_lshrrev_b32_e32 v0, 16, v0
.LBB144_98:
	s_or_b64 exec, exec, s[0:1]
	s_mov_b32 s0, 0x5040100
	v_or_b32_e32 v2, v18, v19
	v_perm_b32 v1, v0, v1, s0
	v_perm_b32 v0, v9, v7, s0
	v_lshlrev_b32_e32 v2, 1, v2
	ds_write_b64 v2, v[0:1] offset:24576
	s_waitcnt lgkmcnt(0)
	s_barrier
.LBB144_99:
	s_endpgm
	.section	.rodata,"a",@progbits
	.p2align	6, 0x0
	.amdhsa_kernel _ZN12_GLOBAL__N_139chunk_gated_delta_rule_fwd_h_hip_kernelILi64ELb0ELb0ELb0ELb0ELb1ELb1ELb1ELb0EEEvPK12hip_bfloat16S3_S3_PKfS5_PKvPS1_S8_PvPKiSB_iiiiilll
		.amdhsa_group_segment_fixed_size 65536
		.amdhsa_private_segment_fixed_size 0
		.amdhsa_kernarg_size 136
		.amdhsa_user_sgpr_count 2
		.amdhsa_user_sgpr_dispatch_ptr 0
		.amdhsa_user_sgpr_queue_ptr 0
		.amdhsa_user_sgpr_kernarg_segment_ptr 1
		.amdhsa_user_sgpr_dispatch_id 0
		.amdhsa_user_sgpr_kernarg_preload_length 0
		.amdhsa_user_sgpr_kernarg_preload_offset 0
		.amdhsa_user_sgpr_private_segment_size 0
		.amdhsa_uses_dynamic_stack 0
		.amdhsa_enable_private_segment 0
		.amdhsa_system_sgpr_workgroup_id_x 1
		.amdhsa_system_sgpr_workgroup_id_y 1
		.amdhsa_system_sgpr_workgroup_id_z 0
		.amdhsa_system_sgpr_workgroup_info 0
		.amdhsa_system_vgpr_workitem_id 0
		.amdhsa_next_free_vgpr 228
		.amdhsa_next_free_sgpr 66
		.amdhsa_accum_offset 188
		.amdhsa_reserve_vcc 1
		.amdhsa_float_round_mode_32 0
		.amdhsa_float_round_mode_16_64 0
		.amdhsa_float_denorm_mode_32 3
		.amdhsa_float_denorm_mode_16_64 3
		.amdhsa_dx10_clamp 1
		.amdhsa_ieee_mode 1
		.amdhsa_fp16_overflow 0
		.amdhsa_tg_split 0
		.amdhsa_exception_fp_ieee_invalid_op 0
		.amdhsa_exception_fp_denorm_src 0
		.amdhsa_exception_fp_ieee_div_zero 0
		.amdhsa_exception_fp_ieee_overflow 0
		.amdhsa_exception_fp_ieee_underflow 0
		.amdhsa_exception_fp_ieee_inexact 0
		.amdhsa_exception_int_div_zero 0
	.end_amdhsa_kernel
	.section	.text._ZN12_GLOBAL__N_139chunk_gated_delta_rule_fwd_h_hip_kernelILi64ELb0ELb0ELb0ELb0ELb1ELb1ELb1ELb0EEEvPK12hip_bfloat16S3_S3_PKfS5_PKvPS1_S8_PvPKiSB_iiiiilll,"axG",@progbits,_ZN12_GLOBAL__N_139chunk_gated_delta_rule_fwd_h_hip_kernelILi64ELb0ELb0ELb0ELb0ELb1ELb1ELb1ELb0EEEvPK12hip_bfloat16S3_S3_PKfS5_PKvPS1_S8_PvPKiSB_iiiiilll,comdat
.Lfunc_end144:
	.size	_ZN12_GLOBAL__N_139chunk_gated_delta_rule_fwd_h_hip_kernelILi64ELb0ELb0ELb0ELb0ELb1ELb1ELb1ELb0EEEvPK12hip_bfloat16S3_S3_PKfS5_PKvPS1_S8_PvPKiSB_iiiiilll, .Lfunc_end144-_ZN12_GLOBAL__N_139chunk_gated_delta_rule_fwd_h_hip_kernelILi64ELb0ELb0ELb0ELb0ELb1ELb1ELb1ELb0EEEvPK12hip_bfloat16S3_S3_PKfS5_PKvPS1_S8_PvPKiSB_iiiiilll
                                        ; -- End function
	.section	.AMDGPU.csdata,"",@progbits
; Kernel info:
; codeLenInByte = 11020
; NumSgprs: 72
; NumVgprs: 188
; NumAgprs: 40
; TotalNumVgprs: 228
; ScratchSize: 0
; MemoryBound: 0
; FloatMode: 240
; IeeeMode: 1
; LDSByteSize: 65536 bytes/workgroup (compile time only)
; SGPRBlocks: 8
; VGPRBlocks: 28
; NumSGPRsForWavesPerEU: 72
; NumVGPRsForWavesPerEU: 228
; AccumOffset: 188
; Occupancy: 1
; WaveLimiterHint : 1
; COMPUTE_PGM_RSRC2:SCRATCH_EN: 0
; COMPUTE_PGM_RSRC2:USER_SGPR: 2
; COMPUTE_PGM_RSRC2:TRAP_HANDLER: 0
; COMPUTE_PGM_RSRC2:TGID_X_EN: 1
; COMPUTE_PGM_RSRC2:TGID_Y_EN: 1
; COMPUTE_PGM_RSRC2:TGID_Z_EN: 0
; COMPUTE_PGM_RSRC2:TIDIG_COMP_CNT: 0
; COMPUTE_PGM_RSRC3_GFX90A:ACCUM_OFFSET: 46
; COMPUTE_PGM_RSRC3_GFX90A:TG_SPLIT: 0
	.section	.text._ZN12_GLOBAL__N_139chunk_gated_delta_rule_fwd_h_hip_kernelILi64ELb1ELb1ELb1ELb1ELb1ELb1ELb0ELb0EEEvPK12hip_bfloat16S3_S3_PKfS5_PKvPS1_S8_PvPKiSB_iiiiilll,"axG",@progbits,_ZN12_GLOBAL__N_139chunk_gated_delta_rule_fwd_h_hip_kernelILi64ELb1ELb1ELb1ELb1ELb1ELb1ELb0ELb0EEEvPK12hip_bfloat16S3_S3_PKfS5_PKvPS1_S8_PvPKiSB_iiiiilll,comdat
	.globl	_ZN12_GLOBAL__N_139chunk_gated_delta_rule_fwd_h_hip_kernelILi64ELb1ELb1ELb1ELb1ELb1ELb1ELb0ELb0EEEvPK12hip_bfloat16S3_S3_PKfS5_PKvPS1_S8_PvPKiSB_iiiiilll ; -- Begin function _ZN12_GLOBAL__N_139chunk_gated_delta_rule_fwd_h_hip_kernelILi64ELb1ELb1ELb1ELb1ELb1ELb1ELb0ELb0EEEvPK12hip_bfloat16S3_S3_PKfS5_PKvPS1_S8_PvPKiSB_iiiiilll
	.p2align	8
	.type	_ZN12_GLOBAL__N_139chunk_gated_delta_rule_fwd_h_hip_kernelILi64ELb1ELb1ELb1ELb1ELb1ELb1ELb0ELb0EEEvPK12hip_bfloat16S3_S3_PKfS5_PKvPS1_S8_PvPKiSB_iiiiilll,@function
_ZN12_GLOBAL__N_139chunk_gated_delta_rule_fwd_h_hip_kernelILi64ELb1ELb1ELb1ELb1ELb1ELb1ELb0ELb0EEEvPK12hip_bfloat16S3_S3_PKfS5_PKvPS1_S8_PvPKiSB_iiiiilll: ; @_ZN12_GLOBAL__N_139chunk_gated_delta_rule_fwd_h_hip_kernelILi64ELb1ELb1ELb1ELb1ELb1ELb1ELb0ELb0EEEvPK12hip_bfloat16S3_S3_PKfS5_PKvPS1_S8_PvPKiSB_iiiiilll
; %bb.0:
	s_load_dwordx4 s[28:31], s[0:1], 0x5c
	s_load_dwordx4 s[4:7], s[0:1], 0x70
	s_abs_i32 s11, s3
	s_ashr_i32 s10, s3, 31
	s_load_dwordx4 s[24:27], s[0:1], 0x40
	s_load_dwordx2 s[8:9], s[0:1], 0x50
	s_waitcnt lgkmcnt(0)
	s_abs_i32 s14, s29
	v_cvt_f32_u32_e32 v1, s14
	s_sub_i32 s12, 0, s14
	s_ashr_i32 s15, s29, 31
	s_xor_b32 s10, s10, s15
	v_rcp_iflag_f32_e32 v1, v1
	v_and_b32_e32 v99, 15, v0
	v_bfe_u32 v98, v0, 4, 2
	v_mov_b32_e32 v79, 0
	v_mul_f32_e32 v1, 0x4f7ffffe, v1
	v_cvt_u32_f32_e32 v1, v1
	v_lshlrev_b32_e32 v100, 3, v0
	v_readfirstlane_b32 s13, v1
	s_mul_i32 s12, s12, s13
	s_mul_hi_u32 s12, s13, s12
	s_add_i32 s13, s13, s12
	s_mul_hi_u32 s12, s11, s13
	s_mul_i32 s13, s12, s14
	s_sub_i32 s11, s11, s13
	s_add_i32 s16, s12, 1
	s_sub_i32 s13, s11, s14
	s_cmp_ge_u32 s11, s14
	s_cselect_b32 s12, s16, s12
	s_cselect_b32 s11, s13, s11
	s_add_i32 s13, s12, 1
	s_cmp_ge_u32 s11, s14
	s_cselect_b32 s11, s13, s12
	s_xor_b32 s11, s11, s10
	s_sub_i32 s36, s11, s10
	s_mul_i32 s16, s36, s29
	s_ashr_i32 s37, s36, 31
	s_sub_i32 s33, s3, s16
	s_lshl_b64 s[10:11], s[36:37], 2
	s_add_u32 s12, s26, s10
	s_addc_u32 s13, s27, s11
	s_add_u32 s38, s8, s10
	s_addc_u32 s39, s9, s11
	s_abs_i32 s3, s30
	v_cvt_f32_u32_e32 v1, s3
	s_load_dwordx2 s[34:35], s[12:13], 0x0
	s_sub_i32 s9, 0, s3
	s_lshl_b32 s2, s2, 6
	v_rcp_iflag_f32_e32 v1, v1
	v_or_b32_e32 v88, s2, v99
	s_waitcnt lgkmcnt(0)
	s_sub_i32 s56, s35, s34
	s_ashr_i32 s8, s56, 31
	v_mul_f32_e32 v1, 0x4f7ffffe, v1
	v_cvt_u32_f32_e32 v1, v1
	s_lshr_b32 s8, s8, 26
	s_add_i32 s8, s56, s8
	s_ashr_i32 s55, s8, 6
	v_readfirstlane_b32 s10, v1
	s_mul_i32 s9, s9, s10
	s_mul_hi_u32 s9, s10, s9
	s_add_i32 s10, s10, s9
	s_mul_hi_u32 s9, s14, s10
	s_mul_i32 s10, s9, s3
	s_ashr_i32 s8, s30, 31
	s_sub_i32 s10, s14, s10
	s_xor_b32 s8, s15, s8
	s_add_i32 s11, s9, 1
	s_sub_i32 s12, s10, s3
	s_cmp_ge_u32 s10, s3
	s_cselect_b32 s9, s11, s9
	s_cselect_b32 s10, s12, s10
	s_add_i32 s11, s9, 1
	s_cmp_ge_u32 s10, s3
	s_cselect_b32 s3, s11, s9
	s_xor_b32 s3, s3, s8
	s_sub_i32 s3, s3, s8
	s_abs_i32 s17, s3
	v_cvt_f32_u32_e32 v1, s17
	s_sub_i32 s19, 0, s17
	s_abs_i32 s18, s33
	s_xor_b32 s3, s33, s3
	v_rcp_iflag_f32_e32 v2, v1
	s_ashr_i32 s3, s3, 31
	s_load_dwordx8 s[8:15], s[0:1], 0x20
	v_lshrrev_b32_e32 v1, 6, v0
	v_mul_f32_e32 v2, 0x4f7ffffe, v2
	v_cvt_u32_f32_e32 v2, v2
	v_lshlrev_b32_e32 v77, 4, v1
	v_lshlrev_b32_e32 v80, 7, v88
	v_lshl_or_b32 v102, v98, 2, v77
	v_readfirstlane_b32 s20, v2
	s_mul_i32 s19, s19, s20
	s_mul_hi_u32 s19, s20, s19
	s_add_i32 s20, s20, s19
	s_mul_hi_u32 s19, s18, s20
	s_mul_i32 s20, s19, s17
	s_sub_i32 s18, s18, s20
	s_add_i32 s20, s19, 1
	s_sub_i32 s21, s18, s17
	s_cmp_ge_u32 s18, s17
	s_cselect_b32 s19, s20, s19
	s_cselect_b32 s18, s21, s18
	s_add_i32 s20, s19, 1
	s_cmp_ge_u32 s18, s17
	s_cselect_b32 s17, s20, s19
	s_xor_b32 s17, s17, s3
	s_sub_i32 s57, s17, s3
	s_ashr_i32 s48, s33, 31
	s_mul_hi_i32 s3, s36, s29
	s_add_u32 s16, s16, s33
	s_addc_u32 s17, s3, s48
	s_lshl_b64 s[26:27], s[16:17], 16
	s_waitcnt lgkmcnt(0)
	s_add_u32 s10, s10, s26
	s_addc_u32 s11, s11, s27
	v_ashrrev_i32_e32 v81, 31, v80
	v_lshl_add_u64 v[2:3], v[80:81], 2, s[10:11]
	v_lshlrev_b32_e32 v78, 2, v102
	v_or_b32_e32 v82, 0x800, v80
	v_lshl_add_u64 v[2:3], v[2:3], 0, v[78:79]
	v_ashrrev_i32_e32 v83, 31, v82
	global_load_dwordx4 v[22:25], v[2:3], off
	global_load_dwordx4 v[10:13], v[2:3], off offset:256
	v_lshl_add_u64 v[2:3], v[82:83], 2, s[10:11]
	v_or_b32_e32 v86, 0x1000, v80
	v_lshl_add_u64 v[2:3], v[2:3], 0, v[78:79]
	v_ashrrev_i32_e32 v87, 31, v86
	global_load_dwordx4 v[18:21], v[2:3], off
	global_load_dwordx4 v[14:17], v[2:3], off offset:256
	v_lshl_add_u64 v[2:3], v[86:87], 2, s[10:11]
	;; [unrolled: 6-line block ×3, first 2 shown]
	v_lshl_add_u64 v[34:35], v[2:3], 0, v[78:79]
	global_load_dwordx4 v[6:9], v[34:35], off
	global_load_dwordx4 v[2:5], v[34:35], off offset:256
	s_load_dwordx8 s[16:23], s[0:1], 0x0
	s_load_dwordx2 s[10:11], s[0:1], 0x80
	s_load_dword s58, s[38:39], 0x0
	v_and_b32_e32 v79, 63, v0
	v_or_b32_e32 v103, 64, v102
	s_cmp_lt_i32 s56, 64
	s_mul_hi_i32 s59, s33, s28
	s_mul_i32 s60, s33, s28
	v_lshrrev_b32_e32 v101, 3, v79
	s_mul_i32 s49, s36, s5
	s_mul_hi_u32 s51, s36, s4
	s_mul_i32 s50, s37, s4
	s_mul_i32 s42, s36, s4
	;; [unrolled: 1-line block ×3, first 2 shown]
	s_mul_hi_u32 s53, s33, s6
	s_mul_i32 s54, s48, s6
	s_mul_i32 s40, s33, s6
	s_cbranch_scc1 .LBB145_18
; %bb.1:
	s_ashr_i32 s1, s34, 31
	s_add_u32 s0, s60, s34
	s_addc_u32 s1, s59, s1
	s_lshl_b64 s[0:1], s[0:1], 8
	v_and_b32_e32 v105, 56, v100
	s_waitcnt lgkmcnt(0)
	s_add_u32 s4, s18, s0
	v_lshl_or_b32 v104, v1, 3, v101
	v_lshlrev_b32_e32 v34, 1, v105
	s_addc_u32 s0, s19, s1
	v_lshl_or_b32 v106, v104, 8, v34
	s_and_b32 s5, s0, 0xffff
	s_mov_b32 s7, 0x20000
	s_movk_i32 s6, 0x4000
	s_movk_i32 s0, 0x80
	v_or_b32_e32 v107, 0x2000, v106
	buffer_load_dwordx4 v[36:39], v106, s[4:7], 0 offen
	buffer_load_dwordx4 v[40:43], v106, s[4:7], s0 offen
	;; [unrolled: 1-line block ×4, first 2 shown]
	v_lshlrev_b32_e32 v35, 3, v104
	v_and_or_b32 v53, v0, 7, v35
	v_and_b32_e32 v35, 0x78, v35
	v_lshlrev_b32_e32 v53, 4, v53
	v_xor_b32_e32 v108, v53, v35
	v_mul_lo_u32 v52, v104, s31
	v_or_b32_e32 v109, 0x1000, v108
	v_xor_b32_e32 v35, 8, v108
	s_cmpk_eq_i32 s31, 0x80
	s_mov_b32 s61, s34
	v_xor_b32_e32 v53, 8, v109
	s_cselect_b64 s[0:1], -1, 0
	s_cmpk_lg_i32 s31, 0x80
	s_waitcnt vmcnt(3)
	ds_write_b64 v108, v[36:37] offset:49152
	ds_write_b64 v35, v[38:39] offset:49152
	s_waitcnt vmcnt(2)
	ds_write_b64 v108, v[40:41] offset:57344
	ds_write_b64 v35, v[42:43] offset:57344
	;; [unrolled: 3-line block ×4, first 2 shown]
	v_lshl_add_u32 v35, v52, 1, v105
	s_cbranch_scc0 .LBB145_3
; %bb.2:
	v_lshlrev_b32_e32 v37, 1, v35
	v_add_lshl_u32 v36, v35, s31, 1
	s_lshl_b32 s6, s31, 7
	v_lshl_or_b32 v34, v104, 9, v34
	s_cbranch_execz .LBB145_4
	s_branch .LBB145_5
.LBB145_3:
                                        ; implicit-def: $vgpr36
                                        ; implicit-def: $vgpr37
                                        ; implicit-def: $sgpr6
	v_lshl_or_b32 v34, v104, 9, v34
.LBB145_4:
	v_or_b32_e32 v36, 0x100, v34
	s_movk_i32 s6, 0x4000
	v_mov_b32_e32 v37, v34
.LBB145_5:
	s_mul_i32 s4, s34, s30
	s_ashr_i32 s62, s57, 31
	s_mul_hi_i32 s3, s34, s30
	s_add_u32 s4, s4, s57
	s_addc_u32 s5, s3, s62
	s_lshl_b64 s[4:5], s[4:5], 8
	s_add_u32 s4, s16, s4
	s_addc_u32 s3, s17, s5
	s_and_b32 s5, s3, 0xffff
	s_movk_i32 s63, 0x80
	buffer_load_dwordx4 v[38:41], v37, s[4:7], 0 offen
	buffer_load_dwordx4 v[42:45], v37, s[4:7], s63 offen
	;; [unrolled: 1-line block ×4, first 2 shown]
	v_and_b32_e32 v37, 6, v0
	v_lshlrev_b32_e32 v36, 7, v102
	v_xor_b32_e32 v59, v104, v37
	v_and_b32_e32 v54, 1, v0
	v_lshl_or_b32 v62, v99, 3, v36
	v_lshlrev_b32_e32 v59, 2, v59
	v_lshlrev_b32_e32 v55, 2, v99
	v_or_b32_e32 v110, 0x4000, v62
	v_or_b32_e32 v111, 0x6000, v62
	v_xor_b32_e32 v62, 0x440, v59
	v_cmp_eq_u32_e32 vcc, 0, v54
	v_or_b32_e32 v57, 16, v99
	v_or_b32_e32 v58, 32, v99
	v_xor_b32_e32 v60, v102, v55
	v_xor_b32_e32 v61, v103, v55
	v_cndmask_b32_e32 v54, v62, v59, vcc
	s_mov_b32 s64, 0x1000504
	v_lshl_or_b32 v63, v57, 3, v36
	v_lshlrev_b32_e32 v57, 8, v57
	v_lshl_or_b32 v64, v58, 3, v36
	v_lshlrev_b32_e32 v60, 1, v60
	v_lshlrev_b32_e32 v61, 1, v61
	v_lshl_or_b32 v37, v37, 10, v54
	s_add_i32 s3, s51, s49
	s_mov_b32 s65, 0x3020706
	v_lshlrev_b32_e32 v56, 8, v99
	v_or_b32_e32 v114, 0x4000, v64
	v_or_b32_e32 v115, 0x6000, v64
	;; [unrolled: 1-line block ×4, first 2 shown]
	v_xor_b32_e32 v54, 8, v37
	v_xor_b32_e32 v57, 24, v37
	;; [unrolled: 1-line block ×4, first 2 shown]
	s_add_i32 s43, s3, s50
	s_add_i32 s3, s53, s52
	v_or_b32_e32 v112, 0x4000, v63
	v_or_b32_e32 v113, 0x6000, v63
	;; [unrolled: 1-line block ×4, first 2 shown]
	v_xor_b32_e32 v56, 16, v37
	v_xor_b32_e32 v59, 32, v37
	;; [unrolled: 1-line block ×3, first 2 shown]
	v_add_u32_e32 v54, 0x80, v54
	v_add_u32_e32 v57, 0x80, v57
	;; [unrolled: 1-line block ×4, first 2 shown]
	s_add_i32 s41, s3, s54
	s_lshl_b64 s[4:5], s[42:43], 2
	s_add_u32 s3, s22, s4
	s_addc_u32 s36, s23, s5
	s_lshl_b64 s[4:5], s[40:41], 2
	s_add_u32 s44, s3, s4
	s_movk_i32 s3, 0xf8
	s_addc_u32 s45, s36, s5
	s_lshl_b32 s38, s31, 7
	s_movk_i32 s36, 0x100
	v_mov_b32_e32 v91, 0
	v_lshlrev_b32_e32 v90, 4, v99
	v_ashrrev_i32_e32 v89, 31, v88
	v_lshlrev_b32_e32 v58, 8, v58
	s_mov_b32 s66, 0
	s_movk_i32 s6, 0x4000
	v_or_b32_e32 v120, v58, v60
	v_or_b32_e32 v121, v58, v61
	s_movk_i32 s41, 0x2000
	s_movk_i32 s43, 0x3000
	s_waitcnt vmcnt(1)
	v_perm_b32 v65, v38, v46, s64
	s_waitcnt vmcnt(0)
	v_perm_b32 v66, v42, v50, s64
	v_perm_b32 v38, v38, v46, s65
	;; [unrolled: 1-line block ×15, first 2 shown]
	ds_write2st64_b32 v37, v65, v66 offset0:128 offset1:160
	ds_write2st64_b32 v54, v38, v42 offset0:128 offset1:160
	;; [unrolled: 1-line block ×8, first 2 shown]
	v_or_b32_e32 v37, 48, v99
	v_lshl_or_b32 v38, v37, 3, v36
	v_lshlrev_b32_e32 v37, 8, v37
	v_or_b32_e32 v124, v37, v60
	v_or_b32_e32 v125, v37, v61
	;; [unrolled: 1-line block ×3, first 2 shown]
	v_lshlrev_b32_e32 v37, 3, v37
	v_lshrrev_b32_e32 v39, 5, v79
	v_and_or_b32 v39, v37, s3, v39
	v_lshlrev_b32_e32 v39, 4, v39
	v_or_b32_e32 v122, 0x4000, v38
	v_or_b32_e32 v123, 0x6000, v38
	v_lshrrev_b32_e32 v38, 2, v79
	v_lshlrev_b32_e32 v41, 11, v1
	v_and_b32_e32 v37, 0x78, v37
	v_or_b32_e32 v45, 32, v39
	v_and_b32_e32 v40, 12, v38
	v_and_b32_e32 v38, 0x1000, v41
	v_lshrrev_b32_e32 v43, 1, v79
	v_xor_b32_e32 v45, v45, v37
	v_xor_b32_e32 v42, v39, v37
	v_and_b32_e32 v43, 8, v43
	v_or_b32_e32 v45, v45, v38
	v_or_b32_e32 v42, v42, v38
	v_xor_b32_e32 v128, v45, v43
	v_or_b32_e32 v45, 64, v39
	v_or_b32_e32 v39, 0x60, v39
	v_xor_b32_e32 v126, v42, v43
	v_lshlrev_b32_e32 v42, 8, v98
	v_xor_b32_e32 v45, v45, v37
	v_xor_b32_e32 v37, v39, v37
	s_ashr_i32 s3, s2, 31
	v_or_b32_e32 v44, v42, v55
	v_or_b32_e32 v45, v45, v38
	;; [unrolled: 1-line block ×3, first 2 shown]
	s_lshl_b64 s[4:5], s[2:3], 8
	v_lshlrev_b32_e32 v47, 2, v0
	v_lshlrev_b32_e32 v44, 1, v44
	v_xor_b32_e32 v132, v45, v43
	v_xor_b32_e32 v133, v37, v43
	v_lshlrev_b32_e32 v37, 1, v35
	v_add_lshl_u32 v35, v35, s31, 1
	v_or_b32_e32 v43, 0x100, v34
	s_add_u32 s4, s12, s4
	v_lshlrev_b32_e32 v38, 1, v99
	v_lshrrev_b32_e32 v48, 1, v0
	v_and_or_b32 v42, v47, 60, v42
	v_or_b32_e32 v127, 0x4000, v44
	v_or_b32_e32 v129, 0x4080, v44
	;; [unrolled: 1-line block ×8, first 2 shown]
	v_lshrrev_b32_e32 v44, 4, v0
	s_addc_u32 s5, s13, s5
	v_or_b32_e32 v39, 1, v38
	v_and_b32_e32 v48, 24, v48
	v_lshlrev_b32_e32 v42, 1, v42
	v_cndmask_b32_e64 v144, v37, v34, s[0:1]
	v_cndmask_b32_e64 v145, v35, v43, s[0:1]
	v_mov_b32_e32 v35, 0xa000
	v_mov_b32_e32 v37, 0x8000
	v_cmp_gt_u32_e64 s[0:1], s36, v0
	v_xor_b32_e32 v45, v44, v38
	v_xor_b32_e32 v46, v39, v44
	v_lshl_add_u64 v[38:39], s[4:5], 0, v[90:91]
	v_lshlrev_b32_e32 v90, 8, v44
	v_or_b32_e32 v140, 0x6000, v42
	v_or_b32_e32 v47, 32, v48
	v_or_b32_e32 v141, 0x6080, v42
	v_or_b32_e32 v142, 0x6100, v42
	v_or_b32_e32 v143, 0x6180, v42
	v_or_b32_e32 v42, 0x60, v48
	v_cndmask_b32_e64 v35, v35, v37, s[0:1]
	v_lshlrev_b32_e32 v37, 3, v1
	v_lshl_or_b32 v138, v45, 3, v90
	v_and_b32_e32 v45, 8, v0
	v_xor_b32_e32 v43, v37, v48
	v_xor_b32_e32 v47, v37, v47
	;; [unrolled: 1-line block ×3, first 2 shown]
	v_mov_b32_e32 v49, 0x400
	v_cmp_eq_u32_e32 vcc, 0, v45
	v_or_b32_e32 v48, 0x440, v43
	v_or_b32_e32 v50, 0x440, v47
	v_xor_b32_e32 v42, 0x440, v37
	v_and_b32_e32 v44, 7, v0
	v_cndmask_b32_e64 v45, v49, 64, vcc
	v_cndmask_b32_e32 v48, v48, v43, vcc
	v_cndmask_b32_e32 v47, v50, v47, vcc
	;; [unrolled: 1-line block ×3, first 2 shown]
	v_lshl_or_b32 v139, v46, 3, v90
	v_lshlrev_b32_e32 v46, 3, v44
	v_or_b32_e32 v48, v48, v41
	v_or_b32_e32 v47, v47, v41
	v_or3_b32 v43, v41, v45, v43
	v_or_b32_e32 v37, v37, v41
	v_lshlrev_b32_e32 v44, 7, v44
	v_xor_b32_e32 v48, v48, v46
	v_xor_b32_e32 v47, v47, v46
	;; [unrolled: 1-line block ×4, first 2 shown]
	v_or_b32_e32 v34, v77, v40
	v_add_u32_e32 v49, v35, v48
	v_add_u32_e32 v50, v35, v47
	v_or_b32_e32 v146, v43, v44
	v_add_u32_e32 v41, v35, v37
	v_or3_b32 v40, v77, v40, 64
	v_add_u32_e32 v45, 0xa000, v48
	v_add_u32_e32 v46, 0xa000, v47
	;; [unrolled: 1-line block ×3, first 2 shown]
	v_lshlrev_b64 v[42:43], 1, v[88:89]
	v_lshl_add_u64 v[92:93], s[20:21], 0, v[42:43]
	v_lshl_add_u64 v[94:95], s[14:15], 0, v[42:43]
	;; [unrolled: 1-line block ×3, first 2 shown]
	s_mov_b32 s3, 0x7060302
	v_lshlrev_b32_e32 v90, 1, v36
	v_lshlrev_b32_e32 v89, 2, v34
	v_add_u32_e32 v147, v49, v44
	v_add_u32_e32 v148, v50, v44
	;; [unrolled: 1-line block ×4, first 2 shown]
	v_lshlrev_b32_e32 v151, 2, v40
	v_add_u32_e32 v152, v45, v44
	v_add_u32_e32 v153, v46, v44
	;; [unrolled: 1-line block ×3, first 2 shown]
	s_waitcnt lgkmcnt(0)
	s_barrier
.LBB145_6:                              ; =>This Inner Loop Header: Depth=1
	s_add_i32 s67, s66, 1
	s_cmp_lt_i32 s67, s55
	s_mov_b64 s[36:37], 0
	s_cselect_b64 s[46:47], -1, 0
	s_cmp_ge_i32 s67, s55
	s_mov_b64 s[4:5], 0
	s_cbranch_scc1 .LBB145_8
; %bb.7:                                ;   in Loop: Header=BB145_6 Depth=1
	s_add_i32 s0, s61, 64
	s_ashr_i32 s1, s0, 31
	s_add_u32 s0, s60, s0
	s_addc_u32 s1, s59, s1
	s_lshl_b64 s[0:1], s[0:1], 8
	s_add_u32 s4, s18, s0
	s_addc_u32 s5, s19, s1
.LBB145_8:                              ;   in Loop: Header=BB145_6 Depth=1
	v_cndmask_b32_e64 v34, 0, 1, s[46:47]
	v_cmp_ne_u32_e64 s[0:1], 1, v34
	s_andn2_b64 vcc, exec, s[46:47]
	s_cbranch_vccnz .LBB145_10
; %bb.9:                                ;   in Loop: Header=BB145_6 Depth=1
	s_add_i32 s36, s61, 64
	s_mul_hi_i32 s37, s36, s30
	s_mul_i32 s36, s36, s30
	s_add_u32 s36, s36, s57
	s_addc_u32 s37, s37, s62
	s_lshl_b64 s[36:37], s[36:37], 8
	s_add_u32 s36, s16, s36
	s_addc_u32 s37, s17, s37
.LBB145_10:                             ;   in Loop: Header=BB145_6 Depth=1
	v_perm_b32 v35, v25, v24, s3
	v_perm_b32 v34, v23, v22, s3
	v_perm_b32 v37, v13, v12, s3
	v_perm_b32 v36, v11, v10, s3
	ds_write_b64 v110, v[34:35]
	ds_write_b64 v111, v[36:37]
	ds_write_b64 v116, v[34:35]
	ds_write_b64 v117, v[36:37]
	v_perm_b32 v35, v21, v20, s3
	v_perm_b32 v34, v19, v18, s3
	v_perm_b32 v37, v17, v16, s3
	v_perm_b32 v36, v15, v14, s3
	ds_write_b64 v112, v[34:35]
	ds_write_b64 v113, v[36:37]
	ds_write_b64 v118, v[34:35]
	ds_write_b64 v119, v[36:37]
	;; [unrolled: 8-line block ×4, first 2 shown]
	s_waitcnt lgkmcnt(0)
	s_barrier
	ds_read_b64 v[38:39], v126 offset:49152
	ds_read2_b64 v[34:37], v127 offset1:16
	ds_read_b64 v[50:51], v129 offset:6144
	ds_read_b64 v[52:53], v127 offset:6144
	s_waitcnt lgkmcnt(2)
	v_mfma_f32_16x16x16_bf16 a[0:3], v[38:39], v[34:35], 0
	ds_read_b64 v[54:55], v128 offset:49152
	ds_read2st64_b64 v[42:45], v130 offset0:4 offset1:8
	ds_read2st64_b64 v[46:49], v131 offset0:4 offset1:8
	v_mfma_f32_16x16x16_bf16 a[4:7], v[38:39], v[36:37], 0
	ds_read2_b64 v[34:37], v127 offset0:32 offset1:48
	s_add_i32 s68, s61, 63
	s_ashr_i32 s39, s68, 31
	s_waitcnt lgkmcnt(0)
	v_mfma_f32_16x16x16_bf16 a[8:11], v[38:39], v[34:35], 0
	s_mul_i32 s46, s68, s11
	s_mul_hi_u32 s47, s68, s10
	s_add_i32 s46, s47, s46
	v_mfma_f32_16x16x16_bf16 a[12:15], v[38:39], v[36:37], 0
	ds_read2st64_b64 v[34:37], v127 offset0:4 offset1:8
	ds_read2st64_b64 v[38:41], v129 offset0:4 offset1:8
	s_mul_i32 s39, s39, s10
	s_waitcnt lgkmcnt(1)
	v_mfma_f32_16x16x16_bf16 a[0:3], v[54:55], v[34:35], a[0:3]
	s_add_i32 s47, s46, s39
	s_mul_i32 s46, s68, s10
	s_lshl_b64 s[46:47], s[46:47], 2
	s_waitcnt lgkmcnt(0)
	v_mfma_f32_16x16x16_bf16 a[4:7], v[54:55], v[38:39], a[4:7]
	s_add_u32 s46, s44, s46
	s_addc_u32 s47, s45, s47
	s_and_b64 vcc, exec, s[0:1]
	v_mfma_f32_16x16x16_bf16 a[8:11], v[54:55], v[42:43], a[8:11]
	ds_read_b64 v[34:35], v132 offset:49152
	ds_read_b64 v[38:39], v133 offset:49152
	;; [unrolled: 1-line block ×3, first 2 shown]
	v_mov_b32_e32 v157, 0
	v_mov_b32_e32 v156, 0
	v_mfma_f32_16x16x16_bf16 a[12:15], v[54:55], v[46:47], a[12:15]
	v_mov_b32_e32 v155, 0
	v_mov_b32_e32 v46, 0
	;; [unrolled: 1-line block ×3, first 2 shown]
	s_waitcnt lgkmcnt(2)
	v_mfma_f32_16x16x16_bf16 a[0:3], v[34:35], v[36:37], a[0:3]
	v_mov_b32_e32 v36, 0
	v_mov_b32_e32 v37, 0
	v_mfma_f32_16x16x16_bf16 a[16:19], v[34:35], v[40:41], a[4:7]
	v_mov_b32_e32 v40, 0
	v_mov_b32_e32 v41, 0
	;; [unrolled: 3-line block ×3, first 2 shown]
	v_mfma_f32_16x16x16_bf16 a[24:27], v[34:35], v[48:49], a[12:15]
	ds_read_b64 v[34:35], v130 offset:6144
	v_mov_b32_e32 v48, 0
	v_mov_b32_e32 v49, 0
	s_waitcnt lgkmcnt(2)
	v_mfma_f32_16x16x16_bf16 a[4:7], v[38:39], v[52:53], a[0:3]
	v_mfma_f32_16x16x16_bf16 a[8:11], v[38:39], v[50:51], a[16:19]
	s_waitcnt lgkmcnt(0)
	v_mfma_f32_16x16x16_bf16 a[12:15], v[38:39], v[34:35], a[20:23]
	v_mov_b32_e32 v34, 0
	v_mov_b32_e32 v35, 0
	v_mfma_f32_16x16x16_bf16 a[0:3], v[38:39], v[42:43], a[24:27]
	v_mov_b32_e32 v38, 0
	v_mov_b32_e32 v39, 0
	;; [unrolled: 1-line block ×4, first 2 shown]
	s_cbranch_vccnz .LBB145_12
; %bb.11:                               ;   in Loop: Header=BB145_6 Depth=1
	s_and_b32 s5, s5, 0xffff
	buffer_load_dwordx4 v[46:49], v106, s[4:7], 0 offen
	buffer_load_dwordx4 v[42:45], v106, s[4:7], s63 offen
	;; [unrolled: 1-line block ×4, first 2 shown]
	v_mov_b32_e32 v156, v108
	v_mov_b32_e32 v155, v109
.LBB145_12:                             ;   in Loop: Header=BB145_6 Depth=1
	ds_read_b64 v[62:63], v126 offset:57344
	ds_read2_b64 v[50:53], v134 offset1:16
	ds_read_b64 v[66:67], v128 offset:57344
	ds_read_b64 v[68:69], v132 offset:57344
	;; [unrolled: 1-line block ×3, first 2 shown]
	v_add_u32_e32 v64, s61, v102
	s_waitcnt lgkmcnt(3)
	v_mfma_f32_16x16x16_bf16 a[4:7], v[62:63], v[50:51], a[4:7]
	v_mfma_f32_16x16x16_bf16 a[8:11], v[62:63], v[52:53], a[8:11]
	ds_read2_b64 v[50:53], v134 offset0:32 offset1:48
	ds_read2st64_b64 v[54:57], v134 offset0:4 offset1:8
	ds_read2st64_b64 v[58:61], v135 offset0:4 offset1:8
	s_waitcnt lgkmcnt(2)
	v_mfma_f32_16x16x16_bf16 a[12:15], v[62:63], v[50:51], a[12:15]
	v_ashrrev_i32_e32 v50, 31, v64
	v_mul_lo_u32 v65, v50, s10
	v_mad_u64_u32 v[50:51], s[4:5], v64, s10, 0
	v_mfma_f32_16x16x16_bf16 a[0:3], v[62:63], v[52:53], a[0:3]
	v_mul_lo_u32 v52, v64, s11
	v_add3_u32 v51, v51, v52, v65
	v_add_u32_e32 v52, 1, v64
	v_ashrrev_i32_e32 v53, 31, v52
	s_waitcnt lgkmcnt(1)
	v_mfma_f32_16x16x16_bf16 a[4:7], v[66:67], v[54:55], a[4:7]
	v_mul_lo_u32 v54, v53, s10
	v_mul_lo_u32 v55, v52, s11
	v_mad_u64_u32 v[52:53], s[4:5], v52, s10, 0
	v_add3_u32 v53, v53, v55, v54
	v_add_u32_e32 v54, 2, v64
	v_ashrrev_i32_e32 v55, 31, v54
	v_mul_lo_u32 v62, v55, s10
	v_mul_lo_u32 v63, v54, s11
	v_mad_u64_u32 v[54:55], s[4:5], v54, s10, 0
	v_add3_u32 v55, v55, v63, v62
	v_add_u32_e32 v62, 3, v64
	v_ashrrev_i32_e32 v63, 31, v62
	v_mul_lo_u32 v64, v63, s10
	v_mul_lo_u32 v65, v62, s11
	v_mad_u64_u32 v[62:63], s[4:5], v62, s10, 0
	s_ashr_i32 s5, s61, 31
	s_add_u32 s4, s60, s61
	s_addc_u32 s5, s59, s5
	v_lshl_add_u64 v[50:51], v[50:51], 2, s[44:45]
	v_add3_u32 v63, v63, v65, v64
	s_lshl_b64 s[4:5], s[4:5], 8
	v_lshl_add_u64 v[52:53], v[52:53], 2, s[44:45]
	v_lshl_add_u64 v[54:55], v[54:55], 2, s[44:45]
	;; [unrolled: 1-line block ×3, first 2 shown]
	global_load_dword v72, v[50:51], off
	global_load_dword v73, v[52:53], off
	;; [unrolled: 1-line block ×4, first 2 shown]
	v_lshl_add_u64 v[50:51], v[92:93], 0, s[4:5]
	v_lshl_add_u64 v[54:55], v[50:51], 0, v[90:91]
	global_load_ushort v76, v[54:55], off offset:256
	global_load_ushort v158, v[54:55], off
	ds_read2st64_b64 v[50:53], v136 offset0:4 offset1:8
	global_load_ushort v159, v[54:55], off offset:768
	global_load_ushort v160, v[54:55], off offset:512
	ds_read2st64_b64 v[62:65], v137 offset0:4 offset1:8
	global_load_ushort v161, v[54:55], off offset:288
	global_load_ushort v162, v[54:55], off offset:32
	;; [unrolled: 1-line block ×4, first 2 shown]
	s_waitcnt lgkmcnt(2)
	v_mfma_f32_16x16x16_bf16 a[8:11], v[66:67], v[58:59], a[8:11]
	global_load_ushort v165, v[54:55], off offset:320
	global_load_ushort v166, v[54:55], off offset:64
	;; [unrolled: 1-line block ×4, first 2 shown]
	s_and_b64 vcc, exec, s[0:1]
	s_waitcnt lgkmcnt(1)
	v_mfma_f32_16x16x16_bf16 a[12:15], v[66:67], v[50:51], a[12:15]
	ds_read_b64 v[50:51], v134 offset:6144
	s_waitcnt lgkmcnt(1)
	v_mfma_f32_16x16x16_bf16 a[0:3], v[66:67], v[62:63], a[0:3]
	v_lshl_add_u64 v[62:63], v[94:95], 0, s[4:5]
	v_lshl_add_u64 v[62:63], v[62:63], 0, v[90:91]
	v_mfma_f32_16x16x16_bf16 a[4:7], v[68:69], v[56:57], a[4:7]
	v_mfma_f32_16x16x16_bf16 a[8:11], v[68:69], v[60:61], a[8:11]
	;; [unrolled: 1-line block ×4, first 2 shown]
	global_load_ushort v68, v[54:55], off offset:352
	global_load_ushort v69, v[54:55], off offset:96
	ds_read_b64 v[52:53], v135 offset:6144
	ds_read_b64 v[56:57], v136 offset:6144
	;; [unrolled: 1-line block ×3, first 2 shown]
	s_load_dword s46, s[46:47], 0x0
	global_load_ushort v169, v[54:55], off offset:864
	global_load_ushort v170, v[54:55], off offset:608
	s_waitcnt lgkmcnt(0)
	v_mfma_f32_16x16x16_bf16 a[4:7], v[70:71], v[50:51], a[4:7]
	s_waitcnt vmcnt(17)
	v_sub_f32_e32 v60, s46, v74
	v_mfma_f32_16x16x16_bf16 a[0:3], v[70:71], v[58:59], a[0:3]
	v_sub_f32_e32 v58, s46, v72
	v_sub_f32_e32 v59, s46, v73
	s_waitcnt vmcnt(16)
	v_sub_f32_e32 v61, s46, v75
	v_mfma_f32_16x16x16_bf16 a[8:11], v[70:71], v[52:53], a[8:11]
	v_exp_f32_e32 v58, v58
	v_exp_f32_e32 v59, v59
	;; [unrolled: 1-line block ×4, first 2 shown]
	v_accvgpr_read_b32 v67, a5
	s_waitcnt vmcnt(15)
	v_lshlrev_b32_e32 v65, 16, v76
	s_waitcnt vmcnt(14)
	v_lshlrev_b32_e32 v64, 16, v158
	v_accvgpr_read_b32 v66, a4
	v_accvgpr_read_b32 v51, a7
	;; [unrolled: 1-line block ×3, first 2 shown]
	v_pk_add_f32 v[64:65], v[64:65], v[66:67] neg_lo:[0,1] neg_hi:[0,1]
	s_waitcnt vmcnt(13)
	v_lshlrev_b32_e32 v67, 16, v159
	s_waitcnt vmcnt(12)
	v_lshlrev_b32_e32 v66, 16, v160
	v_pk_add_f32 v[50:51], v[66:67], v[50:51] neg_lo:[0,1] neg_hi:[0,1]
	global_store_short_d16_hi v[62:63], v64, off
	global_store_short_d16_hi v[62:63], v65, off offset:256
	global_store_short_d16_hi v[62:63], v50, off offset:512
	;; [unrolled: 1-line block ×3, first 2 shown]
	v_pk_mul_f32 v[64:65], v[58:59], v[64:65]
	v_pk_mul_f32 v[50:51], v[60:61], v[50:51]
	v_accvgpr_read_b32 v67, a9
	v_perm_b32 v64, v65, v64, s3
	v_perm_b32 v65, v51, v50, s3
	s_waitcnt vmcnt(15)
	v_lshlrev_b32_e32 v51, 16, v161
	s_waitcnt vmcnt(14)
	v_lshlrev_b32_e32 v50, 16, v162
	v_accvgpr_read_b32 v66, a8
	v_accvgpr_read_b32 v53, a11
	v_mfma_f32_16x16x16_bf16 a[12:15], v[70:71], v[56:57], a[12:15]
	v_accvgpr_read_b32 v52, a10
	v_pk_add_f32 v[50:51], v[50:51], v[66:67] neg_lo:[0,1] neg_hi:[0,1]
	s_waitcnt vmcnt(13)
	v_lshlrev_b32_e32 v67, 16, v163
	s_waitcnt vmcnt(12)
	v_lshlrev_b32_e32 v66, 16, v164
	v_pk_add_f32 v[52:53], v[66:67], v[52:53] neg_lo:[0,1] neg_hi:[0,1]
	global_store_short_d16_hi v[62:63], v50, off offset:32
	global_store_short_d16_hi v[62:63], v51, off offset:288
	global_store_short_d16_hi v[62:63], v52, off offset:544
	global_store_short_d16_hi v[62:63], v53, off offset:800
	v_pk_mul_f32 v[50:51], v[58:59], v[50:51]
	v_pk_mul_f32 v[52:53], v[60:61], v[52:53]
	v_accvgpr_read_b32 v55, a15
	v_perm_b32 v53, v53, v52, s3
	v_perm_b32 v52, v51, v50, s3
	ds_write2_b64 v111, v[64:65], v[52:53] offset1:16
	v_accvgpr_read_b32 v53, a13
	s_waitcnt vmcnt(15)
	v_lshlrev_b32_e32 v51, 16, v165
	s_waitcnt vmcnt(14)
	v_lshlrev_b32_e32 v50, 16, v166
	v_accvgpr_read_b32 v52, a12
	v_accvgpr_read_b32 v54, a14
	v_pk_add_f32 v[50:51], v[50:51], v[52:53] neg_lo:[0,1] neg_hi:[0,1]
	s_waitcnt vmcnt(13)
	v_lshlrev_b32_e32 v53, 16, v167
	s_waitcnt vmcnt(12)
	v_lshlrev_b32_e32 v52, 16, v168
	v_pk_add_f32 v[52:53], v[52:53], v[54:55] neg_lo:[0,1] neg_hi:[0,1]
	global_store_short_d16_hi v[62:63], v50, off offset:64
	global_store_short_d16_hi v[62:63], v51, off offset:320
	;; [unrolled: 1-line block ×4, first 2 shown]
	v_pk_mul_f32 v[50:51], v[58:59], v[50:51]
	v_pk_mul_f32 v[52:53], v[60:61], v[52:53]
	v_accvgpr_read_b32 v55, a1
	v_perm_b32 v50, v51, v50, s3
	v_perm_b32 v51, v53, v52, s3
	s_waitcnt vmcnt(15)
	v_lshlrev_b32_e32 v53, 16, v68
	s_waitcnt vmcnt(14)
	v_lshlrev_b32_e32 v52, 16, v69
	v_accvgpr_read_b32 v54, a0
	v_accvgpr_read_b32 v57, a3
	;; [unrolled: 1-line block ×3, first 2 shown]
	v_pk_add_f32 v[52:53], v[52:53], v[54:55] neg_lo:[0,1] neg_hi:[0,1]
	s_waitcnt vmcnt(13)
	v_lshlrev_b32_e32 v55, 16, v169
	s_waitcnt vmcnt(12)
	v_lshlrev_b32_e32 v54, 16, v170
	v_pk_add_f32 v[54:55], v[54:55], v[56:57] neg_lo:[0,1] neg_hi:[0,1]
	global_store_short_d16_hi v[62:63], v52, off offset:96
	global_store_short_d16_hi v[62:63], v53, off offset:352
	;; [unrolled: 1-line block ×4, first 2 shown]
	v_pk_mul_f32 v[52:53], v[58:59], v[52:53]
	v_pk_mul_f32 v[54:55], v[60:61], v[54:55]
	v_mov_b32_e32 v158, 0
	v_perm_b32 v55, v55, v54, s3
	v_perm_b32 v54, v53, v52, s3
	ds_write2_b64 v111, v[50:51], v[54:55] offset0:32 offset1:48
	v_mov_b32_e32 v50, 0
	v_mov_b32_e32 v51, 0
	;; [unrolled: 1-line block ×16, first 2 shown]
	s_cbranch_vccnz .LBB145_14
; %bb.13:                               ;   in Loop: Header=BB145_6 Depth=1
	s_and_b32 s37, s37, 0xffff
	s_mov_b32 s39, s7
	buffer_load_dwordx4 v[62:65], v144, s[36:39], 0 offen
	buffer_load_dwordx4 v[54:57], v144, s[36:39], s63 offen
	;; [unrolled: 1-line block ×4, first 2 shown]
	v_mov_b32_e32 v157, v105
	v_mov_b32_e32 v158, v104
.LBB145_14:                             ;   in Loop: Header=BB145_6 Depth=1
	s_waitcnt lgkmcnt(0)
	s_barrier
	ds_read_b64 v[74:75], v147
	ds_read2_b64 v[66:69], v140 offset1:16
	ds_read_b64 v[176:177], v148
	ds_read_b64 v[178:179], v149
	;; [unrolled: 1-line block ×3, first 2 shown]
	ds_read2_b64 v[70:73], v140 offset0:32 offset1:48
	ds_read2st64_b64 v[160:163], v140 offset0:4 offset1:8
	ds_read2st64_b64 v[164:167], v141 offset0:4 offset1:8
	;; [unrolled: 1-line block ×4, first 2 shown]
	s_waitcnt lgkmcnt(8)
	v_mfma_f32_16x16x16_bf16 a[0:3], v[74:75], v[66:67], 0
	s_add_i32 s4, s58, s66
	s_mul_hi_i32 s5, s4, s29
	s_mul_i32 s4, s4, s29
	v_mfma_f32_16x16x16_bf16 a[4:7], v[74:75], v[68:69], 0
	s_add_u32 s4, s4, s33
	s_addc_u32 s5, s5, s48
	s_lshl_b64 s[4:5], s[4:5], 15
	s_waitcnt lgkmcnt(4)
	v_mfma_f32_16x16x16_bf16 a[8:11], v[74:75], v[70:71], 0
	s_mul_i32 s36, s68, s29
	s_mul_hi_i32 s37, s68, s29
	s_add_u32 s36, s36, s33
	v_mfma_f32_16x16x16_bf16 a[12:15], v[74:75], v[72:73], 0
	ds_read_b64 v[74:75], v140 offset:6144
	ds_read_b64 v[188:189], v141 offset:6144
	;; [unrolled: 1-line block ×4, first 2 shown]
	s_addc_u32 s37, s37, s48
	s_waitcnt lgkmcnt(7)
	v_mfma_f32_16x16x16_bf16 a[0:3], v[176:177], v[160:161], a[0:3]
	s_lshl_b64 s[36:37], s[36:37], 9
	s_add_u32 s36, s8, s36
	s_addc_u32 s37, s9, s37
	s_waitcnt lgkmcnt(6)
	v_mfma_f32_16x16x16_bf16 a[4:7], v[176:177], v[164:165], a[4:7]
	v_lshl_add_u64 v[198:199], v[96:97], 0, s[4:5]
	s_waitcnt lgkmcnt(5)
	v_mfma_f32_16x16x16_bf16 a[8:11], v[176:177], v[168:169], a[8:11]
	s_waitcnt lgkmcnt(4)
	v_mfma_f32_16x16x16_bf16 a[12:15], v[176:177], v[172:173], a[12:15]
	ds_read_b64 v[176:177], v152
	ds_read_b64 v[186:187], v153
	;; [unrolled: 1-line block ×3, first 2 shown]
	s_waitcnt lgkmcnt(2)
	v_mfma_f32_16x16x16_bf16 a[16:19], v[176:177], v[66:67], 0
	v_mfma_f32_16x16x16_bf16 a[20:23], v[176:177], v[68:69], 0
	global_load_dwordx4 v[66:69], v151, s[36:37]
	v_mfma_f32_16x16x16_bf16 a[24:27], v[176:177], v[70:71], 0
	v_mfma_f32_16x16x16_bf16 a[28:31], v[176:177], v[72:73], 0
	global_load_dwordx4 v[70:73], v89, s[36:37]
	v_mfma_f32_16x16x16_bf16 a[0:3], v[178:179], v[162:163], a[0:3]
	v_mfma_f32_16x16x16_bf16 a[4:7], v[178:179], v[166:167], a[4:7]
	;; [unrolled: 1-line block ×8, first 2 shown]
	ds_read2st64_b64 v[176:179], v138 offset1:8
	ds_read2st64_b64 v[180:183], v139 offset1:8
	ds_read_b64 v[196:197], v146 offset:40960
	s_waitcnt lgkmcnt(2)
	v_mov_b32_e32 v184, v176
	v_mfma_f32_16x16x16_bf16 a[16:19], v[186:187], v[160:161], a[16:19]
	v_mov_b32_e32 v185, v177
	v_mfma_f32_16x16x16_bf16 a[20:23], v[186:187], v[164:165], a[20:23]
	v_mfma_f32_16x16x16_bf16 a[24:27], v[186:187], v[168:169], a[24:27]
	;; [unrolled: 1-line block ×3, first 2 shown]
	v_add_co_u32_e32 v172, vcc, s41, v198
	s_waitcnt lgkmcnt(1)
	v_mov_b32_e32 v186, v180
	s_waitcnt lgkmcnt(0)
	v_mfma_f32_16x16x16_bf16 a[16:19], v[196:197], v[162:163], a[16:19]
	ds_read2st64_b64 v[160:163], v138 offset0:16 offset1:24
	v_addc_co_u32_e32 v173, vcc, 0, v199, vcc
	v_mfma_f32_16x16x16_bf16 a[32:35], v[196:197], v[166:167], a[20:23]
	ds_read2st64_b64 v[164:167], v139 offset0:16 offset1:24
	v_mov_b32_e32 v187, v181
	v_mov_b32_e32 v180, v178
	v_mfma_f32_16x16x16_bf16 a[24:27], v[196:197], v[170:171], a[24:27]
	v_mov_b32_e32 v181, v179
	s_waitcnt lgkmcnt(0)
	v_mov_b32_e32 v170, v164
	v_mov_b32_e32 v171, v165
	v_mfma_f32_16x16x16_bf16 a[36:39], v[196:197], v[174:175], a[28:31]
	v_mov_b32_e32 v164, v162
	v_mov_b32_e32 v165, v163
	;; [unrolled: 1-line block ×3, first 2 shown]
	v_mfma_f32_16x16x16_bf16 a[20:23], v[194:195], v[74:75], a[16:19]
	v_add_co_u32_e32 v74, vcc, s43, v198
	v_mov_b32_e32 v169, v161
	v_mfma_f32_16x16x16_bf16 a[28:31], v[194:195], v[188:189], a[32:35]
	v_addc_co_u32_e32 v75, vcc, 0, v199, vcc
	global_store_dwordx4 v[74:75], v[164:167], off
	v_mfma_f32_16x16x16_bf16 a[16:19], v[194:195], v[190:191], a[24:27]
	s_waitcnt vmcnt(2)
	v_mov_b32_e32 v76, v69
	v_mov_b32_e32 v75, v68
	;; [unrolled: 1-line block ×3, first 2 shown]
	v_mfma_f32_16x16x16_bf16 a[24:27], v[194:195], v[192:193], a[36:39]
	s_and_b64 vcc, exec, s[0:1]
	global_store_dwordx4 v[198:199], v[184:187], off
	global_store_dwordx4 v[172:173], v[180:183], off offset:-4096
	global_store_dwordx4 v[172:173], v[168:171], off
	s_cbranch_vccnz .LBB145_16
; %bb.15:                               ;   in Loop: Header=BB145_6 Depth=1
	v_lshrrev_b32_e32 v67, 3, v157
	v_and_b32_e32 v67, 6, v67
	v_xor_b32_e32 v68, v67, v158
	v_lshlrev_b32_e32 v68, 2, v68
	v_and_b32_e32 v69, 8, v157
	v_xor_b32_e32 v157, 0x440, v68
	v_cmp_eq_u32_e32 vcc, 0, v69
	v_perm_b32 v69, v54, v50, s64
	s_nop 0
	v_cndmask_b32_e32 v68, v157, v68, vcc
	v_lshl_or_b32 v67, v67, 10, v68
	v_perm_b32 v68, v62, v58, s64
	s_barrier
	ds_write2st64_b32 v67, v68, v69 offset0:128 offset1:160
	v_xor_b32_e32 v68, 8, v67
	v_perm_b32 v58, v62, v58, s65
	v_perm_b32 v50, v54, v50, s65
	v_add_u32_e32 v54, 0x80, v68
	ds_write2st64_b32 v54, v58, v50 offset0:128 offset1:160
	v_xor_b32_e32 v50, 16, v67
	v_perm_b32 v54, v63, v59, s64
	v_perm_b32 v58, v55, v51, s64
	ds_write2st64_b32 v50, v54, v58 offset0:129 offset1:161
	v_xor_b32_e32 v50, 24, v67
	v_perm_b32 v54, v63, v59, s65
	v_perm_b32 v51, v55, v51, s65
	v_add_u32_e32 v50, 0x80, v50
	ds_write2st64_b32 v50, v54, v51 offset0:129 offset1:161
	v_xor_b32_e32 v50, 32, v67
	v_perm_b32 v51, v64, v60, s64
	v_perm_b32 v54, v56, v52, s64
	;; [unrolled: 9-line block ×3, first 2 shown]
	ds_write2st64_b32 v50, v51, v52 offset0:131 offset1:163
	v_xor_b32_e32 v50, 56, v67
	v_perm_b32 v51, v65, v61, s65
	v_perm_b32 v52, v57, v53, s65
	v_add_u32_e32 v50, 0x80, v50
	ds_write2st64_b32 v50, v51, v52 offset0:131 offset1:163
	ds_write_b64 v156, v[46:47] offset:49152
	v_xor_b32_e32 v46, 8, v156
	ds_write_b64 v46, v[48:49] offset:49152
	ds_write_b64 v156, v[42:43] offset:57344
	;; [unrolled: 1-line block ×4, first 2 shown]
	v_xor_b32_e32 v38, 8, v155
	ds_write_b64 v38, v[40:41] offset:49152
	ds_write_b64 v155, v[34:35] offset:57344
	;; [unrolled: 1-line block ×3, first 2 shown]
.LBB145_16:                             ;   in Loop: Header=BB145_6 Depth=1
	v_exp_f32_e32 v68, s46
	s_waitcnt vmcnt(4)
	v_exp_f32_e32 v70, v70
	v_exp_f32_e32 v71, v71
	;; [unrolled: 1-line block ×4, first 2 shown]
	v_accvgpr_read_b32 v37, a3
	v_accvgpr_read_b32 v36, a2
	;; [unrolled: 1-line block ×4, first 2 shown]
	v_pk_mul_f32 v[70:71], v[68:69], v[70:71] op_sel_hi:[0,1]
	v_pk_mul_f32 v[72:73], v[68:69], v[72:73] op_sel_hi:[0,1]
	v_pk_fma_f32 v[22:23], v[22:23], v[70:71], v[34:35]
	v_pk_fma_f32 v[24:25], v[24:25], v[72:73], v[36:37]
	v_exp_f32_e32 v34, v66
	v_exp_f32_e32 v35, v74
	;; [unrolled: 1-line block ×4, first 2 shown]
	v_accvgpr_read_b32 v41, a7
	v_accvgpr_read_b32 v45, a11
	;; [unrolled: 1-line block ×28, first 2 shown]
	v_pk_mul_f32 v[34:35], v[68:69], v[34:35] op_sel_hi:[0,1]
	v_pk_mul_f32 v[36:37], v[68:69], v[36:37] op_sel_hi:[0,1]
	s_add_i32 s61, s61, 64
	v_pk_fma_f32 v[18:19], v[70:71], v[18:19], v[38:39]
	v_pk_fma_f32 v[20:21], v[72:73], v[20:21], v[40:41]
	;; [unrolled: 1-line block ×13, first 2 shown]
	s_cmp_eq_u32 s55, s67
	v_pk_fma_f32 v[4:5], v[36:37], v[4:5], v[64:65]
	s_cbranch_scc1 .LBB145_18
; %bb.17:                               ;   in Loop: Header=BB145_6 Depth=1
	s_mov_b32 s66, s67
	s_branch .LBB145_6
.LBB145_18:
	s_lshl_b32 s0, s55, 6
	s_sub_i32 s46, s56, s0
	s_cmp_gt_i32 s46, 0
	s_cbranch_scc0 .LBB145_99
; %bb.19:
	s_add_i32 s34, s0, s34
	s_ashr_i32 s3, s34, 31
	s_cmpk_lg_i32 s31, 0x80
	s_cselect_b64 s[38:39], -1, 0
	s_and_b64 vcc, exec, s[38:39]
	s_cbranch_vccz .LBB145_21
; %bb.20:
	s_mul_i32 s1, s34, s30
	s_ashr_i32 s4, s57, 31
	s_mul_hi_i32 s0, s34, s30
	s_add_u32 s44, s1, s57
	s_addc_u32 s45, s0, s4
	s_cbranch_execz .LBB145_22
	s_branch .LBB145_23
.LBB145_21:
                                        ; implicit-def: $sgpr44_sgpr45
.LBB145_22:
	s_mul_i32 s1, s57, s28
	s_mul_hi_i32 s0, s57, s28
	s_add_u32 s44, s1, s34
	s_addc_u32 s45, s0, s3
.LBB145_23:
	s_waitcnt lgkmcnt(0)
	s_add_i32 s4, s55, s58
	s_add_u32 s0, s60, s34
	v_lshlrev_b32_e32 v38, 6, v102
	v_lshlrev_b32_e32 v57, 2, v99
	s_addc_u32 s1, s59, s3
	s_mov_b32 s3, 0x7060302
	v_or_b32_e32 v41, v38, v57
	v_xor_b32_e32 v39, v102, v57
	s_waitcnt vmcnt(7)
	v_perm_b32 v35, v25, v24, s3
	v_perm_b32 v34, v23, v22, s3
	s_waitcnt vmcnt(6)
	v_perm_b32 v37, v13, v12, s3
	v_perm_b32 v36, v11, v10, s3
	v_lshlrev_b32_e32 v41, 1, v41
	v_xor_b32_e32 v40, v103, v57
	ds_write2st64_b64 v41, v[34:35], v[36:37] offset0:32 offset1:48
	v_lshlrev_b32_e32 v39, 1, v39
	v_lshlrev_b32_e32 v41, 8, v99
	v_or_b32_e32 v42, v39, v41
	v_lshlrev_b32_e32 v40, 1, v40
	ds_write_b64 v42, v[34:35]
	v_or_b32_e32 v34, v40, v41
	v_or_b32_e32 v41, 16, v99
	v_lshlrev_b32_e32 v55, 2, v41
	v_or_b32_e32 v42, v38, v55
	ds_write_b64 v34, v[36:37]
	s_waitcnt vmcnt(5)
	v_perm_b32 v35, v21, v20, s3
	v_perm_b32 v34, v19, v18, s3
	s_waitcnt vmcnt(4)
	v_perm_b32 v37, v17, v16, s3
	v_perm_b32 v36, v15, v14, s3
	v_lshlrev_b32_e32 v42, 1, v42
	v_lshlrev_b32_e32 v41, 8, v41
	ds_write2st64_b64 v42, v[34:35], v[36:37] offset0:32 offset1:48
	v_or_b32_e32 v42, v39, v41
	ds_write_b64 v42, v[34:35]
	v_or_b32_e32 v34, v40, v41
	v_or_b32_e32 v41, 32, v99
	v_lshlrev_b32_e32 v54, 2, v41
	v_or_b32_e32 v42, v38, v54
	ds_write_b64 v34, v[36:37]
	s_waitcnt vmcnt(3)
	v_perm_b32 v35, v33, v32, s3
	v_perm_b32 v34, v31, v30, s3
	s_waitcnt vmcnt(2)
	v_perm_b32 v37, v29, v28, s3
	v_perm_b32 v36, v27, v26, s3
	v_lshlrev_b32_e32 v42, 1, v42
	v_lshlrev_b32_e32 v41, 8, v41
	s_lshl_b64 s[36:37], s[0:1], 8
	ds_write2st64_b64 v42, v[34:35], v[36:37] offset0:32 offset1:48
	v_or_b32_e32 v42, v39, v41
	s_add_u32 s0, s18, s36
	ds_write_b64 v42, v[34:35]
	v_or_b32_e32 v34, v40, v41
	s_addc_u32 s1, s19, s37
	ds_write_b64 v34, v[36:37]
	s_waitcnt vmcnt(1)
	v_perm_b32 v35, v9, v8, s3
	v_perm_b32 v34, v7, v6, s3
	s_waitcnt vmcnt(0)
	v_perm_b32 v37, v5, v4, s3
	v_perm_b32 v36, v3, v2, s3
	v_or_b32_e32 v41, 48, v99
	s_mul_hi_i32 s3, s4, s29
	s_mul_i32 s4, s4, s29
	v_lshlrev_b32_e32 v51, 2, v41
	s_add_u32 s4, s4, s33
	v_or_b32_e32 v38, v38, v51
	s_addc_u32 s5, s3, s48
	v_lshlrev_b32_e32 v38, 1, v38
	s_ashr_i32 s3, s2, 31
	s_lshl_b64 s[4:5], s[4:5], 15
	ds_write2st64_b64 v38, v[34:35], v[36:37] offset0:32 offset1:48
	v_lshlrev_b32_e32 v38, 8, v41
	s_add_u32 s4, s12, s4
	v_or_b32_e32 v39, v39, v38
	s_addc_u32 s5, s13, s5
	s_lshl_b64 s[2:3], s[2:3], 8
	ds_write_b64 v39, v[34:35]
	v_or_b32_e32 v34, v40, v38
	s_add_u32 s2, s4, s2
	v_lshlrev_b32_e32 v35, 1, v99
	ds_write_b64 v34, v[36:37]
	v_lshrrev_b32_e32 v34, 4, v0
	s_addc_u32 s3, s5, s3
	v_or_b32_e32 v36, 1, v35
	v_lshlrev_b32_e32 v42, 4, v99
	v_mov_b32_e32 v43, 0
	v_xor_b32_e32 v35, v34, v35
	v_xor_b32_e32 v38, v36, v34
	v_lshl_add_u64 v[44:45], s[2:3], 0, v[42:43]
	v_lshlrev_b32_e32 v42, 8, v34
	v_lshl_or_b32 v48, v35, 3, v42
	v_lshl_or_b32 v49, v38, 3, v42
	s_waitcnt lgkmcnt(0)
	s_barrier
	ds_read2st64_b64 v[34:37], v48 offset1:8
	ds_read2st64_b64 v[38:41], v49 offset1:8
	v_lshl_add_u64 v[46:47], v[44:45], 0, v[42:43]
	s_movk_i32 s2, 0x2000
	s_cmp_lg_u32 s46, 64
	s_waitcnt lgkmcnt(1)
	v_mov_b32_e32 v42, v34
	v_mov_b32_e32 v43, v35
	s_waitcnt lgkmcnt(0)
	v_mov_b32_e32 v44, v38
	v_mov_b32_e32 v45, v39
	global_store_dwordx4 v[46:47], v[42:45], off
	v_mov_b32_e32 v38, v36
	v_mov_b32_e32 v39, v37
	ds_read2st64_b64 v[34:37], v48 offset0:16 offset1:24
	ds_read2st64_b64 v[42:45], v49 offset0:16 offset1:24
	v_add_co_u32_e32 v48, vcc, s2, v46
	s_cselect_b64 s[18:19], -1, 0
	s_nop 0
	v_addc_co_u32_e32 v49, vcc, 0, v47, vcc
	global_store_dwordx4 v[48:49], v[38:41], off offset:-4096
	v_lshl_or_b32 v62, v1, 3, v101
	s_mov_b32 s4, 0
	s_waitcnt lgkmcnt(1)
	v_mov_b32_e32 v38, v34
	v_add_co_u32_e32 v34, vcc, 0x3000, v46
	v_mov_b32_e32 v39, v35
	s_nop 0
	v_addc_co_u32_e32 v35, vcc, 0, v47, vcc
	s_waitcnt lgkmcnt(0)
	v_mov_b32_e32 v40, v42
	v_mov_b32_e32 v41, v43
	;; [unrolled: 1-line block ×4, first 2 shown]
	v_or_b32_e32 v52, 32, v62
	v_and_b32_e32 v50, 56, v100
	s_and_b64 vcc, exec, s[18:19]
	global_store_dwordx4 v[48:49], v[38:41], off
	global_store_dwordx4 v[34:35], v[42:45], off
	s_cbranch_vccz .LBB145_29
; %bb.24:
	s_mov_b32 s6, s4
	s_mov_b32 s7, s4
	;; [unrolled: 1-line block ×3, first 2 shown]
	v_mov_b64_e32 v[40:41], s[6:7]
	v_mov_b64_e32 v[38:39], s[4:5]
	;; [unrolled: 1-line block ×3, first 2 shown]
	v_cmp_gt_i32_e32 vcc, s46, v62
	v_mov_b64_e32 v[36:37], v[40:41]
	s_and_saveexec_b64 s[2:3], vcc
	s_cbranch_execz .LBB145_26
; %bb.25:
	v_lshlrev_b32_e32 v34, 8, v62
	v_mov_b32_e32 v35, 0
	v_lshl_add_u64 v[36:37], s[0:1], 0, v[34:35]
	v_lshlrev_b32_e32 v34, 1, v50
	v_lshl_add_u64 v[42:43], v[36:37], 0, v[34:35]
	global_load_dwordx4 v[38:41], v[42:43], off
	global_load_dwordx4 v[34:37], v[42:43], off offset:128
.LBB145_26:
	s_or_b64 exec, exec, s[2:3]
	s_mov_b32 s6, s4
	s_mov_b32 s7, s4
	;; [unrolled: 1-line block ×3, first 2 shown]
	v_mov_b64_e32 v[48:49], s[6:7]
	v_mov_b64_e32 v[46:47], s[4:5]
	;; [unrolled: 1-line block ×3, first 2 shown]
	v_cmp_gt_i32_e32 vcc, s46, v52
	v_lshlrev_b32_e32 v53, 7, v52
	v_mov_b64_e32 v[44:45], v[48:49]
	s_and_saveexec_b64 s[2:3], vcc
	s_cbranch_execz .LBB145_28
; %bb.27:
	v_lshlrev_b32_e32 v42, 1, v53
	v_mov_b32_e32 v43, 0
	v_lshl_add_u64 v[44:45], s[0:1], 0, v[42:43]
	v_lshlrev_b32_e32 v42, 1, v50
	v_lshl_add_u64 v[58:59], v[44:45], 0, v[42:43]
	global_load_dwordx4 v[46:49], v[58:59], off
	global_load_dwordx4 v[42:45], v[58:59], off offset:128
.LBB145_28:
	s_or_b64 exec, exec, s[2:3]
	v_lshrrev_b32_e32 v56, 3, v50
	v_lshlrev_b32_e32 v58, 3, v62
	v_or_b32_e32 v56, v58, v56
	v_lshlrev_b32_e32 v56, 4, v56
	v_and_b32_e32 v58, 0x78, v58
	v_xor_b32_e32 v56, v56, v58
	s_branch .LBB145_31
.LBB145_29:
                                        ; implicit-def: $vgpr56
                                        ; implicit-def: $vgpr53
                                        ; implicit-def: $vgpr38_vgpr39_vgpr40_vgpr41
                                        ; implicit-def: $vgpr34_vgpr35_vgpr36_vgpr37
                                        ; implicit-def: $vgpr46_vgpr47_vgpr48_vgpr49
                                        ; implicit-def: $vgpr42_vgpr43_vgpr44_vgpr45
	s_cbranch_execz .LBB145_31
; %bb.30:
	s_waitcnt vmcnt(0)
	v_lshlrev_b32_e32 v34, 1, v50
	v_lshl_or_b32 v53, v62, 8, v34
	s_and_b32 s1, s1, 0xffff
	s_mov_b32 s3, 0x20000
	s_movk_i32 s2, 0x4000
	v_lshl_or_b32 v56, v52, 8, v34
	s_movk_i32 s4, 0x80
	buffer_load_dwordx4 v[38:41], v53, s[0:3], 0 offen
	buffer_load_dwordx4 v[34:37], v53, s[0:3], s4 offen
	;; [unrolled: 1-line block ×4, first 2 shown]
	v_lshrrev_b32_e32 v53, 3, v50
	v_lshlrev_b32_e32 v56, 3, v62
	v_or_b32_e32 v53, v56, v53
	v_lshlrev_b32_e32 v53, 4, v53
	v_and_b32_e32 v56, 0x78, v56
	v_xor_b32_e32 v56, v53, v56
	v_lshlrev_b32_e32 v53, 7, v52
.LBB145_31:
	s_movk_i32 s0, 0x1000
	v_and_or_b32 v52, v53, s0, v56
	s_waitcnt vmcnt(1)
	ds_write_b64 v56, v[38:39] offset:49152
	v_xor_b32_e32 v38, 8, v56
	ds_write_b64 v38, v[40:41] offset:49152
	s_waitcnt vmcnt(0)
	ds_write_b64 v56, v[34:35] offset:57344
	ds_write_b64 v38, v[36:37] offset:57344
	ds_write_b64 v52, v[46:47] offset:49152
	v_xor_b32_e32 v34, 8, v52
	ds_write_b64 v34, v[48:49] offset:49152
	ds_write_b64 v52, v[42:43] offset:57344
	ds_write_b64 v34, v[44:45] offset:57344
	v_or_b32_e32 v34, v77, v99
	v_lshlrev_b32_e32 v34, 3, v34
	v_lshrrev_b32_e32 v35, 5, v79
	s_movk_i32 s0, 0xf8
	v_and_or_b32 v35, v34, s0, v35
	v_lshlrev_b32_e32 v39, 4, v35
	v_lshlrev_b32_e32 v56, 11, v1
	v_and_b32_e32 v40, 0x78, v34
	v_or_b32_e32 v42, 32, v39
	v_and_b32_e32 v38, 0x1000, v56
	v_lshrrev_b32_e32 v35, 1, v79
	v_xor_b32_e32 v42, v42, v40
	v_xor_b32_e32 v34, v39, v40
	v_and_b32_e32 v41, 8, v35
	v_or_b32_e32 v42, v42, v38
	v_or_b32_e32 v34, v34, v38
	v_xor_b32_e32 v64, v42, v41
	v_or_b32_e32 v42, 64, v39
	v_xor_b32_e32 v63, v34, v41
	v_xor_b32_e32 v42, v42, v40
	s_waitcnt lgkmcnt(0)
	s_barrier
	v_or_b32_e32 v45, v42, v38
	ds_read_b64 v[42:43], v63 offset:49152
	v_lshl_or_b32 v46, v98, 8, v57
	v_lshlrev_b32_e32 v58, 1, v46
	v_add_u32_e32 v44, 0x4000, v58
	ds_read2_b64 v[34:37], v44 offset1:16
	v_or_b32_e32 v39, 0x60, v39
	v_xor_b32_e32 v39, v39, v40
	v_or_b32_e32 v38, v39, v38
	v_xor_b32_e32 v65, v45, v41
	v_xor_b32_e32 v66, v38, v41
	ds_read_b64 v[52:53], v64 offset:49152
	ds_read_b64 v[68:69], v65 offset:49152
	ds_read_b64 v[70:71], v66 offset:49152
	s_waitcnt lgkmcnt(3)
	v_mfma_f32_16x16x16_bf16 a[0:3], v[42:43], v[34:35], 0
	ds_read2st64_b64 v[38:41], v58 offset0:36 offset1:40
	s_lshl_b64 s[0:1], s[44:45], 8
	s_add_u32 s4, s16, s0
	v_mfma_f32_16x16x16_bf16 a[4:7], v[42:43], v[36:37], 0
	ds_read2_b64 v[34:37], v44 offset0:32 offset1:48
	s_addc_u32 s5, s17, s1
	s_add_i32 s0, s51, s49
	s_waitcnt lgkmcnt(0)
	v_mfma_f32_16x16x16_bf16 a[8:11], v[42:43], v[34:35], 0
	v_or_b32_e32 v34, 64, v46
	v_lshlrev_b32_e32 v59, 1, v34
	s_add_i32 s17, s35, -1
	v_mfma_f32_16x16x16_bf16 a[12:15], v[42:43], v[36:37], 0
	ds_read2st64_b64 v[34:37], v59 offset0:36 offset1:40
	s_add_i32 s43, s0, s50
	s_add_i32 s0, s53, s52
	v_mfma_f32_16x16x16_bf16 a[0:3], v[52:53], v[38:39], a[0:3]
	v_or_b32_e32 v38, 0x80, v46
	v_lshlrev_b32_e32 v60, 1, v38
	ds_read2st64_b64 v[42:45], v60 offset0:36 offset1:40
	s_waitcnt lgkmcnt(1)
	v_mfma_f32_16x16x16_bf16 a[4:7], v[52:53], v[34:35], a[4:7]
	v_or_b32_e32 v34, 0xc0, v46
	v_lshlrev_b32_e32 v61, 1, v34
	ds_read2st64_b64 v[46:49], v61 offset0:36 offset1:40
	s_add_i32 s41, s0, s54
	s_ashr_i32 s0, s17, 31
	s_mul_i32 s1, s17, s11
	s_mul_hi_u32 s2, s17, s10
	s_add_i32 s1, s2, s1
	s_mul_i32 s0, s0, s10
	s_waitcnt lgkmcnt(1)
	v_mfma_f32_16x16x16_bf16 a[8:11], v[52:53], v[42:43], a[8:11]
	s_add_i32 s1, s1, s0
	s_lshl_b64 s[2:3], s[42:43], 2
	s_add_u32 s6, s22, s2
	s_waitcnt lgkmcnt(0)
	v_mfma_f32_16x16x16_bf16 a[12:15], v[52:53], v[46:47], a[12:15]
	s_addc_u32 s7, s23, s3
	s_lshl_b64 s[2:3], s[40:41], 2
	s_mul_i32 s0, s17, s10
	v_mfma_f32_16x16x16_bf16 a[0:3], v[68:69], v[40:41], a[0:3]
	ds_read_b64 v[34:35], v58 offset:22528
	s_add_u32 s12, s6, s2
	s_addc_u32 s13, s7, s3
	v_mfma_f32_16x16x16_bf16 a[4:7], v[68:69], v[36:37], a[4:7]
	ds_read_b64 v[36:37], v59 offset:22528
	ds_read_b64 v[38:39], v60 offset:22528
	;; [unrolled: 1-line block ×3, first 2 shown]
	s_lshl_b64 s[0:1], s[0:1], 2
	s_add_u32 s0, s12, s0
	v_mfma_f32_16x16x16_bf16 a[8:11], v[68:69], v[44:45], a[8:11]
	s_addc_u32 s1, s13, s1
	s_load_dword s16, s[0:1], 0x0
	s_and_b64 vcc, exec, s[38:39]
	v_mfma_f32_16x16x16_bf16 a[12:15], v[68:69], v[48:49], a[12:15]
	s_waitcnt lgkmcnt(0)
	v_mfma_f32_16x16x16_bf16 a[0:3], v[70:71], v[34:35], a[0:3]
	v_mfma_f32_16x16x16_bf16 a[4:7], v[70:71], v[36:37], a[4:7]
	;; [unrolled: 1-line block ×4, first 2 shown]
	s_cbranch_vccz .LBB145_42
; %bb.32:
	v_lshlrev_b32_e32 v52, 1, v62
	s_and_b64 vcc, exec, s[18:19]
	s_cbranch_vccz .LBB145_43
; %bb.33:
	v_cmp_gt_i32_e32 vcc, s46, v52
	v_mov_b32_e32 v38, 0
	v_mov_b32_e32 v34, 0
	;; [unrolled: 1-line block ×5, first 2 shown]
	s_and_saveexec_b64 s[0:1], vcc
	s_cbranch_execz .LBB145_35
; %bb.34:
	v_mad_i64_i32 v[34:35], s[2:3], s31, v52, 0
	v_lshl_add_u64 v[34:35], v[34:35], 1, s[4:5]
	v_lshlrev_b32_e32 v36, 1, v50
	v_mov_b32_e32 v37, 0
	v_lshl_add_u64 v[34:35], v[34:35], 0, v[36:37]
	global_load_dwordx4 v[34:37], v[34:35], off
.LBB145_35:
	s_or_b64 exec, exec, s[0:1]
	v_or_b32_e32 v53, 1, v52
	v_cmp_gt_i32_e64 s[0:1], s46, v53
	v_mov_b32_e32 v39, 0
	v_mov_b32_e32 v40, 0
	;; [unrolled: 1-line block ×3, first 2 shown]
	s_and_saveexec_b64 s[2:3], s[0:1]
	s_cbranch_execz .LBB145_37
; %bb.36:
	v_mad_i64_i32 v[38:39], s[6:7], s31, v53, 0
	v_lshl_add_u64 v[38:39], v[38:39], 1, s[4:5]
	v_lshlrev_b32_e32 v40, 1, v50
	v_mov_b32_e32 v41, 0
	v_lshl_add_u64 v[38:39], v[38:39], 0, v[40:41]
	global_load_dwordx4 v[38:41], v[38:39], off
.LBB145_37:
	s_or_b64 exec, exec, s[2:3]
	v_mov_b32_e32 v49, 0
	v_mov_b32_e32 v42, 0
	;; [unrolled: 1-line block ×5, first 2 shown]
	s_and_saveexec_b64 s[2:3], vcc
	s_cbranch_execz .LBB145_39
; %bb.38:
	v_mad_i64_i32 v[42:43], s[6:7], s31, v52, 0
	v_lshl_add_u64 v[42:43], v[42:43], 1, s[4:5]
	v_lshlrev_b32_e32 v44, 1, v50
	v_mov_b32_e32 v45, 0
	v_lshl_add_u64 v[42:43], v[42:43], 0, v[44:45]
	global_load_dwordx4 v[42:45], v[42:43], off offset:128
.LBB145_39:
	s_or_b64 exec, exec, s[2:3]
	v_mov_b32_e32 v48, 0
	v_mov_b32_e32 v47, 0
	;; [unrolled: 1-line block ×3, first 2 shown]
	s_and_saveexec_b64 s[2:3], s[0:1]
	s_cbranch_execz .LBB145_41
; %bb.40:
	v_mad_i64_i32 v[46:47], s[0:1], s31, v53, 0
	v_lshl_add_u64 v[46:47], v[46:47], 1, s[4:5]
	v_lshlrev_b32_e32 v48, 1, v50
	v_mov_b32_e32 v49, 0
	v_lshl_add_u64 v[46:47], v[46:47], 0, v[48:49]
	global_load_dwordx4 v[46:49], v[46:47], off offset:128
.LBB145_41:
	s_or_b64 exec, exec, s[2:3]
	s_branch .LBB145_45
.LBB145_42:
                                        ; implicit-def: $vgpr37
                                        ; implicit-def: $vgpr41
                                        ; implicit-def: $vgpr45
                                        ; implicit-def: $vgpr49
	v_lshrrev_b32_e32 v67, 2, v79
	s_branch .LBB145_46
.LBB145_43:
                                        ; implicit-def: $vgpr37
                                        ; implicit-def: $vgpr41
                                        ; implicit-def: $vgpr45
                                        ; implicit-def: $vgpr49
	s_cbranch_execz .LBB145_45
; %bb.44:
	s_waitcnt vmcnt(0)
	v_mad_u64_u32 v[34:35], s[0:1], v52, s31, v[50:51]
	v_lshlrev_b32_e32 v52, 1, v34
	s_lshl_b32 s2, s31, 7
	s_and_b32 s1, s5, 0xffff
	s_mov_b32 s3, 0x20000
	s_mov_b32 s0, s4
	v_add_lshl_u32 v53, v34, s31, 1
	s_movk_i32 s6, 0x80
	buffer_load_dwordx4 v[34:37], v52, s[0:3], 0 offen
	buffer_load_dwordx4 v[42:45], v52, s[0:3], s6 offen
	;; [unrolled: 1-line block ×4, first 2 shown]
.LBB145_45:
	v_lshrrev_b32_e32 v67, 2, v79
	s_cbranch_execnz .LBB145_58
.LBB145_46:
	s_and_b64 vcc, exec, s[18:19]
	s_cbranch_vccz .LBB145_56
; %bb.47:
	s_waitcnt vmcnt(0)
	v_lshlrev_b32_e32 v39, 1, v62
	v_cmp_gt_i32_e32 vcc, s46, v39
	v_mov_b32_e32 v38, 0
	v_lshlrev_b32_e32 v46, 9, v62
	v_mov_b32_e32 v34, 0
	v_mov_b32_e32 v35, 0
	;; [unrolled: 1-line block ×4, first 2 shown]
	s_and_saveexec_b64 s[0:1], vcc
	s_cbranch_execz .LBB145_49
; %bb.48:
	v_mov_b32_e32 v47, 0
	v_lshl_add_u64 v[34:35], s[4:5], 0, v[46:47]
	v_lshlrev_b32_e32 v36, 1, v50
	v_mov_b32_e32 v37, v47
	v_lshl_add_u64 v[34:35], v[34:35], 0, v[36:37]
	global_load_dwordx4 v[34:37], v[34:35], off
.LBB145_49:
	s_or_b64 exec, exec, s[0:1]
	v_or_b32_e32 v39, 1, v39
	v_cmp_gt_i32_e64 s[0:1], s46, v39
	v_lshlrev_b32_e32 v52, 8, v39
	v_mov_b32_e32 v39, 0
	v_mov_b32_e32 v40, 0
	;; [unrolled: 1-line block ×3, first 2 shown]
	s_and_saveexec_b64 s[2:3], s[0:1]
	s_cbranch_execz .LBB145_51
; %bb.50:
	v_mov_b32_e32 v53, 0
	v_lshl_add_u64 v[38:39], s[4:5], 0, v[52:53]
	v_lshlrev_b32_e32 v40, 1, v50
	v_mov_b32_e32 v41, v53
	v_lshl_add_u64 v[38:39], v[38:39], 0, v[40:41]
	global_load_dwordx4 v[38:41], v[38:39], off
.LBB145_51:
	s_or_b64 exec, exec, s[2:3]
	v_mov_b32_e32 v49, 0
	v_mov_b32_e32 v42, 0
	;; [unrolled: 1-line block ×5, first 2 shown]
	s_and_saveexec_b64 s[2:3], vcc
	s_cbranch_execz .LBB145_53
; %bb.52:
	v_mov_b32_e32 v47, 0
	v_lshl_add_u64 v[42:43], s[4:5], 0, v[46:47]
	v_lshlrev_b32_e32 v46, 1, v50
	v_lshl_add_u64 v[42:43], v[42:43], 0, v[46:47]
	global_load_dwordx4 v[42:45], v[42:43], off offset:128
.LBB145_53:
	s_or_b64 exec, exec, s[2:3]
	v_mov_b32_e32 v48, 0
	v_mov_b32_e32 v47, 0
	v_mov_b32_e32 v46, 0
	s_and_saveexec_b64 s[2:3], s[0:1]
	s_cbranch_execz .LBB145_55
; %bb.54:
	v_mov_b32_e32 v53, 0
	v_lshl_add_u64 v[46:47], s[4:5], 0, v[52:53]
	v_lshlrev_b32_e32 v52, 1, v50
	v_lshl_add_u64 v[46:47], v[46:47], 0, v[52:53]
	global_load_dwordx4 v[46:49], v[46:47], off offset:128
.LBB145_55:
	s_or_b64 exec, exec, s[2:3]
	s_branch .LBB145_58
.LBB145_56:
                                        ; implicit-def: $vgpr37
                                        ; implicit-def: $vgpr41
                                        ; implicit-def: $vgpr45
                                        ; implicit-def: $vgpr49
	s_cbranch_execz .LBB145_58
; %bb.57:
	s_waitcnt vmcnt(0)
	v_lshlrev_b32_e32 v34, 1, v50
	v_lshl_or_b32 v50, v62, 9, v34
	s_and_b32 s5, s5, 0xffff
	s_mov_b32 s7, 0x20000
	s_movk_i32 s6, 0x4000
	s_movk_i32 s0, 0x80
	buffer_load_dwordx4 v[34:37], v50, s[4:7], 0 offen
	buffer_load_dwordx4 v[38:41], v50, s[4:7], 0 offen offset:256
	buffer_load_dwordx4 v[42:45], v50, s[4:7], s0 offen
	buffer_load_dwordx4 v[46:49], v50, s[4:7], s0 offen offset:256
.LBB145_58:
	ds_read_b64 v[52:53], v63 offset:57344
	v_add_u32_e32 v50, 0x6000, v58
	ds_read2_b64 v[68:71], v50 offset1:16
	ds_read_b64 v[94:95], v64 offset:57344
	ds_read_b64 v[96:97], v65 offset:57344
	;; [unrolled: 1-line block ×3, first 2 shown]
	v_and_b32_e32 v63, 6, v0
	v_xor_b32_e32 v62, v62, v63
	v_lshlrev_b32_e32 v62, 2, v62
	s_mov_b32 s0, 0x1000504
	s_mov_b32 s1, 0x3020706
	s_waitcnt lgkmcnt(3)
	v_mfma_f32_16x16x16_bf16 a[0:3], v[52:53], v[68:69], a[0:3]
	v_mfma_f32_16x16x16_bf16 a[4:7], v[52:53], v[70:71], a[4:7]
	ds_read2_b64 v[68:71], v50 offset0:32 offset1:48
	v_and_b32_e32 v50, 12, v67
	ds_read2st64_b64 v[64:67], v58 offset0:52 offset1:56
	s_waitcnt lgkmcnt(1)
	v_mfma_f32_16x16x16_bf16 a[8:11], v[52:53], v[68:69], a[8:11]
	v_mfma_f32_16x16x16_bf16 a[12:15], v[52:53], v[70:71], a[12:15]
	ds_read2st64_b64 v[68:71], v59 offset0:52 offset1:56
	ds_read2st64_b64 v[72:75], v60 offset0:52 offset1:56
	;; [unrolled: 1-line block ×3, first 2 shown]
	s_waitcnt lgkmcnt(3)
	v_mfma_f32_16x16x16_bf16 a[0:3], v[94:95], v[64:65], a[0:3]
	ds_read_b64 v[52:53], v58 offset:30720
	ds_read_b64 v[64:65], v59 offset:30720
	;; [unrolled: 1-line block ×4, first 2 shown]
	s_waitcnt lgkmcnt(6)
	v_mfma_f32_16x16x16_bf16 a[4:7], v[94:95], v[68:69], a[4:7]
	v_and_b32_e32 v68, 1, v0
	v_xor_b32_e32 v69, 0x440, v62
	v_cmp_eq_u32_e32 vcc, 0, v68
	s_waitcnt lgkmcnt(5)
	v_mfma_f32_16x16x16_bf16 a[8:11], v[94:95], v[72:73], a[8:11]
	v_cndmask_b32_e32 v62, v69, v62, vcc
	v_lshl_or_b32 v62, v63, 10, v62
	s_waitcnt lgkmcnt(4)
	v_mfma_f32_16x16x16_bf16 a[12:15], v[94:95], v[90:91], a[12:15]
	s_waitcnt vmcnt(0)
	v_perm_b32 v63, v34, v38, s0
	v_perm_b32 v34, v34, v38, s1
	;; [unrolled: 1-line block ×3, first 2 shown]
	v_mfma_f32_16x16x16_bf16 a[0:3], v[96:97], v[66:67], a[0:3]
	v_perm_b32 v66, v42, v46, s0
	ds_write2st64_b32 v62, v63, v66 offset0:128 offset1:160
	v_xor_b32_e32 v63, 8, v62
	v_add_u32_e32 v42, 0x80, v63
	ds_write2st64_b32 v42, v34, v38 offset0:128 offset1:160
	v_xor_b32_e32 v34, 16, v62
	v_perm_b32 v38, v35, v39, s0
	v_perm_b32 v42, v43, v47, s0
	v_mfma_f32_16x16x16_bf16 a[4:7], v[96:97], v[70:71], a[4:7]
	ds_write2st64_b32 v34, v38, v42 offset0:129 offset1:161
	v_xor_b32_e32 v34, 24, v62
	v_perm_b32 v35, v35, v39, s1
	v_mfma_f32_16x16x16_bf16 a[16:19], v[96:97], v[74:75], a[8:11]
	v_perm_b32 v38, v43, v47, s1
	v_add_u32_e32 v34, 0x80, v34
	ds_write2st64_b32 v34, v35, v38 offset0:129 offset1:161
	v_mfma_f32_16x16x16_bf16 a[20:23], v[96:97], v[92:93], a[12:15]
	v_xor_b32_e32 v34, 32, v62
	v_perm_b32 v35, v36, v40, s0
	v_perm_b32 v38, v44, v48, s0
	ds_write2st64_b32 v34, v35, v38 offset0:130 offset1:162
	v_xor_b32_e32 v34, 40, v62
	s_waitcnt lgkmcnt(8)
	v_mfma_f32_16x16x16_bf16 a[12:15], v[98:99], v[52:53], a[0:3]
	v_perm_b32 v35, v36, v40, s1
	v_perm_b32 v36, v44, v48, s1
	v_add_u32_e32 v34, 0x80, v34
	s_waitcnt lgkmcnt(7)
	v_mfma_f32_16x16x16_bf16 a[8:11], v[98:99], v[64:65], a[4:7]
	ds_write2st64_b32 v34, v35, v36 offset0:130 offset1:162
	v_xor_b32_e32 v34, 48, v62
	v_perm_b32 v35, v37, v41, s0
	s_waitcnt lgkmcnt(7)
	v_mfma_f32_16x16x16_bf16 a[4:7], v[98:99], v[100:101], a[16:19]
	v_perm_b32 v36, v45, v49, s0
	ds_write2st64_b32 v34, v35, v36 offset0:131 offset1:163
	v_xor_b32_e32 v34, 56, v62
	s_waitcnt lgkmcnt(7)
	v_mfma_f32_16x16x16_bf16 a[0:3], v[98:99], v[102:103], a[20:23]
	v_or_b32_e32 v52, v50, v77
	v_perm_b32 v35, v37, v41, s1
	v_perm_b32 v36, v45, v49, s1
	v_add_u32_e32 v34, 0x80, v34
	v_cmp_gt_i32_e64 s[0:1], s46, v52
	v_mov_b32_e32 v62, 0
	v_mov_b32_e32 v63, 0
	ds_write2st64_b32 v34, v35, v36 offset0:131 offset1:163
	s_and_saveexec_b64 s[2:3], s[0:1]
	s_cbranch_execz .LBB145_60
; %bb.59:
	v_add_u32_e32 v34, s34, v52
	v_ashrrev_i32_e32 v35, 31, v34
	v_mul_lo_u32 v36, v35, s10
	v_mul_lo_u32 v37, v34, s11
	v_mad_u64_u32 v[34:35], s[4:5], v34, s10, 0
	v_add3_u32 v35, v35, v37, v36
	v_lshl_add_u64 v[34:35], v[34:35], 2, s[12:13]
	global_load_dword v34, v[34:35], off
	s_waitcnt vmcnt(0)
	v_sub_f32_e32 v34, s16, v34
	v_exp_f32_e32 v63, v34
.LBB145_60:
	s_or_b64 exec, exec, s[2:3]
	v_or_b32_e32 v46, 1, v52
	v_cmp_gt_i32_e64 s[4:5], s46, v46
	s_and_saveexec_b64 s[2:3], s[4:5]
	s_cbranch_execz .LBB145_62
; %bb.61:
	v_add_u32_e32 v34, s34, v46
	v_ashrrev_i32_e32 v35, 31, v34
	v_mul_lo_u32 v36, v35, s10
	v_mul_lo_u32 v37, v34, s11
	v_mad_u64_u32 v[34:35], s[6:7], v34, s10, 0
	v_add3_u32 v35, v35, v37, v36
	v_lshl_add_u64 v[34:35], v[34:35], 2, s[12:13]
	global_load_dword v34, v[34:35], off
	s_waitcnt vmcnt(0)
	v_sub_f32_e32 v34, s16, v34
	v_exp_f32_e32 v62, v34
.LBB145_62:
	s_or_b64 exec, exec, s[2:3]
	v_or_b32_e32 v42, 2, v52
	v_cmp_gt_i32_e64 s[2:3], s46, v42
	v_mov_b32_e32 v53, 0
	v_mov_b32_e32 v64, 0
	s_and_saveexec_b64 s[6:7], s[2:3]
	s_cbranch_execz .LBB145_64
; %bb.63:
	v_add_u32_e32 v34, s34, v42
	v_ashrrev_i32_e32 v35, 31, v34
	v_mul_lo_u32 v36, v35, s10
	v_mul_lo_u32 v37, v34, s11
	v_mad_u64_u32 v[34:35], s[18:19], v34, s10, 0
	v_add3_u32 v35, v35, v37, v36
	v_lshl_add_u64 v[34:35], v[34:35], 2, s[12:13]
	global_load_dword v34, v[34:35], off
	s_waitcnt vmcnt(0)
	v_sub_f32_e32 v34, s16, v34
	v_exp_f32_e32 v64, v34
.LBB145_64:
	s_or_b64 exec, exec, s[6:7]
	v_or_b32_e32 v43, 3, v52
	v_cmp_gt_i32_e32 vcc, s46, v43
	s_and_saveexec_b64 s[6:7], vcc
	s_cbranch_execz .LBB145_66
; %bb.65:
	v_add_u32_e32 v34, s34, v43
	v_ashrrev_i32_e32 v35, 31, v34
	v_mul_lo_u32 v36, v35, s10
	v_mul_lo_u32 v37, v34, s11
	v_mad_u64_u32 v[34:35], s[10:11], v34, s10, 0
	v_add3_u32 v35, v35, v37, v36
	v_lshl_add_u64 v[34:35], v[34:35], 2, s[12:13]
	global_load_dword v34, v[34:35], off
	s_waitcnt vmcnt(0)
	v_sub_f32_e32 v34, s16, v34
	v_exp_f32_e32 v53, v34
.LBB145_66:
	s_or_b64 exec, exec, s[6:7]
	s_add_u32 s6, s20, s36
	s_addc_u32 s7, s21, s37
	s_add_u32 s10, s14, s36
	v_ashrrev_i32_e32 v89, 31, v88
	v_accvgpr_read_b32 v37, a15
	s_addc_u32 s11, s15, s37
	v_lshlrev_b64 v[38:39], 1, v[88:89]
	v_accvgpr_read_b32 v36, a14
	v_accvgpr_read_b32 v35, a13
	;; [unrolled: 1-line block ×3, first 2 shown]
	v_lshl_add_u64 v[40:41], s[6:7], 0, v[38:39]
	v_lshl_add_u64 v[38:39], s[10:11], 0, v[38:39]
	v_mov_b32_e32 v47, 0
	v_lshlrev_b32_e32 v44, 8, v52
	v_mov_b32_e32 v45, 0
	s_and_saveexec_b64 s[6:7], s[0:1]
	s_cbranch_execz .LBB145_68
; %bb.67:
	v_mov_b32_e32 v45, 0
	v_lshl_add_u64 v[48:49], v[40:41], 0, v[44:45]
	global_load_ushort v65, v[48:49], off
	v_lshl_add_u64 v[48:49], v[38:39], 0, v[44:45]
	s_waitcnt vmcnt(0)
	v_lshlrev_b32_e32 v45, 16, v65
	v_sub_f32_e32 v34, v45, v34
	global_store_short_d16_hi v[48:49], v34, off
	v_mul_f32_e32 v34, v63, v34
	v_lshrrev_b32_e32 v45, 16, v34
.LBB145_68:
	s_or_b64 exec, exec, s[6:7]
	v_lshlrev_b32_e32 v46, 8, v46
	s_and_saveexec_b64 s[6:7], s[4:5]
	s_cbranch_execz .LBB145_70
; %bb.69:
	v_mov_b32_e32 v47, 0
	v_lshl_add_u64 v[48:49], v[40:41], 0, v[46:47]
	global_load_ushort v34, v[48:49], off
	v_lshl_add_u64 v[48:49], v[38:39], 0, v[46:47]
	s_waitcnt vmcnt(0)
	v_lshlrev_b32_e32 v34, 16, v34
	v_sub_f32_e32 v34, v34, v35
	global_store_short_d16_hi v[48:49], v34, off
	v_mul_f32_e32 v34, v62, v34
	v_lshrrev_b32_e32 v47, 16, v34
.LBB145_70:
	s_or_b64 exec, exec, s[6:7]
	v_mov_b32_e32 v66, 0
	v_lshlrev_b32_e32 v48, 8, v42
	v_mov_b32_e32 v49, 0
	s_and_saveexec_b64 s[6:7], s[2:3]
	s_cbranch_execz .LBB145_72
; %bb.71:
	v_mov_b32_e32 v49, 0
	v_lshl_add_u64 v[34:35], v[40:41], 0, v[48:49]
	global_load_ushort v42, v[34:35], off
	v_lshl_add_u64 v[34:35], v[38:39], 0, v[48:49]
	s_waitcnt vmcnt(0)
	v_lshlrev_b32_e32 v42, 16, v42
	v_sub_f32_e32 v36, v42, v36
	global_store_short_d16_hi v[34:35], v36, off
	v_mul_f32_e32 v34, v64, v36
	v_lshrrev_b32_e32 v49, 16, v34
.LBB145_72:
	s_or_b64 exec, exec, s[6:7]
	v_lshlrev_b32_e32 v42, 8, v43
	s_and_saveexec_b64 s[6:7], vcc
	s_cbranch_execz .LBB145_74
; %bb.73:
	v_mov_b32_e32 v43, 0
	v_lshl_add_u64 v[34:35], v[40:41], 0, v[42:43]
	global_load_ushort v36, v[34:35], off
	v_lshl_add_u64 v[34:35], v[38:39], 0, v[42:43]
	s_waitcnt vmcnt(0)
	v_lshlrev_b32_e32 v36, 16, v36
	v_sub_f32_e32 v36, v36, v37
	global_store_short_d16_hi v[34:35], v36, off
	v_mul_f32_e32 v34, v53, v36
	v_lshrrev_b32_e32 v66, 16, v34
.LBB145_74:
	s_or_b64 exec, exec, s[6:7]
	v_lshlrev_b32_e32 v65, 6, v52
	v_accvgpr_read_b32 v37, a11
	s_mov_b32 s6, 0x5040100
	v_or_b32_e32 v43, v65, v57
	v_accvgpr_read_b32 v36, a10
	v_accvgpr_read_b32 v35, a9
	;; [unrolled: 1-line block ×3, first 2 shown]
	v_perm_b32 v67, v66, v49, s6
	v_perm_b32 v66, v47, v45, s6
	v_lshlrev_b32_e32 v43, 1, v43
	v_mov_b32_e32 v47, 0
	v_mov_b32_e32 v45, 0
	ds_write_b64 v43, v[66:67] offset:24576
	s_and_saveexec_b64 s[6:7], s[0:1]
	s_cbranch_execz .LBB145_76
; %bb.75:
	v_mov_b32_e32 v45, 0
	v_lshl_add_u64 v[66:67], v[40:41], 0, v[44:45]
	global_load_ushort v43, v[66:67], off offset:32
	v_lshl_add_u64 v[66:67], v[38:39], 0, v[44:45]
	s_waitcnt vmcnt(0)
	v_lshlrev_b32_e32 v43, 16, v43
	v_sub_f32_e32 v34, v43, v34
	global_store_short_d16_hi v[66:67], v34, off offset:32
	v_mul_f32_e32 v34, v63, v34
	v_lshrrev_b32_e32 v45, 16, v34
.LBB145_76:
	s_or_b64 exec, exec, s[6:7]
	s_and_saveexec_b64 s[6:7], s[4:5]
	s_cbranch_execz .LBB145_78
; %bb.77:
	v_mov_b32_e32 v47, 0
	v_lshl_add_u64 v[66:67], v[40:41], 0, v[46:47]
	global_load_ushort v34, v[66:67], off offset:32
	v_lshl_add_u64 v[66:67], v[38:39], 0, v[46:47]
	s_waitcnt vmcnt(0)
	v_lshlrev_b32_e32 v34, 16, v34
	v_sub_f32_e32 v34, v34, v35
	global_store_short_d16_hi v[66:67], v34, off offset:32
	v_mul_f32_e32 v34, v62, v34
	v_lshrrev_b32_e32 v47, 16, v34
.LBB145_78:
	s_or_b64 exec, exec, s[6:7]
	v_mov_b32_e32 v43, 0
	v_mov_b32_e32 v49, 0
	s_and_saveexec_b64 s[6:7], s[2:3]
	s_cbranch_execz .LBB145_80
; %bb.79:
	v_mov_b32_e32 v49, 0
	v_lshl_add_u64 v[34:35], v[40:41], 0, v[48:49]
	global_load_ushort v57, v[34:35], off offset:32
	v_lshl_add_u64 v[34:35], v[38:39], 0, v[48:49]
	s_waitcnt vmcnt(0)
	v_lshlrev_b32_e32 v49, 16, v57
	v_sub_f32_e32 v36, v49, v36
	global_store_short_d16_hi v[34:35], v36, off offset:32
	v_mul_f32_e32 v34, v64, v36
	v_lshrrev_b32_e32 v49, 16, v34
.LBB145_80:
	s_or_b64 exec, exec, s[6:7]
	s_and_saveexec_b64 s[6:7], vcc
	s_cbranch_execz .LBB145_82
; %bb.81:
	v_mov_b32_e32 v43, 0
	v_lshl_add_u64 v[34:35], v[40:41], 0, v[42:43]
	global_load_ushort v36, v[34:35], off offset:32
	v_lshl_add_u64 v[34:35], v[38:39], 0, v[42:43]
	s_waitcnt vmcnt(0)
	v_lshlrev_b32_e32 v36, 16, v36
	v_sub_f32_e32 v36, v36, v37
	global_store_short_d16_hi v[34:35], v36, off offset:32
	v_mul_f32_e32 v34, v53, v36
	v_lshrrev_b32_e32 v43, 16, v34
.LBB145_82:
	s_or_b64 exec, exec, s[6:7]
	s_mov_b32 s6, 0x5040100
	v_accvgpr_read_b32 v37, a7
	v_perm_b32 v67, v43, v49, s6
	v_or_b32_e32 v43, v65, v55
	v_accvgpr_read_b32 v36, a6
	v_accvgpr_read_b32 v35, a5
	;; [unrolled: 1-line block ×3, first 2 shown]
	v_perm_b32 v66, v47, v45, s6
	v_lshlrev_b32_e32 v43, 1, v43
	v_mov_b32_e32 v47, 0
	v_mov_b32_e32 v45, 0
	ds_write_b64 v43, v[66:67] offset:24576
	s_and_saveexec_b64 s[6:7], s[0:1]
	s_cbranch_execz .LBB145_84
; %bb.83:
	v_mov_b32_e32 v45, 0
	v_lshl_add_u64 v[66:67], v[40:41], 0, v[44:45]
	global_load_ushort v43, v[66:67], off offset:64
	v_lshl_add_u64 v[66:67], v[38:39], 0, v[44:45]
	s_waitcnt vmcnt(0)
	v_lshlrev_b32_e32 v43, 16, v43
	v_sub_f32_e32 v34, v43, v34
	global_store_short_d16_hi v[66:67], v34, off offset:64
	v_mul_f32_e32 v34, v63, v34
	v_lshrrev_b32_e32 v45, 16, v34
.LBB145_84:
	s_or_b64 exec, exec, s[6:7]
	s_and_saveexec_b64 s[6:7], s[4:5]
	s_cbranch_execz .LBB145_86
; %bb.85:
	v_mov_b32_e32 v47, 0
	v_lshl_add_u64 v[66:67], v[40:41], 0, v[46:47]
	global_load_ushort v34, v[66:67], off offset:64
	v_lshl_add_u64 v[66:67], v[38:39], 0, v[46:47]
	s_waitcnt vmcnt(0)
	v_lshlrev_b32_e32 v34, 16, v34
	v_sub_f32_e32 v34, v34, v35
	global_store_short_d16_hi v[66:67], v34, off offset:64
	v_mul_f32_e32 v34, v62, v34
	v_lshrrev_b32_e32 v47, 16, v34
.LBB145_86:
	s_or_b64 exec, exec, s[6:7]
	v_mov_b32_e32 v43, 0
	v_mov_b32_e32 v49, 0
	s_and_saveexec_b64 s[6:7], s[2:3]
	s_cbranch_execz .LBB145_88
; %bb.87:
	v_mov_b32_e32 v49, 0
	v_lshl_add_u64 v[34:35], v[40:41], 0, v[48:49]
	global_load_ushort v55, v[34:35], off offset:64
	v_lshl_add_u64 v[34:35], v[38:39], 0, v[48:49]
	s_waitcnt vmcnt(0)
	v_lshlrev_b32_e32 v49, 16, v55
	v_sub_f32_e32 v36, v49, v36
	global_store_short_d16_hi v[34:35], v36, off offset:64
	v_mul_f32_e32 v34, v64, v36
	v_lshrrev_b32_e32 v49, 16, v34
.LBB145_88:
	s_or_b64 exec, exec, s[6:7]
	s_and_saveexec_b64 s[6:7], vcc
	s_cbranch_execz .LBB145_90
; %bb.89:
	v_mov_b32_e32 v43, 0
	v_lshl_add_u64 v[34:35], v[40:41], 0, v[42:43]
	global_load_ushort v36, v[34:35], off offset:64
	v_lshl_add_u64 v[34:35], v[38:39], 0, v[42:43]
	s_waitcnt vmcnt(0)
	v_lshlrev_b32_e32 v36, 16, v36
	v_sub_f32_e32 v36, v36, v37
	global_store_short_d16_hi v[34:35], v36, off offset:64
	v_mul_f32_e32 v34, v53, v36
	v_lshrrev_b32_e32 v43, 16, v34
.LBB145_90:
	s_or_b64 exec, exec, s[6:7]
	s_mov_b32 s6, 0x5040100
	v_accvgpr_read_b32 v37, a3
	v_perm_b32 v67, v43, v49, s6
	v_or_b32_e32 v43, v65, v54
	v_accvgpr_read_b32 v36, a2
	v_accvgpr_read_b32 v35, a1
	;; [unrolled: 1-line block ×3, first 2 shown]
	v_perm_b32 v66, v47, v45, s6
	v_lshlrev_b32_e32 v43, 1, v43
	v_mov_b32_e32 v47, 0
	v_mov_b32_e32 v45, 0
	ds_write_b64 v43, v[66:67] offset:24576
	s_and_saveexec_b64 s[6:7], s[0:1]
	s_cbranch_execz .LBB145_92
; %bb.91:
	v_mov_b32_e32 v45, 0
	v_lshl_add_u64 v[54:55], v[40:41], 0, v[44:45]
	global_load_ushort v43, v[54:55], off offset:96
	v_lshl_add_u64 v[44:45], v[38:39], 0, v[44:45]
	s_waitcnt vmcnt(0)
	v_lshlrev_b32_e32 v43, 16, v43
	v_sub_f32_e32 v34, v43, v34
	global_store_short_d16_hi v[44:45], v34, off offset:96
	v_mul_f32_e32 v34, v63, v34
	v_lshrrev_b32_e32 v45, 16, v34
.LBB145_92:
	s_or_b64 exec, exec, s[6:7]
	s_and_saveexec_b64 s[0:1], s[4:5]
	s_cbranch_execz .LBB145_94
; %bb.93:
	v_mov_b32_e32 v47, 0
	v_lshl_add_u64 v[54:55], v[40:41], 0, v[46:47]
	global_load_ushort v34, v[54:55], off offset:96
	v_lshl_add_u64 v[46:47], v[38:39], 0, v[46:47]
	s_waitcnt vmcnt(0)
	v_lshlrev_b32_e32 v34, 16, v34
	v_sub_f32_e32 v34, v34, v35
	global_store_short_d16_hi v[46:47], v34, off offset:96
	v_mul_f32_e32 v34, v62, v34
	v_lshrrev_b32_e32 v47, 16, v34
.LBB145_94:
	s_or_b64 exec, exec, s[0:1]
	v_mov_b32_e32 v43, 0
	v_mov_b32_e32 v46, 0
	s_and_saveexec_b64 s[0:1], s[2:3]
	s_cbranch_execz .LBB145_96
; %bb.95:
	v_mov_b32_e32 v49, 0
	v_lshl_add_u64 v[34:35], v[40:41], 0, v[48:49]
	global_load_ushort v44, v[34:35], off offset:96
	v_lshl_add_u64 v[34:35], v[38:39], 0, v[48:49]
	s_waitcnt vmcnt(0)
	v_lshlrev_b32_e32 v44, 16, v44
	v_sub_f32_e32 v36, v44, v36
	global_store_short_d16_hi v[34:35], v36, off offset:96
	v_mul_f32_e32 v34, v64, v36
	v_lshrrev_b32_e32 v46, 16, v34
.LBB145_96:
	s_or_b64 exec, exec, s[0:1]
	v_or_b32_e32 v34, 0x6000, v58
	v_or_b32_e32 v35, 0x6000, v59
	;; [unrolled: 1-line block ×4, first 2 shown]
	s_and_saveexec_b64 s[0:1], vcc
	s_cbranch_execz .LBB145_98
; %bb.97:
	v_mov_b32_e32 v43, 0
	v_lshl_add_u64 v[40:41], v[40:41], 0, v[42:43]
	global_load_ushort v40, v[40:41], off offset:96
	v_lshl_add_u64 v[38:39], v[38:39], 0, v[42:43]
	s_waitcnt vmcnt(0)
	v_lshlrev_b32_e32 v40, 16, v40
	v_sub_f32_e32 v37, v40, v37
	global_store_short_d16_hi v[38:39], v37, off offset:96
	v_mul_f32_e32 v37, v53, v37
	v_lshrrev_b32_e32 v43, 16, v37
.LBB145_98:
	s_or_b64 exec, exec, s[0:1]
	s_mov_b32 s0, 0x5040100
	v_or_b32_e32 v37, v65, v51
	v_perm_b32 v39, v43, v46, s0
	v_perm_b32 v38, v47, v45, s0
	v_lshlrev_b32_e32 v37, 1, v37
	ds_write_b64 v37, v[38:39] offset:24576
	v_and_b32_e32 v37, 7, v0
	v_and_b32_e32 v42, 8, v0
	v_lshlrev_b32_e32 v45, 3, v37
	v_lshlrev_b32_e32 v79, 7, v37
	v_lshrrev_b32_e32 v37, 1, v0
	v_and_b32_e32 v37, 24, v37
	v_mov_b32_e32 v43, 0x400
	v_cmp_eq_u32_e32 vcc, 0, v42
	s_movk_i32 s2, 0x100
	v_lshlrev_b32_e32 v53, 3, v1
	v_cndmask_b32_e64 v51, v43, 64, vcc
	v_mov_b32_e32 v42, 0xa000
	v_mov_b32_e32 v43, 0x8000
	v_cmp_gt_u32_e64 s[0:1], s2, v0
	v_xor_b32_e32 v57, v53, v37
	v_or_b32_e32 v46, 32, v37
	v_cndmask_b32_e64 v0, v42, v43, s[0:1]
	v_or_b32_e32 v42, 0x440, v57
	v_cndmask_b32_e32 v42, v42, v57, vcc
	v_or_b32_e32 v42, v42, v56
	v_xor_b32_e32 v90, v42, v45
	v_xor_b32_e32 v46, v53, v46
	v_add3_u32 v42, v0, v90, v79
	v_or_b32_e32 v47, 0x440, v46
	s_waitcnt lgkmcnt(0)
	s_barrier
	ds_read_b64 v[42:43], v42
	v_cndmask_b32_e32 v46, v47, v46, vcc
	v_or_b32_e32 v46, v46, v56
	v_xor_b32_e32 v91, v46, v45
	v_add3_u32 v46, v0, v91, v79
	ds_read_b64 v[54:55], v46
	ds_read2_b64 v[38:41], v34 offset1:16
	ds_read2_b64 v[46:49], v34 offset0:32 offset1:48
	v_or_b32_e32 v37, 0x60, v37
	v_xor_b32_e32 v37, v53, v37
	s_waitcnt lgkmcnt(1)
	v_mfma_f32_16x16x16_bf16 a[0:3], v[42:43], v[38:39], 0
	s_mul_i32 s0, s17, s29
	ds_read2st64_b64 v[58:61], v34 offset0:4 offset1:8
	s_mul_hi_i32 s1, s17, s29
	v_mfma_f32_16x16x16_bf16 a[4:7], v[42:43], v[40:41], 0
	ds_read2st64_b64 v[62:65], v35 offset0:4 offset1:8
	s_add_u32 s0, s0, s33
	ds_read2st64_b64 v[66:69], v36 offset0:4 offset1:8
	s_waitcnt lgkmcnt(3)
	v_mfma_f32_16x16x16_bf16 a[8:11], v[42:43], v[46:47], 0
	ds_read2st64_b64 v[70:73], v44 offset0:4 offset1:8
	s_addc_u32 s1, s1, s48
	s_lshl_b64 s[0:1], s[0:1], 9
	v_mfma_f32_16x16x16_bf16 a[12:15], v[42:43], v[48:49], 0
	v_or3_b32 v42, v56, v51, v57
	v_xor_b32_e32 v51, 0x440, v37
	v_cndmask_b32_e32 v37, v51, v37, vcc
	v_xor_b32_e32 v42, v42, v45
	v_or_b32_e32 v37, v37, v56
	v_or_b32_e32 v92, v42, v79
	v_xor_b32_e32 v93, v37, v45
	v_or_b32_e32 v42, v0, v92
	v_add3_u32 v0, v0, v93, v79
	s_add_u32 s0, s8, s0
	ds_read_b64 v[42:43], v42
	ds_read_b64 v[56:57], v0
	s_addc_u32 s1, s9, s1
	v_lshlrev_b32_e32 v0, 2, v52
	s_waitcnt lgkmcnt(5)
	v_mfma_f32_16x16x16_bf16 a[0:3], v[54:55], v[58:59], a[0:3]
	s_waitcnt lgkmcnt(4)
	v_mfma_f32_16x16x16_bf16 a[4:7], v[54:55], v[62:63], a[4:7]
	;; [unrolled: 2-line block ×4, first 2 shown]
	global_load_dwordx4 v[52:55], v0, s[0:1]
	v_lshlrev_b32_e32 v0, 6, v1
	v_lshlrev_b32_e32 v1, 2, v50
	v_or3_b32 v0, v0, v1, s2
	global_load_dwordx4 v[74:77], v0, s[0:1]
	s_waitcnt lgkmcnt(1)
	v_mfma_f32_16x16x16_bf16 a[0:3], v[42:43], v[60:61], a[0:3]
	v_exp_f32_e32 v0, s16
	s_waitcnt vmcnt(1)
	v_exp_f32_e32 v37, v55
	v_mfma_f32_16x16x16_bf16 a[4:7], v[42:43], v[64:65], a[4:7]
	v_mfma_f32_16x16x16_bf16 a[8:11], v[42:43], v[68:69], a[8:11]
	v_mfma_f32_16x16x16_bf16 a[12:15], v[42:43], v[72:73], a[12:15]
	ds_read_b64 v[42:43], v34 offset:6144
	ds_read_b64 v[50:51], v35 offset:6144
	ds_read_b64 v[88:89], v36 offset:6144
	ds_read_b64 v[44:45], v44 offset:6144
	v_exp_f32_e32 v34, v52
	v_exp_f32_e32 v35, v53
	;; [unrolled: 1-line block ×3, first 2 shown]
	s_waitcnt lgkmcnt(3)
	v_mfma_f32_16x16x16_bf16 a[0:3], v[56:57], v[42:43], a[0:3]
	v_pk_mul_f32 v[34:35], v[0:1], v[34:35] op_sel_hi:[0,1]
	v_add_u32_e32 v1, v90, v79
	ds_read_b64 v[52:53], v1 offset:40960
	s_waitcnt lgkmcnt(3)
	v_mfma_f32_16x16x16_bf16 a[4:7], v[56:57], v[50:51], a[4:7]
	v_pk_mul_f32 v[36:37], v[0:1], v[36:37] op_sel_hi:[0,1]
	v_add_u32_e32 v1, v91, v79
	v_pk_mul_f32 v[22:23], v[22:23], v[34:35]
	s_waitcnt lgkmcnt(2)
	v_mfma_f32_16x16x16_bf16 a[8:11], v[56:57], v[88:89], a[8:11]
	v_pk_mul_f32 v[24:25], v[24:25], v[36:37]
	v_pk_mul_f32 v[18:19], v[34:35], v[18:19]
	;; [unrolled: 1-line block ×3, first 2 shown]
	s_waitcnt lgkmcnt(1)
	v_mfma_f32_16x16x16_bf16 a[12:15], v[56:57], v[44:45], a[12:15]
	v_add_u32_e32 v56, v93, v79
	ds_read_b64 v[54:55], v1 offset:40960
	ds_read_b64 v[56:57], v56 offset:40960
	v_accvgpr_read_b32 v1, a0
	s_waitcnt lgkmcnt(2)
	v_mfma_f32_16x16x16_bf16 a[20:23], v[52:53], v[40:41], 0
	ds_read_b64 v[40:41], v92 offset:40960
	v_add_f32_e32 v22, v22, v1
	v_accvgpr_read_b32 v1, a1
	v_mfma_f32_16x16x16_bf16 a[16:19], v[52:53], v[38:39], 0
	v_add_f32_e32 v23, v23, v1
	v_accvgpr_read_b32 v1, a2
	v_add_f32_e32 v24, v24, v1
	v_accvgpr_read_b32 v1, a3
	s_waitcnt lgkmcnt(2)
	v_mfma_f32_16x16x16_bf16 a[0:3], v[54:55], v[58:59], a[16:19]
	v_add_f32_e32 v25, v25, v1
	v_accvgpr_read_b32 v1, a4
	v_accvgpr_read_b32 v39, a15
	v_accvgpr_read_b32 v38, a14
	v_mfma_f32_16x16x16_bf16 a[24:27], v[52:53], v[46:47], 0
	v_add_f32_e32 v18, v18, v1
	v_accvgpr_read_b32 v1, a5
	v_accvgpr_read_b32 v47, a13
	v_mfma_f32_16x16x16_bf16 a[14:17], v[54:55], v[62:63], a[20:23]
	v_add_f32_e32 v19, v19, v1
	v_accvgpr_read_b32 v1, a6
	v_accvgpr_read_b32 v46, a12
	s_waitcnt lgkmcnt(0)
	v_mfma_f32_16x16x16_bf16 a[0:3], v[40:41], v[60:61], a[0:3]
	v_pk_mul_f32 v[30:31], v[34:35], v[30:31]
	v_pk_mul_f32 v[32:33], v[36:37], v[32:33]
	v_add_f32_e32 v20, v20, v1
	v_accvgpr_read_b32 v1, a7
	v_pk_fma_f32 v[6:7], v[34:35], v[6:7], v[46:47]
	v_pk_fma_f32 v[8:9], v[36:37], v[8:9], v[38:39]
	s_waitcnt vmcnt(0)
	v_mov_b32_e32 v34, v75
	v_add_f32_e32 v21, v21, v1
	v_accvgpr_read_b32 v1, a8
	v_exp_f32_e32 v38, v74
	v_exp_f32_e32 v39, v34
	v_mfma_f32_16x16x16_bf16 a[28:31], v[52:53], v[48:49], 0
	v_add_f32_e32 v30, v30, v1
	v_accvgpr_read_b32 v1, a9
	v_mov_b32_e32 v35, v76
	v_mfma_f32_16x16x16_bf16 a[18:21], v[54:55], v[66:67], a[24:27]
	v_mov_b32_e32 v36, v77
	v_add_f32_e32 v31, v31, v1
	v_accvgpr_read_b32 v1, a10
	v_mfma_f32_16x16x16_bf16 a[14:17], v[40:41], v[64:65], a[14:17]
	v_exp_f32_e32 v34, v35
	v_exp_f32_e32 v35, v36
	v_add_f32_e32 v32, v32, v1
	v_mfma_f32_16x16x16_bf16 a[0:3], v[56:57], v[42:43], a[0:3]
	v_accvgpr_read_b32 v1, a11
	v_pk_mul_f32 v[36:37], v[0:1], v[38:39] op_sel_hi:[0,1]
	v_pk_mul_f32 v[10:11], v[10:11], v[36:37]
	v_mfma_f32_16x16x16_bf16 a[4:7], v[54:55], v[70:71], a[28:31]
	v_add_f32_e32 v33, v33, v1
	v_pk_mul_f32 v[0:1], v[0:1], v[34:35] op_sel_hi:[0,1]
	v_pk_mul_f32 v[12:13], v[12:13], v[0:1]
	v_mfma_f32_16x16x16_bf16 a[8:11], v[40:41], v[68:69], a[18:21]
	v_accvgpr_read_b32 v38, a0
	v_add_f32_e32 v10, v10, v38
	v_accvgpr_read_b32 v38, a1
	v_mfma_f32_16x16x16_bf16 a[12:15], v[56:57], v[50:51], a[14:17]
	v_add_f32_e32 v11, v11, v38
	v_accvgpr_read_b32 v38, a2
	v_add_f32_e32 v12, v12, v38
	v_accvgpr_read_b32 v38, a3
	v_mfma_f32_16x16x16_bf16 a[4:7], v[40:41], v[72:73], a[4:7]
	v_pk_mul_f32 v[14:15], v[36:37], v[14:15]
	v_add_f32_e32 v13, v13, v38
	v_accvgpr_read_b32 v38, a12
	v_mfma_f32_16x16x16_bf16 a[8:11], v[56:57], v[88:89], a[8:11]
	v_add_f32_e32 v14, v14, v38
	v_accvgpr_read_b32 v38, a13
	v_pk_mul_f32 v[16:17], v[0:1], v[16:17]
	v_add_f32_e32 v15, v15, v38
	v_accvgpr_read_b32 v38, a14
	v_add_f32_e32 v16, v16, v38
	v_accvgpr_read_b32 v38, a15
	v_pk_mul_f32 v[26:27], v[36:37], v[26:27]
	v_mfma_f32_16x16x16_bf16 a[4:7], v[56:57], v[44:45], a[4:7]
	v_add_f32_e32 v17, v17, v38
	v_accvgpr_read_b32 v38, a8
	v_add_f32_e32 v26, v26, v38
	v_accvgpr_read_b32 v38, a9
	v_pk_mul_f32 v[28:29], v[0:1], v[28:29]
	v_add_f32_e32 v27, v27, v38
	v_accvgpr_read_b32 v38, a10
	v_add_f32_e32 v28, v28, v38
	v_accvgpr_read_b32 v38, a11
	;; [unrolled: 2-line block ×3, first 2 shown]
	v_accvgpr_read_b32 v35, a7
	v_accvgpr_read_b32 v34, a6
	;; [unrolled: 1-line block ×3, first 2 shown]
	v_pk_fma_f32 v[2:3], v[36:37], v[2:3], v[38:39]
	v_pk_fma_f32 v[4:5], v[0:1], v[4:5], v[34:35]
.LBB145_99:
	s_add_u32 s0, s24, s26
	s_addc_u32 s1, s25, s27
	v_lshl_add_u64 v[0:1], v[80:81], 2, s[0:1]
	v_mov_b32_e32 v79, 0
	v_lshl_add_u64 v[0:1], v[0:1], 0, v[78:79]
	s_waitcnt vmcnt(7)
	global_store_dwordx4 v[0:1], v[22:25], off
	s_waitcnt vmcnt(7)
	global_store_dwordx4 v[0:1], v[10:13], off offset:256
	v_lshl_add_u64 v[0:1], v[82:83], 2, s[0:1]
	v_lshl_add_u64 v[0:1], v[0:1], 0, v[78:79]
	s_waitcnt vmcnt(7)
	global_store_dwordx4 v[0:1], v[18:21], off
	s_waitcnt vmcnt(7)
	global_store_dwordx4 v[0:1], v[14:17], off offset:256
	v_lshl_add_u64 v[0:1], v[86:87], 2, s[0:1]
	;; [unrolled: 6-line block ×3, first 2 shown]
	v_lshl_add_u64 v[0:1], v[0:1], 0, v[78:79]
	s_waitcnt vmcnt(7)
	global_store_dwordx4 v[0:1], v[6:9], off
	s_waitcnt vmcnt(7)
	global_store_dwordx4 v[0:1], v[2:5], off offset:256
	s_endpgm
	.section	.rodata,"a",@progbits
	.p2align	6, 0x0
	.amdhsa_kernel _ZN12_GLOBAL__N_139chunk_gated_delta_rule_fwd_h_hip_kernelILi64ELb1ELb1ELb1ELb1ELb1ELb1ELb0ELb0EEEvPK12hip_bfloat16S3_S3_PKfS5_PKvPS1_S8_PvPKiSB_iiiiilll
		.amdhsa_group_segment_fixed_size 65536
		.amdhsa_private_segment_fixed_size 0
		.amdhsa_kernarg_size 136
		.amdhsa_user_sgpr_count 2
		.amdhsa_user_sgpr_dispatch_ptr 0
		.amdhsa_user_sgpr_queue_ptr 0
		.amdhsa_user_sgpr_kernarg_segment_ptr 1
		.amdhsa_user_sgpr_dispatch_id 0
		.amdhsa_user_sgpr_kernarg_preload_length 0
		.amdhsa_user_sgpr_kernarg_preload_offset 0
		.amdhsa_user_sgpr_private_segment_size 0
		.amdhsa_uses_dynamic_stack 0
		.amdhsa_enable_private_segment 0
		.amdhsa_system_sgpr_workgroup_id_x 1
		.amdhsa_system_sgpr_workgroup_id_y 1
		.amdhsa_system_sgpr_workgroup_id_z 0
		.amdhsa_system_sgpr_workgroup_info 0
		.amdhsa_system_vgpr_workitem_id 0
		.amdhsa_next_free_vgpr 240
		.amdhsa_next_free_sgpr 69
		.amdhsa_accum_offset 200
		.amdhsa_reserve_vcc 1
		.amdhsa_float_round_mode_32 0
		.amdhsa_float_round_mode_16_64 0
		.amdhsa_float_denorm_mode_32 3
		.amdhsa_float_denorm_mode_16_64 3
		.amdhsa_dx10_clamp 1
		.amdhsa_ieee_mode 1
		.amdhsa_fp16_overflow 0
		.amdhsa_tg_split 0
		.amdhsa_exception_fp_ieee_invalid_op 0
		.amdhsa_exception_fp_denorm_src 0
		.amdhsa_exception_fp_ieee_div_zero 0
		.amdhsa_exception_fp_ieee_overflow 0
		.amdhsa_exception_fp_ieee_underflow 0
		.amdhsa_exception_fp_ieee_inexact 0
		.amdhsa_exception_int_div_zero 0
	.end_amdhsa_kernel
	.section	.text._ZN12_GLOBAL__N_139chunk_gated_delta_rule_fwd_h_hip_kernelILi64ELb1ELb1ELb1ELb1ELb1ELb1ELb0ELb0EEEvPK12hip_bfloat16S3_S3_PKfS5_PKvPS1_S8_PvPKiSB_iiiiilll,"axG",@progbits,_ZN12_GLOBAL__N_139chunk_gated_delta_rule_fwd_h_hip_kernelILi64ELb1ELb1ELb1ELb1ELb1ELb1ELb0ELb0EEEvPK12hip_bfloat16S3_S3_PKfS5_PKvPS1_S8_PvPKiSB_iiiiilll,comdat
.Lfunc_end145:
	.size	_ZN12_GLOBAL__N_139chunk_gated_delta_rule_fwd_h_hip_kernelILi64ELb1ELb1ELb1ELb1ELb1ELb1ELb0ELb0EEEvPK12hip_bfloat16S3_S3_PKfS5_PKvPS1_S8_PvPKiSB_iiiiilll, .Lfunc_end145-_ZN12_GLOBAL__N_139chunk_gated_delta_rule_fwd_h_hip_kernelILi64ELb1ELb1ELb1ELb1ELb1ELb1ELb0ELb0EEEvPK12hip_bfloat16S3_S3_PKfS5_PKvPS1_S8_PvPKiSB_iiiiilll
                                        ; -- End function
	.section	.AMDGPU.csdata,"",@progbits
; Kernel info:
; codeLenInByte = 12788
; NumSgprs: 75
; NumVgprs: 200
; NumAgprs: 40
; TotalNumVgprs: 240
; ScratchSize: 0
; MemoryBound: 0
; FloatMode: 240
; IeeeMode: 1
; LDSByteSize: 65536 bytes/workgroup (compile time only)
; SGPRBlocks: 9
; VGPRBlocks: 29
; NumSGPRsForWavesPerEU: 75
; NumVGPRsForWavesPerEU: 240
; AccumOffset: 200
; Occupancy: 1
; WaveLimiterHint : 1
; COMPUTE_PGM_RSRC2:SCRATCH_EN: 0
; COMPUTE_PGM_RSRC2:USER_SGPR: 2
; COMPUTE_PGM_RSRC2:TRAP_HANDLER: 0
; COMPUTE_PGM_RSRC2:TGID_X_EN: 1
; COMPUTE_PGM_RSRC2:TGID_Y_EN: 1
; COMPUTE_PGM_RSRC2:TGID_Z_EN: 0
; COMPUTE_PGM_RSRC2:TIDIG_COMP_CNT: 0
; COMPUTE_PGM_RSRC3_GFX90A:ACCUM_OFFSET: 49
; COMPUTE_PGM_RSRC3_GFX90A:TG_SPLIT: 0
	.section	.text._ZN12_GLOBAL__N_139chunk_gated_delta_rule_fwd_h_hip_kernelILi64ELb1ELb1ELb0ELb1ELb1ELb1ELb0ELb0EEEvPK12hip_bfloat16S3_S3_PKfS5_PKvPS1_S8_PvPKiSB_iiiiilll,"axG",@progbits,_ZN12_GLOBAL__N_139chunk_gated_delta_rule_fwd_h_hip_kernelILi64ELb1ELb1ELb0ELb1ELb1ELb1ELb0ELb0EEEvPK12hip_bfloat16S3_S3_PKfS5_PKvPS1_S8_PvPKiSB_iiiiilll,comdat
	.globl	_ZN12_GLOBAL__N_139chunk_gated_delta_rule_fwd_h_hip_kernelILi64ELb1ELb1ELb0ELb1ELb1ELb1ELb0ELb0EEEvPK12hip_bfloat16S3_S3_PKfS5_PKvPS1_S8_PvPKiSB_iiiiilll ; -- Begin function _ZN12_GLOBAL__N_139chunk_gated_delta_rule_fwd_h_hip_kernelILi64ELb1ELb1ELb0ELb1ELb1ELb1ELb0ELb0EEEvPK12hip_bfloat16S3_S3_PKfS5_PKvPS1_S8_PvPKiSB_iiiiilll
	.p2align	8
	.type	_ZN12_GLOBAL__N_139chunk_gated_delta_rule_fwd_h_hip_kernelILi64ELb1ELb1ELb0ELb1ELb1ELb1ELb0ELb0EEEvPK12hip_bfloat16S3_S3_PKfS5_PKvPS1_S8_PvPKiSB_iiiiilll,@function
_ZN12_GLOBAL__N_139chunk_gated_delta_rule_fwd_h_hip_kernelILi64ELb1ELb1ELb0ELb1ELb1ELb1ELb0ELb0EEEvPK12hip_bfloat16S3_S3_PKfS5_PKvPS1_S8_PvPKiSB_iiiiilll: ; @_ZN12_GLOBAL__N_139chunk_gated_delta_rule_fwd_h_hip_kernelILi64ELb1ELb1ELb0ELb1ELb1ELb1ELb0ELb0EEEvPK12hip_bfloat16S3_S3_PKfS5_PKvPS1_S8_PvPKiSB_iiiiilll
; %bb.0:
	s_load_dwordx4 s[16:19], s[0:1], 0x5c
	s_load_dwordx4 s[24:27], s[0:1], 0x70
	s_abs_i32 s7, s3
	s_ashr_i32 s6, s3, 31
	s_load_dwordx4 s[12:15], s[0:1], 0x40
	s_load_dwordx2 s[4:5], s[0:1], 0x50
	s_waitcnt lgkmcnt(0)
	s_abs_i32 s10, s17
	v_cvt_f32_u32_e32 v1, s10
	s_sub_i32 s8, 0, s10
	s_ashr_i32 s11, s17, 31
	s_xor_b32 s6, s6, s11
	v_rcp_iflag_f32_e32 v1, v1
	v_and_b32_e32 v97, 15, v0
	v_bfe_u32 v96, v0, 4, 2
	v_mov_b32_e32 v79, 0
	v_mul_f32_e32 v1, 0x4f7ffffe, v1
	v_cvt_u32_f32_e32 v1, v1
	v_lshlrev_b32_e32 v98, 3, v0
	v_readfirstlane_b32 s9, v1
	s_mul_i32 s8, s8, s9
	s_mul_hi_u32 s8, s9, s8
	s_add_i32 s9, s9, s8
	s_mul_hi_u32 s8, s7, s9
	s_mul_i32 s9, s8, s10
	s_sub_i32 s7, s7, s9
	s_add_i32 s20, s8, 1
	s_sub_i32 s9, s7, s10
	s_cmp_ge_u32 s7, s10
	s_cselect_b32 s8, s20, s8
	s_cselect_b32 s7, s9, s7
	s_add_i32 s9, s8, 1
	s_cmp_ge_u32 s7, s10
	s_cselect_b32 s7, s9, s8
	s_xor_b32 s7, s7, s6
	s_sub_i32 s28, s7, s6
	s_mul_i32 s36, s28, s17
	s_ashr_i32 s29, s28, 31
	s_sub_i32 s33, s3, s36
	s_lshl_b64 s[6:7], s[28:29], 2
	s_add_u32 s8, s14, s6
	s_addc_u32 s9, s15, s7
	s_add_u32 s30, s4, s6
	s_addc_u32 s31, s5, s7
	s_abs_i32 s3, s18
	v_cvt_f32_u32_e32 v1, s3
	s_load_dwordx2 s[34:35], s[8:9], 0x0
	s_sub_i32 s5, 0, s3
	s_lshl_b32 s2, s2, 6
	v_rcp_iflag_f32_e32 v1, v1
	s_load_dwordx4 s[20:23], s[0:1], 0x20
	s_load_dwordx2 s[40:41], s[0:1], 0x30
	s_waitcnt lgkmcnt(0)
	s_sub_i32 s54, s35, s34
	s_ashr_i32 s4, s54, 31
	v_mul_f32_e32 v1, 0x4f7ffffe, v1
	v_cvt_u32_f32_e32 v1, v1
	s_lshr_b32 s4, s4, 26
	s_add_i32 s4, s54, s4
	s_ashr_i32 s53, s4, 6
	v_readfirstlane_b32 s6, v1
	s_mul_i32 s5, s5, s6
	s_mul_hi_u32 s5, s6, s5
	s_add_i32 s6, s6, s5
	s_mul_hi_u32 s5, s10, s6
	s_mul_i32 s6, s5, s3
	s_ashr_i32 s4, s18, 31
	s_sub_i32 s6, s10, s6
	s_xor_b32 s4, s11, s4
	s_add_i32 s7, s5, 1
	s_sub_i32 s8, s6, s3
	s_cmp_ge_u32 s6, s3
	s_cselect_b32 s5, s7, s5
	s_cselect_b32 s6, s8, s6
	s_add_i32 s7, s5, 1
	s_cmp_ge_u32 s6, s3
	s_cselect_b32 s3, s7, s5
	s_xor_b32 s3, s3, s4
	s_sub_i32 s3, s3, s4
	s_abs_i32 s4, s3
	v_cvt_f32_u32_e32 v1, s4
	s_sub_i32 s6, 0, s4
	s_abs_i32 s5, s33
	s_xor_b32 s3, s33, s3
	v_rcp_iflag_f32_e32 v2, v1
	s_ashr_i32 s3, s3, 31
	v_lshrrev_b32_e32 v1, 6, v0
	v_or_b32_e32 v88, s2, v97
	v_mul_f32_e32 v2, 0x4f7ffffe, v2
	v_cvt_u32_f32_e32 v2, v2
	v_lshlrev_b32_e32 v77, 4, v1
	v_lshlrev_b32_e32 v80, 7, v88
	v_lshl_or_b32 v100, v96, 2, v77
	v_readfirstlane_b32 s7, v2
	s_mul_i32 s6, s6, s7
	s_mul_hi_u32 s6, s7, s6
	s_add_i32 s7, s7, s6
	s_mul_hi_u32 s6, s5, s7
	s_mul_i32 s7, s6, s4
	s_sub_i32 s5, s5, s7
	s_add_i32 s7, s6, 1
	s_sub_i32 s8, s5, s4
	s_cmp_ge_u32 s5, s4
	s_cselect_b32 s6, s7, s6
	s_cselect_b32 s5, s8, s5
	s_add_i32 s7, s6, 1
	s_cmp_ge_u32 s5, s4
	s_cselect_b32 s4, s7, s6
	s_xor_b32 s4, s4, s3
	s_sub_i32 s55, s4, s3
	s_ashr_i32 s46, s33, 31
	s_mul_hi_i32 s3, s28, s17
	s_add_u32 s4, s36, s33
	s_addc_u32 s5, s3, s46
	s_lshl_b64 s[14:15], s[4:5], 16
	s_add_u32 s4, s22, s14
	s_addc_u32 s5, s23, s15
	v_ashrrev_i32_e32 v81, 31, v80
	v_lshl_add_u64 v[2:3], v[80:81], 2, s[4:5]
	v_lshlrev_b32_e32 v78, 2, v100
	v_or_b32_e32 v82, 0x800, v80
	v_lshl_add_u64 v[2:3], v[2:3], 0, v[78:79]
	v_ashrrev_i32_e32 v83, 31, v82
	global_load_dwordx4 v[22:25], v[2:3], off
	global_load_dwordx4 v[10:13], v[2:3], off offset:256
	v_lshl_add_u64 v[2:3], v[82:83], 2, s[4:5]
	v_or_b32_e32 v86, 0x1000, v80
	v_lshl_add_u64 v[2:3], v[2:3], 0, v[78:79]
	v_ashrrev_i32_e32 v87, 31, v86
	global_load_dwordx4 v[18:21], v[2:3], off
	global_load_dwordx4 v[14:17], v[2:3], off offset:256
	v_lshl_add_u64 v[2:3], v[86:87], 2, s[4:5]
	;; [unrolled: 6-line block ×3, first 2 shown]
	v_lshl_add_u64 v[34:35], v[2:3], 0, v[78:79]
	global_load_dwordx4 v[6:9], v[34:35], off
	global_load_dwordx4 v[2:5], v[34:35], off offset:256
	s_load_dwordx8 s[4:11], s[0:1], 0x0
	s_load_dwordx2 s[22:23], s[0:1], 0x80
	s_load_dword s56, s[30:31], 0x0
	v_and_b32_e32 v79, 63, v0
	v_or_b32_e32 v101, 64, v100
	s_cmp_lt_i32 s54, 64
	s_mul_hi_i32 s57, s33, s16
	s_mul_i32 s58, s33, s16
	v_lshrrev_b32_e32 v99, 3, v79
	s_mul_i32 s47, s28, s25
	s_mul_hi_u32 s49, s28, s24
	s_mul_i32 s48, s29, s24
	s_mul_i32 s38, s28, s24
	;; [unrolled: 1-line block ×3, first 2 shown]
	s_mul_hi_u32 s51, s33, s26
	s_mul_i32 s52, s46, s26
	s_mul_i32 s36, s33, s26
	s_cbranch_scc1 .LBB146_18
; %bb.1:
	s_ashr_i32 s1, s34, 31
	s_add_u32 s0, s58, s34
	s_addc_u32 s1, s57, s1
	s_lshl_b64 s[0:1], s[0:1], 8
	v_and_b32_e32 v103, 56, v98
	s_waitcnt lgkmcnt(0)
	s_add_u32 s24, s6, s0
	v_lshl_or_b32 v102, v1, 3, v99
	v_lshlrev_b32_e32 v34, 1, v103
	s_addc_u32 s0, s7, s1
	v_lshl_or_b32 v104, v102, 8, v34
	s_and_b32 s25, s0, 0xffff
	s_mov_b32 s27, 0x20000
	s_movk_i32 s26, 0x4000
	s_movk_i32 s0, 0x80
	v_or_b32_e32 v105, 0x2000, v104
	buffer_load_dwordx4 v[36:39], v104, s[24:27], 0 offen
	buffer_load_dwordx4 v[40:43], v104, s[24:27], s0 offen
	;; [unrolled: 1-line block ×4, first 2 shown]
	v_lshlrev_b32_e32 v35, 3, v102
	v_and_or_b32 v53, v0, 7, v35
	v_and_b32_e32 v35, 0x78, v35
	v_lshlrev_b32_e32 v53, 4, v53
	v_xor_b32_e32 v106, v53, v35
	v_mul_lo_u32 v52, v102, s19
	v_or_b32_e32 v107, 0x1000, v106
	v_xor_b32_e32 v35, 8, v106
	s_cmpk_eq_i32 s19, 0x80
	s_mov_b32 s59, s34
	v_xor_b32_e32 v53, 8, v107
	s_cselect_b64 s[0:1], -1, 0
	s_cmpk_lg_i32 s19, 0x80
	s_waitcnt vmcnt(3)
	ds_write_b64 v106, v[36:37] offset:49152
	ds_write_b64 v35, v[38:39] offset:49152
	s_waitcnt vmcnt(2)
	ds_write_b64 v106, v[40:41] offset:57344
	ds_write_b64 v35, v[42:43] offset:57344
	;; [unrolled: 3-line block ×4, first 2 shown]
	v_lshl_add_u32 v35, v52, 1, v103
	s_cbranch_scc0 .LBB146_3
; %bb.2:
	v_lshlrev_b32_e32 v37, 1, v35
	v_add_lshl_u32 v36, v35, s19, 1
	s_lshl_b32 s26, s19, 7
	v_lshl_or_b32 v34, v102, 9, v34
	s_cbranch_execz .LBB146_4
	s_branch .LBB146_5
.LBB146_3:
                                        ; implicit-def: $vgpr36
                                        ; implicit-def: $vgpr37
                                        ; implicit-def: $sgpr26
	v_lshl_or_b32 v34, v102, 9, v34
.LBB146_4:
	v_or_b32_e32 v36, 0x100, v34
	s_movk_i32 s26, 0x4000
	v_mov_b32_e32 v37, v34
.LBB146_5:
	s_mul_i32 s24, s34, s18
	s_ashr_i32 s60, s55, 31
	s_mul_hi_i32 s3, s34, s18
	s_add_u32 s24, s24, s55
	s_addc_u32 s25, s3, s60
	s_lshl_b64 s[24:25], s[24:25], 8
	s_add_u32 s24, s4, s24
	s_addc_u32 s3, s5, s25
	s_and_b32 s25, s3, 0xffff
	s_movk_i32 s61, 0x80
	buffer_load_dwordx4 v[38:41], v37, s[24:27], 0 offen
	buffer_load_dwordx4 v[42:45], v37, s[24:27], s61 offen
	;; [unrolled: 1-line block ×4, first 2 shown]
	v_and_b32_e32 v37, 6, v0
	v_lshlrev_b32_e32 v36, 7, v100
	v_xor_b32_e32 v59, v102, v37
	v_and_b32_e32 v54, 1, v0
	v_lshl_or_b32 v62, v97, 3, v36
	v_lshlrev_b32_e32 v59, 2, v59
	v_lshlrev_b32_e32 v55, 2, v97
	v_or_b32_e32 v108, 0x4000, v62
	v_or_b32_e32 v109, 0x6000, v62
	v_xor_b32_e32 v62, 0x440, v59
	v_cmp_eq_u32_e32 vcc, 0, v54
	v_or_b32_e32 v57, 16, v97
	v_or_b32_e32 v58, 32, v97
	v_xor_b32_e32 v60, v100, v55
	v_xor_b32_e32 v61, v101, v55
	v_cndmask_b32_e32 v54, v62, v59, vcc
	s_mov_b32 s62, 0x1000504
	v_lshl_or_b32 v63, v57, 3, v36
	v_lshlrev_b32_e32 v57, 8, v57
	v_lshl_or_b32 v64, v58, 3, v36
	v_lshlrev_b32_e32 v60, 1, v60
	v_lshlrev_b32_e32 v61, 1, v61
	v_lshl_or_b32 v37, v37, 10, v54
	s_add_i32 s3, s49, s47
	s_mov_b32 s63, 0x3020706
	v_lshlrev_b32_e32 v56, 8, v97
	v_or_b32_e32 v112, 0x4000, v64
	v_or_b32_e32 v113, 0x6000, v64
	;; [unrolled: 1-line block ×4, first 2 shown]
	v_xor_b32_e32 v54, 8, v37
	v_xor_b32_e32 v57, 24, v37
	;; [unrolled: 1-line block ×4, first 2 shown]
	s_add_i32 s39, s3, s48
	s_add_i32 s3, s51, s50
	v_or_b32_e32 v110, 0x4000, v63
	v_or_b32_e32 v111, 0x6000, v63
	;; [unrolled: 1-line block ×4, first 2 shown]
	v_xor_b32_e32 v56, 16, v37
	v_xor_b32_e32 v59, 32, v37
	;; [unrolled: 1-line block ×3, first 2 shown]
	v_add_u32_e32 v54, 0x80, v54
	v_add_u32_e32 v57, 0x80, v57
	;; [unrolled: 1-line block ×4, first 2 shown]
	s_add_i32 s37, s3, s52
	s_lshl_b64 s[24:25], s[38:39], 2
	s_add_u32 s3, s10, s24
	s_addc_u32 s28, s11, s25
	s_lshl_b64 s[24:25], s[36:37], 2
	s_add_u32 s42, s3, s24
	s_movk_i32 s3, 0xf8
	s_addc_u32 s43, s28, s25
	s_lshl_b32 s30, s19, 7
	s_movk_i32 s28, 0x100
	v_mov_b32_e32 v91, 0
	v_lshlrev_b32_e32 v90, 4, v97
	v_lshlrev_b32_e32 v58, 8, v58
	v_ashrrev_i32_e32 v89, 31, v88
	s_mov_b32 s64, 0
	s_movk_i32 s26, 0x4000
	v_or_b32_e32 v118, v58, v60
	v_or_b32_e32 v119, v58, v61
	v_lshl_add_u64 v[92:93], v[88:89], 1, s[8:9]
	s_movk_i32 s37, 0x2000
	s_movk_i32 s39, 0x3000
	s_waitcnt vmcnt(1)
	v_perm_b32 v65, v38, v46, s62
	s_waitcnt vmcnt(0)
	v_perm_b32 v66, v42, v50, s62
	v_perm_b32 v38, v38, v46, s63
	;; [unrolled: 1-line block ×15, first 2 shown]
	ds_write2st64_b32 v37, v65, v66 offset0:128 offset1:160
	ds_write2st64_b32 v54, v38, v42 offset0:128 offset1:160
	ds_write2st64_b32 v56, v46, v50 offset0:129 offset1:161
	ds_write2st64_b32 v57, v39, v43 offset0:129 offset1:161
	ds_write2st64_b32 v59, v47, v51 offset0:130 offset1:162
	ds_write2st64_b32 v62, v40, v44 offset0:130 offset1:162
	ds_write2st64_b32 v63, v48, v52 offset0:131 offset1:163
	ds_write2st64_b32 v64, v41, v45 offset0:131 offset1:163
	v_or_b32_e32 v37, 48, v97
	v_lshl_or_b32 v38, v37, 3, v36
	v_lshlrev_b32_e32 v37, 8, v37
	v_or_b32_e32 v122, v37, v60
	v_or_b32_e32 v123, v37, v61
	;; [unrolled: 1-line block ×3, first 2 shown]
	v_lshlrev_b32_e32 v37, 3, v37
	v_lshrrev_b32_e32 v39, 5, v79
	v_and_or_b32 v39, v37, s3, v39
	v_lshlrev_b32_e32 v39, 4, v39
	v_or_b32_e32 v120, 0x4000, v38
	v_or_b32_e32 v121, 0x6000, v38
	v_lshrrev_b32_e32 v38, 2, v79
	v_lshlrev_b32_e32 v41, 11, v1
	v_and_b32_e32 v37, 0x78, v37
	v_or_b32_e32 v45, 32, v39
	v_and_b32_e32 v40, 12, v38
	v_and_b32_e32 v38, 0x1000, v41
	v_lshrrev_b32_e32 v43, 1, v79
	v_xor_b32_e32 v45, v45, v37
	v_xor_b32_e32 v42, v39, v37
	v_and_b32_e32 v43, 8, v43
	v_or_b32_e32 v45, v45, v38
	v_or_b32_e32 v42, v42, v38
	v_xor_b32_e32 v126, v45, v43
	v_or_b32_e32 v45, 64, v39
	v_or_b32_e32 v39, 0x60, v39
	v_xor_b32_e32 v124, v42, v43
	v_lshlrev_b32_e32 v42, 8, v96
	v_xor_b32_e32 v45, v45, v37
	v_xor_b32_e32 v37, v39, v37
	s_ashr_i32 s3, s2, 31
	v_or_b32_e32 v44, v42, v55
	v_or_b32_e32 v45, v45, v38
	v_or_b32_e32 v37, v37, v38
	s_lshl_b64 s[24:25], s[2:3], 8
	v_lshlrev_b32_e32 v47, 2, v0
	v_lshlrev_b32_e32 v44, 1, v44
	v_xor_b32_e32 v130, v45, v43
	v_xor_b32_e32 v131, v37, v43
	v_lshlrev_b32_e32 v37, 1, v35
	v_add_lshl_u32 v35, v35, s19, 1
	v_or_b32_e32 v43, 0x100, v34
	s_add_u32 s24, s40, s24
	v_lshlrev_b32_e32 v38, 1, v97
	v_lshrrev_b32_e32 v48, 1, v0
	v_and_or_b32 v42, v47, 60, v42
	v_or_b32_e32 v125, 0x4000, v44
	v_or_b32_e32 v127, 0x4080, v44
	;; [unrolled: 1-line block ×8, first 2 shown]
	v_lshrrev_b32_e32 v44, 4, v0
	s_addc_u32 s25, s41, s25
	v_or_b32_e32 v39, 1, v38
	v_and_b32_e32 v48, 24, v48
	v_lshlrev_b32_e32 v42, 1, v42
	v_cndmask_b32_e64 v142, v37, v34, s[0:1]
	v_cndmask_b32_e64 v143, v35, v43, s[0:1]
	v_mov_b32_e32 v35, 0xa000
	v_mov_b32_e32 v37, 0x8000
	v_cmp_gt_u32_e64 s[0:1], s28, v0
	v_xor_b32_e32 v45, v44, v38
	v_xor_b32_e32 v46, v39, v44
	v_lshl_add_u64 v[38:39], s[24:25], 0, v[90:91]
	v_lshlrev_b32_e32 v90, 8, v44
	v_or_b32_e32 v138, 0x6000, v42
	v_or_b32_e32 v47, 32, v48
	;; [unrolled: 1-line block ×6, first 2 shown]
	v_cndmask_b32_e64 v35, v35, v37, s[0:1]
	v_lshlrev_b32_e32 v37, 3, v1
	v_lshl_or_b32 v136, v45, 3, v90
	v_and_b32_e32 v45, 8, v0
	v_xor_b32_e32 v43, v37, v48
	v_xor_b32_e32 v47, v37, v47
	;; [unrolled: 1-line block ×3, first 2 shown]
	v_mov_b32_e32 v49, 0x400
	v_cmp_eq_u32_e32 vcc, 0, v45
	v_or_b32_e32 v48, 0x440, v43
	v_or_b32_e32 v50, 0x440, v47
	v_xor_b32_e32 v42, 0x440, v37
	v_and_b32_e32 v44, 7, v0
	v_cndmask_b32_e64 v45, v49, 64, vcc
	v_cndmask_b32_e32 v48, v48, v43, vcc
	v_cndmask_b32_e32 v47, v50, v47, vcc
	;; [unrolled: 1-line block ×3, first 2 shown]
	v_lshl_or_b32 v137, v46, 3, v90
	v_lshlrev_b32_e32 v46, 3, v44
	v_or_b32_e32 v48, v48, v41
	v_or_b32_e32 v47, v47, v41
	v_or3_b32 v43, v41, v45, v43
	v_or_b32_e32 v37, v37, v41
	v_lshlrev_b32_e32 v44, 7, v44
	v_xor_b32_e32 v48, v48, v46
	v_xor_b32_e32 v47, v47, v46
	;; [unrolled: 1-line block ×4, first 2 shown]
	v_or_b32_e32 v34, v77, v40
	v_add_u32_e32 v49, v35, v48
	v_add_u32_e32 v50, v35, v47
	v_or_b32_e32 v144, v43, v44
	v_add_u32_e32 v41, v35, v37
	v_or3_b32 v40, v77, v40, 64
	v_add_u32_e32 v42, 0xa000, v48
	v_add_u32_e32 v43, 0xa000, v47
	;; [unrolled: 1-line block ×3, first 2 shown]
	v_lshl_add_u64 v[94:95], v[38:39], 0, v[90:91]
	s_mov_b32 s3, 0x7060302
	v_lshlrev_b32_e32 v90, 1, v36
	v_lshlrev_b32_e32 v89, 2, v34
	v_add_u32_e32 v145, v49, v44
	v_add_u32_e32 v146, v50, v44
	;; [unrolled: 1-line block ×4, first 2 shown]
	v_lshlrev_b32_e32 v149, 2, v40
	v_add_u32_e32 v150, v42, v44
	v_add_u32_e32 v151, v43, v44
	;; [unrolled: 1-line block ×3, first 2 shown]
	s_waitcnt lgkmcnt(0)
	s_barrier
.LBB146_6:                              ; =>This Inner Loop Header: Depth=1
	s_add_i32 s65, s64, 1
	s_cmp_lt_i32 s65, s53
	s_mov_b64 s[28:29], 0
	s_cselect_b64 s[44:45], -1, 0
	s_cmp_ge_i32 s65, s53
	s_mov_b64 s[24:25], 0
	s_cbranch_scc1 .LBB146_8
; %bb.7:                                ;   in Loop: Header=BB146_6 Depth=1
	s_add_i32 s0, s59, 64
	s_ashr_i32 s1, s0, 31
	s_add_u32 s0, s58, s0
	s_addc_u32 s1, s57, s1
	s_lshl_b64 s[0:1], s[0:1], 8
	s_add_u32 s24, s6, s0
	s_addc_u32 s25, s7, s1
.LBB146_8:                              ;   in Loop: Header=BB146_6 Depth=1
	v_cndmask_b32_e64 v34, 0, 1, s[44:45]
	v_cmp_ne_u32_e64 s[0:1], 1, v34
	s_andn2_b64 vcc, exec, s[44:45]
	s_cbranch_vccnz .LBB146_10
; %bb.9:                                ;   in Loop: Header=BB146_6 Depth=1
	s_add_i32 s28, s59, 64
	s_mul_hi_i32 s29, s28, s18
	s_mul_i32 s28, s28, s18
	s_add_u32 s28, s28, s55
	s_addc_u32 s29, s29, s60
	s_lshl_b64 s[28:29], s[28:29], 8
	s_add_u32 s28, s4, s28
	s_addc_u32 s29, s5, s29
.LBB146_10:                             ;   in Loop: Header=BB146_6 Depth=1
	v_perm_b32 v35, v25, v24, s3
	v_perm_b32 v34, v23, v22, s3
	v_perm_b32 v37, v13, v12, s3
	v_perm_b32 v36, v11, v10, s3
	ds_write_b64 v108, v[34:35]
	ds_write_b64 v109, v[36:37]
	ds_write_b64 v114, v[34:35]
	ds_write_b64 v115, v[36:37]
	v_perm_b32 v35, v21, v20, s3
	v_perm_b32 v34, v19, v18, s3
	v_perm_b32 v37, v17, v16, s3
	v_perm_b32 v36, v15, v14, s3
	ds_write_b64 v110, v[34:35]
	ds_write_b64 v111, v[36:37]
	ds_write_b64 v116, v[34:35]
	ds_write_b64 v117, v[36:37]
	v_perm_b32 v35, v33, v32, s3
	v_perm_b32 v34, v31, v30, s3
	v_perm_b32 v37, v29, v28, s3
	v_perm_b32 v36, v27, v26, s3
	ds_write_b64 v112, v[34:35]
	ds_write_b64 v113, v[36:37]
	ds_write_b64 v118, v[34:35]
	ds_write_b64 v119, v[36:37]
	v_perm_b32 v35, v9, v8, s3
	v_perm_b32 v34, v7, v6, s3
	v_perm_b32 v37, v5, v4, s3
	v_perm_b32 v36, v3, v2, s3
	ds_write_b64 v120, v[34:35]
	ds_write_b64 v121, v[36:37]
	ds_write_b64 v122, v[34:35]
	ds_write_b64 v123, v[36:37]
	s_waitcnt lgkmcnt(0)
	s_barrier
	ds_read_b64 v[38:39], v124 offset:49152
	ds_read2_b64 v[34:37], v125 offset1:16
	ds_read_b64 v[50:51], v127 offset:6144
	ds_read_b64 v[52:53], v125 offset:6144
	s_waitcnt lgkmcnt(2)
	v_mfma_f32_16x16x16_bf16 a[0:3], v[38:39], v[34:35], 0
	ds_read_b64 v[54:55], v126 offset:49152
	ds_read2st64_b64 v[42:45], v128 offset0:4 offset1:8
	ds_read2st64_b64 v[46:49], v129 offset0:4 offset1:8
	v_mfma_f32_16x16x16_bf16 a[4:7], v[38:39], v[36:37], 0
	ds_read2_b64 v[34:37], v125 offset0:32 offset1:48
	s_add_i32 s66, s59, 63
	s_ashr_i32 s31, s66, 31
	s_waitcnt lgkmcnt(0)
	v_mfma_f32_16x16x16_bf16 a[8:11], v[38:39], v[34:35], 0
	s_mul_i32 s44, s66, s23
	s_mul_hi_u32 s45, s66, s22
	s_add_i32 s44, s45, s44
	v_mfma_f32_16x16x16_bf16 a[12:15], v[38:39], v[36:37], 0
	ds_read2st64_b64 v[34:37], v125 offset0:4 offset1:8
	ds_read2st64_b64 v[38:41], v127 offset0:4 offset1:8
	s_mul_i32 s31, s31, s22
	s_waitcnt lgkmcnt(1)
	v_mfma_f32_16x16x16_bf16 a[0:3], v[54:55], v[34:35], a[0:3]
	s_add_i32 s45, s44, s31
	s_mul_i32 s44, s66, s22
	s_lshl_b64 s[44:45], s[44:45], 2
	s_waitcnt lgkmcnt(0)
	v_mfma_f32_16x16x16_bf16 a[4:7], v[54:55], v[38:39], a[4:7]
	s_add_u32 s44, s42, s44
	s_addc_u32 s45, s43, s45
	s_and_b64 vcc, exec, s[0:1]
	v_mfma_f32_16x16x16_bf16 a[8:11], v[54:55], v[42:43], a[8:11]
	ds_read_b64 v[34:35], v130 offset:49152
	ds_read_b64 v[38:39], v131 offset:49152
	;; [unrolled: 1-line block ×3, first 2 shown]
	v_mov_b32_e32 v155, 0
	v_mov_b32_e32 v154, 0
	v_mfma_f32_16x16x16_bf16 a[12:15], v[54:55], v[46:47], a[12:15]
	v_mov_b32_e32 v153, 0
	v_mov_b32_e32 v46, 0
	;; [unrolled: 1-line block ×3, first 2 shown]
	s_waitcnt lgkmcnt(2)
	v_mfma_f32_16x16x16_bf16 a[0:3], v[34:35], v[36:37], a[0:3]
	v_mov_b32_e32 v36, 0
	v_mov_b32_e32 v37, 0
	v_mfma_f32_16x16x16_bf16 a[16:19], v[34:35], v[40:41], a[4:7]
	v_mov_b32_e32 v40, 0
	v_mov_b32_e32 v41, 0
	;; [unrolled: 3-line block ×3, first 2 shown]
	v_mfma_f32_16x16x16_bf16 a[24:27], v[34:35], v[48:49], a[12:15]
	ds_read_b64 v[34:35], v128 offset:6144
	v_mov_b32_e32 v48, 0
	v_mov_b32_e32 v49, 0
	s_waitcnt lgkmcnt(2)
	v_mfma_f32_16x16x16_bf16 a[4:7], v[38:39], v[52:53], a[0:3]
	v_mfma_f32_16x16x16_bf16 a[8:11], v[38:39], v[50:51], a[16:19]
	s_waitcnt lgkmcnt(0)
	v_mfma_f32_16x16x16_bf16 a[12:15], v[38:39], v[34:35], a[20:23]
	v_mov_b32_e32 v34, 0
	v_mov_b32_e32 v35, 0
	v_mfma_f32_16x16x16_bf16 a[0:3], v[38:39], v[42:43], a[24:27]
	v_mov_b32_e32 v38, 0
	v_mov_b32_e32 v39, 0
	;; [unrolled: 1-line block ×4, first 2 shown]
	s_cbranch_vccnz .LBB146_12
; %bb.11:                               ;   in Loop: Header=BB146_6 Depth=1
	s_and_b32 s25, s25, 0xffff
	buffer_load_dwordx4 v[46:49], v104, s[24:27], 0 offen
	buffer_load_dwordx4 v[42:45], v104, s[24:27], s61 offen
	;; [unrolled: 1-line block ×4, first 2 shown]
	v_mov_b32_e32 v154, v106
	v_mov_b32_e32 v153, v107
.LBB146_12:                             ;   in Loop: Header=BB146_6 Depth=1
	ds_read_b64 v[66:67], v124 offset:57344
	ds_read2_b64 v[50:53], v132 offset1:16
	ds_read_b64 v[68:69], v126 offset:57344
	ds_read_b64 v[70:71], v130 offset:57344
	;; [unrolled: 1-line block ×3, first 2 shown]
	v_add_u32_e32 v74, s59, v100
	s_waitcnt lgkmcnt(3)
	v_mfma_f32_16x16x16_bf16 a[4:7], v[66:67], v[50:51], a[4:7]
	v_mfma_f32_16x16x16_bf16 a[8:11], v[66:67], v[52:53], a[8:11]
	ds_read2_b64 v[50:53], v132 offset0:32 offset1:48
	ds_read2st64_b64 v[54:57], v132 offset0:4 offset1:8
	ds_read2st64_b64 v[58:61], v133 offset0:4 offset1:8
	;; [unrolled: 1-line block ×3, first 2 shown]
	s_waitcnt lgkmcnt(3)
	v_mfma_f32_16x16x16_bf16 a[12:15], v[66:67], v[50:51], a[12:15]
	v_ashrrev_i32_e32 v50, 31, v74
	v_mfma_f32_16x16x16_bf16 a[0:3], v[66:67], v[52:53], a[0:3]
	v_mul_lo_u32 v52, v50, s22
	v_mul_lo_u32 v53, v74, s23
	v_mad_u64_u32 v[50:51], s[24:25], v74, s22, 0
	v_add3_u32 v51, v51, v53, v52
	v_add_u32_e32 v52, 1, v74
	v_ashrrev_i32_e32 v53, 31, v52
	s_waitcnt lgkmcnt(2)
	v_mfma_f32_16x16x16_bf16 a[4:7], v[68:69], v[54:55], a[4:7]
	v_mul_lo_u32 v54, v53, s22
	v_mul_lo_u32 v55, v52, s23
	v_mad_u64_u32 v[52:53], s[24:25], v52, s22, 0
	v_add3_u32 v53, v53, v55, v54
	v_add_u32_e32 v54, 2, v74
	v_ashrrev_i32_e32 v55, 31, v54
	s_waitcnt lgkmcnt(1)
	v_mfma_f32_16x16x16_bf16 a[8:11], v[68:69], v[58:59], a[8:11]
	v_mul_lo_u32 v58, v55, s22
	v_mul_lo_u32 v59, v54, s23
	v_mad_u64_u32 v[54:55], s[24:25], v54, s22, 0
	v_add3_u32 v55, v55, v59, v58
	v_add_u32_e32 v58, 3, v74
	v_ashrrev_i32_e32 v59, 31, v58
	v_mul_lo_u32 v66, v59, s22
	v_mul_lo_u32 v67, v58, s23
	v_mad_u64_u32 v[58:59], s[24:25], v58, s22, 0
	s_ashr_i32 s25, s59, 31
	s_add_u32 s24, s58, s59
	s_addc_u32 s25, s57, s25
	v_lshl_add_u64 v[50:51], v[50:51], 2, s[42:43]
	v_add3_u32 v59, v59, v67, v66
	s_lshl_b64 s[24:25], s[24:25], 8
	v_lshl_add_u64 v[52:53], v[52:53], 2, s[42:43]
	v_lshl_add_u64 v[54:55], v[54:55], 2, s[42:43]
	;; [unrolled: 1-line block ×3, first 2 shown]
	global_load_dword v66, v[50:51], off
	global_load_dword v67, v[52:53], off
	global_load_dword v74, v[54:55], off
	global_load_dword v75, v[58:59], off
	v_lshl_add_u64 v[50:51], v[92:93], 0, s[24:25]
	v_lshl_add_u64 v[54:55], v[50:51], 0, v[90:91]
	global_load_ushort v76, v[54:55], off offset:256
	global_load_ushort v156, v[54:55], off
	ds_read2st64_b64 v[50:53], v135 offset0:4 offset1:8
	global_load_ushort v157, v[54:55], off offset:768
	global_load_ushort v158, v[54:55], off offset:512
	s_waitcnt lgkmcnt(1)
	v_mfma_f32_16x16x16_bf16 a[12:15], v[68:69], v[62:63], a[12:15]
	s_and_b64 vcc, exec, s[0:1]
	s_waitcnt vmcnt(3)
	v_lshlrev_b32_e32 v63, 16, v76
	s_waitcnt lgkmcnt(0)
	v_mfma_f32_16x16x16_bf16 a[0:3], v[68:69], v[50:51], a[0:3]
	global_load_ushort v68, v[54:55], off offset:288
	global_load_ushort v69, v[54:55], off offset:32
	;; [unrolled: 1-line block ×8, first 2 shown]
	v_mfma_f32_16x16x16_bf16 a[4:7], v[70:71], v[56:57], a[4:7]
	ds_read_b64 v[50:51], v132 offset:6144
	s_waitcnt vmcnt(10)
	v_lshlrev_b32_e32 v62, 16, v156
	v_mov_b32_e32 v156, 0
	v_mfma_f32_16x16x16_bf16 a[8:11], v[70:71], v[60:61], a[8:11]
	v_mfma_f32_16x16x16_bf16 a[12:15], v[70:71], v[64:65], a[12:15]
	;; [unrolled: 1-line block ×3, first 2 shown]
	global_load_ushort v70, v[54:55], off offset:352
	global_load_ushort v71, v[54:55], off offset:96
	ds_read_b64 v[52:53], v133 offset:6144
	ds_read_b64 v[56:57], v134 offset:6144
	;; [unrolled: 1-line block ×3, first 2 shown]
	global_load_ushort v165, v[54:55], off offset:864
	global_load_ushort v166, v[54:55], off offset:608
	s_load_dword s24, s[44:45], 0x0
	s_waitcnt lgkmcnt(0)
	v_mfma_f32_16x16x16_bf16 a[4:7], v[72:73], v[50:51], a[4:7]
	v_sub_f32_e32 v60, s24, v74
	v_mfma_f32_16x16x16_bf16 a[0:3], v[72:73], v[58:59], a[0:3]
	v_sub_f32_e32 v58, s24, v66
	v_sub_f32_e32 v59, s24, v67
	;; [unrolled: 1-line block ×3, first 2 shown]
	v_mfma_f32_16x16x16_bf16 a[8:11], v[72:73], v[52:53], a[8:11]
	v_exp_f32_e32 v58, v58
	v_exp_f32_e32 v59, v59
	;; [unrolled: 1-line block ×4, first 2 shown]
	v_accvgpr_read_b32 v65, a5
	v_accvgpr_read_b32 v64, a4
	;; [unrolled: 1-line block ×4, first 2 shown]
	v_pk_add_f32 v[62:63], v[62:63], v[64:65] neg_lo:[0,1] neg_hi:[0,1]
	s_waitcnt vmcnt(13)
	v_lshlrev_b32_e32 v65, 16, v157
	s_waitcnt vmcnt(12)
	v_lshlrev_b32_e32 v64, 16, v158
	v_pk_add_f32 v[50:51], v[64:65], v[50:51] neg_lo:[0,1] neg_hi:[0,1]
	v_pk_mul_f32 v[62:63], v[58:59], v[62:63]
	v_pk_mul_f32 v[50:51], v[60:61], v[50:51]
	v_accvgpr_read_b32 v65, a9
	v_perm_b32 v51, v51, v50, s3
	v_perm_b32 v50, v63, v62, s3
	v_accvgpr_read_b32 v64, a8
	v_accvgpr_read_b32 v53, a11
	v_mfma_f32_16x16x16_bf16 a[12:15], v[72:73], v[56:57], a[12:15]
	v_accvgpr_read_b32 v52, a10
	v_accvgpr_read_b32 v57, a3
	;; [unrolled: 1-line block ×3, first 2 shown]
	s_waitcnt vmcnt(11)
	v_lshlrev_b32_e32 v63, 16, v68
	s_waitcnt vmcnt(10)
	v_lshlrev_b32_e32 v62, 16, v69
	v_pk_add_f32 v[62:63], v[62:63], v[64:65] neg_lo:[0,1] neg_hi:[0,1]
	s_waitcnt vmcnt(9)
	v_lshlrev_b32_e32 v65, 16, v159
	s_waitcnt vmcnt(8)
	v_lshlrev_b32_e32 v64, 16, v160
	v_pk_add_f32 v[52:53], v[64:65], v[52:53] neg_lo:[0,1] neg_hi:[0,1]
	v_pk_mul_f32 v[62:63], v[58:59], v[62:63]
	v_pk_mul_f32 v[52:53], v[60:61], v[52:53]
	v_accvgpr_read_b32 v55, a15
	v_perm_b32 v53, v53, v52, s3
	v_perm_b32 v52, v63, v62, s3
	ds_write2_b64 v109, v[50:51], v[52:53] offset1:16
	v_accvgpr_read_b32 v53, a13
	s_waitcnt vmcnt(7)
	v_lshlrev_b32_e32 v51, 16, v161
	s_waitcnt vmcnt(6)
	v_lshlrev_b32_e32 v50, 16, v162
	v_accvgpr_read_b32 v52, a12
	v_accvgpr_read_b32 v54, a14
	v_pk_add_f32 v[50:51], v[50:51], v[52:53] neg_lo:[0,1] neg_hi:[0,1]
	s_waitcnt vmcnt(5)
	v_lshlrev_b32_e32 v53, 16, v163
	s_waitcnt vmcnt(4)
	v_lshlrev_b32_e32 v52, 16, v164
	v_pk_add_f32 v[52:53], v[52:53], v[54:55] neg_lo:[0,1] neg_hi:[0,1]
	v_pk_mul_f32 v[50:51], v[58:59], v[50:51]
	v_pk_mul_f32 v[52:53], v[60:61], v[52:53]
	v_accvgpr_read_b32 v55, a1
	v_perm_b32 v53, v53, v52, s3
	v_perm_b32 v52, v51, v50, s3
	s_waitcnt vmcnt(3)
	v_lshlrev_b32_e32 v51, 16, v70
	s_waitcnt vmcnt(2)
	v_lshlrev_b32_e32 v50, 16, v71
	v_accvgpr_read_b32 v54, a0
	v_pk_add_f32 v[50:51], v[50:51], v[54:55] neg_lo:[0,1] neg_hi:[0,1]
	s_waitcnt vmcnt(1)
	v_lshlrev_b32_e32 v55, 16, v165
	s_waitcnt vmcnt(0)
	v_lshlrev_b32_e32 v54, 16, v166
	v_pk_add_f32 v[54:55], v[54:55], v[56:57] neg_lo:[0,1] neg_hi:[0,1]
	v_pk_mul_f32 v[50:51], v[58:59], v[50:51]
	v_pk_mul_f32 v[54:55], v[60:61], v[54:55]
	v_mov_b32_e32 v56, 0
	v_perm_b32 v55, v55, v54, s3
	v_perm_b32 v54, v51, v50, s3
	ds_write2_b64 v109, v[52:53], v[54:55] offset0:32 offset1:48
	v_mov_b32_e32 v50, 0
	v_mov_b32_e32 v51, 0
	;; [unrolled: 1-line block ×15, first 2 shown]
	s_cbranch_vccnz .LBB146_14
; %bb.13:                               ;   in Loop: Header=BB146_6 Depth=1
	s_and_b32 s29, s29, 0xffff
	s_mov_b32 s31, s27
	buffer_load_dwordx4 v[62:65], v142, s[28:31], 0 offen
	buffer_load_dwordx4 v[54:57], v142, s[28:31], s61 offen
	buffer_load_dwordx4 v[58:61], v143, s[28:31], 0 offen
	buffer_load_dwordx4 v[50:53], v143, s[28:31], s61 offen
	v_mov_b32_e32 v155, v103
	v_mov_b32_e32 v156, v102
.LBB146_14:                             ;   in Loop: Header=BB146_6 Depth=1
	s_waitcnt lgkmcnt(0)
	s_barrier
	ds_read_b64 v[74:75], v145
	ds_read2_b64 v[66:69], v138 offset1:16
	ds_read_b64 v[174:175], v146
	ds_read_b64 v[176:177], v147
	;; [unrolled: 1-line block ×3, first 2 shown]
	ds_read2_b64 v[70:73], v138 offset0:32 offset1:48
	ds_read2st64_b64 v[158:161], v138 offset0:4 offset1:8
	ds_read2st64_b64 v[162:165], v139 offset0:4 offset1:8
	ds_read2st64_b64 v[166:169], v140 offset0:4 offset1:8
	ds_read2st64_b64 v[170:173], v141 offset0:4 offset1:8
	s_waitcnt lgkmcnt(8)
	v_mfma_f32_16x16x16_bf16 a[0:3], v[74:75], v[66:67], 0
	s_add_i32 s25, s56, s64
	s_mul_hi_i32 s29, s25, s17
	s_mul_i32 s25, s25, s17
	v_mfma_f32_16x16x16_bf16 a[4:7], v[74:75], v[68:69], 0
	s_add_u32 s28, s25, s33
	s_addc_u32 s29, s29, s46
	s_lshl_b64 s[28:29], s[28:29], 15
	s_waitcnt lgkmcnt(4)
	v_mfma_f32_16x16x16_bf16 a[8:11], v[74:75], v[70:71], 0
	s_mul_i32 s31, s66, s17
	s_mul_hi_i32 s25, s66, s17
	s_add_u32 s44, s31, s33
	v_mfma_f32_16x16x16_bf16 a[12:15], v[74:75], v[72:73], 0
	ds_read_b64 v[74:75], v138 offset:6144
	ds_read_b64 v[186:187], v139 offset:6144
	;; [unrolled: 1-line block ×4, first 2 shown]
	s_addc_u32 s45, s25, s46
	s_waitcnt lgkmcnt(7)
	v_mfma_f32_16x16x16_bf16 a[0:3], v[174:175], v[158:159], a[0:3]
	s_lshl_b64 s[44:45], s[44:45], 9
	s_add_u32 s44, s20, s44
	s_addc_u32 s45, s21, s45
	s_waitcnt lgkmcnt(6)
	v_mfma_f32_16x16x16_bf16 a[4:7], v[174:175], v[162:163], a[4:7]
	v_lshl_add_u64 v[196:197], v[94:95], 0, s[28:29]
	s_waitcnt lgkmcnt(5)
	v_mfma_f32_16x16x16_bf16 a[8:11], v[174:175], v[166:167], a[8:11]
	s_waitcnt lgkmcnt(4)
	v_mfma_f32_16x16x16_bf16 a[12:15], v[174:175], v[170:171], a[12:15]
	ds_read_b64 v[174:175], v150
	ds_read_b64 v[184:185], v151
	;; [unrolled: 1-line block ×3, first 2 shown]
	s_waitcnt lgkmcnt(2)
	v_mfma_f32_16x16x16_bf16 a[16:19], v[174:175], v[66:67], 0
	v_mfma_f32_16x16x16_bf16 a[20:23], v[174:175], v[68:69], 0
	global_load_dwordx4 v[66:69], v149, s[44:45]
	v_mfma_f32_16x16x16_bf16 a[24:27], v[174:175], v[70:71], 0
	v_mfma_f32_16x16x16_bf16 a[28:31], v[174:175], v[72:73], 0
	global_load_dwordx4 v[70:73], v89, s[44:45]
	v_mfma_f32_16x16x16_bf16 a[0:3], v[176:177], v[160:161], a[0:3]
	v_mfma_f32_16x16x16_bf16 a[4:7], v[176:177], v[164:165], a[4:7]
	;; [unrolled: 1-line block ×8, first 2 shown]
	ds_read2st64_b64 v[174:177], v136 offset1:8
	ds_read2st64_b64 v[178:181], v137 offset1:8
	ds_read_b64 v[194:195], v144 offset:40960
	s_waitcnt lgkmcnt(2)
	v_mov_b32_e32 v182, v174
	v_mfma_f32_16x16x16_bf16 a[16:19], v[184:185], v[158:159], a[16:19]
	v_mov_b32_e32 v183, v175
	v_mfma_f32_16x16x16_bf16 a[20:23], v[184:185], v[162:163], a[20:23]
	v_mfma_f32_16x16x16_bf16 a[24:27], v[184:185], v[166:167], a[24:27]
	v_mfma_f32_16x16x16_bf16 a[28:31], v[184:185], v[170:171], a[28:31]
	v_add_co_u32_e32 v170, vcc, s37, v196
	s_waitcnt lgkmcnt(1)
	v_mov_b32_e32 v184, v178
	s_waitcnt lgkmcnt(0)
	v_mfma_f32_16x16x16_bf16 a[16:19], v[194:195], v[160:161], a[16:19]
	ds_read2st64_b64 v[158:161], v136 offset0:16 offset1:24
	v_addc_co_u32_e32 v171, vcc, 0, v197, vcc
	v_mfma_f32_16x16x16_bf16 a[32:35], v[194:195], v[164:165], a[20:23]
	ds_read2st64_b64 v[162:165], v137 offset0:16 offset1:24
	v_mov_b32_e32 v185, v179
	v_mov_b32_e32 v178, v176
	v_mfma_f32_16x16x16_bf16 a[24:27], v[194:195], v[168:169], a[24:27]
	v_mov_b32_e32 v179, v177
	s_waitcnt lgkmcnt(0)
	v_mov_b32_e32 v168, v162
	v_mov_b32_e32 v169, v163
	v_mfma_f32_16x16x16_bf16 a[36:39], v[194:195], v[172:173], a[28:31]
	v_mov_b32_e32 v162, v160
	v_mov_b32_e32 v163, v161
	v_mov_b32_e32 v166, v158
	v_mfma_f32_16x16x16_bf16 a[20:23], v[192:193], v[74:75], a[16:19]
	v_add_co_u32_e32 v74, vcc, s39, v196
	v_mov_b32_e32 v167, v159
	v_mfma_f32_16x16x16_bf16 a[28:31], v[192:193], v[186:187], a[32:35]
	v_addc_co_u32_e32 v75, vcc, 0, v197, vcc
	global_store_dwordx4 v[74:75], v[162:165], off
	v_mfma_f32_16x16x16_bf16 a[16:19], v[192:193], v[188:189], a[24:27]
	s_waitcnt vmcnt(2)
	v_mov_b32_e32 v76, v69
	v_mov_b32_e32 v75, v68
	;; [unrolled: 1-line block ×3, first 2 shown]
	v_mfma_f32_16x16x16_bf16 a[24:27], v[192:193], v[190:191], a[36:39]
	s_and_b64 vcc, exec, s[0:1]
	global_store_dwordx4 v[196:197], v[182:185], off
	global_store_dwordx4 v[170:171], v[178:181], off offset:-4096
	global_store_dwordx4 v[170:171], v[166:169], off
	s_cbranch_vccnz .LBB146_16
; %bb.15:                               ;   in Loop: Header=BB146_6 Depth=1
	v_lshrrev_b32_e32 v67, 3, v155
	v_and_b32_e32 v67, 6, v67
	v_xor_b32_e32 v68, v67, v156
	v_lshlrev_b32_e32 v68, 2, v68
	v_and_b32_e32 v69, 8, v155
	v_xor_b32_e32 v155, 0x440, v68
	v_cmp_eq_u32_e32 vcc, 0, v69
	v_perm_b32 v69, v54, v50, s62
	s_nop 0
	v_cndmask_b32_e32 v68, v155, v68, vcc
	v_lshl_or_b32 v67, v67, 10, v68
	v_perm_b32 v68, v62, v58, s62
	s_barrier
	ds_write2st64_b32 v67, v68, v69 offset0:128 offset1:160
	v_xor_b32_e32 v68, 8, v67
	v_perm_b32 v58, v62, v58, s63
	v_perm_b32 v50, v54, v50, s63
	v_add_u32_e32 v54, 0x80, v68
	ds_write2st64_b32 v54, v58, v50 offset0:128 offset1:160
	v_xor_b32_e32 v50, 16, v67
	v_perm_b32 v54, v63, v59, s62
	v_perm_b32 v58, v55, v51, s62
	ds_write2st64_b32 v50, v54, v58 offset0:129 offset1:161
	v_xor_b32_e32 v50, 24, v67
	v_perm_b32 v54, v63, v59, s63
	v_perm_b32 v51, v55, v51, s63
	v_add_u32_e32 v50, 0x80, v50
	ds_write2st64_b32 v50, v54, v51 offset0:129 offset1:161
	v_xor_b32_e32 v50, 32, v67
	v_perm_b32 v51, v64, v60, s62
	v_perm_b32 v54, v56, v52, s62
	;; [unrolled: 9-line block ×3, first 2 shown]
	ds_write2st64_b32 v50, v51, v52 offset0:131 offset1:163
	v_xor_b32_e32 v50, 56, v67
	v_perm_b32 v51, v65, v61, s63
	v_perm_b32 v52, v57, v53, s63
	v_add_u32_e32 v50, 0x80, v50
	ds_write2st64_b32 v50, v51, v52 offset0:131 offset1:163
	ds_write_b64 v154, v[46:47] offset:49152
	v_xor_b32_e32 v46, 8, v154
	ds_write_b64 v46, v[48:49] offset:49152
	ds_write_b64 v154, v[42:43] offset:57344
	ds_write_b64 v46, v[44:45] offset:57344
	ds_write_b64 v153, v[38:39] offset:49152
	v_xor_b32_e32 v38, 8, v153
	ds_write_b64 v38, v[40:41] offset:49152
	ds_write_b64 v153, v[34:35] offset:57344
	;; [unrolled: 1-line block ×3, first 2 shown]
.LBB146_16:                             ;   in Loop: Header=BB146_6 Depth=1
	v_exp_f32_e32 v68, s24
	s_waitcnt vmcnt(4)
	v_exp_f32_e32 v70, v70
	v_exp_f32_e32 v71, v71
	;; [unrolled: 1-line block ×4, first 2 shown]
	v_accvgpr_read_b32 v37, a3
	v_accvgpr_read_b32 v36, a2
	;; [unrolled: 1-line block ×4, first 2 shown]
	v_pk_mul_f32 v[70:71], v[68:69], v[70:71] op_sel_hi:[0,1]
	v_pk_mul_f32 v[72:73], v[68:69], v[72:73] op_sel_hi:[0,1]
	v_pk_fma_f32 v[22:23], v[22:23], v[70:71], v[34:35]
	v_pk_fma_f32 v[24:25], v[24:25], v[72:73], v[36:37]
	v_exp_f32_e32 v34, v66
	v_exp_f32_e32 v35, v74
	;; [unrolled: 1-line block ×4, first 2 shown]
	v_accvgpr_read_b32 v41, a7
	v_accvgpr_read_b32 v45, a11
	;; [unrolled: 1-line block ×28, first 2 shown]
	v_pk_mul_f32 v[34:35], v[68:69], v[34:35] op_sel_hi:[0,1]
	v_pk_mul_f32 v[36:37], v[68:69], v[36:37] op_sel_hi:[0,1]
	s_add_i32 s59, s59, 64
	v_pk_fma_f32 v[18:19], v[70:71], v[18:19], v[38:39]
	v_pk_fma_f32 v[20:21], v[72:73], v[20:21], v[40:41]
	;; [unrolled: 1-line block ×13, first 2 shown]
	s_cmp_eq_u32 s53, s65
	v_pk_fma_f32 v[4:5], v[36:37], v[4:5], v[64:65]
	s_cbranch_scc1 .LBB146_18
; %bb.17:                               ;   in Loop: Header=BB146_6 Depth=1
	s_mov_b32 s64, s65
	s_branch .LBB146_6
.LBB146_18:
	s_lshl_b32 s0, s53, 6
	s_sub_i32 s44, s54, s0
	s_cmp_gt_i32 s44, 0
	s_cbranch_scc0 .LBB146_99
; %bb.19:
	s_add_i32 s34, s0, s34
	s_ashr_i32 s3, s34, 31
	s_cmpk_lg_i32 s19, 0x80
	s_cselect_b64 s[30:31], -1, 0
	s_and_b64 vcc, exec, s[30:31]
	s_cbranch_vccz .LBB146_21
; %bb.20:
	s_mul_hi_i32 s0, s34, s18
	s_mul_i32 s1, s34, s18
	s_ashr_i32 s18, s55, 31
	s_add_u32 s42, s1, s55
	s_addc_u32 s43, s0, s18
	s_cbranch_execz .LBB146_22
	s_branch .LBB146_23
.LBB146_21:
                                        ; implicit-def: $sgpr42_sgpr43
.LBB146_22:
	s_mul_i32 s1, s55, s16
	s_mul_hi_i32 s0, s55, s16
	s_add_u32 s42, s1, s34
	s_addc_u32 s43, s0, s3
.LBB146_23:
	s_waitcnt lgkmcnt(0)
	s_add_i32 s16, s53, s56
	s_add_u32 s0, s58, s34
	v_lshlrev_b32_e32 v38, 6, v100
	v_lshlrev_b32_e32 v56, 2, v97
	s_addc_u32 s1, s57, s3
	s_mov_b32 s3, 0x7060302
	v_or_b32_e32 v41, v38, v56
	v_xor_b32_e32 v39, v100, v56
	s_waitcnt vmcnt(7)
	v_perm_b32 v35, v25, v24, s3
	v_perm_b32 v34, v23, v22, s3
	s_waitcnt vmcnt(6)
	v_perm_b32 v37, v13, v12, s3
	v_perm_b32 v36, v11, v10, s3
	v_lshlrev_b32_e32 v41, 1, v41
	v_xor_b32_e32 v40, v101, v56
	ds_write2st64_b64 v41, v[34:35], v[36:37] offset0:32 offset1:48
	v_lshlrev_b32_e32 v39, 1, v39
	v_lshlrev_b32_e32 v41, 8, v97
	v_or_b32_e32 v42, v39, v41
	v_lshlrev_b32_e32 v40, 1, v40
	ds_write_b64 v42, v[34:35]
	v_or_b32_e32 v34, v40, v41
	v_or_b32_e32 v41, 16, v97
	v_lshlrev_b32_e32 v55, 2, v41
	v_or_b32_e32 v42, v38, v55
	ds_write_b64 v34, v[36:37]
	s_waitcnt vmcnt(5)
	v_perm_b32 v35, v21, v20, s3
	v_perm_b32 v34, v19, v18, s3
	s_waitcnt vmcnt(4)
	v_perm_b32 v37, v17, v16, s3
	v_perm_b32 v36, v15, v14, s3
	v_lshlrev_b32_e32 v42, 1, v42
	v_lshlrev_b32_e32 v41, 8, v41
	ds_write2st64_b64 v42, v[34:35], v[36:37] offset0:32 offset1:48
	v_or_b32_e32 v42, v39, v41
	ds_write_b64 v42, v[34:35]
	v_or_b32_e32 v34, v40, v41
	v_or_b32_e32 v41, 32, v97
	v_lshlrev_b32_e32 v54, 2, v41
	v_or_b32_e32 v42, v38, v54
	ds_write_b64 v34, v[36:37]
	s_waitcnt vmcnt(3)
	v_perm_b32 v35, v33, v32, s3
	v_perm_b32 v34, v31, v30, s3
	s_waitcnt vmcnt(2)
	v_perm_b32 v37, v29, v28, s3
	v_perm_b32 v36, v27, v26, s3
	v_lshlrev_b32_e32 v42, 1, v42
	v_lshlrev_b32_e32 v41, 8, v41
	s_lshl_b64 s[28:29], s[0:1], 8
	ds_write2st64_b64 v42, v[34:35], v[36:37] offset0:32 offset1:48
	v_or_b32_e32 v42, v39, v41
	s_add_u32 s0, s6, s28
	ds_write_b64 v42, v[34:35]
	v_or_b32_e32 v34, v40, v41
	s_addc_u32 s1, s7, s29
	ds_write_b64 v34, v[36:37]
	s_waitcnt vmcnt(1)
	v_perm_b32 v35, v9, v8, s3
	v_perm_b32 v34, v7, v6, s3
	s_waitcnt vmcnt(0)
	v_perm_b32 v37, v5, v4, s3
	v_perm_b32 v36, v3, v2, s3
	v_or_b32_e32 v41, 48, v97
	s_mul_hi_i32 s3, s16, s17
	s_mul_i32 s16, s16, s17
	v_lshlrev_b32_e32 v51, 2, v41
	s_add_u32 s6, s16, s33
	v_or_b32_e32 v38, v38, v51
	s_addc_u32 s7, s3, s46
	v_lshlrev_b32_e32 v38, 1, v38
	s_ashr_i32 s3, s2, 31
	s_lshl_b64 s[6:7], s[6:7], 15
	ds_write2st64_b64 v38, v[34:35], v[36:37] offset0:32 offset1:48
	v_lshlrev_b32_e32 v38, 8, v41
	s_add_u32 s6, s40, s6
	v_or_b32_e32 v39, v39, v38
	s_addc_u32 s7, s41, s7
	s_lshl_b64 s[2:3], s[2:3], 8
	ds_write_b64 v39, v[34:35]
	v_or_b32_e32 v34, v40, v38
	s_add_u32 s2, s6, s2
	v_lshlrev_b32_e32 v35, 1, v97
	ds_write_b64 v34, v[36:37]
	v_lshrrev_b32_e32 v34, 4, v0
	s_addc_u32 s3, s7, s3
	v_or_b32_e32 v36, 1, v35
	v_lshlrev_b32_e32 v42, 4, v97
	v_mov_b32_e32 v43, 0
	v_xor_b32_e32 v35, v34, v35
	v_xor_b32_e32 v38, v36, v34
	v_lshl_add_u64 v[44:45], s[2:3], 0, v[42:43]
	v_lshlrev_b32_e32 v42, 8, v34
	v_lshl_or_b32 v48, v35, 3, v42
	v_lshl_or_b32 v49, v38, 3, v42
	s_waitcnt lgkmcnt(0)
	s_barrier
	ds_read2st64_b64 v[34:37], v48 offset1:8
	ds_read2st64_b64 v[38:41], v49 offset1:8
	v_lshl_add_u64 v[46:47], v[44:45], 0, v[42:43]
	s_movk_i32 s2, 0x2000
	s_cmp_lg_u32 s44, 64
	s_waitcnt lgkmcnt(1)
	v_mov_b32_e32 v42, v34
	v_mov_b32_e32 v43, v35
	s_waitcnt lgkmcnt(0)
	v_mov_b32_e32 v44, v38
	v_mov_b32_e32 v45, v39
	global_store_dwordx4 v[46:47], v[42:45], off
	v_mov_b32_e32 v38, v36
	v_mov_b32_e32 v39, v37
	ds_read2st64_b64 v[34:37], v48 offset0:16 offset1:24
	ds_read2st64_b64 v[42:45], v49 offset0:16 offset1:24
	v_add_co_u32_e32 v48, vcc, s2, v46
	s_cselect_b64 s[6:7], -1, 0
	s_nop 0
	v_addc_co_u32_e32 v49, vcc, 0, v47, vcc
	global_store_dwordx4 v[48:49], v[38:41], off offset:-4096
	v_lshl_or_b32 v62, v1, 3, v99
	s_mov_b32 s24, 0
	s_waitcnt lgkmcnt(1)
	v_mov_b32_e32 v38, v34
	v_add_co_u32_e32 v34, vcc, 0x3000, v46
	v_mov_b32_e32 v39, v35
	s_nop 0
	v_addc_co_u32_e32 v35, vcc, 0, v47, vcc
	s_waitcnt lgkmcnt(0)
	v_mov_b32_e32 v40, v42
	v_mov_b32_e32 v41, v43
	;; [unrolled: 1-line block ×4, first 2 shown]
	v_or_b32_e32 v52, 32, v62
	v_and_b32_e32 v50, 56, v98
	s_and_b64 vcc, exec, s[6:7]
	global_store_dwordx4 v[48:49], v[38:41], off
	global_store_dwordx4 v[34:35], v[42:45], off
	s_cbranch_vccz .LBB146_29
; %bb.24:
	s_mov_b32 s26, s24
	s_mov_b32 s27, s24
	;; [unrolled: 1-line block ×3, first 2 shown]
	v_mov_b64_e32 v[40:41], s[26:27]
	v_mov_b64_e32 v[38:39], s[24:25]
	v_mov_b64_e32 v[34:35], v[38:39]
	v_cmp_gt_i32_e32 vcc, s44, v62
	v_mov_b64_e32 v[36:37], v[40:41]
	s_and_saveexec_b64 s[2:3], vcc
	s_cbranch_execz .LBB146_26
; %bb.25:
	v_lshlrev_b32_e32 v34, 8, v62
	v_mov_b32_e32 v35, 0
	v_lshl_add_u64 v[36:37], s[0:1], 0, v[34:35]
	v_lshlrev_b32_e32 v34, 1, v50
	v_lshl_add_u64 v[42:43], v[36:37], 0, v[34:35]
	global_load_dwordx4 v[38:41], v[42:43], off
	global_load_dwordx4 v[34:37], v[42:43], off offset:128
.LBB146_26:
	s_or_b64 exec, exec, s[2:3]
	s_mov_b32 s26, s24
	s_mov_b32 s27, s24
	;; [unrolled: 1-line block ×3, first 2 shown]
	v_mov_b64_e32 v[48:49], s[26:27]
	v_mov_b64_e32 v[46:47], s[24:25]
	;; [unrolled: 1-line block ×3, first 2 shown]
	v_cmp_gt_i32_e32 vcc, s44, v52
	v_lshlrev_b32_e32 v53, 7, v52
	v_mov_b64_e32 v[44:45], v[48:49]
	s_and_saveexec_b64 s[2:3], vcc
	s_cbranch_execz .LBB146_28
; %bb.27:
	v_lshlrev_b32_e32 v42, 1, v53
	v_mov_b32_e32 v43, 0
	v_lshl_add_u64 v[44:45], s[0:1], 0, v[42:43]
	v_lshlrev_b32_e32 v42, 1, v50
	v_lshl_add_u64 v[58:59], v[44:45], 0, v[42:43]
	global_load_dwordx4 v[46:49], v[58:59], off
	global_load_dwordx4 v[42:45], v[58:59], off offset:128
.LBB146_28:
	s_or_b64 exec, exec, s[2:3]
	v_lshrrev_b32_e32 v57, 3, v50
	v_lshlrev_b32_e32 v58, 3, v62
	v_or_b32_e32 v57, v58, v57
	v_lshlrev_b32_e32 v57, 4, v57
	v_and_b32_e32 v58, 0x78, v58
	v_xor_b32_e32 v57, v57, v58
	s_branch .LBB146_31
.LBB146_29:
                                        ; implicit-def: $vgpr57
                                        ; implicit-def: $vgpr53
                                        ; implicit-def: $vgpr38_vgpr39_vgpr40_vgpr41
                                        ; implicit-def: $vgpr34_vgpr35_vgpr36_vgpr37
                                        ; implicit-def: $vgpr46_vgpr47_vgpr48_vgpr49
                                        ; implicit-def: $vgpr42_vgpr43_vgpr44_vgpr45
	s_cbranch_execz .LBB146_31
; %bb.30:
	s_waitcnt vmcnt(0)
	v_lshlrev_b32_e32 v34, 1, v50
	v_lshl_or_b32 v53, v62, 8, v34
	s_and_b32 s1, s1, 0xffff
	s_mov_b32 s3, 0x20000
	s_movk_i32 s2, 0x4000
	v_lshl_or_b32 v57, v52, 8, v34
	s_movk_i32 s16, 0x80
	buffer_load_dwordx4 v[38:41], v53, s[0:3], 0 offen
	buffer_load_dwordx4 v[34:37], v53, s[0:3], s16 offen
	;; [unrolled: 1-line block ×4, first 2 shown]
	v_lshrrev_b32_e32 v53, 3, v50
	v_lshlrev_b32_e32 v57, 3, v62
	v_or_b32_e32 v53, v57, v53
	v_lshlrev_b32_e32 v53, 4, v53
	v_and_b32_e32 v57, 0x78, v57
	v_xor_b32_e32 v57, v53, v57
	v_lshlrev_b32_e32 v53, 7, v52
.LBB146_31:
	s_movk_i32 s0, 0x1000
	v_and_or_b32 v52, v53, s0, v57
	s_waitcnt vmcnt(1)
	ds_write_b64 v57, v[38:39] offset:49152
	v_xor_b32_e32 v38, 8, v57
	ds_write_b64 v38, v[40:41] offset:49152
	s_waitcnt vmcnt(0)
	ds_write_b64 v57, v[34:35] offset:57344
	ds_write_b64 v38, v[36:37] offset:57344
	;; [unrolled: 1-line block ×3, first 2 shown]
	v_xor_b32_e32 v34, 8, v52
	ds_write_b64 v34, v[48:49] offset:49152
	ds_write_b64 v52, v[42:43] offset:57344
	ds_write_b64 v34, v[44:45] offset:57344
	v_or_b32_e32 v34, v77, v97
	v_lshlrev_b32_e32 v34, 3, v34
	v_lshrrev_b32_e32 v35, 5, v79
	s_movk_i32 s0, 0xf8
	v_and_or_b32 v35, v34, s0, v35
	v_lshlrev_b32_e32 v39, 4, v35
	v_lshlrev_b32_e32 v57, 11, v1
	v_and_b32_e32 v40, 0x78, v34
	v_or_b32_e32 v42, 32, v39
	v_and_b32_e32 v38, 0x1000, v57
	v_lshrrev_b32_e32 v35, 1, v79
	v_xor_b32_e32 v42, v42, v40
	v_xor_b32_e32 v34, v39, v40
	v_and_b32_e32 v41, 8, v35
	v_or_b32_e32 v42, v42, v38
	v_or_b32_e32 v34, v34, v38
	v_xor_b32_e32 v64, v42, v41
	v_or_b32_e32 v42, 64, v39
	v_xor_b32_e32 v63, v34, v41
	v_xor_b32_e32 v42, v42, v40
	s_waitcnt lgkmcnt(0)
	s_barrier
	v_or_b32_e32 v45, v42, v38
	ds_read_b64 v[42:43], v63 offset:49152
	v_lshl_or_b32 v46, v96, 8, v56
	v_lshlrev_b32_e32 v58, 1, v46
	v_add_u32_e32 v44, 0x4000, v58
	ds_read2_b64 v[34:37], v44 offset1:16
	v_or_b32_e32 v39, 0x60, v39
	v_xor_b32_e32 v39, v39, v40
	v_or_b32_e32 v38, v39, v38
	v_xor_b32_e32 v65, v45, v41
	v_xor_b32_e32 v66, v38, v41
	ds_read_b64 v[52:53], v64 offset:49152
	ds_read_b64 v[68:69], v65 offset:49152
	;; [unrolled: 1-line block ×3, first 2 shown]
	s_waitcnt lgkmcnt(3)
	v_mfma_f32_16x16x16_bf16 a[0:3], v[42:43], v[34:35], 0
	ds_read2st64_b64 v[38:41], v58 offset0:36 offset1:40
	s_lshl_b64 s[0:1], s[42:43], 8
	s_add_u32 s4, s4, s0
	v_mfma_f32_16x16x16_bf16 a[4:7], v[42:43], v[36:37], 0
	ds_read2_b64 v[34:37], v44 offset0:32 offset1:48
	s_addc_u32 s5, s5, s1
	s_add_i32 s0, s49, s47
	s_waitcnt lgkmcnt(0)
	v_mfma_f32_16x16x16_bf16 a[8:11], v[42:43], v[34:35], 0
	v_or_b32_e32 v34, 64, v46
	v_lshlrev_b32_e32 v59, 1, v34
	s_add_i32 s18, s35, -1
	v_mfma_f32_16x16x16_bf16 a[12:15], v[42:43], v[36:37], 0
	ds_read2st64_b64 v[34:37], v59 offset0:36 offset1:40
	s_add_i32 s39, s0, s48
	s_add_i32 s0, s51, s50
	v_mfma_f32_16x16x16_bf16 a[0:3], v[52:53], v[38:39], a[0:3]
	v_or_b32_e32 v38, 0x80, v46
	v_lshlrev_b32_e32 v60, 1, v38
	ds_read2st64_b64 v[42:45], v60 offset0:36 offset1:40
	s_waitcnt lgkmcnt(1)
	v_mfma_f32_16x16x16_bf16 a[4:7], v[52:53], v[34:35], a[4:7]
	v_or_b32_e32 v34, 0xc0, v46
	v_lshlrev_b32_e32 v61, 1, v34
	ds_read2st64_b64 v[46:49], v61 offset0:36 offset1:40
	s_add_i32 s37, s0, s52
	s_ashr_i32 s0, s18, 31
	s_mul_i32 s1, s18, s23
	s_mul_hi_u32 s2, s18, s22
	s_add_i32 s1, s2, s1
	s_mul_i32 s0, s0, s22
	s_waitcnt lgkmcnt(1)
	v_mfma_f32_16x16x16_bf16 a[8:11], v[52:53], v[42:43], a[8:11]
	s_add_i32 s1, s1, s0
	s_lshl_b64 s[2:3], s[38:39], 2
	s_add_u32 s10, s10, s2
	s_waitcnt lgkmcnt(0)
	v_mfma_f32_16x16x16_bf16 a[12:15], v[52:53], v[46:47], a[12:15]
	s_addc_u32 s11, s11, s3
	s_lshl_b64 s[2:3], s[36:37], 2
	s_mul_i32 s0, s18, s22
	v_mfma_f32_16x16x16_bf16 a[0:3], v[68:69], v[40:41], a[0:3]
	ds_read_b64 v[34:35], v58 offset:22528
	s_add_u32 s10, s10, s2
	s_addc_u32 s11, s11, s3
	v_mfma_f32_16x16x16_bf16 a[4:7], v[68:69], v[36:37], a[4:7]
	ds_read_b64 v[36:37], v59 offset:22528
	ds_read_b64 v[38:39], v60 offset:22528
	ds_read_b64 v[40:41], v61 offset:22528
	s_lshl_b64 s[0:1], s[0:1], 2
	s_add_u32 s0, s10, s0
	v_mfma_f32_16x16x16_bf16 a[8:11], v[68:69], v[44:45], a[8:11]
	s_addc_u32 s1, s11, s1
	s_load_dword s16, s[0:1], 0x0
	s_and_b64 vcc, exec, s[30:31]
	v_mfma_f32_16x16x16_bf16 a[12:15], v[68:69], v[48:49], a[12:15]
	s_waitcnt lgkmcnt(0)
	v_mfma_f32_16x16x16_bf16 a[0:3], v[70:71], v[34:35], a[0:3]
	v_mfma_f32_16x16x16_bf16 a[4:7], v[70:71], v[36:37], a[4:7]
	;; [unrolled: 1-line block ×4, first 2 shown]
	s_cbranch_vccz .LBB146_42
; %bb.32:
	v_lshlrev_b32_e32 v52, 1, v62
	s_and_b64 vcc, exec, s[6:7]
	s_cbranch_vccz .LBB146_43
; %bb.33:
	v_cmp_gt_i32_e32 vcc, s44, v52
	v_mov_b32_e32 v38, 0
	v_mov_b32_e32 v34, 0
	;; [unrolled: 1-line block ×5, first 2 shown]
	s_and_saveexec_b64 s[0:1], vcc
	s_cbranch_execz .LBB146_35
; %bb.34:
	v_mad_i64_i32 v[34:35], s[2:3], s19, v52, 0
	v_lshl_add_u64 v[34:35], v[34:35], 1, s[4:5]
	v_lshlrev_b32_e32 v36, 1, v50
	v_mov_b32_e32 v37, 0
	v_lshl_add_u64 v[34:35], v[34:35], 0, v[36:37]
	global_load_dwordx4 v[34:37], v[34:35], off
.LBB146_35:
	s_or_b64 exec, exec, s[0:1]
	v_or_b32_e32 v53, 1, v52
	v_cmp_gt_i32_e64 s[0:1], s44, v53
	v_mov_b32_e32 v39, 0
	v_mov_b32_e32 v40, 0
	;; [unrolled: 1-line block ×3, first 2 shown]
	s_and_saveexec_b64 s[2:3], s[0:1]
	s_cbranch_execz .LBB146_37
; %bb.36:
	v_mad_i64_i32 v[38:39], s[24:25], s19, v53, 0
	v_lshl_add_u64 v[38:39], v[38:39], 1, s[4:5]
	v_lshlrev_b32_e32 v40, 1, v50
	v_mov_b32_e32 v41, 0
	v_lshl_add_u64 v[38:39], v[38:39], 0, v[40:41]
	global_load_dwordx4 v[38:41], v[38:39], off
.LBB146_37:
	s_or_b64 exec, exec, s[2:3]
	v_mov_b32_e32 v49, 0
	v_mov_b32_e32 v42, 0
	;; [unrolled: 1-line block ×5, first 2 shown]
	s_and_saveexec_b64 s[2:3], vcc
	s_cbranch_execz .LBB146_39
; %bb.38:
	v_mad_i64_i32 v[42:43], s[24:25], s19, v52, 0
	v_lshl_add_u64 v[42:43], v[42:43], 1, s[4:5]
	v_lshlrev_b32_e32 v44, 1, v50
	v_mov_b32_e32 v45, 0
	v_lshl_add_u64 v[42:43], v[42:43], 0, v[44:45]
	global_load_dwordx4 v[42:45], v[42:43], off offset:128
.LBB146_39:
	s_or_b64 exec, exec, s[2:3]
	v_mov_b32_e32 v48, 0
	v_mov_b32_e32 v47, 0
	;; [unrolled: 1-line block ×3, first 2 shown]
	s_and_saveexec_b64 s[2:3], s[0:1]
	s_cbranch_execz .LBB146_41
; %bb.40:
	v_mad_i64_i32 v[46:47], s[0:1], s19, v53, 0
	v_lshl_add_u64 v[46:47], v[46:47], 1, s[4:5]
	v_lshlrev_b32_e32 v48, 1, v50
	v_mov_b32_e32 v49, 0
	v_lshl_add_u64 v[46:47], v[46:47], 0, v[48:49]
	global_load_dwordx4 v[46:49], v[46:47], off offset:128
.LBB146_41:
	s_or_b64 exec, exec, s[2:3]
	s_branch .LBB146_45
.LBB146_42:
                                        ; implicit-def: $vgpr37
                                        ; implicit-def: $vgpr41
                                        ; implicit-def: $vgpr45
                                        ; implicit-def: $vgpr49
	v_lshrrev_b32_e32 v67, 2, v79
	s_branch .LBB146_46
.LBB146_43:
                                        ; implicit-def: $vgpr37
                                        ; implicit-def: $vgpr41
                                        ; implicit-def: $vgpr45
                                        ; implicit-def: $vgpr49
	s_cbranch_execz .LBB146_45
; %bb.44:
	s_waitcnt vmcnt(0)
	v_mad_u64_u32 v[34:35], s[0:1], v52, s19, v[50:51]
	v_lshlrev_b32_e32 v52, 1, v34
	s_lshl_b32 s2, s19, 7
	s_and_b32 s1, s5, 0xffff
	s_mov_b32 s3, 0x20000
	s_mov_b32 s0, s4
	v_add_lshl_u32 v53, v34, s19, 1
	s_movk_i32 s19, 0x80
	buffer_load_dwordx4 v[34:37], v52, s[0:3], 0 offen
	buffer_load_dwordx4 v[42:45], v52, s[0:3], s19 offen
	;; [unrolled: 1-line block ×4, first 2 shown]
.LBB146_45:
	v_lshrrev_b32_e32 v67, 2, v79
	s_cbranch_execnz .LBB146_58
.LBB146_46:
	s_and_b64 vcc, exec, s[6:7]
	s_cbranch_vccz .LBB146_56
; %bb.47:
	s_waitcnt vmcnt(0)
	v_lshlrev_b32_e32 v39, 1, v62
	v_cmp_gt_i32_e32 vcc, s44, v39
	v_mov_b32_e32 v38, 0
	v_lshlrev_b32_e32 v46, 9, v62
	v_mov_b32_e32 v34, 0
	v_mov_b32_e32 v35, 0
	;; [unrolled: 1-line block ×4, first 2 shown]
	s_and_saveexec_b64 s[0:1], vcc
	s_cbranch_execz .LBB146_49
; %bb.48:
	v_mov_b32_e32 v47, 0
	v_lshl_add_u64 v[34:35], s[4:5], 0, v[46:47]
	v_lshlrev_b32_e32 v36, 1, v50
	v_mov_b32_e32 v37, v47
	v_lshl_add_u64 v[34:35], v[34:35], 0, v[36:37]
	global_load_dwordx4 v[34:37], v[34:35], off
.LBB146_49:
	s_or_b64 exec, exec, s[0:1]
	v_or_b32_e32 v39, 1, v39
	v_cmp_gt_i32_e64 s[0:1], s44, v39
	v_lshlrev_b32_e32 v52, 8, v39
	v_mov_b32_e32 v39, 0
	v_mov_b32_e32 v40, 0
	;; [unrolled: 1-line block ×3, first 2 shown]
	s_and_saveexec_b64 s[2:3], s[0:1]
	s_cbranch_execz .LBB146_51
; %bb.50:
	v_mov_b32_e32 v53, 0
	v_lshl_add_u64 v[38:39], s[4:5], 0, v[52:53]
	v_lshlrev_b32_e32 v40, 1, v50
	v_mov_b32_e32 v41, v53
	v_lshl_add_u64 v[38:39], v[38:39], 0, v[40:41]
	global_load_dwordx4 v[38:41], v[38:39], off
.LBB146_51:
	s_or_b64 exec, exec, s[2:3]
	v_mov_b32_e32 v49, 0
	v_mov_b32_e32 v42, 0
	;; [unrolled: 1-line block ×5, first 2 shown]
	s_and_saveexec_b64 s[2:3], vcc
	s_cbranch_execz .LBB146_53
; %bb.52:
	v_mov_b32_e32 v47, 0
	v_lshl_add_u64 v[42:43], s[4:5], 0, v[46:47]
	v_lshlrev_b32_e32 v46, 1, v50
	v_lshl_add_u64 v[42:43], v[42:43], 0, v[46:47]
	global_load_dwordx4 v[42:45], v[42:43], off offset:128
.LBB146_53:
	s_or_b64 exec, exec, s[2:3]
	v_mov_b32_e32 v48, 0
	v_mov_b32_e32 v47, 0
	;; [unrolled: 1-line block ×3, first 2 shown]
	s_and_saveexec_b64 s[2:3], s[0:1]
	s_cbranch_execz .LBB146_55
; %bb.54:
	v_mov_b32_e32 v53, 0
	v_lshl_add_u64 v[46:47], s[4:5], 0, v[52:53]
	v_lshlrev_b32_e32 v52, 1, v50
	v_lshl_add_u64 v[46:47], v[46:47], 0, v[52:53]
	global_load_dwordx4 v[46:49], v[46:47], off offset:128
.LBB146_55:
	s_or_b64 exec, exec, s[2:3]
	s_branch .LBB146_58
.LBB146_56:
                                        ; implicit-def: $vgpr37
                                        ; implicit-def: $vgpr41
                                        ; implicit-def: $vgpr45
                                        ; implicit-def: $vgpr49
	s_cbranch_execz .LBB146_58
; %bb.57:
	s_waitcnt vmcnt(0)
	v_lshlrev_b32_e32 v34, 1, v50
	v_lshl_or_b32 v50, v62, 9, v34
	s_and_b32 s5, s5, 0xffff
	s_mov_b32 s7, 0x20000
	s_movk_i32 s6, 0x4000
	s_movk_i32 s0, 0x80
	buffer_load_dwordx4 v[34:37], v50, s[4:7], 0 offen
	buffer_load_dwordx4 v[38:41], v50, s[4:7], 0 offen offset:256
	buffer_load_dwordx4 v[42:45], v50, s[4:7], s0 offen
	buffer_load_dwordx4 v[46:49], v50, s[4:7], s0 offen offset:256
.LBB146_58:
	ds_read_b64 v[52:53], v63 offset:57344
	v_add_u32_e32 v50, 0x6000, v58
	ds_read2_b64 v[68:71], v50 offset1:16
	ds_read_b64 v[94:95], v64 offset:57344
	ds_read_b64 v[96:97], v65 offset:57344
	;; [unrolled: 1-line block ×3, first 2 shown]
	v_and_b32_e32 v63, 6, v0
	v_xor_b32_e32 v62, v62, v63
	v_lshlrev_b32_e32 v62, 2, v62
	s_mov_b32 s0, 0x1000504
	s_mov_b32 s1, 0x3020706
	s_waitcnt lgkmcnt(3)
	v_mfma_f32_16x16x16_bf16 a[0:3], v[52:53], v[68:69], a[0:3]
	v_mfma_f32_16x16x16_bf16 a[4:7], v[52:53], v[70:71], a[4:7]
	ds_read2_b64 v[68:71], v50 offset0:32 offset1:48
	v_and_b32_e32 v50, 12, v67
	ds_read2st64_b64 v[64:67], v58 offset0:52 offset1:56
	s_waitcnt lgkmcnt(1)
	v_mfma_f32_16x16x16_bf16 a[8:11], v[52:53], v[68:69], a[8:11]
	v_mfma_f32_16x16x16_bf16 a[12:15], v[52:53], v[70:71], a[12:15]
	ds_read2st64_b64 v[68:71], v59 offset0:52 offset1:56
	ds_read2st64_b64 v[72:75], v60 offset0:52 offset1:56
	;; [unrolled: 1-line block ×3, first 2 shown]
	s_waitcnt lgkmcnt(3)
	v_mfma_f32_16x16x16_bf16 a[0:3], v[94:95], v[64:65], a[0:3]
	ds_read_b64 v[52:53], v58 offset:30720
	ds_read_b64 v[64:65], v59 offset:30720
	;; [unrolled: 1-line block ×4, first 2 shown]
	s_waitcnt lgkmcnt(6)
	v_mfma_f32_16x16x16_bf16 a[4:7], v[94:95], v[68:69], a[4:7]
	v_and_b32_e32 v68, 1, v0
	v_xor_b32_e32 v69, 0x440, v62
	v_cmp_eq_u32_e32 vcc, 0, v68
	s_waitcnt lgkmcnt(5)
	v_mfma_f32_16x16x16_bf16 a[8:11], v[94:95], v[72:73], a[8:11]
	v_cndmask_b32_e32 v62, v69, v62, vcc
	v_lshl_or_b32 v62, v63, 10, v62
	s_waitcnt lgkmcnt(4)
	v_mfma_f32_16x16x16_bf16 a[12:15], v[94:95], v[90:91], a[12:15]
	s_waitcnt vmcnt(0)
	v_perm_b32 v63, v34, v38, s0
	v_perm_b32 v34, v34, v38, s1
	;; [unrolled: 1-line block ×3, first 2 shown]
	v_mfma_f32_16x16x16_bf16 a[0:3], v[96:97], v[66:67], a[0:3]
	v_perm_b32 v66, v42, v46, s0
	ds_write2st64_b32 v62, v63, v66 offset0:128 offset1:160
	v_xor_b32_e32 v63, 8, v62
	v_add_u32_e32 v42, 0x80, v63
	ds_write2st64_b32 v42, v34, v38 offset0:128 offset1:160
	v_xor_b32_e32 v34, 16, v62
	v_perm_b32 v38, v35, v39, s0
	v_perm_b32 v42, v43, v47, s0
	v_mfma_f32_16x16x16_bf16 a[4:7], v[96:97], v[70:71], a[4:7]
	ds_write2st64_b32 v34, v38, v42 offset0:129 offset1:161
	v_xor_b32_e32 v34, 24, v62
	v_perm_b32 v35, v35, v39, s1
	v_mfma_f32_16x16x16_bf16 a[16:19], v[96:97], v[74:75], a[8:11]
	v_perm_b32 v38, v43, v47, s1
	v_add_u32_e32 v34, 0x80, v34
	ds_write2st64_b32 v34, v35, v38 offset0:129 offset1:161
	v_mfma_f32_16x16x16_bf16 a[20:23], v[96:97], v[92:93], a[12:15]
	v_xor_b32_e32 v34, 32, v62
	v_perm_b32 v35, v36, v40, s0
	v_perm_b32 v38, v44, v48, s0
	ds_write2st64_b32 v34, v35, v38 offset0:130 offset1:162
	v_xor_b32_e32 v34, 40, v62
	s_waitcnt lgkmcnt(8)
	v_mfma_f32_16x16x16_bf16 a[12:15], v[98:99], v[52:53], a[0:3]
	v_perm_b32 v35, v36, v40, s1
	v_perm_b32 v36, v44, v48, s1
	v_add_u32_e32 v34, 0x80, v34
	s_waitcnt lgkmcnt(7)
	v_mfma_f32_16x16x16_bf16 a[8:11], v[98:99], v[64:65], a[4:7]
	ds_write2st64_b32 v34, v35, v36 offset0:130 offset1:162
	v_xor_b32_e32 v34, 48, v62
	v_perm_b32 v35, v37, v41, s0
	s_waitcnt lgkmcnt(7)
	v_mfma_f32_16x16x16_bf16 a[4:7], v[98:99], v[100:101], a[16:19]
	v_perm_b32 v36, v45, v49, s0
	ds_write2st64_b32 v34, v35, v36 offset0:131 offset1:163
	v_xor_b32_e32 v34, 56, v62
	s_waitcnt lgkmcnt(7)
	v_mfma_f32_16x16x16_bf16 a[0:3], v[98:99], v[102:103], a[20:23]
	v_or_b32_e32 v48, v50, v77
	v_perm_b32 v35, v37, v41, s1
	v_perm_b32 v36, v45, v49, s1
	v_add_u32_e32 v34, 0x80, v34
	v_cmp_gt_i32_e64 s[0:1], s44, v48
	v_mov_b32_e32 v52, 0
	v_mov_b32_e32 v53, 0
	ds_write2st64_b32 v34, v35, v36 offset0:131 offset1:163
	s_and_saveexec_b64 s[2:3], s[0:1]
	s_cbranch_execz .LBB146_60
; %bb.59:
	v_add_u32_e32 v34, s34, v48
	v_ashrrev_i32_e32 v35, 31, v34
	v_mul_lo_u32 v36, v35, s22
	v_mul_lo_u32 v37, v34, s23
	v_mad_u64_u32 v[34:35], s[4:5], v34, s22, 0
	v_add3_u32 v35, v35, v37, v36
	v_lshl_add_u64 v[34:35], v[34:35], 2, s[10:11]
	global_load_dword v34, v[34:35], off
	s_waitcnt vmcnt(0)
	v_sub_f32_e32 v34, s16, v34
	v_exp_f32_e32 v53, v34
.LBB146_60:
	s_or_b64 exec, exec, s[2:3]
	v_or_b32_e32 v40, 1, v48
	v_cmp_gt_i32_e64 s[2:3], s44, v40
	s_and_saveexec_b64 s[4:5], s[2:3]
	s_cbranch_execz .LBB146_62
; %bb.61:
	v_add_u32_e32 v34, s34, v40
	v_ashrrev_i32_e32 v35, 31, v34
	v_mul_lo_u32 v36, v35, s22
	v_mul_lo_u32 v37, v34, s23
	v_mad_u64_u32 v[34:35], s[6:7], v34, s22, 0
	v_add3_u32 v35, v35, v37, v36
	v_lshl_add_u64 v[34:35], v[34:35], 2, s[10:11]
	global_load_dword v34, v[34:35], off
	s_waitcnt vmcnt(0)
	v_sub_f32_e32 v34, s16, v34
	v_exp_f32_e32 v52, v34
.LBB146_62:
	s_or_b64 exec, exec, s[4:5]
	v_or_b32_e32 v41, 2, v48
	v_cmp_gt_i32_e64 s[4:5], s44, v41
	v_mov_b32_e32 v49, 0
	v_mov_b32_e32 v62, 0
	s_and_saveexec_b64 s[6:7], s[4:5]
	s_cbranch_execz .LBB146_64
; %bb.63:
	v_add_u32_e32 v34, s34, v41
	v_ashrrev_i32_e32 v35, 31, v34
	v_mul_lo_u32 v36, v35, s22
	v_mul_lo_u32 v37, v34, s23
	v_mad_u64_u32 v[34:35], s[24:25], v34, s22, 0
	v_add3_u32 v35, v35, v37, v36
	v_lshl_add_u64 v[34:35], v[34:35], 2, s[10:11]
	global_load_dword v34, v[34:35], off
	s_waitcnt vmcnt(0)
	v_sub_f32_e32 v34, s16, v34
	v_exp_f32_e32 v62, v34
.LBB146_64:
	s_or_b64 exec, exec, s[6:7]
	v_or_b32_e32 v63, 3, v48
	v_cmp_gt_i32_e32 vcc, s44, v63
	s_and_saveexec_b64 s[6:7], vcc
	s_cbranch_execz .LBB146_66
; %bb.65:
	v_add_u32_e32 v34, s34, v63
	v_ashrrev_i32_e32 v35, 31, v34
	v_mul_lo_u32 v36, v35, s22
	v_mul_lo_u32 v37, v34, s23
	v_mad_u64_u32 v[34:35], s[22:23], v34, s22, 0
	v_add3_u32 v35, v35, v37, v36
	v_lshl_add_u64 v[34:35], v[34:35], 2, s[10:11]
	global_load_dword v34, v[34:35], off
	s_waitcnt vmcnt(0)
	v_sub_f32_e32 v34, s16, v34
	v_exp_f32_e32 v49, v34
.LBB146_66:
	s_or_b64 exec, exec, s[6:7]
	s_add_u32 s6, s8, s28
	v_accvgpr_read_b32 v37, a15
	s_addc_u32 s7, s9, s29
	v_ashrrev_i32_e32 v89, 31, v88
	v_accvgpr_read_b32 v36, a14
	v_accvgpr_read_b32 v35, a13
	v_accvgpr_read_b32 v34, a12
	v_lshl_add_u64 v[38:39], v[88:89], 1, s[6:7]
	v_mov_b32_e32 v45, 0
	v_lshlrev_b32_e32 v42, 8, v48
	v_mov_b32_e32 v43, 0
	s_and_saveexec_b64 s[6:7], s[0:1]
	s_cbranch_execz .LBB146_68
; %bb.67:
	v_mov_b32_e32 v43, 0
	v_lshl_add_u64 v[46:47], v[38:39], 0, v[42:43]
	global_load_ushort v43, v[46:47], off
	s_waitcnt vmcnt(0)
	v_lshlrev_b32_e32 v43, 16, v43
	v_sub_f32_e32 v34, v43, v34
	v_mul_f32_e32 v34, v53, v34
	v_lshrrev_b32_e32 v43, 16, v34
.LBB146_68:
	s_or_b64 exec, exec, s[6:7]
	v_lshlrev_b32_e32 v44, 8, v40
	s_and_saveexec_b64 s[6:7], s[2:3]
	s_cbranch_execz .LBB146_70
; %bb.69:
	v_mov_b32_e32 v45, 0
	v_lshl_add_u64 v[46:47], v[38:39], 0, v[44:45]
	global_load_ushort v34, v[46:47], off
	s_waitcnt vmcnt(0)
	v_lshlrev_b32_e32 v34, 16, v34
	v_sub_f32_e32 v34, v34, v35
	v_mul_f32_e32 v34, v52, v34
	v_lshrrev_b32_e32 v45, 16, v34
.LBB146_70:
	s_or_b64 exec, exec, s[6:7]
	v_mov_b32_e32 v64, 0
	v_lshlrev_b32_e32 v46, 8, v41
	v_mov_b32_e32 v47, 0
	s_and_saveexec_b64 s[6:7], s[4:5]
	s_cbranch_execz .LBB146_72
; %bb.71:
	v_mov_b32_e32 v47, 0
	v_lshl_add_u64 v[34:35], v[38:39], 0, v[46:47]
	global_load_ushort v34, v[34:35], off
	s_waitcnt vmcnt(0)
	v_lshlrev_b32_e32 v34, 16, v34
	v_sub_f32_e32 v34, v34, v36
	v_mul_f32_e32 v34, v62, v34
	v_lshrrev_b32_e32 v47, 16, v34
.LBB146_72:
	s_or_b64 exec, exec, s[6:7]
	v_lshlrev_b32_e32 v40, 8, v63
	s_and_saveexec_b64 s[6:7], vcc
	s_cbranch_execz .LBB146_74
; %bb.73:
	v_mov_b32_e32 v41, 0
	v_lshl_add_u64 v[34:35], v[38:39], 0, v[40:41]
	global_load_ushort v34, v[34:35], off
	s_waitcnt vmcnt(0)
	v_lshlrev_b32_e32 v34, 16, v34
	v_sub_f32_e32 v34, v34, v37
	v_mul_f32_e32 v34, v49, v34
	v_lshrrev_b32_e32 v64, 16, v34
.LBB146_74:
	s_or_b64 exec, exec, s[6:7]
	v_lshlrev_b32_e32 v63, 6, v48
	v_accvgpr_read_b32 v37, a11
	s_mov_b32 s6, 0x5040100
	v_or_b32_e32 v41, v63, v56
	v_accvgpr_read_b32 v36, a10
	v_accvgpr_read_b32 v35, a9
	;; [unrolled: 1-line block ×3, first 2 shown]
	v_perm_b32 v65, v64, v47, s6
	v_perm_b32 v64, v45, v43, s6
	v_lshlrev_b32_e32 v41, 1, v41
	v_mov_b32_e32 v45, 0
	v_mov_b32_e32 v43, 0
	ds_write_b64 v41, v[64:65] offset:24576
	s_and_saveexec_b64 s[6:7], s[0:1]
	s_cbranch_execz .LBB146_76
; %bb.75:
	v_mov_b32_e32 v43, 0
	v_lshl_add_u64 v[64:65], v[38:39], 0, v[42:43]
	global_load_ushort v41, v[64:65], off offset:32
	s_waitcnt vmcnt(0)
	v_lshlrev_b32_e32 v41, 16, v41
	v_sub_f32_e32 v34, v41, v34
	v_mul_f32_e32 v34, v53, v34
	v_lshrrev_b32_e32 v43, 16, v34
.LBB146_76:
	s_or_b64 exec, exec, s[6:7]
	s_and_saveexec_b64 s[6:7], s[2:3]
	s_cbranch_execz .LBB146_78
; %bb.77:
	v_mov_b32_e32 v45, 0
	v_lshl_add_u64 v[64:65], v[38:39], 0, v[44:45]
	global_load_ushort v34, v[64:65], off offset:32
	s_waitcnt vmcnt(0)
	v_lshlrev_b32_e32 v34, 16, v34
	v_sub_f32_e32 v34, v34, v35
	v_mul_f32_e32 v34, v52, v34
	v_lshrrev_b32_e32 v45, 16, v34
.LBB146_78:
	s_or_b64 exec, exec, s[6:7]
	v_mov_b32_e32 v41, 0
	v_mov_b32_e32 v47, 0
	s_and_saveexec_b64 s[6:7], s[4:5]
	s_cbranch_execz .LBB146_80
; %bb.79:
	v_mov_b32_e32 v47, 0
	v_lshl_add_u64 v[34:35], v[38:39], 0, v[46:47]
	global_load_ushort v34, v[34:35], off offset:32
	s_waitcnt vmcnt(0)
	v_lshlrev_b32_e32 v34, 16, v34
	v_sub_f32_e32 v34, v34, v36
	v_mul_f32_e32 v34, v62, v34
	v_lshrrev_b32_e32 v47, 16, v34
.LBB146_80:
	s_or_b64 exec, exec, s[6:7]
	s_and_saveexec_b64 s[6:7], vcc
	s_cbranch_execz .LBB146_82
; %bb.81:
	v_mov_b32_e32 v41, 0
	v_lshl_add_u64 v[34:35], v[38:39], 0, v[40:41]
	global_load_ushort v34, v[34:35], off offset:32
	s_waitcnt vmcnt(0)
	v_lshlrev_b32_e32 v34, 16, v34
	v_sub_f32_e32 v34, v34, v37
	v_mul_f32_e32 v34, v49, v34
	v_lshrrev_b32_e32 v41, 16, v34
.LBB146_82:
	s_or_b64 exec, exec, s[6:7]
	s_mov_b32 s6, 0x5040100
	v_accvgpr_read_b32 v37, a7
	v_perm_b32 v65, v41, v47, s6
	v_or_b32_e32 v41, v63, v55
	v_accvgpr_read_b32 v36, a6
	v_accvgpr_read_b32 v35, a5
	;; [unrolled: 1-line block ×3, first 2 shown]
	v_perm_b32 v64, v45, v43, s6
	v_lshlrev_b32_e32 v41, 1, v41
	v_mov_b32_e32 v45, 0
	v_mov_b32_e32 v43, 0
	ds_write_b64 v41, v[64:65] offset:24576
	s_and_saveexec_b64 s[6:7], s[0:1]
	s_cbranch_execz .LBB146_84
; %bb.83:
	v_mov_b32_e32 v43, 0
	v_lshl_add_u64 v[64:65], v[38:39], 0, v[42:43]
	global_load_ushort v41, v[64:65], off offset:64
	s_waitcnt vmcnt(0)
	v_lshlrev_b32_e32 v41, 16, v41
	v_sub_f32_e32 v34, v41, v34
	v_mul_f32_e32 v34, v53, v34
	v_lshrrev_b32_e32 v43, 16, v34
.LBB146_84:
	s_or_b64 exec, exec, s[6:7]
	s_and_saveexec_b64 s[6:7], s[2:3]
	s_cbranch_execz .LBB146_86
; %bb.85:
	v_mov_b32_e32 v45, 0
	v_lshl_add_u64 v[64:65], v[38:39], 0, v[44:45]
	global_load_ushort v34, v[64:65], off offset:64
	s_waitcnt vmcnt(0)
	v_lshlrev_b32_e32 v34, 16, v34
	v_sub_f32_e32 v34, v34, v35
	v_mul_f32_e32 v34, v52, v34
	v_lshrrev_b32_e32 v45, 16, v34
.LBB146_86:
	s_or_b64 exec, exec, s[6:7]
	v_mov_b32_e32 v41, 0
	v_mov_b32_e32 v47, 0
	s_and_saveexec_b64 s[6:7], s[4:5]
	s_cbranch_execz .LBB146_88
; %bb.87:
	v_mov_b32_e32 v47, 0
	v_lshl_add_u64 v[34:35], v[38:39], 0, v[46:47]
	global_load_ushort v34, v[34:35], off offset:64
	s_waitcnt vmcnt(0)
	v_lshlrev_b32_e32 v34, 16, v34
	v_sub_f32_e32 v34, v34, v36
	v_mul_f32_e32 v34, v62, v34
	v_lshrrev_b32_e32 v47, 16, v34
.LBB146_88:
	s_or_b64 exec, exec, s[6:7]
	s_and_saveexec_b64 s[6:7], vcc
	s_cbranch_execz .LBB146_90
; %bb.89:
	v_mov_b32_e32 v41, 0
	v_lshl_add_u64 v[34:35], v[38:39], 0, v[40:41]
	global_load_ushort v34, v[34:35], off offset:64
	s_waitcnt vmcnt(0)
	v_lshlrev_b32_e32 v34, 16, v34
	v_sub_f32_e32 v34, v34, v37
	v_mul_f32_e32 v34, v49, v34
	v_lshrrev_b32_e32 v41, 16, v34
.LBB146_90:
	s_or_b64 exec, exec, s[6:7]
	s_mov_b32 s6, 0x5040100
	v_accvgpr_read_b32 v37, a3
	v_perm_b32 v65, v41, v47, s6
	v_or_b32_e32 v41, v63, v54
	v_accvgpr_read_b32 v36, a2
	v_accvgpr_read_b32 v35, a1
	v_accvgpr_read_b32 v34, a0
	v_perm_b32 v64, v45, v43, s6
	v_lshlrev_b32_e32 v41, 1, v41
	v_mov_b32_e32 v45, 0
	v_mov_b32_e32 v43, 0
	ds_write_b64 v41, v[64:65] offset:24576
	s_and_saveexec_b64 s[6:7], s[0:1]
	s_cbranch_execz .LBB146_92
; %bb.91:
	v_mov_b32_e32 v43, 0
	v_lshl_add_u64 v[42:43], v[38:39], 0, v[42:43]
	global_load_ushort v41, v[42:43], off offset:96
	s_waitcnt vmcnt(0)
	v_lshlrev_b32_e32 v41, 16, v41
	v_sub_f32_e32 v34, v41, v34
	v_mul_f32_e32 v34, v53, v34
	v_lshrrev_b32_e32 v43, 16, v34
.LBB146_92:
	s_or_b64 exec, exec, s[6:7]
	s_and_saveexec_b64 s[0:1], s[2:3]
	s_cbranch_execz .LBB146_94
; %bb.93:
	v_mov_b32_e32 v45, 0
	v_lshl_add_u64 v[44:45], v[38:39], 0, v[44:45]
	global_load_ushort v34, v[44:45], off offset:96
	s_waitcnt vmcnt(0)
	v_lshlrev_b32_e32 v34, 16, v34
	v_sub_f32_e32 v34, v34, v35
	v_mul_f32_e32 v34, v52, v34
	v_lshrrev_b32_e32 v45, 16, v34
.LBB146_94:
	s_or_b64 exec, exec, s[0:1]
	v_mov_b32_e32 v41, 0
	v_mov_b32_e32 v44, 0
	s_and_saveexec_b64 s[0:1], s[4:5]
	s_cbranch_execz .LBB146_96
; %bb.95:
	v_mov_b32_e32 v47, 0
	v_lshl_add_u64 v[34:35], v[38:39], 0, v[46:47]
	global_load_ushort v34, v[34:35], off offset:96
	s_waitcnt vmcnt(0)
	v_lshlrev_b32_e32 v34, 16, v34
	v_sub_f32_e32 v34, v34, v36
	v_mul_f32_e32 v34, v62, v34
	v_lshrrev_b32_e32 v44, 16, v34
.LBB146_96:
	s_or_b64 exec, exec, s[0:1]
	v_or_b32_e32 v34, 0x6000, v58
	v_or_b32_e32 v35, 0x6000, v59
	;; [unrolled: 1-line block ×4, first 2 shown]
	s_and_saveexec_b64 s[0:1], vcc
	s_cbranch_execz .LBB146_98
; %bb.97:
	v_mov_b32_e32 v41, 0
	v_lshl_add_u64 v[38:39], v[38:39], 0, v[40:41]
	global_load_ushort v38, v[38:39], off offset:96
	s_waitcnt vmcnt(0)
	v_lshlrev_b32_e32 v38, 16, v38
	v_sub_f32_e32 v37, v38, v37
	v_mul_f32_e32 v37, v49, v37
	v_lshrrev_b32_e32 v41, 16, v37
.LBB146_98:
	s_or_b64 exec, exec, s[0:1]
	s_mov_b32 s0, 0x5040100
	v_or_b32_e32 v37, v63, v51
	v_perm_b32 v39, v41, v44, s0
	v_perm_b32 v38, v45, v43, s0
	v_lshlrev_b32_e32 v37, 1, v37
	ds_write_b64 v37, v[38:39] offset:24576
	v_and_b32_e32 v37, 7, v0
	v_and_b32_e32 v43, 8, v0
	v_lshlrev_b32_e32 v49, 3, v37
	v_lshlrev_b32_e32 v79, 7, v37
	v_lshrrev_b32_e32 v37, 1, v0
	v_and_b32_e32 v37, 24, v37
	v_mov_b32_e32 v44, 0x400
	v_cmp_eq_u32_e32 vcc, 0, v43
	s_movk_i32 s2, 0x100
	v_lshlrev_b32_e32 v51, 3, v1
	v_cndmask_b32_e64 v43, v44, 64, vcc
	v_mov_b32_e32 v44, 0xa000
	v_mov_b32_e32 v45, 0x8000
	v_cmp_gt_u32_e64 s[0:1], s2, v0
	v_xor_b32_e32 v56, v51, v37
	v_or3_b32 v43, v57, v43, v56
	v_cndmask_b32_e64 v0, v44, v45, s[0:1]
	v_or_b32_e32 v44, 0x440, v56
	v_cndmask_b32_e32 v44, v44, v56, vcc
	v_or_b32_e32 v44, v44, v57
	v_xor_b32_e32 v43, v43, v49
	v_xor_b32_e32 v90, v44, v49
	v_or_b32_e32 v92, v43, v79
	v_add3_u32 v44, v0, v90, v79
	v_or_b32_e32 v43, v0, v92
	s_waitcnt lgkmcnt(0)
	s_barrier
	ds_read_b64 v[58:59], v44
	ds_read_b64 v[74:75], v43
	v_or_b32_e32 v44, 32, v37
	v_or_b32_e32 v37, 0x60, v37
	v_xor_b32_e32 v44, v51, v44
	v_xor_b32_e32 v37, v51, v37
	v_or_b32_e32 v45, 0x440, v44
	v_xor_b32_e32 v43, 0x440, v37
	v_cndmask_b32_e32 v44, v45, v44, vcc
	v_cndmask_b32_e32 v37, v43, v37, vcc
	v_or_b32_e32 v44, v44, v57
	v_or_b32_e32 v37, v37, v57
	v_xor_b32_e32 v91, v44, v49
	v_xor_b32_e32 v93, v37, v49
	v_add3_u32 v44, v0, v91, v79
	v_add3_u32 v0, v0, v93, v79
	ds_read2_b64 v[38:41], v34 offset1:16
	ds_read_b64 v[70:71], v44
	ds_read_b64 v[56:57], v0
	ds_read2_b64 v[44:47], v34 offset0:32 offset1:48
	s_mul_i32 s0, s18, s17
	s_waitcnt lgkmcnt(3)
	v_mfma_f32_16x16x16_bf16 a[0:3], v[58:59], v[38:39], 0
	ds_read2st64_b64 v[52:55], v34 offset0:4 offset1:8
	s_mul_hi_i32 s1, s18, s17
	s_add_u32 s0, s0, s33
	v_mfma_f32_16x16x16_bf16 a[4:7], v[58:59], v[40:41], 0
	ds_read2st64_b64 v[62:65], v36 offset0:4 offset1:8
	ds_read2st64_b64 v[66:69], v42 offset0:4 offset1:8
	s_addc_u32 s1, s1, s46
	s_waitcnt lgkmcnt(3)
	v_mfma_f32_16x16x16_bf16 a[8:11], v[58:59], v[44:45], 0
	s_lshl_b64 s[0:1], s[0:1], 9
	s_add_u32 s0, s20, s0
	s_addc_u32 s1, s21, s1
	v_mfma_f32_16x16x16_bf16 a[12:15], v[58:59], v[46:47], 0
	ds_read2st64_b64 v[58:61], v35 offset0:4 offset1:8
	v_lshlrev_b32_e32 v0, 2, v48
	s_waitcnt lgkmcnt(3)
	v_mfma_f32_16x16x16_bf16 a[0:3], v[70:71], v[52:53], a[0:3]
	s_waitcnt lgkmcnt(0)
	v_mfma_f32_16x16x16_bf16 a[4:7], v[70:71], v[58:59], a[4:7]
	v_mfma_f32_16x16x16_bf16 a[8:11], v[70:71], v[62:63], a[8:11]
	;; [unrolled: 1-line block ×3, first 2 shown]
	global_load_dwordx4 v[70:73], v0, s[0:1]
	v_lshlrev_b32_e32 v0, 6, v1
	v_lshlrev_b32_e32 v1, 2, v50
	v_or3_b32 v0, v0, v1, s2
	global_load_dwordx4 v[48:51], v0, s[0:1]
	v_mfma_f32_16x16x16_bf16 a[0:3], v[74:75], v[54:55], a[0:3]
	v_exp_f32_e32 v0, s16
	s_waitcnt vmcnt(1)
	v_exp_f32_e32 v37, v73
	v_mfma_f32_16x16x16_bf16 a[4:7], v[74:75], v[60:61], a[4:7]
	v_mfma_f32_16x16x16_bf16 a[8:11], v[74:75], v[64:65], a[8:11]
	v_mfma_f32_16x16x16_bf16 a[12:15], v[74:75], v[68:69], a[12:15]
	ds_read_b64 v[74:75], v34 offset:6144
	ds_read_b64 v[76:77], v35 offset:6144
	;; [unrolled: 1-line block ×4, first 2 shown]
	v_exp_f32_e32 v34, v70
	v_exp_f32_e32 v35, v71
	;; [unrolled: 1-line block ×3, first 2 shown]
	s_waitcnt lgkmcnt(3)
	v_mfma_f32_16x16x16_bf16 a[0:3], v[56:57], v[74:75], a[0:3]
	v_add_u32_e32 v72, v93, v79
	v_pk_mul_f32 v[34:35], v[0:1], v[34:35] op_sel_hi:[0,1]
	v_add_u32_e32 v1, v90, v79
	ds_read_b64 v[70:71], v1 offset:40960
	v_pk_mul_f32 v[36:37], v[0:1], v[36:37] op_sel_hi:[0,1]
	v_add_u32_e32 v1, v91, v79
	s_waitcnt lgkmcnt(3)
	v_mfma_f32_16x16x16_bf16 a[4:7], v[56:57], v[76:77], a[4:7]
	v_pk_mul_f32 v[22:23], v[22:23], v[34:35]
	v_pk_mul_f32 v[24:25], v[24:25], v[36:37]
	;; [unrolled: 1-line block ×3, first 2 shown]
	s_waitcnt lgkmcnt(2)
	v_mfma_f32_16x16x16_bf16 a[8:11], v[56:57], v[88:89], a[8:11]
	v_pk_mul_f32 v[20:21], v[36:37], v[20:21]
	v_pk_mul_f32 v[30:31], v[34:35], v[30:31]
	;; [unrolled: 1-line block ×3, first 2 shown]
	s_waitcnt lgkmcnt(1)
	v_mfma_f32_16x16x16_bf16 a[12:15], v[56:57], v[42:43], a[12:15]
	ds_read_b64 v[56:57], v1 offset:40960
	ds_read_b64 v[72:73], v72 offset:40960
	v_accvgpr_read_b32 v1, a0
	v_add_f32_e32 v22, v22, v1
	s_waitcnt lgkmcnt(2)
	v_mfma_f32_16x16x16_bf16 a[20:23], v[70:71], v[40:41], 0
	ds_read_b64 v[40:41], v92 offset:40960
	v_accvgpr_read_b32 v1, a1
	v_add_f32_e32 v23, v23, v1
	v_mfma_f32_16x16x16_bf16 a[16:19], v[70:71], v[38:39], 0
	v_accvgpr_read_b32 v1, a2
	v_add_f32_e32 v24, v24, v1
	v_accvgpr_read_b32 v1, a3
	s_waitcnt lgkmcnt(2)
	v_mfma_f32_16x16x16_bf16 a[0:3], v[56:57], v[52:53], a[16:19]
	v_add_f32_e32 v25, v25, v1
	v_accvgpr_read_b32 v1, a4
	v_accvgpr_read_b32 v39, a15
	v_accvgpr_read_b32 v38, a14
	v_mfma_f32_16x16x16_bf16 a[24:27], v[70:71], v[44:45], 0
	v_add_f32_e32 v18, v18, v1
	v_accvgpr_read_b32 v1, a5
	v_accvgpr_read_b32 v45, a13
	v_mfma_f32_16x16x16_bf16 a[14:17], v[56:57], v[58:59], a[20:23]
	v_add_f32_e32 v19, v19, v1
	v_accvgpr_read_b32 v1, a6
	v_accvgpr_read_b32 v44, a12
	s_waitcnt lgkmcnt(0)
	v_mfma_f32_16x16x16_bf16 a[0:3], v[40:41], v[54:55], a[0:3]
	v_add_f32_e32 v20, v20, v1
	v_accvgpr_read_b32 v1, a7
	v_pk_fma_f32 v[6:7], v[34:35], v[6:7], v[44:45]
	v_pk_fma_f32 v[8:9], v[36:37], v[8:9], v[38:39]
	s_waitcnt vmcnt(0)
	v_mov_b32_e32 v34, v49
	v_add_f32_e32 v21, v21, v1
	v_accvgpr_read_b32 v1, a8
	v_exp_f32_e32 v38, v48
	v_exp_f32_e32 v39, v34
	v_mfma_f32_16x16x16_bf16 a[28:31], v[70:71], v[46:47], 0
	v_add_f32_e32 v30, v30, v1
	v_accvgpr_read_b32 v1, a9
	v_mov_b32_e32 v35, v50
	v_mfma_f32_16x16x16_bf16 a[18:21], v[56:57], v[62:63], a[24:27]
	v_mov_b32_e32 v36, v51
	v_add_f32_e32 v31, v31, v1
	v_accvgpr_read_b32 v1, a10
	v_mfma_f32_16x16x16_bf16 a[14:17], v[40:41], v[60:61], a[14:17]
	v_exp_f32_e32 v34, v35
	v_exp_f32_e32 v35, v36
	v_add_f32_e32 v32, v32, v1
	v_mfma_f32_16x16x16_bf16 a[0:3], v[72:73], v[74:75], a[0:3]
	v_accvgpr_read_b32 v1, a11
	v_pk_mul_f32 v[36:37], v[0:1], v[38:39] op_sel_hi:[0,1]
	v_pk_mul_f32 v[10:11], v[10:11], v[36:37]
	v_mfma_f32_16x16x16_bf16 a[4:7], v[56:57], v[66:67], a[28:31]
	v_add_f32_e32 v33, v33, v1
	v_pk_mul_f32 v[0:1], v[0:1], v[34:35] op_sel_hi:[0,1]
	v_pk_mul_f32 v[12:13], v[12:13], v[0:1]
	v_mfma_f32_16x16x16_bf16 a[8:11], v[40:41], v[64:65], a[18:21]
	v_accvgpr_read_b32 v38, a0
	v_add_f32_e32 v10, v10, v38
	v_accvgpr_read_b32 v38, a1
	v_mfma_f32_16x16x16_bf16 a[12:15], v[72:73], v[76:77], a[14:17]
	v_add_f32_e32 v11, v11, v38
	v_accvgpr_read_b32 v38, a2
	v_add_f32_e32 v12, v12, v38
	v_accvgpr_read_b32 v38, a3
	v_mfma_f32_16x16x16_bf16 a[4:7], v[40:41], v[68:69], a[4:7]
	v_pk_mul_f32 v[14:15], v[36:37], v[14:15]
	v_add_f32_e32 v13, v13, v38
	v_accvgpr_read_b32 v38, a12
	v_mfma_f32_16x16x16_bf16 a[8:11], v[72:73], v[88:89], a[8:11]
	v_add_f32_e32 v14, v14, v38
	v_accvgpr_read_b32 v38, a13
	v_pk_mul_f32 v[16:17], v[0:1], v[16:17]
	v_add_f32_e32 v15, v15, v38
	v_accvgpr_read_b32 v38, a14
	v_add_f32_e32 v16, v16, v38
	v_accvgpr_read_b32 v38, a15
	v_pk_mul_f32 v[26:27], v[36:37], v[26:27]
	v_mfma_f32_16x16x16_bf16 a[4:7], v[72:73], v[42:43], a[4:7]
	v_add_f32_e32 v17, v17, v38
	v_accvgpr_read_b32 v38, a8
	v_add_f32_e32 v26, v26, v38
	v_accvgpr_read_b32 v38, a9
	v_pk_mul_f32 v[28:29], v[0:1], v[28:29]
	v_add_f32_e32 v27, v27, v38
	v_accvgpr_read_b32 v38, a10
	v_add_f32_e32 v28, v28, v38
	v_accvgpr_read_b32 v38, a11
	;; [unrolled: 2-line block ×3, first 2 shown]
	v_accvgpr_read_b32 v35, a7
	v_accvgpr_read_b32 v34, a6
	;; [unrolled: 1-line block ×3, first 2 shown]
	v_pk_fma_f32 v[2:3], v[36:37], v[2:3], v[38:39]
	v_pk_fma_f32 v[4:5], v[0:1], v[4:5], v[34:35]
.LBB146_99:
	s_add_u32 s0, s12, s14
	s_addc_u32 s1, s13, s15
	v_lshl_add_u64 v[0:1], v[80:81], 2, s[0:1]
	v_mov_b32_e32 v79, 0
	v_lshl_add_u64 v[0:1], v[0:1], 0, v[78:79]
	s_waitcnt vmcnt(7)
	global_store_dwordx4 v[0:1], v[22:25], off
	s_waitcnt vmcnt(7)
	global_store_dwordx4 v[0:1], v[10:13], off offset:256
	v_lshl_add_u64 v[0:1], v[82:83], 2, s[0:1]
	v_lshl_add_u64 v[0:1], v[0:1], 0, v[78:79]
	s_waitcnt vmcnt(7)
	global_store_dwordx4 v[0:1], v[18:21], off
	s_waitcnt vmcnt(7)
	global_store_dwordx4 v[0:1], v[14:17], off offset:256
	v_lshl_add_u64 v[0:1], v[86:87], 2, s[0:1]
	;; [unrolled: 6-line block ×3, first 2 shown]
	v_lshl_add_u64 v[0:1], v[0:1], 0, v[78:79]
	s_waitcnt vmcnt(7)
	global_store_dwordx4 v[0:1], v[6:9], off
	s_waitcnt vmcnt(7)
	global_store_dwordx4 v[0:1], v[2:5], off offset:256
	s_endpgm
	.section	.rodata,"a",@progbits
	.p2align	6, 0x0
	.amdhsa_kernel _ZN12_GLOBAL__N_139chunk_gated_delta_rule_fwd_h_hip_kernelILi64ELb1ELb1ELb0ELb1ELb1ELb1ELb0ELb0EEEvPK12hip_bfloat16S3_S3_PKfS5_PKvPS1_S8_PvPKiSB_iiiiilll
		.amdhsa_group_segment_fixed_size 65536
		.amdhsa_private_segment_fixed_size 0
		.amdhsa_kernarg_size 136
		.amdhsa_user_sgpr_count 2
		.amdhsa_user_sgpr_dispatch_ptr 0
		.amdhsa_user_sgpr_queue_ptr 0
		.amdhsa_user_sgpr_kernarg_segment_ptr 1
		.amdhsa_user_sgpr_dispatch_id 0
		.amdhsa_user_sgpr_kernarg_preload_length 0
		.amdhsa_user_sgpr_kernarg_preload_offset 0
		.amdhsa_user_sgpr_private_segment_size 0
		.amdhsa_uses_dynamic_stack 0
		.amdhsa_enable_private_segment 0
		.amdhsa_system_sgpr_workgroup_id_x 1
		.amdhsa_system_sgpr_workgroup_id_y 1
		.amdhsa_system_sgpr_workgroup_id_z 0
		.amdhsa_system_sgpr_workgroup_info 0
		.amdhsa_system_vgpr_workitem_id 0
		.amdhsa_next_free_vgpr 240
		.amdhsa_next_free_sgpr 67
		.amdhsa_accum_offset 200
		.amdhsa_reserve_vcc 1
		.amdhsa_float_round_mode_32 0
		.amdhsa_float_round_mode_16_64 0
		.amdhsa_float_denorm_mode_32 3
		.amdhsa_float_denorm_mode_16_64 3
		.amdhsa_dx10_clamp 1
		.amdhsa_ieee_mode 1
		.amdhsa_fp16_overflow 0
		.amdhsa_tg_split 0
		.amdhsa_exception_fp_ieee_invalid_op 0
		.amdhsa_exception_fp_denorm_src 0
		.amdhsa_exception_fp_ieee_div_zero 0
		.amdhsa_exception_fp_ieee_overflow 0
		.amdhsa_exception_fp_ieee_underflow 0
		.amdhsa_exception_fp_ieee_inexact 0
		.amdhsa_exception_int_div_zero 0
	.end_amdhsa_kernel
	.section	.text._ZN12_GLOBAL__N_139chunk_gated_delta_rule_fwd_h_hip_kernelILi64ELb1ELb1ELb0ELb1ELb1ELb1ELb0ELb0EEEvPK12hip_bfloat16S3_S3_PKfS5_PKvPS1_S8_PvPKiSB_iiiiilll,"axG",@progbits,_ZN12_GLOBAL__N_139chunk_gated_delta_rule_fwd_h_hip_kernelILi64ELb1ELb1ELb0ELb1ELb1ELb1ELb0ELb0EEEvPK12hip_bfloat16S3_S3_PKfS5_PKvPS1_S8_PvPKiSB_iiiiilll,comdat
.Lfunc_end146:
	.size	_ZN12_GLOBAL__N_139chunk_gated_delta_rule_fwd_h_hip_kernelILi64ELb1ELb1ELb0ELb1ELb1ELb1ELb0ELb0EEEvPK12hip_bfloat16S3_S3_PKfS5_PKvPS1_S8_PvPKiSB_iiiiilll, .Lfunc_end146-_ZN12_GLOBAL__N_139chunk_gated_delta_rule_fwd_h_hip_kernelILi64ELb1ELb1ELb0ELb1ELb1ELb1ELb0ELb0EEEvPK12hip_bfloat16S3_S3_PKfS5_PKvPS1_S8_PvPKiSB_iiiiilll
                                        ; -- End function
	.section	.AMDGPU.csdata,"",@progbits
; Kernel info:
; codeLenInByte = 12332
; NumSgprs: 73
; NumVgprs: 198
; NumAgprs: 40
; TotalNumVgprs: 240
; ScratchSize: 0
; MemoryBound: 0
; FloatMode: 240
; IeeeMode: 1
; LDSByteSize: 65536 bytes/workgroup (compile time only)
; SGPRBlocks: 9
; VGPRBlocks: 29
; NumSGPRsForWavesPerEU: 73
; NumVGPRsForWavesPerEU: 240
; AccumOffset: 200
; Occupancy: 1
; WaveLimiterHint : 1
; COMPUTE_PGM_RSRC2:SCRATCH_EN: 0
; COMPUTE_PGM_RSRC2:USER_SGPR: 2
; COMPUTE_PGM_RSRC2:TRAP_HANDLER: 0
; COMPUTE_PGM_RSRC2:TGID_X_EN: 1
; COMPUTE_PGM_RSRC2:TGID_Y_EN: 1
; COMPUTE_PGM_RSRC2:TGID_Z_EN: 0
; COMPUTE_PGM_RSRC2:TIDIG_COMP_CNT: 0
; COMPUTE_PGM_RSRC3_GFX90A:ACCUM_OFFSET: 49
; COMPUTE_PGM_RSRC3_GFX90A:TG_SPLIT: 0
	.section	.text._ZN12_GLOBAL__N_139chunk_gated_delta_rule_fwd_h_hip_kernelILi64ELb1ELb0ELb1ELb1ELb1ELb1ELb0ELb0EEEvPK12hip_bfloat16S3_S3_PKfS5_PKvPS1_S8_PvPKiSB_iiiiilll,"axG",@progbits,_ZN12_GLOBAL__N_139chunk_gated_delta_rule_fwd_h_hip_kernelILi64ELb1ELb0ELb1ELb1ELb1ELb1ELb0ELb0EEEvPK12hip_bfloat16S3_S3_PKfS5_PKvPS1_S8_PvPKiSB_iiiiilll,comdat
	.globl	_ZN12_GLOBAL__N_139chunk_gated_delta_rule_fwd_h_hip_kernelILi64ELb1ELb0ELb1ELb1ELb1ELb1ELb0ELb0EEEvPK12hip_bfloat16S3_S3_PKfS5_PKvPS1_S8_PvPKiSB_iiiiilll ; -- Begin function _ZN12_GLOBAL__N_139chunk_gated_delta_rule_fwd_h_hip_kernelILi64ELb1ELb0ELb1ELb1ELb1ELb1ELb0ELb0EEEvPK12hip_bfloat16S3_S3_PKfS5_PKvPS1_S8_PvPKiSB_iiiiilll
	.p2align	8
	.type	_ZN12_GLOBAL__N_139chunk_gated_delta_rule_fwd_h_hip_kernelILi64ELb1ELb0ELb1ELb1ELb1ELb1ELb0ELb0EEEvPK12hip_bfloat16S3_S3_PKfS5_PKvPS1_S8_PvPKiSB_iiiiilll,@function
_ZN12_GLOBAL__N_139chunk_gated_delta_rule_fwd_h_hip_kernelILi64ELb1ELb0ELb1ELb1ELb1ELb1ELb0ELb0EEEvPK12hip_bfloat16S3_S3_PKfS5_PKvPS1_S8_PvPKiSB_iiiiilll: ; @_ZN12_GLOBAL__N_139chunk_gated_delta_rule_fwd_h_hip_kernelILi64ELb1ELb0ELb1ELb1ELb1ELb1ELb0ELb0EEEvPK12hip_bfloat16S3_S3_PKfS5_PKvPS1_S8_PvPKiSB_iiiiilll
; %bb.0:
	s_load_dwordx4 s[12:15], s[0:1], 0x5c
	s_load_dwordx4 s[4:7], s[0:1], 0x48
	s_abs_i32 s9, s3
	s_ashr_i32 s8, s3, 31
	v_and_b32_e32 v90, 15, v0
	s_waitcnt lgkmcnt(0)
	s_abs_i32 s10, s13
	v_cvt_f32_u32_e32 v1, s10
	s_sub_i32 s16, 0, s10
	s_ashr_i32 s11, s13, 31
	s_xor_b32 s8, s8, s11
	v_rcp_iflag_f32_e32 v1, v1
	v_lshrrev_b32_e32 v88, 6, v0
	v_bfe_u32 v89, v0, 4, 2
	v_mov_b32_e32 v11, 0
	v_mul_f32_e32 v1, 0x4f7ffffe, v1
	v_cvt_u32_f32_e32 v1, v1
	v_and_b32_e32 v77, 63, v0
	v_lshrrev_b32_e32 v92, 3, v77
	v_lshlrev_b32_e32 v91, 3, v0
	v_readfirstlane_b32 s17, v1
	s_mul_i32 s16, s16, s17
	s_mul_hi_u32 s16, s17, s16
	s_add_i32 s17, s17, s16
	s_mul_hi_u32 s16, s9, s17
	s_mul_i32 s17, s16, s10
	s_sub_i32 s9, s9, s17
	s_add_i32 s18, s16, 1
	s_sub_i32 s17, s9, s10
	s_cmp_ge_u32 s9, s10
	s_cselect_b32 s16, s18, s16
	s_cselect_b32 s9, s17, s9
	s_add_i32 s17, s16, 1
	s_cmp_ge_u32 s9, s10
	s_cselect_b32 s9, s17, s16
	s_xor_b32 s9, s9, s8
	s_sub_i32 s20, s9, s8
	s_mul_i32 s24, s20, s13
	s_ashr_i32 s21, s20, 31
	s_sub_i32 s49, s3, s24
	s_lshl_b64 s[8:9], s[20:21], 2
	s_add_u32 s4, s4, s8
	s_addc_u32 s5, s5, s9
	s_add_u32 s22, s6, s8
	s_addc_u32 s23, s7, s9
	s_abs_i32 s3, s14
	v_cvt_f32_u32_e32 v1, s3
	s_load_dwordx2 s[34:35], s[4:5], 0x0
	s_lshl_b32 s40, s2, 6
	s_ashr_i32 s2, s14, 31
	v_rcp_iflag_f32_e32 v1, v1
	s_xor_b32 s2, s11, s2
	s_waitcnt lgkmcnt(0)
	s_sub_i32 s52, s35, s34
	s_ashr_i32 s4, s52, 31
	v_mul_f32_e32 v1, 0x4f7ffffe, v1
	v_cvt_u32_f32_e32 v1, v1
	s_lshr_b32 s4, s4, 26
	s_add_i32 s4, s52, s4
	s_ashr_i32 s51, s4, 6
	s_sub_i32 s4, 0, s3
	v_readfirstlane_b32 s5, v1
	s_mul_i32 s4, s4, s5
	s_mul_hi_u32 s4, s5, s4
	s_add_i32 s5, s5, s4
	s_mul_hi_u32 s4, s10, s5
	s_mul_i32 s5, s4, s3
	s_sub_i32 s5, s10, s5
	s_add_i32 s6, s4, 1
	s_sub_i32 s7, s5, s3
	s_cmp_ge_u32 s5, s3
	s_cselect_b32 s4, s6, s4
	s_cselect_b32 s5, s7, s5
	s_add_i32 s6, s4, 1
	s_cmp_ge_u32 s5, s3
	s_cselect_b32 s3, s6, s4
	s_xor_b32 s3, s3, s2
	s_sub_i32 s2, s3, s2
	s_abs_i32 s3, s2
	v_cvt_f32_u32_e32 v1, s3
	s_sub_i32 s5, 0, s3
	s_abs_i32 s4, s49
	s_xor_b32 s2, s49, s2
	v_rcp_iflag_f32_e32 v1, v1
	s_ashr_i32 s2, s2, 31
	s_load_dwordx4 s[16:19], s[0:1], 0x28
	s_load_dwordx2 s[28:29], s[0:1], 0x38
	v_or_b32_e32 v78, s40, v90
	v_mul_f32_e32 v1, 0x4f7ffffe, v1
	v_cvt_u32_f32_e32 v1, v1
	v_lshlrev_b32_e32 v2, 7, v78
	v_ashrrev_i32_e32 v3, 31, v2
	s_mul_hi_i32 s55, s49, s12
	v_readfirstlane_b32 s6, v1
	s_mul_i32 s5, s5, s6
	s_mul_hi_u32 s5, s6, s5
	s_add_i32 s6, s6, s5
	s_mul_hi_u32 s5, s4, s6
	s_mul_i32 s6, s5, s3
	s_sub_i32 s4, s4, s6
	s_add_i32 s6, s5, 1
	s_sub_i32 s7, s4, s3
	s_cmp_ge_u32 s4, s3
	s_cselect_b32 s5, s6, s5
	s_cselect_b32 s4, s7, s4
	s_add_i32 s6, s5, 1
	s_cmp_ge_u32 s4, s3
	s_cselect_b32 s3, s6, s5
	s_xor_b32 s3, s3, s2
	s_sub_i32 s53, s3, s2
	s_ashr_i32 s50, s49, 31
	s_mul_hi_i32 s3, s20, s13
	s_add_u32 s2, s24, s49
	s_addc_u32 s3, s3, s50
	s_lshl_b64 s[2:3], s[2:3], 16
	v_lshlrev_b32_e32 v1, 4, v88
	s_waitcnt lgkmcnt(0)
	s_add_u32 s2, s16, s2
	v_lshl_or_b32 v93, v89, 2, v1
	s_addc_u32 s3, s17, s3
	v_lshl_add_u64 v[4:5], v[2:3], 2, s[2:3]
	v_lshlrev_b32_e32 v10, 2, v93
	v_lshl_add_u64 v[4:5], v[4:5], 0, v[10:11]
	global_load_dwordx4 v[22:25], v[4:5], off
	global_load_dwordx4 v[30:33], v[4:5], off offset:256
	v_or_b32_e32 v4, 0x800, v2
	v_ashrrev_i32_e32 v5, 31, v4
	v_lshl_add_u64 v[4:5], v[4:5], 2, s[2:3]
	v_lshl_add_u64 v[4:5], v[4:5], 0, v[10:11]
	global_load_dwordx4 v[14:17], v[4:5], off
	global_load_dwordx4 v[26:29], v[4:5], off offset:256
	v_or_b32_e32 v4, 0x1000, v2
	v_or_b32_e32 v2, 0x1800, v2
	v_ashrrev_i32_e32 v5, 31, v4
	v_ashrrev_i32_e32 v3, 31, v2
	v_lshl_add_u64 v[4:5], v[4:5], 2, s[2:3]
	v_lshl_add_u64 v[2:3], v[2:3], 2, s[2:3]
	v_lshl_add_u64 v[4:5], v[4:5], 0, v[10:11]
	v_lshl_add_u64 v[34:35], v[2:3], 0, v[10:11]
	global_load_dwordx4 v[6:9], v[4:5], off
	global_load_dwordx4 v[18:21], v[4:5], off offset:256
	s_nop 0
	global_load_dwordx4 v[2:5], v[34:35], off
	global_load_dwordx4 v[10:13], v[34:35], off offset:256
	s_load_dwordx8 s[4:11], s[0:1], 0x0
	s_load_dwordx2 s[30:31], s[0:1], 0x80
	s_load_dwordx4 s[24:27], s[0:1], 0x70
	s_load_dword s54, s[22:23], 0x0
	v_or_b32_e32 v94, 64, v93
	s_cmp_lt_i32 s52, 64
	s_mul_i32 s56, s49, s12
	s_waitcnt lgkmcnt(0)
	s_mul_i32 s33, s20, s25
	s_mul_hi_u32 s45, s20, s24
	s_mul_i32 s44, s21, s24
	s_mul_i32 s38, s20, s24
	;; [unrolled: 1-line block ×3, first 2 shown]
	s_mul_hi_u32 s47, s49, s26
	s_mul_i32 s48, s50, s26
	s_mul_i32 s36, s49, s26
	s_cbranch_scc1 .LBB147_18
; %bb.1:
	s_ashr_i32 s3, s34, 31
	s_add_u32 s2, s56, s34
	s_addc_u32 s3, s55, s3
	s_lshl_b64 s[2:3], s[2:3], 8
	v_and_b32_e32 v96, 56, v91
	s_add_u32 s20, s6, s2
	v_lshl_or_b32 v95, v88, 3, v92
	v_lshlrev_b32_e32 v34, 1, v96
	s_addc_u32 s2, s7, s3
	v_lshl_or_b32 v97, v95, 8, v34
	s_and_b32 s21, s2, 0xffff
	s_mov_b32 s23, 0x20000
	s_movk_i32 s22, 0x4000
	s_movk_i32 s2, 0x80
	v_or_b32_e32 v98, 0x2000, v97
	buffer_load_dwordx4 v[36:39], v97, s[20:23], 0 offen
	buffer_load_dwordx4 v[40:43], v97, s[20:23], s2 offen
	;; [unrolled: 1-line block ×4, first 2 shown]
	v_lshlrev_b32_e32 v35, 3, v95
	v_and_or_b32 v53, v0, 7, v35
	v_and_b32_e32 v35, 0x78, v35
	v_lshlrev_b32_e32 v53, 4, v53
	v_xor_b32_e32 v99, v53, v35
	v_mul_lo_u32 v52, v95, s15
	v_or_b32_e32 v100, 0x1000, v99
	v_xor_b32_e32 v35, 8, v99
	s_cmpk_eq_i32 s15, 0x80
	s_mov_b32 s57, s34
	v_xor_b32_e32 v53, 8, v100
	s_cselect_b64 s[2:3], -1, 0
	s_cmpk_lg_i32 s15, 0x80
	s_waitcnt vmcnt(3)
	ds_write_b64 v99, v[36:37] offset:49152
	ds_write_b64 v35, v[38:39] offset:49152
	s_waitcnt vmcnt(2)
	ds_write_b64 v99, v[40:41] offset:57344
	ds_write_b64 v35, v[42:43] offset:57344
	;; [unrolled: 3-line block ×4, first 2 shown]
	v_lshl_add_u32 v35, v52, 1, v96
	s_cbranch_scc0 .LBB147_3
; %bb.2:
	v_lshlrev_b32_e32 v37, 1, v35
	v_add_lshl_u32 v36, v35, s15, 1
	s_lshl_b32 s22, s15, 7
	s_load_dwordx2 s[16:17], s[0:1], 0x20
	v_lshl_or_b32 v34, v95, 9, v34
	s_cbranch_execz .LBB147_4
	s_branch .LBB147_5
.LBB147_3:
                                        ; implicit-def: $vgpr36
                                        ; implicit-def: $vgpr37
                                        ; implicit-def: $sgpr22
	s_load_dwordx2 s[16:17], s[0:1], 0x20
	v_lshl_or_b32 v34, v95, 9, v34
.LBB147_4:
	v_or_b32_e32 v36, 0x100, v34
	s_movk_i32 s22, 0x4000
	v_mov_b32_e32 v37, v34
.LBB147_5:
	s_mul_i32 s0, s34, s14
	s_ashr_i32 s58, s53, 31
	s_mul_hi_i32 s1, s34, s14
	s_add_u32 s0, s0, s53
	s_addc_u32 s1, s1, s58
	s_lshl_b64 s[0:1], s[0:1], 8
	s_add_u32 s20, s4, s0
	s_addc_u32 s0, s5, s1
	s_and_b32 s21, s0, 0xffff
	s_movk_i32 s59, 0x80
	buffer_load_dwordx4 v[38:41], v37, s[20:23], 0 offen
	buffer_load_dwordx4 v[42:45], v37, s[20:23], s59 offen
	;; [unrolled: 1-line block ×4, first 2 shown]
	v_and_b32_e32 v37, 6, v0
	v_lshlrev_b32_e32 v36, 7, v93
	v_xor_b32_e32 v59, v95, v37
	v_and_b32_e32 v54, 1, v0
	v_lshl_or_b32 v62, v90, 3, v36
	v_lshlrev_b32_e32 v59, 2, v59
	v_lshlrev_b32_e32 v55, 2, v90
	v_or_b32_e32 v101, 0x4000, v62
	v_or_b32_e32 v102, 0x6000, v62
	v_xor_b32_e32 v62, 0x440, v59
	v_cmp_eq_u32_e32 vcc, 0, v54
	v_or_b32_e32 v57, 16, v90
	v_or_b32_e32 v58, 32, v90
	v_xor_b32_e32 v60, v93, v55
	v_xor_b32_e32 v61, v94, v55
	v_cndmask_b32_e32 v54, v62, v59, vcc
	s_mov_b32 s60, 0x1000504
	v_lshl_or_b32 v63, v57, 3, v36
	v_lshlrev_b32_e32 v57, 8, v57
	v_lshl_or_b32 v64, v58, 3, v36
	v_lshlrev_b32_e32 v60, 1, v60
	v_lshlrev_b32_e32 v61, 1, v61
	v_lshl_or_b32 v37, v37, 10, v54
	s_add_i32 s0, s45, s33
	s_mov_b32 s61, 0x3020706
	v_lshlrev_b32_e32 v56, 8, v90
	v_or_b32_e32 v105, 0x4000, v64
	v_or_b32_e32 v106, 0x6000, v64
	;; [unrolled: 1-line block ×4, first 2 shown]
	v_xor_b32_e32 v54, 8, v37
	v_xor_b32_e32 v57, 24, v37
	;; [unrolled: 1-line block ×4, first 2 shown]
	s_add_i32 s39, s0, s44
	s_add_i32 s0, s47, s46
	v_or_b32_e32 v103, 0x4000, v63
	v_or_b32_e32 v104, 0x6000, v63
	v_or_b32_e32 v107, v56, v60
	v_or_b32_e32 v108, v56, v61
	v_xor_b32_e32 v56, 16, v37
	v_xor_b32_e32 v59, 32, v37
	;; [unrolled: 1-line block ×3, first 2 shown]
	v_add_u32_e32 v54, 0x80, v54
	v_add_u32_e32 v57, 0x80, v57
	;; [unrolled: 1-line block ×4, first 2 shown]
	s_add_i32 s37, s0, s48
	s_lshl_b64 s[0:1], s[38:39], 2
	s_add_u32 s20, s10, s0
	s_addc_u32 s21, s11, s1
	s_lshl_b64 s[0:1], s[36:37], 2
	s_add_u32 s42, s20, s0
	s_movk_i32 s0, 0xf8
	s_addc_u32 s43, s21, s1
	s_ashr_i32 s41, s40, 31
	s_lshl_b32 s26, s15, 7
	v_mov_b32_e32 v81, 0
	s_movk_i32 s20, 0x100
	v_lshlrev_b32_e32 v80, 4, v90
	v_ashrrev_i32_e32 v79, 31, v78
	v_lshlrev_b32_e32 v58, 8, v58
	s_mov_b32 s62, 0
	s_movk_i32 s22, 0x4000
	v_or_b32_e32 v111, v58, v60
	v_or_b32_e32 v112, v58, v61
	s_mov_b32 s37, 0x7060302
	s_movk_i32 s39, 0x2000
	s_waitcnt vmcnt(1)
	v_perm_b32 v65, v38, v46, s60
	s_waitcnt vmcnt(0)
	v_perm_b32 v66, v42, v50, s60
	v_perm_b32 v38, v38, v46, s61
	;; [unrolled: 1-line block ×15, first 2 shown]
	ds_write2st64_b32 v37, v65, v66 offset0:128 offset1:160
	ds_write2st64_b32 v54, v38, v42 offset0:128 offset1:160
	;; [unrolled: 1-line block ×8, first 2 shown]
	v_or_b32_e32 v37, 48, v90
	v_lshl_or_b32 v38, v37, 3, v36
	v_lshlrev_b32_e32 v37, 8, v37
	v_or_b32_e32 v115, v37, v60
	v_or_b32_e32 v116, v37, v61
	v_or_b32_e32 v37, v1, v90
	v_lshlrev_b32_e32 v37, 3, v37
	v_lshrrev_b32_e32 v39, 5, v77
	v_and_or_b32 v39, v37, s0, v39
	v_lshlrev_b32_e32 v39, 4, v39
	v_or_b32_e32 v113, 0x4000, v38
	v_or_b32_e32 v114, 0x6000, v38
	v_lshrrev_b32_e32 v38, 2, v77
	v_lshlrev_b32_e32 v41, 11, v88
	v_and_b32_e32 v37, 0x78, v37
	v_or_b32_e32 v45, 32, v39
	v_and_b32_e32 v40, 12, v38
	v_and_b32_e32 v38, 0x1000, v41
	v_xor_b32_e32 v42, v39, v37
	v_lshrrev_b32_e32 v43, 1, v77
	v_xor_b32_e32 v45, v45, v37
	v_or_b32_e32 v42, v42, v38
	v_and_b32_e32 v43, 8, v43
	v_or_b32_e32 v45, v45, v38
	v_xor_b32_e32 v117, v42, v43
	v_lshlrev_b32_e32 v42, 8, v89
	v_xor_b32_e32 v119, v45, v43
	v_or_b32_e32 v45, 64, v39
	v_or_b32_e32 v39, 0x60, v39
	;; [unrolled: 1-line block ×3, first 2 shown]
	v_xor_b32_e32 v45, v45, v37
	v_xor_b32_e32 v37, v39, v37
	s_lshl_b64 s[0:1], s[40:41], 8
	v_lshlrev_b32_e32 v44, 1, v44
	v_or_b32_e32 v45, v45, v38
	v_or_b32_e32 v37, v37, v38
	s_add_u32 s0, s18, s0
	v_lshlrev_b32_e32 v38, 1, v90
	v_lshlrev_b32_e32 v47, 2, v0
	v_or_b32_e32 v118, 0x4000, v44
	v_or_b32_e32 v120, 0x4080, v44
	;; [unrolled: 1-line block ×4, first 2 shown]
	v_xor_b32_e32 v123, v45, v43
	v_xor_b32_e32 v124, v37, v43
	v_or_b32_e32 v125, 0x6000, v44
	v_or_b32_e32 v126, 0x6080, v44
	;; [unrolled: 1-line block ×4, first 2 shown]
	v_lshlrev_b32_e32 v37, 1, v35
	v_add_lshl_u32 v35, v35, s15, 1
	v_or_b32_e32 v43, 0x100, v34
	v_lshrrev_b32_e32 v44, 4, v0
	s_addc_u32 s1, s19, s1
	v_or_b32_e32 v39, 1, v38
	v_lshrrev_b32_e32 v48, 1, v0
	v_and_or_b32 v42, v47, 60, v42
	v_xor_b32_e32 v45, v44, v38
	v_xor_b32_e32 v46, v39, v44
	v_lshl_add_u64 v[38:39], s[0:1], 0, v[80:81]
	v_and_b32_e32 v48, 24, v48
	v_lshlrev_b32_e32 v42, 1, v42
	v_cndmask_b32_e64 v135, v37, v34, s[2:3]
	v_cndmask_b32_e64 v136, v35, v43, s[2:3]
	v_mov_b32_e32 v35, 0xa000
	v_mov_b32_e32 v37, 0x8000
	v_cmp_gt_u32_e64 s[0:1], s20, v0
	v_lshlrev_b32_e32 v80, 8, v44
	v_or_b32_e32 v131, 0x6000, v42
	v_or_b32_e32 v47, 32, v48
	;; [unrolled: 1-line block ×6, first 2 shown]
	v_cndmask_b32_e64 v35, v35, v37, s[0:1]
	v_lshlrev_b32_e32 v37, 3, v88
	v_lshl_or_b32 v129, v45, 3, v80
	v_and_b32_e32 v45, 8, v0
	v_xor_b32_e32 v43, v37, v48
	v_xor_b32_e32 v47, v37, v47
	;; [unrolled: 1-line block ×3, first 2 shown]
	v_mov_b32_e32 v49, 0x400
	v_cmp_eq_u32_e32 vcc, 0, v45
	v_or_b32_e32 v48, 0x440, v43
	v_or_b32_e32 v50, 0x440, v47
	v_xor_b32_e32 v42, 0x440, v37
	v_and_b32_e32 v44, 7, v0
	v_cndmask_b32_e64 v45, v49, 64, vcc
	v_cndmask_b32_e32 v48, v48, v43, vcc
	v_cndmask_b32_e32 v47, v50, v47, vcc
	;; [unrolled: 1-line block ×3, first 2 shown]
	v_lshl_or_b32 v130, v46, 3, v80
	v_lshlrev_b32_e32 v46, 3, v44
	v_or_b32_e32 v48, v48, v41
	v_or_b32_e32 v47, v47, v41
	v_or3_b32 v43, v41, v45, v43
	v_or_b32_e32 v37, v37, v41
	v_lshlrev_b32_e32 v44, 7, v44
	v_xor_b32_e32 v48, v48, v46
	v_xor_b32_e32 v47, v47, v46
	;; [unrolled: 1-line block ×4, first 2 shown]
	v_or_b32_e32 v34, v1, v40
	v_add_u32_e32 v49, v35, v48
	v_add_u32_e32 v50, v35, v47
	v_or_b32_e32 v137, v43, v44
	v_add_u32_e32 v41, v35, v37
	v_or3_b32 v40, v1, v40, 64
	v_add_u32_e32 v45, 0xa000, v48
	v_add_u32_e32 v46, 0xa000, v47
	;; [unrolled: 1-line block ×3, first 2 shown]
	v_lshlrev_b64 v[42:43], 1, v[78:79]
	v_lshl_add_u64 v[82:83], s[8:9], 0, v[42:43]
	v_lshl_add_u64 v[84:85], s[28:29], 0, v[42:43]
	;; [unrolled: 1-line block ×3, first 2 shown]
	v_lshlrev_b32_e32 v80, 1, v36
	s_movk_i32 s41, 0x3000
	v_lshlrev_b32_e32 v79, 2, v34
	v_add_u32_e32 v138, v49, v44
	v_add_u32_e32 v139, v50, v44
	;; [unrolled: 1-line block ×4, first 2 shown]
	v_lshlrev_b32_e32 v142, 2, v40
	v_add_u32_e32 v143, v45, v44
	v_add_u32_e32 v144, v46, v44
	;; [unrolled: 1-line block ×3, first 2 shown]
	s_waitcnt lgkmcnt(0)
	s_barrier
.LBB147_6:                              ; =>This Inner Loop Header: Depth=1
	s_add_i32 s63, s62, 1
	s_cmp_lt_i32 s63, s51
	s_mov_b64 s[24:25], 0
	s_cselect_b64 s[2:3], -1, 0
	s_cmp_ge_i32 s63, s51
	s_mov_b64 s[20:21], 0
	s_cbranch_scc1 .LBB147_8
; %bb.7:                                ;   in Loop: Header=BB147_6 Depth=1
	s_add_i32 s0, s57, 64
	s_ashr_i32 s1, s0, 31
	s_add_u32 s0, s56, s0
	s_addc_u32 s1, s55, s1
	s_lshl_b64 s[0:1], s[0:1], 8
	s_add_u32 s20, s6, s0
	s_addc_u32 s21, s7, s1
.LBB147_8:                              ;   in Loop: Header=BB147_6 Depth=1
	v_cndmask_b32_e64 v34, 0, 1, s[2:3]
	v_cmp_ne_u32_e64 s[0:1], 1, v34
	s_andn2_b64 vcc, exec, s[2:3]
	s_cbranch_vccnz .LBB147_10
; %bb.9:                                ;   in Loop: Header=BB147_6 Depth=1
	s_add_i32 s2, s57, 64
	s_mul_hi_i32 s3, s2, s14
	s_mul_i32 s2, s2, s14
	s_add_u32 s2, s2, s53
	s_addc_u32 s3, s3, s58
	s_lshl_b64 s[2:3], s[2:3], 8
	s_add_u32 s24, s4, s2
	s_addc_u32 s25, s5, s3
.LBB147_10:                             ;   in Loop: Header=BB147_6 Depth=1
	v_perm_b32 v35, v25, v24, s37
	v_perm_b32 v34, v23, v22, s37
	v_perm_b32 v37, v33, v32, s37
	v_perm_b32 v36, v31, v30, s37
	ds_write_b64 v101, v[34:35]
	ds_write_b64 v102, v[36:37]
	ds_write_b64 v107, v[34:35]
	ds_write_b64 v108, v[36:37]
	v_perm_b32 v35, v17, v16, s37
	v_perm_b32 v34, v15, v14, s37
	v_perm_b32 v37, v29, v28, s37
	v_perm_b32 v36, v27, v26, s37
	ds_write_b64 v103, v[34:35]
	ds_write_b64 v104, v[36:37]
	ds_write_b64 v109, v[34:35]
	ds_write_b64 v110, v[36:37]
	;; [unrolled: 8-line block ×4, first 2 shown]
	s_waitcnt lgkmcnt(0)
	s_barrier
	ds_read_b64 v[38:39], v117 offset:49152
	ds_read2_b64 v[34:37], v118 offset1:16
	ds_read_b64 v[50:51], v120 offset:6144
	ds_read_b64 v[52:53], v118 offset:6144
	s_waitcnt lgkmcnt(2)
	v_mfma_f32_16x16x16_bf16 a[0:3], v[38:39], v[34:35], 0
	ds_read_b64 v[54:55], v119 offset:49152
	ds_read2st64_b64 v[42:45], v121 offset0:4 offset1:8
	ds_read2st64_b64 v[46:49], v122 offset0:4 offset1:8
	v_mfma_f32_16x16x16_bf16 a[4:7], v[38:39], v[36:37], 0
	ds_read2_b64 v[34:37], v118 offset0:32 offset1:48
	s_add_i32 s64, s57, 63
	s_ashr_i32 s2, s64, 31
	s_waitcnt lgkmcnt(0)
	v_mfma_f32_16x16x16_bf16 a[8:11], v[38:39], v[34:35], 0
	s_mul_i32 s3, s64, s31
	s_mul_hi_u32 s27, s64, s30
	s_add_i32 s3, s27, s3
	v_mfma_f32_16x16x16_bf16 a[12:15], v[38:39], v[36:37], 0
	ds_read2st64_b64 v[34:37], v118 offset0:4 offset1:8
	ds_read2st64_b64 v[38:41], v120 offset0:4 offset1:8
	s_mul_i32 s2, s2, s30
	s_waitcnt lgkmcnt(1)
	v_mfma_f32_16x16x16_bf16 a[0:3], v[54:55], v[34:35], a[0:3]
	s_add_i32 s3, s3, s2
	s_mul_i32 s2, s64, s30
	s_lshl_b64 s[2:3], s[2:3], 2
	s_waitcnt lgkmcnt(0)
	v_mfma_f32_16x16x16_bf16 a[4:7], v[54:55], v[38:39], a[4:7]
	s_add_u32 s2, s42, s2
	s_addc_u32 s3, s43, s3
	s_and_b64 vcc, exec, s[0:1]
	v_mfma_f32_16x16x16_bf16 a[8:11], v[54:55], v[42:43], a[8:11]
	ds_read_b64 v[34:35], v123 offset:49152
	ds_read_b64 v[38:39], v124 offset:49152
	;; [unrolled: 1-line block ×3, first 2 shown]
	v_mov_b32_e32 v148, 0
	v_mov_b32_e32 v147, 0
	v_mfma_f32_16x16x16_bf16 a[12:15], v[54:55], v[46:47], a[12:15]
	v_mov_b32_e32 v146, 0
	v_mov_b32_e32 v46, 0
	;; [unrolled: 1-line block ×3, first 2 shown]
	s_waitcnt lgkmcnt(2)
	v_mfma_f32_16x16x16_bf16 a[0:3], v[34:35], v[36:37], a[0:3]
	v_mov_b32_e32 v36, 0
	v_mov_b32_e32 v37, 0
	v_mfma_f32_16x16x16_bf16 a[16:19], v[34:35], v[40:41], a[4:7]
	v_mov_b32_e32 v40, 0
	v_mov_b32_e32 v41, 0
	;; [unrolled: 3-line block ×3, first 2 shown]
	v_mfma_f32_16x16x16_bf16 a[24:27], v[34:35], v[48:49], a[12:15]
	ds_read_b64 v[34:35], v121 offset:6144
	v_mov_b32_e32 v48, 0
	v_mov_b32_e32 v49, 0
	s_waitcnt lgkmcnt(2)
	v_mfma_f32_16x16x16_bf16 a[4:7], v[38:39], v[52:53], a[0:3]
	v_mfma_f32_16x16x16_bf16 a[8:11], v[38:39], v[50:51], a[16:19]
	s_waitcnt lgkmcnt(0)
	v_mfma_f32_16x16x16_bf16 a[12:15], v[38:39], v[34:35], a[20:23]
	v_mov_b32_e32 v34, 0
	v_mov_b32_e32 v35, 0
	v_mfma_f32_16x16x16_bf16 a[0:3], v[38:39], v[42:43], a[24:27]
	v_mov_b32_e32 v38, 0
	v_mov_b32_e32 v39, 0
	v_mov_b32_e32 v42, 0
	v_mov_b32_e32 v43, 0
	s_cbranch_vccnz .LBB147_12
; %bb.11:                               ;   in Loop: Header=BB147_6 Depth=1
	s_and_b32 s21, s21, 0xffff
	buffer_load_dwordx4 v[46:49], v97, s[20:23], 0 offen
	buffer_load_dwordx4 v[42:45], v97, s[20:23], s59 offen
	;; [unrolled: 1-line block ×4, first 2 shown]
	v_mov_b32_e32 v147, v99
	v_mov_b32_e32 v146, v100
.LBB147_12:                             ;   in Loop: Header=BB147_6 Depth=1
	ds_read_b64 v[62:63], v117 offset:57344
	ds_read2_b64 v[50:53], v125 offset1:16
	ds_read_b64 v[66:67], v119 offset:57344
	ds_read_b64 v[68:69], v123 offset:57344
	ds_read_b64 v[70:71], v124 offset:57344
	v_add_u32_e32 v64, s57, v93
	s_waitcnt lgkmcnt(3)
	v_mfma_f32_16x16x16_bf16 a[4:7], v[62:63], v[50:51], a[4:7]
	v_mfma_f32_16x16x16_bf16 a[8:11], v[62:63], v[52:53], a[8:11]
	ds_read2_b64 v[50:53], v125 offset0:32 offset1:48
	ds_read2st64_b64 v[54:57], v125 offset0:4 offset1:8
	ds_read2st64_b64 v[58:61], v126 offset0:4 offset1:8
	s_waitcnt lgkmcnt(2)
	v_mfma_f32_16x16x16_bf16 a[12:15], v[62:63], v[50:51], a[12:15]
	v_ashrrev_i32_e32 v50, 31, v64
	v_mul_lo_u32 v65, v50, s30
	v_mad_u64_u32 v[50:51], s[20:21], v64, s30, 0
	v_mfma_f32_16x16x16_bf16 a[0:3], v[62:63], v[52:53], a[0:3]
	v_mul_lo_u32 v52, v64, s31
	v_add3_u32 v51, v51, v52, v65
	v_add_u32_e32 v52, 1, v64
	v_ashrrev_i32_e32 v53, 31, v52
	s_waitcnt lgkmcnt(1)
	v_mfma_f32_16x16x16_bf16 a[4:7], v[66:67], v[54:55], a[4:7]
	v_mul_lo_u32 v54, v53, s30
	v_mul_lo_u32 v55, v52, s31
	v_mad_u64_u32 v[52:53], s[20:21], v52, s30, 0
	v_add3_u32 v53, v53, v55, v54
	v_add_u32_e32 v54, 2, v64
	v_ashrrev_i32_e32 v55, 31, v54
	v_mul_lo_u32 v62, v55, s30
	v_mul_lo_u32 v63, v54, s31
	v_mad_u64_u32 v[54:55], s[20:21], v54, s30, 0
	v_add3_u32 v55, v55, v63, v62
	v_add_u32_e32 v62, 3, v64
	v_ashrrev_i32_e32 v63, 31, v62
	v_mul_lo_u32 v64, v63, s30
	v_mul_lo_u32 v65, v62, s31
	v_mad_u64_u32 v[62:63], s[20:21], v62, s30, 0
	s_ashr_i32 s21, s57, 31
	s_add_u32 s20, s56, s57
	s_addc_u32 s21, s55, s21
	v_lshl_add_u64 v[50:51], v[50:51], 2, s[42:43]
	v_add3_u32 v63, v63, v65, v64
	s_lshl_b64 s[20:21], s[20:21], 8
	v_lshl_add_u64 v[52:53], v[52:53], 2, s[42:43]
	v_lshl_add_u64 v[54:55], v[54:55], 2, s[42:43]
	;; [unrolled: 1-line block ×3, first 2 shown]
	global_load_dword v72, v[50:51], off
	global_load_dword v73, v[52:53], off
	global_load_dword v74, v[54:55], off
	global_load_dword v75, v[62:63], off
	v_lshl_add_u64 v[50:51], v[82:83], 0, s[20:21]
	v_lshl_add_u64 v[54:55], v[50:51], 0, v[80:81]
	global_load_ushort v76, v[54:55], off offset:256
	global_load_ushort v149, v[54:55], off
	ds_read2st64_b64 v[50:53], v127 offset0:4 offset1:8
	global_load_ushort v150, v[54:55], off offset:768
	global_load_ushort v151, v[54:55], off offset:512
	ds_read2st64_b64 v[62:65], v128 offset0:4 offset1:8
	global_load_ushort v152, v[54:55], off offset:288
	global_load_ushort v153, v[54:55], off offset:32
	;; [unrolled: 1-line block ×4, first 2 shown]
	s_waitcnt lgkmcnt(2)
	v_mfma_f32_16x16x16_bf16 a[8:11], v[66:67], v[58:59], a[8:11]
	global_load_ushort v156, v[54:55], off offset:320
	global_load_ushort v157, v[54:55], off offset:64
	;; [unrolled: 1-line block ×4, first 2 shown]
	s_and_b64 vcc, exec, s[0:1]
	s_waitcnt lgkmcnt(1)
	v_mfma_f32_16x16x16_bf16 a[12:15], v[66:67], v[50:51], a[12:15]
	ds_read_b64 v[50:51], v125 offset:6144
	s_waitcnt lgkmcnt(1)
	v_mfma_f32_16x16x16_bf16 a[0:3], v[66:67], v[62:63], a[0:3]
	v_lshl_add_u64 v[62:63], v[84:85], 0, s[20:21]
	v_lshl_add_u64 v[62:63], v[62:63], 0, v[80:81]
	v_mfma_f32_16x16x16_bf16 a[4:7], v[68:69], v[56:57], a[4:7]
	v_mfma_f32_16x16x16_bf16 a[8:11], v[68:69], v[60:61], a[8:11]
	;; [unrolled: 1-line block ×4, first 2 shown]
	global_load_ushort v68, v[54:55], off offset:352
	global_load_ushort v69, v[54:55], off offset:96
	ds_read_b64 v[52:53], v126 offset:6144
	ds_read_b64 v[56:57], v127 offset:6144
	;; [unrolled: 1-line block ×3, first 2 shown]
	s_load_dword s2, s[2:3], 0x0
	global_load_ushort v160, v[54:55], off offset:864
	global_load_ushort v161, v[54:55], off offset:608
	s_waitcnt lgkmcnt(0)
	v_mfma_f32_16x16x16_bf16 a[4:7], v[70:71], v[50:51], a[4:7]
	s_waitcnt vmcnt(17)
	v_sub_f32_e32 v60, s2, v74
	v_mfma_f32_16x16x16_bf16 a[0:3], v[70:71], v[58:59], a[0:3]
	v_sub_f32_e32 v58, s2, v72
	v_sub_f32_e32 v59, s2, v73
	s_waitcnt vmcnt(16)
	v_sub_f32_e32 v61, s2, v75
	v_mfma_f32_16x16x16_bf16 a[8:11], v[70:71], v[52:53], a[8:11]
	v_exp_f32_e32 v58, v58
	v_exp_f32_e32 v59, v59
	;; [unrolled: 1-line block ×4, first 2 shown]
	v_accvgpr_read_b32 v67, a5
	s_waitcnt vmcnt(15)
	v_lshlrev_b32_e32 v65, 16, v76
	s_waitcnt vmcnt(14)
	v_lshlrev_b32_e32 v64, 16, v149
	v_accvgpr_read_b32 v66, a4
	v_accvgpr_read_b32 v51, a7
	;; [unrolled: 1-line block ×3, first 2 shown]
	v_pk_add_f32 v[64:65], v[64:65], v[66:67] neg_lo:[0,1] neg_hi:[0,1]
	s_waitcnt vmcnt(13)
	v_lshlrev_b32_e32 v67, 16, v150
	s_waitcnt vmcnt(12)
	v_lshlrev_b32_e32 v66, 16, v151
	v_pk_add_f32 v[50:51], v[66:67], v[50:51] neg_lo:[0,1] neg_hi:[0,1]
	global_store_short_d16_hi v[62:63], v64, off
	global_store_short_d16_hi v[62:63], v65, off offset:256
	global_store_short_d16_hi v[62:63], v50, off offset:512
	;; [unrolled: 1-line block ×3, first 2 shown]
	v_pk_mul_f32 v[64:65], v[58:59], v[64:65]
	v_pk_mul_f32 v[50:51], v[60:61], v[50:51]
	v_accvgpr_read_b32 v67, a9
	v_perm_b32 v64, v65, v64, s37
	v_perm_b32 v65, v51, v50, s37
	s_waitcnt vmcnt(15)
	v_lshlrev_b32_e32 v51, 16, v152
	s_waitcnt vmcnt(14)
	v_lshlrev_b32_e32 v50, 16, v153
	v_accvgpr_read_b32 v66, a8
	v_accvgpr_read_b32 v53, a11
	v_mfma_f32_16x16x16_bf16 a[12:15], v[70:71], v[56:57], a[12:15]
	v_accvgpr_read_b32 v52, a10
	v_pk_add_f32 v[50:51], v[50:51], v[66:67] neg_lo:[0,1] neg_hi:[0,1]
	s_waitcnt vmcnt(13)
	v_lshlrev_b32_e32 v67, 16, v154
	s_waitcnt vmcnt(12)
	v_lshlrev_b32_e32 v66, 16, v155
	v_pk_add_f32 v[52:53], v[66:67], v[52:53] neg_lo:[0,1] neg_hi:[0,1]
	global_store_short_d16_hi v[62:63], v50, off offset:32
	global_store_short_d16_hi v[62:63], v51, off offset:288
	global_store_short_d16_hi v[62:63], v52, off offset:544
	global_store_short_d16_hi v[62:63], v53, off offset:800
	v_pk_mul_f32 v[50:51], v[58:59], v[50:51]
	v_pk_mul_f32 v[52:53], v[60:61], v[52:53]
	v_accvgpr_read_b32 v55, a15
	v_perm_b32 v53, v53, v52, s37
	v_perm_b32 v52, v51, v50, s37
	ds_write2_b64 v102, v[64:65], v[52:53] offset1:16
	v_accvgpr_read_b32 v53, a13
	s_waitcnt vmcnt(15)
	v_lshlrev_b32_e32 v51, 16, v156
	s_waitcnt vmcnt(14)
	v_lshlrev_b32_e32 v50, 16, v157
	v_accvgpr_read_b32 v52, a12
	v_accvgpr_read_b32 v54, a14
	v_pk_add_f32 v[50:51], v[50:51], v[52:53] neg_lo:[0,1] neg_hi:[0,1]
	s_waitcnt vmcnt(13)
	v_lshlrev_b32_e32 v53, 16, v158
	s_waitcnt vmcnt(12)
	v_lshlrev_b32_e32 v52, 16, v159
	v_pk_add_f32 v[52:53], v[52:53], v[54:55] neg_lo:[0,1] neg_hi:[0,1]
	global_store_short_d16_hi v[62:63], v50, off offset:64
	global_store_short_d16_hi v[62:63], v51, off offset:320
	;; [unrolled: 1-line block ×4, first 2 shown]
	v_pk_mul_f32 v[50:51], v[58:59], v[50:51]
	v_pk_mul_f32 v[52:53], v[60:61], v[52:53]
	v_accvgpr_read_b32 v55, a1
	v_perm_b32 v50, v51, v50, s37
	v_perm_b32 v51, v53, v52, s37
	s_waitcnt vmcnt(15)
	v_lshlrev_b32_e32 v53, 16, v68
	s_waitcnt vmcnt(14)
	v_lshlrev_b32_e32 v52, 16, v69
	v_accvgpr_read_b32 v54, a0
	v_accvgpr_read_b32 v57, a3
	;; [unrolled: 1-line block ×3, first 2 shown]
	v_pk_add_f32 v[52:53], v[52:53], v[54:55] neg_lo:[0,1] neg_hi:[0,1]
	s_waitcnt vmcnt(13)
	v_lshlrev_b32_e32 v55, 16, v160
	s_waitcnt vmcnt(12)
	v_lshlrev_b32_e32 v54, 16, v161
	v_pk_add_f32 v[54:55], v[54:55], v[56:57] neg_lo:[0,1] neg_hi:[0,1]
	global_store_short_d16_hi v[62:63], v52, off offset:96
	global_store_short_d16_hi v[62:63], v53, off offset:352
	;; [unrolled: 1-line block ×4, first 2 shown]
	v_pk_mul_f32 v[52:53], v[58:59], v[52:53]
	v_pk_mul_f32 v[54:55], v[60:61], v[54:55]
	v_mov_b32_e32 v149, 0
	v_perm_b32 v55, v55, v54, s37
	v_perm_b32 v54, v53, v52, s37
	ds_write2_b64 v102, v[50:51], v[54:55] offset0:32 offset1:48
	v_mov_b32_e32 v50, 0
	v_mov_b32_e32 v51, 0
	;; [unrolled: 1-line block ×16, first 2 shown]
	s_cbranch_vccnz .LBB147_14
; %bb.13:                               ;   in Loop: Header=BB147_6 Depth=1
	s_and_b32 s25, s25, 0xffff
	s_mov_b32 s27, s23
	buffer_load_dwordx4 v[62:65], v135, s[24:27], 0 offen
	buffer_load_dwordx4 v[54:57], v135, s[24:27], s59 offen
	;; [unrolled: 1-line block ×4, first 2 shown]
	v_mov_b32_e32 v148, v96
	v_mov_b32_e32 v149, v95
.LBB147_14:                             ;   in Loop: Header=BB147_6 Depth=1
	s_waitcnt lgkmcnt(0)
	s_barrier
	ds_read_b64 v[74:75], v138
	ds_read2_b64 v[66:69], v131 offset1:16
	ds_read_b64 v[166:167], v139
	ds_read_b64 v[168:169], v140
	;; [unrolled: 1-line block ×3, first 2 shown]
	ds_read2_b64 v[70:73], v131 offset0:32 offset1:48
	ds_read2st64_b64 v[150:153], v131 offset0:4 offset1:8
	ds_read2st64_b64 v[154:157], v132 offset0:4 offset1:8
	;; [unrolled: 1-line block ×4, first 2 shown]
	s_waitcnt lgkmcnt(8)
	v_mfma_f32_16x16x16_bf16 a[0:3], v[74:75], v[66:67], 0
	s_add_i32 s3, s54, s62
	s_mul_hi_i32 s21, s3, s13
	s_mul_i32 s3, s3, s13
	v_mfma_f32_16x16x16_bf16 a[4:7], v[74:75], v[68:69], 0
	s_add_u32 s20, s3, s49
	s_addc_u32 s21, s21, s50
	s_lshl_b64 s[20:21], s[20:21], 15
	s_waitcnt lgkmcnt(4)
	v_mfma_f32_16x16x16_bf16 a[8:11], v[74:75], v[70:71], 0
	s_mul_i32 s24, s64, s13
	s_mul_hi_i32 s3, s64, s13
	s_add_u32 s24, s24, s49
	v_mfma_f32_16x16x16_bf16 a[12:15], v[74:75], v[72:73], 0
	ds_read_b64 v[74:75], v131 offset:6144
	ds_read_b64 v[178:179], v132 offset:6144
	;; [unrolled: 1-line block ×4, first 2 shown]
	s_addc_u32 s25, s3, s50
	s_waitcnt lgkmcnt(7)
	v_mfma_f32_16x16x16_bf16 a[0:3], v[166:167], v[150:151], a[0:3]
	s_lshl_b64 s[24:25], s[24:25], 9
	s_add_u32 s24, s16, s24
	s_addc_u32 s25, s17, s25
	s_waitcnt lgkmcnt(6)
	v_mfma_f32_16x16x16_bf16 a[4:7], v[166:167], v[154:155], a[4:7]
	v_lshl_add_u64 v[188:189], v[86:87], 0, s[20:21]
	s_waitcnt lgkmcnt(5)
	v_mfma_f32_16x16x16_bf16 a[8:11], v[166:167], v[158:159], a[8:11]
	s_waitcnt lgkmcnt(4)
	v_mfma_f32_16x16x16_bf16 a[12:15], v[166:167], v[162:163], a[12:15]
	ds_read_b64 v[166:167], v143
	ds_read_b64 v[176:177], v144
	;; [unrolled: 1-line block ×3, first 2 shown]
	s_waitcnt lgkmcnt(2)
	v_mfma_f32_16x16x16_bf16 a[16:19], v[166:167], v[66:67], 0
	v_mfma_f32_16x16x16_bf16 a[20:23], v[166:167], v[68:69], 0
	global_load_dwordx4 v[66:69], v142, s[24:25]
	v_mfma_f32_16x16x16_bf16 a[24:27], v[166:167], v[70:71], 0
	v_mfma_f32_16x16x16_bf16 a[28:31], v[166:167], v[72:73], 0
	global_load_dwordx4 v[70:73], v79, s[24:25]
	v_mfma_f32_16x16x16_bf16 a[0:3], v[168:169], v[152:153], a[0:3]
	v_mfma_f32_16x16x16_bf16 a[4:7], v[168:169], v[156:157], a[4:7]
	v_mfma_f32_16x16x16_bf16 a[8:11], v[168:169], v[160:161], a[8:11]
	v_mfma_f32_16x16x16_bf16 a[12:15], v[168:169], v[164:165], a[12:15]
	v_mfma_f32_16x16x16_bf16 a[0:3], v[170:171], v[74:75], a[0:3]
	v_mfma_f32_16x16x16_bf16 a[4:7], v[170:171], v[178:179], a[4:7]
	v_mfma_f32_16x16x16_bf16 a[8:11], v[170:171], v[180:181], a[8:11]
	v_mfma_f32_16x16x16_bf16 a[12:15], v[170:171], v[182:183], a[12:15]
	ds_read2st64_b64 v[166:169], v129 offset1:8
	ds_read2st64_b64 v[170:173], v130 offset1:8
	ds_read_b64 v[186:187], v137 offset:40960
	s_waitcnt lgkmcnt(2)
	v_mov_b32_e32 v174, v166
	v_mfma_f32_16x16x16_bf16 a[16:19], v[176:177], v[150:151], a[16:19]
	v_mov_b32_e32 v175, v167
	v_mfma_f32_16x16x16_bf16 a[20:23], v[176:177], v[154:155], a[20:23]
	v_mfma_f32_16x16x16_bf16 a[24:27], v[176:177], v[158:159], a[24:27]
	;; [unrolled: 1-line block ×3, first 2 shown]
	v_add_co_u32_e32 v162, vcc, s39, v188
	s_waitcnt lgkmcnt(1)
	v_mov_b32_e32 v176, v170
	s_waitcnt lgkmcnt(0)
	v_mfma_f32_16x16x16_bf16 a[16:19], v[186:187], v[152:153], a[16:19]
	ds_read2st64_b64 v[150:153], v129 offset0:16 offset1:24
	v_addc_co_u32_e32 v163, vcc, 0, v189, vcc
	v_mfma_f32_16x16x16_bf16 a[20:23], v[186:187], v[156:157], a[20:23]
	ds_read2st64_b64 v[154:157], v130 offset0:16 offset1:24
	v_mov_b32_e32 v177, v171
	v_mov_b32_e32 v170, v168
	v_mfma_f32_16x16x16_bf16 a[32:35], v[186:187], v[160:161], a[24:27]
	v_mov_b32_e32 v171, v169
	s_waitcnt lgkmcnt(0)
	v_mov_b32_e32 v160, v154
	v_mov_b32_e32 v161, v155
	v_mfma_f32_16x16x16_bf16 a[36:39], v[186:187], v[164:165], a[28:31]
	v_mov_b32_e32 v154, v152
	v_mov_b32_e32 v155, v153
	;; [unrolled: 1-line block ×3, first 2 shown]
	v_mfma_f32_16x16x16_bf16 a[24:27], v[184:185], v[74:75], a[16:19]
	v_add_co_u32_e32 v74, vcc, s41, v188
	v_mov_b32_e32 v159, v151
	v_mfma_f32_16x16x16_bf16 a[28:31], v[184:185], v[178:179], a[20:23]
	v_addc_co_u32_e32 v75, vcc, 0, v189, vcc
	global_store_dwordx4 v[74:75], v[154:157], off
	v_mfma_f32_16x16x16_bf16 a[16:19], v[184:185], v[180:181], a[32:35]
	s_waitcnt vmcnt(2)
	v_mov_b32_e32 v76, v69
	v_mov_b32_e32 v75, v68
	;; [unrolled: 1-line block ×3, first 2 shown]
	v_mfma_f32_16x16x16_bf16 a[20:23], v[184:185], v[182:183], a[36:39]
	s_and_b64 vcc, exec, s[0:1]
	global_store_dwordx4 v[188:189], v[174:177], off
	global_store_dwordx4 v[162:163], v[170:173], off offset:-4096
	global_store_dwordx4 v[162:163], v[158:161], off
	s_cbranch_vccnz .LBB147_16
; %bb.15:                               ;   in Loop: Header=BB147_6 Depth=1
	v_lshrrev_b32_e32 v67, 3, v148
	v_and_b32_e32 v67, 6, v67
	v_xor_b32_e32 v68, v67, v149
	v_lshlrev_b32_e32 v68, 2, v68
	v_and_b32_e32 v69, 8, v148
	v_xor_b32_e32 v148, 0x440, v68
	v_cmp_eq_u32_e32 vcc, 0, v69
	v_perm_b32 v69, v54, v50, s60
	s_nop 0
	v_cndmask_b32_e32 v68, v148, v68, vcc
	v_lshl_or_b32 v67, v67, 10, v68
	v_perm_b32 v68, v62, v58, s60
	s_barrier
	ds_write2st64_b32 v67, v68, v69 offset0:128 offset1:160
	v_xor_b32_e32 v68, 8, v67
	v_perm_b32 v58, v62, v58, s61
	v_perm_b32 v50, v54, v50, s61
	v_add_u32_e32 v54, 0x80, v68
	ds_write2st64_b32 v54, v58, v50 offset0:128 offset1:160
	v_xor_b32_e32 v50, 16, v67
	v_perm_b32 v54, v63, v59, s60
	v_perm_b32 v58, v55, v51, s60
	ds_write2st64_b32 v50, v54, v58 offset0:129 offset1:161
	v_xor_b32_e32 v50, 24, v67
	v_perm_b32 v54, v63, v59, s61
	v_perm_b32 v51, v55, v51, s61
	v_add_u32_e32 v50, 0x80, v50
	ds_write2st64_b32 v50, v54, v51 offset0:129 offset1:161
	v_xor_b32_e32 v50, 32, v67
	v_perm_b32 v51, v64, v60, s60
	v_perm_b32 v54, v56, v52, s60
	;; [unrolled: 9-line block ×3, first 2 shown]
	ds_write2st64_b32 v50, v51, v52 offset0:131 offset1:163
	v_xor_b32_e32 v50, 56, v67
	v_perm_b32 v51, v65, v61, s61
	v_perm_b32 v52, v57, v53, s61
	v_add_u32_e32 v50, 0x80, v50
	ds_write2st64_b32 v50, v51, v52 offset0:131 offset1:163
	ds_write_b64 v147, v[46:47] offset:49152
	v_xor_b32_e32 v46, 8, v147
	ds_write_b64 v46, v[48:49] offset:49152
	ds_write_b64 v147, v[42:43] offset:57344
	ds_write_b64 v46, v[44:45] offset:57344
	ds_write_b64 v146, v[38:39] offset:49152
	v_xor_b32_e32 v38, 8, v146
	ds_write_b64 v38, v[40:41] offset:49152
	ds_write_b64 v146, v[34:35] offset:57344
	;; [unrolled: 1-line block ×3, first 2 shown]
.LBB147_16:                             ;   in Loop: Header=BB147_6 Depth=1
	v_exp_f32_e32 v68, s2
	s_waitcnt vmcnt(4)
	v_exp_f32_e32 v70, v70
	v_exp_f32_e32 v71, v71
	;; [unrolled: 1-line block ×4, first 2 shown]
	v_accvgpr_read_b32 v37, a3
	v_accvgpr_read_b32 v36, a2
	v_accvgpr_read_b32 v35, a1
	v_accvgpr_read_b32 v34, a0
	v_pk_mul_f32 v[70:71], v[68:69], v[70:71] op_sel_hi:[0,1]
	v_pk_mul_f32 v[72:73], v[68:69], v[72:73] op_sel_hi:[0,1]
	v_pk_fma_f32 v[22:23], v[22:23], v[70:71], v[34:35]
	v_pk_fma_f32 v[24:25], v[24:25], v[72:73], v[36:37]
	v_exp_f32_e32 v34, v66
	v_exp_f32_e32 v35, v74
	;; [unrolled: 1-line block ×4, first 2 shown]
	v_accvgpr_read_b32 v41, a7
	v_accvgpr_read_b32 v45, a11
	;; [unrolled: 1-line block ×28, first 2 shown]
	v_pk_mul_f32 v[34:35], v[68:69], v[34:35] op_sel_hi:[0,1]
	v_pk_mul_f32 v[36:37], v[68:69], v[36:37] op_sel_hi:[0,1]
	s_add_i32 s57, s57, 64
	v_pk_fma_f32 v[14:15], v[70:71], v[14:15], v[38:39]
	v_pk_fma_f32 v[16:17], v[72:73], v[16:17], v[40:41]
	;; [unrolled: 1-line block ×13, first 2 shown]
	s_cmp_eq_u32 s51, s63
	v_pk_fma_f32 v[12:13], v[36:37], v[12:13], v[64:65]
	s_cbranch_scc1 .LBB147_18
; %bb.17:                               ;   in Loop: Header=BB147_6 Depth=1
	s_mov_b32 s62, s63
	s_branch .LBB147_6
.LBB147_18:
	s_lshl_b32 s26, s51, 6
	s_sub_i32 s27, s52, s26
	s_cmp_gt_i32 s27, 0
	s_cbranch_scc0 .LBB147_99
; %bb.19:
	s_add_i32 s26, s26, s34
	s_ashr_i32 s2, s26, 31
	s_cmpk_lg_i32 s15, 0x80
	s_cselect_b64 s[22:23], -1, 0
	s_and_b64 vcc, exec, s[22:23]
	s_cbranch_vccz .LBB147_21
; %bb.20:
	s_mul_i32 s1, s26, s14
	s_ashr_i32 s3, s53, 31
	s_mul_hi_i32 s0, s26, s14
	s_add_u32 s24, s1, s53
	s_addc_u32 s25, s0, s3
	s_cbranch_execz .LBB147_22
	s_branch .LBB147_23
.LBB147_21:
                                        ; implicit-def: $sgpr24_sgpr25
.LBB147_22:
	s_mul_i32 s1, s53, s12
	s_mul_hi_i32 s0, s53, s12
	s_add_u32 s24, s1, s26
	s_addc_u32 s25, s0, s2
.LBB147_23:
	s_add_i32 s3, s51, s54
	s_add_u32 s0, s56, s26
	s_addc_u32 s1, s55, s2
	v_lshlrev_b32_e32 v35, 6, v93
	v_lshlrev_b32_e32 v34, 2, v90
	s_mov_b32 s2, 0x7060302
	s_waitcnt vmcnt(7)
	v_perm_b32 v25, v25, v24, s2
	v_perm_b32 v24, v23, v22, s2
	s_waitcnt vmcnt(6)
	v_perm_b32 v22, v31, v30, s2
	v_or_b32_e32 v30, v35, v34
	v_xor_b32_e32 v36, v93, v34
	v_perm_b32 v23, v33, v32, s2
	v_lshlrev_b32_e32 v30, 1, v30
	ds_write2st64_b64 v30, v[24:25], v[22:23] offset0:32 offset1:48
	v_lshlrev_b32_e32 v30, 1, v36
	v_lshlrev_b32_e32 v31, 8, v90
	v_xor_b32_e32 v37, v94, v34
	v_or_b32_e32 v32, v30, v31
	ds_write_b64 v32, v[24:25]
	v_lshlrev_b32_e32 v24, 1, v37
	v_or_b32_e32 v25, v24, v31
	ds_write_b64 v25, v[22:23]
	v_or_b32_e32 v22, 16, v90
	v_lshlrev_b32_e32 v23, 2, v22
	v_or_b32_e32 v25, v35, v23
	s_waitcnt vmcnt(5)
	v_perm_b32 v17, v17, v16, s2
	v_perm_b32 v16, v15, v14, s2
	s_waitcnt vmcnt(4)
	v_perm_b32 v15, v29, v28, s2
	v_perm_b32 v14, v27, v26, s2
	v_lshlrev_b32_e32 v25, 1, v25
	v_lshlrev_b32_e32 v22, 8, v22
	ds_write2st64_b64 v25, v[16:17], v[14:15] offset0:32 offset1:48
	v_or_b32_e32 v25, v30, v22
	ds_write_b64 v25, v[16:17]
	v_or_b32_e32 v16, v24, v22
	ds_write_b64 v16, v[14:15]
	v_or_b32_e32 v14, 32, v90
	v_lshlrev_b32_e32 v22, 2, v14
	v_or_b32_e32 v15, v35, v22
	s_waitcnt vmcnt(3)
	v_perm_b32 v9, v9, v8, s2
	v_perm_b32 v8, v7, v6, s2
	s_waitcnt vmcnt(2)
	v_perm_b32 v7, v21, v20, s2
	v_perm_b32 v6, v19, v18, s2
	v_lshlrev_b32_e32 v15, 1, v15
	v_lshlrev_b32_e32 v14, 8, v14
	s_lshl_b64 s[20:21], s[0:1], 8
	ds_write2st64_b64 v15, v[8:9], v[6:7] offset0:32 offset1:48
	v_or_b32_e32 v15, v30, v14
	s_add_u32 s0, s6, s20
	ds_write_b64 v15, v[8:9]
	v_or_b32_e32 v8, v24, v14
	s_addc_u32 s1, s7, s21
	ds_write_b64 v8, v[6:7]
	v_or_b32_e32 v6, 48, v90
	s_mul_hi_i32 s6, s3, s13
	s_mul_i32 s3, s3, s13
	s_waitcnt vmcnt(1)
	v_perm_b32 v5, v5, v4, s2
	v_perm_b32 v4, v3, v2, s2
	s_waitcnt vmcnt(0)
	v_perm_b32 v3, v13, v12, s2
	v_perm_b32 v2, v11, v10, s2
	v_lshlrev_b32_e32 v19, 2, v6
	s_add_u32 s2, s3, s49
	v_or_b32_e32 v7, v35, v19
	s_addc_u32 s3, s6, s50
	v_lshlrev_b32_e32 v7, 1, v7
	v_lshlrev_b32_e32 v6, 8, v6
	s_ashr_i32 s41, s40, 31
	s_lshl_b64 s[2:3], s[2:3], 15
	ds_write2st64_b64 v7, v[4:5], v[2:3] offset0:32 offset1:48
	v_or_b32_e32 v7, v30, v6
	s_add_u32 s6, s18, s2
	ds_write_b64 v7, v[4:5]
	v_or_b32_e32 v4, v24, v6
	s_addc_u32 s7, s19, s3
	s_lshl_b64 s[2:3], s[40:41], 8
	ds_write_b64 v4, v[2:3]
	s_add_u32 s2, s6, s2
	v_lshlrev_b32_e32 v3, 1, v90
	v_lshrrev_b32_e32 v2, 4, v0
	s_addc_u32 s3, s7, s3
	v_or_b32_e32 v4, 1, v3
	v_lshlrev_b32_e32 v10, 4, v90
	v_mov_b32_e32 v11, 0
	v_xor_b32_e32 v3, v2, v3
	v_xor_b32_e32 v6, v4, v2
	v_lshl_add_u64 v[12:13], s[2:3], 0, v[10:11]
	v_lshlrev_b32_e32 v10, 8, v2
	v_lshl_or_b32 v16, v3, 3, v10
	v_lshl_or_b32 v17, v6, 3, v10
	s_waitcnt lgkmcnt(0)
	s_barrier
	ds_read2st64_b64 v[2:5], v16 offset1:8
	ds_read2st64_b64 v[6:9], v17 offset1:8
	v_lshl_add_u64 v[14:15], v[12:13], 0, v[10:11]
	s_movk_i32 s2, 0x2000
	s_cmp_lg_u32 s27, 64
	s_waitcnt lgkmcnt(1)
	v_mov_b32_e32 v10, v2
	v_mov_b32_e32 v11, v3
	s_waitcnt lgkmcnt(0)
	v_mov_b32_e32 v12, v6
	v_mov_b32_e32 v13, v7
	global_store_dwordx4 v[14:15], v[10:13], off
	v_mov_b32_e32 v6, v4
	v_mov_b32_e32 v7, v5
	ds_read2st64_b64 v[2:5], v16 offset0:16 offset1:24
	ds_read2st64_b64 v[10:13], v17 offset0:16 offset1:24
	v_add_co_u32_e32 v16, vcc, s2, v14
	s_cselect_b64 s[6:7], -1, 0
	s_nop 0
	v_addc_co_u32_e32 v17, vcc, 0, v15, vcc
	global_store_dwordx4 v[16:17], v[6:9], off offset:-4096
	v_lshl_or_b32 v24, v88, 3, v92
	s_mov_b32 s16, 0
	s_waitcnt lgkmcnt(1)
	v_mov_b32_e32 v6, v2
	v_add_co_u32_e32 v2, vcc, 0x3000, v14
	v_mov_b32_e32 v7, v3
	s_nop 0
	v_addc_co_u32_e32 v3, vcc, 0, v15, vcc
	s_waitcnt lgkmcnt(0)
	v_mov_b32_e32 v8, v10
	v_mov_b32_e32 v9, v11
	;; [unrolled: 1-line block ×4, first 2 shown]
	v_or_b32_e32 v20, 32, v24
	v_and_b32_e32 v18, 56, v91
	s_and_b64 vcc, exec, s[6:7]
	global_store_dwordx4 v[16:17], v[6:9], off
	global_store_dwordx4 v[2:3], v[10:13], off
	s_cbranch_vccz .LBB147_29
; %bb.24:
	s_mov_b32 s17, s16
	s_mov_b32 s18, s16
	;; [unrolled: 1-line block ×3, first 2 shown]
	v_mov_b64_e32 v[6:7], s[16:17]
	v_mov_b64_e32 v[8:9], s[18:19]
	;; [unrolled: 1-line block ×3, first 2 shown]
	v_cmp_gt_i32_e32 vcc, s27, v24
	v_mov_b64_e32 v[4:5], v[8:9]
	s_and_saveexec_b64 s[2:3], vcc
	s_cbranch_execz .LBB147_26
; %bb.25:
	v_lshlrev_b32_e32 v2, 8, v24
	v_mov_b32_e32 v3, 0
	v_lshl_add_u64 v[4:5], s[0:1], 0, v[2:3]
	v_lshlrev_b32_e32 v2, 1, v18
	v_lshl_add_u64 v[10:11], v[4:5], 0, v[2:3]
	global_load_dwordx4 v[6:9], v[10:11], off
	global_load_dwordx4 v[2:5], v[10:11], off offset:128
.LBB147_26:
	s_or_b64 exec, exec, s[2:3]
	s_mov_b32 s17, s16
	s_mov_b32 s18, s16
	s_mov_b32 s19, s16
	v_mov_b64_e32 v[14:15], s[16:17]
	v_mov_b64_e32 v[16:17], s[18:19]
	;; [unrolled: 1-line block ×3, first 2 shown]
	v_cmp_gt_i32_e32 vcc, s27, v20
	v_lshlrev_b32_e32 v21, 7, v20
	v_mov_b64_e32 v[12:13], v[16:17]
	s_and_saveexec_b64 s[2:3], vcc
	s_cbranch_execz .LBB147_28
; %bb.27:
	v_lshlrev_b32_e32 v10, 1, v21
	v_mov_b32_e32 v11, 0
	v_lshl_add_u64 v[12:13], s[0:1], 0, v[10:11]
	v_lshlrev_b32_e32 v10, 1, v18
	v_lshl_add_u64 v[26:27], v[12:13], 0, v[10:11]
	global_load_dwordx4 v[14:17], v[26:27], off
	global_load_dwordx4 v[10:13], v[26:27], off offset:128
.LBB147_28:
	s_or_b64 exec, exec, s[2:3]
	v_lshrrev_b32_e32 v25, 3, v18
	v_lshlrev_b32_e32 v26, 3, v24
	v_or_b32_e32 v25, v26, v25
	v_lshlrev_b32_e32 v25, 4, v25
	v_and_b32_e32 v26, 0x78, v26
	v_xor_b32_e32 v25, v25, v26
	s_branch .LBB147_31
.LBB147_29:
                                        ; implicit-def: $vgpr25
                                        ; implicit-def: $vgpr21
                                        ; implicit-def: $vgpr6_vgpr7_vgpr8_vgpr9
                                        ; implicit-def: $vgpr2_vgpr3_vgpr4_vgpr5
                                        ; implicit-def: $vgpr14_vgpr15_vgpr16_vgpr17
                                        ; implicit-def: $vgpr10_vgpr11_vgpr12_vgpr13
	s_cbranch_execz .LBB147_31
; %bb.30:
	s_waitcnt vmcnt(0)
	v_lshlrev_b32_e32 v2, 1, v18
	v_lshl_or_b32 v21, v24, 8, v2
	s_and_b32 s1, s1, 0xffff
	s_mov_b32 s3, 0x20000
	s_movk_i32 s2, 0x4000
	v_lshl_or_b32 v25, v20, 8, v2
	s_movk_i32 s12, 0x80
	buffer_load_dwordx4 v[6:9], v21, s[0:3], 0 offen
	buffer_load_dwordx4 v[2:5], v21, s[0:3], s12 offen
	;; [unrolled: 1-line block ×4, first 2 shown]
	v_lshrrev_b32_e32 v21, 3, v18
	v_lshlrev_b32_e32 v25, 3, v24
	v_or_b32_e32 v21, v25, v21
	v_lshlrev_b32_e32 v21, 4, v21
	v_and_b32_e32 v25, 0x78, v25
	v_xor_b32_e32 v25, v21, v25
	v_lshlrev_b32_e32 v21, 7, v20
.LBB147_31:
	s_movk_i32 s0, 0x1000
	v_and_or_b32 v20, v21, s0, v25
	s_waitcnt vmcnt(1)
	ds_write_b64 v25, v[6:7] offset:49152
	v_xor_b32_e32 v6, 8, v25
	ds_write_b64 v6, v[8:9] offset:49152
	s_waitcnt vmcnt(0)
	ds_write_b64 v25, v[2:3] offset:57344
	ds_write_b64 v6, v[4:5] offset:57344
	;; [unrolled: 1-line block ×3, first 2 shown]
	v_xor_b32_e32 v2, 8, v20
	ds_write_b64 v2, v[16:17] offset:49152
	ds_write_b64 v20, v[10:11] offset:57344
	;; [unrolled: 1-line block ×3, first 2 shown]
	v_or_b32_e32 v2, v1, v90
	v_lshlrev_b32_e32 v3, 11, v88
	v_lshlrev_b32_e32 v2, 3, v2
	v_and_b32_e32 v6, 0x1000, v3
	v_lshrrev_b32_e32 v3, 5, v77
	s_movk_i32 s0, 0xf8
	v_and_or_b32 v3, v2, s0, v3
	v_lshlrev_b32_e32 v7, 4, v3
	v_and_b32_e32 v8, 0x78, v2
	v_or_b32_e32 v10, 32, v7
	v_lshrrev_b32_e32 v3, 1, v77
	v_xor_b32_e32 v10, v10, v8
	v_xor_b32_e32 v2, v7, v8
	v_and_b32_e32 v9, 8, v3
	v_or_b32_e32 v10, v10, v6
	v_or_b32_e32 v2, v2, v6
	v_xor_b32_e32 v27, v10, v9
	v_or_b32_e32 v10, 64, v7
	v_xor_b32_e32 v26, v2, v9
	v_xor_b32_e32 v10, v10, v8
	s_waitcnt lgkmcnt(0)
	s_barrier
	v_or_b32_e32 v13, v10, v6
	ds_read_b64 v[10:11], v26 offset:49152
	v_lshl_or_b32 v14, v89, 8, v34
	v_lshlrev_b32_e32 v25, 1, v14
	v_add_u32_e32 v12, 0x4000, v25
	ds_read2_b64 v[2:5], v12 offset1:16
	v_or_b32_e32 v7, 0x60, v7
	v_xor_b32_e32 v7, v7, v8
	v_or_b32_e32 v6, v7, v6
	v_xor_b32_e32 v28, v13, v9
	v_xor_b32_e32 v29, v6, v9
	ds_read_b64 v[20:21], v27 offset:49152
	ds_read_b64 v[36:37], v28 offset:49152
	;; [unrolled: 1-line block ×3, first 2 shown]
	s_waitcnt lgkmcnt(3)
	v_mfma_f32_16x16x16_bf16 a[0:3], v[10:11], v[2:3], 0
	ds_read2st64_b64 v[6:9], v25 offset0:36 offset1:40
	s_lshl_b64 s[0:1], s[24:25], 8
	s_add_u32 s4, s4, s0
	v_mfma_f32_16x16x16_bf16 a[4:7], v[10:11], v[4:5], 0
	ds_read2_b64 v[2:5], v12 offset0:32 offset1:48
	s_addc_u32 s5, s5, s1
	s_add_i32 s1, s45, s33
	s_waitcnt lgkmcnt(0)
	v_mfma_f32_16x16x16_bf16 a[8:11], v[10:11], v[2:3], 0
	v_or_b32_e32 v2, 64, v14
	v_lshlrev_b32_e32 v30, 1, v2
	s_add_i32 s0, s35, -1
	v_mfma_f32_16x16x16_bf16 a[12:15], v[10:11], v[4:5], 0
	ds_read2st64_b64 v[2:5], v30 offset0:36 offset1:40
	s_add_i32 s39, s1, s44
	s_add_i32 s1, s47, s46
	v_mfma_f32_16x16x16_bf16 a[0:3], v[20:21], v[6:7], a[0:3]
	v_or_b32_e32 v6, 0x80, v14
	v_lshlrev_b32_e32 v31, 1, v6
	ds_read2st64_b64 v[10:13], v31 offset0:36 offset1:40
	s_waitcnt lgkmcnt(1)
	v_mfma_f32_16x16x16_bf16 a[4:7], v[20:21], v[2:3], a[4:7]
	v_or_b32_e32 v2, 0xc0, v14
	v_lshlrev_b32_e32 v32, 1, v2
	ds_read2st64_b64 v[14:17], v32 offset0:36 offset1:40
	s_add_i32 s37, s1, s48
	s_ashr_i32 s1, s0, 31
	s_mul_i32 s2, s0, s31
	s_mul_hi_u32 s3, s0, s30
	s_add_i32 s2, s3, s2
	s_mul_i32 s1, s1, s30
	s_waitcnt lgkmcnt(1)
	v_mfma_f32_16x16x16_bf16 a[8:11], v[20:21], v[10:11], a[8:11]
	s_add_i32 s1, s2, s1
	s_lshl_b64 s[2:3], s[38:39], 2
	s_add_u32 s10, s10, s2
	s_waitcnt lgkmcnt(0)
	v_mfma_f32_16x16x16_bf16 a[12:15], v[20:21], v[14:15], a[12:15]
	s_addc_u32 s11, s11, s3
	s_lshl_b64 s[2:3], s[36:37], 2
	s_mul_i32 s0, s0, s30
	v_mfma_f32_16x16x16_bf16 a[0:3], v[36:37], v[8:9], a[0:3]
	ds_read_b64 v[2:3], v25 offset:22528
	s_add_u32 s10, s10, s2
	s_addc_u32 s11, s11, s3
	v_mfma_f32_16x16x16_bf16 a[4:7], v[36:37], v[4:5], a[4:7]
	ds_read_b64 v[4:5], v30 offset:22528
	ds_read_b64 v[6:7], v31 offset:22528
	;; [unrolled: 1-line block ×3, first 2 shown]
	s_lshl_b64 s[0:1], s[0:1], 2
	s_add_u32 s0, s10, s0
	v_mfma_f32_16x16x16_bf16 a[8:11], v[36:37], v[12:13], a[8:11]
	s_addc_u32 s1, s11, s1
	s_load_dword s12, s[0:1], 0x0
	s_and_b64 vcc, exec, s[22:23]
	v_mfma_f32_16x16x16_bf16 a[12:15], v[36:37], v[16:17], a[12:15]
	s_waitcnt lgkmcnt(0)
	v_mfma_f32_16x16x16_bf16 a[0:3], v[38:39], v[2:3], a[0:3]
	v_mfma_f32_16x16x16_bf16 a[4:7], v[38:39], v[4:5], a[4:7]
	;; [unrolled: 1-line block ×4, first 2 shown]
	s_cbranch_vccz .LBB147_42
; %bb.32:
	v_lshlrev_b32_e32 v20, 1, v24
	s_and_b64 vcc, exec, s[6:7]
	s_cbranch_vccz .LBB147_43
; %bb.33:
	v_cmp_gt_i32_e32 vcc, s27, v20
	v_mov_b32_e32 v6, 0
	v_mov_b32_e32 v2, 0
	;; [unrolled: 1-line block ×5, first 2 shown]
	s_and_saveexec_b64 s[0:1], vcc
	s_cbranch_execz .LBB147_35
; %bb.34:
	v_mad_i64_i32 v[2:3], s[2:3], s15, v20, 0
	v_lshl_add_u64 v[2:3], v[2:3], 1, s[4:5]
	v_lshlrev_b32_e32 v4, 1, v18
	v_mov_b32_e32 v5, 0
	v_lshl_add_u64 v[2:3], v[2:3], 0, v[4:5]
	global_load_dwordx4 v[2:5], v[2:3], off
.LBB147_35:
	s_or_b64 exec, exec, s[0:1]
	v_or_b32_e32 v21, 1, v20
	v_cmp_gt_i32_e64 s[0:1], s27, v21
	v_mov_b32_e32 v7, 0
	v_mov_b32_e32 v8, 0
	;; [unrolled: 1-line block ×3, first 2 shown]
	s_and_saveexec_b64 s[2:3], s[0:1]
	s_cbranch_execz .LBB147_37
; %bb.36:
	v_mad_i64_i32 v[6:7], s[16:17], s15, v21, 0
	v_lshl_add_u64 v[6:7], v[6:7], 1, s[4:5]
	v_lshlrev_b32_e32 v8, 1, v18
	v_mov_b32_e32 v9, 0
	v_lshl_add_u64 v[6:7], v[6:7], 0, v[8:9]
	global_load_dwordx4 v[6:9], v[6:7], off
.LBB147_37:
	s_or_b64 exec, exec, s[2:3]
	v_mov_b32_e32 v17, 0
	v_mov_b32_e32 v10, 0
	;; [unrolled: 1-line block ×5, first 2 shown]
	s_and_saveexec_b64 s[2:3], vcc
	s_cbranch_execz .LBB147_39
; %bb.38:
	v_mad_i64_i32 v[10:11], s[16:17], s15, v20, 0
	v_lshl_add_u64 v[10:11], v[10:11], 1, s[4:5]
	v_lshlrev_b32_e32 v12, 1, v18
	v_mov_b32_e32 v13, 0
	v_lshl_add_u64 v[10:11], v[10:11], 0, v[12:13]
	global_load_dwordx4 v[10:13], v[10:11], off offset:128
.LBB147_39:
	s_or_b64 exec, exec, s[2:3]
	v_mov_b32_e32 v16, 0
	v_mov_b32_e32 v15, 0
	;; [unrolled: 1-line block ×3, first 2 shown]
	s_and_saveexec_b64 s[2:3], s[0:1]
	s_cbranch_execz .LBB147_41
; %bb.40:
	v_mad_i64_i32 v[14:15], s[0:1], s15, v21, 0
	v_lshl_add_u64 v[14:15], v[14:15], 1, s[4:5]
	v_lshlrev_b32_e32 v16, 1, v18
	v_mov_b32_e32 v17, 0
	v_lshl_add_u64 v[14:15], v[14:15], 0, v[16:17]
	global_load_dwordx4 v[14:17], v[14:15], off offset:128
.LBB147_41:
	s_or_b64 exec, exec, s[2:3]
	s_branch .LBB147_45
.LBB147_42:
                                        ; implicit-def: $vgpr5
                                        ; implicit-def: $vgpr9
                                        ; implicit-def: $vgpr13
                                        ; implicit-def: $vgpr17
	v_lshrrev_b32_e32 v33, 2, v77
	s_branch .LBB147_46
.LBB147_43:
                                        ; implicit-def: $vgpr5
                                        ; implicit-def: $vgpr9
                                        ; implicit-def: $vgpr13
                                        ; implicit-def: $vgpr17
	s_cbranch_execz .LBB147_45
; %bb.44:
	s_waitcnt vmcnt(0)
	v_mad_u64_u32 v[2:3], s[0:1], v20, s15, v[18:19]
	v_lshlrev_b32_e32 v20, 1, v2
	s_lshl_b32 s2, s15, 7
	s_and_b32 s1, s5, 0xffff
	s_mov_b32 s3, 0x20000
	s_mov_b32 s0, s4
	v_add_lshl_u32 v21, v2, s15, 1
	s_movk_i32 s13, 0x80
	buffer_load_dwordx4 v[2:5], v20, s[0:3], 0 offen
	buffer_load_dwordx4 v[10:13], v20, s[0:3], s13 offen
	;; [unrolled: 1-line block ×4, first 2 shown]
.LBB147_45:
	v_lshrrev_b32_e32 v33, 2, v77
	s_cbranch_execnz .LBB147_58
.LBB147_46:
	s_and_b64 vcc, exec, s[6:7]
	s_cbranch_vccz .LBB147_56
; %bb.47:
	s_waitcnt vmcnt(0)
	v_lshlrev_b32_e32 v7, 1, v24
	v_cmp_gt_i32_e32 vcc, s27, v7
	v_mov_b32_e32 v6, 0
	v_lshlrev_b32_e32 v14, 9, v24
	v_mov_b32_e32 v2, 0
	v_mov_b32_e32 v3, 0
	;; [unrolled: 1-line block ×4, first 2 shown]
	s_and_saveexec_b64 s[0:1], vcc
	s_cbranch_execz .LBB147_49
; %bb.48:
	v_mov_b32_e32 v15, 0
	v_lshl_add_u64 v[2:3], s[4:5], 0, v[14:15]
	v_lshlrev_b32_e32 v4, 1, v18
	v_mov_b32_e32 v5, v15
	v_lshl_add_u64 v[2:3], v[2:3], 0, v[4:5]
	global_load_dwordx4 v[2:5], v[2:3], off
.LBB147_49:
	s_or_b64 exec, exec, s[0:1]
	v_or_b32_e32 v7, 1, v7
	v_cmp_gt_i32_e64 s[0:1], s27, v7
	v_lshlrev_b32_e32 v20, 8, v7
	v_mov_b32_e32 v7, 0
	v_mov_b32_e32 v8, 0
	;; [unrolled: 1-line block ×3, first 2 shown]
	s_and_saveexec_b64 s[2:3], s[0:1]
	s_cbranch_execz .LBB147_51
; %bb.50:
	v_mov_b32_e32 v21, 0
	v_lshl_add_u64 v[6:7], s[4:5], 0, v[20:21]
	v_lshlrev_b32_e32 v8, 1, v18
	v_mov_b32_e32 v9, v21
	v_lshl_add_u64 v[6:7], v[6:7], 0, v[8:9]
	global_load_dwordx4 v[6:9], v[6:7], off
.LBB147_51:
	s_or_b64 exec, exec, s[2:3]
	v_mov_b32_e32 v17, 0
	v_mov_b32_e32 v10, 0
	;; [unrolled: 1-line block ×5, first 2 shown]
	s_and_saveexec_b64 s[2:3], vcc
	s_cbranch_execz .LBB147_53
; %bb.52:
	v_mov_b32_e32 v15, 0
	v_lshl_add_u64 v[10:11], s[4:5], 0, v[14:15]
	v_lshlrev_b32_e32 v14, 1, v18
	v_lshl_add_u64 v[10:11], v[10:11], 0, v[14:15]
	global_load_dwordx4 v[10:13], v[10:11], off offset:128
.LBB147_53:
	s_or_b64 exec, exec, s[2:3]
	v_mov_b32_e32 v16, 0
	v_mov_b32_e32 v15, 0
	;; [unrolled: 1-line block ×3, first 2 shown]
	s_and_saveexec_b64 s[2:3], s[0:1]
	s_cbranch_execz .LBB147_55
; %bb.54:
	v_mov_b32_e32 v21, 0
	v_lshl_add_u64 v[14:15], s[4:5], 0, v[20:21]
	v_lshlrev_b32_e32 v20, 1, v18
	v_lshl_add_u64 v[14:15], v[14:15], 0, v[20:21]
	global_load_dwordx4 v[14:17], v[14:15], off offset:128
.LBB147_55:
	s_or_b64 exec, exec, s[2:3]
	s_branch .LBB147_58
.LBB147_56:
                                        ; implicit-def: $vgpr5
                                        ; implicit-def: $vgpr9
                                        ; implicit-def: $vgpr13
                                        ; implicit-def: $vgpr17
	s_cbranch_execz .LBB147_58
; %bb.57:
	s_waitcnt vmcnt(0)
	v_lshlrev_b32_e32 v2, 1, v18
	v_lshl_or_b32 v18, v24, 9, v2
	s_and_b32 s5, s5, 0xffff
	s_mov_b32 s7, 0x20000
	s_movk_i32 s6, 0x4000
	s_movk_i32 s0, 0x80
	buffer_load_dwordx4 v[2:5], v18, s[4:7], 0 offen
	buffer_load_dwordx4 v[6:9], v18, s[4:7], 0 offen offset:256
	buffer_load_dwordx4 v[10:13], v18, s[4:7], s0 offen
	buffer_load_dwordx4 v[14:17], v18, s[4:7], s0 offen offset:256
.LBB147_58:
	ds_read_b64 v[20:21], v26 offset:57344
	v_add_u32_e32 v18, 0x6000, v25
	ds_read2_b64 v[36:39], v18 offset1:16
	ds_read_b64 v[48:49], v27 offset:57344
	ds_read_b64 v[50:51], v28 offset:57344
	;; [unrolled: 1-line block ×3, first 2 shown]
	ds_read2_b64 v[26:29], v18 offset0:32 offset1:48
	v_and_b32_e32 v18, 6, v0
	v_xor_b32_e32 v24, v24, v18
	v_lshlrev_b32_e32 v24, 2, v24
	v_and_b32_e32 v0, 1, v0
	v_cmp_eq_u32_e32 vcc, 0, v0
	s_waitcnt lgkmcnt(4)
	v_mfma_f32_16x16x16_bf16 a[0:3], v[20:21], v[36:37], a[0:3]
	s_mov_b32 s0, 0x1000504
	s_mov_b32 s1, 0x3020706
	v_mfma_f32_16x16x16_bf16 a[4:7], v[20:21], v[38:39], a[4:7]
	ds_read2st64_b64 v[36:39], v25 offset0:52 offset1:56
	s_waitcnt lgkmcnt(1)
	v_mfma_f32_16x16x16_bf16 a[8:11], v[20:21], v[26:27], a[8:11]
	v_mfma_f32_16x16x16_bf16 a[12:15], v[20:21], v[28:29], a[12:15]
	ds_read2st64_b64 v[26:29], v30 offset0:52 offset1:56
	ds_read2st64_b64 v[40:43], v31 offset0:52 offset1:56
	;; [unrolled: 1-line block ×3, first 2 shown]
	s_waitcnt lgkmcnt(3)
	v_mfma_f32_16x16x16_bf16 a[0:3], v[48:49], v[36:37], a[0:3]
	ds_read_b64 v[20:21], v25 offset:30720
	ds_read_b64 v[36:37], v30 offset:30720
	;; [unrolled: 1-line block ×4, first 2 shown]
	v_xor_b32_e32 v25, 0x440, v24
	v_cndmask_b32_e32 v0, v25, v24, vcc
	s_waitcnt lgkmcnt(6)
	v_mfma_f32_16x16x16_bf16 a[4:7], v[48:49], v[26:27], a[4:7]
	v_lshl_or_b32 v0, v18, 10, v0
	s_waitcnt vmcnt(0)
	v_perm_b32 v18, v2, v6, s0
	v_perm_b32 v24, v10, v14, s0
	s_waitcnt lgkmcnt(5)
	v_mfma_f32_16x16x16_bf16 a[8:11], v[48:49], v[40:41], a[8:11]
	ds_write2st64_b32 v0, v18, v24 offset0:128 offset1:160
	v_xor_b32_e32 v18, 8, v0
	v_perm_b32 v2, v2, v6, s1
	s_waitcnt lgkmcnt(5)
	v_mfma_f32_16x16x16_bf16 a[12:15], v[48:49], v[44:45], a[12:15]
	v_perm_b32 v6, v10, v14, s1
	v_add_u32_e32 v10, 0x80, v18
	ds_write2st64_b32 v10, v2, v6 offset0:128 offset1:160
	v_mfma_f32_16x16x16_bf16 a[0:3], v[50:51], v[38:39], a[0:3]
	v_xor_b32_e32 v2, 16, v0
	v_perm_b32 v6, v3, v7, s0
	v_perm_b32 v10, v11, v15, s0
	v_mfma_f32_16x16x16_bf16 a[4:7], v[50:51], v[28:29], a[4:7]
	ds_write2st64_b32 v2, v6, v10 offset0:129 offset1:161
	v_xor_b32_e32 v2, 24, v0
	v_perm_b32 v3, v3, v7, s1
	v_mfma_f32_16x16x16_bf16 a[16:19], v[50:51], v[42:43], a[8:11]
	v_perm_b32 v6, v11, v15, s1
	v_add_u32_e32 v2, 0x80, v2
	ds_write2st64_b32 v2, v3, v6 offset0:129 offset1:161
	v_mfma_f32_16x16x16_bf16 a[20:23], v[50:51], v[46:47], a[12:15]
	v_xor_b32_e32 v2, 32, v0
	v_perm_b32 v3, v4, v8, s0
	v_perm_b32 v6, v12, v16, s0
	s_waitcnt lgkmcnt(7)
	v_mfma_f32_16x16x16_bf16 a[12:15], v[52:53], v[20:21], a[0:3]
	ds_write2st64_b32 v2, v3, v6 offset0:130 offset1:162
	v_xor_b32_e32 v2, 40, v0
	v_perm_b32 v3, v4, v8, s1
	s_waitcnt lgkmcnt(7)
	v_mfma_f32_16x16x16_bf16 a[8:11], v[52:53], v[36:37], a[4:7]
	v_perm_b32 v4, v12, v16, s1
	v_add_u32_e32 v2, 0x80, v2
	ds_write2st64_b32 v2, v3, v4 offset0:130 offset1:162
	s_waitcnt lgkmcnt(7)
	v_mfma_f32_16x16x16_bf16 a[4:7], v[52:53], v[30:31], a[16:19]
	v_xor_b32_e32 v2, 48, v0
	v_perm_b32 v3, v5, v9, s0
	v_perm_b32 v4, v13, v17, s0
	s_waitcnt lgkmcnt(6)
	v_mfma_f32_16x16x16_bf16 a[0:3], v[52:53], v[54:55], a[20:23]
	v_xor_b32_e32 v0, 56, v0
	v_and_or_b32 v21, v33, 12, v1
	ds_write2st64_b32 v2, v3, v4 offset0:131 offset1:163
	v_perm_b32 v2, v5, v9, s1
	v_perm_b32 v3, v13, v17, s1
	v_add_u32_e32 v0, 0x80, v0
	v_cmp_gt_i32_e32 vcc, s27, v21
	v_mov_b32_e32 v16, 0
	v_mov_b32_e32 v18, 0
	ds_write2st64_b32 v0, v2, v3 offset0:131 offset1:163
	s_and_saveexec_b64 s[0:1], vcc
	s_cbranch_execz .LBB147_60
; %bb.59:
	v_add_u32_e32 v0, s26, v21
	v_ashrrev_i32_e32 v1, 31, v0
	v_mul_lo_u32 v2, v1, s30
	v_mul_lo_u32 v3, v0, s31
	v_mad_u64_u32 v[0:1], s[2:3], v0, s30, 0
	v_add3_u32 v1, v1, v3, v2
	v_lshl_add_u64 v[0:1], v[0:1], 2, s[10:11]
	global_load_dword v0, v[0:1], off
	s_waitcnt vmcnt(0)
	v_sub_f32_e32 v0, s12, v0
	v_exp_f32_e32 v18, v0
.LBB147_60:
	s_or_b64 exec, exec, s[0:1]
	v_or_b32_e32 v10, 1, v21
	v_cmp_gt_i32_e64 s[2:3], s27, v10
	s_and_saveexec_b64 s[0:1], s[2:3]
	s_cbranch_execz .LBB147_62
; %bb.61:
	v_add_u32_e32 v0, s26, v10
	v_ashrrev_i32_e32 v1, 31, v0
	v_mul_lo_u32 v2, v1, s30
	v_mul_lo_u32 v3, v0, s31
	v_mad_u64_u32 v[0:1], s[4:5], v0, s30, 0
	v_add3_u32 v1, v1, v3, v2
	v_lshl_add_u64 v[0:1], v[0:1], 2, s[10:11]
	global_load_dword v0, v[0:1], off
	s_waitcnt vmcnt(0)
	v_sub_f32_e32 v0, s12, v0
	v_exp_f32_e32 v16, v0
.LBB147_62:
	s_or_b64 exec, exec, s[0:1]
	v_or_b32_e32 v12, 2, v21
	v_cmp_gt_i32_e64 s[0:1], s27, v12
	v_mov_b32_e32 v17, 0
	v_mov_b32_e32 v20, 0
	s_and_saveexec_b64 s[4:5], s[0:1]
	s_cbranch_execz .LBB147_64
; %bb.63:
	v_add_u32_e32 v0, s26, v12
	v_ashrrev_i32_e32 v1, 31, v0
	v_mul_lo_u32 v2, v1, s30
	v_mul_lo_u32 v3, v0, s31
	v_mad_u64_u32 v[0:1], s[6:7], v0, s30, 0
	v_add3_u32 v1, v1, v3, v2
	v_lshl_add_u64 v[0:1], v[0:1], 2, s[10:11]
	global_load_dword v0, v[0:1], off
	s_waitcnt vmcnt(0)
	v_sub_f32_e32 v0, s12, v0
	v_exp_f32_e32 v20, v0
.LBB147_64:
	s_or_b64 exec, exec, s[4:5]
	v_or_b32_e32 v14, 3, v21
	v_cmp_gt_i32_e64 s[4:5], s27, v14
	s_and_saveexec_b64 s[6:7], s[4:5]
	s_cbranch_execz .LBB147_66
; %bb.65:
	v_add_u32_e32 v0, s26, v14
	v_ashrrev_i32_e32 v1, 31, v0
	v_mul_lo_u32 v2, v1, s30
	v_mul_lo_u32 v3, v0, s31
	v_mad_u64_u32 v[0:1], s[14:15], v0, s30, 0
	v_add3_u32 v1, v1, v3, v2
	v_lshl_add_u64 v[0:1], v[0:1], 2, s[10:11]
	global_load_dword v0, v[0:1], off
	s_waitcnt vmcnt(0)
	v_sub_f32_e32 v0, s12, v0
	v_exp_f32_e32 v17, v0
.LBB147_66:
	s_or_b64 exec, exec, s[6:7]
	s_add_u32 s6, s8, s20
	s_addc_u32 s7, s9, s21
	s_add_u32 s8, s28, s20
	v_ashrrev_i32_e32 v79, 31, v78
	v_accvgpr_read_b32 v0, a12
	s_addc_u32 s9, s29, s21
	v_lshlrev_b64 v[4:5], 1, v[78:79]
	v_accvgpr_read_b32 v1, a13
	v_accvgpr_read_b32 v2, a14
	;; [unrolled: 1-line block ×3, first 2 shown]
	v_lshl_add_u64 v[6:7], s[6:7], 0, v[4:5]
	v_lshl_add_u64 v[4:5], s[8:9], 0, v[4:5]
	v_mov_b32_e32 v11, 0
	v_lshlrev_b32_e32 v8, 8, v21
	v_mov_b32_e32 v9, 0
	s_and_saveexec_b64 s[6:7], vcc
	s_cbranch_execz .LBB147_68
; %bb.67:
	v_mov_b32_e32 v9, 0
	v_lshl_add_u64 v[24:25], v[6:7], 0, v[8:9]
	global_load_ushort v13, v[24:25], off
	v_lshl_add_u64 v[24:25], v[4:5], 0, v[8:9]
	s_waitcnt vmcnt(0)
	v_lshlrev_b32_e32 v9, 16, v13
	v_sub_f32_e32 v0, v9, v0
	global_store_short_d16_hi v[24:25], v0, off
	v_mul_f32_e32 v0, v18, v0
	v_lshrrev_b32_e32 v9, 16, v0
.LBB147_68:
	s_or_b64 exec, exec, s[6:7]
	v_lshlrev_b32_e32 v10, 8, v10
	s_and_saveexec_b64 s[6:7], s[2:3]
	s_cbranch_execz .LBB147_70
; %bb.69:
	v_mov_b32_e32 v11, 0
	v_lshl_add_u64 v[24:25], v[6:7], 0, v[10:11]
	global_load_ushort v0, v[24:25], off
	v_lshl_add_u64 v[24:25], v[4:5], 0, v[10:11]
	s_waitcnt vmcnt(0)
	v_lshlrev_b32_e32 v0, 16, v0
	v_sub_f32_e32 v0, v0, v1
	global_store_short_d16_hi v[24:25], v0, off
	v_mul_f32_e32 v0, v16, v0
	v_lshrrev_b32_e32 v11, 16, v0
.LBB147_70:
	s_or_b64 exec, exec, s[6:7]
	v_mov_b32_e32 v15, 0
	v_lshlrev_b32_e32 v12, 8, v12
	v_mov_b32_e32 v13, 0
	s_and_saveexec_b64 s[6:7], s[0:1]
	s_cbranch_execz .LBB147_72
; %bb.71:
	v_mov_b32_e32 v13, 0
	v_lshl_add_u64 v[0:1], v[6:7], 0, v[12:13]
	global_load_ushort v24, v[0:1], off
	v_lshl_add_u64 v[0:1], v[4:5], 0, v[12:13]
	s_waitcnt vmcnt(0)
	v_lshlrev_b32_e32 v13, 16, v24
	v_sub_f32_e32 v2, v13, v2
	global_store_short_d16_hi v[0:1], v2, off
	v_mul_f32_e32 v0, v20, v2
	v_lshrrev_b32_e32 v13, 16, v0
.LBB147_72:
	s_or_b64 exec, exec, s[6:7]
	v_lshlrev_b32_e32 v14, 8, v14
	s_and_saveexec_b64 s[6:7], s[4:5]
	s_cbranch_execz .LBB147_74
; %bb.73:
	v_mov_b32_e32 v15, 0
	v_lshl_add_u64 v[0:1], v[6:7], 0, v[14:15]
	global_load_ushort v2, v[0:1], off
	v_lshl_add_u64 v[0:1], v[4:5], 0, v[14:15]
	s_waitcnt vmcnt(0)
	v_lshlrev_b32_e32 v2, 16, v2
	v_sub_f32_e32 v2, v2, v3
	global_store_short_d16_hi v[0:1], v2, off
	v_mul_f32_e32 v0, v17, v2
	v_lshrrev_b32_e32 v15, 16, v0
.LBB147_74:
	s_or_b64 exec, exec, s[6:7]
	v_lshlrev_b32_e32 v21, 6, v21
	s_mov_b32 s6, 0x5040100
	v_perm_b32 v24, v11, v9, s6
	v_or_b32_e32 v9, v21, v34
	v_accvgpr_read_b32 v0, a8
	v_perm_b32 v25, v15, v13, s6
	v_lshlrev_b32_e32 v9, 1, v9
	v_accvgpr_read_b32 v1, a9
	v_accvgpr_read_b32 v2, a10
	;; [unrolled: 1-line block ×3, first 2 shown]
	ds_write_b64 v9, v[24:25] offset:24576
	v_mov_b32_e32 v11, 0
	v_mov_b32_e32 v9, 0
	s_and_saveexec_b64 s[6:7], vcc
	s_cbranch_execz .LBB147_76
; %bb.75:
	v_mov_b32_e32 v9, 0
	v_lshl_add_u64 v[24:25], v[6:7], 0, v[8:9]
	global_load_ushort v13, v[24:25], off offset:32
	v_lshl_add_u64 v[24:25], v[4:5], 0, v[8:9]
	s_waitcnt vmcnt(0)
	v_lshlrev_b32_e32 v9, 16, v13
	v_sub_f32_e32 v0, v9, v0
	global_store_short_d16_hi v[24:25], v0, off offset:32
	v_mul_f32_e32 v0, v18, v0
	v_lshrrev_b32_e32 v9, 16, v0
.LBB147_76:
	s_or_b64 exec, exec, s[6:7]
	s_and_saveexec_b64 s[6:7], s[2:3]
	s_cbranch_execz .LBB147_78
; %bb.77:
	v_mov_b32_e32 v11, 0
	v_lshl_add_u64 v[24:25], v[6:7], 0, v[10:11]
	global_load_ushort v0, v[24:25], off offset:32
	v_lshl_add_u64 v[24:25], v[4:5], 0, v[10:11]
	s_waitcnt vmcnt(0)
	v_lshlrev_b32_e32 v0, 16, v0
	v_sub_f32_e32 v0, v0, v1
	global_store_short_d16_hi v[24:25], v0, off offset:32
	v_mul_f32_e32 v0, v16, v0
	v_lshrrev_b32_e32 v11, 16, v0
.LBB147_78:
	s_or_b64 exec, exec, s[6:7]
	v_mov_b32_e32 v15, 0
	v_mov_b32_e32 v13, 0
	s_and_saveexec_b64 s[6:7], s[0:1]
	s_cbranch_execz .LBB147_80
; %bb.79:
	v_mov_b32_e32 v13, 0
	v_lshl_add_u64 v[0:1], v[6:7], 0, v[12:13]
	global_load_ushort v24, v[0:1], off offset:32
	v_lshl_add_u64 v[0:1], v[4:5], 0, v[12:13]
	s_waitcnt vmcnt(0)
	v_lshlrev_b32_e32 v13, 16, v24
	v_sub_f32_e32 v2, v13, v2
	global_store_short_d16_hi v[0:1], v2, off offset:32
	v_mul_f32_e32 v0, v20, v2
	v_lshrrev_b32_e32 v13, 16, v0
.LBB147_80:
	s_or_b64 exec, exec, s[6:7]
	s_and_saveexec_b64 s[6:7], s[4:5]
	s_cbranch_execz .LBB147_82
; %bb.81:
	v_mov_b32_e32 v15, 0
	v_lshl_add_u64 v[0:1], v[6:7], 0, v[14:15]
	global_load_ushort v2, v[0:1], off offset:32
	v_lshl_add_u64 v[0:1], v[4:5], 0, v[14:15]
	s_waitcnt vmcnt(0)
	v_lshlrev_b32_e32 v2, 16, v2
	v_sub_f32_e32 v2, v2, v3
	global_store_short_d16_hi v[0:1], v2, off offset:32
	v_mul_f32_e32 v0, v17, v2
	v_lshrrev_b32_e32 v15, 16, v0
.LBB147_82:
	s_or_b64 exec, exec, s[6:7]
	s_mov_b32 s6, 0x5040100
	v_perm_b32 v24, v11, v9, s6
	v_or_b32_e32 v9, v21, v23
	v_accvgpr_read_b32 v0, a4
	v_perm_b32 v25, v15, v13, s6
	v_lshlrev_b32_e32 v9, 1, v9
	v_accvgpr_read_b32 v1, a5
	v_accvgpr_read_b32 v2, a6
	;; [unrolled: 1-line block ×3, first 2 shown]
	ds_write_b64 v9, v[24:25] offset:24576
	v_mov_b32_e32 v11, 0
	v_mov_b32_e32 v9, 0
	s_and_saveexec_b64 s[6:7], vcc
	s_cbranch_execz .LBB147_84
; %bb.83:
	v_mov_b32_e32 v9, 0
	v_lshl_add_u64 v[24:25], v[6:7], 0, v[8:9]
	global_load_ushort v13, v[24:25], off offset:64
	v_lshl_add_u64 v[24:25], v[4:5], 0, v[8:9]
	s_waitcnt vmcnt(0)
	v_lshlrev_b32_e32 v9, 16, v13
	v_sub_f32_e32 v0, v9, v0
	global_store_short_d16_hi v[24:25], v0, off offset:64
	v_mul_f32_e32 v0, v18, v0
	v_lshrrev_b32_e32 v9, 16, v0
.LBB147_84:
	s_or_b64 exec, exec, s[6:7]
	s_and_saveexec_b64 s[6:7], s[2:3]
	s_cbranch_execz .LBB147_86
; %bb.85:
	v_mov_b32_e32 v11, 0
	v_lshl_add_u64 v[24:25], v[6:7], 0, v[10:11]
	global_load_ushort v0, v[24:25], off offset:64
	v_lshl_add_u64 v[24:25], v[4:5], 0, v[10:11]
	s_waitcnt vmcnt(0)
	v_lshlrev_b32_e32 v0, 16, v0
	v_sub_f32_e32 v0, v0, v1
	global_store_short_d16_hi v[24:25], v0, off offset:64
	v_mul_f32_e32 v0, v16, v0
	v_lshrrev_b32_e32 v11, 16, v0
.LBB147_86:
	s_or_b64 exec, exec, s[6:7]
	v_mov_b32_e32 v15, 0
	v_mov_b32_e32 v13, 0
	s_and_saveexec_b64 s[6:7], s[0:1]
	s_cbranch_execz .LBB147_88
; %bb.87:
	v_mov_b32_e32 v13, 0
	v_lshl_add_u64 v[0:1], v[6:7], 0, v[12:13]
	global_load_ushort v23, v[0:1], off offset:64
	v_lshl_add_u64 v[0:1], v[4:5], 0, v[12:13]
	s_waitcnt vmcnt(0)
	v_lshlrev_b32_e32 v13, 16, v23
	v_sub_f32_e32 v2, v13, v2
	global_store_short_d16_hi v[0:1], v2, off offset:64
	v_mul_f32_e32 v0, v20, v2
	v_lshrrev_b32_e32 v13, 16, v0
.LBB147_88:
	s_or_b64 exec, exec, s[6:7]
	s_and_saveexec_b64 s[6:7], s[4:5]
	s_cbranch_execz .LBB147_90
; %bb.89:
	v_mov_b32_e32 v15, 0
	v_lshl_add_u64 v[0:1], v[6:7], 0, v[14:15]
	global_load_ushort v2, v[0:1], off offset:64
	v_lshl_add_u64 v[0:1], v[4:5], 0, v[14:15]
	s_waitcnt vmcnt(0)
	v_lshlrev_b32_e32 v2, 16, v2
	v_sub_f32_e32 v2, v2, v3
	global_store_short_d16_hi v[0:1], v2, off offset:64
	v_mul_f32_e32 v0, v17, v2
	v_lshrrev_b32_e32 v15, 16, v0
.LBB147_90:
	s_or_b64 exec, exec, s[6:7]
	s_mov_b32 s6, 0x5040100
	v_perm_b32 v24, v11, v9, s6
	v_or_b32_e32 v9, v21, v22
	v_accvgpr_read_b32 v0, a0
	v_perm_b32 v25, v15, v13, s6
	v_lshlrev_b32_e32 v9, 1, v9
	v_accvgpr_read_b32 v1, a1
	v_accvgpr_read_b32 v2, a2
	;; [unrolled: 1-line block ×3, first 2 shown]
	ds_write_b64 v9, v[24:25] offset:24576
	v_mov_b32_e32 v11, 0
	v_mov_b32_e32 v9, 0
	s_and_saveexec_b64 s[6:7], vcc
	s_cbranch_execz .LBB147_92
; %bb.91:
	v_mov_b32_e32 v9, 0
	v_lshl_add_u64 v[22:23], v[6:7], 0, v[8:9]
	global_load_ushort v13, v[22:23], off offset:96
	v_lshl_add_u64 v[8:9], v[4:5], 0, v[8:9]
	s_waitcnt vmcnt(0)
	v_lshlrev_b32_e32 v13, 16, v13
	v_sub_f32_e32 v0, v13, v0
	global_store_short_d16_hi v[8:9], v0, off offset:96
	v_mul_f32_e32 v0, v18, v0
	v_lshrrev_b32_e32 v9, 16, v0
.LBB147_92:
	s_or_b64 exec, exec, s[6:7]
	s_and_saveexec_b64 s[6:7], s[2:3]
	s_cbranch_execz .LBB147_94
; %bb.93:
	v_mov_b32_e32 v11, 0
	v_lshl_add_u64 v[22:23], v[6:7], 0, v[10:11]
	global_load_ushort v0, v[22:23], off offset:96
	v_lshl_add_u64 v[10:11], v[4:5], 0, v[10:11]
	s_waitcnt vmcnt(0)
	v_lshlrev_b32_e32 v0, 16, v0
	v_sub_f32_e32 v0, v0, v1
	global_store_short_d16_hi v[10:11], v0, off offset:96
	v_mul_f32_e32 v0, v16, v0
	v_lshrrev_b32_e32 v11, 16, v0
.LBB147_94:
	s_or_b64 exec, exec, s[6:7]
	v_mov_b32_e32 v0, 0
	v_mov_b32_e32 v1, 0
	s_and_saveexec_b64 s[2:3], s[0:1]
	s_cbranch_execz .LBB147_96
; %bb.95:
	v_mov_b32_e32 v13, 0
	v_lshl_add_u64 v[22:23], v[6:7], 0, v[12:13]
	global_load_ushort v1, v[22:23], off offset:96
	v_lshl_add_u64 v[12:13], v[4:5], 0, v[12:13]
	s_waitcnt vmcnt(0)
	v_lshlrev_b32_e32 v1, 16, v1
	v_sub_f32_e32 v1, v1, v2
	global_store_short_d16_hi v[12:13], v1, off offset:96
	v_mul_f32_e32 v1, v20, v1
	v_lshrrev_b32_e32 v1, 16, v1
.LBB147_96:
	s_or_b64 exec, exec, s[2:3]
	s_and_saveexec_b64 s[0:1], s[4:5]
	s_cbranch_execz .LBB147_98
; %bb.97:
	v_mov_b32_e32 v15, 0
	v_lshl_add_u64 v[6:7], v[6:7], 0, v[14:15]
	global_load_ushort v0, v[6:7], off offset:96
	v_lshl_add_u64 v[4:5], v[4:5], 0, v[14:15]
	s_waitcnt vmcnt(0)
	v_lshlrev_b32_e32 v0, 16, v0
	v_sub_f32_e32 v0, v0, v3
	global_store_short_d16_hi v[4:5], v0, off offset:96
	v_mul_f32_e32 v0, v17, v0
	v_lshrrev_b32_e32 v0, 16, v0
.LBB147_98:
	s_or_b64 exec, exec, s[0:1]
	s_mov_b32 s0, 0x5040100
	v_or_b32_e32 v2, v21, v19
	v_perm_b32 v1, v0, v1, s0
	v_perm_b32 v0, v11, v9, s0
	v_lshlrev_b32_e32 v2, 1, v2
	ds_write_b64 v2, v[0:1] offset:24576
	s_waitcnt lgkmcnt(0)
	s_barrier
.LBB147_99:
	s_endpgm
	.section	.rodata,"a",@progbits
	.p2align	6, 0x0
	.amdhsa_kernel _ZN12_GLOBAL__N_139chunk_gated_delta_rule_fwd_h_hip_kernelILi64ELb1ELb0ELb1ELb1ELb1ELb1ELb0ELb0EEEvPK12hip_bfloat16S3_S3_PKfS5_PKvPS1_S8_PvPKiSB_iiiiilll
		.amdhsa_group_segment_fixed_size 65536
		.amdhsa_private_segment_fixed_size 0
		.amdhsa_kernarg_size 136
		.amdhsa_user_sgpr_count 2
		.amdhsa_user_sgpr_dispatch_ptr 0
		.amdhsa_user_sgpr_queue_ptr 0
		.amdhsa_user_sgpr_kernarg_segment_ptr 1
		.amdhsa_user_sgpr_dispatch_id 0
		.amdhsa_user_sgpr_kernarg_preload_length 0
		.amdhsa_user_sgpr_kernarg_preload_offset 0
		.amdhsa_user_sgpr_private_segment_size 0
		.amdhsa_uses_dynamic_stack 0
		.amdhsa_enable_private_segment 0
		.amdhsa_system_sgpr_workgroup_id_x 1
		.amdhsa_system_sgpr_workgroup_id_y 1
		.amdhsa_system_sgpr_workgroup_id_z 0
		.amdhsa_system_sgpr_workgroup_info 0
		.amdhsa_system_vgpr_workitem_id 0
		.amdhsa_next_free_vgpr 232
		.amdhsa_next_free_sgpr 65
		.amdhsa_accum_offset 192
		.amdhsa_reserve_vcc 1
		.amdhsa_float_round_mode_32 0
		.amdhsa_float_round_mode_16_64 0
		.amdhsa_float_denorm_mode_32 3
		.amdhsa_float_denorm_mode_16_64 3
		.amdhsa_dx10_clamp 1
		.amdhsa_ieee_mode 1
		.amdhsa_fp16_overflow 0
		.amdhsa_tg_split 0
		.amdhsa_exception_fp_ieee_invalid_op 0
		.amdhsa_exception_fp_denorm_src 0
		.amdhsa_exception_fp_ieee_div_zero 0
		.amdhsa_exception_fp_ieee_overflow 0
		.amdhsa_exception_fp_ieee_underflow 0
		.amdhsa_exception_fp_ieee_inexact 0
		.amdhsa_exception_int_div_zero 0
	.end_amdhsa_kernel
	.section	.text._ZN12_GLOBAL__N_139chunk_gated_delta_rule_fwd_h_hip_kernelILi64ELb1ELb0ELb1ELb1ELb1ELb1ELb0ELb0EEEvPK12hip_bfloat16S3_S3_PKfS5_PKvPS1_S8_PvPKiSB_iiiiilll,"axG",@progbits,_ZN12_GLOBAL__N_139chunk_gated_delta_rule_fwd_h_hip_kernelILi64ELb1ELb0ELb1ELb1ELb1ELb1ELb0ELb0EEEvPK12hip_bfloat16S3_S3_PKfS5_PKvPS1_S8_PvPKiSB_iiiiilll,comdat
.Lfunc_end147:
	.size	_ZN12_GLOBAL__N_139chunk_gated_delta_rule_fwd_h_hip_kernelILi64ELb1ELb0ELb1ELb1ELb1ELb1ELb0ELb0EEEvPK12hip_bfloat16S3_S3_PKfS5_PKvPS1_S8_PvPKiSB_iiiiilll, .Lfunc_end147-_ZN12_GLOBAL__N_139chunk_gated_delta_rule_fwd_h_hip_kernelILi64ELb1ELb0ELb1ELb1ELb1ELb1ELb0ELb0EEEvPK12hip_bfloat16S3_S3_PKfS5_PKvPS1_S8_PvPKiSB_iiiiilll
                                        ; -- End function
	.section	.AMDGPU.csdata,"",@progbits
; Kernel info:
; codeLenInByte = 11288
; NumSgprs: 71
; NumVgprs: 190
; NumAgprs: 40
; TotalNumVgprs: 232
; ScratchSize: 0
; MemoryBound: 0
; FloatMode: 240
; IeeeMode: 1
; LDSByteSize: 65536 bytes/workgroup (compile time only)
; SGPRBlocks: 8
; VGPRBlocks: 28
; NumSGPRsForWavesPerEU: 71
; NumVGPRsForWavesPerEU: 232
; AccumOffset: 192
; Occupancy: 1
; WaveLimiterHint : 1
; COMPUTE_PGM_RSRC2:SCRATCH_EN: 0
; COMPUTE_PGM_RSRC2:USER_SGPR: 2
; COMPUTE_PGM_RSRC2:TRAP_HANDLER: 0
; COMPUTE_PGM_RSRC2:TGID_X_EN: 1
; COMPUTE_PGM_RSRC2:TGID_Y_EN: 1
; COMPUTE_PGM_RSRC2:TGID_Z_EN: 0
; COMPUTE_PGM_RSRC2:TIDIG_COMP_CNT: 0
; COMPUTE_PGM_RSRC3_GFX90A:ACCUM_OFFSET: 47
; COMPUTE_PGM_RSRC3_GFX90A:TG_SPLIT: 0
	.section	.text._ZN12_GLOBAL__N_139chunk_gated_delta_rule_fwd_h_hip_kernelILi64ELb1ELb0ELb0ELb1ELb1ELb1ELb0ELb0EEEvPK12hip_bfloat16S3_S3_PKfS5_PKvPS1_S8_PvPKiSB_iiiiilll,"axG",@progbits,_ZN12_GLOBAL__N_139chunk_gated_delta_rule_fwd_h_hip_kernelILi64ELb1ELb0ELb0ELb1ELb1ELb1ELb0ELb0EEEvPK12hip_bfloat16S3_S3_PKfS5_PKvPS1_S8_PvPKiSB_iiiiilll,comdat
	.globl	_ZN12_GLOBAL__N_139chunk_gated_delta_rule_fwd_h_hip_kernelILi64ELb1ELb0ELb0ELb1ELb1ELb1ELb0ELb0EEEvPK12hip_bfloat16S3_S3_PKfS5_PKvPS1_S8_PvPKiSB_iiiiilll ; -- Begin function _ZN12_GLOBAL__N_139chunk_gated_delta_rule_fwd_h_hip_kernelILi64ELb1ELb0ELb0ELb1ELb1ELb1ELb0ELb0EEEvPK12hip_bfloat16S3_S3_PKfS5_PKvPS1_S8_PvPKiSB_iiiiilll
	.p2align	8
	.type	_ZN12_GLOBAL__N_139chunk_gated_delta_rule_fwd_h_hip_kernelILi64ELb1ELb0ELb0ELb1ELb1ELb1ELb0ELb0EEEvPK12hip_bfloat16S3_S3_PKfS5_PKvPS1_S8_PvPKiSB_iiiiilll,@function
_ZN12_GLOBAL__N_139chunk_gated_delta_rule_fwd_h_hip_kernelILi64ELb1ELb0ELb0ELb1ELb1ELb1ELb0ELb0EEEvPK12hip_bfloat16S3_S3_PKfS5_PKvPS1_S8_PvPKiSB_iiiiilll: ; @_ZN12_GLOBAL__N_139chunk_gated_delta_rule_fwd_h_hip_kernelILi64ELb1ELb0ELb0ELb1ELb1ELb1ELb0ELb0EEEvPK12hip_bfloat16S3_S3_PKfS5_PKvPS1_S8_PvPKiSB_iiiiilll
; %bb.0:
	s_load_dwordx4 s[12:15], s[0:1], 0x5c
	s_load_dwordx4 s[20:23], s[0:1], 0x70
	s_abs_i32 s9, s3
	s_ashr_i32 s8, s3, 31
	s_load_dwordx4 s[4:7], s[0:1], 0x48
	s_waitcnt lgkmcnt(0)
	s_abs_i32 s10, s13
	v_cvt_f32_u32_e32 v1, s10
	s_sub_i32 s16, 0, s10
	s_ashr_i32 s11, s13, 31
	s_xor_b32 s8, s8, s11
	v_rcp_iflag_f32_e32 v1, v1
	v_and_b32_e32 v88, 15, v0
	v_lshrrev_b32_e32 v86, 6, v0
	v_bfe_u32 v87, v0, 4, 2
	v_mul_f32_e32 v1, 0x4f7ffffe, v1
	v_cvt_u32_f32_e32 v1, v1
	v_mov_b32_e32 v11, 0
	v_and_b32_e32 v77, 63, v0
	v_lshrrev_b32_e32 v90, 3, v77
	v_readfirstlane_b32 s17, v1
	s_mul_i32 s16, s16, s17
	s_mul_hi_u32 s16, s17, s16
	s_add_i32 s17, s17, s16
	s_mul_hi_u32 s16, s9, s17
	s_mul_i32 s17, s16, s10
	s_sub_i32 s9, s9, s17
	s_add_i32 s18, s16, 1
	s_sub_i32 s17, s9, s10
	s_cmp_ge_u32 s9, s10
	s_cselect_b32 s16, s18, s16
	s_cselect_b32 s9, s17, s9
	s_add_i32 s17, s16, 1
	s_cmp_ge_u32 s9, s10
	s_cselect_b32 s9, s17, s16
	s_load_dwordx4 s[16:19], s[0:1], 0x28
	s_xor_b32 s9, s9, s8
	s_sub_i32 s24, s9, s8
	s_mul_i32 s28, s24, s13
	s_ashr_i32 s25, s24, 31
	s_sub_i32 s47, s3, s28
	s_lshl_b64 s[8:9], s[24:25], 2
	s_add_u32 s4, s4, s8
	s_addc_u32 s5, s5, s9
	s_add_u32 s26, s6, s8
	s_addc_u32 s27, s7, s9
	s_abs_i32 s3, s14
	v_cvt_f32_u32_e32 v1, s3
	s_load_dwordx2 s[30:31], s[4:5], 0x0
	s_lshl_b32 s38, s2, 6
	s_ashr_i32 s2, s14, 31
	v_rcp_iflag_f32_e32 v1, v1
	s_xor_b32 s2, s11, s2
	s_waitcnt lgkmcnt(0)
	s_sub_i32 s50, s31, s30
	s_ashr_i32 s4, s50, 31
	v_mul_f32_e32 v1, 0x4f7ffffe, v1
	v_cvt_u32_f32_e32 v1, v1
	s_lshr_b32 s4, s4, 26
	s_add_i32 s4, s50, s4
	s_ashr_i32 s49, s4, 6
	s_sub_i32 s4, 0, s3
	v_readfirstlane_b32 s5, v1
	s_mul_i32 s4, s4, s5
	s_mul_hi_u32 s4, s5, s4
	s_add_i32 s5, s5, s4
	s_mul_hi_u32 s4, s10, s5
	s_mul_i32 s5, s4, s3
	s_sub_i32 s5, s10, s5
	s_add_i32 s6, s4, 1
	s_sub_i32 s7, s5, s3
	s_cmp_ge_u32 s5, s3
	s_cselect_b32 s4, s6, s4
	s_cselect_b32 s5, s7, s5
	s_add_i32 s6, s4, 1
	s_cmp_ge_u32 s5, s3
	s_cselect_b32 s3, s6, s4
	s_xor_b32 s3, s3, s2
	s_sub_i32 s2, s3, s2
	s_abs_i32 s3, s2
	v_cvt_f32_u32_e32 v1, s3
	s_sub_i32 s5, 0, s3
	s_abs_i32 s4, s47
	s_xor_b32 s2, s47, s2
	v_rcp_iflag_f32_e32 v1, v1
	s_ashr_i32 s2, s2, 31
	v_or_b32_e32 v78, s38, v88
	v_lshlrev_b32_e32 v2, 7, v78
	v_mul_f32_e32 v1, 0x4f7ffffe, v1
	v_cvt_u32_f32_e32 v1, v1
	v_ashrrev_i32_e32 v3, 31, v2
	s_mul_hi_i32 s53, s47, s12
	s_mul_i32 s54, s47, s12
	v_readfirstlane_b32 s6, v1
	s_mul_i32 s5, s5, s6
	s_mul_hi_u32 s5, s6, s5
	s_add_i32 s6, s6, s5
	s_mul_hi_u32 s5, s4, s6
	s_mul_i32 s6, s5, s3
	s_sub_i32 s4, s4, s6
	s_add_i32 s6, s5, 1
	s_sub_i32 s7, s4, s3
	s_cmp_ge_u32 s4, s3
	s_cselect_b32 s5, s6, s5
	s_cselect_b32 s4, s7, s4
	s_add_i32 s6, s5, 1
	s_cmp_ge_u32 s4, s3
	s_cselect_b32 s3, s6, s5
	s_xor_b32 s3, s3, s2
	s_sub_i32 s51, s3, s2
	s_ashr_i32 s48, s47, 31
	s_mul_hi_i32 s3, s24, s13
	s_add_u32 s2, s28, s47
	s_addc_u32 s3, s3, s48
	s_lshl_b64 s[2:3], s[2:3], 16
	v_lshlrev_b32_e32 v1, 4, v86
	s_add_u32 s2, s16, s2
	v_lshl_or_b32 v91, v87, 2, v1
	s_addc_u32 s3, s17, s3
	v_lshl_add_u64 v[4:5], v[2:3], 2, s[2:3]
	v_lshlrev_b32_e32 v10, 2, v91
	v_lshl_add_u64 v[4:5], v[4:5], 0, v[10:11]
	global_load_dwordx4 v[22:25], v[4:5], off
	global_load_dwordx4 v[30:33], v[4:5], off offset:256
	v_or_b32_e32 v4, 0x800, v2
	v_ashrrev_i32_e32 v5, 31, v4
	v_lshl_add_u64 v[4:5], v[4:5], 2, s[2:3]
	v_lshl_add_u64 v[4:5], v[4:5], 0, v[10:11]
	global_load_dwordx4 v[14:17], v[4:5], off
	global_load_dwordx4 v[26:29], v[4:5], off offset:256
	v_or_b32_e32 v4, 0x1000, v2
	v_or_b32_e32 v2, 0x1800, v2
	v_ashrrev_i32_e32 v5, 31, v4
	v_ashrrev_i32_e32 v3, 31, v2
	v_lshl_add_u64 v[4:5], v[4:5], 2, s[2:3]
	v_lshl_add_u64 v[2:3], v[2:3], 2, s[2:3]
	;; [unrolled: 1-line block ×4, first 2 shown]
	global_load_dwordx4 v[6:9], v[4:5], off
	global_load_dwordx4 v[18:21], v[4:5], off offset:256
	s_nop 0
	global_load_dwordx4 v[2:5], v[34:35], off
	global_load_dwordx4 v[10:13], v[34:35], off offset:256
	s_load_dwordx8 s[4:11], s[0:1], 0x0
	s_load_dwordx2 s[28:29], s[0:1], 0x80
	s_load_dword s52, s[26:27], 0x0
	v_or_b32_e32 v92, 64, v91
	s_cmp_lt_i32 s50, 64
	v_lshlrev_b32_e32 v89, 3, v0
	s_mul_i32 s33, s24, s21
	s_mul_hi_u32 s43, s24, s20
	s_mul_i32 s42, s25, s20
	s_mul_i32 s36, s24, s20
	;; [unrolled: 1-line block ×3, first 2 shown]
	s_mul_hi_u32 s45, s47, s22
	s_mul_i32 s46, s48, s22
	s_mul_i32 s34, s47, s22
	s_cbranch_scc1 .LBB148_18
; %bb.1:
	s_ashr_i32 s3, s30, 31
	s_add_u32 s2, s54, s30
	s_addc_u32 s3, s53, s3
	s_lshl_b64 s[2:3], s[2:3], 8
	v_and_b32_e32 v94, 56, v89
	s_waitcnt lgkmcnt(0)
	s_add_u32 s20, s6, s2
	v_lshl_or_b32 v93, v86, 3, v90
	v_lshlrev_b32_e32 v34, 1, v94
	s_addc_u32 s2, s7, s3
	v_lshl_or_b32 v95, v93, 8, v34
	s_and_b32 s21, s2, 0xffff
	s_mov_b32 s23, 0x20000
	s_movk_i32 s22, 0x4000
	s_movk_i32 s2, 0x80
	v_or_b32_e32 v96, 0x2000, v95
	buffer_load_dwordx4 v[36:39], v95, s[20:23], 0 offen
	buffer_load_dwordx4 v[40:43], v95, s[20:23], s2 offen
	;; [unrolled: 1-line block ×4, first 2 shown]
	v_lshlrev_b32_e32 v35, 3, v93
	v_and_or_b32 v53, v0, 7, v35
	v_and_b32_e32 v35, 0x78, v35
	v_lshlrev_b32_e32 v53, 4, v53
	v_xor_b32_e32 v97, v53, v35
	v_mul_lo_u32 v52, v93, s15
	v_or_b32_e32 v98, 0x1000, v97
	v_xor_b32_e32 v35, 8, v97
	s_cmpk_eq_i32 s15, 0x80
	s_mov_b32 s55, s30
	v_xor_b32_e32 v53, 8, v98
	s_cselect_b64 s[2:3], -1, 0
	s_cmpk_lg_i32 s15, 0x80
	s_waitcnt vmcnt(3)
	ds_write_b64 v97, v[36:37] offset:49152
	ds_write_b64 v35, v[38:39] offset:49152
	s_waitcnt vmcnt(2)
	ds_write_b64 v97, v[40:41] offset:57344
	ds_write_b64 v35, v[42:43] offset:57344
	;; [unrolled: 3-line block ×4, first 2 shown]
	v_lshl_add_u32 v35, v52, 1, v94
	s_cbranch_scc0 .LBB148_3
; %bb.2:
	v_lshlrev_b32_e32 v37, 1, v35
	v_add_lshl_u32 v36, v35, s15, 1
	s_lshl_b32 s22, s15, 7
	s_load_dwordx2 s[16:17], s[0:1], 0x20
	v_lshl_or_b32 v34, v93, 9, v34
	s_cbranch_execz .LBB148_4
	s_branch .LBB148_5
.LBB148_3:
                                        ; implicit-def: $vgpr36
                                        ; implicit-def: $vgpr37
                                        ; implicit-def: $sgpr22
	s_load_dwordx2 s[16:17], s[0:1], 0x20
	v_lshl_or_b32 v34, v93, 9, v34
.LBB148_4:
	v_or_b32_e32 v36, 0x100, v34
	s_movk_i32 s22, 0x4000
	v_mov_b32_e32 v37, v34
.LBB148_5:
	s_mul_i32 s0, s30, s14
	s_ashr_i32 s56, s51, 31
	s_mul_hi_i32 s1, s30, s14
	s_add_u32 s0, s0, s51
	s_addc_u32 s1, s1, s56
	s_lshl_b64 s[0:1], s[0:1], 8
	s_add_u32 s20, s4, s0
	s_addc_u32 s0, s5, s1
	s_and_b32 s21, s0, 0xffff
	s_movk_i32 s57, 0x80
	buffer_load_dwordx4 v[38:41], v37, s[20:23], 0 offen
	buffer_load_dwordx4 v[42:45], v37, s[20:23], s57 offen
	;; [unrolled: 1-line block ×4, first 2 shown]
	v_and_b32_e32 v37, 6, v0
	v_lshlrev_b32_e32 v36, 7, v91
	v_xor_b32_e32 v59, v93, v37
	v_and_b32_e32 v54, 1, v0
	v_lshl_or_b32 v62, v88, 3, v36
	v_lshlrev_b32_e32 v59, 2, v59
	v_lshlrev_b32_e32 v55, 2, v88
	v_or_b32_e32 v99, 0x4000, v62
	v_or_b32_e32 v100, 0x6000, v62
	v_xor_b32_e32 v62, 0x440, v59
	v_cmp_eq_u32_e32 vcc, 0, v54
	v_or_b32_e32 v57, 16, v88
	v_or_b32_e32 v58, 32, v88
	v_xor_b32_e32 v60, v91, v55
	v_xor_b32_e32 v61, v92, v55
	v_cndmask_b32_e32 v54, v62, v59, vcc
	s_mov_b32 s58, 0x1000504
	v_lshl_or_b32 v63, v57, 3, v36
	v_lshlrev_b32_e32 v57, 8, v57
	v_lshl_or_b32 v64, v58, 3, v36
	v_lshlrev_b32_e32 v60, 1, v60
	v_lshlrev_b32_e32 v61, 1, v61
	v_lshl_or_b32 v37, v37, 10, v54
	s_add_i32 s0, s43, s33
	s_mov_b32 s59, 0x3020706
	v_lshlrev_b32_e32 v56, 8, v88
	v_or_b32_e32 v103, 0x4000, v64
	v_or_b32_e32 v104, 0x6000, v64
	;; [unrolled: 1-line block ×4, first 2 shown]
	v_xor_b32_e32 v54, 8, v37
	v_xor_b32_e32 v57, 24, v37
	;; [unrolled: 1-line block ×4, first 2 shown]
	s_add_i32 s37, s0, s42
	s_add_i32 s0, s45, s44
	v_or_b32_e32 v101, 0x4000, v63
	v_or_b32_e32 v102, 0x6000, v63
	;; [unrolled: 1-line block ×4, first 2 shown]
	v_xor_b32_e32 v56, 16, v37
	v_xor_b32_e32 v59, 32, v37
	;; [unrolled: 1-line block ×3, first 2 shown]
	v_add_u32_e32 v54, 0x80, v54
	v_add_u32_e32 v57, 0x80, v57
	;; [unrolled: 1-line block ×4, first 2 shown]
	s_add_i32 s35, s0, s46
	s_lshl_b64 s[0:1], s[36:37], 2
	s_add_u32 s20, s10, s0
	s_addc_u32 s21, s11, s1
	s_lshl_b64 s[0:1], s[34:35], 2
	s_add_u32 s40, s20, s0
	s_movk_i32 s0, 0xf8
	s_addc_u32 s41, s21, s1
	s_ashr_i32 s39, s38, 31
	s_lshl_b32 s26, s15, 7
	v_mov_b32_e32 v81, 0
	s_movk_i32 s20, 0x100
	v_lshlrev_b32_e32 v80, 4, v88
	v_lshlrev_b32_e32 v58, 8, v58
	v_ashrrev_i32_e32 v79, 31, v78
	s_mov_b32 s60, 0
	s_movk_i32 s22, 0x4000
	v_or_b32_e32 v109, v58, v60
	v_or_b32_e32 v110, v58, v61
	v_lshl_add_u64 v[82:83], v[78:79], 1, s[8:9]
	s_mov_b32 s35, 0x7060302
	s_movk_i32 s37, 0x2000
	s_waitcnt vmcnt(1)
	v_perm_b32 v65, v38, v46, s58
	s_waitcnt vmcnt(0)
	v_perm_b32 v66, v42, v50, s58
	v_perm_b32 v38, v38, v46, s59
	;; [unrolled: 1-line block ×15, first 2 shown]
	ds_write2st64_b32 v37, v65, v66 offset0:128 offset1:160
	ds_write2st64_b32 v54, v38, v42 offset0:128 offset1:160
	;; [unrolled: 1-line block ×8, first 2 shown]
	v_or_b32_e32 v37, 48, v88
	v_lshl_or_b32 v38, v37, 3, v36
	v_lshlrev_b32_e32 v37, 8, v37
	v_or_b32_e32 v113, v37, v60
	v_or_b32_e32 v114, v37, v61
	;; [unrolled: 1-line block ×3, first 2 shown]
	v_lshlrev_b32_e32 v37, 3, v37
	v_lshrrev_b32_e32 v39, 5, v77
	v_and_or_b32 v39, v37, s0, v39
	v_lshlrev_b32_e32 v39, 4, v39
	v_or_b32_e32 v111, 0x4000, v38
	v_or_b32_e32 v112, 0x6000, v38
	v_lshrrev_b32_e32 v38, 2, v77
	v_lshlrev_b32_e32 v41, 11, v86
	v_and_b32_e32 v37, 0x78, v37
	v_or_b32_e32 v45, 32, v39
	v_and_b32_e32 v40, 12, v38
	v_and_b32_e32 v38, 0x1000, v41
	v_xor_b32_e32 v42, v39, v37
	v_lshrrev_b32_e32 v43, 1, v77
	v_xor_b32_e32 v45, v45, v37
	v_or_b32_e32 v42, v42, v38
	v_and_b32_e32 v43, 8, v43
	v_or_b32_e32 v45, v45, v38
	v_xor_b32_e32 v115, v42, v43
	v_lshlrev_b32_e32 v42, 8, v87
	v_xor_b32_e32 v117, v45, v43
	v_or_b32_e32 v45, 64, v39
	v_or_b32_e32 v39, 0x60, v39
	;; [unrolled: 1-line block ×3, first 2 shown]
	v_xor_b32_e32 v45, v45, v37
	v_xor_b32_e32 v37, v39, v37
	s_lshl_b64 s[0:1], s[38:39], 8
	v_lshlrev_b32_e32 v44, 1, v44
	v_or_b32_e32 v45, v45, v38
	v_or_b32_e32 v37, v37, v38
	s_add_u32 s0, s18, s0
	v_lshlrev_b32_e32 v38, 1, v88
	v_lshlrev_b32_e32 v47, 2, v0
	v_or_b32_e32 v116, 0x4000, v44
	v_or_b32_e32 v118, 0x4080, v44
	v_or_b32_e32 v119, 0x4100, v44
	v_or_b32_e32 v120, 0x4180, v44
	v_xor_b32_e32 v121, v45, v43
	v_xor_b32_e32 v122, v37, v43
	v_or_b32_e32 v123, 0x6000, v44
	v_or_b32_e32 v124, 0x6080, v44
	;; [unrolled: 1-line block ×4, first 2 shown]
	v_lshlrev_b32_e32 v37, 1, v35
	v_add_lshl_u32 v35, v35, s15, 1
	v_or_b32_e32 v43, 0x100, v34
	v_lshrrev_b32_e32 v44, 4, v0
	s_addc_u32 s1, s19, s1
	v_or_b32_e32 v39, 1, v38
	v_lshrrev_b32_e32 v48, 1, v0
	v_and_or_b32 v42, v47, 60, v42
	v_xor_b32_e32 v45, v44, v38
	v_xor_b32_e32 v46, v39, v44
	v_lshl_add_u64 v[38:39], s[0:1], 0, v[80:81]
	v_and_b32_e32 v48, 24, v48
	v_lshlrev_b32_e32 v42, 1, v42
	v_cndmask_b32_e64 v133, v37, v34, s[2:3]
	v_cndmask_b32_e64 v134, v35, v43, s[2:3]
	v_mov_b32_e32 v35, 0xa000
	v_mov_b32_e32 v37, 0x8000
	v_cmp_gt_u32_e64 s[0:1], s20, v0
	v_lshlrev_b32_e32 v80, 8, v44
	v_or_b32_e32 v129, 0x6000, v42
	v_or_b32_e32 v47, 32, v48
	v_or_b32_e32 v130, 0x6080, v42
	v_or_b32_e32 v131, 0x6100, v42
	v_or_b32_e32 v132, 0x6180, v42
	v_or_b32_e32 v42, 0x60, v48
	v_cndmask_b32_e64 v35, v35, v37, s[0:1]
	v_lshlrev_b32_e32 v37, 3, v86
	v_lshl_or_b32 v127, v45, 3, v80
	v_and_b32_e32 v45, 8, v0
	v_xor_b32_e32 v43, v37, v48
	v_xor_b32_e32 v47, v37, v47
	;; [unrolled: 1-line block ×3, first 2 shown]
	v_mov_b32_e32 v49, 0x400
	v_cmp_eq_u32_e32 vcc, 0, v45
	v_or_b32_e32 v48, 0x440, v43
	v_or_b32_e32 v50, 0x440, v47
	v_xor_b32_e32 v42, 0x440, v37
	v_and_b32_e32 v44, 7, v0
	v_cndmask_b32_e64 v45, v49, 64, vcc
	v_cndmask_b32_e32 v48, v48, v43, vcc
	v_cndmask_b32_e32 v47, v50, v47, vcc
	;; [unrolled: 1-line block ×3, first 2 shown]
	v_lshl_or_b32 v128, v46, 3, v80
	v_lshlrev_b32_e32 v46, 3, v44
	v_or_b32_e32 v48, v48, v41
	v_or_b32_e32 v47, v47, v41
	v_or3_b32 v43, v41, v45, v43
	v_or_b32_e32 v37, v37, v41
	v_lshlrev_b32_e32 v44, 7, v44
	v_xor_b32_e32 v48, v48, v46
	v_xor_b32_e32 v47, v47, v46
	;; [unrolled: 1-line block ×4, first 2 shown]
	v_or_b32_e32 v34, v1, v40
	v_add_u32_e32 v49, v35, v48
	v_add_u32_e32 v50, v35, v47
	v_or_b32_e32 v135, v43, v44
	v_add_u32_e32 v41, v35, v37
	v_or3_b32 v40, v1, v40, 64
	v_add_u32_e32 v42, 0xa000, v48
	v_add_u32_e32 v43, 0xa000, v47
	;; [unrolled: 1-line block ×3, first 2 shown]
	v_lshl_add_u64 v[84:85], v[38:39], 0, v[80:81]
	v_lshlrev_b32_e32 v80, 1, v36
	s_movk_i32 s39, 0x3000
	v_lshlrev_b32_e32 v79, 2, v34
	v_add_u32_e32 v136, v49, v44
	v_add_u32_e32 v137, v50, v44
	;; [unrolled: 1-line block ×4, first 2 shown]
	v_lshlrev_b32_e32 v140, 2, v40
	v_add_u32_e32 v141, v42, v44
	v_add_u32_e32 v142, v43, v44
	;; [unrolled: 1-line block ×3, first 2 shown]
	s_waitcnt lgkmcnt(0)
	s_barrier
.LBB148_6:                              ; =>This Inner Loop Header: Depth=1
	s_add_i32 s61, s60, 1
	s_cmp_lt_i32 s61, s49
	s_mov_b64 s[24:25], 0
	s_cselect_b64 s[2:3], -1, 0
	s_cmp_ge_i32 s61, s49
	s_mov_b64 s[20:21], 0
	s_cbranch_scc1 .LBB148_8
; %bb.7:                                ;   in Loop: Header=BB148_6 Depth=1
	s_add_i32 s0, s55, 64
	s_ashr_i32 s1, s0, 31
	s_add_u32 s0, s54, s0
	s_addc_u32 s1, s53, s1
	s_lshl_b64 s[0:1], s[0:1], 8
	s_add_u32 s20, s6, s0
	s_addc_u32 s21, s7, s1
.LBB148_8:                              ;   in Loop: Header=BB148_6 Depth=1
	v_cndmask_b32_e64 v34, 0, 1, s[2:3]
	v_cmp_ne_u32_e64 s[0:1], 1, v34
	s_andn2_b64 vcc, exec, s[2:3]
	s_cbranch_vccnz .LBB148_10
; %bb.9:                                ;   in Loop: Header=BB148_6 Depth=1
	s_add_i32 s2, s55, 64
	s_mul_hi_i32 s3, s2, s14
	s_mul_i32 s2, s2, s14
	s_add_u32 s2, s2, s51
	s_addc_u32 s3, s3, s56
	s_lshl_b64 s[2:3], s[2:3], 8
	s_add_u32 s24, s4, s2
	s_addc_u32 s25, s5, s3
.LBB148_10:                             ;   in Loop: Header=BB148_6 Depth=1
	v_perm_b32 v35, v25, v24, s35
	v_perm_b32 v34, v23, v22, s35
	v_perm_b32 v37, v33, v32, s35
	v_perm_b32 v36, v31, v30, s35
	ds_write_b64 v99, v[34:35]
	ds_write_b64 v100, v[36:37]
	ds_write_b64 v105, v[34:35]
	ds_write_b64 v106, v[36:37]
	v_perm_b32 v35, v17, v16, s35
	v_perm_b32 v34, v15, v14, s35
	v_perm_b32 v37, v29, v28, s35
	v_perm_b32 v36, v27, v26, s35
	ds_write_b64 v101, v[34:35]
	ds_write_b64 v102, v[36:37]
	ds_write_b64 v107, v[34:35]
	ds_write_b64 v108, v[36:37]
	;; [unrolled: 8-line block ×4, first 2 shown]
	s_waitcnt lgkmcnt(0)
	s_barrier
	ds_read_b64 v[38:39], v115 offset:49152
	ds_read2_b64 v[34:37], v116 offset1:16
	ds_read_b64 v[50:51], v118 offset:6144
	ds_read_b64 v[52:53], v116 offset:6144
	s_waitcnt lgkmcnt(2)
	v_mfma_f32_16x16x16_bf16 a[0:3], v[38:39], v[34:35], 0
	ds_read_b64 v[54:55], v117 offset:49152
	ds_read2st64_b64 v[42:45], v119 offset0:4 offset1:8
	ds_read2st64_b64 v[46:49], v120 offset0:4 offset1:8
	v_mfma_f32_16x16x16_bf16 a[4:7], v[38:39], v[36:37], 0
	ds_read2_b64 v[34:37], v116 offset0:32 offset1:48
	s_add_i32 s62, s55, 63
	s_ashr_i32 s2, s62, 31
	s_waitcnt lgkmcnt(0)
	v_mfma_f32_16x16x16_bf16 a[8:11], v[38:39], v[34:35], 0
	s_mul_i32 s3, s62, s29
	s_mul_hi_u32 s27, s62, s28
	s_add_i32 s3, s27, s3
	v_mfma_f32_16x16x16_bf16 a[12:15], v[38:39], v[36:37], 0
	ds_read2st64_b64 v[34:37], v116 offset0:4 offset1:8
	ds_read2st64_b64 v[38:41], v118 offset0:4 offset1:8
	s_mul_i32 s2, s2, s28
	s_waitcnt lgkmcnt(1)
	v_mfma_f32_16x16x16_bf16 a[0:3], v[54:55], v[34:35], a[0:3]
	s_add_i32 s3, s3, s2
	s_mul_i32 s2, s62, s28
	s_lshl_b64 s[2:3], s[2:3], 2
	s_waitcnt lgkmcnt(0)
	v_mfma_f32_16x16x16_bf16 a[4:7], v[54:55], v[38:39], a[4:7]
	s_add_u32 s2, s40, s2
	s_addc_u32 s3, s41, s3
	s_and_b64 vcc, exec, s[0:1]
	v_mfma_f32_16x16x16_bf16 a[8:11], v[54:55], v[42:43], a[8:11]
	ds_read_b64 v[34:35], v121 offset:49152
	ds_read_b64 v[38:39], v122 offset:49152
	;; [unrolled: 1-line block ×3, first 2 shown]
	v_mov_b32_e32 v146, 0
	v_mov_b32_e32 v145, 0
	v_mfma_f32_16x16x16_bf16 a[12:15], v[54:55], v[46:47], a[12:15]
	v_mov_b32_e32 v144, 0
	v_mov_b32_e32 v46, 0
	;; [unrolled: 1-line block ×3, first 2 shown]
	s_waitcnt lgkmcnt(2)
	v_mfma_f32_16x16x16_bf16 a[0:3], v[34:35], v[36:37], a[0:3]
	v_mov_b32_e32 v36, 0
	v_mov_b32_e32 v37, 0
	v_mfma_f32_16x16x16_bf16 a[16:19], v[34:35], v[40:41], a[4:7]
	v_mov_b32_e32 v40, 0
	v_mov_b32_e32 v41, 0
	;; [unrolled: 3-line block ×3, first 2 shown]
	v_mfma_f32_16x16x16_bf16 a[24:27], v[34:35], v[48:49], a[12:15]
	ds_read_b64 v[34:35], v119 offset:6144
	v_mov_b32_e32 v48, 0
	v_mov_b32_e32 v49, 0
	s_waitcnt lgkmcnt(2)
	v_mfma_f32_16x16x16_bf16 a[4:7], v[38:39], v[52:53], a[0:3]
	v_mfma_f32_16x16x16_bf16 a[8:11], v[38:39], v[50:51], a[16:19]
	s_waitcnt lgkmcnt(0)
	v_mfma_f32_16x16x16_bf16 a[12:15], v[38:39], v[34:35], a[20:23]
	v_mov_b32_e32 v34, 0
	v_mov_b32_e32 v35, 0
	v_mfma_f32_16x16x16_bf16 a[0:3], v[38:39], v[42:43], a[24:27]
	v_mov_b32_e32 v38, 0
	v_mov_b32_e32 v39, 0
	;; [unrolled: 1-line block ×4, first 2 shown]
	s_cbranch_vccnz .LBB148_12
; %bb.11:                               ;   in Loop: Header=BB148_6 Depth=1
	s_and_b32 s21, s21, 0xffff
	buffer_load_dwordx4 v[46:49], v95, s[20:23], 0 offen
	buffer_load_dwordx4 v[42:45], v95, s[20:23], s57 offen
	;; [unrolled: 1-line block ×4, first 2 shown]
	v_mov_b32_e32 v145, v97
	v_mov_b32_e32 v144, v98
.LBB148_12:                             ;   in Loop: Header=BB148_6 Depth=1
	ds_read_b64 v[66:67], v115 offset:57344
	ds_read2_b64 v[50:53], v123 offset1:16
	ds_read_b64 v[68:69], v117 offset:57344
	ds_read_b64 v[70:71], v121 offset:57344
	;; [unrolled: 1-line block ×3, first 2 shown]
	v_add_u32_e32 v74, s55, v91
	s_waitcnt lgkmcnt(3)
	v_mfma_f32_16x16x16_bf16 a[4:7], v[66:67], v[50:51], a[4:7]
	v_mfma_f32_16x16x16_bf16 a[8:11], v[66:67], v[52:53], a[8:11]
	ds_read2_b64 v[50:53], v123 offset0:32 offset1:48
	ds_read2st64_b64 v[54:57], v123 offset0:4 offset1:8
	ds_read2st64_b64 v[58:61], v124 offset0:4 offset1:8
	;; [unrolled: 1-line block ×3, first 2 shown]
	s_waitcnt lgkmcnt(3)
	v_mfma_f32_16x16x16_bf16 a[12:15], v[66:67], v[50:51], a[12:15]
	v_ashrrev_i32_e32 v50, 31, v74
	v_mfma_f32_16x16x16_bf16 a[0:3], v[66:67], v[52:53], a[0:3]
	v_mul_lo_u32 v52, v50, s28
	v_mul_lo_u32 v53, v74, s29
	v_mad_u64_u32 v[50:51], s[20:21], v74, s28, 0
	v_add3_u32 v51, v51, v53, v52
	v_add_u32_e32 v52, 1, v74
	v_ashrrev_i32_e32 v53, 31, v52
	s_waitcnt lgkmcnt(2)
	v_mfma_f32_16x16x16_bf16 a[4:7], v[68:69], v[54:55], a[4:7]
	v_mul_lo_u32 v54, v53, s28
	v_mul_lo_u32 v55, v52, s29
	v_mad_u64_u32 v[52:53], s[20:21], v52, s28, 0
	v_add3_u32 v53, v53, v55, v54
	v_add_u32_e32 v54, 2, v74
	v_ashrrev_i32_e32 v55, 31, v54
	s_waitcnt lgkmcnt(1)
	v_mfma_f32_16x16x16_bf16 a[8:11], v[68:69], v[58:59], a[8:11]
	v_mul_lo_u32 v58, v55, s28
	v_mul_lo_u32 v59, v54, s29
	v_mad_u64_u32 v[54:55], s[20:21], v54, s28, 0
	v_add3_u32 v55, v55, v59, v58
	v_add_u32_e32 v58, 3, v74
	v_ashrrev_i32_e32 v59, 31, v58
	v_mul_lo_u32 v66, v59, s28
	v_mul_lo_u32 v67, v58, s29
	v_mad_u64_u32 v[58:59], s[20:21], v58, s28, 0
	s_ashr_i32 s21, s55, 31
	s_add_u32 s20, s54, s55
	s_addc_u32 s21, s53, s21
	v_lshl_add_u64 v[50:51], v[50:51], 2, s[40:41]
	v_add3_u32 v59, v59, v67, v66
	s_lshl_b64 s[20:21], s[20:21], 8
	v_lshl_add_u64 v[52:53], v[52:53], 2, s[40:41]
	v_lshl_add_u64 v[54:55], v[54:55], 2, s[40:41]
	;; [unrolled: 1-line block ×3, first 2 shown]
	global_load_dword v66, v[50:51], off
	global_load_dword v67, v[52:53], off
	;; [unrolled: 1-line block ×4, first 2 shown]
	v_lshl_add_u64 v[50:51], v[82:83], 0, s[20:21]
	v_lshl_add_u64 v[54:55], v[50:51], 0, v[80:81]
	global_load_ushort v76, v[54:55], off offset:256
	global_load_ushort v147, v[54:55], off
	ds_read2st64_b64 v[50:53], v126 offset0:4 offset1:8
	global_load_ushort v148, v[54:55], off offset:768
	global_load_ushort v149, v[54:55], off offset:512
	s_waitcnt lgkmcnt(1)
	v_mfma_f32_16x16x16_bf16 a[12:15], v[68:69], v[62:63], a[12:15]
	s_and_b64 vcc, exec, s[0:1]
	s_waitcnt vmcnt(3)
	v_lshlrev_b32_e32 v63, 16, v76
	s_waitcnt lgkmcnt(0)
	v_mfma_f32_16x16x16_bf16 a[0:3], v[68:69], v[50:51], a[0:3]
	global_load_ushort v68, v[54:55], off offset:288
	global_load_ushort v69, v[54:55], off offset:32
	;; [unrolled: 1-line block ×8, first 2 shown]
	v_mfma_f32_16x16x16_bf16 a[4:7], v[70:71], v[56:57], a[4:7]
	ds_read_b64 v[50:51], v123 offset:6144
	s_waitcnt vmcnt(10)
	v_lshlrev_b32_e32 v62, 16, v147
	v_mov_b32_e32 v147, 0
	v_mfma_f32_16x16x16_bf16 a[8:11], v[70:71], v[60:61], a[8:11]
	v_mfma_f32_16x16x16_bf16 a[12:15], v[70:71], v[64:65], a[12:15]
	;; [unrolled: 1-line block ×3, first 2 shown]
	global_load_ushort v70, v[54:55], off offset:352
	global_load_ushort v71, v[54:55], off offset:96
	ds_read_b64 v[52:53], v124 offset:6144
	ds_read_b64 v[56:57], v125 offset:6144
	ds_read_b64 v[58:59], v126 offset:6144
	global_load_ushort v156, v[54:55], off offset:864
	global_load_ushort v157, v[54:55], off offset:608
	s_load_dword s2, s[2:3], 0x0
	s_waitcnt lgkmcnt(0)
	v_mfma_f32_16x16x16_bf16 a[4:7], v[72:73], v[50:51], a[4:7]
	v_sub_f32_e32 v60, s2, v74
	v_mfma_f32_16x16x16_bf16 a[0:3], v[72:73], v[58:59], a[0:3]
	v_sub_f32_e32 v58, s2, v66
	v_sub_f32_e32 v59, s2, v67
	;; [unrolled: 1-line block ×3, first 2 shown]
	v_mfma_f32_16x16x16_bf16 a[8:11], v[72:73], v[52:53], a[8:11]
	v_exp_f32_e32 v58, v58
	v_exp_f32_e32 v59, v59
	;; [unrolled: 1-line block ×4, first 2 shown]
	v_accvgpr_read_b32 v65, a5
	v_accvgpr_read_b32 v64, a4
	;; [unrolled: 1-line block ×4, first 2 shown]
	v_pk_add_f32 v[62:63], v[62:63], v[64:65] neg_lo:[0,1] neg_hi:[0,1]
	s_waitcnt vmcnt(13)
	v_lshlrev_b32_e32 v65, 16, v148
	s_waitcnt vmcnt(12)
	v_lshlrev_b32_e32 v64, 16, v149
	v_pk_add_f32 v[50:51], v[64:65], v[50:51] neg_lo:[0,1] neg_hi:[0,1]
	v_pk_mul_f32 v[62:63], v[58:59], v[62:63]
	v_pk_mul_f32 v[50:51], v[60:61], v[50:51]
	v_accvgpr_read_b32 v65, a9
	v_perm_b32 v51, v51, v50, s35
	v_perm_b32 v50, v63, v62, s35
	v_accvgpr_read_b32 v64, a8
	v_accvgpr_read_b32 v53, a11
	v_mfma_f32_16x16x16_bf16 a[12:15], v[72:73], v[56:57], a[12:15]
	v_accvgpr_read_b32 v52, a10
	v_accvgpr_read_b32 v57, a3
	;; [unrolled: 1-line block ×3, first 2 shown]
	s_waitcnt vmcnt(11)
	v_lshlrev_b32_e32 v63, 16, v68
	s_waitcnt vmcnt(10)
	v_lshlrev_b32_e32 v62, 16, v69
	v_pk_add_f32 v[62:63], v[62:63], v[64:65] neg_lo:[0,1] neg_hi:[0,1]
	s_waitcnt vmcnt(9)
	v_lshlrev_b32_e32 v65, 16, v150
	s_waitcnt vmcnt(8)
	v_lshlrev_b32_e32 v64, 16, v151
	v_pk_add_f32 v[52:53], v[64:65], v[52:53] neg_lo:[0,1] neg_hi:[0,1]
	v_pk_mul_f32 v[62:63], v[58:59], v[62:63]
	v_pk_mul_f32 v[52:53], v[60:61], v[52:53]
	v_accvgpr_read_b32 v55, a15
	v_perm_b32 v53, v53, v52, s35
	v_perm_b32 v52, v63, v62, s35
	ds_write2_b64 v100, v[50:51], v[52:53] offset1:16
	v_accvgpr_read_b32 v53, a13
	s_waitcnt vmcnt(7)
	v_lshlrev_b32_e32 v51, 16, v152
	s_waitcnt vmcnt(6)
	v_lshlrev_b32_e32 v50, 16, v153
	v_accvgpr_read_b32 v52, a12
	v_accvgpr_read_b32 v54, a14
	v_pk_add_f32 v[50:51], v[50:51], v[52:53] neg_lo:[0,1] neg_hi:[0,1]
	s_waitcnt vmcnt(5)
	v_lshlrev_b32_e32 v53, 16, v154
	s_waitcnt vmcnt(4)
	v_lshlrev_b32_e32 v52, 16, v155
	v_pk_add_f32 v[52:53], v[52:53], v[54:55] neg_lo:[0,1] neg_hi:[0,1]
	v_pk_mul_f32 v[50:51], v[58:59], v[50:51]
	v_pk_mul_f32 v[52:53], v[60:61], v[52:53]
	v_accvgpr_read_b32 v55, a1
	v_perm_b32 v53, v53, v52, s35
	v_perm_b32 v52, v51, v50, s35
	s_waitcnt vmcnt(3)
	v_lshlrev_b32_e32 v51, 16, v70
	s_waitcnt vmcnt(2)
	v_lshlrev_b32_e32 v50, 16, v71
	v_accvgpr_read_b32 v54, a0
	v_pk_add_f32 v[50:51], v[50:51], v[54:55] neg_lo:[0,1] neg_hi:[0,1]
	s_waitcnt vmcnt(1)
	v_lshlrev_b32_e32 v55, 16, v156
	s_waitcnt vmcnt(0)
	v_lshlrev_b32_e32 v54, 16, v157
	v_pk_add_f32 v[54:55], v[54:55], v[56:57] neg_lo:[0,1] neg_hi:[0,1]
	v_pk_mul_f32 v[50:51], v[58:59], v[50:51]
	v_pk_mul_f32 v[54:55], v[60:61], v[54:55]
	v_mov_b32_e32 v56, 0
	v_perm_b32 v55, v55, v54, s35
	v_perm_b32 v54, v51, v50, s35
	ds_write2_b64 v100, v[52:53], v[54:55] offset0:32 offset1:48
	v_mov_b32_e32 v50, 0
	v_mov_b32_e32 v51, 0
	;; [unrolled: 1-line block ×15, first 2 shown]
	s_cbranch_vccnz .LBB148_14
; %bb.13:                               ;   in Loop: Header=BB148_6 Depth=1
	s_and_b32 s25, s25, 0xffff
	s_mov_b32 s27, s23
	buffer_load_dwordx4 v[62:65], v133, s[24:27], 0 offen
	buffer_load_dwordx4 v[54:57], v133, s[24:27], s57 offen
	;; [unrolled: 1-line block ×4, first 2 shown]
	v_mov_b32_e32 v146, v94
	v_mov_b32_e32 v147, v93
.LBB148_14:                             ;   in Loop: Header=BB148_6 Depth=1
	s_waitcnt lgkmcnt(0)
	s_barrier
	ds_read_b64 v[74:75], v136
	ds_read2_b64 v[66:69], v129 offset1:16
	ds_read_b64 v[164:165], v137
	ds_read_b64 v[166:167], v138
	;; [unrolled: 1-line block ×3, first 2 shown]
	ds_read2_b64 v[70:73], v129 offset0:32 offset1:48
	ds_read2st64_b64 v[148:151], v129 offset0:4 offset1:8
	ds_read2st64_b64 v[152:155], v130 offset0:4 offset1:8
	;; [unrolled: 1-line block ×4, first 2 shown]
	s_waitcnt lgkmcnt(8)
	v_mfma_f32_16x16x16_bf16 a[0:3], v[74:75], v[66:67], 0
	s_add_i32 s3, s52, s60
	s_mul_hi_i32 s21, s3, s13
	s_mul_i32 s3, s3, s13
	v_mfma_f32_16x16x16_bf16 a[4:7], v[74:75], v[68:69], 0
	s_add_u32 s20, s3, s47
	s_addc_u32 s21, s21, s48
	s_lshl_b64 s[20:21], s[20:21], 15
	s_waitcnt lgkmcnt(4)
	v_mfma_f32_16x16x16_bf16 a[8:11], v[74:75], v[70:71], 0
	s_mul_i32 s24, s62, s13
	s_mul_hi_i32 s3, s62, s13
	s_add_u32 s24, s24, s47
	v_mfma_f32_16x16x16_bf16 a[12:15], v[74:75], v[72:73], 0
	ds_read_b64 v[74:75], v129 offset:6144
	ds_read_b64 v[176:177], v130 offset:6144
	ds_read_b64 v[178:179], v131 offset:6144
	ds_read_b64 v[180:181], v132 offset:6144
	s_addc_u32 s25, s3, s48
	s_waitcnt lgkmcnt(7)
	v_mfma_f32_16x16x16_bf16 a[0:3], v[164:165], v[148:149], a[0:3]
	s_lshl_b64 s[24:25], s[24:25], 9
	s_add_u32 s24, s16, s24
	s_addc_u32 s25, s17, s25
	s_waitcnt lgkmcnt(6)
	v_mfma_f32_16x16x16_bf16 a[4:7], v[164:165], v[152:153], a[4:7]
	v_lshl_add_u64 v[186:187], v[84:85], 0, s[20:21]
	s_waitcnt lgkmcnt(5)
	v_mfma_f32_16x16x16_bf16 a[8:11], v[164:165], v[156:157], a[8:11]
	s_waitcnt lgkmcnt(4)
	v_mfma_f32_16x16x16_bf16 a[12:15], v[164:165], v[160:161], a[12:15]
	ds_read_b64 v[164:165], v141
	ds_read_b64 v[174:175], v142
	ds_read_b64 v[182:183], v143
	s_waitcnt lgkmcnt(2)
	v_mfma_f32_16x16x16_bf16 a[16:19], v[164:165], v[66:67], 0
	v_mfma_f32_16x16x16_bf16 a[20:23], v[164:165], v[68:69], 0
	global_load_dwordx4 v[66:69], v140, s[24:25]
	v_mfma_f32_16x16x16_bf16 a[24:27], v[164:165], v[70:71], 0
	v_mfma_f32_16x16x16_bf16 a[28:31], v[164:165], v[72:73], 0
	global_load_dwordx4 v[70:73], v79, s[24:25]
	v_mfma_f32_16x16x16_bf16 a[0:3], v[166:167], v[150:151], a[0:3]
	v_mfma_f32_16x16x16_bf16 a[4:7], v[166:167], v[154:155], a[4:7]
	;; [unrolled: 1-line block ×8, first 2 shown]
	ds_read2st64_b64 v[164:167], v127 offset1:8
	ds_read2st64_b64 v[168:171], v128 offset1:8
	ds_read_b64 v[184:185], v135 offset:40960
	s_waitcnt lgkmcnt(2)
	v_mov_b32_e32 v172, v164
	v_mfma_f32_16x16x16_bf16 a[16:19], v[174:175], v[148:149], a[16:19]
	v_mov_b32_e32 v173, v165
	v_mfma_f32_16x16x16_bf16 a[20:23], v[174:175], v[152:153], a[20:23]
	v_mfma_f32_16x16x16_bf16 a[24:27], v[174:175], v[156:157], a[24:27]
	v_mfma_f32_16x16x16_bf16 a[28:31], v[174:175], v[160:161], a[28:31]
	v_add_co_u32_e32 v160, vcc, s37, v186
	s_waitcnt lgkmcnt(1)
	v_mov_b32_e32 v174, v168
	s_waitcnt lgkmcnt(0)
	v_mfma_f32_16x16x16_bf16 a[16:19], v[184:185], v[150:151], a[16:19]
	ds_read2st64_b64 v[148:151], v127 offset0:16 offset1:24
	v_addc_co_u32_e32 v161, vcc, 0, v187, vcc
	v_mfma_f32_16x16x16_bf16 a[20:23], v[184:185], v[154:155], a[20:23]
	ds_read2st64_b64 v[152:155], v128 offset0:16 offset1:24
	v_mov_b32_e32 v175, v169
	v_mov_b32_e32 v168, v166
	v_mfma_f32_16x16x16_bf16 a[32:35], v[184:185], v[158:159], a[24:27]
	v_mov_b32_e32 v169, v167
	s_waitcnt lgkmcnt(0)
	v_mov_b32_e32 v158, v152
	v_mov_b32_e32 v159, v153
	v_mfma_f32_16x16x16_bf16 a[36:39], v[184:185], v[162:163], a[28:31]
	v_mov_b32_e32 v152, v150
	v_mov_b32_e32 v153, v151
	;; [unrolled: 1-line block ×3, first 2 shown]
	v_mfma_f32_16x16x16_bf16 a[24:27], v[182:183], v[74:75], a[16:19]
	v_add_co_u32_e32 v74, vcc, s39, v186
	v_mov_b32_e32 v157, v149
	v_mfma_f32_16x16x16_bf16 a[28:31], v[182:183], v[176:177], a[20:23]
	v_addc_co_u32_e32 v75, vcc, 0, v187, vcc
	global_store_dwordx4 v[74:75], v[152:155], off
	v_mfma_f32_16x16x16_bf16 a[16:19], v[182:183], v[178:179], a[32:35]
	s_waitcnt vmcnt(2)
	v_mov_b32_e32 v76, v69
	v_mov_b32_e32 v75, v68
	;; [unrolled: 1-line block ×3, first 2 shown]
	v_mfma_f32_16x16x16_bf16 a[20:23], v[182:183], v[180:181], a[36:39]
	s_and_b64 vcc, exec, s[0:1]
	global_store_dwordx4 v[186:187], v[172:175], off
	global_store_dwordx4 v[160:161], v[168:171], off offset:-4096
	global_store_dwordx4 v[160:161], v[156:159], off
	s_cbranch_vccnz .LBB148_16
; %bb.15:                               ;   in Loop: Header=BB148_6 Depth=1
	v_lshrrev_b32_e32 v67, 3, v146
	v_and_b32_e32 v67, 6, v67
	v_xor_b32_e32 v68, v67, v147
	v_lshlrev_b32_e32 v68, 2, v68
	v_and_b32_e32 v69, 8, v146
	v_xor_b32_e32 v146, 0x440, v68
	v_cmp_eq_u32_e32 vcc, 0, v69
	v_perm_b32 v69, v54, v50, s58
	s_nop 0
	v_cndmask_b32_e32 v68, v146, v68, vcc
	v_lshl_or_b32 v67, v67, 10, v68
	v_perm_b32 v68, v62, v58, s58
	s_barrier
	ds_write2st64_b32 v67, v68, v69 offset0:128 offset1:160
	v_xor_b32_e32 v68, 8, v67
	v_perm_b32 v58, v62, v58, s59
	v_perm_b32 v50, v54, v50, s59
	v_add_u32_e32 v54, 0x80, v68
	ds_write2st64_b32 v54, v58, v50 offset0:128 offset1:160
	v_xor_b32_e32 v50, 16, v67
	v_perm_b32 v54, v63, v59, s58
	v_perm_b32 v58, v55, v51, s58
	ds_write2st64_b32 v50, v54, v58 offset0:129 offset1:161
	v_xor_b32_e32 v50, 24, v67
	v_perm_b32 v54, v63, v59, s59
	v_perm_b32 v51, v55, v51, s59
	v_add_u32_e32 v50, 0x80, v50
	ds_write2st64_b32 v50, v54, v51 offset0:129 offset1:161
	v_xor_b32_e32 v50, 32, v67
	v_perm_b32 v51, v64, v60, s58
	v_perm_b32 v54, v56, v52, s58
	;; [unrolled: 9-line block ×3, first 2 shown]
	ds_write2st64_b32 v50, v51, v52 offset0:131 offset1:163
	v_xor_b32_e32 v50, 56, v67
	v_perm_b32 v51, v65, v61, s59
	v_perm_b32 v52, v57, v53, s59
	v_add_u32_e32 v50, 0x80, v50
	ds_write2st64_b32 v50, v51, v52 offset0:131 offset1:163
	ds_write_b64 v145, v[46:47] offset:49152
	v_xor_b32_e32 v46, 8, v145
	ds_write_b64 v46, v[48:49] offset:49152
	ds_write_b64 v145, v[42:43] offset:57344
	;; [unrolled: 1-line block ×4, first 2 shown]
	v_xor_b32_e32 v38, 8, v144
	ds_write_b64 v38, v[40:41] offset:49152
	ds_write_b64 v144, v[34:35] offset:57344
	;; [unrolled: 1-line block ×3, first 2 shown]
.LBB148_16:                             ;   in Loop: Header=BB148_6 Depth=1
	v_exp_f32_e32 v68, s2
	s_waitcnt vmcnt(4)
	v_exp_f32_e32 v70, v70
	v_exp_f32_e32 v71, v71
	;; [unrolled: 1-line block ×4, first 2 shown]
	v_accvgpr_read_b32 v37, a3
	v_accvgpr_read_b32 v36, a2
	;; [unrolled: 1-line block ×4, first 2 shown]
	v_pk_mul_f32 v[70:71], v[68:69], v[70:71] op_sel_hi:[0,1]
	v_pk_mul_f32 v[72:73], v[68:69], v[72:73] op_sel_hi:[0,1]
	v_pk_fma_f32 v[22:23], v[22:23], v[70:71], v[34:35]
	v_pk_fma_f32 v[24:25], v[24:25], v[72:73], v[36:37]
	v_exp_f32_e32 v34, v66
	v_exp_f32_e32 v35, v74
	;; [unrolled: 1-line block ×4, first 2 shown]
	v_accvgpr_read_b32 v41, a7
	v_accvgpr_read_b32 v45, a11
	;; [unrolled: 1-line block ×28, first 2 shown]
	v_pk_mul_f32 v[34:35], v[68:69], v[34:35] op_sel_hi:[0,1]
	v_pk_mul_f32 v[36:37], v[68:69], v[36:37] op_sel_hi:[0,1]
	s_add_i32 s55, s55, 64
	v_pk_fma_f32 v[14:15], v[70:71], v[14:15], v[38:39]
	v_pk_fma_f32 v[16:17], v[72:73], v[16:17], v[40:41]
	;; [unrolled: 1-line block ×13, first 2 shown]
	s_cmp_eq_u32 s49, s61
	v_pk_fma_f32 v[12:13], v[36:37], v[12:13], v[64:65]
	s_cbranch_scc1 .LBB148_18
; %bb.17:                               ;   in Loop: Header=BB148_6 Depth=1
	s_mov_b32 s60, s61
	s_branch .LBB148_6
.LBB148_18:
	s_lshl_b32 s26, s49, 6
	s_sub_i32 s27, s50, s26
	s_cmp_gt_i32 s27, 0
	s_cbranch_scc0 .LBB148_99
; %bb.19:
	s_add_i32 s26, s26, s30
	s_ashr_i32 s2, s26, 31
	s_cmpk_lg_i32 s15, 0x80
	s_cselect_b64 s[22:23], -1, 0
	s_and_b64 vcc, exec, s[22:23]
	s_cbranch_vccz .LBB148_21
; %bb.20:
	s_mul_i32 s1, s26, s14
	s_ashr_i32 s3, s51, 31
	s_mul_hi_i32 s0, s26, s14
	s_add_u32 s24, s1, s51
	s_addc_u32 s25, s0, s3
	s_cbranch_execz .LBB148_22
	s_branch .LBB148_23
.LBB148_21:
                                        ; implicit-def: $sgpr24_sgpr25
.LBB148_22:
	s_mul_i32 s1, s51, s12
	s_mul_hi_i32 s0, s51, s12
	s_add_u32 s24, s1, s26
	s_addc_u32 s25, s0, s2
.LBB148_23:
	s_waitcnt lgkmcnt(0)
	s_add_i32 s3, s49, s52
	s_add_u32 s0, s54, s26
	s_addc_u32 s1, s53, s2
	v_lshlrev_b32_e32 v35, 6, v91
	v_lshlrev_b32_e32 v34, 2, v88
	s_mov_b32 s2, 0x7060302
	s_waitcnt vmcnt(7)
	v_perm_b32 v25, v25, v24, s2
	v_perm_b32 v24, v23, v22, s2
	s_waitcnt vmcnt(6)
	v_perm_b32 v22, v31, v30, s2
	v_or_b32_e32 v30, v35, v34
	v_xor_b32_e32 v36, v91, v34
	v_perm_b32 v23, v33, v32, s2
	v_lshlrev_b32_e32 v30, 1, v30
	ds_write2st64_b64 v30, v[24:25], v[22:23] offset0:32 offset1:48
	v_lshlrev_b32_e32 v30, 1, v36
	v_lshlrev_b32_e32 v31, 8, v88
	v_xor_b32_e32 v37, v92, v34
	v_or_b32_e32 v32, v30, v31
	ds_write_b64 v32, v[24:25]
	v_lshlrev_b32_e32 v24, 1, v37
	v_or_b32_e32 v25, v24, v31
	ds_write_b64 v25, v[22:23]
	v_or_b32_e32 v22, 16, v88
	v_lshlrev_b32_e32 v23, 2, v22
	v_or_b32_e32 v25, v35, v23
	s_waitcnt vmcnt(5)
	v_perm_b32 v17, v17, v16, s2
	v_perm_b32 v16, v15, v14, s2
	s_waitcnt vmcnt(4)
	v_perm_b32 v15, v29, v28, s2
	v_perm_b32 v14, v27, v26, s2
	v_lshlrev_b32_e32 v25, 1, v25
	v_lshlrev_b32_e32 v22, 8, v22
	ds_write2st64_b64 v25, v[16:17], v[14:15] offset0:32 offset1:48
	v_or_b32_e32 v25, v30, v22
	ds_write_b64 v25, v[16:17]
	v_or_b32_e32 v16, v24, v22
	ds_write_b64 v16, v[14:15]
	v_or_b32_e32 v14, 32, v88
	v_lshlrev_b32_e32 v22, 2, v14
	v_or_b32_e32 v15, v35, v22
	s_waitcnt vmcnt(3)
	v_perm_b32 v9, v9, v8, s2
	v_perm_b32 v8, v7, v6, s2
	s_waitcnt vmcnt(2)
	v_perm_b32 v7, v21, v20, s2
	v_perm_b32 v6, v19, v18, s2
	v_lshlrev_b32_e32 v15, 1, v15
	v_lshlrev_b32_e32 v14, 8, v14
	s_lshl_b64 s[20:21], s[0:1], 8
	ds_write2st64_b64 v15, v[8:9], v[6:7] offset0:32 offset1:48
	v_or_b32_e32 v15, v30, v14
	s_add_u32 s0, s6, s20
	ds_write_b64 v15, v[8:9]
	v_or_b32_e32 v8, v24, v14
	s_addc_u32 s1, s7, s21
	ds_write_b64 v8, v[6:7]
	v_or_b32_e32 v6, 48, v88
	s_mul_hi_i32 s6, s3, s13
	s_mul_i32 s3, s3, s13
	s_waitcnt vmcnt(1)
	v_perm_b32 v5, v5, v4, s2
	v_perm_b32 v4, v3, v2, s2
	s_waitcnt vmcnt(0)
	v_perm_b32 v3, v13, v12, s2
	v_perm_b32 v2, v11, v10, s2
	v_lshlrev_b32_e32 v19, 2, v6
	s_add_u32 s2, s3, s47
	v_or_b32_e32 v7, v35, v19
	s_addc_u32 s3, s6, s48
	v_lshlrev_b32_e32 v7, 1, v7
	v_lshlrev_b32_e32 v6, 8, v6
	s_ashr_i32 s39, s38, 31
	s_lshl_b64 s[2:3], s[2:3], 15
	ds_write2st64_b64 v7, v[4:5], v[2:3] offset0:32 offset1:48
	v_or_b32_e32 v7, v30, v6
	s_add_u32 s6, s18, s2
	ds_write_b64 v7, v[4:5]
	v_or_b32_e32 v4, v24, v6
	s_addc_u32 s7, s19, s3
	s_lshl_b64 s[2:3], s[38:39], 8
	ds_write_b64 v4, v[2:3]
	s_add_u32 s2, s6, s2
	v_lshlrev_b32_e32 v3, 1, v88
	v_lshrrev_b32_e32 v2, 4, v0
	s_addc_u32 s3, s7, s3
	v_or_b32_e32 v4, 1, v3
	v_lshlrev_b32_e32 v10, 4, v88
	v_mov_b32_e32 v11, 0
	v_xor_b32_e32 v3, v2, v3
	v_xor_b32_e32 v6, v4, v2
	v_lshl_add_u64 v[12:13], s[2:3], 0, v[10:11]
	v_lshlrev_b32_e32 v10, 8, v2
	v_lshl_or_b32 v16, v3, 3, v10
	v_lshl_or_b32 v17, v6, 3, v10
	s_waitcnt lgkmcnt(0)
	s_barrier
	ds_read2st64_b64 v[2:5], v16 offset1:8
	ds_read2st64_b64 v[6:9], v17 offset1:8
	v_lshl_add_u64 v[14:15], v[12:13], 0, v[10:11]
	s_movk_i32 s2, 0x2000
	s_cmp_lg_u32 s27, 64
	s_waitcnt lgkmcnt(1)
	v_mov_b32_e32 v10, v2
	v_mov_b32_e32 v11, v3
	s_waitcnt lgkmcnt(0)
	v_mov_b32_e32 v12, v6
	v_mov_b32_e32 v13, v7
	global_store_dwordx4 v[14:15], v[10:13], off
	v_mov_b32_e32 v6, v4
	v_mov_b32_e32 v7, v5
	ds_read2st64_b64 v[2:5], v16 offset0:16 offset1:24
	ds_read2st64_b64 v[10:13], v17 offset0:16 offset1:24
	v_add_co_u32_e32 v16, vcc, s2, v14
	s_cselect_b64 s[6:7], -1, 0
	s_nop 0
	v_addc_co_u32_e32 v17, vcc, 0, v15, vcc
	global_store_dwordx4 v[16:17], v[6:9], off offset:-4096
	v_lshl_or_b32 v24, v86, 3, v90
	s_mov_b32 s16, 0
	s_waitcnt lgkmcnt(1)
	v_mov_b32_e32 v6, v2
	v_add_co_u32_e32 v2, vcc, 0x3000, v14
	v_mov_b32_e32 v7, v3
	s_nop 0
	v_addc_co_u32_e32 v3, vcc, 0, v15, vcc
	s_waitcnt lgkmcnt(0)
	v_mov_b32_e32 v8, v10
	v_mov_b32_e32 v9, v11
	;; [unrolled: 1-line block ×4, first 2 shown]
	v_or_b32_e32 v20, 32, v24
	v_and_b32_e32 v18, 56, v89
	s_and_b64 vcc, exec, s[6:7]
	global_store_dwordx4 v[16:17], v[6:9], off
	global_store_dwordx4 v[2:3], v[10:13], off
	s_cbranch_vccz .LBB148_29
; %bb.24:
	s_mov_b32 s17, s16
	s_mov_b32 s18, s16
	s_mov_b32 s19, s16
	v_mov_b64_e32 v[6:7], s[16:17]
	v_mov_b64_e32 v[8:9], s[18:19]
	;; [unrolled: 1-line block ×3, first 2 shown]
	v_cmp_gt_i32_e32 vcc, s27, v24
	v_mov_b64_e32 v[4:5], v[8:9]
	s_and_saveexec_b64 s[2:3], vcc
	s_cbranch_execz .LBB148_26
; %bb.25:
	v_lshlrev_b32_e32 v2, 8, v24
	v_mov_b32_e32 v3, 0
	v_lshl_add_u64 v[4:5], s[0:1], 0, v[2:3]
	v_lshlrev_b32_e32 v2, 1, v18
	v_lshl_add_u64 v[10:11], v[4:5], 0, v[2:3]
	global_load_dwordx4 v[6:9], v[10:11], off
	global_load_dwordx4 v[2:5], v[10:11], off offset:128
.LBB148_26:
	s_or_b64 exec, exec, s[2:3]
	s_mov_b32 s17, s16
	s_mov_b32 s18, s16
	;; [unrolled: 1-line block ×3, first 2 shown]
	v_mov_b64_e32 v[14:15], s[16:17]
	v_mov_b64_e32 v[16:17], s[18:19]
	v_mov_b64_e32 v[10:11], v[14:15]
	v_cmp_gt_i32_e32 vcc, s27, v20
	v_lshlrev_b32_e32 v21, 7, v20
	v_mov_b64_e32 v[12:13], v[16:17]
	s_and_saveexec_b64 s[2:3], vcc
	s_cbranch_execz .LBB148_28
; %bb.27:
	v_lshlrev_b32_e32 v10, 1, v21
	v_mov_b32_e32 v11, 0
	v_lshl_add_u64 v[12:13], s[0:1], 0, v[10:11]
	v_lshlrev_b32_e32 v10, 1, v18
	v_lshl_add_u64 v[26:27], v[12:13], 0, v[10:11]
	global_load_dwordx4 v[14:17], v[26:27], off
	global_load_dwordx4 v[10:13], v[26:27], off offset:128
.LBB148_28:
	s_or_b64 exec, exec, s[2:3]
	v_lshrrev_b32_e32 v25, 3, v18
	v_lshlrev_b32_e32 v26, 3, v24
	v_or_b32_e32 v25, v26, v25
	v_lshlrev_b32_e32 v25, 4, v25
	v_and_b32_e32 v26, 0x78, v26
	v_xor_b32_e32 v25, v25, v26
	s_branch .LBB148_31
.LBB148_29:
                                        ; implicit-def: $vgpr25
                                        ; implicit-def: $vgpr21
                                        ; implicit-def: $vgpr6_vgpr7_vgpr8_vgpr9
                                        ; implicit-def: $vgpr2_vgpr3_vgpr4_vgpr5
                                        ; implicit-def: $vgpr14_vgpr15_vgpr16_vgpr17
                                        ; implicit-def: $vgpr10_vgpr11_vgpr12_vgpr13
	s_cbranch_execz .LBB148_31
; %bb.30:
	s_waitcnt vmcnt(0)
	v_lshlrev_b32_e32 v2, 1, v18
	v_lshl_or_b32 v21, v24, 8, v2
	s_and_b32 s1, s1, 0xffff
	s_mov_b32 s3, 0x20000
	s_movk_i32 s2, 0x4000
	v_lshl_or_b32 v25, v20, 8, v2
	s_movk_i32 s12, 0x80
	buffer_load_dwordx4 v[6:9], v21, s[0:3], 0 offen
	buffer_load_dwordx4 v[2:5], v21, s[0:3], s12 offen
	;; [unrolled: 1-line block ×4, first 2 shown]
	v_lshrrev_b32_e32 v21, 3, v18
	v_lshlrev_b32_e32 v25, 3, v24
	v_or_b32_e32 v21, v25, v21
	v_lshlrev_b32_e32 v21, 4, v21
	v_and_b32_e32 v25, 0x78, v25
	v_xor_b32_e32 v25, v21, v25
	v_lshlrev_b32_e32 v21, 7, v20
.LBB148_31:
	s_movk_i32 s0, 0x1000
	v_and_or_b32 v20, v21, s0, v25
	s_waitcnt vmcnt(1)
	ds_write_b64 v25, v[6:7] offset:49152
	v_xor_b32_e32 v6, 8, v25
	ds_write_b64 v6, v[8:9] offset:49152
	s_waitcnt vmcnt(0)
	ds_write_b64 v25, v[2:3] offset:57344
	ds_write_b64 v6, v[4:5] offset:57344
	;; [unrolled: 1-line block ×3, first 2 shown]
	v_xor_b32_e32 v2, 8, v20
	ds_write_b64 v2, v[16:17] offset:49152
	ds_write_b64 v20, v[10:11] offset:57344
	;; [unrolled: 1-line block ×3, first 2 shown]
	v_or_b32_e32 v2, v1, v88
	v_lshlrev_b32_e32 v3, 11, v86
	v_lshlrev_b32_e32 v2, 3, v2
	v_and_b32_e32 v6, 0x1000, v3
	v_lshrrev_b32_e32 v3, 5, v77
	s_movk_i32 s0, 0xf8
	v_and_or_b32 v3, v2, s0, v3
	v_lshlrev_b32_e32 v7, 4, v3
	v_and_b32_e32 v8, 0x78, v2
	v_or_b32_e32 v10, 32, v7
	v_lshrrev_b32_e32 v3, 1, v77
	v_xor_b32_e32 v10, v10, v8
	v_xor_b32_e32 v2, v7, v8
	v_and_b32_e32 v9, 8, v3
	v_or_b32_e32 v10, v10, v6
	v_or_b32_e32 v2, v2, v6
	v_xor_b32_e32 v27, v10, v9
	v_or_b32_e32 v10, 64, v7
	v_xor_b32_e32 v26, v2, v9
	v_xor_b32_e32 v10, v10, v8
	s_waitcnt lgkmcnt(0)
	s_barrier
	v_or_b32_e32 v13, v10, v6
	ds_read_b64 v[10:11], v26 offset:49152
	v_lshl_or_b32 v14, v87, 8, v34
	v_lshlrev_b32_e32 v25, 1, v14
	v_add_u32_e32 v12, 0x4000, v25
	ds_read2_b64 v[2:5], v12 offset1:16
	v_or_b32_e32 v7, 0x60, v7
	v_xor_b32_e32 v7, v7, v8
	v_or_b32_e32 v6, v7, v6
	v_xor_b32_e32 v28, v13, v9
	v_xor_b32_e32 v29, v6, v9
	ds_read_b64 v[20:21], v27 offset:49152
	ds_read_b64 v[36:37], v28 offset:49152
	;; [unrolled: 1-line block ×3, first 2 shown]
	s_waitcnt lgkmcnt(3)
	v_mfma_f32_16x16x16_bf16 a[0:3], v[10:11], v[2:3], 0
	ds_read2st64_b64 v[6:9], v25 offset0:36 offset1:40
	s_lshl_b64 s[0:1], s[24:25], 8
	s_add_u32 s4, s4, s0
	v_mfma_f32_16x16x16_bf16 a[4:7], v[10:11], v[4:5], 0
	ds_read2_b64 v[2:5], v12 offset0:32 offset1:48
	s_addc_u32 s5, s5, s1
	s_add_i32 s1, s43, s33
	s_waitcnt lgkmcnt(0)
	v_mfma_f32_16x16x16_bf16 a[8:11], v[10:11], v[2:3], 0
	v_or_b32_e32 v2, 64, v14
	v_lshlrev_b32_e32 v30, 1, v2
	s_add_i32 s0, s31, -1
	v_mfma_f32_16x16x16_bf16 a[12:15], v[10:11], v[4:5], 0
	ds_read2st64_b64 v[2:5], v30 offset0:36 offset1:40
	s_add_i32 s37, s1, s42
	s_add_i32 s1, s45, s44
	v_mfma_f32_16x16x16_bf16 a[0:3], v[20:21], v[6:7], a[0:3]
	v_or_b32_e32 v6, 0x80, v14
	v_lshlrev_b32_e32 v31, 1, v6
	ds_read2st64_b64 v[10:13], v31 offset0:36 offset1:40
	s_waitcnt lgkmcnt(1)
	v_mfma_f32_16x16x16_bf16 a[4:7], v[20:21], v[2:3], a[4:7]
	v_or_b32_e32 v2, 0xc0, v14
	v_lshlrev_b32_e32 v32, 1, v2
	ds_read2st64_b64 v[14:17], v32 offset0:36 offset1:40
	s_add_i32 s35, s1, s46
	s_ashr_i32 s1, s0, 31
	s_mul_i32 s2, s0, s29
	s_mul_hi_u32 s3, s0, s28
	s_add_i32 s2, s3, s2
	s_mul_i32 s1, s1, s28
	s_waitcnt lgkmcnt(1)
	v_mfma_f32_16x16x16_bf16 a[8:11], v[20:21], v[10:11], a[8:11]
	s_add_i32 s1, s2, s1
	s_lshl_b64 s[2:3], s[36:37], 2
	s_add_u32 s10, s10, s2
	s_waitcnt lgkmcnt(0)
	v_mfma_f32_16x16x16_bf16 a[12:15], v[20:21], v[14:15], a[12:15]
	s_addc_u32 s11, s11, s3
	s_lshl_b64 s[2:3], s[34:35], 2
	s_mul_i32 s0, s0, s28
	v_mfma_f32_16x16x16_bf16 a[0:3], v[36:37], v[8:9], a[0:3]
	ds_read_b64 v[2:3], v25 offset:22528
	s_add_u32 s10, s10, s2
	s_addc_u32 s11, s11, s3
	v_mfma_f32_16x16x16_bf16 a[4:7], v[36:37], v[4:5], a[4:7]
	ds_read_b64 v[4:5], v30 offset:22528
	ds_read_b64 v[6:7], v31 offset:22528
	;; [unrolled: 1-line block ×3, first 2 shown]
	s_lshl_b64 s[0:1], s[0:1], 2
	s_add_u32 s0, s10, s0
	v_mfma_f32_16x16x16_bf16 a[8:11], v[36:37], v[12:13], a[8:11]
	s_addc_u32 s1, s11, s1
	s_load_dword s12, s[0:1], 0x0
	s_and_b64 vcc, exec, s[22:23]
	v_mfma_f32_16x16x16_bf16 a[12:15], v[36:37], v[16:17], a[12:15]
	s_waitcnt lgkmcnt(0)
	v_mfma_f32_16x16x16_bf16 a[0:3], v[38:39], v[2:3], a[0:3]
	v_mfma_f32_16x16x16_bf16 a[4:7], v[38:39], v[4:5], a[4:7]
	;; [unrolled: 1-line block ×4, first 2 shown]
	s_cbranch_vccz .LBB148_42
; %bb.32:
	v_lshlrev_b32_e32 v20, 1, v24
	s_and_b64 vcc, exec, s[6:7]
	s_cbranch_vccz .LBB148_43
; %bb.33:
	v_cmp_gt_i32_e32 vcc, s27, v20
	v_mov_b32_e32 v6, 0
	v_mov_b32_e32 v2, 0
	;; [unrolled: 1-line block ×5, first 2 shown]
	s_and_saveexec_b64 s[0:1], vcc
	s_cbranch_execz .LBB148_35
; %bb.34:
	v_mad_i64_i32 v[2:3], s[2:3], s15, v20, 0
	v_lshl_add_u64 v[2:3], v[2:3], 1, s[4:5]
	v_lshlrev_b32_e32 v4, 1, v18
	v_mov_b32_e32 v5, 0
	v_lshl_add_u64 v[2:3], v[2:3], 0, v[4:5]
	global_load_dwordx4 v[2:5], v[2:3], off
.LBB148_35:
	s_or_b64 exec, exec, s[0:1]
	v_or_b32_e32 v21, 1, v20
	v_cmp_gt_i32_e64 s[0:1], s27, v21
	v_mov_b32_e32 v7, 0
	v_mov_b32_e32 v8, 0
	;; [unrolled: 1-line block ×3, first 2 shown]
	s_and_saveexec_b64 s[2:3], s[0:1]
	s_cbranch_execz .LBB148_37
; %bb.36:
	v_mad_i64_i32 v[6:7], s[16:17], s15, v21, 0
	v_lshl_add_u64 v[6:7], v[6:7], 1, s[4:5]
	v_lshlrev_b32_e32 v8, 1, v18
	v_mov_b32_e32 v9, 0
	v_lshl_add_u64 v[6:7], v[6:7], 0, v[8:9]
	global_load_dwordx4 v[6:9], v[6:7], off
.LBB148_37:
	s_or_b64 exec, exec, s[2:3]
	v_mov_b32_e32 v17, 0
	v_mov_b32_e32 v10, 0
	;; [unrolled: 1-line block ×5, first 2 shown]
	s_and_saveexec_b64 s[2:3], vcc
	s_cbranch_execz .LBB148_39
; %bb.38:
	v_mad_i64_i32 v[10:11], s[16:17], s15, v20, 0
	v_lshl_add_u64 v[10:11], v[10:11], 1, s[4:5]
	v_lshlrev_b32_e32 v12, 1, v18
	v_mov_b32_e32 v13, 0
	v_lshl_add_u64 v[10:11], v[10:11], 0, v[12:13]
	global_load_dwordx4 v[10:13], v[10:11], off offset:128
.LBB148_39:
	s_or_b64 exec, exec, s[2:3]
	v_mov_b32_e32 v16, 0
	v_mov_b32_e32 v15, 0
	;; [unrolled: 1-line block ×3, first 2 shown]
	s_and_saveexec_b64 s[2:3], s[0:1]
	s_cbranch_execz .LBB148_41
; %bb.40:
	v_mad_i64_i32 v[14:15], s[0:1], s15, v21, 0
	v_lshl_add_u64 v[14:15], v[14:15], 1, s[4:5]
	v_lshlrev_b32_e32 v16, 1, v18
	v_mov_b32_e32 v17, 0
	v_lshl_add_u64 v[14:15], v[14:15], 0, v[16:17]
	global_load_dwordx4 v[14:17], v[14:15], off offset:128
.LBB148_41:
	s_or_b64 exec, exec, s[2:3]
	s_branch .LBB148_45
.LBB148_42:
                                        ; implicit-def: $vgpr5
                                        ; implicit-def: $vgpr9
                                        ; implicit-def: $vgpr13
                                        ; implicit-def: $vgpr17
	v_lshrrev_b32_e32 v33, 2, v77
	s_branch .LBB148_46
.LBB148_43:
                                        ; implicit-def: $vgpr5
                                        ; implicit-def: $vgpr9
                                        ; implicit-def: $vgpr13
                                        ; implicit-def: $vgpr17
	s_cbranch_execz .LBB148_45
; %bb.44:
	s_waitcnt vmcnt(0)
	v_mad_u64_u32 v[2:3], s[0:1], v20, s15, v[18:19]
	v_lshlrev_b32_e32 v20, 1, v2
	s_lshl_b32 s2, s15, 7
	s_and_b32 s1, s5, 0xffff
	s_mov_b32 s3, 0x20000
	s_mov_b32 s0, s4
	v_add_lshl_u32 v21, v2, s15, 1
	s_movk_i32 s13, 0x80
	buffer_load_dwordx4 v[2:5], v20, s[0:3], 0 offen
	buffer_load_dwordx4 v[10:13], v20, s[0:3], s13 offen
	;; [unrolled: 1-line block ×4, first 2 shown]
.LBB148_45:
	v_lshrrev_b32_e32 v33, 2, v77
	s_cbranch_execnz .LBB148_58
.LBB148_46:
	s_and_b64 vcc, exec, s[6:7]
	s_cbranch_vccz .LBB148_56
; %bb.47:
	s_waitcnt vmcnt(0)
	v_lshlrev_b32_e32 v7, 1, v24
	v_cmp_gt_i32_e32 vcc, s27, v7
	v_mov_b32_e32 v6, 0
	v_lshlrev_b32_e32 v14, 9, v24
	v_mov_b32_e32 v2, 0
	v_mov_b32_e32 v3, 0
	;; [unrolled: 1-line block ×4, first 2 shown]
	s_and_saveexec_b64 s[0:1], vcc
	s_cbranch_execz .LBB148_49
; %bb.48:
	v_mov_b32_e32 v15, 0
	v_lshl_add_u64 v[2:3], s[4:5], 0, v[14:15]
	v_lshlrev_b32_e32 v4, 1, v18
	v_mov_b32_e32 v5, v15
	v_lshl_add_u64 v[2:3], v[2:3], 0, v[4:5]
	global_load_dwordx4 v[2:5], v[2:3], off
.LBB148_49:
	s_or_b64 exec, exec, s[0:1]
	v_or_b32_e32 v7, 1, v7
	v_cmp_gt_i32_e64 s[0:1], s27, v7
	v_lshlrev_b32_e32 v20, 8, v7
	v_mov_b32_e32 v7, 0
	v_mov_b32_e32 v8, 0
	;; [unrolled: 1-line block ×3, first 2 shown]
	s_and_saveexec_b64 s[2:3], s[0:1]
	s_cbranch_execz .LBB148_51
; %bb.50:
	v_mov_b32_e32 v21, 0
	v_lshl_add_u64 v[6:7], s[4:5], 0, v[20:21]
	v_lshlrev_b32_e32 v8, 1, v18
	v_mov_b32_e32 v9, v21
	v_lshl_add_u64 v[6:7], v[6:7], 0, v[8:9]
	global_load_dwordx4 v[6:9], v[6:7], off
.LBB148_51:
	s_or_b64 exec, exec, s[2:3]
	v_mov_b32_e32 v17, 0
	v_mov_b32_e32 v10, 0
	;; [unrolled: 1-line block ×5, first 2 shown]
	s_and_saveexec_b64 s[2:3], vcc
	s_cbranch_execz .LBB148_53
; %bb.52:
	v_mov_b32_e32 v15, 0
	v_lshl_add_u64 v[10:11], s[4:5], 0, v[14:15]
	v_lshlrev_b32_e32 v14, 1, v18
	v_lshl_add_u64 v[10:11], v[10:11], 0, v[14:15]
	global_load_dwordx4 v[10:13], v[10:11], off offset:128
.LBB148_53:
	s_or_b64 exec, exec, s[2:3]
	v_mov_b32_e32 v16, 0
	v_mov_b32_e32 v15, 0
	;; [unrolled: 1-line block ×3, first 2 shown]
	s_and_saveexec_b64 s[2:3], s[0:1]
	s_cbranch_execz .LBB148_55
; %bb.54:
	v_mov_b32_e32 v21, 0
	v_lshl_add_u64 v[14:15], s[4:5], 0, v[20:21]
	v_lshlrev_b32_e32 v20, 1, v18
	v_lshl_add_u64 v[14:15], v[14:15], 0, v[20:21]
	global_load_dwordx4 v[14:17], v[14:15], off offset:128
.LBB148_55:
	s_or_b64 exec, exec, s[2:3]
	s_branch .LBB148_58
.LBB148_56:
                                        ; implicit-def: $vgpr5
                                        ; implicit-def: $vgpr9
                                        ; implicit-def: $vgpr13
                                        ; implicit-def: $vgpr17
	s_cbranch_execz .LBB148_58
; %bb.57:
	s_waitcnt vmcnt(0)
	v_lshlrev_b32_e32 v2, 1, v18
	v_lshl_or_b32 v18, v24, 9, v2
	s_and_b32 s5, s5, 0xffff
	s_mov_b32 s7, 0x20000
	s_movk_i32 s6, 0x4000
	s_movk_i32 s0, 0x80
	buffer_load_dwordx4 v[2:5], v18, s[4:7], 0 offen
	buffer_load_dwordx4 v[6:9], v18, s[4:7], 0 offen offset:256
	buffer_load_dwordx4 v[10:13], v18, s[4:7], s0 offen
	buffer_load_dwordx4 v[14:17], v18, s[4:7], s0 offen offset:256
.LBB148_58:
	ds_read_b64 v[20:21], v26 offset:57344
	v_add_u32_e32 v18, 0x6000, v25
	ds_read2_b64 v[36:39], v18 offset1:16
	ds_read_b64 v[48:49], v27 offset:57344
	ds_read_b64 v[50:51], v28 offset:57344
	;; [unrolled: 1-line block ×3, first 2 shown]
	ds_read2_b64 v[26:29], v18 offset0:32 offset1:48
	v_and_b32_e32 v18, 6, v0
	v_xor_b32_e32 v24, v24, v18
	v_lshlrev_b32_e32 v24, 2, v24
	v_and_b32_e32 v0, 1, v0
	v_cmp_eq_u32_e32 vcc, 0, v0
	s_waitcnt lgkmcnt(4)
	v_mfma_f32_16x16x16_bf16 a[0:3], v[20:21], v[36:37], a[0:3]
	s_mov_b32 s0, 0x1000504
	s_mov_b32 s1, 0x3020706
	v_mfma_f32_16x16x16_bf16 a[4:7], v[20:21], v[38:39], a[4:7]
	ds_read2st64_b64 v[36:39], v25 offset0:52 offset1:56
	s_waitcnt lgkmcnt(1)
	v_mfma_f32_16x16x16_bf16 a[8:11], v[20:21], v[26:27], a[8:11]
	v_mfma_f32_16x16x16_bf16 a[12:15], v[20:21], v[28:29], a[12:15]
	ds_read2st64_b64 v[26:29], v30 offset0:52 offset1:56
	ds_read2st64_b64 v[40:43], v31 offset0:52 offset1:56
	;; [unrolled: 1-line block ×3, first 2 shown]
	s_waitcnt lgkmcnt(3)
	v_mfma_f32_16x16x16_bf16 a[0:3], v[48:49], v[36:37], a[0:3]
	ds_read_b64 v[20:21], v25 offset:30720
	ds_read_b64 v[36:37], v30 offset:30720
	ds_read_b64 v[30:31], v31 offset:30720
	ds_read_b64 v[54:55], v32 offset:30720
	v_xor_b32_e32 v25, 0x440, v24
	v_cndmask_b32_e32 v0, v25, v24, vcc
	s_waitcnt lgkmcnt(6)
	v_mfma_f32_16x16x16_bf16 a[4:7], v[48:49], v[26:27], a[4:7]
	v_lshl_or_b32 v0, v18, 10, v0
	s_waitcnt vmcnt(0)
	v_perm_b32 v18, v2, v6, s0
	v_perm_b32 v24, v10, v14, s0
	s_waitcnt lgkmcnt(5)
	v_mfma_f32_16x16x16_bf16 a[8:11], v[48:49], v[40:41], a[8:11]
	ds_write2st64_b32 v0, v18, v24 offset0:128 offset1:160
	v_xor_b32_e32 v18, 8, v0
	v_perm_b32 v2, v2, v6, s1
	s_waitcnt lgkmcnt(5)
	v_mfma_f32_16x16x16_bf16 a[12:15], v[48:49], v[44:45], a[12:15]
	v_perm_b32 v6, v10, v14, s1
	v_add_u32_e32 v10, 0x80, v18
	ds_write2st64_b32 v10, v2, v6 offset0:128 offset1:160
	v_mfma_f32_16x16x16_bf16 a[0:3], v[50:51], v[38:39], a[0:3]
	v_xor_b32_e32 v2, 16, v0
	v_perm_b32 v6, v3, v7, s0
	v_perm_b32 v10, v11, v15, s0
	v_mfma_f32_16x16x16_bf16 a[4:7], v[50:51], v[28:29], a[4:7]
	ds_write2st64_b32 v2, v6, v10 offset0:129 offset1:161
	v_xor_b32_e32 v2, 24, v0
	v_perm_b32 v3, v3, v7, s1
	v_mfma_f32_16x16x16_bf16 a[16:19], v[50:51], v[42:43], a[8:11]
	v_perm_b32 v6, v11, v15, s1
	v_add_u32_e32 v2, 0x80, v2
	ds_write2st64_b32 v2, v3, v6 offset0:129 offset1:161
	v_mfma_f32_16x16x16_bf16 a[20:23], v[50:51], v[46:47], a[12:15]
	v_xor_b32_e32 v2, 32, v0
	v_perm_b32 v3, v4, v8, s0
	v_perm_b32 v6, v12, v16, s0
	s_waitcnt lgkmcnt(7)
	v_mfma_f32_16x16x16_bf16 a[12:15], v[52:53], v[20:21], a[0:3]
	ds_write2st64_b32 v2, v3, v6 offset0:130 offset1:162
	v_xor_b32_e32 v2, 40, v0
	v_perm_b32 v3, v4, v8, s1
	s_waitcnt lgkmcnt(7)
	v_mfma_f32_16x16x16_bf16 a[8:11], v[52:53], v[36:37], a[4:7]
	v_perm_b32 v4, v12, v16, s1
	v_add_u32_e32 v2, 0x80, v2
	ds_write2st64_b32 v2, v3, v4 offset0:130 offset1:162
	s_waitcnt lgkmcnt(7)
	v_mfma_f32_16x16x16_bf16 a[4:7], v[52:53], v[30:31], a[16:19]
	v_xor_b32_e32 v2, 48, v0
	v_perm_b32 v3, v5, v9, s0
	v_perm_b32 v4, v13, v17, s0
	s_waitcnt lgkmcnt(6)
	v_mfma_f32_16x16x16_bf16 a[0:3], v[52:53], v[54:55], a[20:23]
	v_xor_b32_e32 v0, 56, v0
	v_and_or_b32 v18, v33, 12, v1
	ds_write2st64_b32 v2, v3, v4 offset0:131 offset1:163
	v_perm_b32 v2, v5, v9, s1
	v_perm_b32 v3, v13, v17, s1
	v_add_u32_e32 v0, 0x80, v0
	v_cmp_gt_i32_e32 vcc, s27, v18
	v_mov_b32_e32 v14, 0
	v_mov_b32_e32 v16, 0
	ds_write2st64_b32 v0, v2, v3 offset0:131 offset1:163
	s_and_saveexec_b64 s[0:1], vcc
	s_cbranch_execz .LBB148_60
; %bb.59:
	v_add_u32_e32 v0, s26, v18
	v_ashrrev_i32_e32 v1, 31, v0
	v_mul_lo_u32 v2, v1, s28
	v_mul_lo_u32 v3, v0, s29
	v_mad_u64_u32 v[0:1], s[2:3], v0, s28, 0
	v_add3_u32 v1, v1, v3, v2
	v_lshl_add_u64 v[0:1], v[0:1], 2, s[10:11]
	global_load_dword v0, v[0:1], off
	s_waitcnt vmcnt(0)
	v_sub_f32_e32 v0, s12, v0
	v_exp_f32_e32 v16, v0
.LBB148_60:
	s_or_b64 exec, exec, s[0:1]
	v_or_b32_e32 v8, 1, v18
	v_cmp_gt_i32_e64 s[0:1], s27, v8
	s_and_saveexec_b64 s[2:3], s[0:1]
	s_cbranch_execz .LBB148_62
; %bb.61:
	v_add_u32_e32 v0, s26, v8
	v_ashrrev_i32_e32 v1, 31, v0
	v_mul_lo_u32 v2, v1, s28
	v_mul_lo_u32 v3, v0, s29
	v_mad_u64_u32 v[0:1], s[4:5], v0, s28, 0
	v_add3_u32 v1, v1, v3, v2
	v_lshl_add_u64 v[0:1], v[0:1], 2, s[10:11]
	global_load_dword v0, v[0:1], off
	s_waitcnt vmcnt(0)
	v_sub_f32_e32 v0, s12, v0
	v_exp_f32_e32 v14, v0
.LBB148_62:
	s_or_b64 exec, exec, s[2:3]
	v_or_b32_e32 v10, 2, v18
	v_cmp_gt_i32_e64 s[2:3], s27, v10
	v_mov_b32_e32 v15, 0
	v_mov_b32_e32 v17, 0
	s_and_saveexec_b64 s[4:5], s[2:3]
	s_cbranch_execz .LBB148_64
; %bb.63:
	v_add_u32_e32 v0, s26, v10
	v_ashrrev_i32_e32 v1, 31, v0
	v_mul_lo_u32 v2, v1, s28
	v_mul_lo_u32 v3, v0, s29
	v_mad_u64_u32 v[0:1], s[6:7], v0, s28, 0
	v_add3_u32 v1, v1, v3, v2
	v_lshl_add_u64 v[0:1], v[0:1], 2, s[10:11]
	global_load_dword v0, v[0:1], off
	s_waitcnt vmcnt(0)
	v_sub_f32_e32 v0, s12, v0
	v_exp_f32_e32 v17, v0
.LBB148_64:
	s_or_b64 exec, exec, s[4:5]
	v_or_b32_e32 v12, 3, v18
	v_cmp_gt_i32_e64 s[4:5], s27, v12
	s_and_saveexec_b64 s[6:7], s[4:5]
	s_cbranch_execz .LBB148_66
; %bb.65:
	v_add_u32_e32 v0, s26, v12
	v_ashrrev_i32_e32 v1, 31, v0
	v_mul_lo_u32 v2, v1, s28
	v_mul_lo_u32 v3, v0, s29
	v_mad_u64_u32 v[0:1], s[14:15], v0, s28, 0
	v_add3_u32 v1, v1, v3, v2
	v_lshl_add_u64 v[0:1], v[0:1], 2, s[10:11]
	global_load_dword v0, v[0:1], off
	s_waitcnt vmcnt(0)
	v_sub_f32_e32 v0, s12, v0
	v_exp_f32_e32 v15, v0
.LBB148_66:
	s_or_b64 exec, exec, s[6:7]
	s_add_u32 s6, s8, s20
	v_accvgpr_read_b32 v0, a12
	s_addc_u32 s7, s9, s21
	v_ashrrev_i32_e32 v79, 31, v78
	v_accvgpr_read_b32 v1, a13
	v_accvgpr_read_b32 v2, a14
	;; [unrolled: 1-line block ×3, first 2 shown]
	v_lshl_add_u64 v[4:5], v[78:79], 1, s[6:7]
	v_mov_b32_e32 v9, 0
	v_lshlrev_b32_e32 v6, 8, v18
	v_mov_b32_e32 v7, 0
	s_and_saveexec_b64 s[6:7], vcc
	s_cbranch_execz .LBB148_68
; %bb.67:
	v_mov_b32_e32 v7, 0
	v_lshl_add_u64 v[20:21], v[4:5], 0, v[6:7]
	global_load_ushort v7, v[20:21], off
	s_waitcnt vmcnt(0)
	v_lshlrev_b32_e32 v7, 16, v7
	v_sub_f32_e32 v0, v7, v0
	v_mul_f32_e32 v0, v16, v0
	v_lshrrev_b32_e32 v7, 16, v0
.LBB148_68:
	s_or_b64 exec, exec, s[6:7]
	v_lshlrev_b32_e32 v8, 8, v8
	s_and_saveexec_b64 s[6:7], s[0:1]
	s_cbranch_execz .LBB148_70
; %bb.69:
	v_mov_b32_e32 v9, 0
	v_lshl_add_u64 v[20:21], v[4:5], 0, v[8:9]
	global_load_ushort v0, v[20:21], off
	s_waitcnt vmcnt(0)
	v_lshlrev_b32_e32 v0, 16, v0
	v_sub_f32_e32 v0, v0, v1
	v_mul_f32_e32 v0, v14, v0
	v_lshrrev_b32_e32 v9, 16, v0
.LBB148_70:
	s_or_b64 exec, exec, s[6:7]
	v_mov_b32_e32 v13, 0
	v_lshlrev_b32_e32 v10, 8, v10
	v_mov_b32_e32 v11, 0
	s_and_saveexec_b64 s[6:7], s[2:3]
	s_cbranch_execz .LBB148_72
; %bb.71:
	v_mov_b32_e32 v11, 0
	v_lshl_add_u64 v[0:1], v[4:5], 0, v[10:11]
	global_load_ushort v0, v[0:1], off
	s_waitcnt vmcnt(0)
	v_lshlrev_b32_e32 v0, 16, v0
	v_sub_f32_e32 v0, v0, v2
	v_mul_f32_e32 v0, v17, v0
	v_lshrrev_b32_e32 v11, 16, v0
.LBB148_72:
	s_or_b64 exec, exec, s[6:7]
	v_lshlrev_b32_e32 v12, 8, v12
	s_and_saveexec_b64 s[6:7], s[4:5]
	s_cbranch_execz .LBB148_74
; %bb.73:
	v_mov_b32_e32 v13, 0
	v_lshl_add_u64 v[0:1], v[4:5], 0, v[12:13]
	global_load_ushort v0, v[0:1], off
	s_waitcnt vmcnt(0)
	v_lshlrev_b32_e32 v0, 16, v0
	v_sub_f32_e32 v0, v0, v3
	v_mul_f32_e32 v0, v15, v0
	v_lshrrev_b32_e32 v13, 16, v0
.LBB148_74:
	s_or_b64 exec, exec, s[6:7]
	v_lshlrev_b32_e32 v18, 6, v18
	s_mov_b32 s6, 0x5040100
	v_perm_b32 v20, v9, v7, s6
	v_or_b32_e32 v7, v18, v34
	v_accvgpr_read_b32 v0, a8
	v_perm_b32 v21, v13, v11, s6
	v_lshlrev_b32_e32 v7, 1, v7
	v_accvgpr_read_b32 v1, a9
	v_accvgpr_read_b32 v2, a10
	v_accvgpr_read_b32 v3, a11
	ds_write_b64 v7, v[20:21] offset:24576
	v_mov_b32_e32 v9, 0
	v_mov_b32_e32 v7, 0
	s_and_saveexec_b64 s[6:7], vcc
	s_cbranch_execz .LBB148_76
; %bb.75:
	v_mov_b32_e32 v7, 0
	v_lshl_add_u64 v[20:21], v[4:5], 0, v[6:7]
	global_load_ushort v7, v[20:21], off offset:32
	s_waitcnt vmcnt(0)
	v_lshlrev_b32_e32 v7, 16, v7
	v_sub_f32_e32 v0, v7, v0
	v_mul_f32_e32 v0, v16, v0
	v_lshrrev_b32_e32 v7, 16, v0
.LBB148_76:
	s_or_b64 exec, exec, s[6:7]
	s_and_saveexec_b64 s[6:7], s[0:1]
	s_cbranch_execz .LBB148_78
; %bb.77:
	v_mov_b32_e32 v9, 0
	v_lshl_add_u64 v[20:21], v[4:5], 0, v[8:9]
	global_load_ushort v0, v[20:21], off offset:32
	s_waitcnt vmcnt(0)
	v_lshlrev_b32_e32 v0, 16, v0
	v_sub_f32_e32 v0, v0, v1
	v_mul_f32_e32 v0, v14, v0
	v_lshrrev_b32_e32 v9, 16, v0
.LBB148_78:
	s_or_b64 exec, exec, s[6:7]
	v_mov_b32_e32 v13, 0
	v_mov_b32_e32 v11, 0
	s_and_saveexec_b64 s[6:7], s[2:3]
	s_cbranch_execz .LBB148_80
; %bb.79:
	v_mov_b32_e32 v11, 0
	v_lshl_add_u64 v[0:1], v[4:5], 0, v[10:11]
	global_load_ushort v0, v[0:1], off offset:32
	s_waitcnt vmcnt(0)
	v_lshlrev_b32_e32 v0, 16, v0
	v_sub_f32_e32 v0, v0, v2
	v_mul_f32_e32 v0, v17, v0
	v_lshrrev_b32_e32 v11, 16, v0
.LBB148_80:
	s_or_b64 exec, exec, s[6:7]
	s_and_saveexec_b64 s[6:7], s[4:5]
	s_cbranch_execz .LBB148_82
; %bb.81:
	v_mov_b32_e32 v13, 0
	v_lshl_add_u64 v[0:1], v[4:5], 0, v[12:13]
	global_load_ushort v0, v[0:1], off offset:32
	s_waitcnt vmcnt(0)
	v_lshlrev_b32_e32 v0, 16, v0
	v_sub_f32_e32 v0, v0, v3
	v_mul_f32_e32 v0, v15, v0
	v_lshrrev_b32_e32 v13, 16, v0
.LBB148_82:
	s_or_b64 exec, exec, s[6:7]
	s_mov_b32 s6, 0x5040100
	v_perm_b32 v20, v9, v7, s6
	v_or_b32_e32 v7, v18, v23
	v_accvgpr_read_b32 v0, a4
	v_perm_b32 v21, v13, v11, s6
	v_lshlrev_b32_e32 v7, 1, v7
	v_accvgpr_read_b32 v1, a5
	v_accvgpr_read_b32 v2, a6
	;; [unrolled: 1-line block ×3, first 2 shown]
	ds_write_b64 v7, v[20:21] offset:24576
	v_mov_b32_e32 v9, 0
	v_mov_b32_e32 v7, 0
	s_and_saveexec_b64 s[6:7], vcc
	s_cbranch_execz .LBB148_84
; %bb.83:
	v_mov_b32_e32 v7, 0
	v_lshl_add_u64 v[20:21], v[4:5], 0, v[6:7]
	global_load_ushort v7, v[20:21], off offset:64
	s_waitcnt vmcnt(0)
	v_lshlrev_b32_e32 v7, 16, v7
	v_sub_f32_e32 v0, v7, v0
	v_mul_f32_e32 v0, v16, v0
	v_lshrrev_b32_e32 v7, 16, v0
.LBB148_84:
	s_or_b64 exec, exec, s[6:7]
	s_and_saveexec_b64 s[6:7], s[0:1]
	s_cbranch_execz .LBB148_86
; %bb.85:
	v_mov_b32_e32 v9, 0
	v_lshl_add_u64 v[20:21], v[4:5], 0, v[8:9]
	global_load_ushort v0, v[20:21], off offset:64
	s_waitcnt vmcnt(0)
	v_lshlrev_b32_e32 v0, 16, v0
	v_sub_f32_e32 v0, v0, v1
	v_mul_f32_e32 v0, v14, v0
	v_lshrrev_b32_e32 v9, 16, v0
.LBB148_86:
	s_or_b64 exec, exec, s[6:7]
	v_mov_b32_e32 v13, 0
	v_mov_b32_e32 v11, 0
	s_and_saveexec_b64 s[6:7], s[2:3]
	s_cbranch_execz .LBB148_88
; %bb.87:
	v_mov_b32_e32 v11, 0
	v_lshl_add_u64 v[0:1], v[4:5], 0, v[10:11]
	global_load_ushort v0, v[0:1], off offset:64
	s_waitcnt vmcnt(0)
	v_lshlrev_b32_e32 v0, 16, v0
	v_sub_f32_e32 v0, v0, v2
	v_mul_f32_e32 v0, v17, v0
	v_lshrrev_b32_e32 v11, 16, v0
.LBB148_88:
	s_or_b64 exec, exec, s[6:7]
	s_and_saveexec_b64 s[6:7], s[4:5]
	s_cbranch_execz .LBB148_90
; %bb.89:
	v_mov_b32_e32 v13, 0
	v_lshl_add_u64 v[0:1], v[4:5], 0, v[12:13]
	global_load_ushort v0, v[0:1], off offset:64
	s_waitcnt vmcnt(0)
	v_lshlrev_b32_e32 v0, 16, v0
	v_sub_f32_e32 v0, v0, v3
	v_mul_f32_e32 v0, v15, v0
	v_lshrrev_b32_e32 v13, 16, v0
.LBB148_90:
	s_or_b64 exec, exec, s[6:7]
	s_mov_b32 s6, 0x5040100
	v_perm_b32 v20, v9, v7, s6
	v_or_b32_e32 v7, v18, v22
	v_accvgpr_read_b32 v0, a0
	v_perm_b32 v21, v13, v11, s6
	v_lshlrev_b32_e32 v7, 1, v7
	v_accvgpr_read_b32 v1, a1
	v_accvgpr_read_b32 v2, a2
	;; [unrolled: 1-line block ×3, first 2 shown]
	ds_write_b64 v7, v[20:21] offset:24576
	v_mov_b32_e32 v9, 0
	v_mov_b32_e32 v7, 0
	s_and_saveexec_b64 s[6:7], vcc
	s_cbranch_execz .LBB148_92
; %bb.91:
	v_mov_b32_e32 v7, 0
	v_lshl_add_u64 v[6:7], v[4:5], 0, v[6:7]
	global_load_ushort v6, v[6:7], off offset:96
	s_waitcnt vmcnt(0)
	v_lshlrev_b32_e32 v6, 16, v6
	v_sub_f32_e32 v0, v6, v0
	v_mul_f32_e32 v0, v16, v0
	v_lshrrev_b32_e32 v7, 16, v0
.LBB148_92:
	s_or_b64 exec, exec, s[6:7]
	s_and_saveexec_b64 s[6:7], s[0:1]
	s_cbranch_execz .LBB148_94
; %bb.93:
	v_mov_b32_e32 v9, 0
	v_lshl_add_u64 v[8:9], v[4:5], 0, v[8:9]
	global_load_ushort v0, v[8:9], off offset:96
	s_waitcnt vmcnt(0)
	v_lshlrev_b32_e32 v0, 16, v0
	v_sub_f32_e32 v0, v0, v1
	v_mul_f32_e32 v0, v14, v0
	v_lshrrev_b32_e32 v9, 16, v0
.LBB148_94:
	s_or_b64 exec, exec, s[6:7]
	v_mov_b32_e32 v0, 0
	v_mov_b32_e32 v1, 0
	s_and_saveexec_b64 s[0:1], s[2:3]
	s_cbranch_execz .LBB148_96
; %bb.95:
	v_mov_b32_e32 v11, 0
	v_lshl_add_u64 v[10:11], v[4:5], 0, v[10:11]
	global_load_ushort v1, v[10:11], off offset:96
	s_waitcnt vmcnt(0)
	v_lshlrev_b32_e32 v1, 16, v1
	v_sub_f32_e32 v1, v1, v2
	v_mul_f32_e32 v1, v17, v1
	v_lshrrev_b32_e32 v1, 16, v1
.LBB148_96:
	s_or_b64 exec, exec, s[0:1]
	s_and_saveexec_b64 s[0:1], s[4:5]
	s_cbranch_execz .LBB148_98
; %bb.97:
	v_mov_b32_e32 v13, 0
	v_lshl_add_u64 v[4:5], v[4:5], 0, v[12:13]
	global_load_ushort v0, v[4:5], off offset:96
	s_waitcnt vmcnt(0)
	v_lshlrev_b32_e32 v0, 16, v0
	v_sub_f32_e32 v0, v0, v3
	v_mul_f32_e32 v0, v15, v0
	v_lshrrev_b32_e32 v0, 16, v0
.LBB148_98:
	s_or_b64 exec, exec, s[0:1]
	s_mov_b32 s0, 0x5040100
	v_or_b32_e32 v2, v18, v19
	v_perm_b32 v1, v0, v1, s0
	v_perm_b32 v0, v9, v7, s0
	v_lshlrev_b32_e32 v2, 1, v2
	ds_write_b64 v2, v[0:1] offset:24576
	s_waitcnt lgkmcnt(0)
	s_barrier
.LBB148_99:
	s_endpgm
	.section	.rodata,"a",@progbits
	.p2align	6, 0x0
	.amdhsa_kernel _ZN12_GLOBAL__N_139chunk_gated_delta_rule_fwd_h_hip_kernelILi64ELb1ELb0ELb0ELb1ELb1ELb1ELb0ELb0EEEvPK12hip_bfloat16S3_S3_PKfS5_PKvPS1_S8_PvPKiSB_iiiiilll
		.amdhsa_group_segment_fixed_size 65536
		.amdhsa_private_segment_fixed_size 0
		.amdhsa_kernarg_size 136
		.amdhsa_user_sgpr_count 2
		.amdhsa_user_sgpr_dispatch_ptr 0
		.amdhsa_user_sgpr_queue_ptr 0
		.amdhsa_user_sgpr_kernarg_segment_ptr 1
		.amdhsa_user_sgpr_dispatch_id 0
		.amdhsa_user_sgpr_kernarg_preload_length 0
		.amdhsa_user_sgpr_kernarg_preload_offset 0
		.amdhsa_user_sgpr_private_segment_size 0
		.amdhsa_uses_dynamic_stack 0
		.amdhsa_enable_private_segment 0
		.amdhsa_system_sgpr_workgroup_id_x 1
		.amdhsa_system_sgpr_workgroup_id_y 1
		.amdhsa_system_sgpr_workgroup_id_z 0
		.amdhsa_system_sgpr_workgroup_info 0
		.amdhsa_system_vgpr_workitem_id 0
		.amdhsa_next_free_vgpr 228
		.amdhsa_next_free_sgpr 63
		.amdhsa_accum_offset 188
		.amdhsa_reserve_vcc 1
		.amdhsa_float_round_mode_32 0
		.amdhsa_float_round_mode_16_64 0
		.amdhsa_float_denorm_mode_32 3
		.amdhsa_float_denorm_mode_16_64 3
		.amdhsa_dx10_clamp 1
		.amdhsa_ieee_mode 1
		.amdhsa_fp16_overflow 0
		.amdhsa_tg_split 0
		.amdhsa_exception_fp_ieee_invalid_op 0
		.amdhsa_exception_fp_denorm_src 0
		.amdhsa_exception_fp_ieee_div_zero 0
		.amdhsa_exception_fp_ieee_overflow 0
		.amdhsa_exception_fp_ieee_underflow 0
		.amdhsa_exception_fp_ieee_inexact 0
		.amdhsa_exception_int_div_zero 0
	.end_amdhsa_kernel
	.section	.text._ZN12_GLOBAL__N_139chunk_gated_delta_rule_fwd_h_hip_kernelILi64ELb1ELb0ELb0ELb1ELb1ELb1ELb0ELb0EEEvPK12hip_bfloat16S3_S3_PKfS5_PKvPS1_S8_PvPKiSB_iiiiilll,"axG",@progbits,_ZN12_GLOBAL__N_139chunk_gated_delta_rule_fwd_h_hip_kernelILi64ELb1ELb0ELb0ELb1ELb1ELb1ELb0ELb0EEEvPK12hip_bfloat16S3_S3_PKfS5_PKvPS1_S8_PvPKiSB_iiiiilll,comdat
.Lfunc_end148:
	.size	_ZN12_GLOBAL__N_139chunk_gated_delta_rule_fwd_h_hip_kernelILi64ELb1ELb0ELb0ELb1ELb1ELb1ELb0ELb0EEEvPK12hip_bfloat16S3_S3_PKfS5_PKvPS1_S8_PvPKiSB_iiiiilll, .Lfunc_end148-_ZN12_GLOBAL__N_139chunk_gated_delta_rule_fwd_h_hip_kernelILi64ELb1ELb0ELb0ELb1ELb1ELb1ELb0ELb0EEEvPK12hip_bfloat16S3_S3_PKfS5_PKvPS1_S8_PvPKiSB_iiiiilll
                                        ; -- End function
	.section	.AMDGPU.csdata,"",@progbits
; Kernel info:
; codeLenInByte = 10832
; NumSgprs: 69
; NumVgprs: 188
; NumAgprs: 40
; TotalNumVgprs: 228
; ScratchSize: 0
; MemoryBound: 0
; FloatMode: 240
; IeeeMode: 1
; LDSByteSize: 65536 bytes/workgroup (compile time only)
; SGPRBlocks: 8
; VGPRBlocks: 28
; NumSGPRsForWavesPerEU: 69
; NumVGPRsForWavesPerEU: 228
; AccumOffset: 188
; Occupancy: 1
; WaveLimiterHint : 1
; COMPUTE_PGM_RSRC2:SCRATCH_EN: 0
; COMPUTE_PGM_RSRC2:USER_SGPR: 2
; COMPUTE_PGM_RSRC2:TRAP_HANDLER: 0
; COMPUTE_PGM_RSRC2:TGID_X_EN: 1
; COMPUTE_PGM_RSRC2:TGID_Y_EN: 1
; COMPUTE_PGM_RSRC2:TGID_Z_EN: 0
; COMPUTE_PGM_RSRC2:TIDIG_COMP_CNT: 0
; COMPUTE_PGM_RSRC3_GFX90A:ACCUM_OFFSET: 46
; COMPUTE_PGM_RSRC3_GFX90A:TG_SPLIT: 0
	.section	.text._ZN12_GLOBAL__N_139chunk_gated_delta_rule_fwd_h_hip_kernelILi64ELb0ELb1ELb1ELb1ELb1ELb1ELb0ELb0EEEvPK12hip_bfloat16S3_S3_PKfS5_PKvPS1_S8_PvPKiSB_iiiiilll,"axG",@progbits,_ZN12_GLOBAL__N_139chunk_gated_delta_rule_fwd_h_hip_kernelILi64ELb0ELb1ELb1ELb1ELb1ELb1ELb0ELb0EEEvPK12hip_bfloat16S3_S3_PKfS5_PKvPS1_S8_PvPKiSB_iiiiilll,comdat
	.globl	_ZN12_GLOBAL__N_139chunk_gated_delta_rule_fwd_h_hip_kernelILi64ELb0ELb1ELb1ELb1ELb1ELb1ELb0ELb0EEEvPK12hip_bfloat16S3_S3_PKfS5_PKvPS1_S8_PvPKiSB_iiiiilll ; -- Begin function _ZN12_GLOBAL__N_139chunk_gated_delta_rule_fwd_h_hip_kernelILi64ELb0ELb1ELb1ELb1ELb1ELb1ELb0ELb0EEEvPK12hip_bfloat16S3_S3_PKfS5_PKvPS1_S8_PvPKiSB_iiiiilll
	.p2align	8
	.type	_ZN12_GLOBAL__N_139chunk_gated_delta_rule_fwd_h_hip_kernelILi64ELb0ELb1ELb1ELb1ELb1ELb1ELb0ELb0EEEvPK12hip_bfloat16S3_S3_PKfS5_PKvPS1_S8_PvPKiSB_iiiiilll,@function
_ZN12_GLOBAL__N_139chunk_gated_delta_rule_fwd_h_hip_kernelILi64ELb0ELb1ELb1ELb1ELb1ELb1ELb0ELb0EEEvPK12hip_bfloat16S3_S3_PKfS5_PKvPS1_S8_PvPKiSB_iiiiilll: ; @_ZN12_GLOBAL__N_139chunk_gated_delta_rule_fwd_h_hip_kernelILi64ELb0ELb1ELb1ELb1ELb1ELb1ELb0ELb0EEEvPK12hip_bfloat16S3_S3_PKfS5_PKvPS1_S8_PvPKiSB_iiiiilll
; %bb.0:
	s_load_dwordx4 s[20:23], s[0:1], 0x5c
	s_load_dwordx2 s[24:25], s[0:1], 0x50
	s_abs_i32 s27, s3
	s_ashr_i32 s26, s3, 31
	s_load_dwordx8 s[4:11], s[0:1], 0x30
	s_load_dwordx8 s[12:19], s[0:1], 0x0
	s_load_dwordx2 s[40:41], s[0:1], 0x20
	s_waitcnt lgkmcnt(0)
	s_abs_i32 s30, s21
	v_cvt_f32_u32_e32 v1, s30
	s_sub_i32 s28, 0, s30
	s_ashr_i32 s48, s21, 31
	s_xor_b32 s26, s26, s48
	v_rcp_iflag_f32_e32 v1, v1
	v_lshrrev_b32_e32 v77, 6, v0
	v_bfe_u32 v88, v0, 4, 2
	v_lshlrev_b32_e32 v86, 4, v77
	v_mul_f32_e32 v1, 0x4f7ffffe, v1
	v_cvt_u32_f32_e32 v1, v1
	v_lshlrev_b32_e32 v34, 2, v88
	v_and_b32_e32 v87, 63, v0
	v_mov_b32_e32 v17, 0
	v_readfirstlane_b32 s29, v1
	s_mul_i32 s28, s28, s29
	s_mul_hi_u32 s28, s29, s28
	s_add_i32 s29, s29, s28
	s_mul_hi_u32 s28, s27, s29
	s_mul_i32 s29, s28, s30
	s_sub_i32 s27, s27, s29
	s_add_i32 s29, s28, 1
	s_sub_i32 s31, s27, s30
	s_cmp_ge_u32 s27, s30
	s_cselect_b32 s28, s29, s28
	s_cselect_b32 s27, s31, s27
	s_add_i32 s29, s28, 1
	s_cmp_ge_u32 s27, s30
	s_cselect_b32 s27, s29, s28
	s_xor_b32 s27, s27, s26
	s_sub_i32 s34, s27, s26
	s_mul_i32 s26, s34, s21
	s_ashr_i32 s35, s34, 31
	s_sub_i32 s49, s3, s26
	s_lshl_b64 s[26:27], s[34:35], 2
	s_add_u32 s10, s10, s26
	s_addc_u32 s11, s11, s27
	s_add_u32 s28, s24, s26
	s_addc_u32 s29, s25, s27
	s_abs_i32 s3, s22
	v_cvt_f32_u32_e32 v1, s3
	s_load_dwordx2 s[42:43], s[10:11], 0x0
	s_nop 0
	s_load_dwordx2 s[10:11], s[0:1], 0x80
	s_load_dwordx4 s[24:27], s[0:1], 0x70
	s_sub_i32 s1, 0, s3
	v_rcp_iflag_f32_e32 v1, v1
	s_load_dword s54, s[28:29], 0x0
	s_waitcnt lgkmcnt(0)
	s_sub_i32 s58, s43, s42
	s_ashr_i32 s0, s58, 31
	v_mul_f32_e32 v1, 0x4f7ffffe, v1
	v_cvt_u32_f32_e32 v1, v1
	s_lshr_b32 s0, s0, 26
	s_add_i32 s0, s58, s0
	s_ashr_i32 s53, s0, 6
	v_readfirstlane_b32 s31, v1
	s_mul_i32 s1, s1, s31
	s_mul_hi_u32 s1, s31, s1
	s_add_i32 s31, s31, s1
	s_mul_hi_u32 s1, s30, s31
	s_mul_i32 s31, s1, s3
	s_ashr_i32 s0, s22, 31
	s_sub_i32 s30, s30, s31
	s_xor_b32 s0, s48, s0
	s_add_i32 s31, s1, 1
	s_sub_i32 s36, s30, s3
	s_cmp_ge_u32 s30, s3
	s_cselect_b32 s1, s31, s1
	s_cselect_b32 s30, s36, s30
	s_add_i32 s31, s1, 1
	s_cmp_ge_u32 s30, s3
	s_cselect_b32 s1, s31, s1
	s_xor_b32 s1, s1, s0
	s_sub_i32 s1, s1, s0
	s_abs_i32 s3, s1
	v_cvt_f32_u32_e32 v1, s3
	s_sub_i32 s29, 0, s3
	s_abs_i32 s28, s49
	s_xor_b32 s1, s49, s1
	v_rcp_iflag_f32_e32 v1, v1
	s_ashr_i32 s1, s1, 31
	s_mov_b32 s0, 0
	s_mov_b32 s33, s21
	v_mul_f32_e32 v1, 0x4f7ffffe, v1
	v_cvt_u32_f32_e32 v1, v1
	v_and_b32_e32 v89, 15, v0
	s_mul_hi_i32 s55, s49, s20
	s_mul_i32 s57, s49, s20
	v_readfirstlane_b32 s30, v1
	s_mul_i32 s29, s29, s30
	s_mul_hi_u32 s29, s30, s29
	s_add_i32 s30, s30, s29
	s_mul_hi_u32 s29, s28, s30
	s_mul_i32 s30, s29, s3
	s_sub_i32 s28, s28, s30
	s_add_i32 s30, s29, 1
	s_sub_i32 s31, s28, s3
	s_cmp_ge_u32 s28, s3
	s_cselect_b32 s29, s30, s29
	s_cselect_b32 s28, s31, s28
	s_add_i32 s30, s29, 1
	s_cmp_ge_u32 s28, s3
	s_cselect_b32 s3, s30, s29
	s_xor_b32 s3, s3, s1
	s_sub_i32 s56, s3, s1
	v_or_b32_e32 v1, v34, v86
	s_lshl_b32 s2, s2, 6
	s_mov_b32 s1, s0
	v_or_b32_e32 v92, 64, v1
	s_cmp_lt_i32 s58, 64
	v_mov_b64_e32 v[2:3], s[0:1]
	v_lshrrev_b32_e32 v91, 3, v87
	v_lshlrev_b32_e32 v90, 3, v0
	s_mul_i32 s50, s34, s25
	s_mul_hi_u32 s51, s34, s24
	s_mul_i32 s52, s35, s24
	s_mul_i32 s24, s34, s24
	v_mov_b32_e32 v16, v17
	v_mov_b32_e32 v15, v17
	;; [unrolled: 1-line block ×23, first 2 shown]
	v_mov_b64_e32 v[4:5], s[0:1]
	v_mov_b64_e32 v[6:7], s[0:1]
	;; [unrolled: 1-line block ×3, first 2 shown]
	s_cbranch_scc1 .LBB149_18
; %bb.1:
	s_ashr_i32 s60, s49, 31
	s_ashr_i32 s1, s42, 31
	s_add_u32 s0, s57, s42
	s_addc_u32 s1, s55, s1
	s_lshl_b64 s[0:1], s[0:1], 8
	v_and_b32_e32 v94, 56, v90
	s_add_u32 s28, s14, s0
	v_lshl_or_b32 v93, v77, 3, v91
	v_lshlrev_b32_e32 v2, 1, v94
	s_addc_u32 s0, s15, s1
	v_lshl_or_b32 v95, v93, 8, v2
	s_and_b32 s29, s0, 0xffff
	s_mov_b32 s31, 0x20000
	s_movk_i32 s30, 0x4000
	s_movk_i32 s0, 0x80
	v_or_b32_e32 v96, 0x2000, v95
	buffer_load_dwordx4 v[4:7], v95, s[28:31], 0 offen
	buffer_load_dwordx4 v[8:11], v95, s[28:31], s0 offen
	;; [unrolled: 1-line block ×4, first 2 shown]
	v_lshlrev_b32_e32 v3, 3, v93
	v_and_or_b32 v21, v0, 7, v3
	v_and_b32_e32 v3, 0x78, v3
	v_lshlrev_b32_e32 v21, 4, v21
	v_xor_b32_e32 v97, v21, v3
	v_mul_lo_u32 v20, v93, s23
	v_or_b32_e32 v98, 0x1000, v97
	v_xor_b32_e32 v3, 8, v97
	s_cmpk_eq_i32 s23, 0x80
	s_mov_b32 s59, s42
	v_xor_b32_e32 v21, 8, v98
	s_cselect_b64 s[0:1], -1, 0
	s_cmpk_lg_i32 s23, 0x80
	s_waitcnt vmcnt(3)
	ds_write_b64 v97, v[4:5] offset:49152
	ds_write_b64 v3, v[6:7] offset:49152
	s_waitcnt vmcnt(2)
	ds_write_b64 v97, v[8:9] offset:57344
	ds_write_b64 v3, v[10:11] offset:57344
	;; [unrolled: 3-line block ×4, first 2 shown]
	v_lshl_add_u32 v3, v20, 1, v94
	s_cbranch_scc0 .LBB149_3
; %bb.2:
	v_lshlrev_b32_e32 v5, 1, v3
	v_add_lshl_u32 v4, v3, s23, 1
	s_lshl_b32 s30, s23, 7
	v_lshl_or_b32 v2, v93, 9, v2
	s_cbranch_execz .LBB149_4
	s_branch .LBB149_5
.LBB149_3:
                                        ; implicit-def: $vgpr4
                                        ; implicit-def: $vgpr5
                                        ; implicit-def: $sgpr30
	v_lshl_or_b32 v2, v93, 9, v2
.LBB149_4:
	v_or_b32_e32 v4, 0x100, v2
	s_movk_i32 s30, 0x4000
	v_mov_b32_e32 v5, v2
.LBB149_5:
	s_mul_i32 s25, s42, s22
	s_ashr_i32 s61, s56, 31
	s_mul_hi_i32 s3, s42, s22
	s_add_u32 s28, s25, s56
	s_addc_u32 s29, s3, s61
	s_lshl_b64 s[28:29], s[28:29], 8
	s_add_u32 s28, s12, s28
	s_addc_u32 s3, s13, s29
	s_and_b32 s29, s3, 0xffff
	s_movk_i32 s62, 0x80
	buffer_load_dwordx4 v[6:9], v5, s[28:31], 0 offen
	buffer_load_dwordx4 v[10:13], v5, s[28:31], s62 offen
	;; [unrolled: 1-line block ×4, first 2 shown]
	v_and_b32_e32 v5, 6, v0
	v_lshlrev_b32_e32 v4, 7, v1
	v_xor_b32_e32 v27, v93, v5
	v_and_b32_e32 v22, 1, v0
	v_lshl_or_b32 v30, v89, 3, v4
	v_lshlrev_b32_e32 v27, 2, v27
	v_lshlrev_b32_e32 v23, 2, v89
	v_or_b32_e32 v99, 0x4000, v30
	v_or_b32_e32 v100, 0x6000, v30
	v_xor_b32_e32 v30, 0x440, v27
	v_cmp_eq_u32_e32 vcc, 0, v22
	v_or_b32_e32 v25, 16, v89
	v_or_b32_e32 v26, 32, v89
	v_xor_b32_e32 v28, v1, v23
	v_xor_b32_e32 v29, v92, v23
	v_cndmask_b32_e32 v22, v30, v27, vcc
	s_add_i32 s3, s51, s50
	s_mov_b32 s63, 0x1000504
	v_lshl_or_b32 v31, v25, 3, v4
	v_lshlrev_b32_e32 v25, 8, v25
	v_lshl_or_b32 v32, v26, 3, v4
	v_lshlrev_b32_e32 v28, 1, v28
	v_lshlrev_b32_e32 v29, 1, v29
	v_lshl_or_b32 v5, v5, 10, v22
	s_add_i32 s25, s3, s52
	s_mul_i32 s3, s49, s27
	s_mul_hi_u32 s28, s49, s26
	s_mov_b32 s64, 0x3020706
	v_lshlrev_b32_e32 v24, 8, v89
	v_or_b32_e32 v103, 0x4000, v32
	v_or_b32_e32 v104, 0x6000, v32
	;; [unrolled: 1-line block ×4, first 2 shown]
	v_xor_b32_e32 v22, 8, v5
	v_xor_b32_e32 v25, 24, v5
	;; [unrolled: 1-line block ×4, first 2 shown]
	s_add_i32 s3, s28, s3
	s_mul_i32 s28, s60, s26
	v_or_b32_e32 v101, 0x4000, v31
	v_or_b32_e32 v102, 0x6000, v31
	;; [unrolled: 1-line block ×4, first 2 shown]
	v_xor_b32_e32 v24, 16, v5
	v_xor_b32_e32 v27, 32, v5
	;; [unrolled: 1-line block ×3, first 2 shown]
	v_add_u32_e32 v22, 0x80, v22
	v_add_u32_e32 v25, 0x80, v25
	;; [unrolled: 1-line block ×4, first 2 shown]
	s_add_i32 s29, s3, s28
	s_lshl_b64 s[36:37], s[24:25], 2
	s_mul_i32 s28, s49, s26
	s_add_u32 s3, s18, s36
	s_addc_u32 s25, s19, s37
	s_lshl_b64 s[28:29], s[28:29], 2
	s_add_u32 s44, s3, s28
	s_movk_i32 s3, 0xf8
	s_addc_u32 s45, s25, s29
	s_lshl_b32 s38, s23, 7
	s_movk_i32 s25, 0x100
	v_mov_b32_e32 v79, 0
	v_lshlrev_b32_e32 v78, 4, v89
	v_lshlrev_b32_e32 v26, 8, v26
	s_mov_b32 s66, 0
	s_movk_i32 s30, 0x4000
	v_or_b32_e32 v109, v26, v28
	v_or_b32_e32 v110, v26, v29
	v_add_u32_e32 v136, v86, v34
	s_movk_i32 s65, 0x3000
	v_mov_b32_e32 v26, v79
	s_waitcnt vmcnt(1)
	v_perm_b32 v33, v6, v14, s63
	s_waitcnt vmcnt(0)
	v_perm_b32 v35, v10, v18, s63
	v_perm_b32 v6, v6, v14, s64
	v_perm_b32 v10, v10, v18, s64
	v_perm_b32 v14, v7, v15, s63
	v_perm_b32 v18, v11, v19, s63
	v_perm_b32 v7, v7, v15, s64
	v_perm_b32 v11, v11, v19, s64
	v_perm_b32 v15, v8, v16, s63
	v_perm_b32 v19, v12, v20, s63
	v_perm_b32 v8, v8, v16, s64
	v_perm_b32 v12, v12, v20, s64
	v_perm_b32 v16, v9, v17, s63
	v_perm_b32 v20, v13, v21, s63
	v_perm_b32 v9, v9, v17, s64
	v_perm_b32 v13, v13, v21, s64
	ds_write2st64_b32 v5, v33, v35 offset0:128 offset1:160
	ds_write2st64_b32 v22, v6, v10 offset0:128 offset1:160
	;; [unrolled: 1-line block ×8, first 2 shown]
	v_or_b32_e32 v5, 48, v89
	v_lshl_or_b32 v6, v5, 3, v4
	v_lshlrev_b32_e32 v5, 8, v5
	v_or_b32_e32 v113, v5, v28
	v_or_b32_e32 v114, v5, v29
	;; [unrolled: 1-line block ×3, first 2 shown]
	v_lshlrev_b32_e32 v5, 3, v5
	v_lshrrev_b32_e32 v7, 5, v87
	v_and_or_b32 v7, v5, s3, v7
	v_lshlrev_b32_e32 v7, 4, v7
	v_or_b32_e32 v111, 0x4000, v6
	v_or_b32_e32 v112, 0x6000, v6
	v_lshrrev_b32_e32 v6, 2, v87
	v_lshlrev_b32_e32 v11, 11, v77
	v_and_b32_e32 v5, 0x78, v5
	v_or_b32_e32 v13, 32, v7
	v_and_b32_e32 v10, 12, v6
	v_and_b32_e32 v6, 0x1000, v11
	v_lshrrev_b32_e32 v9, 1, v87
	v_xor_b32_e32 v13, v13, v5
	v_xor_b32_e32 v8, v7, v5
	v_and_b32_e32 v9, 8, v9
	v_or_b32_e32 v13, v13, v6
	v_or_b32_e32 v8, v8, v6
	v_lshlrev_b32_e32 v12, 8, v88
	v_xor_b32_e32 v117, v13, v9
	v_or_b32_e32 v13, 64, v7
	v_or_b32_e32 v7, 0x60, v7
	v_xor_b32_e32 v115, v8, v9
	v_or_b32_e32 v8, v12, v23
	v_xor_b32_e32 v13, v13, v5
	v_xor_b32_e32 v5, v7, v5
	s_ashr_i32 s3, s2, 31
	v_lshlrev_b32_e32 v8, 1, v8
	v_or_b32_e32 v13, v13, v6
	v_or_b32_e32 v5, v5, v6
	s_lshl_b64 s[28:29], s[2:3], 8
	v_lshlrev_b32_e32 v17, 2, v0
	v_or_b32_e32 v116, 0x4000, v8
	v_or_b32_e32 v118, 0x4080, v8
	;; [unrolled: 1-line block ×4, first 2 shown]
	v_xor_b32_e32 v121, v13, v9
	v_xor_b32_e32 v122, v5, v9
	v_or_b32_e32 v123, 0x6000, v8
	v_or_b32_e32 v124, 0x6080, v8
	;; [unrolled: 1-line block ×4, first 2 shown]
	v_lshlrev_b32_e32 v5, 1, v3
	v_add_lshl_u32 v3, v3, s23, 1
	v_or_b32_e32 v13, 0x100, v2
	s_add_u32 s28, s4, s28
	v_lshlrev_b32_e32 v8, 1, v89
	v_lshrrev_b32_e32 v18, 1, v0
	v_and_or_b32 v12, v17, 60, v12
	v_lshrrev_b32_e32 v14, 4, v0
	s_addc_u32 s29, s5, s29
	v_or_b32_e32 v9, 1, v8
	v_and_b32_e32 v18, 24, v18
	v_lshlrev_b32_e32 v12, 1, v12
	v_cndmask_b32_e64 v133, v5, v2, s[0:1]
	v_cndmask_b32_e64 v134, v3, v13, s[0:1]
	v_mov_b32_e32 v3, 0xa000
	v_mov_b32_e32 v5, 0x8000
	v_cmp_gt_u32_e64 s[0:1], s25, v0
	v_xor_b32_e32 v15, v14, v8
	v_xor_b32_e32 v16, v9, v14
	v_lshl_add_u64 v[8:9], s[28:29], 0, v[78:79]
	v_lshlrev_b32_e32 v78, 8, v14
	v_or_b32_e32 v129, 0x6000, v12
	v_or_b32_e32 v17, 32, v18
	;; [unrolled: 1-line block ×6, first 2 shown]
	v_cndmask_b32_e64 v3, v3, v5, s[0:1]
	v_lshlrev_b32_e32 v5, 3, v77
	v_lshl_or_b32 v127, v15, 3, v78
	v_and_b32_e32 v15, 8, v0
	v_xor_b32_e32 v13, v5, v18
	v_xor_b32_e32 v17, v5, v17
	v_xor_b32_e32 v5, v5, v12
	v_mov_b32_e32 v19, 0x400
	v_cmp_eq_u32_e32 vcc, 0, v15
	v_or_b32_e32 v18, 0x440, v13
	v_or_b32_e32 v20, 0x440, v17
	v_xor_b32_e32 v12, 0x440, v5
	v_and_b32_e32 v14, 7, v0
	v_cndmask_b32_e64 v15, v19, 64, vcc
	v_cndmask_b32_e32 v18, v18, v13, vcc
	v_cndmask_b32_e32 v17, v20, v17, vcc
	;; [unrolled: 1-line block ×3, first 2 shown]
	v_or_b32_e32 v6, s2, v89
	v_lshl_or_b32 v128, v16, 3, v78
	v_lshlrev_b32_e32 v16, 3, v14
	v_or_b32_e32 v18, v18, v11
	v_or_b32_e32 v17, v17, v11
	v_or3_b32 v13, v11, v15, v13
	v_or_b32_e32 v5, v5, v11
	v_ashrrev_i32_e32 v7, 31, v6
	v_lshlrev_b32_e32 v14, 7, v14
	v_xor_b32_e32 v18, v18, v16
	v_xor_b32_e32 v17, v17, v16
	;; [unrolled: 1-line block ×4, first 2 shown]
	v_or_b32_e32 v2, v86, v10
	v_add_u32_e32 v19, v3, v18
	v_add_u32_e32 v20, v3, v17
	v_or_b32_e32 v135, v13, v14
	v_add_u32_e32 v11, v3, v5
	v_or3_b32 v10, v86, v10, 64
	v_add_u32_e32 v12, 0xa000, v18
	v_add_u32_e32 v13, 0xa000, v17
	;; [unrolled: 1-line block ×3, first 2 shown]
	v_lshlrev_b64 v[6:7], 1, v[6:7]
	v_lshl_add_u64 v[80:81], s[16:17], 0, v[6:7]
	v_lshl_add_u64 v[82:83], s[6:7], 0, v[6:7]
	;; [unrolled: 1-line block ×3, first 2 shown]
	s_mov_b32 s3, 0x7060302
	v_lshlrev_b32_e32 v78, 1, v4
	s_movk_i32 s25, 0x2000
	v_lshlrev_b32_e32 v137, 2, v2
	v_add_u32_e32 v138, v19, v14
	v_add_u32_e32 v139, v20, v14
	;; [unrolled: 1-line block ×4, first 2 shown]
	v_lshlrev_b32_e32 v142, 2, v10
	v_add_u32_e32 v143, v12, v14
	v_add_u32_e32 v144, v13, v14
	;; [unrolled: 1-line block ×3, first 2 shown]
	v_mov_b32_e32 v8, v79
	v_mov_b32_e32 v9, v79
	;; [unrolled: 1-line block ×31, first 2 shown]
	s_waitcnt lgkmcnt(0)
	s_barrier
.LBB149_6:                              ; =>This Inner Loop Header: Depth=1
	s_add_i32 s67, s66, 1
	s_cmp_lt_i32 s67, s53
	s_mov_b64 s[36:37], 0
	s_cselect_b64 s[46:47], -1, 0
	s_cmp_ge_i32 s67, s53
	s_mov_b64 s[28:29], 0
	s_cbranch_scc1 .LBB149_8
; %bb.7:                                ;   in Loop: Header=BB149_6 Depth=1
	s_add_i32 s0, s59, 64
	s_ashr_i32 s1, s0, 31
	s_add_u32 s0, s57, s0
	s_addc_u32 s1, s55, s1
	s_lshl_b64 s[0:1], s[0:1], 8
	s_add_u32 s28, s14, s0
	s_addc_u32 s29, s15, s1
.LBB149_8:                              ;   in Loop: Header=BB149_6 Depth=1
	v_cndmask_b32_e64 v34, 0, 1, s[46:47]
	v_cmp_ne_u32_e64 s[0:1], 1, v34
	s_andn2_b64 vcc, exec, s[46:47]
	s_cbranch_vccnz .LBB149_10
; %bb.9:                                ;   in Loop: Header=BB149_6 Depth=1
	s_add_i32 s36, s59, 64
	s_mul_hi_i32 s37, s36, s22
	s_mul_i32 s36, s36, s22
	s_add_u32 s36, s36, s56
	s_addc_u32 s37, s37, s61
	s_lshl_b64 s[36:37], s[36:37], 8
	s_add_u32 s36, s12, s36
	s_addc_u32 s37, s13, s37
.LBB149_10:                             ;   in Loop: Header=BB149_6 Depth=1
	v_perm_b32 v35, v33, v32, s3
	v_perm_b32 v34, v31, v30, s3
	v_perm_b32 v37, v29, v28, s3
	v_perm_b32 v36, v27, v26, s3
	ds_write_b64 v99, v[34:35]
	ds_write_b64 v100, v[36:37]
	ds_write_b64 v105, v[34:35]
	ds_write_b64 v106, v[36:37]
	v_perm_b32 v35, v25, v24, s3
	v_perm_b32 v34, v23, v22, s3
	v_perm_b32 v37, v21, v20, s3
	v_perm_b32 v36, v19, v18, s3
	ds_write_b64 v101, v[34:35]
	ds_write_b64 v102, v[36:37]
	ds_write_b64 v107, v[34:35]
	ds_write_b64 v108, v[36:37]
	;; [unrolled: 8-line block ×4, first 2 shown]
	s_waitcnt lgkmcnt(0)
	s_barrier
	ds_read_b64 v[38:39], v115 offset:49152
	ds_read2_b64 v[34:37], v116 offset1:16
	ds_read_b64 v[50:51], v118 offset:6144
	ds_read_b64 v[52:53], v116 offset:6144
	s_waitcnt lgkmcnt(2)
	v_mfma_f32_16x16x16_bf16 a[0:3], v[38:39], v[34:35], 0
	ds_read_b64 v[54:55], v117 offset:49152
	ds_read2st64_b64 v[42:45], v119 offset0:4 offset1:8
	ds_read2st64_b64 v[46:49], v120 offset0:4 offset1:8
	v_mfma_f32_16x16x16_bf16 a[4:7], v[38:39], v[36:37], 0
	ds_read2_b64 v[34:37], v116 offset0:32 offset1:48
	s_add_i32 s68, s59, 63
	s_ashr_i32 s39, s68, 31
	s_waitcnt lgkmcnt(0)
	v_mfma_f32_16x16x16_bf16 a[8:11], v[38:39], v[34:35], 0
	s_mul_i32 s46, s68, s11
	s_mul_hi_u32 s47, s68, s10
	s_add_i32 s46, s47, s46
	v_mfma_f32_16x16x16_bf16 a[12:15], v[38:39], v[36:37], 0
	ds_read2st64_b64 v[34:37], v116 offset0:4 offset1:8
	ds_read2st64_b64 v[38:41], v118 offset0:4 offset1:8
	s_mul_i32 s39, s39, s10
	s_waitcnt lgkmcnt(1)
	v_mfma_f32_16x16x16_bf16 a[0:3], v[54:55], v[34:35], a[0:3]
	s_add_i32 s47, s46, s39
	s_mul_i32 s46, s68, s10
	s_lshl_b64 s[46:47], s[46:47], 2
	s_waitcnt lgkmcnt(0)
	v_mfma_f32_16x16x16_bf16 a[4:7], v[54:55], v[38:39], a[4:7]
	s_add_u32 s46, s44, s46
	s_addc_u32 s47, s45, s47
	s_and_b64 vcc, exec, s[0:1]
	v_mfma_f32_16x16x16_bf16 a[8:11], v[54:55], v[42:43], a[8:11]
	ds_read_b64 v[34:35], v121 offset:49152
	ds_read_b64 v[38:39], v122 offset:49152
	;; [unrolled: 1-line block ×3, first 2 shown]
	v_mov_b32_e32 v148, 0
	v_mov_b32_e32 v147, 0
	v_mfma_f32_16x16x16_bf16 a[12:15], v[54:55], v[46:47], a[12:15]
	v_mov_b32_e32 v146, 0
	v_mov_b32_e32 v46, 0
	;; [unrolled: 1-line block ×3, first 2 shown]
	s_waitcnt lgkmcnt(2)
	v_mfma_f32_16x16x16_bf16 a[0:3], v[34:35], v[36:37], a[0:3]
	v_mov_b32_e32 v36, 0
	v_mov_b32_e32 v37, 0
	v_mfma_f32_16x16x16_bf16 a[16:19], v[34:35], v[40:41], a[4:7]
	v_mov_b32_e32 v40, 0
	v_mov_b32_e32 v41, 0
	;; [unrolled: 3-line block ×3, first 2 shown]
	v_mfma_f32_16x16x16_bf16 a[24:27], v[34:35], v[48:49], a[12:15]
	ds_read_b64 v[34:35], v119 offset:6144
	v_mov_b32_e32 v48, 0
	v_mov_b32_e32 v49, 0
	s_waitcnt lgkmcnt(2)
	v_mfma_f32_16x16x16_bf16 a[4:7], v[38:39], v[52:53], a[0:3]
	v_mfma_f32_16x16x16_bf16 a[8:11], v[38:39], v[50:51], a[16:19]
	s_waitcnt lgkmcnt(0)
	v_mfma_f32_16x16x16_bf16 a[12:15], v[38:39], v[34:35], a[20:23]
	v_mov_b32_e32 v34, 0
	v_mov_b32_e32 v35, 0
	v_mfma_f32_16x16x16_bf16 a[0:3], v[38:39], v[42:43], a[24:27]
	v_mov_b32_e32 v38, 0
	v_mov_b32_e32 v39, 0
	;; [unrolled: 1-line block ×4, first 2 shown]
	s_cbranch_vccnz .LBB149_12
; %bb.11:                               ;   in Loop: Header=BB149_6 Depth=1
	s_and_b32 s29, s29, 0xffff
	buffer_load_dwordx4 v[46:49], v95, s[28:31], 0 offen
	buffer_load_dwordx4 v[42:45], v95, s[28:31], s62 offen
	;; [unrolled: 1-line block ×4, first 2 shown]
	v_mov_b32_e32 v147, v97
	v_mov_b32_e32 v146, v98
.LBB149_12:                             ;   in Loop: Header=BB149_6 Depth=1
	ds_read_b64 v[62:63], v115 offset:57344
	ds_read2_b64 v[50:53], v123 offset1:16
	ds_read_b64 v[66:67], v117 offset:57344
	ds_read_b64 v[68:69], v121 offset:57344
	;; [unrolled: 1-line block ×3, first 2 shown]
	v_add_u32_e32 v64, s59, v136
	s_waitcnt lgkmcnt(3)
	v_mfma_f32_16x16x16_bf16 a[4:7], v[62:63], v[50:51], a[4:7]
	v_mfma_f32_16x16x16_bf16 a[8:11], v[62:63], v[52:53], a[8:11]
	ds_read2_b64 v[50:53], v123 offset0:32 offset1:48
	ds_read2st64_b64 v[54:57], v123 offset0:4 offset1:8
	ds_read2st64_b64 v[58:61], v124 offset0:4 offset1:8
	s_waitcnt lgkmcnt(2)
	v_mfma_f32_16x16x16_bf16 a[12:15], v[62:63], v[50:51], a[12:15]
	v_ashrrev_i32_e32 v50, 31, v64
	v_mul_lo_u32 v65, v50, s10
	v_mad_u64_u32 v[50:51], s[28:29], v64, s10, 0
	v_mfma_f32_16x16x16_bf16 a[0:3], v[62:63], v[52:53], a[0:3]
	v_mul_lo_u32 v52, v64, s11
	v_add3_u32 v51, v51, v52, v65
	v_add_u32_e32 v52, 1, v64
	v_ashrrev_i32_e32 v53, 31, v52
	s_waitcnt lgkmcnt(1)
	v_mfma_f32_16x16x16_bf16 a[4:7], v[66:67], v[54:55], a[4:7]
	v_mul_lo_u32 v54, v53, s10
	v_mul_lo_u32 v55, v52, s11
	v_mad_u64_u32 v[52:53], s[28:29], v52, s10, 0
	v_add3_u32 v53, v53, v55, v54
	v_add_u32_e32 v54, 2, v64
	v_ashrrev_i32_e32 v55, 31, v54
	v_mul_lo_u32 v62, v55, s10
	v_mul_lo_u32 v63, v54, s11
	v_mad_u64_u32 v[54:55], s[28:29], v54, s10, 0
	v_add3_u32 v55, v55, v63, v62
	v_add_u32_e32 v62, 3, v64
	v_ashrrev_i32_e32 v63, 31, v62
	v_mul_lo_u32 v64, v63, s10
	v_mul_lo_u32 v65, v62, s11
	v_mad_u64_u32 v[62:63], s[28:29], v62, s10, 0
	s_ashr_i32 s29, s59, 31
	s_add_u32 s28, s57, s59
	s_addc_u32 s29, s55, s29
	v_lshl_add_u64 v[50:51], v[50:51], 2, s[44:45]
	v_add3_u32 v63, v63, v65, v64
	s_lshl_b64 s[28:29], s[28:29], 8
	v_lshl_add_u64 v[52:53], v[52:53], 2, s[44:45]
	v_lshl_add_u64 v[54:55], v[54:55], 2, s[44:45]
	;; [unrolled: 1-line block ×3, first 2 shown]
	global_load_dword v72, v[50:51], off
	global_load_dword v73, v[52:53], off
	;; [unrolled: 1-line block ×4, first 2 shown]
	v_lshl_add_u64 v[50:51], v[80:81], 0, s[28:29]
	v_lshl_add_u64 v[54:55], v[50:51], 0, v[78:79]
	global_load_ushort v76, v[54:55], off offset:256
	global_load_ushort v149, v[54:55], off
	ds_read2st64_b64 v[50:53], v125 offset0:4 offset1:8
	global_load_ushort v150, v[54:55], off offset:768
	global_load_ushort v151, v[54:55], off offset:512
	ds_read2st64_b64 v[62:65], v126 offset0:4 offset1:8
	global_load_ushort v152, v[54:55], off offset:288
	global_load_ushort v153, v[54:55], off offset:32
	;; [unrolled: 1-line block ×4, first 2 shown]
	s_waitcnt lgkmcnt(2)
	v_mfma_f32_16x16x16_bf16 a[8:11], v[66:67], v[58:59], a[8:11]
	global_load_ushort v156, v[54:55], off offset:320
	global_load_ushort v157, v[54:55], off offset:64
	;; [unrolled: 1-line block ×4, first 2 shown]
	s_and_b64 vcc, exec, s[0:1]
	s_waitcnt lgkmcnt(1)
	v_mfma_f32_16x16x16_bf16 a[12:15], v[66:67], v[50:51], a[12:15]
	ds_read_b64 v[50:51], v123 offset:6144
	s_waitcnt lgkmcnt(1)
	v_mfma_f32_16x16x16_bf16 a[0:3], v[66:67], v[62:63], a[0:3]
	v_lshl_add_u64 v[62:63], v[82:83], 0, s[28:29]
	v_lshl_add_u64 v[62:63], v[62:63], 0, v[78:79]
	v_mfma_f32_16x16x16_bf16 a[4:7], v[68:69], v[56:57], a[4:7]
	v_mfma_f32_16x16x16_bf16 a[8:11], v[68:69], v[60:61], a[8:11]
	;; [unrolled: 1-line block ×4, first 2 shown]
	global_load_ushort v68, v[54:55], off offset:352
	global_load_ushort v69, v[54:55], off offset:96
	ds_read_b64 v[52:53], v124 offset:6144
	ds_read_b64 v[56:57], v125 offset:6144
	;; [unrolled: 1-line block ×3, first 2 shown]
	s_load_dword s46, s[46:47], 0x0
	global_load_ushort v160, v[54:55], off offset:864
	global_load_ushort v161, v[54:55], off offset:608
	s_waitcnt lgkmcnt(0)
	v_mfma_f32_16x16x16_bf16 a[4:7], v[70:71], v[50:51], a[4:7]
	s_waitcnt vmcnt(17)
	v_sub_f32_e32 v60, s46, v74
	v_mfma_f32_16x16x16_bf16 a[0:3], v[70:71], v[58:59], a[0:3]
	v_sub_f32_e32 v58, s46, v72
	v_sub_f32_e32 v59, s46, v73
	s_waitcnt vmcnt(16)
	v_sub_f32_e32 v61, s46, v75
	v_mfma_f32_16x16x16_bf16 a[8:11], v[70:71], v[52:53], a[8:11]
	v_exp_f32_e32 v58, v58
	v_exp_f32_e32 v59, v59
	;; [unrolled: 1-line block ×4, first 2 shown]
	v_accvgpr_read_b32 v67, a5
	s_waitcnt vmcnt(15)
	v_lshlrev_b32_e32 v65, 16, v76
	s_waitcnt vmcnt(14)
	v_lshlrev_b32_e32 v64, 16, v149
	v_accvgpr_read_b32 v66, a4
	v_accvgpr_read_b32 v51, a7
	;; [unrolled: 1-line block ×3, first 2 shown]
	v_pk_add_f32 v[64:65], v[64:65], v[66:67] neg_lo:[0,1] neg_hi:[0,1]
	s_waitcnt vmcnt(13)
	v_lshlrev_b32_e32 v67, 16, v150
	s_waitcnt vmcnt(12)
	v_lshlrev_b32_e32 v66, 16, v151
	v_pk_add_f32 v[50:51], v[66:67], v[50:51] neg_lo:[0,1] neg_hi:[0,1]
	global_store_short_d16_hi v[62:63], v64, off
	global_store_short_d16_hi v[62:63], v65, off offset:256
	global_store_short_d16_hi v[62:63], v50, off offset:512
	;; [unrolled: 1-line block ×3, first 2 shown]
	v_pk_mul_f32 v[64:65], v[58:59], v[64:65]
	v_pk_mul_f32 v[50:51], v[60:61], v[50:51]
	v_accvgpr_read_b32 v67, a9
	v_perm_b32 v64, v65, v64, s3
	v_perm_b32 v65, v51, v50, s3
	s_waitcnt vmcnt(15)
	v_lshlrev_b32_e32 v51, 16, v152
	s_waitcnt vmcnt(14)
	v_lshlrev_b32_e32 v50, 16, v153
	v_accvgpr_read_b32 v66, a8
	v_accvgpr_read_b32 v53, a11
	v_mfma_f32_16x16x16_bf16 a[12:15], v[70:71], v[56:57], a[12:15]
	v_accvgpr_read_b32 v52, a10
	v_pk_add_f32 v[50:51], v[50:51], v[66:67] neg_lo:[0,1] neg_hi:[0,1]
	s_waitcnt vmcnt(13)
	v_lshlrev_b32_e32 v67, 16, v154
	s_waitcnt vmcnt(12)
	v_lshlrev_b32_e32 v66, 16, v155
	v_pk_add_f32 v[52:53], v[66:67], v[52:53] neg_lo:[0,1] neg_hi:[0,1]
	global_store_short_d16_hi v[62:63], v50, off offset:32
	global_store_short_d16_hi v[62:63], v51, off offset:288
	;; [unrolled: 1-line block ×4, first 2 shown]
	v_pk_mul_f32 v[50:51], v[58:59], v[50:51]
	v_pk_mul_f32 v[52:53], v[60:61], v[52:53]
	v_accvgpr_read_b32 v55, a15
	v_perm_b32 v53, v53, v52, s3
	v_perm_b32 v52, v51, v50, s3
	ds_write2_b64 v100, v[64:65], v[52:53] offset1:16
	v_accvgpr_read_b32 v53, a13
	s_waitcnt vmcnt(15)
	v_lshlrev_b32_e32 v51, 16, v156
	s_waitcnt vmcnt(14)
	v_lshlrev_b32_e32 v50, 16, v157
	v_accvgpr_read_b32 v52, a12
	v_accvgpr_read_b32 v54, a14
	v_pk_add_f32 v[50:51], v[50:51], v[52:53] neg_lo:[0,1] neg_hi:[0,1]
	s_waitcnt vmcnt(13)
	v_lshlrev_b32_e32 v53, 16, v158
	s_waitcnt vmcnt(12)
	v_lshlrev_b32_e32 v52, 16, v159
	v_pk_add_f32 v[52:53], v[52:53], v[54:55] neg_lo:[0,1] neg_hi:[0,1]
	global_store_short_d16_hi v[62:63], v50, off offset:64
	global_store_short_d16_hi v[62:63], v51, off offset:320
	;; [unrolled: 1-line block ×4, first 2 shown]
	v_pk_mul_f32 v[50:51], v[58:59], v[50:51]
	v_pk_mul_f32 v[52:53], v[60:61], v[52:53]
	v_accvgpr_read_b32 v55, a1
	v_perm_b32 v50, v51, v50, s3
	v_perm_b32 v51, v53, v52, s3
	s_waitcnt vmcnt(15)
	v_lshlrev_b32_e32 v53, 16, v68
	s_waitcnt vmcnt(14)
	v_lshlrev_b32_e32 v52, 16, v69
	v_accvgpr_read_b32 v54, a0
	v_accvgpr_read_b32 v57, a3
	;; [unrolled: 1-line block ×3, first 2 shown]
	v_pk_add_f32 v[52:53], v[52:53], v[54:55] neg_lo:[0,1] neg_hi:[0,1]
	s_waitcnt vmcnt(13)
	v_lshlrev_b32_e32 v55, 16, v160
	s_waitcnt vmcnt(12)
	v_lshlrev_b32_e32 v54, 16, v161
	v_pk_add_f32 v[54:55], v[54:55], v[56:57] neg_lo:[0,1] neg_hi:[0,1]
	global_store_short_d16_hi v[62:63], v52, off offset:96
	global_store_short_d16_hi v[62:63], v53, off offset:352
	;; [unrolled: 1-line block ×4, first 2 shown]
	v_pk_mul_f32 v[52:53], v[58:59], v[52:53]
	v_pk_mul_f32 v[54:55], v[60:61], v[54:55]
	v_mov_b32_e32 v149, 0
	v_perm_b32 v55, v55, v54, s3
	v_perm_b32 v54, v53, v52, s3
	ds_write2_b64 v100, v[50:51], v[54:55] offset0:32 offset1:48
	v_mov_b32_e32 v50, 0
	v_mov_b32_e32 v51, 0
	;; [unrolled: 1-line block ×16, first 2 shown]
	s_cbranch_vccnz .LBB149_14
; %bb.13:                               ;   in Loop: Header=BB149_6 Depth=1
	s_and_b32 s37, s37, 0xffff
	s_mov_b32 s39, s31
	buffer_load_dwordx4 v[62:65], v133, s[36:39], 0 offen
	buffer_load_dwordx4 v[54:57], v133, s[36:39], s62 offen
	;; [unrolled: 1-line block ×4, first 2 shown]
	v_mov_b32_e32 v148, v94
	v_mov_b32_e32 v149, v93
.LBB149_14:                             ;   in Loop: Header=BB149_6 Depth=1
	s_waitcnt lgkmcnt(0)
	s_barrier
	ds_read_b64 v[74:75], v138
	ds_read2_b64 v[66:69], v129 offset1:16
	ds_read_b64 v[166:167], v139
	ds_read_b64 v[168:169], v140
	;; [unrolled: 1-line block ×3, first 2 shown]
	ds_read2_b64 v[70:73], v129 offset0:32 offset1:48
	ds_read2st64_b64 v[150:153], v129 offset0:4 offset1:8
	ds_read2st64_b64 v[154:157], v130 offset0:4 offset1:8
	;; [unrolled: 1-line block ×4, first 2 shown]
	s_waitcnt lgkmcnt(8)
	v_mfma_f32_16x16x16_bf16 a[0:3], v[74:75], v[66:67], 0
	s_add_i32 s28, s54, s66
	s_mul_hi_i32 s29, s28, s33
	s_mul_i32 s28, s28, s33
	v_mfma_f32_16x16x16_bf16 a[4:7], v[74:75], v[68:69], 0
	s_add_u32 s28, s28, s49
	s_addc_u32 s29, s29, s60
	s_lshl_b64 s[28:29], s[28:29], 15
	s_waitcnt lgkmcnt(4)
	v_mfma_f32_16x16x16_bf16 a[8:11], v[74:75], v[70:71], 0
	s_mul_i32 s36, s68, s33
	s_mul_hi_i32 s37, s68, s33
	s_add_u32 s36, s36, s49
	v_mfma_f32_16x16x16_bf16 a[12:15], v[74:75], v[72:73], 0
	ds_read_b64 v[74:75], v129 offset:6144
	ds_read_b64 v[178:179], v130 offset:6144
	;; [unrolled: 1-line block ×4, first 2 shown]
	s_addc_u32 s37, s37, s60
	s_waitcnt lgkmcnt(7)
	v_mfma_f32_16x16x16_bf16 a[0:3], v[166:167], v[150:151], a[0:3]
	s_lshl_b64 s[36:37], s[36:37], 9
	s_add_u32 s36, s40, s36
	s_addc_u32 s37, s41, s37
	s_waitcnt lgkmcnt(6)
	v_mfma_f32_16x16x16_bf16 a[4:7], v[166:167], v[154:155], a[4:7]
	v_lshl_add_u64 v[188:189], v[84:85], 0, s[28:29]
	s_waitcnt lgkmcnt(5)
	v_mfma_f32_16x16x16_bf16 a[8:11], v[166:167], v[158:159], a[8:11]
	s_waitcnt lgkmcnt(4)
	v_mfma_f32_16x16x16_bf16 a[12:15], v[166:167], v[162:163], a[12:15]
	ds_read_b64 v[166:167], v143
	ds_read_b64 v[176:177], v144
	;; [unrolled: 1-line block ×3, first 2 shown]
	s_waitcnt lgkmcnt(2)
	v_mfma_f32_16x16x16_bf16 a[16:19], v[166:167], v[66:67], 0
	v_mfma_f32_16x16x16_bf16 a[20:23], v[166:167], v[68:69], 0
	global_load_dwordx4 v[66:69], v142, s[36:37]
	v_mfma_f32_16x16x16_bf16 a[24:27], v[166:167], v[70:71], 0
	v_mfma_f32_16x16x16_bf16 a[28:31], v[166:167], v[72:73], 0
	global_load_dwordx4 v[70:73], v137, s[36:37]
	v_mfma_f32_16x16x16_bf16 a[0:3], v[168:169], v[152:153], a[0:3]
	v_mfma_f32_16x16x16_bf16 a[4:7], v[168:169], v[156:157], a[4:7]
	;; [unrolled: 1-line block ×8, first 2 shown]
	ds_read2st64_b64 v[166:169], v127 offset1:8
	ds_read2st64_b64 v[170:173], v128 offset1:8
	ds_read_b64 v[186:187], v135 offset:40960
	s_waitcnt lgkmcnt(2)
	v_mov_b32_e32 v174, v166
	v_mfma_f32_16x16x16_bf16 a[16:19], v[176:177], v[150:151], a[16:19]
	v_mov_b32_e32 v175, v167
	v_mfma_f32_16x16x16_bf16 a[20:23], v[176:177], v[154:155], a[20:23]
	v_mfma_f32_16x16x16_bf16 a[24:27], v[176:177], v[158:159], a[24:27]
	;; [unrolled: 1-line block ×3, first 2 shown]
	v_add_co_u32_e32 v162, vcc, s25, v188
	s_waitcnt lgkmcnt(1)
	v_mov_b32_e32 v176, v170
	s_waitcnt lgkmcnt(0)
	v_mfma_f32_16x16x16_bf16 a[16:19], v[186:187], v[152:153], a[16:19]
	ds_read2st64_b64 v[150:153], v127 offset0:16 offset1:24
	v_addc_co_u32_e32 v163, vcc, 0, v189, vcc
	v_mfma_f32_16x16x16_bf16 a[32:35], v[186:187], v[156:157], a[20:23]
	ds_read2st64_b64 v[154:157], v128 offset0:16 offset1:24
	v_mov_b32_e32 v177, v171
	v_mov_b32_e32 v170, v168
	v_mfma_f32_16x16x16_bf16 a[24:27], v[186:187], v[160:161], a[24:27]
	v_mov_b32_e32 v171, v169
	s_waitcnt lgkmcnt(0)
	v_mov_b32_e32 v160, v154
	v_mov_b32_e32 v161, v155
	v_mfma_f32_16x16x16_bf16 a[36:39], v[186:187], v[164:165], a[28:31]
	v_mov_b32_e32 v154, v152
	v_mov_b32_e32 v155, v153
	;; [unrolled: 1-line block ×3, first 2 shown]
	v_mfma_f32_16x16x16_bf16 a[20:23], v[184:185], v[74:75], a[16:19]
	v_add_co_u32_e32 v74, vcc, s65, v188
	v_mov_b32_e32 v159, v151
	v_mfma_f32_16x16x16_bf16 a[28:31], v[184:185], v[178:179], a[32:35]
	v_addc_co_u32_e32 v75, vcc, 0, v189, vcc
	global_store_dwordx4 v[74:75], v[154:157], off
	v_mfma_f32_16x16x16_bf16 a[16:19], v[184:185], v[180:181], a[24:27]
	s_waitcnt vmcnt(2)
	v_mov_b32_e32 v76, v69
	v_mov_b32_e32 v75, v68
	;; [unrolled: 1-line block ×3, first 2 shown]
	v_mfma_f32_16x16x16_bf16 a[24:27], v[184:185], v[182:183], a[36:39]
	s_and_b64 vcc, exec, s[0:1]
	global_store_dwordx4 v[188:189], v[174:177], off
	global_store_dwordx4 v[162:163], v[170:173], off offset:-4096
	global_store_dwordx4 v[162:163], v[158:161], off
	s_cbranch_vccnz .LBB149_16
; %bb.15:                               ;   in Loop: Header=BB149_6 Depth=1
	v_lshrrev_b32_e32 v67, 3, v148
	v_and_b32_e32 v67, 6, v67
	v_xor_b32_e32 v68, v67, v149
	v_lshlrev_b32_e32 v68, 2, v68
	v_and_b32_e32 v69, 8, v148
	v_xor_b32_e32 v148, 0x440, v68
	v_cmp_eq_u32_e32 vcc, 0, v69
	v_perm_b32 v69, v54, v50, s63
	s_nop 0
	v_cndmask_b32_e32 v68, v148, v68, vcc
	v_lshl_or_b32 v67, v67, 10, v68
	v_perm_b32 v68, v62, v58, s63
	s_barrier
	ds_write2st64_b32 v67, v68, v69 offset0:128 offset1:160
	v_xor_b32_e32 v68, 8, v67
	v_perm_b32 v58, v62, v58, s64
	v_perm_b32 v50, v54, v50, s64
	v_add_u32_e32 v54, 0x80, v68
	ds_write2st64_b32 v54, v58, v50 offset0:128 offset1:160
	v_xor_b32_e32 v50, 16, v67
	v_perm_b32 v54, v63, v59, s63
	v_perm_b32 v58, v55, v51, s63
	ds_write2st64_b32 v50, v54, v58 offset0:129 offset1:161
	v_xor_b32_e32 v50, 24, v67
	v_perm_b32 v54, v63, v59, s64
	v_perm_b32 v51, v55, v51, s64
	v_add_u32_e32 v50, 0x80, v50
	ds_write2st64_b32 v50, v54, v51 offset0:129 offset1:161
	v_xor_b32_e32 v50, 32, v67
	v_perm_b32 v51, v64, v60, s63
	v_perm_b32 v54, v56, v52, s63
	;; [unrolled: 9-line block ×3, first 2 shown]
	ds_write2st64_b32 v50, v51, v52 offset0:131 offset1:163
	v_xor_b32_e32 v50, 56, v67
	v_perm_b32 v51, v65, v61, s64
	v_perm_b32 v52, v57, v53, s64
	v_add_u32_e32 v50, 0x80, v50
	ds_write2st64_b32 v50, v51, v52 offset0:131 offset1:163
	ds_write_b64 v147, v[46:47] offset:49152
	v_xor_b32_e32 v46, 8, v147
	ds_write_b64 v46, v[48:49] offset:49152
	ds_write_b64 v147, v[42:43] offset:57344
	;; [unrolled: 1-line block ×4, first 2 shown]
	v_xor_b32_e32 v38, 8, v146
	ds_write_b64 v38, v[40:41] offset:49152
	ds_write_b64 v146, v[34:35] offset:57344
	;; [unrolled: 1-line block ×3, first 2 shown]
.LBB149_16:                             ;   in Loop: Header=BB149_6 Depth=1
	v_exp_f32_e32 v68, s46
	s_waitcnt vmcnt(4)
	v_exp_f32_e32 v70, v70
	v_exp_f32_e32 v71, v71
	v_exp_f32_e32 v72, v72
	v_exp_f32_e32 v73, v73
	v_accvgpr_read_b32 v37, a3
	v_accvgpr_read_b32 v36, a2
	;; [unrolled: 1-line block ×4, first 2 shown]
	v_pk_mul_f32 v[70:71], v[68:69], v[70:71] op_sel_hi:[0,1]
	v_pk_mul_f32 v[72:73], v[68:69], v[72:73] op_sel_hi:[0,1]
	v_pk_fma_f32 v[30:31], v[30:31], v[70:71], v[34:35]
	v_pk_fma_f32 v[32:33], v[32:33], v[72:73], v[36:37]
	v_exp_f32_e32 v34, v66
	v_exp_f32_e32 v35, v74
	;; [unrolled: 1-line block ×4, first 2 shown]
	v_accvgpr_read_b32 v41, a7
	v_accvgpr_read_b32 v45, a11
	;; [unrolled: 1-line block ×28, first 2 shown]
	v_pk_mul_f32 v[34:35], v[68:69], v[34:35] op_sel_hi:[0,1]
	v_pk_mul_f32 v[36:37], v[68:69], v[36:37] op_sel_hi:[0,1]
	s_add_i32 s59, s59, 64
	v_pk_fma_f32 v[22:23], v[70:71], v[22:23], v[38:39]
	v_pk_fma_f32 v[24:25], v[72:73], v[24:25], v[40:41]
	;; [unrolled: 1-line block ×13, first 2 shown]
	s_cmp_eq_u32 s53, s67
	v_pk_fma_f32 v[8:9], v[36:37], v[8:9], v[64:65]
	s_cbranch_scc1 .LBB149_18
; %bb.17:                               ;   in Loop: Header=BB149_6 Depth=1
	s_mov_b32 s66, s67
	s_branch .LBB149_6
.LBB149_18:
	s_lshl_b32 s3, s53, 6
	s_sub_i32 s58, s58, s3
	s_cmp_gt_i32 s58, 0
	v_or_b32_e32 v50, s2, v89
	s_cbranch_scc1 .LBB149_20
; %bb.19:
	s_ashr_i32 s37, s49, 31
	v_or_b32_e32 v34, s2, v89
	s_cbranch_execz .LBB149_21
	s_branch .LBB149_101
.LBB149_20:
                                        ; implicit-def: $vgpr34
                                        ; implicit-def: $sgpr36_sgpr37
.LBB149_21:
	s_add_i32 s36, s3, s42
	s_ashr_i32 s3, s36, 31
	s_cmpk_lg_i32 s23, 0x80
	s_cselect_b64 s[44:45], -1, 0
	s_and_b64 vcc, exec, s[44:45]
	s_cbranch_vccz .LBB149_23
; %bb.22:
	s_mul_hi_i32 s0, s36, s22
	s_mul_i32 s1, s36, s22
	s_ashr_i32 s22, s56, 31
	s_add_u32 s46, s1, s56
	s_addc_u32 s47, s0, s22
	s_cbranch_execz .LBB149_24
	s_branch .LBB149_25
.LBB149_23:
                                        ; implicit-def: $sgpr46_sgpr47
.LBB149_24:
	s_mul_i32 s1, s56, s20
	s_mul_hi_i32 s0, s56, s20
	s_add_u32 s46, s1, s36
	s_addc_u32 s47, s0, s3
.LBB149_25:
	s_add_i32 s20, s53, s54
	s_ashr_i32 s37, s49, 31
	s_add_u32 s0, s57, s36
	v_lshlrev_b32_e32 v38, 6, v1
	v_lshlrev_b32_e32 v59, 2, v89
	s_addc_u32 s1, s55, s3
	s_mov_b32 s3, 0x7060302
	v_or_b32_e32 v41, v38, v59
	v_xor_b32_e32 v39, v1, v59
	v_perm_b32 v35, v33, v32, s3
	v_perm_b32 v34, v31, v30, s3
	;; [unrolled: 1-line block ×4, first 2 shown]
	v_lshlrev_b32_e32 v41, 1, v41
	v_xor_b32_e32 v40, v92, v59
	ds_write2st64_b64 v41, v[34:35], v[36:37] offset0:32 offset1:48
	v_lshlrev_b32_e32 v39, 1, v39
	v_lshlrev_b32_e32 v41, 8, v89
	v_or_b32_e32 v42, v39, v41
	v_lshlrev_b32_e32 v40, 1, v40
	ds_write_b64 v42, v[34:35]
	v_or_b32_e32 v34, v40, v41
	v_or_b32_e32 v41, 16, v89
	v_lshlrev_b32_e32 v57, 2, v41
	v_or_b32_e32 v42, v38, v57
	ds_write_b64 v34, v[36:37]
	v_perm_b32 v35, v25, v24, s3
	v_perm_b32 v34, v23, v22, s3
	;; [unrolled: 1-line block ×4, first 2 shown]
	v_lshlrev_b32_e32 v42, 1, v42
	v_lshlrev_b32_e32 v41, 8, v41
	ds_write2st64_b64 v42, v[34:35], v[36:37] offset0:32 offset1:48
	v_or_b32_e32 v42, v39, v41
	ds_write_b64 v42, v[34:35]
	v_or_b32_e32 v34, v40, v41
	v_or_b32_e32 v41, 32, v89
	v_lshlrev_b32_e32 v56, 2, v41
	v_or_b32_e32 v42, v38, v56
	ds_write_b64 v34, v[36:37]
	v_perm_b32 v35, v17, v16, s3
	v_perm_b32 v34, v15, v14, s3
	;; [unrolled: 1-line block ×4, first 2 shown]
	v_lshlrev_b32_e32 v42, 1, v42
	v_lshlrev_b32_e32 v41, 8, v41
	s_lshl_b64 s[38:39], s[0:1], 8
	ds_write2st64_b64 v42, v[34:35], v[36:37] offset0:32 offset1:48
	v_or_b32_e32 v42, v39, v41
	s_add_u32 s0, s14, s38
	ds_write_b64 v42, v[34:35]
	v_or_b32_e32 v34, v40, v41
	s_addc_u32 s1, s15, s39
	ds_write_b64 v34, v[36:37]
	v_perm_b32 v35, v5, v4, s3
	v_perm_b32 v34, v3, v2, s3
	;; [unrolled: 1-line block ×4, first 2 shown]
	v_or_b32_e32 v41, 48, v89
	s_mul_hi_i32 s3, s20, s21
	s_mul_i32 s20, s20, s21
	v_lshlrev_b32_e32 v53, 2, v41
	s_add_u32 s14, s20, s49
	v_or_b32_e32 v38, v38, v53
	s_addc_u32 s15, s3, s37
	v_lshlrev_b32_e32 v38, 1, v38
	s_ashr_i32 s3, s2, 31
	s_lshl_b64 s[14:15], s[14:15], 15
	ds_write2st64_b64 v38, v[34:35], v[36:37] offset0:32 offset1:48
	v_lshlrev_b32_e32 v38, 8, v41
	s_add_u32 s4, s4, s14
	v_or_b32_e32 v39, v39, v38
	s_addc_u32 s5, s5, s15
	s_lshl_b64 s[2:3], s[2:3], 8
	ds_write_b64 v39, v[34:35]
	v_or_b32_e32 v34, v40, v38
	s_add_u32 s2, s4, s2
	v_lshlrev_b32_e32 v35, 1, v89
	ds_write_b64 v34, v[36:37]
	v_lshrrev_b32_e32 v34, 4, v0
	s_addc_u32 s3, s5, s3
	v_or_b32_e32 v36, 1, v35
	v_lshlrev_b32_e32 v42, 4, v89
	v_mov_b32_e32 v43, 0
	v_xor_b32_e32 v35, v34, v35
	v_xor_b32_e32 v38, v36, v34
	v_lshl_add_u64 v[44:45], s[2:3], 0, v[42:43]
	v_lshlrev_b32_e32 v42, 8, v34
	v_lshl_or_b32 v48, v35, 3, v42
	v_lshl_or_b32 v49, v38, 3, v42
	s_waitcnt lgkmcnt(0)
	s_barrier
	ds_read2st64_b64 v[34:37], v48 offset1:8
	ds_read2st64_b64 v[38:41], v49 offset1:8
	v_lshl_add_u64 v[46:47], v[44:45], 0, v[42:43]
	s_movk_i32 s2, 0x2000
	s_cmp_lg_u32 s58, 64
	s_waitcnt lgkmcnt(1)
	v_mov_b32_e32 v42, v34
	v_mov_b32_e32 v43, v35
	s_waitcnt lgkmcnt(0)
	v_mov_b32_e32 v44, v38
	v_mov_b32_e32 v45, v39
	global_store_dwordx4 v[46:47], v[42:45], off
	v_mov_b32_e32 v38, v36
	v_mov_b32_e32 v39, v37
	ds_read2st64_b64 v[34:37], v48 offset0:16 offset1:24
	ds_read2st64_b64 v[42:45], v49 offset0:16 offset1:24
	v_add_co_u32_e32 v48, vcc, s2, v46
	s_cselect_b64 s[4:5], -1, 0
	s_nop 0
	v_addc_co_u32_e32 v49, vcc, 0, v47, vcc
	global_store_dwordx4 v[48:49], v[38:41], off offset:-4096
	v_lshl_or_b32 v51, v77, 3, v91
	s_mov_b32 s28, 0
	s_waitcnt lgkmcnt(1)
	v_mov_b32_e32 v38, v34
	v_add_co_u32_e32 v34, vcc, 0x3000, v46
	v_mov_b32_e32 v39, v35
	s_nop 0
	v_addc_co_u32_e32 v35, vcc, 0, v47, vcc
	s_waitcnt lgkmcnt(0)
	v_mov_b32_e32 v40, v42
	v_mov_b32_e32 v41, v43
	;; [unrolled: 1-line block ×4, first 2 shown]
	v_or_b32_e32 v54, 32, v51
	v_and_b32_e32 v52, 56, v90
	s_and_b64 vcc, exec, s[4:5]
	global_store_dwordx4 v[48:49], v[38:41], off
	global_store_dwordx4 v[34:35], v[42:45], off
	s_cbranch_vccz .LBB149_31
; %bb.26:
	s_mov_b32 s30, s28
	s_mov_b32 s31, s28
	;; [unrolled: 1-line block ×3, first 2 shown]
	v_mov_b64_e32 v[40:41], s[30:31]
	v_mov_b64_e32 v[38:39], s[28:29]
	;; [unrolled: 1-line block ×3, first 2 shown]
	v_cmp_gt_i32_e32 vcc, s58, v51
	v_mov_b64_e32 v[36:37], v[40:41]
	s_and_saveexec_b64 s[2:3], vcc
	s_cbranch_execz .LBB149_28
; %bb.27:
	v_lshlrev_b32_e32 v34, 8, v51
	v_mov_b32_e32 v35, 0
	v_lshl_add_u64 v[36:37], s[0:1], 0, v[34:35]
	v_lshlrev_b32_e32 v34, 1, v52
	v_lshl_add_u64 v[42:43], v[36:37], 0, v[34:35]
	global_load_dwordx4 v[38:41], v[42:43], off
	global_load_dwordx4 v[34:37], v[42:43], off offset:128
.LBB149_28:
	s_or_b64 exec, exec, s[2:3]
	s_mov_b32 s30, s28
	s_mov_b32 s31, s28
	;; [unrolled: 1-line block ×3, first 2 shown]
	v_mov_b64_e32 v[48:49], s[30:31]
	v_mov_b64_e32 v[46:47], s[28:29]
	;; [unrolled: 1-line block ×3, first 2 shown]
	v_cmp_gt_i32_e32 vcc, s58, v54
	v_lshlrev_b32_e32 v55, 7, v54
	v_mov_b64_e32 v[44:45], v[48:49]
	s_and_saveexec_b64 s[2:3], vcc
	s_cbranch_execz .LBB149_30
; %bb.29:
	v_lshlrev_b32_e32 v42, 1, v55
	v_mov_b32_e32 v43, 0
	v_lshl_add_u64 v[44:45], s[0:1], 0, v[42:43]
	v_lshlrev_b32_e32 v42, 1, v52
	v_lshl_add_u64 v[60:61], v[44:45], 0, v[42:43]
	global_load_dwordx4 v[46:49], v[60:61], off
	global_load_dwordx4 v[42:45], v[60:61], off offset:128
.LBB149_30:
	s_or_b64 exec, exec, s[2:3]
	v_lshrrev_b32_e32 v58, 3, v52
	v_lshlrev_b32_e32 v60, 3, v51
	v_or_b32_e32 v58, v60, v58
	v_lshlrev_b32_e32 v58, 4, v58
	v_and_b32_e32 v60, 0x78, v60
	v_xor_b32_e32 v58, v58, v60
	s_branch .LBB149_33
.LBB149_31:
                                        ; implicit-def: $vgpr58
                                        ; implicit-def: $vgpr55
                                        ; implicit-def: $vgpr38_vgpr39_vgpr40_vgpr41
                                        ; implicit-def: $vgpr34_vgpr35_vgpr36_vgpr37
                                        ; implicit-def: $vgpr46_vgpr47_vgpr48_vgpr49
                                        ; implicit-def: $vgpr42_vgpr43_vgpr44_vgpr45
	s_cbranch_execz .LBB149_33
; %bb.32:
	s_waitcnt vmcnt(0)
	v_lshlrev_b32_e32 v34, 1, v52
	v_lshl_or_b32 v55, v51, 8, v34
	s_and_b32 s1, s1, 0xffff
	s_mov_b32 s3, 0x20000
	s_movk_i32 s2, 0x4000
	v_lshl_or_b32 v58, v54, 8, v34
	s_movk_i32 s14, 0x80
	buffer_load_dwordx4 v[38:41], v55, s[0:3], 0 offen
	buffer_load_dwordx4 v[34:37], v55, s[0:3], s14 offen
	;; [unrolled: 1-line block ×4, first 2 shown]
	v_lshrrev_b32_e32 v55, 3, v52
	v_lshlrev_b32_e32 v58, 3, v51
	v_or_b32_e32 v55, v58, v55
	v_lshlrev_b32_e32 v55, 4, v55
	v_and_b32_e32 v58, 0x78, v58
	v_xor_b32_e32 v58, v55, v58
	v_lshlrev_b32_e32 v55, 7, v54
.LBB149_33:
	s_movk_i32 s0, 0x1000
	v_and_or_b32 v54, v55, s0, v58
	s_waitcnt vmcnt(1)
	ds_write_b64 v58, v[38:39] offset:49152
	v_xor_b32_e32 v38, 8, v58
	ds_write_b64 v38, v[40:41] offset:49152
	s_waitcnt vmcnt(0)
	ds_write_b64 v58, v[34:35] offset:57344
	ds_write_b64 v38, v[36:37] offset:57344
	;; [unrolled: 1-line block ×3, first 2 shown]
	v_xor_b32_e32 v34, 8, v54
	ds_write_b64 v34, v[48:49] offset:49152
	ds_write_b64 v54, v[42:43] offset:57344
	;; [unrolled: 1-line block ×3, first 2 shown]
	v_or_b32_e32 v34, v86, v89
	v_lshlrev_b32_e32 v34, 3, v34
	v_lshrrev_b32_e32 v35, 5, v87
	s_movk_i32 s0, 0xf8
	v_and_or_b32 v35, v34, s0, v35
	v_lshlrev_b32_e32 v39, 4, v35
	v_lshlrev_b32_e32 v58, 11, v77
	v_and_b32_e32 v40, 0x78, v34
	v_or_b32_e32 v42, 32, v39
	v_and_b32_e32 v38, 0x1000, v58
	v_lshrrev_b32_e32 v35, 1, v87
	v_xor_b32_e32 v42, v42, v40
	v_xor_b32_e32 v34, v39, v40
	v_and_b32_e32 v41, 8, v35
	v_or_b32_e32 v42, v42, v38
	v_or_b32_e32 v34, v34, v38
	v_xor_b32_e32 v65, v42, v41
	v_or_b32_e32 v42, 64, v39
	v_xor_b32_e32 v64, v34, v41
	v_xor_b32_e32 v42, v42, v40
	s_waitcnt lgkmcnt(0)
	s_barrier
	v_or_b32_e32 v45, v42, v38
	ds_read_b64 v[42:43], v64 offset:49152
	v_lshl_or_b32 v46, v88, 8, v59
	v_lshlrev_b32_e32 v60, 1, v46
	v_add_u32_e32 v44, 0x4000, v60
	ds_read2_b64 v[34:37], v44 offset1:16
	v_or_b32_e32 v39, 0x60, v39
	v_xor_b32_e32 v39, v39, v40
	v_or_b32_e32 v38, v39, v38
	v_xor_b32_e32 v66, v45, v41
	v_xor_b32_e32 v67, v38, v41
	ds_read_b64 v[54:55], v65 offset:49152
	ds_read_b64 v[68:69], v66 offset:49152
	ds_read_b64 v[70:71], v67 offset:49152
	s_waitcnt lgkmcnt(3)
	v_mfma_f32_16x16x16_bf16 a[0:3], v[42:43], v[34:35], 0
	ds_read2_b64 v[38:41], v44 offset0:32 offset1:48
	s_lshl_b64 s[0:1], s[46:47], 8
	s_add_u32 s12, s12, s0
	v_mfma_f32_16x16x16_bf16 a[4:7], v[42:43], v[36:37], 0
	ds_read2st64_b64 v[34:37], v60 offset0:36 offset1:40
	s_addc_u32 s13, s13, s1
	s_add_i32 s22, s43, -1
	s_waitcnt lgkmcnt(1)
	v_mfma_f32_16x16x16_bf16 a[8:11], v[42:43], v[38:39], 0
	v_or_b32_e32 v38, 64, v46
	v_lshlrev_b32_e32 v61, 1, v38
	s_add_i32 s0, s51, s50
	s_waitcnt lgkmcnt(0)
	v_mfma_f32_16x16x16_bf16 a[0:3], v[54:55], v[34:35], a[0:3]
	v_or_b32_e32 v34, 0x80, v46
	v_lshlrev_b32_e32 v62, 1, v34
	v_or_b32_e32 v34, 0xc0, v46
	v_mfma_f32_16x16x16_bf16 a[12:15], v[42:43], v[40:41], 0
	ds_read2st64_b64 v[38:41], v61 offset0:36 offset1:40
	v_lshlrev_b32_e32 v63, 1, v34
	ds_read2st64_b64 v[42:45], v62 offset0:36 offset1:40
	ds_read2st64_b64 v[46:49], v63 offset0:36 offset1:40
	s_add_i32 s25, s0, s52
	s_mul_i32 s0, s49, s27
	s_mul_hi_u32 s1, s49, s26
	s_ashr_i32 s2, s22, 31
	s_mul_i32 s3, s22, s11
	s_mul_hi_u32 s14, s22, s10
	s_waitcnt lgkmcnt(2)
	v_mfma_f32_16x16x16_bf16 a[4:7], v[54:55], v[38:39], a[4:7]
	s_add_i32 s0, s1, s0
	s_mul_i32 s1, s37, s26
	s_add_i32 s3, s14, s3
	s_mul_i32 s2, s2, s10
	s_waitcnt lgkmcnt(1)
	v_mfma_f32_16x16x16_bf16 a[8:11], v[54:55], v[42:43], a[8:11]
	s_add_i32 s1, s0, s1
	s_add_i32 s3, s3, s2
	s_lshl_b64 s[14:15], s[24:25], 2
	s_waitcnt lgkmcnt(0)
	v_mfma_f32_16x16x16_bf16 a[12:15], v[54:55], v[46:47], a[12:15]
	s_mul_i32 s0, s49, s26
	s_add_u32 s14, s18, s14
	s_addc_u32 s15, s19, s15
	s_lshl_b64 s[0:1], s[0:1], 2
	v_mfma_f32_16x16x16_bf16 a[0:3], v[68:69], v[36:37], a[0:3]
	s_mul_i32 s2, s22, s10
	ds_read_b64 v[34:35], v60 offset:22528
	s_add_u32 s18, s14, s0
	v_mfma_f32_16x16x16_bf16 a[4:7], v[68:69], v[40:41], a[4:7]
	ds_read_b64 v[36:37], v61 offset:22528
	ds_read_b64 v[38:39], v62 offset:22528
	;; [unrolled: 1-line block ×3, first 2 shown]
	s_addc_u32 s19, s15, s1
	s_lshl_b64 s[0:1], s[2:3], 2
	v_mfma_f32_16x16x16_bf16 a[8:11], v[68:69], v[44:45], a[8:11]
	s_add_u32 s0, s18, s0
	s_addc_u32 s1, s19, s1
	s_load_dword s20, s[0:1], 0x0
	v_mfma_f32_16x16x16_bf16 a[12:15], v[68:69], v[48:49], a[12:15]
	s_and_b64 vcc, exec, s[44:45]
	s_waitcnt lgkmcnt(0)
	v_mfma_f32_16x16x16_bf16 a[0:3], v[70:71], v[34:35], a[0:3]
	v_mfma_f32_16x16x16_bf16 a[4:7], v[70:71], v[36:37], a[4:7]
	;; [unrolled: 1-line block ×4, first 2 shown]
	s_cbranch_vccz .LBB149_44
; %bb.34:
	v_lshlrev_b32_e32 v54, 1, v51
	s_and_b64 vcc, exec, s[4:5]
	s_cbranch_vccz .LBB149_45
; %bb.35:
	v_cmp_gt_i32_e32 vcc, s58, v54
	v_mov_b32_e32 v38, 0
	v_mov_b32_e32 v34, 0
	;; [unrolled: 1-line block ×5, first 2 shown]
	s_and_saveexec_b64 s[0:1], vcc
	s_cbranch_execz .LBB149_37
; %bb.36:
	v_mad_i64_i32 v[34:35], s[2:3], s23, v54, 0
	v_lshl_add_u64 v[34:35], v[34:35], 1, s[12:13]
	v_lshlrev_b32_e32 v36, 1, v52
	v_mov_b32_e32 v37, 0
	v_lshl_add_u64 v[34:35], v[34:35], 0, v[36:37]
	global_load_dwordx4 v[34:37], v[34:35], off
.LBB149_37:
	s_or_b64 exec, exec, s[0:1]
	v_or_b32_e32 v55, 1, v54
	v_cmp_gt_i32_e64 s[0:1], s58, v55
	v_mov_b32_e32 v39, 0
	v_mov_b32_e32 v40, 0
	;; [unrolled: 1-line block ×3, first 2 shown]
	s_and_saveexec_b64 s[2:3], s[0:1]
	s_cbranch_execz .LBB149_39
; %bb.38:
	v_mad_i64_i32 v[38:39], s[14:15], s23, v55, 0
	v_lshl_add_u64 v[38:39], v[38:39], 1, s[12:13]
	v_lshlrev_b32_e32 v40, 1, v52
	v_mov_b32_e32 v41, 0
	v_lshl_add_u64 v[38:39], v[38:39], 0, v[40:41]
	global_load_dwordx4 v[38:41], v[38:39], off
.LBB149_39:
	s_or_b64 exec, exec, s[2:3]
	v_mov_b32_e32 v49, 0
	v_mov_b32_e32 v42, 0
	;; [unrolled: 1-line block ×5, first 2 shown]
	s_and_saveexec_b64 s[2:3], vcc
	s_cbranch_execz .LBB149_41
; %bb.40:
	v_mad_i64_i32 v[42:43], s[14:15], s23, v54, 0
	v_lshl_add_u64 v[42:43], v[42:43], 1, s[12:13]
	v_lshlrev_b32_e32 v44, 1, v52
	v_mov_b32_e32 v45, 0
	v_lshl_add_u64 v[42:43], v[42:43], 0, v[44:45]
	global_load_dwordx4 v[42:45], v[42:43], off offset:128
.LBB149_41:
	s_or_b64 exec, exec, s[2:3]
	v_mov_b32_e32 v48, 0
	v_mov_b32_e32 v47, 0
	;; [unrolled: 1-line block ×3, first 2 shown]
	s_and_saveexec_b64 s[2:3], s[0:1]
	s_cbranch_execz .LBB149_43
; %bb.42:
	v_mad_i64_i32 v[46:47], s[0:1], s23, v55, 0
	v_lshl_add_u64 v[46:47], v[46:47], 1, s[12:13]
	v_lshlrev_b32_e32 v48, 1, v52
	v_mov_b32_e32 v49, 0
	v_lshl_add_u64 v[46:47], v[46:47], 0, v[48:49]
	global_load_dwordx4 v[46:49], v[46:47], off offset:128
.LBB149_43:
	s_or_b64 exec, exec, s[2:3]
	s_branch .LBB149_47
.LBB149_44:
                                        ; implicit-def: $vgpr37
                                        ; implicit-def: $vgpr41
                                        ; implicit-def: $vgpr45
                                        ; implicit-def: $vgpr49
	v_lshrrev_b32_e32 v68, 2, v87
	s_branch .LBB149_48
.LBB149_45:
                                        ; implicit-def: $vgpr37
                                        ; implicit-def: $vgpr41
                                        ; implicit-def: $vgpr45
                                        ; implicit-def: $vgpr49
	s_cbranch_execz .LBB149_47
; %bb.46:
	s_waitcnt vmcnt(0)
	v_mad_u64_u32 v[34:35], s[0:1], v54, s23, v[52:53]
	v_lshlrev_b32_e32 v54, 1, v34
	s_lshl_b32 s2, s23, 7
	s_and_b32 s1, s13, 0xffff
	s_mov_b32 s3, 0x20000
	s_mov_b32 s0, s12
	v_add_lshl_u32 v55, v34, s23, 1
	s_movk_i32 s14, 0x80
	buffer_load_dwordx4 v[34:37], v54, s[0:3], 0 offen
	buffer_load_dwordx4 v[42:45], v54, s[0:3], s14 offen
	;; [unrolled: 1-line block ×4, first 2 shown]
.LBB149_47:
	v_lshrrev_b32_e32 v68, 2, v87
	s_cbranch_execnz .LBB149_60
.LBB149_48:
	s_and_b64 vcc, exec, s[4:5]
	s_cbranch_vccz .LBB149_58
; %bb.49:
	s_waitcnt vmcnt(0)
	v_lshlrev_b32_e32 v39, 1, v51
	v_cmp_gt_i32_e32 vcc, s58, v39
	v_mov_b32_e32 v38, 0
	v_lshlrev_b32_e32 v46, 9, v51
	v_mov_b32_e32 v34, 0
	v_mov_b32_e32 v35, 0
	;; [unrolled: 1-line block ×4, first 2 shown]
	s_and_saveexec_b64 s[0:1], vcc
	s_cbranch_execz .LBB149_51
; %bb.50:
	v_mov_b32_e32 v47, 0
	v_lshl_add_u64 v[34:35], s[12:13], 0, v[46:47]
	v_lshlrev_b32_e32 v36, 1, v52
	v_mov_b32_e32 v37, v47
	v_lshl_add_u64 v[34:35], v[34:35], 0, v[36:37]
	global_load_dwordx4 v[34:37], v[34:35], off
.LBB149_51:
	s_or_b64 exec, exec, s[0:1]
	v_or_b32_e32 v39, 1, v39
	v_cmp_gt_i32_e64 s[0:1], s58, v39
	v_lshlrev_b32_e32 v54, 8, v39
	v_mov_b32_e32 v39, 0
	v_mov_b32_e32 v40, 0
	;; [unrolled: 1-line block ×3, first 2 shown]
	s_and_saveexec_b64 s[2:3], s[0:1]
	s_cbranch_execz .LBB149_53
; %bb.52:
	v_mov_b32_e32 v55, 0
	v_lshl_add_u64 v[38:39], s[12:13], 0, v[54:55]
	v_lshlrev_b32_e32 v40, 1, v52
	v_mov_b32_e32 v41, v55
	v_lshl_add_u64 v[38:39], v[38:39], 0, v[40:41]
	global_load_dwordx4 v[38:41], v[38:39], off
.LBB149_53:
	s_or_b64 exec, exec, s[2:3]
	v_mov_b32_e32 v49, 0
	v_mov_b32_e32 v42, 0
	;; [unrolled: 1-line block ×5, first 2 shown]
	s_and_saveexec_b64 s[2:3], vcc
	s_cbranch_execz .LBB149_55
; %bb.54:
	v_mov_b32_e32 v47, 0
	v_lshl_add_u64 v[42:43], s[12:13], 0, v[46:47]
	v_lshlrev_b32_e32 v46, 1, v52
	v_lshl_add_u64 v[42:43], v[42:43], 0, v[46:47]
	global_load_dwordx4 v[42:45], v[42:43], off offset:128
.LBB149_55:
	s_or_b64 exec, exec, s[2:3]
	v_mov_b32_e32 v48, 0
	v_mov_b32_e32 v47, 0
	;; [unrolled: 1-line block ×3, first 2 shown]
	s_and_saveexec_b64 s[2:3], s[0:1]
	s_cbranch_execz .LBB149_57
; %bb.56:
	v_mov_b32_e32 v55, 0
	v_lshl_add_u64 v[46:47], s[12:13], 0, v[54:55]
	v_lshlrev_b32_e32 v54, 1, v52
	v_lshl_add_u64 v[46:47], v[46:47], 0, v[54:55]
	global_load_dwordx4 v[46:49], v[46:47], off offset:128
.LBB149_57:
	s_or_b64 exec, exec, s[2:3]
	s_branch .LBB149_60
.LBB149_58:
                                        ; implicit-def: $vgpr37
                                        ; implicit-def: $vgpr41
                                        ; implicit-def: $vgpr45
                                        ; implicit-def: $vgpr49
	s_cbranch_execz .LBB149_60
; %bb.59:
	s_waitcnt vmcnt(0)
	v_lshlrev_b32_e32 v34, 1, v52
	v_lshl_or_b32 v52, v51, 9, v34
	s_and_b32 s13, s13, 0xffff
	s_mov_b32 s15, 0x20000
	s_movk_i32 s14, 0x4000
	s_movk_i32 s0, 0x80
	buffer_load_dwordx4 v[34:37], v52, s[12:15], 0 offen
	buffer_load_dwordx4 v[38:41], v52, s[12:15], 0 offen offset:256
	buffer_load_dwordx4 v[42:45], v52, s[12:15], s0 offen
	buffer_load_dwordx4 v[46:49], v52, s[12:15], s0 offen offset:256
.LBB149_60:
	ds_read_b64 v[54:55], v64 offset:57344
	v_add_u32_e32 v52, 0x6000, v60
	ds_read2_b64 v[70:73], v52 offset1:16
	ds_read_b64 v[82:83], v65 offset:57344
	ds_read_b64 v[84:85], v66 offset:57344
	;; [unrolled: 1-line block ×3, first 2 shown]
	ds_read2_b64 v[64:67], v52 offset0:32 offset1:48
	v_and_b32_e32 v52, 12, v68
	v_and_b32_e32 v76, 6, v0
	v_xor_b32_e32 v51, v51, v76
	v_lshlrev_b32_e32 v51, 2, v51
	s_mov_b32 s0, 0x1000504
	s_waitcnt lgkmcnt(4)
	v_mfma_f32_16x16x16_bf16 a[4:7], v[54:55], v[72:73], a[4:7]
	s_mov_b32 s1, 0x3020706
	v_mfma_f32_16x16x16_bf16 a[0:3], v[54:55], v[70:71], a[0:3]
	ds_read2st64_b64 v[68:71], v60 offset0:52 offset1:56
	s_waitcnt lgkmcnt(1)
	v_mfma_f32_16x16x16_bf16 a[8:11], v[54:55], v[64:65], a[8:11]
	v_mfma_f32_16x16x16_bf16 a[12:15], v[54:55], v[66:67], a[12:15]
	ds_read2st64_b64 v[64:67], v61 offset0:52 offset1:56
	ds_read2st64_b64 v[72:75], v62 offset0:52 offset1:56
	;; [unrolled: 1-line block ×3, first 2 shown]
	s_waitcnt lgkmcnt(2)
	v_mfma_f32_16x16x16_bf16 a[4:7], v[82:83], v[64:65], a[4:7]
	v_and_b32_e32 v64, 1, v0
	v_xor_b32_e32 v65, 0x440, v51
	v_cmp_eq_u32_e32 vcc, 0, v64
	v_mfma_f32_16x16x16_bf16 a[0:3], v[82:83], v[68:69], a[0:3]
	s_waitcnt vmcnt(0)
	v_perm_b32 v64, v34, v38, s0
	v_cndmask_b32_e32 v51, v65, v51, vcc
	v_lshl_or_b32 v51, v76, 10, v51
	s_waitcnt lgkmcnt(1)
	v_mfma_f32_16x16x16_bf16 a[8:11], v[82:83], v[72:73], a[8:11]
	v_perm_b32 v65, v42, v46, s0
	ds_read_b64 v[54:55], v60 offset:30720
	ds_read_b64 v[68:69], v61 offset:30720
	;; [unrolled: 1-line block ×4, first 2 shown]
	ds_write2st64_b32 v51, v64, v65 offset0:128 offset1:160
	s_waitcnt lgkmcnt(5)
	v_mfma_f32_16x16x16_bf16 a[12:15], v[82:83], v[78:79], a[12:15]
	v_xor_b32_e32 v64, 8, v51
	v_perm_b32 v34, v34, v38, s1
	v_perm_b32 v38, v42, v46, s1
	v_add_u32_e32 v42, 0x80, v64
	ds_write2st64_b32 v42, v34, v38 offset0:128 offset1:160
	v_xor_b32_e32 v34, 16, v51
	v_perm_b32 v38, v35, v39, s0
	v_perm_b32 v42, v43, v47, s0
	v_mfma_f32_16x16x16_bf16 a[0:3], v[84:85], v[70:71], a[0:3]
	ds_write2st64_b32 v34, v38, v42 offset0:129 offset1:161
	v_xor_b32_e32 v34, 24, v51
	v_perm_b32 v35, v35, v39, s1
	v_mfma_f32_16x16x16_bf16 a[4:7], v[84:85], v[66:67], a[4:7]
	v_perm_b32 v38, v43, v47, s1
	v_add_u32_e32 v34, 0x80, v34
	ds_write2st64_b32 v34, v35, v38 offset0:129 offset1:161
	v_mfma_f32_16x16x16_bf16 a[16:19], v[84:85], v[74:75], a[8:11]
	v_xor_b32_e32 v34, 32, v51
	v_perm_b32 v35, v36, v40, s0
	v_perm_b32 v38, v44, v48, s0
	v_mfma_f32_16x16x16_bf16 a[20:23], v[84:85], v[80:81], a[12:15]
	ds_write2st64_b32 v34, v35, v38 offset0:130 offset1:162
	v_xor_b32_e32 v34, 40, v51
	v_perm_b32 v35, v36, v40, s1
	s_waitcnt lgkmcnt(8)
	v_mfma_f32_16x16x16_bf16 a[12:15], v[88:89], v[54:55], a[0:3]
	v_perm_b32 v36, v44, v48, s1
	v_add_u32_e32 v34, 0x80, v34
	ds_write2st64_b32 v34, v35, v36 offset0:130 offset1:162
	s_waitcnt lgkmcnt(8)
	v_mfma_f32_16x16x16_bf16 a[8:11], v[88:89], v[68:69], a[4:7]
	v_xor_b32_e32 v34, 48, v51
	v_perm_b32 v35, v37, v41, s0
	v_perm_b32 v36, v45, v49, s0
	s_waitcnt lgkmcnt(7)
	v_mfma_f32_16x16x16_bf16 a[4:7], v[88:89], v[90:91], a[16:19]
	ds_write2st64_b32 v34, v35, v36 offset0:131 offset1:163
	v_xor_b32_e32 v34, 56, v51
	v_or_b32_e32 v54, v52, v86
	s_waitcnt lgkmcnt(7)
	v_mfma_f32_16x16x16_bf16 a[0:3], v[88:89], v[92:93], a[20:23]
	v_perm_b32 v35, v37, v41, s1
	v_perm_b32 v36, v45, v49, s1
	v_add_u32_e32 v34, 0x80, v34
	v_cmp_gt_i32_e64 s[0:1], s58, v54
	v_mov_b32_e32 v64, 0
	v_mov_b32_e32 v65, 0
	ds_write2st64_b32 v34, v35, v36 offset0:131 offset1:163
	s_and_saveexec_b64 s[2:3], s[0:1]
	s_cbranch_execz .LBB149_62
; %bb.61:
	v_add_u32_e32 v34, s36, v54
	v_ashrrev_i32_e32 v35, 31, v34
	v_mul_lo_u32 v36, v35, s10
	v_mul_lo_u32 v37, v34, s11
	v_mad_u64_u32 v[34:35], s[4:5], v34, s10, 0
	v_add3_u32 v35, v35, v37, v36
	v_lshl_add_u64 v[34:35], v[34:35], 2, s[18:19]
	global_load_dword v34, v[34:35], off
	s_waitcnt vmcnt(0)
	v_sub_f32_e32 v34, s20, v34
	v_exp_f32_e32 v65, v34
.LBB149_62:
	s_or_b64 exec, exec, s[2:3]
	v_or_b32_e32 v46, 1, v54
	v_cmp_gt_i32_e64 s[4:5], s58, v46
	s_and_saveexec_b64 s[2:3], s[4:5]
	s_cbranch_execz .LBB149_64
; %bb.63:
	v_add_u32_e32 v34, s36, v46
	v_ashrrev_i32_e32 v35, 31, v34
	v_mul_lo_u32 v36, v35, s10
	v_mul_lo_u32 v37, v34, s11
	v_mad_u64_u32 v[34:35], s[12:13], v34, s10, 0
	v_add3_u32 v35, v35, v37, v36
	v_lshl_add_u64 v[34:35], v[34:35], 2, s[18:19]
	global_load_dword v34, v[34:35], off
	s_waitcnt vmcnt(0)
	v_sub_f32_e32 v34, s20, v34
	v_exp_f32_e32 v64, v34
.LBB149_64:
	s_or_b64 exec, exec, s[2:3]
	v_or_b32_e32 v42, 2, v54
	v_cmp_gt_i32_e64 s[2:3], s58, v42
	v_mov_b32_e32 v55, 0
	v_mov_b32_e32 v66, 0
	s_and_saveexec_b64 s[12:13], s[2:3]
	s_cbranch_execz .LBB149_66
; %bb.65:
	v_add_u32_e32 v34, s36, v42
	v_ashrrev_i32_e32 v35, 31, v34
	v_mul_lo_u32 v36, v35, s10
	v_mul_lo_u32 v37, v34, s11
	v_mad_u64_u32 v[34:35], s[14:15], v34, s10, 0
	v_add3_u32 v35, v35, v37, v36
	v_lshl_add_u64 v[34:35], v[34:35], 2, s[18:19]
	global_load_dword v34, v[34:35], off
	s_waitcnt vmcnt(0)
	v_sub_f32_e32 v34, s20, v34
	v_exp_f32_e32 v66, v34
.LBB149_66:
	s_or_b64 exec, exec, s[12:13]
	v_or_b32_e32 v43, 3, v54
	v_cmp_gt_i32_e32 vcc, s58, v43
	s_and_saveexec_b64 s[12:13], vcc
	s_cbranch_execz .LBB149_68
; %bb.67:
	v_add_u32_e32 v34, s36, v43
	v_ashrrev_i32_e32 v35, 31, v34
	v_mul_lo_u32 v36, v35, s10
	v_mul_lo_u32 v37, v34, s11
	v_mad_u64_u32 v[34:35], s[10:11], v34, s10, 0
	v_add3_u32 v35, v35, v37, v36
	v_lshl_add_u64 v[34:35], v[34:35], 2, s[18:19]
	global_load_dword v34, v[34:35], off
	s_waitcnt vmcnt(0)
	v_sub_f32_e32 v34, s20, v34
	v_exp_f32_e32 v55, v34
.LBB149_68:
	s_or_b64 exec, exec, s[12:13]
	s_add_u32 s10, s16, s38
	s_addc_u32 s11, s17, s39
	s_add_u32 s6, s6, s38
	v_ashrrev_i32_e32 v51, 31, v50
	v_accvgpr_read_b32 v37, a15
	s_addc_u32 s7, s7, s39
	v_lshlrev_b64 v[38:39], 1, v[50:51]
	v_accvgpr_read_b32 v36, a14
	v_accvgpr_read_b32 v35, a13
	;; [unrolled: 1-line block ×3, first 2 shown]
	v_lshl_add_u64 v[40:41], s[10:11], 0, v[38:39]
	v_lshl_add_u64 v[38:39], s[6:7], 0, v[38:39]
	v_mov_b32_e32 v47, 0
	v_lshlrev_b32_e32 v44, 8, v54
	v_mov_b32_e32 v45, 0
	s_and_saveexec_b64 s[6:7], s[0:1]
	s_cbranch_execz .LBB149_70
; %bb.69:
	v_mov_b32_e32 v45, 0
	v_lshl_add_u64 v[48:49], v[40:41], 0, v[44:45]
	global_load_ushort v51, v[48:49], off
	v_lshl_add_u64 v[48:49], v[38:39], 0, v[44:45]
	s_waitcnt vmcnt(0)
	v_lshlrev_b32_e32 v45, 16, v51
	v_sub_f32_e32 v34, v45, v34
	global_store_short_d16_hi v[48:49], v34, off
	v_mul_f32_e32 v34, v65, v34
	v_lshrrev_b32_e32 v45, 16, v34
.LBB149_70:
	s_or_b64 exec, exec, s[6:7]
	v_lshlrev_b32_e32 v46, 8, v46
	s_and_saveexec_b64 s[6:7], s[4:5]
	s_cbranch_execz .LBB149_72
; %bb.71:
	v_mov_b32_e32 v47, 0
	v_lshl_add_u64 v[48:49], v[40:41], 0, v[46:47]
	global_load_ushort v34, v[48:49], off
	v_lshl_add_u64 v[48:49], v[38:39], 0, v[46:47]
	s_waitcnt vmcnt(0)
	v_lshlrev_b32_e32 v34, 16, v34
	v_sub_f32_e32 v34, v34, v35
	global_store_short_d16_hi v[48:49], v34, off
	v_mul_f32_e32 v34, v64, v34
	v_lshrrev_b32_e32 v47, 16, v34
.LBB149_72:
	s_or_b64 exec, exec, s[6:7]
	v_mov_b32_e32 v67, 0
	v_lshlrev_b32_e32 v48, 8, v42
	v_mov_b32_e32 v49, 0
	s_and_saveexec_b64 s[6:7], s[2:3]
	s_cbranch_execz .LBB149_74
; %bb.73:
	v_mov_b32_e32 v49, 0
	v_lshl_add_u64 v[34:35], v[40:41], 0, v[48:49]
	global_load_ushort v42, v[34:35], off
	v_lshl_add_u64 v[34:35], v[38:39], 0, v[48:49]
	s_waitcnt vmcnt(0)
	v_lshlrev_b32_e32 v42, 16, v42
	v_sub_f32_e32 v36, v42, v36
	global_store_short_d16_hi v[34:35], v36, off
	v_mul_f32_e32 v34, v66, v36
	v_lshrrev_b32_e32 v49, 16, v34
.LBB149_74:
	s_or_b64 exec, exec, s[6:7]
	v_lshlrev_b32_e32 v42, 8, v43
	s_and_saveexec_b64 s[6:7], vcc
	s_cbranch_execz .LBB149_76
; %bb.75:
	v_mov_b32_e32 v43, 0
	v_lshl_add_u64 v[34:35], v[40:41], 0, v[42:43]
	global_load_ushort v36, v[34:35], off
	v_lshl_add_u64 v[34:35], v[38:39], 0, v[42:43]
	s_waitcnt vmcnt(0)
	v_lshlrev_b32_e32 v36, 16, v36
	v_sub_f32_e32 v36, v36, v37
	global_store_short_d16_hi v[34:35], v36, off
	v_mul_f32_e32 v34, v55, v36
	v_lshrrev_b32_e32 v67, 16, v34
.LBB149_76:
	s_or_b64 exec, exec, s[6:7]
	v_lshlrev_b32_e32 v51, 6, v54
	v_accvgpr_read_b32 v37, a11
	s_mov_b32 s6, 0x5040100
	v_or_b32_e32 v43, v51, v59
	v_accvgpr_read_b32 v36, a10
	v_accvgpr_read_b32 v35, a9
	;; [unrolled: 1-line block ×3, first 2 shown]
	v_perm_b32 v69, v67, v49, s6
	v_perm_b32 v68, v47, v45, s6
	v_lshlrev_b32_e32 v43, 1, v43
	v_mov_b32_e32 v47, 0
	v_mov_b32_e32 v45, 0
	ds_write_b64 v43, v[68:69] offset:24576
	s_and_saveexec_b64 s[6:7], s[0:1]
	s_cbranch_execz .LBB149_78
; %bb.77:
	v_mov_b32_e32 v45, 0
	v_lshl_add_u64 v[68:69], v[40:41], 0, v[44:45]
	global_load_ushort v43, v[68:69], off offset:32
	v_lshl_add_u64 v[68:69], v[38:39], 0, v[44:45]
	s_waitcnt vmcnt(0)
	v_lshlrev_b32_e32 v43, 16, v43
	v_sub_f32_e32 v34, v43, v34
	global_store_short_d16_hi v[68:69], v34, off offset:32
	v_mul_f32_e32 v34, v65, v34
	v_lshrrev_b32_e32 v45, 16, v34
.LBB149_78:
	s_or_b64 exec, exec, s[6:7]
	s_and_saveexec_b64 s[6:7], s[4:5]
	s_cbranch_execz .LBB149_80
; %bb.79:
	v_mov_b32_e32 v47, 0
	v_lshl_add_u64 v[68:69], v[40:41], 0, v[46:47]
	global_load_ushort v34, v[68:69], off offset:32
	v_lshl_add_u64 v[68:69], v[38:39], 0, v[46:47]
	s_waitcnt vmcnt(0)
	v_lshlrev_b32_e32 v34, 16, v34
	v_sub_f32_e32 v34, v34, v35
	global_store_short_d16_hi v[68:69], v34, off offset:32
	v_mul_f32_e32 v34, v64, v34
	v_lshrrev_b32_e32 v47, 16, v34
.LBB149_80:
	s_or_b64 exec, exec, s[6:7]
	v_mov_b32_e32 v43, 0
	v_mov_b32_e32 v49, 0
	s_and_saveexec_b64 s[6:7], s[2:3]
	s_cbranch_execz .LBB149_82
; %bb.81:
	v_mov_b32_e32 v49, 0
	v_lshl_add_u64 v[34:35], v[40:41], 0, v[48:49]
	global_load_ushort v59, v[34:35], off offset:32
	v_lshl_add_u64 v[34:35], v[38:39], 0, v[48:49]
	s_waitcnt vmcnt(0)
	v_lshlrev_b32_e32 v49, 16, v59
	v_sub_f32_e32 v36, v49, v36
	global_store_short_d16_hi v[34:35], v36, off offset:32
	v_mul_f32_e32 v34, v66, v36
	v_lshrrev_b32_e32 v49, 16, v34
.LBB149_82:
	s_or_b64 exec, exec, s[6:7]
	s_and_saveexec_b64 s[6:7], vcc
	s_cbranch_execz .LBB149_84
; %bb.83:
	v_mov_b32_e32 v43, 0
	v_lshl_add_u64 v[34:35], v[40:41], 0, v[42:43]
	global_load_ushort v36, v[34:35], off offset:32
	v_lshl_add_u64 v[34:35], v[38:39], 0, v[42:43]
	s_waitcnt vmcnt(0)
	v_lshlrev_b32_e32 v36, 16, v36
	v_sub_f32_e32 v36, v36, v37
	global_store_short_d16_hi v[34:35], v36, off offset:32
	v_mul_f32_e32 v34, v55, v36
	v_lshrrev_b32_e32 v43, 16, v34
.LBB149_84:
	s_or_b64 exec, exec, s[6:7]
	s_mov_b32 s6, 0x5040100
	v_accvgpr_read_b32 v37, a7
	v_perm_b32 v69, v43, v49, s6
	v_or_b32_e32 v43, v51, v57
	v_accvgpr_read_b32 v36, a6
	v_accvgpr_read_b32 v35, a5
	;; [unrolled: 1-line block ×3, first 2 shown]
	v_perm_b32 v68, v47, v45, s6
	v_lshlrev_b32_e32 v43, 1, v43
	v_mov_b32_e32 v47, 0
	v_mov_b32_e32 v45, 0
	ds_write_b64 v43, v[68:69] offset:24576
	s_and_saveexec_b64 s[6:7], s[0:1]
	s_cbranch_execz .LBB149_86
; %bb.85:
	v_mov_b32_e32 v45, 0
	v_lshl_add_u64 v[68:69], v[40:41], 0, v[44:45]
	global_load_ushort v43, v[68:69], off offset:64
	v_lshl_add_u64 v[68:69], v[38:39], 0, v[44:45]
	s_waitcnt vmcnt(0)
	v_lshlrev_b32_e32 v43, 16, v43
	v_sub_f32_e32 v34, v43, v34
	global_store_short_d16_hi v[68:69], v34, off offset:64
	v_mul_f32_e32 v34, v65, v34
	v_lshrrev_b32_e32 v45, 16, v34
.LBB149_86:
	s_or_b64 exec, exec, s[6:7]
	s_and_saveexec_b64 s[6:7], s[4:5]
	s_cbranch_execz .LBB149_88
; %bb.87:
	v_mov_b32_e32 v47, 0
	v_lshl_add_u64 v[68:69], v[40:41], 0, v[46:47]
	global_load_ushort v34, v[68:69], off offset:64
	v_lshl_add_u64 v[68:69], v[38:39], 0, v[46:47]
	s_waitcnt vmcnt(0)
	v_lshlrev_b32_e32 v34, 16, v34
	v_sub_f32_e32 v34, v34, v35
	global_store_short_d16_hi v[68:69], v34, off offset:64
	v_mul_f32_e32 v34, v64, v34
	v_lshrrev_b32_e32 v47, 16, v34
.LBB149_88:
	s_or_b64 exec, exec, s[6:7]
	v_mov_b32_e32 v43, 0
	v_mov_b32_e32 v49, 0
	s_and_saveexec_b64 s[6:7], s[2:3]
	s_cbranch_execz .LBB149_90
; %bb.89:
	v_mov_b32_e32 v49, 0
	v_lshl_add_u64 v[34:35], v[40:41], 0, v[48:49]
	global_load_ushort v57, v[34:35], off offset:64
	v_lshl_add_u64 v[34:35], v[38:39], 0, v[48:49]
	s_waitcnt vmcnt(0)
	v_lshlrev_b32_e32 v49, 16, v57
	v_sub_f32_e32 v36, v49, v36
	global_store_short_d16_hi v[34:35], v36, off offset:64
	v_mul_f32_e32 v34, v66, v36
	v_lshrrev_b32_e32 v49, 16, v34
.LBB149_90:
	s_or_b64 exec, exec, s[6:7]
	s_and_saveexec_b64 s[6:7], vcc
	s_cbranch_execz .LBB149_92
; %bb.91:
	v_mov_b32_e32 v43, 0
	v_lshl_add_u64 v[34:35], v[40:41], 0, v[42:43]
	global_load_ushort v36, v[34:35], off offset:64
	v_lshl_add_u64 v[34:35], v[38:39], 0, v[42:43]
	s_waitcnt vmcnt(0)
	v_lshlrev_b32_e32 v36, 16, v36
	v_sub_f32_e32 v36, v36, v37
	global_store_short_d16_hi v[34:35], v36, off offset:64
	v_mul_f32_e32 v34, v55, v36
	v_lshrrev_b32_e32 v43, 16, v34
.LBB149_92:
	s_or_b64 exec, exec, s[6:7]
	s_mov_b32 s6, 0x5040100
	v_accvgpr_read_b32 v37, a3
	v_perm_b32 v69, v43, v49, s6
	v_or_b32_e32 v43, v51, v56
	v_accvgpr_read_b32 v36, a2
	v_accvgpr_read_b32 v35, a1
	;; [unrolled: 1-line block ×3, first 2 shown]
	v_perm_b32 v68, v47, v45, s6
	v_lshlrev_b32_e32 v43, 1, v43
	v_mov_b32_e32 v47, 0
	v_mov_b32_e32 v45, 0
	ds_write_b64 v43, v[68:69] offset:24576
	s_and_saveexec_b64 s[6:7], s[0:1]
	s_cbranch_execz .LBB149_94
; %bb.93:
	v_mov_b32_e32 v45, 0
	v_lshl_add_u64 v[56:57], v[40:41], 0, v[44:45]
	global_load_ushort v43, v[56:57], off offset:96
	v_lshl_add_u64 v[44:45], v[38:39], 0, v[44:45]
	s_waitcnt vmcnt(0)
	v_lshlrev_b32_e32 v43, 16, v43
	v_sub_f32_e32 v34, v43, v34
	global_store_short_d16_hi v[44:45], v34, off offset:96
	v_mul_f32_e32 v34, v65, v34
	v_lshrrev_b32_e32 v45, 16, v34
.LBB149_94:
	s_or_b64 exec, exec, s[6:7]
	s_and_saveexec_b64 s[0:1], s[4:5]
	s_cbranch_execz .LBB149_96
; %bb.95:
	v_mov_b32_e32 v47, 0
	v_lshl_add_u64 v[56:57], v[40:41], 0, v[46:47]
	global_load_ushort v34, v[56:57], off offset:96
	v_lshl_add_u64 v[46:47], v[38:39], 0, v[46:47]
	s_waitcnt vmcnt(0)
	v_lshlrev_b32_e32 v34, 16, v34
	v_sub_f32_e32 v34, v34, v35
	global_store_short_d16_hi v[46:47], v34, off offset:96
	v_mul_f32_e32 v34, v64, v34
	v_lshrrev_b32_e32 v47, 16, v34
.LBB149_96:
	s_or_b64 exec, exec, s[0:1]
	v_mov_b32_e32 v43, 0
	v_mov_b32_e32 v46, 0
	s_and_saveexec_b64 s[0:1], s[2:3]
	s_cbranch_execz .LBB149_98
; %bb.97:
	v_mov_b32_e32 v49, 0
	v_lshl_add_u64 v[34:35], v[40:41], 0, v[48:49]
	global_load_ushort v44, v[34:35], off offset:96
	v_lshl_add_u64 v[34:35], v[38:39], 0, v[48:49]
	s_waitcnt vmcnt(0)
	v_lshlrev_b32_e32 v44, 16, v44
	v_sub_f32_e32 v36, v44, v36
	global_store_short_d16_hi v[34:35], v36, off offset:96
	v_mul_f32_e32 v34, v66, v36
	v_lshrrev_b32_e32 v46, 16, v34
.LBB149_98:
	s_or_b64 exec, exec, s[0:1]
	v_or_b32_e32 v34, 0x6000, v60
	v_or_b32_e32 v35, 0x6000, v61
	;; [unrolled: 1-line block ×4, first 2 shown]
	s_and_saveexec_b64 s[0:1], vcc
	s_cbranch_execz .LBB149_100
; %bb.99:
	v_mov_b32_e32 v43, 0
	v_lshl_add_u64 v[40:41], v[40:41], 0, v[42:43]
	global_load_ushort v40, v[40:41], off offset:96
	v_lshl_add_u64 v[38:39], v[38:39], 0, v[42:43]
	s_waitcnt vmcnt(0)
	v_lshlrev_b32_e32 v40, 16, v40
	v_sub_f32_e32 v37, v40, v37
	global_store_short_d16_hi v[38:39], v37, off offset:96
	v_mul_f32_e32 v37, v55, v37
	v_lshrrev_b32_e32 v43, 16, v37
.LBB149_100:
	s_or_b64 exec, exec, s[0:1]
	s_mov_b32 s0, 0x5040100
	v_or_b32_e32 v37, v51, v53
	v_perm_b32 v39, v43, v46, s0
	v_perm_b32 v38, v47, v45, s0
	v_lshlrev_b32_e32 v37, 1, v37
	ds_write_b64 v37, v[38:39] offset:24576
	v_and_b32_e32 v37, 7, v0
	v_and_b32_e32 v42, 8, v0
	v_lshlrev_b32_e32 v45, 3, v37
	v_lshlrev_b32_e32 v51, 7, v37
	v_lshrrev_b32_e32 v37, 1, v0
	v_and_b32_e32 v37, 24, v37
	v_mov_b32_e32 v43, 0x400
	v_cmp_eq_u32_e32 vcc, 0, v42
	s_movk_i32 s2, 0x100
	v_lshlrev_b32_e32 v55, 3, v77
	v_cndmask_b32_e64 v53, v43, 64, vcc
	v_mov_b32_e32 v42, 0xa000
	v_mov_b32_e32 v43, 0x8000
	v_cmp_gt_u32_e64 s[0:1], s2, v0
	v_xor_b32_e32 v59, v55, v37
	v_or_b32_e32 v46, 32, v37
	v_cndmask_b32_e64 v0, v42, v43, s[0:1]
	v_or_b32_e32 v42, 0x440, v59
	v_cndmask_b32_e32 v42, v42, v59, vcc
	v_or_b32_e32 v42, v42, v58
	v_xor_b32_e32 v82, v42, v45
	v_xor_b32_e32 v46, v55, v46
	v_add3_u32 v42, v0, v82, v51
	v_or_b32_e32 v47, 0x440, v46
	s_waitcnt lgkmcnt(0)
	s_barrier
	ds_read_b64 v[42:43], v42
	v_cndmask_b32_e32 v46, v47, v46, vcc
	v_or_b32_e32 v46, v46, v58
	v_xor_b32_e32 v83, v46, v45
	v_add3_u32 v46, v0, v83, v51
	ds_read_b64 v[56:57], v46
	ds_read2_b64 v[38:41], v34 offset1:16
	ds_read2_b64 v[46:49], v34 offset0:32 offset1:48
	v_or_b32_e32 v37, 0x60, v37
	v_xor_b32_e32 v37, v55, v37
	s_waitcnt lgkmcnt(1)
	v_mfma_f32_16x16x16_bf16 a[0:3], v[42:43], v[38:39], 0
	s_mul_i32 s0, s22, s21
	ds_read2st64_b64 v[60:63], v34 offset0:4 offset1:8
	s_mul_hi_i32 s1, s22, s21
	v_mfma_f32_16x16x16_bf16 a[4:7], v[42:43], v[40:41], 0
	ds_read2st64_b64 v[64:67], v35 offset0:4 offset1:8
	s_add_u32 s0, s0, s49
	ds_read2st64_b64 v[68:71], v36 offset0:4 offset1:8
	s_waitcnt lgkmcnt(3)
	v_mfma_f32_16x16x16_bf16 a[8:11], v[42:43], v[46:47], 0
	ds_read2st64_b64 v[72:75], v44 offset0:4 offset1:8
	s_addc_u32 s1, s1, s37
	s_lshl_b64 s[0:1], s[0:1], 9
	v_mfma_f32_16x16x16_bf16 a[12:15], v[42:43], v[48:49], 0
	v_or3_b32 v42, v58, v53, v59
	v_xor_b32_e32 v53, 0x440, v37
	v_cndmask_b32_e32 v37, v53, v37, vcc
	v_xor_b32_e32 v42, v42, v45
	v_or_b32_e32 v37, v37, v58
	v_or_b32_e32 v84, v42, v51
	v_xor_b32_e32 v85, v37, v45
	v_or_b32_e32 v42, v0, v84
	v_add3_u32 v0, v0, v85, v51
	s_add_u32 s0, s40, s0
	ds_read_b64 v[42:43], v42
	ds_read_b64 v[58:59], v0
	s_addc_u32 s1, s41, s1
	v_lshlrev_b32_e32 v0, 2, v54
	s_waitcnt lgkmcnt(5)
	v_mfma_f32_16x16x16_bf16 a[0:3], v[56:57], v[60:61], a[0:3]
	v_lshlrev_b32_e32 v37, 2, v52
	s_waitcnt lgkmcnt(4)
	v_mfma_f32_16x16x16_bf16 a[4:7], v[56:57], v[64:65], a[4:7]
	s_waitcnt lgkmcnt(3)
	v_mfma_f32_16x16x16_bf16 a[8:11], v[56:57], v[68:69], a[8:11]
	;; [unrolled: 2-line block ×3, first 2 shown]
	global_load_dwordx4 v[54:57], v0, s[0:1]
	v_lshlrev_b32_e32 v0, 6, v77
	v_or3_b32 v0, v0, v37, s2
	global_load_dwordx4 v[76:79], v0, s[0:1]
	s_waitcnt lgkmcnt(1)
	v_mfma_f32_16x16x16_bf16 a[0:3], v[42:43], v[62:63], a[0:3]
	v_exp_f32_e32 v0, s20
	s_waitcnt vmcnt(1)
	v_exp_f32_e32 v37, v57
	v_mfma_f32_16x16x16_bf16 a[4:7], v[42:43], v[66:67], a[4:7]
	v_mfma_f32_16x16x16_bf16 a[8:11], v[42:43], v[70:71], a[8:11]
	;; [unrolled: 1-line block ×3, first 2 shown]
	ds_read_b64 v[42:43], v34 offset:6144
	ds_read_b64 v[52:53], v35 offset:6144
	;; [unrolled: 1-line block ×4, first 2 shown]
	v_exp_f32_e32 v34, v54
	v_add_u32_e32 v54, v82, v51
	v_exp_f32_e32 v35, v55
	ds_read_b64 v[54:55], v54 offset:40960
	s_waitcnt lgkmcnt(4)
	v_mfma_f32_16x16x16_bf16 a[0:3], v[58:59], v[42:43], a[0:3]
	v_exp_f32_e32 v36, v56
	v_pk_mul_f32 v[34:35], v[0:1], v[34:35] op_sel_hi:[0,1]
	v_pk_mul_f32 v[30:31], v[30:31], v[34:35]
	s_waitcnt lgkmcnt(3)
	v_mfma_f32_16x16x16_bf16 a[4:7], v[58:59], v[52:53], a[4:7]
	v_pk_mul_f32 v[36:37], v[0:1], v[36:37] op_sel_hi:[0,1]
	v_pk_mul_f32 v[32:33], v[32:33], v[36:37]
	v_pk_mul_f32 v[22:23], v[34:35], v[22:23]
	s_waitcnt lgkmcnt(0)
	v_mfma_f32_16x16x16_bf16 a[20:23], v[54:55], v[40:41], 0
	v_accvgpr_read_b32 v40, a0
	v_add_f32_e32 v30, v30, v40
	v_accvgpr_read_b32 v40, a1
	v_add_f32_e32 v31, v31, v40
	;; [unrolled: 2-line block ×4, first 2 shown]
	v_accvgpr_read_b32 v40, a4
	v_add_u32_e32 v56, v83, v51
	v_add_f32_e32 v22, v22, v40
	v_accvgpr_read_b32 v40, a5
	v_mfma_f32_16x16x16_bf16 a[8:11], v[58:59], v[80:81], a[8:11]
	v_add_u32_e32 v51, v85, v51
	v_add_f32_e32 v23, v23, v40
	v_pk_mul_f32 v[24:25], v[36:37], v[24:25]
	v_mfma_f32_16x16x16_bf16 a[12:15], v[58:59], v[44:45], a[12:15]
	ds_read_b64 v[56:57], v56 offset:40960
	ds_read_b64 v[58:59], v51 offset:40960
	;; [unrolled: 1-line block ×3, first 2 shown]
	v_pk_mul_f32 v[14:15], v[34:35], v[14:15]
	v_mfma_f32_16x16x16_bf16 a[16:19], v[54:55], v[38:39], 0
	v_pk_mul_f32 v[16:17], v[36:37], v[16:17]
	s_nop 0
	v_accvgpr_read_b32 v39, a15
	v_mfma_f32_16x16x16_bf16 a[24:27], v[54:55], v[46:47], 0
	v_accvgpr_read_b32 v46, a6
	v_add_f32_e32 v24, v24, v46
	v_accvgpr_read_b32 v46, a7
	s_waitcnt lgkmcnt(2)
	v_mfma_f32_16x16x16_bf16 a[0:3], v[56:57], v[60:61], a[16:19]
	v_add_f32_e32 v25, v25, v46
	v_accvgpr_read_b32 v46, a8
	v_add_f32_e32 v14, v14, v46
	v_accvgpr_read_b32 v46, a9
	;; [unrolled: 2-line block ×4, first 2 shown]
	v_accvgpr_read_b32 v38, a14
	v_mfma_f32_16x16x16_bf16 a[14:17], v[56:57], v[64:65], a[20:23]
	v_add_f32_e32 v17, v17, v46
	v_accvgpr_read_b32 v47, a13
	v_accvgpr_read_b32 v46, a12
	s_waitcnt lgkmcnt(0)
	v_mfma_f32_16x16x16_bf16 a[0:3], v[40:41], v[62:63], a[0:3]
	v_pk_fma_f32 v[2:3], v[34:35], v[2:3], v[46:47]
	v_pk_fma_f32 v[4:5], v[36:37], v[4:5], v[38:39]
	s_waitcnt vmcnt(0)
	v_mov_b32_e32 v34, v77
	v_mfma_f32_16x16x16_bf16 a[28:31], v[54:55], v[48:49], 0
	v_mov_b32_e32 v35, v78
	v_mov_b32_e32 v36, v79
	v_exp_f32_e32 v38, v76
	v_exp_f32_e32 v39, v34
	v_mfma_f32_16x16x16_bf16 a[18:21], v[56:57], v[68:69], a[24:27]
	v_exp_f32_e32 v34, v35
	v_exp_f32_e32 v35, v36
	v_pk_mul_f32 v[36:37], v[0:1], v[38:39] op_sel_hi:[0,1]
	v_mfma_f32_16x16x16_bf16 a[14:17], v[40:41], v[66:67], a[14:17]
	v_pk_mul_f32 v[26:27], v[26:27], v[36:37]
	v_pk_mul_f32 v[34:35], v[0:1], v[34:35] op_sel_hi:[0,1]
	v_pk_mul_f32 v[28:29], v[28:29], v[34:35]
	v_mfma_f32_16x16x16_bf16 a[0:3], v[58:59], v[42:43], a[0:3]
	v_pk_mul_f32 v[18:19], v[36:37], v[18:19]
	v_pk_mul_f32 v[20:21], v[34:35], v[20:21]
	;; [unrolled: 1-line block ×3, first 2 shown]
	v_mfma_f32_16x16x16_bf16 a[4:7], v[56:57], v[72:73], a[28:31]
	v_pk_mul_f32 v[12:13], v[34:35], v[12:13]
	v_mfma_f32_16x16x16_bf16 a[8:11], v[40:41], v[70:71], a[18:21]
	s_nop 0
	v_accvgpr_read_b32 v0, a0
	v_add_f32_e32 v26, v26, v0
	v_accvgpr_read_b32 v0, a1
	v_mfma_f32_16x16x16_bf16 a[12:15], v[58:59], v[52:53], a[14:17]
	v_add_f32_e32 v27, v27, v0
	v_accvgpr_read_b32 v0, a2
	v_add_f32_e32 v28, v28, v0
	v_mfma_f32_16x16x16_bf16 a[4:7], v[40:41], v[74:75], a[4:7]
	v_accvgpr_read_b32 v0, a3
	v_add_f32_e32 v29, v29, v0
	v_mfma_f32_16x16x16_bf16 a[8:11], v[58:59], v[80:81], a[8:11]
	v_accvgpr_read_b32 v0, a12
	v_add_f32_e32 v18, v18, v0
	v_accvgpr_read_b32 v0, a13
	v_mfma_f32_16x16x16_bf16 a[4:7], v[58:59], v[44:45], a[4:7]
	v_add_f32_e32 v19, v19, v0
	v_accvgpr_read_b32 v0, a14
	v_add_f32_e32 v20, v20, v0
	v_accvgpr_read_b32 v0, a15
	v_add_f32_e32 v21, v21, v0
	v_accvgpr_read_b32 v0, a8
	v_add_f32_e32 v10, v10, v0
	v_accvgpr_read_b32 v0, a9
	v_add_f32_e32 v11, v11, v0
	v_accvgpr_read_b32 v0, a10
	v_accvgpr_read_b32 v41, a5
	v_accvgpr_read_b32 v39, a7
	;; [unrolled: 1-line block ×3, first 2 shown]
	v_add_f32_e32 v12, v12, v0
	v_accvgpr_read_b32 v0, a11
	v_accvgpr_read_b32 v40, a4
	v_add_f32_e32 v13, v13, v0
	v_pk_fma_f32 v[6:7], v[36:37], v[6:7], v[40:41]
	v_pk_fma_f32 v[8:9], v[34:35], v[8:9], v[38:39]
	v_mov_b32_e32 v34, v50
.LBB149_101:
	s_mul_i32 s0, s33, s35
	s_mul_hi_u32 s1, s33, s34
	s_add_i32 s0, s1, s0
	s_mul_i32 s1, s48, s34
	s_add_i32 s1, s0, s1
	s_mul_i32 s0, s33, s34
	s_add_u32 s0, s0, s49
	s_addc_u32 s1, s1, s37
	s_lshl_b64 s[0:1], s[0:1], 16
	s_add_u32 s0, s8, s0
	v_lshlrev_b32_e32 v34, 7, v34
	s_addc_u32 s1, s9, s1
	v_ashrrev_i32_e32 v35, 31, v34
	v_lshl_add_u64 v[36:37], v[34:35], 2, s[0:1]
	v_lshlrev_b32_e32 v0, 2, v1
	v_mov_b32_e32 v1, 0
	v_lshl_add_u64 v[36:37], v[36:37], 0, v[0:1]
	global_store_dwordx4 v[36:37], v[30:33], off
	global_store_dwordx4 v[36:37], v[26:29], off offset:256
	s_nop 1
	v_or_b32_e32 v26, 0x800, v34
	v_ashrrev_i32_e32 v27, 31, v26
	v_lshl_add_u64 v[26:27], v[26:27], 2, s[0:1]
	v_lshl_add_u64 v[26:27], v[26:27], 0, v[0:1]
	global_store_dwordx4 v[26:27], v[22:25], off
	global_store_dwordx4 v[26:27], v[18:21], off offset:256
	s_nop 1
	v_or_b32_e32 v18, 0x1000, v34
	v_ashrrev_i32_e32 v19, 31, v18
	v_lshl_add_u64 v[18:19], v[18:19], 2, s[0:1]
	;; [unrolled: 7-line block ×3, first 2 shown]
	v_lshl_add_u64 v[0:1], v[10:11], 0, v[0:1]
	global_store_dwordx4 v[0:1], v[2:5], off
	global_store_dwordx4 v[0:1], v[6:9], off offset:256
	s_endpgm
	.section	.rodata,"a",@progbits
	.p2align	6, 0x0
	.amdhsa_kernel _ZN12_GLOBAL__N_139chunk_gated_delta_rule_fwd_h_hip_kernelILi64ELb0ELb1ELb1ELb1ELb1ELb1ELb0ELb0EEEvPK12hip_bfloat16S3_S3_PKfS5_PKvPS1_S8_PvPKiSB_iiiiilll
		.amdhsa_group_segment_fixed_size 65536
		.amdhsa_private_segment_fixed_size 0
		.amdhsa_kernarg_size 136
		.amdhsa_user_sgpr_count 2
		.amdhsa_user_sgpr_dispatch_ptr 0
		.amdhsa_user_sgpr_queue_ptr 0
		.amdhsa_user_sgpr_kernarg_segment_ptr 1
		.amdhsa_user_sgpr_dispatch_id 0
		.amdhsa_user_sgpr_kernarg_preload_length 0
		.amdhsa_user_sgpr_kernarg_preload_offset 0
		.amdhsa_user_sgpr_private_segment_size 0
		.amdhsa_uses_dynamic_stack 0
		.amdhsa_enable_private_segment 0
		.amdhsa_system_sgpr_workgroup_id_x 1
		.amdhsa_system_sgpr_workgroup_id_y 1
		.amdhsa_system_sgpr_workgroup_id_z 0
		.amdhsa_system_sgpr_workgroup_info 0
		.amdhsa_system_vgpr_workitem_id 0
		.amdhsa_next_free_vgpr 232
		.amdhsa_next_free_sgpr 69
		.amdhsa_accum_offset 192
		.amdhsa_reserve_vcc 1
		.amdhsa_float_round_mode_32 0
		.amdhsa_float_round_mode_16_64 0
		.amdhsa_float_denorm_mode_32 3
		.amdhsa_float_denorm_mode_16_64 3
		.amdhsa_dx10_clamp 1
		.amdhsa_ieee_mode 1
		.amdhsa_fp16_overflow 0
		.amdhsa_tg_split 0
		.amdhsa_exception_fp_ieee_invalid_op 0
		.amdhsa_exception_fp_denorm_src 0
		.amdhsa_exception_fp_ieee_div_zero 0
		.amdhsa_exception_fp_ieee_overflow 0
		.amdhsa_exception_fp_ieee_underflow 0
		.amdhsa_exception_fp_ieee_inexact 0
		.amdhsa_exception_int_div_zero 0
	.end_amdhsa_kernel
	.section	.text._ZN12_GLOBAL__N_139chunk_gated_delta_rule_fwd_h_hip_kernelILi64ELb0ELb1ELb1ELb1ELb1ELb1ELb0ELb0EEEvPK12hip_bfloat16S3_S3_PKfS5_PKvPS1_S8_PvPKiSB_iiiiilll,"axG",@progbits,_ZN12_GLOBAL__N_139chunk_gated_delta_rule_fwd_h_hip_kernelILi64ELb0ELb1ELb1ELb1ELb1ELb1ELb0ELb0EEEvPK12hip_bfloat16S3_S3_PKfS5_PKvPS1_S8_PvPKiSB_iiiiilll,comdat
.Lfunc_end149:
	.size	_ZN12_GLOBAL__N_139chunk_gated_delta_rule_fwd_h_hip_kernelILi64ELb0ELb1ELb1ELb1ELb1ELb1ELb0ELb0EEEvPK12hip_bfloat16S3_S3_PKfS5_PKvPS1_S8_PvPKiSB_iiiiilll, .Lfunc_end149-_ZN12_GLOBAL__N_139chunk_gated_delta_rule_fwd_h_hip_kernelILi64ELb0ELb1ELb1ELb1ELb1ELb1ELb0ELb0EEEvPK12hip_bfloat16S3_S3_PKfS5_PKvPS1_S8_PvPKiSB_iiiiilll
                                        ; -- End function
	.section	.AMDGPU.csdata,"",@progbits
; Kernel info:
; codeLenInByte = 12908
; NumSgprs: 75
; NumVgprs: 190
; NumAgprs: 40
; TotalNumVgprs: 232
; ScratchSize: 0
; MemoryBound: 0
; FloatMode: 240
; IeeeMode: 1
; LDSByteSize: 65536 bytes/workgroup (compile time only)
; SGPRBlocks: 9
; VGPRBlocks: 28
; NumSGPRsForWavesPerEU: 75
; NumVGPRsForWavesPerEU: 232
; AccumOffset: 192
; Occupancy: 1
; WaveLimiterHint : 1
; COMPUTE_PGM_RSRC2:SCRATCH_EN: 0
; COMPUTE_PGM_RSRC2:USER_SGPR: 2
; COMPUTE_PGM_RSRC2:TRAP_HANDLER: 0
; COMPUTE_PGM_RSRC2:TGID_X_EN: 1
; COMPUTE_PGM_RSRC2:TGID_Y_EN: 1
; COMPUTE_PGM_RSRC2:TGID_Z_EN: 0
; COMPUTE_PGM_RSRC2:TIDIG_COMP_CNT: 0
; COMPUTE_PGM_RSRC3_GFX90A:ACCUM_OFFSET: 47
; COMPUTE_PGM_RSRC3_GFX90A:TG_SPLIT: 0
	.section	.text._ZN12_GLOBAL__N_139chunk_gated_delta_rule_fwd_h_hip_kernelILi64ELb0ELb1ELb0ELb1ELb1ELb1ELb0ELb0EEEvPK12hip_bfloat16S3_S3_PKfS5_PKvPS1_S8_PvPKiSB_iiiiilll,"axG",@progbits,_ZN12_GLOBAL__N_139chunk_gated_delta_rule_fwd_h_hip_kernelILi64ELb0ELb1ELb0ELb1ELb1ELb1ELb0ELb0EEEvPK12hip_bfloat16S3_S3_PKfS5_PKvPS1_S8_PvPKiSB_iiiiilll,comdat
	.globl	_ZN12_GLOBAL__N_139chunk_gated_delta_rule_fwd_h_hip_kernelILi64ELb0ELb1ELb0ELb1ELb1ELb1ELb0ELb0EEEvPK12hip_bfloat16S3_S3_PKfS5_PKvPS1_S8_PvPKiSB_iiiiilll ; -- Begin function _ZN12_GLOBAL__N_139chunk_gated_delta_rule_fwd_h_hip_kernelILi64ELb0ELb1ELb0ELb1ELb1ELb1ELb0ELb0EEEvPK12hip_bfloat16S3_S3_PKfS5_PKvPS1_S8_PvPKiSB_iiiiilll
	.p2align	8
	.type	_ZN12_GLOBAL__N_139chunk_gated_delta_rule_fwd_h_hip_kernelILi64ELb0ELb1ELb0ELb1ELb1ELb1ELb0ELb0EEEvPK12hip_bfloat16S3_S3_PKfS5_PKvPS1_S8_PvPKiSB_iiiiilll,@function
_ZN12_GLOBAL__N_139chunk_gated_delta_rule_fwd_h_hip_kernelILi64ELb0ELb1ELb0ELb1ELb1ELb1ELb0ELb0EEEvPK12hip_bfloat16S3_S3_PKfS5_PKvPS1_S8_PvPKiSB_iiiiilll: ; @_ZN12_GLOBAL__N_139chunk_gated_delta_rule_fwd_h_hip_kernelILi64ELb0ELb1ELb0ELb1ELb1ELb1ELb0ELb0EEEvPK12hip_bfloat16S3_S3_PKfS5_PKvPS1_S8_PvPKiSB_iiiiilll
; %bb.0:
	s_load_dwordx4 s[16:19], s[0:1], 0x5c
	s_load_dwordx8 s[4:11], s[0:1], 0x0
	s_load_dwordx4 s[20:23], s[0:1], 0x70
	s_abs_i32 s27, s3
	s_ashr_i32 s26, s3, 31
	s_waitcnt lgkmcnt(0)
	s_abs_i32 s28, s17
	v_cvt_f32_u32_e32 v1, s28
	s_sub_i32 s29, 0, s28
	s_ashr_i32 s46, s17, 31
	s_xor_b32 s26, s26, s46
	v_rcp_iflag_f32_e32 v1, v1
	s_load_dwordx2 s[36:37], s[0:1], 0x20
	s_load_dwordx2 s[40:41], s[0:1], 0x30
	s_load_dwordx4 s[12:15], s[0:1], 0x40
	s_load_dwordx2 s[24:25], s[0:1], 0x50
	v_lshrrev_b32_e32 v77, 6, v0
	v_bfe_u32 v86, v0, 4, 2
	v_mul_f32_e32 v1, 0x4f7ffffe, v1
	v_cvt_u32_f32_e32 v1, v1
	v_lshlrev_b32_e32 v84, 4, v77
	v_lshlrev_b32_e32 v34, 2, v86
	v_and_b32_e32 v85, 63, v0
	v_readfirstlane_b32 s30, v1
	s_mul_i32 s29, s29, s30
	s_mul_hi_u32 s29, s30, s29
	s_add_i32 s30, s30, s29
	s_mul_hi_u32 s29, s27, s30
	s_mul_i32 s30, s29, s28
	s_sub_i32 s27, s27, s30
	s_add_i32 s30, s29, 1
	s_sub_i32 s31, s27, s28
	s_cmp_ge_u32 s27, s28
	s_cselect_b32 s29, s30, s29
	s_cselect_b32 s27, s31, s27
	s_add_i32 s30, s29, 1
	s_cmp_ge_u32 s27, s28
	s_cselect_b32 s27, s30, s29
	s_xor_b32 s27, s27, s26
	s_sub_i32 s34, s27, s26
	s_mul_i32 s26, s34, s17
	s_ashr_i32 s35, s34, 31
	s_sub_i32 s47, s3, s26
	s_lshl_b64 s[26:27], s[34:35], 2
	s_waitcnt lgkmcnt(0)
	s_add_u32 s14, s14, s26
	s_addc_u32 s15, s15, s27
	s_add_u32 s24, s24, s26
	s_addc_u32 s25, s25, s27
	s_abs_i32 s3, s18
	v_cvt_f32_u32_e32 v1, s3
	s_load_dwordx2 s[38:39], s[14:15], 0x0
	s_load_dword s52, s[24:25], 0x0
	v_mov_b32_e32 v17, 0
	v_rcp_iflag_f32_e32 v1, v1
	s_load_dwordx2 s[14:15], s[0:1], 0x80
	s_sub_i32 s1, 0, s3
	s_waitcnt lgkmcnt(0)
	s_sub_i32 s56, s39, s38
	v_mul_f32_e32 v1, 0x4f7ffffe, v1
	v_cvt_u32_f32_e32 v1, v1
	s_ashr_i32 s0, s56, 31
	s_lshr_b32 s0, s0, 26
	s_add_i32 s0, s56, s0
	v_readfirstlane_b32 s26, v1
	s_mul_i32 s1, s1, s26
	s_mul_hi_u32 s1, s26, s1
	s_add_i32 s26, s26, s1
	s_mul_hi_u32 s1, s28, s26
	s_mul_i32 s26, s1, s3
	s_ashr_i32 s51, s0, 6
	s_ashr_i32 s0, s18, 31
	s_sub_i32 s26, s28, s26
	s_xor_b32 s0, s46, s0
	s_add_i32 s27, s1, 1
	s_sub_i32 s28, s26, s3
	s_cmp_ge_u32 s26, s3
	s_cselect_b32 s1, s27, s1
	s_cselect_b32 s26, s28, s26
	s_add_i32 s27, s1, 1
	s_cmp_ge_u32 s26, s3
	s_cselect_b32 s1, s27, s1
	s_xor_b32 s1, s1, s0
	s_sub_i32 s1, s1, s0
	s_abs_i32 s3, s1
	v_cvt_f32_u32_e32 v1, s3
	s_sub_i32 s25, 0, s3
	s_abs_i32 s24, s47
	s_xor_b32 s1, s47, s1
	v_rcp_iflag_f32_e32 v1, v1
	s_ashr_i32 s1, s1, 31
	s_mov_b32 s0, 0
	s_mov_b32 s33, s17
	v_mul_f32_e32 v1, 0x4f7ffffe, v1
	v_cvt_u32_f32_e32 v1, v1
	v_and_b32_e32 v87, 15, v0
	s_mul_hi_i32 s53, s47, s16
	s_mul_i32 s55, s47, s16
	v_readfirstlane_b32 s26, v1
	s_mul_i32 s25, s25, s26
	s_mul_hi_u32 s25, s26, s25
	s_add_i32 s26, s26, s25
	s_mul_hi_u32 s25, s24, s26
	s_mul_i32 s26, s25, s3
	s_sub_i32 s24, s24, s26
	s_add_i32 s26, s25, 1
	s_sub_i32 s27, s24, s3
	s_cmp_ge_u32 s24, s3
	s_cselect_b32 s25, s26, s25
	s_cselect_b32 s24, s27, s24
	s_add_i32 s26, s25, 1
	s_cmp_ge_u32 s24, s3
	s_cselect_b32 s3, s26, s25
	s_xor_b32 s3, s3, s1
	s_sub_i32 s54, s3, s1
	v_or_b32_e32 v1, v34, v84
	s_lshl_b32 s2, s2, 6
	s_mov_b32 s1, s0
	v_or_b32_e32 v90, 64, v1
	s_cmp_lt_i32 s56, 64
	v_mov_b64_e32 v[2:3], s[0:1]
	v_lshrrev_b32_e32 v89, 3, v85
	v_lshlrev_b32_e32 v88, 3, v0
	s_mul_i32 s48, s34, s21
	s_mul_hi_u32 s49, s34, s20
	s_mul_i32 s50, s35, s20
	s_mul_i32 s20, s34, s20
	v_mov_b32_e32 v16, v17
	v_mov_b32_e32 v15, v17
	;; [unrolled: 1-line block ×23, first 2 shown]
	v_mov_b64_e32 v[4:5], s[0:1]
	v_mov_b64_e32 v[6:7], s[0:1]
	;; [unrolled: 1-line block ×3, first 2 shown]
	s_cbranch_scc1 .LBB150_18
; %bb.1:
	s_ashr_i32 s58, s47, 31
	s_ashr_i32 s1, s38, 31
	s_add_u32 s0, s55, s38
	s_addc_u32 s1, s53, s1
	s_lshl_b64 s[0:1], s[0:1], 8
	v_and_b32_e32 v92, 56, v88
	s_add_u32 s24, s6, s0
	v_lshl_or_b32 v91, v77, 3, v89
	v_lshlrev_b32_e32 v2, 1, v92
	s_addc_u32 s0, s7, s1
	v_lshl_or_b32 v93, v91, 8, v2
	s_and_b32 s25, s0, 0xffff
	s_mov_b32 s27, 0x20000
	s_movk_i32 s26, 0x4000
	s_movk_i32 s0, 0x80
	v_or_b32_e32 v94, 0x2000, v93
	buffer_load_dwordx4 v[4:7], v93, s[24:27], 0 offen
	buffer_load_dwordx4 v[8:11], v93, s[24:27], s0 offen
	;; [unrolled: 1-line block ×4, first 2 shown]
	v_lshlrev_b32_e32 v3, 3, v91
	v_and_or_b32 v21, v0, 7, v3
	v_and_b32_e32 v3, 0x78, v3
	v_lshlrev_b32_e32 v21, 4, v21
	v_xor_b32_e32 v95, v21, v3
	v_mul_lo_u32 v20, v91, s19
	v_or_b32_e32 v96, 0x1000, v95
	v_xor_b32_e32 v3, 8, v95
	s_cmpk_eq_i32 s19, 0x80
	s_mov_b32 s57, s38
	v_xor_b32_e32 v21, 8, v96
	s_cselect_b64 s[0:1], -1, 0
	s_cmpk_lg_i32 s19, 0x80
	s_waitcnt vmcnt(3)
	ds_write_b64 v95, v[4:5] offset:49152
	ds_write_b64 v3, v[6:7] offset:49152
	s_waitcnt vmcnt(2)
	ds_write_b64 v95, v[8:9] offset:57344
	ds_write_b64 v3, v[10:11] offset:57344
	;; [unrolled: 3-line block ×4, first 2 shown]
	v_lshl_add_u32 v3, v20, 1, v92
	s_cbranch_scc0 .LBB150_3
; %bb.2:
	v_lshlrev_b32_e32 v5, 1, v3
	v_add_lshl_u32 v4, v3, s19, 1
	s_lshl_b32 s26, s19, 7
	v_lshl_or_b32 v2, v91, 9, v2
	s_cbranch_execz .LBB150_4
	s_branch .LBB150_5
.LBB150_3:
                                        ; implicit-def: $vgpr4
                                        ; implicit-def: $vgpr5
                                        ; implicit-def: $sgpr26
	v_lshl_or_b32 v2, v91, 9, v2
.LBB150_4:
	v_or_b32_e32 v4, 0x100, v2
	s_movk_i32 s26, 0x4000
	v_mov_b32_e32 v5, v2
.LBB150_5:
	s_mul_i32 s21, s38, s18
	s_ashr_i32 s59, s54, 31
	s_mul_hi_i32 s3, s38, s18
	s_add_u32 s24, s21, s54
	s_addc_u32 s25, s3, s59
	s_lshl_b64 s[24:25], s[24:25], 8
	s_add_u32 s24, s4, s24
	s_addc_u32 s3, s5, s25
	s_and_b32 s25, s3, 0xffff
	s_movk_i32 s60, 0x80
	buffer_load_dwordx4 v[6:9], v5, s[24:27], 0 offen
	buffer_load_dwordx4 v[10:13], v5, s[24:27], s60 offen
	;; [unrolled: 1-line block ×4, first 2 shown]
	v_and_b32_e32 v5, 6, v0
	v_lshlrev_b32_e32 v4, 7, v1
	v_xor_b32_e32 v27, v91, v5
	v_and_b32_e32 v22, 1, v0
	v_lshl_or_b32 v30, v87, 3, v4
	v_lshlrev_b32_e32 v27, 2, v27
	v_lshlrev_b32_e32 v23, 2, v87
	v_or_b32_e32 v97, 0x4000, v30
	v_or_b32_e32 v98, 0x6000, v30
	v_xor_b32_e32 v30, 0x440, v27
	v_cmp_eq_u32_e32 vcc, 0, v22
	v_or_b32_e32 v25, 16, v87
	v_or_b32_e32 v26, 32, v87
	v_xor_b32_e32 v28, v1, v23
	v_xor_b32_e32 v29, v90, v23
	v_cndmask_b32_e32 v22, v30, v27, vcc
	s_add_i32 s3, s49, s48
	s_mov_b32 s61, 0x1000504
	v_lshl_or_b32 v31, v25, 3, v4
	v_lshlrev_b32_e32 v25, 8, v25
	v_lshl_or_b32 v32, v26, 3, v4
	v_lshlrev_b32_e32 v28, 1, v28
	v_lshlrev_b32_e32 v29, 1, v29
	v_lshl_or_b32 v5, v5, 10, v22
	s_add_i32 s21, s3, s50
	s_mul_i32 s3, s47, s23
	s_mul_hi_u32 s24, s47, s22
	s_mov_b32 s62, 0x3020706
	v_lshlrev_b32_e32 v24, 8, v87
	v_or_b32_e32 v101, 0x4000, v32
	v_or_b32_e32 v102, 0x6000, v32
	;; [unrolled: 1-line block ×4, first 2 shown]
	v_xor_b32_e32 v22, 8, v5
	v_xor_b32_e32 v25, 24, v5
	;; [unrolled: 1-line block ×4, first 2 shown]
	s_add_i32 s3, s24, s3
	s_mul_i32 s24, s58, s22
	v_or_b32_e32 v99, 0x4000, v31
	v_or_b32_e32 v100, 0x6000, v31
	;; [unrolled: 1-line block ×4, first 2 shown]
	v_xor_b32_e32 v24, 16, v5
	v_xor_b32_e32 v27, 32, v5
	;; [unrolled: 1-line block ×3, first 2 shown]
	v_add_u32_e32 v22, 0x80, v22
	v_add_u32_e32 v25, 0x80, v25
	;; [unrolled: 1-line block ×4, first 2 shown]
	s_add_i32 s25, s3, s24
	s_lshl_b64 s[28:29], s[20:21], 2
	s_mul_i32 s24, s47, s22
	s_add_u32 s3, s10, s28
	s_addc_u32 s21, s11, s29
	s_lshl_b64 s[24:25], s[24:25], 2
	s_add_u32 s42, s3, s24
	s_movk_i32 s3, 0xf8
	s_addc_u32 s43, s21, s25
	s_lshl_b32 s30, s19, 7
	s_movk_i32 s21, 0x100
	v_mov_b32_e32 v79, 0
	v_lshlrev_b32_e32 v78, 4, v87
	v_lshlrev_b32_e32 v26, 8, v26
	s_mov_b32 s64, 0
	s_movk_i32 s26, 0x4000
	v_or_b32_e32 v107, v26, v28
	v_or_b32_e32 v108, v26, v29
	v_add_u32_e32 v134, v84, v34
	s_movk_i32 s63, 0x3000
	v_mov_b32_e32 v26, v79
	s_waitcnt vmcnt(1)
	v_perm_b32 v33, v6, v14, s61
	s_waitcnt vmcnt(0)
	v_perm_b32 v35, v10, v18, s61
	v_perm_b32 v6, v6, v14, s62
	;; [unrolled: 1-line block ×15, first 2 shown]
	ds_write2st64_b32 v5, v33, v35 offset0:128 offset1:160
	ds_write2st64_b32 v22, v6, v10 offset0:128 offset1:160
	;; [unrolled: 1-line block ×8, first 2 shown]
	v_or_b32_e32 v5, 48, v87
	v_lshl_or_b32 v6, v5, 3, v4
	v_lshlrev_b32_e32 v5, 8, v5
	v_or_b32_e32 v111, v5, v28
	v_or_b32_e32 v112, v5, v29
	;; [unrolled: 1-line block ×3, first 2 shown]
	v_lshlrev_b32_e32 v5, 3, v5
	v_lshrrev_b32_e32 v7, 5, v85
	v_and_or_b32 v7, v5, s3, v7
	v_lshlrev_b32_e32 v7, 4, v7
	v_or_b32_e32 v109, 0x4000, v6
	v_or_b32_e32 v110, 0x6000, v6
	v_lshrrev_b32_e32 v6, 2, v85
	v_lshlrev_b32_e32 v11, 11, v77
	v_and_b32_e32 v5, 0x78, v5
	v_or_b32_e32 v13, 32, v7
	v_and_b32_e32 v10, 12, v6
	v_and_b32_e32 v6, 0x1000, v11
	v_lshrrev_b32_e32 v9, 1, v85
	v_xor_b32_e32 v13, v13, v5
	v_xor_b32_e32 v8, v7, v5
	v_and_b32_e32 v9, 8, v9
	v_or_b32_e32 v13, v13, v6
	v_or_b32_e32 v8, v8, v6
	v_lshlrev_b32_e32 v12, 8, v86
	v_xor_b32_e32 v115, v13, v9
	v_or_b32_e32 v13, 64, v7
	v_or_b32_e32 v7, 0x60, v7
	v_xor_b32_e32 v113, v8, v9
	v_or_b32_e32 v8, v12, v23
	v_xor_b32_e32 v13, v13, v5
	v_xor_b32_e32 v5, v7, v5
	s_ashr_i32 s3, s2, 31
	v_lshlrev_b32_e32 v8, 1, v8
	v_or_b32_e32 v13, v13, v6
	v_or_b32_e32 v5, v5, v6
	s_lshl_b64 s[24:25], s[2:3], 8
	v_lshlrev_b32_e32 v17, 2, v0
	v_or_b32_e32 v114, 0x4000, v8
	v_or_b32_e32 v116, 0x4080, v8
	v_or_b32_e32 v117, 0x4100, v8
	v_or_b32_e32 v118, 0x4180, v8
	v_xor_b32_e32 v119, v13, v9
	v_xor_b32_e32 v120, v5, v9
	v_or_b32_e32 v121, 0x6000, v8
	v_or_b32_e32 v122, 0x6080, v8
	;; [unrolled: 1-line block ×4, first 2 shown]
	v_lshlrev_b32_e32 v5, 1, v3
	v_add_lshl_u32 v3, v3, s19, 1
	v_or_b32_e32 v13, 0x100, v2
	s_add_u32 s24, s40, s24
	v_lshlrev_b32_e32 v8, 1, v87
	v_lshrrev_b32_e32 v18, 1, v0
	v_and_or_b32 v12, v17, 60, v12
	v_lshrrev_b32_e32 v14, 4, v0
	s_addc_u32 s25, s41, s25
	v_or_b32_e32 v9, 1, v8
	v_and_b32_e32 v18, 24, v18
	v_lshlrev_b32_e32 v12, 1, v12
	v_cndmask_b32_e64 v131, v5, v2, s[0:1]
	v_cndmask_b32_e64 v132, v3, v13, s[0:1]
	v_mov_b32_e32 v3, 0xa000
	v_mov_b32_e32 v5, 0x8000
	v_cmp_gt_u32_e64 s[0:1], s21, v0
	v_xor_b32_e32 v15, v14, v8
	v_xor_b32_e32 v16, v9, v14
	v_lshl_add_u64 v[8:9], s[24:25], 0, v[78:79]
	v_lshlrev_b32_e32 v78, 8, v14
	v_or_b32_e32 v127, 0x6000, v12
	v_or_b32_e32 v17, 32, v18
	v_or_b32_e32 v128, 0x6080, v12
	v_or_b32_e32 v129, 0x6100, v12
	v_or_b32_e32 v130, 0x6180, v12
	v_or_b32_e32 v12, 0x60, v18
	v_cndmask_b32_e64 v3, v3, v5, s[0:1]
	v_lshlrev_b32_e32 v5, 3, v77
	v_lshl_or_b32 v125, v15, 3, v78
	v_and_b32_e32 v15, 8, v0
	v_xor_b32_e32 v13, v5, v18
	v_xor_b32_e32 v17, v5, v17
	;; [unrolled: 1-line block ×3, first 2 shown]
	v_mov_b32_e32 v19, 0x400
	v_cmp_eq_u32_e32 vcc, 0, v15
	v_or_b32_e32 v18, 0x440, v13
	v_or_b32_e32 v20, 0x440, v17
	v_xor_b32_e32 v12, 0x440, v5
	v_and_b32_e32 v14, 7, v0
	v_cndmask_b32_e64 v15, v19, 64, vcc
	v_cndmask_b32_e32 v18, v18, v13, vcc
	v_cndmask_b32_e32 v17, v20, v17, vcc
	;; [unrolled: 1-line block ×3, first 2 shown]
	v_lshl_or_b32 v126, v16, 3, v78
	v_lshlrev_b32_e32 v16, 3, v14
	v_or_b32_e32 v18, v18, v11
	v_or_b32_e32 v17, v17, v11
	v_or3_b32 v13, v11, v15, v13
	v_or_b32_e32 v5, v5, v11
	v_or_b32_e32 v6, s2, v87
	v_lshlrev_b32_e32 v14, 7, v14
	v_xor_b32_e32 v18, v18, v16
	v_xor_b32_e32 v17, v17, v16
	v_xor_b32_e32 v13, v13, v16
	v_xor_b32_e32 v5, v5, v16
	v_ashrrev_i32_e32 v7, 31, v6
	v_or_b32_e32 v2, v84, v10
	v_add_u32_e32 v19, v3, v18
	v_add_u32_e32 v20, v3, v17
	v_or_b32_e32 v133, v13, v14
	v_add_u32_e32 v11, v3, v5
	v_or3_b32 v10, v84, v10, 64
	v_add_u32_e32 v12, 0xa000, v18
	v_add_u32_e32 v13, 0xa000, v17
	;; [unrolled: 1-line block ×3, first 2 shown]
	v_lshl_add_u64 v[80:81], v[6:7], 1, s[8:9]
	v_lshl_add_u64 v[82:83], v[8:9], 0, v[78:79]
	s_mov_b32 s3, 0x7060302
	v_lshlrev_b32_e32 v78, 1, v4
	s_movk_i32 s21, 0x2000
	v_lshlrev_b32_e32 v135, 2, v2
	v_add_u32_e32 v136, v19, v14
	v_add_u32_e32 v137, v20, v14
	;; [unrolled: 1-line block ×4, first 2 shown]
	v_lshlrev_b32_e32 v140, 2, v10
	v_add_u32_e32 v141, v12, v14
	v_add_u32_e32 v142, v13, v14
	;; [unrolled: 1-line block ×3, first 2 shown]
	v_mov_b32_e32 v8, v79
	v_mov_b32_e32 v9, v79
	;; [unrolled: 1-line block ×31, first 2 shown]
	s_waitcnt lgkmcnt(0)
	s_barrier
.LBB150_6:                              ; =>This Inner Loop Header: Depth=1
	s_add_i32 s65, s64, 1
	s_cmp_lt_i32 s65, s51
	s_mov_b64 s[28:29], 0
	s_cselect_b64 s[44:45], -1, 0
	s_cmp_ge_i32 s65, s51
	s_mov_b64 s[24:25], 0
	s_cbranch_scc1 .LBB150_8
; %bb.7:                                ;   in Loop: Header=BB150_6 Depth=1
	s_add_i32 s0, s57, 64
	s_ashr_i32 s1, s0, 31
	s_add_u32 s0, s55, s0
	s_addc_u32 s1, s53, s1
	s_lshl_b64 s[0:1], s[0:1], 8
	s_add_u32 s24, s6, s0
	s_addc_u32 s25, s7, s1
.LBB150_8:                              ;   in Loop: Header=BB150_6 Depth=1
	v_cndmask_b32_e64 v34, 0, 1, s[44:45]
	v_cmp_ne_u32_e64 s[0:1], 1, v34
	s_andn2_b64 vcc, exec, s[44:45]
	s_cbranch_vccnz .LBB150_10
; %bb.9:                                ;   in Loop: Header=BB150_6 Depth=1
	s_add_i32 s28, s57, 64
	s_mul_hi_i32 s29, s28, s18
	s_mul_i32 s28, s28, s18
	s_add_u32 s28, s28, s54
	s_addc_u32 s29, s29, s59
	s_lshl_b64 s[28:29], s[28:29], 8
	s_add_u32 s28, s4, s28
	s_addc_u32 s29, s5, s29
.LBB150_10:                             ;   in Loop: Header=BB150_6 Depth=1
	v_perm_b32 v35, v33, v32, s3
	v_perm_b32 v34, v31, v30, s3
	v_perm_b32 v37, v29, v28, s3
	v_perm_b32 v36, v27, v26, s3
	ds_write_b64 v97, v[34:35]
	ds_write_b64 v98, v[36:37]
	ds_write_b64 v103, v[34:35]
	ds_write_b64 v104, v[36:37]
	v_perm_b32 v35, v25, v24, s3
	v_perm_b32 v34, v23, v22, s3
	v_perm_b32 v37, v21, v20, s3
	v_perm_b32 v36, v19, v18, s3
	ds_write_b64 v99, v[34:35]
	ds_write_b64 v100, v[36:37]
	ds_write_b64 v105, v[34:35]
	ds_write_b64 v106, v[36:37]
	;; [unrolled: 8-line block ×4, first 2 shown]
	s_waitcnt lgkmcnt(0)
	s_barrier
	ds_read_b64 v[38:39], v113 offset:49152
	ds_read2_b64 v[34:37], v114 offset1:16
	ds_read_b64 v[50:51], v116 offset:6144
	ds_read_b64 v[52:53], v114 offset:6144
	s_waitcnt lgkmcnt(2)
	v_mfma_f32_16x16x16_bf16 a[0:3], v[38:39], v[34:35], 0
	ds_read_b64 v[54:55], v115 offset:49152
	ds_read2st64_b64 v[42:45], v117 offset0:4 offset1:8
	ds_read2st64_b64 v[46:49], v118 offset0:4 offset1:8
	v_mfma_f32_16x16x16_bf16 a[4:7], v[38:39], v[36:37], 0
	ds_read2_b64 v[34:37], v114 offset0:32 offset1:48
	s_add_i32 s66, s57, 63
	s_ashr_i32 s31, s66, 31
	s_waitcnt lgkmcnt(0)
	v_mfma_f32_16x16x16_bf16 a[8:11], v[38:39], v[34:35], 0
	s_mul_i32 s44, s66, s15
	s_mul_hi_u32 s45, s66, s14
	s_add_i32 s44, s45, s44
	v_mfma_f32_16x16x16_bf16 a[12:15], v[38:39], v[36:37], 0
	ds_read2st64_b64 v[34:37], v114 offset0:4 offset1:8
	ds_read2st64_b64 v[38:41], v116 offset0:4 offset1:8
	s_mul_i32 s31, s31, s14
	s_waitcnt lgkmcnt(1)
	v_mfma_f32_16x16x16_bf16 a[0:3], v[54:55], v[34:35], a[0:3]
	s_add_i32 s45, s44, s31
	s_mul_i32 s44, s66, s14
	s_lshl_b64 s[44:45], s[44:45], 2
	s_waitcnt lgkmcnt(0)
	v_mfma_f32_16x16x16_bf16 a[4:7], v[54:55], v[38:39], a[4:7]
	s_add_u32 s44, s42, s44
	s_addc_u32 s45, s43, s45
	s_and_b64 vcc, exec, s[0:1]
	v_mfma_f32_16x16x16_bf16 a[8:11], v[54:55], v[42:43], a[8:11]
	ds_read_b64 v[34:35], v119 offset:49152
	ds_read_b64 v[38:39], v120 offset:49152
	;; [unrolled: 1-line block ×3, first 2 shown]
	v_mov_b32_e32 v146, 0
	v_mov_b32_e32 v145, 0
	v_mfma_f32_16x16x16_bf16 a[12:15], v[54:55], v[46:47], a[12:15]
	v_mov_b32_e32 v144, 0
	v_mov_b32_e32 v46, 0
	v_mov_b32_e32 v47, 0
	s_waitcnt lgkmcnt(2)
	v_mfma_f32_16x16x16_bf16 a[0:3], v[34:35], v[36:37], a[0:3]
	v_mov_b32_e32 v36, 0
	v_mov_b32_e32 v37, 0
	v_mfma_f32_16x16x16_bf16 a[16:19], v[34:35], v[40:41], a[4:7]
	v_mov_b32_e32 v40, 0
	v_mov_b32_e32 v41, 0
	;; [unrolled: 3-line block ×3, first 2 shown]
	v_mfma_f32_16x16x16_bf16 a[24:27], v[34:35], v[48:49], a[12:15]
	ds_read_b64 v[34:35], v117 offset:6144
	v_mov_b32_e32 v48, 0
	v_mov_b32_e32 v49, 0
	s_waitcnt lgkmcnt(2)
	v_mfma_f32_16x16x16_bf16 a[4:7], v[38:39], v[52:53], a[0:3]
	v_mfma_f32_16x16x16_bf16 a[8:11], v[38:39], v[50:51], a[16:19]
	s_waitcnt lgkmcnt(0)
	v_mfma_f32_16x16x16_bf16 a[12:15], v[38:39], v[34:35], a[20:23]
	v_mov_b32_e32 v34, 0
	v_mov_b32_e32 v35, 0
	v_mfma_f32_16x16x16_bf16 a[0:3], v[38:39], v[42:43], a[24:27]
	v_mov_b32_e32 v38, 0
	v_mov_b32_e32 v39, 0
	;; [unrolled: 1-line block ×4, first 2 shown]
	s_cbranch_vccnz .LBB150_12
; %bb.11:                               ;   in Loop: Header=BB150_6 Depth=1
	s_and_b32 s25, s25, 0xffff
	buffer_load_dwordx4 v[46:49], v93, s[24:27], 0 offen
	buffer_load_dwordx4 v[42:45], v93, s[24:27], s60 offen
	;; [unrolled: 1-line block ×4, first 2 shown]
	v_mov_b32_e32 v145, v95
	v_mov_b32_e32 v144, v96
.LBB150_12:                             ;   in Loop: Header=BB150_6 Depth=1
	ds_read_b64 v[66:67], v113 offset:57344
	ds_read2_b64 v[50:53], v121 offset1:16
	ds_read_b64 v[68:69], v115 offset:57344
	ds_read_b64 v[70:71], v119 offset:57344
	;; [unrolled: 1-line block ×3, first 2 shown]
	v_add_u32_e32 v74, s57, v134
	s_waitcnt lgkmcnt(3)
	v_mfma_f32_16x16x16_bf16 a[4:7], v[66:67], v[50:51], a[4:7]
	v_mfma_f32_16x16x16_bf16 a[8:11], v[66:67], v[52:53], a[8:11]
	ds_read2_b64 v[50:53], v121 offset0:32 offset1:48
	ds_read2st64_b64 v[54:57], v121 offset0:4 offset1:8
	ds_read2st64_b64 v[58:61], v122 offset0:4 offset1:8
	;; [unrolled: 1-line block ×3, first 2 shown]
	s_waitcnt lgkmcnt(3)
	v_mfma_f32_16x16x16_bf16 a[12:15], v[66:67], v[50:51], a[12:15]
	v_ashrrev_i32_e32 v50, 31, v74
	v_mfma_f32_16x16x16_bf16 a[0:3], v[66:67], v[52:53], a[0:3]
	v_mul_lo_u32 v52, v50, s14
	v_mul_lo_u32 v53, v74, s15
	v_mad_u64_u32 v[50:51], s[24:25], v74, s14, 0
	v_add3_u32 v51, v51, v53, v52
	v_add_u32_e32 v52, 1, v74
	v_ashrrev_i32_e32 v53, 31, v52
	s_waitcnt lgkmcnt(2)
	v_mfma_f32_16x16x16_bf16 a[4:7], v[68:69], v[54:55], a[4:7]
	v_mul_lo_u32 v54, v53, s14
	v_mul_lo_u32 v55, v52, s15
	v_mad_u64_u32 v[52:53], s[24:25], v52, s14, 0
	v_add3_u32 v53, v53, v55, v54
	v_add_u32_e32 v54, 2, v74
	v_ashrrev_i32_e32 v55, 31, v54
	s_waitcnt lgkmcnt(1)
	v_mfma_f32_16x16x16_bf16 a[8:11], v[68:69], v[58:59], a[8:11]
	v_mul_lo_u32 v58, v55, s14
	v_mul_lo_u32 v59, v54, s15
	v_mad_u64_u32 v[54:55], s[24:25], v54, s14, 0
	v_add3_u32 v55, v55, v59, v58
	v_add_u32_e32 v58, 3, v74
	v_ashrrev_i32_e32 v59, 31, v58
	v_mul_lo_u32 v66, v59, s14
	v_mul_lo_u32 v67, v58, s15
	v_mad_u64_u32 v[58:59], s[24:25], v58, s14, 0
	s_ashr_i32 s25, s57, 31
	s_add_u32 s24, s55, s57
	s_addc_u32 s25, s53, s25
	v_lshl_add_u64 v[50:51], v[50:51], 2, s[42:43]
	v_add3_u32 v59, v59, v67, v66
	s_lshl_b64 s[24:25], s[24:25], 8
	v_lshl_add_u64 v[52:53], v[52:53], 2, s[42:43]
	v_lshl_add_u64 v[54:55], v[54:55], 2, s[42:43]
	;; [unrolled: 1-line block ×3, first 2 shown]
	global_load_dword v66, v[50:51], off
	global_load_dword v67, v[52:53], off
	;; [unrolled: 1-line block ×4, first 2 shown]
	v_lshl_add_u64 v[50:51], v[80:81], 0, s[24:25]
	v_lshl_add_u64 v[54:55], v[50:51], 0, v[78:79]
	global_load_ushort v76, v[54:55], off offset:256
	global_load_ushort v147, v[54:55], off
	ds_read2st64_b64 v[50:53], v124 offset0:4 offset1:8
	global_load_ushort v148, v[54:55], off offset:768
	global_load_ushort v149, v[54:55], off offset:512
	s_waitcnt lgkmcnt(1)
	v_mfma_f32_16x16x16_bf16 a[12:15], v[68:69], v[62:63], a[12:15]
	s_and_b64 vcc, exec, s[0:1]
	s_waitcnt vmcnt(3)
	v_lshlrev_b32_e32 v63, 16, v76
	s_waitcnt lgkmcnt(0)
	v_mfma_f32_16x16x16_bf16 a[0:3], v[68:69], v[50:51], a[0:3]
	global_load_ushort v68, v[54:55], off offset:288
	global_load_ushort v69, v[54:55], off offset:32
	;; [unrolled: 1-line block ×8, first 2 shown]
	v_mfma_f32_16x16x16_bf16 a[4:7], v[70:71], v[56:57], a[4:7]
	ds_read_b64 v[50:51], v121 offset:6144
	s_waitcnt vmcnt(10)
	v_lshlrev_b32_e32 v62, 16, v147
	v_mov_b32_e32 v147, 0
	v_mfma_f32_16x16x16_bf16 a[8:11], v[70:71], v[60:61], a[8:11]
	v_mfma_f32_16x16x16_bf16 a[12:15], v[70:71], v[64:65], a[12:15]
	;; [unrolled: 1-line block ×3, first 2 shown]
	global_load_ushort v70, v[54:55], off offset:352
	global_load_ushort v71, v[54:55], off offset:96
	ds_read_b64 v[52:53], v122 offset:6144
	ds_read_b64 v[56:57], v123 offset:6144
	;; [unrolled: 1-line block ×3, first 2 shown]
	global_load_ushort v156, v[54:55], off offset:864
	global_load_ushort v157, v[54:55], off offset:608
	s_load_dword s24, s[44:45], 0x0
	s_waitcnt lgkmcnt(0)
	v_mfma_f32_16x16x16_bf16 a[4:7], v[72:73], v[50:51], a[4:7]
	v_sub_f32_e32 v60, s24, v74
	v_mfma_f32_16x16x16_bf16 a[0:3], v[72:73], v[58:59], a[0:3]
	v_sub_f32_e32 v58, s24, v66
	v_sub_f32_e32 v59, s24, v67
	;; [unrolled: 1-line block ×3, first 2 shown]
	v_mfma_f32_16x16x16_bf16 a[8:11], v[72:73], v[52:53], a[8:11]
	v_exp_f32_e32 v58, v58
	v_exp_f32_e32 v59, v59
	;; [unrolled: 1-line block ×4, first 2 shown]
	v_accvgpr_read_b32 v65, a5
	v_accvgpr_read_b32 v64, a4
	;; [unrolled: 1-line block ×4, first 2 shown]
	v_pk_add_f32 v[62:63], v[62:63], v[64:65] neg_lo:[0,1] neg_hi:[0,1]
	s_waitcnt vmcnt(13)
	v_lshlrev_b32_e32 v65, 16, v148
	s_waitcnt vmcnt(12)
	v_lshlrev_b32_e32 v64, 16, v149
	v_pk_add_f32 v[50:51], v[64:65], v[50:51] neg_lo:[0,1] neg_hi:[0,1]
	v_pk_mul_f32 v[62:63], v[58:59], v[62:63]
	v_pk_mul_f32 v[50:51], v[60:61], v[50:51]
	v_accvgpr_read_b32 v65, a9
	v_perm_b32 v51, v51, v50, s3
	v_perm_b32 v50, v63, v62, s3
	v_accvgpr_read_b32 v64, a8
	v_accvgpr_read_b32 v53, a11
	v_mfma_f32_16x16x16_bf16 a[12:15], v[72:73], v[56:57], a[12:15]
	v_accvgpr_read_b32 v52, a10
	v_accvgpr_read_b32 v57, a3
	;; [unrolled: 1-line block ×3, first 2 shown]
	s_waitcnt vmcnt(11)
	v_lshlrev_b32_e32 v63, 16, v68
	s_waitcnt vmcnt(10)
	v_lshlrev_b32_e32 v62, 16, v69
	v_pk_add_f32 v[62:63], v[62:63], v[64:65] neg_lo:[0,1] neg_hi:[0,1]
	s_waitcnt vmcnt(9)
	v_lshlrev_b32_e32 v65, 16, v150
	s_waitcnt vmcnt(8)
	v_lshlrev_b32_e32 v64, 16, v151
	v_pk_add_f32 v[52:53], v[64:65], v[52:53] neg_lo:[0,1] neg_hi:[0,1]
	v_pk_mul_f32 v[62:63], v[58:59], v[62:63]
	v_pk_mul_f32 v[52:53], v[60:61], v[52:53]
	v_accvgpr_read_b32 v55, a15
	v_perm_b32 v53, v53, v52, s3
	v_perm_b32 v52, v63, v62, s3
	ds_write2_b64 v98, v[50:51], v[52:53] offset1:16
	v_accvgpr_read_b32 v53, a13
	s_waitcnt vmcnt(7)
	v_lshlrev_b32_e32 v51, 16, v152
	s_waitcnt vmcnt(6)
	v_lshlrev_b32_e32 v50, 16, v153
	v_accvgpr_read_b32 v52, a12
	v_accvgpr_read_b32 v54, a14
	v_pk_add_f32 v[50:51], v[50:51], v[52:53] neg_lo:[0,1] neg_hi:[0,1]
	s_waitcnt vmcnt(5)
	v_lshlrev_b32_e32 v53, 16, v154
	s_waitcnt vmcnt(4)
	v_lshlrev_b32_e32 v52, 16, v155
	v_pk_add_f32 v[52:53], v[52:53], v[54:55] neg_lo:[0,1] neg_hi:[0,1]
	v_pk_mul_f32 v[50:51], v[58:59], v[50:51]
	v_pk_mul_f32 v[52:53], v[60:61], v[52:53]
	v_accvgpr_read_b32 v55, a1
	v_perm_b32 v53, v53, v52, s3
	v_perm_b32 v52, v51, v50, s3
	s_waitcnt vmcnt(3)
	v_lshlrev_b32_e32 v51, 16, v70
	s_waitcnt vmcnt(2)
	v_lshlrev_b32_e32 v50, 16, v71
	v_accvgpr_read_b32 v54, a0
	v_pk_add_f32 v[50:51], v[50:51], v[54:55] neg_lo:[0,1] neg_hi:[0,1]
	s_waitcnt vmcnt(1)
	v_lshlrev_b32_e32 v55, 16, v156
	s_waitcnt vmcnt(0)
	v_lshlrev_b32_e32 v54, 16, v157
	v_pk_add_f32 v[54:55], v[54:55], v[56:57] neg_lo:[0,1] neg_hi:[0,1]
	v_pk_mul_f32 v[50:51], v[58:59], v[50:51]
	v_pk_mul_f32 v[54:55], v[60:61], v[54:55]
	v_mov_b32_e32 v56, 0
	v_perm_b32 v55, v55, v54, s3
	v_perm_b32 v54, v51, v50, s3
	ds_write2_b64 v98, v[52:53], v[54:55] offset0:32 offset1:48
	v_mov_b32_e32 v50, 0
	v_mov_b32_e32 v51, 0
	;; [unrolled: 1-line block ×15, first 2 shown]
	s_cbranch_vccnz .LBB150_14
; %bb.13:                               ;   in Loop: Header=BB150_6 Depth=1
	s_and_b32 s29, s29, 0xffff
	s_mov_b32 s31, s27
	buffer_load_dwordx4 v[62:65], v131, s[28:31], 0 offen
	buffer_load_dwordx4 v[54:57], v131, s[28:31], s60 offen
	;; [unrolled: 1-line block ×4, first 2 shown]
	v_mov_b32_e32 v146, v92
	v_mov_b32_e32 v147, v91
.LBB150_14:                             ;   in Loop: Header=BB150_6 Depth=1
	s_waitcnt lgkmcnt(0)
	s_barrier
	ds_read_b64 v[74:75], v136
	ds_read2_b64 v[66:69], v127 offset1:16
	ds_read_b64 v[164:165], v137
	ds_read_b64 v[166:167], v138
	;; [unrolled: 1-line block ×3, first 2 shown]
	ds_read2_b64 v[70:73], v127 offset0:32 offset1:48
	ds_read2st64_b64 v[148:151], v127 offset0:4 offset1:8
	ds_read2st64_b64 v[152:155], v128 offset0:4 offset1:8
	ds_read2st64_b64 v[156:159], v129 offset0:4 offset1:8
	ds_read2st64_b64 v[160:163], v130 offset0:4 offset1:8
	s_waitcnt lgkmcnt(8)
	v_mfma_f32_16x16x16_bf16 a[0:3], v[74:75], v[66:67], 0
	s_add_i32 s25, s52, s64
	s_mul_hi_i32 s29, s25, s33
	s_mul_i32 s25, s25, s33
	v_mfma_f32_16x16x16_bf16 a[4:7], v[74:75], v[68:69], 0
	s_add_u32 s28, s25, s47
	s_addc_u32 s29, s29, s58
	s_lshl_b64 s[28:29], s[28:29], 15
	s_waitcnt lgkmcnt(4)
	v_mfma_f32_16x16x16_bf16 a[8:11], v[74:75], v[70:71], 0
	s_mul_i32 s31, s66, s33
	s_mul_hi_i32 s25, s66, s33
	s_add_u32 s44, s31, s47
	v_mfma_f32_16x16x16_bf16 a[12:15], v[74:75], v[72:73], 0
	ds_read_b64 v[74:75], v127 offset:6144
	ds_read_b64 v[176:177], v128 offset:6144
	;; [unrolled: 1-line block ×4, first 2 shown]
	s_addc_u32 s45, s25, s58
	s_waitcnt lgkmcnt(7)
	v_mfma_f32_16x16x16_bf16 a[0:3], v[164:165], v[148:149], a[0:3]
	s_lshl_b64 s[44:45], s[44:45], 9
	s_add_u32 s44, s36, s44
	s_addc_u32 s45, s37, s45
	s_waitcnt lgkmcnt(6)
	v_mfma_f32_16x16x16_bf16 a[4:7], v[164:165], v[152:153], a[4:7]
	v_lshl_add_u64 v[186:187], v[82:83], 0, s[28:29]
	s_waitcnt lgkmcnt(5)
	v_mfma_f32_16x16x16_bf16 a[8:11], v[164:165], v[156:157], a[8:11]
	s_waitcnt lgkmcnt(4)
	v_mfma_f32_16x16x16_bf16 a[12:15], v[164:165], v[160:161], a[12:15]
	ds_read_b64 v[164:165], v141
	ds_read_b64 v[174:175], v142
	ds_read_b64 v[182:183], v143
	s_waitcnt lgkmcnt(2)
	v_mfma_f32_16x16x16_bf16 a[16:19], v[164:165], v[66:67], 0
	v_mfma_f32_16x16x16_bf16 a[20:23], v[164:165], v[68:69], 0
	global_load_dwordx4 v[66:69], v140, s[44:45]
	v_mfma_f32_16x16x16_bf16 a[24:27], v[164:165], v[70:71], 0
	v_mfma_f32_16x16x16_bf16 a[28:31], v[164:165], v[72:73], 0
	global_load_dwordx4 v[70:73], v135, s[44:45]
	v_mfma_f32_16x16x16_bf16 a[0:3], v[166:167], v[150:151], a[0:3]
	v_mfma_f32_16x16x16_bf16 a[4:7], v[166:167], v[154:155], a[4:7]
	;; [unrolled: 1-line block ×8, first 2 shown]
	ds_read2st64_b64 v[164:167], v125 offset1:8
	ds_read2st64_b64 v[168:171], v126 offset1:8
	ds_read_b64 v[184:185], v133 offset:40960
	s_waitcnt lgkmcnt(2)
	v_mov_b32_e32 v172, v164
	v_mfma_f32_16x16x16_bf16 a[16:19], v[174:175], v[148:149], a[16:19]
	v_mov_b32_e32 v173, v165
	v_mfma_f32_16x16x16_bf16 a[20:23], v[174:175], v[152:153], a[20:23]
	v_mfma_f32_16x16x16_bf16 a[24:27], v[174:175], v[156:157], a[24:27]
	;; [unrolled: 1-line block ×3, first 2 shown]
	v_add_co_u32_e32 v160, vcc, s21, v186
	s_waitcnt lgkmcnt(1)
	v_mov_b32_e32 v174, v168
	s_waitcnt lgkmcnt(0)
	v_mfma_f32_16x16x16_bf16 a[16:19], v[184:185], v[150:151], a[16:19]
	ds_read2st64_b64 v[148:151], v125 offset0:16 offset1:24
	v_addc_co_u32_e32 v161, vcc, 0, v187, vcc
	v_mfma_f32_16x16x16_bf16 a[32:35], v[184:185], v[154:155], a[20:23]
	ds_read2st64_b64 v[152:155], v126 offset0:16 offset1:24
	v_mov_b32_e32 v175, v169
	v_mov_b32_e32 v168, v166
	v_mfma_f32_16x16x16_bf16 a[24:27], v[184:185], v[158:159], a[24:27]
	v_mov_b32_e32 v169, v167
	s_waitcnt lgkmcnt(0)
	v_mov_b32_e32 v158, v152
	v_mov_b32_e32 v159, v153
	v_mfma_f32_16x16x16_bf16 a[36:39], v[184:185], v[162:163], a[28:31]
	v_mov_b32_e32 v152, v150
	v_mov_b32_e32 v153, v151
	;; [unrolled: 1-line block ×3, first 2 shown]
	v_mfma_f32_16x16x16_bf16 a[20:23], v[182:183], v[74:75], a[16:19]
	v_add_co_u32_e32 v74, vcc, s63, v186
	v_mov_b32_e32 v157, v149
	v_mfma_f32_16x16x16_bf16 a[28:31], v[182:183], v[176:177], a[32:35]
	v_addc_co_u32_e32 v75, vcc, 0, v187, vcc
	global_store_dwordx4 v[74:75], v[152:155], off
	v_mfma_f32_16x16x16_bf16 a[16:19], v[182:183], v[178:179], a[24:27]
	s_waitcnt vmcnt(2)
	v_mov_b32_e32 v76, v69
	v_mov_b32_e32 v75, v68
	;; [unrolled: 1-line block ×3, first 2 shown]
	v_mfma_f32_16x16x16_bf16 a[24:27], v[182:183], v[180:181], a[36:39]
	s_and_b64 vcc, exec, s[0:1]
	global_store_dwordx4 v[186:187], v[172:175], off
	global_store_dwordx4 v[160:161], v[168:171], off offset:-4096
	global_store_dwordx4 v[160:161], v[156:159], off
	s_cbranch_vccnz .LBB150_16
; %bb.15:                               ;   in Loop: Header=BB150_6 Depth=1
	v_lshrrev_b32_e32 v67, 3, v146
	v_and_b32_e32 v67, 6, v67
	v_xor_b32_e32 v68, v67, v147
	v_lshlrev_b32_e32 v68, 2, v68
	v_and_b32_e32 v69, 8, v146
	v_xor_b32_e32 v146, 0x440, v68
	v_cmp_eq_u32_e32 vcc, 0, v69
	v_perm_b32 v69, v54, v50, s61
	s_nop 0
	v_cndmask_b32_e32 v68, v146, v68, vcc
	v_lshl_or_b32 v67, v67, 10, v68
	v_perm_b32 v68, v62, v58, s61
	s_barrier
	ds_write2st64_b32 v67, v68, v69 offset0:128 offset1:160
	v_xor_b32_e32 v68, 8, v67
	v_perm_b32 v58, v62, v58, s62
	v_perm_b32 v50, v54, v50, s62
	v_add_u32_e32 v54, 0x80, v68
	ds_write2st64_b32 v54, v58, v50 offset0:128 offset1:160
	v_xor_b32_e32 v50, 16, v67
	v_perm_b32 v54, v63, v59, s61
	v_perm_b32 v58, v55, v51, s61
	ds_write2st64_b32 v50, v54, v58 offset0:129 offset1:161
	v_xor_b32_e32 v50, 24, v67
	v_perm_b32 v54, v63, v59, s62
	v_perm_b32 v51, v55, v51, s62
	v_add_u32_e32 v50, 0x80, v50
	ds_write2st64_b32 v50, v54, v51 offset0:129 offset1:161
	v_xor_b32_e32 v50, 32, v67
	v_perm_b32 v51, v64, v60, s61
	v_perm_b32 v54, v56, v52, s61
	;; [unrolled: 9-line block ×3, first 2 shown]
	ds_write2st64_b32 v50, v51, v52 offset0:131 offset1:163
	v_xor_b32_e32 v50, 56, v67
	v_perm_b32 v51, v65, v61, s62
	v_perm_b32 v52, v57, v53, s62
	v_add_u32_e32 v50, 0x80, v50
	ds_write2st64_b32 v50, v51, v52 offset0:131 offset1:163
	ds_write_b64 v145, v[46:47] offset:49152
	v_xor_b32_e32 v46, 8, v145
	ds_write_b64 v46, v[48:49] offset:49152
	ds_write_b64 v145, v[42:43] offset:57344
	;; [unrolled: 1-line block ×4, first 2 shown]
	v_xor_b32_e32 v38, 8, v144
	ds_write_b64 v38, v[40:41] offset:49152
	ds_write_b64 v144, v[34:35] offset:57344
	ds_write_b64 v38, v[36:37] offset:57344
.LBB150_16:                             ;   in Loop: Header=BB150_6 Depth=1
	v_exp_f32_e32 v68, s24
	s_waitcnt vmcnt(4)
	v_exp_f32_e32 v70, v70
	v_exp_f32_e32 v71, v71
	;; [unrolled: 1-line block ×4, first 2 shown]
	v_accvgpr_read_b32 v37, a3
	v_accvgpr_read_b32 v36, a2
	;; [unrolled: 1-line block ×4, first 2 shown]
	v_pk_mul_f32 v[70:71], v[68:69], v[70:71] op_sel_hi:[0,1]
	v_pk_mul_f32 v[72:73], v[68:69], v[72:73] op_sel_hi:[0,1]
	v_pk_fma_f32 v[30:31], v[30:31], v[70:71], v[34:35]
	v_pk_fma_f32 v[32:33], v[32:33], v[72:73], v[36:37]
	v_exp_f32_e32 v34, v66
	v_exp_f32_e32 v35, v74
	;; [unrolled: 1-line block ×4, first 2 shown]
	v_accvgpr_read_b32 v41, a7
	v_accvgpr_read_b32 v45, a11
	;; [unrolled: 1-line block ×28, first 2 shown]
	v_pk_mul_f32 v[34:35], v[68:69], v[34:35] op_sel_hi:[0,1]
	v_pk_mul_f32 v[36:37], v[68:69], v[36:37] op_sel_hi:[0,1]
	s_add_i32 s57, s57, 64
	v_pk_fma_f32 v[22:23], v[70:71], v[22:23], v[38:39]
	v_pk_fma_f32 v[24:25], v[72:73], v[24:25], v[40:41]
	;; [unrolled: 1-line block ×13, first 2 shown]
	s_cmp_eq_u32 s51, s65
	v_pk_fma_f32 v[8:9], v[36:37], v[8:9], v[64:65]
	s_cbranch_scc1 .LBB150_18
; %bb.17:                               ;   in Loop: Header=BB150_6 Depth=1
	s_mov_b32 s64, s65
	s_branch .LBB150_6
.LBB150_18:
	s_lshl_b32 s3, s51, 6
	s_sub_i32 s56, s56, s3
	s_cmp_gt_i32 s56, 0
	v_or_b32_e32 v50, s2, v87
	s_cbranch_scc1 .LBB150_20
; %bb.19:
	s_ashr_i32 s29, s47, 31
	v_or_b32_e32 v34, s2, v87
	s_cbranch_execz .LBB150_21
	s_branch .LBB150_101
.LBB150_20:
                                        ; implicit-def: $vgpr34
                                        ; implicit-def: $sgpr28_sgpr29
.LBB150_21:
	s_add_i32 s28, s3, s38
	s_ashr_i32 s3, s28, 31
	s_cmpk_lg_i32 s19, 0x80
	s_cselect_b64 s[42:43], -1, 0
	s_and_b64 vcc, exec, s[42:43]
	s_cbranch_vccz .LBB150_23
; %bb.22:
	s_mul_hi_i32 s0, s28, s18
	s_mul_i32 s1, s28, s18
	s_ashr_i32 s18, s54, 31
	s_add_u32 s44, s1, s54
	s_addc_u32 s45, s0, s18
	s_cbranch_execz .LBB150_24
	s_branch .LBB150_25
.LBB150_23:
                                        ; implicit-def: $sgpr44_sgpr45
.LBB150_24:
	s_mul_i32 s1, s54, s16
	s_mul_hi_i32 s0, s54, s16
	s_add_u32 s44, s1, s28
	s_addc_u32 s45, s0, s3
.LBB150_25:
	s_add_i32 s16, s51, s52
	s_ashr_i32 s29, s47, 31
	s_add_u32 s0, s55, s28
	v_lshlrev_b32_e32 v38, 6, v1
	v_lshlrev_b32_e32 v58, 2, v87
	s_addc_u32 s1, s53, s3
	s_mov_b32 s3, 0x7060302
	v_or_b32_e32 v41, v38, v58
	v_xor_b32_e32 v39, v1, v58
	v_perm_b32 v35, v33, v32, s3
	v_perm_b32 v34, v31, v30, s3
	;; [unrolled: 1-line block ×4, first 2 shown]
	v_lshlrev_b32_e32 v41, 1, v41
	v_xor_b32_e32 v40, v90, v58
	ds_write2st64_b64 v41, v[34:35], v[36:37] offset0:32 offset1:48
	v_lshlrev_b32_e32 v39, 1, v39
	v_lshlrev_b32_e32 v41, 8, v87
	v_or_b32_e32 v42, v39, v41
	v_lshlrev_b32_e32 v40, 1, v40
	ds_write_b64 v42, v[34:35]
	v_or_b32_e32 v34, v40, v41
	v_or_b32_e32 v41, 16, v87
	v_lshlrev_b32_e32 v57, 2, v41
	v_or_b32_e32 v42, v38, v57
	ds_write_b64 v34, v[36:37]
	v_perm_b32 v35, v25, v24, s3
	v_perm_b32 v34, v23, v22, s3
	;; [unrolled: 1-line block ×4, first 2 shown]
	v_lshlrev_b32_e32 v42, 1, v42
	v_lshlrev_b32_e32 v41, 8, v41
	ds_write2st64_b64 v42, v[34:35], v[36:37] offset0:32 offset1:48
	v_or_b32_e32 v42, v39, v41
	ds_write_b64 v42, v[34:35]
	v_or_b32_e32 v34, v40, v41
	v_or_b32_e32 v41, 32, v87
	v_lshlrev_b32_e32 v56, 2, v41
	v_or_b32_e32 v42, v38, v56
	ds_write_b64 v34, v[36:37]
	v_perm_b32 v35, v17, v16, s3
	v_perm_b32 v34, v15, v14, s3
	;; [unrolled: 1-line block ×4, first 2 shown]
	v_lshlrev_b32_e32 v42, 1, v42
	v_lshlrev_b32_e32 v41, 8, v41
	s_lshl_b64 s[30:31], s[0:1], 8
	ds_write2st64_b64 v42, v[34:35], v[36:37] offset0:32 offset1:48
	v_or_b32_e32 v42, v39, v41
	s_add_u32 s0, s6, s30
	ds_write_b64 v42, v[34:35]
	v_or_b32_e32 v34, v40, v41
	s_addc_u32 s1, s7, s31
	ds_write_b64 v34, v[36:37]
	v_perm_b32 v35, v5, v4, s3
	v_perm_b32 v34, v3, v2, s3
	v_perm_b32 v37, v9, v8, s3
	v_perm_b32 v36, v7, v6, s3
	v_or_b32_e32 v41, 48, v87
	s_mul_hi_i32 s3, s16, s17
	s_mul_i32 s16, s16, s17
	v_lshlrev_b32_e32 v53, 2, v41
	s_add_u32 s6, s16, s47
	v_or_b32_e32 v38, v38, v53
	s_addc_u32 s7, s3, s29
	v_lshlrev_b32_e32 v38, 1, v38
	s_ashr_i32 s3, s2, 31
	s_lshl_b64 s[6:7], s[6:7], 15
	ds_write2st64_b64 v38, v[34:35], v[36:37] offset0:32 offset1:48
	v_lshlrev_b32_e32 v38, 8, v41
	s_add_u32 s6, s40, s6
	v_or_b32_e32 v39, v39, v38
	s_addc_u32 s7, s41, s7
	s_lshl_b64 s[2:3], s[2:3], 8
	ds_write_b64 v39, v[34:35]
	v_or_b32_e32 v34, v40, v38
	s_add_u32 s2, s6, s2
	v_lshlrev_b32_e32 v35, 1, v87
	ds_write_b64 v34, v[36:37]
	v_lshrrev_b32_e32 v34, 4, v0
	s_addc_u32 s3, s7, s3
	v_or_b32_e32 v36, 1, v35
	v_lshlrev_b32_e32 v42, 4, v87
	v_mov_b32_e32 v43, 0
	v_xor_b32_e32 v35, v34, v35
	v_xor_b32_e32 v38, v36, v34
	v_lshl_add_u64 v[44:45], s[2:3], 0, v[42:43]
	v_lshlrev_b32_e32 v42, 8, v34
	v_lshl_or_b32 v48, v35, 3, v42
	v_lshl_or_b32 v49, v38, 3, v42
	s_waitcnt lgkmcnt(0)
	s_barrier
	ds_read2st64_b64 v[34:37], v48 offset1:8
	ds_read2st64_b64 v[38:41], v49 offset1:8
	v_lshl_add_u64 v[46:47], v[44:45], 0, v[42:43]
	s_movk_i32 s2, 0x2000
	s_cmp_lg_u32 s56, 64
	s_waitcnt lgkmcnt(1)
	v_mov_b32_e32 v42, v34
	v_mov_b32_e32 v43, v35
	s_waitcnt lgkmcnt(0)
	v_mov_b32_e32 v44, v38
	v_mov_b32_e32 v45, v39
	global_store_dwordx4 v[46:47], v[42:45], off
	v_mov_b32_e32 v38, v36
	v_mov_b32_e32 v39, v37
	ds_read2st64_b64 v[34:37], v48 offset0:16 offset1:24
	ds_read2st64_b64 v[42:45], v49 offset0:16 offset1:24
	v_add_co_u32_e32 v48, vcc, s2, v46
	s_cselect_b64 s[6:7], -1, 0
	s_nop 0
	v_addc_co_u32_e32 v49, vcc, 0, v47, vcc
	global_store_dwordx4 v[48:49], v[38:41], off offset:-4096
	v_lshl_or_b32 v51, v77, 3, v89
	s_mov_b32 s24, 0
	s_waitcnt lgkmcnt(1)
	v_mov_b32_e32 v38, v34
	v_add_co_u32_e32 v34, vcc, 0x3000, v46
	v_mov_b32_e32 v39, v35
	s_nop 0
	v_addc_co_u32_e32 v35, vcc, 0, v47, vcc
	s_waitcnt lgkmcnt(0)
	v_mov_b32_e32 v40, v42
	v_mov_b32_e32 v41, v43
	;; [unrolled: 1-line block ×4, first 2 shown]
	v_or_b32_e32 v54, 32, v51
	v_and_b32_e32 v52, 56, v88
	s_and_b64 vcc, exec, s[6:7]
	global_store_dwordx4 v[48:49], v[38:41], off
	global_store_dwordx4 v[34:35], v[42:45], off
	s_cbranch_vccz .LBB150_31
; %bb.26:
	s_mov_b32 s26, s24
	s_mov_b32 s27, s24
	;; [unrolled: 1-line block ×3, first 2 shown]
	v_mov_b64_e32 v[40:41], s[26:27]
	v_mov_b64_e32 v[38:39], s[24:25]
	;; [unrolled: 1-line block ×3, first 2 shown]
	v_cmp_gt_i32_e32 vcc, s56, v51
	v_mov_b64_e32 v[36:37], v[40:41]
	s_and_saveexec_b64 s[2:3], vcc
	s_cbranch_execz .LBB150_28
; %bb.27:
	v_lshlrev_b32_e32 v34, 8, v51
	v_mov_b32_e32 v35, 0
	v_lshl_add_u64 v[36:37], s[0:1], 0, v[34:35]
	v_lshlrev_b32_e32 v34, 1, v52
	v_lshl_add_u64 v[42:43], v[36:37], 0, v[34:35]
	global_load_dwordx4 v[38:41], v[42:43], off
	global_load_dwordx4 v[34:37], v[42:43], off offset:128
.LBB150_28:
	s_or_b64 exec, exec, s[2:3]
	s_mov_b32 s26, s24
	s_mov_b32 s27, s24
	;; [unrolled: 1-line block ×3, first 2 shown]
	v_mov_b64_e32 v[48:49], s[26:27]
	v_mov_b64_e32 v[46:47], s[24:25]
	;; [unrolled: 1-line block ×3, first 2 shown]
	v_cmp_gt_i32_e32 vcc, s56, v54
	v_lshlrev_b32_e32 v55, 7, v54
	v_mov_b64_e32 v[44:45], v[48:49]
	s_and_saveexec_b64 s[2:3], vcc
	s_cbranch_execz .LBB150_30
; %bb.29:
	v_lshlrev_b32_e32 v42, 1, v55
	v_mov_b32_e32 v43, 0
	v_lshl_add_u64 v[44:45], s[0:1], 0, v[42:43]
	v_lshlrev_b32_e32 v42, 1, v52
	v_lshl_add_u64 v[60:61], v[44:45], 0, v[42:43]
	global_load_dwordx4 v[46:49], v[60:61], off
	global_load_dwordx4 v[42:45], v[60:61], off offset:128
.LBB150_30:
	s_or_b64 exec, exec, s[2:3]
	v_lshrrev_b32_e32 v59, 3, v52
	v_lshlrev_b32_e32 v60, 3, v51
	v_or_b32_e32 v59, v60, v59
	v_lshlrev_b32_e32 v59, 4, v59
	v_and_b32_e32 v60, 0x78, v60
	v_xor_b32_e32 v59, v59, v60
	s_branch .LBB150_33
.LBB150_31:
                                        ; implicit-def: $vgpr59
                                        ; implicit-def: $vgpr55
                                        ; implicit-def: $vgpr38_vgpr39_vgpr40_vgpr41
                                        ; implicit-def: $vgpr34_vgpr35_vgpr36_vgpr37
                                        ; implicit-def: $vgpr46_vgpr47_vgpr48_vgpr49
                                        ; implicit-def: $vgpr42_vgpr43_vgpr44_vgpr45
	s_cbranch_execz .LBB150_33
; %bb.32:
	s_waitcnt vmcnt(0)
	v_lshlrev_b32_e32 v34, 1, v52
	v_lshl_or_b32 v55, v51, 8, v34
	s_and_b32 s1, s1, 0xffff
	s_mov_b32 s3, 0x20000
	s_movk_i32 s2, 0x4000
	v_lshl_or_b32 v59, v54, 8, v34
	s_movk_i32 s16, 0x80
	buffer_load_dwordx4 v[38:41], v55, s[0:3], 0 offen
	buffer_load_dwordx4 v[34:37], v55, s[0:3], s16 offen
	;; [unrolled: 1-line block ×4, first 2 shown]
	v_lshrrev_b32_e32 v55, 3, v52
	v_lshlrev_b32_e32 v59, 3, v51
	v_or_b32_e32 v55, v59, v55
	v_lshlrev_b32_e32 v55, 4, v55
	v_and_b32_e32 v59, 0x78, v59
	v_xor_b32_e32 v59, v55, v59
	v_lshlrev_b32_e32 v55, 7, v54
.LBB150_33:
	s_movk_i32 s0, 0x1000
	v_and_or_b32 v54, v55, s0, v59
	s_waitcnt vmcnt(1)
	ds_write_b64 v59, v[38:39] offset:49152
	v_xor_b32_e32 v38, 8, v59
	ds_write_b64 v38, v[40:41] offset:49152
	s_waitcnt vmcnt(0)
	ds_write_b64 v59, v[34:35] offset:57344
	ds_write_b64 v38, v[36:37] offset:57344
	;; [unrolled: 1-line block ×3, first 2 shown]
	v_xor_b32_e32 v34, 8, v54
	ds_write_b64 v34, v[48:49] offset:49152
	ds_write_b64 v54, v[42:43] offset:57344
	;; [unrolled: 1-line block ×3, first 2 shown]
	v_or_b32_e32 v34, v84, v87
	v_lshlrev_b32_e32 v34, 3, v34
	v_lshrrev_b32_e32 v35, 5, v85
	s_movk_i32 s0, 0xf8
	v_and_or_b32 v35, v34, s0, v35
	v_lshlrev_b32_e32 v39, 4, v35
	v_lshlrev_b32_e32 v59, 11, v77
	v_and_b32_e32 v40, 0x78, v34
	v_or_b32_e32 v42, 32, v39
	v_and_b32_e32 v38, 0x1000, v59
	v_lshrrev_b32_e32 v35, 1, v85
	v_xor_b32_e32 v42, v42, v40
	v_xor_b32_e32 v34, v39, v40
	v_and_b32_e32 v41, 8, v35
	v_or_b32_e32 v42, v42, v38
	v_or_b32_e32 v34, v34, v38
	v_xor_b32_e32 v65, v42, v41
	v_or_b32_e32 v42, 64, v39
	v_xor_b32_e32 v64, v34, v41
	v_xor_b32_e32 v42, v42, v40
	s_waitcnt lgkmcnt(0)
	s_barrier
	v_or_b32_e32 v45, v42, v38
	ds_read_b64 v[42:43], v64 offset:49152
	v_lshl_or_b32 v46, v86, 8, v58
	v_lshlrev_b32_e32 v60, 1, v46
	v_add_u32_e32 v44, 0x4000, v60
	ds_read2_b64 v[34:37], v44 offset1:16
	v_or_b32_e32 v39, 0x60, v39
	v_xor_b32_e32 v39, v39, v40
	v_or_b32_e32 v38, v39, v38
	v_xor_b32_e32 v66, v45, v41
	v_xor_b32_e32 v67, v38, v41
	ds_read_b64 v[54:55], v65 offset:49152
	ds_read_b64 v[68:69], v66 offset:49152
	ds_read_b64 v[70:71], v67 offset:49152
	s_waitcnt lgkmcnt(3)
	v_mfma_f32_16x16x16_bf16 a[0:3], v[42:43], v[34:35], 0
	ds_read2_b64 v[38:41], v44 offset0:32 offset1:48
	s_lshl_b64 s[0:1], s[44:45], 8
	s_add_u32 s4, s4, s0
	v_mfma_f32_16x16x16_bf16 a[4:7], v[42:43], v[36:37], 0
	ds_read2st64_b64 v[34:37], v60 offset0:36 offset1:40
	s_addc_u32 s5, s5, s1
	s_add_i32 s18, s39, -1
	s_waitcnt lgkmcnt(1)
	v_mfma_f32_16x16x16_bf16 a[8:11], v[42:43], v[38:39], 0
	v_or_b32_e32 v38, 64, v46
	v_lshlrev_b32_e32 v61, 1, v38
	s_add_i32 s0, s49, s48
	s_waitcnt lgkmcnt(0)
	v_mfma_f32_16x16x16_bf16 a[0:3], v[54:55], v[34:35], a[0:3]
	v_or_b32_e32 v34, 0x80, v46
	v_lshlrev_b32_e32 v62, 1, v34
	v_or_b32_e32 v34, 0xc0, v46
	v_mfma_f32_16x16x16_bf16 a[12:15], v[42:43], v[40:41], 0
	ds_read2st64_b64 v[38:41], v61 offset0:36 offset1:40
	v_lshlrev_b32_e32 v63, 1, v34
	ds_read2st64_b64 v[42:45], v62 offset0:36 offset1:40
	ds_read2st64_b64 v[46:49], v63 offset0:36 offset1:40
	s_add_i32 s21, s0, s50
	s_mul_i32 s0, s47, s23
	s_mul_hi_u32 s1, s47, s22
	s_ashr_i32 s2, s18, 31
	s_mul_i32 s3, s18, s15
	s_mul_hi_u32 s16, s18, s14
	s_waitcnt lgkmcnt(2)
	v_mfma_f32_16x16x16_bf16 a[4:7], v[54:55], v[38:39], a[4:7]
	s_add_i32 s0, s1, s0
	s_mul_i32 s1, s29, s22
	s_add_i32 s3, s16, s3
	s_mul_i32 s2, s2, s14
	s_waitcnt lgkmcnt(1)
	v_mfma_f32_16x16x16_bf16 a[8:11], v[54:55], v[42:43], a[8:11]
	s_add_i32 s1, s0, s1
	s_add_i32 s3, s3, s2
	s_lshl_b64 s[20:21], s[20:21], 2
	s_waitcnt lgkmcnt(0)
	v_mfma_f32_16x16x16_bf16 a[12:15], v[54:55], v[46:47], a[12:15]
	s_mul_i32 s0, s47, s22
	s_add_u32 s10, s10, s20
	s_addc_u32 s11, s11, s21
	s_lshl_b64 s[0:1], s[0:1], 2
	v_mfma_f32_16x16x16_bf16 a[0:3], v[68:69], v[36:37], a[0:3]
	s_mul_i32 s2, s18, s14
	ds_read_b64 v[34:35], v60 offset:22528
	s_add_u32 s10, s10, s0
	v_mfma_f32_16x16x16_bf16 a[4:7], v[68:69], v[40:41], a[4:7]
	ds_read_b64 v[36:37], v61 offset:22528
	ds_read_b64 v[38:39], v62 offset:22528
	;; [unrolled: 1-line block ×3, first 2 shown]
	s_addc_u32 s11, s11, s1
	s_lshl_b64 s[0:1], s[2:3], 2
	v_mfma_f32_16x16x16_bf16 a[8:11], v[68:69], v[44:45], a[8:11]
	s_add_u32 s0, s10, s0
	s_addc_u32 s1, s11, s1
	s_load_dword s16, s[0:1], 0x0
	v_mfma_f32_16x16x16_bf16 a[12:15], v[68:69], v[48:49], a[12:15]
	s_and_b64 vcc, exec, s[42:43]
	s_waitcnt lgkmcnt(0)
	v_mfma_f32_16x16x16_bf16 a[0:3], v[70:71], v[34:35], a[0:3]
	v_mfma_f32_16x16x16_bf16 a[4:7], v[70:71], v[36:37], a[4:7]
	;; [unrolled: 1-line block ×4, first 2 shown]
	s_cbranch_vccz .LBB150_44
; %bb.34:
	v_lshlrev_b32_e32 v54, 1, v51
	s_and_b64 vcc, exec, s[6:7]
	s_cbranch_vccz .LBB150_45
; %bb.35:
	v_cmp_gt_i32_e32 vcc, s56, v54
	v_mov_b32_e32 v38, 0
	v_mov_b32_e32 v34, 0
	;; [unrolled: 1-line block ×5, first 2 shown]
	s_and_saveexec_b64 s[0:1], vcc
	s_cbranch_execz .LBB150_37
; %bb.36:
	v_mad_i64_i32 v[34:35], s[2:3], s19, v54, 0
	v_lshl_add_u64 v[34:35], v[34:35], 1, s[4:5]
	v_lshlrev_b32_e32 v36, 1, v52
	v_mov_b32_e32 v37, 0
	v_lshl_add_u64 v[34:35], v[34:35], 0, v[36:37]
	global_load_dwordx4 v[34:37], v[34:35], off
.LBB150_37:
	s_or_b64 exec, exec, s[0:1]
	v_or_b32_e32 v55, 1, v54
	v_cmp_gt_i32_e64 s[0:1], s56, v55
	v_mov_b32_e32 v39, 0
	v_mov_b32_e32 v40, 0
	;; [unrolled: 1-line block ×3, first 2 shown]
	s_and_saveexec_b64 s[2:3], s[0:1]
	s_cbranch_execz .LBB150_39
; %bb.38:
	v_mad_i64_i32 v[38:39], s[20:21], s19, v55, 0
	v_lshl_add_u64 v[38:39], v[38:39], 1, s[4:5]
	v_lshlrev_b32_e32 v40, 1, v52
	v_mov_b32_e32 v41, 0
	v_lshl_add_u64 v[38:39], v[38:39], 0, v[40:41]
	global_load_dwordx4 v[38:41], v[38:39], off
.LBB150_39:
	s_or_b64 exec, exec, s[2:3]
	v_mov_b32_e32 v49, 0
	v_mov_b32_e32 v42, 0
	;; [unrolled: 1-line block ×5, first 2 shown]
	s_and_saveexec_b64 s[2:3], vcc
	s_cbranch_execz .LBB150_41
; %bb.40:
	v_mad_i64_i32 v[42:43], s[20:21], s19, v54, 0
	v_lshl_add_u64 v[42:43], v[42:43], 1, s[4:5]
	v_lshlrev_b32_e32 v44, 1, v52
	v_mov_b32_e32 v45, 0
	v_lshl_add_u64 v[42:43], v[42:43], 0, v[44:45]
	global_load_dwordx4 v[42:45], v[42:43], off offset:128
.LBB150_41:
	s_or_b64 exec, exec, s[2:3]
	v_mov_b32_e32 v48, 0
	v_mov_b32_e32 v47, 0
	;; [unrolled: 1-line block ×3, first 2 shown]
	s_and_saveexec_b64 s[2:3], s[0:1]
	s_cbranch_execz .LBB150_43
; %bb.42:
	v_mad_i64_i32 v[46:47], s[0:1], s19, v55, 0
	v_lshl_add_u64 v[46:47], v[46:47], 1, s[4:5]
	v_lshlrev_b32_e32 v48, 1, v52
	v_mov_b32_e32 v49, 0
	v_lshl_add_u64 v[46:47], v[46:47], 0, v[48:49]
	global_load_dwordx4 v[46:49], v[46:47], off offset:128
.LBB150_43:
	s_or_b64 exec, exec, s[2:3]
	s_branch .LBB150_47
.LBB150_44:
                                        ; implicit-def: $vgpr37
                                        ; implicit-def: $vgpr41
                                        ; implicit-def: $vgpr45
                                        ; implicit-def: $vgpr49
	v_lshrrev_b32_e32 v68, 2, v85
	s_branch .LBB150_48
.LBB150_45:
                                        ; implicit-def: $vgpr37
                                        ; implicit-def: $vgpr41
                                        ; implicit-def: $vgpr45
                                        ; implicit-def: $vgpr49
	s_cbranch_execz .LBB150_47
; %bb.46:
	s_waitcnt vmcnt(0)
	v_mad_u64_u32 v[34:35], s[0:1], v54, s19, v[52:53]
	v_lshlrev_b32_e32 v54, 1, v34
	s_lshl_b32 s2, s19, 7
	s_and_b32 s1, s5, 0xffff
	s_mov_b32 s3, 0x20000
	s_mov_b32 s0, s4
	v_add_lshl_u32 v55, v34, s19, 1
	s_movk_i32 s19, 0x80
	buffer_load_dwordx4 v[34:37], v54, s[0:3], 0 offen
	buffer_load_dwordx4 v[42:45], v54, s[0:3], s19 offen
	;; [unrolled: 1-line block ×4, first 2 shown]
.LBB150_47:
	v_lshrrev_b32_e32 v68, 2, v85
	s_cbranch_execnz .LBB150_60
.LBB150_48:
	s_and_b64 vcc, exec, s[6:7]
	s_cbranch_vccz .LBB150_58
; %bb.49:
	s_waitcnt vmcnt(0)
	v_lshlrev_b32_e32 v39, 1, v51
	v_cmp_gt_i32_e32 vcc, s56, v39
	v_mov_b32_e32 v38, 0
	v_lshlrev_b32_e32 v46, 9, v51
	v_mov_b32_e32 v34, 0
	v_mov_b32_e32 v35, 0
	;; [unrolled: 1-line block ×4, first 2 shown]
	s_and_saveexec_b64 s[0:1], vcc
	s_cbranch_execz .LBB150_51
; %bb.50:
	v_mov_b32_e32 v47, 0
	v_lshl_add_u64 v[34:35], s[4:5], 0, v[46:47]
	v_lshlrev_b32_e32 v36, 1, v52
	v_mov_b32_e32 v37, v47
	v_lshl_add_u64 v[34:35], v[34:35], 0, v[36:37]
	global_load_dwordx4 v[34:37], v[34:35], off
.LBB150_51:
	s_or_b64 exec, exec, s[0:1]
	v_or_b32_e32 v39, 1, v39
	v_cmp_gt_i32_e64 s[0:1], s56, v39
	v_lshlrev_b32_e32 v54, 8, v39
	v_mov_b32_e32 v39, 0
	v_mov_b32_e32 v40, 0
	;; [unrolled: 1-line block ×3, first 2 shown]
	s_and_saveexec_b64 s[2:3], s[0:1]
	s_cbranch_execz .LBB150_53
; %bb.52:
	v_mov_b32_e32 v55, 0
	v_lshl_add_u64 v[38:39], s[4:5], 0, v[54:55]
	v_lshlrev_b32_e32 v40, 1, v52
	v_mov_b32_e32 v41, v55
	v_lshl_add_u64 v[38:39], v[38:39], 0, v[40:41]
	global_load_dwordx4 v[38:41], v[38:39], off
.LBB150_53:
	s_or_b64 exec, exec, s[2:3]
	v_mov_b32_e32 v49, 0
	v_mov_b32_e32 v42, 0
	;; [unrolled: 1-line block ×5, first 2 shown]
	s_and_saveexec_b64 s[2:3], vcc
	s_cbranch_execz .LBB150_55
; %bb.54:
	v_mov_b32_e32 v47, 0
	v_lshl_add_u64 v[42:43], s[4:5], 0, v[46:47]
	v_lshlrev_b32_e32 v46, 1, v52
	v_lshl_add_u64 v[42:43], v[42:43], 0, v[46:47]
	global_load_dwordx4 v[42:45], v[42:43], off offset:128
.LBB150_55:
	s_or_b64 exec, exec, s[2:3]
	v_mov_b32_e32 v48, 0
	v_mov_b32_e32 v47, 0
	;; [unrolled: 1-line block ×3, first 2 shown]
	s_and_saveexec_b64 s[2:3], s[0:1]
	s_cbranch_execz .LBB150_57
; %bb.56:
	v_mov_b32_e32 v55, 0
	v_lshl_add_u64 v[46:47], s[4:5], 0, v[54:55]
	v_lshlrev_b32_e32 v54, 1, v52
	v_lshl_add_u64 v[46:47], v[46:47], 0, v[54:55]
	global_load_dwordx4 v[46:49], v[46:47], off offset:128
.LBB150_57:
	s_or_b64 exec, exec, s[2:3]
	s_branch .LBB150_60
.LBB150_58:
                                        ; implicit-def: $vgpr37
                                        ; implicit-def: $vgpr41
                                        ; implicit-def: $vgpr45
                                        ; implicit-def: $vgpr49
	s_cbranch_execz .LBB150_60
; %bb.59:
	s_waitcnt vmcnt(0)
	v_lshlrev_b32_e32 v34, 1, v52
	v_lshl_or_b32 v52, v51, 9, v34
	s_and_b32 s5, s5, 0xffff
	s_mov_b32 s7, 0x20000
	s_movk_i32 s6, 0x4000
	s_movk_i32 s0, 0x80
	buffer_load_dwordx4 v[34:37], v52, s[4:7], 0 offen
	buffer_load_dwordx4 v[38:41], v52, s[4:7], 0 offen offset:256
	buffer_load_dwordx4 v[42:45], v52, s[4:7], s0 offen
	buffer_load_dwordx4 v[46:49], v52, s[4:7], s0 offen offset:256
.LBB150_60:
	ds_read_b64 v[54:55], v64 offset:57344
	v_add_u32_e32 v52, 0x6000, v60
	ds_read2_b64 v[70:73], v52 offset1:16
	ds_read_b64 v[82:83], v65 offset:57344
	ds_read_b64 v[86:87], v66 offset:57344
	;; [unrolled: 1-line block ×3, first 2 shown]
	ds_read2_b64 v[64:67], v52 offset0:32 offset1:48
	v_and_b32_e32 v52, 12, v68
	v_and_b32_e32 v76, 6, v0
	v_xor_b32_e32 v51, v51, v76
	v_lshlrev_b32_e32 v51, 2, v51
	s_mov_b32 s0, 0x1000504
	s_waitcnt lgkmcnt(4)
	v_mfma_f32_16x16x16_bf16 a[4:7], v[54:55], v[72:73], a[4:7]
	s_mov_b32 s1, 0x3020706
	v_mfma_f32_16x16x16_bf16 a[0:3], v[54:55], v[70:71], a[0:3]
	ds_read2st64_b64 v[68:71], v60 offset0:52 offset1:56
	s_waitcnt lgkmcnt(1)
	v_mfma_f32_16x16x16_bf16 a[8:11], v[54:55], v[64:65], a[8:11]
	v_mfma_f32_16x16x16_bf16 a[12:15], v[54:55], v[66:67], a[12:15]
	ds_read2st64_b64 v[64:67], v61 offset0:52 offset1:56
	ds_read2st64_b64 v[72:75], v62 offset0:52 offset1:56
	;; [unrolled: 1-line block ×3, first 2 shown]
	s_waitcnt lgkmcnt(2)
	v_mfma_f32_16x16x16_bf16 a[4:7], v[82:83], v[64:65], a[4:7]
	v_and_b32_e32 v64, 1, v0
	v_xor_b32_e32 v65, 0x440, v51
	v_cmp_eq_u32_e32 vcc, 0, v64
	v_mfma_f32_16x16x16_bf16 a[0:3], v[82:83], v[68:69], a[0:3]
	s_waitcnt vmcnt(0)
	v_perm_b32 v64, v34, v38, s0
	v_cndmask_b32_e32 v51, v65, v51, vcc
	v_lshl_or_b32 v51, v76, 10, v51
	s_waitcnt lgkmcnt(1)
	v_mfma_f32_16x16x16_bf16 a[8:11], v[82:83], v[72:73], a[8:11]
	v_perm_b32 v65, v42, v46, s0
	ds_read_b64 v[54:55], v60 offset:30720
	ds_read_b64 v[68:69], v61 offset:30720
	;; [unrolled: 1-line block ×4, first 2 shown]
	ds_write2st64_b32 v51, v64, v65 offset0:128 offset1:160
	s_waitcnt lgkmcnt(5)
	v_mfma_f32_16x16x16_bf16 a[12:15], v[82:83], v[78:79], a[12:15]
	v_xor_b32_e32 v64, 8, v51
	v_perm_b32 v34, v34, v38, s1
	v_perm_b32 v38, v42, v46, s1
	v_add_u32_e32 v42, 0x80, v64
	ds_write2st64_b32 v42, v34, v38 offset0:128 offset1:160
	v_xor_b32_e32 v34, 16, v51
	v_perm_b32 v38, v35, v39, s0
	v_perm_b32 v42, v43, v47, s0
	v_mfma_f32_16x16x16_bf16 a[0:3], v[86:87], v[70:71], a[0:3]
	ds_write2st64_b32 v34, v38, v42 offset0:129 offset1:161
	v_xor_b32_e32 v34, 24, v51
	v_perm_b32 v35, v35, v39, s1
	v_mfma_f32_16x16x16_bf16 a[4:7], v[86:87], v[66:67], a[4:7]
	v_perm_b32 v38, v43, v47, s1
	v_add_u32_e32 v34, 0x80, v34
	ds_write2st64_b32 v34, v35, v38 offset0:129 offset1:161
	v_mfma_f32_16x16x16_bf16 a[16:19], v[86:87], v[74:75], a[8:11]
	v_xor_b32_e32 v34, 32, v51
	v_perm_b32 v35, v36, v40, s0
	v_perm_b32 v38, v44, v48, s0
	v_mfma_f32_16x16x16_bf16 a[20:23], v[86:87], v[80:81], a[12:15]
	ds_write2st64_b32 v34, v35, v38 offset0:130 offset1:162
	v_xor_b32_e32 v34, 40, v51
	v_perm_b32 v35, v36, v40, s1
	s_waitcnt lgkmcnt(8)
	v_mfma_f32_16x16x16_bf16 a[12:15], v[88:89], v[54:55], a[0:3]
	v_perm_b32 v36, v44, v48, s1
	v_add_u32_e32 v34, 0x80, v34
	ds_write2st64_b32 v34, v35, v36 offset0:130 offset1:162
	s_waitcnt lgkmcnt(8)
	v_mfma_f32_16x16x16_bf16 a[8:11], v[88:89], v[68:69], a[4:7]
	v_xor_b32_e32 v34, 48, v51
	v_perm_b32 v35, v37, v41, s0
	v_perm_b32 v36, v45, v49, s0
	s_waitcnt lgkmcnt(7)
	v_mfma_f32_16x16x16_bf16 a[4:7], v[88:89], v[90:91], a[16:19]
	ds_write2st64_b32 v34, v35, v36 offset0:131 offset1:163
	v_xor_b32_e32 v34, 56, v51
	v_or_b32_e32 v48, v52, v84
	s_waitcnt lgkmcnt(7)
	v_mfma_f32_16x16x16_bf16 a[0:3], v[88:89], v[92:93], a[20:23]
	v_perm_b32 v35, v37, v41, s1
	v_perm_b32 v36, v45, v49, s1
	v_add_u32_e32 v34, 0x80, v34
	v_cmp_gt_i32_e64 s[0:1], s56, v48
	v_mov_b32_e32 v54, 0
	v_mov_b32_e32 v55, 0
	ds_write2st64_b32 v34, v35, v36 offset0:131 offset1:163
	s_and_saveexec_b64 s[2:3], s[0:1]
	s_cbranch_execz .LBB150_62
; %bb.61:
	v_add_u32_e32 v34, s28, v48
	v_ashrrev_i32_e32 v35, 31, v34
	v_mul_lo_u32 v36, v35, s14
	v_mul_lo_u32 v37, v34, s15
	v_mad_u64_u32 v[34:35], s[4:5], v34, s14, 0
	v_add3_u32 v35, v35, v37, v36
	v_lshl_add_u64 v[34:35], v[34:35], 2, s[10:11]
	global_load_dword v34, v[34:35], off
	s_waitcnt vmcnt(0)
	v_sub_f32_e32 v34, s16, v34
	v_exp_f32_e32 v55, v34
.LBB150_62:
	s_or_b64 exec, exec, s[2:3]
	v_or_b32_e32 v40, 1, v48
	v_cmp_gt_i32_e64 s[2:3], s56, v40
	s_and_saveexec_b64 s[4:5], s[2:3]
	s_cbranch_execz .LBB150_64
; %bb.63:
	v_add_u32_e32 v34, s28, v40
	v_ashrrev_i32_e32 v35, 31, v34
	v_mul_lo_u32 v36, v35, s14
	v_mul_lo_u32 v37, v34, s15
	v_mad_u64_u32 v[34:35], s[6:7], v34, s14, 0
	v_add3_u32 v35, v35, v37, v36
	v_lshl_add_u64 v[34:35], v[34:35], 2, s[10:11]
	global_load_dword v34, v[34:35], off
	s_waitcnt vmcnt(0)
	v_sub_f32_e32 v34, s16, v34
	v_exp_f32_e32 v54, v34
.LBB150_64:
	s_or_b64 exec, exec, s[4:5]
	v_or_b32_e32 v41, 2, v48
	v_cmp_gt_i32_e64 s[4:5], s56, v41
	v_mov_b32_e32 v49, 0
	v_mov_b32_e32 v64, 0
	s_and_saveexec_b64 s[6:7], s[4:5]
	s_cbranch_execz .LBB150_66
; %bb.65:
	v_add_u32_e32 v34, s28, v41
	v_ashrrev_i32_e32 v35, 31, v34
	v_mul_lo_u32 v36, v35, s14
	v_mul_lo_u32 v37, v34, s15
	v_mad_u64_u32 v[34:35], s[20:21], v34, s14, 0
	v_add3_u32 v35, v35, v37, v36
	v_lshl_add_u64 v[34:35], v[34:35], 2, s[10:11]
	global_load_dword v34, v[34:35], off
	s_waitcnt vmcnt(0)
	v_sub_f32_e32 v34, s16, v34
	v_exp_f32_e32 v64, v34
.LBB150_66:
	s_or_b64 exec, exec, s[6:7]
	v_or_b32_e32 v65, 3, v48
	v_cmp_gt_i32_e32 vcc, s56, v65
	s_and_saveexec_b64 s[6:7], vcc
	s_cbranch_execz .LBB150_68
; %bb.67:
	v_add_u32_e32 v34, s28, v65
	v_ashrrev_i32_e32 v35, 31, v34
	v_mul_lo_u32 v36, v35, s14
	v_mul_lo_u32 v37, v34, s15
	v_mad_u64_u32 v[34:35], s[14:15], v34, s14, 0
	v_add3_u32 v35, v35, v37, v36
	v_lshl_add_u64 v[34:35], v[34:35], 2, s[10:11]
	global_load_dword v34, v[34:35], off
	s_waitcnt vmcnt(0)
	v_sub_f32_e32 v34, s16, v34
	v_exp_f32_e32 v49, v34
.LBB150_68:
	s_or_b64 exec, exec, s[6:7]
	s_add_u32 s6, s8, s30
	v_accvgpr_read_b32 v37, a15
	s_addc_u32 s7, s9, s31
	v_ashrrev_i32_e32 v51, 31, v50
	v_accvgpr_read_b32 v36, a14
	v_accvgpr_read_b32 v35, a13
	;; [unrolled: 1-line block ×3, first 2 shown]
	v_lshl_add_u64 v[38:39], v[50:51], 1, s[6:7]
	v_mov_b32_e32 v45, 0
	v_lshlrev_b32_e32 v42, 8, v48
	v_mov_b32_e32 v43, 0
	s_and_saveexec_b64 s[6:7], s[0:1]
	s_cbranch_execz .LBB150_70
; %bb.69:
	v_mov_b32_e32 v43, 0
	v_lshl_add_u64 v[46:47], v[38:39], 0, v[42:43]
	global_load_ushort v43, v[46:47], off
	s_waitcnt vmcnt(0)
	v_lshlrev_b32_e32 v43, 16, v43
	v_sub_f32_e32 v34, v43, v34
	v_mul_f32_e32 v34, v55, v34
	v_lshrrev_b32_e32 v43, 16, v34
.LBB150_70:
	s_or_b64 exec, exec, s[6:7]
	v_lshlrev_b32_e32 v44, 8, v40
	s_and_saveexec_b64 s[6:7], s[2:3]
	s_cbranch_execz .LBB150_72
; %bb.71:
	v_mov_b32_e32 v45, 0
	v_lshl_add_u64 v[46:47], v[38:39], 0, v[44:45]
	global_load_ushort v34, v[46:47], off
	s_waitcnt vmcnt(0)
	v_lshlrev_b32_e32 v34, 16, v34
	v_sub_f32_e32 v34, v34, v35
	v_mul_f32_e32 v34, v54, v34
	v_lshrrev_b32_e32 v45, 16, v34
.LBB150_72:
	s_or_b64 exec, exec, s[6:7]
	v_mov_b32_e32 v66, 0
	v_lshlrev_b32_e32 v46, 8, v41
	v_mov_b32_e32 v47, 0
	s_and_saveexec_b64 s[6:7], s[4:5]
	s_cbranch_execz .LBB150_74
; %bb.73:
	v_mov_b32_e32 v47, 0
	v_lshl_add_u64 v[34:35], v[38:39], 0, v[46:47]
	global_load_ushort v34, v[34:35], off
	s_waitcnt vmcnt(0)
	v_lshlrev_b32_e32 v34, 16, v34
	v_sub_f32_e32 v34, v34, v36
	v_mul_f32_e32 v34, v64, v34
	v_lshrrev_b32_e32 v47, 16, v34
.LBB150_74:
	s_or_b64 exec, exec, s[6:7]
	v_lshlrev_b32_e32 v40, 8, v65
	s_and_saveexec_b64 s[6:7], vcc
	s_cbranch_execz .LBB150_76
; %bb.75:
	v_mov_b32_e32 v41, 0
	v_lshl_add_u64 v[34:35], v[38:39], 0, v[40:41]
	global_load_ushort v34, v[34:35], off
	s_waitcnt vmcnt(0)
	v_lshlrev_b32_e32 v34, 16, v34
	v_sub_f32_e32 v34, v34, v37
	v_mul_f32_e32 v34, v49, v34
	v_lshrrev_b32_e32 v66, 16, v34
.LBB150_76:
	s_or_b64 exec, exec, s[6:7]
	v_lshlrev_b32_e32 v51, 6, v48
	v_accvgpr_read_b32 v37, a11
	s_mov_b32 s6, 0x5040100
	v_or_b32_e32 v41, v51, v58
	v_accvgpr_read_b32 v36, a10
	v_accvgpr_read_b32 v35, a9
	;; [unrolled: 1-line block ×3, first 2 shown]
	v_perm_b32 v67, v66, v47, s6
	v_perm_b32 v66, v45, v43, s6
	v_lshlrev_b32_e32 v41, 1, v41
	v_mov_b32_e32 v45, 0
	v_mov_b32_e32 v43, 0
	ds_write_b64 v41, v[66:67] offset:24576
	s_and_saveexec_b64 s[6:7], s[0:1]
	s_cbranch_execz .LBB150_78
; %bb.77:
	v_mov_b32_e32 v43, 0
	v_lshl_add_u64 v[66:67], v[38:39], 0, v[42:43]
	global_load_ushort v41, v[66:67], off offset:32
	s_waitcnt vmcnt(0)
	v_lshlrev_b32_e32 v41, 16, v41
	v_sub_f32_e32 v34, v41, v34
	v_mul_f32_e32 v34, v55, v34
	v_lshrrev_b32_e32 v43, 16, v34
.LBB150_78:
	s_or_b64 exec, exec, s[6:7]
	s_and_saveexec_b64 s[6:7], s[2:3]
	s_cbranch_execz .LBB150_80
; %bb.79:
	v_mov_b32_e32 v45, 0
	v_lshl_add_u64 v[66:67], v[38:39], 0, v[44:45]
	global_load_ushort v34, v[66:67], off offset:32
	s_waitcnt vmcnt(0)
	v_lshlrev_b32_e32 v34, 16, v34
	v_sub_f32_e32 v34, v34, v35
	v_mul_f32_e32 v34, v54, v34
	v_lshrrev_b32_e32 v45, 16, v34
.LBB150_80:
	s_or_b64 exec, exec, s[6:7]
	v_mov_b32_e32 v41, 0
	v_mov_b32_e32 v47, 0
	s_and_saveexec_b64 s[6:7], s[4:5]
	s_cbranch_execz .LBB150_82
; %bb.81:
	v_mov_b32_e32 v47, 0
	v_lshl_add_u64 v[34:35], v[38:39], 0, v[46:47]
	global_load_ushort v34, v[34:35], off offset:32
	s_waitcnt vmcnt(0)
	v_lshlrev_b32_e32 v34, 16, v34
	v_sub_f32_e32 v34, v34, v36
	v_mul_f32_e32 v34, v64, v34
	v_lshrrev_b32_e32 v47, 16, v34
.LBB150_82:
	s_or_b64 exec, exec, s[6:7]
	s_and_saveexec_b64 s[6:7], vcc
	s_cbranch_execz .LBB150_84
; %bb.83:
	v_mov_b32_e32 v41, 0
	v_lshl_add_u64 v[34:35], v[38:39], 0, v[40:41]
	global_load_ushort v34, v[34:35], off offset:32
	s_waitcnt vmcnt(0)
	v_lshlrev_b32_e32 v34, 16, v34
	v_sub_f32_e32 v34, v34, v37
	v_mul_f32_e32 v34, v49, v34
	v_lshrrev_b32_e32 v41, 16, v34
.LBB150_84:
	s_or_b64 exec, exec, s[6:7]
	s_mov_b32 s6, 0x5040100
	v_accvgpr_read_b32 v37, a7
	v_perm_b32 v67, v41, v47, s6
	v_or_b32_e32 v41, v51, v57
	v_accvgpr_read_b32 v36, a6
	v_accvgpr_read_b32 v35, a5
	;; [unrolled: 1-line block ×3, first 2 shown]
	v_perm_b32 v66, v45, v43, s6
	v_lshlrev_b32_e32 v41, 1, v41
	v_mov_b32_e32 v45, 0
	v_mov_b32_e32 v43, 0
	ds_write_b64 v41, v[66:67] offset:24576
	s_and_saveexec_b64 s[6:7], s[0:1]
	s_cbranch_execz .LBB150_86
; %bb.85:
	v_mov_b32_e32 v43, 0
	v_lshl_add_u64 v[66:67], v[38:39], 0, v[42:43]
	global_load_ushort v41, v[66:67], off offset:64
	s_waitcnt vmcnt(0)
	v_lshlrev_b32_e32 v41, 16, v41
	v_sub_f32_e32 v34, v41, v34
	v_mul_f32_e32 v34, v55, v34
	v_lshrrev_b32_e32 v43, 16, v34
.LBB150_86:
	s_or_b64 exec, exec, s[6:7]
	s_and_saveexec_b64 s[6:7], s[2:3]
	s_cbranch_execz .LBB150_88
; %bb.87:
	v_mov_b32_e32 v45, 0
	v_lshl_add_u64 v[66:67], v[38:39], 0, v[44:45]
	global_load_ushort v34, v[66:67], off offset:64
	s_waitcnt vmcnt(0)
	v_lshlrev_b32_e32 v34, 16, v34
	v_sub_f32_e32 v34, v34, v35
	v_mul_f32_e32 v34, v54, v34
	v_lshrrev_b32_e32 v45, 16, v34
.LBB150_88:
	s_or_b64 exec, exec, s[6:7]
	v_mov_b32_e32 v41, 0
	v_mov_b32_e32 v47, 0
	s_and_saveexec_b64 s[6:7], s[4:5]
	s_cbranch_execz .LBB150_90
; %bb.89:
	v_mov_b32_e32 v47, 0
	v_lshl_add_u64 v[34:35], v[38:39], 0, v[46:47]
	global_load_ushort v34, v[34:35], off offset:64
	s_waitcnt vmcnt(0)
	v_lshlrev_b32_e32 v34, 16, v34
	v_sub_f32_e32 v34, v34, v36
	v_mul_f32_e32 v34, v64, v34
	v_lshrrev_b32_e32 v47, 16, v34
.LBB150_90:
	s_or_b64 exec, exec, s[6:7]
	s_and_saveexec_b64 s[6:7], vcc
	s_cbranch_execz .LBB150_92
; %bb.91:
	v_mov_b32_e32 v41, 0
	v_lshl_add_u64 v[34:35], v[38:39], 0, v[40:41]
	global_load_ushort v34, v[34:35], off offset:64
	s_waitcnt vmcnt(0)
	v_lshlrev_b32_e32 v34, 16, v34
	v_sub_f32_e32 v34, v34, v37
	v_mul_f32_e32 v34, v49, v34
	v_lshrrev_b32_e32 v41, 16, v34
.LBB150_92:
	s_or_b64 exec, exec, s[6:7]
	s_mov_b32 s6, 0x5040100
	v_accvgpr_read_b32 v37, a3
	v_perm_b32 v67, v41, v47, s6
	v_or_b32_e32 v41, v51, v56
	v_accvgpr_read_b32 v36, a2
	v_accvgpr_read_b32 v35, a1
	;; [unrolled: 1-line block ×3, first 2 shown]
	v_perm_b32 v66, v45, v43, s6
	v_lshlrev_b32_e32 v41, 1, v41
	v_mov_b32_e32 v45, 0
	v_mov_b32_e32 v43, 0
	ds_write_b64 v41, v[66:67] offset:24576
	s_and_saveexec_b64 s[6:7], s[0:1]
	s_cbranch_execz .LBB150_94
; %bb.93:
	v_mov_b32_e32 v43, 0
	v_lshl_add_u64 v[42:43], v[38:39], 0, v[42:43]
	global_load_ushort v41, v[42:43], off offset:96
	s_waitcnt vmcnt(0)
	v_lshlrev_b32_e32 v41, 16, v41
	v_sub_f32_e32 v34, v41, v34
	v_mul_f32_e32 v34, v55, v34
	v_lshrrev_b32_e32 v43, 16, v34
.LBB150_94:
	s_or_b64 exec, exec, s[6:7]
	s_and_saveexec_b64 s[0:1], s[2:3]
	s_cbranch_execz .LBB150_96
; %bb.95:
	v_mov_b32_e32 v45, 0
	v_lshl_add_u64 v[44:45], v[38:39], 0, v[44:45]
	global_load_ushort v34, v[44:45], off offset:96
	s_waitcnt vmcnt(0)
	v_lshlrev_b32_e32 v34, 16, v34
	v_sub_f32_e32 v34, v34, v35
	v_mul_f32_e32 v34, v54, v34
	v_lshrrev_b32_e32 v45, 16, v34
.LBB150_96:
	s_or_b64 exec, exec, s[0:1]
	v_mov_b32_e32 v41, 0
	v_mov_b32_e32 v44, 0
	s_and_saveexec_b64 s[0:1], s[4:5]
	s_cbranch_execz .LBB150_98
; %bb.97:
	v_mov_b32_e32 v47, 0
	v_lshl_add_u64 v[34:35], v[38:39], 0, v[46:47]
	global_load_ushort v34, v[34:35], off offset:96
	s_waitcnt vmcnt(0)
	v_lshlrev_b32_e32 v34, 16, v34
	v_sub_f32_e32 v34, v34, v36
	v_mul_f32_e32 v34, v64, v34
	v_lshrrev_b32_e32 v44, 16, v34
.LBB150_98:
	s_or_b64 exec, exec, s[0:1]
	v_or_b32_e32 v34, 0x6000, v60
	v_or_b32_e32 v35, 0x6000, v61
	;; [unrolled: 1-line block ×4, first 2 shown]
	s_and_saveexec_b64 s[0:1], vcc
	s_cbranch_execz .LBB150_100
; %bb.99:
	v_mov_b32_e32 v41, 0
	v_lshl_add_u64 v[38:39], v[38:39], 0, v[40:41]
	global_load_ushort v38, v[38:39], off offset:96
	s_waitcnt vmcnt(0)
	v_lshlrev_b32_e32 v38, 16, v38
	v_sub_f32_e32 v37, v38, v37
	v_mul_f32_e32 v37, v49, v37
	v_lshrrev_b32_e32 v41, 16, v37
.LBB150_100:
	s_or_b64 exec, exec, s[0:1]
	s_mov_b32 s0, 0x5040100
	v_or_b32_e32 v37, v51, v53
	v_perm_b32 v39, v41, v44, s0
	v_perm_b32 v38, v45, v43, s0
	v_lshlrev_b32_e32 v37, 1, v37
	ds_write_b64 v37, v[38:39] offset:24576
	v_and_b32_e32 v37, 7, v0
	v_and_b32_e32 v43, 8, v0
	v_lshlrev_b32_e32 v49, 3, v37
	v_lshlrev_b32_e32 v51, 7, v37
	v_lshrrev_b32_e32 v37, 1, v0
	v_and_b32_e32 v37, 24, v37
	v_mov_b32_e32 v44, 0x400
	v_cmp_eq_u32_e32 vcc, 0, v43
	s_movk_i32 s2, 0x100
	v_lshlrev_b32_e32 v53, 3, v77
	v_cndmask_b32_e64 v43, v44, 64, vcc
	v_mov_b32_e32 v44, 0xa000
	v_mov_b32_e32 v45, 0x8000
	v_cmp_gt_u32_e64 s[0:1], s2, v0
	v_xor_b32_e32 v58, v53, v37
	v_or3_b32 v43, v59, v43, v58
	v_cndmask_b32_e64 v0, v44, v45, s[0:1]
	v_or_b32_e32 v44, 0x440, v58
	v_cndmask_b32_e32 v44, v44, v58, vcc
	v_or_b32_e32 v44, v44, v59
	v_xor_b32_e32 v43, v43, v49
	v_xor_b32_e32 v82, v44, v49
	v_or_b32_e32 v84, v43, v51
	v_add3_u32 v44, v0, v82, v51
	v_or_b32_e32 v43, v0, v84
	s_waitcnt lgkmcnt(0)
	s_barrier
	ds_read_b64 v[60:61], v44
	ds_read_b64 v[80:81], v43
	v_or_b32_e32 v44, 32, v37
	v_or_b32_e32 v37, 0x60, v37
	v_xor_b32_e32 v44, v53, v44
	v_xor_b32_e32 v37, v53, v37
	v_or_b32_e32 v45, 0x440, v44
	v_xor_b32_e32 v43, 0x440, v37
	v_cndmask_b32_e32 v44, v45, v44, vcc
	v_cndmask_b32_e32 v37, v43, v37, vcc
	v_or_b32_e32 v44, v44, v59
	v_or_b32_e32 v37, v37, v59
	v_xor_b32_e32 v83, v44, v49
	v_xor_b32_e32 v85, v37, v49
	v_add3_u32 v44, v0, v83, v51
	v_add3_u32 v0, v0, v85, v51
	ds_read2_b64 v[38:41], v34 offset1:16
	ds_read_b64 v[72:73], v44
	ds_read_b64 v[58:59], v0
	ds_read2_b64 v[44:47], v34 offset0:32 offset1:48
	s_mul_i32 s0, s18, s17
	s_waitcnt lgkmcnt(3)
	v_mfma_f32_16x16x16_bf16 a[0:3], v[60:61], v[38:39], 0
	ds_read2st64_b64 v[54:57], v34 offset0:4 offset1:8
	s_mul_hi_i32 s1, s18, s17
	s_add_u32 s0, s0, s47
	v_mfma_f32_16x16x16_bf16 a[4:7], v[60:61], v[40:41], 0
	ds_read2st64_b64 v[64:67], v36 offset0:4 offset1:8
	ds_read2st64_b64 v[68:71], v42 offset0:4 offset1:8
	s_addc_u32 s1, s1, s29
	s_waitcnt lgkmcnt(3)
	v_mfma_f32_16x16x16_bf16 a[8:11], v[60:61], v[44:45], 0
	s_lshl_b64 s[0:1], s[0:1], 9
	s_add_u32 s0, s36, s0
	s_addc_u32 s1, s37, s1
	v_mfma_f32_16x16x16_bf16 a[12:15], v[60:61], v[46:47], 0
	ds_read2st64_b64 v[60:63], v35 offset0:4 offset1:8
	v_lshlrev_b32_e32 v0, 2, v48
	v_lshlrev_b32_e32 v37, 2, v52
	s_waitcnt lgkmcnt(3)
	v_mfma_f32_16x16x16_bf16 a[0:3], v[72:73], v[54:55], a[0:3]
	s_waitcnt lgkmcnt(0)
	v_mfma_f32_16x16x16_bf16 a[4:7], v[72:73], v[60:61], a[4:7]
	v_mfma_f32_16x16x16_bf16 a[8:11], v[72:73], v[64:65], a[8:11]
	;; [unrolled: 1-line block ×3, first 2 shown]
	global_load_dwordx4 v[72:75], v0, s[0:1]
	v_lshlrev_b32_e32 v0, 6, v77
	v_or3_b32 v0, v0, v37, s2
	global_load_dwordx4 v[76:79], v0, s[0:1]
	v_mfma_f32_16x16x16_bf16 a[0:3], v[80:81], v[56:57], a[0:3]
	v_exp_f32_e32 v0, s16
	s_waitcnt vmcnt(1)
	v_exp_f32_e32 v37, v75
	v_mfma_f32_16x16x16_bf16 a[4:7], v[80:81], v[62:63], a[4:7]
	v_mfma_f32_16x16x16_bf16 a[8:11], v[80:81], v[66:67], a[8:11]
	;; [unrolled: 1-line block ×3, first 2 shown]
	ds_read_b64 v[48:49], v34 offset:6144
	ds_read_b64 v[52:53], v35 offset:6144
	;; [unrolled: 1-line block ×4, first 2 shown]
	v_exp_f32_e32 v34, v72
	v_add_u32_e32 v72, v82, v51
	v_exp_f32_e32 v35, v73
	ds_read_b64 v[72:73], v72 offset:40960
	s_waitcnt lgkmcnt(4)
	v_mfma_f32_16x16x16_bf16 a[0:3], v[58:59], v[48:49], a[0:3]
	v_exp_f32_e32 v36, v74
	v_pk_mul_f32 v[34:35], v[0:1], v[34:35] op_sel_hi:[0,1]
	v_pk_mul_f32 v[30:31], v[30:31], v[34:35]
	s_waitcnt lgkmcnt(3)
	v_mfma_f32_16x16x16_bf16 a[4:7], v[58:59], v[52:53], a[4:7]
	v_pk_mul_f32 v[36:37], v[0:1], v[36:37] op_sel_hi:[0,1]
	v_pk_mul_f32 v[32:33], v[32:33], v[36:37]
	v_pk_mul_f32 v[22:23], v[34:35], v[22:23]
	s_waitcnt lgkmcnt(0)
	v_mfma_f32_16x16x16_bf16 a[20:23], v[72:73], v[40:41], 0
	v_accvgpr_read_b32 v40, a0
	v_add_f32_e32 v30, v30, v40
	v_accvgpr_read_b32 v40, a1
	v_add_f32_e32 v31, v31, v40
	;; [unrolled: 2-line block ×4, first 2 shown]
	v_accvgpr_read_b32 v40, a4
	v_mfma_f32_16x16x16_bf16 a[8:11], v[58:59], v[80:81], a[8:11]
	v_add_f32_e32 v22, v22, v40
	v_accvgpr_read_b32 v40, a5
	v_add_f32_e32 v23, v23, v40
	v_mfma_f32_16x16x16_bf16 a[12:15], v[58:59], v[42:43], a[12:15]
	v_add_u32_e32 v58, v83, v51
	v_add_u32_e32 v51, v85, v51
	ds_read_b64 v[58:59], v58 offset:40960
	ds_read_b64 v[74:75], v51 offset:40960
	;; [unrolled: 1-line block ×3, first 2 shown]
	v_mfma_f32_16x16x16_bf16 a[16:19], v[72:73], v[38:39], 0
	v_pk_mul_f32 v[24:25], v[36:37], v[24:25]
	v_pk_mul_f32 v[14:15], v[34:35], v[14:15]
	;; [unrolled: 1-line block ×3, first 2 shown]
	v_mfma_f32_16x16x16_bf16 a[24:27], v[72:73], v[44:45], 0
	v_accvgpr_read_b32 v44, a6
	v_add_f32_e32 v24, v24, v44
	v_accvgpr_read_b32 v44, a7
	s_waitcnt lgkmcnt(2)
	v_mfma_f32_16x16x16_bf16 a[0:3], v[58:59], v[54:55], a[16:19]
	v_add_f32_e32 v25, v25, v44
	v_accvgpr_read_b32 v44, a8
	v_add_f32_e32 v14, v14, v44
	v_accvgpr_read_b32 v44, a9
	;; [unrolled: 2-line block ×4, first 2 shown]
	v_accvgpr_read_b32 v39, a15
	v_accvgpr_read_b32 v38, a14
	v_mfma_f32_16x16x16_bf16 a[14:17], v[58:59], v[60:61], a[20:23]
	v_add_f32_e32 v17, v17, v44
	v_accvgpr_read_b32 v45, a13
	v_accvgpr_read_b32 v44, a12
	s_waitcnt lgkmcnt(0)
	v_mfma_f32_16x16x16_bf16 a[0:3], v[40:41], v[56:57], a[0:3]
	v_pk_fma_f32 v[2:3], v[34:35], v[2:3], v[44:45]
	v_pk_fma_f32 v[4:5], v[36:37], v[4:5], v[38:39]
	s_waitcnt vmcnt(0)
	v_mov_b32_e32 v34, v77
	v_mfma_f32_16x16x16_bf16 a[28:31], v[72:73], v[46:47], 0
	v_mov_b32_e32 v35, v78
	v_mov_b32_e32 v36, v79
	v_exp_f32_e32 v38, v76
	v_exp_f32_e32 v39, v34
	v_mfma_f32_16x16x16_bf16 a[18:21], v[58:59], v[64:65], a[24:27]
	v_exp_f32_e32 v34, v35
	v_exp_f32_e32 v35, v36
	v_pk_mul_f32 v[36:37], v[0:1], v[38:39] op_sel_hi:[0,1]
	v_mfma_f32_16x16x16_bf16 a[14:17], v[40:41], v[62:63], a[14:17]
	v_pk_mul_f32 v[26:27], v[26:27], v[36:37]
	v_pk_mul_f32 v[34:35], v[0:1], v[34:35] op_sel_hi:[0,1]
	v_pk_mul_f32 v[28:29], v[28:29], v[34:35]
	v_mfma_f32_16x16x16_bf16 a[0:3], v[74:75], v[48:49], a[0:3]
	v_pk_mul_f32 v[18:19], v[36:37], v[18:19]
	v_pk_mul_f32 v[20:21], v[34:35], v[20:21]
	v_pk_mul_f32 v[10:11], v[36:37], v[10:11]
	v_mfma_f32_16x16x16_bf16 a[4:7], v[58:59], v[68:69], a[28:31]
	v_pk_mul_f32 v[12:13], v[34:35], v[12:13]
	v_mfma_f32_16x16x16_bf16 a[8:11], v[40:41], v[66:67], a[18:21]
	s_nop 0
	v_accvgpr_read_b32 v0, a0
	v_add_f32_e32 v26, v26, v0
	v_accvgpr_read_b32 v0, a1
	v_mfma_f32_16x16x16_bf16 a[12:15], v[74:75], v[52:53], a[14:17]
	v_add_f32_e32 v27, v27, v0
	v_accvgpr_read_b32 v0, a2
	v_add_f32_e32 v28, v28, v0
	v_mfma_f32_16x16x16_bf16 a[4:7], v[40:41], v[70:71], a[4:7]
	v_accvgpr_read_b32 v0, a3
	v_add_f32_e32 v29, v29, v0
	v_mfma_f32_16x16x16_bf16 a[8:11], v[74:75], v[80:81], a[8:11]
	v_accvgpr_read_b32 v0, a12
	v_add_f32_e32 v18, v18, v0
	v_accvgpr_read_b32 v0, a13
	v_mfma_f32_16x16x16_bf16 a[4:7], v[74:75], v[42:43], a[4:7]
	v_add_f32_e32 v19, v19, v0
	v_accvgpr_read_b32 v0, a14
	v_add_f32_e32 v20, v20, v0
	v_accvgpr_read_b32 v0, a15
	;; [unrolled: 2-line block ×5, first 2 shown]
	v_accvgpr_read_b32 v41, a5
	v_accvgpr_read_b32 v39, a7
	;; [unrolled: 1-line block ×3, first 2 shown]
	v_add_f32_e32 v12, v12, v0
	v_accvgpr_read_b32 v0, a11
	v_accvgpr_read_b32 v40, a4
	v_add_f32_e32 v13, v13, v0
	v_pk_fma_f32 v[6:7], v[36:37], v[6:7], v[40:41]
	v_pk_fma_f32 v[8:9], v[34:35], v[8:9], v[38:39]
	v_mov_b32_e32 v34, v50
.LBB150_101:
	s_mul_i32 s0, s33, s35
	s_mul_hi_u32 s1, s33, s34
	s_add_i32 s0, s1, s0
	s_mul_i32 s1, s46, s34
	s_add_i32 s1, s0, s1
	s_mul_i32 s0, s33, s34
	s_add_u32 s0, s0, s47
	s_addc_u32 s1, s1, s29
	s_lshl_b64 s[0:1], s[0:1], 16
	s_add_u32 s0, s12, s0
	v_lshlrev_b32_e32 v34, 7, v34
	s_addc_u32 s1, s13, s1
	v_ashrrev_i32_e32 v35, 31, v34
	v_lshl_add_u64 v[36:37], v[34:35], 2, s[0:1]
	v_lshlrev_b32_e32 v0, 2, v1
	v_mov_b32_e32 v1, 0
	v_lshl_add_u64 v[36:37], v[36:37], 0, v[0:1]
	global_store_dwordx4 v[36:37], v[30:33], off
	global_store_dwordx4 v[36:37], v[26:29], off offset:256
	s_nop 1
	v_or_b32_e32 v26, 0x800, v34
	v_ashrrev_i32_e32 v27, 31, v26
	v_lshl_add_u64 v[26:27], v[26:27], 2, s[0:1]
	v_lshl_add_u64 v[26:27], v[26:27], 0, v[0:1]
	global_store_dwordx4 v[26:27], v[22:25], off
	global_store_dwordx4 v[26:27], v[18:21], off offset:256
	s_nop 1
	v_or_b32_e32 v18, 0x1000, v34
	v_ashrrev_i32_e32 v19, 31, v18
	v_lshl_add_u64 v[18:19], v[18:19], 2, s[0:1]
	;; [unrolled: 7-line block ×3, first 2 shown]
	v_lshl_add_u64 v[0:1], v[10:11], 0, v[0:1]
	global_store_dwordx4 v[0:1], v[2:5], off
	global_store_dwordx4 v[0:1], v[6:9], off offset:256
	s_endpgm
	.section	.rodata,"a",@progbits
	.p2align	6, 0x0
	.amdhsa_kernel _ZN12_GLOBAL__N_139chunk_gated_delta_rule_fwd_h_hip_kernelILi64ELb0ELb1ELb0ELb1ELb1ELb1ELb0ELb0EEEvPK12hip_bfloat16S3_S3_PKfS5_PKvPS1_S8_PvPKiSB_iiiiilll
		.amdhsa_group_segment_fixed_size 65536
		.amdhsa_private_segment_fixed_size 0
		.amdhsa_kernarg_size 136
		.amdhsa_user_sgpr_count 2
		.amdhsa_user_sgpr_dispatch_ptr 0
		.amdhsa_user_sgpr_queue_ptr 0
		.amdhsa_user_sgpr_kernarg_segment_ptr 1
		.amdhsa_user_sgpr_dispatch_id 0
		.amdhsa_user_sgpr_kernarg_preload_length 0
		.amdhsa_user_sgpr_kernarg_preload_offset 0
		.amdhsa_user_sgpr_private_segment_size 0
		.amdhsa_uses_dynamic_stack 0
		.amdhsa_enable_private_segment 0
		.amdhsa_system_sgpr_workgroup_id_x 1
		.amdhsa_system_sgpr_workgroup_id_y 1
		.amdhsa_system_sgpr_workgroup_id_z 0
		.amdhsa_system_sgpr_workgroup_info 0
		.amdhsa_system_vgpr_workitem_id 0
		.amdhsa_next_free_vgpr 228
		.amdhsa_next_free_sgpr 67
		.amdhsa_accum_offset 188
		.amdhsa_reserve_vcc 1
		.amdhsa_float_round_mode_32 0
		.amdhsa_float_round_mode_16_64 0
		.amdhsa_float_denorm_mode_32 3
		.amdhsa_float_denorm_mode_16_64 3
		.amdhsa_dx10_clamp 1
		.amdhsa_ieee_mode 1
		.amdhsa_fp16_overflow 0
		.amdhsa_tg_split 0
		.amdhsa_exception_fp_ieee_invalid_op 0
		.amdhsa_exception_fp_denorm_src 0
		.amdhsa_exception_fp_ieee_div_zero 0
		.amdhsa_exception_fp_ieee_overflow 0
		.amdhsa_exception_fp_ieee_underflow 0
		.amdhsa_exception_fp_ieee_inexact 0
		.amdhsa_exception_int_div_zero 0
	.end_amdhsa_kernel
	.section	.text._ZN12_GLOBAL__N_139chunk_gated_delta_rule_fwd_h_hip_kernelILi64ELb0ELb1ELb0ELb1ELb1ELb1ELb0ELb0EEEvPK12hip_bfloat16S3_S3_PKfS5_PKvPS1_S8_PvPKiSB_iiiiilll,"axG",@progbits,_ZN12_GLOBAL__N_139chunk_gated_delta_rule_fwd_h_hip_kernelILi64ELb0ELb1ELb0ELb1ELb1ELb1ELb0ELb0EEEvPK12hip_bfloat16S3_S3_PKfS5_PKvPS1_S8_PvPKiSB_iiiiilll,comdat
.Lfunc_end150:
	.size	_ZN12_GLOBAL__N_139chunk_gated_delta_rule_fwd_h_hip_kernelILi64ELb0ELb1ELb0ELb1ELb1ELb1ELb0ELb0EEEvPK12hip_bfloat16S3_S3_PKfS5_PKvPS1_S8_PvPKiSB_iiiiilll, .Lfunc_end150-_ZN12_GLOBAL__N_139chunk_gated_delta_rule_fwd_h_hip_kernelILi64ELb0ELb1ELb0ELb1ELb1ELb1ELb0ELb0EEEvPK12hip_bfloat16S3_S3_PKfS5_PKvPS1_S8_PvPKiSB_iiiiilll
                                        ; -- End function
	.section	.AMDGPU.csdata,"",@progbits
; Kernel info:
; codeLenInByte = 12452
; NumSgprs: 73
; NumVgprs: 188
; NumAgprs: 40
; TotalNumVgprs: 228
; ScratchSize: 0
; MemoryBound: 0
; FloatMode: 240
; IeeeMode: 1
; LDSByteSize: 65536 bytes/workgroup (compile time only)
; SGPRBlocks: 9
; VGPRBlocks: 28
; NumSGPRsForWavesPerEU: 73
; NumVGPRsForWavesPerEU: 228
; AccumOffset: 188
; Occupancy: 1
; WaveLimiterHint : 1
; COMPUTE_PGM_RSRC2:SCRATCH_EN: 0
; COMPUTE_PGM_RSRC2:USER_SGPR: 2
; COMPUTE_PGM_RSRC2:TRAP_HANDLER: 0
; COMPUTE_PGM_RSRC2:TGID_X_EN: 1
; COMPUTE_PGM_RSRC2:TGID_Y_EN: 1
; COMPUTE_PGM_RSRC2:TGID_Z_EN: 0
; COMPUTE_PGM_RSRC2:TIDIG_COMP_CNT: 0
; COMPUTE_PGM_RSRC3_GFX90A:ACCUM_OFFSET: 46
; COMPUTE_PGM_RSRC3_GFX90A:TG_SPLIT: 0
	.section	.text._ZN12_GLOBAL__N_139chunk_gated_delta_rule_fwd_h_hip_kernelILi64ELb0ELb0ELb1ELb1ELb1ELb1ELb0ELb0EEEvPK12hip_bfloat16S3_S3_PKfS5_PKvPS1_S8_PvPKiSB_iiiiilll,"axG",@progbits,_ZN12_GLOBAL__N_139chunk_gated_delta_rule_fwd_h_hip_kernelILi64ELb0ELb0ELb1ELb1ELb1ELb1ELb0ELb0EEEvPK12hip_bfloat16S3_S3_PKfS5_PKvPS1_S8_PvPKiSB_iiiiilll,comdat
	.globl	_ZN12_GLOBAL__N_139chunk_gated_delta_rule_fwd_h_hip_kernelILi64ELb0ELb0ELb1ELb1ELb1ELb1ELb0ELb0EEEvPK12hip_bfloat16S3_S3_PKfS5_PKvPS1_S8_PvPKiSB_iiiiilll ; -- Begin function _ZN12_GLOBAL__N_139chunk_gated_delta_rule_fwd_h_hip_kernelILi64ELb0ELb0ELb1ELb1ELb1ELb1ELb0ELb0EEEvPK12hip_bfloat16S3_S3_PKfS5_PKvPS1_S8_PvPKiSB_iiiiilll
	.p2align	8
	.type	_ZN12_GLOBAL__N_139chunk_gated_delta_rule_fwd_h_hip_kernelILi64ELb0ELb0ELb1ELb1ELb1ELb1ELb0ELb0EEEvPK12hip_bfloat16S3_S3_PKfS5_PKvPS1_S8_PvPKiSB_iiiiilll,@function
_ZN12_GLOBAL__N_139chunk_gated_delta_rule_fwd_h_hip_kernelILi64ELb0ELb0ELb1ELb1ELb1ELb1ELb0ELb0EEEvPK12hip_bfloat16S3_S3_PKfS5_PKvPS1_S8_PvPKiSB_iiiiilll: ; @_ZN12_GLOBAL__N_139chunk_gated_delta_rule_fwd_h_hip_kernelILi64ELb0ELb0ELb1ELb1ELb1ELb1ELb0ELb0EEEvPK12hip_bfloat16S3_S3_PKfS5_PKvPS1_S8_PvPKiSB_iiiiilll
; %bb.0:
	s_load_dwordx4 s[16:19], s[0:1], 0x5c
	s_load_dwordx4 s[20:23], s[0:1], 0x70
	s_abs_i32 s25, s3
	s_ashr_i32 s24, s3, 31
	s_load_dwordx4 s[12:15], s[0:1], 0x30
	s_load_dwordx4 s[28:31], s[0:1], 0x48
	s_waitcnt lgkmcnt(0)
	s_abs_i32 s34, s17
	v_cvt_f32_u32_e32 v1, s34
	s_sub_i32 s26, 0, s34
	s_ashr_i32 s35, s17, 31
	s_xor_b32 s24, s24, s35
	v_rcp_iflag_f32_e32 v1, v1
	s_load_dwordx8 s[4:11], s[0:1], 0x0
	v_lshrrev_b32_e32 v87, 6, v0
	v_bfe_u32 v88, v0, 4, 2
	v_mul_f32_e32 v1, 0x4f7ffffe, v1
	v_cvt_u32_f32_e32 v1, v1
	v_lshlrev_b32_e32 v2, 2, v88
	v_and_b32_e32 v86, 63, v0
	v_mov_b32_e32 v47, 0
	v_readfirstlane_b32 s27, v1
	s_mul_i32 s26, s26, s27
	s_mul_hi_u32 s26, s27, s26
	s_add_i32 s27, s27, s26
	s_mul_hi_u32 s26, s25, s27
	s_mul_i32 s27, s26, s34
	s_sub_i32 s25, s25, s27
	s_add_i32 s33, s26, 1
	s_sub_i32 s27, s25, s34
	s_cmp_ge_u32 s25, s34
	s_cselect_b32 s26, s33, s26
	s_cselect_b32 s25, s27, s25
	s_add_i32 s27, s26, 1
	s_cmp_ge_u32 s25, s34
	s_cselect_b32 s25, s27, s26
	s_xor_b32 s25, s25, s24
	s_sub_i32 s24, s25, s24
	s_mul_i32 s25, s24, s17
	s_sub_i32 s33, s3, s25
	s_ashr_i32 s25, s24, 31
	s_lshl_b64 s[26:27], s[24:25], 2
	s_add_u32 s28, s28, s26
	s_addc_u32 s29, s29, s27
	s_add_u32 s26, s30, s26
	s_addc_u32 s27, s31, s27
	s_abs_i32 s3, s18
	v_cvt_f32_u32_e32 v1, s3
	s_load_dwordx2 s[38:39], s[28:29], 0x0
	s_sub_i32 s29, 0, s3
	s_load_dword s48, s[26:27], 0x0
	v_rcp_iflag_f32_e32 v1, v1
	v_and_b32_e32 v45, 15, v0
	s_waitcnt lgkmcnt(0)
	s_sub_i32 s49, s39, s38
	s_ashr_i32 s28, s49, 31
	v_mul_f32_e32 v1, 0x4f7ffffe, v1
	v_cvt_u32_f32_e32 v1, v1
	s_lshr_b32 s28, s28, 26
	s_add_i32 s28, s49, s28
	s_ashr_i32 s47, s28, 6
	v_readfirstlane_b32 s30, v1
	s_mul_i32 s29, s29, s30
	s_mul_hi_u32 s29, s30, s29
	s_add_i32 s30, s30, s29
	s_mul_hi_u32 s29, s34, s30
	s_mul_i32 s30, s29, s3
	s_ashr_i32 s28, s18, 31
	s_sub_i32 s30, s34, s30
	s_xor_b32 s28, s35, s28
	s_add_i32 s31, s29, 1
	s_sub_i32 s34, s30, s3
	s_cmp_ge_u32 s30, s3
	s_cselect_b32 s29, s31, s29
	s_cselect_b32 s30, s34, s30
	s_add_i32 s31, s29, 1
	s_cmp_ge_u32 s30, s3
	s_cselect_b32 s3, s31, s29
	s_xor_b32 s3, s3, s28
	s_sub_i32 s3, s3, s28
	s_abs_i32 s28, s3
	v_cvt_f32_u32_e32 v1, s28
	s_sub_i32 s27, 0, s28
	s_abs_i32 s26, s33
	s_xor_b32 s3, s33, s3
	v_rcp_iflag_f32_e32 v1, v1
	s_ashr_i32 s3, s3, 31
	s_load_dwordx2 s[34:35], s[0:1], 0x80
	s_mul_hi_i32 s50, s33, s16
	v_mul_f32_e32 v1, 0x4f7ffffe, v1
	v_cvt_u32_f32_e32 v1, v1
	s_mul_i32 s51, s33, s16
	v_lshrrev_b32_e32 v90, 3, v86
	v_lshlrev_b32_e32 v89, 3, v0
	v_readfirstlane_b32 s29, v1
	s_mul_i32 s27, s27, s29
	s_mul_hi_u32 s27, s29, s27
	s_add_i32 s29, s29, s27
	s_mul_hi_u32 s27, s26, s29
	s_mul_i32 s29, s27, s28
	s_sub_i32 s26, s26, s29
	s_add_i32 s29, s27, 1
	s_sub_i32 s30, s26, s28
	s_cmp_ge_u32 s26, s28
	s_cselect_b32 s27, s29, s27
	s_cselect_b32 s26, s30, s26
	s_add_i32 s29, s27, 1
	s_cmp_ge_u32 s26, s28
	s_cselect_b32 s26, s29, s27
	s_xor_b32 s26, s26, s3
	v_lshlrev_b32_e32 v1, 4, v87
	s_sub_i32 s52, s26, s3
	v_or_b32_e32 v91, v2, v1
	s_lshl_b32 s36, s2, 6
	v_or_b32_e32 v92, 64, v91
	s_cmp_lt_i32 s49, 64
	s_mul_i32 s44, s24, s21
	s_mul_hi_u32 s45, s24, s20
	s_mul_i32 s46, s25, s20
	s_mul_i32 s20, s24, s20
	v_mov_b32_e32 v46, v47
	v_mov_b32_e32 v53, v47
	;; [unrolled: 1-line block ×31, first 2 shown]
	s_cbranch_scc1 .LBB151_18
; %bb.1:
	s_ashr_i32 s55, s33, 31
	s_ashr_i32 s3, s38, 31
	s_add_u32 s2, s51, s38
	s_addc_u32 s3, s50, s3
	s_lshl_b64 s[2:3], s[2:3], 8
	v_and_b32_e32 v94, 56, v89
	s_add_u32 s24, s6, s2
	v_lshl_or_b32 v93, v87, 3, v90
	v_lshlrev_b32_e32 v3, 1, v94
	s_addc_u32 s2, s7, s3
	v_lshl_or_b32 v95, v93, 8, v3
	s_and_b32 s25, s2, 0xffff
	s_mov_b32 s27, 0x20000
	s_movk_i32 s26, 0x4000
	s_movk_i32 s2, 0x80
	v_or_b32_e32 v96, 0x2000, v95
	buffer_load_dwordx4 v[4:7], v95, s[24:27], 0 offen
	buffer_load_dwordx4 v[8:11], v95, s[24:27], s2 offen
	;; [unrolled: 1-line block ×4, first 2 shown]
	v_lshlrev_b32_e32 v20, 3, v93
	v_and_or_b32 v22, v0, 7, v20
	v_and_b32_e32 v20, 0x78, v20
	v_lshlrev_b32_e32 v22, 4, v22
	v_xor_b32_e32 v97, v22, v20
	v_mul_lo_u32 v21, v93, s19
	v_or_b32_e32 v98, 0x1000, v97
	s_cmpk_eq_i32 s19, 0x80
	s_mov_b32 s53, s17
	s_mov_b32 s54, s38
	v_xor_b32_e32 v20, 8, v97
	v_xor_b32_e32 v22, 8, v98
	s_cselect_b64 s[2:3], -1, 0
	s_cmpk_lg_i32 s19, 0x80
	s_waitcnt vmcnt(3)
	ds_write_b64 v97, v[4:5] offset:49152
	ds_write_b64 v20, v[6:7] offset:49152
	s_waitcnt vmcnt(2)
	ds_write_b64 v97, v[8:9] offset:57344
	ds_write_b64 v20, v[10:11] offset:57344
	;; [unrolled: 3-line block ×4, first 2 shown]
	v_lshl_add_u32 v4, v21, 1, v94
	s_cbranch_scc0 .LBB151_3
; %bb.2:
	v_lshlrev_b32_e32 v6, 1, v4
	v_add_lshl_u32 v5, v4, s19, 1
	s_lshl_b32 s26, s19, 7
	s_load_dwordx2 s[40:41], s[0:1], 0x20
	v_lshl_or_b32 v3, v93, 9, v3
	s_cbranch_execz .LBB151_4
	s_branch .LBB151_5
.LBB151_3:
                                        ; implicit-def: $vgpr5
                                        ; implicit-def: $vgpr6
                                        ; implicit-def: $sgpr26
	s_load_dwordx2 s[40:41], s[0:1], 0x20
	v_lshl_or_b32 v3, v93, 9, v3
.LBB151_4:
	v_or_b32_e32 v5, 0x100, v3
	s_movk_i32 s26, 0x4000
	v_mov_b32_e32 v6, v3
.LBB151_5:
	s_mul_i32 s0, s38, s18
	s_ashr_i32 s56, s52, 31
	s_mul_hi_i32 s1, s38, s18
	s_add_u32 s0, s0, s52
	s_addc_u32 s1, s1, s56
	s_lshl_b64 s[0:1], s[0:1], 8
	s_add_u32 s24, s4, s0
	s_addc_u32 s0, s5, s1
	s_and_b32 s25, s0, 0xffff
	s_movk_i32 s57, 0x80
	buffer_load_dwordx4 v[8:11], v6, s[24:27], 0 offen
	buffer_load_dwordx4 v[12:15], v6, s[24:27], s57 offen
	;; [unrolled: 1-line block ×4, first 2 shown]
	v_and_b32_e32 v5, 6, v0
	v_lshlrev_b32_e32 v6, 7, v91
	v_xor_b32_e32 v28, v93, v5
	v_and_b32_e32 v7, 1, v0
	v_lshl_or_b32 v31, v45, 3, v6
	v_lshlrev_b32_e32 v28, 2, v28
	v_lshlrev_b32_e32 v24, 2, v45
	v_or_b32_e32 v99, 0x4000, v31
	v_or_b32_e32 v100, 0x6000, v31
	v_xor_b32_e32 v31, 0x440, v28
	v_cmp_eq_u32_e32 vcc, 0, v7
	v_or_b32_e32 v26, 16, v45
	v_or_b32_e32 v27, 32, v45
	v_xor_b32_e32 v29, v91, v24
	v_xor_b32_e32 v30, v92, v24
	v_cndmask_b32_e32 v7, v31, v28, vcc
	s_add_i32 s0, s45, s44
	s_mov_b32 s58, 0x1000504
	v_lshl_or_b32 v32, v26, 3, v6
	v_lshlrev_b32_e32 v26, 8, v26
	v_lshl_or_b32 v33, v27, 3, v6
	v_lshlrev_b32_e32 v29, 1, v29
	v_lshlrev_b32_e32 v30, 1, v30
	v_lshl_or_b32 v5, v5, 10, v7
	s_add_i32 s21, s0, s46
	s_mul_i32 s0, s33, s23
	s_mul_hi_u32 s1, s33, s22
	s_mov_b32 s59, 0x3020706
	v_lshlrev_b32_e32 v25, 8, v45
	v_or_b32_e32 v103, 0x4000, v33
	v_or_b32_e32 v104, 0x6000, v33
	;; [unrolled: 1-line block ×4, first 2 shown]
	v_xor_b32_e32 v7, 8, v5
	v_xor_b32_e32 v26, 24, v5
	;; [unrolled: 1-line block ×4, first 2 shown]
	s_add_i32 s0, s1, s0
	s_mul_i32 s1, s55, s22
	v_or_b32_e32 v101, 0x4000, v32
	v_or_b32_e32 v102, 0x6000, v32
	;; [unrolled: 1-line block ×4, first 2 shown]
	v_xor_b32_e32 v25, 16, v5
	v_xor_b32_e32 v28, 32, v5
	;; [unrolled: 1-line block ×3, first 2 shown]
	v_add_u32_e32 v7, 0x80, v7
	v_add_u32_e32 v26, 0x80, v26
	;; [unrolled: 1-line block ×4, first 2 shown]
	s_add_i32 s1, s0, s1
	s_lshl_b64 s[24:25], s[20:21], 2
	s_mul_i32 s0, s33, s22
	s_add_u32 s21, s10, s24
	s_addc_u32 s24, s11, s25
	s_lshl_b64 s[0:1], s[0:1], 2
	s_add_u32 s42, s21, s0
	s_movk_i32 s0, 0xf8
	s_addc_u32 s43, s24, s1
	s_ashr_i32 s37, s36, 31
	s_lshl_b32 s30, s19, 7
	v_mov_b32_e32 v79, 0
	s_movk_i32 s21, 0x100
	v_lshlrev_b32_e32 v78, 4, v45
	v_lshlrev_b32_e32 v27, 8, v27
	s_mov_b32 s61, 0
	s_movk_i32 s26, 0x4000
	v_or_b32_e32 v109, v27, v29
	v_or_b32_e32 v110, v27, v30
	v_add_u32_e32 v136, v1, v2
	s_movk_i32 s60, 0x3000
	v_mov_b32_e32 v70, v79
	v_mov_b32_e32 v71, v79
	v_mov_b32_e32 v72, v79
	v_mov_b32_e32 v73, v79
	v_mov_b32_e32 v74, v79
	v_mov_b32_e32 v75, v79
	v_mov_b32_e32 v76, v79
	s_waitcnt vmcnt(1)
	v_perm_b32 v34, v8, v16, s58
	s_waitcnt vmcnt(0)
	v_perm_b32 v35, v12, v20, s58
	v_perm_b32 v8, v8, v16, s59
	;; [unrolled: 1-line block ×15, first 2 shown]
	ds_write2st64_b32 v5, v34, v35 offset0:128 offset1:160
	ds_write2st64_b32 v7, v8, v12 offset0:128 offset1:160
	;; [unrolled: 1-line block ×8, first 2 shown]
	v_or_b32_e32 v5, 48, v45
	v_lshl_or_b32 v7, v5, 3, v6
	v_lshlrev_b32_e32 v5, 8, v5
	v_or_b32_e32 v113, v5, v29
	v_or_b32_e32 v114, v5, v30
	;; [unrolled: 1-line block ×3, first 2 shown]
	v_lshlrev_b32_e32 v5, 3, v5
	v_lshrrev_b32_e32 v9, 5, v86
	v_and_or_b32 v9, v5, s0, v9
	v_lshlrev_b32_e32 v9, 4, v9
	v_lshlrev_b32_e32 v11, 11, v87
	v_and_b32_e32 v5, 0x78, v5
	v_or_b32_e32 v14, 32, v9
	v_and_b32_e32 v8, 0x1000, v11
	v_xor_b32_e32 v10, v9, v5
	v_lshrrev_b32_e32 v12, 1, v86
	v_xor_b32_e32 v14, v14, v5
	v_or_b32_e32 v10, v10, v8
	v_and_b32_e32 v12, 8, v12
	v_or_b32_e32 v14, v14, v8
	v_xor_b32_e32 v115, v10, v12
	v_lshlrev_b32_e32 v10, 8, v88
	v_xor_b32_e32 v117, v14, v12
	v_or_b32_e32 v14, 64, v9
	v_or_b32_e32 v9, 0x60, v9
	;; [unrolled: 1-line block ×3, first 2 shown]
	v_xor_b32_e32 v14, v14, v5
	v_xor_b32_e32 v5, v9, v5
	v_lshlrev_b32_e32 v13, 1, v13
	v_or_b32_e32 v14, v14, v8
	v_or_b32_e32 v5, v5, v8
	s_lshl_b64 s[0:1], s[36:37], 8
	v_or_b32_e32 v116, 0x4000, v13
	v_or_b32_e32 v118, 0x4080, v13
	v_or_b32_e32 v119, 0x4100, v13
	v_or_b32_e32 v120, 0x4180, v13
	v_xor_b32_e32 v121, v14, v12
	v_xor_b32_e32 v122, v5, v12
	v_or_b32_e32 v123, 0x6000, v13
	v_or_b32_e32 v124, 0x6080, v13
	;; [unrolled: 1-line block ×4, first 2 shown]
	v_lshlrev_b32_e32 v12, 1, v4
	v_add_lshl_u32 v13, v4, s19, 1
	s_add_u32 s0, s12, s0
	v_lshlrev_b32_e32 v4, 1, v45
	v_lshrrev_b32_e32 v15, 4, v0
	s_addc_u32 s1, s13, s1
	v_or_b32_e32 v5, 1, v4
	v_lshlrev_b32_e32 v18, 2, v0
	v_or_b32_e32 v14, 0x100, v3
	v_xor_b32_e32 v16, v15, v4
	v_xor_b32_e32 v17, v5, v15
	v_lshl_add_u64 v[4:5], s[0:1], 0, v[78:79]
	v_lshlrev_b32_e32 v78, 8, v15
	v_lshrrev_b32_e32 v19, 1, v0
	v_and_or_b32 v10, v18, 60, v10
	v_cndmask_b32_e64 v133, v12, v3, s[2:3]
	v_mov_b32_e32 v3, 0xa000
	v_mov_b32_e32 v12, 0x8000
	v_cmp_gt_u32_e64 s[0:1], s21, v0
	v_lshl_or_b32 v127, v16, 3, v78
	v_and_b32_e32 v16, 8, v0
	v_and_b32_e32 v19, 24, v19
	v_lshlrev_b32_e32 v10, 1, v10
	v_cndmask_b32_e64 v3, v3, v12, s[0:1]
	v_lshlrev_b32_e32 v12, 3, v87
	v_or_b32_e32 v129, 0x6000, v10
	v_or_b32_e32 v130, 0x6080, v10
	;; [unrolled: 1-line block ×4, first 2 shown]
	v_mov_b32_e32 v10, 0x400
	v_cmp_eq_u32_e32 vcc, 0, v16
	v_cndmask_b32_e64 v134, v13, v14, s[2:3]
	v_xor_b32_e32 v13, v12, v19
	v_and_b32_e32 v15, 7, v0
	v_cndmask_b32_e64 v16, v10, 64, vcc
	v_or_b32_e32 v14, 0x440, v13
	v_lshl_or_b32 v128, v17, 3, v78
	v_lshlrev_b32_e32 v17, 3, v15
	v_or_b32_e32 v18, 32, v19
	v_or_b32_e32 v20, 0x60, v19
	v_cndmask_b32_e32 v14, v14, v13, vcc
	v_or3_b32 v13, v11, v16, v13
	v_lshlrev_b32_e32 v15, 7, v15
	v_xor_b32_e32 v18, v12, v18
	v_xor_b32_e32 v13, v13, v17
	;; [unrolled: 1-line block ×3, first 2 shown]
	v_or_b32_e32 v21, 0x440, v18
	v_or_b32_e32 v135, v13, v15
	v_xor_b32_e32 v13, 0x440, v12
	v_cndmask_b32_e32 v18, v21, v18, vcc
	v_cndmask_b32_e32 v12, v13, v12, vcc
	v_or_b32_e32 v111, 0x4000, v7
	v_or_b32_e32 v112, 0x6000, v7
	v_lshrrev_b32_e32 v7, 2, v86
	v_or_b32_e32 v8, s36, v45
	v_or_b32_e32 v14, v14, v11
	;; [unrolled: 1-line block ×4, first 2 shown]
	v_and_b32_e32 v7, 12, v7
	v_ashrrev_i32_e32 v9, 31, v8
	v_xor_b32_e32 v14, v14, v17
	v_xor_b32_e32 v18, v18, v17
	;; [unrolled: 1-line block ×3, first 2 shown]
	v_or_b32_e32 v10, v1, v7
	v_add_u32_e32 v19, v3, v14
	v_add_u32_e32 v21, v3, v18
	;; [unrolled: 1-line block ×3, first 2 shown]
	v_or3_b32 v12, v1, v7, 64
	v_add_u32_e32 v7, 0xa000, v14
	v_add_u32_e32 v14, 0xa000, v18
	;; [unrolled: 1-line block ×3, first 2 shown]
	v_lshlrev_b64 v[8:9], 1, v[8:9]
	v_lshl_add_u64 v[80:81], s[8:9], 0, v[8:9]
	v_lshl_add_u64 v[82:83], s[14:15], 0, v[8:9]
	;; [unrolled: 1-line block ×3, first 2 shown]
	s_mov_b32 s21, 0x7060302
	v_lshlrev_b32_e32 v78, 1, v6
	s_movk_i32 s37, 0x2000
	v_lshlrev_b32_e32 v137, 2, v10
	v_add_u32_e32 v138, v19, v15
	v_add_u32_e32 v139, v21, v15
	;; [unrolled: 1-line block ×4, first 2 shown]
	v_lshlrev_b32_e32 v142, 2, v12
	v_add_u32_e32 v143, v7, v15
	v_add_u32_e32 v144, v14, v15
	;; [unrolled: 1-line block ×3, first 2 shown]
	v_mov_b32_e32 v77, v79
	v_mov_b32_e32 v62, v79
	;; [unrolled: 1-line block ×25, first 2 shown]
	s_waitcnt lgkmcnt(0)
	s_barrier
.LBB151_6:                              ; =>This Inner Loop Header: Depth=1
	s_add_i32 s62, s61, 1
	s_cmp_lt_i32 s62, s47
	s_mov_b64 s[28:29], 0
	s_cselect_b64 s[2:3], -1, 0
	s_cmp_ge_i32 s62, s47
	s_mov_b64 s[24:25], 0
	s_cbranch_scc1 .LBB151_8
; %bb.7:                                ;   in Loop: Header=BB151_6 Depth=1
	s_add_i32 s0, s54, 64
	s_ashr_i32 s1, s0, 31
	s_add_u32 s0, s51, s0
	s_addc_u32 s1, s50, s1
	s_lshl_b64 s[0:1], s[0:1], 8
	s_add_u32 s24, s6, s0
	s_addc_u32 s25, s7, s1
.LBB151_8:                              ;   in Loop: Header=BB151_6 Depth=1
	v_cndmask_b32_e64 v2, 0, 1, s[2:3]
	v_cmp_ne_u32_e64 s[0:1], 1, v2
	s_andn2_b64 vcc, exec, s[2:3]
	s_cbranch_vccnz .LBB151_10
; %bb.9:                                ;   in Loop: Header=BB151_6 Depth=1
	s_add_i32 s2, s54, 64
	s_mul_hi_i32 s3, s2, s18
	s_mul_i32 s2, s2, s18
	s_add_u32 s2, s2, s52
	s_addc_u32 s3, s3, s56
	s_lshl_b64 s[2:3], s[2:3], 8
	s_add_u32 s28, s4, s2
	s_addc_u32 s29, s5, s3
.LBB151_10:                             ;   in Loop: Header=BB151_6 Depth=1
	v_perm_b32 v3, v77, v76, s21
	v_perm_b32 v2, v75, v74, s21
	v_perm_b32 v5, v73, v72, s21
	v_perm_b32 v4, v71, v70, s21
	ds_write_b64 v99, v[2:3]
	ds_write_b64 v100, v[4:5]
	ds_write_b64 v105, v[2:3]
	ds_write_b64 v106, v[4:5]
	v_perm_b32 v3, v69, v68, s21
	v_perm_b32 v2, v67, v66, s21
	v_perm_b32 v5, v65, v64, s21
	v_perm_b32 v4, v63, v62, s21
	ds_write_b64 v101, v[2:3]
	ds_write_b64 v102, v[4:5]
	ds_write_b64 v107, v[2:3]
	ds_write_b64 v108, v[4:5]
	;; [unrolled: 8-line block ×4, first 2 shown]
	s_waitcnt lgkmcnt(0)
	s_barrier
	ds_read_b64 v[6:7], v115 offset:49152
	ds_read2_b64 v[2:5], v116 offset1:16
	ds_read_b64 v[18:19], v118 offset:6144
	ds_read_b64 v[20:21], v116 offset:6144
	s_waitcnt lgkmcnt(2)
	v_mfma_f32_16x16x16_bf16 a[0:3], v[6:7], v[2:3], 0
	ds_read_b64 v[22:23], v117 offset:49152
	ds_read2st64_b64 v[10:13], v119 offset0:4 offset1:8
	ds_read2st64_b64 v[14:17], v120 offset0:4 offset1:8
	v_mfma_f32_16x16x16_bf16 a[4:7], v[6:7], v[4:5], 0
	ds_read2_b64 v[2:5], v116 offset0:32 offset1:48
	s_add_i32 s63, s54, 63
	s_ashr_i32 s2, s63, 31
	s_waitcnt lgkmcnt(0)
	v_mfma_f32_16x16x16_bf16 a[8:11], v[6:7], v[2:3], 0
	s_mul_i32 s3, s63, s35
	s_mul_hi_u32 s31, s63, s34
	s_add_i32 s3, s31, s3
	v_mfma_f32_16x16x16_bf16 a[12:15], v[6:7], v[4:5], 0
	ds_read2st64_b64 v[2:5], v116 offset0:4 offset1:8
	ds_read2st64_b64 v[6:9], v118 offset0:4 offset1:8
	s_mul_i32 s2, s2, s34
	s_waitcnt lgkmcnt(1)
	v_mfma_f32_16x16x16_bf16 a[0:3], v[22:23], v[2:3], a[0:3]
	s_add_i32 s3, s3, s2
	s_mul_i32 s2, s63, s34
	s_lshl_b64 s[2:3], s[2:3], 2
	s_waitcnt lgkmcnt(0)
	v_mfma_f32_16x16x16_bf16 a[4:7], v[22:23], v[6:7], a[4:7]
	s_add_u32 s2, s42, s2
	s_addc_u32 s3, s43, s3
	s_and_b64 vcc, exec, s[0:1]
	v_mfma_f32_16x16x16_bf16 a[8:11], v[22:23], v[10:11], a[8:11]
	ds_read_b64 v[2:3], v121 offset:49152
	ds_read_b64 v[6:7], v122 offset:49152
	;; [unrolled: 1-line block ×3, first 2 shown]
	v_mov_b32_e32 v148, 0
	v_mov_b32_e32 v147, 0
	v_mfma_f32_16x16x16_bf16 a[12:15], v[22:23], v[14:15], a[12:15]
	v_mov_b32_e32 v146, 0
	v_mov_b32_e32 v14, 0
	;; [unrolled: 1-line block ×3, first 2 shown]
	s_waitcnt lgkmcnt(2)
	v_mfma_f32_16x16x16_bf16 a[0:3], v[2:3], v[4:5], a[0:3]
	v_mov_b32_e32 v4, 0
	v_mov_b32_e32 v5, 0
	v_mfma_f32_16x16x16_bf16 a[16:19], v[2:3], v[8:9], a[4:7]
	v_mov_b32_e32 v8, 0
	v_mov_b32_e32 v9, 0
	;; [unrolled: 3-line block ×3, first 2 shown]
	v_mfma_f32_16x16x16_bf16 a[24:27], v[2:3], v[16:17], a[12:15]
	ds_read_b64 v[2:3], v119 offset:6144
	v_mov_b32_e32 v16, 0
	v_mov_b32_e32 v17, 0
	s_waitcnt lgkmcnt(2)
	v_mfma_f32_16x16x16_bf16 a[4:7], v[6:7], v[20:21], a[0:3]
	v_mfma_f32_16x16x16_bf16 a[8:11], v[6:7], v[18:19], a[16:19]
	s_waitcnt lgkmcnt(0)
	v_mfma_f32_16x16x16_bf16 a[12:15], v[6:7], v[2:3], a[20:23]
	v_mov_b32_e32 v2, 0
	v_mov_b32_e32 v3, 0
	v_mfma_f32_16x16x16_bf16 a[0:3], v[6:7], v[10:11], a[24:27]
	v_mov_b32_e32 v6, 0
	v_mov_b32_e32 v7, 0
	;; [unrolled: 1-line block ×4, first 2 shown]
	s_cbranch_vccnz .LBB151_12
; %bb.11:                               ;   in Loop: Header=BB151_6 Depth=1
	s_and_b32 s25, s25, 0xffff
	buffer_load_dwordx4 v[14:17], v95, s[24:27], 0 offen
	buffer_load_dwordx4 v[10:13], v95, s[24:27], s57 offen
	;; [unrolled: 1-line block ×4, first 2 shown]
	v_mov_b32_e32 v147, v97
	v_mov_b32_e32 v146, v98
.LBB151_12:                             ;   in Loop: Header=BB151_6 Depth=1
	ds_read_b64 v[30:31], v115 offset:57344
	ds_read2_b64 v[18:21], v123 offset1:16
	ds_read_b64 v[34:35], v117 offset:57344
	ds_read_b64 v[36:37], v121 offset:57344
	;; [unrolled: 1-line block ×3, first 2 shown]
	v_add_u32_e32 v32, s54, v136
	s_waitcnt lgkmcnt(3)
	v_mfma_f32_16x16x16_bf16 a[4:7], v[30:31], v[18:19], a[4:7]
	v_mfma_f32_16x16x16_bf16 a[8:11], v[30:31], v[20:21], a[8:11]
	ds_read2_b64 v[18:21], v123 offset0:32 offset1:48
	ds_read2st64_b64 v[22:25], v123 offset0:4 offset1:8
	ds_read2st64_b64 v[26:29], v124 offset0:4 offset1:8
	s_waitcnt lgkmcnt(2)
	v_mfma_f32_16x16x16_bf16 a[12:15], v[30:31], v[18:19], a[12:15]
	v_ashrrev_i32_e32 v18, 31, v32
	v_mul_lo_u32 v33, v18, s34
	v_mad_u64_u32 v[18:19], s[24:25], v32, s34, 0
	v_mfma_f32_16x16x16_bf16 a[0:3], v[30:31], v[20:21], a[0:3]
	v_mul_lo_u32 v20, v32, s35
	v_add3_u32 v19, v19, v20, v33
	v_add_u32_e32 v20, 1, v32
	v_ashrrev_i32_e32 v21, 31, v20
	s_waitcnt lgkmcnt(1)
	v_mfma_f32_16x16x16_bf16 a[4:7], v[34:35], v[22:23], a[4:7]
	v_mul_lo_u32 v22, v21, s34
	v_mul_lo_u32 v23, v20, s35
	v_mad_u64_u32 v[20:21], s[24:25], v20, s34, 0
	v_add3_u32 v21, v21, v23, v22
	v_add_u32_e32 v22, 2, v32
	v_ashrrev_i32_e32 v23, 31, v22
	v_mul_lo_u32 v30, v23, s34
	v_mul_lo_u32 v31, v22, s35
	v_mad_u64_u32 v[22:23], s[24:25], v22, s34, 0
	v_add3_u32 v23, v23, v31, v30
	v_add_u32_e32 v30, 3, v32
	v_ashrrev_i32_e32 v31, 31, v30
	v_mul_lo_u32 v32, v31, s34
	v_mul_lo_u32 v33, v30, s35
	v_mad_u64_u32 v[30:31], s[24:25], v30, s34, 0
	s_ashr_i32 s25, s54, 31
	s_add_u32 s24, s51, s54
	s_addc_u32 s25, s50, s25
	v_lshl_add_u64 v[18:19], v[18:19], 2, s[42:43]
	v_add3_u32 v31, v31, v33, v32
	s_lshl_b64 s[24:25], s[24:25], 8
	v_lshl_add_u64 v[20:21], v[20:21], 2, s[42:43]
	v_lshl_add_u64 v[22:23], v[22:23], 2, s[42:43]
	;; [unrolled: 1-line block ×3, first 2 shown]
	global_load_dword v40, v[18:19], off
	global_load_dword v41, v[20:21], off
	;; [unrolled: 1-line block ×4, first 2 shown]
	v_lshl_add_u64 v[18:19], v[80:81], 0, s[24:25]
	v_lshl_add_u64 v[22:23], v[18:19], 0, v[78:79]
	global_load_ushort v44, v[22:23], off offset:256
	global_load_ushort v149, v[22:23], off
	ds_read2st64_b64 v[18:21], v125 offset0:4 offset1:8
	global_load_ushort v150, v[22:23], off offset:768
	global_load_ushort v151, v[22:23], off offset:512
	ds_read2st64_b64 v[30:33], v126 offset0:4 offset1:8
	global_load_ushort v152, v[22:23], off offset:288
	global_load_ushort v153, v[22:23], off offset:32
	;; [unrolled: 1-line block ×4, first 2 shown]
	s_waitcnt lgkmcnt(2)
	v_mfma_f32_16x16x16_bf16 a[8:11], v[34:35], v[26:27], a[8:11]
	global_load_ushort v156, v[22:23], off offset:320
	global_load_ushort v157, v[22:23], off offset:64
	;; [unrolled: 1-line block ×4, first 2 shown]
	s_and_b64 vcc, exec, s[0:1]
	s_waitcnt lgkmcnt(1)
	v_mfma_f32_16x16x16_bf16 a[12:15], v[34:35], v[18:19], a[12:15]
	ds_read_b64 v[18:19], v123 offset:6144
	s_waitcnt lgkmcnt(1)
	v_mfma_f32_16x16x16_bf16 a[0:3], v[34:35], v[30:31], a[0:3]
	v_lshl_add_u64 v[30:31], v[82:83], 0, s[24:25]
	v_lshl_add_u64 v[30:31], v[30:31], 0, v[78:79]
	v_mfma_f32_16x16x16_bf16 a[4:7], v[36:37], v[24:25], a[4:7]
	v_mfma_f32_16x16x16_bf16 a[8:11], v[36:37], v[28:29], a[8:11]
	;; [unrolled: 1-line block ×4, first 2 shown]
	global_load_ushort v36, v[22:23], off offset:352
	global_load_ushort v37, v[22:23], off offset:96
	ds_read_b64 v[20:21], v124 offset:6144
	ds_read_b64 v[24:25], v125 offset:6144
	;; [unrolled: 1-line block ×3, first 2 shown]
	s_load_dword s2, s[2:3], 0x0
	global_load_ushort v160, v[22:23], off offset:864
	global_load_ushort v161, v[22:23], off offset:608
	s_waitcnt lgkmcnt(0)
	v_mfma_f32_16x16x16_bf16 a[4:7], v[38:39], v[18:19], a[4:7]
	s_waitcnt vmcnt(17)
	v_sub_f32_e32 v28, s2, v42
	v_mfma_f32_16x16x16_bf16 a[0:3], v[38:39], v[26:27], a[0:3]
	v_sub_f32_e32 v26, s2, v40
	v_sub_f32_e32 v27, s2, v41
	s_waitcnt vmcnt(16)
	v_sub_f32_e32 v29, s2, v43
	v_mfma_f32_16x16x16_bf16 a[8:11], v[38:39], v[20:21], a[8:11]
	v_exp_f32_e32 v26, v26
	v_exp_f32_e32 v27, v27
	v_exp_f32_e32 v28, v28
	v_exp_f32_e32 v29, v29
	v_accvgpr_read_b32 v35, a5
	s_waitcnt vmcnt(15)
	v_lshlrev_b32_e32 v33, 16, v44
	s_waitcnt vmcnt(14)
	v_lshlrev_b32_e32 v32, 16, v149
	v_accvgpr_read_b32 v34, a4
	v_accvgpr_read_b32 v19, a7
	;; [unrolled: 1-line block ×3, first 2 shown]
	v_pk_add_f32 v[32:33], v[32:33], v[34:35] neg_lo:[0,1] neg_hi:[0,1]
	s_waitcnt vmcnt(13)
	v_lshlrev_b32_e32 v35, 16, v150
	s_waitcnt vmcnt(12)
	v_lshlrev_b32_e32 v34, 16, v151
	v_pk_add_f32 v[18:19], v[34:35], v[18:19] neg_lo:[0,1] neg_hi:[0,1]
	global_store_short_d16_hi v[30:31], v32, off
	global_store_short_d16_hi v[30:31], v33, off offset:256
	global_store_short_d16_hi v[30:31], v18, off offset:512
	global_store_short_d16_hi v[30:31], v19, off offset:768
	v_pk_mul_f32 v[32:33], v[26:27], v[32:33]
	v_pk_mul_f32 v[18:19], v[28:29], v[18:19]
	v_accvgpr_read_b32 v35, a9
	v_perm_b32 v32, v33, v32, s21
	v_perm_b32 v33, v19, v18, s21
	s_waitcnt vmcnt(15)
	v_lshlrev_b32_e32 v19, 16, v152
	s_waitcnt vmcnt(14)
	v_lshlrev_b32_e32 v18, 16, v153
	v_accvgpr_read_b32 v34, a8
	v_accvgpr_read_b32 v21, a11
	v_mfma_f32_16x16x16_bf16 a[12:15], v[38:39], v[24:25], a[12:15]
	v_accvgpr_read_b32 v20, a10
	v_pk_add_f32 v[18:19], v[18:19], v[34:35] neg_lo:[0,1] neg_hi:[0,1]
	s_waitcnt vmcnt(13)
	v_lshlrev_b32_e32 v35, 16, v154
	s_waitcnt vmcnt(12)
	v_lshlrev_b32_e32 v34, 16, v155
	v_pk_add_f32 v[20:21], v[34:35], v[20:21] neg_lo:[0,1] neg_hi:[0,1]
	global_store_short_d16_hi v[30:31], v18, off offset:32
	global_store_short_d16_hi v[30:31], v19, off offset:288
	;; [unrolled: 1-line block ×4, first 2 shown]
	v_pk_mul_f32 v[18:19], v[26:27], v[18:19]
	v_pk_mul_f32 v[20:21], v[28:29], v[20:21]
	v_accvgpr_read_b32 v23, a15
	v_perm_b32 v21, v21, v20, s21
	v_perm_b32 v20, v19, v18, s21
	ds_write2_b64 v100, v[32:33], v[20:21] offset1:16
	v_accvgpr_read_b32 v21, a13
	s_waitcnt vmcnt(15)
	v_lshlrev_b32_e32 v19, 16, v156
	s_waitcnt vmcnt(14)
	v_lshlrev_b32_e32 v18, 16, v157
	v_accvgpr_read_b32 v20, a12
	v_accvgpr_read_b32 v22, a14
	v_pk_add_f32 v[18:19], v[18:19], v[20:21] neg_lo:[0,1] neg_hi:[0,1]
	s_waitcnt vmcnt(13)
	v_lshlrev_b32_e32 v21, 16, v158
	s_waitcnt vmcnt(12)
	v_lshlrev_b32_e32 v20, 16, v159
	v_pk_add_f32 v[20:21], v[20:21], v[22:23] neg_lo:[0,1] neg_hi:[0,1]
	global_store_short_d16_hi v[30:31], v18, off offset:64
	global_store_short_d16_hi v[30:31], v19, off offset:320
	;; [unrolled: 1-line block ×4, first 2 shown]
	v_pk_mul_f32 v[18:19], v[26:27], v[18:19]
	v_pk_mul_f32 v[20:21], v[28:29], v[20:21]
	v_accvgpr_read_b32 v23, a1
	v_perm_b32 v18, v19, v18, s21
	v_perm_b32 v19, v21, v20, s21
	s_waitcnt vmcnt(15)
	v_lshlrev_b32_e32 v21, 16, v36
	s_waitcnt vmcnt(14)
	v_lshlrev_b32_e32 v20, 16, v37
	v_accvgpr_read_b32 v22, a0
	v_accvgpr_read_b32 v25, a3
	;; [unrolled: 1-line block ×3, first 2 shown]
	v_pk_add_f32 v[20:21], v[20:21], v[22:23] neg_lo:[0,1] neg_hi:[0,1]
	s_waitcnt vmcnt(13)
	v_lshlrev_b32_e32 v23, 16, v160
	s_waitcnt vmcnt(12)
	v_lshlrev_b32_e32 v22, 16, v161
	v_pk_add_f32 v[22:23], v[22:23], v[24:25] neg_lo:[0,1] neg_hi:[0,1]
	global_store_short_d16_hi v[30:31], v20, off offset:96
	global_store_short_d16_hi v[30:31], v21, off offset:352
	;; [unrolled: 1-line block ×4, first 2 shown]
	v_pk_mul_f32 v[20:21], v[26:27], v[20:21]
	v_pk_mul_f32 v[22:23], v[28:29], v[22:23]
	v_mov_b32_e32 v149, 0
	v_perm_b32 v23, v23, v22, s21
	v_perm_b32 v22, v21, v20, s21
	ds_write2_b64 v100, v[18:19], v[22:23] offset0:32 offset1:48
	v_mov_b32_e32 v18, 0
	v_mov_b32_e32 v19, 0
	;; [unrolled: 1-line block ×16, first 2 shown]
	s_cbranch_vccnz .LBB151_14
; %bb.13:                               ;   in Loop: Header=BB151_6 Depth=1
	s_and_b32 s29, s29, 0xffff
	s_mov_b32 s31, s27
	buffer_load_dwordx4 v[30:33], v133, s[28:31], 0 offen
	buffer_load_dwordx4 v[22:25], v133, s[28:31], s57 offen
	buffer_load_dwordx4 v[26:29], v134, s[28:31], 0 offen
	buffer_load_dwordx4 v[18:21], v134, s[28:31], s57 offen
	v_mov_b32_e32 v148, v94
	v_mov_b32_e32 v149, v93
.LBB151_14:                             ;   in Loop: Header=BB151_6 Depth=1
	s_waitcnt lgkmcnt(0)
	s_barrier
	ds_read_b64 v[42:43], v138
	ds_read2_b64 v[34:37], v129 offset1:16
	ds_read_b64 v[166:167], v139
	ds_read_b64 v[168:169], v140
	;; [unrolled: 1-line block ×3, first 2 shown]
	ds_read2_b64 v[38:41], v129 offset0:32 offset1:48
	ds_read2st64_b64 v[150:153], v129 offset0:4 offset1:8
	ds_read2st64_b64 v[154:157], v130 offset0:4 offset1:8
	;; [unrolled: 1-line block ×4, first 2 shown]
	s_waitcnt lgkmcnt(8)
	v_mfma_f32_16x16x16_bf16 a[0:3], v[42:43], v[34:35], 0
	s_add_i32 s3, s48, s61
	s_mul_hi_i32 s25, s3, s53
	s_mul_i32 s3, s3, s53
	v_mfma_f32_16x16x16_bf16 a[4:7], v[42:43], v[36:37], 0
	s_add_u32 s24, s3, s33
	s_addc_u32 s25, s25, s55
	s_lshl_b64 s[24:25], s[24:25], 15
	s_waitcnt lgkmcnt(4)
	v_mfma_f32_16x16x16_bf16 a[8:11], v[42:43], v[38:39], 0
	s_mul_i32 s28, s63, s53
	s_mul_hi_i32 s3, s63, s53
	s_add_u32 s28, s28, s33
	v_mfma_f32_16x16x16_bf16 a[12:15], v[42:43], v[40:41], 0
	ds_read_b64 v[42:43], v129 offset:6144
	ds_read_b64 v[178:179], v130 offset:6144
	ds_read_b64 v[180:181], v131 offset:6144
	ds_read_b64 v[182:183], v132 offset:6144
	s_addc_u32 s29, s3, s55
	s_waitcnt lgkmcnt(7)
	v_mfma_f32_16x16x16_bf16 a[0:3], v[166:167], v[150:151], a[0:3]
	s_lshl_b64 s[28:29], s[28:29], 9
	s_add_u32 s28, s40, s28
	s_addc_u32 s29, s41, s29
	s_waitcnt lgkmcnt(6)
	v_mfma_f32_16x16x16_bf16 a[4:7], v[166:167], v[154:155], a[4:7]
	v_lshl_add_u64 v[188:189], v[84:85], 0, s[24:25]
	s_waitcnt lgkmcnt(5)
	v_mfma_f32_16x16x16_bf16 a[8:11], v[166:167], v[158:159], a[8:11]
	s_waitcnt lgkmcnt(4)
	v_mfma_f32_16x16x16_bf16 a[12:15], v[166:167], v[162:163], a[12:15]
	ds_read_b64 v[166:167], v143
	ds_read_b64 v[176:177], v144
	;; [unrolled: 1-line block ×3, first 2 shown]
	s_waitcnt lgkmcnt(2)
	v_mfma_f32_16x16x16_bf16 a[16:19], v[166:167], v[34:35], 0
	v_mfma_f32_16x16x16_bf16 a[20:23], v[166:167], v[36:37], 0
	global_load_dwordx4 v[34:37], v142, s[28:29]
	v_mfma_f32_16x16x16_bf16 a[24:27], v[166:167], v[38:39], 0
	v_mfma_f32_16x16x16_bf16 a[28:31], v[166:167], v[40:41], 0
	global_load_dwordx4 v[38:41], v137, s[28:29]
	v_mfma_f32_16x16x16_bf16 a[0:3], v[168:169], v[152:153], a[0:3]
	v_mfma_f32_16x16x16_bf16 a[4:7], v[168:169], v[156:157], a[4:7]
	;; [unrolled: 1-line block ×8, first 2 shown]
	ds_read2st64_b64 v[166:169], v127 offset1:8
	ds_read2st64_b64 v[170:173], v128 offset1:8
	ds_read_b64 v[186:187], v135 offset:40960
	s_waitcnt lgkmcnt(2)
	v_mov_b32_e32 v174, v166
	v_mfma_f32_16x16x16_bf16 a[16:19], v[176:177], v[150:151], a[16:19]
	v_mov_b32_e32 v175, v167
	v_mfma_f32_16x16x16_bf16 a[20:23], v[176:177], v[154:155], a[20:23]
	v_mfma_f32_16x16x16_bf16 a[24:27], v[176:177], v[158:159], a[24:27]
	;; [unrolled: 1-line block ×3, first 2 shown]
	v_add_co_u32_e32 v162, vcc, s37, v188
	s_waitcnt lgkmcnt(1)
	v_mov_b32_e32 v176, v170
	s_waitcnt lgkmcnt(0)
	v_mfma_f32_16x16x16_bf16 a[16:19], v[186:187], v[152:153], a[16:19]
	ds_read2st64_b64 v[150:153], v127 offset0:16 offset1:24
	v_addc_co_u32_e32 v163, vcc, 0, v189, vcc
	v_mfma_f32_16x16x16_bf16 a[20:23], v[186:187], v[156:157], a[20:23]
	ds_read2st64_b64 v[154:157], v128 offset0:16 offset1:24
	v_mov_b32_e32 v177, v171
	v_mov_b32_e32 v170, v168
	v_mfma_f32_16x16x16_bf16 a[32:35], v[186:187], v[160:161], a[24:27]
	v_mov_b32_e32 v171, v169
	s_waitcnt lgkmcnt(0)
	v_mov_b32_e32 v160, v154
	v_mov_b32_e32 v161, v155
	v_mfma_f32_16x16x16_bf16 a[36:39], v[186:187], v[164:165], a[28:31]
	v_mov_b32_e32 v154, v152
	v_mov_b32_e32 v155, v153
	;; [unrolled: 1-line block ×3, first 2 shown]
	v_mfma_f32_16x16x16_bf16 a[24:27], v[184:185], v[42:43], a[16:19]
	v_add_co_u32_e32 v42, vcc, s60, v188
	v_mov_b32_e32 v159, v151
	v_mfma_f32_16x16x16_bf16 a[28:31], v[184:185], v[178:179], a[20:23]
	v_addc_co_u32_e32 v43, vcc, 0, v189, vcc
	global_store_dwordx4 v[42:43], v[154:157], off
	v_mfma_f32_16x16x16_bf16 a[16:19], v[184:185], v[180:181], a[32:35]
	s_waitcnt vmcnt(2)
	v_mov_b32_e32 v44, v37
	v_mov_b32_e32 v43, v36
	v_mov_b32_e32 v42, v35
	v_mfma_f32_16x16x16_bf16 a[20:23], v[184:185], v[182:183], a[36:39]
	s_and_b64 vcc, exec, s[0:1]
	global_store_dwordx4 v[188:189], v[174:177], off
	global_store_dwordx4 v[162:163], v[170:173], off offset:-4096
	global_store_dwordx4 v[162:163], v[158:161], off
	s_cbranch_vccnz .LBB151_16
; %bb.15:                               ;   in Loop: Header=BB151_6 Depth=1
	v_lshrrev_b32_e32 v35, 3, v148
	v_and_b32_e32 v35, 6, v35
	v_xor_b32_e32 v36, v35, v149
	v_lshlrev_b32_e32 v36, 2, v36
	v_and_b32_e32 v37, 8, v148
	v_xor_b32_e32 v148, 0x440, v36
	v_cmp_eq_u32_e32 vcc, 0, v37
	v_perm_b32 v37, v22, v18, s58
	s_nop 0
	v_cndmask_b32_e32 v36, v148, v36, vcc
	v_lshl_or_b32 v35, v35, 10, v36
	v_perm_b32 v36, v30, v26, s58
	s_barrier
	ds_write2st64_b32 v35, v36, v37 offset0:128 offset1:160
	v_xor_b32_e32 v36, 8, v35
	v_perm_b32 v26, v30, v26, s59
	v_perm_b32 v18, v22, v18, s59
	v_add_u32_e32 v22, 0x80, v36
	ds_write2st64_b32 v22, v26, v18 offset0:128 offset1:160
	v_xor_b32_e32 v18, 16, v35
	v_perm_b32 v22, v31, v27, s58
	v_perm_b32 v26, v23, v19, s58
	ds_write2st64_b32 v18, v22, v26 offset0:129 offset1:161
	v_xor_b32_e32 v18, 24, v35
	v_perm_b32 v22, v31, v27, s59
	v_perm_b32 v19, v23, v19, s59
	v_add_u32_e32 v18, 0x80, v18
	ds_write2st64_b32 v18, v22, v19 offset0:129 offset1:161
	v_xor_b32_e32 v18, 32, v35
	v_perm_b32 v19, v32, v28, s58
	v_perm_b32 v22, v24, v20, s58
	;; [unrolled: 9-line block ×3, first 2 shown]
	ds_write2st64_b32 v18, v19, v20 offset0:131 offset1:163
	v_xor_b32_e32 v18, 56, v35
	v_perm_b32 v19, v33, v29, s59
	v_perm_b32 v20, v25, v21, s59
	v_add_u32_e32 v18, 0x80, v18
	ds_write2st64_b32 v18, v19, v20 offset0:131 offset1:163
	ds_write_b64 v147, v[14:15] offset:49152
	v_xor_b32_e32 v14, 8, v147
	ds_write_b64 v14, v[16:17] offset:49152
	ds_write_b64 v147, v[10:11] offset:57344
	;; [unrolled: 1-line block ×4, first 2 shown]
	v_xor_b32_e32 v6, 8, v146
	ds_write_b64 v6, v[8:9] offset:49152
	ds_write_b64 v146, v[2:3] offset:57344
	;; [unrolled: 1-line block ×3, first 2 shown]
.LBB151_16:                             ;   in Loop: Header=BB151_6 Depth=1
	v_exp_f32_e32 v36, s2
	s_waitcnt vmcnt(4)
	v_exp_f32_e32 v38, v38
	v_exp_f32_e32 v39, v39
	;; [unrolled: 1-line block ×4, first 2 shown]
	v_accvgpr_read_b32 v5, a3
	v_accvgpr_read_b32 v4, a2
	;; [unrolled: 1-line block ×4, first 2 shown]
	v_pk_mul_f32 v[38:39], v[36:37], v[38:39] op_sel_hi:[0,1]
	v_pk_mul_f32 v[40:41], v[36:37], v[40:41] op_sel_hi:[0,1]
	v_pk_fma_f32 v[74:75], v[74:75], v[38:39], v[2:3]
	v_pk_fma_f32 v[76:77], v[76:77], v[40:41], v[4:5]
	v_exp_f32_e32 v2, v34
	v_exp_f32_e32 v3, v42
	;; [unrolled: 1-line block ×4, first 2 shown]
	v_accvgpr_read_b32 v9, a7
	v_accvgpr_read_b32 v13, a11
	;; [unrolled: 1-line block ×28, first 2 shown]
	v_pk_mul_f32 v[2:3], v[36:37], v[2:3] op_sel_hi:[0,1]
	v_pk_mul_f32 v[4:5], v[36:37], v[4:5] op_sel_hi:[0,1]
	s_add_i32 s54, s54, 64
	v_pk_fma_f32 v[66:67], v[38:39], v[66:67], v[6:7]
	v_pk_fma_f32 v[68:69], v[40:41], v[68:69], v[8:9]
	;; [unrolled: 1-line block ×13, first 2 shown]
	s_cmp_eq_u32 s47, s62
	v_pk_fma_f32 v[50:51], v[4:5], v[50:51], v[32:33]
	s_cbranch_scc1 .LBB151_18
; %bb.17:                               ;   in Loop: Header=BB151_6 Depth=1
	s_mov_b32 s61, s62
	s_branch .LBB151_6
.LBB151_18:
	s_lshl_b32 s0, s47, 6
	s_sub_i32 s42, s49, s0
	s_cmp_gt_i32 s42, 0
	s_cbranch_scc0 .LBB151_99
; %bb.19:
	s_add_i32 s38, s0, s38
	s_ashr_i32 s2, s38, 31
	s_cmpk_lg_i32 s19, 0x80
	s_cselect_b64 s[30:31], -1, 0
	s_and_b64 vcc, exec, s[30:31]
	s_cbranch_vccz .LBB151_21
; %bb.20:
	s_mul_i32 s1, s38, s18
	s_ashr_i32 s3, s52, 31
	s_mul_hi_i32 s0, s38, s18
	s_add_u32 s40, s1, s52
	s_addc_u32 s41, s0, s3
	s_cbranch_execz .LBB151_22
	s_branch .LBB151_23
.LBB151_21:
                                        ; implicit-def: $sgpr40_sgpr41
.LBB151_22:
	s_mul_i32 s1, s52, s16
	s_mul_hi_i32 s0, s52, s16
	s_add_u32 s40, s1, s38
	s_addc_u32 s41, s0, s2
.LBB151_23:
	s_add_i32 s3, s47, s48
	s_ashr_i32 s16, s33, 31
	s_add_u32 s0, s51, s38
	v_lshlrev_b32_e32 v6, 6, v91
	v_lshlrev_b32_e32 v24, 2, v45
	s_addc_u32 s1, s50, s2
	s_mov_b32 s2, 0x7060302
	v_or_b32_e32 v9, v6, v24
	v_xor_b32_e32 v7, v91, v24
	v_perm_b32 v3, v77, v76, s2
	v_perm_b32 v2, v75, v74, s2
	;; [unrolled: 1-line block ×4, first 2 shown]
	v_lshlrev_b32_e32 v9, 1, v9
	v_xor_b32_e32 v8, v92, v24
	ds_write2st64_b64 v9, v[2:3], v[4:5] offset0:32 offset1:48
	v_lshlrev_b32_e32 v7, 1, v7
	v_lshlrev_b32_e32 v9, 8, v45
	v_or_b32_e32 v10, v7, v9
	v_lshlrev_b32_e32 v8, 1, v8
	ds_write_b64 v10, v[2:3]
	v_or_b32_e32 v2, v8, v9
	v_or_b32_e32 v9, 16, v45
	v_lshlrev_b32_e32 v23, 2, v9
	v_or_b32_e32 v10, v6, v23
	ds_write_b64 v2, v[4:5]
	v_perm_b32 v3, v69, v68, s2
	v_perm_b32 v2, v67, v66, s2
	;; [unrolled: 1-line block ×4, first 2 shown]
	v_lshlrev_b32_e32 v10, 1, v10
	v_lshlrev_b32_e32 v9, 8, v9
	ds_write2st64_b64 v10, v[2:3], v[4:5] offset0:32 offset1:48
	v_or_b32_e32 v10, v7, v9
	ds_write_b64 v10, v[2:3]
	v_or_b32_e32 v2, v8, v9
	v_or_b32_e32 v9, 32, v45
	v_lshlrev_b32_e32 v22, 2, v9
	v_or_b32_e32 v10, v6, v22
	s_lshl_b64 s[28:29], s[0:1], 8
	ds_write_b64 v2, v[4:5]
	v_perm_b32 v3, v61, v60, s2
	v_perm_b32 v2, v59, v58, s2
	;; [unrolled: 1-line block ×4, first 2 shown]
	v_lshlrev_b32_e32 v10, 1, v10
	v_lshlrev_b32_e32 v9, 8, v9
	s_add_u32 s0, s6, s28
	ds_write2st64_b64 v10, v[2:3], v[4:5] offset0:32 offset1:48
	v_or_b32_e32 v10, v7, v9
	s_addc_u32 s1, s7, s29
	ds_write_b64 v10, v[2:3]
	v_or_b32_e32 v2, v8, v9
	v_or_b32_e32 v9, 48, v45
	s_mul_hi_i32 s6, s3, s17
	s_mul_i32 s3, s3, s17
	ds_write_b64 v2, v[4:5]
	v_perm_b32 v3, v47, v46, s2
	v_perm_b32 v2, v53, v52, s2
	;; [unrolled: 1-line block ×4, first 2 shown]
	v_lshlrev_b32_e32 v19, 2, v9
	s_add_u32 s2, s3, s33
	v_or_b32_e32 v6, v6, v19
	s_addc_u32 s3, s6, s16
	v_lshlrev_b32_e32 v6, 1, v6
	s_ashr_i32 s37, s36, 31
	s_lshl_b64 s[2:3], s[2:3], 15
	ds_write2st64_b64 v6, v[2:3], v[4:5] offset0:32 offset1:48
	v_lshlrev_b32_e32 v6, 8, v9
	s_add_u32 s6, s12, s2
	v_or_b32_e32 v7, v7, v6
	s_addc_u32 s7, s13, s3
	s_lshl_b64 s[2:3], s[36:37], 8
	ds_write_b64 v7, v[2:3]
	v_or_b32_e32 v2, v8, v6
	s_add_u32 s2, s6, s2
	v_lshlrev_b32_e32 v3, 1, v45
	ds_write_b64 v2, v[4:5]
	v_lshrrev_b32_e32 v2, 4, v0
	s_addc_u32 s3, s7, s3
	v_or_b32_e32 v4, 1, v3
	v_lshlrev_b32_e32 v10, 4, v45
	v_mov_b32_e32 v11, 0
	v_xor_b32_e32 v3, v2, v3
	v_xor_b32_e32 v6, v4, v2
	v_lshl_add_u64 v[12:13], s[2:3], 0, v[10:11]
	v_lshlrev_b32_e32 v10, 8, v2
	v_lshl_or_b32 v16, v3, 3, v10
	v_lshl_or_b32 v17, v6, 3, v10
	s_waitcnt lgkmcnt(0)
	s_barrier
	ds_read2st64_b64 v[2:5], v16 offset1:8
	ds_read2st64_b64 v[6:9], v17 offset1:8
	v_lshl_add_u64 v[14:15], v[12:13], 0, v[10:11]
	s_movk_i32 s2, 0x2000
	s_cmp_lg_u32 s42, 64
	s_waitcnt lgkmcnt(1)
	v_mov_b32_e32 v10, v2
	v_mov_b32_e32 v11, v3
	s_waitcnt lgkmcnt(0)
	v_mov_b32_e32 v12, v6
	v_mov_b32_e32 v13, v7
	global_store_dwordx4 v[14:15], v[10:13], off
	v_mov_b32_e32 v6, v4
	v_mov_b32_e32 v7, v5
	ds_read2st64_b64 v[2:5], v16 offset0:16 offset1:24
	ds_read2st64_b64 v[10:13], v17 offset0:16 offset1:24
	v_add_co_u32_e32 v16, vcc, s2, v14
	s_cselect_b64 s[6:7], -1, 0
	s_nop 0
	v_addc_co_u32_e32 v17, vcc, 0, v15, vcc
	global_store_dwordx4 v[16:17], v[6:9], off offset:-4096
	v_lshl_or_b32 v25, v87, 3, v90
	s_mov_b32 s24, 0
	s_waitcnt lgkmcnt(1)
	v_mov_b32_e32 v6, v2
	v_add_co_u32_e32 v2, vcc, 0x3000, v14
	v_mov_b32_e32 v7, v3
	s_nop 0
	v_addc_co_u32_e32 v3, vcc, 0, v15, vcc
	s_waitcnt lgkmcnt(0)
	v_mov_b32_e32 v8, v10
	v_mov_b32_e32 v9, v11
	;; [unrolled: 1-line block ×4, first 2 shown]
	v_or_b32_e32 v20, 32, v25
	v_and_b32_e32 v18, 56, v89
	s_and_b64 vcc, exec, s[6:7]
	global_store_dwordx4 v[16:17], v[6:9], off
	global_store_dwordx4 v[2:3], v[10:13], off
	s_cbranch_vccz .LBB151_29
; %bb.24:
	s_mov_b32 s25, s24
	s_mov_b32 s26, s24
	;; [unrolled: 1-line block ×3, first 2 shown]
	v_mov_b64_e32 v[6:7], s[24:25]
	v_mov_b64_e32 v[8:9], s[26:27]
	;; [unrolled: 1-line block ×3, first 2 shown]
	v_cmp_gt_i32_e32 vcc, s42, v25
	v_mov_b64_e32 v[4:5], v[8:9]
	s_and_saveexec_b64 s[2:3], vcc
	s_cbranch_execz .LBB151_26
; %bb.25:
	v_lshlrev_b32_e32 v2, 8, v25
	v_mov_b32_e32 v3, 0
	v_lshl_add_u64 v[4:5], s[0:1], 0, v[2:3]
	v_lshlrev_b32_e32 v2, 1, v18
	v_lshl_add_u64 v[10:11], v[4:5], 0, v[2:3]
	global_load_dwordx4 v[6:9], v[10:11], off
	global_load_dwordx4 v[2:5], v[10:11], off offset:128
.LBB151_26:
	s_or_b64 exec, exec, s[2:3]
	s_mov_b32 s25, s24
	s_mov_b32 s26, s24
	;; [unrolled: 1-line block ×3, first 2 shown]
	v_mov_b64_e32 v[14:15], s[24:25]
	v_mov_b64_e32 v[16:17], s[26:27]
	;; [unrolled: 1-line block ×3, first 2 shown]
	v_cmp_gt_i32_e32 vcc, s42, v20
	v_lshlrev_b32_e32 v21, 7, v20
	v_mov_b64_e32 v[12:13], v[16:17]
	s_and_saveexec_b64 s[2:3], vcc
	s_cbranch_execz .LBB151_28
; %bb.27:
	v_lshlrev_b32_e32 v10, 1, v21
	v_mov_b32_e32 v11, 0
	v_lshl_add_u64 v[12:13], s[0:1], 0, v[10:11]
	v_lshlrev_b32_e32 v10, 1, v18
	v_lshl_add_u64 v[26:27], v[12:13], 0, v[10:11]
	global_load_dwordx4 v[14:17], v[26:27], off
	global_load_dwordx4 v[10:13], v[26:27], off offset:128
.LBB151_28:
	s_or_b64 exec, exec, s[2:3]
	v_lshrrev_b32_e32 v26, 3, v18
	v_lshlrev_b32_e32 v27, 3, v25
	v_or_b32_e32 v26, v27, v26
	v_lshlrev_b32_e32 v26, 4, v26
	v_and_b32_e32 v27, 0x78, v27
	v_xor_b32_e32 v26, v26, v27
	s_branch .LBB151_31
.LBB151_29:
                                        ; implicit-def: $vgpr26
                                        ; implicit-def: $vgpr21
                                        ; implicit-def: $vgpr6_vgpr7_vgpr8_vgpr9
                                        ; implicit-def: $vgpr2_vgpr3_vgpr4_vgpr5
                                        ; implicit-def: $vgpr14_vgpr15_vgpr16_vgpr17
                                        ; implicit-def: $vgpr10_vgpr11_vgpr12_vgpr13
	s_cbranch_execz .LBB151_31
; %bb.30:
	s_waitcnt vmcnt(0)
	v_lshlrev_b32_e32 v2, 1, v18
	v_lshl_or_b32 v21, v25, 8, v2
	s_and_b32 s1, s1, 0xffff
	s_mov_b32 s3, 0x20000
	s_movk_i32 s2, 0x4000
	v_lshl_or_b32 v26, v20, 8, v2
	s_movk_i32 s12, 0x80
	buffer_load_dwordx4 v[6:9], v21, s[0:3], 0 offen
	buffer_load_dwordx4 v[2:5], v21, s[0:3], s12 offen
	;; [unrolled: 1-line block ×4, first 2 shown]
	v_lshrrev_b32_e32 v21, 3, v18
	v_lshlrev_b32_e32 v26, 3, v25
	v_or_b32_e32 v21, v26, v21
	v_lshlrev_b32_e32 v21, 4, v21
	v_and_b32_e32 v26, 0x78, v26
	v_xor_b32_e32 v26, v21, v26
	v_lshlrev_b32_e32 v21, 7, v20
.LBB151_31:
	s_movk_i32 s0, 0x1000
	v_and_or_b32 v20, v21, s0, v26
	s_waitcnt vmcnt(1)
	ds_write_b64 v26, v[6:7] offset:49152
	v_xor_b32_e32 v6, 8, v26
	ds_write_b64 v6, v[8:9] offset:49152
	s_waitcnt vmcnt(0)
	ds_write_b64 v26, v[2:3] offset:57344
	ds_write_b64 v6, v[4:5] offset:57344
	;; [unrolled: 1-line block ×3, first 2 shown]
	v_xor_b32_e32 v2, 8, v20
	ds_write_b64 v2, v[16:17] offset:49152
	ds_write_b64 v20, v[10:11] offset:57344
	;; [unrolled: 1-line block ×3, first 2 shown]
	v_or_b32_e32 v2, v1, v45
	v_lshlrev_b32_e32 v3, 11, v87
	v_lshlrev_b32_e32 v2, 3, v2
	v_and_b32_e32 v6, 0x1000, v3
	v_lshrrev_b32_e32 v3, 5, v86
	s_movk_i32 s0, 0xf8
	v_and_or_b32 v3, v2, s0, v3
	v_lshlrev_b32_e32 v7, 4, v3
	v_and_b32_e32 v8, 0x78, v2
	v_or_b32_e32 v10, 32, v7
	v_lshrrev_b32_e32 v3, 1, v86
	v_xor_b32_e32 v10, v10, v8
	v_xor_b32_e32 v2, v7, v8
	v_and_b32_e32 v9, 8, v3
	v_or_b32_e32 v10, v10, v6
	v_or_b32_e32 v2, v2, v6
	v_xor_b32_e32 v28, v10, v9
	v_or_b32_e32 v10, 64, v7
	v_xor_b32_e32 v27, v2, v9
	v_xor_b32_e32 v10, v10, v8
	s_waitcnt lgkmcnt(0)
	s_barrier
	v_or_b32_e32 v13, v10, v6
	ds_read_b64 v[10:11], v27 offset:49152
	v_lshl_or_b32 v14, v88, 8, v24
	v_lshlrev_b32_e32 v26, 1, v14
	v_add_u32_e32 v12, 0x4000, v26
	ds_read2_b64 v[2:5], v12 offset1:16
	v_or_b32_e32 v7, 0x60, v7
	v_xor_b32_e32 v7, v7, v8
	v_or_b32_e32 v6, v7, v6
	v_xor_b32_e32 v29, v13, v9
	v_xor_b32_e32 v30, v6, v9
	ds_read_b64 v[20:21], v28 offset:49152
	ds_read_b64 v[34:35], v29 offset:49152
	;; [unrolled: 1-line block ×3, first 2 shown]
	s_waitcnt lgkmcnt(3)
	v_mfma_f32_16x16x16_bf16 a[0:3], v[10:11], v[2:3], 0
	ds_read2_b64 v[6:9], v12 offset0:32 offset1:48
	s_lshl_b64 s[0:1], s[40:41], 8
	s_add_u32 s4, s4, s0
	v_mfma_f32_16x16x16_bf16 a[4:7], v[10:11], v[4:5], 0
	ds_read2st64_b64 v[2:5], v26 offset0:36 offset1:40
	s_addc_u32 s5, s5, s1
	s_add_i32 s2, s39, -1
	s_waitcnt lgkmcnt(1)
	v_mfma_f32_16x16x16_bf16 a[8:11], v[10:11], v[6:7], 0
	v_or_b32_e32 v6, 64, v14
	v_lshlrev_b32_e32 v31, 1, v6
	s_add_i32 s0, s45, s44
	s_waitcnt lgkmcnt(0)
	v_mfma_f32_16x16x16_bf16 a[0:3], v[20:21], v[2:3], a[0:3]
	v_or_b32_e32 v2, 0x80, v14
	v_lshlrev_b32_e32 v32, 1, v2
	v_or_b32_e32 v2, 0xc0, v14
	v_mfma_f32_16x16x16_bf16 a[12:15], v[10:11], v[8:9], 0
	ds_read2st64_b64 v[6:9], v31 offset0:36 offset1:40
	v_lshlrev_b32_e32 v33, 1, v2
	ds_read2st64_b64 v[10:13], v32 offset0:36 offset1:40
	ds_read2st64_b64 v[14:17], v33 offset0:36 offset1:40
	s_add_i32 s21, s0, s46
	s_mul_i32 s0, s33, s23
	s_mul_hi_u32 s1, s33, s22
	s_ashr_i32 s3, s2, 31
	s_mul_i32 s12, s2, s35
	s_mul_hi_u32 s13, s2, s34
	s_waitcnt lgkmcnt(2)
	v_mfma_f32_16x16x16_bf16 a[4:7], v[20:21], v[6:7], a[4:7]
	s_add_i32 s0, s1, s0
	s_mul_i32 s1, s16, s22
	s_add_i32 s12, s13, s12
	s_mul_i32 s3, s3, s34
	s_waitcnt lgkmcnt(1)
	v_mfma_f32_16x16x16_bf16 a[8:11], v[20:21], v[10:11], a[8:11]
	s_add_i32 s1, s0, s1
	s_add_i32 s3, s12, s3
	s_lshl_b64 s[12:13], s[20:21], 2
	s_waitcnt lgkmcnt(0)
	v_mfma_f32_16x16x16_bf16 a[12:15], v[20:21], v[14:15], a[12:15]
	s_mul_i32 s0, s33, s22
	s_add_u32 s10, s10, s12
	s_addc_u32 s11, s11, s13
	s_lshl_b64 s[0:1], s[0:1], 2
	v_mfma_f32_16x16x16_bf16 a[0:3], v[34:35], v[4:5], a[0:3]
	s_mul_i32 s2, s2, s34
	ds_read_b64 v[2:3], v26 offset:22528
	s_add_u32 s10, s10, s0
	v_mfma_f32_16x16x16_bf16 a[4:7], v[34:35], v[8:9], a[4:7]
	ds_read_b64 v[4:5], v31 offset:22528
	ds_read_b64 v[6:7], v32 offset:22528
	;; [unrolled: 1-line block ×3, first 2 shown]
	s_addc_u32 s11, s11, s1
	s_lshl_b64 s[0:1], s[2:3], 2
	v_mfma_f32_16x16x16_bf16 a[8:11], v[34:35], v[12:13], a[8:11]
	s_add_u32 s0, s10, s0
	s_addc_u32 s1, s11, s1
	s_load_dword s12, s[0:1], 0x0
	v_mfma_f32_16x16x16_bf16 a[12:15], v[34:35], v[16:17], a[12:15]
	s_and_b64 vcc, exec, s[30:31]
	s_waitcnt lgkmcnt(0)
	v_mfma_f32_16x16x16_bf16 a[0:3], v[36:37], v[2:3], a[0:3]
	v_mfma_f32_16x16x16_bf16 a[4:7], v[36:37], v[4:5], a[4:7]
	v_mfma_f32_16x16x16_bf16 a[8:11], v[36:37], v[6:7], a[8:11]
	v_mfma_f32_16x16x16_bf16 a[12:15], v[36:37], v[8:9], a[12:15]
	s_cbranch_vccz .LBB151_42
; %bb.32:
	v_lshlrev_b32_e32 v20, 1, v25
	s_and_b64 vcc, exec, s[6:7]
	s_cbranch_vccz .LBB151_43
; %bb.33:
	v_cmp_gt_i32_e32 vcc, s42, v20
	v_mov_b32_e32 v6, 0
	v_mov_b32_e32 v2, 0
	;; [unrolled: 1-line block ×5, first 2 shown]
	s_and_saveexec_b64 s[0:1], vcc
	s_cbranch_execz .LBB151_35
; %bb.34:
	v_mad_i64_i32 v[2:3], s[2:3], s19, v20, 0
	v_lshl_add_u64 v[2:3], v[2:3], 1, s[4:5]
	v_lshlrev_b32_e32 v4, 1, v18
	v_mov_b32_e32 v5, 0
	v_lshl_add_u64 v[2:3], v[2:3], 0, v[4:5]
	global_load_dwordx4 v[2:5], v[2:3], off
.LBB151_35:
	s_or_b64 exec, exec, s[0:1]
	v_or_b32_e32 v21, 1, v20
	v_cmp_gt_i32_e64 s[0:1], s42, v21
	v_mov_b32_e32 v7, 0
	v_mov_b32_e32 v8, 0
	;; [unrolled: 1-line block ×3, first 2 shown]
	s_and_saveexec_b64 s[2:3], s[0:1]
	s_cbranch_execz .LBB151_37
; %bb.36:
	v_mad_i64_i32 v[6:7], s[16:17], s19, v21, 0
	v_lshl_add_u64 v[6:7], v[6:7], 1, s[4:5]
	v_lshlrev_b32_e32 v8, 1, v18
	v_mov_b32_e32 v9, 0
	v_lshl_add_u64 v[6:7], v[6:7], 0, v[8:9]
	global_load_dwordx4 v[6:9], v[6:7], off
.LBB151_37:
	s_or_b64 exec, exec, s[2:3]
	v_mov_b32_e32 v17, 0
	v_mov_b32_e32 v10, 0
	;; [unrolled: 1-line block ×5, first 2 shown]
	s_and_saveexec_b64 s[2:3], vcc
	s_cbranch_execz .LBB151_39
; %bb.38:
	v_mad_i64_i32 v[10:11], s[16:17], s19, v20, 0
	v_lshl_add_u64 v[10:11], v[10:11], 1, s[4:5]
	v_lshlrev_b32_e32 v12, 1, v18
	v_mov_b32_e32 v13, 0
	v_lshl_add_u64 v[10:11], v[10:11], 0, v[12:13]
	global_load_dwordx4 v[10:13], v[10:11], off offset:128
.LBB151_39:
	s_or_b64 exec, exec, s[2:3]
	v_mov_b32_e32 v16, 0
	v_mov_b32_e32 v15, 0
	v_mov_b32_e32 v14, 0
	s_and_saveexec_b64 s[2:3], s[0:1]
	s_cbranch_execz .LBB151_41
; %bb.40:
	v_mad_i64_i32 v[14:15], s[0:1], s19, v21, 0
	v_lshl_add_u64 v[14:15], v[14:15], 1, s[4:5]
	v_lshlrev_b32_e32 v16, 1, v18
	v_mov_b32_e32 v17, 0
	v_lshl_add_u64 v[14:15], v[14:15], 0, v[16:17]
	global_load_dwordx4 v[14:17], v[14:15], off offset:128
.LBB151_41:
	s_or_b64 exec, exec, s[2:3]
	s_branch .LBB151_45
.LBB151_42:
                                        ; implicit-def: $vgpr5
                                        ; implicit-def: $vgpr9
                                        ; implicit-def: $vgpr13
                                        ; implicit-def: $vgpr17
	v_lshrrev_b32_e32 v34, 2, v86
	s_branch .LBB151_46
.LBB151_43:
                                        ; implicit-def: $vgpr5
                                        ; implicit-def: $vgpr9
                                        ; implicit-def: $vgpr13
                                        ; implicit-def: $vgpr17
	s_cbranch_execz .LBB151_45
; %bb.44:
	s_waitcnt vmcnt(0)
	v_mad_u64_u32 v[2:3], s[0:1], v20, s19, v[18:19]
	v_lshlrev_b32_e32 v20, 1, v2
	s_lshl_b32 s2, s19, 7
	s_and_b32 s1, s5, 0xffff
	s_mov_b32 s3, 0x20000
	s_mov_b32 s0, s4
	v_add_lshl_u32 v21, v2, s19, 1
	s_movk_i32 s13, 0x80
	buffer_load_dwordx4 v[2:5], v20, s[0:3], 0 offen
	buffer_load_dwordx4 v[10:13], v20, s[0:3], s13 offen
	;; [unrolled: 1-line block ×4, first 2 shown]
.LBB151_45:
	v_lshrrev_b32_e32 v34, 2, v86
	s_cbranch_execnz .LBB151_58
.LBB151_46:
	s_and_b64 vcc, exec, s[6:7]
	s_cbranch_vccz .LBB151_56
; %bb.47:
	s_waitcnt vmcnt(0)
	v_lshlrev_b32_e32 v7, 1, v25
	v_cmp_gt_i32_e32 vcc, s42, v7
	v_mov_b32_e32 v6, 0
	v_lshlrev_b32_e32 v14, 9, v25
	v_mov_b32_e32 v2, 0
	v_mov_b32_e32 v3, 0
	;; [unrolled: 1-line block ×4, first 2 shown]
	s_and_saveexec_b64 s[0:1], vcc
	s_cbranch_execz .LBB151_49
; %bb.48:
	v_mov_b32_e32 v15, 0
	v_lshl_add_u64 v[2:3], s[4:5], 0, v[14:15]
	v_lshlrev_b32_e32 v4, 1, v18
	v_mov_b32_e32 v5, v15
	v_lshl_add_u64 v[2:3], v[2:3], 0, v[4:5]
	global_load_dwordx4 v[2:5], v[2:3], off
.LBB151_49:
	s_or_b64 exec, exec, s[0:1]
	v_or_b32_e32 v7, 1, v7
	v_cmp_gt_i32_e64 s[0:1], s42, v7
	v_lshlrev_b32_e32 v20, 8, v7
	v_mov_b32_e32 v7, 0
	v_mov_b32_e32 v8, 0
	;; [unrolled: 1-line block ×3, first 2 shown]
	s_and_saveexec_b64 s[2:3], s[0:1]
	s_cbranch_execz .LBB151_51
; %bb.50:
	v_mov_b32_e32 v21, 0
	v_lshl_add_u64 v[6:7], s[4:5], 0, v[20:21]
	v_lshlrev_b32_e32 v8, 1, v18
	v_mov_b32_e32 v9, v21
	v_lshl_add_u64 v[6:7], v[6:7], 0, v[8:9]
	global_load_dwordx4 v[6:9], v[6:7], off
.LBB151_51:
	s_or_b64 exec, exec, s[2:3]
	v_mov_b32_e32 v17, 0
	v_mov_b32_e32 v10, 0
	;; [unrolled: 1-line block ×5, first 2 shown]
	s_and_saveexec_b64 s[2:3], vcc
	s_cbranch_execz .LBB151_53
; %bb.52:
	v_mov_b32_e32 v15, 0
	v_lshl_add_u64 v[10:11], s[4:5], 0, v[14:15]
	v_lshlrev_b32_e32 v14, 1, v18
	v_lshl_add_u64 v[10:11], v[10:11], 0, v[14:15]
	global_load_dwordx4 v[10:13], v[10:11], off offset:128
.LBB151_53:
	s_or_b64 exec, exec, s[2:3]
	v_mov_b32_e32 v16, 0
	v_mov_b32_e32 v15, 0
	;; [unrolled: 1-line block ×3, first 2 shown]
	s_and_saveexec_b64 s[2:3], s[0:1]
	s_cbranch_execz .LBB151_55
; %bb.54:
	v_mov_b32_e32 v21, 0
	v_lshl_add_u64 v[14:15], s[4:5], 0, v[20:21]
	v_lshlrev_b32_e32 v20, 1, v18
	v_lshl_add_u64 v[14:15], v[14:15], 0, v[20:21]
	global_load_dwordx4 v[14:17], v[14:15], off offset:128
.LBB151_55:
	s_or_b64 exec, exec, s[2:3]
	s_branch .LBB151_58
.LBB151_56:
                                        ; implicit-def: $vgpr5
                                        ; implicit-def: $vgpr9
                                        ; implicit-def: $vgpr13
                                        ; implicit-def: $vgpr17
	s_cbranch_execz .LBB151_58
; %bb.57:
	s_waitcnt vmcnt(0)
	v_lshlrev_b32_e32 v2, 1, v18
	v_lshl_or_b32 v18, v25, 9, v2
	s_and_b32 s5, s5, 0xffff
	s_mov_b32 s7, 0x20000
	s_movk_i32 s6, 0x4000
	s_movk_i32 s0, 0x80
	buffer_load_dwordx4 v[2:5], v18, s[4:7], 0 offen
	buffer_load_dwordx4 v[6:9], v18, s[4:7], 0 offen offset:256
	buffer_load_dwordx4 v[10:13], v18, s[4:7], s0 offen
	buffer_load_dwordx4 v[14:17], v18, s[4:7], s0 offen offset:256
.LBB151_58:
	ds_read_b64 v[20:21], v27 offset:57344
	v_add_u32_e32 v18, 0x6000, v26
	ds_read2_b64 v[36:39], v18 offset1:16
	ds_read_b64 v[54:55], v28 offset:57344
	ds_read_b64 v[28:29], v29 offset:57344
	;; [unrolled: 1-line block ×3, first 2 shown]
	ds_read2st64_b64 v[40:43], v26 offset0:52 offset1:56
	s_mov_b32 s0, 0x1000504
	s_mov_b32 s1, 0x3020706
	s_waitcnt lgkmcnt(4)
	v_mfma_f32_16x16x16_bf16 a[0:3], v[20:21], v[36:37], a[0:3]
	v_mfma_f32_16x16x16_bf16 a[4:7], v[20:21], v[38:39], a[4:7]
	ds_read2_b64 v[36:39], v18 offset0:32 offset1:48
	v_and_b32_e32 v18, 6, v0
	v_xor_b32_e32 v25, v25, v18
	s_waitcnt lgkmcnt(0)
	v_mfma_f32_16x16x16_bf16 a[8:11], v[20:21], v[36:37], a[8:11]
	v_lshlrev_b32_e32 v25, 2, v25
	v_and_b32_e32 v0, 1, v0
	v_xor_b32_e32 v35, 0x440, v25
	v_mfma_f32_16x16x16_bf16 a[12:15], v[20:21], v[38:39], a[12:15]
	ds_read2st64_b64 v[36:39], v31 offset0:52 offset1:56
	ds_read2st64_b64 v[46:49], v32 offset0:52 offset1:56
	;; [unrolled: 1-line block ×3, first 2 shown]
	v_cmp_eq_u32_e32 vcc, 0, v0
	ds_read_b64 v[20:21], v26 offset:30720
	ds_read_b64 v[26:27], v31 offset:30720
	;; [unrolled: 1-line block ×4, first 2 shown]
	v_mfma_f32_16x16x16_bf16 a[0:3], v[54:55], v[40:41], a[0:3]
	v_cndmask_b32_e32 v0, v35, v25, vcc
	v_lshl_or_b32 v0, v18, 10, v0
	s_waitcnt vmcnt(0)
	v_perm_b32 v18, v2, v6, s0
	s_waitcnt lgkmcnt(6)
	v_mfma_f32_16x16x16_bf16 a[4:7], v[54:55], v[36:37], a[4:7]
	v_perm_b32 v25, v10, v14, s0
	ds_write2st64_b32 v0, v18, v25 offset0:128 offset1:160
	v_xor_b32_e32 v18, 8, v0
	s_waitcnt lgkmcnt(6)
	v_mfma_f32_16x16x16_bf16 a[8:11], v[54:55], v[46:47], a[8:11]
	v_perm_b32 v2, v2, v6, s1
	v_perm_b32 v6, v10, v14, s1
	v_add_u32_e32 v10, 0x80, v18
	s_waitcnt lgkmcnt(5)
	v_mfma_f32_16x16x16_bf16 a[12:15], v[54:55], v[50:51], a[12:15]
	ds_write2st64_b32 v10, v2, v6 offset0:128 offset1:160
	v_xor_b32_e32 v2, 16, v0
	v_perm_b32 v6, v3, v7, s0
	v_mfma_f32_16x16x16_bf16 a[0:3], v[28:29], v[42:43], a[0:3]
	v_perm_b32 v10, v11, v15, s0
	ds_write2st64_b32 v2, v6, v10 offset0:129 offset1:161
	v_xor_b32_e32 v2, 24, v0
	v_mfma_f32_16x16x16_bf16 a[4:7], v[28:29], v[38:39], a[4:7]
	v_perm_b32 v3, v3, v7, s1
	v_perm_b32 v6, v11, v15, s1
	v_add_u32_e32 v2, 0x80, v2
	v_mfma_f32_16x16x16_bf16 a[16:19], v[28:29], v[48:49], a[8:11]
	ds_write2st64_b32 v2, v3, v6 offset0:129 offset1:161
	v_xor_b32_e32 v2, 32, v0
	v_perm_b32 v3, v4, v8, s0
	v_mfma_f32_16x16x16_bf16 a[20:23], v[28:29], v[52:53], a[12:15]
	v_perm_b32 v6, v12, v16, s0
	ds_write2st64_b32 v2, v3, v6 offset0:130 offset1:162
	v_xor_b32_e32 v2, 40, v0
	s_waitcnt lgkmcnt(8)
	v_mfma_f32_16x16x16_bf16 a[12:15], v[56:57], v[20:21], a[0:3]
	v_perm_b32 v3, v4, v8, s1
	v_perm_b32 v4, v12, v16, s1
	v_add_u32_e32 v2, 0x80, v2
	s_waitcnt lgkmcnt(7)
	v_mfma_f32_16x16x16_bf16 a[8:11], v[56:57], v[26:27], a[4:7]
	ds_write2st64_b32 v2, v3, v4 offset0:130 offset1:162
	v_xor_b32_e32 v2, 48, v0
	v_perm_b32 v3, v5, v9, s0
	s_waitcnt lgkmcnt(7)
	v_mfma_f32_16x16x16_bf16 a[4:7], v[56:57], v[30:31], a[16:19]
	v_perm_b32 v4, v13, v17, s0
	v_xor_b32_e32 v0, 56, v0
	v_and_or_b32 v21, v34, 12, v1
	s_waitcnt lgkmcnt(6)
	v_mfma_f32_16x16x16_bf16 a[0:3], v[56:57], v[32:33], a[20:23]
	ds_write2st64_b32 v2, v3, v4 offset0:131 offset1:163
	v_perm_b32 v2, v5, v9, s1
	v_perm_b32 v3, v13, v17, s1
	v_add_u32_e32 v0, 0x80, v0
	v_cmp_gt_i32_e32 vcc, s42, v21
	v_mov_b32_e32 v16, 0
	v_mov_b32_e32 v18, 0
	ds_write2st64_b32 v0, v2, v3 offset0:131 offset1:163
	s_and_saveexec_b64 s[0:1], vcc
	s_cbranch_execz .LBB151_60
; %bb.59:
	v_add_u32_e32 v0, s38, v21
	v_ashrrev_i32_e32 v1, 31, v0
	v_mul_lo_u32 v2, v1, s34
	v_mul_lo_u32 v3, v0, s35
	v_mad_u64_u32 v[0:1], s[2:3], v0, s34, 0
	v_add3_u32 v1, v1, v3, v2
	v_lshl_add_u64 v[0:1], v[0:1], 2, s[10:11]
	global_load_dword v0, v[0:1], off
	s_waitcnt vmcnt(0)
	v_sub_f32_e32 v0, s12, v0
	v_exp_f32_e32 v18, v0
.LBB151_60:
	s_or_b64 exec, exec, s[0:1]
	v_or_b32_e32 v10, 1, v21
	v_cmp_gt_i32_e64 s[2:3], s42, v10
	s_and_saveexec_b64 s[0:1], s[2:3]
	s_cbranch_execz .LBB151_62
; %bb.61:
	v_add_u32_e32 v0, s38, v10
	v_ashrrev_i32_e32 v1, 31, v0
	v_mul_lo_u32 v2, v1, s34
	v_mul_lo_u32 v3, v0, s35
	v_mad_u64_u32 v[0:1], s[4:5], v0, s34, 0
	v_add3_u32 v1, v1, v3, v2
	v_lshl_add_u64 v[0:1], v[0:1], 2, s[10:11]
	global_load_dword v0, v[0:1], off
	s_waitcnt vmcnt(0)
	v_sub_f32_e32 v0, s12, v0
	v_exp_f32_e32 v16, v0
.LBB151_62:
	s_or_b64 exec, exec, s[0:1]
	v_or_b32_e32 v12, 2, v21
	v_cmp_gt_i32_e64 s[0:1], s42, v12
	v_mov_b32_e32 v17, 0
	v_mov_b32_e32 v20, 0
	s_and_saveexec_b64 s[4:5], s[0:1]
	s_cbranch_execz .LBB151_64
; %bb.63:
	v_add_u32_e32 v0, s38, v12
	v_ashrrev_i32_e32 v1, 31, v0
	v_mul_lo_u32 v2, v1, s34
	v_mul_lo_u32 v3, v0, s35
	v_mad_u64_u32 v[0:1], s[6:7], v0, s34, 0
	v_add3_u32 v1, v1, v3, v2
	v_lshl_add_u64 v[0:1], v[0:1], 2, s[10:11]
	global_load_dword v0, v[0:1], off
	s_waitcnt vmcnt(0)
	v_sub_f32_e32 v0, s12, v0
	v_exp_f32_e32 v20, v0
.LBB151_64:
	s_or_b64 exec, exec, s[4:5]
	v_or_b32_e32 v14, 3, v21
	v_cmp_gt_i32_e64 s[4:5], s42, v14
	s_and_saveexec_b64 s[6:7], s[4:5]
	s_cbranch_execz .LBB151_66
; %bb.65:
	v_add_u32_e32 v0, s38, v14
	v_ashrrev_i32_e32 v1, 31, v0
	v_mul_lo_u32 v2, v1, s34
	v_mul_lo_u32 v3, v0, s35
	v_mad_u64_u32 v[0:1], s[16:17], v0, s34, 0
	v_add3_u32 v1, v1, v3, v2
	v_lshl_add_u64 v[0:1], v[0:1], 2, s[10:11]
	global_load_dword v0, v[0:1], off
	s_waitcnt vmcnt(0)
	v_sub_f32_e32 v0, s12, v0
	v_exp_f32_e32 v17, v0
.LBB151_66:
	s_or_b64 exec, exec, s[6:7]
	s_add_u32 s6, s8, s28
	v_or_b32_e32 v4, s36, v45
	s_addc_u32 s7, s9, s29
	s_add_u32 s8, s14, s28
	v_ashrrev_i32_e32 v5, 31, v4
	v_accvgpr_read_b32 v0, a12
	s_addc_u32 s9, s15, s29
	v_lshlrev_b64 v[4:5], 1, v[4:5]
	v_accvgpr_read_b32 v1, a13
	v_accvgpr_read_b32 v2, a14
	;; [unrolled: 1-line block ×3, first 2 shown]
	v_lshl_add_u64 v[6:7], s[6:7], 0, v[4:5]
	v_lshl_add_u64 v[4:5], s[8:9], 0, v[4:5]
	v_mov_b32_e32 v11, 0
	v_lshlrev_b32_e32 v8, 8, v21
	v_mov_b32_e32 v9, 0
	s_and_saveexec_b64 s[6:7], vcc
	s_cbranch_execz .LBB151_68
; %bb.67:
	v_mov_b32_e32 v9, 0
	v_lshl_add_u64 v[26:27], v[6:7], 0, v[8:9]
	global_load_ushort v13, v[26:27], off
	v_lshl_add_u64 v[26:27], v[4:5], 0, v[8:9]
	s_waitcnt vmcnt(0)
	v_lshlrev_b32_e32 v9, 16, v13
	v_sub_f32_e32 v0, v9, v0
	global_store_short_d16_hi v[26:27], v0, off
	v_mul_f32_e32 v0, v18, v0
	v_lshrrev_b32_e32 v9, 16, v0
.LBB151_68:
	s_or_b64 exec, exec, s[6:7]
	v_lshlrev_b32_e32 v10, 8, v10
	s_and_saveexec_b64 s[6:7], s[2:3]
	s_cbranch_execz .LBB151_70
; %bb.69:
	v_mov_b32_e32 v11, 0
	v_lshl_add_u64 v[26:27], v[6:7], 0, v[10:11]
	global_load_ushort v0, v[26:27], off
	v_lshl_add_u64 v[26:27], v[4:5], 0, v[10:11]
	s_waitcnt vmcnt(0)
	v_lshlrev_b32_e32 v0, 16, v0
	v_sub_f32_e32 v0, v0, v1
	global_store_short_d16_hi v[26:27], v0, off
	v_mul_f32_e32 v0, v16, v0
	v_lshrrev_b32_e32 v11, 16, v0
.LBB151_70:
	s_or_b64 exec, exec, s[6:7]
	v_mov_b32_e32 v15, 0
	v_lshlrev_b32_e32 v12, 8, v12
	v_mov_b32_e32 v13, 0
	s_and_saveexec_b64 s[6:7], s[0:1]
	s_cbranch_execz .LBB151_72
; %bb.71:
	v_mov_b32_e32 v13, 0
	v_lshl_add_u64 v[0:1], v[6:7], 0, v[12:13]
	global_load_ushort v25, v[0:1], off
	v_lshl_add_u64 v[0:1], v[4:5], 0, v[12:13]
	s_waitcnt vmcnt(0)
	v_lshlrev_b32_e32 v13, 16, v25
	v_sub_f32_e32 v2, v13, v2
	global_store_short_d16_hi v[0:1], v2, off
	v_mul_f32_e32 v0, v20, v2
	v_lshrrev_b32_e32 v13, 16, v0
.LBB151_72:
	s_or_b64 exec, exec, s[6:7]
	v_lshlrev_b32_e32 v14, 8, v14
	s_and_saveexec_b64 s[6:7], s[4:5]
	s_cbranch_execz .LBB151_74
; %bb.73:
	v_mov_b32_e32 v15, 0
	v_lshl_add_u64 v[0:1], v[6:7], 0, v[14:15]
	global_load_ushort v2, v[0:1], off
	v_lshl_add_u64 v[0:1], v[4:5], 0, v[14:15]
	s_waitcnt vmcnt(0)
	v_lshlrev_b32_e32 v2, 16, v2
	v_sub_f32_e32 v2, v2, v3
	global_store_short_d16_hi v[0:1], v2, off
	v_mul_f32_e32 v0, v17, v2
	v_lshrrev_b32_e32 v15, 16, v0
.LBB151_74:
	s_or_b64 exec, exec, s[6:7]
	v_lshlrev_b32_e32 v21, 6, v21
	s_mov_b32 s6, 0x5040100
	v_perm_b32 v26, v11, v9, s6
	v_or_b32_e32 v9, v21, v24
	v_accvgpr_read_b32 v0, a8
	v_perm_b32 v27, v15, v13, s6
	v_lshlrev_b32_e32 v9, 1, v9
	v_accvgpr_read_b32 v1, a9
	v_accvgpr_read_b32 v2, a10
	;; [unrolled: 1-line block ×3, first 2 shown]
	ds_write_b64 v9, v[26:27] offset:24576
	v_mov_b32_e32 v11, 0
	v_mov_b32_e32 v9, 0
	s_and_saveexec_b64 s[6:7], vcc
	s_cbranch_execz .LBB151_76
; %bb.75:
	v_mov_b32_e32 v9, 0
	v_lshl_add_u64 v[24:25], v[6:7], 0, v[8:9]
	global_load_ushort v13, v[24:25], off offset:32
	v_lshl_add_u64 v[24:25], v[4:5], 0, v[8:9]
	s_waitcnt vmcnt(0)
	v_lshlrev_b32_e32 v9, 16, v13
	v_sub_f32_e32 v0, v9, v0
	global_store_short_d16_hi v[24:25], v0, off offset:32
	v_mul_f32_e32 v0, v18, v0
	v_lshrrev_b32_e32 v9, 16, v0
.LBB151_76:
	s_or_b64 exec, exec, s[6:7]
	s_and_saveexec_b64 s[6:7], s[2:3]
	s_cbranch_execz .LBB151_78
; %bb.77:
	v_mov_b32_e32 v11, 0
	v_lshl_add_u64 v[24:25], v[6:7], 0, v[10:11]
	global_load_ushort v0, v[24:25], off offset:32
	v_lshl_add_u64 v[24:25], v[4:5], 0, v[10:11]
	s_waitcnt vmcnt(0)
	v_lshlrev_b32_e32 v0, 16, v0
	v_sub_f32_e32 v0, v0, v1
	global_store_short_d16_hi v[24:25], v0, off offset:32
	v_mul_f32_e32 v0, v16, v0
	v_lshrrev_b32_e32 v11, 16, v0
.LBB151_78:
	s_or_b64 exec, exec, s[6:7]
	v_mov_b32_e32 v15, 0
	v_mov_b32_e32 v13, 0
	s_and_saveexec_b64 s[6:7], s[0:1]
	s_cbranch_execz .LBB151_80
; %bb.79:
	v_mov_b32_e32 v13, 0
	v_lshl_add_u64 v[0:1], v[6:7], 0, v[12:13]
	global_load_ushort v24, v[0:1], off offset:32
	v_lshl_add_u64 v[0:1], v[4:5], 0, v[12:13]
	s_waitcnt vmcnt(0)
	v_lshlrev_b32_e32 v13, 16, v24
	v_sub_f32_e32 v2, v13, v2
	global_store_short_d16_hi v[0:1], v2, off offset:32
	v_mul_f32_e32 v0, v20, v2
	v_lshrrev_b32_e32 v13, 16, v0
.LBB151_80:
	s_or_b64 exec, exec, s[6:7]
	s_and_saveexec_b64 s[6:7], s[4:5]
	s_cbranch_execz .LBB151_82
; %bb.81:
	v_mov_b32_e32 v15, 0
	v_lshl_add_u64 v[0:1], v[6:7], 0, v[14:15]
	global_load_ushort v2, v[0:1], off offset:32
	v_lshl_add_u64 v[0:1], v[4:5], 0, v[14:15]
	s_waitcnt vmcnt(0)
	v_lshlrev_b32_e32 v2, 16, v2
	v_sub_f32_e32 v2, v2, v3
	global_store_short_d16_hi v[0:1], v2, off offset:32
	v_mul_f32_e32 v0, v17, v2
	v_lshrrev_b32_e32 v15, 16, v0
.LBB151_82:
	s_or_b64 exec, exec, s[6:7]
	s_mov_b32 s6, 0x5040100
	v_perm_b32 v24, v11, v9, s6
	v_or_b32_e32 v9, v21, v23
	v_accvgpr_read_b32 v0, a4
	v_perm_b32 v25, v15, v13, s6
	v_lshlrev_b32_e32 v9, 1, v9
	v_accvgpr_read_b32 v1, a5
	v_accvgpr_read_b32 v2, a6
	;; [unrolled: 1-line block ×3, first 2 shown]
	ds_write_b64 v9, v[24:25] offset:24576
	v_mov_b32_e32 v11, 0
	v_mov_b32_e32 v9, 0
	s_and_saveexec_b64 s[6:7], vcc
	s_cbranch_execz .LBB151_84
; %bb.83:
	v_mov_b32_e32 v9, 0
	v_lshl_add_u64 v[24:25], v[6:7], 0, v[8:9]
	global_load_ushort v13, v[24:25], off offset:64
	v_lshl_add_u64 v[24:25], v[4:5], 0, v[8:9]
	s_waitcnt vmcnt(0)
	v_lshlrev_b32_e32 v9, 16, v13
	v_sub_f32_e32 v0, v9, v0
	global_store_short_d16_hi v[24:25], v0, off offset:64
	v_mul_f32_e32 v0, v18, v0
	v_lshrrev_b32_e32 v9, 16, v0
.LBB151_84:
	s_or_b64 exec, exec, s[6:7]
	s_and_saveexec_b64 s[6:7], s[2:3]
	s_cbranch_execz .LBB151_86
; %bb.85:
	v_mov_b32_e32 v11, 0
	v_lshl_add_u64 v[24:25], v[6:7], 0, v[10:11]
	global_load_ushort v0, v[24:25], off offset:64
	v_lshl_add_u64 v[24:25], v[4:5], 0, v[10:11]
	s_waitcnt vmcnt(0)
	v_lshlrev_b32_e32 v0, 16, v0
	v_sub_f32_e32 v0, v0, v1
	global_store_short_d16_hi v[24:25], v0, off offset:64
	v_mul_f32_e32 v0, v16, v0
	v_lshrrev_b32_e32 v11, 16, v0
.LBB151_86:
	s_or_b64 exec, exec, s[6:7]
	v_mov_b32_e32 v15, 0
	v_mov_b32_e32 v13, 0
	s_and_saveexec_b64 s[6:7], s[0:1]
	s_cbranch_execz .LBB151_88
; %bb.87:
	v_mov_b32_e32 v13, 0
	v_lshl_add_u64 v[0:1], v[6:7], 0, v[12:13]
	global_load_ushort v23, v[0:1], off offset:64
	v_lshl_add_u64 v[0:1], v[4:5], 0, v[12:13]
	s_waitcnt vmcnt(0)
	v_lshlrev_b32_e32 v13, 16, v23
	v_sub_f32_e32 v2, v13, v2
	global_store_short_d16_hi v[0:1], v2, off offset:64
	v_mul_f32_e32 v0, v20, v2
	v_lshrrev_b32_e32 v13, 16, v0
.LBB151_88:
	s_or_b64 exec, exec, s[6:7]
	s_and_saveexec_b64 s[6:7], s[4:5]
	s_cbranch_execz .LBB151_90
; %bb.89:
	v_mov_b32_e32 v15, 0
	v_lshl_add_u64 v[0:1], v[6:7], 0, v[14:15]
	global_load_ushort v2, v[0:1], off offset:64
	v_lshl_add_u64 v[0:1], v[4:5], 0, v[14:15]
	s_waitcnt vmcnt(0)
	v_lshlrev_b32_e32 v2, 16, v2
	v_sub_f32_e32 v2, v2, v3
	global_store_short_d16_hi v[0:1], v2, off offset:64
	v_mul_f32_e32 v0, v17, v2
	v_lshrrev_b32_e32 v15, 16, v0
.LBB151_90:
	s_or_b64 exec, exec, s[6:7]
	s_mov_b32 s6, 0x5040100
	v_perm_b32 v24, v11, v9, s6
	v_or_b32_e32 v9, v21, v22
	v_accvgpr_read_b32 v0, a0
	v_perm_b32 v25, v15, v13, s6
	v_lshlrev_b32_e32 v9, 1, v9
	v_accvgpr_read_b32 v1, a1
	v_accvgpr_read_b32 v2, a2
	;; [unrolled: 1-line block ×3, first 2 shown]
	ds_write_b64 v9, v[24:25] offset:24576
	v_mov_b32_e32 v11, 0
	v_mov_b32_e32 v9, 0
	s_and_saveexec_b64 s[6:7], vcc
	s_cbranch_execz .LBB151_92
; %bb.91:
	v_mov_b32_e32 v9, 0
	v_lshl_add_u64 v[22:23], v[6:7], 0, v[8:9]
	global_load_ushort v13, v[22:23], off offset:96
	v_lshl_add_u64 v[8:9], v[4:5], 0, v[8:9]
	s_waitcnt vmcnt(0)
	v_lshlrev_b32_e32 v13, 16, v13
	v_sub_f32_e32 v0, v13, v0
	global_store_short_d16_hi v[8:9], v0, off offset:96
	v_mul_f32_e32 v0, v18, v0
	v_lshrrev_b32_e32 v9, 16, v0
.LBB151_92:
	s_or_b64 exec, exec, s[6:7]
	s_and_saveexec_b64 s[6:7], s[2:3]
	s_cbranch_execz .LBB151_94
; %bb.93:
	v_mov_b32_e32 v11, 0
	v_lshl_add_u64 v[22:23], v[6:7], 0, v[10:11]
	global_load_ushort v0, v[22:23], off offset:96
	v_lshl_add_u64 v[10:11], v[4:5], 0, v[10:11]
	s_waitcnt vmcnt(0)
	v_lshlrev_b32_e32 v0, 16, v0
	v_sub_f32_e32 v0, v0, v1
	global_store_short_d16_hi v[10:11], v0, off offset:96
	v_mul_f32_e32 v0, v16, v0
	v_lshrrev_b32_e32 v11, 16, v0
.LBB151_94:
	s_or_b64 exec, exec, s[6:7]
	v_mov_b32_e32 v0, 0
	v_mov_b32_e32 v1, 0
	s_and_saveexec_b64 s[2:3], s[0:1]
	s_cbranch_execz .LBB151_96
; %bb.95:
	v_mov_b32_e32 v13, 0
	v_lshl_add_u64 v[22:23], v[6:7], 0, v[12:13]
	global_load_ushort v1, v[22:23], off offset:96
	v_lshl_add_u64 v[12:13], v[4:5], 0, v[12:13]
	s_waitcnt vmcnt(0)
	v_lshlrev_b32_e32 v1, 16, v1
	v_sub_f32_e32 v1, v1, v2
	global_store_short_d16_hi v[12:13], v1, off offset:96
	v_mul_f32_e32 v1, v20, v1
	v_lshrrev_b32_e32 v1, 16, v1
.LBB151_96:
	s_or_b64 exec, exec, s[2:3]
	s_and_saveexec_b64 s[0:1], s[4:5]
	s_cbranch_execz .LBB151_98
; %bb.97:
	v_mov_b32_e32 v15, 0
	v_lshl_add_u64 v[6:7], v[6:7], 0, v[14:15]
	global_load_ushort v0, v[6:7], off offset:96
	v_lshl_add_u64 v[4:5], v[4:5], 0, v[14:15]
	s_waitcnt vmcnt(0)
	v_lshlrev_b32_e32 v0, 16, v0
	v_sub_f32_e32 v0, v0, v3
	global_store_short_d16_hi v[4:5], v0, off offset:96
	v_mul_f32_e32 v0, v17, v0
	v_lshrrev_b32_e32 v0, 16, v0
.LBB151_98:
	s_or_b64 exec, exec, s[0:1]
	s_mov_b32 s0, 0x5040100
	v_or_b32_e32 v2, v21, v19
	v_perm_b32 v1, v0, v1, s0
	v_perm_b32 v0, v11, v9, s0
	v_lshlrev_b32_e32 v2, 1, v2
	ds_write_b64 v2, v[0:1] offset:24576
	s_waitcnt lgkmcnt(0)
	s_barrier
.LBB151_99:
	s_endpgm
	.section	.rodata,"a",@progbits
	.p2align	6, 0x0
	.amdhsa_kernel _ZN12_GLOBAL__N_139chunk_gated_delta_rule_fwd_h_hip_kernelILi64ELb0ELb0ELb1ELb1ELb1ELb1ELb0ELb0EEEvPK12hip_bfloat16S3_S3_PKfS5_PKvPS1_S8_PvPKiSB_iiiiilll
		.amdhsa_group_segment_fixed_size 65536
		.amdhsa_private_segment_fixed_size 0
		.amdhsa_kernarg_size 136
		.amdhsa_user_sgpr_count 2
		.amdhsa_user_sgpr_dispatch_ptr 0
		.amdhsa_user_sgpr_queue_ptr 0
		.amdhsa_user_sgpr_kernarg_segment_ptr 1
		.amdhsa_user_sgpr_dispatch_id 0
		.amdhsa_user_sgpr_kernarg_preload_length 0
		.amdhsa_user_sgpr_kernarg_preload_offset 0
		.amdhsa_user_sgpr_private_segment_size 0
		.amdhsa_uses_dynamic_stack 0
		.amdhsa_enable_private_segment 0
		.amdhsa_system_sgpr_workgroup_id_x 1
		.amdhsa_system_sgpr_workgroup_id_y 1
		.amdhsa_system_sgpr_workgroup_id_z 0
		.amdhsa_system_sgpr_workgroup_info 0
		.amdhsa_system_vgpr_workitem_id 0
		.amdhsa_next_free_vgpr 232
		.amdhsa_next_free_sgpr 64
		.amdhsa_accum_offset 192
		.amdhsa_reserve_vcc 1
		.amdhsa_float_round_mode_32 0
		.amdhsa_float_round_mode_16_64 0
		.amdhsa_float_denorm_mode_32 3
		.amdhsa_float_denorm_mode_16_64 3
		.amdhsa_dx10_clamp 1
		.amdhsa_ieee_mode 1
		.amdhsa_fp16_overflow 0
		.amdhsa_tg_split 0
		.amdhsa_exception_fp_ieee_invalid_op 0
		.amdhsa_exception_fp_denorm_src 0
		.amdhsa_exception_fp_ieee_div_zero 0
		.amdhsa_exception_fp_ieee_overflow 0
		.amdhsa_exception_fp_ieee_underflow 0
		.amdhsa_exception_fp_ieee_inexact 0
		.amdhsa_exception_int_div_zero 0
	.end_amdhsa_kernel
	.section	.text._ZN12_GLOBAL__N_139chunk_gated_delta_rule_fwd_h_hip_kernelILi64ELb0ELb0ELb1ELb1ELb1ELb1ELb0ELb0EEEvPK12hip_bfloat16S3_S3_PKfS5_PKvPS1_S8_PvPKiSB_iiiiilll,"axG",@progbits,_ZN12_GLOBAL__N_139chunk_gated_delta_rule_fwd_h_hip_kernelILi64ELb0ELb0ELb1ELb1ELb1ELb1ELb0ELb0EEEvPK12hip_bfloat16S3_S3_PKfS5_PKvPS1_S8_PvPKiSB_iiiiilll,comdat
.Lfunc_end151:
	.size	_ZN12_GLOBAL__N_139chunk_gated_delta_rule_fwd_h_hip_kernelILi64ELb0ELb0ELb1ELb1ELb1ELb1ELb0ELb0EEEvPK12hip_bfloat16S3_S3_PKfS5_PKvPS1_S8_PvPKiSB_iiiiilll, .Lfunc_end151-_ZN12_GLOBAL__N_139chunk_gated_delta_rule_fwd_h_hip_kernelILi64ELb0ELb0ELb1ELb1ELb1ELb1ELb0ELb0EEEvPK12hip_bfloat16S3_S3_PKfS5_PKvPS1_S8_PvPKiSB_iiiiilll
                                        ; -- End function
	.section	.AMDGPU.csdata,"",@progbits
; Kernel info:
; codeLenInByte = 11320
; NumSgprs: 70
; NumVgprs: 190
; NumAgprs: 40
; TotalNumVgprs: 232
; ScratchSize: 0
; MemoryBound: 0
; FloatMode: 240
; IeeeMode: 1
; LDSByteSize: 65536 bytes/workgroup (compile time only)
; SGPRBlocks: 8
; VGPRBlocks: 28
; NumSGPRsForWavesPerEU: 70
; NumVGPRsForWavesPerEU: 232
; AccumOffset: 192
; Occupancy: 1
; WaveLimiterHint : 1
; COMPUTE_PGM_RSRC2:SCRATCH_EN: 0
; COMPUTE_PGM_RSRC2:USER_SGPR: 2
; COMPUTE_PGM_RSRC2:TRAP_HANDLER: 0
; COMPUTE_PGM_RSRC2:TGID_X_EN: 1
; COMPUTE_PGM_RSRC2:TGID_Y_EN: 1
; COMPUTE_PGM_RSRC2:TGID_Z_EN: 0
; COMPUTE_PGM_RSRC2:TIDIG_COMP_CNT: 0
; COMPUTE_PGM_RSRC3_GFX90A:ACCUM_OFFSET: 47
; COMPUTE_PGM_RSRC3_GFX90A:TG_SPLIT: 0
	.section	.text._ZN12_GLOBAL__N_139chunk_gated_delta_rule_fwd_h_hip_kernelILi64ELb0ELb0ELb0ELb1ELb1ELb1ELb0ELb0EEEvPK12hip_bfloat16S3_S3_PKfS5_PKvPS1_S8_PvPKiSB_iiiiilll,"axG",@progbits,_ZN12_GLOBAL__N_139chunk_gated_delta_rule_fwd_h_hip_kernelILi64ELb0ELb0ELb0ELb1ELb1ELb1ELb0ELb0EEEvPK12hip_bfloat16S3_S3_PKfS5_PKvPS1_S8_PvPKiSB_iiiiilll,comdat
	.globl	_ZN12_GLOBAL__N_139chunk_gated_delta_rule_fwd_h_hip_kernelILi64ELb0ELb0ELb0ELb1ELb1ELb1ELb0ELb0EEEvPK12hip_bfloat16S3_S3_PKfS5_PKvPS1_S8_PvPKiSB_iiiiilll ; -- Begin function _ZN12_GLOBAL__N_139chunk_gated_delta_rule_fwd_h_hip_kernelILi64ELb0ELb0ELb0ELb1ELb1ELb1ELb0ELb0EEEvPK12hip_bfloat16S3_S3_PKfS5_PKvPS1_S8_PvPKiSB_iiiiilll
	.p2align	8
	.type	_ZN12_GLOBAL__N_139chunk_gated_delta_rule_fwd_h_hip_kernelILi64ELb0ELb0ELb0ELb1ELb1ELb1ELb0ELb0EEEvPK12hip_bfloat16S3_S3_PKfS5_PKvPS1_S8_PvPKiSB_iiiiilll,@function
_ZN12_GLOBAL__N_139chunk_gated_delta_rule_fwd_h_hip_kernelILi64ELb0ELb0ELb0ELb1ELb1ELb1ELb0ELb0EEEvPK12hip_bfloat16S3_S3_PKfS5_PKvPS1_S8_PvPKiSB_iiiiilll: ; @_ZN12_GLOBAL__N_139chunk_gated_delta_rule_fwd_h_hip_kernelILi64ELb0ELb0ELb0ELb1ELb1ELb1ELb0ELb0EEEvPK12hip_bfloat16S3_S3_PKfS5_PKvPS1_S8_PvPKiSB_iiiiilll
; %bb.0:
	s_load_dwordx4 s[12:15], s[0:1], 0x5c
	s_load_dwordx4 s[16:19], s[0:1], 0x70
	s_abs_i32 s21, s3
	s_ashr_i32 s20, s3, 31
	s_load_dwordx2 s[36:37], s[0:1], 0x30
	s_load_dwordx4 s[24:27], s[0:1], 0x48
	s_waitcnt lgkmcnt(0)
	s_abs_i32 s28, s13
	v_cvt_f32_u32_e32 v1, s28
	s_sub_i32 s22, 0, s28
	s_ashr_i32 s29, s13, 31
	s_xor_b32 s20, s20, s29
	v_rcp_iflag_f32_e32 v1, v1
	s_load_dwordx8 s[4:11], s[0:1], 0x0
	v_lshrrev_b32_e32 v85, 6, v0
	v_bfe_u32 v86, v0, 4, 2
	v_mul_f32_e32 v1, 0x4f7ffffe, v1
	v_cvt_u32_f32_e32 v1, v1
	v_lshlrev_b32_e32 v2, 2, v86
	v_and_b32_e32 v84, 63, v0
	v_mov_b32_e32 v47, 0
	v_readfirstlane_b32 s23, v1
	s_mul_i32 s22, s22, s23
	s_mul_hi_u32 s22, s23, s22
	s_add_i32 s23, s23, s22
	s_mul_hi_u32 s22, s21, s23
	s_mul_i32 s23, s22, s28
	s_sub_i32 s21, s21, s23
	s_add_i32 s30, s22, 1
	s_sub_i32 s23, s21, s28
	s_cmp_ge_u32 s21, s28
	s_cselect_b32 s22, s30, s22
	s_cselect_b32 s21, s23, s21
	s_add_i32 s23, s22, 1
	s_cmp_ge_u32 s21, s28
	s_cselect_b32 s21, s23, s22
	s_xor_b32 s21, s21, s20
	s_sub_i32 s20, s21, s20
	s_mul_i32 s21, s20, s13
	s_sub_i32 s33, s3, s21
	s_ashr_i32 s21, s20, 31
	s_lshl_b64 s[22:23], s[20:21], 2
	s_add_u32 s24, s24, s22
	s_addc_u32 s25, s25, s23
	s_add_u32 s22, s26, s22
	s_addc_u32 s23, s27, s23
	s_abs_i32 s3, s14
	v_cvt_f32_u32_e32 v1, s3
	s_load_dwordx2 s[34:35], s[24:25], 0x0
	s_sub_i32 s25, 0, s3
	s_load_dword s46, s[22:23], 0x0
	v_rcp_iflag_f32_e32 v1, v1
	v_and_b32_e32 v45, 15, v0
	s_waitcnt lgkmcnt(0)
	s_sub_i32 s47, s35, s34
	s_ashr_i32 s24, s47, 31
	v_mul_f32_e32 v1, 0x4f7ffffe, v1
	v_cvt_u32_f32_e32 v1, v1
	s_lshr_b32 s24, s24, 26
	s_add_i32 s24, s47, s24
	s_ashr_i32 s45, s24, 6
	v_readfirstlane_b32 s26, v1
	s_mul_i32 s25, s25, s26
	s_mul_hi_u32 s25, s26, s25
	s_add_i32 s26, s26, s25
	s_mul_hi_u32 s25, s28, s26
	s_mul_i32 s26, s25, s3
	s_ashr_i32 s24, s14, 31
	s_sub_i32 s26, s28, s26
	s_xor_b32 s24, s29, s24
	s_add_i32 s27, s25, 1
	s_sub_i32 s28, s26, s3
	s_cmp_ge_u32 s26, s3
	s_cselect_b32 s25, s27, s25
	s_cselect_b32 s26, s28, s26
	s_add_i32 s27, s25, 1
	s_cmp_ge_u32 s26, s3
	s_cselect_b32 s3, s27, s25
	s_xor_b32 s3, s3, s24
	s_sub_i32 s3, s3, s24
	s_abs_i32 s24, s3
	v_cvt_f32_u32_e32 v1, s24
	s_sub_i32 s23, 0, s24
	s_abs_i32 s22, s33
	s_xor_b32 s3, s33, s3
	v_rcp_iflag_f32_e32 v1, v1
	s_ashr_i32 s3, s3, 31
	s_load_dwordx2 s[28:29], s[0:1], 0x80
	s_mul_hi_i32 s48, s33, s12
	v_mul_f32_e32 v1, 0x4f7ffffe, v1
	v_cvt_u32_f32_e32 v1, v1
	s_mul_i32 s49, s33, s12
	v_lshrrev_b32_e32 v88, 3, v84
	v_lshlrev_b32_e32 v87, 3, v0
	v_readfirstlane_b32 s25, v1
	s_mul_i32 s23, s23, s25
	s_mul_hi_u32 s23, s25, s23
	s_add_i32 s25, s25, s23
	s_mul_hi_u32 s23, s22, s25
	s_mul_i32 s25, s23, s24
	s_sub_i32 s22, s22, s25
	s_add_i32 s25, s23, 1
	s_sub_i32 s26, s22, s24
	s_cmp_ge_u32 s22, s24
	s_cselect_b32 s23, s25, s23
	s_cselect_b32 s22, s26, s22
	s_add_i32 s25, s23, 1
	s_cmp_ge_u32 s22, s24
	s_cselect_b32 s22, s25, s23
	s_xor_b32 s22, s22, s3
	v_lshlrev_b32_e32 v1, 4, v85
	s_sub_i32 s50, s22, s3
	v_or_b32_e32 v89, v2, v1
	s_lshl_b32 s30, s2, 6
	v_or_b32_e32 v90, 64, v89
	s_cmp_lt_i32 s47, 64
	s_mul_i32 s42, s20, s17
	s_mul_hi_u32 s43, s20, s16
	s_mul_i32 s44, s21, s16
	s_mul_i32 s16, s20, s16
	v_mov_b32_e32 v46, v47
	v_mov_b32_e32 v53, v47
	;; [unrolled: 1-line block ×31, first 2 shown]
	s_cbranch_scc1 .LBB152_18
; %bb.1:
	s_ashr_i32 s53, s33, 31
	s_ashr_i32 s3, s34, 31
	s_add_u32 s2, s49, s34
	s_addc_u32 s3, s48, s3
	s_lshl_b64 s[2:3], s[2:3], 8
	v_and_b32_e32 v92, 56, v87
	s_add_u32 s20, s6, s2
	v_lshl_or_b32 v91, v85, 3, v88
	v_lshlrev_b32_e32 v3, 1, v92
	s_addc_u32 s2, s7, s3
	v_lshl_or_b32 v93, v91, 8, v3
	s_and_b32 s21, s2, 0xffff
	s_mov_b32 s23, 0x20000
	s_movk_i32 s22, 0x4000
	s_movk_i32 s2, 0x80
	v_or_b32_e32 v94, 0x2000, v93
	buffer_load_dwordx4 v[4:7], v93, s[20:23], 0 offen
	buffer_load_dwordx4 v[8:11], v93, s[20:23], s2 offen
	;; [unrolled: 1-line block ×4, first 2 shown]
	v_lshlrev_b32_e32 v20, 3, v91
	v_and_or_b32 v22, v0, 7, v20
	v_and_b32_e32 v20, 0x78, v20
	v_lshlrev_b32_e32 v22, 4, v22
	v_xor_b32_e32 v95, v22, v20
	v_mul_lo_u32 v21, v91, s15
	v_or_b32_e32 v96, 0x1000, v95
	s_cmpk_eq_i32 s15, 0x80
	s_mov_b32 s51, s13
	s_mov_b32 s52, s34
	v_xor_b32_e32 v20, 8, v95
	v_xor_b32_e32 v22, 8, v96
	s_cselect_b64 s[2:3], -1, 0
	s_cmpk_lg_i32 s15, 0x80
	s_waitcnt vmcnt(3)
	ds_write_b64 v95, v[4:5] offset:49152
	ds_write_b64 v20, v[6:7] offset:49152
	s_waitcnt vmcnt(2)
	ds_write_b64 v95, v[8:9] offset:57344
	ds_write_b64 v20, v[10:11] offset:57344
	;; [unrolled: 3-line block ×4, first 2 shown]
	v_lshl_add_u32 v4, v21, 1, v92
	s_cbranch_scc0 .LBB152_3
; %bb.2:
	v_lshlrev_b32_e32 v6, 1, v4
	v_add_lshl_u32 v5, v4, s15, 1
	s_lshl_b32 s22, s15, 7
	s_load_dwordx2 s[38:39], s[0:1], 0x20
	v_lshl_or_b32 v3, v91, 9, v3
	s_cbranch_execz .LBB152_4
	s_branch .LBB152_5
.LBB152_3:
                                        ; implicit-def: $vgpr5
                                        ; implicit-def: $vgpr6
                                        ; implicit-def: $sgpr22
	s_load_dwordx2 s[38:39], s[0:1], 0x20
	v_lshl_or_b32 v3, v91, 9, v3
.LBB152_4:
	v_or_b32_e32 v5, 0x100, v3
	s_movk_i32 s22, 0x4000
	v_mov_b32_e32 v6, v3
.LBB152_5:
	s_mul_i32 s0, s34, s14
	s_ashr_i32 s54, s50, 31
	s_mul_hi_i32 s1, s34, s14
	s_add_u32 s0, s0, s50
	s_addc_u32 s1, s1, s54
	s_lshl_b64 s[0:1], s[0:1], 8
	s_add_u32 s20, s4, s0
	s_addc_u32 s0, s5, s1
	s_and_b32 s21, s0, 0xffff
	s_movk_i32 s55, 0x80
	buffer_load_dwordx4 v[8:11], v6, s[20:23], 0 offen
	buffer_load_dwordx4 v[12:15], v6, s[20:23], s55 offen
	;; [unrolled: 1-line block ×4, first 2 shown]
	v_and_b32_e32 v5, 6, v0
	v_lshlrev_b32_e32 v6, 7, v89
	v_xor_b32_e32 v28, v91, v5
	v_and_b32_e32 v7, 1, v0
	v_lshl_or_b32 v31, v45, 3, v6
	v_lshlrev_b32_e32 v28, 2, v28
	v_lshlrev_b32_e32 v24, 2, v45
	v_or_b32_e32 v97, 0x4000, v31
	v_or_b32_e32 v98, 0x6000, v31
	v_xor_b32_e32 v31, 0x440, v28
	v_cmp_eq_u32_e32 vcc, 0, v7
	v_or_b32_e32 v26, 16, v45
	v_or_b32_e32 v27, 32, v45
	v_xor_b32_e32 v29, v89, v24
	v_xor_b32_e32 v30, v90, v24
	v_cndmask_b32_e32 v7, v31, v28, vcc
	s_add_i32 s0, s43, s42
	s_mov_b32 s56, 0x1000504
	v_lshl_or_b32 v32, v26, 3, v6
	v_lshlrev_b32_e32 v26, 8, v26
	v_lshl_or_b32 v33, v27, 3, v6
	v_lshlrev_b32_e32 v29, 1, v29
	v_lshlrev_b32_e32 v30, 1, v30
	v_lshl_or_b32 v5, v5, 10, v7
	s_add_i32 s17, s0, s44
	s_mul_i32 s0, s33, s19
	s_mul_hi_u32 s1, s33, s18
	s_mov_b32 s57, 0x3020706
	v_lshlrev_b32_e32 v25, 8, v45
	v_or_b32_e32 v101, 0x4000, v33
	v_or_b32_e32 v102, 0x6000, v33
	;; [unrolled: 1-line block ×4, first 2 shown]
	v_xor_b32_e32 v7, 8, v5
	v_xor_b32_e32 v26, 24, v5
	;; [unrolled: 1-line block ×4, first 2 shown]
	s_add_i32 s0, s1, s0
	s_mul_i32 s1, s53, s18
	v_or_b32_e32 v99, 0x4000, v32
	v_or_b32_e32 v100, 0x6000, v32
	;; [unrolled: 1-line block ×4, first 2 shown]
	v_xor_b32_e32 v25, 16, v5
	v_xor_b32_e32 v28, 32, v5
	;; [unrolled: 1-line block ×3, first 2 shown]
	v_add_u32_e32 v7, 0x80, v7
	v_add_u32_e32 v26, 0x80, v26
	;; [unrolled: 1-line block ×4, first 2 shown]
	s_add_i32 s1, s0, s1
	s_lshl_b64 s[20:21], s[16:17], 2
	s_mul_i32 s0, s33, s18
	s_add_u32 s17, s10, s20
	s_addc_u32 s20, s11, s21
	s_lshl_b64 s[0:1], s[0:1], 2
	s_add_u32 s40, s17, s0
	s_movk_i32 s0, 0xf8
	s_addc_u32 s41, s20, s1
	s_ashr_i32 s31, s30, 31
	s_lshl_b32 s26, s15, 7
	v_mov_b32_e32 v79, 0
	s_movk_i32 s17, 0x100
	v_lshlrev_b32_e32 v78, 4, v45
	v_lshlrev_b32_e32 v27, 8, v27
	s_mov_b32 s59, 0
	s_movk_i32 s22, 0x4000
	v_or_b32_e32 v107, v27, v29
	v_or_b32_e32 v108, v27, v30
	v_add_u32_e32 v134, v1, v2
	s_movk_i32 s58, 0x3000
	v_mov_b32_e32 v70, v79
	v_mov_b32_e32 v71, v79
	;; [unrolled: 1-line block ×7, first 2 shown]
	s_waitcnt vmcnt(1)
	v_perm_b32 v34, v8, v16, s56
	s_waitcnt vmcnt(0)
	v_perm_b32 v35, v12, v20, s56
	v_perm_b32 v8, v8, v16, s57
	;; [unrolled: 1-line block ×15, first 2 shown]
	ds_write2st64_b32 v5, v34, v35 offset0:128 offset1:160
	ds_write2st64_b32 v7, v8, v12 offset0:128 offset1:160
	;; [unrolled: 1-line block ×8, first 2 shown]
	v_or_b32_e32 v5, 48, v45
	v_lshl_or_b32 v7, v5, 3, v6
	v_lshlrev_b32_e32 v5, 8, v5
	v_or_b32_e32 v111, v5, v29
	v_or_b32_e32 v112, v5, v30
	;; [unrolled: 1-line block ×3, first 2 shown]
	v_lshlrev_b32_e32 v5, 3, v5
	v_lshrrev_b32_e32 v9, 5, v84
	v_and_or_b32 v9, v5, s0, v9
	v_lshlrev_b32_e32 v9, 4, v9
	v_lshlrev_b32_e32 v11, 11, v85
	v_and_b32_e32 v5, 0x78, v5
	v_or_b32_e32 v14, 32, v9
	v_and_b32_e32 v8, 0x1000, v11
	v_xor_b32_e32 v10, v9, v5
	v_lshrrev_b32_e32 v12, 1, v84
	v_xor_b32_e32 v14, v14, v5
	v_or_b32_e32 v10, v10, v8
	v_and_b32_e32 v12, 8, v12
	v_or_b32_e32 v14, v14, v8
	v_xor_b32_e32 v113, v10, v12
	v_lshlrev_b32_e32 v10, 8, v86
	v_xor_b32_e32 v115, v14, v12
	v_or_b32_e32 v14, 64, v9
	v_or_b32_e32 v9, 0x60, v9
	;; [unrolled: 1-line block ×3, first 2 shown]
	v_xor_b32_e32 v14, v14, v5
	v_xor_b32_e32 v5, v9, v5
	v_lshlrev_b32_e32 v13, 1, v13
	v_or_b32_e32 v14, v14, v8
	v_or_b32_e32 v5, v5, v8
	s_lshl_b64 s[0:1], s[30:31], 8
	v_or_b32_e32 v114, 0x4000, v13
	v_or_b32_e32 v116, 0x4080, v13
	;; [unrolled: 1-line block ×4, first 2 shown]
	v_xor_b32_e32 v119, v14, v12
	v_xor_b32_e32 v120, v5, v12
	v_or_b32_e32 v121, 0x6000, v13
	v_or_b32_e32 v122, 0x6080, v13
	;; [unrolled: 1-line block ×4, first 2 shown]
	v_lshlrev_b32_e32 v12, 1, v4
	v_add_lshl_u32 v13, v4, s15, 1
	s_add_u32 s0, s36, s0
	v_lshlrev_b32_e32 v4, 1, v45
	v_lshrrev_b32_e32 v15, 4, v0
	s_addc_u32 s1, s37, s1
	v_or_b32_e32 v5, 1, v4
	v_lshlrev_b32_e32 v18, 2, v0
	v_or_b32_e32 v14, 0x100, v3
	v_xor_b32_e32 v16, v15, v4
	v_xor_b32_e32 v17, v5, v15
	v_lshl_add_u64 v[4:5], s[0:1], 0, v[78:79]
	v_lshlrev_b32_e32 v78, 8, v15
	v_lshrrev_b32_e32 v19, 1, v0
	v_and_or_b32 v10, v18, 60, v10
	v_cndmask_b32_e64 v131, v12, v3, s[2:3]
	v_mov_b32_e32 v3, 0xa000
	v_mov_b32_e32 v12, 0x8000
	v_cmp_gt_u32_e64 s[0:1], s17, v0
	v_lshl_or_b32 v125, v16, 3, v78
	v_and_b32_e32 v16, 8, v0
	v_and_b32_e32 v19, 24, v19
	v_lshlrev_b32_e32 v10, 1, v10
	v_cndmask_b32_e64 v3, v3, v12, s[0:1]
	v_lshlrev_b32_e32 v12, 3, v85
	v_or_b32_e32 v127, 0x6000, v10
	v_or_b32_e32 v128, 0x6080, v10
	;; [unrolled: 1-line block ×4, first 2 shown]
	v_mov_b32_e32 v10, 0x400
	v_cmp_eq_u32_e32 vcc, 0, v16
	v_cndmask_b32_e64 v132, v13, v14, s[2:3]
	v_xor_b32_e32 v13, v12, v19
	v_and_b32_e32 v15, 7, v0
	v_cndmask_b32_e64 v16, v10, 64, vcc
	v_or_b32_e32 v14, 0x440, v13
	v_lshl_or_b32 v126, v17, 3, v78
	v_lshlrev_b32_e32 v17, 3, v15
	v_or_b32_e32 v18, 32, v19
	v_or_b32_e32 v20, 0x60, v19
	v_cndmask_b32_e32 v14, v14, v13, vcc
	v_or3_b32 v13, v11, v16, v13
	v_lshlrev_b32_e32 v15, 7, v15
	v_xor_b32_e32 v18, v12, v18
	v_xor_b32_e32 v13, v13, v17
	;; [unrolled: 1-line block ×3, first 2 shown]
	v_or_b32_e32 v21, 0x440, v18
	v_or_b32_e32 v133, v13, v15
	v_xor_b32_e32 v13, 0x440, v12
	v_cndmask_b32_e32 v18, v21, v18, vcc
	v_cndmask_b32_e32 v12, v13, v12, vcc
	v_or_b32_e32 v109, 0x4000, v7
	v_or_b32_e32 v110, 0x6000, v7
	v_lshrrev_b32_e32 v7, 2, v84
	v_or_b32_e32 v14, v14, v11
	v_or_b32_e32 v18, v18, v11
	;; [unrolled: 1-line block ×3, first 2 shown]
	v_and_b32_e32 v7, 12, v7
	v_or_b32_e32 v8, s30, v45
	v_xor_b32_e32 v14, v14, v17
	v_xor_b32_e32 v18, v18, v17
	;; [unrolled: 1-line block ×3, first 2 shown]
	v_ashrrev_i32_e32 v9, 31, v8
	v_or_b32_e32 v10, v1, v7
	v_add_u32_e32 v19, v3, v14
	v_add_u32_e32 v21, v3, v18
	;; [unrolled: 1-line block ×3, first 2 shown]
	v_or3_b32 v12, v1, v7, 64
	v_add_u32_e32 v7, 0xa000, v14
	v_add_u32_e32 v14, 0xa000, v18
	;; [unrolled: 1-line block ×3, first 2 shown]
	v_lshl_add_u64 v[80:81], v[8:9], 1, s[8:9]
	v_lshl_add_u64 v[82:83], v[4:5], 0, v[78:79]
	s_mov_b32 s17, 0x7060302
	v_lshlrev_b32_e32 v78, 1, v6
	s_movk_i32 s31, 0x2000
	v_lshlrev_b32_e32 v135, 2, v10
	v_add_u32_e32 v136, v19, v15
	v_add_u32_e32 v137, v21, v15
	;; [unrolled: 1-line block ×4, first 2 shown]
	v_lshlrev_b32_e32 v140, 2, v12
	v_add_u32_e32 v141, v7, v15
	v_add_u32_e32 v142, v14, v15
	;; [unrolled: 1-line block ×3, first 2 shown]
	v_mov_b32_e32 v77, v79
	v_mov_b32_e32 v62, v79
	;; [unrolled: 1-line block ×25, first 2 shown]
	s_waitcnt lgkmcnt(0)
	s_barrier
.LBB152_6:                              ; =>This Inner Loop Header: Depth=1
	s_add_i32 s60, s59, 1
	s_cmp_lt_i32 s60, s45
	s_mov_b64 s[24:25], 0
	s_cselect_b64 s[2:3], -1, 0
	s_cmp_ge_i32 s60, s45
	s_mov_b64 s[20:21], 0
	s_cbranch_scc1 .LBB152_8
; %bb.7:                                ;   in Loop: Header=BB152_6 Depth=1
	s_add_i32 s0, s52, 64
	s_ashr_i32 s1, s0, 31
	s_add_u32 s0, s49, s0
	s_addc_u32 s1, s48, s1
	s_lshl_b64 s[0:1], s[0:1], 8
	s_add_u32 s20, s6, s0
	s_addc_u32 s21, s7, s1
.LBB152_8:                              ;   in Loop: Header=BB152_6 Depth=1
	v_cndmask_b32_e64 v2, 0, 1, s[2:3]
	v_cmp_ne_u32_e64 s[0:1], 1, v2
	s_andn2_b64 vcc, exec, s[2:3]
	s_cbranch_vccnz .LBB152_10
; %bb.9:                                ;   in Loop: Header=BB152_6 Depth=1
	s_add_i32 s2, s52, 64
	s_mul_hi_i32 s3, s2, s14
	s_mul_i32 s2, s2, s14
	s_add_u32 s2, s2, s50
	s_addc_u32 s3, s3, s54
	s_lshl_b64 s[2:3], s[2:3], 8
	s_add_u32 s24, s4, s2
	s_addc_u32 s25, s5, s3
.LBB152_10:                             ;   in Loop: Header=BB152_6 Depth=1
	v_perm_b32 v3, v77, v76, s17
	v_perm_b32 v2, v75, v74, s17
	v_perm_b32 v5, v73, v72, s17
	v_perm_b32 v4, v71, v70, s17
	ds_write_b64 v97, v[2:3]
	ds_write_b64 v98, v[4:5]
	ds_write_b64 v103, v[2:3]
	ds_write_b64 v104, v[4:5]
	v_perm_b32 v3, v69, v68, s17
	v_perm_b32 v2, v67, v66, s17
	v_perm_b32 v5, v65, v64, s17
	v_perm_b32 v4, v63, v62, s17
	ds_write_b64 v99, v[2:3]
	ds_write_b64 v100, v[4:5]
	ds_write_b64 v105, v[2:3]
	ds_write_b64 v106, v[4:5]
	;; [unrolled: 8-line block ×4, first 2 shown]
	s_waitcnt lgkmcnt(0)
	s_barrier
	ds_read_b64 v[6:7], v113 offset:49152
	ds_read2_b64 v[2:5], v114 offset1:16
	ds_read_b64 v[18:19], v116 offset:6144
	ds_read_b64 v[20:21], v114 offset:6144
	s_waitcnt lgkmcnt(2)
	v_mfma_f32_16x16x16_bf16 a[0:3], v[6:7], v[2:3], 0
	ds_read_b64 v[22:23], v115 offset:49152
	ds_read2st64_b64 v[10:13], v117 offset0:4 offset1:8
	ds_read2st64_b64 v[14:17], v118 offset0:4 offset1:8
	v_mfma_f32_16x16x16_bf16 a[4:7], v[6:7], v[4:5], 0
	ds_read2_b64 v[2:5], v114 offset0:32 offset1:48
	s_add_i32 s61, s52, 63
	s_ashr_i32 s2, s61, 31
	s_waitcnt lgkmcnt(0)
	v_mfma_f32_16x16x16_bf16 a[8:11], v[6:7], v[2:3], 0
	s_mul_i32 s3, s61, s29
	s_mul_hi_u32 s27, s61, s28
	s_add_i32 s3, s27, s3
	v_mfma_f32_16x16x16_bf16 a[12:15], v[6:7], v[4:5], 0
	ds_read2st64_b64 v[2:5], v114 offset0:4 offset1:8
	ds_read2st64_b64 v[6:9], v116 offset0:4 offset1:8
	s_mul_i32 s2, s2, s28
	s_waitcnt lgkmcnt(1)
	v_mfma_f32_16x16x16_bf16 a[0:3], v[22:23], v[2:3], a[0:3]
	s_add_i32 s3, s3, s2
	s_mul_i32 s2, s61, s28
	s_lshl_b64 s[2:3], s[2:3], 2
	s_waitcnt lgkmcnt(0)
	v_mfma_f32_16x16x16_bf16 a[4:7], v[22:23], v[6:7], a[4:7]
	s_add_u32 s2, s40, s2
	s_addc_u32 s3, s41, s3
	s_and_b64 vcc, exec, s[0:1]
	v_mfma_f32_16x16x16_bf16 a[8:11], v[22:23], v[10:11], a[8:11]
	ds_read_b64 v[2:3], v119 offset:49152
	ds_read_b64 v[6:7], v120 offset:49152
	;; [unrolled: 1-line block ×3, first 2 shown]
	v_mov_b32_e32 v146, 0
	v_mov_b32_e32 v145, 0
	v_mfma_f32_16x16x16_bf16 a[12:15], v[22:23], v[14:15], a[12:15]
	v_mov_b32_e32 v144, 0
	v_mov_b32_e32 v14, 0
	;; [unrolled: 1-line block ×3, first 2 shown]
	s_waitcnt lgkmcnt(2)
	v_mfma_f32_16x16x16_bf16 a[0:3], v[2:3], v[4:5], a[0:3]
	v_mov_b32_e32 v4, 0
	v_mov_b32_e32 v5, 0
	v_mfma_f32_16x16x16_bf16 a[16:19], v[2:3], v[8:9], a[4:7]
	v_mov_b32_e32 v8, 0
	v_mov_b32_e32 v9, 0
	;; [unrolled: 3-line block ×3, first 2 shown]
	v_mfma_f32_16x16x16_bf16 a[24:27], v[2:3], v[16:17], a[12:15]
	ds_read_b64 v[2:3], v117 offset:6144
	v_mov_b32_e32 v16, 0
	v_mov_b32_e32 v17, 0
	s_waitcnt lgkmcnt(2)
	v_mfma_f32_16x16x16_bf16 a[4:7], v[6:7], v[20:21], a[0:3]
	v_mfma_f32_16x16x16_bf16 a[8:11], v[6:7], v[18:19], a[16:19]
	s_waitcnt lgkmcnt(0)
	v_mfma_f32_16x16x16_bf16 a[12:15], v[6:7], v[2:3], a[20:23]
	v_mov_b32_e32 v2, 0
	v_mov_b32_e32 v3, 0
	v_mfma_f32_16x16x16_bf16 a[0:3], v[6:7], v[10:11], a[24:27]
	v_mov_b32_e32 v6, 0
	v_mov_b32_e32 v7, 0
	;; [unrolled: 1-line block ×4, first 2 shown]
	s_cbranch_vccnz .LBB152_12
; %bb.11:                               ;   in Loop: Header=BB152_6 Depth=1
	s_and_b32 s21, s21, 0xffff
	buffer_load_dwordx4 v[14:17], v93, s[20:23], 0 offen
	buffer_load_dwordx4 v[10:13], v93, s[20:23], s55 offen
	;; [unrolled: 1-line block ×4, first 2 shown]
	v_mov_b32_e32 v145, v95
	v_mov_b32_e32 v144, v96
.LBB152_12:                             ;   in Loop: Header=BB152_6 Depth=1
	ds_read_b64 v[34:35], v113 offset:57344
	ds_read2_b64 v[18:21], v121 offset1:16
	ds_read_b64 v[36:37], v115 offset:57344
	ds_read_b64 v[38:39], v119 offset:57344
	;; [unrolled: 1-line block ×3, first 2 shown]
	v_add_u32_e32 v42, s52, v134
	s_waitcnt lgkmcnt(3)
	v_mfma_f32_16x16x16_bf16 a[4:7], v[34:35], v[18:19], a[4:7]
	v_mfma_f32_16x16x16_bf16 a[8:11], v[34:35], v[20:21], a[8:11]
	ds_read2_b64 v[18:21], v121 offset0:32 offset1:48
	ds_read2st64_b64 v[22:25], v121 offset0:4 offset1:8
	ds_read2st64_b64 v[26:29], v122 offset0:4 offset1:8
	;; [unrolled: 1-line block ×3, first 2 shown]
	s_waitcnt lgkmcnt(3)
	v_mfma_f32_16x16x16_bf16 a[12:15], v[34:35], v[18:19], a[12:15]
	v_ashrrev_i32_e32 v18, 31, v42
	v_mfma_f32_16x16x16_bf16 a[0:3], v[34:35], v[20:21], a[0:3]
	v_mul_lo_u32 v20, v18, s28
	v_mul_lo_u32 v21, v42, s29
	v_mad_u64_u32 v[18:19], s[20:21], v42, s28, 0
	v_add3_u32 v19, v19, v21, v20
	v_add_u32_e32 v20, 1, v42
	v_ashrrev_i32_e32 v21, 31, v20
	s_waitcnt lgkmcnt(2)
	v_mfma_f32_16x16x16_bf16 a[4:7], v[36:37], v[22:23], a[4:7]
	v_mul_lo_u32 v22, v21, s28
	v_mul_lo_u32 v23, v20, s29
	v_mad_u64_u32 v[20:21], s[20:21], v20, s28, 0
	v_add3_u32 v21, v21, v23, v22
	v_add_u32_e32 v22, 2, v42
	v_ashrrev_i32_e32 v23, 31, v22
	s_waitcnt lgkmcnt(1)
	v_mfma_f32_16x16x16_bf16 a[8:11], v[36:37], v[26:27], a[8:11]
	v_mul_lo_u32 v26, v23, s28
	v_mul_lo_u32 v27, v22, s29
	v_mad_u64_u32 v[22:23], s[20:21], v22, s28, 0
	v_add3_u32 v23, v23, v27, v26
	v_add_u32_e32 v26, 3, v42
	v_ashrrev_i32_e32 v27, 31, v26
	v_mul_lo_u32 v34, v27, s28
	v_mul_lo_u32 v35, v26, s29
	v_mad_u64_u32 v[26:27], s[20:21], v26, s28, 0
	s_ashr_i32 s21, s52, 31
	s_add_u32 s20, s49, s52
	s_addc_u32 s21, s48, s21
	v_lshl_add_u64 v[18:19], v[18:19], 2, s[40:41]
	v_add3_u32 v27, v27, v35, v34
	s_lshl_b64 s[20:21], s[20:21], 8
	v_lshl_add_u64 v[20:21], v[20:21], 2, s[40:41]
	v_lshl_add_u64 v[22:23], v[22:23], 2, s[40:41]
	;; [unrolled: 1-line block ×3, first 2 shown]
	global_load_dword v34, v[18:19], off
	global_load_dword v35, v[20:21], off
	;; [unrolled: 1-line block ×4, first 2 shown]
	v_lshl_add_u64 v[18:19], v[80:81], 0, s[20:21]
	v_lshl_add_u64 v[22:23], v[18:19], 0, v[78:79]
	global_load_ushort v44, v[22:23], off offset:256
	global_load_ushort v147, v[22:23], off
	ds_read2st64_b64 v[18:21], v124 offset0:4 offset1:8
	global_load_ushort v148, v[22:23], off offset:768
	global_load_ushort v149, v[22:23], off offset:512
	s_waitcnt lgkmcnt(1)
	v_mfma_f32_16x16x16_bf16 a[12:15], v[36:37], v[30:31], a[12:15]
	s_and_b64 vcc, exec, s[0:1]
	s_waitcnt vmcnt(3)
	v_lshlrev_b32_e32 v31, 16, v44
	s_waitcnt lgkmcnt(0)
	v_mfma_f32_16x16x16_bf16 a[0:3], v[36:37], v[18:19], a[0:3]
	global_load_ushort v36, v[22:23], off offset:288
	global_load_ushort v37, v[22:23], off offset:32
	;; [unrolled: 1-line block ×8, first 2 shown]
	v_mfma_f32_16x16x16_bf16 a[4:7], v[38:39], v[24:25], a[4:7]
	ds_read_b64 v[18:19], v121 offset:6144
	s_waitcnt vmcnt(10)
	v_lshlrev_b32_e32 v30, 16, v147
	v_mov_b32_e32 v147, 0
	v_mfma_f32_16x16x16_bf16 a[8:11], v[38:39], v[28:29], a[8:11]
	v_mfma_f32_16x16x16_bf16 a[12:15], v[38:39], v[32:33], a[12:15]
	;; [unrolled: 1-line block ×3, first 2 shown]
	global_load_ushort v38, v[22:23], off offset:352
	global_load_ushort v39, v[22:23], off offset:96
	ds_read_b64 v[20:21], v122 offset:6144
	ds_read_b64 v[24:25], v123 offset:6144
	;; [unrolled: 1-line block ×3, first 2 shown]
	global_load_ushort v156, v[22:23], off offset:864
	global_load_ushort v157, v[22:23], off offset:608
	s_load_dword s2, s[2:3], 0x0
	s_waitcnt lgkmcnt(0)
	v_mfma_f32_16x16x16_bf16 a[4:7], v[40:41], v[18:19], a[4:7]
	v_sub_f32_e32 v28, s2, v42
	v_mfma_f32_16x16x16_bf16 a[0:3], v[40:41], v[26:27], a[0:3]
	v_sub_f32_e32 v26, s2, v34
	v_sub_f32_e32 v27, s2, v35
	;; [unrolled: 1-line block ×3, first 2 shown]
	v_mfma_f32_16x16x16_bf16 a[8:11], v[40:41], v[20:21], a[8:11]
	v_exp_f32_e32 v26, v26
	v_exp_f32_e32 v27, v27
	;; [unrolled: 1-line block ×4, first 2 shown]
	v_accvgpr_read_b32 v33, a5
	v_accvgpr_read_b32 v32, a4
	;; [unrolled: 1-line block ×4, first 2 shown]
	v_pk_add_f32 v[30:31], v[30:31], v[32:33] neg_lo:[0,1] neg_hi:[0,1]
	s_waitcnt vmcnt(13)
	v_lshlrev_b32_e32 v33, 16, v148
	s_waitcnt vmcnt(12)
	v_lshlrev_b32_e32 v32, 16, v149
	v_pk_add_f32 v[18:19], v[32:33], v[18:19] neg_lo:[0,1] neg_hi:[0,1]
	v_pk_mul_f32 v[30:31], v[26:27], v[30:31]
	v_pk_mul_f32 v[18:19], v[28:29], v[18:19]
	v_accvgpr_read_b32 v33, a9
	v_perm_b32 v19, v19, v18, s17
	v_perm_b32 v18, v31, v30, s17
	v_accvgpr_read_b32 v32, a8
	v_accvgpr_read_b32 v21, a11
	v_mfma_f32_16x16x16_bf16 a[12:15], v[40:41], v[24:25], a[12:15]
	v_accvgpr_read_b32 v20, a10
	v_accvgpr_read_b32 v25, a3
	;; [unrolled: 1-line block ×3, first 2 shown]
	s_waitcnt vmcnt(11)
	v_lshlrev_b32_e32 v31, 16, v36
	s_waitcnt vmcnt(10)
	v_lshlrev_b32_e32 v30, 16, v37
	v_pk_add_f32 v[30:31], v[30:31], v[32:33] neg_lo:[0,1] neg_hi:[0,1]
	s_waitcnt vmcnt(9)
	v_lshlrev_b32_e32 v33, 16, v150
	s_waitcnt vmcnt(8)
	v_lshlrev_b32_e32 v32, 16, v151
	v_pk_add_f32 v[20:21], v[32:33], v[20:21] neg_lo:[0,1] neg_hi:[0,1]
	v_pk_mul_f32 v[30:31], v[26:27], v[30:31]
	v_pk_mul_f32 v[20:21], v[28:29], v[20:21]
	v_accvgpr_read_b32 v23, a15
	v_perm_b32 v21, v21, v20, s17
	v_perm_b32 v20, v31, v30, s17
	ds_write2_b64 v98, v[18:19], v[20:21] offset1:16
	v_accvgpr_read_b32 v21, a13
	s_waitcnt vmcnt(7)
	v_lshlrev_b32_e32 v19, 16, v152
	s_waitcnt vmcnt(6)
	v_lshlrev_b32_e32 v18, 16, v153
	v_accvgpr_read_b32 v20, a12
	v_accvgpr_read_b32 v22, a14
	v_pk_add_f32 v[18:19], v[18:19], v[20:21] neg_lo:[0,1] neg_hi:[0,1]
	s_waitcnt vmcnt(5)
	v_lshlrev_b32_e32 v21, 16, v154
	s_waitcnt vmcnt(4)
	v_lshlrev_b32_e32 v20, 16, v155
	v_pk_add_f32 v[20:21], v[20:21], v[22:23] neg_lo:[0,1] neg_hi:[0,1]
	v_pk_mul_f32 v[18:19], v[26:27], v[18:19]
	v_pk_mul_f32 v[20:21], v[28:29], v[20:21]
	v_accvgpr_read_b32 v23, a1
	v_perm_b32 v21, v21, v20, s17
	v_perm_b32 v20, v19, v18, s17
	s_waitcnt vmcnt(3)
	v_lshlrev_b32_e32 v19, 16, v38
	s_waitcnt vmcnt(2)
	v_lshlrev_b32_e32 v18, 16, v39
	v_accvgpr_read_b32 v22, a0
	v_pk_add_f32 v[18:19], v[18:19], v[22:23] neg_lo:[0,1] neg_hi:[0,1]
	s_waitcnt vmcnt(1)
	v_lshlrev_b32_e32 v23, 16, v156
	s_waitcnt vmcnt(0)
	v_lshlrev_b32_e32 v22, 16, v157
	v_pk_add_f32 v[22:23], v[22:23], v[24:25] neg_lo:[0,1] neg_hi:[0,1]
	v_pk_mul_f32 v[18:19], v[26:27], v[18:19]
	v_pk_mul_f32 v[22:23], v[28:29], v[22:23]
	v_mov_b32_e32 v24, 0
	v_perm_b32 v23, v23, v22, s17
	v_perm_b32 v22, v19, v18, s17
	ds_write2_b64 v98, v[20:21], v[22:23] offset0:32 offset1:48
	v_mov_b32_e32 v18, 0
	v_mov_b32_e32 v19, 0
	;; [unrolled: 1-line block ×15, first 2 shown]
	s_cbranch_vccnz .LBB152_14
; %bb.13:                               ;   in Loop: Header=BB152_6 Depth=1
	s_and_b32 s25, s25, 0xffff
	s_mov_b32 s27, s23
	buffer_load_dwordx4 v[30:33], v131, s[24:27], 0 offen
	buffer_load_dwordx4 v[22:25], v131, s[24:27], s55 offen
	;; [unrolled: 1-line block ×4, first 2 shown]
	v_mov_b32_e32 v146, v92
	v_mov_b32_e32 v147, v91
.LBB152_14:                             ;   in Loop: Header=BB152_6 Depth=1
	s_waitcnt lgkmcnt(0)
	s_barrier
	ds_read_b64 v[42:43], v136
	ds_read2_b64 v[34:37], v127 offset1:16
	ds_read_b64 v[164:165], v137
	ds_read_b64 v[166:167], v138
	;; [unrolled: 1-line block ×3, first 2 shown]
	ds_read2_b64 v[38:41], v127 offset0:32 offset1:48
	ds_read2st64_b64 v[148:151], v127 offset0:4 offset1:8
	ds_read2st64_b64 v[152:155], v128 offset0:4 offset1:8
	;; [unrolled: 1-line block ×4, first 2 shown]
	s_waitcnt lgkmcnt(8)
	v_mfma_f32_16x16x16_bf16 a[0:3], v[42:43], v[34:35], 0
	s_add_i32 s3, s46, s59
	s_mul_hi_i32 s21, s3, s51
	s_mul_i32 s3, s3, s51
	v_mfma_f32_16x16x16_bf16 a[4:7], v[42:43], v[36:37], 0
	s_add_u32 s20, s3, s33
	s_addc_u32 s21, s21, s53
	s_lshl_b64 s[20:21], s[20:21], 15
	s_waitcnt lgkmcnt(4)
	v_mfma_f32_16x16x16_bf16 a[8:11], v[42:43], v[38:39], 0
	s_mul_i32 s24, s61, s51
	s_mul_hi_i32 s3, s61, s51
	s_add_u32 s24, s24, s33
	v_mfma_f32_16x16x16_bf16 a[12:15], v[42:43], v[40:41], 0
	ds_read_b64 v[42:43], v127 offset:6144
	ds_read_b64 v[176:177], v128 offset:6144
	;; [unrolled: 1-line block ×4, first 2 shown]
	s_addc_u32 s25, s3, s53
	s_waitcnt lgkmcnt(7)
	v_mfma_f32_16x16x16_bf16 a[0:3], v[164:165], v[148:149], a[0:3]
	s_lshl_b64 s[24:25], s[24:25], 9
	s_add_u32 s24, s38, s24
	s_addc_u32 s25, s39, s25
	s_waitcnt lgkmcnt(6)
	v_mfma_f32_16x16x16_bf16 a[4:7], v[164:165], v[152:153], a[4:7]
	v_lshl_add_u64 v[186:187], v[82:83], 0, s[20:21]
	s_waitcnt lgkmcnt(5)
	v_mfma_f32_16x16x16_bf16 a[8:11], v[164:165], v[156:157], a[8:11]
	s_waitcnt lgkmcnt(4)
	v_mfma_f32_16x16x16_bf16 a[12:15], v[164:165], v[160:161], a[12:15]
	ds_read_b64 v[164:165], v141
	ds_read_b64 v[174:175], v142
	;; [unrolled: 1-line block ×3, first 2 shown]
	s_waitcnt lgkmcnt(2)
	v_mfma_f32_16x16x16_bf16 a[16:19], v[164:165], v[34:35], 0
	v_mfma_f32_16x16x16_bf16 a[20:23], v[164:165], v[36:37], 0
	global_load_dwordx4 v[34:37], v140, s[24:25]
	v_mfma_f32_16x16x16_bf16 a[24:27], v[164:165], v[38:39], 0
	v_mfma_f32_16x16x16_bf16 a[28:31], v[164:165], v[40:41], 0
	global_load_dwordx4 v[38:41], v135, s[24:25]
	v_mfma_f32_16x16x16_bf16 a[0:3], v[166:167], v[150:151], a[0:3]
	v_mfma_f32_16x16x16_bf16 a[4:7], v[166:167], v[154:155], a[4:7]
	;; [unrolled: 1-line block ×8, first 2 shown]
	ds_read2st64_b64 v[164:167], v125 offset1:8
	ds_read2st64_b64 v[168:171], v126 offset1:8
	ds_read_b64 v[184:185], v133 offset:40960
	s_waitcnt lgkmcnt(2)
	v_mov_b32_e32 v172, v164
	v_mfma_f32_16x16x16_bf16 a[16:19], v[174:175], v[148:149], a[16:19]
	v_mov_b32_e32 v173, v165
	v_mfma_f32_16x16x16_bf16 a[20:23], v[174:175], v[152:153], a[20:23]
	v_mfma_f32_16x16x16_bf16 a[24:27], v[174:175], v[156:157], a[24:27]
	;; [unrolled: 1-line block ×3, first 2 shown]
	v_add_co_u32_e32 v160, vcc, s31, v186
	s_waitcnt lgkmcnt(1)
	v_mov_b32_e32 v174, v168
	s_waitcnt lgkmcnt(0)
	v_mfma_f32_16x16x16_bf16 a[16:19], v[184:185], v[150:151], a[16:19]
	ds_read2st64_b64 v[148:151], v125 offset0:16 offset1:24
	v_addc_co_u32_e32 v161, vcc, 0, v187, vcc
	v_mfma_f32_16x16x16_bf16 a[20:23], v[184:185], v[154:155], a[20:23]
	ds_read2st64_b64 v[152:155], v126 offset0:16 offset1:24
	v_mov_b32_e32 v175, v169
	v_mov_b32_e32 v168, v166
	v_mfma_f32_16x16x16_bf16 a[32:35], v[184:185], v[158:159], a[24:27]
	v_mov_b32_e32 v169, v167
	s_waitcnt lgkmcnt(0)
	v_mov_b32_e32 v158, v152
	v_mov_b32_e32 v159, v153
	v_mfma_f32_16x16x16_bf16 a[36:39], v[184:185], v[162:163], a[28:31]
	v_mov_b32_e32 v152, v150
	v_mov_b32_e32 v153, v151
	;; [unrolled: 1-line block ×3, first 2 shown]
	v_mfma_f32_16x16x16_bf16 a[24:27], v[182:183], v[42:43], a[16:19]
	v_add_co_u32_e32 v42, vcc, s58, v186
	v_mov_b32_e32 v157, v149
	v_mfma_f32_16x16x16_bf16 a[28:31], v[182:183], v[176:177], a[20:23]
	v_addc_co_u32_e32 v43, vcc, 0, v187, vcc
	global_store_dwordx4 v[42:43], v[152:155], off
	v_mfma_f32_16x16x16_bf16 a[16:19], v[182:183], v[178:179], a[32:35]
	s_waitcnt vmcnt(2)
	v_mov_b32_e32 v44, v37
	v_mov_b32_e32 v43, v36
	;; [unrolled: 1-line block ×3, first 2 shown]
	v_mfma_f32_16x16x16_bf16 a[20:23], v[182:183], v[180:181], a[36:39]
	s_and_b64 vcc, exec, s[0:1]
	global_store_dwordx4 v[186:187], v[172:175], off
	global_store_dwordx4 v[160:161], v[168:171], off offset:-4096
	global_store_dwordx4 v[160:161], v[156:159], off
	s_cbranch_vccnz .LBB152_16
; %bb.15:                               ;   in Loop: Header=BB152_6 Depth=1
	v_lshrrev_b32_e32 v35, 3, v146
	v_and_b32_e32 v35, 6, v35
	v_xor_b32_e32 v36, v35, v147
	v_lshlrev_b32_e32 v36, 2, v36
	v_and_b32_e32 v37, 8, v146
	v_xor_b32_e32 v146, 0x440, v36
	v_cmp_eq_u32_e32 vcc, 0, v37
	v_perm_b32 v37, v22, v18, s56
	s_nop 0
	v_cndmask_b32_e32 v36, v146, v36, vcc
	v_lshl_or_b32 v35, v35, 10, v36
	v_perm_b32 v36, v30, v26, s56
	s_barrier
	ds_write2st64_b32 v35, v36, v37 offset0:128 offset1:160
	v_xor_b32_e32 v36, 8, v35
	v_perm_b32 v26, v30, v26, s57
	v_perm_b32 v18, v22, v18, s57
	v_add_u32_e32 v22, 0x80, v36
	ds_write2st64_b32 v22, v26, v18 offset0:128 offset1:160
	v_xor_b32_e32 v18, 16, v35
	v_perm_b32 v22, v31, v27, s56
	v_perm_b32 v26, v23, v19, s56
	ds_write2st64_b32 v18, v22, v26 offset0:129 offset1:161
	v_xor_b32_e32 v18, 24, v35
	v_perm_b32 v22, v31, v27, s57
	v_perm_b32 v19, v23, v19, s57
	v_add_u32_e32 v18, 0x80, v18
	ds_write2st64_b32 v18, v22, v19 offset0:129 offset1:161
	v_xor_b32_e32 v18, 32, v35
	v_perm_b32 v19, v32, v28, s56
	v_perm_b32 v22, v24, v20, s56
	;; [unrolled: 9-line block ×3, first 2 shown]
	ds_write2st64_b32 v18, v19, v20 offset0:131 offset1:163
	v_xor_b32_e32 v18, 56, v35
	v_perm_b32 v19, v33, v29, s57
	v_perm_b32 v20, v25, v21, s57
	v_add_u32_e32 v18, 0x80, v18
	ds_write2st64_b32 v18, v19, v20 offset0:131 offset1:163
	ds_write_b64 v145, v[14:15] offset:49152
	v_xor_b32_e32 v14, 8, v145
	ds_write_b64 v14, v[16:17] offset:49152
	ds_write_b64 v145, v[10:11] offset:57344
	;; [unrolled: 1-line block ×4, first 2 shown]
	v_xor_b32_e32 v6, 8, v144
	ds_write_b64 v6, v[8:9] offset:49152
	ds_write_b64 v144, v[2:3] offset:57344
	ds_write_b64 v6, v[4:5] offset:57344
.LBB152_16:                             ;   in Loop: Header=BB152_6 Depth=1
	v_exp_f32_e32 v36, s2
	s_waitcnt vmcnt(4)
	v_exp_f32_e32 v38, v38
	v_exp_f32_e32 v39, v39
	;; [unrolled: 1-line block ×4, first 2 shown]
	v_accvgpr_read_b32 v5, a3
	v_accvgpr_read_b32 v4, a2
	;; [unrolled: 1-line block ×4, first 2 shown]
	v_pk_mul_f32 v[38:39], v[36:37], v[38:39] op_sel_hi:[0,1]
	v_pk_mul_f32 v[40:41], v[36:37], v[40:41] op_sel_hi:[0,1]
	v_pk_fma_f32 v[74:75], v[74:75], v[38:39], v[2:3]
	v_pk_fma_f32 v[76:77], v[76:77], v[40:41], v[4:5]
	v_exp_f32_e32 v2, v34
	v_exp_f32_e32 v3, v42
	;; [unrolled: 1-line block ×4, first 2 shown]
	v_accvgpr_read_b32 v9, a7
	v_accvgpr_read_b32 v13, a11
	;; [unrolled: 1-line block ×28, first 2 shown]
	v_pk_mul_f32 v[2:3], v[36:37], v[2:3] op_sel_hi:[0,1]
	v_pk_mul_f32 v[4:5], v[36:37], v[4:5] op_sel_hi:[0,1]
	s_add_i32 s52, s52, 64
	v_pk_fma_f32 v[66:67], v[38:39], v[66:67], v[6:7]
	v_pk_fma_f32 v[68:69], v[40:41], v[68:69], v[8:9]
	;; [unrolled: 1-line block ×13, first 2 shown]
	s_cmp_eq_u32 s45, s60
	v_pk_fma_f32 v[50:51], v[4:5], v[50:51], v[32:33]
	s_cbranch_scc1 .LBB152_18
; %bb.17:                               ;   in Loop: Header=BB152_6 Depth=1
	s_mov_b32 s59, s60
	s_branch .LBB152_6
.LBB152_18:
	s_lshl_b32 s0, s45, 6
	s_sub_i32 s40, s47, s0
	s_cmp_gt_i32 s40, 0
	s_cbranch_scc0 .LBB152_99
; %bb.19:
	s_add_i32 s34, s0, s34
	s_ashr_i32 s2, s34, 31
	s_cmpk_lg_i32 s15, 0x80
	s_cselect_b64 s[26:27], -1, 0
	s_and_b64 vcc, exec, s[26:27]
	s_cbranch_vccz .LBB152_21
; %bb.20:
	s_mul_i32 s1, s34, s14
	s_ashr_i32 s3, s50, 31
	s_mul_hi_i32 s0, s34, s14
	s_add_u32 s38, s1, s50
	s_addc_u32 s39, s0, s3
	s_cbranch_execz .LBB152_22
	s_branch .LBB152_23
.LBB152_21:
                                        ; implicit-def: $sgpr38_sgpr39
.LBB152_22:
	s_mul_i32 s1, s50, s12
	s_mul_hi_i32 s0, s50, s12
	s_add_u32 s38, s1, s34
	s_addc_u32 s39, s0, s2
.LBB152_23:
	s_add_i32 s3, s45, s46
	s_ashr_i32 s12, s33, 31
	s_add_u32 s0, s49, s34
	v_lshlrev_b32_e32 v6, 6, v89
	v_lshlrev_b32_e32 v24, 2, v45
	s_addc_u32 s1, s48, s2
	s_mov_b32 s2, 0x7060302
	v_or_b32_e32 v9, v6, v24
	v_xor_b32_e32 v7, v89, v24
	v_perm_b32 v3, v77, v76, s2
	v_perm_b32 v2, v75, v74, s2
	;; [unrolled: 1-line block ×4, first 2 shown]
	v_lshlrev_b32_e32 v9, 1, v9
	v_xor_b32_e32 v8, v90, v24
	ds_write2st64_b64 v9, v[2:3], v[4:5] offset0:32 offset1:48
	v_lshlrev_b32_e32 v7, 1, v7
	v_lshlrev_b32_e32 v9, 8, v45
	v_or_b32_e32 v10, v7, v9
	v_lshlrev_b32_e32 v8, 1, v8
	ds_write_b64 v10, v[2:3]
	v_or_b32_e32 v2, v8, v9
	v_or_b32_e32 v9, 16, v45
	v_lshlrev_b32_e32 v23, 2, v9
	v_or_b32_e32 v10, v6, v23
	ds_write_b64 v2, v[4:5]
	v_perm_b32 v3, v69, v68, s2
	v_perm_b32 v2, v67, v66, s2
	;; [unrolled: 1-line block ×4, first 2 shown]
	v_lshlrev_b32_e32 v10, 1, v10
	v_lshlrev_b32_e32 v9, 8, v9
	ds_write2st64_b64 v10, v[2:3], v[4:5] offset0:32 offset1:48
	v_or_b32_e32 v10, v7, v9
	ds_write_b64 v10, v[2:3]
	v_or_b32_e32 v2, v8, v9
	v_or_b32_e32 v9, 32, v45
	v_lshlrev_b32_e32 v22, 2, v9
	v_or_b32_e32 v10, v6, v22
	s_lshl_b64 s[24:25], s[0:1], 8
	ds_write_b64 v2, v[4:5]
	v_perm_b32 v3, v61, v60, s2
	v_perm_b32 v2, v59, v58, s2
	;; [unrolled: 1-line block ×4, first 2 shown]
	v_lshlrev_b32_e32 v10, 1, v10
	v_lshlrev_b32_e32 v9, 8, v9
	s_add_u32 s0, s6, s24
	ds_write2st64_b64 v10, v[2:3], v[4:5] offset0:32 offset1:48
	v_or_b32_e32 v10, v7, v9
	s_addc_u32 s1, s7, s25
	ds_write_b64 v10, v[2:3]
	v_or_b32_e32 v2, v8, v9
	v_or_b32_e32 v9, 48, v45
	s_mul_hi_i32 s6, s3, s13
	s_mul_i32 s3, s3, s13
	ds_write_b64 v2, v[4:5]
	v_perm_b32 v3, v47, v46, s2
	v_perm_b32 v2, v53, v52, s2
	;; [unrolled: 1-line block ×4, first 2 shown]
	v_lshlrev_b32_e32 v19, 2, v9
	s_add_u32 s2, s3, s33
	v_or_b32_e32 v6, v6, v19
	s_addc_u32 s3, s6, s12
	v_lshlrev_b32_e32 v6, 1, v6
	s_ashr_i32 s31, s30, 31
	s_lshl_b64 s[2:3], s[2:3], 15
	ds_write2st64_b64 v6, v[2:3], v[4:5] offset0:32 offset1:48
	v_lshlrev_b32_e32 v6, 8, v9
	s_add_u32 s6, s36, s2
	v_or_b32_e32 v7, v7, v6
	s_addc_u32 s7, s37, s3
	s_lshl_b64 s[2:3], s[30:31], 8
	ds_write_b64 v7, v[2:3]
	v_or_b32_e32 v2, v8, v6
	s_add_u32 s2, s6, s2
	v_lshlrev_b32_e32 v3, 1, v45
	ds_write_b64 v2, v[4:5]
	v_lshrrev_b32_e32 v2, 4, v0
	s_addc_u32 s3, s7, s3
	v_or_b32_e32 v4, 1, v3
	v_lshlrev_b32_e32 v10, 4, v45
	v_mov_b32_e32 v11, 0
	v_xor_b32_e32 v3, v2, v3
	v_xor_b32_e32 v6, v4, v2
	v_lshl_add_u64 v[12:13], s[2:3], 0, v[10:11]
	v_lshlrev_b32_e32 v10, 8, v2
	v_lshl_or_b32 v16, v3, 3, v10
	v_lshl_or_b32 v17, v6, 3, v10
	s_waitcnt lgkmcnt(0)
	s_barrier
	ds_read2st64_b64 v[2:5], v16 offset1:8
	ds_read2st64_b64 v[6:9], v17 offset1:8
	v_lshl_add_u64 v[14:15], v[12:13], 0, v[10:11]
	s_movk_i32 s2, 0x2000
	s_cmp_lg_u32 s40, 64
	s_waitcnt lgkmcnt(1)
	v_mov_b32_e32 v10, v2
	v_mov_b32_e32 v11, v3
	s_waitcnt lgkmcnt(0)
	v_mov_b32_e32 v12, v6
	v_mov_b32_e32 v13, v7
	global_store_dwordx4 v[14:15], v[10:13], off
	v_mov_b32_e32 v6, v4
	v_mov_b32_e32 v7, v5
	ds_read2st64_b64 v[2:5], v16 offset0:16 offset1:24
	ds_read2st64_b64 v[10:13], v17 offset0:16 offset1:24
	v_add_co_u32_e32 v16, vcc, s2, v14
	s_cselect_b64 s[6:7], -1, 0
	s_nop 0
	v_addc_co_u32_e32 v17, vcc, 0, v15, vcc
	global_store_dwordx4 v[16:17], v[6:9], off offset:-4096
	v_lshl_or_b32 v25, v85, 3, v88
	s_mov_b32 s20, 0
	s_waitcnt lgkmcnt(1)
	v_mov_b32_e32 v6, v2
	v_add_co_u32_e32 v2, vcc, 0x3000, v14
	v_mov_b32_e32 v7, v3
	s_nop 0
	v_addc_co_u32_e32 v3, vcc, 0, v15, vcc
	s_waitcnt lgkmcnt(0)
	v_mov_b32_e32 v8, v10
	v_mov_b32_e32 v9, v11
	;; [unrolled: 1-line block ×4, first 2 shown]
	v_or_b32_e32 v20, 32, v25
	v_and_b32_e32 v18, 56, v87
	s_and_b64 vcc, exec, s[6:7]
	global_store_dwordx4 v[16:17], v[6:9], off
	global_store_dwordx4 v[2:3], v[10:13], off
	s_cbranch_vccz .LBB152_29
; %bb.24:
	s_mov_b32 s21, s20
	s_mov_b32 s22, s20
	;; [unrolled: 1-line block ×3, first 2 shown]
	v_mov_b64_e32 v[6:7], s[20:21]
	v_mov_b64_e32 v[8:9], s[22:23]
	;; [unrolled: 1-line block ×3, first 2 shown]
	v_cmp_gt_i32_e32 vcc, s40, v25
	v_mov_b64_e32 v[4:5], v[8:9]
	s_and_saveexec_b64 s[2:3], vcc
	s_cbranch_execz .LBB152_26
; %bb.25:
	v_lshlrev_b32_e32 v2, 8, v25
	v_mov_b32_e32 v3, 0
	v_lshl_add_u64 v[4:5], s[0:1], 0, v[2:3]
	v_lshlrev_b32_e32 v2, 1, v18
	v_lshl_add_u64 v[10:11], v[4:5], 0, v[2:3]
	global_load_dwordx4 v[6:9], v[10:11], off
	global_load_dwordx4 v[2:5], v[10:11], off offset:128
.LBB152_26:
	s_or_b64 exec, exec, s[2:3]
	s_mov_b32 s21, s20
	s_mov_b32 s22, s20
	;; [unrolled: 1-line block ×3, first 2 shown]
	v_mov_b64_e32 v[14:15], s[20:21]
	v_mov_b64_e32 v[16:17], s[22:23]
	;; [unrolled: 1-line block ×3, first 2 shown]
	v_cmp_gt_i32_e32 vcc, s40, v20
	v_lshlrev_b32_e32 v21, 7, v20
	v_mov_b64_e32 v[12:13], v[16:17]
	s_and_saveexec_b64 s[2:3], vcc
	s_cbranch_execz .LBB152_28
; %bb.27:
	v_lshlrev_b32_e32 v10, 1, v21
	v_mov_b32_e32 v11, 0
	v_lshl_add_u64 v[12:13], s[0:1], 0, v[10:11]
	v_lshlrev_b32_e32 v10, 1, v18
	v_lshl_add_u64 v[26:27], v[12:13], 0, v[10:11]
	global_load_dwordx4 v[14:17], v[26:27], off
	global_load_dwordx4 v[10:13], v[26:27], off offset:128
.LBB152_28:
	s_or_b64 exec, exec, s[2:3]
	v_lshrrev_b32_e32 v26, 3, v18
	v_lshlrev_b32_e32 v27, 3, v25
	v_or_b32_e32 v26, v27, v26
	v_lshlrev_b32_e32 v26, 4, v26
	v_and_b32_e32 v27, 0x78, v27
	v_xor_b32_e32 v26, v26, v27
	s_branch .LBB152_31
.LBB152_29:
                                        ; implicit-def: $vgpr26
                                        ; implicit-def: $vgpr21
                                        ; implicit-def: $vgpr6_vgpr7_vgpr8_vgpr9
                                        ; implicit-def: $vgpr2_vgpr3_vgpr4_vgpr5
                                        ; implicit-def: $vgpr14_vgpr15_vgpr16_vgpr17
                                        ; implicit-def: $vgpr10_vgpr11_vgpr12_vgpr13
	s_cbranch_execz .LBB152_31
; %bb.30:
	s_waitcnt vmcnt(0)
	v_lshlrev_b32_e32 v2, 1, v18
	v_lshl_or_b32 v21, v25, 8, v2
	s_and_b32 s1, s1, 0xffff
	s_mov_b32 s3, 0x20000
	s_movk_i32 s2, 0x4000
	v_lshl_or_b32 v26, v20, 8, v2
	s_movk_i32 s13, 0x80
	buffer_load_dwordx4 v[6:9], v21, s[0:3], 0 offen
	buffer_load_dwordx4 v[2:5], v21, s[0:3], s13 offen
	;; [unrolled: 1-line block ×4, first 2 shown]
	v_lshrrev_b32_e32 v21, 3, v18
	v_lshlrev_b32_e32 v26, 3, v25
	v_or_b32_e32 v21, v26, v21
	v_lshlrev_b32_e32 v21, 4, v21
	v_and_b32_e32 v26, 0x78, v26
	v_xor_b32_e32 v26, v21, v26
	v_lshlrev_b32_e32 v21, 7, v20
.LBB152_31:
	s_movk_i32 s0, 0x1000
	v_and_or_b32 v20, v21, s0, v26
	s_waitcnt vmcnt(1)
	ds_write_b64 v26, v[6:7] offset:49152
	v_xor_b32_e32 v6, 8, v26
	ds_write_b64 v6, v[8:9] offset:49152
	s_waitcnt vmcnt(0)
	ds_write_b64 v26, v[2:3] offset:57344
	ds_write_b64 v6, v[4:5] offset:57344
	;; [unrolled: 1-line block ×3, first 2 shown]
	v_xor_b32_e32 v2, 8, v20
	ds_write_b64 v2, v[16:17] offset:49152
	ds_write_b64 v20, v[10:11] offset:57344
	;; [unrolled: 1-line block ×3, first 2 shown]
	v_or_b32_e32 v2, v1, v45
	v_lshlrev_b32_e32 v3, 11, v85
	v_lshlrev_b32_e32 v2, 3, v2
	v_and_b32_e32 v6, 0x1000, v3
	v_lshrrev_b32_e32 v3, 5, v84
	s_movk_i32 s0, 0xf8
	v_and_or_b32 v3, v2, s0, v3
	v_lshlrev_b32_e32 v7, 4, v3
	v_and_b32_e32 v8, 0x78, v2
	v_or_b32_e32 v10, 32, v7
	v_lshrrev_b32_e32 v3, 1, v84
	v_xor_b32_e32 v10, v10, v8
	v_xor_b32_e32 v2, v7, v8
	v_and_b32_e32 v9, 8, v3
	v_or_b32_e32 v10, v10, v6
	v_or_b32_e32 v2, v2, v6
	v_xor_b32_e32 v28, v10, v9
	v_or_b32_e32 v10, 64, v7
	v_xor_b32_e32 v27, v2, v9
	v_xor_b32_e32 v10, v10, v8
	s_waitcnt lgkmcnt(0)
	s_barrier
	v_or_b32_e32 v13, v10, v6
	ds_read_b64 v[10:11], v27 offset:49152
	v_lshl_or_b32 v14, v86, 8, v24
	v_lshlrev_b32_e32 v26, 1, v14
	v_add_u32_e32 v12, 0x4000, v26
	ds_read2_b64 v[2:5], v12 offset1:16
	v_or_b32_e32 v7, 0x60, v7
	v_xor_b32_e32 v7, v7, v8
	v_or_b32_e32 v6, v7, v6
	v_xor_b32_e32 v29, v13, v9
	v_xor_b32_e32 v30, v6, v9
	ds_read_b64 v[20:21], v28 offset:49152
	ds_read_b64 v[34:35], v29 offset:49152
	;; [unrolled: 1-line block ×3, first 2 shown]
	s_waitcnt lgkmcnt(3)
	v_mfma_f32_16x16x16_bf16 a[0:3], v[10:11], v[2:3], 0
	ds_read2_b64 v[6:9], v12 offset0:32 offset1:48
	s_lshl_b64 s[0:1], s[38:39], 8
	s_add_u32 s4, s4, s0
	v_mfma_f32_16x16x16_bf16 a[4:7], v[10:11], v[4:5], 0
	ds_read2st64_b64 v[2:5], v26 offset0:36 offset1:40
	s_addc_u32 s5, s5, s1
	s_add_i32 s0, s43, s42
	s_waitcnt lgkmcnt(1)
	v_mfma_f32_16x16x16_bf16 a[8:11], v[10:11], v[6:7], 0
	v_or_b32_e32 v6, 64, v14
	v_lshlrev_b32_e32 v31, 1, v6
	s_add_i32 s2, s35, -1
	s_waitcnt lgkmcnt(0)
	v_mfma_f32_16x16x16_bf16 a[0:3], v[20:21], v[2:3], a[0:3]
	v_or_b32_e32 v2, 0x80, v14
	v_lshlrev_b32_e32 v32, 1, v2
	v_or_b32_e32 v2, 0xc0, v14
	v_mfma_f32_16x16x16_bf16 a[12:15], v[10:11], v[8:9], 0
	ds_read2st64_b64 v[6:9], v31 offset0:36 offset1:40
	v_lshlrev_b32_e32 v33, 1, v2
	ds_read2st64_b64 v[10:13], v32 offset0:36 offset1:40
	ds_read2st64_b64 v[14:17], v33 offset0:36 offset1:40
	s_add_i32 s17, s0, s44
	s_mul_i32 s0, s33, s19
	s_mul_hi_u32 s1, s33, s18
	s_add_i32 s0, s1, s0
	s_mul_i32 s1, s12, s18
	s_ashr_i32 s3, s2, 31
	s_mul_i32 s12, s2, s29
	s_mul_hi_u32 s13, s2, s28
	s_waitcnt lgkmcnt(2)
	v_mfma_f32_16x16x16_bf16 a[4:7], v[20:21], v[6:7], a[4:7]
	s_add_i32 s12, s13, s12
	s_mul_i32 s3, s3, s28
	s_add_i32 s1, s0, s1
	s_waitcnt lgkmcnt(1)
	v_mfma_f32_16x16x16_bf16 a[8:11], v[20:21], v[10:11], a[8:11]
	s_add_i32 s3, s12, s3
	s_lshl_b64 s[12:13], s[16:17], 2
	s_mul_i32 s0, s33, s18
	s_waitcnt lgkmcnt(0)
	v_mfma_f32_16x16x16_bf16 a[12:15], v[20:21], v[14:15], a[12:15]
	s_add_u32 s10, s10, s12
	s_addc_u32 s11, s11, s13
	s_lshl_b64 s[0:1], s[0:1], 2
	v_mfma_f32_16x16x16_bf16 a[0:3], v[34:35], v[4:5], a[0:3]
	s_mul_i32 s2, s2, s28
	ds_read_b64 v[2:3], v26 offset:22528
	s_add_u32 s10, s10, s0
	v_mfma_f32_16x16x16_bf16 a[4:7], v[34:35], v[8:9], a[4:7]
	ds_read_b64 v[4:5], v31 offset:22528
	ds_read_b64 v[6:7], v32 offset:22528
	;; [unrolled: 1-line block ×3, first 2 shown]
	s_addc_u32 s11, s11, s1
	s_lshl_b64 s[0:1], s[2:3], 2
	v_mfma_f32_16x16x16_bf16 a[8:11], v[34:35], v[12:13], a[8:11]
	s_add_u32 s0, s10, s0
	s_addc_u32 s1, s11, s1
	s_load_dword s12, s[0:1], 0x0
	v_mfma_f32_16x16x16_bf16 a[12:15], v[34:35], v[16:17], a[12:15]
	s_and_b64 vcc, exec, s[26:27]
	s_waitcnt lgkmcnt(0)
	v_mfma_f32_16x16x16_bf16 a[0:3], v[36:37], v[2:3], a[0:3]
	v_mfma_f32_16x16x16_bf16 a[4:7], v[36:37], v[4:5], a[4:7]
	v_mfma_f32_16x16x16_bf16 a[8:11], v[36:37], v[6:7], a[8:11]
	v_mfma_f32_16x16x16_bf16 a[12:15], v[36:37], v[8:9], a[12:15]
	s_cbranch_vccz .LBB152_42
; %bb.32:
	v_lshlrev_b32_e32 v20, 1, v25
	s_and_b64 vcc, exec, s[6:7]
	s_cbranch_vccz .LBB152_43
; %bb.33:
	v_cmp_gt_i32_e32 vcc, s40, v20
	v_mov_b32_e32 v6, 0
	v_mov_b32_e32 v2, 0
	;; [unrolled: 1-line block ×5, first 2 shown]
	s_and_saveexec_b64 s[0:1], vcc
	s_cbranch_execz .LBB152_35
; %bb.34:
	v_mad_i64_i32 v[2:3], s[2:3], s15, v20, 0
	v_lshl_add_u64 v[2:3], v[2:3], 1, s[4:5]
	v_lshlrev_b32_e32 v4, 1, v18
	v_mov_b32_e32 v5, 0
	v_lshl_add_u64 v[2:3], v[2:3], 0, v[4:5]
	global_load_dwordx4 v[2:5], v[2:3], off
.LBB152_35:
	s_or_b64 exec, exec, s[0:1]
	v_or_b32_e32 v21, 1, v20
	v_cmp_gt_i32_e64 s[0:1], s40, v21
	v_mov_b32_e32 v7, 0
	v_mov_b32_e32 v8, 0
	;; [unrolled: 1-line block ×3, first 2 shown]
	s_and_saveexec_b64 s[2:3], s[0:1]
	s_cbranch_execz .LBB152_37
; %bb.36:
	v_mad_i64_i32 v[6:7], s[16:17], s15, v21, 0
	v_lshl_add_u64 v[6:7], v[6:7], 1, s[4:5]
	v_lshlrev_b32_e32 v8, 1, v18
	v_mov_b32_e32 v9, 0
	v_lshl_add_u64 v[6:7], v[6:7], 0, v[8:9]
	global_load_dwordx4 v[6:9], v[6:7], off
.LBB152_37:
	s_or_b64 exec, exec, s[2:3]
	v_mov_b32_e32 v17, 0
	v_mov_b32_e32 v10, 0
	;; [unrolled: 1-line block ×5, first 2 shown]
	s_and_saveexec_b64 s[2:3], vcc
	s_cbranch_execz .LBB152_39
; %bb.38:
	v_mad_i64_i32 v[10:11], s[16:17], s15, v20, 0
	v_lshl_add_u64 v[10:11], v[10:11], 1, s[4:5]
	v_lshlrev_b32_e32 v12, 1, v18
	v_mov_b32_e32 v13, 0
	v_lshl_add_u64 v[10:11], v[10:11], 0, v[12:13]
	global_load_dwordx4 v[10:13], v[10:11], off offset:128
.LBB152_39:
	s_or_b64 exec, exec, s[2:3]
	v_mov_b32_e32 v16, 0
	v_mov_b32_e32 v15, 0
	;; [unrolled: 1-line block ×3, first 2 shown]
	s_and_saveexec_b64 s[2:3], s[0:1]
	s_cbranch_execz .LBB152_41
; %bb.40:
	v_mad_i64_i32 v[14:15], s[0:1], s15, v21, 0
	v_lshl_add_u64 v[14:15], v[14:15], 1, s[4:5]
	v_lshlrev_b32_e32 v16, 1, v18
	v_mov_b32_e32 v17, 0
	v_lshl_add_u64 v[14:15], v[14:15], 0, v[16:17]
	global_load_dwordx4 v[14:17], v[14:15], off offset:128
.LBB152_41:
	s_or_b64 exec, exec, s[2:3]
	s_branch .LBB152_45
.LBB152_42:
                                        ; implicit-def: $vgpr5
                                        ; implicit-def: $vgpr9
                                        ; implicit-def: $vgpr13
                                        ; implicit-def: $vgpr17
	v_lshrrev_b32_e32 v34, 2, v84
	s_branch .LBB152_46
.LBB152_43:
                                        ; implicit-def: $vgpr5
                                        ; implicit-def: $vgpr9
                                        ; implicit-def: $vgpr13
                                        ; implicit-def: $vgpr17
	s_cbranch_execz .LBB152_45
; %bb.44:
	s_waitcnt vmcnt(0)
	v_mad_u64_u32 v[2:3], s[0:1], v20, s15, v[18:19]
	v_lshlrev_b32_e32 v20, 1, v2
	s_lshl_b32 s2, s15, 7
	s_and_b32 s1, s5, 0xffff
	s_mov_b32 s3, 0x20000
	s_mov_b32 s0, s4
	v_add_lshl_u32 v21, v2, s15, 1
	s_movk_i32 s13, 0x80
	buffer_load_dwordx4 v[2:5], v20, s[0:3], 0 offen
	buffer_load_dwordx4 v[10:13], v20, s[0:3], s13 offen
	;; [unrolled: 1-line block ×4, first 2 shown]
.LBB152_45:
	v_lshrrev_b32_e32 v34, 2, v84
	s_cbranch_execnz .LBB152_58
.LBB152_46:
	s_and_b64 vcc, exec, s[6:7]
	s_cbranch_vccz .LBB152_56
; %bb.47:
	s_waitcnt vmcnt(0)
	v_lshlrev_b32_e32 v7, 1, v25
	v_cmp_gt_i32_e32 vcc, s40, v7
	v_mov_b32_e32 v6, 0
	v_lshlrev_b32_e32 v14, 9, v25
	v_mov_b32_e32 v2, 0
	v_mov_b32_e32 v3, 0
	;; [unrolled: 1-line block ×4, first 2 shown]
	s_and_saveexec_b64 s[0:1], vcc
	s_cbranch_execz .LBB152_49
; %bb.48:
	v_mov_b32_e32 v15, 0
	v_lshl_add_u64 v[2:3], s[4:5], 0, v[14:15]
	v_lshlrev_b32_e32 v4, 1, v18
	v_mov_b32_e32 v5, v15
	v_lshl_add_u64 v[2:3], v[2:3], 0, v[4:5]
	global_load_dwordx4 v[2:5], v[2:3], off
.LBB152_49:
	s_or_b64 exec, exec, s[0:1]
	v_or_b32_e32 v7, 1, v7
	v_cmp_gt_i32_e64 s[0:1], s40, v7
	v_lshlrev_b32_e32 v20, 8, v7
	v_mov_b32_e32 v7, 0
	v_mov_b32_e32 v8, 0
	;; [unrolled: 1-line block ×3, first 2 shown]
	s_and_saveexec_b64 s[2:3], s[0:1]
	s_cbranch_execz .LBB152_51
; %bb.50:
	v_mov_b32_e32 v21, 0
	v_lshl_add_u64 v[6:7], s[4:5], 0, v[20:21]
	v_lshlrev_b32_e32 v8, 1, v18
	v_mov_b32_e32 v9, v21
	v_lshl_add_u64 v[6:7], v[6:7], 0, v[8:9]
	global_load_dwordx4 v[6:9], v[6:7], off
.LBB152_51:
	s_or_b64 exec, exec, s[2:3]
	v_mov_b32_e32 v17, 0
	v_mov_b32_e32 v10, 0
	;; [unrolled: 1-line block ×5, first 2 shown]
	s_and_saveexec_b64 s[2:3], vcc
	s_cbranch_execz .LBB152_53
; %bb.52:
	v_mov_b32_e32 v15, 0
	v_lshl_add_u64 v[10:11], s[4:5], 0, v[14:15]
	v_lshlrev_b32_e32 v14, 1, v18
	v_lshl_add_u64 v[10:11], v[10:11], 0, v[14:15]
	global_load_dwordx4 v[10:13], v[10:11], off offset:128
.LBB152_53:
	s_or_b64 exec, exec, s[2:3]
	v_mov_b32_e32 v16, 0
	v_mov_b32_e32 v15, 0
	;; [unrolled: 1-line block ×3, first 2 shown]
	s_and_saveexec_b64 s[2:3], s[0:1]
	s_cbranch_execz .LBB152_55
; %bb.54:
	v_mov_b32_e32 v21, 0
	v_lshl_add_u64 v[14:15], s[4:5], 0, v[20:21]
	v_lshlrev_b32_e32 v20, 1, v18
	v_lshl_add_u64 v[14:15], v[14:15], 0, v[20:21]
	global_load_dwordx4 v[14:17], v[14:15], off offset:128
.LBB152_55:
	s_or_b64 exec, exec, s[2:3]
	s_branch .LBB152_58
.LBB152_56:
                                        ; implicit-def: $vgpr5
                                        ; implicit-def: $vgpr9
                                        ; implicit-def: $vgpr13
                                        ; implicit-def: $vgpr17
	s_cbranch_execz .LBB152_58
; %bb.57:
	s_waitcnt vmcnt(0)
	v_lshlrev_b32_e32 v2, 1, v18
	v_lshl_or_b32 v18, v25, 9, v2
	s_and_b32 s5, s5, 0xffff
	s_mov_b32 s7, 0x20000
	s_movk_i32 s6, 0x4000
	s_movk_i32 s0, 0x80
	buffer_load_dwordx4 v[2:5], v18, s[4:7], 0 offen
	buffer_load_dwordx4 v[6:9], v18, s[4:7], 0 offen offset:256
	buffer_load_dwordx4 v[10:13], v18, s[4:7], s0 offen
	buffer_load_dwordx4 v[14:17], v18, s[4:7], s0 offen offset:256
.LBB152_58:
	ds_read_b64 v[20:21], v27 offset:57344
	v_add_u32_e32 v18, 0x6000, v26
	ds_read2_b64 v[36:39], v18 offset1:16
	ds_read_b64 v[54:55], v28 offset:57344
	ds_read_b64 v[28:29], v29 offset:57344
	;; [unrolled: 1-line block ×3, first 2 shown]
	ds_read2st64_b64 v[40:43], v26 offset0:52 offset1:56
	s_mov_b32 s0, 0x1000504
	s_mov_b32 s1, 0x3020706
	s_waitcnt lgkmcnt(4)
	v_mfma_f32_16x16x16_bf16 a[0:3], v[20:21], v[36:37], a[0:3]
	v_mfma_f32_16x16x16_bf16 a[4:7], v[20:21], v[38:39], a[4:7]
	ds_read2_b64 v[36:39], v18 offset0:32 offset1:48
	v_and_b32_e32 v18, 6, v0
	v_xor_b32_e32 v25, v25, v18
	s_waitcnt lgkmcnt(0)
	v_mfma_f32_16x16x16_bf16 a[8:11], v[20:21], v[36:37], a[8:11]
	v_lshlrev_b32_e32 v25, 2, v25
	v_and_b32_e32 v0, 1, v0
	v_xor_b32_e32 v35, 0x440, v25
	v_mfma_f32_16x16x16_bf16 a[12:15], v[20:21], v[38:39], a[12:15]
	ds_read2st64_b64 v[36:39], v31 offset0:52 offset1:56
	ds_read2st64_b64 v[46:49], v32 offset0:52 offset1:56
	;; [unrolled: 1-line block ×3, first 2 shown]
	v_cmp_eq_u32_e32 vcc, 0, v0
	ds_read_b64 v[20:21], v26 offset:30720
	ds_read_b64 v[26:27], v31 offset:30720
	;; [unrolled: 1-line block ×4, first 2 shown]
	v_mfma_f32_16x16x16_bf16 a[0:3], v[54:55], v[40:41], a[0:3]
	v_cndmask_b32_e32 v0, v35, v25, vcc
	v_lshl_or_b32 v0, v18, 10, v0
	s_waitcnt vmcnt(0)
	v_perm_b32 v18, v2, v6, s0
	s_waitcnt lgkmcnt(6)
	v_mfma_f32_16x16x16_bf16 a[4:7], v[54:55], v[36:37], a[4:7]
	v_perm_b32 v25, v10, v14, s0
	ds_write2st64_b32 v0, v18, v25 offset0:128 offset1:160
	v_xor_b32_e32 v18, 8, v0
	s_waitcnt lgkmcnt(6)
	v_mfma_f32_16x16x16_bf16 a[8:11], v[54:55], v[46:47], a[8:11]
	v_perm_b32 v2, v2, v6, s1
	v_perm_b32 v6, v10, v14, s1
	v_add_u32_e32 v10, 0x80, v18
	s_waitcnt lgkmcnt(5)
	v_mfma_f32_16x16x16_bf16 a[12:15], v[54:55], v[50:51], a[12:15]
	ds_write2st64_b32 v10, v2, v6 offset0:128 offset1:160
	v_xor_b32_e32 v2, 16, v0
	v_perm_b32 v6, v3, v7, s0
	v_mfma_f32_16x16x16_bf16 a[0:3], v[28:29], v[42:43], a[0:3]
	v_perm_b32 v10, v11, v15, s0
	ds_write2st64_b32 v2, v6, v10 offset0:129 offset1:161
	v_xor_b32_e32 v2, 24, v0
	v_mfma_f32_16x16x16_bf16 a[4:7], v[28:29], v[38:39], a[4:7]
	v_perm_b32 v3, v3, v7, s1
	v_perm_b32 v6, v11, v15, s1
	v_add_u32_e32 v2, 0x80, v2
	v_mfma_f32_16x16x16_bf16 a[16:19], v[28:29], v[48:49], a[8:11]
	ds_write2st64_b32 v2, v3, v6 offset0:129 offset1:161
	v_xor_b32_e32 v2, 32, v0
	v_perm_b32 v3, v4, v8, s0
	v_mfma_f32_16x16x16_bf16 a[20:23], v[28:29], v[52:53], a[12:15]
	v_perm_b32 v6, v12, v16, s0
	ds_write2st64_b32 v2, v3, v6 offset0:130 offset1:162
	v_xor_b32_e32 v2, 40, v0
	s_waitcnt lgkmcnt(8)
	v_mfma_f32_16x16x16_bf16 a[12:15], v[56:57], v[20:21], a[0:3]
	v_perm_b32 v3, v4, v8, s1
	v_perm_b32 v4, v12, v16, s1
	v_add_u32_e32 v2, 0x80, v2
	s_waitcnt lgkmcnt(7)
	v_mfma_f32_16x16x16_bf16 a[8:11], v[56:57], v[26:27], a[4:7]
	ds_write2st64_b32 v2, v3, v4 offset0:130 offset1:162
	v_xor_b32_e32 v2, 48, v0
	v_perm_b32 v3, v5, v9, s0
	s_waitcnt lgkmcnt(7)
	v_mfma_f32_16x16x16_bf16 a[4:7], v[56:57], v[30:31], a[16:19]
	v_perm_b32 v4, v13, v17, s0
	v_xor_b32_e32 v0, 56, v0
	v_and_or_b32 v18, v34, 12, v1
	s_waitcnt lgkmcnt(6)
	v_mfma_f32_16x16x16_bf16 a[0:3], v[56:57], v[32:33], a[20:23]
	ds_write2st64_b32 v2, v3, v4 offset0:131 offset1:163
	v_perm_b32 v2, v5, v9, s1
	v_perm_b32 v3, v13, v17, s1
	v_add_u32_e32 v0, 0x80, v0
	v_cmp_gt_i32_e32 vcc, s40, v18
	v_mov_b32_e32 v14, 0
	v_mov_b32_e32 v16, 0
	ds_write2st64_b32 v0, v2, v3 offset0:131 offset1:163
	s_and_saveexec_b64 s[0:1], vcc
	s_cbranch_execz .LBB152_60
; %bb.59:
	v_add_u32_e32 v0, s34, v18
	v_ashrrev_i32_e32 v1, 31, v0
	v_mul_lo_u32 v2, v1, s28
	v_mul_lo_u32 v3, v0, s29
	v_mad_u64_u32 v[0:1], s[2:3], v0, s28, 0
	v_add3_u32 v1, v1, v3, v2
	v_lshl_add_u64 v[0:1], v[0:1], 2, s[10:11]
	global_load_dword v0, v[0:1], off
	s_waitcnt vmcnt(0)
	v_sub_f32_e32 v0, s12, v0
	v_exp_f32_e32 v16, v0
.LBB152_60:
	s_or_b64 exec, exec, s[0:1]
	v_or_b32_e32 v8, 1, v18
	v_cmp_gt_i32_e64 s[0:1], s40, v8
	s_and_saveexec_b64 s[2:3], s[0:1]
	s_cbranch_execz .LBB152_62
; %bb.61:
	v_add_u32_e32 v0, s34, v8
	v_ashrrev_i32_e32 v1, 31, v0
	v_mul_lo_u32 v2, v1, s28
	v_mul_lo_u32 v3, v0, s29
	v_mad_u64_u32 v[0:1], s[4:5], v0, s28, 0
	v_add3_u32 v1, v1, v3, v2
	v_lshl_add_u64 v[0:1], v[0:1], 2, s[10:11]
	global_load_dword v0, v[0:1], off
	s_waitcnt vmcnt(0)
	v_sub_f32_e32 v0, s12, v0
	v_exp_f32_e32 v14, v0
.LBB152_62:
	s_or_b64 exec, exec, s[2:3]
	v_or_b32_e32 v10, 2, v18
	v_cmp_gt_i32_e64 s[2:3], s40, v10
	v_mov_b32_e32 v15, 0
	v_mov_b32_e32 v17, 0
	s_and_saveexec_b64 s[4:5], s[2:3]
	s_cbranch_execz .LBB152_64
; %bb.63:
	v_add_u32_e32 v0, s34, v10
	v_ashrrev_i32_e32 v1, 31, v0
	v_mul_lo_u32 v2, v1, s28
	v_mul_lo_u32 v3, v0, s29
	v_mad_u64_u32 v[0:1], s[6:7], v0, s28, 0
	v_add3_u32 v1, v1, v3, v2
	v_lshl_add_u64 v[0:1], v[0:1], 2, s[10:11]
	global_load_dword v0, v[0:1], off
	s_waitcnt vmcnt(0)
	v_sub_f32_e32 v0, s12, v0
	v_exp_f32_e32 v17, v0
.LBB152_64:
	s_or_b64 exec, exec, s[4:5]
	v_or_b32_e32 v12, 3, v18
	v_cmp_gt_i32_e64 s[4:5], s40, v12
	s_and_saveexec_b64 s[6:7], s[4:5]
	s_cbranch_execz .LBB152_66
; %bb.65:
	v_add_u32_e32 v0, s34, v12
	v_ashrrev_i32_e32 v1, 31, v0
	v_mul_lo_u32 v2, v1, s28
	v_mul_lo_u32 v3, v0, s29
	v_mad_u64_u32 v[0:1], s[14:15], v0, s28, 0
	v_add3_u32 v1, v1, v3, v2
	v_lshl_add_u64 v[0:1], v[0:1], 2, s[10:11]
	global_load_dword v0, v[0:1], off
	s_waitcnt vmcnt(0)
	v_sub_f32_e32 v0, s12, v0
	v_exp_f32_e32 v15, v0
.LBB152_66:
	s_or_b64 exec, exec, s[6:7]
	v_or_b32_e32 v4, s30, v45
	s_add_u32 s6, s8, s24
	v_accvgpr_read_b32 v0, a12
	s_addc_u32 s7, s9, s25
	v_ashrrev_i32_e32 v5, 31, v4
	v_accvgpr_read_b32 v1, a13
	v_accvgpr_read_b32 v2, a14
	;; [unrolled: 1-line block ×3, first 2 shown]
	v_lshl_add_u64 v[4:5], v[4:5], 1, s[6:7]
	v_mov_b32_e32 v9, 0
	v_lshlrev_b32_e32 v6, 8, v18
	v_mov_b32_e32 v7, 0
	s_and_saveexec_b64 s[6:7], vcc
	s_cbranch_execz .LBB152_68
; %bb.67:
	v_mov_b32_e32 v7, 0
	v_lshl_add_u64 v[20:21], v[4:5], 0, v[6:7]
	global_load_ushort v7, v[20:21], off
	s_waitcnt vmcnt(0)
	v_lshlrev_b32_e32 v7, 16, v7
	v_sub_f32_e32 v0, v7, v0
	v_mul_f32_e32 v0, v16, v0
	v_lshrrev_b32_e32 v7, 16, v0
.LBB152_68:
	s_or_b64 exec, exec, s[6:7]
	v_lshlrev_b32_e32 v8, 8, v8
	s_and_saveexec_b64 s[6:7], s[0:1]
	s_cbranch_execz .LBB152_70
; %bb.69:
	v_mov_b32_e32 v9, 0
	v_lshl_add_u64 v[20:21], v[4:5], 0, v[8:9]
	global_load_ushort v0, v[20:21], off
	s_waitcnt vmcnt(0)
	v_lshlrev_b32_e32 v0, 16, v0
	v_sub_f32_e32 v0, v0, v1
	v_mul_f32_e32 v0, v14, v0
	v_lshrrev_b32_e32 v9, 16, v0
.LBB152_70:
	s_or_b64 exec, exec, s[6:7]
	v_mov_b32_e32 v13, 0
	v_lshlrev_b32_e32 v10, 8, v10
	v_mov_b32_e32 v11, 0
	s_and_saveexec_b64 s[6:7], s[2:3]
	s_cbranch_execz .LBB152_72
; %bb.71:
	v_mov_b32_e32 v11, 0
	v_lshl_add_u64 v[0:1], v[4:5], 0, v[10:11]
	global_load_ushort v0, v[0:1], off
	s_waitcnt vmcnt(0)
	v_lshlrev_b32_e32 v0, 16, v0
	v_sub_f32_e32 v0, v0, v2
	v_mul_f32_e32 v0, v17, v0
	v_lshrrev_b32_e32 v11, 16, v0
.LBB152_72:
	s_or_b64 exec, exec, s[6:7]
	v_lshlrev_b32_e32 v12, 8, v12
	s_and_saveexec_b64 s[6:7], s[4:5]
	s_cbranch_execz .LBB152_74
; %bb.73:
	v_mov_b32_e32 v13, 0
	v_lshl_add_u64 v[0:1], v[4:5], 0, v[12:13]
	global_load_ushort v0, v[0:1], off
	s_waitcnt vmcnt(0)
	v_lshlrev_b32_e32 v0, 16, v0
	v_sub_f32_e32 v0, v0, v3
	v_mul_f32_e32 v0, v15, v0
	v_lshrrev_b32_e32 v13, 16, v0
.LBB152_74:
	s_or_b64 exec, exec, s[6:7]
	v_lshlrev_b32_e32 v18, 6, v18
	s_mov_b32 s6, 0x5040100
	v_perm_b32 v20, v9, v7, s6
	v_or_b32_e32 v7, v18, v24
	v_accvgpr_read_b32 v0, a8
	v_perm_b32 v21, v13, v11, s6
	v_lshlrev_b32_e32 v7, 1, v7
	v_accvgpr_read_b32 v1, a9
	v_accvgpr_read_b32 v2, a10
	;; [unrolled: 1-line block ×3, first 2 shown]
	ds_write_b64 v7, v[20:21] offset:24576
	v_mov_b32_e32 v9, 0
	v_mov_b32_e32 v7, 0
	s_and_saveexec_b64 s[6:7], vcc
	s_cbranch_execz .LBB152_76
; %bb.75:
	v_mov_b32_e32 v7, 0
	v_lshl_add_u64 v[20:21], v[4:5], 0, v[6:7]
	global_load_ushort v7, v[20:21], off offset:32
	s_waitcnt vmcnt(0)
	v_lshlrev_b32_e32 v7, 16, v7
	v_sub_f32_e32 v0, v7, v0
	v_mul_f32_e32 v0, v16, v0
	v_lshrrev_b32_e32 v7, 16, v0
.LBB152_76:
	s_or_b64 exec, exec, s[6:7]
	s_and_saveexec_b64 s[6:7], s[0:1]
	s_cbranch_execz .LBB152_78
; %bb.77:
	v_mov_b32_e32 v9, 0
	v_lshl_add_u64 v[20:21], v[4:5], 0, v[8:9]
	global_load_ushort v0, v[20:21], off offset:32
	s_waitcnt vmcnt(0)
	v_lshlrev_b32_e32 v0, 16, v0
	v_sub_f32_e32 v0, v0, v1
	v_mul_f32_e32 v0, v14, v0
	v_lshrrev_b32_e32 v9, 16, v0
.LBB152_78:
	s_or_b64 exec, exec, s[6:7]
	v_mov_b32_e32 v13, 0
	v_mov_b32_e32 v11, 0
	s_and_saveexec_b64 s[6:7], s[2:3]
	s_cbranch_execz .LBB152_80
; %bb.79:
	v_mov_b32_e32 v11, 0
	v_lshl_add_u64 v[0:1], v[4:5], 0, v[10:11]
	global_load_ushort v0, v[0:1], off offset:32
	s_waitcnt vmcnt(0)
	v_lshlrev_b32_e32 v0, 16, v0
	v_sub_f32_e32 v0, v0, v2
	v_mul_f32_e32 v0, v17, v0
	v_lshrrev_b32_e32 v11, 16, v0
.LBB152_80:
	s_or_b64 exec, exec, s[6:7]
	s_and_saveexec_b64 s[6:7], s[4:5]
	s_cbranch_execz .LBB152_82
; %bb.81:
	v_mov_b32_e32 v13, 0
	v_lshl_add_u64 v[0:1], v[4:5], 0, v[12:13]
	global_load_ushort v0, v[0:1], off offset:32
	s_waitcnt vmcnt(0)
	v_lshlrev_b32_e32 v0, 16, v0
	v_sub_f32_e32 v0, v0, v3
	v_mul_f32_e32 v0, v15, v0
	v_lshrrev_b32_e32 v13, 16, v0
.LBB152_82:
	s_or_b64 exec, exec, s[6:7]
	s_mov_b32 s6, 0x5040100
	v_perm_b32 v20, v9, v7, s6
	v_or_b32_e32 v7, v18, v23
	v_accvgpr_read_b32 v0, a4
	v_perm_b32 v21, v13, v11, s6
	v_lshlrev_b32_e32 v7, 1, v7
	v_accvgpr_read_b32 v1, a5
	v_accvgpr_read_b32 v2, a6
	;; [unrolled: 1-line block ×3, first 2 shown]
	ds_write_b64 v7, v[20:21] offset:24576
	v_mov_b32_e32 v9, 0
	v_mov_b32_e32 v7, 0
	s_and_saveexec_b64 s[6:7], vcc
	s_cbranch_execz .LBB152_84
; %bb.83:
	v_mov_b32_e32 v7, 0
	v_lshl_add_u64 v[20:21], v[4:5], 0, v[6:7]
	global_load_ushort v7, v[20:21], off offset:64
	s_waitcnt vmcnt(0)
	v_lshlrev_b32_e32 v7, 16, v7
	v_sub_f32_e32 v0, v7, v0
	v_mul_f32_e32 v0, v16, v0
	v_lshrrev_b32_e32 v7, 16, v0
.LBB152_84:
	s_or_b64 exec, exec, s[6:7]
	s_and_saveexec_b64 s[6:7], s[0:1]
	s_cbranch_execz .LBB152_86
; %bb.85:
	v_mov_b32_e32 v9, 0
	v_lshl_add_u64 v[20:21], v[4:5], 0, v[8:9]
	global_load_ushort v0, v[20:21], off offset:64
	s_waitcnt vmcnt(0)
	v_lshlrev_b32_e32 v0, 16, v0
	v_sub_f32_e32 v0, v0, v1
	v_mul_f32_e32 v0, v14, v0
	v_lshrrev_b32_e32 v9, 16, v0
.LBB152_86:
	s_or_b64 exec, exec, s[6:7]
	v_mov_b32_e32 v13, 0
	v_mov_b32_e32 v11, 0
	s_and_saveexec_b64 s[6:7], s[2:3]
	s_cbranch_execz .LBB152_88
; %bb.87:
	v_mov_b32_e32 v11, 0
	v_lshl_add_u64 v[0:1], v[4:5], 0, v[10:11]
	global_load_ushort v0, v[0:1], off offset:64
	s_waitcnt vmcnt(0)
	v_lshlrev_b32_e32 v0, 16, v0
	v_sub_f32_e32 v0, v0, v2
	v_mul_f32_e32 v0, v17, v0
	v_lshrrev_b32_e32 v11, 16, v0
.LBB152_88:
	s_or_b64 exec, exec, s[6:7]
	s_and_saveexec_b64 s[6:7], s[4:5]
	s_cbranch_execz .LBB152_90
; %bb.89:
	v_mov_b32_e32 v13, 0
	v_lshl_add_u64 v[0:1], v[4:5], 0, v[12:13]
	global_load_ushort v0, v[0:1], off offset:64
	s_waitcnt vmcnt(0)
	v_lshlrev_b32_e32 v0, 16, v0
	v_sub_f32_e32 v0, v0, v3
	v_mul_f32_e32 v0, v15, v0
	v_lshrrev_b32_e32 v13, 16, v0
.LBB152_90:
	s_or_b64 exec, exec, s[6:7]
	s_mov_b32 s6, 0x5040100
	v_perm_b32 v20, v9, v7, s6
	v_or_b32_e32 v7, v18, v22
	v_accvgpr_read_b32 v0, a0
	v_perm_b32 v21, v13, v11, s6
	v_lshlrev_b32_e32 v7, 1, v7
	v_accvgpr_read_b32 v1, a1
	v_accvgpr_read_b32 v2, a2
	;; [unrolled: 1-line block ×3, first 2 shown]
	ds_write_b64 v7, v[20:21] offset:24576
	v_mov_b32_e32 v9, 0
	v_mov_b32_e32 v7, 0
	s_and_saveexec_b64 s[6:7], vcc
	s_cbranch_execz .LBB152_92
; %bb.91:
	v_mov_b32_e32 v7, 0
	v_lshl_add_u64 v[6:7], v[4:5], 0, v[6:7]
	global_load_ushort v6, v[6:7], off offset:96
	s_waitcnt vmcnt(0)
	v_lshlrev_b32_e32 v6, 16, v6
	v_sub_f32_e32 v0, v6, v0
	v_mul_f32_e32 v0, v16, v0
	v_lshrrev_b32_e32 v7, 16, v0
.LBB152_92:
	s_or_b64 exec, exec, s[6:7]
	s_and_saveexec_b64 s[6:7], s[0:1]
	s_cbranch_execz .LBB152_94
; %bb.93:
	v_mov_b32_e32 v9, 0
	v_lshl_add_u64 v[8:9], v[4:5], 0, v[8:9]
	global_load_ushort v0, v[8:9], off offset:96
	s_waitcnt vmcnt(0)
	v_lshlrev_b32_e32 v0, 16, v0
	v_sub_f32_e32 v0, v0, v1
	v_mul_f32_e32 v0, v14, v0
	v_lshrrev_b32_e32 v9, 16, v0
.LBB152_94:
	s_or_b64 exec, exec, s[6:7]
	v_mov_b32_e32 v0, 0
	v_mov_b32_e32 v1, 0
	s_and_saveexec_b64 s[0:1], s[2:3]
	s_cbranch_execz .LBB152_96
; %bb.95:
	v_mov_b32_e32 v11, 0
	v_lshl_add_u64 v[10:11], v[4:5], 0, v[10:11]
	global_load_ushort v1, v[10:11], off offset:96
	s_waitcnt vmcnt(0)
	v_lshlrev_b32_e32 v1, 16, v1
	v_sub_f32_e32 v1, v1, v2
	v_mul_f32_e32 v1, v17, v1
	v_lshrrev_b32_e32 v1, 16, v1
.LBB152_96:
	s_or_b64 exec, exec, s[0:1]
	s_and_saveexec_b64 s[0:1], s[4:5]
	s_cbranch_execz .LBB152_98
; %bb.97:
	v_mov_b32_e32 v13, 0
	v_lshl_add_u64 v[4:5], v[4:5], 0, v[12:13]
	global_load_ushort v0, v[4:5], off offset:96
	s_waitcnt vmcnt(0)
	v_lshlrev_b32_e32 v0, 16, v0
	v_sub_f32_e32 v0, v0, v3
	v_mul_f32_e32 v0, v15, v0
	v_lshrrev_b32_e32 v0, 16, v0
.LBB152_98:
	s_or_b64 exec, exec, s[0:1]
	s_mov_b32 s0, 0x5040100
	v_or_b32_e32 v2, v18, v19
	v_perm_b32 v1, v0, v1, s0
	v_perm_b32 v0, v9, v7, s0
	v_lshlrev_b32_e32 v2, 1, v2
	ds_write_b64 v2, v[0:1] offset:24576
	s_waitcnt lgkmcnt(0)
	s_barrier
.LBB152_99:
	s_endpgm
	.section	.rodata,"a",@progbits
	.p2align	6, 0x0
	.amdhsa_kernel _ZN12_GLOBAL__N_139chunk_gated_delta_rule_fwd_h_hip_kernelILi64ELb0ELb0ELb0ELb1ELb1ELb1ELb0ELb0EEEvPK12hip_bfloat16S3_S3_PKfS5_PKvPS1_S8_PvPKiSB_iiiiilll
		.amdhsa_group_segment_fixed_size 65536
		.amdhsa_private_segment_fixed_size 0
		.amdhsa_kernarg_size 136
		.amdhsa_user_sgpr_count 2
		.amdhsa_user_sgpr_dispatch_ptr 0
		.amdhsa_user_sgpr_queue_ptr 0
		.amdhsa_user_sgpr_kernarg_segment_ptr 1
		.amdhsa_user_sgpr_dispatch_id 0
		.amdhsa_user_sgpr_kernarg_preload_length 0
		.amdhsa_user_sgpr_kernarg_preload_offset 0
		.amdhsa_user_sgpr_private_segment_size 0
		.amdhsa_uses_dynamic_stack 0
		.amdhsa_enable_private_segment 0
		.amdhsa_system_sgpr_workgroup_id_x 1
		.amdhsa_system_sgpr_workgroup_id_y 1
		.amdhsa_system_sgpr_workgroup_id_z 0
		.amdhsa_system_sgpr_workgroup_info 0
		.amdhsa_system_vgpr_workitem_id 0
		.amdhsa_next_free_vgpr 228
		.amdhsa_next_free_sgpr 62
		.amdhsa_accum_offset 188
		.amdhsa_reserve_vcc 1
		.amdhsa_float_round_mode_32 0
		.amdhsa_float_round_mode_16_64 0
		.amdhsa_float_denorm_mode_32 3
		.amdhsa_float_denorm_mode_16_64 3
		.amdhsa_dx10_clamp 1
		.amdhsa_ieee_mode 1
		.amdhsa_fp16_overflow 0
		.amdhsa_tg_split 0
		.amdhsa_exception_fp_ieee_invalid_op 0
		.amdhsa_exception_fp_denorm_src 0
		.amdhsa_exception_fp_ieee_div_zero 0
		.amdhsa_exception_fp_ieee_overflow 0
		.amdhsa_exception_fp_ieee_underflow 0
		.amdhsa_exception_fp_ieee_inexact 0
		.amdhsa_exception_int_div_zero 0
	.end_amdhsa_kernel
	.section	.text._ZN12_GLOBAL__N_139chunk_gated_delta_rule_fwd_h_hip_kernelILi64ELb0ELb0ELb0ELb1ELb1ELb1ELb0ELb0EEEvPK12hip_bfloat16S3_S3_PKfS5_PKvPS1_S8_PvPKiSB_iiiiilll,"axG",@progbits,_ZN12_GLOBAL__N_139chunk_gated_delta_rule_fwd_h_hip_kernelILi64ELb0ELb0ELb0ELb1ELb1ELb1ELb0ELb0EEEvPK12hip_bfloat16S3_S3_PKfS5_PKvPS1_S8_PvPKiSB_iiiiilll,comdat
.Lfunc_end152:
	.size	_ZN12_GLOBAL__N_139chunk_gated_delta_rule_fwd_h_hip_kernelILi64ELb0ELb0ELb0ELb1ELb1ELb1ELb0ELb0EEEvPK12hip_bfloat16S3_S3_PKfS5_PKvPS1_S8_PvPKiSB_iiiiilll, .Lfunc_end152-_ZN12_GLOBAL__N_139chunk_gated_delta_rule_fwd_h_hip_kernelILi64ELb0ELb0ELb0ELb1ELb1ELb1ELb0ELb0EEEvPK12hip_bfloat16S3_S3_PKfS5_PKvPS1_S8_PvPKiSB_iiiiilll
                                        ; -- End function
	.section	.AMDGPU.csdata,"",@progbits
; Kernel info:
; codeLenInByte = 10872
; NumSgprs: 68
; NumVgprs: 188
; NumAgprs: 40
; TotalNumVgprs: 228
; ScratchSize: 0
; MemoryBound: 0
; FloatMode: 240
; IeeeMode: 1
; LDSByteSize: 65536 bytes/workgroup (compile time only)
; SGPRBlocks: 8
; VGPRBlocks: 28
; NumSGPRsForWavesPerEU: 68
; NumVGPRsForWavesPerEU: 228
; AccumOffset: 188
; Occupancy: 1
; WaveLimiterHint : 1
; COMPUTE_PGM_RSRC2:SCRATCH_EN: 0
; COMPUTE_PGM_RSRC2:USER_SGPR: 2
; COMPUTE_PGM_RSRC2:TRAP_HANDLER: 0
; COMPUTE_PGM_RSRC2:TGID_X_EN: 1
; COMPUTE_PGM_RSRC2:TGID_Y_EN: 1
; COMPUTE_PGM_RSRC2:TGID_Z_EN: 0
; COMPUTE_PGM_RSRC2:TIDIG_COMP_CNT: 0
; COMPUTE_PGM_RSRC3_GFX90A:ACCUM_OFFSET: 46
; COMPUTE_PGM_RSRC3_GFX90A:TG_SPLIT: 0
	.section	.text._ZN12_GLOBAL__N_139chunk_gated_delta_rule_fwd_h_hip_kernelILi64ELb1ELb1ELb1ELb0ELb1ELb1ELb0ELb0EEEvPK12hip_bfloat16S3_S3_PKfS5_PKvPS1_S8_PvPKiSB_iiiiilll,"axG",@progbits,_ZN12_GLOBAL__N_139chunk_gated_delta_rule_fwd_h_hip_kernelILi64ELb1ELb1ELb1ELb0ELb1ELb1ELb0ELb0EEEvPK12hip_bfloat16S3_S3_PKfS5_PKvPS1_S8_PvPKiSB_iiiiilll,comdat
	.globl	_ZN12_GLOBAL__N_139chunk_gated_delta_rule_fwd_h_hip_kernelILi64ELb1ELb1ELb1ELb0ELb1ELb1ELb0ELb0EEEvPK12hip_bfloat16S3_S3_PKfS5_PKvPS1_S8_PvPKiSB_iiiiilll ; -- Begin function _ZN12_GLOBAL__N_139chunk_gated_delta_rule_fwd_h_hip_kernelILi64ELb1ELb1ELb1ELb0ELb1ELb1ELb0ELb0EEEvPK12hip_bfloat16S3_S3_PKfS5_PKvPS1_S8_PvPKiSB_iiiiilll
	.p2align	8
	.type	_ZN12_GLOBAL__N_139chunk_gated_delta_rule_fwd_h_hip_kernelILi64ELb1ELb1ELb1ELb0ELb1ELb1ELb0ELb0EEEvPK12hip_bfloat16S3_S3_PKfS5_PKvPS1_S8_PvPKiSB_iiiiilll,@function
_ZN12_GLOBAL__N_139chunk_gated_delta_rule_fwd_h_hip_kernelILi64ELb1ELb1ELb1ELb0ELb1ELb1ELb0ELb0EEEvPK12hip_bfloat16S3_S3_PKfS5_PKvPS1_S8_PvPKiSB_iiiiilll: ; @_ZN12_GLOBAL__N_139chunk_gated_delta_rule_fwd_h_hip_kernelILi64ELb1ELb1ELb1ELb0ELb1ELb1ELb0ELb0EEEvPK12hip_bfloat16S3_S3_PKfS5_PKvPS1_S8_PvPKiSB_iiiiilll
; %bb.0:
	s_load_dwordx4 s[24:27], s[0:1], 0x5c
	s_abs_i32 s6, s3
	s_ashr_i32 s5, s3, 31
	v_and_b32_e32 v99, 15, v0
	v_bfe_u32 v98, v0, 4, 2
	s_waitcnt lgkmcnt(0)
	s_abs_i32 s4, s25
	v_cvt_f32_u32_e32 v1, s4
	s_sub_i32 s8, 0, s4
	s_ashr_i32 s7, s25, 31
	s_xor_b32 s5, s5, s7
	v_rcp_iflag_f32_e32 v1, v1
	v_mov_b32_e32 v79, 0
	v_lshlrev_b32_e32 v100, 3, v0
	v_mul_f32_e32 v1, 0x4f7ffffe, v1
	v_cvt_u32_f32_e32 v1, v1
	s_nop 0
	v_readfirstlane_b32 s9, v1
	s_mul_i32 s8, s8, s9
	s_mul_hi_u32 s8, s9, s8
	s_add_i32 s9, s9, s8
	s_mul_hi_u32 s8, s6, s9
	s_mul_i32 s9, s8, s4
	s_sub_i32 s6, s6, s9
	s_add_i32 s10, s8, 1
	s_sub_i32 s9, s6, s4
	s_cmp_ge_u32 s6, s4
	s_cselect_b32 s8, s10, s8
	s_cselect_b32 s6, s9, s6
	s_add_i32 s9, s8, 1
	s_cmp_ge_u32 s6, s4
	s_cselect_b32 s6, s9, s8
	s_xor_b32 s6, s6, s5
	s_sub_i32 s58, s6, s5
	s_mul_i32 s6, s58, s25
	s_sub_i32 s33, s3, s6
	s_abs_i32 s3, s26
	v_cvt_f32_u32_e32 v1, s3
	s_add_i32 s8, s24, 63
	s_ashr_i32 s9, s8, 31
	s_lshr_b32 s5, s9, 26
	v_rcp_iflag_f32_e32 v1, v1
	s_ashr_i32 s57, s24, 31
	s_add_i32 s8, s8, s5
	s_lshr_b32 s5, s57, 26
	v_mul_f32_e32 v1, 0x4f7ffffe, v1
	v_cvt_u32_f32_e32 v1, v1
	s_add_i32 s5, s24, s5
	s_ashr_i32 s60, s26, 31
	s_ashr_i32 s28, s8, 6
	;; [unrolled: 1-line block ×3, first 2 shown]
	s_xor_b32 s5, s7, s60
	s_sub_i32 s7, 0, s3
	v_readfirstlane_b32 s8, v1
	s_mul_i32 s7, s7, s8
	s_mul_hi_u32 s7, s8, s7
	s_add_i32 s8, s8, s7
	s_mul_hi_u32 s7, s4, s8
	s_mul_i32 s8, s7, s3
	s_sub_i32 s4, s4, s8
	s_lshl_b32 s2, s2, 6
	s_add_i32 s8, s7, 1
	s_sub_i32 s9, s4, s3
	s_cmp_ge_u32 s4, s3
	s_cselect_b32 s7, s8, s7
	s_cselect_b32 s4, s9, s4
	s_add_i32 s8, s7, 1
	s_cmp_ge_u32 s4, s3
	s_cselect_b32 s3, s8, s7
	s_xor_b32 s3, s3, s5
	s_sub_i32 s3, s3, s5
	s_abs_i32 s4, s3
	v_cvt_f32_u32_e32 v1, s4
	s_sub_i32 s7, 0, s4
	s_abs_i32 s5, s33
	s_xor_b32 s3, s33, s3
	v_rcp_iflag_f32_e32 v2, v1
	s_ashr_i32 s3, s3, 31
	s_load_dwordx8 s[8:15], s[0:1], 0x20
	v_lshrrev_b32_e32 v1, 6, v0
	v_mul_f32_e32 v2, 0x4f7ffffe, v2
	v_cvt_u32_f32_e32 v2, v2
	v_or_b32_e32 v88, s2, v99
	v_lshlrev_b32_e32 v77, 4, v1
	v_lshlrev_b32_e32 v80, 7, v88
	v_readfirstlane_b32 s16, v2
	s_mul_i32 s7, s7, s16
	s_mul_hi_u32 s7, s16, s7
	s_add_i32 s16, s16, s7
	s_mul_hi_u32 s7, s5, s16
	s_mul_i32 s16, s7, s4
	s_sub_i32 s5, s5, s16
	s_add_i32 s16, s7, 1
	s_sub_i32 s17, s5, s4
	s_cmp_ge_u32 s5, s4
	s_cselect_b32 s7, s16, s7
	s_cselect_b32 s5, s17, s5
	s_add_i32 s16, s7, 1
	s_cmp_ge_u32 s5, s4
	s_cselect_b32 s4, s16, s7
	s_xor_b32 s4, s4, s3
	s_sub_i32 s61, s4, s3
	s_ashr_i32 s3, s58, 31
	s_ashr_i32 s50, s33, 31
	s_mul_hi_i32 s4, s58, s25
	s_add_u32 s42, s6, s33
	s_addc_u32 s43, s4, s50
	s_lshl_b64 s[34:35], s[42:43], 16
	s_waitcnt lgkmcnt(0)
	s_add_u32 s4, s10, s34
	v_lshl_or_b32 v102, v98, 2, v77
	s_addc_u32 s5, s11, s35
	v_ashrrev_i32_e32 v81, 31, v80
	v_lshl_add_u64 v[2:3], v[80:81], 2, s[4:5]
	v_lshlrev_b32_e32 v78, 2, v102
	v_or_b32_e32 v82, 0x800, v80
	v_lshl_add_u64 v[2:3], v[2:3], 0, v[78:79]
	v_ashrrev_i32_e32 v83, 31, v82
	global_load_dwordx4 v[22:25], v[2:3], off
	global_load_dwordx4 v[10:13], v[2:3], off offset:256
	v_lshl_add_u64 v[2:3], v[82:83], 2, s[4:5]
	v_or_b32_e32 v86, 0x1000, v80
	v_lshl_add_u64 v[2:3], v[2:3], 0, v[78:79]
	v_ashrrev_i32_e32 v87, 31, v86
	global_load_dwordx4 v[18:21], v[2:3], off
	global_load_dwordx4 v[14:17], v[2:3], off offset:256
	v_lshl_add_u64 v[2:3], v[86:87], 2, s[4:5]
	;; [unrolled: 6-line block ×3, first 2 shown]
	v_lshl_add_u64 v[34:35], v[2:3], 0, v[78:79]
	global_load_dwordx4 v[6:9], v[34:35], off
	global_load_dwordx4 v[2:5], v[34:35], off offset:256
	s_load_dwordx2 s[10:11], s[0:1], 0x40
	s_load_dwordx8 s[16:23], s[0:1], 0x0
	s_load_dwordx2 s[36:37], s[0:1], 0x80
	s_load_dwordx4 s[4:7], s[0:1], 0x70
	v_and_b32_e32 v79, 63, v0
	s_mul_i32 s51, s58, s24
	s_mul_i32 s62, s58, s28
	v_or_b32_e32 v103, 64, v102
	s_cmp_lt_i32 s24, 64
	v_lshrrev_b32_e32 v101, 3, v79
	s_mul_i32 s63, s43, s24
	s_mul_hi_u32 s64, s42, s24
	s_mul_i32 s44, s42, s24
	s_waitcnt lgkmcnt(0)
	s_mul_i32 s43, s58, s5
	s_mul_hi_u32 s53, s58, s4
	s_mul_i32 s52, s3, s4
	s_mul_i32 s40, s58, s4
	;; [unrolled: 1-line block ×3, first 2 shown]
	s_mul_hi_u32 s55, s33, s6
	s_mul_i32 s56, s50, s6
	s_mul_i32 s38, s33, s6
	s_cbranch_scc1 .LBB153_18
; %bb.1:
	s_add_i32 s45, s64, s63
	s_lshl_b64 s[0:1], s[44:45], 8
	v_and_b32_e32 v105, 56, v100
	s_add_u32 s4, s18, s0
	v_lshl_or_b32 v104, v1, 3, v101
	v_lshlrev_b32_e32 v34, 1, v105
	s_addc_u32 s0, s19, s1
	v_lshl_or_b32 v106, v104, 8, v34
	s_and_b32 s5, s0, 0xffff
	s_mov_b32 s7, 0x20000
	s_movk_i32 s6, 0x4000
	s_movk_i32 s0, 0x80
	v_or_b32_e32 v107, 0x2000, v106
	buffer_load_dwordx4 v[36:39], v106, s[4:7], 0 offen
	buffer_load_dwordx4 v[40:43], v106, s[4:7], s0 offen
	;; [unrolled: 1-line block ×4, first 2 shown]
	v_lshlrev_b32_e32 v35, 3, v104
	v_and_or_b32 v53, v0, 7, v35
	v_and_b32_e32 v35, 0x78, v35
	v_lshlrev_b32_e32 v53, 4, v53
	v_xor_b32_e32 v108, v53, v35
	v_mul_lo_u32 v52, v104, s27
	v_or_b32_e32 v109, 0x1000, v108
	v_xor_b32_e32 v35, 8, v108
	s_cmpk_eq_i32 s27, 0x80
	s_mov_b32 s65, s26
	v_xor_b32_e32 v53, 8, v109
	s_cselect_b64 s[0:1], -1, 0
	s_cmpk_lg_i32 s27, 0x80
	s_waitcnt vmcnt(3)
	ds_write_b64 v108, v[36:37] offset:49152
	ds_write_b64 v35, v[38:39] offset:49152
	s_waitcnt vmcnt(2)
	ds_write_b64 v108, v[40:41] offset:57344
	ds_write_b64 v35, v[42:43] offset:57344
	;; [unrolled: 3-line block ×4, first 2 shown]
	v_lshl_add_u32 v35, v52, 1, v105
	s_cbranch_scc0 .LBB153_3
; %bb.2:
	v_lshlrev_b32_e32 v37, 1, v35
	v_add_lshl_u32 v36, v35, s27, 1
	s_lshl_b32 s6, s27, 7
	v_lshl_or_b32 v34, v104, 9, v34
	s_cbranch_execz .LBB153_4
	s_branch .LBB153_5
.LBB153_3:
                                        ; implicit-def: $vgpr36
                                        ; implicit-def: $vgpr37
                                        ; implicit-def: $sgpr6
	v_lshl_or_b32 v34, v104, 9, v34
.LBB153_4:
	v_or_b32_e32 v36, 0x100, v34
	s_movk_i32 s6, 0x4000
	v_mov_b32_e32 v37, v34
.LBB153_5:
	s_mul_hi_u32 s4, s26, s24
	s_mul_i32 s5, s60, s24
	s_add_i32 s4, s4, s5
	s_mul_i32 s5, s26, s24
	s_mul_i32 s7, s5, s3
	s_mul_hi_u32 s28, s5, s58
	s_add_i32 s7, s28, s7
	s_mul_i32 s4, s4, s58
	s_add_i32 s7, s7, s4
	s_mul_i32 s5, s5, s58
	s_ashr_i32 s66, s61, 31
	s_add_u32 s4, s5, s61
	s_addc_u32 s5, s7, s66
	s_lshl_b64 s[4:5], s[4:5], 8
	s_add_u32 s4, s16, s4
	s_addc_u32 s5, s17, s5
	s_and_b32 s5, s5, 0xffff
	s_mov_b32 s7, 0x20000
	s_movk_i32 s67, 0x80
	buffer_load_dwordx4 v[38:41], v37, s[4:7], 0 offen
	buffer_load_dwordx4 v[42:45], v37, s[4:7], s67 offen
	;; [unrolled: 1-line block ×4, first 2 shown]
	v_and_b32_e32 v37, 6, v0
	v_lshlrev_b32_e32 v36, 7, v102
	v_xor_b32_e32 v58, v104, v37
	v_and_b32_e32 v54, 1, v0
	v_lshl_or_b32 v61, v99, 3, v36
	v_lshlrev_b32_e32 v58, 2, v58
	v_or_b32_e32 v110, 0x4000, v61
	v_or_b32_e32 v111, 0x6000, v61
	v_xor_b32_e32 v61, 0x440, v58
	v_cmp_eq_u32_e32 vcc, 0, v54
	v_lshlrev_b32_e32 v55, 2, v99
	v_or_b32_e32 v57, 16, v99
	v_cndmask_b32_e32 v54, v61, v58, vcc
	s_mov_b32 s69, 0x1000504
	v_xor_b32_e32 v59, v102, v55
	v_xor_b32_e32 v60, v103, v55
	v_lshl_or_b32 v62, v57, 3, v36
	v_lshl_or_b32 v37, v37, 10, v54
	s_mov_b32 s70, 0x3020706
	v_lshlrev_b32_e32 v56, 8, v99
	v_lshlrev_b32_e32 v59, 1, v59
	;; [unrolled: 1-line block ×3, first 2 shown]
	v_or_b32_e32 v112, 0x4000, v62
	v_or_b32_e32 v113, 0x6000, v62
	v_xor_b32_e32 v54, 8, v37
	v_xor_b32_e32 v58, 24, v37
	;; [unrolled: 1-line block ×4, first 2 shown]
	s_mul_i32 s3, s3, s24
	s_mul_hi_u32 s4, s58, s24
	v_or_b32_e32 v114, v56, v59
	v_or_b32_e32 v115, v56, v60
	v_xor_b32_e32 v56, 16, v37
	v_xor_b32_e32 v61, 32, v37
	v_xor_b32_e32 v63, 48, v37
	v_add_u32_e32 v54, 0x80, v54
	v_add_u32_e32 v58, 0x80, v58
	;; [unrolled: 1-line block ×4, first 2 shown]
	s_add_i32 s71, s4, s3
	s_add_i32 s3, s53, s43
	;; [unrolled: 1-line block ×5, first 2 shown]
	s_lshl_b64 s[4:5], s[40:41], 2
	s_add_u32 s3, s22, s4
	s_addc_u32 s28, s23, s5
	s_lshl_b64 s[4:5], s[38:39], 2
	s_add_u32 s46, s3, s4
	s_movk_i32 s3, 0xf8
	s_addc_u32 s47, s28, s5
	s_lshl_b32 s30, s27, 7
	s_movk_i32 s28, 0x100
	v_mov_b32_e32 v91, 0
	v_lshlrev_b32_e32 v90, 4, v99
	v_ashrrev_i32_e32 v89, 31, v88
	s_mov_b32 s68, 0
	s_movk_i32 s6, 0x4000
	s_mov_b32 s39, 0x7060302
	s_movk_i32 s41, 0x2000
	s_movk_i32 s72, 0x3000
	s_mov_b32 s74, 0
	s_waitcnt vmcnt(1)
	v_perm_b32 v65, v38, v46, s69
	s_waitcnt vmcnt(0)
	v_perm_b32 v66, v42, v50, s69
	v_perm_b32 v38, v38, v46, s70
	;; [unrolled: 1-line block ×15, first 2 shown]
	ds_write2st64_b32 v37, v65, v66 offset0:128 offset1:160
	ds_write2st64_b32 v54, v38, v42 offset0:128 offset1:160
	;; [unrolled: 1-line block ×8, first 2 shown]
	v_lshlrev_b32_e32 v37, 8, v57
	v_or_b32_e32 v116, v37, v59
	v_or_b32_e32 v117, v37, v60
	v_or_b32_e32 v37, 32, v99
	v_lshl_or_b32 v38, v37, 3, v36
	v_lshlrev_b32_e32 v37, 8, v37
	v_or_b32_e32 v120, v37, v59
	v_or_b32_e32 v121, v37, v60
	;; [unrolled: 1-line block ×5, first 2 shown]
	v_lshl_or_b32 v38, v37, 3, v36
	v_lshlrev_b32_e32 v37, 8, v37
	v_or_b32_e32 v124, v37, v59
	v_or_b32_e32 v125, v37, v60
	v_or_b32_e32 v37, v77, v99
	v_lshlrev_b32_e32 v37, 3, v37
	v_lshrrev_b32_e32 v39, 5, v79
	v_and_or_b32 v39, v37, s3, v39
	v_lshlrev_b32_e32 v39, 4, v39
	v_or_b32_e32 v122, 0x4000, v38
	v_or_b32_e32 v123, 0x6000, v38
	v_lshrrev_b32_e32 v38, 2, v79
	v_lshlrev_b32_e32 v41, 11, v1
	v_and_b32_e32 v37, 0x78, v37
	v_or_b32_e32 v45, 32, v39
	v_and_b32_e32 v40, 12, v38
	v_and_b32_e32 v38, 0x1000, v41
	v_lshrrev_b32_e32 v43, 1, v79
	v_xor_b32_e32 v45, v45, v37
	v_xor_b32_e32 v42, v39, v37
	v_and_b32_e32 v43, 8, v43
	v_or_b32_e32 v45, v45, v38
	v_or_b32_e32 v42, v42, v38
	v_xor_b32_e32 v128, v45, v43
	v_or_b32_e32 v45, 64, v39
	v_or_b32_e32 v39, 0x60, v39
	v_xor_b32_e32 v126, v42, v43
	v_lshlrev_b32_e32 v42, 8, v98
	v_xor_b32_e32 v45, v45, v37
	v_xor_b32_e32 v37, v39, v37
	s_ashr_i32 s3, s2, 31
	v_or_b32_e32 v44, v42, v55
	v_or_b32_e32 v45, v45, v38
	;; [unrolled: 1-line block ×3, first 2 shown]
	s_lshl_b64 s[4:5], s[2:3], 8
	v_lshlrev_b32_e32 v47, 2, v0
	v_lshlrev_b32_e32 v44, 1, v44
	v_xor_b32_e32 v132, v45, v43
	v_xor_b32_e32 v133, v37, v43
	v_lshlrev_b32_e32 v37, 1, v35
	v_add_lshl_u32 v35, v35, s27, 1
	v_or_b32_e32 v43, 0x100, v34
	s_add_u32 s4, s12, s4
	v_lshlrev_b32_e32 v38, 1, v99
	v_lshrrev_b32_e32 v48, 1, v0
	v_and_or_b32 v42, v47, 60, v42
	v_or_b32_e32 v127, 0x4000, v44
	v_or_b32_e32 v129, 0x4080, v44
	;; [unrolled: 1-line block ×8, first 2 shown]
	v_lshrrev_b32_e32 v44, 4, v0
	s_addc_u32 s5, s13, s5
	v_or_b32_e32 v39, 1, v38
	v_and_b32_e32 v48, 24, v48
	v_lshlrev_b32_e32 v42, 1, v42
	v_cndmask_b32_e64 v144, v37, v34, s[0:1]
	v_cndmask_b32_e64 v145, v35, v43, s[0:1]
	v_mov_b32_e32 v35, 0xa000
	v_mov_b32_e32 v37, 0x8000
	v_cmp_gt_u32_e64 s[0:1], s28, v0
	v_xor_b32_e32 v45, v44, v38
	v_xor_b32_e32 v46, v39, v44
	v_lshl_add_u64 v[38:39], s[4:5], 0, v[90:91]
	v_lshlrev_b32_e32 v90, 8, v44
	v_or_b32_e32 v140, 0x6000, v42
	v_or_b32_e32 v47, 32, v48
	;; [unrolled: 1-line block ×6, first 2 shown]
	v_cndmask_b32_e64 v35, v35, v37, s[0:1]
	v_lshlrev_b32_e32 v37, 3, v1
	v_lshl_or_b32 v138, v45, 3, v90
	v_and_b32_e32 v45, 8, v0
	v_xor_b32_e32 v43, v37, v48
	v_xor_b32_e32 v47, v37, v47
	;; [unrolled: 1-line block ×3, first 2 shown]
	v_mov_b32_e32 v49, 0x400
	v_cmp_eq_u32_e32 vcc, 0, v45
	v_or_b32_e32 v48, 0x440, v43
	v_or_b32_e32 v50, 0x440, v47
	v_xor_b32_e32 v42, 0x440, v37
	v_and_b32_e32 v44, 7, v0
	v_cndmask_b32_e64 v45, v49, 64, vcc
	v_cndmask_b32_e32 v48, v48, v43, vcc
	v_cndmask_b32_e32 v47, v50, v47, vcc
	;; [unrolled: 1-line block ×3, first 2 shown]
	v_lshl_or_b32 v139, v46, 3, v90
	v_lshlrev_b32_e32 v46, 3, v44
	v_or_b32_e32 v48, v48, v41
	v_or_b32_e32 v47, v47, v41
	v_or3_b32 v43, v41, v45, v43
	v_or_b32_e32 v37, v37, v41
	v_lshlrev_b32_e32 v44, 7, v44
	v_xor_b32_e32 v48, v48, v46
	v_xor_b32_e32 v47, v47, v46
	;; [unrolled: 1-line block ×4, first 2 shown]
	v_or_b32_e32 v34, v77, v40
	v_add_u32_e32 v49, v35, v48
	v_add_u32_e32 v50, v35, v47
	v_or_b32_e32 v146, v43, v44
	v_add_u32_e32 v41, v35, v37
	v_or3_b32 v40, v77, v40, 64
	v_add_u32_e32 v45, 0xa000, v48
	v_add_u32_e32 v46, 0xa000, v47
	;; [unrolled: 1-line block ×3, first 2 shown]
	v_lshlrev_b64 v[42:43], 1, v[88:89]
	v_lshl_add_u64 v[92:93], s[20:21], 0, v[42:43]
	v_lshl_add_u64 v[94:95], s[14:15], 0, v[42:43]
	v_lshl_add_u64 v[96:97], v[38:39], 0, v[90:91]
	s_add_i32 s3, s51, 63
	v_lshlrev_b32_e32 v90, 1, v36
	v_lshlrev_b32_e32 v89, 2, v34
	v_add_u32_e32 v147, v49, v44
	v_add_u32_e32 v148, v50, v44
	;; [unrolled: 1-line block ×4, first 2 shown]
	v_lshlrev_b32_e32 v151, 2, v40
	v_add_u32_e32 v152, v45, v44
	v_add_u32_e32 v153, v46, v44
	v_add_u32_e32 v154, v37, v44
	s_waitcnt lgkmcnt(0)
	s_barrier
.LBB153_6:                              ; =>This Inner Loop Header: Depth=1
	s_add_i32 s73, s74, 1
	s_cmp_lt_i32 s73, s59
	s_mov_b64 s[28:29], 0
	s_cselect_b64 s[48:49], -1, 0
	s_cmp_ge_i32 s73, s59
	s_mov_b64 s[4:5], 0
	s_cbranch_scc1 .LBB153_8
; %bb.7:                                ;   in Loop: Header=BB153_6 Depth=1
	s_add_i32 s0, s68, 64
	s_add_u32 s0, s44, s0
	s_addc_u32 s1, s45, 0
	s_lshl_b64 s[0:1], s[0:1], 8
	s_add_u32 s4, s18, s0
	s_addc_u32 s5, s19, s1
.LBB153_8:                              ;   in Loop: Header=BB153_6 Depth=1
	v_cndmask_b32_e64 v34, 0, 1, s[48:49]
	v_cmp_ne_u32_e64 s[0:1], 1, v34
	s_andn2_b64 vcc, exec, s[48:49]
	s_cbranch_vccnz .LBB153_10
; %bb.9:                                ;   in Loop: Header=BB153_6 Depth=1
	s_add_i32 s28, s68, 64
	s_add_u32 s28, s51, s28
	s_addc_u32 s29, s71, 0
	s_mul_i32 s31, s28, s60
	s_mul_hi_u32 s48, s28, s65
	s_add_i32 s31, s48, s31
	s_mul_i32 s29, s29, s65
	s_add_i32 s31, s31, s29
	s_mul_i32 s28, s28, s65
	s_add_u32 s28, s28, s61
	s_addc_u32 s29, s31, s66
	s_lshl_b64 s[28:29], s[28:29], 8
	s_add_u32 s28, s16, s28
	s_addc_u32 s29, s17, s29
.LBB153_10:                             ;   in Loop: Header=BB153_6 Depth=1
	v_perm_b32 v35, v25, v24, s39
	v_perm_b32 v34, v23, v22, s39
	v_perm_b32 v37, v13, v12, s39
	v_perm_b32 v36, v11, v10, s39
	ds_write_b64 v110, v[34:35]
	ds_write_b64 v111, v[36:37]
	ds_write_b64 v114, v[34:35]
	ds_write_b64 v115, v[36:37]
	v_perm_b32 v35, v21, v20, s39
	v_perm_b32 v34, v19, v18, s39
	v_perm_b32 v37, v17, v16, s39
	v_perm_b32 v36, v15, v14, s39
	ds_write_b64 v112, v[34:35]
	ds_write_b64 v113, v[36:37]
	ds_write_b64 v116, v[34:35]
	ds_write_b64 v117, v[36:37]
	;; [unrolled: 8-line block ×4, first 2 shown]
	s_waitcnt lgkmcnt(0)
	s_barrier
	ds_read_b64 v[38:39], v126 offset:49152
	ds_read2_b64 v[34:37], v127 offset1:16
	ds_read_b64 v[50:51], v129 offset:6144
	ds_read_b64 v[52:53], v127 offset:6144
	s_waitcnt lgkmcnt(2)
	v_mfma_f32_16x16x16_bf16 a[0:3], v[38:39], v[34:35], 0
	ds_read_b64 v[54:55], v128 offset:49152
	ds_read2st64_b64 v[42:45], v130 offset0:4 offset1:8
	ds_read2st64_b64 v[46:49], v131 offset0:4 offset1:8
	v_mfma_f32_16x16x16_bf16 a[4:7], v[38:39], v[36:37], 0
	ds_read2_b64 v[34:37], v127 offset0:32 offset1:48
	s_add_i32 s31, s68, 63
	s_mul_i32 s48, s31, s37
	s_waitcnt lgkmcnt(0)
	v_mfma_f32_16x16x16_bf16 a[8:11], v[38:39], v[34:35], 0
	s_mul_hi_u32 s49, s31, s36
	s_add_i32 s49, s49, s48
	s_mul_i32 s48, s31, s36
	v_mfma_f32_16x16x16_bf16 a[12:15], v[38:39], v[36:37], 0
	ds_read2st64_b64 v[34:37], v127 offset0:4 offset1:8
	ds_read2st64_b64 v[38:41], v129 offset0:4 offset1:8
	s_lshl_b64 s[48:49], s[48:49], 2
	s_waitcnt lgkmcnt(1)
	v_mfma_f32_16x16x16_bf16 a[0:3], v[54:55], v[34:35], a[0:3]
	s_add_u32 s48, s46, s48
	s_addc_u32 s49, s47, s49
	s_and_b64 vcc, exec, s[0:1]
	s_waitcnt lgkmcnt(0)
	v_mfma_f32_16x16x16_bf16 a[4:7], v[54:55], v[38:39], a[4:7]
	v_mov_b32_e32 v157, 0
	v_mov_b32_e32 v156, 0
	;; [unrolled: 1-line block ×3, first 2 shown]
	v_mfma_f32_16x16x16_bf16 a[8:11], v[54:55], v[42:43], a[8:11]
	ds_read_b64 v[34:35], v132 offset:49152
	ds_read_b64 v[38:39], v133 offset:49152
	;; [unrolled: 1-line block ×3, first 2 shown]
	v_mfma_f32_16x16x16_bf16 a[12:15], v[54:55], v[46:47], a[12:15]
	v_mov_b32_e32 v46, 0
	v_mov_b32_e32 v47, 0
	s_waitcnt lgkmcnt(2)
	v_mfma_f32_16x16x16_bf16 a[0:3], v[34:35], v[36:37], a[0:3]
	v_mov_b32_e32 v36, 0
	v_mov_b32_e32 v37, 0
	v_mfma_f32_16x16x16_bf16 a[16:19], v[34:35], v[40:41], a[4:7]
	v_mov_b32_e32 v40, 0
	v_mov_b32_e32 v41, 0
	;; [unrolled: 3-line block ×3, first 2 shown]
	v_mfma_f32_16x16x16_bf16 a[24:27], v[34:35], v[48:49], a[12:15]
	ds_read_b64 v[34:35], v130 offset:6144
	v_mov_b32_e32 v48, 0
	v_mov_b32_e32 v49, 0
	s_waitcnt lgkmcnt(2)
	v_mfma_f32_16x16x16_bf16 a[4:7], v[38:39], v[52:53], a[0:3]
	v_mfma_f32_16x16x16_bf16 a[8:11], v[38:39], v[50:51], a[16:19]
	s_waitcnt lgkmcnt(0)
	v_mfma_f32_16x16x16_bf16 a[12:15], v[38:39], v[34:35], a[20:23]
	v_mov_b32_e32 v34, 0
	v_mov_b32_e32 v35, 0
	v_mfma_f32_16x16x16_bf16 a[0:3], v[38:39], v[42:43], a[24:27]
	v_mov_b32_e32 v38, 0
	v_mov_b32_e32 v39, 0
	v_mov_b32_e32 v42, 0
	v_mov_b32_e32 v43, 0
	s_cbranch_vccnz .LBB153_12
; %bb.11:                               ;   in Loop: Header=BB153_6 Depth=1
	s_and_b32 s5, s5, 0xffff
	buffer_load_dwordx4 v[46:49], v106, s[4:7], 0 offen
	buffer_load_dwordx4 v[42:45], v106, s[4:7], s67 offen
	;; [unrolled: 1-line block ×4, first 2 shown]
	v_mov_b32_e32 v156, v108
	v_mov_b32_e32 v155, v109
.LBB153_12:                             ;   in Loop: Header=BB153_6 Depth=1
	ds_read_b64 v[62:63], v126 offset:57344
	ds_read2_b64 v[50:53], v134 offset1:16
	ds_read_b64 v[66:67], v128 offset:57344
	ds_read_b64 v[68:69], v132 offset:57344
	;; [unrolled: 1-line block ×3, first 2 shown]
	v_add_u32_e32 v64, s68, v102
	s_waitcnt lgkmcnt(3)
	v_mfma_f32_16x16x16_bf16 a[4:7], v[62:63], v[50:51], a[4:7]
	v_mfma_f32_16x16x16_bf16 a[8:11], v[62:63], v[52:53], a[8:11]
	ds_read2_b64 v[50:53], v134 offset0:32 offset1:48
	ds_read2st64_b64 v[54:57], v134 offset0:4 offset1:8
	ds_read2st64_b64 v[58:61], v135 offset0:4 offset1:8
	s_waitcnt lgkmcnt(2)
	v_mfma_f32_16x16x16_bf16 a[12:15], v[62:63], v[50:51], a[12:15]
	v_ashrrev_i32_e32 v50, 31, v64
	v_mul_lo_u32 v65, v50, s36
	v_mad_u64_u32 v[50:51], s[4:5], v64, s36, 0
	v_mfma_f32_16x16x16_bf16 a[0:3], v[62:63], v[52:53], a[0:3]
	v_mul_lo_u32 v52, v64, s37
	v_add3_u32 v51, v51, v52, v65
	v_add_u32_e32 v52, 1, v64
	v_ashrrev_i32_e32 v53, 31, v52
	s_waitcnt lgkmcnt(1)
	v_mfma_f32_16x16x16_bf16 a[4:7], v[66:67], v[54:55], a[4:7]
	v_mul_lo_u32 v54, v53, s36
	v_mul_lo_u32 v55, v52, s37
	v_mad_u64_u32 v[52:53], s[4:5], v52, s36, 0
	v_add3_u32 v53, v53, v55, v54
	v_add_u32_e32 v54, 2, v64
	v_ashrrev_i32_e32 v55, 31, v54
	v_mul_lo_u32 v62, v55, s36
	v_mul_lo_u32 v63, v54, s37
	v_mad_u64_u32 v[54:55], s[4:5], v54, s36, 0
	v_add3_u32 v55, v55, v63, v62
	v_add_u32_e32 v62, 3, v64
	v_ashrrev_i32_e32 v63, 31, v62
	v_mul_lo_u32 v64, v63, s36
	v_mul_lo_u32 v65, v62, s37
	v_mad_u64_u32 v[62:63], s[4:5], v62, s36, 0
	s_add_u32 s4, s44, s68
	v_lshl_add_u64 v[50:51], v[50:51], 2, s[46:47]
	v_add3_u32 v63, v63, v65, v64
	s_addc_u32 s5, s45, 0
	v_lshl_add_u64 v[52:53], v[52:53], 2, s[46:47]
	global_load_dword v72, v[50:51], off
	v_lshl_add_u64 v[50:51], v[62:63], 2, s[46:47]
	s_lshl_b64 s[4:5], s[4:5], 8
	v_lshl_add_u64 v[54:55], v[54:55], 2, s[46:47]
	global_load_dword v73, v[52:53], off
	global_load_dword v74, v[54:55], off
	;; [unrolled: 1-line block ×3, first 2 shown]
	v_lshl_add_u64 v[50:51], v[92:93], 0, s[4:5]
	v_lshl_add_u64 v[54:55], v[50:51], 0, v[90:91]
	global_load_ushort v76, v[54:55], off offset:256
	global_load_ushort v158, v[54:55], off
	ds_read2st64_b64 v[50:53], v136 offset0:4 offset1:8
	global_load_ushort v159, v[54:55], off offset:768
	global_load_ushort v160, v[54:55], off offset:512
	ds_read2st64_b64 v[62:65], v137 offset0:4 offset1:8
	global_load_ushort v161, v[54:55], off offset:288
	global_load_ushort v162, v[54:55], off offset:32
	;; [unrolled: 1-line block ×4, first 2 shown]
	s_waitcnt lgkmcnt(2)
	v_mfma_f32_16x16x16_bf16 a[8:11], v[66:67], v[58:59], a[8:11]
	global_load_ushort v165, v[54:55], off offset:320
	global_load_ushort v166, v[54:55], off offset:64
	;; [unrolled: 1-line block ×4, first 2 shown]
	s_and_b64 vcc, exec, s[0:1]
	s_waitcnt lgkmcnt(1)
	v_mfma_f32_16x16x16_bf16 a[12:15], v[66:67], v[50:51], a[12:15]
	ds_read_b64 v[50:51], v134 offset:6144
	s_waitcnt lgkmcnt(1)
	v_mfma_f32_16x16x16_bf16 a[0:3], v[66:67], v[62:63], a[0:3]
	v_lshl_add_u64 v[62:63], v[94:95], 0, s[4:5]
	v_lshl_add_u64 v[62:63], v[62:63], 0, v[90:91]
	v_mfma_f32_16x16x16_bf16 a[4:7], v[68:69], v[56:57], a[4:7]
	v_mfma_f32_16x16x16_bf16 a[8:11], v[68:69], v[60:61], a[8:11]
	;; [unrolled: 1-line block ×4, first 2 shown]
	global_load_ushort v68, v[54:55], off offset:352
	global_load_ushort v69, v[54:55], off offset:96
	ds_read_b64 v[52:53], v135 offset:6144
	ds_read_b64 v[56:57], v136 offset:6144
	;; [unrolled: 1-line block ×3, first 2 shown]
	s_load_dword s48, s[48:49], 0x0
	global_load_ushort v169, v[54:55], off offset:864
	global_load_ushort v170, v[54:55], off offset:608
	s_waitcnt lgkmcnt(0)
	v_mfma_f32_16x16x16_bf16 a[4:7], v[70:71], v[50:51], a[4:7]
	s_waitcnt vmcnt(17)
	v_sub_f32_e32 v60, s48, v74
	v_mfma_f32_16x16x16_bf16 a[0:3], v[70:71], v[58:59], a[0:3]
	v_sub_f32_e32 v58, s48, v72
	v_sub_f32_e32 v59, s48, v73
	s_waitcnt vmcnt(16)
	v_sub_f32_e32 v61, s48, v75
	v_mfma_f32_16x16x16_bf16 a[8:11], v[70:71], v[52:53], a[8:11]
	v_exp_f32_e32 v58, v58
	v_exp_f32_e32 v59, v59
	v_exp_f32_e32 v60, v60
	v_exp_f32_e32 v61, v61
	v_accvgpr_read_b32 v67, a5
	s_waitcnt vmcnt(15)
	v_lshlrev_b32_e32 v65, 16, v76
	s_waitcnt vmcnt(14)
	v_lshlrev_b32_e32 v64, 16, v158
	v_accvgpr_read_b32 v66, a4
	v_accvgpr_read_b32 v51, a7
	;; [unrolled: 1-line block ×3, first 2 shown]
	v_pk_add_f32 v[64:65], v[64:65], v[66:67] neg_lo:[0,1] neg_hi:[0,1]
	s_waitcnt vmcnt(13)
	v_lshlrev_b32_e32 v67, 16, v159
	s_waitcnt vmcnt(12)
	v_lshlrev_b32_e32 v66, 16, v160
	v_pk_add_f32 v[50:51], v[66:67], v[50:51] neg_lo:[0,1] neg_hi:[0,1]
	global_store_short_d16_hi v[62:63], v64, off
	global_store_short_d16_hi v[62:63], v65, off offset:256
	global_store_short_d16_hi v[62:63], v50, off offset:512
	;; [unrolled: 1-line block ×3, first 2 shown]
	v_pk_mul_f32 v[64:65], v[58:59], v[64:65]
	v_pk_mul_f32 v[50:51], v[60:61], v[50:51]
	v_accvgpr_read_b32 v67, a9
	v_perm_b32 v64, v65, v64, s39
	v_perm_b32 v65, v51, v50, s39
	s_waitcnt vmcnt(15)
	v_lshlrev_b32_e32 v51, 16, v161
	s_waitcnt vmcnt(14)
	v_lshlrev_b32_e32 v50, 16, v162
	v_accvgpr_read_b32 v66, a8
	v_accvgpr_read_b32 v53, a11
	v_mfma_f32_16x16x16_bf16 a[12:15], v[70:71], v[56:57], a[12:15]
	v_accvgpr_read_b32 v52, a10
	v_pk_add_f32 v[50:51], v[50:51], v[66:67] neg_lo:[0,1] neg_hi:[0,1]
	s_waitcnt vmcnt(13)
	v_lshlrev_b32_e32 v67, 16, v163
	s_waitcnt vmcnt(12)
	v_lshlrev_b32_e32 v66, 16, v164
	v_pk_add_f32 v[52:53], v[66:67], v[52:53] neg_lo:[0,1] neg_hi:[0,1]
	global_store_short_d16_hi v[62:63], v50, off offset:32
	global_store_short_d16_hi v[62:63], v51, off offset:288
	;; [unrolled: 1-line block ×4, first 2 shown]
	v_pk_mul_f32 v[50:51], v[58:59], v[50:51]
	v_pk_mul_f32 v[52:53], v[60:61], v[52:53]
	v_accvgpr_read_b32 v55, a15
	v_perm_b32 v53, v53, v52, s39
	v_perm_b32 v52, v51, v50, s39
	ds_write2_b64 v111, v[64:65], v[52:53] offset1:16
	v_accvgpr_read_b32 v53, a13
	s_waitcnt vmcnt(15)
	v_lshlrev_b32_e32 v51, 16, v165
	s_waitcnt vmcnt(14)
	v_lshlrev_b32_e32 v50, 16, v166
	v_accvgpr_read_b32 v52, a12
	v_accvgpr_read_b32 v54, a14
	v_pk_add_f32 v[50:51], v[50:51], v[52:53] neg_lo:[0,1] neg_hi:[0,1]
	s_waitcnt vmcnt(13)
	v_lshlrev_b32_e32 v53, 16, v167
	s_waitcnt vmcnt(12)
	v_lshlrev_b32_e32 v52, 16, v168
	v_pk_add_f32 v[52:53], v[52:53], v[54:55] neg_lo:[0,1] neg_hi:[0,1]
	global_store_short_d16_hi v[62:63], v50, off offset:64
	global_store_short_d16_hi v[62:63], v51, off offset:320
	;; [unrolled: 1-line block ×4, first 2 shown]
	v_pk_mul_f32 v[50:51], v[58:59], v[50:51]
	v_pk_mul_f32 v[52:53], v[60:61], v[52:53]
	v_accvgpr_read_b32 v55, a1
	v_perm_b32 v50, v51, v50, s39
	v_perm_b32 v51, v53, v52, s39
	s_waitcnt vmcnt(15)
	v_lshlrev_b32_e32 v53, 16, v68
	s_waitcnt vmcnt(14)
	v_lshlrev_b32_e32 v52, 16, v69
	v_accvgpr_read_b32 v54, a0
	v_accvgpr_read_b32 v57, a3
	;; [unrolled: 1-line block ×3, first 2 shown]
	v_pk_add_f32 v[52:53], v[52:53], v[54:55] neg_lo:[0,1] neg_hi:[0,1]
	s_waitcnt vmcnt(13)
	v_lshlrev_b32_e32 v55, 16, v169
	s_waitcnt vmcnt(12)
	v_lshlrev_b32_e32 v54, 16, v170
	v_pk_add_f32 v[54:55], v[54:55], v[56:57] neg_lo:[0,1] neg_hi:[0,1]
	global_store_short_d16_hi v[62:63], v52, off offset:96
	global_store_short_d16_hi v[62:63], v53, off offset:352
	;; [unrolled: 1-line block ×4, first 2 shown]
	v_pk_mul_f32 v[52:53], v[58:59], v[52:53]
	v_pk_mul_f32 v[54:55], v[60:61], v[54:55]
	v_mov_b32_e32 v158, 0
	v_perm_b32 v55, v55, v54, s39
	v_perm_b32 v54, v53, v52, s39
	ds_write2_b64 v111, v[50:51], v[54:55] offset0:32 offset1:48
	v_mov_b32_e32 v50, 0
	v_mov_b32_e32 v51, 0
	;; [unrolled: 1-line block ×16, first 2 shown]
	s_cbranch_vccnz .LBB153_14
; %bb.13:                               ;   in Loop: Header=BB153_6 Depth=1
	s_and_b32 s29, s29, 0xffff
	s_mov_b32 s31, s7
	buffer_load_dwordx4 v[62:65], v144, s[28:31], 0 offen
	buffer_load_dwordx4 v[54:57], v144, s[28:31], s67 offen
	;; [unrolled: 1-line block ×4, first 2 shown]
	v_mov_b32_e32 v157, v105
	v_mov_b32_e32 v158, v104
.LBB153_14:                             ;   in Loop: Header=BB153_6 Depth=1
	s_waitcnt lgkmcnt(0)
	s_barrier
	ds_read_b64 v[74:75], v147
	ds_read2_b64 v[66:69], v140 offset1:16
	ds_read_b64 v[176:177], v148
	ds_read_b64 v[178:179], v149
	;; [unrolled: 1-line block ×3, first 2 shown]
	ds_read2_b64 v[70:73], v140 offset0:32 offset1:48
	ds_read2st64_b64 v[160:163], v140 offset0:4 offset1:8
	ds_read2st64_b64 v[164:167], v141 offset0:4 offset1:8
	ds_read2st64_b64 v[168:171], v142 offset0:4 offset1:8
	ds_read2st64_b64 v[172:175], v143 offset0:4 offset1:8
	s_waitcnt lgkmcnt(8)
	v_mfma_f32_16x16x16_bf16 a[0:3], v[74:75], v[66:67], 0
	s_add_i32 s4, s62, s74
	s_mul_hi_i32 s5, s4, s25
	s_mul_i32 s4, s4, s25
	v_mfma_f32_16x16x16_bf16 a[4:7], v[74:75], v[68:69], 0
	s_add_u32 s4, s4, s33
	s_addc_u32 s5, s5, s50
	s_add_i32 s28, s3, s68
	s_waitcnt lgkmcnt(4)
	v_mfma_f32_16x16x16_bf16 a[8:11], v[74:75], v[70:71], 0
	s_lshl_b64 s[4:5], s[4:5], 15
	s_mul_hi_i32 s29, s28, s25
	s_mul_i32 s28, s28, s25
	v_mfma_f32_16x16x16_bf16 a[12:15], v[74:75], v[72:73], 0
	ds_read_b64 v[74:75], v140 offset:6144
	ds_read_b64 v[188:189], v141 offset:6144
	;; [unrolled: 1-line block ×4, first 2 shown]
	s_add_u32 s28, s28, s33
	s_waitcnt lgkmcnt(7)
	v_mfma_f32_16x16x16_bf16 a[0:3], v[176:177], v[160:161], a[0:3]
	s_addc_u32 s29, s29, s50
	s_lshl_b64 s[28:29], s[28:29], 9
	s_add_u32 s28, s8, s28
	s_waitcnt lgkmcnt(6)
	v_mfma_f32_16x16x16_bf16 a[4:7], v[176:177], v[164:165], a[4:7]
	s_addc_u32 s29, s9, s29
	v_lshl_add_u64 v[198:199], v[96:97], 0, s[4:5]
	s_waitcnt lgkmcnt(5)
	v_mfma_f32_16x16x16_bf16 a[8:11], v[176:177], v[168:169], a[8:11]
	s_waitcnt lgkmcnt(4)
	v_mfma_f32_16x16x16_bf16 a[12:15], v[176:177], v[172:173], a[12:15]
	ds_read_b64 v[176:177], v152
	ds_read_b64 v[186:187], v153
	;; [unrolled: 1-line block ×3, first 2 shown]
	s_waitcnt lgkmcnt(2)
	v_mfma_f32_16x16x16_bf16 a[16:19], v[176:177], v[66:67], 0
	v_mfma_f32_16x16x16_bf16 a[20:23], v[176:177], v[68:69], 0
	global_load_dwordx4 v[66:69], v151, s[28:29]
	v_mfma_f32_16x16x16_bf16 a[24:27], v[176:177], v[70:71], 0
	v_mfma_f32_16x16x16_bf16 a[28:31], v[176:177], v[72:73], 0
	global_load_dwordx4 v[70:73], v89, s[28:29]
	v_mfma_f32_16x16x16_bf16 a[0:3], v[178:179], v[162:163], a[0:3]
	v_mfma_f32_16x16x16_bf16 a[4:7], v[178:179], v[166:167], a[4:7]
	;; [unrolled: 1-line block ×8, first 2 shown]
	ds_read2st64_b64 v[176:179], v138 offset1:8
	ds_read2st64_b64 v[180:183], v139 offset1:8
	ds_read_b64 v[196:197], v146 offset:40960
	s_waitcnt lgkmcnt(2)
	v_mov_b32_e32 v184, v176
	v_mfma_f32_16x16x16_bf16 a[16:19], v[186:187], v[160:161], a[16:19]
	v_mov_b32_e32 v185, v177
	v_mfma_f32_16x16x16_bf16 a[20:23], v[186:187], v[164:165], a[20:23]
	v_mfma_f32_16x16x16_bf16 a[24:27], v[186:187], v[168:169], a[24:27]
	;; [unrolled: 1-line block ×3, first 2 shown]
	v_add_co_u32_e32 v172, vcc, s41, v198
	s_waitcnt lgkmcnt(1)
	v_mov_b32_e32 v186, v180
	s_waitcnt lgkmcnt(0)
	v_mfma_f32_16x16x16_bf16 a[16:19], v[196:197], v[162:163], a[16:19]
	ds_read2st64_b64 v[160:163], v138 offset0:16 offset1:24
	v_addc_co_u32_e32 v173, vcc, 0, v199, vcc
	v_mfma_f32_16x16x16_bf16 a[32:35], v[196:197], v[166:167], a[20:23]
	ds_read2st64_b64 v[164:167], v139 offset0:16 offset1:24
	v_mov_b32_e32 v187, v181
	v_mov_b32_e32 v180, v178
	v_mfma_f32_16x16x16_bf16 a[24:27], v[196:197], v[170:171], a[24:27]
	v_mov_b32_e32 v181, v179
	s_waitcnt lgkmcnt(0)
	v_mov_b32_e32 v170, v164
	v_mov_b32_e32 v171, v165
	v_mfma_f32_16x16x16_bf16 a[36:39], v[196:197], v[174:175], a[28:31]
	v_mov_b32_e32 v164, v162
	v_mov_b32_e32 v165, v163
	;; [unrolled: 1-line block ×3, first 2 shown]
	v_mfma_f32_16x16x16_bf16 a[20:23], v[194:195], v[74:75], a[16:19]
	v_add_co_u32_e32 v74, vcc, s72, v198
	v_mov_b32_e32 v169, v161
	v_mfma_f32_16x16x16_bf16 a[28:31], v[194:195], v[188:189], a[32:35]
	v_addc_co_u32_e32 v75, vcc, 0, v199, vcc
	global_store_dwordx4 v[74:75], v[164:167], off
	v_mfma_f32_16x16x16_bf16 a[16:19], v[194:195], v[190:191], a[24:27]
	s_waitcnt vmcnt(2)
	v_mov_b32_e32 v76, v69
	v_mov_b32_e32 v75, v68
	;; [unrolled: 1-line block ×3, first 2 shown]
	v_mfma_f32_16x16x16_bf16 a[24:27], v[194:195], v[192:193], a[36:39]
	s_and_b64 vcc, exec, s[0:1]
	global_store_dwordx4 v[198:199], v[184:187], off
	global_store_dwordx4 v[172:173], v[180:183], off offset:-4096
	global_store_dwordx4 v[172:173], v[168:171], off
	s_cbranch_vccnz .LBB153_16
; %bb.15:                               ;   in Loop: Header=BB153_6 Depth=1
	v_lshrrev_b32_e32 v67, 3, v157
	v_and_b32_e32 v67, 6, v67
	v_xor_b32_e32 v68, v67, v158
	v_lshlrev_b32_e32 v68, 2, v68
	v_and_b32_e32 v69, 8, v157
	v_xor_b32_e32 v157, 0x440, v68
	v_cmp_eq_u32_e32 vcc, 0, v69
	v_perm_b32 v69, v54, v50, s69
	s_nop 0
	v_cndmask_b32_e32 v68, v157, v68, vcc
	v_lshl_or_b32 v67, v67, 10, v68
	v_perm_b32 v68, v62, v58, s69
	s_barrier
	ds_write2st64_b32 v67, v68, v69 offset0:128 offset1:160
	v_xor_b32_e32 v68, 8, v67
	v_perm_b32 v58, v62, v58, s70
	v_perm_b32 v50, v54, v50, s70
	v_add_u32_e32 v54, 0x80, v68
	ds_write2st64_b32 v54, v58, v50 offset0:128 offset1:160
	v_xor_b32_e32 v50, 16, v67
	v_perm_b32 v54, v63, v59, s69
	v_perm_b32 v58, v55, v51, s69
	ds_write2st64_b32 v50, v54, v58 offset0:129 offset1:161
	v_xor_b32_e32 v50, 24, v67
	v_perm_b32 v54, v63, v59, s70
	v_perm_b32 v51, v55, v51, s70
	v_add_u32_e32 v50, 0x80, v50
	ds_write2st64_b32 v50, v54, v51 offset0:129 offset1:161
	v_xor_b32_e32 v50, 32, v67
	v_perm_b32 v51, v64, v60, s69
	v_perm_b32 v54, v56, v52, s69
	;; [unrolled: 9-line block ×3, first 2 shown]
	ds_write2st64_b32 v50, v51, v52 offset0:131 offset1:163
	v_xor_b32_e32 v50, 56, v67
	v_perm_b32 v51, v65, v61, s70
	v_perm_b32 v52, v57, v53, s70
	v_add_u32_e32 v50, 0x80, v50
	ds_write2st64_b32 v50, v51, v52 offset0:131 offset1:163
	ds_write_b64 v156, v[46:47] offset:49152
	v_xor_b32_e32 v46, 8, v156
	ds_write_b64 v46, v[48:49] offset:49152
	ds_write_b64 v156, v[42:43] offset:57344
	;; [unrolled: 1-line block ×4, first 2 shown]
	v_xor_b32_e32 v38, 8, v155
	ds_write_b64 v38, v[40:41] offset:49152
	ds_write_b64 v155, v[34:35] offset:57344
	;; [unrolled: 1-line block ×3, first 2 shown]
.LBB153_16:                             ;   in Loop: Header=BB153_6 Depth=1
	v_exp_f32_e32 v68, s48
	s_waitcnt vmcnt(4)
	v_exp_f32_e32 v70, v70
	v_exp_f32_e32 v71, v71
	;; [unrolled: 1-line block ×4, first 2 shown]
	v_accvgpr_read_b32 v37, a3
	v_accvgpr_read_b32 v36, a2
	v_accvgpr_read_b32 v35, a1
	v_accvgpr_read_b32 v34, a0
	v_pk_mul_f32 v[70:71], v[68:69], v[70:71] op_sel_hi:[0,1]
	v_pk_mul_f32 v[72:73], v[68:69], v[72:73] op_sel_hi:[0,1]
	v_pk_fma_f32 v[22:23], v[22:23], v[70:71], v[34:35]
	v_pk_fma_f32 v[24:25], v[24:25], v[72:73], v[36:37]
	v_exp_f32_e32 v34, v66
	v_exp_f32_e32 v35, v74
	;; [unrolled: 1-line block ×4, first 2 shown]
	v_accvgpr_read_b32 v41, a7
	v_accvgpr_read_b32 v45, a11
	;; [unrolled: 1-line block ×28, first 2 shown]
	v_pk_mul_f32 v[34:35], v[68:69], v[34:35] op_sel_hi:[0,1]
	v_pk_mul_f32 v[36:37], v[68:69], v[36:37] op_sel_hi:[0,1]
	s_add_i32 s68, s68, 64
	v_pk_fma_f32 v[18:19], v[70:71], v[18:19], v[38:39]
	v_pk_fma_f32 v[20:21], v[72:73], v[20:21], v[40:41]
	;; [unrolled: 1-line block ×13, first 2 shown]
	s_cmp_eq_u32 s59, s73
	v_pk_fma_f32 v[4:5], v[36:37], v[4:5], v[64:65]
	s_cbranch_scc1 .LBB153_18
; %bb.17:                               ;   in Loop: Header=BB153_6 Depth=1
	s_mov_b32 s74, s73
	s_branch .LBB153_6
.LBB153_18:
	s_lshl_b32 s45, s59, 6
	s_sub_i32 s48, s24, s45
	s_cmp_gt_i32 s48, 0
	s_cbranch_scc0 .LBB153_99
; %bb.19:
	s_ashr_i32 s3, s45, 31
	s_cmpk_lg_i32 s27, 0x80
	s_cselect_b64 s[30:31], -1, 0
	s_and_b64 vcc, exec, s[30:31]
	s_cbranch_vccz .LBB153_21
; %bb.20:
	s_mul_hi_i32 s0, s58, s24
	s_add_u32 s1, s51, s45
	s_addc_u32 s0, s0, s3
	s_mul_i32 s4, s1, s60
	s_mul_hi_u32 s5, s1, s26
	s_add_i32 s4, s5, s4
	s_mul_i32 s0, s0, s26
	s_add_i32 s4, s4, s0
	s_mul_i32 s1, s1, s26
	s_ashr_i32 s0, s61, 31
	s_add_u32 s46, s1, s61
	s_addc_u32 s47, s4, s0
	s_cbranch_execz .LBB153_22
	s_branch .LBB153_23
.LBB153_21:
                                        ; implicit-def: $sgpr46_sgpr47
.LBB153_22:
	s_mul_hi_i32 s0, s58, s26
	s_mul_i32 s58, s58, s26
	s_ashr_i32 s1, s61, 31
	s_add_u32 s4, s58, s61
	s_addc_u32 s0, s0, s1
	s_mul_i32 s1, s4, s57
	s_mul_hi_u32 s5, s4, s24
	s_add_i32 s1, s5, s1
	s_mul_i32 s0, s0, s24
	s_add_i32 s1, s1, s0
	s_mul_i32 s4, s4, s24
	s_add_u32 s46, s4, s45
	s_addc_u32 s47, s1, s3
.LBB153_23:
	s_mul_i32 s0, s42, s57
	s_add_i32 s0, s64, s0
	s_add_i32 s4, s62, s59
	;; [unrolled: 1-line block ×3, first 2 shown]
	s_add_u32 s0, s44, s45
	v_lshlrev_b32_e32 v38, 6, v102
	v_lshlrev_b32_e32 v57, 2, v99
	s_addc_u32 s1, s1, s3
	s_mov_b32 s3, 0x7060302
	v_or_b32_e32 v41, v38, v57
	v_xor_b32_e32 v39, v102, v57
	s_waitcnt vmcnt(7)
	v_perm_b32 v35, v25, v24, s3
	v_perm_b32 v34, v23, v22, s3
	s_waitcnt vmcnt(6)
	v_perm_b32 v37, v13, v12, s3
	v_perm_b32 v36, v11, v10, s3
	v_lshlrev_b32_e32 v41, 1, v41
	v_xor_b32_e32 v40, v103, v57
	ds_write2st64_b64 v41, v[34:35], v[36:37] offset0:32 offset1:48
	v_lshlrev_b32_e32 v39, 1, v39
	v_lshlrev_b32_e32 v41, 8, v99
	v_or_b32_e32 v42, v39, v41
	v_lshlrev_b32_e32 v40, 1, v40
	ds_write_b64 v42, v[34:35]
	v_or_b32_e32 v34, v40, v41
	v_or_b32_e32 v41, 16, v99
	v_lshlrev_b32_e32 v55, 2, v41
	v_or_b32_e32 v42, v38, v55
	ds_write_b64 v34, v[36:37]
	s_waitcnt vmcnt(5)
	v_perm_b32 v35, v21, v20, s3
	v_perm_b32 v34, v19, v18, s3
	s_waitcnt vmcnt(4)
	v_perm_b32 v37, v17, v16, s3
	v_perm_b32 v36, v15, v14, s3
	v_lshlrev_b32_e32 v42, 1, v42
	v_lshlrev_b32_e32 v41, 8, v41
	ds_write2st64_b64 v42, v[34:35], v[36:37] offset0:32 offset1:48
	v_or_b32_e32 v42, v39, v41
	ds_write_b64 v42, v[34:35]
	v_or_b32_e32 v34, v40, v41
	v_or_b32_e32 v41, 32, v99
	v_lshlrev_b32_e32 v54, 2, v41
	v_or_b32_e32 v42, v38, v54
	ds_write_b64 v34, v[36:37]
	s_waitcnt vmcnt(3)
	v_perm_b32 v35, v33, v32, s3
	v_perm_b32 v34, v31, v30, s3
	s_waitcnt vmcnt(2)
	v_perm_b32 v37, v29, v28, s3
	v_perm_b32 v36, v27, v26, s3
	v_lshlrev_b32_e32 v42, 1, v42
	v_lshlrev_b32_e32 v41, 8, v41
	s_lshl_b64 s[28:29], s[0:1], 8
	ds_write2st64_b64 v42, v[34:35], v[36:37] offset0:32 offset1:48
	v_or_b32_e32 v42, v39, v41
	s_add_u32 s0, s18, s28
	ds_write_b64 v42, v[34:35]
	v_or_b32_e32 v34, v40, v41
	s_addc_u32 s1, s19, s29
	ds_write_b64 v34, v[36:37]
	s_waitcnt vmcnt(1)
	v_perm_b32 v35, v9, v8, s3
	v_perm_b32 v34, v7, v6, s3
	s_waitcnt vmcnt(0)
	v_perm_b32 v37, v5, v4, s3
	v_perm_b32 v36, v3, v2, s3
	v_or_b32_e32 v41, 48, v99
	s_mul_hi_i32 s3, s4, s25
	s_mul_i32 s4, s4, s25
	v_lshlrev_b32_e32 v51, 2, v41
	s_add_u32 s4, s4, s33
	v_or_b32_e32 v38, v38, v51
	s_addc_u32 s5, s3, s50
	v_lshlrev_b32_e32 v38, 1, v38
	s_ashr_i32 s3, s2, 31
	s_lshl_b64 s[4:5], s[4:5], 15
	ds_write2st64_b64 v38, v[34:35], v[36:37] offset0:32 offset1:48
	v_lshlrev_b32_e32 v38, 8, v41
	s_add_u32 s4, s12, s4
	v_or_b32_e32 v39, v39, v38
	s_addc_u32 s5, s13, s5
	s_lshl_b64 s[2:3], s[2:3], 8
	ds_write_b64 v39, v[34:35]
	v_or_b32_e32 v34, v40, v38
	s_add_u32 s2, s4, s2
	v_lshlrev_b32_e32 v35, 1, v99
	ds_write_b64 v34, v[36:37]
	v_lshrrev_b32_e32 v34, 4, v0
	s_addc_u32 s3, s5, s3
	v_or_b32_e32 v36, 1, v35
	v_lshlrev_b32_e32 v42, 4, v99
	v_mov_b32_e32 v43, 0
	v_xor_b32_e32 v35, v34, v35
	v_xor_b32_e32 v38, v36, v34
	v_lshl_add_u64 v[44:45], s[2:3], 0, v[42:43]
	v_lshlrev_b32_e32 v42, 8, v34
	v_lshl_or_b32 v48, v35, 3, v42
	v_lshl_or_b32 v49, v38, 3, v42
	s_waitcnt lgkmcnt(0)
	s_barrier
	ds_read2st64_b64 v[34:37], v48 offset1:8
	ds_read2st64_b64 v[38:41], v49 offset1:8
	v_lshl_add_u64 v[46:47], v[44:45], 0, v[42:43]
	s_movk_i32 s2, 0x2000
	s_cmp_lg_u32 s48, 64
	s_waitcnt lgkmcnt(1)
	v_mov_b32_e32 v42, v34
	v_mov_b32_e32 v43, v35
	s_waitcnt lgkmcnt(0)
	v_mov_b32_e32 v44, v38
	v_mov_b32_e32 v45, v39
	global_store_dwordx4 v[46:47], v[42:45], off
	v_mov_b32_e32 v38, v36
	v_mov_b32_e32 v39, v37
	ds_read2st64_b64 v[34:37], v48 offset0:16 offset1:24
	ds_read2st64_b64 v[42:45], v49 offset0:16 offset1:24
	v_add_co_u32_e32 v48, vcc, s2, v46
	s_cselect_b64 s[18:19], -1, 0
	s_nop 0
	v_addc_co_u32_e32 v49, vcc, 0, v47, vcc
	global_store_dwordx4 v[48:49], v[38:41], off offset:-4096
	v_lshl_or_b32 v62, v1, 3, v101
	s_mov_b32 s4, 0
	s_waitcnt lgkmcnt(1)
	v_mov_b32_e32 v38, v34
	v_add_co_u32_e32 v34, vcc, 0x3000, v46
	v_mov_b32_e32 v39, v35
	s_nop 0
	v_addc_co_u32_e32 v35, vcc, 0, v47, vcc
	s_waitcnt lgkmcnt(0)
	v_mov_b32_e32 v40, v42
	v_mov_b32_e32 v41, v43
	;; [unrolled: 1-line block ×4, first 2 shown]
	v_or_b32_e32 v52, 32, v62
	v_and_b32_e32 v50, 56, v100
	s_and_b64 vcc, exec, s[18:19]
	global_store_dwordx4 v[48:49], v[38:41], off
	global_store_dwordx4 v[34:35], v[42:45], off
	s_cbranch_vccz .LBB153_29
; %bb.24:
	s_mov_b32 s6, s4
	s_mov_b32 s7, s4
	;; [unrolled: 1-line block ×3, first 2 shown]
	v_mov_b64_e32 v[40:41], s[6:7]
	v_mov_b64_e32 v[38:39], s[4:5]
	;; [unrolled: 1-line block ×3, first 2 shown]
	v_cmp_gt_i32_e32 vcc, s48, v62
	v_mov_b64_e32 v[36:37], v[40:41]
	s_and_saveexec_b64 s[2:3], vcc
	s_cbranch_execz .LBB153_26
; %bb.25:
	v_lshlrev_b32_e32 v34, 8, v62
	v_mov_b32_e32 v35, 0
	v_lshl_add_u64 v[36:37], s[0:1], 0, v[34:35]
	v_lshlrev_b32_e32 v34, 1, v50
	v_lshl_add_u64 v[42:43], v[36:37], 0, v[34:35]
	global_load_dwordx4 v[38:41], v[42:43], off
	global_load_dwordx4 v[34:37], v[42:43], off offset:128
.LBB153_26:
	s_or_b64 exec, exec, s[2:3]
	s_mov_b32 s6, s4
	s_mov_b32 s7, s4
	s_mov_b32 s5, s4
	v_mov_b64_e32 v[48:49], s[6:7]
	v_mov_b64_e32 v[46:47], s[4:5]
	;; [unrolled: 1-line block ×3, first 2 shown]
	v_cmp_gt_i32_e32 vcc, s48, v52
	v_lshlrev_b32_e32 v53, 7, v52
	v_mov_b64_e32 v[44:45], v[48:49]
	s_and_saveexec_b64 s[2:3], vcc
	s_cbranch_execz .LBB153_28
; %bb.27:
	v_lshlrev_b32_e32 v42, 1, v53
	v_mov_b32_e32 v43, 0
	v_lshl_add_u64 v[44:45], s[0:1], 0, v[42:43]
	v_lshlrev_b32_e32 v42, 1, v50
	v_lshl_add_u64 v[58:59], v[44:45], 0, v[42:43]
	global_load_dwordx4 v[46:49], v[58:59], off
	global_load_dwordx4 v[42:45], v[58:59], off offset:128
.LBB153_28:
	s_or_b64 exec, exec, s[2:3]
	v_lshrrev_b32_e32 v56, 3, v50
	v_lshlrev_b32_e32 v58, 3, v62
	v_or_b32_e32 v56, v58, v56
	v_lshlrev_b32_e32 v56, 4, v56
	v_and_b32_e32 v58, 0x78, v58
	v_xor_b32_e32 v56, v56, v58
	s_branch .LBB153_31
.LBB153_29:
                                        ; implicit-def: $vgpr56
                                        ; implicit-def: $vgpr53
                                        ; implicit-def: $vgpr38_vgpr39_vgpr40_vgpr41
                                        ; implicit-def: $vgpr34_vgpr35_vgpr36_vgpr37
                                        ; implicit-def: $vgpr46_vgpr47_vgpr48_vgpr49
                                        ; implicit-def: $vgpr42_vgpr43_vgpr44_vgpr45
	s_cbranch_execz .LBB153_31
; %bb.30:
	s_waitcnt vmcnt(0)
	v_lshlrev_b32_e32 v34, 1, v50
	v_lshl_or_b32 v53, v62, 8, v34
	s_and_b32 s1, s1, 0xffff
	s_mov_b32 s3, 0x20000
	s_movk_i32 s2, 0x4000
	v_lshl_or_b32 v56, v52, 8, v34
	s_movk_i32 s4, 0x80
	buffer_load_dwordx4 v[38:41], v53, s[0:3], 0 offen
	buffer_load_dwordx4 v[34:37], v53, s[0:3], s4 offen
	buffer_load_dwordx4 v[46:49], v56, s[0:3], 0 offen
	buffer_load_dwordx4 v[42:45], v56, s[0:3], s4 offen
	v_lshrrev_b32_e32 v53, 3, v50
	v_lshlrev_b32_e32 v56, 3, v62
	v_or_b32_e32 v53, v56, v53
	v_lshlrev_b32_e32 v53, 4, v53
	v_and_b32_e32 v56, 0x78, v56
	v_xor_b32_e32 v56, v53, v56
	v_lshlrev_b32_e32 v53, 7, v52
.LBB153_31:
	s_movk_i32 s0, 0x1000
	v_and_or_b32 v52, v53, s0, v56
	s_waitcnt vmcnt(1)
	ds_write_b64 v56, v[38:39] offset:49152
	v_xor_b32_e32 v38, 8, v56
	ds_write_b64 v38, v[40:41] offset:49152
	s_waitcnt vmcnt(0)
	ds_write_b64 v56, v[34:35] offset:57344
	ds_write_b64 v38, v[36:37] offset:57344
	;; [unrolled: 1-line block ×3, first 2 shown]
	v_xor_b32_e32 v34, 8, v52
	ds_write_b64 v34, v[48:49] offset:49152
	ds_write_b64 v52, v[42:43] offset:57344
	;; [unrolled: 1-line block ×3, first 2 shown]
	v_or_b32_e32 v34, v77, v99
	v_lshlrev_b32_e32 v34, 3, v34
	v_lshrrev_b32_e32 v35, 5, v79
	s_movk_i32 s0, 0xf8
	v_and_or_b32 v35, v34, s0, v35
	v_lshlrev_b32_e32 v39, 4, v35
	v_lshlrev_b32_e32 v56, 11, v1
	v_and_b32_e32 v40, 0x78, v34
	v_or_b32_e32 v42, 32, v39
	v_and_b32_e32 v38, 0x1000, v56
	v_lshrrev_b32_e32 v35, 1, v79
	v_xor_b32_e32 v42, v42, v40
	v_xor_b32_e32 v34, v39, v40
	v_and_b32_e32 v41, 8, v35
	v_or_b32_e32 v42, v42, v38
	v_or_b32_e32 v34, v34, v38
	v_xor_b32_e32 v64, v42, v41
	v_or_b32_e32 v42, 64, v39
	v_xor_b32_e32 v63, v34, v41
	v_xor_b32_e32 v42, v42, v40
	s_waitcnt lgkmcnt(0)
	s_barrier
	v_or_b32_e32 v45, v42, v38
	ds_read_b64 v[42:43], v63 offset:49152
	v_lshl_or_b32 v46, v98, 8, v57
	v_lshlrev_b32_e32 v58, 1, v46
	v_add_u32_e32 v44, 0x4000, v58
	ds_read2_b64 v[34:37], v44 offset1:16
	v_or_b32_e32 v39, 0x60, v39
	v_xor_b32_e32 v39, v39, v40
	v_or_b32_e32 v38, v39, v38
	v_xor_b32_e32 v65, v45, v41
	v_xor_b32_e32 v66, v38, v41
	ds_read_b64 v[52:53], v64 offset:49152
	ds_read_b64 v[68:69], v65 offset:49152
	;; [unrolled: 1-line block ×3, first 2 shown]
	s_waitcnt lgkmcnt(3)
	v_mfma_f32_16x16x16_bf16 a[0:3], v[42:43], v[34:35], 0
	ds_read2st64_b64 v[38:41], v58 offset0:36 offset1:40
	s_lshl_b64 s[0:1], s[46:47], 8
	s_add_u32 s4, s16, s0
	v_mfma_f32_16x16x16_bf16 a[4:7], v[42:43], v[36:37], 0
	ds_read2_b64 v[34:37], v44 offset0:32 offset1:48
	s_addc_u32 s5, s17, s1
	s_add_i32 s0, s53, s43
	s_waitcnt lgkmcnt(0)
	v_mfma_f32_16x16x16_bf16 a[8:11], v[42:43], v[34:35], 0
	v_or_b32_e32 v34, 64, v46
	v_lshlrev_b32_e32 v59, 1, v34
	s_add_i32 s17, s24, -1
	v_mfma_f32_16x16x16_bf16 a[12:15], v[42:43], v[36:37], 0
	ds_read2st64_b64 v[34:37], v59 offset0:36 offset1:40
	s_add_i32 s41, s0, s52
	s_add_i32 s0, s55, s54
	v_mfma_f32_16x16x16_bf16 a[0:3], v[52:53], v[38:39], a[0:3]
	v_or_b32_e32 v38, 0x80, v46
	v_lshlrev_b32_e32 v60, 1, v38
	ds_read2st64_b64 v[42:45], v60 offset0:36 offset1:40
	s_waitcnt lgkmcnt(1)
	v_mfma_f32_16x16x16_bf16 a[4:7], v[52:53], v[34:35], a[4:7]
	v_or_b32_e32 v34, 0xc0, v46
	v_lshlrev_b32_e32 v61, 1, v34
	ds_read2st64_b64 v[46:49], v61 offset0:36 offset1:40
	s_add_i32 s39, s0, s56
	s_ashr_i32 s0, s17, 31
	s_mul_i32 s1, s17, s37
	s_mul_hi_u32 s2, s17, s36
	s_add_i32 s1, s2, s1
	s_mul_i32 s0, s0, s36
	s_waitcnt lgkmcnt(1)
	v_mfma_f32_16x16x16_bf16 a[8:11], v[52:53], v[42:43], a[8:11]
	s_add_i32 s1, s1, s0
	s_lshl_b64 s[2:3], s[40:41], 2
	s_add_u32 s6, s22, s2
	s_waitcnt lgkmcnt(0)
	v_mfma_f32_16x16x16_bf16 a[12:15], v[52:53], v[46:47], a[12:15]
	s_addc_u32 s7, s23, s3
	s_lshl_b64 s[2:3], s[38:39], 2
	s_mul_i32 s0, s17, s36
	v_mfma_f32_16x16x16_bf16 a[0:3], v[68:69], v[40:41], a[0:3]
	ds_read_b64 v[34:35], v58 offset:22528
	s_add_u32 s12, s6, s2
	s_addc_u32 s13, s7, s3
	v_mfma_f32_16x16x16_bf16 a[4:7], v[68:69], v[36:37], a[4:7]
	ds_read_b64 v[36:37], v59 offset:22528
	ds_read_b64 v[38:39], v60 offset:22528
	;; [unrolled: 1-line block ×3, first 2 shown]
	s_lshl_b64 s[0:1], s[0:1], 2
	s_add_u32 s0, s12, s0
	v_mfma_f32_16x16x16_bf16 a[8:11], v[68:69], v[44:45], a[8:11]
	s_addc_u32 s1, s13, s1
	s_load_dword s16, s[0:1], 0x0
	s_and_b64 vcc, exec, s[30:31]
	v_mfma_f32_16x16x16_bf16 a[12:15], v[68:69], v[48:49], a[12:15]
	s_waitcnt lgkmcnt(0)
	v_mfma_f32_16x16x16_bf16 a[0:3], v[70:71], v[34:35], a[0:3]
	v_mfma_f32_16x16x16_bf16 a[4:7], v[70:71], v[36:37], a[4:7]
	;; [unrolled: 1-line block ×4, first 2 shown]
	s_cbranch_vccz .LBB153_42
; %bb.32:
	v_lshlrev_b32_e32 v52, 1, v62
	s_and_b64 vcc, exec, s[18:19]
	s_cbranch_vccz .LBB153_43
; %bb.33:
	v_cmp_gt_i32_e32 vcc, s48, v52
	v_mov_b32_e32 v38, 0
	v_mov_b32_e32 v34, 0
	;; [unrolled: 1-line block ×5, first 2 shown]
	s_and_saveexec_b64 s[0:1], vcc
	s_cbranch_execz .LBB153_35
; %bb.34:
	v_mad_i64_i32 v[34:35], s[2:3], s27, v52, 0
	v_lshl_add_u64 v[34:35], v[34:35], 1, s[4:5]
	v_lshlrev_b32_e32 v36, 1, v50
	v_mov_b32_e32 v37, 0
	v_lshl_add_u64 v[34:35], v[34:35], 0, v[36:37]
	global_load_dwordx4 v[34:37], v[34:35], off
.LBB153_35:
	s_or_b64 exec, exec, s[0:1]
	v_or_b32_e32 v53, 1, v52
	v_cmp_gt_i32_e64 s[0:1], s48, v53
	v_mov_b32_e32 v39, 0
	v_mov_b32_e32 v40, 0
	v_mov_b32_e32 v41, 0
	s_and_saveexec_b64 s[2:3], s[0:1]
	s_cbranch_execz .LBB153_37
; %bb.36:
	v_mad_i64_i32 v[38:39], s[6:7], s27, v53, 0
	v_lshl_add_u64 v[38:39], v[38:39], 1, s[4:5]
	v_lshlrev_b32_e32 v40, 1, v50
	v_mov_b32_e32 v41, 0
	v_lshl_add_u64 v[38:39], v[38:39], 0, v[40:41]
	global_load_dwordx4 v[38:41], v[38:39], off
.LBB153_37:
	s_or_b64 exec, exec, s[2:3]
	v_mov_b32_e32 v49, 0
	v_mov_b32_e32 v42, 0
	;; [unrolled: 1-line block ×5, first 2 shown]
	s_and_saveexec_b64 s[2:3], vcc
	s_cbranch_execz .LBB153_39
; %bb.38:
	v_mad_i64_i32 v[42:43], s[6:7], s27, v52, 0
	v_lshl_add_u64 v[42:43], v[42:43], 1, s[4:5]
	v_lshlrev_b32_e32 v44, 1, v50
	v_mov_b32_e32 v45, 0
	v_lshl_add_u64 v[42:43], v[42:43], 0, v[44:45]
	global_load_dwordx4 v[42:45], v[42:43], off offset:128
.LBB153_39:
	s_or_b64 exec, exec, s[2:3]
	v_mov_b32_e32 v48, 0
	v_mov_b32_e32 v47, 0
	;; [unrolled: 1-line block ×3, first 2 shown]
	s_and_saveexec_b64 s[2:3], s[0:1]
	s_cbranch_execz .LBB153_41
; %bb.40:
	v_mad_i64_i32 v[46:47], s[0:1], s27, v53, 0
	v_lshl_add_u64 v[46:47], v[46:47], 1, s[4:5]
	v_lshlrev_b32_e32 v48, 1, v50
	v_mov_b32_e32 v49, 0
	v_lshl_add_u64 v[46:47], v[46:47], 0, v[48:49]
	global_load_dwordx4 v[46:49], v[46:47], off offset:128
.LBB153_41:
	s_or_b64 exec, exec, s[2:3]
	s_branch .LBB153_45
.LBB153_42:
                                        ; implicit-def: $vgpr37
                                        ; implicit-def: $vgpr41
                                        ; implicit-def: $vgpr45
                                        ; implicit-def: $vgpr49
	v_lshrrev_b32_e32 v67, 2, v79
	s_branch .LBB153_46
.LBB153_43:
                                        ; implicit-def: $vgpr37
                                        ; implicit-def: $vgpr41
                                        ; implicit-def: $vgpr45
                                        ; implicit-def: $vgpr49
	s_cbranch_execz .LBB153_45
; %bb.44:
	s_waitcnt vmcnt(0)
	v_mad_u64_u32 v[34:35], s[0:1], v52, s27, v[50:51]
	v_lshlrev_b32_e32 v52, 1, v34
	s_lshl_b32 s2, s27, 7
	s_and_b32 s1, s5, 0xffff
	s_mov_b32 s3, 0x20000
	s_mov_b32 s0, s4
	v_add_lshl_u32 v53, v34, s27, 1
	s_movk_i32 s6, 0x80
	buffer_load_dwordx4 v[34:37], v52, s[0:3], 0 offen
	buffer_load_dwordx4 v[42:45], v52, s[0:3], s6 offen
	;; [unrolled: 1-line block ×4, first 2 shown]
.LBB153_45:
	v_lshrrev_b32_e32 v67, 2, v79
	s_cbranch_execnz .LBB153_58
.LBB153_46:
	s_and_b64 vcc, exec, s[18:19]
	s_cbranch_vccz .LBB153_56
; %bb.47:
	s_waitcnt vmcnt(0)
	v_lshlrev_b32_e32 v39, 1, v62
	v_cmp_gt_i32_e32 vcc, s48, v39
	v_mov_b32_e32 v38, 0
	v_lshlrev_b32_e32 v46, 9, v62
	v_mov_b32_e32 v34, 0
	v_mov_b32_e32 v35, 0
	;; [unrolled: 1-line block ×4, first 2 shown]
	s_and_saveexec_b64 s[0:1], vcc
	s_cbranch_execz .LBB153_49
; %bb.48:
	v_mov_b32_e32 v47, 0
	v_lshl_add_u64 v[34:35], s[4:5], 0, v[46:47]
	v_lshlrev_b32_e32 v36, 1, v50
	v_mov_b32_e32 v37, v47
	v_lshl_add_u64 v[34:35], v[34:35], 0, v[36:37]
	global_load_dwordx4 v[34:37], v[34:35], off
.LBB153_49:
	s_or_b64 exec, exec, s[0:1]
	v_or_b32_e32 v39, 1, v39
	v_cmp_gt_i32_e64 s[0:1], s48, v39
	v_lshlrev_b32_e32 v52, 8, v39
	v_mov_b32_e32 v39, 0
	v_mov_b32_e32 v40, 0
	;; [unrolled: 1-line block ×3, first 2 shown]
	s_and_saveexec_b64 s[2:3], s[0:1]
	s_cbranch_execz .LBB153_51
; %bb.50:
	v_mov_b32_e32 v53, 0
	v_lshl_add_u64 v[38:39], s[4:5], 0, v[52:53]
	v_lshlrev_b32_e32 v40, 1, v50
	v_mov_b32_e32 v41, v53
	v_lshl_add_u64 v[38:39], v[38:39], 0, v[40:41]
	global_load_dwordx4 v[38:41], v[38:39], off
.LBB153_51:
	s_or_b64 exec, exec, s[2:3]
	v_mov_b32_e32 v49, 0
	v_mov_b32_e32 v42, 0
	;; [unrolled: 1-line block ×5, first 2 shown]
	s_and_saveexec_b64 s[2:3], vcc
	s_cbranch_execz .LBB153_53
; %bb.52:
	v_mov_b32_e32 v47, 0
	v_lshl_add_u64 v[42:43], s[4:5], 0, v[46:47]
	v_lshlrev_b32_e32 v46, 1, v50
	v_lshl_add_u64 v[42:43], v[42:43], 0, v[46:47]
	global_load_dwordx4 v[42:45], v[42:43], off offset:128
.LBB153_53:
	s_or_b64 exec, exec, s[2:3]
	v_mov_b32_e32 v48, 0
	v_mov_b32_e32 v47, 0
	;; [unrolled: 1-line block ×3, first 2 shown]
	s_and_saveexec_b64 s[2:3], s[0:1]
	s_cbranch_execz .LBB153_55
; %bb.54:
	v_mov_b32_e32 v53, 0
	v_lshl_add_u64 v[46:47], s[4:5], 0, v[52:53]
	v_lshlrev_b32_e32 v52, 1, v50
	v_lshl_add_u64 v[46:47], v[46:47], 0, v[52:53]
	global_load_dwordx4 v[46:49], v[46:47], off offset:128
.LBB153_55:
	s_or_b64 exec, exec, s[2:3]
	s_branch .LBB153_58
.LBB153_56:
                                        ; implicit-def: $vgpr37
                                        ; implicit-def: $vgpr41
                                        ; implicit-def: $vgpr45
                                        ; implicit-def: $vgpr49
	s_cbranch_execz .LBB153_58
; %bb.57:
	s_waitcnt vmcnt(0)
	v_lshlrev_b32_e32 v34, 1, v50
	v_lshl_or_b32 v50, v62, 9, v34
	s_and_b32 s5, s5, 0xffff
	s_mov_b32 s7, 0x20000
	s_movk_i32 s6, 0x4000
	s_movk_i32 s0, 0x80
	buffer_load_dwordx4 v[34:37], v50, s[4:7], 0 offen
	buffer_load_dwordx4 v[38:41], v50, s[4:7], 0 offen offset:256
	buffer_load_dwordx4 v[42:45], v50, s[4:7], s0 offen
	buffer_load_dwordx4 v[46:49], v50, s[4:7], s0 offen offset:256
.LBB153_58:
	ds_read_b64 v[52:53], v63 offset:57344
	v_add_u32_e32 v50, 0x6000, v58
	ds_read2_b64 v[68:71], v50 offset1:16
	ds_read_b64 v[94:95], v64 offset:57344
	ds_read_b64 v[96:97], v65 offset:57344
	;; [unrolled: 1-line block ×3, first 2 shown]
	v_and_b32_e32 v63, 6, v0
	v_xor_b32_e32 v62, v62, v63
	v_lshlrev_b32_e32 v62, 2, v62
	s_mov_b32 s0, 0x1000504
	s_mov_b32 s1, 0x3020706
	s_waitcnt lgkmcnt(3)
	v_mfma_f32_16x16x16_bf16 a[0:3], v[52:53], v[68:69], a[0:3]
	v_mfma_f32_16x16x16_bf16 a[4:7], v[52:53], v[70:71], a[4:7]
	ds_read2_b64 v[68:71], v50 offset0:32 offset1:48
	v_and_b32_e32 v50, 12, v67
	ds_read2st64_b64 v[64:67], v58 offset0:52 offset1:56
	s_waitcnt lgkmcnt(1)
	v_mfma_f32_16x16x16_bf16 a[8:11], v[52:53], v[68:69], a[8:11]
	v_mfma_f32_16x16x16_bf16 a[12:15], v[52:53], v[70:71], a[12:15]
	ds_read2st64_b64 v[68:71], v59 offset0:52 offset1:56
	ds_read2st64_b64 v[72:75], v60 offset0:52 offset1:56
	;; [unrolled: 1-line block ×3, first 2 shown]
	s_waitcnt lgkmcnt(3)
	v_mfma_f32_16x16x16_bf16 a[0:3], v[94:95], v[64:65], a[0:3]
	ds_read_b64 v[52:53], v58 offset:30720
	ds_read_b64 v[64:65], v59 offset:30720
	;; [unrolled: 1-line block ×4, first 2 shown]
	s_waitcnt lgkmcnt(6)
	v_mfma_f32_16x16x16_bf16 a[4:7], v[94:95], v[68:69], a[4:7]
	v_and_b32_e32 v68, 1, v0
	v_xor_b32_e32 v69, 0x440, v62
	v_cmp_eq_u32_e32 vcc, 0, v68
	s_waitcnt lgkmcnt(5)
	v_mfma_f32_16x16x16_bf16 a[8:11], v[94:95], v[72:73], a[8:11]
	v_cndmask_b32_e32 v62, v69, v62, vcc
	v_lshl_or_b32 v62, v63, 10, v62
	s_waitcnt lgkmcnt(4)
	v_mfma_f32_16x16x16_bf16 a[12:15], v[94:95], v[90:91], a[12:15]
	s_waitcnt vmcnt(0)
	v_perm_b32 v63, v34, v38, s0
	v_perm_b32 v34, v34, v38, s1
	;; [unrolled: 1-line block ×3, first 2 shown]
	v_mfma_f32_16x16x16_bf16 a[0:3], v[96:97], v[66:67], a[0:3]
	v_perm_b32 v66, v42, v46, s0
	ds_write2st64_b32 v62, v63, v66 offset0:128 offset1:160
	v_xor_b32_e32 v63, 8, v62
	v_add_u32_e32 v42, 0x80, v63
	ds_write2st64_b32 v42, v34, v38 offset0:128 offset1:160
	v_xor_b32_e32 v34, 16, v62
	v_perm_b32 v38, v35, v39, s0
	v_perm_b32 v42, v43, v47, s0
	v_mfma_f32_16x16x16_bf16 a[4:7], v[96:97], v[70:71], a[4:7]
	ds_write2st64_b32 v34, v38, v42 offset0:129 offset1:161
	v_xor_b32_e32 v34, 24, v62
	v_perm_b32 v35, v35, v39, s1
	v_mfma_f32_16x16x16_bf16 a[16:19], v[96:97], v[74:75], a[8:11]
	v_perm_b32 v38, v43, v47, s1
	v_add_u32_e32 v34, 0x80, v34
	ds_write2st64_b32 v34, v35, v38 offset0:129 offset1:161
	v_mfma_f32_16x16x16_bf16 a[20:23], v[96:97], v[92:93], a[12:15]
	v_xor_b32_e32 v34, 32, v62
	v_perm_b32 v35, v36, v40, s0
	v_perm_b32 v38, v44, v48, s0
	ds_write2st64_b32 v34, v35, v38 offset0:130 offset1:162
	v_xor_b32_e32 v34, 40, v62
	s_waitcnt lgkmcnt(8)
	v_mfma_f32_16x16x16_bf16 a[12:15], v[98:99], v[52:53], a[0:3]
	v_perm_b32 v35, v36, v40, s1
	v_perm_b32 v36, v44, v48, s1
	v_add_u32_e32 v34, 0x80, v34
	s_waitcnt lgkmcnt(7)
	v_mfma_f32_16x16x16_bf16 a[8:11], v[98:99], v[64:65], a[4:7]
	ds_write2st64_b32 v34, v35, v36 offset0:130 offset1:162
	v_xor_b32_e32 v34, 48, v62
	v_perm_b32 v35, v37, v41, s0
	s_waitcnt lgkmcnt(7)
	v_mfma_f32_16x16x16_bf16 a[4:7], v[98:99], v[100:101], a[16:19]
	v_perm_b32 v36, v45, v49, s0
	ds_write2st64_b32 v34, v35, v36 offset0:131 offset1:163
	v_xor_b32_e32 v34, 56, v62
	s_waitcnt lgkmcnt(7)
	v_mfma_f32_16x16x16_bf16 a[0:3], v[98:99], v[102:103], a[20:23]
	v_or_b32_e32 v52, v50, v77
	v_perm_b32 v35, v37, v41, s1
	v_perm_b32 v36, v45, v49, s1
	v_add_u32_e32 v34, 0x80, v34
	v_cmp_gt_i32_e64 s[0:1], s48, v52
	v_mov_b32_e32 v62, 0
	v_mov_b32_e32 v63, 0
	ds_write2st64_b32 v34, v35, v36 offset0:131 offset1:163
	s_and_saveexec_b64 s[2:3], s[0:1]
	s_cbranch_execz .LBB153_60
; %bb.59:
	v_add_u32_e32 v34, s45, v52
	v_ashrrev_i32_e32 v35, 31, v34
	v_mul_lo_u32 v36, v35, s36
	v_mul_lo_u32 v37, v34, s37
	v_mad_u64_u32 v[34:35], s[4:5], v34, s36, 0
	v_add3_u32 v35, v35, v37, v36
	v_lshl_add_u64 v[34:35], v[34:35], 2, s[12:13]
	global_load_dword v34, v[34:35], off
	s_waitcnt vmcnt(0)
	v_sub_f32_e32 v34, s16, v34
	v_exp_f32_e32 v63, v34
.LBB153_60:
	s_or_b64 exec, exec, s[2:3]
	v_or_b32_e32 v46, 1, v52
	v_cmp_gt_i32_e64 s[4:5], s48, v46
	s_and_saveexec_b64 s[2:3], s[4:5]
	s_cbranch_execz .LBB153_62
; %bb.61:
	v_add_u32_e32 v34, s45, v46
	v_ashrrev_i32_e32 v35, 31, v34
	v_mul_lo_u32 v36, v35, s36
	v_mul_lo_u32 v37, v34, s37
	v_mad_u64_u32 v[34:35], s[6:7], v34, s36, 0
	v_add3_u32 v35, v35, v37, v36
	v_lshl_add_u64 v[34:35], v[34:35], 2, s[12:13]
	global_load_dword v34, v[34:35], off
	s_waitcnt vmcnt(0)
	v_sub_f32_e32 v34, s16, v34
	v_exp_f32_e32 v62, v34
.LBB153_62:
	s_or_b64 exec, exec, s[2:3]
	v_or_b32_e32 v42, 2, v52
	v_cmp_gt_i32_e64 s[2:3], s48, v42
	v_mov_b32_e32 v53, 0
	v_mov_b32_e32 v64, 0
	s_and_saveexec_b64 s[6:7], s[2:3]
	s_cbranch_execz .LBB153_64
; %bb.63:
	v_add_u32_e32 v34, s45, v42
	v_ashrrev_i32_e32 v35, 31, v34
	v_mul_lo_u32 v36, v35, s36
	v_mul_lo_u32 v37, v34, s37
	v_mad_u64_u32 v[34:35], s[18:19], v34, s36, 0
	v_add3_u32 v35, v35, v37, v36
	v_lshl_add_u64 v[34:35], v[34:35], 2, s[12:13]
	global_load_dword v34, v[34:35], off
	s_waitcnt vmcnt(0)
	v_sub_f32_e32 v34, s16, v34
	v_exp_f32_e32 v64, v34
.LBB153_64:
	s_or_b64 exec, exec, s[6:7]
	v_or_b32_e32 v43, 3, v52
	v_cmp_gt_i32_e32 vcc, s48, v43
	s_and_saveexec_b64 s[6:7], vcc
	s_cbranch_execz .LBB153_66
; %bb.65:
	v_add_u32_e32 v34, s45, v43
	v_ashrrev_i32_e32 v35, 31, v34
	v_mul_lo_u32 v36, v35, s36
	v_mul_lo_u32 v37, v34, s37
	v_mad_u64_u32 v[34:35], s[18:19], v34, s36, 0
	v_add3_u32 v35, v35, v37, v36
	v_lshl_add_u64 v[34:35], v[34:35], 2, s[12:13]
	global_load_dword v34, v[34:35], off
	s_waitcnt vmcnt(0)
	v_sub_f32_e32 v34, s16, v34
	v_exp_f32_e32 v53, v34
.LBB153_66:
	s_or_b64 exec, exec, s[6:7]
	s_add_u32 s6, s20, s28
	s_addc_u32 s7, s21, s29
	s_add_u32 s12, s14, s28
	v_ashrrev_i32_e32 v89, 31, v88
	v_accvgpr_read_b32 v37, a15
	s_addc_u32 s13, s15, s29
	v_lshlrev_b64 v[38:39], 1, v[88:89]
	v_accvgpr_read_b32 v36, a14
	v_accvgpr_read_b32 v35, a13
	;; [unrolled: 1-line block ×3, first 2 shown]
	v_lshl_add_u64 v[40:41], s[6:7], 0, v[38:39]
	v_lshl_add_u64 v[38:39], s[12:13], 0, v[38:39]
	v_mov_b32_e32 v47, 0
	v_lshlrev_b32_e32 v44, 8, v52
	v_mov_b32_e32 v45, 0
	s_and_saveexec_b64 s[6:7], s[0:1]
	s_cbranch_execz .LBB153_68
; %bb.67:
	v_mov_b32_e32 v45, 0
	v_lshl_add_u64 v[48:49], v[40:41], 0, v[44:45]
	global_load_ushort v65, v[48:49], off
	v_lshl_add_u64 v[48:49], v[38:39], 0, v[44:45]
	s_waitcnt vmcnt(0)
	v_lshlrev_b32_e32 v45, 16, v65
	v_sub_f32_e32 v34, v45, v34
	global_store_short_d16_hi v[48:49], v34, off
	v_mul_f32_e32 v34, v63, v34
	v_lshrrev_b32_e32 v45, 16, v34
.LBB153_68:
	s_or_b64 exec, exec, s[6:7]
	v_lshlrev_b32_e32 v46, 8, v46
	s_and_saveexec_b64 s[6:7], s[4:5]
	s_cbranch_execz .LBB153_70
; %bb.69:
	v_mov_b32_e32 v47, 0
	v_lshl_add_u64 v[48:49], v[40:41], 0, v[46:47]
	global_load_ushort v34, v[48:49], off
	v_lshl_add_u64 v[48:49], v[38:39], 0, v[46:47]
	s_waitcnt vmcnt(0)
	v_lshlrev_b32_e32 v34, 16, v34
	v_sub_f32_e32 v34, v34, v35
	global_store_short_d16_hi v[48:49], v34, off
	v_mul_f32_e32 v34, v62, v34
	v_lshrrev_b32_e32 v47, 16, v34
.LBB153_70:
	s_or_b64 exec, exec, s[6:7]
	v_mov_b32_e32 v66, 0
	v_lshlrev_b32_e32 v48, 8, v42
	v_mov_b32_e32 v49, 0
	s_and_saveexec_b64 s[6:7], s[2:3]
	s_cbranch_execz .LBB153_72
; %bb.71:
	v_mov_b32_e32 v49, 0
	v_lshl_add_u64 v[34:35], v[40:41], 0, v[48:49]
	global_load_ushort v42, v[34:35], off
	v_lshl_add_u64 v[34:35], v[38:39], 0, v[48:49]
	s_waitcnt vmcnt(0)
	v_lshlrev_b32_e32 v42, 16, v42
	v_sub_f32_e32 v36, v42, v36
	global_store_short_d16_hi v[34:35], v36, off
	v_mul_f32_e32 v34, v64, v36
	v_lshrrev_b32_e32 v49, 16, v34
.LBB153_72:
	s_or_b64 exec, exec, s[6:7]
	v_lshlrev_b32_e32 v42, 8, v43
	s_and_saveexec_b64 s[6:7], vcc
	s_cbranch_execz .LBB153_74
; %bb.73:
	v_mov_b32_e32 v43, 0
	v_lshl_add_u64 v[34:35], v[40:41], 0, v[42:43]
	global_load_ushort v36, v[34:35], off
	v_lshl_add_u64 v[34:35], v[38:39], 0, v[42:43]
	s_waitcnt vmcnt(0)
	v_lshlrev_b32_e32 v36, 16, v36
	v_sub_f32_e32 v36, v36, v37
	global_store_short_d16_hi v[34:35], v36, off
	v_mul_f32_e32 v34, v53, v36
	v_lshrrev_b32_e32 v66, 16, v34
.LBB153_74:
	s_or_b64 exec, exec, s[6:7]
	v_lshlrev_b32_e32 v65, 6, v52
	v_accvgpr_read_b32 v37, a11
	s_mov_b32 s6, 0x5040100
	v_or_b32_e32 v43, v65, v57
	v_accvgpr_read_b32 v36, a10
	v_accvgpr_read_b32 v35, a9
	;; [unrolled: 1-line block ×3, first 2 shown]
	v_perm_b32 v67, v66, v49, s6
	v_perm_b32 v66, v47, v45, s6
	v_lshlrev_b32_e32 v43, 1, v43
	v_mov_b32_e32 v47, 0
	v_mov_b32_e32 v45, 0
	ds_write_b64 v43, v[66:67] offset:24576
	s_and_saveexec_b64 s[6:7], s[0:1]
	s_cbranch_execz .LBB153_76
; %bb.75:
	v_mov_b32_e32 v45, 0
	v_lshl_add_u64 v[66:67], v[40:41], 0, v[44:45]
	global_load_ushort v43, v[66:67], off offset:32
	v_lshl_add_u64 v[66:67], v[38:39], 0, v[44:45]
	s_waitcnt vmcnt(0)
	v_lshlrev_b32_e32 v43, 16, v43
	v_sub_f32_e32 v34, v43, v34
	global_store_short_d16_hi v[66:67], v34, off offset:32
	v_mul_f32_e32 v34, v63, v34
	v_lshrrev_b32_e32 v45, 16, v34
.LBB153_76:
	s_or_b64 exec, exec, s[6:7]
	s_and_saveexec_b64 s[6:7], s[4:5]
	s_cbranch_execz .LBB153_78
; %bb.77:
	v_mov_b32_e32 v47, 0
	v_lshl_add_u64 v[66:67], v[40:41], 0, v[46:47]
	global_load_ushort v34, v[66:67], off offset:32
	v_lshl_add_u64 v[66:67], v[38:39], 0, v[46:47]
	s_waitcnt vmcnt(0)
	v_lshlrev_b32_e32 v34, 16, v34
	v_sub_f32_e32 v34, v34, v35
	global_store_short_d16_hi v[66:67], v34, off offset:32
	v_mul_f32_e32 v34, v62, v34
	v_lshrrev_b32_e32 v47, 16, v34
.LBB153_78:
	s_or_b64 exec, exec, s[6:7]
	v_mov_b32_e32 v43, 0
	v_mov_b32_e32 v49, 0
	s_and_saveexec_b64 s[6:7], s[2:3]
	s_cbranch_execz .LBB153_80
; %bb.79:
	v_mov_b32_e32 v49, 0
	v_lshl_add_u64 v[34:35], v[40:41], 0, v[48:49]
	global_load_ushort v57, v[34:35], off offset:32
	v_lshl_add_u64 v[34:35], v[38:39], 0, v[48:49]
	s_waitcnt vmcnt(0)
	v_lshlrev_b32_e32 v49, 16, v57
	v_sub_f32_e32 v36, v49, v36
	global_store_short_d16_hi v[34:35], v36, off offset:32
	v_mul_f32_e32 v34, v64, v36
	v_lshrrev_b32_e32 v49, 16, v34
.LBB153_80:
	s_or_b64 exec, exec, s[6:7]
	s_and_saveexec_b64 s[6:7], vcc
	s_cbranch_execz .LBB153_82
; %bb.81:
	v_mov_b32_e32 v43, 0
	v_lshl_add_u64 v[34:35], v[40:41], 0, v[42:43]
	global_load_ushort v36, v[34:35], off offset:32
	v_lshl_add_u64 v[34:35], v[38:39], 0, v[42:43]
	s_waitcnt vmcnt(0)
	v_lshlrev_b32_e32 v36, 16, v36
	v_sub_f32_e32 v36, v36, v37
	global_store_short_d16_hi v[34:35], v36, off offset:32
	v_mul_f32_e32 v34, v53, v36
	v_lshrrev_b32_e32 v43, 16, v34
.LBB153_82:
	s_or_b64 exec, exec, s[6:7]
	s_mov_b32 s6, 0x5040100
	v_accvgpr_read_b32 v37, a7
	v_perm_b32 v67, v43, v49, s6
	v_or_b32_e32 v43, v65, v55
	v_accvgpr_read_b32 v36, a6
	v_accvgpr_read_b32 v35, a5
	;; [unrolled: 1-line block ×3, first 2 shown]
	v_perm_b32 v66, v47, v45, s6
	v_lshlrev_b32_e32 v43, 1, v43
	v_mov_b32_e32 v47, 0
	v_mov_b32_e32 v45, 0
	ds_write_b64 v43, v[66:67] offset:24576
	s_and_saveexec_b64 s[6:7], s[0:1]
	s_cbranch_execz .LBB153_84
; %bb.83:
	v_mov_b32_e32 v45, 0
	v_lshl_add_u64 v[66:67], v[40:41], 0, v[44:45]
	global_load_ushort v43, v[66:67], off offset:64
	v_lshl_add_u64 v[66:67], v[38:39], 0, v[44:45]
	s_waitcnt vmcnt(0)
	v_lshlrev_b32_e32 v43, 16, v43
	v_sub_f32_e32 v34, v43, v34
	global_store_short_d16_hi v[66:67], v34, off offset:64
	v_mul_f32_e32 v34, v63, v34
	v_lshrrev_b32_e32 v45, 16, v34
.LBB153_84:
	s_or_b64 exec, exec, s[6:7]
	s_and_saveexec_b64 s[6:7], s[4:5]
	s_cbranch_execz .LBB153_86
; %bb.85:
	v_mov_b32_e32 v47, 0
	v_lshl_add_u64 v[66:67], v[40:41], 0, v[46:47]
	global_load_ushort v34, v[66:67], off offset:64
	v_lshl_add_u64 v[66:67], v[38:39], 0, v[46:47]
	s_waitcnt vmcnt(0)
	v_lshlrev_b32_e32 v34, 16, v34
	v_sub_f32_e32 v34, v34, v35
	global_store_short_d16_hi v[66:67], v34, off offset:64
	v_mul_f32_e32 v34, v62, v34
	v_lshrrev_b32_e32 v47, 16, v34
.LBB153_86:
	s_or_b64 exec, exec, s[6:7]
	v_mov_b32_e32 v43, 0
	v_mov_b32_e32 v49, 0
	s_and_saveexec_b64 s[6:7], s[2:3]
	s_cbranch_execz .LBB153_88
; %bb.87:
	v_mov_b32_e32 v49, 0
	v_lshl_add_u64 v[34:35], v[40:41], 0, v[48:49]
	global_load_ushort v55, v[34:35], off offset:64
	v_lshl_add_u64 v[34:35], v[38:39], 0, v[48:49]
	s_waitcnt vmcnt(0)
	v_lshlrev_b32_e32 v49, 16, v55
	v_sub_f32_e32 v36, v49, v36
	global_store_short_d16_hi v[34:35], v36, off offset:64
	v_mul_f32_e32 v34, v64, v36
	v_lshrrev_b32_e32 v49, 16, v34
.LBB153_88:
	s_or_b64 exec, exec, s[6:7]
	s_and_saveexec_b64 s[6:7], vcc
	s_cbranch_execz .LBB153_90
; %bb.89:
	v_mov_b32_e32 v43, 0
	v_lshl_add_u64 v[34:35], v[40:41], 0, v[42:43]
	global_load_ushort v36, v[34:35], off offset:64
	v_lshl_add_u64 v[34:35], v[38:39], 0, v[42:43]
	s_waitcnt vmcnt(0)
	v_lshlrev_b32_e32 v36, 16, v36
	v_sub_f32_e32 v36, v36, v37
	global_store_short_d16_hi v[34:35], v36, off offset:64
	v_mul_f32_e32 v34, v53, v36
	v_lshrrev_b32_e32 v43, 16, v34
.LBB153_90:
	s_or_b64 exec, exec, s[6:7]
	s_mov_b32 s6, 0x5040100
	v_accvgpr_read_b32 v37, a3
	v_perm_b32 v67, v43, v49, s6
	v_or_b32_e32 v43, v65, v54
	v_accvgpr_read_b32 v36, a2
	v_accvgpr_read_b32 v35, a1
	;; [unrolled: 1-line block ×3, first 2 shown]
	v_perm_b32 v66, v47, v45, s6
	v_lshlrev_b32_e32 v43, 1, v43
	v_mov_b32_e32 v47, 0
	v_mov_b32_e32 v45, 0
	ds_write_b64 v43, v[66:67] offset:24576
	s_and_saveexec_b64 s[6:7], s[0:1]
	s_cbranch_execz .LBB153_92
; %bb.91:
	v_mov_b32_e32 v45, 0
	v_lshl_add_u64 v[54:55], v[40:41], 0, v[44:45]
	global_load_ushort v43, v[54:55], off offset:96
	v_lshl_add_u64 v[44:45], v[38:39], 0, v[44:45]
	s_waitcnt vmcnt(0)
	v_lshlrev_b32_e32 v43, 16, v43
	v_sub_f32_e32 v34, v43, v34
	global_store_short_d16_hi v[44:45], v34, off offset:96
	v_mul_f32_e32 v34, v63, v34
	v_lshrrev_b32_e32 v45, 16, v34
.LBB153_92:
	s_or_b64 exec, exec, s[6:7]
	s_and_saveexec_b64 s[0:1], s[4:5]
	s_cbranch_execz .LBB153_94
; %bb.93:
	v_mov_b32_e32 v47, 0
	v_lshl_add_u64 v[54:55], v[40:41], 0, v[46:47]
	global_load_ushort v34, v[54:55], off offset:96
	v_lshl_add_u64 v[46:47], v[38:39], 0, v[46:47]
	s_waitcnt vmcnt(0)
	v_lshlrev_b32_e32 v34, 16, v34
	v_sub_f32_e32 v34, v34, v35
	global_store_short_d16_hi v[46:47], v34, off offset:96
	v_mul_f32_e32 v34, v62, v34
	v_lshrrev_b32_e32 v47, 16, v34
.LBB153_94:
	s_or_b64 exec, exec, s[0:1]
	v_mov_b32_e32 v43, 0
	v_mov_b32_e32 v46, 0
	s_and_saveexec_b64 s[0:1], s[2:3]
	s_cbranch_execz .LBB153_96
; %bb.95:
	v_mov_b32_e32 v49, 0
	v_lshl_add_u64 v[34:35], v[40:41], 0, v[48:49]
	global_load_ushort v44, v[34:35], off offset:96
	v_lshl_add_u64 v[34:35], v[38:39], 0, v[48:49]
	s_waitcnt vmcnt(0)
	v_lshlrev_b32_e32 v44, 16, v44
	v_sub_f32_e32 v36, v44, v36
	global_store_short_d16_hi v[34:35], v36, off offset:96
	v_mul_f32_e32 v34, v64, v36
	v_lshrrev_b32_e32 v46, 16, v34
.LBB153_96:
	s_or_b64 exec, exec, s[0:1]
	v_or_b32_e32 v34, 0x6000, v58
	v_or_b32_e32 v35, 0x6000, v59
	;; [unrolled: 1-line block ×4, first 2 shown]
	s_and_saveexec_b64 s[0:1], vcc
	s_cbranch_execz .LBB153_98
; %bb.97:
	v_mov_b32_e32 v43, 0
	v_lshl_add_u64 v[40:41], v[40:41], 0, v[42:43]
	global_load_ushort v40, v[40:41], off offset:96
	v_lshl_add_u64 v[38:39], v[38:39], 0, v[42:43]
	s_waitcnt vmcnt(0)
	v_lshlrev_b32_e32 v40, 16, v40
	v_sub_f32_e32 v37, v40, v37
	global_store_short_d16_hi v[38:39], v37, off offset:96
	v_mul_f32_e32 v37, v53, v37
	v_lshrrev_b32_e32 v43, 16, v37
.LBB153_98:
	s_or_b64 exec, exec, s[0:1]
	s_mov_b32 s0, 0x5040100
	v_or_b32_e32 v37, v65, v51
	v_perm_b32 v39, v43, v46, s0
	v_perm_b32 v38, v47, v45, s0
	v_lshlrev_b32_e32 v37, 1, v37
	ds_write_b64 v37, v[38:39] offset:24576
	v_and_b32_e32 v37, 7, v0
	v_and_b32_e32 v42, 8, v0
	v_lshlrev_b32_e32 v45, 3, v37
	v_lshlrev_b32_e32 v79, 7, v37
	v_lshrrev_b32_e32 v37, 1, v0
	v_and_b32_e32 v37, 24, v37
	v_mov_b32_e32 v43, 0x400
	v_cmp_eq_u32_e32 vcc, 0, v42
	s_movk_i32 s2, 0x100
	v_lshlrev_b32_e32 v53, 3, v1
	v_cndmask_b32_e64 v51, v43, 64, vcc
	v_mov_b32_e32 v42, 0xa000
	v_mov_b32_e32 v43, 0x8000
	v_cmp_gt_u32_e64 s[0:1], s2, v0
	v_xor_b32_e32 v57, v53, v37
	v_or_b32_e32 v46, 32, v37
	v_cndmask_b32_e64 v0, v42, v43, s[0:1]
	v_or_b32_e32 v42, 0x440, v57
	v_cndmask_b32_e32 v42, v42, v57, vcc
	v_or_b32_e32 v42, v42, v56
	v_xor_b32_e32 v90, v42, v45
	v_xor_b32_e32 v46, v53, v46
	v_add3_u32 v42, v0, v90, v79
	v_or_b32_e32 v47, 0x440, v46
	s_waitcnt lgkmcnt(0)
	s_barrier
	ds_read_b64 v[42:43], v42
	v_cndmask_b32_e32 v46, v47, v46, vcc
	v_or_b32_e32 v46, v46, v56
	v_xor_b32_e32 v91, v46, v45
	v_add3_u32 v46, v0, v91, v79
	ds_read_b64 v[54:55], v46
	ds_read2_b64 v[38:41], v34 offset1:16
	ds_read2_b64 v[46:49], v34 offset0:32 offset1:48
	v_or_b32_e32 v37, 0x60, v37
	s_add_i32 s0, s17, s51
	v_xor_b32_e32 v37, v53, v37
	s_waitcnt lgkmcnt(1)
	v_mfma_f32_16x16x16_bf16 a[0:3], v[42:43], v[38:39], 0
	s_mul_hi_i32 s1, s0, s25
	s_mul_i32 s0, s0, s25
	ds_read2st64_b64 v[58:61], v34 offset0:4 offset1:8
	v_mfma_f32_16x16x16_bf16 a[4:7], v[42:43], v[40:41], 0
	ds_read2st64_b64 v[62:65], v35 offset0:4 offset1:8
	s_add_u32 s0, s0, s33
	ds_read2st64_b64 v[66:69], v36 offset0:4 offset1:8
	s_waitcnt lgkmcnt(3)
	v_mfma_f32_16x16x16_bf16 a[8:11], v[42:43], v[46:47], 0
	ds_read2st64_b64 v[70:73], v44 offset0:4 offset1:8
	s_addc_u32 s1, s1, s50
	s_lshl_b64 s[0:1], s[0:1], 9
	v_mfma_f32_16x16x16_bf16 a[12:15], v[42:43], v[48:49], 0
	v_or3_b32 v42, v56, v51, v57
	v_xor_b32_e32 v51, 0x440, v37
	v_cndmask_b32_e32 v37, v51, v37, vcc
	v_xor_b32_e32 v42, v42, v45
	v_or_b32_e32 v37, v37, v56
	v_or_b32_e32 v92, v42, v79
	v_xor_b32_e32 v93, v37, v45
	v_or_b32_e32 v42, v0, v92
	v_add3_u32 v0, v0, v93, v79
	s_add_u32 s0, s8, s0
	ds_read_b64 v[42:43], v42
	ds_read_b64 v[56:57], v0
	s_addc_u32 s1, s9, s1
	v_lshlrev_b32_e32 v0, 2, v52
	s_waitcnt lgkmcnt(5)
	v_mfma_f32_16x16x16_bf16 a[0:3], v[54:55], v[58:59], a[0:3]
	s_waitcnt lgkmcnt(4)
	v_mfma_f32_16x16x16_bf16 a[4:7], v[54:55], v[62:63], a[4:7]
	s_waitcnt lgkmcnt(3)
	v_mfma_f32_16x16x16_bf16 a[8:11], v[54:55], v[66:67], a[8:11]
	s_waitcnt lgkmcnt(2)
	v_mfma_f32_16x16x16_bf16 a[12:15], v[54:55], v[70:71], a[12:15]
	global_load_dwordx4 v[52:55], v0, s[0:1]
	v_lshlrev_b32_e32 v0, 6, v1
	v_lshlrev_b32_e32 v1, 2, v50
	v_or3_b32 v0, v0, v1, s2
	global_load_dwordx4 v[74:77], v0, s[0:1]
	s_waitcnt lgkmcnt(1)
	v_mfma_f32_16x16x16_bf16 a[0:3], v[42:43], v[60:61], a[0:3]
	v_exp_f32_e32 v0, s16
	s_waitcnt vmcnt(1)
	v_exp_f32_e32 v37, v55
	v_mfma_f32_16x16x16_bf16 a[4:7], v[42:43], v[64:65], a[4:7]
	v_mfma_f32_16x16x16_bf16 a[8:11], v[42:43], v[68:69], a[8:11]
	;; [unrolled: 1-line block ×3, first 2 shown]
	ds_read_b64 v[42:43], v34 offset:6144
	ds_read_b64 v[50:51], v35 offset:6144
	;; [unrolled: 1-line block ×4, first 2 shown]
	v_exp_f32_e32 v34, v52
	v_exp_f32_e32 v35, v53
	;; [unrolled: 1-line block ×3, first 2 shown]
	s_waitcnt lgkmcnt(3)
	v_mfma_f32_16x16x16_bf16 a[0:3], v[56:57], v[42:43], a[0:3]
	v_pk_mul_f32 v[34:35], v[0:1], v[34:35] op_sel_hi:[0,1]
	v_add_u32_e32 v1, v90, v79
	ds_read_b64 v[52:53], v1 offset:40960
	s_waitcnt lgkmcnt(3)
	v_mfma_f32_16x16x16_bf16 a[4:7], v[56:57], v[50:51], a[4:7]
	v_pk_mul_f32 v[36:37], v[0:1], v[36:37] op_sel_hi:[0,1]
	v_add_u32_e32 v1, v91, v79
	v_pk_mul_f32 v[22:23], v[22:23], v[34:35]
	s_waitcnt lgkmcnt(2)
	v_mfma_f32_16x16x16_bf16 a[8:11], v[56:57], v[88:89], a[8:11]
	v_pk_mul_f32 v[24:25], v[24:25], v[36:37]
	v_pk_mul_f32 v[18:19], v[34:35], v[18:19]
	;; [unrolled: 1-line block ×3, first 2 shown]
	s_waitcnt lgkmcnt(1)
	v_mfma_f32_16x16x16_bf16 a[12:15], v[56:57], v[44:45], a[12:15]
	v_add_u32_e32 v56, v93, v79
	ds_read_b64 v[54:55], v1 offset:40960
	ds_read_b64 v[56:57], v56 offset:40960
	v_accvgpr_read_b32 v1, a0
	s_waitcnt lgkmcnt(2)
	v_mfma_f32_16x16x16_bf16 a[20:23], v[52:53], v[40:41], 0
	ds_read_b64 v[40:41], v92 offset:40960
	v_add_f32_e32 v22, v22, v1
	v_accvgpr_read_b32 v1, a1
	v_mfma_f32_16x16x16_bf16 a[16:19], v[52:53], v[38:39], 0
	v_add_f32_e32 v23, v23, v1
	v_accvgpr_read_b32 v1, a2
	v_add_f32_e32 v24, v24, v1
	v_accvgpr_read_b32 v1, a3
	s_waitcnt lgkmcnt(2)
	v_mfma_f32_16x16x16_bf16 a[0:3], v[54:55], v[58:59], a[16:19]
	v_add_f32_e32 v25, v25, v1
	v_accvgpr_read_b32 v1, a4
	v_accvgpr_read_b32 v39, a15
	;; [unrolled: 1-line block ×3, first 2 shown]
	v_mfma_f32_16x16x16_bf16 a[24:27], v[52:53], v[46:47], 0
	v_add_f32_e32 v18, v18, v1
	v_accvgpr_read_b32 v1, a5
	v_accvgpr_read_b32 v47, a13
	v_mfma_f32_16x16x16_bf16 a[14:17], v[54:55], v[62:63], a[20:23]
	v_add_f32_e32 v19, v19, v1
	v_accvgpr_read_b32 v1, a6
	v_accvgpr_read_b32 v46, a12
	s_waitcnt lgkmcnt(0)
	v_mfma_f32_16x16x16_bf16 a[0:3], v[40:41], v[60:61], a[0:3]
	v_pk_mul_f32 v[30:31], v[34:35], v[30:31]
	v_pk_mul_f32 v[32:33], v[36:37], v[32:33]
	v_add_f32_e32 v20, v20, v1
	v_accvgpr_read_b32 v1, a7
	v_pk_fma_f32 v[6:7], v[34:35], v[6:7], v[46:47]
	v_pk_fma_f32 v[8:9], v[36:37], v[8:9], v[38:39]
	s_waitcnt vmcnt(0)
	v_mov_b32_e32 v34, v75
	v_add_f32_e32 v21, v21, v1
	v_accvgpr_read_b32 v1, a8
	v_exp_f32_e32 v38, v74
	v_exp_f32_e32 v39, v34
	v_mfma_f32_16x16x16_bf16 a[28:31], v[52:53], v[48:49], 0
	v_add_f32_e32 v30, v30, v1
	v_accvgpr_read_b32 v1, a9
	v_mov_b32_e32 v35, v76
	v_mfma_f32_16x16x16_bf16 a[18:21], v[54:55], v[66:67], a[24:27]
	v_mov_b32_e32 v36, v77
	v_add_f32_e32 v31, v31, v1
	v_accvgpr_read_b32 v1, a10
	v_mfma_f32_16x16x16_bf16 a[14:17], v[40:41], v[64:65], a[14:17]
	v_exp_f32_e32 v34, v35
	v_exp_f32_e32 v35, v36
	v_add_f32_e32 v32, v32, v1
	v_mfma_f32_16x16x16_bf16 a[0:3], v[56:57], v[42:43], a[0:3]
	v_accvgpr_read_b32 v1, a11
	v_pk_mul_f32 v[36:37], v[0:1], v[38:39] op_sel_hi:[0,1]
	v_pk_mul_f32 v[10:11], v[10:11], v[36:37]
	v_mfma_f32_16x16x16_bf16 a[4:7], v[54:55], v[70:71], a[28:31]
	v_add_f32_e32 v33, v33, v1
	v_pk_mul_f32 v[0:1], v[0:1], v[34:35] op_sel_hi:[0,1]
	v_pk_mul_f32 v[12:13], v[12:13], v[0:1]
	v_mfma_f32_16x16x16_bf16 a[8:11], v[40:41], v[68:69], a[18:21]
	v_accvgpr_read_b32 v38, a0
	v_add_f32_e32 v10, v10, v38
	v_accvgpr_read_b32 v38, a1
	v_mfma_f32_16x16x16_bf16 a[12:15], v[56:57], v[50:51], a[14:17]
	v_add_f32_e32 v11, v11, v38
	v_accvgpr_read_b32 v38, a2
	v_add_f32_e32 v12, v12, v38
	v_accvgpr_read_b32 v38, a3
	v_mfma_f32_16x16x16_bf16 a[4:7], v[40:41], v[72:73], a[4:7]
	v_pk_mul_f32 v[14:15], v[36:37], v[14:15]
	v_add_f32_e32 v13, v13, v38
	v_accvgpr_read_b32 v38, a12
	v_mfma_f32_16x16x16_bf16 a[8:11], v[56:57], v[88:89], a[8:11]
	v_add_f32_e32 v14, v14, v38
	v_accvgpr_read_b32 v38, a13
	v_pk_mul_f32 v[16:17], v[0:1], v[16:17]
	v_add_f32_e32 v15, v15, v38
	v_accvgpr_read_b32 v38, a14
	v_add_f32_e32 v16, v16, v38
	v_accvgpr_read_b32 v38, a15
	v_pk_mul_f32 v[26:27], v[36:37], v[26:27]
	v_mfma_f32_16x16x16_bf16 a[4:7], v[56:57], v[44:45], a[4:7]
	v_add_f32_e32 v17, v17, v38
	v_accvgpr_read_b32 v38, a8
	v_add_f32_e32 v26, v26, v38
	v_accvgpr_read_b32 v38, a9
	v_pk_mul_f32 v[28:29], v[0:1], v[28:29]
	v_add_f32_e32 v27, v27, v38
	v_accvgpr_read_b32 v38, a10
	v_add_f32_e32 v28, v28, v38
	v_accvgpr_read_b32 v38, a11
	;; [unrolled: 2-line block ×3, first 2 shown]
	v_accvgpr_read_b32 v35, a7
	v_accvgpr_read_b32 v34, a6
	v_accvgpr_read_b32 v38, a4
	v_pk_fma_f32 v[2:3], v[36:37], v[2:3], v[38:39]
	v_pk_fma_f32 v[4:5], v[0:1], v[4:5], v[34:35]
.LBB153_99:
	s_add_u32 s0, s10, s34
	s_addc_u32 s1, s11, s35
	v_lshl_add_u64 v[0:1], v[80:81], 2, s[0:1]
	v_mov_b32_e32 v79, 0
	v_lshl_add_u64 v[0:1], v[0:1], 0, v[78:79]
	s_waitcnt vmcnt(7)
	global_store_dwordx4 v[0:1], v[22:25], off
	s_waitcnt vmcnt(7)
	global_store_dwordx4 v[0:1], v[10:13], off offset:256
	v_lshl_add_u64 v[0:1], v[82:83], 2, s[0:1]
	v_lshl_add_u64 v[0:1], v[0:1], 0, v[78:79]
	s_waitcnt vmcnt(7)
	global_store_dwordx4 v[0:1], v[18:21], off
	s_waitcnt vmcnt(7)
	global_store_dwordx4 v[0:1], v[14:17], off offset:256
	v_lshl_add_u64 v[0:1], v[86:87], 2, s[0:1]
	v_lshl_add_u64 v[0:1], v[0:1], 0, v[78:79]
	s_waitcnt vmcnt(7)
	global_store_dwordx4 v[0:1], v[30:33], off
	s_waitcnt vmcnt(7)
	global_store_dwordx4 v[0:1], v[26:29], off offset:256
	v_lshl_add_u64 v[0:1], v[84:85], 2, s[0:1]
	v_lshl_add_u64 v[0:1], v[0:1], 0, v[78:79]
	s_waitcnt vmcnt(7)
	global_store_dwordx4 v[0:1], v[6:9], off
	s_waitcnt vmcnt(7)
	global_store_dwordx4 v[0:1], v[2:5], off offset:256
	s_endpgm
	.section	.rodata,"a",@progbits
	.p2align	6, 0x0
	.amdhsa_kernel _ZN12_GLOBAL__N_139chunk_gated_delta_rule_fwd_h_hip_kernelILi64ELb1ELb1ELb1ELb0ELb1ELb1ELb0ELb0EEEvPK12hip_bfloat16S3_S3_PKfS5_PKvPS1_S8_PvPKiSB_iiiiilll
		.amdhsa_group_segment_fixed_size 65536
		.amdhsa_private_segment_fixed_size 0
		.amdhsa_kernarg_size 136
		.amdhsa_user_sgpr_count 2
		.amdhsa_user_sgpr_dispatch_ptr 0
		.amdhsa_user_sgpr_queue_ptr 0
		.amdhsa_user_sgpr_kernarg_segment_ptr 1
		.amdhsa_user_sgpr_dispatch_id 0
		.amdhsa_user_sgpr_kernarg_preload_length 0
		.amdhsa_user_sgpr_kernarg_preload_offset 0
		.amdhsa_user_sgpr_private_segment_size 0
		.amdhsa_uses_dynamic_stack 0
		.amdhsa_enable_private_segment 0
		.amdhsa_system_sgpr_workgroup_id_x 1
		.amdhsa_system_sgpr_workgroup_id_y 1
		.amdhsa_system_sgpr_workgroup_id_z 0
		.amdhsa_system_sgpr_workgroup_info 0
		.amdhsa_system_vgpr_workitem_id 0
		.amdhsa_next_free_vgpr 240
		.amdhsa_next_free_sgpr 75
		.amdhsa_accum_offset 200
		.amdhsa_reserve_vcc 1
		.amdhsa_float_round_mode_32 0
		.amdhsa_float_round_mode_16_64 0
		.amdhsa_float_denorm_mode_32 3
		.amdhsa_float_denorm_mode_16_64 3
		.amdhsa_dx10_clamp 1
		.amdhsa_ieee_mode 1
		.amdhsa_fp16_overflow 0
		.amdhsa_tg_split 0
		.amdhsa_exception_fp_ieee_invalid_op 0
		.amdhsa_exception_fp_denorm_src 0
		.amdhsa_exception_fp_ieee_div_zero 0
		.amdhsa_exception_fp_ieee_overflow 0
		.amdhsa_exception_fp_ieee_underflow 0
		.amdhsa_exception_fp_ieee_inexact 0
		.amdhsa_exception_int_div_zero 0
	.end_amdhsa_kernel
	.section	.text._ZN12_GLOBAL__N_139chunk_gated_delta_rule_fwd_h_hip_kernelILi64ELb1ELb1ELb1ELb0ELb1ELb1ELb0ELb0EEEvPK12hip_bfloat16S3_S3_PKfS5_PKvPS1_S8_PvPKiSB_iiiiilll,"axG",@progbits,_ZN12_GLOBAL__N_139chunk_gated_delta_rule_fwd_h_hip_kernelILi64ELb1ELb1ELb1ELb0ELb1ELb1ELb0ELb0EEEvPK12hip_bfloat16S3_S3_PKfS5_PKvPS1_S8_PvPKiSB_iiiiilll,comdat
.Lfunc_end153:
	.size	_ZN12_GLOBAL__N_139chunk_gated_delta_rule_fwd_h_hip_kernelILi64ELb1ELb1ELb1ELb0ELb1ELb1ELb0ELb0EEEvPK12hip_bfloat16S3_S3_PKfS5_PKvPS1_S8_PvPKiSB_iiiiilll, .Lfunc_end153-_ZN12_GLOBAL__N_139chunk_gated_delta_rule_fwd_h_hip_kernelILi64ELb1ELb1ELb1ELb0ELb1ELb1ELb0ELb0EEEvPK12hip_bfloat16S3_S3_PKfS5_PKvPS1_S8_PvPKiSB_iiiiilll
                                        ; -- End function
	.section	.AMDGPU.csdata,"",@progbits
; Kernel info:
; codeLenInByte = 12904
; NumSgprs: 81
; NumVgprs: 200
; NumAgprs: 40
; TotalNumVgprs: 240
; ScratchSize: 0
; MemoryBound: 0
; FloatMode: 240
; IeeeMode: 1
; LDSByteSize: 65536 bytes/workgroup (compile time only)
; SGPRBlocks: 10
; VGPRBlocks: 29
; NumSGPRsForWavesPerEU: 81
; NumVGPRsForWavesPerEU: 240
; AccumOffset: 200
; Occupancy: 1
; WaveLimiterHint : 1
; COMPUTE_PGM_RSRC2:SCRATCH_EN: 0
; COMPUTE_PGM_RSRC2:USER_SGPR: 2
; COMPUTE_PGM_RSRC2:TRAP_HANDLER: 0
; COMPUTE_PGM_RSRC2:TGID_X_EN: 1
; COMPUTE_PGM_RSRC2:TGID_Y_EN: 1
; COMPUTE_PGM_RSRC2:TGID_Z_EN: 0
; COMPUTE_PGM_RSRC2:TIDIG_COMP_CNT: 0
; COMPUTE_PGM_RSRC3_GFX90A:ACCUM_OFFSET: 49
; COMPUTE_PGM_RSRC3_GFX90A:TG_SPLIT: 0
	.section	.text._ZN12_GLOBAL__N_139chunk_gated_delta_rule_fwd_h_hip_kernelILi64ELb1ELb1ELb0ELb0ELb1ELb1ELb0ELb0EEEvPK12hip_bfloat16S3_S3_PKfS5_PKvPS1_S8_PvPKiSB_iiiiilll,"axG",@progbits,_ZN12_GLOBAL__N_139chunk_gated_delta_rule_fwd_h_hip_kernelILi64ELb1ELb1ELb0ELb0ELb1ELb1ELb0ELb0EEEvPK12hip_bfloat16S3_S3_PKfS5_PKvPS1_S8_PvPKiSB_iiiiilll,comdat
	.globl	_ZN12_GLOBAL__N_139chunk_gated_delta_rule_fwd_h_hip_kernelILi64ELb1ELb1ELb0ELb0ELb1ELb1ELb0ELb0EEEvPK12hip_bfloat16S3_S3_PKfS5_PKvPS1_S8_PvPKiSB_iiiiilll ; -- Begin function _ZN12_GLOBAL__N_139chunk_gated_delta_rule_fwd_h_hip_kernelILi64ELb1ELb1ELb0ELb0ELb1ELb1ELb0ELb0EEEvPK12hip_bfloat16S3_S3_PKfS5_PKvPS1_S8_PvPKiSB_iiiiilll
	.p2align	8
	.type	_ZN12_GLOBAL__N_139chunk_gated_delta_rule_fwd_h_hip_kernelILi64ELb1ELb1ELb0ELb0ELb1ELb1ELb0ELb0EEEvPK12hip_bfloat16S3_S3_PKfS5_PKvPS1_S8_PvPKiSB_iiiiilll,@function
_ZN12_GLOBAL__N_139chunk_gated_delta_rule_fwd_h_hip_kernelILi64ELb1ELb1ELb0ELb0ELb1ELb1ELb0ELb0EEEvPK12hip_bfloat16S3_S3_PKfS5_PKvPS1_S8_PvPKiSB_iiiiilll: ; @_ZN12_GLOBAL__N_139chunk_gated_delta_rule_fwd_h_hip_kernelILi64ELb1ELb1ELb0ELb0ELb1ELb1ELb0ELb0EEEvPK12hip_bfloat16S3_S3_PKfS5_PKvPS1_S8_PvPKiSB_iiiiilll
; %bb.0:
	s_load_dwordx4 s[12:15], s[0:1], 0x5c
	s_abs_i32 s6, s3
	s_ashr_i32 s5, s3, 31
	s_load_dwordx4 s[16:19], s[0:1], 0x20
	s_load_dwordx2 s[38:39], s[0:1], 0x30
	v_and_b32_e32 v97, 15, v0
	s_waitcnt lgkmcnt(0)
	s_abs_i32 s4, s13
	v_cvt_f32_u32_e32 v1, s4
	s_sub_i32 s8, 0, s4
	s_ashr_i32 s7, s13, 31
	s_xor_b32 s5, s5, s7
	v_rcp_iflag_f32_e32 v1, v1
	v_bfe_u32 v96, v0, 4, 2
	v_mov_b32_e32 v79, 0
	v_lshlrev_b32_e32 v98, 3, v0
	v_mul_f32_e32 v1, 0x4f7ffffe, v1
	v_cvt_u32_f32_e32 v1, v1
	s_nop 0
	v_readfirstlane_b32 s9, v1
	s_mul_i32 s8, s8, s9
	s_mul_hi_u32 s8, s9, s8
	s_add_i32 s9, s9, s8
	s_mul_hi_u32 s8, s6, s9
	s_mul_i32 s9, s8, s4
	s_sub_i32 s6, s6, s9
	s_add_i32 s10, s8, 1
	s_sub_i32 s9, s6, s4
	s_cmp_ge_u32 s6, s4
	s_cselect_b32 s8, s10, s8
	s_cselect_b32 s6, s9, s6
	s_add_i32 s9, s8, 1
	s_cmp_ge_u32 s6, s4
	s_cselect_b32 s6, s9, s8
	s_xor_b32 s6, s6, s5
	s_sub_i32 s56, s6, s5
	s_mul_i32 s6, s56, s13
	s_sub_i32 s33, s3, s6
	s_abs_i32 s3, s14
	v_cvt_f32_u32_e32 v1, s3
	s_add_i32 s8, s12, 63
	s_ashr_i32 s9, s8, 31
	s_lshr_b32 s5, s9, 26
	v_rcp_iflag_f32_e32 v1, v1
	s_ashr_i32 s55, s12, 31
	s_add_i32 s8, s8, s5
	s_lshr_b32 s5, s55, 26
	v_mul_f32_e32 v1, 0x4f7ffffe, v1
	v_cvt_u32_f32_e32 v1, v1
	s_add_i32 s5, s12, s5
	s_ashr_i32 s58, s14, 31
	s_ashr_i32 s24, s8, 6
	s_ashr_i32 s57, s5, 6
	s_xor_b32 s5, s7, s58
	s_sub_i32 s7, 0, s3
	v_readfirstlane_b32 s8, v1
	s_mul_i32 s7, s7, s8
	s_mul_hi_u32 s7, s8, s7
	s_add_i32 s8, s8, s7
	s_mul_hi_u32 s7, s4, s8
	s_mul_i32 s8, s7, s3
	s_sub_i32 s4, s4, s8
	s_lshl_b32 s2, s2, 6
	s_add_i32 s8, s7, 1
	s_sub_i32 s9, s4, s3
	s_cmp_ge_u32 s4, s3
	s_cselect_b32 s7, s8, s7
	s_cselect_b32 s4, s9, s4
	s_add_i32 s8, s7, 1
	s_cmp_ge_u32 s4, s3
	s_cselect_b32 s3, s8, s7
	s_xor_b32 s3, s3, s5
	s_sub_i32 s3, s3, s5
	s_abs_i32 s4, s3
	v_cvt_f32_u32_e32 v1, s4
	s_sub_i32 s7, 0, s4
	s_abs_i32 s5, s33
	s_xor_b32 s3, s33, s3
	v_rcp_iflag_f32_e32 v2, v1
	s_ashr_i32 s3, s3, 31
	v_lshrrev_b32_e32 v1, 6, v0
	v_or_b32_e32 v88, s2, v97
	v_mul_f32_e32 v2, 0x4f7ffffe, v2
	v_cvt_u32_f32_e32 v2, v2
	v_lshlrev_b32_e32 v77, 4, v1
	v_lshlrev_b32_e32 v80, 7, v88
	v_lshl_or_b32 v100, v96, 2, v77
	v_readfirstlane_b32 s8, v2
	s_mul_i32 s7, s7, s8
	s_mul_hi_u32 s7, s8, s7
	s_add_i32 s8, s8, s7
	s_mul_hi_u32 s7, s5, s8
	s_mul_i32 s8, s7, s4
	s_sub_i32 s5, s5, s8
	s_add_i32 s8, s7, 1
	s_sub_i32 s9, s5, s4
	s_cmp_ge_u32 s5, s4
	s_cselect_b32 s7, s8, s7
	s_cselect_b32 s5, s9, s5
	s_add_i32 s8, s7, 1
	s_cmp_ge_u32 s5, s4
	s_cselect_b32 s4, s8, s7
	s_xor_b32 s4, s4, s3
	s_sub_i32 s59, s4, s3
	s_ashr_i32 s3, s56, 31
	s_ashr_i32 s48, s33, 31
	s_mul_hi_i32 s4, s56, s13
	s_add_u32 s40, s6, s33
	s_addc_u32 s41, s4, s48
	s_lshl_b64 s[28:29], s[40:41], 16
	s_add_u32 s4, s18, s28
	s_addc_u32 s5, s19, s29
	v_ashrrev_i32_e32 v81, 31, v80
	v_lshl_add_u64 v[2:3], v[80:81], 2, s[4:5]
	v_lshlrev_b32_e32 v78, 2, v100
	v_or_b32_e32 v82, 0x800, v80
	v_lshl_add_u64 v[2:3], v[2:3], 0, v[78:79]
	v_ashrrev_i32_e32 v83, 31, v82
	global_load_dwordx4 v[22:25], v[2:3], off
	global_load_dwordx4 v[10:13], v[2:3], off offset:256
	v_lshl_add_u64 v[2:3], v[82:83], 2, s[4:5]
	v_or_b32_e32 v86, 0x1000, v80
	v_lshl_add_u64 v[2:3], v[2:3], 0, v[78:79]
	v_ashrrev_i32_e32 v87, 31, v86
	global_load_dwordx4 v[18:21], v[2:3], off
	global_load_dwordx4 v[14:17], v[2:3], off offset:256
	v_lshl_add_u64 v[2:3], v[86:87], 2, s[4:5]
	;; [unrolled: 6-line block ×3, first 2 shown]
	v_lshl_add_u64 v[34:35], v[2:3], 0, v[78:79]
	global_load_dwordx4 v[6:9], v[34:35], off
	global_load_dwordx4 v[2:5], v[34:35], off offset:256
	s_load_dwordx2 s[18:19], s[0:1], 0x40
	s_load_dwordx8 s[4:11], s[0:1], 0x0
	s_load_dwordx2 s[30:31], s[0:1], 0x80
	s_load_dwordx4 s[20:23], s[0:1], 0x70
	v_and_b32_e32 v79, 63, v0
	s_mul_i32 s49, s56, s12
	s_mul_i32 s60, s56, s24
	v_or_b32_e32 v101, 64, v100
	s_cmp_lt_i32 s12, 64
	v_lshrrev_b32_e32 v99, 3, v79
	s_mul_i32 s61, s41, s12
	s_mul_hi_u32 s62, s40, s12
	s_mul_i32 s42, s40, s12
	s_waitcnt lgkmcnt(0)
	s_mul_i32 s41, s56, s21
	s_mul_hi_u32 s51, s56, s20
	s_mul_i32 s50, s3, s20
	s_mul_i32 s36, s56, s20
	;; [unrolled: 1-line block ×3, first 2 shown]
	s_mul_hi_u32 s53, s33, s22
	s_mul_i32 s54, s48, s22
	s_mul_i32 s34, s33, s22
	s_cbranch_scc1 .LBB154_18
; %bb.1:
	s_add_i32 s43, s62, s61
	s_lshl_b64 s[0:1], s[42:43], 8
	v_and_b32_e32 v103, 56, v98
	s_add_u32 s20, s6, s0
	v_lshl_or_b32 v102, v1, 3, v99
	v_lshlrev_b32_e32 v34, 1, v103
	s_addc_u32 s0, s7, s1
	v_lshl_or_b32 v104, v102, 8, v34
	s_and_b32 s21, s0, 0xffff
	s_mov_b32 s23, 0x20000
	s_movk_i32 s22, 0x4000
	s_movk_i32 s0, 0x80
	v_or_b32_e32 v105, 0x2000, v104
	buffer_load_dwordx4 v[36:39], v104, s[20:23], 0 offen
	buffer_load_dwordx4 v[40:43], v104, s[20:23], s0 offen
	;; [unrolled: 1-line block ×4, first 2 shown]
	v_lshlrev_b32_e32 v35, 3, v102
	v_and_or_b32 v53, v0, 7, v35
	v_and_b32_e32 v35, 0x78, v35
	v_lshlrev_b32_e32 v53, 4, v53
	v_xor_b32_e32 v106, v53, v35
	v_mul_lo_u32 v52, v102, s15
	v_or_b32_e32 v107, 0x1000, v106
	v_xor_b32_e32 v35, 8, v106
	s_cmpk_eq_i32 s15, 0x80
	s_mov_b32 s63, s14
	v_xor_b32_e32 v53, 8, v107
	s_cselect_b64 s[0:1], -1, 0
	s_cmpk_lg_i32 s15, 0x80
	s_waitcnt vmcnt(3)
	ds_write_b64 v106, v[36:37] offset:49152
	ds_write_b64 v35, v[38:39] offset:49152
	s_waitcnt vmcnt(2)
	ds_write_b64 v106, v[40:41] offset:57344
	ds_write_b64 v35, v[42:43] offset:57344
	;; [unrolled: 3-line block ×4, first 2 shown]
	v_lshl_add_u32 v35, v52, 1, v103
	s_cbranch_scc0 .LBB154_3
; %bb.2:
	v_lshlrev_b32_e32 v37, 1, v35
	v_add_lshl_u32 v36, v35, s15, 1
	s_lshl_b32 s22, s15, 7
	v_lshl_or_b32 v34, v102, 9, v34
	s_cbranch_execz .LBB154_4
	s_branch .LBB154_5
.LBB154_3:
                                        ; implicit-def: $vgpr36
                                        ; implicit-def: $vgpr37
                                        ; implicit-def: $sgpr22
	v_lshl_or_b32 v34, v102, 9, v34
.LBB154_4:
	v_or_b32_e32 v36, 0x100, v34
	s_movk_i32 s22, 0x4000
	v_mov_b32_e32 v37, v34
.LBB154_5:
	s_mul_hi_u32 s20, s14, s12
	s_mul_i32 s21, s58, s12
	s_add_i32 s20, s20, s21
	s_mul_i32 s21, s14, s12
	s_mul_i32 s23, s21, s3
	s_mul_hi_u32 s24, s21, s56
	s_add_i32 s23, s24, s23
	s_mul_i32 s20, s20, s56
	s_add_i32 s23, s23, s20
	s_mul_i32 s21, s21, s56
	s_ashr_i32 s64, s59, 31
	s_add_u32 s20, s21, s59
	s_addc_u32 s21, s23, s64
	s_lshl_b64 s[20:21], s[20:21], 8
	s_add_u32 s20, s4, s20
	s_addc_u32 s21, s5, s21
	s_and_b32 s21, s21, 0xffff
	s_mov_b32 s23, 0x20000
	s_movk_i32 s65, 0x80
	buffer_load_dwordx4 v[38:41], v37, s[20:23], 0 offen
	buffer_load_dwordx4 v[42:45], v37, s[20:23], s65 offen
	;; [unrolled: 1-line block ×4, first 2 shown]
	v_and_b32_e32 v37, 6, v0
	v_lshlrev_b32_e32 v36, 7, v100
	v_xor_b32_e32 v58, v102, v37
	v_and_b32_e32 v54, 1, v0
	v_lshl_or_b32 v61, v97, 3, v36
	v_lshlrev_b32_e32 v58, 2, v58
	v_or_b32_e32 v108, 0x4000, v61
	v_or_b32_e32 v109, 0x6000, v61
	v_xor_b32_e32 v61, 0x440, v58
	v_cmp_eq_u32_e32 vcc, 0, v54
	v_lshlrev_b32_e32 v55, 2, v97
	v_or_b32_e32 v57, 16, v97
	v_cndmask_b32_e32 v54, v61, v58, vcc
	s_mov_b32 s67, 0x1000504
	v_xor_b32_e32 v59, v100, v55
	v_xor_b32_e32 v60, v101, v55
	v_lshl_or_b32 v62, v57, 3, v36
	v_lshl_or_b32 v37, v37, 10, v54
	s_mov_b32 s68, 0x3020706
	v_lshlrev_b32_e32 v56, 8, v97
	v_lshlrev_b32_e32 v59, 1, v59
	;; [unrolled: 1-line block ×3, first 2 shown]
	v_or_b32_e32 v110, 0x4000, v62
	v_or_b32_e32 v111, 0x6000, v62
	v_xor_b32_e32 v54, 8, v37
	v_xor_b32_e32 v58, 24, v37
	;; [unrolled: 1-line block ×4, first 2 shown]
	s_mul_i32 s3, s3, s12
	s_mul_hi_u32 s20, s56, s12
	v_or_b32_e32 v112, v56, v59
	v_or_b32_e32 v113, v56, v60
	v_xor_b32_e32 v56, 16, v37
	v_xor_b32_e32 v61, 32, v37
	;; [unrolled: 1-line block ×3, first 2 shown]
	v_add_u32_e32 v54, 0x80, v54
	v_add_u32_e32 v58, 0x80, v58
	;; [unrolled: 1-line block ×4, first 2 shown]
	s_add_i32 s69, s20, s3
	s_add_i32 s3, s51, s41
	;; [unrolled: 1-line block ×5, first 2 shown]
	s_lshl_b64 s[20:21], s[36:37], 2
	s_add_u32 s3, s10, s20
	s_addc_u32 s24, s11, s21
	s_lshl_b64 s[20:21], s[34:35], 2
	s_add_u32 s44, s3, s20
	s_movk_i32 s3, 0xf8
	s_addc_u32 s45, s24, s21
	s_lshl_b32 s26, s15, 7
	s_movk_i32 s24, 0x100
	v_mov_b32_e32 v91, 0
	v_lshlrev_b32_e32 v90, 4, v97
	v_ashrrev_i32_e32 v89, 31, v88
	s_mov_b32 s66, 0
	s_movk_i32 s22, 0x4000
	v_lshl_add_u64 v[92:93], v[88:89], 1, s[8:9]
	s_mov_b32 s35, 0x7060302
	s_movk_i32 s37, 0x2000
	s_movk_i32 s70, 0x3000
	s_mov_b32 s72, 0
	s_waitcnt vmcnt(1)
	v_perm_b32 v65, v38, v46, s67
	s_waitcnt vmcnt(0)
	v_perm_b32 v66, v42, v50, s67
	v_perm_b32 v38, v38, v46, s68
	;; [unrolled: 1-line block ×15, first 2 shown]
	ds_write2st64_b32 v37, v65, v66 offset0:128 offset1:160
	ds_write2st64_b32 v54, v38, v42 offset0:128 offset1:160
	ds_write2st64_b32 v56, v46, v50 offset0:129 offset1:161
	ds_write2st64_b32 v58, v39, v43 offset0:129 offset1:161
	ds_write2st64_b32 v61, v47, v51 offset0:130 offset1:162
	ds_write2st64_b32 v62, v40, v44 offset0:130 offset1:162
	ds_write2st64_b32 v63, v48, v52 offset0:131 offset1:163
	ds_write2st64_b32 v64, v41, v45 offset0:131 offset1:163
	v_lshlrev_b32_e32 v37, 8, v57
	v_or_b32_e32 v114, v37, v59
	v_or_b32_e32 v115, v37, v60
	;; [unrolled: 1-line block ×3, first 2 shown]
	v_lshl_or_b32 v38, v37, 3, v36
	v_lshlrev_b32_e32 v37, 8, v37
	v_or_b32_e32 v118, v37, v59
	v_or_b32_e32 v119, v37, v60
	;; [unrolled: 1-line block ×5, first 2 shown]
	v_lshl_or_b32 v38, v37, 3, v36
	v_lshlrev_b32_e32 v37, 8, v37
	v_or_b32_e32 v122, v37, v59
	v_or_b32_e32 v123, v37, v60
	;; [unrolled: 1-line block ×3, first 2 shown]
	v_lshlrev_b32_e32 v37, 3, v37
	v_lshrrev_b32_e32 v39, 5, v79
	v_and_or_b32 v39, v37, s3, v39
	v_lshlrev_b32_e32 v39, 4, v39
	v_or_b32_e32 v120, 0x4000, v38
	v_or_b32_e32 v121, 0x6000, v38
	v_lshrrev_b32_e32 v38, 2, v79
	v_lshlrev_b32_e32 v41, 11, v1
	v_and_b32_e32 v37, 0x78, v37
	v_or_b32_e32 v45, 32, v39
	v_and_b32_e32 v40, 12, v38
	v_and_b32_e32 v38, 0x1000, v41
	v_lshrrev_b32_e32 v43, 1, v79
	v_xor_b32_e32 v45, v45, v37
	v_xor_b32_e32 v42, v39, v37
	v_and_b32_e32 v43, 8, v43
	v_or_b32_e32 v45, v45, v38
	v_or_b32_e32 v42, v42, v38
	v_xor_b32_e32 v126, v45, v43
	v_or_b32_e32 v45, 64, v39
	v_or_b32_e32 v39, 0x60, v39
	v_xor_b32_e32 v124, v42, v43
	v_lshlrev_b32_e32 v42, 8, v96
	v_xor_b32_e32 v45, v45, v37
	v_xor_b32_e32 v37, v39, v37
	s_ashr_i32 s3, s2, 31
	v_or_b32_e32 v44, v42, v55
	v_or_b32_e32 v45, v45, v38
	;; [unrolled: 1-line block ×3, first 2 shown]
	s_lshl_b64 s[20:21], s[2:3], 8
	v_lshlrev_b32_e32 v47, 2, v0
	v_lshlrev_b32_e32 v44, 1, v44
	v_xor_b32_e32 v130, v45, v43
	v_xor_b32_e32 v131, v37, v43
	v_lshlrev_b32_e32 v37, 1, v35
	v_add_lshl_u32 v35, v35, s15, 1
	v_or_b32_e32 v43, 0x100, v34
	s_add_u32 s20, s38, s20
	v_lshlrev_b32_e32 v38, 1, v97
	v_lshrrev_b32_e32 v48, 1, v0
	v_and_or_b32 v42, v47, 60, v42
	v_or_b32_e32 v125, 0x4000, v44
	v_or_b32_e32 v127, 0x4080, v44
	;; [unrolled: 1-line block ×8, first 2 shown]
	v_lshrrev_b32_e32 v44, 4, v0
	s_addc_u32 s21, s39, s21
	v_or_b32_e32 v39, 1, v38
	v_and_b32_e32 v48, 24, v48
	v_lshlrev_b32_e32 v42, 1, v42
	v_cndmask_b32_e64 v142, v37, v34, s[0:1]
	v_cndmask_b32_e64 v143, v35, v43, s[0:1]
	v_mov_b32_e32 v35, 0xa000
	v_mov_b32_e32 v37, 0x8000
	v_cmp_gt_u32_e64 s[0:1], s24, v0
	v_xor_b32_e32 v45, v44, v38
	v_xor_b32_e32 v46, v39, v44
	v_lshl_add_u64 v[38:39], s[20:21], 0, v[90:91]
	v_lshlrev_b32_e32 v90, 8, v44
	v_or_b32_e32 v138, 0x6000, v42
	v_or_b32_e32 v47, 32, v48
	;; [unrolled: 1-line block ×6, first 2 shown]
	v_cndmask_b32_e64 v35, v35, v37, s[0:1]
	v_lshlrev_b32_e32 v37, 3, v1
	v_lshl_or_b32 v136, v45, 3, v90
	v_and_b32_e32 v45, 8, v0
	v_xor_b32_e32 v43, v37, v48
	v_xor_b32_e32 v47, v37, v47
	;; [unrolled: 1-line block ×3, first 2 shown]
	v_mov_b32_e32 v49, 0x400
	v_cmp_eq_u32_e32 vcc, 0, v45
	v_or_b32_e32 v48, 0x440, v43
	v_or_b32_e32 v50, 0x440, v47
	v_xor_b32_e32 v42, 0x440, v37
	v_and_b32_e32 v44, 7, v0
	v_cndmask_b32_e64 v45, v49, 64, vcc
	v_cndmask_b32_e32 v48, v48, v43, vcc
	v_cndmask_b32_e32 v47, v50, v47, vcc
	;; [unrolled: 1-line block ×3, first 2 shown]
	v_lshl_or_b32 v137, v46, 3, v90
	v_lshlrev_b32_e32 v46, 3, v44
	v_or_b32_e32 v48, v48, v41
	v_or_b32_e32 v47, v47, v41
	v_or3_b32 v43, v41, v45, v43
	v_or_b32_e32 v37, v37, v41
	v_lshlrev_b32_e32 v44, 7, v44
	v_xor_b32_e32 v48, v48, v46
	v_xor_b32_e32 v47, v47, v46
	v_xor_b32_e32 v43, v43, v46
	v_xor_b32_e32 v37, v37, v46
	v_or_b32_e32 v34, v77, v40
	v_add_u32_e32 v49, v35, v48
	v_add_u32_e32 v50, v35, v47
	v_or_b32_e32 v144, v43, v44
	v_add_u32_e32 v41, v35, v37
	v_or3_b32 v40, v77, v40, 64
	v_add_u32_e32 v42, 0xa000, v48
	v_add_u32_e32 v43, 0xa000, v47
	;; [unrolled: 1-line block ×3, first 2 shown]
	v_lshl_add_u64 v[94:95], v[38:39], 0, v[90:91]
	s_add_i32 s3, s49, 63
	v_lshlrev_b32_e32 v90, 1, v36
	v_lshlrev_b32_e32 v89, 2, v34
	v_add_u32_e32 v145, v49, v44
	v_add_u32_e32 v146, v50, v44
	;; [unrolled: 1-line block ×4, first 2 shown]
	v_lshlrev_b32_e32 v149, 2, v40
	v_add_u32_e32 v150, v42, v44
	v_add_u32_e32 v151, v43, v44
	;; [unrolled: 1-line block ×3, first 2 shown]
	s_waitcnt lgkmcnt(0)
	s_barrier
.LBB154_6:                              ; =>This Inner Loop Header: Depth=1
	s_add_i32 s71, s72, 1
	s_cmp_lt_i32 s71, s57
	s_mov_b64 s[24:25], 0
	s_cselect_b64 s[46:47], -1, 0
	s_cmp_ge_i32 s71, s57
	s_mov_b64 s[20:21], 0
	s_cbranch_scc1 .LBB154_8
; %bb.7:                                ;   in Loop: Header=BB154_6 Depth=1
	s_add_i32 s0, s66, 64
	s_add_u32 s0, s42, s0
	s_addc_u32 s1, s43, 0
	s_lshl_b64 s[0:1], s[0:1], 8
	s_add_u32 s20, s6, s0
	s_addc_u32 s21, s7, s1
.LBB154_8:                              ;   in Loop: Header=BB154_6 Depth=1
	v_cndmask_b32_e64 v34, 0, 1, s[46:47]
	v_cmp_ne_u32_e64 s[0:1], 1, v34
	s_andn2_b64 vcc, exec, s[46:47]
	s_cbranch_vccnz .LBB154_10
; %bb.9:                                ;   in Loop: Header=BB154_6 Depth=1
	s_add_i32 s24, s66, 64
	s_add_u32 s24, s49, s24
	s_addc_u32 s25, s69, 0
	s_mul_i32 s27, s24, s58
	s_mul_hi_u32 s46, s24, s63
	s_add_i32 s27, s46, s27
	s_mul_i32 s25, s25, s63
	s_add_i32 s27, s27, s25
	s_mul_i32 s24, s24, s63
	s_add_u32 s24, s24, s59
	s_addc_u32 s25, s27, s64
	s_lshl_b64 s[24:25], s[24:25], 8
	s_add_u32 s24, s4, s24
	s_addc_u32 s25, s5, s25
.LBB154_10:                             ;   in Loop: Header=BB154_6 Depth=1
	v_perm_b32 v35, v25, v24, s35
	v_perm_b32 v34, v23, v22, s35
	v_perm_b32 v37, v13, v12, s35
	v_perm_b32 v36, v11, v10, s35
	ds_write_b64 v108, v[34:35]
	ds_write_b64 v109, v[36:37]
	ds_write_b64 v112, v[34:35]
	ds_write_b64 v113, v[36:37]
	v_perm_b32 v35, v21, v20, s35
	v_perm_b32 v34, v19, v18, s35
	v_perm_b32 v37, v17, v16, s35
	v_perm_b32 v36, v15, v14, s35
	ds_write_b64 v110, v[34:35]
	ds_write_b64 v111, v[36:37]
	ds_write_b64 v114, v[34:35]
	ds_write_b64 v115, v[36:37]
	;; [unrolled: 8-line block ×4, first 2 shown]
	s_waitcnt lgkmcnt(0)
	s_barrier
	ds_read_b64 v[38:39], v124 offset:49152
	ds_read2_b64 v[34:37], v125 offset1:16
	ds_read_b64 v[50:51], v127 offset:6144
	ds_read_b64 v[52:53], v125 offset:6144
	s_waitcnt lgkmcnt(2)
	v_mfma_f32_16x16x16_bf16 a[0:3], v[38:39], v[34:35], 0
	ds_read_b64 v[54:55], v126 offset:49152
	ds_read2st64_b64 v[42:45], v128 offset0:4 offset1:8
	ds_read2st64_b64 v[46:49], v129 offset0:4 offset1:8
	v_mfma_f32_16x16x16_bf16 a[4:7], v[38:39], v[36:37], 0
	ds_read2_b64 v[34:37], v125 offset0:32 offset1:48
	s_add_i32 s27, s66, 63
	s_mul_i32 s46, s27, s31
	s_waitcnt lgkmcnt(0)
	v_mfma_f32_16x16x16_bf16 a[8:11], v[38:39], v[34:35], 0
	s_mul_hi_u32 s47, s27, s30
	s_add_i32 s47, s47, s46
	s_mul_i32 s46, s27, s30
	v_mfma_f32_16x16x16_bf16 a[12:15], v[38:39], v[36:37], 0
	ds_read2st64_b64 v[34:37], v125 offset0:4 offset1:8
	ds_read2st64_b64 v[38:41], v127 offset0:4 offset1:8
	s_lshl_b64 s[46:47], s[46:47], 2
	s_waitcnt lgkmcnt(1)
	v_mfma_f32_16x16x16_bf16 a[0:3], v[54:55], v[34:35], a[0:3]
	s_add_u32 s46, s44, s46
	s_addc_u32 s47, s45, s47
	s_and_b64 vcc, exec, s[0:1]
	s_waitcnt lgkmcnt(0)
	v_mfma_f32_16x16x16_bf16 a[4:7], v[54:55], v[38:39], a[4:7]
	v_mov_b32_e32 v155, 0
	v_mov_b32_e32 v154, 0
	;; [unrolled: 1-line block ×3, first 2 shown]
	v_mfma_f32_16x16x16_bf16 a[8:11], v[54:55], v[42:43], a[8:11]
	ds_read_b64 v[34:35], v130 offset:49152
	ds_read_b64 v[38:39], v131 offset:49152
	;; [unrolled: 1-line block ×3, first 2 shown]
	v_mfma_f32_16x16x16_bf16 a[12:15], v[54:55], v[46:47], a[12:15]
	v_mov_b32_e32 v46, 0
	v_mov_b32_e32 v47, 0
	s_waitcnt lgkmcnt(2)
	v_mfma_f32_16x16x16_bf16 a[0:3], v[34:35], v[36:37], a[0:3]
	v_mov_b32_e32 v36, 0
	v_mov_b32_e32 v37, 0
	v_mfma_f32_16x16x16_bf16 a[16:19], v[34:35], v[40:41], a[4:7]
	v_mov_b32_e32 v40, 0
	v_mov_b32_e32 v41, 0
	;; [unrolled: 3-line block ×3, first 2 shown]
	v_mfma_f32_16x16x16_bf16 a[24:27], v[34:35], v[48:49], a[12:15]
	ds_read_b64 v[34:35], v128 offset:6144
	v_mov_b32_e32 v48, 0
	v_mov_b32_e32 v49, 0
	s_waitcnt lgkmcnt(2)
	v_mfma_f32_16x16x16_bf16 a[4:7], v[38:39], v[52:53], a[0:3]
	v_mfma_f32_16x16x16_bf16 a[8:11], v[38:39], v[50:51], a[16:19]
	s_waitcnt lgkmcnt(0)
	v_mfma_f32_16x16x16_bf16 a[12:15], v[38:39], v[34:35], a[20:23]
	v_mov_b32_e32 v34, 0
	v_mov_b32_e32 v35, 0
	v_mfma_f32_16x16x16_bf16 a[0:3], v[38:39], v[42:43], a[24:27]
	v_mov_b32_e32 v38, 0
	v_mov_b32_e32 v39, 0
	;; [unrolled: 1-line block ×4, first 2 shown]
	s_cbranch_vccnz .LBB154_12
; %bb.11:                               ;   in Loop: Header=BB154_6 Depth=1
	s_and_b32 s21, s21, 0xffff
	buffer_load_dwordx4 v[46:49], v104, s[20:23], 0 offen
	buffer_load_dwordx4 v[42:45], v104, s[20:23], s65 offen
	;; [unrolled: 1-line block ×4, first 2 shown]
	v_mov_b32_e32 v154, v106
	v_mov_b32_e32 v153, v107
.LBB154_12:                             ;   in Loop: Header=BB154_6 Depth=1
	ds_read_b64 v[66:67], v124 offset:57344
	ds_read2_b64 v[50:53], v132 offset1:16
	ds_read_b64 v[68:69], v126 offset:57344
	ds_read_b64 v[70:71], v130 offset:57344
	;; [unrolled: 1-line block ×3, first 2 shown]
	v_add_u32_e32 v74, s66, v100
	s_waitcnt lgkmcnt(3)
	v_mfma_f32_16x16x16_bf16 a[4:7], v[66:67], v[50:51], a[4:7]
	v_mfma_f32_16x16x16_bf16 a[8:11], v[66:67], v[52:53], a[8:11]
	ds_read2_b64 v[50:53], v132 offset0:32 offset1:48
	ds_read2st64_b64 v[54:57], v132 offset0:4 offset1:8
	ds_read2st64_b64 v[58:61], v133 offset0:4 offset1:8
	;; [unrolled: 1-line block ×3, first 2 shown]
	s_waitcnt lgkmcnt(3)
	v_mfma_f32_16x16x16_bf16 a[12:15], v[66:67], v[50:51], a[12:15]
	v_ashrrev_i32_e32 v50, 31, v74
	v_mfma_f32_16x16x16_bf16 a[0:3], v[66:67], v[52:53], a[0:3]
	v_mul_lo_u32 v52, v50, s30
	v_mul_lo_u32 v53, v74, s31
	v_mad_u64_u32 v[50:51], s[20:21], v74, s30, 0
	v_add3_u32 v51, v51, v53, v52
	v_add_u32_e32 v52, 1, v74
	v_ashrrev_i32_e32 v53, 31, v52
	s_waitcnt lgkmcnt(2)
	v_mfma_f32_16x16x16_bf16 a[4:7], v[68:69], v[54:55], a[4:7]
	v_mul_lo_u32 v54, v53, s30
	v_mul_lo_u32 v55, v52, s31
	v_mad_u64_u32 v[52:53], s[20:21], v52, s30, 0
	v_add3_u32 v53, v53, v55, v54
	v_add_u32_e32 v54, 2, v74
	v_ashrrev_i32_e32 v55, 31, v54
	s_waitcnt lgkmcnt(1)
	v_mfma_f32_16x16x16_bf16 a[8:11], v[68:69], v[58:59], a[8:11]
	v_mul_lo_u32 v58, v55, s30
	v_mul_lo_u32 v59, v54, s31
	v_mad_u64_u32 v[54:55], s[20:21], v54, s30, 0
	v_add3_u32 v55, v55, v59, v58
	v_add_u32_e32 v58, 3, v74
	v_ashrrev_i32_e32 v59, 31, v58
	v_mul_lo_u32 v66, v59, s30
	v_mul_lo_u32 v67, v58, s31
	v_mad_u64_u32 v[58:59], s[20:21], v58, s30, 0
	s_add_u32 s20, s42, s66
	s_addc_u32 s21, s43, 0
	v_lshl_add_u64 v[50:51], v[50:51], 2, s[44:45]
	v_add3_u32 v59, v59, v67, v66
	s_lshl_b64 s[20:21], s[20:21], 8
	v_lshl_add_u64 v[52:53], v[52:53], 2, s[44:45]
	v_lshl_add_u64 v[54:55], v[54:55], 2, s[44:45]
	;; [unrolled: 1-line block ×3, first 2 shown]
	global_load_dword v66, v[50:51], off
	global_load_dword v67, v[52:53], off
	;; [unrolled: 1-line block ×4, first 2 shown]
	v_lshl_add_u64 v[50:51], v[92:93], 0, s[20:21]
	v_lshl_add_u64 v[54:55], v[50:51], 0, v[90:91]
	global_load_ushort v76, v[54:55], off offset:256
	global_load_ushort v156, v[54:55], off
	ds_read2st64_b64 v[50:53], v135 offset0:4 offset1:8
	global_load_ushort v157, v[54:55], off offset:768
	global_load_ushort v158, v[54:55], off offset:512
	s_waitcnt lgkmcnt(1)
	v_mfma_f32_16x16x16_bf16 a[12:15], v[68:69], v[62:63], a[12:15]
	s_and_b64 vcc, exec, s[0:1]
	s_waitcnt vmcnt(3)
	v_lshlrev_b32_e32 v63, 16, v76
	s_waitcnt lgkmcnt(0)
	v_mfma_f32_16x16x16_bf16 a[0:3], v[68:69], v[50:51], a[0:3]
	global_load_ushort v68, v[54:55], off offset:288
	global_load_ushort v69, v[54:55], off offset:32
	;; [unrolled: 1-line block ×8, first 2 shown]
	v_mfma_f32_16x16x16_bf16 a[4:7], v[70:71], v[56:57], a[4:7]
	ds_read_b64 v[50:51], v132 offset:6144
	s_waitcnt vmcnt(10)
	v_lshlrev_b32_e32 v62, 16, v156
	v_mov_b32_e32 v156, 0
	v_mfma_f32_16x16x16_bf16 a[8:11], v[70:71], v[60:61], a[8:11]
	v_mfma_f32_16x16x16_bf16 a[12:15], v[70:71], v[64:65], a[12:15]
	;; [unrolled: 1-line block ×3, first 2 shown]
	global_load_ushort v70, v[54:55], off offset:352
	global_load_ushort v71, v[54:55], off offset:96
	ds_read_b64 v[52:53], v133 offset:6144
	ds_read_b64 v[56:57], v134 offset:6144
	;; [unrolled: 1-line block ×3, first 2 shown]
	global_load_ushort v165, v[54:55], off offset:864
	global_load_ushort v166, v[54:55], off offset:608
	s_load_dword s20, s[46:47], 0x0
	s_waitcnt lgkmcnt(0)
	v_mfma_f32_16x16x16_bf16 a[4:7], v[72:73], v[50:51], a[4:7]
	v_sub_f32_e32 v60, s20, v74
	v_mfma_f32_16x16x16_bf16 a[0:3], v[72:73], v[58:59], a[0:3]
	v_sub_f32_e32 v58, s20, v66
	v_sub_f32_e32 v59, s20, v67
	;; [unrolled: 1-line block ×3, first 2 shown]
	v_mfma_f32_16x16x16_bf16 a[8:11], v[72:73], v[52:53], a[8:11]
	v_exp_f32_e32 v58, v58
	v_exp_f32_e32 v59, v59
	;; [unrolled: 1-line block ×4, first 2 shown]
	v_accvgpr_read_b32 v65, a5
	v_accvgpr_read_b32 v64, a4
	;; [unrolled: 1-line block ×4, first 2 shown]
	v_pk_add_f32 v[62:63], v[62:63], v[64:65] neg_lo:[0,1] neg_hi:[0,1]
	s_waitcnt vmcnt(13)
	v_lshlrev_b32_e32 v65, 16, v157
	s_waitcnt vmcnt(12)
	v_lshlrev_b32_e32 v64, 16, v158
	v_pk_add_f32 v[50:51], v[64:65], v[50:51] neg_lo:[0,1] neg_hi:[0,1]
	v_pk_mul_f32 v[62:63], v[58:59], v[62:63]
	v_pk_mul_f32 v[50:51], v[60:61], v[50:51]
	v_accvgpr_read_b32 v65, a9
	v_perm_b32 v51, v51, v50, s35
	v_perm_b32 v50, v63, v62, s35
	v_accvgpr_read_b32 v64, a8
	v_accvgpr_read_b32 v53, a11
	v_mfma_f32_16x16x16_bf16 a[12:15], v[72:73], v[56:57], a[12:15]
	v_accvgpr_read_b32 v52, a10
	v_accvgpr_read_b32 v57, a3
	v_accvgpr_read_b32 v56, a2
	s_waitcnt vmcnt(11)
	v_lshlrev_b32_e32 v63, 16, v68
	s_waitcnt vmcnt(10)
	v_lshlrev_b32_e32 v62, 16, v69
	v_pk_add_f32 v[62:63], v[62:63], v[64:65] neg_lo:[0,1] neg_hi:[0,1]
	s_waitcnt vmcnt(9)
	v_lshlrev_b32_e32 v65, 16, v159
	s_waitcnt vmcnt(8)
	v_lshlrev_b32_e32 v64, 16, v160
	v_pk_add_f32 v[52:53], v[64:65], v[52:53] neg_lo:[0,1] neg_hi:[0,1]
	v_pk_mul_f32 v[62:63], v[58:59], v[62:63]
	v_pk_mul_f32 v[52:53], v[60:61], v[52:53]
	v_accvgpr_read_b32 v55, a15
	v_perm_b32 v53, v53, v52, s35
	v_perm_b32 v52, v63, v62, s35
	ds_write2_b64 v109, v[50:51], v[52:53] offset1:16
	v_accvgpr_read_b32 v53, a13
	s_waitcnt vmcnt(7)
	v_lshlrev_b32_e32 v51, 16, v161
	s_waitcnt vmcnt(6)
	v_lshlrev_b32_e32 v50, 16, v162
	v_accvgpr_read_b32 v52, a12
	v_accvgpr_read_b32 v54, a14
	v_pk_add_f32 v[50:51], v[50:51], v[52:53] neg_lo:[0,1] neg_hi:[0,1]
	s_waitcnt vmcnt(5)
	v_lshlrev_b32_e32 v53, 16, v163
	s_waitcnt vmcnt(4)
	v_lshlrev_b32_e32 v52, 16, v164
	v_pk_add_f32 v[52:53], v[52:53], v[54:55] neg_lo:[0,1] neg_hi:[0,1]
	v_pk_mul_f32 v[50:51], v[58:59], v[50:51]
	v_pk_mul_f32 v[52:53], v[60:61], v[52:53]
	v_accvgpr_read_b32 v55, a1
	v_perm_b32 v53, v53, v52, s35
	v_perm_b32 v52, v51, v50, s35
	s_waitcnt vmcnt(3)
	v_lshlrev_b32_e32 v51, 16, v70
	s_waitcnt vmcnt(2)
	v_lshlrev_b32_e32 v50, 16, v71
	v_accvgpr_read_b32 v54, a0
	v_pk_add_f32 v[50:51], v[50:51], v[54:55] neg_lo:[0,1] neg_hi:[0,1]
	s_waitcnt vmcnt(1)
	v_lshlrev_b32_e32 v55, 16, v165
	s_waitcnt vmcnt(0)
	v_lshlrev_b32_e32 v54, 16, v166
	v_pk_add_f32 v[54:55], v[54:55], v[56:57] neg_lo:[0,1] neg_hi:[0,1]
	v_pk_mul_f32 v[50:51], v[58:59], v[50:51]
	v_pk_mul_f32 v[54:55], v[60:61], v[54:55]
	v_mov_b32_e32 v56, 0
	v_perm_b32 v55, v55, v54, s35
	v_perm_b32 v54, v51, v50, s35
	ds_write2_b64 v109, v[52:53], v[54:55] offset0:32 offset1:48
	v_mov_b32_e32 v50, 0
	v_mov_b32_e32 v51, 0
	;; [unrolled: 1-line block ×15, first 2 shown]
	s_cbranch_vccnz .LBB154_14
; %bb.13:                               ;   in Loop: Header=BB154_6 Depth=1
	s_and_b32 s25, s25, 0xffff
	s_mov_b32 s27, s23
	buffer_load_dwordx4 v[62:65], v142, s[24:27], 0 offen
	buffer_load_dwordx4 v[54:57], v142, s[24:27], s65 offen
	buffer_load_dwordx4 v[58:61], v143, s[24:27], 0 offen
	buffer_load_dwordx4 v[50:53], v143, s[24:27], s65 offen
	v_mov_b32_e32 v155, v103
	v_mov_b32_e32 v156, v102
.LBB154_14:                             ;   in Loop: Header=BB154_6 Depth=1
	s_waitcnt lgkmcnt(0)
	s_barrier
	ds_read_b64 v[74:75], v145
	ds_read2_b64 v[66:69], v138 offset1:16
	ds_read_b64 v[174:175], v146
	ds_read_b64 v[176:177], v147
	;; [unrolled: 1-line block ×3, first 2 shown]
	ds_read2_b64 v[70:73], v138 offset0:32 offset1:48
	ds_read2st64_b64 v[158:161], v138 offset0:4 offset1:8
	ds_read2st64_b64 v[162:165], v139 offset0:4 offset1:8
	;; [unrolled: 1-line block ×4, first 2 shown]
	s_waitcnt lgkmcnt(8)
	v_mfma_f32_16x16x16_bf16 a[0:3], v[74:75], v[66:67], 0
	s_add_i32 s21, s60, s72
	s_mul_hi_i32 s25, s21, s13
	s_mul_i32 s21, s21, s13
	v_mfma_f32_16x16x16_bf16 a[4:7], v[74:75], v[68:69], 0
	s_add_u32 s24, s21, s33
	s_addc_u32 s25, s25, s48
	s_add_i32 s21, s3, s66
	s_waitcnt lgkmcnt(4)
	v_mfma_f32_16x16x16_bf16 a[8:11], v[74:75], v[70:71], 0
	s_lshl_b64 s[24:25], s[24:25], 15
	s_mul_hi_i32 s27, s21, s13
	s_mul_i32 s21, s21, s13
	v_mfma_f32_16x16x16_bf16 a[12:15], v[74:75], v[72:73], 0
	ds_read_b64 v[74:75], v138 offset:6144
	ds_read_b64 v[186:187], v139 offset:6144
	;; [unrolled: 1-line block ×4, first 2 shown]
	s_add_u32 s46, s21, s33
	s_waitcnt lgkmcnt(7)
	v_mfma_f32_16x16x16_bf16 a[0:3], v[174:175], v[158:159], a[0:3]
	s_addc_u32 s47, s27, s48
	s_lshl_b64 s[46:47], s[46:47], 9
	s_add_u32 s46, s16, s46
	s_waitcnt lgkmcnt(6)
	v_mfma_f32_16x16x16_bf16 a[4:7], v[174:175], v[162:163], a[4:7]
	s_addc_u32 s47, s17, s47
	v_lshl_add_u64 v[196:197], v[94:95], 0, s[24:25]
	s_waitcnt lgkmcnt(5)
	v_mfma_f32_16x16x16_bf16 a[8:11], v[174:175], v[166:167], a[8:11]
	s_waitcnt lgkmcnt(4)
	v_mfma_f32_16x16x16_bf16 a[12:15], v[174:175], v[170:171], a[12:15]
	ds_read_b64 v[174:175], v150
	ds_read_b64 v[184:185], v151
	;; [unrolled: 1-line block ×3, first 2 shown]
	s_waitcnt lgkmcnt(2)
	v_mfma_f32_16x16x16_bf16 a[16:19], v[174:175], v[66:67], 0
	v_mfma_f32_16x16x16_bf16 a[20:23], v[174:175], v[68:69], 0
	global_load_dwordx4 v[66:69], v149, s[46:47]
	v_mfma_f32_16x16x16_bf16 a[24:27], v[174:175], v[70:71], 0
	v_mfma_f32_16x16x16_bf16 a[28:31], v[174:175], v[72:73], 0
	global_load_dwordx4 v[70:73], v89, s[46:47]
	v_mfma_f32_16x16x16_bf16 a[0:3], v[176:177], v[160:161], a[0:3]
	v_mfma_f32_16x16x16_bf16 a[4:7], v[176:177], v[164:165], a[4:7]
	;; [unrolled: 1-line block ×8, first 2 shown]
	ds_read2st64_b64 v[174:177], v136 offset1:8
	ds_read2st64_b64 v[178:181], v137 offset1:8
	ds_read_b64 v[194:195], v144 offset:40960
	s_waitcnt lgkmcnt(2)
	v_mov_b32_e32 v182, v174
	v_mfma_f32_16x16x16_bf16 a[16:19], v[184:185], v[158:159], a[16:19]
	v_mov_b32_e32 v183, v175
	v_mfma_f32_16x16x16_bf16 a[20:23], v[184:185], v[162:163], a[20:23]
	v_mfma_f32_16x16x16_bf16 a[24:27], v[184:185], v[166:167], a[24:27]
	;; [unrolled: 1-line block ×3, first 2 shown]
	v_add_co_u32_e32 v170, vcc, s37, v196
	s_waitcnt lgkmcnt(1)
	v_mov_b32_e32 v184, v178
	s_waitcnt lgkmcnt(0)
	v_mfma_f32_16x16x16_bf16 a[16:19], v[194:195], v[160:161], a[16:19]
	ds_read2st64_b64 v[158:161], v136 offset0:16 offset1:24
	v_addc_co_u32_e32 v171, vcc, 0, v197, vcc
	v_mfma_f32_16x16x16_bf16 a[32:35], v[194:195], v[164:165], a[20:23]
	ds_read2st64_b64 v[162:165], v137 offset0:16 offset1:24
	v_mov_b32_e32 v185, v179
	v_mov_b32_e32 v178, v176
	v_mfma_f32_16x16x16_bf16 a[24:27], v[194:195], v[168:169], a[24:27]
	v_mov_b32_e32 v179, v177
	s_waitcnt lgkmcnt(0)
	v_mov_b32_e32 v168, v162
	v_mov_b32_e32 v169, v163
	v_mfma_f32_16x16x16_bf16 a[36:39], v[194:195], v[172:173], a[28:31]
	v_mov_b32_e32 v162, v160
	v_mov_b32_e32 v163, v161
	;; [unrolled: 1-line block ×3, first 2 shown]
	v_mfma_f32_16x16x16_bf16 a[20:23], v[192:193], v[74:75], a[16:19]
	v_add_co_u32_e32 v74, vcc, s70, v196
	v_mov_b32_e32 v167, v159
	v_mfma_f32_16x16x16_bf16 a[28:31], v[192:193], v[186:187], a[32:35]
	v_addc_co_u32_e32 v75, vcc, 0, v197, vcc
	global_store_dwordx4 v[74:75], v[162:165], off
	v_mfma_f32_16x16x16_bf16 a[16:19], v[192:193], v[188:189], a[24:27]
	s_waitcnt vmcnt(2)
	v_mov_b32_e32 v76, v69
	v_mov_b32_e32 v75, v68
	;; [unrolled: 1-line block ×3, first 2 shown]
	v_mfma_f32_16x16x16_bf16 a[24:27], v[192:193], v[190:191], a[36:39]
	s_and_b64 vcc, exec, s[0:1]
	global_store_dwordx4 v[196:197], v[182:185], off
	global_store_dwordx4 v[170:171], v[178:181], off offset:-4096
	global_store_dwordx4 v[170:171], v[166:169], off
	s_cbranch_vccnz .LBB154_16
; %bb.15:                               ;   in Loop: Header=BB154_6 Depth=1
	v_lshrrev_b32_e32 v67, 3, v155
	v_and_b32_e32 v67, 6, v67
	v_xor_b32_e32 v68, v67, v156
	v_lshlrev_b32_e32 v68, 2, v68
	v_and_b32_e32 v69, 8, v155
	v_xor_b32_e32 v155, 0x440, v68
	v_cmp_eq_u32_e32 vcc, 0, v69
	v_perm_b32 v69, v54, v50, s67
	s_nop 0
	v_cndmask_b32_e32 v68, v155, v68, vcc
	v_lshl_or_b32 v67, v67, 10, v68
	v_perm_b32 v68, v62, v58, s67
	s_barrier
	ds_write2st64_b32 v67, v68, v69 offset0:128 offset1:160
	v_xor_b32_e32 v68, 8, v67
	v_perm_b32 v58, v62, v58, s68
	v_perm_b32 v50, v54, v50, s68
	v_add_u32_e32 v54, 0x80, v68
	ds_write2st64_b32 v54, v58, v50 offset0:128 offset1:160
	v_xor_b32_e32 v50, 16, v67
	v_perm_b32 v54, v63, v59, s67
	v_perm_b32 v58, v55, v51, s67
	ds_write2st64_b32 v50, v54, v58 offset0:129 offset1:161
	v_xor_b32_e32 v50, 24, v67
	v_perm_b32 v54, v63, v59, s68
	v_perm_b32 v51, v55, v51, s68
	v_add_u32_e32 v50, 0x80, v50
	ds_write2st64_b32 v50, v54, v51 offset0:129 offset1:161
	v_xor_b32_e32 v50, 32, v67
	v_perm_b32 v51, v64, v60, s67
	v_perm_b32 v54, v56, v52, s67
	ds_write2st64_b32 v50, v51, v54 offset0:130 offset1:162
	v_xor_b32_e32 v50, 40, v67
	v_perm_b32 v51, v64, v60, s68
	v_perm_b32 v52, v56, v52, s68
	v_add_u32_e32 v50, 0x80, v50
	ds_write2st64_b32 v50, v51, v52 offset0:130 offset1:162
	v_xor_b32_e32 v50, 48, v67
	v_perm_b32 v51, v65, v61, s67
	v_perm_b32 v52, v57, v53, s67
	ds_write2st64_b32 v50, v51, v52 offset0:131 offset1:163
	v_xor_b32_e32 v50, 56, v67
	v_perm_b32 v51, v65, v61, s68
	v_perm_b32 v52, v57, v53, s68
	v_add_u32_e32 v50, 0x80, v50
	ds_write2st64_b32 v50, v51, v52 offset0:131 offset1:163
	ds_write_b64 v154, v[46:47] offset:49152
	v_xor_b32_e32 v46, 8, v154
	ds_write_b64 v46, v[48:49] offset:49152
	ds_write_b64 v154, v[42:43] offset:57344
	;; [unrolled: 1-line block ×4, first 2 shown]
	v_xor_b32_e32 v38, 8, v153
	ds_write_b64 v38, v[40:41] offset:49152
	ds_write_b64 v153, v[34:35] offset:57344
	;; [unrolled: 1-line block ×3, first 2 shown]
.LBB154_16:                             ;   in Loop: Header=BB154_6 Depth=1
	v_exp_f32_e32 v68, s20
	s_waitcnt vmcnt(4)
	v_exp_f32_e32 v70, v70
	v_exp_f32_e32 v71, v71
	;; [unrolled: 1-line block ×4, first 2 shown]
	v_accvgpr_read_b32 v37, a3
	v_accvgpr_read_b32 v36, a2
	;; [unrolled: 1-line block ×4, first 2 shown]
	v_pk_mul_f32 v[70:71], v[68:69], v[70:71] op_sel_hi:[0,1]
	v_pk_mul_f32 v[72:73], v[68:69], v[72:73] op_sel_hi:[0,1]
	v_pk_fma_f32 v[22:23], v[22:23], v[70:71], v[34:35]
	v_pk_fma_f32 v[24:25], v[24:25], v[72:73], v[36:37]
	v_exp_f32_e32 v34, v66
	v_exp_f32_e32 v35, v74
	;; [unrolled: 1-line block ×4, first 2 shown]
	v_accvgpr_read_b32 v41, a7
	v_accvgpr_read_b32 v45, a11
	;; [unrolled: 1-line block ×28, first 2 shown]
	v_pk_mul_f32 v[34:35], v[68:69], v[34:35] op_sel_hi:[0,1]
	v_pk_mul_f32 v[36:37], v[68:69], v[36:37] op_sel_hi:[0,1]
	s_add_i32 s66, s66, 64
	v_pk_fma_f32 v[18:19], v[70:71], v[18:19], v[38:39]
	v_pk_fma_f32 v[20:21], v[72:73], v[20:21], v[40:41]
	;; [unrolled: 1-line block ×13, first 2 shown]
	s_cmp_eq_u32 s57, s71
	v_pk_fma_f32 v[4:5], v[36:37], v[4:5], v[64:65]
	s_cbranch_scc1 .LBB154_18
; %bb.17:                               ;   in Loop: Header=BB154_6 Depth=1
	s_mov_b32 s72, s71
	s_branch .LBB154_6
.LBB154_18:
	s_lshl_b32 s43, s57, 6
	s_sub_i32 s46, s12, s43
	s_cmp_gt_i32 s46, 0
	s_cbranch_scc0 .LBB154_99
; %bb.19:
	s_ashr_i32 s3, s43, 31
	s_cmpk_lg_i32 s15, 0x80
	s_cselect_b64 s[26:27], -1, 0
	s_and_b64 vcc, exec, s[26:27]
	s_cbranch_vccz .LBB154_21
; %bb.20:
	s_mul_hi_i32 s0, s56, s12
	s_add_u32 s1, s49, s43
	s_addc_u32 s0, s0, s3
	s_mul_i32 s20, s1, s58
	s_mul_hi_u32 s21, s1, s14
	s_add_i32 s20, s21, s20
	s_mul_i32 s0, s0, s14
	s_add_i32 s20, s20, s0
	s_mul_i32 s1, s1, s14
	s_ashr_i32 s0, s59, 31
	s_add_u32 s44, s1, s59
	s_addc_u32 s45, s20, s0
	s_cbranch_execz .LBB154_22
	s_branch .LBB154_23
.LBB154_21:
                                        ; implicit-def: $sgpr44_sgpr45
.LBB154_22:
	s_mul_hi_i32 s0, s56, s14
	s_mul_i32 s56, s56, s14
	s_ashr_i32 s1, s59, 31
	s_add_u32 s14, s56, s59
	s_addc_u32 s0, s0, s1
	s_mul_i32 s1, s14, s55
	s_mul_hi_u32 s20, s14, s12
	s_add_i32 s1, s20, s1
	s_mul_i32 s0, s0, s12
	s_add_i32 s1, s1, s0
	s_mul_i32 s14, s14, s12
	s_add_u32 s44, s14, s43
	s_addc_u32 s45, s1, s3
.LBB154_23:
	s_mul_i32 s0, s40, s55
	s_add_i32 s0, s62, s0
	s_add_i32 s14, s60, s57
	;; [unrolled: 1-line block ×3, first 2 shown]
	s_add_u32 s0, s42, s43
	v_lshlrev_b32_e32 v38, 6, v100
	v_lshlrev_b32_e32 v57, 2, v97
	s_addc_u32 s1, s1, s3
	s_mov_b32 s3, 0x7060302
	v_or_b32_e32 v41, v38, v57
	v_xor_b32_e32 v39, v100, v57
	s_waitcnt vmcnt(7)
	v_perm_b32 v35, v25, v24, s3
	v_perm_b32 v34, v23, v22, s3
	s_waitcnt vmcnt(6)
	v_perm_b32 v37, v13, v12, s3
	v_perm_b32 v36, v11, v10, s3
	v_lshlrev_b32_e32 v41, 1, v41
	v_xor_b32_e32 v40, v101, v57
	ds_write2st64_b64 v41, v[34:35], v[36:37] offset0:32 offset1:48
	v_lshlrev_b32_e32 v39, 1, v39
	v_lshlrev_b32_e32 v41, 8, v97
	v_or_b32_e32 v42, v39, v41
	v_lshlrev_b32_e32 v40, 1, v40
	ds_write_b64 v42, v[34:35]
	v_or_b32_e32 v34, v40, v41
	v_or_b32_e32 v41, 16, v97
	v_lshlrev_b32_e32 v55, 2, v41
	v_or_b32_e32 v42, v38, v55
	ds_write_b64 v34, v[36:37]
	s_waitcnt vmcnt(5)
	v_perm_b32 v35, v21, v20, s3
	v_perm_b32 v34, v19, v18, s3
	s_waitcnt vmcnt(4)
	v_perm_b32 v37, v17, v16, s3
	v_perm_b32 v36, v15, v14, s3
	v_lshlrev_b32_e32 v42, 1, v42
	v_lshlrev_b32_e32 v41, 8, v41
	ds_write2st64_b64 v42, v[34:35], v[36:37] offset0:32 offset1:48
	v_or_b32_e32 v42, v39, v41
	ds_write_b64 v42, v[34:35]
	v_or_b32_e32 v34, v40, v41
	v_or_b32_e32 v41, 32, v97
	v_lshlrev_b32_e32 v54, 2, v41
	v_or_b32_e32 v42, v38, v54
	ds_write_b64 v34, v[36:37]
	s_waitcnt vmcnt(3)
	v_perm_b32 v35, v33, v32, s3
	v_perm_b32 v34, v31, v30, s3
	s_waitcnt vmcnt(2)
	v_perm_b32 v37, v29, v28, s3
	v_perm_b32 v36, v27, v26, s3
	v_lshlrev_b32_e32 v42, 1, v42
	v_lshlrev_b32_e32 v41, 8, v41
	s_lshl_b64 s[24:25], s[0:1], 8
	ds_write2st64_b64 v42, v[34:35], v[36:37] offset0:32 offset1:48
	v_or_b32_e32 v42, v39, v41
	s_add_u32 s0, s6, s24
	ds_write_b64 v42, v[34:35]
	v_or_b32_e32 v34, v40, v41
	s_addc_u32 s1, s7, s25
	ds_write_b64 v34, v[36:37]
	s_waitcnt vmcnt(1)
	v_perm_b32 v35, v9, v8, s3
	v_perm_b32 v34, v7, v6, s3
	s_waitcnt vmcnt(0)
	v_perm_b32 v37, v5, v4, s3
	v_perm_b32 v36, v3, v2, s3
	v_or_b32_e32 v41, 48, v97
	s_mul_hi_i32 s3, s14, s13
	s_mul_i32 s14, s14, s13
	v_lshlrev_b32_e32 v51, 2, v41
	s_add_u32 s6, s14, s33
	v_or_b32_e32 v38, v38, v51
	s_addc_u32 s7, s3, s48
	v_lshlrev_b32_e32 v38, 1, v38
	s_ashr_i32 s3, s2, 31
	s_lshl_b64 s[6:7], s[6:7], 15
	ds_write2st64_b64 v38, v[34:35], v[36:37] offset0:32 offset1:48
	v_lshlrev_b32_e32 v38, 8, v41
	s_add_u32 s6, s38, s6
	v_or_b32_e32 v39, v39, v38
	s_addc_u32 s7, s39, s7
	s_lshl_b64 s[2:3], s[2:3], 8
	ds_write_b64 v39, v[34:35]
	v_or_b32_e32 v34, v40, v38
	s_add_u32 s2, s6, s2
	v_lshlrev_b32_e32 v35, 1, v97
	ds_write_b64 v34, v[36:37]
	v_lshrrev_b32_e32 v34, 4, v0
	s_addc_u32 s3, s7, s3
	v_or_b32_e32 v36, 1, v35
	v_lshlrev_b32_e32 v42, 4, v97
	v_mov_b32_e32 v43, 0
	v_xor_b32_e32 v35, v34, v35
	v_xor_b32_e32 v38, v36, v34
	v_lshl_add_u64 v[44:45], s[2:3], 0, v[42:43]
	v_lshlrev_b32_e32 v42, 8, v34
	v_lshl_or_b32 v48, v35, 3, v42
	v_lshl_or_b32 v49, v38, 3, v42
	s_waitcnt lgkmcnt(0)
	s_barrier
	ds_read2st64_b64 v[34:37], v48 offset1:8
	ds_read2st64_b64 v[38:41], v49 offset1:8
	v_lshl_add_u64 v[46:47], v[44:45], 0, v[42:43]
	s_movk_i32 s2, 0x2000
	s_cmp_lg_u32 s46, 64
	s_waitcnt lgkmcnt(1)
	v_mov_b32_e32 v42, v34
	v_mov_b32_e32 v43, v35
	s_waitcnt lgkmcnt(0)
	v_mov_b32_e32 v44, v38
	v_mov_b32_e32 v45, v39
	global_store_dwordx4 v[46:47], v[42:45], off
	v_mov_b32_e32 v38, v36
	v_mov_b32_e32 v39, v37
	ds_read2st64_b64 v[34:37], v48 offset0:16 offset1:24
	ds_read2st64_b64 v[42:45], v49 offset0:16 offset1:24
	v_add_co_u32_e32 v48, vcc, s2, v46
	s_cselect_b64 s[6:7], -1, 0
	s_nop 0
	v_addc_co_u32_e32 v49, vcc, 0, v47, vcc
	global_store_dwordx4 v[48:49], v[38:41], off offset:-4096
	v_lshl_or_b32 v62, v1, 3, v99
	s_mov_b32 s20, 0
	s_waitcnt lgkmcnt(1)
	v_mov_b32_e32 v38, v34
	v_add_co_u32_e32 v34, vcc, 0x3000, v46
	v_mov_b32_e32 v39, v35
	s_nop 0
	v_addc_co_u32_e32 v35, vcc, 0, v47, vcc
	s_waitcnt lgkmcnt(0)
	v_mov_b32_e32 v40, v42
	v_mov_b32_e32 v41, v43
	;; [unrolled: 1-line block ×4, first 2 shown]
	v_or_b32_e32 v52, 32, v62
	v_and_b32_e32 v50, 56, v98
	s_and_b64 vcc, exec, s[6:7]
	global_store_dwordx4 v[48:49], v[38:41], off
	global_store_dwordx4 v[34:35], v[42:45], off
	s_cbranch_vccz .LBB154_29
; %bb.24:
	s_mov_b32 s22, s20
	s_mov_b32 s23, s20
	;; [unrolled: 1-line block ×3, first 2 shown]
	v_mov_b64_e32 v[40:41], s[22:23]
	v_mov_b64_e32 v[38:39], s[20:21]
	;; [unrolled: 1-line block ×3, first 2 shown]
	v_cmp_gt_i32_e32 vcc, s46, v62
	v_mov_b64_e32 v[36:37], v[40:41]
	s_and_saveexec_b64 s[2:3], vcc
	s_cbranch_execz .LBB154_26
; %bb.25:
	v_lshlrev_b32_e32 v34, 8, v62
	v_mov_b32_e32 v35, 0
	v_lshl_add_u64 v[36:37], s[0:1], 0, v[34:35]
	v_lshlrev_b32_e32 v34, 1, v50
	v_lshl_add_u64 v[42:43], v[36:37], 0, v[34:35]
	global_load_dwordx4 v[38:41], v[42:43], off
	global_load_dwordx4 v[34:37], v[42:43], off offset:128
.LBB154_26:
	s_or_b64 exec, exec, s[2:3]
	s_mov_b32 s22, s20
	s_mov_b32 s23, s20
	;; [unrolled: 1-line block ×3, first 2 shown]
	v_mov_b64_e32 v[48:49], s[22:23]
	v_mov_b64_e32 v[46:47], s[20:21]
	;; [unrolled: 1-line block ×3, first 2 shown]
	v_cmp_gt_i32_e32 vcc, s46, v52
	v_lshlrev_b32_e32 v53, 7, v52
	v_mov_b64_e32 v[44:45], v[48:49]
	s_and_saveexec_b64 s[2:3], vcc
	s_cbranch_execz .LBB154_28
; %bb.27:
	v_lshlrev_b32_e32 v42, 1, v53
	v_mov_b32_e32 v43, 0
	v_lshl_add_u64 v[44:45], s[0:1], 0, v[42:43]
	v_lshlrev_b32_e32 v42, 1, v50
	v_lshl_add_u64 v[58:59], v[44:45], 0, v[42:43]
	global_load_dwordx4 v[46:49], v[58:59], off
	global_load_dwordx4 v[42:45], v[58:59], off offset:128
.LBB154_28:
	s_or_b64 exec, exec, s[2:3]
	v_lshrrev_b32_e32 v56, 3, v50
	v_lshlrev_b32_e32 v58, 3, v62
	v_or_b32_e32 v56, v58, v56
	v_lshlrev_b32_e32 v56, 4, v56
	v_and_b32_e32 v58, 0x78, v58
	v_xor_b32_e32 v56, v56, v58
	s_branch .LBB154_31
.LBB154_29:
                                        ; implicit-def: $vgpr56
                                        ; implicit-def: $vgpr53
                                        ; implicit-def: $vgpr38_vgpr39_vgpr40_vgpr41
                                        ; implicit-def: $vgpr34_vgpr35_vgpr36_vgpr37
                                        ; implicit-def: $vgpr46_vgpr47_vgpr48_vgpr49
                                        ; implicit-def: $vgpr42_vgpr43_vgpr44_vgpr45
	s_cbranch_execz .LBB154_31
; %bb.30:
	s_waitcnt vmcnt(0)
	v_lshlrev_b32_e32 v34, 1, v50
	v_lshl_or_b32 v53, v62, 8, v34
	s_and_b32 s1, s1, 0xffff
	s_mov_b32 s3, 0x20000
	s_movk_i32 s2, 0x4000
	v_lshl_or_b32 v56, v52, 8, v34
	s_movk_i32 s14, 0x80
	buffer_load_dwordx4 v[38:41], v53, s[0:3], 0 offen
	buffer_load_dwordx4 v[34:37], v53, s[0:3], s14 offen
	;; [unrolled: 1-line block ×4, first 2 shown]
	v_lshrrev_b32_e32 v53, 3, v50
	v_lshlrev_b32_e32 v56, 3, v62
	v_or_b32_e32 v53, v56, v53
	v_lshlrev_b32_e32 v53, 4, v53
	v_and_b32_e32 v56, 0x78, v56
	v_xor_b32_e32 v56, v53, v56
	v_lshlrev_b32_e32 v53, 7, v52
.LBB154_31:
	s_movk_i32 s0, 0x1000
	v_and_or_b32 v52, v53, s0, v56
	s_waitcnt vmcnt(1)
	ds_write_b64 v56, v[38:39] offset:49152
	v_xor_b32_e32 v38, 8, v56
	ds_write_b64 v38, v[40:41] offset:49152
	s_waitcnt vmcnt(0)
	ds_write_b64 v56, v[34:35] offset:57344
	ds_write_b64 v38, v[36:37] offset:57344
	;; [unrolled: 1-line block ×3, first 2 shown]
	v_xor_b32_e32 v34, 8, v52
	ds_write_b64 v34, v[48:49] offset:49152
	ds_write_b64 v52, v[42:43] offset:57344
	;; [unrolled: 1-line block ×3, first 2 shown]
	v_or_b32_e32 v34, v77, v97
	v_lshlrev_b32_e32 v34, 3, v34
	v_lshrrev_b32_e32 v35, 5, v79
	s_movk_i32 s0, 0xf8
	v_and_or_b32 v35, v34, s0, v35
	v_lshlrev_b32_e32 v39, 4, v35
	v_lshlrev_b32_e32 v56, 11, v1
	v_and_b32_e32 v40, 0x78, v34
	v_or_b32_e32 v42, 32, v39
	v_and_b32_e32 v38, 0x1000, v56
	v_lshrrev_b32_e32 v35, 1, v79
	v_xor_b32_e32 v42, v42, v40
	v_xor_b32_e32 v34, v39, v40
	v_and_b32_e32 v41, 8, v35
	v_or_b32_e32 v42, v42, v38
	v_or_b32_e32 v34, v34, v38
	v_xor_b32_e32 v64, v42, v41
	v_or_b32_e32 v42, 64, v39
	v_xor_b32_e32 v63, v34, v41
	v_xor_b32_e32 v42, v42, v40
	s_waitcnt lgkmcnt(0)
	s_barrier
	v_or_b32_e32 v45, v42, v38
	ds_read_b64 v[42:43], v63 offset:49152
	v_lshl_or_b32 v46, v96, 8, v57
	v_lshlrev_b32_e32 v58, 1, v46
	v_add_u32_e32 v44, 0x4000, v58
	ds_read2_b64 v[34:37], v44 offset1:16
	v_or_b32_e32 v39, 0x60, v39
	v_xor_b32_e32 v39, v39, v40
	v_or_b32_e32 v38, v39, v38
	v_xor_b32_e32 v65, v45, v41
	v_xor_b32_e32 v66, v38, v41
	ds_read_b64 v[52:53], v64 offset:49152
	ds_read_b64 v[68:69], v65 offset:49152
	;; [unrolled: 1-line block ×3, first 2 shown]
	s_waitcnt lgkmcnt(3)
	v_mfma_f32_16x16x16_bf16 a[0:3], v[42:43], v[34:35], 0
	ds_read2st64_b64 v[38:41], v58 offset0:36 offset1:40
	s_lshl_b64 s[0:1], s[44:45], 8
	s_add_u32 s4, s4, s0
	v_mfma_f32_16x16x16_bf16 a[4:7], v[42:43], v[36:37], 0
	ds_read2_b64 v[34:37], v44 offset0:32 offset1:48
	s_addc_u32 s5, s5, s1
	s_add_i32 s0, s51, s41
	s_waitcnt lgkmcnt(0)
	v_mfma_f32_16x16x16_bf16 a[8:11], v[42:43], v[34:35], 0
	v_or_b32_e32 v34, 64, v46
	v_lshlrev_b32_e32 v59, 1, v34
	s_add_i32 s14, s12, -1
	v_mfma_f32_16x16x16_bf16 a[12:15], v[42:43], v[36:37], 0
	ds_read2st64_b64 v[34:37], v59 offset0:36 offset1:40
	s_add_i32 s37, s0, s50
	s_add_i32 s0, s53, s52
	v_mfma_f32_16x16x16_bf16 a[0:3], v[52:53], v[38:39], a[0:3]
	v_or_b32_e32 v38, 0x80, v46
	v_lshlrev_b32_e32 v60, 1, v38
	ds_read2st64_b64 v[42:45], v60 offset0:36 offset1:40
	s_waitcnt lgkmcnt(1)
	v_mfma_f32_16x16x16_bf16 a[4:7], v[52:53], v[34:35], a[4:7]
	v_or_b32_e32 v34, 0xc0, v46
	v_lshlrev_b32_e32 v61, 1, v34
	ds_read2st64_b64 v[46:49], v61 offset0:36 offset1:40
	s_add_i32 s35, s0, s54
	s_ashr_i32 s0, s14, 31
	s_mul_i32 s1, s14, s31
	s_mul_hi_u32 s2, s14, s30
	s_add_i32 s1, s2, s1
	s_mul_i32 s0, s0, s30
	s_waitcnt lgkmcnt(1)
	v_mfma_f32_16x16x16_bf16 a[8:11], v[52:53], v[42:43], a[8:11]
	s_add_i32 s1, s1, s0
	s_lshl_b64 s[2:3], s[36:37], 2
	s_add_u32 s10, s10, s2
	s_waitcnt lgkmcnt(0)
	v_mfma_f32_16x16x16_bf16 a[12:15], v[52:53], v[46:47], a[12:15]
	s_addc_u32 s11, s11, s3
	s_lshl_b64 s[2:3], s[34:35], 2
	s_mul_i32 s0, s14, s30
	v_mfma_f32_16x16x16_bf16 a[0:3], v[68:69], v[40:41], a[0:3]
	ds_read_b64 v[34:35], v58 offset:22528
	s_add_u32 s10, s10, s2
	s_addc_u32 s11, s11, s3
	v_mfma_f32_16x16x16_bf16 a[4:7], v[68:69], v[36:37], a[4:7]
	ds_read_b64 v[36:37], v59 offset:22528
	ds_read_b64 v[38:39], v60 offset:22528
	;; [unrolled: 1-line block ×3, first 2 shown]
	s_lshl_b64 s[0:1], s[0:1], 2
	s_add_u32 s0, s10, s0
	v_mfma_f32_16x16x16_bf16 a[8:11], v[68:69], v[44:45], a[8:11]
	s_addc_u32 s1, s11, s1
	s_load_dword s12, s[0:1], 0x0
	s_and_b64 vcc, exec, s[26:27]
	v_mfma_f32_16x16x16_bf16 a[12:15], v[68:69], v[48:49], a[12:15]
	s_waitcnt lgkmcnt(0)
	v_mfma_f32_16x16x16_bf16 a[0:3], v[70:71], v[34:35], a[0:3]
	v_mfma_f32_16x16x16_bf16 a[4:7], v[70:71], v[36:37], a[4:7]
	v_mfma_f32_16x16x16_bf16 a[8:11], v[70:71], v[38:39], a[8:11]
	v_mfma_f32_16x16x16_bf16 a[12:15], v[70:71], v[40:41], a[12:15]
	s_cbranch_vccz .LBB154_42
; %bb.32:
	v_lshlrev_b32_e32 v52, 1, v62
	s_and_b64 vcc, exec, s[6:7]
	s_cbranch_vccz .LBB154_43
; %bb.33:
	v_cmp_gt_i32_e32 vcc, s46, v52
	v_mov_b32_e32 v38, 0
	v_mov_b32_e32 v34, 0
	;; [unrolled: 1-line block ×5, first 2 shown]
	s_and_saveexec_b64 s[0:1], vcc
	s_cbranch_execz .LBB154_35
; %bb.34:
	v_mad_i64_i32 v[34:35], s[2:3], s15, v52, 0
	v_lshl_add_u64 v[34:35], v[34:35], 1, s[4:5]
	v_lshlrev_b32_e32 v36, 1, v50
	v_mov_b32_e32 v37, 0
	v_lshl_add_u64 v[34:35], v[34:35], 0, v[36:37]
	global_load_dwordx4 v[34:37], v[34:35], off
.LBB154_35:
	s_or_b64 exec, exec, s[0:1]
	v_or_b32_e32 v53, 1, v52
	v_cmp_gt_i32_e64 s[0:1], s46, v53
	v_mov_b32_e32 v39, 0
	v_mov_b32_e32 v40, 0
	;; [unrolled: 1-line block ×3, first 2 shown]
	s_and_saveexec_b64 s[2:3], s[0:1]
	s_cbranch_execz .LBB154_37
; %bb.36:
	v_mad_i64_i32 v[38:39], s[20:21], s15, v53, 0
	v_lshl_add_u64 v[38:39], v[38:39], 1, s[4:5]
	v_lshlrev_b32_e32 v40, 1, v50
	v_mov_b32_e32 v41, 0
	v_lshl_add_u64 v[38:39], v[38:39], 0, v[40:41]
	global_load_dwordx4 v[38:41], v[38:39], off
.LBB154_37:
	s_or_b64 exec, exec, s[2:3]
	v_mov_b32_e32 v49, 0
	v_mov_b32_e32 v42, 0
	;; [unrolled: 1-line block ×5, first 2 shown]
	s_and_saveexec_b64 s[2:3], vcc
	s_cbranch_execz .LBB154_39
; %bb.38:
	v_mad_i64_i32 v[42:43], s[20:21], s15, v52, 0
	v_lshl_add_u64 v[42:43], v[42:43], 1, s[4:5]
	v_lshlrev_b32_e32 v44, 1, v50
	v_mov_b32_e32 v45, 0
	v_lshl_add_u64 v[42:43], v[42:43], 0, v[44:45]
	global_load_dwordx4 v[42:45], v[42:43], off offset:128
.LBB154_39:
	s_or_b64 exec, exec, s[2:3]
	v_mov_b32_e32 v48, 0
	v_mov_b32_e32 v47, 0
	v_mov_b32_e32 v46, 0
	s_and_saveexec_b64 s[2:3], s[0:1]
	s_cbranch_execz .LBB154_41
; %bb.40:
	v_mad_i64_i32 v[46:47], s[0:1], s15, v53, 0
	v_lshl_add_u64 v[46:47], v[46:47], 1, s[4:5]
	v_lshlrev_b32_e32 v48, 1, v50
	v_mov_b32_e32 v49, 0
	v_lshl_add_u64 v[46:47], v[46:47], 0, v[48:49]
	global_load_dwordx4 v[46:49], v[46:47], off offset:128
.LBB154_41:
	s_or_b64 exec, exec, s[2:3]
	s_branch .LBB154_45
.LBB154_42:
                                        ; implicit-def: $vgpr37
                                        ; implicit-def: $vgpr41
                                        ; implicit-def: $vgpr45
                                        ; implicit-def: $vgpr49
	v_lshrrev_b32_e32 v67, 2, v79
	s_branch .LBB154_46
.LBB154_43:
                                        ; implicit-def: $vgpr37
                                        ; implicit-def: $vgpr41
                                        ; implicit-def: $vgpr45
                                        ; implicit-def: $vgpr49
	s_cbranch_execz .LBB154_45
; %bb.44:
	s_waitcnt vmcnt(0)
	v_mad_u64_u32 v[34:35], s[0:1], v52, s15, v[50:51]
	v_lshlrev_b32_e32 v52, 1, v34
	s_lshl_b32 s2, s15, 7
	s_and_b32 s1, s5, 0xffff
	s_mov_b32 s3, 0x20000
	s_mov_b32 s0, s4
	v_add_lshl_u32 v53, v34, s15, 1
	s_movk_i32 s15, 0x80
	buffer_load_dwordx4 v[34:37], v52, s[0:3], 0 offen
	buffer_load_dwordx4 v[42:45], v52, s[0:3], s15 offen
	;; [unrolled: 1-line block ×4, first 2 shown]
.LBB154_45:
	v_lshrrev_b32_e32 v67, 2, v79
	s_cbranch_execnz .LBB154_58
.LBB154_46:
	s_and_b64 vcc, exec, s[6:7]
	s_cbranch_vccz .LBB154_56
; %bb.47:
	s_waitcnt vmcnt(0)
	v_lshlrev_b32_e32 v39, 1, v62
	v_cmp_gt_i32_e32 vcc, s46, v39
	v_mov_b32_e32 v38, 0
	v_lshlrev_b32_e32 v46, 9, v62
	v_mov_b32_e32 v34, 0
	v_mov_b32_e32 v35, 0
	;; [unrolled: 1-line block ×4, first 2 shown]
	s_and_saveexec_b64 s[0:1], vcc
	s_cbranch_execz .LBB154_49
; %bb.48:
	v_mov_b32_e32 v47, 0
	v_lshl_add_u64 v[34:35], s[4:5], 0, v[46:47]
	v_lshlrev_b32_e32 v36, 1, v50
	v_mov_b32_e32 v37, v47
	v_lshl_add_u64 v[34:35], v[34:35], 0, v[36:37]
	global_load_dwordx4 v[34:37], v[34:35], off
.LBB154_49:
	s_or_b64 exec, exec, s[0:1]
	v_or_b32_e32 v39, 1, v39
	v_cmp_gt_i32_e64 s[0:1], s46, v39
	v_lshlrev_b32_e32 v52, 8, v39
	v_mov_b32_e32 v39, 0
	v_mov_b32_e32 v40, 0
	;; [unrolled: 1-line block ×3, first 2 shown]
	s_and_saveexec_b64 s[2:3], s[0:1]
	s_cbranch_execz .LBB154_51
; %bb.50:
	v_mov_b32_e32 v53, 0
	v_lshl_add_u64 v[38:39], s[4:5], 0, v[52:53]
	v_lshlrev_b32_e32 v40, 1, v50
	v_mov_b32_e32 v41, v53
	v_lshl_add_u64 v[38:39], v[38:39], 0, v[40:41]
	global_load_dwordx4 v[38:41], v[38:39], off
.LBB154_51:
	s_or_b64 exec, exec, s[2:3]
	v_mov_b32_e32 v49, 0
	v_mov_b32_e32 v42, 0
	;; [unrolled: 1-line block ×5, first 2 shown]
	s_and_saveexec_b64 s[2:3], vcc
	s_cbranch_execz .LBB154_53
; %bb.52:
	v_mov_b32_e32 v47, 0
	v_lshl_add_u64 v[42:43], s[4:5], 0, v[46:47]
	v_lshlrev_b32_e32 v46, 1, v50
	v_lshl_add_u64 v[42:43], v[42:43], 0, v[46:47]
	global_load_dwordx4 v[42:45], v[42:43], off offset:128
.LBB154_53:
	s_or_b64 exec, exec, s[2:3]
	v_mov_b32_e32 v48, 0
	v_mov_b32_e32 v47, 0
	;; [unrolled: 1-line block ×3, first 2 shown]
	s_and_saveexec_b64 s[2:3], s[0:1]
	s_cbranch_execz .LBB154_55
; %bb.54:
	v_mov_b32_e32 v53, 0
	v_lshl_add_u64 v[46:47], s[4:5], 0, v[52:53]
	v_lshlrev_b32_e32 v52, 1, v50
	v_lshl_add_u64 v[46:47], v[46:47], 0, v[52:53]
	global_load_dwordx4 v[46:49], v[46:47], off offset:128
.LBB154_55:
	s_or_b64 exec, exec, s[2:3]
	s_branch .LBB154_58
.LBB154_56:
                                        ; implicit-def: $vgpr37
                                        ; implicit-def: $vgpr41
                                        ; implicit-def: $vgpr45
                                        ; implicit-def: $vgpr49
	s_cbranch_execz .LBB154_58
; %bb.57:
	s_waitcnt vmcnt(0)
	v_lshlrev_b32_e32 v34, 1, v50
	v_lshl_or_b32 v50, v62, 9, v34
	s_and_b32 s5, s5, 0xffff
	s_mov_b32 s7, 0x20000
	s_movk_i32 s6, 0x4000
	s_movk_i32 s0, 0x80
	buffer_load_dwordx4 v[34:37], v50, s[4:7], 0 offen
	buffer_load_dwordx4 v[38:41], v50, s[4:7], 0 offen offset:256
	buffer_load_dwordx4 v[42:45], v50, s[4:7], s0 offen
	buffer_load_dwordx4 v[46:49], v50, s[4:7], s0 offen offset:256
.LBB154_58:
	ds_read_b64 v[52:53], v63 offset:57344
	v_add_u32_e32 v50, 0x6000, v58
	ds_read2_b64 v[68:71], v50 offset1:16
	ds_read_b64 v[94:95], v64 offset:57344
	ds_read_b64 v[96:97], v65 offset:57344
	;; [unrolled: 1-line block ×3, first 2 shown]
	v_and_b32_e32 v63, 6, v0
	v_xor_b32_e32 v62, v62, v63
	v_lshlrev_b32_e32 v62, 2, v62
	s_mov_b32 s0, 0x1000504
	s_mov_b32 s1, 0x3020706
	s_waitcnt lgkmcnt(3)
	v_mfma_f32_16x16x16_bf16 a[0:3], v[52:53], v[68:69], a[0:3]
	v_mfma_f32_16x16x16_bf16 a[4:7], v[52:53], v[70:71], a[4:7]
	ds_read2_b64 v[68:71], v50 offset0:32 offset1:48
	v_and_b32_e32 v50, 12, v67
	ds_read2st64_b64 v[64:67], v58 offset0:52 offset1:56
	s_waitcnt lgkmcnt(1)
	v_mfma_f32_16x16x16_bf16 a[8:11], v[52:53], v[68:69], a[8:11]
	v_mfma_f32_16x16x16_bf16 a[12:15], v[52:53], v[70:71], a[12:15]
	ds_read2st64_b64 v[68:71], v59 offset0:52 offset1:56
	ds_read2st64_b64 v[72:75], v60 offset0:52 offset1:56
	ds_read2st64_b64 v[90:93], v61 offset0:52 offset1:56
	s_waitcnt lgkmcnt(3)
	v_mfma_f32_16x16x16_bf16 a[0:3], v[94:95], v[64:65], a[0:3]
	ds_read_b64 v[52:53], v58 offset:30720
	ds_read_b64 v[64:65], v59 offset:30720
	;; [unrolled: 1-line block ×4, first 2 shown]
	s_waitcnt lgkmcnt(6)
	v_mfma_f32_16x16x16_bf16 a[4:7], v[94:95], v[68:69], a[4:7]
	v_and_b32_e32 v68, 1, v0
	v_xor_b32_e32 v69, 0x440, v62
	v_cmp_eq_u32_e32 vcc, 0, v68
	s_waitcnt lgkmcnt(5)
	v_mfma_f32_16x16x16_bf16 a[8:11], v[94:95], v[72:73], a[8:11]
	v_cndmask_b32_e32 v62, v69, v62, vcc
	v_lshl_or_b32 v62, v63, 10, v62
	s_waitcnt lgkmcnt(4)
	v_mfma_f32_16x16x16_bf16 a[12:15], v[94:95], v[90:91], a[12:15]
	s_waitcnt vmcnt(0)
	v_perm_b32 v63, v34, v38, s0
	v_perm_b32 v34, v34, v38, s1
	;; [unrolled: 1-line block ×3, first 2 shown]
	v_mfma_f32_16x16x16_bf16 a[0:3], v[96:97], v[66:67], a[0:3]
	v_perm_b32 v66, v42, v46, s0
	ds_write2st64_b32 v62, v63, v66 offset0:128 offset1:160
	v_xor_b32_e32 v63, 8, v62
	v_add_u32_e32 v42, 0x80, v63
	ds_write2st64_b32 v42, v34, v38 offset0:128 offset1:160
	v_xor_b32_e32 v34, 16, v62
	v_perm_b32 v38, v35, v39, s0
	v_perm_b32 v42, v43, v47, s0
	v_mfma_f32_16x16x16_bf16 a[4:7], v[96:97], v[70:71], a[4:7]
	ds_write2st64_b32 v34, v38, v42 offset0:129 offset1:161
	v_xor_b32_e32 v34, 24, v62
	v_perm_b32 v35, v35, v39, s1
	v_mfma_f32_16x16x16_bf16 a[16:19], v[96:97], v[74:75], a[8:11]
	v_perm_b32 v38, v43, v47, s1
	v_add_u32_e32 v34, 0x80, v34
	ds_write2st64_b32 v34, v35, v38 offset0:129 offset1:161
	v_mfma_f32_16x16x16_bf16 a[20:23], v[96:97], v[92:93], a[12:15]
	v_xor_b32_e32 v34, 32, v62
	v_perm_b32 v35, v36, v40, s0
	v_perm_b32 v38, v44, v48, s0
	ds_write2st64_b32 v34, v35, v38 offset0:130 offset1:162
	v_xor_b32_e32 v34, 40, v62
	s_waitcnt lgkmcnt(8)
	v_mfma_f32_16x16x16_bf16 a[12:15], v[98:99], v[52:53], a[0:3]
	v_perm_b32 v35, v36, v40, s1
	v_perm_b32 v36, v44, v48, s1
	v_add_u32_e32 v34, 0x80, v34
	s_waitcnt lgkmcnt(7)
	v_mfma_f32_16x16x16_bf16 a[8:11], v[98:99], v[64:65], a[4:7]
	ds_write2st64_b32 v34, v35, v36 offset0:130 offset1:162
	v_xor_b32_e32 v34, 48, v62
	v_perm_b32 v35, v37, v41, s0
	s_waitcnt lgkmcnt(7)
	v_mfma_f32_16x16x16_bf16 a[4:7], v[98:99], v[100:101], a[16:19]
	v_perm_b32 v36, v45, v49, s0
	ds_write2st64_b32 v34, v35, v36 offset0:131 offset1:163
	v_xor_b32_e32 v34, 56, v62
	s_waitcnt lgkmcnt(7)
	v_mfma_f32_16x16x16_bf16 a[0:3], v[98:99], v[102:103], a[20:23]
	v_or_b32_e32 v48, v50, v77
	v_perm_b32 v35, v37, v41, s1
	v_perm_b32 v36, v45, v49, s1
	v_add_u32_e32 v34, 0x80, v34
	v_cmp_gt_i32_e64 s[0:1], s46, v48
	v_mov_b32_e32 v52, 0
	v_mov_b32_e32 v53, 0
	ds_write2st64_b32 v34, v35, v36 offset0:131 offset1:163
	s_and_saveexec_b64 s[2:3], s[0:1]
	s_cbranch_execz .LBB154_60
; %bb.59:
	v_add_u32_e32 v34, s43, v48
	v_ashrrev_i32_e32 v35, 31, v34
	v_mul_lo_u32 v36, v35, s30
	v_mul_lo_u32 v37, v34, s31
	v_mad_u64_u32 v[34:35], s[4:5], v34, s30, 0
	v_add3_u32 v35, v35, v37, v36
	v_lshl_add_u64 v[34:35], v[34:35], 2, s[10:11]
	global_load_dword v34, v[34:35], off
	s_waitcnt vmcnt(0)
	v_sub_f32_e32 v34, s12, v34
	v_exp_f32_e32 v53, v34
.LBB154_60:
	s_or_b64 exec, exec, s[2:3]
	v_or_b32_e32 v40, 1, v48
	v_cmp_gt_i32_e64 s[2:3], s46, v40
	s_and_saveexec_b64 s[4:5], s[2:3]
	s_cbranch_execz .LBB154_62
; %bb.61:
	v_add_u32_e32 v34, s43, v40
	v_ashrrev_i32_e32 v35, 31, v34
	v_mul_lo_u32 v36, v35, s30
	v_mul_lo_u32 v37, v34, s31
	v_mad_u64_u32 v[34:35], s[6:7], v34, s30, 0
	v_add3_u32 v35, v35, v37, v36
	v_lshl_add_u64 v[34:35], v[34:35], 2, s[10:11]
	global_load_dword v34, v[34:35], off
	s_waitcnt vmcnt(0)
	v_sub_f32_e32 v34, s12, v34
	v_exp_f32_e32 v52, v34
.LBB154_62:
	s_or_b64 exec, exec, s[4:5]
	v_or_b32_e32 v41, 2, v48
	v_cmp_gt_i32_e64 s[4:5], s46, v41
	v_mov_b32_e32 v49, 0
	v_mov_b32_e32 v62, 0
	s_and_saveexec_b64 s[6:7], s[4:5]
	s_cbranch_execz .LBB154_64
; %bb.63:
	v_add_u32_e32 v34, s43, v41
	v_ashrrev_i32_e32 v35, 31, v34
	v_mul_lo_u32 v36, v35, s30
	v_mul_lo_u32 v37, v34, s31
	v_mad_u64_u32 v[34:35], s[20:21], v34, s30, 0
	v_add3_u32 v35, v35, v37, v36
	v_lshl_add_u64 v[34:35], v[34:35], 2, s[10:11]
	global_load_dword v34, v[34:35], off
	s_waitcnt vmcnt(0)
	v_sub_f32_e32 v34, s12, v34
	v_exp_f32_e32 v62, v34
.LBB154_64:
	s_or_b64 exec, exec, s[6:7]
	v_or_b32_e32 v63, 3, v48
	v_cmp_gt_i32_e32 vcc, s46, v63
	s_and_saveexec_b64 s[6:7], vcc
	s_cbranch_execz .LBB154_66
; %bb.65:
	v_add_u32_e32 v34, s43, v63
	v_ashrrev_i32_e32 v35, 31, v34
	v_mul_lo_u32 v36, v35, s30
	v_mul_lo_u32 v37, v34, s31
	v_mad_u64_u32 v[34:35], s[20:21], v34, s30, 0
	v_add3_u32 v35, v35, v37, v36
	v_lshl_add_u64 v[34:35], v[34:35], 2, s[10:11]
	global_load_dword v34, v[34:35], off
	s_waitcnt vmcnt(0)
	v_sub_f32_e32 v34, s12, v34
	v_exp_f32_e32 v49, v34
.LBB154_66:
	s_or_b64 exec, exec, s[6:7]
	s_add_u32 s6, s8, s24
	v_accvgpr_read_b32 v37, a15
	s_addc_u32 s7, s9, s25
	v_ashrrev_i32_e32 v89, 31, v88
	v_accvgpr_read_b32 v36, a14
	v_accvgpr_read_b32 v35, a13
	;; [unrolled: 1-line block ×3, first 2 shown]
	v_lshl_add_u64 v[38:39], v[88:89], 1, s[6:7]
	v_mov_b32_e32 v45, 0
	v_lshlrev_b32_e32 v42, 8, v48
	v_mov_b32_e32 v43, 0
	s_and_saveexec_b64 s[6:7], s[0:1]
	s_cbranch_execz .LBB154_68
; %bb.67:
	v_mov_b32_e32 v43, 0
	v_lshl_add_u64 v[46:47], v[38:39], 0, v[42:43]
	global_load_ushort v43, v[46:47], off
	s_waitcnt vmcnt(0)
	v_lshlrev_b32_e32 v43, 16, v43
	v_sub_f32_e32 v34, v43, v34
	v_mul_f32_e32 v34, v53, v34
	v_lshrrev_b32_e32 v43, 16, v34
.LBB154_68:
	s_or_b64 exec, exec, s[6:7]
	v_lshlrev_b32_e32 v44, 8, v40
	s_and_saveexec_b64 s[6:7], s[2:3]
	s_cbranch_execz .LBB154_70
; %bb.69:
	v_mov_b32_e32 v45, 0
	v_lshl_add_u64 v[46:47], v[38:39], 0, v[44:45]
	global_load_ushort v34, v[46:47], off
	s_waitcnt vmcnt(0)
	v_lshlrev_b32_e32 v34, 16, v34
	v_sub_f32_e32 v34, v34, v35
	v_mul_f32_e32 v34, v52, v34
	v_lshrrev_b32_e32 v45, 16, v34
.LBB154_70:
	s_or_b64 exec, exec, s[6:7]
	v_mov_b32_e32 v64, 0
	v_lshlrev_b32_e32 v46, 8, v41
	v_mov_b32_e32 v47, 0
	s_and_saveexec_b64 s[6:7], s[4:5]
	s_cbranch_execz .LBB154_72
; %bb.71:
	v_mov_b32_e32 v47, 0
	v_lshl_add_u64 v[34:35], v[38:39], 0, v[46:47]
	global_load_ushort v34, v[34:35], off
	s_waitcnt vmcnt(0)
	v_lshlrev_b32_e32 v34, 16, v34
	v_sub_f32_e32 v34, v34, v36
	v_mul_f32_e32 v34, v62, v34
	v_lshrrev_b32_e32 v47, 16, v34
.LBB154_72:
	s_or_b64 exec, exec, s[6:7]
	v_lshlrev_b32_e32 v40, 8, v63
	s_and_saveexec_b64 s[6:7], vcc
	s_cbranch_execz .LBB154_74
; %bb.73:
	v_mov_b32_e32 v41, 0
	v_lshl_add_u64 v[34:35], v[38:39], 0, v[40:41]
	global_load_ushort v34, v[34:35], off
	s_waitcnt vmcnt(0)
	v_lshlrev_b32_e32 v34, 16, v34
	v_sub_f32_e32 v34, v34, v37
	v_mul_f32_e32 v34, v49, v34
	v_lshrrev_b32_e32 v64, 16, v34
.LBB154_74:
	s_or_b64 exec, exec, s[6:7]
	v_lshlrev_b32_e32 v63, 6, v48
	v_accvgpr_read_b32 v37, a11
	s_mov_b32 s6, 0x5040100
	v_or_b32_e32 v41, v63, v57
	v_accvgpr_read_b32 v36, a10
	v_accvgpr_read_b32 v35, a9
	;; [unrolled: 1-line block ×3, first 2 shown]
	v_perm_b32 v65, v64, v47, s6
	v_perm_b32 v64, v45, v43, s6
	v_lshlrev_b32_e32 v41, 1, v41
	v_mov_b32_e32 v45, 0
	v_mov_b32_e32 v43, 0
	ds_write_b64 v41, v[64:65] offset:24576
	s_and_saveexec_b64 s[6:7], s[0:1]
	s_cbranch_execz .LBB154_76
; %bb.75:
	v_mov_b32_e32 v43, 0
	v_lshl_add_u64 v[64:65], v[38:39], 0, v[42:43]
	global_load_ushort v41, v[64:65], off offset:32
	s_waitcnt vmcnt(0)
	v_lshlrev_b32_e32 v41, 16, v41
	v_sub_f32_e32 v34, v41, v34
	v_mul_f32_e32 v34, v53, v34
	v_lshrrev_b32_e32 v43, 16, v34
.LBB154_76:
	s_or_b64 exec, exec, s[6:7]
	s_and_saveexec_b64 s[6:7], s[2:3]
	s_cbranch_execz .LBB154_78
; %bb.77:
	v_mov_b32_e32 v45, 0
	v_lshl_add_u64 v[64:65], v[38:39], 0, v[44:45]
	global_load_ushort v34, v[64:65], off offset:32
	s_waitcnt vmcnt(0)
	v_lshlrev_b32_e32 v34, 16, v34
	v_sub_f32_e32 v34, v34, v35
	v_mul_f32_e32 v34, v52, v34
	v_lshrrev_b32_e32 v45, 16, v34
.LBB154_78:
	s_or_b64 exec, exec, s[6:7]
	v_mov_b32_e32 v41, 0
	v_mov_b32_e32 v47, 0
	s_and_saveexec_b64 s[6:7], s[4:5]
	s_cbranch_execz .LBB154_80
; %bb.79:
	v_mov_b32_e32 v47, 0
	v_lshl_add_u64 v[34:35], v[38:39], 0, v[46:47]
	global_load_ushort v34, v[34:35], off offset:32
	s_waitcnt vmcnt(0)
	v_lshlrev_b32_e32 v34, 16, v34
	v_sub_f32_e32 v34, v34, v36
	v_mul_f32_e32 v34, v62, v34
	v_lshrrev_b32_e32 v47, 16, v34
.LBB154_80:
	s_or_b64 exec, exec, s[6:7]
	s_and_saveexec_b64 s[6:7], vcc
	s_cbranch_execz .LBB154_82
; %bb.81:
	v_mov_b32_e32 v41, 0
	v_lshl_add_u64 v[34:35], v[38:39], 0, v[40:41]
	global_load_ushort v34, v[34:35], off offset:32
	s_waitcnt vmcnt(0)
	v_lshlrev_b32_e32 v34, 16, v34
	v_sub_f32_e32 v34, v34, v37
	v_mul_f32_e32 v34, v49, v34
	v_lshrrev_b32_e32 v41, 16, v34
.LBB154_82:
	s_or_b64 exec, exec, s[6:7]
	s_mov_b32 s6, 0x5040100
	v_accvgpr_read_b32 v37, a7
	v_perm_b32 v65, v41, v47, s6
	v_or_b32_e32 v41, v63, v55
	v_accvgpr_read_b32 v36, a6
	v_accvgpr_read_b32 v35, a5
	;; [unrolled: 1-line block ×3, first 2 shown]
	v_perm_b32 v64, v45, v43, s6
	v_lshlrev_b32_e32 v41, 1, v41
	v_mov_b32_e32 v45, 0
	v_mov_b32_e32 v43, 0
	ds_write_b64 v41, v[64:65] offset:24576
	s_and_saveexec_b64 s[6:7], s[0:1]
	s_cbranch_execz .LBB154_84
; %bb.83:
	v_mov_b32_e32 v43, 0
	v_lshl_add_u64 v[64:65], v[38:39], 0, v[42:43]
	global_load_ushort v41, v[64:65], off offset:64
	s_waitcnt vmcnt(0)
	v_lshlrev_b32_e32 v41, 16, v41
	v_sub_f32_e32 v34, v41, v34
	v_mul_f32_e32 v34, v53, v34
	v_lshrrev_b32_e32 v43, 16, v34
.LBB154_84:
	s_or_b64 exec, exec, s[6:7]
	s_and_saveexec_b64 s[6:7], s[2:3]
	s_cbranch_execz .LBB154_86
; %bb.85:
	v_mov_b32_e32 v45, 0
	v_lshl_add_u64 v[64:65], v[38:39], 0, v[44:45]
	global_load_ushort v34, v[64:65], off offset:64
	s_waitcnt vmcnt(0)
	v_lshlrev_b32_e32 v34, 16, v34
	v_sub_f32_e32 v34, v34, v35
	v_mul_f32_e32 v34, v52, v34
	v_lshrrev_b32_e32 v45, 16, v34
.LBB154_86:
	s_or_b64 exec, exec, s[6:7]
	v_mov_b32_e32 v41, 0
	v_mov_b32_e32 v47, 0
	s_and_saveexec_b64 s[6:7], s[4:5]
	s_cbranch_execz .LBB154_88
; %bb.87:
	v_mov_b32_e32 v47, 0
	v_lshl_add_u64 v[34:35], v[38:39], 0, v[46:47]
	global_load_ushort v34, v[34:35], off offset:64
	s_waitcnt vmcnt(0)
	v_lshlrev_b32_e32 v34, 16, v34
	v_sub_f32_e32 v34, v34, v36
	v_mul_f32_e32 v34, v62, v34
	v_lshrrev_b32_e32 v47, 16, v34
.LBB154_88:
	s_or_b64 exec, exec, s[6:7]
	s_and_saveexec_b64 s[6:7], vcc
	s_cbranch_execz .LBB154_90
; %bb.89:
	v_mov_b32_e32 v41, 0
	v_lshl_add_u64 v[34:35], v[38:39], 0, v[40:41]
	global_load_ushort v34, v[34:35], off offset:64
	s_waitcnt vmcnt(0)
	v_lshlrev_b32_e32 v34, 16, v34
	v_sub_f32_e32 v34, v34, v37
	v_mul_f32_e32 v34, v49, v34
	v_lshrrev_b32_e32 v41, 16, v34
.LBB154_90:
	s_or_b64 exec, exec, s[6:7]
	s_mov_b32 s6, 0x5040100
	v_accvgpr_read_b32 v37, a3
	v_perm_b32 v65, v41, v47, s6
	v_or_b32_e32 v41, v63, v54
	v_accvgpr_read_b32 v36, a2
	v_accvgpr_read_b32 v35, a1
	;; [unrolled: 1-line block ×3, first 2 shown]
	v_perm_b32 v64, v45, v43, s6
	v_lshlrev_b32_e32 v41, 1, v41
	v_mov_b32_e32 v45, 0
	v_mov_b32_e32 v43, 0
	ds_write_b64 v41, v[64:65] offset:24576
	s_and_saveexec_b64 s[6:7], s[0:1]
	s_cbranch_execz .LBB154_92
; %bb.91:
	v_mov_b32_e32 v43, 0
	v_lshl_add_u64 v[42:43], v[38:39], 0, v[42:43]
	global_load_ushort v41, v[42:43], off offset:96
	s_waitcnt vmcnt(0)
	v_lshlrev_b32_e32 v41, 16, v41
	v_sub_f32_e32 v34, v41, v34
	v_mul_f32_e32 v34, v53, v34
	v_lshrrev_b32_e32 v43, 16, v34
.LBB154_92:
	s_or_b64 exec, exec, s[6:7]
	s_and_saveexec_b64 s[0:1], s[2:3]
	s_cbranch_execz .LBB154_94
; %bb.93:
	v_mov_b32_e32 v45, 0
	v_lshl_add_u64 v[44:45], v[38:39], 0, v[44:45]
	global_load_ushort v34, v[44:45], off offset:96
	s_waitcnt vmcnt(0)
	v_lshlrev_b32_e32 v34, 16, v34
	v_sub_f32_e32 v34, v34, v35
	v_mul_f32_e32 v34, v52, v34
	v_lshrrev_b32_e32 v45, 16, v34
.LBB154_94:
	s_or_b64 exec, exec, s[0:1]
	v_mov_b32_e32 v41, 0
	v_mov_b32_e32 v44, 0
	s_and_saveexec_b64 s[0:1], s[4:5]
	s_cbranch_execz .LBB154_96
; %bb.95:
	v_mov_b32_e32 v47, 0
	v_lshl_add_u64 v[34:35], v[38:39], 0, v[46:47]
	global_load_ushort v34, v[34:35], off offset:96
	s_waitcnt vmcnt(0)
	v_lshlrev_b32_e32 v34, 16, v34
	v_sub_f32_e32 v34, v34, v36
	v_mul_f32_e32 v34, v62, v34
	v_lshrrev_b32_e32 v44, 16, v34
.LBB154_96:
	s_or_b64 exec, exec, s[0:1]
	v_or_b32_e32 v34, 0x6000, v58
	v_or_b32_e32 v35, 0x6000, v59
	;; [unrolled: 1-line block ×4, first 2 shown]
	s_and_saveexec_b64 s[0:1], vcc
	s_cbranch_execz .LBB154_98
; %bb.97:
	v_mov_b32_e32 v41, 0
	v_lshl_add_u64 v[38:39], v[38:39], 0, v[40:41]
	global_load_ushort v38, v[38:39], off offset:96
	s_waitcnt vmcnt(0)
	v_lshlrev_b32_e32 v38, 16, v38
	v_sub_f32_e32 v37, v38, v37
	v_mul_f32_e32 v37, v49, v37
	v_lshrrev_b32_e32 v41, 16, v37
.LBB154_98:
	s_or_b64 exec, exec, s[0:1]
	s_mov_b32 s0, 0x5040100
	v_or_b32_e32 v37, v63, v51
	v_perm_b32 v39, v41, v44, s0
	v_perm_b32 v38, v45, v43, s0
	v_lshlrev_b32_e32 v37, 1, v37
	ds_write_b64 v37, v[38:39] offset:24576
	v_and_b32_e32 v37, 7, v0
	v_and_b32_e32 v43, 8, v0
	v_lshlrev_b32_e32 v49, 3, v37
	v_lshlrev_b32_e32 v79, 7, v37
	v_lshrrev_b32_e32 v37, 1, v0
	v_and_b32_e32 v37, 24, v37
	v_mov_b32_e32 v44, 0x400
	v_cmp_eq_u32_e32 vcc, 0, v43
	s_movk_i32 s2, 0x100
	v_lshlrev_b32_e32 v51, 3, v1
	v_cndmask_b32_e64 v43, v44, 64, vcc
	v_mov_b32_e32 v44, 0xa000
	v_mov_b32_e32 v45, 0x8000
	v_cmp_gt_u32_e64 s[0:1], s2, v0
	v_xor_b32_e32 v57, v51, v37
	v_or3_b32 v43, v56, v43, v57
	v_cndmask_b32_e64 v0, v44, v45, s[0:1]
	v_or_b32_e32 v44, 0x440, v57
	v_cndmask_b32_e32 v44, v44, v57, vcc
	v_or_b32_e32 v44, v44, v56
	v_xor_b32_e32 v43, v43, v49
	v_xor_b32_e32 v90, v44, v49
	v_or_b32_e32 v92, v43, v79
	v_add3_u32 v44, v0, v90, v79
	v_or_b32_e32 v43, v0, v92
	s_waitcnt lgkmcnt(0)
	s_barrier
	ds_read_b64 v[58:59], v44
	ds_read_b64 v[74:75], v43
	v_or_b32_e32 v44, 32, v37
	v_or_b32_e32 v37, 0x60, v37
	v_xor_b32_e32 v44, v51, v44
	v_xor_b32_e32 v37, v51, v37
	v_or_b32_e32 v45, 0x440, v44
	v_xor_b32_e32 v43, 0x440, v37
	v_cndmask_b32_e32 v44, v45, v44, vcc
	v_cndmask_b32_e32 v37, v43, v37, vcc
	v_or_b32_e32 v44, v44, v56
	v_or_b32_e32 v37, v37, v56
	v_xor_b32_e32 v91, v44, v49
	v_xor_b32_e32 v93, v37, v49
	v_add3_u32 v44, v0, v91, v79
	v_add3_u32 v0, v0, v93, v79
	ds_read2_b64 v[38:41], v34 offset1:16
	ds_read_b64 v[70:71], v44
	ds_read_b64 v[56:57], v0
	ds_read2_b64 v[44:47], v34 offset0:32 offset1:48
	s_add_i32 s0, s14, s49
	s_mul_hi_i32 s1, s0, s13
	s_mul_i32 s0, s0, s13
	s_waitcnt lgkmcnt(3)
	v_mfma_f32_16x16x16_bf16 a[0:3], v[58:59], v[38:39], 0
	ds_read2st64_b64 v[52:55], v34 offset0:4 offset1:8
	s_add_u32 s0, s0, s33
	ds_read2st64_b64 v[62:65], v36 offset0:4 offset1:8
	v_mfma_f32_16x16x16_bf16 a[4:7], v[58:59], v[40:41], 0
	ds_read2st64_b64 v[66:69], v42 offset0:4 offset1:8
	s_addc_u32 s1, s1, s48
	s_lshl_b64 s[0:1], s[0:1], 9
	s_waitcnt lgkmcnt(3)
	v_mfma_f32_16x16x16_bf16 a[8:11], v[58:59], v[44:45], 0
	s_add_u32 s0, s16, s0
	s_addc_u32 s1, s17, s1
	v_lshlrev_b32_e32 v0, 2, v48
	v_mfma_f32_16x16x16_bf16 a[12:15], v[58:59], v[46:47], 0
	ds_read2st64_b64 v[58:61], v35 offset0:4 offset1:8
	s_waitcnt lgkmcnt(3)
	v_mfma_f32_16x16x16_bf16 a[0:3], v[70:71], v[52:53], a[0:3]
	s_waitcnt lgkmcnt(0)
	v_mfma_f32_16x16x16_bf16 a[4:7], v[70:71], v[58:59], a[4:7]
	v_mfma_f32_16x16x16_bf16 a[8:11], v[70:71], v[62:63], a[8:11]
	;; [unrolled: 1-line block ×3, first 2 shown]
	global_load_dwordx4 v[70:73], v0, s[0:1]
	v_lshlrev_b32_e32 v0, 6, v1
	v_lshlrev_b32_e32 v1, 2, v50
	v_or3_b32 v0, v0, v1, s2
	global_load_dwordx4 v[48:51], v0, s[0:1]
	v_mfma_f32_16x16x16_bf16 a[0:3], v[74:75], v[54:55], a[0:3]
	v_exp_f32_e32 v0, s12
	s_waitcnt vmcnt(1)
	v_exp_f32_e32 v37, v73
	v_mfma_f32_16x16x16_bf16 a[4:7], v[74:75], v[60:61], a[4:7]
	v_mfma_f32_16x16x16_bf16 a[8:11], v[74:75], v[64:65], a[8:11]
	;; [unrolled: 1-line block ×3, first 2 shown]
	ds_read_b64 v[74:75], v34 offset:6144
	ds_read_b64 v[76:77], v35 offset:6144
	ds_read_b64 v[88:89], v36 offset:6144
	ds_read_b64 v[42:43], v42 offset:6144
	v_exp_f32_e32 v34, v70
	v_exp_f32_e32 v35, v71
	;; [unrolled: 1-line block ×3, first 2 shown]
	s_waitcnt lgkmcnt(3)
	v_mfma_f32_16x16x16_bf16 a[0:3], v[56:57], v[74:75], a[0:3]
	v_add_u32_e32 v72, v93, v79
	v_pk_mul_f32 v[34:35], v[0:1], v[34:35] op_sel_hi:[0,1]
	v_add_u32_e32 v1, v90, v79
	ds_read_b64 v[70:71], v1 offset:40960
	v_pk_mul_f32 v[36:37], v[0:1], v[36:37] op_sel_hi:[0,1]
	v_add_u32_e32 v1, v91, v79
	s_waitcnt lgkmcnt(3)
	v_mfma_f32_16x16x16_bf16 a[4:7], v[56:57], v[76:77], a[4:7]
	v_pk_mul_f32 v[22:23], v[22:23], v[34:35]
	v_pk_mul_f32 v[24:25], v[24:25], v[36:37]
	v_pk_mul_f32 v[18:19], v[34:35], v[18:19]
	s_waitcnt lgkmcnt(2)
	v_mfma_f32_16x16x16_bf16 a[8:11], v[56:57], v[88:89], a[8:11]
	v_pk_mul_f32 v[20:21], v[36:37], v[20:21]
	v_pk_mul_f32 v[30:31], v[34:35], v[30:31]
	;; [unrolled: 1-line block ×3, first 2 shown]
	s_waitcnt lgkmcnt(1)
	v_mfma_f32_16x16x16_bf16 a[12:15], v[56:57], v[42:43], a[12:15]
	ds_read_b64 v[56:57], v1 offset:40960
	ds_read_b64 v[72:73], v72 offset:40960
	v_accvgpr_read_b32 v1, a0
	v_add_f32_e32 v22, v22, v1
	s_waitcnt lgkmcnt(2)
	v_mfma_f32_16x16x16_bf16 a[20:23], v[70:71], v[40:41], 0
	ds_read_b64 v[40:41], v92 offset:40960
	v_accvgpr_read_b32 v1, a1
	v_add_f32_e32 v23, v23, v1
	v_mfma_f32_16x16x16_bf16 a[16:19], v[70:71], v[38:39], 0
	v_accvgpr_read_b32 v1, a2
	v_add_f32_e32 v24, v24, v1
	v_accvgpr_read_b32 v1, a3
	s_waitcnt lgkmcnt(2)
	v_mfma_f32_16x16x16_bf16 a[0:3], v[56:57], v[52:53], a[16:19]
	v_add_f32_e32 v25, v25, v1
	v_accvgpr_read_b32 v1, a4
	v_accvgpr_read_b32 v39, a15
	;; [unrolled: 1-line block ×3, first 2 shown]
	v_mfma_f32_16x16x16_bf16 a[24:27], v[70:71], v[44:45], 0
	v_add_f32_e32 v18, v18, v1
	v_accvgpr_read_b32 v1, a5
	v_accvgpr_read_b32 v45, a13
	v_mfma_f32_16x16x16_bf16 a[14:17], v[56:57], v[58:59], a[20:23]
	v_add_f32_e32 v19, v19, v1
	v_accvgpr_read_b32 v1, a6
	v_accvgpr_read_b32 v44, a12
	s_waitcnt lgkmcnt(0)
	v_mfma_f32_16x16x16_bf16 a[0:3], v[40:41], v[54:55], a[0:3]
	v_add_f32_e32 v20, v20, v1
	v_accvgpr_read_b32 v1, a7
	v_pk_fma_f32 v[6:7], v[34:35], v[6:7], v[44:45]
	v_pk_fma_f32 v[8:9], v[36:37], v[8:9], v[38:39]
	s_waitcnt vmcnt(0)
	v_mov_b32_e32 v34, v49
	v_add_f32_e32 v21, v21, v1
	v_accvgpr_read_b32 v1, a8
	v_exp_f32_e32 v38, v48
	v_exp_f32_e32 v39, v34
	v_mfma_f32_16x16x16_bf16 a[28:31], v[70:71], v[46:47], 0
	v_add_f32_e32 v30, v30, v1
	v_accvgpr_read_b32 v1, a9
	v_mov_b32_e32 v35, v50
	v_mfma_f32_16x16x16_bf16 a[18:21], v[56:57], v[62:63], a[24:27]
	v_mov_b32_e32 v36, v51
	v_add_f32_e32 v31, v31, v1
	v_accvgpr_read_b32 v1, a10
	v_mfma_f32_16x16x16_bf16 a[14:17], v[40:41], v[60:61], a[14:17]
	v_exp_f32_e32 v34, v35
	v_exp_f32_e32 v35, v36
	v_add_f32_e32 v32, v32, v1
	v_mfma_f32_16x16x16_bf16 a[0:3], v[72:73], v[74:75], a[0:3]
	v_accvgpr_read_b32 v1, a11
	v_pk_mul_f32 v[36:37], v[0:1], v[38:39] op_sel_hi:[0,1]
	v_pk_mul_f32 v[10:11], v[10:11], v[36:37]
	v_mfma_f32_16x16x16_bf16 a[4:7], v[56:57], v[66:67], a[28:31]
	v_add_f32_e32 v33, v33, v1
	v_pk_mul_f32 v[0:1], v[0:1], v[34:35] op_sel_hi:[0,1]
	v_pk_mul_f32 v[12:13], v[12:13], v[0:1]
	v_mfma_f32_16x16x16_bf16 a[8:11], v[40:41], v[64:65], a[18:21]
	v_accvgpr_read_b32 v38, a0
	v_add_f32_e32 v10, v10, v38
	v_accvgpr_read_b32 v38, a1
	v_mfma_f32_16x16x16_bf16 a[12:15], v[72:73], v[76:77], a[14:17]
	v_add_f32_e32 v11, v11, v38
	v_accvgpr_read_b32 v38, a2
	v_add_f32_e32 v12, v12, v38
	v_accvgpr_read_b32 v38, a3
	v_mfma_f32_16x16x16_bf16 a[4:7], v[40:41], v[68:69], a[4:7]
	v_pk_mul_f32 v[14:15], v[36:37], v[14:15]
	v_add_f32_e32 v13, v13, v38
	v_accvgpr_read_b32 v38, a12
	v_mfma_f32_16x16x16_bf16 a[8:11], v[72:73], v[88:89], a[8:11]
	v_add_f32_e32 v14, v14, v38
	v_accvgpr_read_b32 v38, a13
	v_pk_mul_f32 v[16:17], v[0:1], v[16:17]
	v_add_f32_e32 v15, v15, v38
	v_accvgpr_read_b32 v38, a14
	v_add_f32_e32 v16, v16, v38
	v_accvgpr_read_b32 v38, a15
	v_pk_mul_f32 v[26:27], v[36:37], v[26:27]
	v_mfma_f32_16x16x16_bf16 a[4:7], v[72:73], v[42:43], a[4:7]
	v_add_f32_e32 v17, v17, v38
	v_accvgpr_read_b32 v38, a8
	v_add_f32_e32 v26, v26, v38
	v_accvgpr_read_b32 v38, a9
	v_pk_mul_f32 v[28:29], v[0:1], v[28:29]
	v_add_f32_e32 v27, v27, v38
	v_accvgpr_read_b32 v38, a10
	v_add_f32_e32 v28, v28, v38
	v_accvgpr_read_b32 v38, a11
	;; [unrolled: 2-line block ×3, first 2 shown]
	v_accvgpr_read_b32 v35, a7
	v_accvgpr_read_b32 v34, a6
	;; [unrolled: 1-line block ×3, first 2 shown]
	v_pk_fma_f32 v[2:3], v[36:37], v[2:3], v[38:39]
	v_pk_fma_f32 v[4:5], v[0:1], v[4:5], v[34:35]
.LBB154_99:
	s_add_u32 s0, s18, s28
	s_addc_u32 s1, s19, s29
	v_lshl_add_u64 v[0:1], v[80:81], 2, s[0:1]
	v_mov_b32_e32 v79, 0
	v_lshl_add_u64 v[0:1], v[0:1], 0, v[78:79]
	s_waitcnt vmcnt(7)
	global_store_dwordx4 v[0:1], v[22:25], off
	s_waitcnt vmcnt(7)
	global_store_dwordx4 v[0:1], v[10:13], off offset:256
	v_lshl_add_u64 v[0:1], v[82:83], 2, s[0:1]
	v_lshl_add_u64 v[0:1], v[0:1], 0, v[78:79]
	s_waitcnt vmcnt(7)
	global_store_dwordx4 v[0:1], v[18:21], off
	s_waitcnt vmcnt(7)
	global_store_dwordx4 v[0:1], v[14:17], off offset:256
	v_lshl_add_u64 v[0:1], v[86:87], 2, s[0:1]
	;; [unrolled: 6-line block ×3, first 2 shown]
	v_lshl_add_u64 v[0:1], v[0:1], 0, v[78:79]
	s_waitcnt vmcnt(7)
	global_store_dwordx4 v[0:1], v[6:9], off
	s_waitcnt vmcnt(7)
	global_store_dwordx4 v[0:1], v[2:5], off offset:256
	s_endpgm
	.section	.rodata,"a",@progbits
	.p2align	6, 0x0
	.amdhsa_kernel _ZN12_GLOBAL__N_139chunk_gated_delta_rule_fwd_h_hip_kernelILi64ELb1ELb1ELb0ELb0ELb1ELb1ELb0ELb0EEEvPK12hip_bfloat16S3_S3_PKfS5_PKvPS1_S8_PvPKiSB_iiiiilll
		.amdhsa_group_segment_fixed_size 65536
		.amdhsa_private_segment_fixed_size 0
		.amdhsa_kernarg_size 136
		.amdhsa_user_sgpr_count 2
		.amdhsa_user_sgpr_dispatch_ptr 0
		.amdhsa_user_sgpr_queue_ptr 0
		.amdhsa_user_sgpr_kernarg_segment_ptr 1
		.amdhsa_user_sgpr_dispatch_id 0
		.amdhsa_user_sgpr_kernarg_preload_length 0
		.amdhsa_user_sgpr_kernarg_preload_offset 0
		.amdhsa_user_sgpr_private_segment_size 0
		.amdhsa_uses_dynamic_stack 0
		.amdhsa_enable_private_segment 0
		.amdhsa_system_sgpr_workgroup_id_x 1
		.amdhsa_system_sgpr_workgroup_id_y 1
		.amdhsa_system_sgpr_workgroup_id_z 0
		.amdhsa_system_sgpr_workgroup_info 0
		.amdhsa_system_vgpr_workitem_id 0
		.amdhsa_next_free_vgpr 240
		.amdhsa_next_free_sgpr 73
		.amdhsa_accum_offset 200
		.amdhsa_reserve_vcc 1
		.amdhsa_float_round_mode_32 0
		.amdhsa_float_round_mode_16_64 0
		.amdhsa_float_denorm_mode_32 3
		.amdhsa_float_denorm_mode_16_64 3
		.amdhsa_dx10_clamp 1
		.amdhsa_ieee_mode 1
		.amdhsa_fp16_overflow 0
		.amdhsa_tg_split 0
		.amdhsa_exception_fp_ieee_invalid_op 0
		.amdhsa_exception_fp_denorm_src 0
		.amdhsa_exception_fp_ieee_div_zero 0
		.amdhsa_exception_fp_ieee_overflow 0
		.amdhsa_exception_fp_ieee_underflow 0
		.amdhsa_exception_fp_ieee_inexact 0
		.amdhsa_exception_int_div_zero 0
	.end_amdhsa_kernel
	.section	.text._ZN12_GLOBAL__N_139chunk_gated_delta_rule_fwd_h_hip_kernelILi64ELb1ELb1ELb0ELb0ELb1ELb1ELb0ELb0EEEvPK12hip_bfloat16S3_S3_PKfS5_PKvPS1_S8_PvPKiSB_iiiiilll,"axG",@progbits,_ZN12_GLOBAL__N_139chunk_gated_delta_rule_fwd_h_hip_kernelILi64ELb1ELb1ELb0ELb0ELb1ELb1ELb0ELb0EEEvPK12hip_bfloat16S3_S3_PKfS5_PKvPS1_S8_PvPKiSB_iiiiilll,comdat
.Lfunc_end154:
	.size	_ZN12_GLOBAL__N_139chunk_gated_delta_rule_fwd_h_hip_kernelILi64ELb1ELb1ELb0ELb0ELb1ELb1ELb0ELb0EEEvPK12hip_bfloat16S3_S3_PKfS5_PKvPS1_S8_PvPKiSB_iiiiilll, .Lfunc_end154-_ZN12_GLOBAL__N_139chunk_gated_delta_rule_fwd_h_hip_kernelILi64ELb1ELb1ELb0ELb0ELb1ELb1ELb0ELb0EEEvPK12hip_bfloat16S3_S3_PKfS5_PKvPS1_S8_PvPKiSB_iiiiilll
                                        ; -- End function
	.section	.AMDGPU.csdata,"",@progbits
; Kernel info:
; codeLenInByte = 12448
; NumSgprs: 79
; NumVgprs: 198
; NumAgprs: 40
; TotalNumVgprs: 240
; ScratchSize: 0
; MemoryBound: 0
; FloatMode: 240
; IeeeMode: 1
; LDSByteSize: 65536 bytes/workgroup (compile time only)
; SGPRBlocks: 9
; VGPRBlocks: 29
; NumSGPRsForWavesPerEU: 79
; NumVGPRsForWavesPerEU: 240
; AccumOffset: 200
; Occupancy: 1
; WaveLimiterHint : 1
; COMPUTE_PGM_RSRC2:SCRATCH_EN: 0
; COMPUTE_PGM_RSRC2:USER_SGPR: 2
; COMPUTE_PGM_RSRC2:TRAP_HANDLER: 0
; COMPUTE_PGM_RSRC2:TGID_X_EN: 1
; COMPUTE_PGM_RSRC2:TGID_Y_EN: 1
; COMPUTE_PGM_RSRC2:TGID_Z_EN: 0
; COMPUTE_PGM_RSRC2:TIDIG_COMP_CNT: 0
; COMPUTE_PGM_RSRC3_GFX90A:ACCUM_OFFSET: 49
; COMPUTE_PGM_RSRC3_GFX90A:TG_SPLIT: 0
	.section	.text._ZN12_GLOBAL__N_139chunk_gated_delta_rule_fwd_h_hip_kernelILi64ELb1ELb0ELb1ELb0ELb1ELb1ELb0ELb0EEEvPK12hip_bfloat16S3_S3_PKfS5_PKvPS1_S8_PvPKiSB_iiiiilll,"axG",@progbits,_ZN12_GLOBAL__N_139chunk_gated_delta_rule_fwd_h_hip_kernelILi64ELb1ELb0ELb1ELb0ELb1ELb1ELb0ELb0EEEvPK12hip_bfloat16S3_S3_PKfS5_PKvPS1_S8_PvPKiSB_iiiiilll,comdat
	.globl	_ZN12_GLOBAL__N_139chunk_gated_delta_rule_fwd_h_hip_kernelILi64ELb1ELb0ELb1ELb0ELb1ELb1ELb0ELb0EEEvPK12hip_bfloat16S3_S3_PKfS5_PKvPS1_S8_PvPKiSB_iiiiilll ; -- Begin function _ZN12_GLOBAL__N_139chunk_gated_delta_rule_fwd_h_hip_kernelILi64ELb1ELb0ELb1ELb0ELb1ELb1ELb0ELb0EEEvPK12hip_bfloat16S3_S3_PKfS5_PKvPS1_S8_PvPKiSB_iiiiilll
	.p2align	8
	.type	_ZN12_GLOBAL__N_139chunk_gated_delta_rule_fwd_h_hip_kernelILi64ELb1ELb0ELb1ELb0ELb1ELb1ELb0ELb0EEEvPK12hip_bfloat16S3_S3_PKfS5_PKvPS1_S8_PvPKiSB_iiiiilll,@function
_ZN12_GLOBAL__N_139chunk_gated_delta_rule_fwd_h_hip_kernelILi64ELb1ELb0ELb1ELb0ELb1ELb1ELb0ELb0EEEvPK12hip_bfloat16S3_S3_PKfS5_PKvPS1_S8_PvPKiSB_iiiiilll: ; @_ZN12_GLOBAL__N_139chunk_gated_delta_rule_fwd_h_hip_kernelILi64ELb1ELb0ELb1ELb0ELb1ELb1ELb0ELb0EEEvPK12hip_bfloat16S3_S3_PKfS5_PKvPS1_S8_PvPKiSB_iiiiilll
; %bb.0:
	s_load_dwordx4 s[12:15], s[0:1], 0x5c
	s_load_dwordx4 s[20:23], s[0:1], 0x70
	s_abs_i32 s6, s3
	s_ashr_i32 s5, s3, 31
	s_load_dwordx4 s[16:19], s[0:1], 0x28
	s_load_dwordx2 s[28:29], s[0:1], 0x38
	s_waitcnt lgkmcnt(0)
	s_abs_i32 s4, s13
	v_cvt_f32_u32_e32 v1, s4
	s_sub_i32 s8, 0, s4
	s_ashr_i32 s7, s13, 31
	s_xor_b32 s5, s5, s7
	v_rcp_iflag_f32_e32 v1, v1
	v_and_b32_e32 v90, 15, v0
	v_lshrrev_b32_e32 v88, 6, v0
	v_bfe_u32 v89, v0, 4, 2
	v_mul_f32_e32 v1, 0x4f7ffffe, v1
	v_cvt_u32_f32_e32 v1, v1
	v_mov_b32_e32 v11, 0
	v_and_b32_e32 v77, 63, v0
	v_lshrrev_b32_e32 v92, 3, v77
	v_readfirstlane_b32 s9, v1
	s_mul_i32 s8, s8, s9
	s_mul_hi_u32 s8, s9, s8
	s_add_i32 s9, s9, s8
	s_mul_hi_u32 s8, s6, s9
	s_mul_i32 s9, s8, s4
	s_sub_i32 s6, s6, s9
	s_add_i32 s10, s8, 1
	s_sub_i32 s9, s6, s4
	s_cmp_ge_u32 s6, s4
	s_cselect_b32 s8, s10, s8
	s_cselect_b32 s6, s9, s6
	s_add_i32 s9, s8, 1
	s_cmp_ge_u32 s6, s4
	s_cselect_b32 s6, s9, s8
	s_xor_b32 s6, s6, s5
	s_add_i32 s8, s12, 63
	s_sub_i32 s53, s6, s5
	s_ashr_i32 s9, s8, 31
	s_mul_i32 s5, s53, s13
	s_sub_i32 s50, s3, s5
	s_lshr_b32 s3, s9, 26
	s_add_i32 s8, s8, s3
	s_abs_i32 s3, s14
	v_cvt_f32_u32_e32 v1, s3
	s_ashr_i32 s52, s12, 31
	s_lshr_b32 s6, s52, 26
	s_add_i32 s6, s12, s6
	v_rcp_iflag_f32_e32 v1, v1
	s_ashr_i32 s55, s14, 31
	s_ashr_i32 s54, s6, 6
	s_lshl_b32 s38, s2, 6
	v_mul_f32_e32 v1, 0x4f7ffffe, v1
	v_cvt_u32_f32_e32 v1, v1
	s_xor_b32 s2, s7, s55
	s_sub_i32 s6, 0, s3
	s_ashr_i32 s25, s8, 6
	v_readfirstlane_b32 s7, v1
	s_mul_i32 s6, s6, s7
	s_mul_hi_u32 s6, s7, s6
	s_add_i32 s7, s7, s6
	s_mul_hi_u32 s6, s4, s7
	s_mul_i32 s7, s6, s3
	s_sub_i32 s4, s4, s7
	s_add_i32 s7, s6, 1
	s_sub_i32 s8, s4, s3
	s_cmp_ge_u32 s4, s3
	s_cselect_b32 s6, s7, s6
	s_cselect_b32 s4, s8, s4
	s_add_i32 s7, s6, 1
	s_cmp_ge_u32 s4, s3
	s_cselect_b32 s3, s7, s6
	s_xor_b32 s3, s3, s2
	s_sub_i32 s2, s3, s2
	s_abs_i32 s3, s2
	v_cvt_f32_u32_e32 v1, s3
	s_sub_i32 s6, 0, s3
	s_abs_i32 s4, s50
	s_xor_b32 s2, s50, s2
	v_rcp_iflag_f32_e32 v1, v1
	s_ashr_i32 s2, s2, 31
	v_or_b32_e32 v78, s38, v90
	v_lshlrev_b32_e32 v2, 7, v78
	v_mul_f32_e32 v1, 0x4f7ffffe, v1
	v_cvt_u32_f32_e32 v1, v1
	v_ashrrev_i32_e32 v3, 31, v2
	s_mul_i32 s57, s53, s25
	v_lshlrev_b32_e32 v91, 3, v0
	v_readfirstlane_b32 s7, v1
	s_mul_i32 s6, s6, s7
	s_mul_hi_u32 s6, s7, s6
	s_add_i32 s7, s7, s6
	s_mul_hi_u32 s6, s4, s7
	s_mul_i32 s7, s6, s3
	s_sub_i32 s4, s4, s7
	s_add_i32 s7, s6, 1
	s_sub_i32 s8, s4, s3
	s_cmp_ge_u32 s4, s3
	s_cselect_b32 s6, s7, s6
	s_cselect_b32 s4, s8, s4
	s_add_i32 s7, s6, 1
	s_cmp_ge_u32 s4, s3
	s_cselect_b32 s3, s7, s6
	s_xor_b32 s3, s3, s2
	s_sub_i32 s56, s3, s2
	s_ashr_i32 s24, s53, 31
	s_ashr_i32 s51, s50, 31
	s_mul_hi_i32 s2, s53, s13
	s_add_u32 s40, s5, s50
	s_addc_u32 s41, s2, s51
	s_lshl_b64 s[2:3], s[40:41], 16
	v_lshlrev_b32_e32 v1, 4, v88
	s_add_u32 s2, s16, s2
	v_lshl_or_b32 v93, v89, 2, v1
	s_addc_u32 s3, s17, s3
	v_lshl_add_u64 v[4:5], v[2:3], 2, s[2:3]
	v_lshlrev_b32_e32 v10, 2, v93
	v_lshl_add_u64 v[4:5], v[4:5], 0, v[10:11]
	global_load_dwordx4 v[22:25], v[4:5], off
	global_load_dwordx4 v[30:33], v[4:5], off offset:256
	v_or_b32_e32 v4, 0x800, v2
	v_ashrrev_i32_e32 v5, 31, v4
	v_lshl_add_u64 v[4:5], v[4:5], 2, s[2:3]
	v_lshl_add_u64 v[4:5], v[4:5], 0, v[10:11]
	global_load_dwordx4 v[14:17], v[4:5], off
	global_load_dwordx4 v[26:29], v[4:5], off offset:256
	v_or_b32_e32 v4, 0x1000, v2
	v_or_b32_e32 v2, 0x1800, v2
	v_ashrrev_i32_e32 v5, 31, v4
	v_ashrrev_i32_e32 v3, 31, v2
	v_lshl_add_u64 v[4:5], v[4:5], 2, s[2:3]
	v_lshl_add_u64 v[2:3], v[2:3], 2, s[2:3]
	;; [unrolled: 1-line block ×4, first 2 shown]
	global_load_dwordx4 v[6:9], v[4:5], off
	global_load_dwordx4 v[18:21], v[4:5], off offset:256
	s_nop 0
	global_load_dwordx4 v[2:5], v[34:35], off
	global_load_dwordx4 v[10:13], v[34:35], off offset:256
	s_load_dwordx8 s[4:11], s[0:1], 0x0
	s_load_dwordx2 s[30:31], s[0:1], 0x80
	v_or_b32_e32 v94, 64, v93
	s_cmp_lt_i32 s12, 64
	s_mul_i32 s58, s41, s12
	s_mul_hi_u32 s59, s40, s12
	s_mul_i32 s16, s40, s12
	s_mul_i32 s33, s53, s21
	s_mul_hi_u32 s46, s53, s20
	s_mul_i32 s41, s24, s20
	s_mul_i32 s36, s53, s20
	;; [unrolled: 1-line block ×3, first 2 shown]
	s_mul_hi_u32 s48, s50, s22
	s_mul_i32 s49, s51, s22
	s_mul_i32 s34, s50, s22
	s_cbranch_scc1 .LBB155_18
; %bb.1:
	s_add_i32 s17, s59, s58
	s_lshl_b64 s[2:3], s[16:17], 8
	v_and_b32_e32 v96, 56, v91
	s_waitcnt lgkmcnt(0)
	s_add_u32 s20, s6, s2
	v_lshl_or_b32 v95, v88, 3, v92
	v_lshlrev_b32_e32 v34, 1, v96
	s_addc_u32 s2, s7, s3
	v_lshl_or_b32 v97, v95, 8, v34
	s_and_b32 s21, s2, 0xffff
	s_mov_b32 s23, 0x20000
	s_movk_i32 s22, 0x4000
	s_movk_i32 s2, 0x80
	v_or_b32_e32 v98, 0x2000, v97
	buffer_load_dwordx4 v[36:39], v97, s[20:23], 0 offen
	buffer_load_dwordx4 v[40:43], v97, s[20:23], s2 offen
	;; [unrolled: 1-line block ×4, first 2 shown]
	v_lshlrev_b32_e32 v35, 3, v95
	v_and_or_b32 v53, v0, 7, v35
	v_and_b32_e32 v35, 0x78, v35
	v_lshlrev_b32_e32 v53, 4, v53
	v_xor_b32_e32 v99, v53, v35
	v_mul_lo_u32 v52, v95, s15
	v_or_b32_e32 v100, 0x1000, v99
	v_xor_b32_e32 v35, 8, v99
	s_cmpk_eq_i32 s15, 0x80
	s_mov_b32 s60, s14
	v_xor_b32_e32 v53, 8, v100
	s_cselect_b64 s[2:3], -1, 0
	s_cmpk_lg_i32 s15, 0x80
	s_waitcnt vmcnt(3)
	ds_write_b64 v99, v[36:37] offset:49152
	ds_write_b64 v35, v[38:39] offset:49152
	s_waitcnt vmcnt(2)
	ds_write_b64 v99, v[40:41] offset:57344
	ds_write_b64 v35, v[42:43] offset:57344
	;; [unrolled: 3-line block ×4, first 2 shown]
	v_lshl_add_u32 v35, v52, 1, v96
	s_cbranch_scc0 .LBB155_3
; %bb.2:
	v_lshlrev_b32_e32 v37, 1, v35
	v_add_lshl_u32 v36, v35, s15, 1
	s_lshl_b32 s22, s15, 7
	s_load_dwordx2 s[42:43], s[0:1], 0x20
	v_lshl_or_b32 v34, v95, 9, v34
	s_cbranch_execz .LBB155_4
	s_branch .LBB155_5
.LBB155_3:
                                        ; implicit-def: $vgpr36
                                        ; implicit-def: $vgpr37
                                        ; implicit-def: $sgpr22
	s_load_dwordx2 s[42:43], s[0:1], 0x20
	v_lshl_or_b32 v34, v95, 9, v34
.LBB155_4:
	v_or_b32_e32 v36, 0x100, v34
	s_movk_i32 s22, 0x4000
	v_mov_b32_e32 v37, v34
.LBB155_5:
	s_mul_hi_u32 s0, s14, s12
	s_mul_i32 s1, s55, s12
	s_add_i32 s0, s0, s1
	s_mul_i32 s1, s14, s12
	s_mul_i32 s20, s1, s24
	s_mul_hi_u32 s21, s1, s53
	s_add_i32 s20, s21, s20
	s_mul_i32 s0, s0, s53
	s_add_i32 s20, s20, s0
	s_mul_i32 s1, s1, s53
	s_ashr_i32 s61, s56, 31
	s_add_u32 s0, s1, s56
	s_addc_u32 s1, s20, s61
	s_lshl_b64 s[0:1], s[0:1], 8
	s_add_u32 s20, s4, s0
	s_addc_u32 s0, s5, s1
	s_and_b32 s21, s0, 0xffff
	s_movk_i32 s62, 0x80
	buffer_load_dwordx4 v[38:41], v37, s[20:23], 0 offen
	buffer_load_dwordx4 v[42:45], v37, s[20:23], s62 offen
	;; [unrolled: 1-line block ×4, first 2 shown]
	v_and_b32_e32 v37, 6, v0
	v_lshlrev_b32_e32 v36, 7, v93
	v_xor_b32_e32 v58, v95, v37
	v_and_b32_e32 v54, 1, v0
	v_lshl_or_b32 v61, v90, 3, v36
	v_lshlrev_b32_e32 v58, 2, v58
	v_or_b32_e32 v101, 0x4000, v61
	v_or_b32_e32 v102, 0x6000, v61
	v_xor_b32_e32 v61, 0x440, v58
	v_cmp_eq_u32_e32 vcc, 0, v54
	v_lshlrev_b32_e32 v55, 2, v90
	s_mov_b32 s65, 0x1000504
	v_cndmask_b32_e32 v54, v61, v58, vcc
	v_xor_b32_e32 v59, v93, v55
	v_xor_b32_e32 v60, v94, v55
	v_lshl_or_b32 v37, v37, 10, v54
	s_mov_b32 s66, 0x3020706
	v_lshlrev_b32_e32 v56, 8, v90
	v_or_b32_e32 v57, 16, v90
	v_lshlrev_b32_e32 v59, 1, v59
	v_lshlrev_b32_e32 v60, 1, v60
	v_xor_b32_e32 v54, 8, v37
	v_xor_b32_e32 v58, 24, v37
	;; [unrolled: 1-line block ×4, first 2 shown]
	s_mul_i32 s24, s24, s12
	s_mul_hi_u32 s0, s53, s12
	v_or_b32_e32 v104, v56, v59
	v_or_b32_e32 v105, v56, v60
	v_xor_b32_e32 v56, 16, v37
	v_xor_b32_e32 v61, 32, v37
	;; [unrolled: 1-line block ×3, first 2 shown]
	v_add_u32_e32 v54, 0x80, v54
	v_add_u32_e32 v58, 0x80, v58
	v_add_u32_e32 v63, 0x80, v63
	v_add_u32_e32 v65, 0x80, v65
	s_add_i32 s67, s0, s24
	s_add_i32 s0, s46, s33
	;; [unrolled: 1-line block ×5, first 2 shown]
	s_lshl_b64 s[0:1], s[36:37], 2
	s_add_u32 s20, s10, s0
	s_addc_u32 s21, s11, s1
	s_lshl_b64 s[0:1], s[34:35], 2
	s_add_u32 s44, s20, s0
	s_movk_i32 s0, 0xf8
	s_addc_u32 s45, s21, s1
	s_ashr_i32 s39, s38, 31
	s_lshl_b32 s26, s15, 7
	v_mov_b32_e32 v81, 0
	s_movk_i32 s20, 0x100
	v_lshlrev_b32_e32 v80, 4, v90
	v_ashrrev_i32_e32 v79, 31, v78
	s_mul_i32 s63, s53, s12
	v_lshl_or_b32 v62, v57, 3, v36
	s_mov_b32 s64, 0
	v_or_b32_e32 v103, 0x4000, v62
	s_movk_i32 s22, 0x4000
	v_or_b32_e32 v106, 0x6000, v62
	s_mov_b32 s37, 0x7060302
	s_movk_i32 s68, 0x3000
	s_mov_b32 s70, 0
	s_waitcnt vmcnt(1)
	v_perm_b32 v66, v38, v46, s65
	s_waitcnt vmcnt(0)
	v_perm_b32 v67, v42, v50, s65
	v_perm_b32 v38, v38, v46, s66
	;; [unrolled: 1-line block ×15, first 2 shown]
	ds_write2st64_b32 v37, v66, v67 offset0:128 offset1:160
	ds_write2st64_b32 v54, v38, v42 offset0:128 offset1:160
	ds_write2st64_b32 v56, v46, v50 offset0:129 offset1:161
	ds_write2st64_b32 v58, v39, v43 offset0:129 offset1:161
	ds_write2st64_b32 v61, v47, v51 offset0:130 offset1:162
	ds_write2st64_b32 v63, v40, v44 offset0:130 offset1:162
	ds_write2st64_b32 v64, v48, v52 offset0:131 offset1:163
	ds_write2st64_b32 v65, v41, v45 offset0:131 offset1:163
	v_lshlrev_b32_e32 v37, 8, v57
	v_or_b32_e32 v107, v37, v59
	v_or_b32_e32 v108, v37, v60
	;; [unrolled: 1-line block ×3, first 2 shown]
	v_lshl_or_b32 v38, v37, 3, v36
	v_lshlrev_b32_e32 v37, 8, v37
	v_or_b32_e32 v111, v37, v59
	v_or_b32_e32 v112, v37, v60
	;; [unrolled: 1-line block ×5, first 2 shown]
	v_lshl_or_b32 v38, v37, 3, v36
	v_lshlrev_b32_e32 v37, 8, v37
	v_or_b32_e32 v115, v37, v59
	v_or_b32_e32 v116, v37, v60
	;; [unrolled: 1-line block ×3, first 2 shown]
	v_lshlrev_b32_e32 v37, 3, v37
	v_lshrrev_b32_e32 v39, 5, v77
	v_and_or_b32 v39, v37, s0, v39
	v_lshlrev_b32_e32 v39, 4, v39
	v_or_b32_e32 v113, 0x4000, v38
	v_or_b32_e32 v114, 0x6000, v38
	v_lshrrev_b32_e32 v38, 2, v77
	v_lshlrev_b32_e32 v41, 11, v88
	v_and_b32_e32 v37, 0x78, v37
	v_or_b32_e32 v45, 32, v39
	v_and_b32_e32 v40, 12, v38
	v_and_b32_e32 v38, 0x1000, v41
	v_xor_b32_e32 v42, v39, v37
	v_lshrrev_b32_e32 v43, 1, v77
	v_xor_b32_e32 v45, v45, v37
	v_or_b32_e32 v42, v42, v38
	v_and_b32_e32 v43, 8, v43
	v_or_b32_e32 v45, v45, v38
	v_xor_b32_e32 v117, v42, v43
	v_lshlrev_b32_e32 v42, 8, v89
	v_xor_b32_e32 v119, v45, v43
	v_or_b32_e32 v45, 64, v39
	v_or_b32_e32 v39, 0x60, v39
	;; [unrolled: 1-line block ×3, first 2 shown]
	v_xor_b32_e32 v45, v45, v37
	v_xor_b32_e32 v37, v39, v37
	s_lshl_b64 s[0:1], s[38:39], 8
	v_lshlrev_b32_e32 v44, 1, v44
	v_or_b32_e32 v45, v45, v38
	v_or_b32_e32 v37, v37, v38
	s_add_u32 s0, s18, s0
	v_lshlrev_b32_e32 v38, 1, v90
	v_lshlrev_b32_e32 v47, 2, v0
	v_or_b32_e32 v118, 0x4000, v44
	v_or_b32_e32 v120, 0x4080, v44
	;; [unrolled: 1-line block ×4, first 2 shown]
	v_xor_b32_e32 v123, v45, v43
	v_xor_b32_e32 v124, v37, v43
	v_or_b32_e32 v125, 0x6000, v44
	v_or_b32_e32 v126, 0x6080, v44
	;; [unrolled: 1-line block ×4, first 2 shown]
	v_lshlrev_b32_e32 v37, 1, v35
	v_add_lshl_u32 v35, v35, s15, 1
	v_or_b32_e32 v43, 0x100, v34
	v_lshrrev_b32_e32 v44, 4, v0
	s_addc_u32 s1, s19, s1
	v_or_b32_e32 v39, 1, v38
	v_lshrrev_b32_e32 v48, 1, v0
	v_and_or_b32 v42, v47, 60, v42
	v_xor_b32_e32 v45, v44, v38
	v_xor_b32_e32 v46, v39, v44
	v_lshl_add_u64 v[38:39], s[0:1], 0, v[80:81]
	v_and_b32_e32 v48, 24, v48
	v_lshlrev_b32_e32 v42, 1, v42
	v_cndmask_b32_e64 v135, v37, v34, s[2:3]
	v_cndmask_b32_e64 v136, v35, v43, s[2:3]
	v_mov_b32_e32 v35, 0xa000
	v_mov_b32_e32 v37, 0x8000
	v_cmp_gt_u32_e64 s[0:1], s20, v0
	v_lshlrev_b32_e32 v80, 8, v44
	v_or_b32_e32 v131, 0x6000, v42
	v_or_b32_e32 v47, 32, v48
	;; [unrolled: 1-line block ×6, first 2 shown]
	v_cndmask_b32_e64 v35, v35, v37, s[0:1]
	v_lshlrev_b32_e32 v37, 3, v88
	v_lshl_or_b32 v129, v45, 3, v80
	v_and_b32_e32 v45, 8, v0
	v_xor_b32_e32 v43, v37, v48
	v_xor_b32_e32 v47, v37, v47
	;; [unrolled: 1-line block ×3, first 2 shown]
	v_mov_b32_e32 v49, 0x400
	v_cmp_eq_u32_e32 vcc, 0, v45
	v_or_b32_e32 v48, 0x440, v43
	v_or_b32_e32 v50, 0x440, v47
	v_xor_b32_e32 v42, 0x440, v37
	v_and_b32_e32 v44, 7, v0
	v_cndmask_b32_e64 v45, v49, 64, vcc
	v_cndmask_b32_e32 v48, v48, v43, vcc
	v_cndmask_b32_e32 v47, v50, v47, vcc
	;; [unrolled: 1-line block ×3, first 2 shown]
	v_lshl_or_b32 v130, v46, 3, v80
	v_lshlrev_b32_e32 v46, 3, v44
	v_or_b32_e32 v48, v48, v41
	v_or_b32_e32 v47, v47, v41
	v_or3_b32 v43, v41, v45, v43
	v_or_b32_e32 v37, v37, v41
	v_lshlrev_b32_e32 v44, 7, v44
	v_xor_b32_e32 v48, v48, v46
	v_xor_b32_e32 v47, v47, v46
	;; [unrolled: 1-line block ×4, first 2 shown]
	v_or_b32_e32 v34, v1, v40
	v_add_u32_e32 v49, v35, v48
	v_add_u32_e32 v50, v35, v47
	v_or_b32_e32 v137, v43, v44
	v_add_u32_e32 v41, v35, v37
	v_or3_b32 v40, v1, v40, 64
	v_add_u32_e32 v45, 0xa000, v48
	v_add_u32_e32 v46, 0xa000, v47
	;; [unrolled: 1-line block ×3, first 2 shown]
	v_lshlrev_b64 v[42:43], 1, v[78:79]
	v_lshl_add_u64 v[82:83], s[8:9], 0, v[42:43]
	v_lshl_add_u64 v[84:85], s[28:29], 0, v[42:43]
	;; [unrolled: 1-line block ×3, first 2 shown]
	s_add_i32 s35, s63, 63
	v_lshlrev_b32_e32 v80, 1, v36
	s_movk_i32 s39, 0x2000
	v_lshlrev_b32_e32 v79, 2, v34
	v_add_u32_e32 v138, v49, v44
	v_add_u32_e32 v139, v50, v44
	;; [unrolled: 1-line block ×4, first 2 shown]
	v_lshlrev_b32_e32 v142, 2, v40
	v_add_u32_e32 v143, v45, v44
	v_add_u32_e32 v144, v46, v44
	;; [unrolled: 1-line block ×3, first 2 shown]
	s_waitcnt lgkmcnt(0)
	s_barrier
.LBB155_6:                              ; =>This Inner Loop Header: Depth=1
	s_add_i32 s69, s70, 1
	s_cmp_lt_i32 s69, s54
	s_mov_b64 s[24:25], 0
	s_cselect_b64 s[2:3], -1, 0
	s_cmp_ge_i32 s69, s54
	s_mov_b64 s[20:21], 0
	s_cbranch_scc1 .LBB155_8
; %bb.7:                                ;   in Loop: Header=BB155_6 Depth=1
	s_add_i32 s0, s64, 64
	s_add_u32 s0, s16, s0
	s_addc_u32 s1, s17, 0
	s_lshl_b64 s[0:1], s[0:1], 8
	s_add_u32 s20, s6, s0
	s_addc_u32 s21, s7, s1
.LBB155_8:                              ;   in Loop: Header=BB155_6 Depth=1
	v_cndmask_b32_e64 v34, 0, 1, s[2:3]
	v_cmp_ne_u32_e64 s[0:1], 1, v34
	s_andn2_b64 vcc, exec, s[2:3]
	s_cbranch_vccnz .LBB155_10
; %bb.9:                                ;   in Loop: Header=BB155_6 Depth=1
	s_add_i32 s2, s64, 64
	s_add_u32 s2, s63, s2
	s_addc_u32 s3, s67, 0
	s_mul_i32 s24, s2, s55
	s_mul_hi_u32 s25, s2, s60
	s_add_i32 s24, s25, s24
	s_mul_i32 s3, s3, s60
	s_add_i32 s24, s24, s3
	s_mul_i32 s2, s2, s60
	s_add_u32 s2, s2, s56
	s_addc_u32 s3, s24, s61
	s_lshl_b64 s[2:3], s[2:3], 8
	s_add_u32 s24, s4, s2
	s_addc_u32 s25, s5, s3
.LBB155_10:                             ;   in Loop: Header=BB155_6 Depth=1
	v_perm_b32 v35, v25, v24, s37
	v_perm_b32 v34, v23, v22, s37
	v_perm_b32 v37, v33, v32, s37
	v_perm_b32 v36, v31, v30, s37
	ds_write_b64 v101, v[34:35]
	ds_write_b64 v102, v[36:37]
	ds_write_b64 v104, v[34:35]
	ds_write_b64 v105, v[36:37]
	v_perm_b32 v35, v17, v16, s37
	v_perm_b32 v34, v15, v14, s37
	v_perm_b32 v37, v29, v28, s37
	v_perm_b32 v36, v27, v26, s37
	ds_write_b64 v103, v[34:35]
	ds_write_b64 v106, v[36:37]
	ds_write_b64 v107, v[34:35]
	ds_write_b64 v108, v[36:37]
	v_perm_b32 v35, v9, v8, s37
	v_perm_b32 v34, v7, v6, s37
	v_perm_b32 v37, v21, v20, s37
	v_perm_b32 v36, v19, v18, s37
	ds_write_b64 v109, v[34:35]
	ds_write_b64 v110, v[36:37]
	ds_write_b64 v111, v[34:35]
	ds_write_b64 v112, v[36:37]
	v_perm_b32 v35, v5, v4, s37
	v_perm_b32 v34, v3, v2, s37
	v_perm_b32 v37, v13, v12, s37
	v_perm_b32 v36, v11, v10, s37
	ds_write_b64 v113, v[34:35]
	ds_write_b64 v114, v[36:37]
	ds_write_b64 v115, v[34:35]
	ds_write_b64 v116, v[36:37]
	s_waitcnt lgkmcnt(0)
	s_barrier
	ds_read_b64 v[38:39], v117 offset:49152
	ds_read2_b64 v[34:37], v118 offset1:16
	ds_read_b64 v[50:51], v120 offset:6144
	ds_read_b64 v[52:53], v118 offset:6144
	s_waitcnt lgkmcnt(2)
	v_mfma_f32_16x16x16_bf16 a[0:3], v[38:39], v[34:35], 0
	ds_read_b64 v[54:55], v119 offset:49152
	ds_read2st64_b64 v[42:45], v121 offset0:4 offset1:8
	ds_read2st64_b64 v[46:49], v122 offset0:4 offset1:8
	v_mfma_f32_16x16x16_bf16 a[4:7], v[38:39], v[36:37], 0
	ds_read2_b64 v[34:37], v118 offset0:32 offset1:48
	s_add_i32 s2, s64, 63
	s_mul_i32 s3, s2, s31
	s_waitcnt lgkmcnt(0)
	v_mfma_f32_16x16x16_bf16 a[8:11], v[38:39], v[34:35], 0
	s_mul_hi_u32 s27, s2, s30
	s_add_i32 s3, s27, s3
	s_mul_i32 s2, s2, s30
	v_mfma_f32_16x16x16_bf16 a[12:15], v[38:39], v[36:37], 0
	ds_read2st64_b64 v[34:37], v118 offset0:4 offset1:8
	ds_read2st64_b64 v[38:41], v120 offset0:4 offset1:8
	s_lshl_b64 s[2:3], s[2:3], 2
	s_waitcnt lgkmcnt(1)
	v_mfma_f32_16x16x16_bf16 a[0:3], v[54:55], v[34:35], a[0:3]
	s_add_u32 s2, s44, s2
	s_addc_u32 s3, s45, s3
	s_and_b64 vcc, exec, s[0:1]
	s_waitcnt lgkmcnt(0)
	v_mfma_f32_16x16x16_bf16 a[4:7], v[54:55], v[38:39], a[4:7]
	v_mov_b32_e32 v148, 0
	v_mov_b32_e32 v147, 0
	;; [unrolled: 1-line block ×3, first 2 shown]
	v_mfma_f32_16x16x16_bf16 a[8:11], v[54:55], v[42:43], a[8:11]
	ds_read_b64 v[34:35], v123 offset:49152
	ds_read_b64 v[38:39], v124 offset:49152
	;; [unrolled: 1-line block ×3, first 2 shown]
	v_mfma_f32_16x16x16_bf16 a[12:15], v[54:55], v[46:47], a[12:15]
	v_mov_b32_e32 v46, 0
	v_mov_b32_e32 v47, 0
	s_waitcnt lgkmcnt(2)
	v_mfma_f32_16x16x16_bf16 a[0:3], v[34:35], v[36:37], a[0:3]
	v_mov_b32_e32 v36, 0
	v_mov_b32_e32 v37, 0
	v_mfma_f32_16x16x16_bf16 a[16:19], v[34:35], v[40:41], a[4:7]
	v_mov_b32_e32 v40, 0
	v_mov_b32_e32 v41, 0
	;; [unrolled: 3-line block ×3, first 2 shown]
	v_mfma_f32_16x16x16_bf16 a[24:27], v[34:35], v[48:49], a[12:15]
	ds_read_b64 v[34:35], v121 offset:6144
	v_mov_b32_e32 v48, 0
	v_mov_b32_e32 v49, 0
	s_waitcnt lgkmcnt(2)
	v_mfma_f32_16x16x16_bf16 a[4:7], v[38:39], v[52:53], a[0:3]
	v_mfma_f32_16x16x16_bf16 a[8:11], v[38:39], v[50:51], a[16:19]
	s_waitcnt lgkmcnt(0)
	v_mfma_f32_16x16x16_bf16 a[12:15], v[38:39], v[34:35], a[20:23]
	v_mov_b32_e32 v34, 0
	v_mov_b32_e32 v35, 0
	v_mfma_f32_16x16x16_bf16 a[0:3], v[38:39], v[42:43], a[24:27]
	v_mov_b32_e32 v38, 0
	v_mov_b32_e32 v39, 0
	;; [unrolled: 1-line block ×4, first 2 shown]
	s_cbranch_vccnz .LBB155_12
; %bb.11:                               ;   in Loop: Header=BB155_6 Depth=1
	s_and_b32 s21, s21, 0xffff
	buffer_load_dwordx4 v[46:49], v97, s[20:23], 0 offen
	buffer_load_dwordx4 v[42:45], v97, s[20:23], s62 offen
	;; [unrolled: 1-line block ×4, first 2 shown]
	v_mov_b32_e32 v147, v99
	v_mov_b32_e32 v146, v100
.LBB155_12:                             ;   in Loop: Header=BB155_6 Depth=1
	ds_read_b64 v[62:63], v117 offset:57344
	ds_read2_b64 v[50:53], v125 offset1:16
	ds_read_b64 v[66:67], v119 offset:57344
	ds_read_b64 v[68:69], v123 offset:57344
	;; [unrolled: 1-line block ×3, first 2 shown]
	v_add_u32_e32 v64, s64, v93
	s_waitcnt lgkmcnt(3)
	v_mfma_f32_16x16x16_bf16 a[4:7], v[62:63], v[50:51], a[4:7]
	v_mfma_f32_16x16x16_bf16 a[8:11], v[62:63], v[52:53], a[8:11]
	ds_read2_b64 v[50:53], v125 offset0:32 offset1:48
	ds_read2st64_b64 v[54:57], v125 offset0:4 offset1:8
	ds_read2st64_b64 v[58:61], v126 offset0:4 offset1:8
	s_waitcnt lgkmcnt(2)
	v_mfma_f32_16x16x16_bf16 a[12:15], v[62:63], v[50:51], a[12:15]
	v_ashrrev_i32_e32 v50, 31, v64
	v_mul_lo_u32 v65, v50, s30
	v_mad_u64_u32 v[50:51], s[20:21], v64, s30, 0
	v_mfma_f32_16x16x16_bf16 a[0:3], v[62:63], v[52:53], a[0:3]
	v_mul_lo_u32 v52, v64, s31
	v_add3_u32 v51, v51, v52, v65
	v_add_u32_e32 v52, 1, v64
	v_ashrrev_i32_e32 v53, 31, v52
	s_waitcnt lgkmcnt(1)
	v_mfma_f32_16x16x16_bf16 a[4:7], v[66:67], v[54:55], a[4:7]
	v_mul_lo_u32 v54, v53, s30
	v_mul_lo_u32 v55, v52, s31
	v_mad_u64_u32 v[52:53], s[20:21], v52, s30, 0
	v_add3_u32 v53, v53, v55, v54
	v_add_u32_e32 v54, 2, v64
	v_ashrrev_i32_e32 v55, 31, v54
	v_mul_lo_u32 v62, v55, s30
	v_mul_lo_u32 v63, v54, s31
	v_mad_u64_u32 v[54:55], s[20:21], v54, s30, 0
	v_add3_u32 v55, v55, v63, v62
	v_add_u32_e32 v62, 3, v64
	v_ashrrev_i32_e32 v63, 31, v62
	v_mul_lo_u32 v64, v63, s30
	v_mul_lo_u32 v65, v62, s31
	v_mad_u64_u32 v[62:63], s[20:21], v62, s30, 0
	s_add_u32 s20, s16, s64
	v_lshl_add_u64 v[50:51], v[50:51], 2, s[44:45]
	v_add3_u32 v63, v63, v65, v64
	s_addc_u32 s21, s17, 0
	v_lshl_add_u64 v[52:53], v[52:53], 2, s[44:45]
	global_load_dword v72, v[50:51], off
	v_lshl_add_u64 v[50:51], v[62:63], 2, s[44:45]
	s_lshl_b64 s[20:21], s[20:21], 8
	v_lshl_add_u64 v[54:55], v[54:55], 2, s[44:45]
	global_load_dword v73, v[52:53], off
	global_load_dword v74, v[54:55], off
	;; [unrolled: 1-line block ×3, first 2 shown]
	v_lshl_add_u64 v[50:51], v[82:83], 0, s[20:21]
	v_lshl_add_u64 v[54:55], v[50:51], 0, v[80:81]
	global_load_ushort v76, v[54:55], off offset:256
	global_load_ushort v149, v[54:55], off
	ds_read2st64_b64 v[50:53], v127 offset0:4 offset1:8
	global_load_ushort v150, v[54:55], off offset:768
	global_load_ushort v151, v[54:55], off offset:512
	ds_read2st64_b64 v[62:65], v128 offset0:4 offset1:8
	global_load_ushort v152, v[54:55], off offset:288
	global_load_ushort v153, v[54:55], off offset:32
	;; [unrolled: 1-line block ×4, first 2 shown]
	s_waitcnt lgkmcnt(2)
	v_mfma_f32_16x16x16_bf16 a[8:11], v[66:67], v[58:59], a[8:11]
	global_load_ushort v156, v[54:55], off offset:320
	global_load_ushort v157, v[54:55], off offset:64
	;; [unrolled: 1-line block ×4, first 2 shown]
	s_and_b64 vcc, exec, s[0:1]
	s_waitcnt lgkmcnt(1)
	v_mfma_f32_16x16x16_bf16 a[12:15], v[66:67], v[50:51], a[12:15]
	ds_read_b64 v[50:51], v125 offset:6144
	s_waitcnt lgkmcnt(1)
	v_mfma_f32_16x16x16_bf16 a[0:3], v[66:67], v[62:63], a[0:3]
	v_lshl_add_u64 v[62:63], v[84:85], 0, s[20:21]
	v_lshl_add_u64 v[62:63], v[62:63], 0, v[80:81]
	v_mfma_f32_16x16x16_bf16 a[4:7], v[68:69], v[56:57], a[4:7]
	v_mfma_f32_16x16x16_bf16 a[8:11], v[68:69], v[60:61], a[8:11]
	;; [unrolled: 1-line block ×4, first 2 shown]
	global_load_ushort v68, v[54:55], off offset:352
	global_load_ushort v69, v[54:55], off offset:96
	ds_read_b64 v[52:53], v126 offset:6144
	ds_read_b64 v[56:57], v127 offset:6144
	;; [unrolled: 1-line block ×3, first 2 shown]
	s_load_dword s2, s[2:3], 0x0
	global_load_ushort v160, v[54:55], off offset:864
	global_load_ushort v161, v[54:55], off offset:608
	s_waitcnt lgkmcnt(0)
	v_mfma_f32_16x16x16_bf16 a[4:7], v[70:71], v[50:51], a[4:7]
	s_waitcnt vmcnt(17)
	v_sub_f32_e32 v60, s2, v74
	v_mfma_f32_16x16x16_bf16 a[0:3], v[70:71], v[58:59], a[0:3]
	v_sub_f32_e32 v58, s2, v72
	v_sub_f32_e32 v59, s2, v73
	s_waitcnt vmcnt(16)
	v_sub_f32_e32 v61, s2, v75
	v_mfma_f32_16x16x16_bf16 a[8:11], v[70:71], v[52:53], a[8:11]
	v_exp_f32_e32 v58, v58
	v_exp_f32_e32 v59, v59
	;; [unrolled: 1-line block ×4, first 2 shown]
	v_accvgpr_read_b32 v67, a5
	s_waitcnt vmcnt(15)
	v_lshlrev_b32_e32 v65, 16, v76
	s_waitcnt vmcnt(14)
	v_lshlrev_b32_e32 v64, 16, v149
	v_accvgpr_read_b32 v66, a4
	v_accvgpr_read_b32 v51, a7
	;; [unrolled: 1-line block ×3, first 2 shown]
	v_pk_add_f32 v[64:65], v[64:65], v[66:67] neg_lo:[0,1] neg_hi:[0,1]
	s_waitcnt vmcnt(13)
	v_lshlrev_b32_e32 v67, 16, v150
	s_waitcnt vmcnt(12)
	v_lshlrev_b32_e32 v66, 16, v151
	v_pk_add_f32 v[50:51], v[66:67], v[50:51] neg_lo:[0,1] neg_hi:[0,1]
	global_store_short_d16_hi v[62:63], v64, off
	global_store_short_d16_hi v[62:63], v65, off offset:256
	global_store_short_d16_hi v[62:63], v50, off offset:512
	;; [unrolled: 1-line block ×3, first 2 shown]
	v_pk_mul_f32 v[64:65], v[58:59], v[64:65]
	v_pk_mul_f32 v[50:51], v[60:61], v[50:51]
	v_accvgpr_read_b32 v67, a9
	v_perm_b32 v64, v65, v64, s37
	v_perm_b32 v65, v51, v50, s37
	s_waitcnt vmcnt(15)
	v_lshlrev_b32_e32 v51, 16, v152
	s_waitcnt vmcnt(14)
	v_lshlrev_b32_e32 v50, 16, v153
	v_accvgpr_read_b32 v66, a8
	v_accvgpr_read_b32 v53, a11
	v_mfma_f32_16x16x16_bf16 a[12:15], v[70:71], v[56:57], a[12:15]
	v_accvgpr_read_b32 v52, a10
	v_pk_add_f32 v[50:51], v[50:51], v[66:67] neg_lo:[0,1] neg_hi:[0,1]
	s_waitcnt vmcnt(13)
	v_lshlrev_b32_e32 v67, 16, v154
	s_waitcnt vmcnt(12)
	v_lshlrev_b32_e32 v66, 16, v155
	v_pk_add_f32 v[52:53], v[66:67], v[52:53] neg_lo:[0,1] neg_hi:[0,1]
	global_store_short_d16_hi v[62:63], v50, off offset:32
	global_store_short_d16_hi v[62:63], v51, off offset:288
	;; [unrolled: 1-line block ×4, first 2 shown]
	v_pk_mul_f32 v[50:51], v[58:59], v[50:51]
	v_pk_mul_f32 v[52:53], v[60:61], v[52:53]
	v_accvgpr_read_b32 v55, a15
	v_perm_b32 v53, v53, v52, s37
	v_perm_b32 v52, v51, v50, s37
	ds_write2_b64 v102, v[64:65], v[52:53] offset1:16
	v_accvgpr_read_b32 v53, a13
	s_waitcnt vmcnt(15)
	v_lshlrev_b32_e32 v51, 16, v156
	s_waitcnt vmcnt(14)
	v_lshlrev_b32_e32 v50, 16, v157
	v_accvgpr_read_b32 v52, a12
	v_accvgpr_read_b32 v54, a14
	v_pk_add_f32 v[50:51], v[50:51], v[52:53] neg_lo:[0,1] neg_hi:[0,1]
	s_waitcnt vmcnt(13)
	v_lshlrev_b32_e32 v53, 16, v158
	s_waitcnt vmcnt(12)
	v_lshlrev_b32_e32 v52, 16, v159
	v_pk_add_f32 v[52:53], v[52:53], v[54:55] neg_lo:[0,1] neg_hi:[0,1]
	global_store_short_d16_hi v[62:63], v50, off offset:64
	global_store_short_d16_hi v[62:63], v51, off offset:320
	;; [unrolled: 1-line block ×4, first 2 shown]
	v_pk_mul_f32 v[50:51], v[58:59], v[50:51]
	v_pk_mul_f32 v[52:53], v[60:61], v[52:53]
	v_accvgpr_read_b32 v55, a1
	v_perm_b32 v50, v51, v50, s37
	v_perm_b32 v51, v53, v52, s37
	s_waitcnt vmcnt(15)
	v_lshlrev_b32_e32 v53, 16, v68
	s_waitcnt vmcnt(14)
	v_lshlrev_b32_e32 v52, 16, v69
	v_accvgpr_read_b32 v54, a0
	v_accvgpr_read_b32 v57, a3
	v_accvgpr_read_b32 v56, a2
	v_pk_add_f32 v[52:53], v[52:53], v[54:55] neg_lo:[0,1] neg_hi:[0,1]
	s_waitcnt vmcnt(13)
	v_lshlrev_b32_e32 v55, 16, v160
	s_waitcnt vmcnt(12)
	v_lshlrev_b32_e32 v54, 16, v161
	v_pk_add_f32 v[54:55], v[54:55], v[56:57] neg_lo:[0,1] neg_hi:[0,1]
	global_store_short_d16_hi v[62:63], v52, off offset:96
	global_store_short_d16_hi v[62:63], v53, off offset:352
	;; [unrolled: 1-line block ×4, first 2 shown]
	v_pk_mul_f32 v[52:53], v[58:59], v[52:53]
	v_pk_mul_f32 v[54:55], v[60:61], v[54:55]
	v_mov_b32_e32 v149, 0
	v_perm_b32 v55, v55, v54, s37
	v_perm_b32 v54, v53, v52, s37
	ds_write2_b64 v102, v[50:51], v[54:55] offset0:32 offset1:48
	v_mov_b32_e32 v50, 0
	v_mov_b32_e32 v51, 0
	;; [unrolled: 1-line block ×16, first 2 shown]
	s_cbranch_vccnz .LBB155_14
; %bb.13:                               ;   in Loop: Header=BB155_6 Depth=1
	s_and_b32 s25, s25, 0xffff
	s_mov_b32 s27, s23
	buffer_load_dwordx4 v[62:65], v135, s[24:27], 0 offen
	buffer_load_dwordx4 v[54:57], v135, s[24:27], s62 offen
	buffer_load_dwordx4 v[58:61], v136, s[24:27], 0 offen
	buffer_load_dwordx4 v[50:53], v136, s[24:27], s62 offen
	v_mov_b32_e32 v148, v96
	v_mov_b32_e32 v149, v95
.LBB155_14:                             ;   in Loop: Header=BB155_6 Depth=1
	s_waitcnt lgkmcnt(0)
	s_barrier
	ds_read_b64 v[74:75], v138
	ds_read2_b64 v[66:69], v131 offset1:16
	ds_read_b64 v[166:167], v139
	ds_read_b64 v[168:169], v140
	;; [unrolled: 1-line block ×3, first 2 shown]
	ds_read2_b64 v[70:73], v131 offset0:32 offset1:48
	ds_read2st64_b64 v[150:153], v131 offset0:4 offset1:8
	ds_read2st64_b64 v[154:157], v132 offset0:4 offset1:8
	;; [unrolled: 1-line block ×4, first 2 shown]
	s_waitcnt lgkmcnt(8)
	v_mfma_f32_16x16x16_bf16 a[0:3], v[74:75], v[66:67], 0
	s_add_i32 s3, s57, s70
	s_mul_hi_i32 s21, s3, s13
	s_mul_i32 s3, s3, s13
	v_mfma_f32_16x16x16_bf16 a[4:7], v[74:75], v[68:69], 0
	s_add_u32 s20, s3, s50
	s_addc_u32 s21, s21, s51
	s_add_i32 s3, s35, s64
	s_waitcnt lgkmcnt(4)
	v_mfma_f32_16x16x16_bf16 a[8:11], v[74:75], v[70:71], 0
	s_lshl_b64 s[20:21], s[20:21], 15
	s_mul_hi_i32 s25, s3, s13
	s_mul_i32 s3, s3, s13
	v_mfma_f32_16x16x16_bf16 a[12:15], v[74:75], v[72:73], 0
	ds_read_b64 v[74:75], v131 offset:6144
	ds_read_b64 v[178:179], v132 offset:6144
	;; [unrolled: 1-line block ×4, first 2 shown]
	s_add_u32 s24, s3, s50
	s_waitcnt lgkmcnt(7)
	v_mfma_f32_16x16x16_bf16 a[0:3], v[166:167], v[150:151], a[0:3]
	s_addc_u32 s25, s25, s51
	s_lshl_b64 s[24:25], s[24:25], 9
	s_add_u32 s24, s42, s24
	s_waitcnt lgkmcnt(6)
	v_mfma_f32_16x16x16_bf16 a[4:7], v[166:167], v[154:155], a[4:7]
	s_addc_u32 s25, s43, s25
	v_lshl_add_u64 v[188:189], v[86:87], 0, s[20:21]
	s_waitcnt lgkmcnt(5)
	v_mfma_f32_16x16x16_bf16 a[8:11], v[166:167], v[158:159], a[8:11]
	s_waitcnt lgkmcnt(4)
	v_mfma_f32_16x16x16_bf16 a[12:15], v[166:167], v[162:163], a[12:15]
	ds_read_b64 v[166:167], v143
	ds_read_b64 v[176:177], v144
	;; [unrolled: 1-line block ×3, first 2 shown]
	s_waitcnt lgkmcnt(2)
	v_mfma_f32_16x16x16_bf16 a[16:19], v[166:167], v[66:67], 0
	v_mfma_f32_16x16x16_bf16 a[20:23], v[166:167], v[68:69], 0
	global_load_dwordx4 v[66:69], v142, s[24:25]
	v_mfma_f32_16x16x16_bf16 a[24:27], v[166:167], v[70:71], 0
	v_mfma_f32_16x16x16_bf16 a[28:31], v[166:167], v[72:73], 0
	global_load_dwordx4 v[70:73], v79, s[24:25]
	v_mfma_f32_16x16x16_bf16 a[0:3], v[168:169], v[152:153], a[0:3]
	v_mfma_f32_16x16x16_bf16 a[4:7], v[168:169], v[156:157], a[4:7]
	;; [unrolled: 1-line block ×8, first 2 shown]
	ds_read2st64_b64 v[166:169], v129 offset1:8
	ds_read2st64_b64 v[170:173], v130 offset1:8
	ds_read_b64 v[186:187], v137 offset:40960
	s_waitcnt lgkmcnt(2)
	v_mov_b32_e32 v174, v166
	v_mfma_f32_16x16x16_bf16 a[16:19], v[176:177], v[150:151], a[16:19]
	v_mov_b32_e32 v175, v167
	v_mfma_f32_16x16x16_bf16 a[20:23], v[176:177], v[154:155], a[20:23]
	v_mfma_f32_16x16x16_bf16 a[24:27], v[176:177], v[158:159], a[24:27]
	;; [unrolled: 1-line block ×3, first 2 shown]
	v_add_co_u32_e32 v162, vcc, s39, v188
	s_waitcnt lgkmcnt(1)
	v_mov_b32_e32 v176, v170
	s_waitcnt lgkmcnt(0)
	v_mfma_f32_16x16x16_bf16 a[16:19], v[186:187], v[152:153], a[16:19]
	ds_read2st64_b64 v[150:153], v129 offset0:16 offset1:24
	v_addc_co_u32_e32 v163, vcc, 0, v189, vcc
	v_mfma_f32_16x16x16_bf16 a[20:23], v[186:187], v[156:157], a[20:23]
	ds_read2st64_b64 v[154:157], v130 offset0:16 offset1:24
	v_mov_b32_e32 v177, v171
	v_mov_b32_e32 v170, v168
	v_mfma_f32_16x16x16_bf16 a[32:35], v[186:187], v[160:161], a[24:27]
	v_mov_b32_e32 v171, v169
	s_waitcnt lgkmcnt(0)
	v_mov_b32_e32 v160, v154
	v_mov_b32_e32 v161, v155
	v_mfma_f32_16x16x16_bf16 a[36:39], v[186:187], v[164:165], a[28:31]
	v_mov_b32_e32 v154, v152
	v_mov_b32_e32 v155, v153
	;; [unrolled: 1-line block ×3, first 2 shown]
	v_mfma_f32_16x16x16_bf16 a[24:27], v[184:185], v[74:75], a[16:19]
	v_add_co_u32_e32 v74, vcc, s68, v188
	v_mov_b32_e32 v159, v151
	v_mfma_f32_16x16x16_bf16 a[28:31], v[184:185], v[178:179], a[20:23]
	v_addc_co_u32_e32 v75, vcc, 0, v189, vcc
	global_store_dwordx4 v[74:75], v[154:157], off
	v_mfma_f32_16x16x16_bf16 a[16:19], v[184:185], v[180:181], a[32:35]
	s_waitcnt vmcnt(2)
	v_mov_b32_e32 v76, v69
	v_mov_b32_e32 v75, v68
	;; [unrolled: 1-line block ×3, first 2 shown]
	v_mfma_f32_16x16x16_bf16 a[20:23], v[184:185], v[182:183], a[36:39]
	s_and_b64 vcc, exec, s[0:1]
	global_store_dwordx4 v[188:189], v[174:177], off
	global_store_dwordx4 v[162:163], v[170:173], off offset:-4096
	global_store_dwordx4 v[162:163], v[158:161], off
	s_cbranch_vccnz .LBB155_16
; %bb.15:                               ;   in Loop: Header=BB155_6 Depth=1
	v_lshrrev_b32_e32 v67, 3, v148
	v_and_b32_e32 v67, 6, v67
	v_xor_b32_e32 v68, v67, v149
	v_lshlrev_b32_e32 v68, 2, v68
	v_and_b32_e32 v69, 8, v148
	v_xor_b32_e32 v148, 0x440, v68
	v_cmp_eq_u32_e32 vcc, 0, v69
	v_perm_b32 v69, v54, v50, s65
	s_nop 0
	v_cndmask_b32_e32 v68, v148, v68, vcc
	v_lshl_or_b32 v67, v67, 10, v68
	v_perm_b32 v68, v62, v58, s65
	s_barrier
	ds_write2st64_b32 v67, v68, v69 offset0:128 offset1:160
	v_xor_b32_e32 v68, 8, v67
	v_perm_b32 v58, v62, v58, s66
	v_perm_b32 v50, v54, v50, s66
	v_add_u32_e32 v54, 0x80, v68
	ds_write2st64_b32 v54, v58, v50 offset0:128 offset1:160
	v_xor_b32_e32 v50, 16, v67
	v_perm_b32 v54, v63, v59, s65
	v_perm_b32 v58, v55, v51, s65
	ds_write2st64_b32 v50, v54, v58 offset0:129 offset1:161
	v_xor_b32_e32 v50, 24, v67
	v_perm_b32 v54, v63, v59, s66
	v_perm_b32 v51, v55, v51, s66
	v_add_u32_e32 v50, 0x80, v50
	ds_write2st64_b32 v50, v54, v51 offset0:129 offset1:161
	v_xor_b32_e32 v50, 32, v67
	v_perm_b32 v51, v64, v60, s65
	v_perm_b32 v54, v56, v52, s65
	ds_write2st64_b32 v50, v51, v54 offset0:130 offset1:162
	v_xor_b32_e32 v50, 40, v67
	v_perm_b32 v51, v64, v60, s66
	v_perm_b32 v52, v56, v52, s66
	v_add_u32_e32 v50, 0x80, v50
	ds_write2st64_b32 v50, v51, v52 offset0:130 offset1:162
	v_xor_b32_e32 v50, 48, v67
	v_perm_b32 v51, v65, v61, s65
	v_perm_b32 v52, v57, v53, s65
	ds_write2st64_b32 v50, v51, v52 offset0:131 offset1:163
	v_xor_b32_e32 v50, 56, v67
	v_perm_b32 v51, v65, v61, s66
	v_perm_b32 v52, v57, v53, s66
	v_add_u32_e32 v50, 0x80, v50
	ds_write2st64_b32 v50, v51, v52 offset0:131 offset1:163
	ds_write_b64 v147, v[46:47] offset:49152
	v_xor_b32_e32 v46, 8, v147
	ds_write_b64 v46, v[48:49] offset:49152
	ds_write_b64 v147, v[42:43] offset:57344
	;; [unrolled: 1-line block ×4, first 2 shown]
	v_xor_b32_e32 v38, 8, v146
	ds_write_b64 v38, v[40:41] offset:49152
	ds_write_b64 v146, v[34:35] offset:57344
	;; [unrolled: 1-line block ×3, first 2 shown]
.LBB155_16:                             ;   in Loop: Header=BB155_6 Depth=1
	v_exp_f32_e32 v68, s2
	s_waitcnt vmcnt(4)
	v_exp_f32_e32 v70, v70
	v_exp_f32_e32 v71, v71
	;; [unrolled: 1-line block ×4, first 2 shown]
	v_accvgpr_read_b32 v37, a3
	v_accvgpr_read_b32 v36, a2
	;; [unrolled: 1-line block ×4, first 2 shown]
	v_pk_mul_f32 v[70:71], v[68:69], v[70:71] op_sel_hi:[0,1]
	v_pk_mul_f32 v[72:73], v[68:69], v[72:73] op_sel_hi:[0,1]
	v_pk_fma_f32 v[22:23], v[22:23], v[70:71], v[34:35]
	v_pk_fma_f32 v[24:25], v[24:25], v[72:73], v[36:37]
	v_exp_f32_e32 v34, v66
	v_exp_f32_e32 v35, v74
	;; [unrolled: 1-line block ×4, first 2 shown]
	v_accvgpr_read_b32 v41, a7
	v_accvgpr_read_b32 v45, a11
	v_accvgpr_read_b32 v49, a15
	v_accvgpr_read_b32 v53, a27
	v_accvgpr_read_b32 v57, a31
	v_accvgpr_read_b32 v61, a19
	v_accvgpr_read_b32 v65, a23
	v_accvgpr_read_b32 v40, a6
	v_accvgpr_read_b32 v39, a5
	v_accvgpr_read_b32 v38, a4
	v_accvgpr_read_b32 v44, a10
	v_accvgpr_read_b32 v43, a9
	v_accvgpr_read_b32 v42, a8
	v_accvgpr_read_b32 v48, a14
	v_accvgpr_read_b32 v47, a13
	v_accvgpr_read_b32 v46, a12
	v_accvgpr_read_b32 v52, a26
	v_accvgpr_read_b32 v51, a25
	v_accvgpr_read_b32 v50, a24
	v_accvgpr_read_b32 v56, a30
	v_accvgpr_read_b32 v55, a29
	v_accvgpr_read_b32 v54, a28
	v_accvgpr_read_b32 v60, a18
	v_accvgpr_read_b32 v59, a17
	v_accvgpr_read_b32 v58, a16
	v_accvgpr_read_b32 v64, a22
	v_accvgpr_read_b32 v63, a21
	v_accvgpr_read_b32 v62, a20
	v_pk_mul_f32 v[34:35], v[68:69], v[34:35] op_sel_hi:[0,1]
	v_pk_mul_f32 v[36:37], v[68:69], v[36:37] op_sel_hi:[0,1]
	s_add_i32 s64, s64, 64
	v_pk_fma_f32 v[14:15], v[70:71], v[14:15], v[38:39]
	v_pk_fma_f32 v[16:17], v[72:73], v[16:17], v[40:41]
	;; [unrolled: 1-line block ×13, first 2 shown]
	s_cmp_eq_u32 s54, s69
	v_pk_fma_f32 v[12:13], v[36:37], v[12:13], v[64:65]
	s_cbranch_scc1 .LBB155_18
; %bb.17:                               ;   in Loop: Header=BB155_6 Depth=1
	s_mov_b32 s70, s69
	s_branch .LBB155_6
.LBB155_18:
	s_lshl_b32 s26, s54, 6
	s_sub_i32 s27, s12, s26
	s_cmp_gt_i32 s27, 0
	s_cbranch_scc0 .LBB155_99
; %bb.19:
	s_ashr_i32 s2, s26, 31
	s_cmpk_lg_i32 s15, 0x80
	s_cselect_b64 s[22:23], -1, 0
	s_and_b64 vcc, exec, s[22:23]
	s_cbranch_vccz .LBB155_21
; %bb.20:
	s_mul_i32 s1, s53, s12
	s_mul_hi_i32 s0, s53, s12
	s_add_u32 s1, s1, s26
	s_addc_u32 s0, s0, s2
	s_mul_i32 s3, s1, s55
	s_mul_hi_u32 s17, s1, s14
	s_add_i32 s3, s17, s3
	s_mul_i32 s0, s0, s14
	s_add_i32 s3, s3, s0
	s_mul_i32 s1, s1, s14
	s_ashr_i32 s0, s56, 31
	s_add_u32 s24, s1, s56
	s_addc_u32 s25, s3, s0
	s_cbranch_execz .LBB155_22
	s_branch .LBB155_23
.LBB155_21:
                                        ; implicit-def: $sgpr24_sgpr25
.LBB155_22:
	s_mul_hi_i32 s0, s53, s14
	s_mul_i32 s53, s53, s14
	s_ashr_i32 s1, s56, 31
	s_add_u32 s3, s53, s56
	s_addc_u32 s0, s0, s1
	s_mul_i32 s1, s3, s52
	s_mul_hi_u32 s14, s3, s12
	s_add_i32 s1, s14, s1
	s_mul_i32 s0, s0, s12
	s_add_i32 s1, s1, s0
	s_mul_i32 s3, s3, s12
	s_add_u32 s24, s3, s26
	s_addc_u32 s25, s1, s2
.LBB155_23:
	s_mul_i32 s0, s40, s52
	s_add_i32 s0, s59, s0
	s_add_i32 s3, s57, s54
	;; [unrolled: 1-line block ×3, first 2 shown]
	s_add_u32 s0, s16, s26
	s_addc_u32 s1, s1, s2
	v_lshlrev_b32_e32 v35, 6, v93
	v_lshlrev_b32_e32 v34, 2, v90
	s_mov_b32 s2, 0x7060302
	s_waitcnt vmcnt(7)
	v_perm_b32 v25, v25, v24, s2
	v_perm_b32 v24, v23, v22, s2
	s_waitcnt vmcnt(6)
	v_perm_b32 v22, v31, v30, s2
	v_or_b32_e32 v30, v35, v34
	v_xor_b32_e32 v36, v93, v34
	v_perm_b32 v23, v33, v32, s2
	v_lshlrev_b32_e32 v30, 1, v30
	ds_write2st64_b64 v30, v[24:25], v[22:23] offset0:32 offset1:48
	v_lshlrev_b32_e32 v30, 1, v36
	v_lshlrev_b32_e32 v31, 8, v90
	v_xor_b32_e32 v37, v94, v34
	v_or_b32_e32 v32, v30, v31
	ds_write_b64 v32, v[24:25]
	v_lshlrev_b32_e32 v24, 1, v37
	v_or_b32_e32 v25, v24, v31
	ds_write_b64 v25, v[22:23]
	v_or_b32_e32 v22, 16, v90
	v_lshlrev_b32_e32 v23, 2, v22
	v_or_b32_e32 v25, v35, v23
	s_waitcnt vmcnt(5)
	v_perm_b32 v17, v17, v16, s2
	v_perm_b32 v16, v15, v14, s2
	s_waitcnt vmcnt(4)
	v_perm_b32 v15, v29, v28, s2
	v_perm_b32 v14, v27, v26, s2
	v_lshlrev_b32_e32 v25, 1, v25
	v_lshlrev_b32_e32 v22, 8, v22
	ds_write2st64_b64 v25, v[16:17], v[14:15] offset0:32 offset1:48
	v_or_b32_e32 v25, v30, v22
	ds_write_b64 v25, v[16:17]
	v_or_b32_e32 v16, v24, v22
	ds_write_b64 v16, v[14:15]
	v_or_b32_e32 v14, 32, v90
	v_lshlrev_b32_e32 v22, 2, v14
	v_or_b32_e32 v15, v35, v22
	s_waitcnt vmcnt(3)
	v_perm_b32 v9, v9, v8, s2
	v_perm_b32 v8, v7, v6, s2
	s_waitcnt vmcnt(2)
	v_perm_b32 v7, v21, v20, s2
	v_perm_b32 v6, v19, v18, s2
	v_lshlrev_b32_e32 v15, 1, v15
	v_lshlrev_b32_e32 v14, 8, v14
	s_lshl_b64 s[20:21], s[0:1], 8
	ds_write2st64_b64 v15, v[8:9], v[6:7] offset0:32 offset1:48
	v_or_b32_e32 v15, v30, v14
	s_waitcnt lgkmcnt(0)
	s_add_u32 s0, s6, s20
	ds_write_b64 v15, v[8:9]
	v_or_b32_e32 v8, v24, v14
	s_addc_u32 s1, s7, s21
	ds_write_b64 v8, v[6:7]
	v_or_b32_e32 v6, 48, v90
	s_mul_hi_i32 s6, s3, s13
	s_mul_i32 s3, s3, s13
	s_waitcnt vmcnt(1)
	v_perm_b32 v5, v5, v4, s2
	v_perm_b32 v4, v3, v2, s2
	s_waitcnt vmcnt(0)
	v_perm_b32 v3, v13, v12, s2
	v_perm_b32 v2, v11, v10, s2
	v_lshlrev_b32_e32 v19, 2, v6
	s_add_u32 s2, s3, s50
	v_or_b32_e32 v7, v35, v19
	s_addc_u32 s3, s6, s51
	v_lshlrev_b32_e32 v7, 1, v7
	v_lshlrev_b32_e32 v6, 8, v6
	s_ashr_i32 s39, s38, 31
	s_lshl_b64 s[2:3], s[2:3], 15
	ds_write2st64_b64 v7, v[4:5], v[2:3] offset0:32 offset1:48
	v_or_b32_e32 v7, v30, v6
	s_add_u32 s6, s18, s2
	ds_write_b64 v7, v[4:5]
	v_or_b32_e32 v4, v24, v6
	s_addc_u32 s7, s19, s3
	s_lshl_b64 s[2:3], s[38:39], 8
	ds_write_b64 v4, v[2:3]
	s_add_u32 s2, s6, s2
	v_lshlrev_b32_e32 v3, 1, v90
	v_lshrrev_b32_e32 v2, 4, v0
	s_addc_u32 s3, s7, s3
	v_or_b32_e32 v4, 1, v3
	v_lshlrev_b32_e32 v10, 4, v90
	v_mov_b32_e32 v11, 0
	v_xor_b32_e32 v3, v2, v3
	v_xor_b32_e32 v6, v4, v2
	v_lshl_add_u64 v[12:13], s[2:3], 0, v[10:11]
	v_lshlrev_b32_e32 v10, 8, v2
	v_lshl_or_b32 v16, v3, 3, v10
	v_lshl_or_b32 v17, v6, 3, v10
	s_waitcnt lgkmcnt(0)
	s_barrier
	ds_read2st64_b64 v[2:5], v16 offset1:8
	ds_read2st64_b64 v[6:9], v17 offset1:8
	v_lshl_add_u64 v[14:15], v[12:13], 0, v[10:11]
	s_movk_i32 s2, 0x2000
	s_cmp_lg_u32 s27, 64
	s_waitcnt lgkmcnt(1)
	v_mov_b32_e32 v10, v2
	v_mov_b32_e32 v11, v3
	s_waitcnt lgkmcnt(0)
	v_mov_b32_e32 v12, v6
	v_mov_b32_e32 v13, v7
	global_store_dwordx4 v[14:15], v[10:13], off
	v_mov_b32_e32 v6, v4
	v_mov_b32_e32 v7, v5
	ds_read2st64_b64 v[2:5], v16 offset0:16 offset1:24
	ds_read2st64_b64 v[10:13], v17 offset0:16 offset1:24
	v_add_co_u32_e32 v16, vcc, s2, v14
	s_cselect_b64 s[6:7], -1, 0
	s_nop 0
	v_addc_co_u32_e32 v17, vcc, 0, v15, vcc
	global_store_dwordx4 v[16:17], v[6:9], off offset:-4096
	v_lshl_or_b32 v24, v88, 3, v92
	s_mov_b32 s16, 0
	s_waitcnt lgkmcnt(1)
	v_mov_b32_e32 v6, v2
	v_add_co_u32_e32 v2, vcc, 0x3000, v14
	v_mov_b32_e32 v7, v3
	s_nop 0
	v_addc_co_u32_e32 v3, vcc, 0, v15, vcc
	s_waitcnt lgkmcnt(0)
	v_mov_b32_e32 v8, v10
	v_mov_b32_e32 v9, v11
	;; [unrolled: 1-line block ×4, first 2 shown]
	v_or_b32_e32 v20, 32, v24
	v_and_b32_e32 v18, 56, v91
	s_and_b64 vcc, exec, s[6:7]
	global_store_dwordx4 v[16:17], v[6:9], off
	global_store_dwordx4 v[2:3], v[10:13], off
	s_cbranch_vccz .LBB155_29
; %bb.24:
	s_mov_b32 s17, s16
	s_mov_b32 s18, s16
	;; [unrolled: 1-line block ×3, first 2 shown]
	v_mov_b64_e32 v[6:7], s[16:17]
	v_mov_b64_e32 v[8:9], s[18:19]
	v_mov_b64_e32 v[2:3], v[6:7]
	v_cmp_gt_i32_e32 vcc, s27, v24
	v_mov_b64_e32 v[4:5], v[8:9]
	s_and_saveexec_b64 s[2:3], vcc
	s_cbranch_execz .LBB155_26
; %bb.25:
	v_lshlrev_b32_e32 v2, 8, v24
	v_mov_b32_e32 v3, 0
	v_lshl_add_u64 v[4:5], s[0:1], 0, v[2:3]
	v_lshlrev_b32_e32 v2, 1, v18
	v_lshl_add_u64 v[10:11], v[4:5], 0, v[2:3]
	global_load_dwordx4 v[6:9], v[10:11], off
	global_load_dwordx4 v[2:5], v[10:11], off offset:128
.LBB155_26:
	s_or_b64 exec, exec, s[2:3]
	s_mov_b32 s17, s16
	s_mov_b32 s18, s16
	;; [unrolled: 1-line block ×3, first 2 shown]
	v_mov_b64_e32 v[14:15], s[16:17]
	v_mov_b64_e32 v[16:17], s[18:19]
	;; [unrolled: 1-line block ×3, first 2 shown]
	v_cmp_gt_i32_e32 vcc, s27, v20
	v_lshlrev_b32_e32 v21, 7, v20
	v_mov_b64_e32 v[12:13], v[16:17]
	s_and_saveexec_b64 s[2:3], vcc
	s_cbranch_execz .LBB155_28
; %bb.27:
	v_lshlrev_b32_e32 v10, 1, v21
	v_mov_b32_e32 v11, 0
	v_lshl_add_u64 v[12:13], s[0:1], 0, v[10:11]
	v_lshlrev_b32_e32 v10, 1, v18
	v_lshl_add_u64 v[26:27], v[12:13], 0, v[10:11]
	global_load_dwordx4 v[14:17], v[26:27], off
	global_load_dwordx4 v[10:13], v[26:27], off offset:128
.LBB155_28:
	s_or_b64 exec, exec, s[2:3]
	v_lshrrev_b32_e32 v25, 3, v18
	v_lshlrev_b32_e32 v26, 3, v24
	v_or_b32_e32 v25, v26, v25
	v_lshlrev_b32_e32 v25, 4, v25
	v_and_b32_e32 v26, 0x78, v26
	v_xor_b32_e32 v25, v25, v26
	s_branch .LBB155_31
.LBB155_29:
                                        ; implicit-def: $vgpr25
                                        ; implicit-def: $vgpr21
                                        ; implicit-def: $vgpr6_vgpr7_vgpr8_vgpr9
                                        ; implicit-def: $vgpr2_vgpr3_vgpr4_vgpr5
                                        ; implicit-def: $vgpr14_vgpr15_vgpr16_vgpr17
                                        ; implicit-def: $vgpr10_vgpr11_vgpr12_vgpr13
	s_cbranch_execz .LBB155_31
; %bb.30:
	s_waitcnt vmcnt(0)
	v_lshlrev_b32_e32 v2, 1, v18
	v_lshl_or_b32 v21, v24, 8, v2
	s_and_b32 s1, s1, 0xffff
	s_mov_b32 s3, 0x20000
	s_movk_i32 s2, 0x4000
	v_lshl_or_b32 v25, v20, 8, v2
	s_movk_i32 s13, 0x80
	buffer_load_dwordx4 v[6:9], v21, s[0:3], 0 offen
	buffer_load_dwordx4 v[2:5], v21, s[0:3], s13 offen
	;; [unrolled: 1-line block ×4, first 2 shown]
	v_lshrrev_b32_e32 v21, 3, v18
	v_lshlrev_b32_e32 v25, 3, v24
	v_or_b32_e32 v21, v25, v21
	v_lshlrev_b32_e32 v21, 4, v21
	v_and_b32_e32 v25, 0x78, v25
	v_xor_b32_e32 v25, v21, v25
	v_lshlrev_b32_e32 v21, 7, v20
.LBB155_31:
	s_movk_i32 s0, 0x1000
	v_and_or_b32 v20, v21, s0, v25
	s_waitcnt vmcnt(1)
	ds_write_b64 v25, v[6:7] offset:49152
	v_xor_b32_e32 v6, 8, v25
	ds_write_b64 v6, v[8:9] offset:49152
	s_waitcnt vmcnt(0)
	ds_write_b64 v25, v[2:3] offset:57344
	ds_write_b64 v6, v[4:5] offset:57344
	;; [unrolled: 1-line block ×3, first 2 shown]
	v_xor_b32_e32 v2, 8, v20
	ds_write_b64 v2, v[16:17] offset:49152
	ds_write_b64 v20, v[10:11] offset:57344
	;; [unrolled: 1-line block ×3, first 2 shown]
	v_or_b32_e32 v2, v1, v90
	v_lshlrev_b32_e32 v3, 11, v88
	v_lshlrev_b32_e32 v2, 3, v2
	v_and_b32_e32 v6, 0x1000, v3
	v_lshrrev_b32_e32 v3, 5, v77
	s_movk_i32 s0, 0xf8
	v_and_or_b32 v3, v2, s0, v3
	v_lshlrev_b32_e32 v7, 4, v3
	v_and_b32_e32 v8, 0x78, v2
	v_or_b32_e32 v10, 32, v7
	v_lshrrev_b32_e32 v3, 1, v77
	v_xor_b32_e32 v10, v10, v8
	v_xor_b32_e32 v2, v7, v8
	v_and_b32_e32 v9, 8, v3
	v_or_b32_e32 v10, v10, v6
	v_or_b32_e32 v2, v2, v6
	v_xor_b32_e32 v27, v10, v9
	v_or_b32_e32 v10, 64, v7
	v_xor_b32_e32 v26, v2, v9
	v_xor_b32_e32 v10, v10, v8
	s_waitcnt lgkmcnt(0)
	s_barrier
	v_or_b32_e32 v13, v10, v6
	ds_read_b64 v[10:11], v26 offset:49152
	v_lshl_or_b32 v14, v89, 8, v34
	v_lshlrev_b32_e32 v25, 1, v14
	v_add_u32_e32 v12, 0x4000, v25
	ds_read2_b64 v[2:5], v12 offset1:16
	v_or_b32_e32 v7, 0x60, v7
	v_xor_b32_e32 v7, v7, v8
	v_or_b32_e32 v6, v7, v6
	v_xor_b32_e32 v28, v13, v9
	v_xor_b32_e32 v29, v6, v9
	ds_read_b64 v[20:21], v27 offset:49152
	ds_read_b64 v[36:37], v28 offset:49152
	;; [unrolled: 1-line block ×3, first 2 shown]
	s_waitcnt lgkmcnt(3)
	v_mfma_f32_16x16x16_bf16 a[0:3], v[10:11], v[2:3], 0
	ds_read2st64_b64 v[6:9], v25 offset0:36 offset1:40
	s_lshl_b64 s[0:1], s[24:25], 8
	s_add_u32 s4, s4, s0
	v_mfma_f32_16x16x16_bf16 a[4:7], v[10:11], v[4:5], 0
	ds_read2_b64 v[2:5], v12 offset0:32 offset1:48
	s_addc_u32 s5, s5, s1
	s_add_i32 s1, s46, s33
	s_waitcnt lgkmcnt(0)
	v_mfma_f32_16x16x16_bf16 a[8:11], v[10:11], v[2:3], 0
	v_or_b32_e32 v2, 64, v14
	v_lshlrev_b32_e32 v30, 1, v2
	s_add_i32 s0, s12, -1
	v_mfma_f32_16x16x16_bf16 a[12:15], v[10:11], v[4:5], 0
	ds_read2st64_b64 v[2:5], v30 offset0:36 offset1:40
	s_add_i32 s37, s1, s41
	s_add_i32 s1, s48, s47
	v_mfma_f32_16x16x16_bf16 a[0:3], v[20:21], v[6:7], a[0:3]
	v_or_b32_e32 v6, 0x80, v14
	v_lshlrev_b32_e32 v31, 1, v6
	ds_read2st64_b64 v[10:13], v31 offset0:36 offset1:40
	s_waitcnt lgkmcnt(1)
	v_mfma_f32_16x16x16_bf16 a[4:7], v[20:21], v[2:3], a[4:7]
	v_or_b32_e32 v2, 0xc0, v14
	v_lshlrev_b32_e32 v32, 1, v2
	ds_read2st64_b64 v[14:17], v32 offset0:36 offset1:40
	s_add_i32 s35, s1, s49
	s_ashr_i32 s1, s0, 31
	s_mul_i32 s2, s0, s31
	s_mul_hi_u32 s3, s0, s30
	s_add_i32 s2, s3, s2
	s_mul_i32 s1, s1, s30
	s_waitcnt lgkmcnt(1)
	v_mfma_f32_16x16x16_bf16 a[8:11], v[20:21], v[10:11], a[8:11]
	s_add_i32 s1, s2, s1
	s_lshl_b64 s[2:3], s[36:37], 2
	s_add_u32 s10, s10, s2
	s_waitcnt lgkmcnt(0)
	v_mfma_f32_16x16x16_bf16 a[12:15], v[20:21], v[14:15], a[12:15]
	s_addc_u32 s11, s11, s3
	s_lshl_b64 s[2:3], s[34:35], 2
	s_mul_i32 s0, s0, s30
	v_mfma_f32_16x16x16_bf16 a[0:3], v[36:37], v[8:9], a[0:3]
	ds_read_b64 v[2:3], v25 offset:22528
	s_add_u32 s10, s10, s2
	s_addc_u32 s11, s11, s3
	v_mfma_f32_16x16x16_bf16 a[4:7], v[36:37], v[4:5], a[4:7]
	ds_read_b64 v[4:5], v30 offset:22528
	ds_read_b64 v[6:7], v31 offset:22528
	;; [unrolled: 1-line block ×3, first 2 shown]
	s_lshl_b64 s[0:1], s[0:1], 2
	s_add_u32 s0, s10, s0
	v_mfma_f32_16x16x16_bf16 a[8:11], v[36:37], v[12:13], a[8:11]
	s_addc_u32 s1, s11, s1
	s_load_dword s12, s[0:1], 0x0
	s_and_b64 vcc, exec, s[22:23]
	v_mfma_f32_16x16x16_bf16 a[12:15], v[36:37], v[16:17], a[12:15]
	s_waitcnt lgkmcnt(0)
	v_mfma_f32_16x16x16_bf16 a[0:3], v[38:39], v[2:3], a[0:3]
	v_mfma_f32_16x16x16_bf16 a[4:7], v[38:39], v[4:5], a[4:7]
	v_mfma_f32_16x16x16_bf16 a[8:11], v[38:39], v[6:7], a[8:11]
	v_mfma_f32_16x16x16_bf16 a[12:15], v[38:39], v[8:9], a[12:15]
	s_cbranch_vccz .LBB155_42
; %bb.32:
	v_lshlrev_b32_e32 v20, 1, v24
	s_and_b64 vcc, exec, s[6:7]
	s_cbranch_vccz .LBB155_43
; %bb.33:
	v_cmp_gt_i32_e32 vcc, s27, v20
	v_mov_b32_e32 v6, 0
	v_mov_b32_e32 v2, 0
	;; [unrolled: 1-line block ×5, first 2 shown]
	s_and_saveexec_b64 s[0:1], vcc
	s_cbranch_execz .LBB155_35
; %bb.34:
	v_mad_i64_i32 v[2:3], s[2:3], s15, v20, 0
	v_lshl_add_u64 v[2:3], v[2:3], 1, s[4:5]
	v_lshlrev_b32_e32 v4, 1, v18
	v_mov_b32_e32 v5, 0
	v_lshl_add_u64 v[2:3], v[2:3], 0, v[4:5]
	global_load_dwordx4 v[2:5], v[2:3], off
.LBB155_35:
	s_or_b64 exec, exec, s[0:1]
	v_or_b32_e32 v21, 1, v20
	v_cmp_gt_i32_e64 s[0:1], s27, v21
	v_mov_b32_e32 v7, 0
	v_mov_b32_e32 v8, 0
	;; [unrolled: 1-line block ×3, first 2 shown]
	s_and_saveexec_b64 s[2:3], s[0:1]
	s_cbranch_execz .LBB155_37
; %bb.36:
	v_mad_i64_i32 v[6:7], s[16:17], s15, v21, 0
	v_lshl_add_u64 v[6:7], v[6:7], 1, s[4:5]
	v_lshlrev_b32_e32 v8, 1, v18
	v_mov_b32_e32 v9, 0
	v_lshl_add_u64 v[6:7], v[6:7], 0, v[8:9]
	global_load_dwordx4 v[6:9], v[6:7], off
.LBB155_37:
	s_or_b64 exec, exec, s[2:3]
	v_mov_b32_e32 v17, 0
	v_mov_b32_e32 v10, 0
	;; [unrolled: 1-line block ×5, first 2 shown]
	s_and_saveexec_b64 s[2:3], vcc
	s_cbranch_execz .LBB155_39
; %bb.38:
	v_mad_i64_i32 v[10:11], s[16:17], s15, v20, 0
	v_lshl_add_u64 v[10:11], v[10:11], 1, s[4:5]
	v_lshlrev_b32_e32 v12, 1, v18
	v_mov_b32_e32 v13, 0
	v_lshl_add_u64 v[10:11], v[10:11], 0, v[12:13]
	global_load_dwordx4 v[10:13], v[10:11], off offset:128
.LBB155_39:
	s_or_b64 exec, exec, s[2:3]
	v_mov_b32_e32 v16, 0
	v_mov_b32_e32 v15, 0
	;; [unrolled: 1-line block ×3, first 2 shown]
	s_and_saveexec_b64 s[2:3], s[0:1]
	s_cbranch_execz .LBB155_41
; %bb.40:
	v_mad_i64_i32 v[14:15], s[0:1], s15, v21, 0
	v_lshl_add_u64 v[14:15], v[14:15], 1, s[4:5]
	v_lshlrev_b32_e32 v16, 1, v18
	v_mov_b32_e32 v17, 0
	v_lshl_add_u64 v[14:15], v[14:15], 0, v[16:17]
	global_load_dwordx4 v[14:17], v[14:15], off offset:128
.LBB155_41:
	s_or_b64 exec, exec, s[2:3]
	s_branch .LBB155_45
.LBB155_42:
                                        ; implicit-def: $vgpr5
                                        ; implicit-def: $vgpr9
                                        ; implicit-def: $vgpr13
                                        ; implicit-def: $vgpr17
	v_lshrrev_b32_e32 v33, 2, v77
	s_branch .LBB155_46
.LBB155_43:
                                        ; implicit-def: $vgpr5
                                        ; implicit-def: $vgpr9
                                        ; implicit-def: $vgpr13
                                        ; implicit-def: $vgpr17
	s_cbranch_execz .LBB155_45
; %bb.44:
	s_waitcnt vmcnt(0)
	v_mad_u64_u32 v[2:3], s[0:1], v20, s15, v[18:19]
	v_lshlrev_b32_e32 v20, 1, v2
	s_lshl_b32 s2, s15, 7
	s_and_b32 s1, s5, 0xffff
	s_mov_b32 s3, 0x20000
	s_mov_b32 s0, s4
	v_add_lshl_u32 v21, v2, s15, 1
	s_movk_i32 s13, 0x80
	buffer_load_dwordx4 v[2:5], v20, s[0:3], 0 offen
	buffer_load_dwordx4 v[10:13], v20, s[0:3], s13 offen
	;; [unrolled: 1-line block ×4, first 2 shown]
.LBB155_45:
	v_lshrrev_b32_e32 v33, 2, v77
	s_cbranch_execnz .LBB155_58
.LBB155_46:
	s_and_b64 vcc, exec, s[6:7]
	s_cbranch_vccz .LBB155_56
; %bb.47:
	s_waitcnt vmcnt(0)
	v_lshlrev_b32_e32 v7, 1, v24
	v_cmp_gt_i32_e32 vcc, s27, v7
	v_mov_b32_e32 v6, 0
	v_lshlrev_b32_e32 v14, 9, v24
	v_mov_b32_e32 v2, 0
	v_mov_b32_e32 v3, 0
	v_mov_b32_e32 v4, 0
	v_mov_b32_e32 v5, 0
	s_and_saveexec_b64 s[0:1], vcc
	s_cbranch_execz .LBB155_49
; %bb.48:
	v_mov_b32_e32 v15, 0
	v_lshl_add_u64 v[2:3], s[4:5], 0, v[14:15]
	v_lshlrev_b32_e32 v4, 1, v18
	v_mov_b32_e32 v5, v15
	v_lshl_add_u64 v[2:3], v[2:3], 0, v[4:5]
	global_load_dwordx4 v[2:5], v[2:3], off
.LBB155_49:
	s_or_b64 exec, exec, s[0:1]
	v_or_b32_e32 v7, 1, v7
	v_cmp_gt_i32_e64 s[0:1], s27, v7
	v_lshlrev_b32_e32 v20, 8, v7
	v_mov_b32_e32 v7, 0
	v_mov_b32_e32 v8, 0
	;; [unrolled: 1-line block ×3, first 2 shown]
	s_and_saveexec_b64 s[2:3], s[0:1]
	s_cbranch_execz .LBB155_51
; %bb.50:
	v_mov_b32_e32 v21, 0
	v_lshl_add_u64 v[6:7], s[4:5], 0, v[20:21]
	v_lshlrev_b32_e32 v8, 1, v18
	v_mov_b32_e32 v9, v21
	v_lshl_add_u64 v[6:7], v[6:7], 0, v[8:9]
	global_load_dwordx4 v[6:9], v[6:7], off
.LBB155_51:
	s_or_b64 exec, exec, s[2:3]
	v_mov_b32_e32 v17, 0
	v_mov_b32_e32 v10, 0
	;; [unrolled: 1-line block ×5, first 2 shown]
	s_and_saveexec_b64 s[2:3], vcc
	s_cbranch_execz .LBB155_53
; %bb.52:
	v_mov_b32_e32 v15, 0
	v_lshl_add_u64 v[10:11], s[4:5], 0, v[14:15]
	v_lshlrev_b32_e32 v14, 1, v18
	v_lshl_add_u64 v[10:11], v[10:11], 0, v[14:15]
	global_load_dwordx4 v[10:13], v[10:11], off offset:128
.LBB155_53:
	s_or_b64 exec, exec, s[2:3]
	v_mov_b32_e32 v16, 0
	v_mov_b32_e32 v15, 0
	;; [unrolled: 1-line block ×3, first 2 shown]
	s_and_saveexec_b64 s[2:3], s[0:1]
	s_cbranch_execz .LBB155_55
; %bb.54:
	v_mov_b32_e32 v21, 0
	v_lshl_add_u64 v[14:15], s[4:5], 0, v[20:21]
	v_lshlrev_b32_e32 v20, 1, v18
	v_lshl_add_u64 v[14:15], v[14:15], 0, v[20:21]
	global_load_dwordx4 v[14:17], v[14:15], off offset:128
.LBB155_55:
	s_or_b64 exec, exec, s[2:3]
	s_branch .LBB155_58
.LBB155_56:
                                        ; implicit-def: $vgpr5
                                        ; implicit-def: $vgpr9
                                        ; implicit-def: $vgpr13
                                        ; implicit-def: $vgpr17
	s_cbranch_execz .LBB155_58
; %bb.57:
	s_waitcnt vmcnt(0)
	v_lshlrev_b32_e32 v2, 1, v18
	v_lshl_or_b32 v18, v24, 9, v2
	s_and_b32 s5, s5, 0xffff
	s_mov_b32 s7, 0x20000
	s_movk_i32 s6, 0x4000
	s_movk_i32 s0, 0x80
	buffer_load_dwordx4 v[2:5], v18, s[4:7], 0 offen
	buffer_load_dwordx4 v[6:9], v18, s[4:7], 0 offen offset:256
	buffer_load_dwordx4 v[10:13], v18, s[4:7], s0 offen
	buffer_load_dwordx4 v[14:17], v18, s[4:7], s0 offen offset:256
.LBB155_58:
	ds_read_b64 v[20:21], v26 offset:57344
	v_add_u32_e32 v18, 0x6000, v25
	ds_read2_b64 v[36:39], v18 offset1:16
	ds_read_b64 v[48:49], v27 offset:57344
	ds_read_b64 v[50:51], v28 offset:57344
	;; [unrolled: 1-line block ×3, first 2 shown]
	ds_read2_b64 v[26:29], v18 offset0:32 offset1:48
	v_and_b32_e32 v18, 6, v0
	v_xor_b32_e32 v24, v24, v18
	v_lshlrev_b32_e32 v24, 2, v24
	v_and_b32_e32 v0, 1, v0
	v_cmp_eq_u32_e32 vcc, 0, v0
	s_waitcnt lgkmcnt(4)
	v_mfma_f32_16x16x16_bf16 a[0:3], v[20:21], v[36:37], a[0:3]
	s_mov_b32 s0, 0x1000504
	s_mov_b32 s1, 0x3020706
	v_mfma_f32_16x16x16_bf16 a[4:7], v[20:21], v[38:39], a[4:7]
	ds_read2st64_b64 v[36:39], v25 offset0:52 offset1:56
	s_waitcnt lgkmcnt(1)
	v_mfma_f32_16x16x16_bf16 a[8:11], v[20:21], v[26:27], a[8:11]
	v_mfma_f32_16x16x16_bf16 a[12:15], v[20:21], v[28:29], a[12:15]
	ds_read2st64_b64 v[26:29], v30 offset0:52 offset1:56
	ds_read2st64_b64 v[40:43], v31 offset0:52 offset1:56
	;; [unrolled: 1-line block ×3, first 2 shown]
	s_waitcnt lgkmcnt(3)
	v_mfma_f32_16x16x16_bf16 a[0:3], v[48:49], v[36:37], a[0:3]
	ds_read_b64 v[20:21], v25 offset:30720
	ds_read_b64 v[36:37], v30 offset:30720
	;; [unrolled: 1-line block ×4, first 2 shown]
	v_xor_b32_e32 v25, 0x440, v24
	v_cndmask_b32_e32 v0, v25, v24, vcc
	s_waitcnt lgkmcnt(6)
	v_mfma_f32_16x16x16_bf16 a[4:7], v[48:49], v[26:27], a[4:7]
	v_lshl_or_b32 v0, v18, 10, v0
	s_waitcnt vmcnt(0)
	v_perm_b32 v18, v2, v6, s0
	v_perm_b32 v24, v10, v14, s0
	s_waitcnt lgkmcnt(5)
	v_mfma_f32_16x16x16_bf16 a[8:11], v[48:49], v[40:41], a[8:11]
	ds_write2st64_b32 v0, v18, v24 offset0:128 offset1:160
	v_xor_b32_e32 v18, 8, v0
	v_perm_b32 v2, v2, v6, s1
	s_waitcnt lgkmcnt(5)
	v_mfma_f32_16x16x16_bf16 a[12:15], v[48:49], v[44:45], a[12:15]
	v_perm_b32 v6, v10, v14, s1
	v_add_u32_e32 v10, 0x80, v18
	ds_write2st64_b32 v10, v2, v6 offset0:128 offset1:160
	v_mfma_f32_16x16x16_bf16 a[0:3], v[50:51], v[38:39], a[0:3]
	v_xor_b32_e32 v2, 16, v0
	v_perm_b32 v6, v3, v7, s0
	v_perm_b32 v10, v11, v15, s0
	v_mfma_f32_16x16x16_bf16 a[4:7], v[50:51], v[28:29], a[4:7]
	ds_write2st64_b32 v2, v6, v10 offset0:129 offset1:161
	v_xor_b32_e32 v2, 24, v0
	v_perm_b32 v3, v3, v7, s1
	v_mfma_f32_16x16x16_bf16 a[16:19], v[50:51], v[42:43], a[8:11]
	v_perm_b32 v6, v11, v15, s1
	v_add_u32_e32 v2, 0x80, v2
	ds_write2st64_b32 v2, v3, v6 offset0:129 offset1:161
	v_mfma_f32_16x16x16_bf16 a[20:23], v[50:51], v[46:47], a[12:15]
	v_xor_b32_e32 v2, 32, v0
	v_perm_b32 v3, v4, v8, s0
	v_perm_b32 v6, v12, v16, s0
	s_waitcnt lgkmcnt(7)
	v_mfma_f32_16x16x16_bf16 a[12:15], v[52:53], v[20:21], a[0:3]
	ds_write2st64_b32 v2, v3, v6 offset0:130 offset1:162
	v_xor_b32_e32 v2, 40, v0
	v_perm_b32 v3, v4, v8, s1
	s_waitcnt lgkmcnt(7)
	v_mfma_f32_16x16x16_bf16 a[8:11], v[52:53], v[36:37], a[4:7]
	v_perm_b32 v4, v12, v16, s1
	v_add_u32_e32 v2, 0x80, v2
	ds_write2st64_b32 v2, v3, v4 offset0:130 offset1:162
	s_waitcnt lgkmcnt(7)
	v_mfma_f32_16x16x16_bf16 a[4:7], v[52:53], v[30:31], a[16:19]
	v_xor_b32_e32 v2, 48, v0
	v_perm_b32 v3, v5, v9, s0
	v_perm_b32 v4, v13, v17, s0
	s_waitcnt lgkmcnt(6)
	v_mfma_f32_16x16x16_bf16 a[0:3], v[52:53], v[54:55], a[20:23]
	v_xor_b32_e32 v0, 56, v0
	v_and_or_b32 v21, v33, 12, v1
	ds_write2st64_b32 v2, v3, v4 offset0:131 offset1:163
	v_perm_b32 v2, v5, v9, s1
	v_perm_b32 v3, v13, v17, s1
	v_add_u32_e32 v0, 0x80, v0
	v_cmp_gt_i32_e32 vcc, s27, v21
	v_mov_b32_e32 v16, 0
	v_mov_b32_e32 v18, 0
	ds_write2st64_b32 v0, v2, v3 offset0:131 offset1:163
	s_and_saveexec_b64 s[0:1], vcc
	s_cbranch_execz .LBB155_60
; %bb.59:
	v_add_u32_e32 v0, s26, v21
	v_ashrrev_i32_e32 v1, 31, v0
	v_mul_lo_u32 v2, v1, s30
	v_mul_lo_u32 v3, v0, s31
	v_mad_u64_u32 v[0:1], s[2:3], v0, s30, 0
	v_add3_u32 v1, v1, v3, v2
	v_lshl_add_u64 v[0:1], v[0:1], 2, s[10:11]
	global_load_dword v0, v[0:1], off
	s_waitcnt vmcnt(0)
	v_sub_f32_e32 v0, s12, v0
	v_exp_f32_e32 v18, v0
.LBB155_60:
	s_or_b64 exec, exec, s[0:1]
	v_or_b32_e32 v10, 1, v21
	v_cmp_gt_i32_e64 s[2:3], s27, v10
	s_and_saveexec_b64 s[0:1], s[2:3]
	s_cbranch_execz .LBB155_62
; %bb.61:
	v_add_u32_e32 v0, s26, v10
	v_ashrrev_i32_e32 v1, 31, v0
	v_mul_lo_u32 v2, v1, s30
	v_mul_lo_u32 v3, v0, s31
	v_mad_u64_u32 v[0:1], s[4:5], v0, s30, 0
	v_add3_u32 v1, v1, v3, v2
	v_lshl_add_u64 v[0:1], v[0:1], 2, s[10:11]
	global_load_dword v0, v[0:1], off
	s_waitcnt vmcnt(0)
	v_sub_f32_e32 v0, s12, v0
	v_exp_f32_e32 v16, v0
.LBB155_62:
	s_or_b64 exec, exec, s[0:1]
	v_or_b32_e32 v12, 2, v21
	v_cmp_gt_i32_e64 s[0:1], s27, v12
	v_mov_b32_e32 v17, 0
	v_mov_b32_e32 v20, 0
	s_and_saveexec_b64 s[4:5], s[0:1]
	s_cbranch_execz .LBB155_64
; %bb.63:
	v_add_u32_e32 v0, s26, v12
	v_ashrrev_i32_e32 v1, 31, v0
	v_mul_lo_u32 v2, v1, s30
	v_mul_lo_u32 v3, v0, s31
	v_mad_u64_u32 v[0:1], s[6:7], v0, s30, 0
	v_add3_u32 v1, v1, v3, v2
	v_lshl_add_u64 v[0:1], v[0:1], 2, s[10:11]
	global_load_dword v0, v[0:1], off
	s_waitcnt vmcnt(0)
	v_sub_f32_e32 v0, s12, v0
	v_exp_f32_e32 v20, v0
.LBB155_64:
	s_or_b64 exec, exec, s[4:5]
	v_or_b32_e32 v14, 3, v21
	v_cmp_gt_i32_e64 s[4:5], s27, v14
	s_and_saveexec_b64 s[6:7], s[4:5]
	s_cbranch_execz .LBB155_66
; %bb.65:
	v_add_u32_e32 v0, s26, v14
	v_ashrrev_i32_e32 v1, 31, v0
	v_mul_lo_u32 v2, v1, s30
	v_mul_lo_u32 v3, v0, s31
	v_mad_u64_u32 v[0:1], s[14:15], v0, s30, 0
	v_add3_u32 v1, v1, v3, v2
	v_lshl_add_u64 v[0:1], v[0:1], 2, s[10:11]
	global_load_dword v0, v[0:1], off
	s_waitcnt vmcnt(0)
	v_sub_f32_e32 v0, s12, v0
	v_exp_f32_e32 v17, v0
.LBB155_66:
	s_or_b64 exec, exec, s[6:7]
	s_add_u32 s6, s8, s20
	s_addc_u32 s7, s9, s21
	s_add_u32 s8, s28, s20
	v_ashrrev_i32_e32 v79, 31, v78
	v_accvgpr_read_b32 v0, a12
	s_addc_u32 s9, s29, s21
	v_lshlrev_b64 v[4:5], 1, v[78:79]
	v_accvgpr_read_b32 v1, a13
	v_accvgpr_read_b32 v2, a14
	;; [unrolled: 1-line block ×3, first 2 shown]
	v_lshl_add_u64 v[6:7], s[6:7], 0, v[4:5]
	v_lshl_add_u64 v[4:5], s[8:9], 0, v[4:5]
	v_mov_b32_e32 v11, 0
	v_lshlrev_b32_e32 v8, 8, v21
	v_mov_b32_e32 v9, 0
	s_and_saveexec_b64 s[6:7], vcc
	s_cbranch_execz .LBB155_68
; %bb.67:
	v_mov_b32_e32 v9, 0
	v_lshl_add_u64 v[24:25], v[6:7], 0, v[8:9]
	global_load_ushort v13, v[24:25], off
	v_lshl_add_u64 v[24:25], v[4:5], 0, v[8:9]
	s_waitcnt vmcnt(0)
	v_lshlrev_b32_e32 v9, 16, v13
	v_sub_f32_e32 v0, v9, v0
	global_store_short_d16_hi v[24:25], v0, off
	v_mul_f32_e32 v0, v18, v0
	v_lshrrev_b32_e32 v9, 16, v0
.LBB155_68:
	s_or_b64 exec, exec, s[6:7]
	v_lshlrev_b32_e32 v10, 8, v10
	s_and_saveexec_b64 s[6:7], s[2:3]
	s_cbranch_execz .LBB155_70
; %bb.69:
	v_mov_b32_e32 v11, 0
	v_lshl_add_u64 v[24:25], v[6:7], 0, v[10:11]
	global_load_ushort v0, v[24:25], off
	v_lshl_add_u64 v[24:25], v[4:5], 0, v[10:11]
	s_waitcnt vmcnt(0)
	v_lshlrev_b32_e32 v0, 16, v0
	v_sub_f32_e32 v0, v0, v1
	global_store_short_d16_hi v[24:25], v0, off
	v_mul_f32_e32 v0, v16, v0
	v_lshrrev_b32_e32 v11, 16, v0
.LBB155_70:
	s_or_b64 exec, exec, s[6:7]
	v_mov_b32_e32 v15, 0
	v_lshlrev_b32_e32 v12, 8, v12
	v_mov_b32_e32 v13, 0
	s_and_saveexec_b64 s[6:7], s[0:1]
	s_cbranch_execz .LBB155_72
; %bb.71:
	v_mov_b32_e32 v13, 0
	v_lshl_add_u64 v[0:1], v[6:7], 0, v[12:13]
	global_load_ushort v24, v[0:1], off
	v_lshl_add_u64 v[0:1], v[4:5], 0, v[12:13]
	s_waitcnt vmcnt(0)
	v_lshlrev_b32_e32 v13, 16, v24
	v_sub_f32_e32 v2, v13, v2
	global_store_short_d16_hi v[0:1], v2, off
	v_mul_f32_e32 v0, v20, v2
	v_lshrrev_b32_e32 v13, 16, v0
.LBB155_72:
	s_or_b64 exec, exec, s[6:7]
	v_lshlrev_b32_e32 v14, 8, v14
	s_and_saveexec_b64 s[6:7], s[4:5]
	s_cbranch_execz .LBB155_74
; %bb.73:
	v_mov_b32_e32 v15, 0
	v_lshl_add_u64 v[0:1], v[6:7], 0, v[14:15]
	global_load_ushort v2, v[0:1], off
	v_lshl_add_u64 v[0:1], v[4:5], 0, v[14:15]
	s_waitcnt vmcnt(0)
	v_lshlrev_b32_e32 v2, 16, v2
	v_sub_f32_e32 v2, v2, v3
	global_store_short_d16_hi v[0:1], v2, off
	v_mul_f32_e32 v0, v17, v2
	v_lshrrev_b32_e32 v15, 16, v0
.LBB155_74:
	s_or_b64 exec, exec, s[6:7]
	v_lshlrev_b32_e32 v21, 6, v21
	s_mov_b32 s6, 0x5040100
	v_perm_b32 v24, v11, v9, s6
	v_or_b32_e32 v9, v21, v34
	v_accvgpr_read_b32 v0, a8
	v_perm_b32 v25, v15, v13, s6
	v_lshlrev_b32_e32 v9, 1, v9
	v_accvgpr_read_b32 v1, a9
	v_accvgpr_read_b32 v2, a10
	;; [unrolled: 1-line block ×3, first 2 shown]
	ds_write_b64 v9, v[24:25] offset:24576
	v_mov_b32_e32 v11, 0
	v_mov_b32_e32 v9, 0
	s_and_saveexec_b64 s[6:7], vcc
	s_cbranch_execz .LBB155_76
; %bb.75:
	v_mov_b32_e32 v9, 0
	v_lshl_add_u64 v[24:25], v[6:7], 0, v[8:9]
	global_load_ushort v13, v[24:25], off offset:32
	v_lshl_add_u64 v[24:25], v[4:5], 0, v[8:9]
	s_waitcnt vmcnt(0)
	v_lshlrev_b32_e32 v9, 16, v13
	v_sub_f32_e32 v0, v9, v0
	global_store_short_d16_hi v[24:25], v0, off offset:32
	v_mul_f32_e32 v0, v18, v0
	v_lshrrev_b32_e32 v9, 16, v0
.LBB155_76:
	s_or_b64 exec, exec, s[6:7]
	s_and_saveexec_b64 s[6:7], s[2:3]
	s_cbranch_execz .LBB155_78
; %bb.77:
	v_mov_b32_e32 v11, 0
	v_lshl_add_u64 v[24:25], v[6:7], 0, v[10:11]
	global_load_ushort v0, v[24:25], off offset:32
	v_lshl_add_u64 v[24:25], v[4:5], 0, v[10:11]
	s_waitcnt vmcnt(0)
	v_lshlrev_b32_e32 v0, 16, v0
	v_sub_f32_e32 v0, v0, v1
	global_store_short_d16_hi v[24:25], v0, off offset:32
	v_mul_f32_e32 v0, v16, v0
	v_lshrrev_b32_e32 v11, 16, v0
.LBB155_78:
	s_or_b64 exec, exec, s[6:7]
	v_mov_b32_e32 v15, 0
	v_mov_b32_e32 v13, 0
	s_and_saveexec_b64 s[6:7], s[0:1]
	s_cbranch_execz .LBB155_80
; %bb.79:
	v_mov_b32_e32 v13, 0
	v_lshl_add_u64 v[0:1], v[6:7], 0, v[12:13]
	global_load_ushort v24, v[0:1], off offset:32
	v_lshl_add_u64 v[0:1], v[4:5], 0, v[12:13]
	s_waitcnt vmcnt(0)
	v_lshlrev_b32_e32 v13, 16, v24
	v_sub_f32_e32 v2, v13, v2
	global_store_short_d16_hi v[0:1], v2, off offset:32
	v_mul_f32_e32 v0, v20, v2
	v_lshrrev_b32_e32 v13, 16, v0
.LBB155_80:
	s_or_b64 exec, exec, s[6:7]
	s_and_saveexec_b64 s[6:7], s[4:5]
	s_cbranch_execz .LBB155_82
; %bb.81:
	v_mov_b32_e32 v15, 0
	v_lshl_add_u64 v[0:1], v[6:7], 0, v[14:15]
	global_load_ushort v2, v[0:1], off offset:32
	v_lshl_add_u64 v[0:1], v[4:5], 0, v[14:15]
	s_waitcnt vmcnt(0)
	v_lshlrev_b32_e32 v2, 16, v2
	v_sub_f32_e32 v2, v2, v3
	global_store_short_d16_hi v[0:1], v2, off offset:32
	v_mul_f32_e32 v0, v17, v2
	v_lshrrev_b32_e32 v15, 16, v0
.LBB155_82:
	s_or_b64 exec, exec, s[6:7]
	s_mov_b32 s6, 0x5040100
	v_perm_b32 v24, v11, v9, s6
	v_or_b32_e32 v9, v21, v23
	v_accvgpr_read_b32 v0, a4
	v_perm_b32 v25, v15, v13, s6
	v_lshlrev_b32_e32 v9, 1, v9
	v_accvgpr_read_b32 v1, a5
	v_accvgpr_read_b32 v2, a6
	;; [unrolled: 1-line block ×3, first 2 shown]
	ds_write_b64 v9, v[24:25] offset:24576
	v_mov_b32_e32 v11, 0
	v_mov_b32_e32 v9, 0
	s_and_saveexec_b64 s[6:7], vcc
	s_cbranch_execz .LBB155_84
; %bb.83:
	v_mov_b32_e32 v9, 0
	v_lshl_add_u64 v[24:25], v[6:7], 0, v[8:9]
	global_load_ushort v13, v[24:25], off offset:64
	v_lshl_add_u64 v[24:25], v[4:5], 0, v[8:9]
	s_waitcnt vmcnt(0)
	v_lshlrev_b32_e32 v9, 16, v13
	v_sub_f32_e32 v0, v9, v0
	global_store_short_d16_hi v[24:25], v0, off offset:64
	v_mul_f32_e32 v0, v18, v0
	v_lshrrev_b32_e32 v9, 16, v0
.LBB155_84:
	s_or_b64 exec, exec, s[6:7]
	s_and_saveexec_b64 s[6:7], s[2:3]
	s_cbranch_execz .LBB155_86
; %bb.85:
	v_mov_b32_e32 v11, 0
	v_lshl_add_u64 v[24:25], v[6:7], 0, v[10:11]
	global_load_ushort v0, v[24:25], off offset:64
	v_lshl_add_u64 v[24:25], v[4:5], 0, v[10:11]
	s_waitcnt vmcnt(0)
	v_lshlrev_b32_e32 v0, 16, v0
	v_sub_f32_e32 v0, v0, v1
	global_store_short_d16_hi v[24:25], v0, off offset:64
	v_mul_f32_e32 v0, v16, v0
	v_lshrrev_b32_e32 v11, 16, v0
.LBB155_86:
	s_or_b64 exec, exec, s[6:7]
	v_mov_b32_e32 v15, 0
	v_mov_b32_e32 v13, 0
	s_and_saveexec_b64 s[6:7], s[0:1]
	s_cbranch_execz .LBB155_88
; %bb.87:
	v_mov_b32_e32 v13, 0
	v_lshl_add_u64 v[0:1], v[6:7], 0, v[12:13]
	global_load_ushort v23, v[0:1], off offset:64
	v_lshl_add_u64 v[0:1], v[4:5], 0, v[12:13]
	s_waitcnt vmcnt(0)
	v_lshlrev_b32_e32 v13, 16, v23
	v_sub_f32_e32 v2, v13, v2
	global_store_short_d16_hi v[0:1], v2, off offset:64
	v_mul_f32_e32 v0, v20, v2
	v_lshrrev_b32_e32 v13, 16, v0
.LBB155_88:
	s_or_b64 exec, exec, s[6:7]
	s_and_saveexec_b64 s[6:7], s[4:5]
	s_cbranch_execz .LBB155_90
; %bb.89:
	v_mov_b32_e32 v15, 0
	v_lshl_add_u64 v[0:1], v[6:7], 0, v[14:15]
	global_load_ushort v2, v[0:1], off offset:64
	v_lshl_add_u64 v[0:1], v[4:5], 0, v[14:15]
	s_waitcnt vmcnt(0)
	v_lshlrev_b32_e32 v2, 16, v2
	v_sub_f32_e32 v2, v2, v3
	global_store_short_d16_hi v[0:1], v2, off offset:64
	v_mul_f32_e32 v0, v17, v2
	v_lshrrev_b32_e32 v15, 16, v0
.LBB155_90:
	s_or_b64 exec, exec, s[6:7]
	s_mov_b32 s6, 0x5040100
	v_perm_b32 v24, v11, v9, s6
	v_or_b32_e32 v9, v21, v22
	v_accvgpr_read_b32 v0, a0
	v_perm_b32 v25, v15, v13, s6
	v_lshlrev_b32_e32 v9, 1, v9
	v_accvgpr_read_b32 v1, a1
	v_accvgpr_read_b32 v2, a2
	;; [unrolled: 1-line block ×3, first 2 shown]
	ds_write_b64 v9, v[24:25] offset:24576
	v_mov_b32_e32 v11, 0
	v_mov_b32_e32 v9, 0
	s_and_saveexec_b64 s[6:7], vcc
	s_cbranch_execz .LBB155_92
; %bb.91:
	v_mov_b32_e32 v9, 0
	v_lshl_add_u64 v[22:23], v[6:7], 0, v[8:9]
	global_load_ushort v13, v[22:23], off offset:96
	v_lshl_add_u64 v[8:9], v[4:5], 0, v[8:9]
	s_waitcnt vmcnt(0)
	v_lshlrev_b32_e32 v13, 16, v13
	v_sub_f32_e32 v0, v13, v0
	global_store_short_d16_hi v[8:9], v0, off offset:96
	v_mul_f32_e32 v0, v18, v0
	v_lshrrev_b32_e32 v9, 16, v0
.LBB155_92:
	s_or_b64 exec, exec, s[6:7]
	s_and_saveexec_b64 s[6:7], s[2:3]
	s_cbranch_execz .LBB155_94
; %bb.93:
	v_mov_b32_e32 v11, 0
	v_lshl_add_u64 v[22:23], v[6:7], 0, v[10:11]
	global_load_ushort v0, v[22:23], off offset:96
	v_lshl_add_u64 v[10:11], v[4:5], 0, v[10:11]
	s_waitcnt vmcnt(0)
	v_lshlrev_b32_e32 v0, 16, v0
	v_sub_f32_e32 v0, v0, v1
	global_store_short_d16_hi v[10:11], v0, off offset:96
	v_mul_f32_e32 v0, v16, v0
	v_lshrrev_b32_e32 v11, 16, v0
.LBB155_94:
	s_or_b64 exec, exec, s[6:7]
	v_mov_b32_e32 v0, 0
	v_mov_b32_e32 v1, 0
	s_and_saveexec_b64 s[2:3], s[0:1]
	s_cbranch_execz .LBB155_96
; %bb.95:
	v_mov_b32_e32 v13, 0
	v_lshl_add_u64 v[22:23], v[6:7], 0, v[12:13]
	global_load_ushort v1, v[22:23], off offset:96
	v_lshl_add_u64 v[12:13], v[4:5], 0, v[12:13]
	s_waitcnt vmcnt(0)
	v_lshlrev_b32_e32 v1, 16, v1
	v_sub_f32_e32 v1, v1, v2
	global_store_short_d16_hi v[12:13], v1, off offset:96
	v_mul_f32_e32 v1, v20, v1
	v_lshrrev_b32_e32 v1, 16, v1
.LBB155_96:
	s_or_b64 exec, exec, s[2:3]
	s_and_saveexec_b64 s[0:1], s[4:5]
	s_cbranch_execz .LBB155_98
; %bb.97:
	v_mov_b32_e32 v15, 0
	v_lshl_add_u64 v[6:7], v[6:7], 0, v[14:15]
	global_load_ushort v0, v[6:7], off offset:96
	v_lshl_add_u64 v[4:5], v[4:5], 0, v[14:15]
	s_waitcnt vmcnt(0)
	v_lshlrev_b32_e32 v0, 16, v0
	v_sub_f32_e32 v0, v0, v3
	global_store_short_d16_hi v[4:5], v0, off offset:96
	v_mul_f32_e32 v0, v17, v0
	v_lshrrev_b32_e32 v0, 16, v0
.LBB155_98:
	s_or_b64 exec, exec, s[0:1]
	s_mov_b32 s0, 0x5040100
	v_or_b32_e32 v2, v21, v19
	v_perm_b32 v1, v0, v1, s0
	v_perm_b32 v0, v11, v9, s0
	v_lshlrev_b32_e32 v2, 1, v2
	ds_write_b64 v2, v[0:1] offset:24576
	s_waitcnt lgkmcnt(0)
	s_barrier
.LBB155_99:
	s_endpgm
	.section	.rodata,"a",@progbits
	.p2align	6, 0x0
	.amdhsa_kernel _ZN12_GLOBAL__N_139chunk_gated_delta_rule_fwd_h_hip_kernelILi64ELb1ELb0ELb1ELb0ELb1ELb1ELb0ELb0EEEvPK12hip_bfloat16S3_S3_PKfS5_PKvPS1_S8_PvPKiSB_iiiiilll
		.amdhsa_group_segment_fixed_size 65536
		.amdhsa_private_segment_fixed_size 0
		.amdhsa_kernarg_size 136
		.amdhsa_user_sgpr_count 2
		.amdhsa_user_sgpr_dispatch_ptr 0
		.amdhsa_user_sgpr_queue_ptr 0
		.amdhsa_user_sgpr_kernarg_segment_ptr 1
		.amdhsa_user_sgpr_dispatch_id 0
		.amdhsa_user_sgpr_kernarg_preload_length 0
		.amdhsa_user_sgpr_kernarg_preload_offset 0
		.amdhsa_user_sgpr_private_segment_size 0
		.amdhsa_uses_dynamic_stack 0
		.amdhsa_enable_private_segment 0
		.amdhsa_system_sgpr_workgroup_id_x 1
		.amdhsa_system_sgpr_workgroup_id_y 1
		.amdhsa_system_sgpr_workgroup_id_z 0
		.amdhsa_system_sgpr_workgroup_info 0
		.amdhsa_system_vgpr_workitem_id 0
		.amdhsa_next_free_vgpr 232
		.amdhsa_next_free_sgpr 71
		.amdhsa_accum_offset 192
		.amdhsa_reserve_vcc 1
		.amdhsa_float_round_mode_32 0
		.amdhsa_float_round_mode_16_64 0
		.amdhsa_float_denorm_mode_32 3
		.amdhsa_float_denorm_mode_16_64 3
		.amdhsa_dx10_clamp 1
		.amdhsa_ieee_mode 1
		.amdhsa_fp16_overflow 0
		.amdhsa_tg_split 0
		.amdhsa_exception_fp_ieee_invalid_op 0
		.amdhsa_exception_fp_denorm_src 0
		.amdhsa_exception_fp_ieee_div_zero 0
		.amdhsa_exception_fp_ieee_overflow 0
		.amdhsa_exception_fp_ieee_underflow 0
		.amdhsa_exception_fp_ieee_inexact 0
		.amdhsa_exception_int_div_zero 0
	.end_amdhsa_kernel
	.section	.text._ZN12_GLOBAL__N_139chunk_gated_delta_rule_fwd_h_hip_kernelILi64ELb1ELb0ELb1ELb0ELb1ELb1ELb0ELb0EEEvPK12hip_bfloat16S3_S3_PKfS5_PKvPS1_S8_PvPKiSB_iiiiilll,"axG",@progbits,_ZN12_GLOBAL__N_139chunk_gated_delta_rule_fwd_h_hip_kernelILi64ELb1ELb0ELb1ELb0ELb1ELb1ELb0ELb0EEEvPK12hip_bfloat16S3_S3_PKfS5_PKvPS1_S8_PvPKiSB_iiiiilll,comdat
.Lfunc_end155:
	.size	_ZN12_GLOBAL__N_139chunk_gated_delta_rule_fwd_h_hip_kernelILi64ELb1ELb0ELb1ELb0ELb1ELb1ELb0ELb0EEEvPK12hip_bfloat16S3_S3_PKfS5_PKvPS1_S8_PvPKiSB_iiiiilll, .Lfunc_end155-_ZN12_GLOBAL__N_139chunk_gated_delta_rule_fwd_h_hip_kernelILi64ELb1ELb0ELb1ELb0ELb1ELb1ELb0ELb0EEEvPK12hip_bfloat16S3_S3_PKfS5_PKvPS1_S8_PvPKiSB_iiiiilll
                                        ; -- End function
	.section	.AMDGPU.csdata,"",@progbits
; Kernel info:
; codeLenInByte = 11396
; NumSgprs: 77
; NumVgprs: 190
; NumAgprs: 40
; TotalNumVgprs: 232
; ScratchSize: 0
; MemoryBound: 0
; FloatMode: 240
; IeeeMode: 1
; LDSByteSize: 65536 bytes/workgroup (compile time only)
; SGPRBlocks: 9
; VGPRBlocks: 28
; NumSGPRsForWavesPerEU: 77
; NumVGPRsForWavesPerEU: 232
; AccumOffset: 192
; Occupancy: 1
; WaveLimiterHint : 1
; COMPUTE_PGM_RSRC2:SCRATCH_EN: 0
; COMPUTE_PGM_RSRC2:USER_SGPR: 2
; COMPUTE_PGM_RSRC2:TRAP_HANDLER: 0
; COMPUTE_PGM_RSRC2:TGID_X_EN: 1
; COMPUTE_PGM_RSRC2:TGID_Y_EN: 1
; COMPUTE_PGM_RSRC2:TGID_Z_EN: 0
; COMPUTE_PGM_RSRC2:TIDIG_COMP_CNT: 0
; COMPUTE_PGM_RSRC3_GFX90A:ACCUM_OFFSET: 47
; COMPUTE_PGM_RSRC3_GFX90A:TG_SPLIT: 0
	.section	.text._ZN12_GLOBAL__N_139chunk_gated_delta_rule_fwd_h_hip_kernelILi64ELb1ELb0ELb0ELb0ELb1ELb1ELb0ELb0EEEvPK12hip_bfloat16S3_S3_PKfS5_PKvPS1_S8_PvPKiSB_iiiiilll,"axG",@progbits,_ZN12_GLOBAL__N_139chunk_gated_delta_rule_fwd_h_hip_kernelILi64ELb1ELb0ELb0ELb0ELb1ELb1ELb0ELb0EEEvPK12hip_bfloat16S3_S3_PKfS5_PKvPS1_S8_PvPKiSB_iiiiilll,comdat
	.globl	_ZN12_GLOBAL__N_139chunk_gated_delta_rule_fwd_h_hip_kernelILi64ELb1ELb0ELb0ELb0ELb1ELb1ELb0ELb0EEEvPK12hip_bfloat16S3_S3_PKfS5_PKvPS1_S8_PvPKiSB_iiiiilll ; -- Begin function _ZN12_GLOBAL__N_139chunk_gated_delta_rule_fwd_h_hip_kernelILi64ELb1ELb0ELb0ELb0ELb1ELb1ELb0ELb0EEEvPK12hip_bfloat16S3_S3_PKfS5_PKvPS1_S8_PvPKiSB_iiiiilll
	.p2align	8
	.type	_ZN12_GLOBAL__N_139chunk_gated_delta_rule_fwd_h_hip_kernelILi64ELb1ELb0ELb0ELb0ELb1ELb1ELb0ELb0EEEvPK12hip_bfloat16S3_S3_PKfS5_PKvPS1_S8_PvPKiSB_iiiiilll,@function
_ZN12_GLOBAL__N_139chunk_gated_delta_rule_fwd_h_hip_kernelILi64ELb1ELb0ELb0ELb0ELb1ELb1ELb0ELb0EEEvPK12hip_bfloat16S3_S3_PKfS5_PKvPS1_S8_PvPKiSB_iiiiilll: ; @_ZN12_GLOBAL__N_139chunk_gated_delta_rule_fwd_h_hip_kernelILi64ELb1ELb0ELb0ELb0ELb1ELb1ELb0ELb0EEEvPK12hip_bfloat16S3_S3_PKfS5_PKvPS1_S8_PvPKiSB_iiiiilll
; %bb.0:
	s_load_dwordx4 s[12:15], s[0:1], 0x5c
	s_load_dwordx4 s[16:19], s[0:1], 0x28
	s_abs_i32 s6, s3
	s_ashr_i32 s5, s3, 31
	v_and_b32_e32 v88, 15, v0
	s_waitcnt lgkmcnt(0)
	s_abs_i32 s4, s13
	v_cvt_f32_u32_e32 v1, s4
	s_sub_i32 s8, 0, s4
	s_ashr_i32 s7, s13, 31
	s_xor_b32 s5, s5, s7
	v_rcp_iflag_f32_e32 v1, v1
	v_lshrrev_b32_e32 v86, 6, v0
	v_bfe_u32 v87, v0, 4, 2
	v_mov_b32_e32 v11, 0
	v_mul_f32_e32 v1, 0x4f7ffffe, v1
	v_cvt_u32_f32_e32 v1, v1
	v_and_b32_e32 v77, 63, v0
	v_lshrrev_b32_e32 v90, 3, v77
	v_lshlrev_b32_e32 v89, 3, v0
	v_readfirstlane_b32 s9, v1
	s_mul_i32 s8, s8, s9
	s_mul_hi_u32 s8, s9, s8
	s_add_i32 s9, s9, s8
	s_mul_hi_u32 s8, s6, s9
	s_mul_i32 s9, s8, s4
	s_sub_i32 s6, s6, s9
	s_add_i32 s10, s8, 1
	s_sub_i32 s9, s6, s4
	s_cmp_ge_u32 s6, s4
	s_cselect_b32 s8, s10, s8
	s_cselect_b32 s6, s9, s6
	s_add_i32 s9, s8, 1
	s_cmp_ge_u32 s6, s4
	s_cselect_b32 s6, s9, s8
	s_xor_b32 s6, s6, s5
	s_sub_i32 s51, s6, s5
	s_mul_i32 s6, s51, s13
	s_sub_i32 s48, s3, s6
	s_abs_i32 s3, s14
	v_cvt_f32_u32_e32 v1, s3
	s_add_i32 s8, s12, 63
	s_ashr_i32 s9, s8, 31
	s_lshr_b32 s5, s9, 26
	v_rcp_iflag_f32_e32 v1, v1
	s_ashr_i32 s50, s12, 31
	s_add_i32 s8, s8, s5
	s_lshr_b32 s5, s50, 26
	v_mul_f32_e32 v1, 0x4f7ffffe, v1
	v_cvt_u32_f32_e32 v1, v1
	s_add_i32 s5, s12, s5
	s_ashr_i32 s53, s14, 31
	s_ashr_i32 s52, s5, 6
	s_lshl_b32 s36, s2, 6
	s_xor_b32 s2, s7, s53
	s_sub_i32 s5, 0, s3
	v_readfirstlane_b32 s7, v1
	s_mul_i32 s5, s5, s7
	s_mul_hi_u32 s5, s7, s5
	s_add_i32 s7, s7, s5
	s_mul_hi_u32 s5, s4, s7
	s_mul_i32 s7, s5, s3
	s_sub_i32 s4, s4, s7
	s_ashr_i32 s25, s8, 6
	s_add_i32 s7, s5, 1
	s_sub_i32 s8, s4, s3
	s_cmp_ge_u32 s4, s3
	s_cselect_b32 s5, s7, s5
	s_cselect_b32 s4, s8, s4
	s_add_i32 s7, s5, 1
	s_cmp_ge_u32 s4, s3
	s_cselect_b32 s3, s7, s5
	s_xor_b32 s3, s3, s2
	s_sub_i32 s2, s3, s2
	s_abs_i32 s3, s2
	v_cvt_f32_u32_e32 v1, s3
	s_sub_i32 s5, 0, s3
	s_abs_i32 s4, s48
	s_xor_b32 s2, s48, s2
	v_rcp_iflag_f32_e32 v1, v1
	s_ashr_i32 s2, s2, 31
	v_or_b32_e32 v78, s36, v88
	v_lshlrev_b32_e32 v2, 7, v78
	v_mul_f32_e32 v1, 0x4f7ffffe, v1
	v_cvt_u32_f32_e32 v1, v1
	v_ashrrev_i32_e32 v3, 31, v2
	s_mul_i32 s55, s51, s25
	v_readfirstlane_b32 s7, v1
	s_mul_i32 s5, s5, s7
	s_mul_hi_u32 s5, s7, s5
	s_add_i32 s7, s7, s5
	s_mul_hi_u32 s5, s4, s7
	s_mul_i32 s7, s5, s3
	s_sub_i32 s4, s4, s7
	s_add_i32 s7, s5, 1
	s_sub_i32 s8, s4, s3
	s_cmp_ge_u32 s4, s3
	s_cselect_b32 s5, s7, s5
	s_cselect_b32 s4, s8, s4
	s_add_i32 s7, s5, 1
	s_cmp_ge_u32 s4, s3
	s_cselect_b32 s3, s7, s5
	s_xor_b32 s3, s3, s2
	s_sub_i32 s54, s3, s2
	s_ashr_i32 s24, s51, 31
	s_ashr_i32 s49, s48, 31
	s_mul_hi_i32 s2, s51, s13
	s_add_u32 s38, s6, s48
	s_addc_u32 s39, s2, s49
	s_lshl_b64 s[2:3], s[38:39], 16
	v_lshlrev_b32_e32 v1, 4, v86
	s_add_u32 s2, s16, s2
	v_lshl_or_b32 v91, v87, 2, v1
	s_addc_u32 s3, s17, s3
	v_lshl_add_u64 v[4:5], v[2:3], 2, s[2:3]
	v_lshlrev_b32_e32 v10, 2, v91
	v_lshl_add_u64 v[4:5], v[4:5], 0, v[10:11]
	global_load_dwordx4 v[22:25], v[4:5], off
	global_load_dwordx4 v[30:33], v[4:5], off offset:256
	v_or_b32_e32 v4, 0x800, v2
	v_ashrrev_i32_e32 v5, 31, v4
	v_lshl_add_u64 v[4:5], v[4:5], 2, s[2:3]
	v_lshl_add_u64 v[4:5], v[4:5], 0, v[10:11]
	global_load_dwordx4 v[14:17], v[4:5], off
	global_load_dwordx4 v[26:29], v[4:5], off offset:256
	v_or_b32_e32 v4, 0x1000, v2
	v_or_b32_e32 v2, 0x1800, v2
	v_ashrrev_i32_e32 v5, 31, v4
	v_ashrrev_i32_e32 v3, 31, v2
	v_lshl_add_u64 v[4:5], v[4:5], 2, s[2:3]
	v_lshl_add_u64 v[2:3], v[2:3], 2, s[2:3]
	;; [unrolled: 1-line block ×4, first 2 shown]
	global_load_dwordx4 v[6:9], v[4:5], off
	global_load_dwordx4 v[18:21], v[4:5], off offset:256
	s_nop 0
	global_load_dwordx4 v[2:5], v[34:35], off
	global_load_dwordx4 v[10:13], v[34:35], off offset:256
	s_load_dwordx8 s[4:11], s[0:1], 0x0
	s_load_dwordx2 s[28:29], s[0:1], 0x80
	s_load_dwordx4 s[20:23], s[0:1], 0x70
	v_or_b32_e32 v92, 64, v91
	s_cmp_lt_i32 s12, 64
	s_mul_i32 s56, s39, s12
	s_mul_hi_u32 s57, s38, s12
	s_mul_i32 s16, s38, s12
	s_waitcnt lgkmcnt(0)
	s_mul_i32 s33, s51, s21
	s_mul_hi_u32 s44, s51, s20
	s_mul_i32 s39, s24, s20
	s_mul_i32 s34, s51, s20
	;; [unrolled: 1-line block ×3, first 2 shown]
	s_mul_hi_u32 s46, s48, s22
	s_mul_i32 s47, s49, s22
	s_mul_i32 s30, s48, s22
	s_cbranch_scc1 .LBB156_18
; %bb.1:
	s_add_i32 s17, s57, s56
	s_lshl_b64 s[2:3], s[16:17], 8
	v_and_b32_e32 v94, 56, v89
	s_add_u32 s20, s6, s2
	v_lshl_or_b32 v93, v86, 3, v90
	v_lshlrev_b32_e32 v34, 1, v94
	s_addc_u32 s2, s7, s3
	v_lshl_or_b32 v95, v93, 8, v34
	s_and_b32 s21, s2, 0xffff
	s_mov_b32 s23, 0x20000
	s_movk_i32 s22, 0x4000
	s_movk_i32 s2, 0x80
	v_or_b32_e32 v96, 0x2000, v95
	buffer_load_dwordx4 v[36:39], v95, s[20:23], 0 offen
	buffer_load_dwordx4 v[40:43], v95, s[20:23], s2 offen
	;; [unrolled: 1-line block ×4, first 2 shown]
	v_lshlrev_b32_e32 v35, 3, v93
	v_and_or_b32 v53, v0, 7, v35
	v_and_b32_e32 v35, 0x78, v35
	v_lshlrev_b32_e32 v53, 4, v53
	v_xor_b32_e32 v97, v53, v35
	v_mul_lo_u32 v52, v93, s15
	v_or_b32_e32 v98, 0x1000, v97
	v_xor_b32_e32 v35, 8, v97
	s_cmpk_eq_i32 s15, 0x80
	s_mov_b32 s58, s14
	v_xor_b32_e32 v53, 8, v98
	s_cselect_b64 s[2:3], -1, 0
	s_cmpk_lg_i32 s15, 0x80
	s_waitcnt vmcnt(3)
	ds_write_b64 v97, v[36:37] offset:49152
	ds_write_b64 v35, v[38:39] offset:49152
	s_waitcnt vmcnt(2)
	ds_write_b64 v97, v[40:41] offset:57344
	ds_write_b64 v35, v[42:43] offset:57344
	;; [unrolled: 3-line block ×4, first 2 shown]
	v_lshl_add_u32 v35, v52, 1, v94
	s_cbranch_scc0 .LBB156_3
; %bb.2:
	v_lshlrev_b32_e32 v37, 1, v35
	v_add_lshl_u32 v36, v35, s15, 1
	s_lshl_b32 s22, s15, 7
	s_load_dwordx2 s[40:41], s[0:1], 0x20
	v_lshl_or_b32 v34, v93, 9, v34
	s_cbranch_execz .LBB156_4
	s_branch .LBB156_5
.LBB156_3:
                                        ; implicit-def: $vgpr36
                                        ; implicit-def: $vgpr37
                                        ; implicit-def: $sgpr22
	s_load_dwordx2 s[40:41], s[0:1], 0x20
	v_lshl_or_b32 v34, v93, 9, v34
.LBB156_4:
	v_or_b32_e32 v36, 0x100, v34
	s_movk_i32 s22, 0x4000
	v_mov_b32_e32 v37, v34
.LBB156_5:
	s_mul_hi_u32 s0, s14, s12
	s_mul_i32 s1, s53, s12
	s_add_i32 s0, s0, s1
	s_mul_i32 s1, s14, s12
	s_mul_i32 s20, s1, s24
	s_mul_hi_u32 s21, s1, s51
	s_add_i32 s20, s21, s20
	s_mul_i32 s0, s0, s51
	s_add_i32 s20, s20, s0
	s_mul_i32 s1, s1, s51
	s_ashr_i32 s59, s54, 31
	s_add_u32 s0, s1, s54
	s_addc_u32 s1, s20, s59
	s_lshl_b64 s[0:1], s[0:1], 8
	s_add_u32 s20, s4, s0
	s_addc_u32 s0, s5, s1
	s_and_b32 s21, s0, 0xffff
	s_movk_i32 s60, 0x80
	buffer_load_dwordx4 v[38:41], v37, s[20:23], 0 offen
	buffer_load_dwordx4 v[42:45], v37, s[20:23], s60 offen
	;; [unrolled: 1-line block ×4, first 2 shown]
	v_and_b32_e32 v37, 6, v0
	v_lshlrev_b32_e32 v36, 7, v91
	v_xor_b32_e32 v58, v93, v37
	v_and_b32_e32 v54, 1, v0
	v_lshl_or_b32 v61, v88, 3, v36
	v_lshlrev_b32_e32 v58, 2, v58
	v_or_b32_e32 v99, 0x4000, v61
	v_or_b32_e32 v100, 0x6000, v61
	v_xor_b32_e32 v61, 0x440, v58
	v_cmp_eq_u32_e32 vcc, 0, v54
	v_lshlrev_b32_e32 v55, 2, v88
	s_mov_b32 s63, 0x1000504
	v_cndmask_b32_e32 v54, v61, v58, vcc
	v_xor_b32_e32 v59, v91, v55
	v_xor_b32_e32 v60, v92, v55
	v_lshl_or_b32 v37, v37, 10, v54
	s_mov_b32 s64, 0x3020706
	v_lshlrev_b32_e32 v56, 8, v88
	v_or_b32_e32 v57, 16, v88
	v_lshlrev_b32_e32 v59, 1, v59
	v_lshlrev_b32_e32 v60, 1, v60
	v_xor_b32_e32 v54, 8, v37
	v_xor_b32_e32 v58, 24, v37
	;; [unrolled: 1-line block ×4, first 2 shown]
	s_mul_i32 s24, s24, s12
	s_mul_hi_u32 s0, s51, s12
	v_or_b32_e32 v102, v56, v59
	v_or_b32_e32 v103, v56, v60
	v_xor_b32_e32 v56, 16, v37
	v_xor_b32_e32 v61, 32, v37
	;; [unrolled: 1-line block ×3, first 2 shown]
	v_add_u32_e32 v54, 0x80, v54
	v_add_u32_e32 v58, 0x80, v58
	;; [unrolled: 1-line block ×4, first 2 shown]
	s_add_i32 s65, s0, s24
	s_add_i32 s0, s44, s33
	;; [unrolled: 1-line block ×5, first 2 shown]
	s_lshl_b64 s[0:1], s[34:35], 2
	s_add_u32 s20, s10, s0
	s_addc_u32 s21, s11, s1
	s_lshl_b64 s[0:1], s[30:31], 2
	s_add_u32 s42, s20, s0
	s_movk_i32 s0, 0xf8
	s_addc_u32 s43, s21, s1
	s_ashr_i32 s37, s36, 31
	s_lshl_b32 s26, s15, 7
	v_mov_b32_e32 v81, 0
	s_movk_i32 s20, 0x100
	v_lshlrev_b32_e32 v80, 4, v88
	s_mul_i32 s61, s51, s12
	v_lshl_or_b32 v62, v57, 3, v36
	v_ashrrev_i32_e32 v79, 31, v78
	s_mov_b32 s62, 0
	v_or_b32_e32 v101, 0x4000, v62
	s_movk_i32 s22, 0x4000
	v_or_b32_e32 v104, 0x6000, v62
	v_lshl_add_u64 v[82:83], v[78:79], 1, s[8:9]
	s_mov_b32 s35, 0x7060302
	s_movk_i32 s66, 0x3000
	s_mov_b32 s68, 0
	s_waitcnt vmcnt(1)
	v_perm_b32 v66, v38, v46, s63
	s_waitcnt vmcnt(0)
	v_perm_b32 v67, v42, v50, s63
	v_perm_b32 v38, v38, v46, s64
	;; [unrolled: 1-line block ×15, first 2 shown]
	ds_write2st64_b32 v37, v66, v67 offset0:128 offset1:160
	ds_write2st64_b32 v54, v38, v42 offset0:128 offset1:160
	;; [unrolled: 1-line block ×8, first 2 shown]
	v_lshlrev_b32_e32 v37, 8, v57
	v_or_b32_e32 v105, v37, v59
	v_or_b32_e32 v106, v37, v60
	;; [unrolled: 1-line block ×3, first 2 shown]
	v_lshl_or_b32 v38, v37, 3, v36
	v_lshlrev_b32_e32 v37, 8, v37
	v_or_b32_e32 v109, v37, v59
	v_or_b32_e32 v110, v37, v60
	v_or_b32_e32 v37, 48, v88
	v_or_b32_e32 v107, 0x4000, v38
	v_or_b32_e32 v108, 0x6000, v38
	v_lshl_or_b32 v38, v37, 3, v36
	v_lshlrev_b32_e32 v37, 8, v37
	v_or_b32_e32 v113, v37, v59
	v_or_b32_e32 v114, v37, v60
	;; [unrolled: 1-line block ×3, first 2 shown]
	v_lshlrev_b32_e32 v37, 3, v37
	v_lshrrev_b32_e32 v39, 5, v77
	v_and_or_b32 v39, v37, s0, v39
	v_lshlrev_b32_e32 v39, 4, v39
	v_or_b32_e32 v111, 0x4000, v38
	v_or_b32_e32 v112, 0x6000, v38
	v_lshrrev_b32_e32 v38, 2, v77
	v_lshlrev_b32_e32 v41, 11, v86
	v_and_b32_e32 v37, 0x78, v37
	v_or_b32_e32 v45, 32, v39
	v_and_b32_e32 v40, 12, v38
	v_and_b32_e32 v38, 0x1000, v41
	v_xor_b32_e32 v42, v39, v37
	v_lshrrev_b32_e32 v43, 1, v77
	v_xor_b32_e32 v45, v45, v37
	v_or_b32_e32 v42, v42, v38
	v_and_b32_e32 v43, 8, v43
	v_or_b32_e32 v45, v45, v38
	v_xor_b32_e32 v115, v42, v43
	v_lshlrev_b32_e32 v42, 8, v87
	v_xor_b32_e32 v117, v45, v43
	v_or_b32_e32 v45, 64, v39
	v_or_b32_e32 v39, 0x60, v39
	;; [unrolled: 1-line block ×3, first 2 shown]
	v_xor_b32_e32 v45, v45, v37
	v_xor_b32_e32 v37, v39, v37
	s_lshl_b64 s[0:1], s[36:37], 8
	v_lshlrev_b32_e32 v44, 1, v44
	v_or_b32_e32 v45, v45, v38
	v_or_b32_e32 v37, v37, v38
	s_add_u32 s0, s18, s0
	v_lshlrev_b32_e32 v38, 1, v88
	v_lshlrev_b32_e32 v47, 2, v0
	v_or_b32_e32 v116, 0x4000, v44
	v_or_b32_e32 v118, 0x4080, v44
	;; [unrolled: 1-line block ×4, first 2 shown]
	v_xor_b32_e32 v121, v45, v43
	v_xor_b32_e32 v122, v37, v43
	v_or_b32_e32 v123, 0x6000, v44
	v_or_b32_e32 v124, 0x6080, v44
	;; [unrolled: 1-line block ×4, first 2 shown]
	v_lshlrev_b32_e32 v37, 1, v35
	v_add_lshl_u32 v35, v35, s15, 1
	v_or_b32_e32 v43, 0x100, v34
	v_lshrrev_b32_e32 v44, 4, v0
	s_addc_u32 s1, s19, s1
	v_or_b32_e32 v39, 1, v38
	v_lshrrev_b32_e32 v48, 1, v0
	v_and_or_b32 v42, v47, 60, v42
	v_xor_b32_e32 v45, v44, v38
	v_xor_b32_e32 v46, v39, v44
	v_lshl_add_u64 v[38:39], s[0:1], 0, v[80:81]
	v_and_b32_e32 v48, 24, v48
	v_lshlrev_b32_e32 v42, 1, v42
	v_cndmask_b32_e64 v133, v37, v34, s[2:3]
	v_cndmask_b32_e64 v134, v35, v43, s[2:3]
	v_mov_b32_e32 v35, 0xa000
	v_mov_b32_e32 v37, 0x8000
	v_cmp_gt_u32_e64 s[0:1], s20, v0
	v_lshlrev_b32_e32 v80, 8, v44
	v_or_b32_e32 v129, 0x6000, v42
	v_or_b32_e32 v47, 32, v48
	v_or_b32_e32 v130, 0x6080, v42
	v_or_b32_e32 v131, 0x6100, v42
	v_or_b32_e32 v132, 0x6180, v42
	v_or_b32_e32 v42, 0x60, v48
	v_cndmask_b32_e64 v35, v35, v37, s[0:1]
	v_lshlrev_b32_e32 v37, 3, v86
	v_lshl_or_b32 v127, v45, 3, v80
	v_and_b32_e32 v45, 8, v0
	v_xor_b32_e32 v43, v37, v48
	v_xor_b32_e32 v47, v37, v47
	;; [unrolled: 1-line block ×3, first 2 shown]
	v_mov_b32_e32 v49, 0x400
	v_cmp_eq_u32_e32 vcc, 0, v45
	v_or_b32_e32 v48, 0x440, v43
	v_or_b32_e32 v50, 0x440, v47
	v_xor_b32_e32 v42, 0x440, v37
	v_and_b32_e32 v44, 7, v0
	v_cndmask_b32_e64 v45, v49, 64, vcc
	v_cndmask_b32_e32 v48, v48, v43, vcc
	v_cndmask_b32_e32 v47, v50, v47, vcc
	;; [unrolled: 1-line block ×3, first 2 shown]
	v_lshl_or_b32 v128, v46, 3, v80
	v_lshlrev_b32_e32 v46, 3, v44
	v_or_b32_e32 v48, v48, v41
	v_or_b32_e32 v47, v47, v41
	v_or3_b32 v43, v41, v45, v43
	v_or_b32_e32 v37, v37, v41
	v_lshlrev_b32_e32 v44, 7, v44
	v_xor_b32_e32 v48, v48, v46
	v_xor_b32_e32 v47, v47, v46
	;; [unrolled: 1-line block ×4, first 2 shown]
	v_or_b32_e32 v34, v1, v40
	v_add_u32_e32 v49, v35, v48
	v_add_u32_e32 v50, v35, v47
	v_or_b32_e32 v135, v43, v44
	v_add_u32_e32 v41, v35, v37
	v_or3_b32 v40, v1, v40, 64
	v_add_u32_e32 v42, 0xa000, v48
	v_add_u32_e32 v43, 0xa000, v47
	;; [unrolled: 1-line block ×3, first 2 shown]
	v_lshl_add_u64 v[84:85], v[38:39], 0, v[80:81]
	s_add_i32 s31, s61, 63
	v_lshlrev_b32_e32 v80, 1, v36
	s_movk_i32 s37, 0x2000
	v_lshlrev_b32_e32 v79, 2, v34
	v_add_u32_e32 v136, v49, v44
	v_add_u32_e32 v137, v50, v44
	;; [unrolled: 1-line block ×4, first 2 shown]
	v_lshlrev_b32_e32 v140, 2, v40
	v_add_u32_e32 v141, v42, v44
	v_add_u32_e32 v142, v43, v44
	;; [unrolled: 1-line block ×3, first 2 shown]
	s_waitcnt lgkmcnt(0)
	s_barrier
.LBB156_6:                              ; =>This Inner Loop Header: Depth=1
	s_add_i32 s67, s68, 1
	s_cmp_lt_i32 s67, s52
	s_mov_b64 s[24:25], 0
	s_cselect_b64 s[2:3], -1, 0
	s_cmp_ge_i32 s67, s52
	s_mov_b64 s[20:21], 0
	s_cbranch_scc1 .LBB156_8
; %bb.7:                                ;   in Loop: Header=BB156_6 Depth=1
	s_add_i32 s0, s62, 64
	s_add_u32 s0, s16, s0
	s_addc_u32 s1, s17, 0
	s_lshl_b64 s[0:1], s[0:1], 8
	s_add_u32 s20, s6, s0
	s_addc_u32 s21, s7, s1
.LBB156_8:                              ;   in Loop: Header=BB156_6 Depth=1
	v_cndmask_b32_e64 v34, 0, 1, s[2:3]
	v_cmp_ne_u32_e64 s[0:1], 1, v34
	s_andn2_b64 vcc, exec, s[2:3]
	s_cbranch_vccnz .LBB156_10
; %bb.9:                                ;   in Loop: Header=BB156_6 Depth=1
	s_add_i32 s2, s62, 64
	s_add_u32 s2, s61, s2
	s_addc_u32 s3, s65, 0
	s_mul_i32 s24, s2, s53
	s_mul_hi_u32 s25, s2, s58
	s_add_i32 s24, s25, s24
	s_mul_i32 s3, s3, s58
	s_add_i32 s24, s24, s3
	s_mul_i32 s2, s2, s58
	s_add_u32 s2, s2, s54
	s_addc_u32 s3, s24, s59
	s_lshl_b64 s[2:3], s[2:3], 8
	s_add_u32 s24, s4, s2
	s_addc_u32 s25, s5, s3
.LBB156_10:                             ;   in Loop: Header=BB156_6 Depth=1
	v_perm_b32 v35, v25, v24, s35
	v_perm_b32 v34, v23, v22, s35
	v_perm_b32 v37, v33, v32, s35
	v_perm_b32 v36, v31, v30, s35
	ds_write_b64 v99, v[34:35]
	ds_write_b64 v100, v[36:37]
	ds_write_b64 v102, v[34:35]
	ds_write_b64 v103, v[36:37]
	v_perm_b32 v35, v17, v16, s35
	v_perm_b32 v34, v15, v14, s35
	v_perm_b32 v37, v29, v28, s35
	v_perm_b32 v36, v27, v26, s35
	ds_write_b64 v101, v[34:35]
	ds_write_b64 v104, v[36:37]
	ds_write_b64 v105, v[34:35]
	ds_write_b64 v106, v[36:37]
	;; [unrolled: 8-line block ×4, first 2 shown]
	s_waitcnt lgkmcnt(0)
	s_barrier
	ds_read_b64 v[38:39], v115 offset:49152
	ds_read2_b64 v[34:37], v116 offset1:16
	ds_read_b64 v[50:51], v118 offset:6144
	ds_read_b64 v[52:53], v116 offset:6144
	s_waitcnt lgkmcnt(2)
	v_mfma_f32_16x16x16_bf16 a[0:3], v[38:39], v[34:35], 0
	ds_read_b64 v[54:55], v117 offset:49152
	ds_read2st64_b64 v[42:45], v119 offset0:4 offset1:8
	ds_read2st64_b64 v[46:49], v120 offset0:4 offset1:8
	v_mfma_f32_16x16x16_bf16 a[4:7], v[38:39], v[36:37], 0
	ds_read2_b64 v[34:37], v116 offset0:32 offset1:48
	s_add_i32 s2, s62, 63
	s_mul_i32 s3, s2, s29
	s_waitcnt lgkmcnt(0)
	v_mfma_f32_16x16x16_bf16 a[8:11], v[38:39], v[34:35], 0
	s_mul_hi_u32 s27, s2, s28
	s_add_i32 s3, s27, s3
	s_mul_i32 s2, s2, s28
	v_mfma_f32_16x16x16_bf16 a[12:15], v[38:39], v[36:37], 0
	ds_read2st64_b64 v[34:37], v116 offset0:4 offset1:8
	ds_read2st64_b64 v[38:41], v118 offset0:4 offset1:8
	s_lshl_b64 s[2:3], s[2:3], 2
	s_waitcnt lgkmcnt(1)
	v_mfma_f32_16x16x16_bf16 a[0:3], v[54:55], v[34:35], a[0:3]
	s_add_u32 s2, s42, s2
	s_addc_u32 s3, s43, s3
	s_and_b64 vcc, exec, s[0:1]
	s_waitcnt lgkmcnt(0)
	v_mfma_f32_16x16x16_bf16 a[4:7], v[54:55], v[38:39], a[4:7]
	v_mov_b32_e32 v146, 0
	v_mov_b32_e32 v145, 0
	;; [unrolled: 1-line block ×3, first 2 shown]
	v_mfma_f32_16x16x16_bf16 a[8:11], v[54:55], v[42:43], a[8:11]
	ds_read_b64 v[34:35], v121 offset:49152
	ds_read_b64 v[38:39], v122 offset:49152
	;; [unrolled: 1-line block ×3, first 2 shown]
	v_mfma_f32_16x16x16_bf16 a[12:15], v[54:55], v[46:47], a[12:15]
	v_mov_b32_e32 v46, 0
	v_mov_b32_e32 v47, 0
	s_waitcnt lgkmcnt(2)
	v_mfma_f32_16x16x16_bf16 a[0:3], v[34:35], v[36:37], a[0:3]
	v_mov_b32_e32 v36, 0
	v_mov_b32_e32 v37, 0
	v_mfma_f32_16x16x16_bf16 a[16:19], v[34:35], v[40:41], a[4:7]
	v_mov_b32_e32 v40, 0
	v_mov_b32_e32 v41, 0
	;; [unrolled: 3-line block ×3, first 2 shown]
	v_mfma_f32_16x16x16_bf16 a[24:27], v[34:35], v[48:49], a[12:15]
	ds_read_b64 v[34:35], v119 offset:6144
	v_mov_b32_e32 v48, 0
	v_mov_b32_e32 v49, 0
	s_waitcnt lgkmcnt(2)
	v_mfma_f32_16x16x16_bf16 a[4:7], v[38:39], v[52:53], a[0:3]
	v_mfma_f32_16x16x16_bf16 a[8:11], v[38:39], v[50:51], a[16:19]
	s_waitcnt lgkmcnt(0)
	v_mfma_f32_16x16x16_bf16 a[12:15], v[38:39], v[34:35], a[20:23]
	v_mov_b32_e32 v34, 0
	v_mov_b32_e32 v35, 0
	v_mfma_f32_16x16x16_bf16 a[0:3], v[38:39], v[42:43], a[24:27]
	v_mov_b32_e32 v38, 0
	v_mov_b32_e32 v39, 0
	;; [unrolled: 1-line block ×4, first 2 shown]
	s_cbranch_vccnz .LBB156_12
; %bb.11:                               ;   in Loop: Header=BB156_6 Depth=1
	s_and_b32 s21, s21, 0xffff
	buffer_load_dwordx4 v[46:49], v95, s[20:23], 0 offen
	buffer_load_dwordx4 v[42:45], v95, s[20:23], s60 offen
	;; [unrolled: 1-line block ×4, first 2 shown]
	v_mov_b32_e32 v145, v97
	v_mov_b32_e32 v144, v98
.LBB156_12:                             ;   in Loop: Header=BB156_6 Depth=1
	ds_read_b64 v[66:67], v115 offset:57344
	ds_read2_b64 v[50:53], v123 offset1:16
	ds_read_b64 v[68:69], v117 offset:57344
	ds_read_b64 v[70:71], v121 offset:57344
	;; [unrolled: 1-line block ×3, first 2 shown]
	v_add_u32_e32 v74, s62, v91
	s_waitcnt lgkmcnt(3)
	v_mfma_f32_16x16x16_bf16 a[4:7], v[66:67], v[50:51], a[4:7]
	v_mfma_f32_16x16x16_bf16 a[8:11], v[66:67], v[52:53], a[8:11]
	ds_read2_b64 v[50:53], v123 offset0:32 offset1:48
	ds_read2st64_b64 v[54:57], v123 offset0:4 offset1:8
	ds_read2st64_b64 v[58:61], v124 offset0:4 offset1:8
	;; [unrolled: 1-line block ×3, first 2 shown]
	s_waitcnt lgkmcnt(3)
	v_mfma_f32_16x16x16_bf16 a[12:15], v[66:67], v[50:51], a[12:15]
	v_ashrrev_i32_e32 v50, 31, v74
	v_mfma_f32_16x16x16_bf16 a[0:3], v[66:67], v[52:53], a[0:3]
	v_mul_lo_u32 v52, v50, s28
	v_mul_lo_u32 v53, v74, s29
	v_mad_u64_u32 v[50:51], s[20:21], v74, s28, 0
	v_add3_u32 v51, v51, v53, v52
	v_add_u32_e32 v52, 1, v74
	v_ashrrev_i32_e32 v53, 31, v52
	s_waitcnt lgkmcnt(2)
	v_mfma_f32_16x16x16_bf16 a[4:7], v[68:69], v[54:55], a[4:7]
	v_mul_lo_u32 v54, v53, s28
	v_mul_lo_u32 v55, v52, s29
	v_mad_u64_u32 v[52:53], s[20:21], v52, s28, 0
	v_add3_u32 v53, v53, v55, v54
	v_add_u32_e32 v54, 2, v74
	v_ashrrev_i32_e32 v55, 31, v54
	s_waitcnt lgkmcnt(1)
	v_mfma_f32_16x16x16_bf16 a[8:11], v[68:69], v[58:59], a[8:11]
	v_mul_lo_u32 v58, v55, s28
	v_mul_lo_u32 v59, v54, s29
	v_mad_u64_u32 v[54:55], s[20:21], v54, s28, 0
	v_add3_u32 v55, v55, v59, v58
	v_add_u32_e32 v58, 3, v74
	v_ashrrev_i32_e32 v59, 31, v58
	v_mul_lo_u32 v66, v59, s28
	v_mul_lo_u32 v67, v58, s29
	v_mad_u64_u32 v[58:59], s[20:21], v58, s28, 0
	s_add_u32 s20, s16, s62
	s_addc_u32 s21, s17, 0
	v_lshl_add_u64 v[50:51], v[50:51], 2, s[42:43]
	v_add3_u32 v59, v59, v67, v66
	s_lshl_b64 s[20:21], s[20:21], 8
	v_lshl_add_u64 v[52:53], v[52:53], 2, s[42:43]
	v_lshl_add_u64 v[54:55], v[54:55], 2, s[42:43]
	;; [unrolled: 1-line block ×3, first 2 shown]
	global_load_dword v66, v[50:51], off
	global_load_dword v67, v[52:53], off
	;; [unrolled: 1-line block ×4, first 2 shown]
	v_lshl_add_u64 v[50:51], v[82:83], 0, s[20:21]
	v_lshl_add_u64 v[54:55], v[50:51], 0, v[80:81]
	global_load_ushort v76, v[54:55], off offset:256
	global_load_ushort v147, v[54:55], off
	ds_read2st64_b64 v[50:53], v126 offset0:4 offset1:8
	global_load_ushort v148, v[54:55], off offset:768
	global_load_ushort v149, v[54:55], off offset:512
	s_waitcnt lgkmcnt(1)
	v_mfma_f32_16x16x16_bf16 a[12:15], v[68:69], v[62:63], a[12:15]
	s_and_b64 vcc, exec, s[0:1]
	s_waitcnt vmcnt(3)
	v_lshlrev_b32_e32 v63, 16, v76
	s_waitcnt lgkmcnt(0)
	v_mfma_f32_16x16x16_bf16 a[0:3], v[68:69], v[50:51], a[0:3]
	global_load_ushort v68, v[54:55], off offset:288
	global_load_ushort v69, v[54:55], off offset:32
	;; [unrolled: 1-line block ×8, first 2 shown]
	v_mfma_f32_16x16x16_bf16 a[4:7], v[70:71], v[56:57], a[4:7]
	ds_read_b64 v[50:51], v123 offset:6144
	s_waitcnt vmcnt(10)
	v_lshlrev_b32_e32 v62, 16, v147
	v_mov_b32_e32 v147, 0
	v_mfma_f32_16x16x16_bf16 a[8:11], v[70:71], v[60:61], a[8:11]
	v_mfma_f32_16x16x16_bf16 a[12:15], v[70:71], v[64:65], a[12:15]
	;; [unrolled: 1-line block ×3, first 2 shown]
	global_load_ushort v70, v[54:55], off offset:352
	global_load_ushort v71, v[54:55], off offset:96
	ds_read_b64 v[52:53], v124 offset:6144
	ds_read_b64 v[56:57], v125 offset:6144
	;; [unrolled: 1-line block ×3, first 2 shown]
	global_load_ushort v156, v[54:55], off offset:864
	global_load_ushort v157, v[54:55], off offset:608
	s_load_dword s2, s[2:3], 0x0
	s_waitcnt lgkmcnt(0)
	v_mfma_f32_16x16x16_bf16 a[4:7], v[72:73], v[50:51], a[4:7]
	v_sub_f32_e32 v60, s2, v74
	v_mfma_f32_16x16x16_bf16 a[0:3], v[72:73], v[58:59], a[0:3]
	v_sub_f32_e32 v58, s2, v66
	v_sub_f32_e32 v59, s2, v67
	;; [unrolled: 1-line block ×3, first 2 shown]
	v_mfma_f32_16x16x16_bf16 a[8:11], v[72:73], v[52:53], a[8:11]
	v_exp_f32_e32 v58, v58
	v_exp_f32_e32 v59, v59
	;; [unrolled: 1-line block ×4, first 2 shown]
	v_accvgpr_read_b32 v65, a5
	v_accvgpr_read_b32 v64, a4
	;; [unrolled: 1-line block ×4, first 2 shown]
	v_pk_add_f32 v[62:63], v[62:63], v[64:65] neg_lo:[0,1] neg_hi:[0,1]
	s_waitcnt vmcnt(13)
	v_lshlrev_b32_e32 v65, 16, v148
	s_waitcnt vmcnt(12)
	v_lshlrev_b32_e32 v64, 16, v149
	v_pk_add_f32 v[50:51], v[64:65], v[50:51] neg_lo:[0,1] neg_hi:[0,1]
	v_pk_mul_f32 v[62:63], v[58:59], v[62:63]
	v_pk_mul_f32 v[50:51], v[60:61], v[50:51]
	v_accvgpr_read_b32 v65, a9
	v_perm_b32 v51, v51, v50, s35
	v_perm_b32 v50, v63, v62, s35
	v_accvgpr_read_b32 v64, a8
	v_accvgpr_read_b32 v53, a11
	v_mfma_f32_16x16x16_bf16 a[12:15], v[72:73], v[56:57], a[12:15]
	v_accvgpr_read_b32 v52, a10
	v_accvgpr_read_b32 v57, a3
	v_accvgpr_read_b32 v56, a2
	s_waitcnt vmcnt(11)
	v_lshlrev_b32_e32 v63, 16, v68
	s_waitcnt vmcnt(10)
	v_lshlrev_b32_e32 v62, 16, v69
	v_pk_add_f32 v[62:63], v[62:63], v[64:65] neg_lo:[0,1] neg_hi:[0,1]
	s_waitcnt vmcnt(9)
	v_lshlrev_b32_e32 v65, 16, v150
	s_waitcnt vmcnt(8)
	v_lshlrev_b32_e32 v64, 16, v151
	v_pk_add_f32 v[52:53], v[64:65], v[52:53] neg_lo:[0,1] neg_hi:[0,1]
	v_pk_mul_f32 v[62:63], v[58:59], v[62:63]
	v_pk_mul_f32 v[52:53], v[60:61], v[52:53]
	v_accvgpr_read_b32 v55, a15
	v_perm_b32 v53, v53, v52, s35
	v_perm_b32 v52, v63, v62, s35
	ds_write2_b64 v100, v[50:51], v[52:53] offset1:16
	v_accvgpr_read_b32 v53, a13
	s_waitcnt vmcnt(7)
	v_lshlrev_b32_e32 v51, 16, v152
	s_waitcnt vmcnt(6)
	v_lshlrev_b32_e32 v50, 16, v153
	v_accvgpr_read_b32 v52, a12
	v_accvgpr_read_b32 v54, a14
	v_pk_add_f32 v[50:51], v[50:51], v[52:53] neg_lo:[0,1] neg_hi:[0,1]
	s_waitcnt vmcnt(5)
	v_lshlrev_b32_e32 v53, 16, v154
	s_waitcnt vmcnt(4)
	v_lshlrev_b32_e32 v52, 16, v155
	v_pk_add_f32 v[52:53], v[52:53], v[54:55] neg_lo:[0,1] neg_hi:[0,1]
	v_pk_mul_f32 v[50:51], v[58:59], v[50:51]
	v_pk_mul_f32 v[52:53], v[60:61], v[52:53]
	v_accvgpr_read_b32 v55, a1
	v_perm_b32 v53, v53, v52, s35
	v_perm_b32 v52, v51, v50, s35
	s_waitcnt vmcnt(3)
	v_lshlrev_b32_e32 v51, 16, v70
	s_waitcnt vmcnt(2)
	v_lshlrev_b32_e32 v50, 16, v71
	v_accvgpr_read_b32 v54, a0
	v_pk_add_f32 v[50:51], v[50:51], v[54:55] neg_lo:[0,1] neg_hi:[0,1]
	s_waitcnt vmcnt(1)
	v_lshlrev_b32_e32 v55, 16, v156
	s_waitcnt vmcnt(0)
	v_lshlrev_b32_e32 v54, 16, v157
	v_pk_add_f32 v[54:55], v[54:55], v[56:57] neg_lo:[0,1] neg_hi:[0,1]
	v_pk_mul_f32 v[50:51], v[58:59], v[50:51]
	v_pk_mul_f32 v[54:55], v[60:61], v[54:55]
	v_mov_b32_e32 v56, 0
	v_perm_b32 v55, v55, v54, s35
	v_perm_b32 v54, v51, v50, s35
	ds_write2_b64 v100, v[52:53], v[54:55] offset0:32 offset1:48
	v_mov_b32_e32 v50, 0
	v_mov_b32_e32 v51, 0
	;; [unrolled: 1-line block ×15, first 2 shown]
	s_cbranch_vccnz .LBB156_14
; %bb.13:                               ;   in Loop: Header=BB156_6 Depth=1
	s_and_b32 s25, s25, 0xffff
	s_mov_b32 s27, s23
	buffer_load_dwordx4 v[62:65], v133, s[24:27], 0 offen
	buffer_load_dwordx4 v[54:57], v133, s[24:27], s60 offen
	;; [unrolled: 1-line block ×4, first 2 shown]
	v_mov_b32_e32 v146, v94
	v_mov_b32_e32 v147, v93
.LBB156_14:                             ;   in Loop: Header=BB156_6 Depth=1
	s_waitcnt lgkmcnt(0)
	s_barrier
	ds_read_b64 v[74:75], v136
	ds_read2_b64 v[66:69], v129 offset1:16
	ds_read_b64 v[164:165], v137
	ds_read_b64 v[166:167], v138
	;; [unrolled: 1-line block ×3, first 2 shown]
	ds_read2_b64 v[70:73], v129 offset0:32 offset1:48
	ds_read2st64_b64 v[148:151], v129 offset0:4 offset1:8
	ds_read2st64_b64 v[152:155], v130 offset0:4 offset1:8
	;; [unrolled: 1-line block ×4, first 2 shown]
	s_waitcnt lgkmcnt(8)
	v_mfma_f32_16x16x16_bf16 a[0:3], v[74:75], v[66:67], 0
	s_add_i32 s3, s55, s68
	s_mul_hi_i32 s21, s3, s13
	s_mul_i32 s3, s3, s13
	v_mfma_f32_16x16x16_bf16 a[4:7], v[74:75], v[68:69], 0
	s_add_u32 s20, s3, s48
	s_addc_u32 s21, s21, s49
	s_add_i32 s3, s31, s62
	s_waitcnt lgkmcnt(4)
	v_mfma_f32_16x16x16_bf16 a[8:11], v[74:75], v[70:71], 0
	s_lshl_b64 s[20:21], s[20:21], 15
	s_mul_hi_i32 s25, s3, s13
	s_mul_i32 s3, s3, s13
	v_mfma_f32_16x16x16_bf16 a[12:15], v[74:75], v[72:73], 0
	ds_read_b64 v[74:75], v129 offset:6144
	ds_read_b64 v[176:177], v130 offset:6144
	;; [unrolled: 1-line block ×4, first 2 shown]
	s_add_u32 s24, s3, s48
	s_waitcnt lgkmcnt(7)
	v_mfma_f32_16x16x16_bf16 a[0:3], v[164:165], v[148:149], a[0:3]
	s_addc_u32 s25, s25, s49
	s_lshl_b64 s[24:25], s[24:25], 9
	s_add_u32 s24, s40, s24
	s_waitcnt lgkmcnt(6)
	v_mfma_f32_16x16x16_bf16 a[4:7], v[164:165], v[152:153], a[4:7]
	s_addc_u32 s25, s41, s25
	v_lshl_add_u64 v[186:187], v[84:85], 0, s[20:21]
	s_waitcnt lgkmcnt(5)
	v_mfma_f32_16x16x16_bf16 a[8:11], v[164:165], v[156:157], a[8:11]
	s_waitcnt lgkmcnt(4)
	v_mfma_f32_16x16x16_bf16 a[12:15], v[164:165], v[160:161], a[12:15]
	ds_read_b64 v[164:165], v141
	ds_read_b64 v[174:175], v142
	;; [unrolled: 1-line block ×3, first 2 shown]
	s_waitcnt lgkmcnt(2)
	v_mfma_f32_16x16x16_bf16 a[16:19], v[164:165], v[66:67], 0
	v_mfma_f32_16x16x16_bf16 a[20:23], v[164:165], v[68:69], 0
	global_load_dwordx4 v[66:69], v140, s[24:25]
	v_mfma_f32_16x16x16_bf16 a[24:27], v[164:165], v[70:71], 0
	v_mfma_f32_16x16x16_bf16 a[28:31], v[164:165], v[72:73], 0
	global_load_dwordx4 v[70:73], v79, s[24:25]
	v_mfma_f32_16x16x16_bf16 a[0:3], v[166:167], v[150:151], a[0:3]
	v_mfma_f32_16x16x16_bf16 a[4:7], v[166:167], v[154:155], a[4:7]
	v_mfma_f32_16x16x16_bf16 a[8:11], v[166:167], v[158:159], a[8:11]
	v_mfma_f32_16x16x16_bf16 a[12:15], v[166:167], v[162:163], a[12:15]
	v_mfma_f32_16x16x16_bf16 a[0:3], v[168:169], v[74:75], a[0:3]
	v_mfma_f32_16x16x16_bf16 a[4:7], v[168:169], v[176:177], a[4:7]
	v_mfma_f32_16x16x16_bf16 a[8:11], v[168:169], v[178:179], a[8:11]
	v_mfma_f32_16x16x16_bf16 a[12:15], v[168:169], v[180:181], a[12:15]
	ds_read2st64_b64 v[164:167], v127 offset1:8
	ds_read2st64_b64 v[168:171], v128 offset1:8
	ds_read_b64 v[184:185], v135 offset:40960
	s_waitcnt lgkmcnt(2)
	v_mov_b32_e32 v172, v164
	v_mfma_f32_16x16x16_bf16 a[16:19], v[174:175], v[148:149], a[16:19]
	v_mov_b32_e32 v173, v165
	v_mfma_f32_16x16x16_bf16 a[20:23], v[174:175], v[152:153], a[20:23]
	v_mfma_f32_16x16x16_bf16 a[24:27], v[174:175], v[156:157], a[24:27]
	;; [unrolled: 1-line block ×3, first 2 shown]
	v_add_co_u32_e32 v160, vcc, s37, v186
	s_waitcnt lgkmcnt(1)
	v_mov_b32_e32 v174, v168
	s_waitcnt lgkmcnt(0)
	v_mfma_f32_16x16x16_bf16 a[16:19], v[184:185], v[150:151], a[16:19]
	ds_read2st64_b64 v[148:151], v127 offset0:16 offset1:24
	v_addc_co_u32_e32 v161, vcc, 0, v187, vcc
	v_mfma_f32_16x16x16_bf16 a[20:23], v[184:185], v[154:155], a[20:23]
	ds_read2st64_b64 v[152:155], v128 offset0:16 offset1:24
	v_mov_b32_e32 v175, v169
	v_mov_b32_e32 v168, v166
	v_mfma_f32_16x16x16_bf16 a[32:35], v[184:185], v[158:159], a[24:27]
	v_mov_b32_e32 v169, v167
	s_waitcnt lgkmcnt(0)
	v_mov_b32_e32 v158, v152
	v_mov_b32_e32 v159, v153
	v_mfma_f32_16x16x16_bf16 a[36:39], v[184:185], v[162:163], a[28:31]
	v_mov_b32_e32 v152, v150
	v_mov_b32_e32 v153, v151
	;; [unrolled: 1-line block ×3, first 2 shown]
	v_mfma_f32_16x16x16_bf16 a[24:27], v[182:183], v[74:75], a[16:19]
	v_add_co_u32_e32 v74, vcc, s66, v186
	v_mov_b32_e32 v157, v149
	v_mfma_f32_16x16x16_bf16 a[28:31], v[182:183], v[176:177], a[20:23]
	v_addc_co_u32_e32 v75, vcc, 0, v187, vcc
	global_store_dwordx4 v[74:75], v[152:155], off
	v_mfma_f32_16x16x16_bf16 a[16:19], v[182:183], v[178:179], a[32:35]
	s_waitcnt vmcnt(2)
	v_mov_b32_e32 v76, v69
	v_mov_b32_e32 v75, v68
	;; [unrolled: 1-line block ×3, first 2 shown]
	v_mfma_f32_16x16x16_bf16 a[20:23], v[182:183], v[180:181], a[36:39]
	s_and_b64 vcc, exec, s[0:1]
	global_store_dwordx4 v[186:187], v[172:175], off
	global_store_dwordx4 v[160:161], v[168:171], off offset:-4096
	global_store_dwordx4 v[160:161], v[156:159], off
	s_cbranch_vccnz .LBB156_16
; %bb.15:                               ;   in Loop: Header=BB156_6 Depth=1
	v_lshrrev_b32_e32 v67, 3, v146
	v_and_b32_e32 v67, 6, v67
	v_xor_b32_e32 v68, v67, v147
	v_lshlrev_b32_e32 v68, 2, v68
	v_and_b32_e32 v69, 8, v146
	v_xor_b32_e32 v146, 0x440, v68
	v_cmp_eq_u32_e32 vcc, 0, v69
	v_perm_b32 v69, v54, v50, s63
	s_nop 0
	v_cndmask_b32_e32 v68, v146, v68, vcc
	v_lshl_or_b32 v67, v67, 10, v68
	v_perm_b32 v68, v62, v58, s63
	s_barrier
	ds_write2st64_b32 v67, v68, v69 offset0:128 offset1:160
	v_xor_b32_e32 v68, 8, v67
	v_perm_b32 v58, v62, v58, s64
	v_perm_b32 v50, v54, v50, s64
	v_add_u32_e32 v54, 0x80, v68
	ds_write2st64_b32 v54, v58, v50 offset0:128 offset1:160
	v_xor_b32_e32 v50, 16, v67
	v_perm_b32 v54, v63, v59, s63
	v_perm_b32 v58, v55, v51, s63
	ds_write2st64_b32 v50, v54, v58 offset0:129 offset1:161
	v_xor_b32_e32 v50, 24, v67
	v_perm_b32 v54, v63, v59, s64
	v_perm_b32 v51, v55, v51, s64
	v_add_u32_e32 v50, 0x80, v50
	ds_write2st64_b32 v50, v54, v51 offset0:129 offset1:161
	v_xor_b32_e32 v50, 32, v67
	v_perm_b32 v51, v64, v60, s63
	v_perm_b32 v54, v56, v52, s63
	;; [unrolled: 9-line block ×3, first 2 shown]
	ds_write2st64_b32 v50, v51, v52 offset0:131 offset1:163
	v_xor_b32_e32 v50, 56, v67
	v_perm_b32 v51, v65, v61, s64
	v_perm_b32 v52, v57, v53, s64
	v_add_u32_e32 v50, 0x80, v50
	ds_write2st64_b32 v50, v51, v52 offset0:131 offset1:163
	ds_write_b64 v145, v[46:47] offset:49152
	v_xor_b32_e32 v46, 8, v145
	ds_write_b64 v46, v[48:49] offset:49152
	ds_write_b64 v145, v[42:43] offset:57344
	;; [unrolled: 1-line block ×4, first 2 shown]
	v_xor_b32_e32 v38, 8, v144
	ds_write_b64 v38, v[40:41] offset:49152
	ds_write_b64 v144, v[34:35] offset:57344
	ds_write_b64 v38, v[36:37] offset:57344
.LBB156_16:                             ;   in Loop: Header=BB156_6 Depth=1
	v_exp_f32_e32 v68, s2
	s_waitcnt vmcnt(4)
	v_exp_f32_e32 v70, v70
	v_exp_f32_e32 v71, v71
	;; [unrolled: 1-line block ×4, first 2 shown]
	v_accvgpr_read_b32 v37, a3
	v_accvgpr_read_b32 v36, a2
	v_accvgpr_read_b32 v35, a1
	v_accvgpr_read_b32 v34, a0
	v_pk_mul_f32 v[70:71], v[68:69], v[70:71] op_sel_hi:[0,1]
	v_pk_mul_f32 v[72:73], v[68:69], v[72:73] op_sel_hi:[0,1]
	v_pk_fma_f32 v[22:23], v[22:23], v[70:71], v[34:35]
	v_pk_fma_f32 v[24:25], v[24:25], v[72:73], v[36:37]
	v_exp_f32_e32 v34, v66
	v_exp_f32_e32 v35, v74
	;; [unrolled: 1-line block ×4, first 2 shown]
	v_accvgpr_read_b32 v41, a7
	v_accvgpr_read_b32 v45, a11
	;; [unrolled: 1-line block ×28, first 2 shown]
	v_pk_mul_f32 v[34:35], v[68:69], v[34:35] op_sel_hi:[0,1]
	v_pk_mul_f32 v[36:37], v[68:69], v[36:37] op_sel_hi:[0,1]
	s_add_i32 s62, s62, 64
	v_pk_fma_f32 v[14:15], v[70:71], v[14:15], v[38:39]
	v_pk_fma_f32 v[16:17], v[72:73], v[16:17], v[40:41]
	;; [unrolled: 1-line block ×13, first 2 shown]
	s_cmp_eq_u32 s52, s67
	v_pk_fma_f32 v[12:13], v[36:37], v[12:13], v[64:65]
	s_cbranch_scc1 .LBB156_18
; %bb.17:                               ;   in Loop: Header=BB156_6 Depth=1
	s_mov_b32 s68, s67
	s_branch .LBB156_6
.LBB156_18:
	s_lshl_b32 s26, s52, 6
	s_sub_i32 s27, s12, s26
	s_cmp_gt_i32 s27, 0
	s_cbranch_scc0 .LBB156_99
; %bb.19:
	s_ashr_i32 s2, s26, 31
	s_cmpk_lg_i32 s15, 0x80
	s_cselect_b64 s[22:23], -1, 0
	s_and_b64 vcc, exec, s[22:23]
	s_cbranch_vccz .LBB156_21
; %bb.20:
	s_mul_i32 s1, s51, s12
	s_mul_hi_i32 s0, s51, s12
	s_add_u32 s1, s1, s26
	s_addc_u32 s0, s0, s2
	s_mul_i32 s3, s1, s53
	s_mul_hi_u32 s17, s1, s14
	s_add_i32 s3, s17, s3
	s_mul_i32 s0, s0, s14
	s_add_i32 s3, s3, s0
	s_mul_i32 s1, s1, s14
	s_ashr_i32 s0, s54, 31
	s_add_u32 s24, s1, s54
	s_addc_u32 s25, s3, s0
	s_cbranch_execz .LBB156_22
	s_branch .LBB156_23
.LBB156_21:
                                        ; implicit-def: $sgpr24_sgpr25
.LBB156_22:
	s_mul_hi_i32 s0, s51, s14
	s_mul_i32 s51, s51, s14
	s_ashr_i32 s1, s54, 31
	s_add_u32 s3, s51, s54
	s_addc_u32 s0, s0, s1
	s_mul_i32 s1, s3, s50
	s_mul_hi_u32 s14, s3, s12
	s_add_i32 s1, s14, s1
	s_mul_i32 s0, s0, s12
	s_add_i32 s1, s1, s0
	s_mul_i32 s3, s3, s12
	s_add_u32 s24, s3, s26
	s_addc_u32 s25, s1, s2
.LBB156_23:
	s_mul_i32 s0, s38, s50
	s_add_i32 s0, s57, s0
	s_add_i32 s3, s55, s52
	;; [unrolled: 1-line block ×3, first 2 shown]
	s_add_u32 s0, s16, s26
	s_addc_u32 s1, s1, s2
	v_lshlrev_b32_e32 v35, 6, v91
	v_lshlrev_b32_e32 v34, 2, v88
	s_mov_b32 s2, 0x7060302
	s_waitcnt vmcnt(7)
	v_perm_b32 v25, v25, v24, s2
	v_perm_b32 v24, v23, v22, s2
	s_waitcnt vmcnt(6)
	v_perm_b32 v22, v31, v30, s2
	v_or_b32_e32 v30, v35, v34
	v_xor_b32_e32 v36, v91, v34
	v_perm_b32 v23, v33, v32, s2
	v_lshlrev_b32_e32 v30, 1, v30
	ds_write2st64_b64 v30, v[24:25], v[22:23] offset0:32 offset1:48
	v_lshlrev_b32_e32 v30, 1, v36
	v_lshlrev_b32_e32 v31, 8, v88
	v_xor_b32_e32 v37, v92, v34
	v_or_b32_e32 v32, v30, v31
	ds_write_b64 v32, v[24:25]
	v_lshlrev_b32_e32 v24, 1, v37
	v_or_b32_e32 v25, v24, v31
	ds_write_b64 v25, v[22:23]
	v_or_b32_e32 v22, 16, v88
	v_lshlrev_b32_e32 v23, 2, v22
	v_or_b32_e32 v25, v35, v23
	s_waitcnt vmcnt(5)
	v_perm_b32 v17, v17, v16, s2
	v_perm_b32 v16, v15, v14, s2
	s_waitcnt vmcnt(4)
	v_perm_b32 v15, v29, v28, s2
	v_perm_b32 v14, v27, v26, s2
	v_lshlrev_b32_e32 v25, 1, v25
	v_lshlrev_b32_e32 v22, 8, v22
	ds_write2st64_b64 v25, v[16:17], v[14:15] offset0:32 offset1:48
	v_or_b32_e32 v25, v30, v22
	ds_write_b64 v25, v[16:17]
	v_or_b32_e32 v16, v24, v22
	ds_write_b64 v16, v[14:15]
	v_or_b32_e32 v14, 32, v88
	v_lshlrev_b32_e32 v22, 2, v14
	v_or_b32_e32 v15, v35, v22
	s_waitcnt vmcnt(3)
	v_perm_b32 v9, v9, v8, s2
	v_perm_b32 v8, v7, v6, s2
	s_waitcnt vmcnt(2)
	v_perm_b32 v7, v21, v20, s2
	v_perm_b32 v6, v19, v18, s2
	v_lshlrev_b32_e32 v15, 1, v15
	v_lshlrev_b32_e32 v14, 8, v14
	s_lshl_b64 s[20:21], s[0:1], 8
	ds_write2st64_b64 v15, v[8:9], v[6:7] offset0:32 offset1:48
	v_or_b32_e32 v15, v30, v14
	s_add_u32 s0, s6, s20
	ds_write_b64 v15, v[8:9]
	v_or_b32_e32 v8, v24, v14
	s_addc_u32 s1, s7, s21
	ds_write_b64 v8, v[6:7]
	v_or_b32_e32 v6, 48, v88
	s_mul_hi_i32 s6, s3, s13
	s_mul_i32 s3, s3, s13
	s_waitcnt vmcnt(1)
	v_perm_b32 v5, v5, v4, s2
	v_perm_b32 v4, v3, v2, s2
	s_waitcnt vmcnt(0)
	v_perm_b32 v3, v13, v12, s2
	v_perm_b32 v2, v11, v10, s2
	v_lshlrev_b32_e32 v19, 2, v6
	s_add_u32 s2, s3, s48
	v_or_b32_e32 v7, v35, v19
	s_addc_u32 s3, s6, s49
	v_lshlrev_b32_e32 v7, 1, v7
	v_lshlrev_b32_e32 v6, 8, v6
	s_ashr_i32 s37, s36, 31
	s_lshl_b64 s[2:3], s[2:3], 15
	ds_write2st64_b64 v7, v[4:5], v[2:3] offset0:32 offset1:48
	v_or_b32_e32 v7, v30, v6
	s_add_u32 s6, s18, s2
	ds_write_b64 v7, v[4:5]
	v_or_b32_e32 v4, v24, v6
	s_addc_u32 s7, s19, s3
	s_lshl_b64 s[2:3], s[36:37], 8
	ds_write_b64 v4, v[2:3]
	s_add_u32 s2, s6, s2
	v_lshlrev_b32_e32 v3, 1, v88
	v_lshrrev_b32_e32 v2, 4, v0
	s_addc_u32 s3, s7, s3
	v_or_b32_e32 v4, 1, v3
	v_lshlrev_b32_e32 v10, 4, v88
	v_mov_b32_e32 v11, 0
	v_xor_b32_e32 v3, v2, v3
	v_xor_b32_e32 v6, v4, v2
	v_lshl_add_u64 v[12:13], s[2:3], 0, v[10:11]
	v_lshlrev_b32_e32 v10, 8, v2
	v_lshl_or_b32 v16, v3, 3, v10
	v_lshl_or_b32 v17, v6, 3, v10
	s_waitcnt lgkmcnt(0)
	s_barrier
	ds_read2st64_b64 v[2:5], v16 offset1:8
	ds_read2st64_b64 v[6:9], v17 offset1:8
	v_lshl_add_u64 v[14:15], v[12:13], 0, v[10:11]
	s_movk_i32 s2, 0x2000
	s_cmp_lg_u32 s27, 64
	s_waitcnt lgkmcnt(1)
	v_mov_b32_e32 v10, v2
	v_mov_b32_e32 v11, v3
	s_waitcnt lgkmcnt(0)
	v_mov_b32_e32 v12, v6
	v_mov_b32_e32 v13, v7
	global_store_dwordx4 v[14:15], v[10:13], off
	v_mov_b32_e32 v6, v4
	v_mov_b32_e32 v7, v5
	ds_read2st64_b64 v[2:5], v16 offset0:16 offset1:24
	ds_read2st64_b64 v[10:13], v17 offset0:16 offset1:24
	v_add_co_u32_e32 v16, vcc, s2, v14
	s_cselect_b64 s[6:7], -1, 0
	s_nop 0
	v_addc_co_u32_e32 v17, vcc, 0, v15, vcc
	global_store_dwordx4 v[16:17], v[6:9], off offset:-4096
	v_lshl_or_b32 v24, v86, 3, v90
	s_mov_b32 s16, 0
	s_waitcnt lgkmcnt(1)
	v_mov_b32_e32 v6, v2
	v_add_co_u32_e32 v2, vcc, 0x3000, v14
	v_mov_b32_e32 v7, v3
	s_nop 0
	v_addc_co_u32_e32 v3, vcc, 0, v15, vcc
	s_waitcnt lgkmcnt(0)
	v_mov_b32_e32 v8, v10
	v_mov_b32_e32 v9, v11
	;; [unrolled: 1-line block ×4, first 2 shown]
	v_or_b32_e32 v20, 32, v24
	v_and_b32_e32 v18, 56, v89
	s_and_b64 vcc, exec, s[6:7]
	global_store_dwordx4 v[16:17], v[6:9], off
	global_store_dwordx4 v[2:3], v[10:13], off
	s_cbranch_vccz .LBB156_29
; %bb.24:
	s_mov_b32 s17, s16
	s_mov_b32 s18, s16
	;; [unrolled: 1-line block ×3, first 2 shown]
	v_mov_b64_e32 v[6:7], s[16:17]
	v_mov_b64_e32 v[8:9], s[18:19]
	;; [unrolled: 1-line block ×3, first 2 shown]
	v_cmp_gt_i32_e32 vcc, s27, v24
	v_mov_b64_e32 v[4:5], v[8:9]
	s_and_saveexec_b64 s[2:3], vcc
	s_cbranch_execz .LBB156_26
; %bb.25:
	v_lshlrev_b32_e32 v2, 8, v24
	v_mov_b32_e32 v3, 0
	v_lshl_add_u64 v[4:5], s[0:1], 0, v[2:3]
	v_lshlrev_b32_e32 v2, 1, v18
	v_lshl_add_u64 v[10:11], v[4:5], 0, v[2:3]
	global_load_dwordx4 v[6:9], v[10:11], off
	global_load_dwordx4 v[2:5], v[10:11], off offset:128
.LBB156_26:
	s_or_b64 exec, exec, s[2:3]
	s_mov_b32 s17, s16
	s_mov_b32 s18, s16
	s_mov_b32 s19, s16
	v_mov_b64_e32 v[14:15], s[16:17]
	v_mov_b64_e32 v[16:17], s[18:19]
	;; [unrolled: 1-line block ×3, first 2 shown]
	v_cmp_gt_i32_e32 vcc, s27, v20
	v_lshlrev_b32_e32 v21, 7, v20
	v_mov_b64_e32 v[12:13], v[16:17]
	s_and_saveexec_b64 s[2:3], vcc
	s_cbranch_execz .LBB156_28
; %bb.27:
	v_lshlrev_b32_e32 v10, 1, v21
	v_mov_b32_e32 v11, 0
	v_lshl_add_u64 v[12:13], s[0:1], 0, v[10:11]
	v_lshlrev_b32_e32 v10, 1, v18
	v_lshl_add_u64 v[26:27], v[12:13], 0, v[10:11]
	global_load_dwordx4 v[14:17], v[26:27], off
	global_load_dwordx4 v[10:13], v[26:27], off offset:128
.LBB156_28:
	s_or_b64 exec, exec, s[2:3]
	v_lshrrev_b32_e32 v25, 3, v18
	v_lshlrev_b32_e32 v26, 3, v24
	v_or_b32_e32 v25, v26, v25
	v_lshlrev_b32_e32 v25, 4, v25
	v_and_b32_e32 v26, 0x78, v26
	v_xor_b32_e32 v25, v25, v26
	s_branch .LBB156_31
.LBB156_29:
                                        ; implicit-def: $vgpr25
                                        ; implicit-def: $vgpr21
                                        ; implicit-def: $vgpr6_vgpr7_vgpr8_vgpr9
                                        ; implicit-def: $vgpr2_vgpr3_vgpr4_vgpr5
                                        ; implicit-def: $vgpr14_vgpr15_vgpr16_vgpr17
                                        ; implicit-def: $vgpr10_vgpr11_vgpr12_vgpr13
	s_cbranch_execz .LBB156_31
; %bb.30:
	s_waitcnt vmcnt(0)
	v_lshlrev_b32_e32 v2, 1, v18
	v_lshl_or_b32 v21, v24, 8, v2
	s_and_b32 s1, s1, 0xffff
	s_mov_b32 s3, 0x20000
	s_movk_i32 s2, 0x4000
	v_lshl_or_b32 v25, v20, 8, v2
	s_movk_i32 s13, 0x80
	buffer_load_dwordx4 v[6:9], v21, s[0:3], 0 offen
	buffer_load_dwordx4 v[2:5], v21, s[0:3], s13 offen
	buffer_load_dwordx4 v[14:17], v25, s[0:3], 0 offen
	buffer_load_dwordx4 v[10:13], v25, s[0:3], s13 offen
	v_lshrrev_b32_e32 v21, 3, v18
	v_lshlrev_b32_e32 v25, 3, v24
	v_or_b32_e32 v21, v25, v21
	v_lshlrev_b32_e32 v21, 4, v21
	v_and_b32_e32 v25, 0x78, v25
	v_xor_b32_e32 v25, v21, v25
	v_lshlrev_b32_e32 v21, 7, v20
.LBB156_31:
	s_movk_i32 s0, 0x1000
	v_and_or_b32 v20, v21, s0, v25
	s_waitcnt vmcnt(1)
	ds_write_b64 v25, v[6:7] offset:49152
	v_xor_b32_e32 v6, 8, v25
	ds_write_b64 v6, v[8:9] offset:49152
	s_waitcnt vmcnt(0)
	ds_write_b64 v25, v[2:3] offset:57344
	ds_write_b64 v6, v[4:5] offset:57344
	;; [unrolled: 1-line block ×3, first 2 shown]
	v_xor_b32_e32 v2, 8, v20
	ds_write_b64 v2, v[16:17] offset:49152
	ds_write_b64 v20, v[10:11] offset:57344
	;; [unrolled: 1-line block ×3, first 2 shown]
	v_or_b32_e32 v2, v1, v88
	v_lshlrev_b32_e32 v3, 11, v86
	v_lshlrev_b32_e32 v2, 3, v2
	v_and_b32_e32 v6, 0x1000, v3
	v_lshrrev_b32_e32 v3, 5, v77
	s_movk_i32 s0, 0xf8
	v_and_or_b32 v3, v2, s0, v3
	v_lshlrev_b32_e32 v7, 4, v3
	v_and_b32_e32 v8, 0x78, v2
	v_or_b32_e32 v10, 32, v7
	v_lshrrev_b32_e32 v3, 1, v77
	v_xor_b32_e32 v10, v10, v8
	v_xor_b32_e32 v2, v7, v8
	v_and_b32_e32 v9, 8, v3
	v_or_b32_e32 v10, v10, v6
	v_or_b32_e32 v2, v2, v6
	v_xor_b32_e32 v27, v10, v9
	v_or_b32_e32 v10, 64, v7
	v_xor_b32_e32 v26, v2, v9
	v_xor_b32_e32 v10, v10, v8
	s_waitcnt lgkmcnt(0)
	s_barrier
	v_or_b32_e32 v13, v10, v6
	ds_read_b64 v[10:11], v26 offset:49152
	v_lshl_or_b32 v14, v87, 8, v34
	v_lshlrev_b32_e32 v25, 1, v14
	v_add_u32_e32 v12, 0x4000, v25
	ds_read2_b64 v[2:5], v12 offset1:16
	v_or_b32_e32 v7, 0x60, v7
	v_xor_b32_e32 v7, v7, v8
	v_or_b32_e32 v6, v7, v6
	v_xor_b32_e32 v28, v13, v9
	v_xor_b32_e32 v29, v6, v9
	ds_read_b64 v[20:21], v27 offset:49152
	ds_read_b64 v[36:37], v28 offset:49152
	;; [unrolled: 1-line block ×3, first 2 shown]
	s_waitcnt lgkmcnt(3)
	v_mfma_f32_16x16x16_bf16 a[0:3], v[10:11], v[2:3], 0
	ds_read2st64_b64 v[6:9], v25 offset0:36 offset1:40
	s_lshl_b64 s[0:1], s[24:25], 8
	s_add_u32 s4, s4, s0
	v_mfma_f32_16x16x16_bf16 a[4:7], v[10:11], v[4:5], 0
	ds_read2_b64 v[2:5], v12 offset0:32 offset1:48
	s_addc_u32 s5, s5, s1
	s_add_i32 s1, s44, s33
	s_waitcnt lgkmcnt(0)
	v_mfma_f32_16x16x16_bf16 a[8:11], v[10:11], v[2:3], 0
	v_or_b32_e32 v2, 64, v14
	v_lshlrev_b32_e32 v30, 1, v2
	s_add_i32 s0, s12, -1
	v_mfma_f32_16x16x16_bf16 a[12:15], v[10:11], v[4:5], 0
	ds_read2st64_b64 v[2:5], v30 offset0:36 offset1:40
	s_add_i32 s35, s1, s39
	s_add_i32 s1, s46, s45
	v_mfma_f32_16x16x16_bf16 a[0:3], v[20:21], v[6:7], a[0:3]
	v_or_b32_e32 v6, 0x80, v14
	v_lshlrev_b32_e32 v31, 1, v6
	ds_read2st64_b64 v[10:13], v31 offset0:36 offset1:40
	s_waitcnt lgkmcnt(1)
	v_mfma_f32_16x16x16_bf16 a[4:7], v[20:21], v[2:3], a[4:7]
	v_or_b32_e32 v2, 0xc0, v14
	v_lshlrev_b32_e32 v32, 1, v2
	ds_read2st64_b64 v[14:17], v32 offset0:36 offset1:40
	s_add_i32 s31, s1, s47
	s_ashr_i32 s1, s0, 31
	s_mul_i32 s2, s0, s29
	s_mul_hi_u32 s3, s0, s28
	s_add_i32 s2, s3, s2
	s_mul_i32 s1, s1, s28
	s_waitcnt lgkmcnt(1)
	v_mfma_f32_16x16x16_bf16 a[8:11], v[20:21], v[10:11], a[8:11]
	s_add_i32 s1, s2, s1
	s_lshl_b64 s[2:3], s[34:35], 2
	s_add_u32 s10, s10, s2
	s_waitcnt lgkmcnt(0)
	v_mfma_f32_16x16x16_bf16 a[12:15], v[20:21], v[14:15], a[12:15]
	s_addc_u32 s11, s11, s3
	s_lshl_b64 s[2:3], s[30:31], 2
	s_mul_i32 s0, s0, s28
	v_mfma_f32_16x16x16_bf16 a[0:3], v[36:37], v[8:9], a[0:3]
	ds_read_b64 v[2:3], v25 offset:22528
	s_add_u32 s10, s10, s2
	s_addc_u32 s11, s11, s3
	v_mfma_f32_16x16x16_bf16 a[4:7], v[36:37], v[4:5], a[4:7]
	ds_read_b64 v[4:5], v30 offset:22528
	ds_read_b64 v[6:7], v31 offset:22528
	;; [unrolled: 1-line block ×3, first 2 shown]
	s_lshl_b64 s[0:1], s[0:1], 2
	s_add_u32 s0, s10, s0
	v_mfma_f32_16x16x16_bf16 a[8:11], v[36:37], v[12:13], a[8:11]
	s_addc_u32 s1, s11, s1
	s_load_dword s12, s[0:1], 0x0
	s_and_b64 vcc, exec, s[22:23]
	v_mfma_f32_16x16x16_bf16 a[12:15], v[36:37], v[16:17], a[12:15]
	s_waitcnt lgkmcnt(0)
	v_mfma_f32_16x16x16_bf16 a[0:3], v[38:39], v[2:3], a[0:3]
	v_mfma_f32_16x16x16_bf16 a[4:7], v[38:39], v[4:5], a[4:7]
	;; [unrolled: 1-line block ×4, first 2 shown]
	s_cbranch_vccz .LBB156_42
; %bb.32:
	v_lshlrev_b32_e32 v20, 1, v24
	s_and_b64 vcc, exec, s[6:7]
	s_cbranch_vccz .LBB156_43
; %bb.33:
	v_cmp_gt_i32_e32 vcc, s27, v20
	v_mov_b32_e32 v6, 0
	v_mov_b32_e32 v2, 0
	;; [unrolled: 1-line block ×5, first 2 shown]
	s_and_saveexec_b64 s[0:1], vcc
	s_cbranch_execz .LBB156_35
; %bb.34:
	v_mad_i64_i32 v[2:3], s[2:3], s15, v20, 0
	v_lshl_add_u64 v[2:3], v[2:3], 1, s[4:5]
	v_lshlrev_b32_e32 v4, 1, v18
	v_mov_b32_e32 v5, 0
	v_lshl_add_u64 v[2:3], v[2:3], 0, v[4:5]
	global_load_dwordx4 v[2:5], v[2:3], off
.LBB156_35:
	s_or_b64 exec, exec, s[0:1]
	v_or_b32_e32 v21, 1, v20
	v_cmp_gt_i32_e64 s[0:1], s27, v21
	v_mov_b32_e32 v7, 0
	v_mov_b32_e32 v8, 0
	;; [unrolled: 1-line block ×3, first 2 shown]
	s_and_saveexec_b64 s[2:3], s[0:1]
	s_cbranch_execz .LBB156_37
; %bb.36:
	v_mad_i64_i32 v[6:7], s[16:17], s15, v21, 0
	v_lshl_add_u64 v[6:7], v[6:7], 1, s[4:5]
	v_lshlrev_b32_e32 v8, 1, v18
	v_mov_b32_e32 v9, 0
	v_lshl_add_u64 v[6:7], v[6:7], 0, v[8:9]
	global_load_dwordx4 v[6:9], v[6:7], off
.LBB156_37:
	s_or_b64 exec, exec, s[2:3]
	v_mov_b32_e32 v17, 0
	v_mov_b32_e32 v10, 0
	;; [unrolled: 1-line block ×5, first 2 shown]
	s_and_saveexec_b64 s[2:3], vcc
	s_cbranch_execz .LBB156_39
; %bb.38:
	v_mad_i64_i32 v[10:11], s[16:17], s15, v20, 0
	v_lshl_add_u64 v[10:11], v[10:11], 1, s[4:5]
	v_lshlrev_b32_e32 v12, 1, v18
	v_mov_b32_e32 v13, 0
	v_lshl_add_u64 v[10:11], v[10:11], 0, v[12:13]
	global_load_dwordx4 v[10:13], v[10:11], off offset:128
.LBB156_39:
	s_or_b64 exec, exec, s[2:3]
	v_mov_b32_e32 v16, 0
	v_mov_b32_e32 v15, 0
	;; [unrolled: 1-line block ×3, first 2 shown]
	s_and_saveexec_b64 s[2:3], s[0:1]
	s_cbranch_execz .LBB156_41
; %bb.40:
	v_mad_i64_i32 v[14:15], s[0:1], s15, v21, 0
	v_lshl_add_u64 v[14:15], v[14:15], 1, s[4:5]
	v_lshlrev_b32_e32 v16, 1, v18
	v_mov_b32_e32 v17, 0
	v_lshl_add_u64 v[14:15], v[14:15], 0, v[16:17]
	global_load_dwordx4 v[14:17], v[14:15], off offset:128
.LBB156_41:
	s_or_b64 exec, exec, s[2:3]
	s_branch .LBB156_45
.LBB156_42:
                                        ; implicit-def: $vgpr5
                                        ; implicit-def: $vgpr9
                                        ; implicit-def: $vgpr13
                                        ; implicit-def: $vgpr17
	v_lshrrev_b32_e32 v33, 2, v77
	s_branch .LBB156_46
.LBB156_43:
                                        ; implicit-def: $vgpr5
                                        ; implicit-def: $vgpr9
                                        ; implicit-def: $vgpr13
                                        ; implicit-def: $vgpr17
	s_cbranch_execz .LBB156_45
; %bb.44:
	s_waitcnt vmcnt(0)
	v_mad_u64_u32 v[2:3], s[0:1], v20, s15, v[18:19]
	v_lshlrev_b32_e32 v20, 1, v2
	s_lshl_b32 s2, s15, 7
	s_and_b32 s1, s5, 0xffff
	s_mov_b32 s3, 0x20000
	s_mov_b32 s0, s4
	v_add_lshl_u32 v21, v2, s15, 1
	s_movk_i32 s13, 0x80
	buffer_load_dwordx4 v[2:5], v20, s[0:3], 0 offen
	buffer_load_dwordx4 v[10:13], v20, s[0:3], s13 offen
	;; [unrolled: 1-line block ×4, first 2 shown]
.LBB156_45:
	v_lshrrev_b32_e32 v33, 2, v77
	s_cbranch_execnz .LBB156_58
.LBB156_46:
	s_and_b64 vcc, exec, s[6:7]
	s_cbranch_vccz .LBB156_56
; %bb.47:
	s_waitcnt vmcnt(0)
	v_lshlrev_b32_e32 v7, 1, v24
	v_cmp_gt_i32_e32 vcc, s27, v7
	v_mov_b32_e32 v6, 0
	v_lshlrev_b32_e32 v14, 9, v24
	v_mov_b32_e32 v2, 0
	v_mov_b32_e32 v3, 0
	;; [unrolled: 1-line block ×4, first 2 shown]
	s_and_saveexec_b64 s[0:1], vcc
	s_cbranch_execz .LBB156_49
; %bb.48:
	v_mov_b32_e32 v15, 0
	v_lshl_add_u64 v[2:3], s[4:5], 0, v[14:15]
	v_lshlrev_b32_e32 v4, 1, v18
	v_mov_b32_e32 v5, v15
	v_lshl_add_u64 v[2:3], v[2:3], 0, v[4:5]
	global_load_dwordx4 v[2:5], v[2:3], off
.LBB156_49:
	s_or_b64 exec, exec, s[0:1]
	v_or_b32_e32 v7, 1, v7
	v_cmp_gt_i32_e64 s[0:1], s27, v7
	v_lshlrev_b32_e32 v20, 8, v7
	v_mov_b32_e32 v7, 0
	v_mov_b32_e32 v8, 0
	;; [unrolled: 1-line block ×3, first 2 shown]
	s_and_saveexec_b64 s[2:3], s[0:1]
	s_cbranch_execz .LBB156_51
; %bb.50:
	v_mov_b32_e32 v21, 0
	v_lshl_add_u64 v[6:7], s[4:5], 0, v[20:21]
	v_lshlrev_b32_e32 v8, 1, v18
	v_mov_b32_e32 v9, v21
	v_lshl_add_u64 v[6:7], v[6:7], 0, v[8:9]
	global_load_dwordx4 v[6:9], v[6:7], off
.LBB156_51:
	s_or_b64 exec, exec, s[2:3]
	v_mov_b32_e32 v17, 0
	v_mov_b32_e32 v10, 0
	;; [unrolled: 1-line block ×5, first 2 shown]
	s_and_saveexec_b64 s[2:3], vcc
	s_cbranch_execz .LBB156_53
; %bb.52:
	v_mov_b32_e32 v15, 0
	v_lshl_add_u64 v[10:11], s[4:5], 0, v[14:15]
	v_lshlrev_b32_e32 v14, 1, v18
	v_lshl_add_u64 v[10:11], v[10:11], 0, v[14:15]
	global_load_dwordx4 v[10:13], v[10:11], off offset:128
.LBB156_53:
	s_or_b64 exec, exec, s[2:3]
	v_mov_b32_e32 v16, 0
	v_mov_b32_e32 v15, 0
	;; [unrolled: 1-line block ×3, first 2 shown]
	s_and_saveexec_b64 s[2:3], s[0:1]
	s_cbranch_execz .LBB156_55
; %bb.54:
	v_mov_b32_e32 v21, 0
	v_lshl_add_u64 v[14:15], s[4:5], 0, v[20:21]
	v_lshlrev_b32_e32 v20, 1, v18
	v_lshl_add_u64 v[14:15], v[14:15], 0, v[20:21]
	global_load_dwordx4 v[14:17], v[14:15], off offset:128
.LBB156_55:
	s_or_b64 exec, exec, s[2:3]
	s_branch .LBB156_58
.LBB156_56:
                                        ; implicit-def: $vgpr5
                                        ; implicit-def: $vgpr9
                                        ; implicit-def: $vgpr13
                                        ; implicit-def: $vgpr17
	s_cbranch_execz .LBB156_58
; %bb.57:
	s_waitcnt vmcnt(0)
	v_lshlrev_b32_e32 v2, 1, v18
	v_lshl_or_b32 v18, v24, 9, v2
	s_and_b32 s5, s5, 0xffff
	s_mov_b32 s7, 0x20000
	s_movk_i32 s6, 0x4000
	s_movk_i32 s0, 0x80
	buffer_load_dwordx4 v[2:5], v18, s[4:7], 0 offen
	buffer_load_dwordx4 v[6:9], v18, s[4:7], 0 offen offset:256
	buffer_load_dwordx4 v[10:13], v18, s[4:7], s0 offen
	buffer_load_dwordx4 v[14:17], v18, s[4:7], s0 offen offset:256
.LBB156_58:
	ds_read_b64 v[20:21], v26 offset:57344
	v_add_u32_e32 v18, 0x6000, v25
	ds_read2_b64 v[36:39], v18 offset1:16
	ds_read_b64 v[48:49], v27 offset:57344
	ds_read_b64 v[50:51], v28 offset:57344
	;; [unrolled: 1-line block ×3, first 2 shown]
	ds_read2_b64 v[26:29], v18 offset0:32 offset1:48
	v_and_b32_e32 v18, 6, v0
	v_xor_b32_e32 v24, v24, v18
	v_lshlrev_b32_e32 v24, 2, v24
	v_and_b32_e32 v0, 1, v0
	v_cmp_eq_u32_e32 vcc, 0, v0
	s_waitcnt lgkmcnt(4)
	v_mfma_f32_16x16x16_bf16 a[0:3], v[20:21], v[36:37], a[0:3]
	s_mov_b32 s0, 0x1000504
	s_mov_b32 s1, 0x3020706
	v_mfma_f32_16x16x16_bf16 a[4:7], v[20:21], v[38:39], a[4:7]
	ds_read2st64_b64 v[36:39], v25 offset0:52 offset1:56
	s_waitcnt lgkmcnt(1)
	v_mfma_f32_16x16x16_bf16 a[8:11], v[20:21], v[26:27], a[8:11]
	v_mfma_f32_16x16x16_bf16 a[12:15], v[20:21], v[28:29], a[12:15]
	ds_read2st64_b64 v[26:29], v30 offset0:52 offset1:56
	ds_read2st64_b64 v[40:43], v31 offset0:52 offset1:56
	ds_read2st64_b64 v[44:47], v32 offset0:52 offset1:56
	s_waitcnt lgkmcnt(3)
	v_mfma_f32_16x16x16_bf16 a[0:3], v[48:49], v[36:37], a[0:3]
	ds_read_b64 v[20:21], v25 offset:30720
	ds_read_b64 v[36:37], v30 offset:30720
	;; [unrolled: 1-line block ×4, first 2 shown]
	v_xor_b32_e32 v25, 0x440, v24
	v_cndmask_b32_e32 v0, v25, v24, vcc
	s_waitcnt lgkmcnt(6)
	v_mfma_f32_16x16x16_bf16 a[4:7], v[48:49], v[26:27], a[4:7]
	v_lshl_or_b32 v0, v18, 10, v0
	s_waitcnt vmcnt(0)
	v_perm_b32 v18, v2, v6, s0
	v_perm_b32 v24, v10, v14, s0
	s_waitcnt lgkmcnt(5)
	v_mfma_f32_16x16x16_bf16 a[8:11], v[48:49], v[40:41], a[8:11]
	ds_write2st64_b32 v0, v18, v24 offset0:128 offset1:160
	v_xor_b32_e32 v18, 8, v0
	v_perm_b32 v2, v2, v6, s1
	s_waitcnt lgkmcnt(5)
	v_mfma_f32_16x16x16_bf16 a[12:15], v[48:49], v[44:45], a[12:15]
	v_perm_b32 v6, v10, v14, s1
	v_add_u32_e32 v10, 0x80, v18
	ds_write2st64_b32 v10, v2, v6 offset0:128 offset1:160
	v_mfma_f32_16x16x16_bf16 a[0:3], v[50:51], v[38:39], a[0:3]
	v_xor_b32_e32 v2, 16, v0
	v_perm_b32 v6, v3, v7, s0
	v_perm_b32 v10, v11, v15, s0
	v_mfma_f32_16x16x16_bf16 a[4:7], v[50:51], v[28:29], a[4:7]
	ds_write2st64_b32 v2, v6, v10 offset0:129 offset1:161
	v_xor_b32_e32 v2, 24, v0
	v_perm_b32 v3, v3, v7, s1
	v_mfma_f32_16x16x16_bf16 a[16:19], v[50:51], v[42:43], a[8:11]
	v_perm_b32 v6, v11, v15, s1
	v_add_u32_e32 v2, 0x80, v2
	ds_write2st64_b32 v2, v3, v6 offset0:129 offset1:161
	v_mfma_f32_16x16x16_bf16 a[20:23], v[50:51], v[46:47], a[12:15]
	v_xor_b32_e32 v2, 32, v0
	v_perm_b32 v3, v4, v8, s0
	v_perm_b32 v6, v12, v16, s0
	s_waitcnt lgkmcnt(7)
	v_mfma_f32_16x16x16_bf16 a[12:15], v[52:53], v[20:21], a[0:3]
	ds_write2st64_b32 v2, v3, v6 offset0:130 offset1:162
	v_xor_b32_e32 v2, 40, v0
	v_perm_b32 v3, v4, v8, s1
	s_waitcnt lgkmcnt(7)
	v_mfma_f32_16x16x16_bf16 a[8:11], v[52:53], v[36:37], a[4:7]
	v_perm_b32 v4, v12, v16, s1
	v_add_u32_e32 v2, 0x80, v2
	ds_write2st64_b32 v2, v3, v4 offset0:130 offset1:162
	s_waitcnt lgkmcnt(7)
	v_mfma_f32_16x16x16_bf16 a[4:7], v[52:53], v[30:31], a[16:19]
	v_xor_b32_e32 v2, 48, v0
	v_perm_b32 v3, v5, v9, s0
	v_perm_b32 v4, v13, v17, s0
	s_waitcnt lgkmcnt(6)
	v_mfma_f32_16x16x16_bf16 a[0:3], v[52:53], v[54:55], a[20:23]
	v_xor_b32_e32 v0, 56, v0
	v_and_or_b32 v18, v33, 12, v1
	ds_write2st64_b32 v2, v3, v4 offset0:131 offset1:163
	v_perm_b32 v2, v5, v9, s1
	v_perm_b32 v3, v13, v17, s1
	v_add_u32_e32 v0, 0x80, v0
	v_cmp_gt_i32_e32 vcc, s27, v18
	v_mov_b32_e32 v14, 0
	v_mov_b32_e32 v16, 0
	ds_write2st64_b32 v0, v2, v3 offset0:131 offset1:163
	s_and_saveexec_b64 s[0:1], vcc
	s_cbranch_execz .LBB156_60
; %bb.59:
	v_add_u32_e32 v0, s26, v18
	v_ashrrev_i32_e32 v1, 31, v0
	v_mul_lo_u32 v2, v1, s28
	v_mul_lo_u32 v3, v0, s29
	v_mad_u64_u32 v[0:1], s[2:3], v0, s28, 0
	v_add3_u32 v1, v1, v3, v2
	v_lshl_add_u64 v[0:1], v[0:1], 2, s[10:11]
	global_load_dword v0, v[0:1], off
	s_waitcnt vmcnt(0)
	v_sub_f32_e32 v0, s12, v0
	v_exp_f32_e32 v16, v0
.LBB156_60:
	s_or_b64 exec, exec, s[0:1]
	v_or_b32_e32 v8, 1, v18
	v_cmp_gt_i32_e64 s[0:1], s27, v8
	s_and_saveexec_b64 s[2:3], s[0:1]
	s_cbranch_execz .LBB156_62
; %bb.61:
	v_add_u32_e32 v0, s26, v8
	v_ashrrev_i32_e32 v1, 31, v0
	v_mul_lo_u32 v2, v1, s28
	v_mul_lo_u32 v3, v0, s29
	v_mad_u64_u32 v[0:1], s[4:5], v0, s28, 0
	v_add3_u32 v1, v1, v3, v2
	v_lshl_add_u64 v[0:1], v[0:1], 2, s[10:11]
	global_load_dword v0, v[0:1], off
	s_waitcnt vmcnt(0)
	v_sub_f32_e32 v0, s12, v0
	v_exp_f32_e32 v14, v0
.LBB156_62:
	s_or_b64 exec, exec, s[2:3]
	v_or_b32_e32 v10, 2, v18
	v_cmp_gt_i32_e64 s[2:3], s27, v10
	v_mov_b32_e32 v15, 0
	v_mov_b32_e32 v17, 0
	s_and_saveexec_b64 s[4:5], s[2:3]
	s_cbranch_execz .LBB156_64
; %bb.63:
	v_add_u32_e32 v0, s26, v10
	v_ashrrev_i32_e32 v1, 31, v0
	v_mul_lo_u32 v2, v1, s28
	v_mul_lo_u32 v3, v0, s29
	v_mad_u64_u32 v[0:1], s[6:7], v0, s28, 0
	v_add3_u32 v1, v1, v3, v2
	v_lshl_add_u64 v[0:1], v[0:1], 2, s[10:11]
	global_load_dword v0, v[0:1], off
	s_waitcnt vmcnt(0)
	v_sub_f32_e32 v0, s12, v0
	v_exp_f32_e32 v17, v0
.LBB156_64:
	s_or_b64 exec, exec, s[4:5]
	v_or_b32_e32 v12, 3, v18
	v_cmp_gt_i32_e64 s[4:5], s27, v12
	s_and_saveexec_b64 s[6:7], s[4:5]
	s_cbranch_execz .LBB156_66
; %bb.65:
	v_add_u32_e32 v0, s26, v12
	v_ashrrev_i32_e32 v1, 31, v0
	v_mul_lo_u32 v2, v1, s28
	v_mul_lo_u32 v3, v0, s29
	v_mad_u64_u32 v[0:1], s[14:15], v0, s28, 0
	v_add3_u32 v1, v1, v3, v2
	v_lshl_add_u64 v[0:1], v[0:1], 2, s[10:11]
	global_load_dword v0, v[0:1], off
	s_waitcnt vmcnt(0)
	v_sub_f32_e32 v0, s12, v0
	v_exp_f32_e32 v15, v0
.LBB156_66:
	s_or_b64 exec, exec, s[6:7]
	s_add_u32 s6, s8, s20
	v_accvgpr_read_b32 v0, a12
	s_addc_u32 s7, s9, s21
	v_ashrrev_i32_e32 v79, 31, v78
	v_accvgpr_read_b32 v1, a13
	v_accvgpr_read_b32 v2, a14
	v_accvgpr_read_b32 v3, a15
	v_lshl_add_u64 v[4:5], v[78:79], 1, s[6:7]
	v_mov_b32_e32 v9, 0
	v_lshlrev_b32_e32 v6, 8, v18
	v_mov_b32_e32 v7, 0
	s_and_saveexec_b64 s[6:7], vcc
	s_cbranch_execz .LBB156_68
; %bb.67:
	v_mov_b32_e32 v7, 0
	v_lshl_add_u64 v[20:21], v[4:5], 0, v[6:7]
	global_load_ushort v7, v[20:21], off
	s_waitcnt vmcnt(0)
	v_lshlrev_b32_e32 v7, 16, v7
	v_sub_f32_e32 v0, v7, v0
	v_mul_f32_e32 v0, v16, v0
	v_lshrrev_b32_e32 v7, 16, v0
.LBB156_68:
	s_or_b64 exec, exec, s[6:7]
	v_lshlrev_b32_e32 v8, 8, v8
	s_and_saveexec_b64 s[6:7], s[0:1]
	s_cbranch_execz .LBB156_70
; %bb.69:
	v_mov_b32_e32 v9, 0
	v_lshl_add_u64 v[20:21], v[4:5], 0, v[8:9]
	global_load_ushort v0, v[20:21], off
	s_waitcnt vmcnt(0)
	v_lshlrev_b32_e32 v0, 16, v0
	v_sub_f32_e32 v0, v0, v1
	v_mul_f32_e32 v0, v14, v0
	v_lshrrev_b32_e32 v9, 16, v0
.LBB156_70:
	s_or_b64 exec, exec, s[6:7]
	v_mov_b32_e32 v13, 0
	v_lshlrev_b32_e32 v10, 8, v10
	v_mov_b32_e32 v11, 0
	s_and_saveexec_b64 s[6:7], s[2:3]
	s_cbranch_execz .LBB156_72
; %bb.71:
	v_mov_b32_e32 v11, 0
	v_lshl_add_u64 v[0:1], v[4:5], 0, v[10:11]
	global_load_ushort v0, v[0:1], off
	s_waitcnt vmcnt(0)
	v_lshlrev_b32_e32 v0, 16, v0
	v_sub_f32_e32 v0, v0, v2
	v_mul_f32_e32 v0, v17, v0
	v_lshrrev_b32_e32 v11, 16, v0
.LBB156_72:
	s_or_b64 exec, exec, s[6:7]
	v_lshlrev_b32_e32 v12, 8, v12
	s_and_saveexec_b64 s[6:7], s[4:5]
	s_cbranch_execz .LBB156_74
; %bb.73:
	v_mov_b32_e32 v13, 0
	v_lshl_add_u64 v[0:1], v[4:5], 0, v[12:13]
	global_load_ushort v0, v[0:1], off
	s_waitcnt vmcnt(0)
	v_lshlrev_b32_e32 v0, 16, v0
	v_sub_f32_e32 v0, v0, v3
	v_mul_f32_e32 v0, v15, v0
	v_lshrrev_b32_e32 v13, 16, v0
.LBB156_74:
	s_or_b64 exec, exec, s[6:7]
	v_lshlrev_b32_e32 v18, 6, v18
	s_mov_b32 s6, 0x5040100
	v_perm_b32 v20, v9, v7, s6
	v_or_b32_e32 v7, v18, v34
	v_accvgpr_read_b32 v0, a8
	v_perm_b32 v21, v13, v11, s6
	v_lshlrev_b32_e32 v7, 1, v7
	v_accvgpr_read_b32 v1, a9
	v_accvgpr_read_b32 v2, a10
	;; [unrolled: 1-line block ×3, first 2 shown]
	ds_write_b64 v7, v[20:21] offset:24576
	v_mov_b32_e32 v9, 0
	v_mov_b32_e32 v7, 0
	s_and_saveexec_b64 s[6:7], vcc
	s_cbranch_execz .LBB156_76
; %bb.75:
	v_mov_b32_e32 v7, 0
	v_lshl_add_u64 v[20:21], v[4:5], 0, v[6:7]
	global_load_ushort v7, v[20:21], off offset:32
	s_waitcnt vmcnt(0)
	v_lshlrev_b32_e32 v7, 16, v7
	v_sub_f32_e32 v0, v7, v0
	v_mul_f32_e32 v0, v16, v0
	v_lshrrev_b32_e32 v7, 16, v0
.LBB156_76:
	s_or_b64 exec, exec, s[6:7]
	s_and_saveexec_b64 s[6:7], s[0:1]
	s_cbranch_execz .LBB156_78
; %bb.77:
	v_mov_b32_e32 v9, 0
	v_lshl_add_u64 v[20:21], v[4:5], 0, v[8:9]
	global_load_ushort v0, v[20:21], off offset:32
	s_waitcnt vmcnt(0)
	v_lshlrev_b32_e32 v0, 16, v0
	v_sub_f32_e32 v0, v0, v1
	v_mul_f32_e32 v0, v14, v0
	v_lshrrev_b32_e32 v9, 16, v0
.LBB156_78:
	s_or_b64 exec, exec, s[6:7]
	v_mov_b32_e32 v13, 0
	v_mov_b32_e32 v11, 0
	s_and_saveexec_b64 s[6:7], s[2:3]
	s_cbranch_execz .LBB156_80
; %bb.79:
	v_mov_b32_e32 v11, 0
	v_lshl_add_u64 v[0:1], v[4:5], 0, v[10:11]
	global_load_ushort v0, v[0:1], off offset:32
	s_waitcnt vmcnt(0)
	v_lshlrev_b32_e32 v0, 16, v0
	v_sub_f32_e32 v0, v0, v2
	v_mul_f32_e32 v0, v17, v0
	v_lshrrev_b32_e32 v11, 16, v0
.LBB156_80:
	s_or_b64 exec, exec, s[6:7]
	s_and_saveexec_b64 s[6:7], s[4:5]
	s_cbranch_execz .LBB156_82
; %bb.81:
	v_mov_b32_e32 v13, 0
	v_lshl_add_u64 v[0:1], v[4:5], 0, v[12:13]
	global_load_ushort v0, v[0:1], off offset:32
	s_waitcnt vmcnt(0)
	v_lshlrev_b32_e32 v0, 16, v0
	v_sub_f32_e32 v0, v0, v3
	v_mul_f32_e32 v0, v15, v0
	v_lshrrev_b32_e32 v13, 16, v0
.LBB156_82:
	s_or_b64 exec, exec, s[6:7]
	s_mov_b32 s6, 0x5040100
	v_perm_b32 v20, v9, v7, s6
	v_or_b32_e32 v7, v18, v23
	v_accvgpr_read_b32 v0, a4
	v_perm_b32 v21, v13, v11, s6
	v_lshlrev_b32_e32 v7, 1, v7
	v_accvgpr_read_b32 v1, a5
	v_accvgpr_read_b32 v2, a6
	;; [unrolled: 1-line block ×3, first 2 shown]
	ds_write_b64 v7, v[20:21] offset:24576
	v_mov_b32_e32 v9, 0
	v_mov_b32_e32 v7, 0
	s_and_saveexec_b64 s[6:7], vcc
	s_cbranch_execz .LBB156_84
; %bb.83:
	v_mov_b32_e32 v7, 0
	v_lshl_add_u64 v[20:21], v[4:5], 0, v[6:7]
	global_load_ushort v7, v[20:21], off offset:64
	s_waitcnt vmcnt(0)
	v_lshlrev_b32_e32 v7, 16, v7
	v_sub_f32_e32 v0, v7, v0
	v_mul_f32_e32 v0, v16, v0
	v_lshrrev_b32_e32 v7, 16, v0
.LBB156_84:
	s_or_b64 exec, exec, s[6:7]
	s_and_saveexec_b64 s[6:7], s[0:1]
	s_cbranch_execz .LBB156_86
; %bb.85:
	v_mov_b32_e32 v9, 0
	v_lshl_add_u64 v[20:21], v[4:5], 0, v[8:9]
	global_load_ushort v0, v[20:21], off offset:64
	s_waitcnt vmcnt(0)
	v_lshlrev_b32_e32 v0, 16, v0
	v_sub_f32_e32 v0, v0, v1
	v_mul_f32_e32 v0, v14, v0
	v_lshrrev_b32_e32 v9, 16, v0
.LBB156_86:
	s_or_b64 exec, exec, s[6:7]
	v_mov_b32_e32 v13, 0
	v_mov_b32_e32 v11, 0
	s_and_saveexec_b64 s[6:7], s[2:3]
	s_cbranch_execz .LBB156_88
; %bb.87:
	v_mov_b32_e32 v11, 0
	v_lshl_add_u64 v[0:1], v[4:5], 0, v[10:11]
	global_load_ushort v0, v[0:1], off offset:64
	s_waitcnt vmcnt(0)
	v_lshlrev_b32_e32 v0, 16, v0
	v_sub_f32_e32 v0, v0, v2
	v_mul_f32_e32 v0, v17, v0
	v_lshrrev_b32_e32 v11, 16, v0
.LBB156_88:
	s_or_b64 exec, exec, s[6:7]
	s_and_saveexec_b64 s[6:7], s[4:5]
	s_cbranch_execz .LBB156_90
; %bb.89:
	v_mov_b32_e32 v13, 0
	v_lshl_add_u64 v[0:1], v[4:5], 0, v[12:13]
	global_load_ushort v0, v[0:1], off offset:64
	s_waitcnt vmcnt(0)
	v_lshlrev_b32_e32 v0, 16, v0
	v_sub_f32_e32 v0, v0, v3
	v_mul_f32_e32 v0, v15, v0
	v_lshrrev_b32_e32 v13, 16, v0
.LBB156_90:
	s_or_b64 exec, exec, s[6:7]
	s_mov_b32 s6, 0x5040100
	v_perm_b32 v20, v9, v7, s6
	v_or_b32_e32 v7, v18, v22
	v_accvgpr_read_b32 v0, a0
	v_perm_b32 v21, v13, v11, s6
	v_lshlrev_b32_e32 v7, 1, v7
	v_accvgpr_read_b32 v1, a1
	v_accvgpr_read_b32 v2, a2
	;; [unrolled: 1-line block ×3, first 2 shown]
	ds_write_b64 v7, v[20:21] offset:24576
	v_mov_b32_e32 v9, 0
	v_mov_b32_e32 v7, 0
	s_and_saveexec_b64 s[6:7], vcc
	s_cbranch_execz .LBB156_92
; %bb.91:
	v_mov_b32_e32 v7, 0
	v_lshl_add_u64 v[6:7], v[4:5], 0, v[6:7]
	global_load_ushort v6, v[6:7], off offset:96
	s_waitcnt vmcnt(0)
	v_lshlrev_b32_e32 v6, 16, v6
	v_sub_f32_e32 v0, v6, v0
	v_mul_f32_e32 v0, v16, v0
	v_lshrrev_b32_e32 v7, 16, v0
.LBB156_92:
	s_or_b64 exec, exec, s[6:7]
	s_and_saveexec_b64 s[6:7], s[0:1]
	s_cbranch_execz .LBB156_94
; %bb.93:
	v_mov_b32_e32 v9, 0
	v_lshl_add_u64 v[8:9], v[4:5], 0, v[8:9]
	global_load_ushort v0, v[8:9], off offset:96
	s_waitcnt vmcnt(0)
	v_lshlrev_b32_e32 v0, 16, v0
	v_sub_f32_e32 v0, v0, v1
	v_mul_f32_e32 v0, v14, v0
	v_lshrrev_b32_e32 v9, 16, v0
.LBB156_94:
	s_or_b64 exec, exec, s[6:7]
	v_mov_b32_e32 v0, 0
	v_mov_b32_e32 v1, 0
	s_and_saveexec_b64 s[0:1], s[2:3]
	s_cbranch_execz .LBB156_96
; %bb.95:
	v_mov_b32_e32 v11, 0
	v_lshl_add_u64 v[10:11], v[4:5], 0, v[10:11]
	global_load_ushort v1, v[10:11], off offset:96
	s_waitcnt vmcnt(0)
	v_lshlrev_b32_e32 v1, 16, v1
	v_sub_f32_e32 v1, v1, v2
	v_mul_f32_e32 v1, v17, v1
	v_lshrrev_b32_e32 v1, 16, v1
.LBB156_96:
	s_or_b64 exec, exec, s[0:1]
	s_and_saveexec_b64 s[0:1], s[4:5]
	s_cbranch_execz .LBB156_98
; %bb.97:
	v_mov_b32_e32 v13, 0
	v_lshl_add_u64 v[4:5], v[4:5], 0, v[12:13]
	global_load_ushort v0, v[4:5], off offset:96
	s_waitcnt vmcnt(0)
	v_lshlrev_b32_e32 v0, 16, v0
	v_sub_f32_e32 v0, v0, v3
	v_mul_f32_e32 v0, v15, v0
	v_lshrrev_b32_e32 v0, 16, v0
.LBB156_98:
	s_or_b64 exec, exec, s[0:1]
	s_mov_b32 s0, 0x5040100
	v_or_b32_e32 v2, v18, v19
	v_perm_b32 v1, v0, v1, s0
	v_perm_b32 v0, v9, v7, s0
	v_lshlrev_b32_e32 v2, 1, v2
	ds_write_b64 v2, v[0:1] offset:24576
	s_waitcnt lgkmcnt(0)
	s_barrier
.LBB156_99:
	s_endpgm
	.section	.rodata,"a",@progbits
	.p2align	6, 0x0
	.amdhsa_kernel _ZN12_GLOBAL__N_139chunk_gated_delta_rule_fwd_h_hip_kernelILi64ELb1ELb0ELb0ELb0ELb1ELb1ELb0ELb0EEEvPK12hip_bfloat16S3_S3_PKfS5_PKvPS1_S8_PvPKiSB_iiiiilll
		.amdhsa_group_segment_fixed_size 65536
		.amdhsa_private_segment_fixed_size 0
		.amdhsa_kernarg_size 136
		.amdhsa_user_sgpr_count 2
		.amdhsa_user_sgpr_dispatch_ptr 0
		.amdhsa_user_sgpr_queue_ptr 0
		.amdhsa_user_sgpr_kernarg_segment_ptr 1
		.amdhsa_user_sgpr_dispatch_id 0
		.amdhsa_user_sgpr_kernarg_preload_length 0
		.amdhsa_user_sgpr_kernarg_preload_offset 0
		.amdhsa_user_sgpr_private_segment_size 0
		.amdhsa_uses_dynamic_stack 0
		.amdhsa_enable_private_segment 0
		.amdhsa_system_sgpr_workgroup_id_x 1
		.amdhsa_system_sgpr_workgroup_id_y 1
		.amdhsa_system_sgpr_workgroup_id_z 0
		.amdhsa_system_sgpr_workgroup_info 0
		.amdhsa_system_vgpr_workitem_id 0
		.amdhsa_next_free_vgpr 228
		.amdhsa_next_free_sgpr 69
		.amdhsa_accum_offset 188
		.amdhsa_reserve_vcc 1
		.amdhsa_float_round_mode_32 0
		.amdhsa_float_round_mode_16_64 0
		.amdhsa_float_denorm_mode_32 3
		.amdhsa_float_denorm_mode_16_64 3
		.amdhsa_dx10_clamp 1
		.amdhsa_ieee_mode 1
		.amdhsa_fp16_overflow 0
		.amdhsa_tg_split 0
		.amdhsa_exception_fp_ieee_invalid_op 0
		.amdhsa_exception_fp_denorm_src 0
		.amdhsa_exception_fp_ieee_div_zero 0
		.amdhsa_exception_fp_ieee_overflow 0
		.amdhsa_exception_fp_ieee_underflow 0
		.amdhsa_exception_fp_ieee_inexact 0
		.amdhsa_exception_int_div_zero 0
	.end_amdhsa_kernel
	.section	.text._ZN12_GLOBAL__N_139chunk_gated_delta_rule_fwd_h_hip_kernelILi64ELb1ELb0ELb0ELb0ELb1ELb1ELb0ELb0EEEvPK12hip_bfloat16S3_S3_PKfS5_PKvPS1_S8_PvPKiSB_iiiiilll,"axG",@progbits,_ZN12_GLOBAL__N_139chunk_gated_delta_rule_fwd_h_hip_kernelILi64ELb1ELb0ELb0ELb0ELb1ELb1ELb0ELb0EEEvPK12hip_bfloat16S3_S3_PKfS5_PKvPS1_S8_PvPKiSB_iiiiilll,comdat
.Lfunc_end156:
	.size	_ZN12_GLOBAL__N_139chunk_gated_delta_rule_fwd_h_hip_kernelILi64ELb1ELb0ELb0ELb0ELb1ELb1ELb0ELb0EEEvPK12hip_bfloat16S3_S3_PKfS5_PKvPS1_S8_PvPKiSB_iiiiilll, .Lfunc_end156-_ZN12_GLOBAL__N_139chunk_gated_delta_rule_fwd_h_hip_kernelILi64ELb1ELb0ELb0ELb0ELb1ELb1ELb0ELb0EEEvPK12hip_bfloat16S3_S3_PKfS5_PKvPS1_S8_PvPKiSB_iiiiilll
                                        ; -- End function
	.section	.AMDGPU.csdata,"",@progbits
; Kernel info:
; codeLenInByte = 10936
; NumSgprs: 75
; NumVgprs: 188
; NumAgprs: 40
; TotalNumVgprs: 228
; ScratchSize: 0
; MemoryBound: 0
; FloatMode: 240
; IeeeMode: 1
; LDSByteSize: 65536 bytes/workgroup (compile time only)
; SGPRBlocks: 9
; VGPRBlocks: 28
; NumSGPRsForWavesPerEU: 75
; NumVGPRsForWavesPerEU: 228
; AccumOffset: 188
; Occupancy: 1
; WaveLimiterHint : 1
; COMPUTE_PGM_RSRC2:SCRATCH_EN: 0
; COMPUTE_PGM_RSRC2:USER_SGPR: 2
; COMPUTE_PGM_RSRC2:TRAP_HANDLER: 0
; COMPUTE_PGM_RSRC2:TGID_X_EN: 1
; COMPUTE_PGM_RSRC2:TGID_Y_EN: 1
; COMPUTE_PGM_RSRC2:TGID_Z_EN: 0
; COMPUTE_PGM_RSRC2:TIDIG_COMP_CNT: 0
; COMPUTE_PGM_RSRC3_GFX90A:ACCUM_OFFSET: 46
; COMPUTE_PGM_RSRC3_GFX90A:TG_SPLIT: 0
	.section	.text._ZN12_GLOBAL__N_139chunk_gated_delta_rule_fwd_h_hip_kernelILi64ELb0ELb1ELb1ELb0ELb1ELb1ELb0ELb0EEEvPK12hip_bfloat16S3_S3_PKfS5_PKvPS1_S8_PvPKiSB_iiiiilll,"axG",@progbits,_ZN12_GLOBAL__N_139chunk_gated_delta_rule_fwd_h_hip_kernelILi64ELb0ELb1ELb1ELb0ELb1ELb1ELb0ELb0EEEvPK12hip_bfloat16S3_S3_PKfS5_PKvPS1_S8_PvPKiSB_iiiiilll,comdat
	.globl	_ZN12_GLOBAL__N_139chunk_gated_delta_rule_fwd_h_hip_kernelILi64ELb0ELb1ELb1ELb0ELb1ELb1ELb0ELb0EEEvPK12hip_bfloat16S3_S3_PKfS5_PKvPS1_S8_PvPKiSB_iiiiilll ; -- Begin function _ZN12_GLOBAL__N_139chunk_gated_delta_rule_fwd_h_hip_kernelILi64ELb0ELb1ELb1ELb0ELb1ELb1ELb0ELb0EEEvPK12hip_bfloat16S3_S3_PKfS5_PKvPS1_S8_PvPKiSB_iiiiilll
	.p2align	8
	.type	_ZN12_GLOBAL__N_139chunk_gated_delta_rule_fwd_h_hip_kernelILi64ELb0ELb1ELb1ELb0ELb1ELb1ELb0ELb0EEEvPK12hip_bfloat16S3_S3_PKfS5_PKvPS1_S8_PvPKiSB_iiiiilll,@function
_ZN12_GLOBAL__N_139chunk_gated_delta_rule_fwd_h_hip_kernelILi64ELb0ELb1ELb1ELb0ELb1ELb1ELb0ELb0EEEvPK12hip_bfloat16S3_S3_PKfS5_PKvPS1_S8_PvPKiSB_iiiiilll: ; @_ZN12_GLOBAL__N_139chunk_gated_delta_rule_fwd_h_hip_kernelILi64ELb0ELb1ELb1ELb0ELb1ELb1ELb0ELb0EEEvPK12hip_bfloat16S3_S3_PKfS5_PKvPS1_S8_PvPKiSB_iiiiilll
; %bb.0:
	s_load_dwordx4 s[12:15], s[0:1], 0x5c
	s_load_dwordx2 s[34:35], s[0:1], 0x40
	s_abs_i32 s22, s3
	s_ashr_i32 s21, s3, 31
	s_load_dwordx8 s[4:11], s[0:1], 0x0
	s_load_dwordx2 s[36:37], s[0:1], 0x20
	s_load_dwordx4 s[16:19], s[0:1], 0x30
	s_waitcnt lgkmcnt(0)
	s_abs_i32 s20, s13
	v_cvt_f32_u32_e32 v1, s20
	s_sub_i32 s24, 0, s20
	s_ashr_i32 s23, s13, 31
	s_xor_b32 s21, s21, s23
	v_rcp_iflag_f32_e32 v1, v1
	v_lshrrev_b32_e32 v77, 6, v0
	v_bfe_u32 v88, v0, 4, 2
	v_lshlrev_b32_e32 v86, 4, v77
	v_mul_f32_e32 v1, 0x4f7ffffe, v1
	v_cvt_u32_f32_e32 v1, v1
	v_lshlrev_b32_e32 v34, 2, v88
	v_and_b32_e32 v87, 63, v0
	v_mov_b32_e32 v17, 0
	v_readfirstlane_b32 s25, v1
	s_mul_i32 s24, s24, s25
	s_mul_hi_u32 s24, s25, s24
	s_add_i32 s25, s25, s24
	s_mul_hi_u32 s24, s22, s25
	s_mul_i32 s25, s24, s20
	s_sub_i32 s22, s22, s25
	s_add_i32 s25, s24, 1
	s_sub_i32 s26, s22, s20
	s_cmp_ge_u32 s22, s20
	s_cselect_b32 s24, s25, s24
	s_cselect_b32 s22, s26, s22
	s_add_i32 s25, s24, 1
	s_cmp_ge_u32 s22, s20
	s_cselect_b32 s22, s25, s24
	s_xor_b32 s22, s22, s21
	s_sub_i32 s52, s22, s21
	s_abs_i32 s21, s14
	v_cvt_f32_u32_e32 v1, s21
	s_ashr_i32 s51, s12, 31
	s_lshr_b32 s22, s51, 26
	s_add_i32 s22, s12, s22
	v_rcp_iflag_f32_e32 v1, v1
	s_ashr_i32 s54, s14, 31
	s_ashr_i32 s53, s22, 6
	s_xor_b32 s22, s23, s54
	v_mul_f32_e32 v1, 0x4f7ffffe, v1
	v_cvt_u32_f32_e32 v1, v1
	s_sub_i32 s23, 0, s21
	s_mul_i32 s50, s52, s13
	s_sub_i32 s33, s3, s50
	v_readfirstlane_b32 s24, v1
	s_mul_i32 s23, s23, s24
	s_mul_hi_u32 s23, s24, s23
	s_add_i32 s24, s24, s23
	s_mul_hi_u32 s23, s20, s24
	s_mul_i32 s24, s23, s21
	s_sub_i32 s20, s20, s24
	s_add_i32 s3, s12, 63
	s_add_i32 s24, s23, 1
	s_sub_i32 s25, s20, s21
	s_cmp_ge_u32 s20, s21
	s_cselect_b32 s23, s24, s23
	s_cselect_b32 s20, s25, s20
	s_add_i32 s24, s23, 1
	s_cmp_ge_u32 s20, s21
	s_cselect_b32 s20, s24, s23
	s_xor_b32 s20, s20, s22
	s_sub_i32 s24, s20, s22
	s_abs_i32 s25, s24
	v_cvt_f32_u32_e32 v1, s25
	s_sub_i32 s26, 0, s25
	s_load_dwordx2 s[38:39], s[0:1], 0x80
	s_load_dwordx4 s[20:23], s[0:1], 0x70
	s_xor_b32 s1, s33, s24
	v_rcp_iflag_f32_e32 v1, v1
	s_abs_i32 s24, s33
	s_ashr_i32 s1, s1, 31
	s_mov_b32 s0, 0
	v_mul_f32_e32 v1, 0x4f7ffffe, v1
	v_cvt_u32_f32_e32 v1, v1
	s_mul_i32 s48, s52, s12
	v_and_b32_e32 v89, 15, v0
	s_mul_hi_i32 s56, s52, s13
	v_readfirstlane_b32 s27, v1
	s_mul_i32 s26, s26, s27
	s_mul_hi_u32 s26, s27, s26
	s_add_i32 s27, s27, s26
	s_mul_hi_u32 s26, s24, s27
	s_mul_i32 s27, s26, s25
	s_sub_i32 s24, s24, s27
	s_add_i32 s27, s26, 1
	s_sub_i32 s28, s24, s25
	s_cmp_ge_u32 s24, s25
	s_cselect_b32 s26, s27, s26
	s_cselect_b32 s24, s28, s24
	s_add_i32 s27, s26, 1
	s_cmp_ge_u32 s24, s25
	s_cselect_b32 s24, s27, s26
	s_xor_b32 s24, s24, s1
	s_sub_i32 s57, s24, s1
	s_ashr_i32 s1, s3, 31
	s_lshr_b32 s1, s1, 26
	s_add_i32 s3, s3, s1
	s_ashr_i32 s1, s3, 6
	v_or_b32_e32 v1, v34, v86
	s_mul_i32 s55, s52, s1
	s_lshl_b32 s2, s2, 6
	s_mov_b32 s1, s0
	v_or_b32_e32 v92, 64, v1
	s_cmp_lt_i32 s12, 64
	v_mov_b64_e32 v[2:3], s[0:1]
	v_lshrrev_b32_e32 v91, 3, v87
	v_lshlrev_b32_e32 v90, 3, v0
	s_waitcnt lgkmcnt(0)
	s_mul_i32 s21, s52, s21
	s_mul_hi_u32 s49, s52, s20
	s_mul_i32 s40, s52, s20
	v_mov_b32_e32 v16, v17
	v_mov_b32_e32 v15, v17
	;; [unrolled: 1-line block ×23, first 2 shown]
	v_mov_b64_e32 v[4:5], s[0:1]
	v_mov_b64_e32 v[6:7], s[0:1]
	;; [unrolled: 1-line block ×3, first 2 shown]
	s_cbranch_scc1 .LBB157_18
; %bb.1:
	s_ashr_i32 s3, s52, 31
	s_ashr_i32 s59, s33, 31
	s_add_u32 s0, s50, s33
	s_addc_u32 s1, s56, s59
	s_mul_i32 s1, s12, s1
	s_mul_hi_u32 s24, s12, s0
	s_add_i32 s43, s24, s1
	s_mul_i32 s42, s12, s0
	s_lshl_b64 s[0:1], s[42:43], 8
	v_and_b32_e32 v94, 56, v90
	s_add_u32 s24, s6, s0
	v_lshl_or_b32 v93, v77, 3, v91
	v_lshlrev_b32_e32 v2, 1, v94
	s_addc_u32 s0, s7, s1
	v_lshl_or_b32 v95, v93, 8, v2
	s_and_b32 s25, s0, 0xffff
	s_mov_b32 s27, 0x20000
	s_movk_i32 s26, 0x4000
	s_movk_i32 s0, 0x80
	v_or_b32_e32 v96, 0x2000, v95
	buffer_load_dwordx4 v[4:7], v95, s[24:27], 0 offen
	buffer_load_dwordx4 v[8:11], v95, s[24:27], s0 offen
	;; [unrolled: 1-line block ×4, first 2 shown]
	v_lshlrev_b32_e32 v3, 3, v93
	v_and_or_b32 v21, v0, 7, v3
	v_and_b32_e32 v3, 0x78, v3
	v_lshlrev_b32_e32 v21, 4, v21
	v_xor_b32_e32 v97, v21, v3
	v_mul_lo_u32 v20, v93, s15
	v_or_b32_e32 v98, 0x1000, v97
	v_xor_b32_e32 v3, 8, v97
	s_cmpk_eq_i32 s15, 0x80
	s_mov_b32 s58, s14
	v_xor_b32_e32 v21, 8, v98
	s_cselect_b64 s[0:1], -1, 0
	s_cmpk_lg_i32 s15, 0x80
	s_waitcnt vmcnt(3)
	ds_write_b64 v97, v[4:5] offset:49152
	ds_write_b64 v3, v[6:7] offset:49152
	s_waitcnt vmcnt(2)
	ds_write_b64 v97, v[8:9] offset:57344
	ds_write_b64 v3, v[10:11] offset:57344
	;; [unrolled: 3-line block ×4, first 2 shown]
	v_lshl_add_u32 v3, v20, 1, v94
	s_cbranch_scc0 .LBB157_3
; %bb.2:
	v_lshlrev_b32_e32 v5, 1, v3
	v_add_lshl_u32 v4, v3, s15, 1
	s_lshl_b32 s26, s15, 7
	v_lshl_or_b32 v2, v93, 9, v2
	s_cbranch_execz .LBB157_4
	s_branch .LBB157_5
.LBB157_3:
                                        ; implicit-def: $vgpr4
                                        ; implicit-def: $vgpr5
                                        ; implicit-def: $sgpr26
	v_lshl_or_b32 v2, v93, 9, v2
.LBB157_4:
	v_or_b32_e32 v4, 0x100, v2
	s_movk_i32 s26, 0x4000
	v_mov_b32_e32 v5, v2
.LBB157_5:
	s_mul_hi_u32 s24, s14, s12
	s_mul_i32 s25, s54, s12
	s_add_i32 s24, s24, s25
	s_mul_i32 s25, s14, s12
	s_mul_i32 s27, s25, s3
	s_mul_hi_u32 s28, s25, s52
	s_add_i32 s27, s28, s27
	s_mul_i32 s24, s24, s52
	s_add_i32 s27, s27, s24
	s_mul_i32 s25, s25, s52
	s_ashr_i32 s60, s57, 31
	s_add_u32 s24, s25, s57
	s_addc_u32 s25, s27, s60
	s_lshl_b64 s[24:25], s[24:25], 8
	s_add_u32 s24, s4, s24
	s_addc_u32 s25, s5, s25
	s_and_b32 s25, s25, 0xffff
	s_mov_b32 s27, 0x20000
	s_movk_i32 s61, 0x80
	buffer_load_dwordx4 v[6:9], v5, s[24:27], 0 offen
	buffer_load_dwordx4 v[10:13], v5, s[24:27], s61 offen
	;; [unrolled: 1-line block ×4, first 2 shown]
	v_and_b32_e32 v5, 6, v0
	v_lshlrev_b32_e32 v4, 7, v1
	v_xor_b32_e32 v26, v93, v5
	v_and_b32_e32 v22, 1, v0
	v_lshl_or_b32 v29, v89, 3, v4
	v_lshlrev_b32_e32 v26, 2, v26
	v_or_b32_e32 v99, 0x4000, v29
	v_or_b32_e32 v100, 0x6000, v29
	v_xor_b32_e32 v29, 0x440, v26
	v_cmp_eq_u32_e32 vcc, 0, v22
	v_lshlrev_b32_e32 v23, 2, v89
	v_or_b32_e32 v25, 16, v89
	v_cndmask_b32_e32 v22, v29, v26, vcc
	s_mov_b32 s63, 0x1000504
	v_xor_b32_e32 v27, v1, v23
	v_xor_b32_e32 v28, v92, v23
	v_lshl_or_b32 v30, v25, 3, v4
	v_lshl_or_b32 v5, v5, 10, v22
	s_mov_b32 s64, 0x3020706
	s_mul_i32 s24, s3, s12
	s_mul_hi_u32 s25, s52, s12
	v_lshlrev_b32_e32 v24, 8, v89
	v_lshlrev_b32_e32 v27, 1, v27
	;; [unrolled: 1-line block ×3, first 2 shown]
	v_or_b32_e32 v101, 0x4000, v30
	v_or_b32_e32 v102, 0x6000, v30
	v_xor_b32_e32 v22, 8, v5
	v_xor_b32_e32 v26, 24, v5
	v_xor_b32_e32 v30, 40, v5
	v_xor_b32_e32 v32, 56, v5
	v_or_b32_e32 v103, v24, v27
	v_or_b32_e32 v104, v24, v28
	v_xor_b32_e32 v24, 16, v5
	v_xor_b32_e32 v29, 32, v5
	;; [unrolled: 1-line block ×3, first 2 shown]
	v_add_u32_e32 v22, 0x80, v22
	v_add_u32_e32 v26, 0x80, v26
	;; [unrolled: 1-line block ×4, first 2 shown]
	s_add_i32 s65, s25, s24
	s_add_i32 s24, s49, s21
	s_mul_i32 s3, s3, s20
	s_add_i32 s41, s24, s3
	s_mul_i32 s3, s33, s23
	s_mul_hi_u32 s24, s33, s22
	s_add_i32 s3, s24, s3
	s_mul_i32 s24, s59, s22
	s_add_i32 s25, s3, s24
	s_lshl_b64 s[28:29], s[40:41], 2
	s_mul_i32 s24, s33, s22
	s_add_u32 s3, s10, s28
	s_addc_u32 s28, s11, s29
	s_lshl_b64 s[24:25], s[24:25], 2
	s_add_u32 s44, s3, s24
	s_movk_i32 s3, 0xf8
	s_addc_u32 s45, s28, s25
	s_lshl_b32 s30, s15, 7
	s_movk_i32 s28, 0x100
	v_mov_b32_e32 v79, 0
	v_lshlrev_b32_e32 v78, 4, v89
	s_mov_b32 s62, 0
	s_movk_i32 s26, 0x4000
	v_add_u32_e32 v136, v86, v34
	s_mov_b32 s41, 0x7060302
	s_movk_i32 s66, 0x2000
	s_movk_i32 s67, 0x3000
	s_mov_b32 s69, 0
	s_waitcnt vmcnt(1)
	v_perm_b32 v33, v6, v14, s63
	s_waitcnt vmcnt(0)
	v_perm_b32 v35, v10, v18, s63
	v_perm_b32 v6, v6, v14, s64
	v_perm_b32 v10, v10, v18, s64
	v_perm_b32 v14, v7, v15, s63
	v_perm_b32 v18, v11, v19, s63
	v_perm_b32 v7, v7, v15, s64
	v_perm_b32 v11, v11, v19, s64
	v_perm_b32 v15, v8, v16, s63
	v_perm_b32 v19, v12, v20, s63
	v_perm_b32 v8, v8, v16, s64
	v_perm_b32 v12, v12, v20, s64
	v_perm_b32 v16, v9, v17, s63
	v_perm_b32 v20, v13, v21, s63
	v_perm_b32 v9, v9, v17, s64
	v_perm_b32 v13, v13, v21, s64
	ds_write2st64_b32 v5, v33, v35 offset0:128 offset1:160
	ds_write2st64_b32 v22, v6, v10 offset0:128 offset1:160
	;; [unrolled: 1-line block ×8, first 2 shown]
	v_lshlrev_b32_e32 v5, 8, v25
	v_or_b32_e32 v105, v5, v27
	v_or_b32_e32 v106, v5, v28
	;; [unrolled: 1-line block ×3, first 2 shown]
	v_lshl_or_b32 v6, v5, 3, v4
	v_lshlrev_b32_e32 v5, 8, v5
	v_or_b32_e32 v109, v5, v27
	v_or_b32_e32 v110, v5, v28
	;; [unrolled: 1-line block ×5, first 2 shown]
	v_lshl_or_b32 v6, v5, 3, v4
	v_lshlrev_b32_e32 v5, 8, v5
	v_or_b32_e32 v113, v5, v27
	v_or_b32_e32 v114, v5, v28
	;; [unrolled: 1-line block ×3, first 2 shown]
	v_lshlrev_b32_e32 v5, 3, v5
	v_lshrrev_b32_e32 v7, 5, v87
	v_and_or_b32 v7, v5, s3, v7
	v_lshlrev_b32_e32 v7, 4, v7
	v_or_b32_e32 v111, 0x4000, v6
	v_or_b32_e32 v112, 0x6000, v6
	v_lshrrev_b32_e32 v6, 2, v87
	v_lshlrev_b32_e32 v11, 11, v77
	v_and_b32_e32 v5, 0x78, v5
	v_or_b32_e32 v13, 32, v7
	v_and_b32_e32 v10, 12, v6
	v_and_b32_e32 v6, 0x1000, v11
	v_lshrrev_b32_e32 v9, 1, v87
	v_xor_b32_e32 v13, v13, v5
	v_xor_b32_e32 v8, v7, v5
	v_and_b32_e32 v9, 8, v9
	v_or_b32_e32 v13, v13, v6
	v_or_b32_e32 v8, v8, v6
	v_lshlrev_b32_e32 v12, 8, v88
	v_xor_b32_e32 v117, v13, v9
	v_or_b32_e32 v13, 64, v7
	v_or_b32_e32 v7, 0x60, v7
	v_xor_b32_e32 v115, v8, v9
	v_or_b32_e32 v8, v12, v23
	v_xor_b32_e32 v13, v13, v5
	v_xor_b32_e32 v5, v7, v5
	s_ashr_i32 s3, s2, 31
	v_lshlrev_b32_e32 v8, 1, v8
	v_or_b32_e32 v13, v13, v6
	v_or_b32_e32 v5, v5, v6
	s_lshl_b64 s[24:25], s[2:3], 8
	v_lshlrev_b32_e32 v17, 2, v0
	v_or_b32_e32 v116, 0x4000, v8
	v_or_b32_e32 v118, 0x4080, v8
	;; [unrolled: 1-line block ×4, first 2 shown]
	v_xor_b32_e32 v121, v13, v9
	v_xor_b32_e32 v122, v5, v9
	v_or_b32_e32 v123, 0x6000, v8
	v_or_b32_e32 v124, 0x6080, v8
	;; [unrolled: 1-line block ×4, first 2 shown]
	v_lshlrev_b32_e32 v5, 1, v3
	v_add_lshl_u32 v3, v3, s15, 1
	v_or_b32_e32 v13, 0x100, v2
	s_add_u32 s24, s16, s24
	v_lshlrev_b32_e32 v8, 1, v89
	v_lshrrev_b32_e32 v18, 1, v0
	v_and_or_b32 v12, v17, 60, v12
	v_lshrrev_b32_e32 v14, 4, v0
	s_addc_u32 s25, s17, s25
	v_or_b32_e32 v9, 1, v8
	v_and_b32_e32 v18, 24, v18
	v_lshlrev_b32_e32 v12, 1, v12
	v_cndmask_b32_e64 v133, v5, v2, s[0:1]
	v_cndmask_b32_e64 v134, v3, v13, s[0:1]
	v_mov_b32_e32 v3, 0xa000
	v_mov_b32_e32 v5, 0x8000
	v_cmp_gt_u32_e64 s[0:1], s28, v0
	v_xor_b32_e32 v15, v14, v8
	v_xor_b32_e32 v16, v9, v14
	v_lshl_add_u64 v[8:9], s[24:25], 0, v[78:79]
	v_lshlrev_b32_e32 v78, 8, v14
	v_or_b32_e32 v129, 0x6000, v12
	v_or_b32_e32 v17, 32, v18
	;; [unrolled: 1-line block ×6, first 2 shown]
	v_cndmask_b32_e64 v3, v3, v5, s[0:1]
	v_lshlrev_b32_e32 v5, 3, v77
	v_lshl_or_b32 v127, v15, 3, v78
	v_and_b32_e32 v15, 8, v0
	v_xor_b32_e32 v13, v5, v18
	v_xor_b32_e32 v17, v5, v17
	;; [unrolled: 1-line block ×3, first 2 shown]
	v_mov_b32_e32 v19, 0x400
	v_cmp_eq_u32_e32 vcc, 0, v15
	v_or_b32_e32 v18, 0x440, v13
	v_or_b32_e32 v20, 0x440, v17
	v_xor_b32_e32 v12, 0x440, v5
	v_and_b32_e32 v14, 7, v0
	v_cndmask_b32_e64 v15, v19, 64, vcc
	v_cndmask_b32_e32 v18, v18, v13, vcc
	v_cndmask_b32_e32 v17, v20, v17, vcc
	v_cndmask_b32_e32 v5, v12, v5, vcc
	v_or_b32_e32 v6, s2, v89
	v_lshl_or_b32 v128, v16, 3, v78
	v_lshlrev_b32_e32 v16, 3, v14
	v_or_b32_e32 v18, v18, v11
	v_or_b32_e32 v17, v17, v11
	v_or3_b32 v13, v11, v15, v13
	v_or_b32_e32 v5, v5, v11
	v_ashrrev_i32_e32 v7, 31, v6
	v_lshlrev_b32_e32 v14, 7, v14
	v_xor_b32_e32 v18, v18, v16
	v_xor_b32_e32 v17, v17, v16
	;; [unrolled: 1-line block ×4, first 2 shown]
	v_or_b32_e32 v2, v86, v10
	v_add_u32_e32 v19, v3, v18
	v_add_u32_e32 v20, v3, v17
	v_or_b32_e32 v135, v13, v14
	v_add_u32_e32 v11, v3, v5
	v_or3_b32 v10, v86, v10, 64
	v_add_u32_e32 v12, 0xa000, v18
	v_add_u32_e32 v13, 0xa000, v17
	;; [unrolled: 1-line block ×3, first 2 shown]
	v_lshlrev_b64 v[6:7], 1, v[6:7]
	v_lshl_add_u64 v[80:81], s[8:9], 0, v[6:7]
	v_lshl_add_u64 v[82:83], s[18:19], 0, v[6:7]
	;; [unrolled: 1-line block ×3, first 2 shown]
	s_add_i32 s3, s48, 63
	v_lshlrev_b32_e32 v78, 1, v4
	v_lshlrev_b32_e32 v137, 2, v2
	v_add_u32_e32 v138, v19, v14
	v_add_u32_e32 v139, v20, v14
	;; [unrolled: 1-line block ×4, first 2 shown]
	v_lshlrev_b32_e32 v142, 2, v10
	v_add_u32_e32 v143, v12, v14
	v_add_u32_e32 v144, v13, v14
	;; [unrolled: 1-line block ×3, first 2 shown]
	v_mov_b32_e32 v8, v79
	v_mov_b32_e32 v9, v79
	;; [unrolled: 1-line block ×32, first 2 shown]
	s_waitcnt lgkmcnt(0)
	s_barrier
.LBB157_6:                              ; =>This Inner Loop Header: Depth=1
	s_add_i32 s68, s69, 1
	s_cmp_lt_i32 s68, s53
	s_mov_b64 s[28:29], 0
	s_cselect_b64 s[46:47], -1, 0
	s_cmp_ge_i32 s68, s53
	s_mov_b64 s[24:25], 0
	s_cbranch_scc1 .LBB157_8
; %bb.7:                                ;   in Loop: Header=BB157_6 Depth=1
	s_add_i32 s0, s62, 64
	s_add_u32 s0, s42, s0
	s_addc_u32 s1, s43, 0
	s_lshl_b64 s[0:1], s[0:1], 8
	s_add_u32 s24, s6, s0
	s_addc_u32 s25, s7, s1
.LBB157_8:                              ;   in Loop: Header=BB157_6 Depth=1
	v_cndmask_b32_e64 v34, 0, 1, s[46:47]
	v_cmp_ne_u32_e64 s[0:1], 1, v34
	s_andn2_b64 vcc, exec, s[46:47]
	s_cbranch_vccnz .LBB157_10
; %bb.9:                                ;   in Loop: Header=BB157_6 Depth=1
	s_add_i32 s28, s62, 64
	s_add_u32 s28, s48, s28
	s_addc_u32 s29, s65, 0
	s_mul_i32 s31, s28, s54
	s_mul_hi_u32 s46, s28, s58
	s_add_i32 s31, s46, s31
	s_mul_i32 s29, s29, s58
	s_add_i32 s31, s31, s29
	s_mul_i32 s28, s28, s58
	s_add_u32 s28, s28, s57
	s_addc_u32 s29, s31, s60
	s_lshl_b64 s[28:29], s[28:29], 8
	s_add_u32 s28, s4, s28
	s_addc_u32 s29, s5, s29
.LBB157_10:                             ;   in Loop: Header=BB157_6 Depth=1
	v_perm_b32 v35, v33, v32, s41
	v_perm_b32 v34, v31, v30, s41
	v_perm_b32 v37, v29, v28, s41
	v_perm_b32 v36, v27, v26, s41
	ds_write_b64 v99, v[34:35]
	ds_write_b64 v100, v[36:37]
	ds_write_b64 v103, v[34:35]
	ds_write_b64 v104, v[36:37]
	v_perm_b32 v35, v25, v24, s41
	v_perm_b32 v34, v23, v22, s41
	v_perm_b32 v37, v21, v20, s41
	v_perm_b32 v36, v19, v18, s41
	ds_write_b64 v101, v[34:35]
	ds_write_b64 v102, v[36:37]
	ds_write_b64 v105, v[34:35]
	ds_write_b64 v106, v[36:37]
	;; [unrolled: 8-line block ×4, first 2 shown]
	s_waitcnt lgkmcnt(0)
	s_barrier
	ds_read_b64 v[38:39], v115 offset:49152
	ds_read2_b64 v[34:37], v116 offset1:16
	ds_read_b64 v[50:51], v118 offset:6144
	ds_read_b64 v[52:53], v116 offset:6144
	s_waitcnt lgkmcnt(2)
	v_mfma_f32_16x16x16_bf16 a[0:3], v[38:39], v[34:35], 0
	ds_read_b64 v[54:55], v117 offset:49152
	ds_read2st64_b64 v[42:45], v119 offset0:4 offset1:8
	ds_read2st64_b64 v[46:49], v120 offset0:4 offset1:8
	v_mfma_f32_16x16x16_bf16 a[4:7], v[38:39], v[36:37], 0
	ds_read2_b64 v[34:37], v116 offset0:32 offset1:48
	s_add_i32 s31, s62, 63
	s_mul_i32 s46, s31, s39
	s_waitcnt lgkmcnt(0)
	v_mfma_f32_16x16x16_bf16 a[8:11], v[38:39], v[34:35], 0
	s_mul_hi_u32 s47, s31, s38
	s_add_i32 s47, s47, s46
	s_mul_i32 s46, s31, s38
	v_mfma_f32_16x16x16_bf16 a[12:15], v[38:39], v[36:37], 0
	ds_read2st64_b64 v[34:37], v116 offset0:4 offset1:8
	ds_read2st64_b64 v[38:41], v118 offset0:4 offset1:8
	s_lshl_b64 s[46:47], s[46:47], 2
	s_waitcnt lgkmcnt(1)
	v_mfma_f32_16x16x16_bf16 a[0:3], v[54:55], v[34:35], a[0:3]
	s_add_u32 s46, s44, s46
	s_addc_u32 s47, s45, s47
	s_and_b64 vcc, exec, s[0:1]
	s_waitcnt lgkmcnt(0)
	v_mfma_f32_16x16x16_bf16 a[4:7], v[54:55], v[38:39], a[4:7]
	v_mov_b32_e32 v148, 0
	v_mov_b32_e32 v147, 0
	;; [unrolled: 1-line block ×3, first 2 shown]
	v_mfma_f32_16x16x16_bf16 a[8:11], v[54:55], v[42:43], a[8:11]
	ds_read_b64 v[34:35], v121 offset:49152
	ds_read_b64 v[38:39], v122 offset:49152
	;; [unrolled: 1-line block ×3, first 2 shown]
	v_mfma_f32_16x16x16_bf16 a[12:15], v[54:55], v[46:47], a[12:15]
	v_mov_b32_e32 v46, 0
	v_mov_b32_e32 v47, 0
	s_waitcnt lgkmcnt(2)
	v_mfma_f32_16x16x16_bf16 a[0:3], v[34:35], v[36:37], a[0:3]
	v_mov_b32_e32 v36, 0
	v_mov_b32_e32 v37, 0
	v_mfma_f32_16x16x16_bf16 a[16:19], v[34:35], v[40:41], a[4:7]
	v_mov_b32_e32 v40, 0
	v_mov_b32_e32 v41, 0
	;; [unrolled: 3-line block ×3, first 2 shown]
	v_mfma_f32_16x16x16_bf16 a[24:27], v[34:35], v[48:49], a[12:15]
	ds_read_b64 v[34:35], v119 offset:6144
	v_mov_b32_e32 v48, 0
	v_mov_b32_e32 v49, 0
	s_waitcnt lgkmcnt(2)
	v_mfma_f32_16x16x16_bf16 a[4:7], v[38:39], v[52:53], a[0:3]
	v_mfma_f32_16x16x16_bf16 a[8:11], v[38:39], v[50:51], a[16:19]
	s_waitcnt lgkmcnt(0)
	v_mfma_f32_16x16x16_bf16 a[12:15], v[38:39], v[34:35], a[20:23]
	v_mov_b32_e32 v34, 0
	v_mov_b32_e32 v35, 0
	v_mfma_f32_16x16x16_bf16 a[0:3], v[38:39], v[42:43], a[24:27]
	v_mov_b32_e32 v38, 0
	v_mov_b32_e32 v39, 0
	;; [unrolled: 1-line block ×4, first 2 shown]
	s_cbranch_vccnz .LBB157_12
; %bb.11:                               ;   in Loop: Header=BB157_6 Depth=1
	s_and_b32 s25, s25, 0xffff
	buffer_load_dwordx4 v[46:49], v95, s[24:27], 0 offen
	buffer_load_dwordx4 v[42:45], v95, s[24:27], s61 offen
	;; [unrolled: 1-line block ×4, first 2 shown]
	v_mov_b32_e32 v147, v97
	v_mov_b32_e32 v146, v98
.LBB157_12:                             ;   in Loop: Header=BB157_6 Depth=1
	ds_read_b64 v[62:63], v115 offset:57344
	ds_read2_b64 v[50:53], v123 offset1:16
	ds_read_b64 v[66:67], v117 offset:57344
	ds_read_b64 v[68:69], v121 offset:57344
	;; [unrolled: 1-line block ×3, first 2 shown]
	v_add_u32_e32 v64, s62, v136
	s_waitcnt lgkmcnt(3)
	v_mfma_f32_16x16x16_bf16 a[4:7], v[62:63], v[50:51], a[4:7]
	v_mfma_f32_16x16x16_bf16 a[8:11], v[62:63], v[52:53], a[8:11]
	ds_read2_b64 v[50:53], v123 offset0:32 offset1:48
	ds_read2st64_b64 v[54:57], v123 offset0:4 offset1:8
	ds_read2st64_b64 v[58:61], v124 offset0:4 offset1:8
	s_waitcnt lgkmcnt(2)
	v_mfma_f32_16x16x16_bf16 a[12:15], v[62:63], v[50:51], a[12:15]
	v_ashrrev_i32_e32 v50, 31, v64
	v_mul_lo_u32 v65, v50, s38
	v_mad_u64_u32 v[50:51], s[24:25], v64, s38, 0
	v_mfma_f32_16x16x16_bf16 a[0:3], v[62:63], v[52:53], a[0:3]
	v_mul_lo_u32 v52, v64, s39
	v_add3_u32 v51, v51, v52, v65
	v_add_u32_e32 v52, 1, v64
	v_ashrrev_i32_e32 v53, 31, v52
	s_waitcnt lgkmcnt(1)
	v_mfma_f32_16x16x16_bf16 a[4:7], v[66:67], v[54:55], a[4:7]
	v_mul_lo_u32 v54, v53, s38
	v_mul_lo_u32 v55, v52, s39
	v_mad_u64_u32 v[52:53], s[24:25], v52, s38, 0
	v_add3_u32 v53, v53, v55, v54
	v_add_u32_e32 v54, 2, v64
	v_ashrrev_i32_e32 v55, 31, v54
	v_mul_lo_u32 v62, v55, s38
	v_mul_lo_u32 v63, v54, s39
	v_mad_u64_u32 v[54:55], s[24:25], v54, s38, 0
	v_add3_u32 v55, v55, v63, v62
	v_add_u32_e32 v62, 3, v64
	v_ashrrev_i32_e32 v63, 31, v62
	v_mul_lo_u32 v64, v63, s38
	v_mul_lo_u32 v65, v62, s39
	v_mad_u64_u32 v[62:63], s[24:25], v62, s38, 0
	s_add_u32 s24, s42, s62
	v_lshl_add_u64 v[50:51], v[50:51], 2, s[44:45]
	v_add3_u32 v63, v63, v65, v64
	s_addc_u32 s25, s43, 0
	v_lshl_add_u64 v[52:53], v[52:53], 2, s[44:45]
	global_load_dword v72, v[50:51], off
	v_lshl_add_u64 v[50:51], v[62:63], 2, s[44:45]
	s_lshl_b64 s[24:25], s[24:25], 8
	v_lshl_add_u64 v[54:55], v[54:55], 2, s[44:45]
	global_load_dword v73, v[52:53], off
	global_load_dword v74, v[54:55], off
	;; [unrolled: 1-line block ×3, first 2 shown]
	v_lshl_add_u64 v[50:51], v[80:81], 0, s[24:25]
	v_lshl_add_u64 v[54:55], v[50:51], 0, v[78:79]
	global_load_ushort v76, v[54:55], off offset:256
	global_load_ushort v149, v[54:55], off
	ds_read2st64_b64 v[50:53], v125 offset0:4 offset1:8
	global_load_ushort v150, v[54:55], off offset:768
	global_load_ushort v151, v[54:55], off offset:512
	ds_read2st64_b64 v[62:65], v126 offset0:4 offset1:8
	global_load_ushort v152, v[54:55], off offset:288
	global_load_ushort v153, v[54:55], off offset:32
	;; [unrolled: 1-line block ×4, first 2 shown]
	s_waitcnt lgkmcnt(2)
	v_mfma_f32_16x16x16_bf16 a[8:11], v[66:67], v[58:59], a[8:11]
	global_load_ushort v156, v[54:55], off offset:320
	global_load_ushort v157, v[54:55], off offset:64
	;; [unrolled: 1-line block ×4, first 2 shown]
	s_and_b64 vcc, exec, s[0:1]
	s_waitcnt lgkmcnt(1)
	v_mfma_f32_16x16x16_bf16 a[12:15], v[66:67], v[50:51], a[12:15]
	ds_read_b64 v[50:51], v123 offset:6144
	s_waitcnt lgkmcnt(1)
	v_mfma_f32_16x16x16_bf16 a[0:3], v[66:67], v[62:63], a[0:3]
	v_lshl_add_u64 v[62:63], v[82:83], 0, s[24:25]
	v_lshl_add_u64 v[62:63], v[62:63], 0, v[78:79]
	v_mfma_f32_16x16x16_bf16 a[4:7], v[68:69], v[56:57], a[4:7]
	v_mfma_f32_16x16x16_bf16 a[8:11], v[68:69], v[60:61], a[8:11]
	;; [unrolled: 1-line block ×4, first 2 shown]
	global_load_ushort v68, v[54:55], off offset:352
	global_load_ushort v69, v[54:55], off offset:96
	ds_read_b64 v[52:53], v124 offset:6144
	ds_read_b64 v[56:57], v125 offset:6144
	ds_read_b64 v[58:59], v126 offset:6144
	s_load_dword s46, s[46:47], 0x0
	global_load_ushort v160, v[54:55], off offset:864
	global_load_ushort v161, v[54:55], off offset:608
	s_waitcnt lgkmcnt(0)
	v_mfma_f32_16x16x16_bf16 a[4:7], v[70:71], v[50:51], a[4:7]
	s_waitcnt vmcnt(17)
	v_sub_f32_e32 v60, s46, v74
	v_mfma_f32_16x16x16_bf16 a[0:3], v[70:71], v[58:59], a[0:3]
	v_sub_f32_e32 v58, s46, v72
	v_sub_f32_e32 v59, s46, v73
	s_waitcnt vmcnt(16)
	v_sub_f32_e32 v61, s46, v75
	v_mfma_f32_16x16x16_bf16 a[8:11], v[70:71], v[52:53], a[8:11]
	v_exp_f32_e32 v58, v58
	v_exp_f32_e32 v59, v59
	v_exp_f32_e32 v60, v60
	v_exp_f32_e32 v61, v61
	v_accvgpr_read_b32 v67, a5
	s_waitcnt vmcnt(15)
	v_lshlrev_b32_e32 v65, 16, v76
	s_waitcnt vmcnt(14)
	v_lshlrev_b32_e32 v64, 16, v149
	v_accvgpr_read_b32 v66, a4
	v_accvgpr_read_b32 v51, a7
	;; [unrolled: 1-line block ×3, first 2 shown]
	v_pk_add_f32 v[64:65], v[64:65], v[66:67] neg_lo:[0,1] neg_hi:[0,1]
	s_waitcnt vmcnt(13)
	v_lshlrev_b32_e32 v67, 16, v150
	s_waitcnt vmcnt(12)
	v_lshlrev_b32_e32 v66, 16, v151
	v_pk_add_f32 v[50:51], v[66:67], v[50:51] neg_lo:[0,1] neg_hi:[0,1]
	global_store_short_d16_hi v[62:63], v64, off
	global_store_short_d16_hi v[62:63], v65, off offset:256
	global_store_short_d16_hi v[62:63], v50, off offset:512
	;; [unrolled: 1-line block ×3, first 2 shown]
	v_pk_mul_f32 v[64:65], v[58:59], v[64:65]
	v_pk_mul_f32 v[50:51], v[60:61], v[50:51]
	v_accvgpr_read_b32 v67, a9
	v_perm_b32 v64, v65, v64, s41
	v_perm_b32 v65, v51, v50, s41
	s_waitcnt vmcnt(15)
	v_lshlrev_b32_e32 v51, 16, v152
	s_waitcnt vmcnt(14)
	v_lshlrev_b32_e32 v50, 16, v153
	v_accvgpr_read_b32 v66, a8
	v_accvgpr_read_b32 v53, a11
	v_mfma_f32_16x16x16_bf16 a[12:15], v[70:71], v[56:57], a[12:15]
	v_accvgpr_read_b32 v52, a10
	v_pk_add_f32 v[50:51], v[50:51], v[66:67] neg_lo:[0,1] neg_hi:[0,1]
	s_waitcnt vmcnt(13)
	v_lshlrev_b32_e32 v67, 16, v154
	s_waitcnt vmcnt(12)
	v_lshlrev_b32_e32 v66, 16, v155
	v_pk_add_f32 v[52:53], v[66:67], v[52:53] neg_lo:[0,1] neg_hi:[0,1]
	global_store_short_d16_hi v[62:63], v50, off offset:32
	global_store_short_d16_hi v[62:63], v51, off offset:288
	;; [unrolled: 1-line block ×4, first 2 shown]
	v_pk_mul_f32 v[50:51], v[58:59], v[50:51]
	v_pk_mul_f32 v[52:53], v[60:61], v[52:53]
	v_accvgpr_read_b32 v55, a15
	v_perm_b32 v53, v53, v52, s41
	v_perm_b32 v52, v51, v50, s41
	ds_write2_b64 v100, v[64:65], v[52:53] offset1:16
	v_accvgpr_read_b32 v53, a13
	s_waitcnt vmcnt(15)
	v_lshlrev_b32_e32 v51, 16, v156
	s_waitcnt vmcnt(14)
	v_lshlrev_b32_e32 v50, 16, v157
	v_accvgpr_read_b32 v52, a12
	v_accvgpr_read_b32 v54, a14
	v_pk_add_f32 v[50:51], v[50:51], v[52:53] neg_lo:[0,1] neg_hi:[0,1]
	s_waitcnt vmcnt(13)
	v_lshlrev_b32_e32 v53, 16, v158
	s_waitcnt vmcnt(12)
	v_lshlrev_b32_e32 v52, 16, v159
	v_pk_add_f32 v[52:53], v[52:53], v[54:55] neg_lo:[0,1] neg_hi:[0,1]
	global_store_short_d16_hi v[62:63], v50, off offset:64
	global_store_short_d16_hi v[62:63], v51, off offset:320
	;; [unrolled: 1-line block ×4, first 2 shown]
	v_pk_mul_f32 v[50:51], v[58:59], v[50:51]
	v_pk_mul_f32 v[52:53], v[60:61], v[52:53]
	v_accvgpr_read_b32 v55, a1
	v_perm_b32 v50, v51, v50, s41
	v_perm_b32 v51, v53, v52, s41
	s_waitcnt vmcnt(15)
	v_lshlrev_b32_e32 v53, 16, v68
	s_waitcnt vmcnt(14)
	v_lshlrev_b32_e32 v52, 16, v69
	v_accvgpr_read_b32 v54, a0
	v_accvgpr_read_b32 v57, a3
	;; [unrolled: 1-line block ×3, first 2 shown]
	v_pk_add_f32 v[52:53], v[52:53], v[54:55] neg_lo:[0,1] neg_hi:[0,1]
	s_waitcnt vmcnt(13)
	v_lshlrev_b32_e32 v55, 16, v160
	s_waitcnt vmcnt(12)
	v_lshlrev_b32_e32 v54, 16, v161
	v_pk_add_f32 v[54:55], v[54:55], v[56:57] neg_lo:[0,1] neg_hi:[0,1]
	global_store_short_d16_hi v[62:63], v52, off offset:96
	global_store_short_d16_hi v[62:63], v53, off offset:352
	global_store_short_d16_hi v[62:63], v54, off offset:608
	global_store_short_d16_hi v[62:63], v55, off offset:864
	v_pk_mul_f32 v[52:53], v[58:59], v[52:53]
	v_pk_mul_f32 v[54:55], v[60:61], v[54:55]
	v_mov_b32_e32 v149, 0
	v_perm_b32 v55, v55, v54, s41
	v_perm_b32 v54, v53, v52, s41
	ds_write2_b64 v100, v[50:51], v[54:55] offset0:32 offset1:48
	v_mov_b32_e32 v50, 0
	v_mov_b32_e32 v51, 0
	v_mov_b32_e32 v52, 0
	v_mov_b32_e32 v53, 0
	v_mov_b32_e32 v54, 0
	v_mov_b32_e32 v55, 0
	v_mov_b32_e32 v56, 0
	v_mov_b32_e32 v57, 0
	v_mov_b32_e32 v58, 0
	v_mov_b32_e32 v59, 0
	v_mov_b32_e32 v60, 0
	v_mov_b32_e32 v61, 0
	v_mov_b32_e32 v62, 0
	v_mov_b32_e32 v63, 0
	v_mov_b32_e32 v64, 0
	v_mov_b32_e32 v65, 0
	s_cbranch_vccnz .LBB157_14
; %bb.13:                               ;   in Loop: Header=BB157_6 Depth=1
	s_and_b32 s29, s29, 0xffff
	s_mov_b32 s31, s27
	buffer_load_dwordx4 v[62:65], v133, s[28:31], 0 offen
	buffer_load_dwordx4 v[54:57], v133, s[28:31], s61 offen
	;; [unrolled: 1-line block ×4, first 2 shown]
	v_mov_b32_e32 v148, v94
	v_mov_b32_e32 v149, v93
.LBB157_14:                             ;   in Loop: Header=BB157_6 Depth=1
	s_waitcnt lgkmcnt(0)
	s_barrier
	ds_read_b64 v[74:75], v138
	ds_read2_b64 v[66:69], v129 offset1:16
	ds_read_b64 v[166:167], v139
	ds_read_b64 v[168:169], v140
	;; [unrolled: 1-line block ×3, first 2 shown]
	ds_read2_b64 v[70:73], v129 offset0:32 offset1:48
	ds_read2st64_b64 v[150:153], v129 offset0:4 offset1:8
	ds_read2st64_b64 v[154:157], v130 offset0:4 offset1:8
	;; [unrolled: 1-line block ×4, first 2 shown]
	s_waitcnt lgkmcnt(8)
	v_mfma_f32_16x16x16_bf16 a[0:3], v[74:75], v[66:67], 0
	s_add_i32 s24, s55, s69
	s_mul_hi_i32 s25, s24, s13
	s_mul_i32 s24, s24, s13
	v_mfma_f32_16x16x16_bf16 a[4:7], v[74:75], v[68:69], 0
	s_add_u32 s24, s24, s33
	s_addc_u32 s25, s25, s59
	s_add_i32 s28, s3, s62
	s_waitcnt lgkmcnt(4)
	v_mfma_f32_16x16x16_bf16 a[8:11], v[74:75], v[70:71], 0
	s_lshl_b64 s[24:25], s[24:25], 15
	s_mul_hi_i32 s29, s28, s13
	s_mul_i32 s28, s28, s13
	v_mfma_f32_16x16x16_bf16 a[12:15], v[74:75], v[72:73], 0
	ds_read_b64 v[74:75], v129 offset:6144
	ds_read_b64 v[178:179], v130 offset:6144
	;; [unrolled: 1-line block ×4, first 2 shown]
	s_add_u32 s28, s28, s33
	s_waitcnt lgkmcnt(7)
	v_mfma_f32_16x16x16_bf16 a[0:3], v[166:167], v[150:151], a[0:3]
	s_addc_u32 s29, s29, s59
	s_lshl_b64 s[28:29], s[28:29], 9
	s_add_u32 s28, s36, s28
	s_waitcnt lgkmcnt(6)
	v_mfma_f32_16x16x16_bf16 a[4:7], v[166:167], v[154:155], a[4:7]
	s_addc_u32 s29, s37, s29
	v_lshl_add_u64 v[188:189], v[84:85], 0, s[24:25]
	s_waitcnt lgkmcnt(5)
	v_mfma_f32_16x16x16_bf16 a[8:11], v[166:167], v[158:159], a[8:11]
	s_waitcnt lgkmcnt(4)
	v_mfma_f32_16x16x16_bf16 a[12:15], v[166:167], v[162:163], a[12:15]
	ds_read_b64 v[166:167], v143
	ds_read_b64 v[176:177], v144
	;; [unrolled: 1-line block ×3, first 2 shown]
	s_waitcnt lgkmcnt(2)
	v_mfma_f32_16x16x16_bf16 a[16:19], v[166:167], v[66:67], 0
	v_mfma_f32_16x16x16_bf16 a[20:23], v[166:167], v[68:69], 0
	global_load_dwordx4 v[66:69], v142, s[28:29]
	v_mfma_f32_16x16x16_bf16 a[24:27], v[166:167], v[70:71], 0
	v_mfma_f32_16x16x16_bf16 a[28:31], v[166:167], v[72:73], 0
	global_load_dwordx4 v[70:73], v137, s[28:29]
	v_mfma_f32_16x16x16_bf16 a[0:3], v[168:169], v[152:153], a[0:3]
	v_mfma_f32_16x16x16_bf16 a[4:7], v[168:169], v[156:157], a[4:7]
	;; [unrolled: 1-line block ×8, first 2 shown]
	ds_read2st64_b64 v[166:169], v127 offset1:8
	ds_read2st64_b64 v[170:173], v128 offset1:8
	ds_read_b64 v[186:187], v135 offset:40960
	s_waitcnt lgkmcnt(2)
	v_mov_b32_e32 v174, v166
	v_mfma_f32_16x16x16_bf16 a[16:19], v[176:177], v[150:151], a[16:19]
	v_mov_b32_e32 v175, v167
	v_mfma_f32_16x16x16_bf16 a[20:23], v[176:177], v[154:155], a[20:23]
	v_mfma_f32_16x16x16_bf16 a[24:27], v[176:177], v[158:159], a[24:27]
	;; [unrolled: 1-line block ×3, first 2 shown]
	v_add_co_u32_e32 v162, vcc, s66, v188
	s_waitcnt lgkmcnt(1)
	v_mov_b32_e32 v176, v170
	s_waitcnt lgkmcnt(0)
	v_mfma_f32_16x16x16_bf16 a[16:19], v[186:187], v[152:153], a[16:19]
	ds_read2st64_b64 v[150:153], v127 offset0:16 offset1:24
	v_addc_co_u32_e32 v163, vcc, 0, v189, vcc
	v_mfma_f32_16x16x16_bf16 a[32:35], v[186:187], v[156:157], a[20:23]
	ds_read2st64_b64 v[154:157], v128 offset0:16 offset1:24
	v_mov_b32_e32 v177, v171
	v_mov_b32_e32 v170, v168
	v_mfma_f32_16x16x16_bf16 a[24:27], v[186:187], v[160:161], a[24:27]
	v_mov_b32_e32 v171, v169
	s_waitcnt lgkmcnt(0)
	v_mov_b32_e32 v160, v154
	v_mov_b32_e32 v161, v155
	v_mfma_f32_16x16x16_bf16 a[36:39], v[186:187], v[164:165], a[28:31]
	v_mov_b32_e32 v154, v152
	v_mov_b32_e32 v155, v153
	;; [unrolled: 1-line block ×3, first 2 shown]
	v_mfma_f32_16x16x16_bf16 a[20:23], v[184:185], v[74:75], a[16:19]
	v_add_co_u32_e32 v74, vcc, s67, v188
	v_mov_b32_e32 v159, v151
	v_mfma_f32_16x16x16_bf16 a[28:31], v[184:185], v[178:179], a[32:35]
	v_addc_co_u32_e32 v75, vcc, 0, v189, vcc
	global_store_dwordx4 v[74:75], v[154:157], off
	v_mfma_f32_16x16x16_bf16 a[16:19], v[184:185], v[180:181], a[24:27]
	s_waitcnt vmcnt(2)
	v_mov_b32_e32 v76, v69
	v_mov_b32_e32 v75, v68
	;; [unrolled: 1-line block ×3, first 2 shown]
	v_mfma_f32_16x16x16_bf16 a[24:27], v[184:185], v[182:183], a[36:39]
	s_and_b64 vcc, exec, s[0:1]
	global_store_dwordx4 v[188:189], v[174:177], off
	global_store_dwordx4 v[162:163], v[170:173], off offset:-4096
	global_store_dwordx4 v[162:163], v[158:161], off
	s_cbranch_vccnz .LBB157_16
; %bb.15:                               ;   in Loop: Header=BB157_6 Depth=1
	v_lshrrev_b32_e32 v67, 3, v148
	v_and_b32_e32 v67, 6, v67
	v_xor_b32_e32 v68, v67, v149
	v_lshlrev_b32_e32 v68, 2, v68
	v_and_b32_e32 v69, 8, v148
	v_xor_b32_e32 v148, 0x440, v68
	v_cmp_eq_u32_e32 vcc, 0, v69
	v_perm_b32 v69, v54, v50, s63
	s_nop 0
	v_cndmask_b32_e32 v68, v148, v68, vcc
	v_lshl_or_b32 v67, v67, 10, v68
	v_perm_b32 v68, v62, v58, s63
	s_barrier
	ds_write2st64_b32 v67, v68, v69 offset0:128 offset1:160
	v_xor_b32_e32 v68, 8, v67
	v_perm_b32 v58, v62, v58, s64
	v_perm_b32 v50, v54, v50, s64
	v_add_u32_e32 v54, 0x80, v68
	ds_write2st64_b32 v54, v58, v50 offset0:128 offset1:160
	v_xor_b32_e32 v50, 16, v67
	v_perm_b32 v54, v63, v59, s63
	v_perm_b32 v58, v55, v51, s63
	ds_write2st64_b32 v50, v54, v58 offset0:129 offset1:161
	v_xor_b32_e32 v50, 24, v67
	v_perm_b32 v54, v63, v59, s64
	v_perm_b32 v51, v55, v51, s64
	v_add_u32_e32 v50, 0x80, v50
	ds_write2st64_b32 v50, v54, v51 offset0:129 offset1:161
	v_xor_b32_e32 v50, 32, v67
	v_perm_b32 v51, v64, v60, s63
	v_perm_b32 v54, v56, v52, s63
	;; [unrolled: 9-line block ×3, first 2 shown]
	ds_write2st64_b32 v50, v51, v52 offset0:131 offset1:163
	v_xor_b32_e32 v50, 56, v67
	v_perm_b32 v51, v65, v61, s64
	v_perm_b32 v52, v57, v53, s64
	v_add_u32_e32 v50, 0x80, v50
	ds_write2st64_b32 v50, v51, v52 offset0:131 offset1:163
	ds_write_b64 v147, v[46:47] offset:49152
	v_xor_b32_e32 v46, 8, v147
	ds_write_b64 v46, v[48:49] offset:49152
	ds_write_b64 v147, v[42:43] offset:57344
	;; [unrolled: 1-line block ×4, first 2 shown]
	v_xor_b32_e32 v38, 8, v146
	ds_write_b64 v38, v[40:41] offset:49152
	ds_write_b64 v146, v[34:35] offset:57344
	;; [unrolled: 1-line block ×3, first 2 shown]
.LBB157_16:                             ;   in Loop: Header=BB157_6 Depth=1
	v_exp_f32_e32 v68, s46
	s_waitcnt vmcnt(4)
	v_exp_f32_e32 v70, v70
	v_exp_f32_e32 v71, v71
	;; [unrolled: 1-line block ×4, first 2 shown]
	v_accvgpr_read_b32 v37, a3
	v_accvgpr_read_b32 v36, a2
	;; [unrolled: 1-line block ×4, first 2 shown]
	v_pk_mul_f32 v[70:71], v[68:69], v[70:71] op_sel_hi:[0,1]
	v_pk_mul_f32 v[72:73], v[68:69], v[72:73] op_sel_hi:[0,1]
	v_pk_fma_f32 v[30:31], v[30:31], v[70:71], v[34:35]
	v_pk_fma_f32 v[32:33], v[32:33], v[72:73], v[36:37]
	v_exp_f32_e32 v34, v66
	v_exp_f32_e32 v35, v74
	;; [unrolled: 1-line block ×4, first 2 shown]
	v_accvgpr_read_b32 v41, a7
	v_accvgpr_read_b32 v45, a11
	;; [unrolled: 1-line block ×28, first 2 shown]
	v_pk_mul_f32 v[34:35], v[68:69], v[34:35] op_sel_hi:[0,1]
	v_pk_mul_f32 v[36:37], v[68:69], v[36:37] op_sel_hi:[0,1]
	s_add_i32 s62, s62, 64
	v_pk_fma_f32 v[22:23], v[70:71], v[22:23], v[38:39]
	v_pk_fma_f32 v[24:25], v[72:73], v[24:25], v[40:41]
	;; [unrolled: 1-line block ×13, first 2 shown]
	s_cmp_eq_u32 s53, s68
	v_pk_fma_f32 v[8:9], v[36:37], v[8:9], v[64:65]
	s_cbranch_scc1 .LBB157_18
; %bb.17:                               ;   in Loop: Header=BB157_6 Depth=1
	s_mov_b32 s69, s68
	s_branch .LBB157_6
.LBB157_18:
	s_lshl_b32 s46, s53, 6
	s_sub_i32 s47, s12, s46
	s_cmp_gt_i32 s47, 0
	v_or_b32_e32 v50, s2, v89
	s_cbranch_scc1 .LBB157_20
; %bb.19:
	s_ashr_i32 s0, s33, 31
	s_add_u32 s28, s50, s33
	s_addc_u32 s29, s56, s0
	v_or_b32_e32 v34, s2, v89
	s_cbranch_execz .LBB157_21
	s_branch .LBB157_101
.LBB157_20:
                                        ; implicit-def: $sgpr28_sgpr29
                                        ; implicit-def: $vgpr34
.LBB157_21:
	s_ashr_i32 s41, s52, 31
	s_ashr_i32 s3, s46, 31
	s_cmpk_lg_i32 s15, 0x80
	s_cselect_b64 s[42:43], -1, 0
	s_and_b64 vcc, exec, s[42:43]
	s_cbranch_vccz .LBB157_23
; %bb.22:
	s_mul_hi_i32 s0, s52, s12
	s_add_u32 s1, s48, s46
	s_addc_u32 s0, s0, s3
	s_mul_i32 s24, s1, s54
	s_mul_hi_u32 s25, s1, s14
	s_add_i32 s24, s25, s24
	s_mul_i32 s0, s0, s14
	s_add_i32 s24, s24, s0
	s_mul_i32 s1, s1, s14
	s_ashr_i32 s0, s57, 31
	s_add_u32 s44, s1, s57
	s_addc_u32 s45, s24, s0
	s_cbranch_execz .LBB157_24
	s_branch .LBB157_25
.LBB157_23:
                                        ; implicit-def: $sgpr44_sgpr45
.LBB157_24:
	s_mul_hi_i32 s0, s52, s14
	s_mul_i32 s52, s52, s14
	s_ashr_i32 s1, s57, 31
	s_add_u32 s14, s52, s57
	s_addc_u32 s0, s0, s1
	s_mul_i32 s1, s14, s51
	s_mul_hi_u32 s24, s14, s12
	s_add_i32 s1, s24, s1
	s_mul_i32 s0, s0, s12
	s_add_i32 s1, s1, s0
	s_mul_i32 s14, s14, s12
	s_add_u32 s44, s14, s46
	s_addc_u32 s45, s1, s3
.LBB157_25:
	s_add_i32 s24, s55, s53
	s_ashr_i32 s14, s33, 31
	s_add_u32 s28, s50, s33
	s_addc_u32 s29, s56, s14
	s_mul_i32 s0, s28, s51
	s_mul_hi_u32 s1, s28, s12
	s_add_i32 s0, s1, s0
	s_mul_i32 s1, s29, s12
	s_add_i32 s1, s0, s1
	s_mul_i32 s0, s28, s12
	s_add_u32 s0, s0, s46
	v_lshlrev_b32_e32 v38, 6, v1
	v_lshlrev_b32_e32 v59, 2, v89
	s_addc_u32 s1, s1, s3
	s_mov_b32 s3, 0x7060302
	v_or_b32_e32 v41, v38, v59
	v_xor_b32_e32 v39, v1, v59
	v_perm_b32 v35, v33, v32, s3
	v_perm_b32 v34, v31, v30, s3
	;; [unrolled: 1-line block ×4, first 2 shown]
	v_lshlrev_b32_e32 v41, 1, v41
	v_xor_b32_e32 v40, v92, v59
	ds_write2st64_b64 v41, v[34:35], v[36:37] offset0:32 offset1:48
	v_lshlrev_b32_e32 v39, 1, v39
	v_lshlrev_b32_e32 v41, 8, v89
	v_or_b32_e32 v42, v39, v41
	v_lshlrev_b32_e32 v40, 1, v40
	ds_write_b64 v42, v[34:35]
	v_or_b32_e32 v34, v40, v41
	v_or_b32_e32 v41, 16, v89
	v_lshlrev_b32_e32 v57, 2, v41
	v_or_b32_e32 v42, v38, v57
	ds_write_b64 v34, v[36:37]
	v_perm_b32 v35, v25, v24, s3
	v_perm_b32 v34, v23, v22, s3
	;; [unrolled: 1-line block ×4, first 2 shown]
	v_lshlrev_b32_e32 v42, 1, v42
	v_lshlrev_b32_e32 v41, 8, v41
	ds_write2st64_b64 v42, v[34:35], v[36:37] offset0:32 offset1:48
	v_or_b32_e32 v42, v39, v41
	ds_write_b64 v42, v[34:35]
	v_or_b32_e32 v34, v40, v41
	v_or_b32_e32 v41, 32, v89
	v_lshlrev_b32_e32 v56, 2, v41
	v_or_b32_e32 v42, v38, v56
	ds_write_b64 v34, v[36:37]
	v_perm_b32 v35, v17, v16, s3
	v_perm_b32 v34, v15, v14, s3
	;; [unrolled: 1-line block ×4, first 2 shown]
	v_lshlrev_b32_e32 v42, 1, v42
	v_lshlrev_b32_e32 v41, 8, v41
	s_lshl_b64 s[30:31], s[0:1], 8
	ds_write2st64_b64 v42, v[34:35], v[36:37] offset0:32 offset1:48
	v_or_b32_e32 v42, v39, v41
	s_add_u32 s0, s6, s30
	ds_write_b64 v42, v[34:35]
	v_or_b32_e32 v34, v40, v41
	s_addc_u32 s1, s7, s31
	ds_write_b64 v34, v[36:37]
	v_perm_b32 v35, v5, v4, s3
	v_perm_b32 v34, v3, v2, s3
	v_perm_b32 v37, v9, v8, s3
	v_perm_b32 v36, v7, v6, s3
	v_or_b32_e32 v41, 48, v89
	s_mul_hi_i32 s3, s24, s13
	s_mul_i32 s24, s24, s13
	v_lshlrev_b32_e32 v53, 2, v41
	s_add_u32 s6, s24, s33
	v_or_b32_e32 v38, v38, v53
	s_addc_u32 s7, s3, s14
	v_lshlrev_b32_e32 v38, 1, v38
	s_ashr_i32 s3, s2, 31
	s_lshl_b64 s[6:7], s[6:7], 15
	ds_write2st64_b64 v38, v[34:35], v[36:37] offset0:32 offset1:48
	v_lshlrev_b32_e32 v38, 8, v41
	s_add_u32 s6, s16, s6
	v_or_b32_e32 v39, v39, v38
	s_addc_u32 s7, s17, s7
	s_lshl_b64 s[2:3], s[2:3], 8
	ds_write_b64 v39, v[34:35]
	v_or_b32_e32 v34, v40, v38
	s_add_u32 s2, s6, s2
	v_lshlrev_b32_e32 v35, 1, v89
	ds_write_b64 v34, v[36:37]
	v_lshrrev_b32_e32 v34, 4, v0
	s_addc_u32 s3, s7, s3
	v_or_b32_e32 v36, 1, v35
	v_lshlrev_b32_e32 v42, 4, v89
	v_mov_b32_e32 v43, 0
	v_xor_b32_e32 v35, v34, v35
	v_xor_b32_e32 v38, v36, v34
	v_lshl_add_u64 v[44:45], s[2:3], 0, v[42:43]
	v_lshlrev_b32_e32 v42, 8, v34
	v_lshl_or_b32 v48, v35, 3, v42
	v_lshl_or_b32 v49, v38, 3, v42
	s_waitcnt lgkmcnt(0)
	s_barrier
	ds_read2st64_b64 v[34:37], v48 offset1:8
	ds_read2st64_b64 v[38:41], v49 offset1:8
	v_lshl_add_u64 v[46:47], v[44:45], 0, v[42:43]
	s_movk_i32 s2, 0x2000
	s_cmp_lg_u32 s47, 64
	s_waitcnt lgkmcnt(1)
	v_mov_b32_e32 v42, v34
	v_mov_b32_e32 v43, v35
	s_waitcnt lgkmcnt(0)
	v_mov_b32_e32 v44, v38
	v_mov_b32_e32 v45, v39
	global_store_dwordx4 v[46:47], v[42:45], off
	v_mov_b32_e32 v38, v36
	v_mov_b32_e32 v39, v37
	ds_read2st64_b64 v[34:37], v48 offset0:16 offset1:24
	ds_read2st64_b64 v[42:45], v49 offset0:16 offset1:24
	v_add_co_u32_e32 v48, vcc, s2, v46
	s_cselect_b64 s[6:7], -1, 0
	s_nop 0
	v_addc_co_u32_e32 v49, vcc, 0, v47, vcc
	global_store_dwordx4 v[48:49], v[38:41], off offset:-4096
	v_lshl_or_b32 v51, v77, 3, v91
	s_mov_b32 s24, 0
	s_waitcnt lgkmcnt(1)
	v_mov_b32_e32 v38, v34
	v_add_co_u32_e32 v34, vcc, 0x3000, v46
	v_mov_b32_e32 v39, v35
	s_nop 0
	v_addc_co_u32_e32 v35, vcc, 0, v47, vcc
	s_waitcnt lgkmcnt(0)
	v_mov_b32_e32 v40, v42
	v_mov_b32_e32 v41, v43
	;; [unrolled: 1-line block ×4, first 2 shown]
	v_or_b32_e32 v54, 32, v51
	v_and_b32_e32 v52, 56, v90
	s_and_b64 vcc, exec, s[6:7]
	global_store_dwordx4 v[48:49], v[38:41], off
	global_store_dwordx4 v[34:35], v[42:45], off
	s_cbranch_vccz .LBB157_31
; %bb.26:
	s_mov_b32 s26, s24
	s_mov_b32 s27, s24
	;; [unrolled: 1-line block ×3, first 2 shown]
	v_mov_b64_e32 v[40:41], s[26:27]
	v_mov_b64_e32 v[38:39], s[24:25]
	;; [unrolled: 1-line block ×3, first 2 shown]
	v_cmp_gt_i32_e32 vcc, s47, v51
	v_mov_b64_e32 v[36:37], v[40:41]
	s_and_saveexec_b64 s[2:3], vcc
	s_cbranch_execz .LBB157_28
; %bb.27:
	v_lshlrev_b32_e32 v34, 8, v51
	v_mov_b32_e32 v35, 0
	v_lshl_add_u64 v[36:37], s[0:1], 0, v[34:35]
	v_lshlrev_b32_e32 v34, 1, v52
	v_lshl_add_u64 v[42:43], v[36:37], 0, v[34:35]
	global_load_dwordx4 v[38:41], v[42:43], off
	global_load_dwordx4 v[34:37], v[42:43], off offset:128
.LBB157_28:
	s_or_b64 exec, exec, s[2:3]
	s_mov_b32 s26, s24
	s_mov_b32 s27, s24
	;; [unrolled: 1-line block ×3, first 2 shown]
	v_mov_b64_e32 v[48:49], s[26:27]
	v_mov_b64_e32 v[46:47], s[24:25]
	v_mov_b64_e32 v[42:43], v[46:47]
	v_cmp_gt_i32_e32 vcc, s47, v54
	v_lshlrev_b32_e32 v55, 7, v54
	v_mov_b64_e32 v[44:45], v[48:49]
	s_and_saveexec_b64 s[2:3], vcc
	s_cbranch_execz .LBB157_30
; %bb.29:
	v_lshlrev_b32_e32 v42, 1, v55
	v_mov_b32_e32 v43, 0
	v_lshl_add_u64 v[44:45], s[0:1], 0, v[42:43]
	v_lshlrev_b32_e32 v42, 1, v52
	v_lshl_add_u64 v[60:61], v[44:45], 0, v[42:43]
	global_load_dwordx4 v[46:49], v[60:61], off
	global_load_dwordx4 v[42:45], v[60:61], off offset:128
.LBB157_30:
	s_or_b64 exec, exec, s[2:3]
	v_lshrrev_b32_e32 v58, 3, v52
	v_lshlrev_b32_e32 v60, 3, v51
	v_or_b32_e32 v58, v60, v58
	v_lshlrev_b32_e32 v58, 4, v58
	v_and_b32_e32 v60, 0x78, v60
	v_xor_b32_e32 v58, v58, v60
	s_branch .LBB157_33
.LBB157_31:
                                        ; implicit-def: $vgpr58
                                        ; implicit-def: $vgpr55
                                        ; implicit-def: $vgpr38_vgpr39_vgpr40_vgpr41
                                        ; implicit-def: $vgpr34_vgpr35_vgpr36_vgpr37
                                        ; implicit-def: $vgpr46_vgpr47_vgpr48_vgpr49
                                        ; implicit-def: $vgpr42_vgpr43_vgpr44_vgpr45
	s_cbranch_execz .LBB157_33
; %bb.32:
	s_waitcnt vmcnt(0)
	v_lshlrev_b32_e32 v34, 1, v52
	v_lshl_or_b32 v55, v51, 8, v34
	s_and_b32 s1, s1, 0xffff
	s_mov_b32 s3, 0x20000
	s_movk_i32 s2, 0x4000
	v_lshl_or_b32 v58, v54, 8, v34
	s_movk_i32 s16, 0x80
	buffer_load_dwordx4 v[38:41], v55, s[0:3], 0 offen
	buffer_load_dwordx4 v[34:37], v55, s[0:3], s16 offen
	;; [unrolled: 1-line block ×4, first 2 shown]
	v_lshrrev_b32_e32 v55, 3, v52
	v_lshlrev_b32_e32 v58, 3, v51
	v_or_b32_e32 v55, v58, v55
	v_lshlrev_b32_e32 v55, 4, v55
	v_and_b32_e32 v58, 0x78, v58
	v_xor_b32_e32 v58, v55, v58
	v_lshlrev_b32_e32 v55, 7, v54
.LBB157_33:
	s_movk_i32 s0, 0x1000
	v_and_or_b32 v54, v55, s0, v58
	s_waitcnt vmcnt(1)
	ds_write_b64 v58, v[38:39] offset:49152
	v_xor_b32_e32 v38, 8, v58
	ds_write_b64 v38, v[40:41] offset:49152
	s_waitcnt vmcnt(0)
	ds_write_b64 v58, v[34:35] offset:57344
	ds_write_b64 v38, v[36:37] offset:57344
	;; [unrolled: 1-line block ×3, first 2 shown]
	v_xor_b32_e32 v34, 8, v54
	ds_write_b64 v34, v[48:49] offset:49152
	ds_write_b64 v54, v[42:43] offset:57344
	;; [unrolled: 1-line block ×3, first 2 shown]
	v_or_b32_e32 v34, v86, v89
	v_lshlrev_b32_e32 v34, 3, v34
	v_lshrrev_b32_e32 v35, 5, v87
	s_movk_i32 s0, 0xf8
	v_and_or_b32 v35, v34, s0, v35
	v_lshlrev_b32_e32 v39, 4, v35
	v_lshlrev_b32_e32 v58, 11, v77
	v_and_b32_e32 v40, 0x78, v34
	v_or_b32_e32 v42, 32, v39
	v_and_b32_e32 v38, 0x1000, v58
	v_lshrrev_b32_e32 v35, 1, v87
	v_xor_b32_e32 v42, v42, v40
	v_xor_b32_e32 v34, v39, v40
	v_and_b32_e32 v41, 8, v35
	v_or_b32_e32 v42, v42, v38
	v_or_b32_e32 v34, v34, v38
	v_xor_b32_e32 v65, v42, v41
	v_or_b32_e32 v42, 64, v39
	v_xor_b32_e32 v64, v34, v41
	v_xor_b32_e32 v42, v42, v40
	s_waitcnt lgkmcnt(0)
	s_barrier
	v_or_b32_e32 v45, v42, v38
	ds_read_b64 v[42:43], v64 offset:49152
	v_lshl_or_b32 v46, v88, 8, v59
	v_lshlrev_b32_e32 v60, 1, v46
	v_add_u32_e32 v44, 0x4000, v60
	ds_read2_b64 v[34:37], v44 offset1:16
	v_or_b32_e32 v39, 0x60, v39
	v_xor_b32_e32 v39, v39, v40
	v_or_b32_e32 v38, v39, v38
	v_xor_b32_e32 v66, v45, v41
	v_xor_b32_e32 v67, v38, v41
	ds_read_b64 v[54:55], v65 offset:49152
	ds_read_b64 v[68:69], v66 offset:49152
	;; [unrolled: 1-line block ×3, first 2 shown]
	s_waitcnt lgkmcnt(3)
	v_mfma_f32_16x16x16_bf16 a[0:3], v[42:43], v[34:35], 0
	ds_read2_b64 v[38:41], v44 offset0:32 offset1:48
	s_lshl_b64 s[0:1], s[44:45], 8
	s_add_u32 s4, s4, s0
	v_mfma_f32_16x16x16_bf16 a[4:7], v[42:43], v[36:37], 0
	ds_read2st64_b64 v[34:37], v60 offset0:36 offset1:40
	s_addc_u32 s5, s5, s1
	s_add_i32 s16, s12, -1
	s_waitcnt lgkmcnt(1)
	v_mfma_f32_16x16x16_bf16 a[8:11], v[42:43], v[38:39], 0
	v_or_b32_e32 v38, 64, v46
	v_lshlrev_b32_e32 v61, 1, v38
	s_add_i32 s0, s49, s21
	s_waitcnt lgkmcnt(0)
	v_mfma_f32_16x16x16_bf16 a[0:3], v[54:55], v[34:35], a[0:3]
	v_or_b32_e32 v34, 0x80, v46
	v_lshlrev_b32_e32 v62, 1, v34
	v_or_b32_e32 v34, 0xc0, v46
	v_mfma_f32_16x16x16_bf16 a[12:15], v[42:43], v[40:41], 0
	ds_read2st64_b64 v[38:41], v61 offset0:36 offset1:40
	v_lshlrev_b32_e32 v63, 1, v34
	ds_read2st64_b64 v[42:45], v62 offset0:36 offset1:40
	ds_read2st64_b64 v[46:49], v63 offset0:36 offset1:40
	s_mul_i32 s41, s41, s20
	s_add_i32 s41, s0, s41
	s_mul_i32 s0, s33, s23
	s_mul_hi_u32 s1, s33, s22
	s_ashr_i32 s2, s16, 31
	s_mul_i32 s3, s16, s39
	s_mul_hi_u32 s12, s16, s38
	s_waitcnt lgkmcnt(2)
	v_mfma_f32_16x16x16_bf16 a[4:7], v[54:55], v[38:39], a[4:7]
	s_add_i32 s0, s1, s0
	s_mul_i32 s1, s14, s22
	s_add_i32 s3, s12, s3
	s_mul_i32 s2, s2, s38
	s_waitcnt lgkmcnt(1)
	v_mfma_f32_16x16x16_bf16 a[8:11], v[54:55], v[42:43], a[8:11]
	s_add_i32 s1, s0, s1
	s_add_i32 s3, s3, s2
	s_lshl_b64 s[20:21], s[40:41], 2
	s_waitcnt lgkmcnt(0)
	v_mfma_f32_16x16x16_bf16 a[12:15], v[54:55], v[46:47], a[12:15]
	s_mul_i32 s0, s33, s22
	s_add_u32 s10, s10, s20
	s_addc_u32 s11, s11, s21
	s_lshl_b64 s[0:1], s[0:1], 2
	v_mfma_f32_16x16x16_bf16 a[0:3], v[68:69], v[36:37], a[0:3]
	s_mul_i32 s2, s16, s38
	ds_read_b64 v[34:35], v60 offset:22528
	s_add_u32 s10, s10, s0
	v_mfma_f32_16x16x16_bf16 a[4:7], v[68:69], v[40:41], a[4:7]
	ds_read_b64 v[36:37], v61 offset:22528
	ds_read_b64 v[38:39], v62 offset:22528
	;; [unrolled: 1-line block ×3, first 2 shown]
	s_addc_u32 s11, s11, s1
	s_lshl_b64 s[0:1], s[2:3], 2
	v_mfma_f32_16x16x16_bf16 a[8:11], v[68:69], v[44:45], a[8:11]
	s_add_u32 s0, s10, s0
	s_addc_u32 s1, s11, s1
	s_load_dword s12, s[0:1], 0x0
	v_mfma_f32_16x16x16_bf16 a[12:15], v[68:69], v[48:49], a[12:15]
	s_and_b64 vcc, exec, s[42:43]
	s_waitcnt lgkmcnt(0)
	v_mfma_f32_16x16x16_bf16 a[0:3], v[70:71], v[34:35], a[0:3]
	v_mfma_f32_16x16x16_bf16 a[4:7], v[70:71], v[36:37], a[4:7]
	;; [unrolled: 1-line block ×4, first 2 shown]
	s_cbranch_vccz .LBB157_44
; %bb.34:
	v_lshlrev_b32_e32 v54, 1, v51
	s_and_b64 vcc, exec, s[6:7]
	s_cbranch_vccz .LBB157_45
; %bb.35:
	v_cmp_gt_i32_e32 vcc, s47, v54
	v_mov_b32_e32 v38, 0
	v_mov_b32_e32 v34, 0
	;; [unrolled: 1-line block ×5, first 2 shown]
	s_and_saveexec_b64 s[0:1], vcc
	s_cbranch_execz .LBB157_37
; %bb.36:
	v_mad_i64_i32 v[34:35], s[2:3], s15, v54, 0
	v_lshl_add_u64 v[34:35], v[34:35], 1, s[4:5]
	v_lshlrev_b32_e32 v36, 1, v52
	v_mov_b32_e32 v37, 0
	v_lshl_add_u64 v[34:35], v[34:35], 0, v[36:37]
	global_load_dwordx4 v[34:37], v[34:35], off
.LBB157_37:
	s_or_b64 exec, exec, s[0:1]
	v_or_b32_e32 v55, 1, v54
	v_cmp_gt_i32_e64 s[0:1], s47, v55
	v_mov_b32_e32 v39, 0
	v_mov_b32_e32 v40, 0
	;; [unrolled: 1-line block ×3, first 2 shown]
	s_and_saveexec_b64 s[2:3], s[0:1]
	s_cbranch_execz .LBB157_39
; %bb.38:
	v_mad_i64_i32 v[38:39], s[20:21], s15, v55, 0
	v_lshl_add_u64 v[38:39], v[38:39], 1, s[4:5]
	v_lshlrev_b32_e32 v40, 1, v52
	v_mov_b32_e32 v41, 0
	v_lshl_add_u64 v[38:39], v[38:39], 0, v[40:41]
	global_load_dwordx4 v[38:41], v[38:39], off
.LBB157_39:
	s_or_b64 exec, exec, s[2:3]
	v_mov_b32_e32 v49, 0
	v_mov_b32_e32 v42, 0
	v_mov_b32_e32 v43, 0
	v_mov_b32_e32 v44, 0
	v_mov_b32_e32 v45, 0
	s_and_saveexec_b64 s[2:3], vcc
	s_cbranch_execz .LBB157_41
; %bb.40:
	v_mad_i64_i32 v[42:43], s[20:21], s15, v54, 0
	v_lshl_add_u64 v[42:43], v[42:43], 1, s[4:5]
	v_lshlrev_b32_e32 v44, 1, v52
	v_mov_b32_e32 v45, 0
	v_lshl_add_u64 v[42:43], v[42:43], 0, v[44:45]
	global_load_dwordx4 v[42:45], v[42:43], off offset:128
.LBB157_41:
	s_or_b64 exec, exec, s[2:3]
	v_mov_b32_e32 v48, 0
	v_mov_b32_e32 v47, 0
	;; [unrolled: 1-line block ×3, first 2 shown]
	s_and_saveexec_b64 s[2:3], s[0:1]
	s_cbranch_execz .LBB157_43
; %bb.42:
	v_mad_i64_i32 v[46:47], s[0:1], s15, v55, 0
	v_lshl_add_u64 v[46:47], v[46:47], 1, s[4:5]
	v_lshlrev_b32_e32 v48, 1, v52
	v_mov_b32_e32 v49, 0
	v_lshl_add_u64 v[46:47], v[46:47], 0, v[48:49]
	global_load_dwordx4 v[46:49], v[46:47], off offset:128
.LBB157_43:
	s_or_b64 exec, exec, s[2:3]
	s_branch .LBB157_47
.LBB157_44:
                                        ; implicit-def: $vgpr37
                                        ; implicit-def: $vgpr41
                                        ; implicit-def: $vgpr45
                                        ; implicit-def: $vgpr49
	v_lshrrev_b32_e32 v68, 2, v87
	s_branch .LBB157_48
.LBB157_45:
                                        ; implicit-def: $vgpr37
                                        ; implicit-def: $vgpr41
                                        ; implicit-def: $vgpr45
                                        ; implicit-def: $vgpr49
	s_cbranch_execz .LBB157_47
; %bb.46:
	s_waitcnt vmcnt(0)
	v_mad_u64_u32 v[34:35], s[0:1], v54, s15, v[52:53]
	v_lshlrev_b32_e32 v54, 1, v34
	s_lshl_b32 s2, s15, 7
	s_and_b32 s1, s5, 0xffff
	s_mov_b32 s3, 0x20000
	s_mov_b32 s0, s4
	v_add_lshl_u32 v55, v34, s15, 1
	s_movk_i32 s15, 0x80
	buffer_load_dwordx4 v[34:37], v54, s[0:3], 0 offen
	buffer_load_dwordx4 v[42:45], v54, s[0:3], s15 offen
	;; [unrolled: 1-line block ×4, first 2 shown]
.LBB157_47:
	v_lshrrev_b32_e32 v68, 2, v87
	s_cbranch_execnz .LBB157_60
.LBB157_48:
	s_and_b64 vcc, exec, s[6:7]
	s_cbranch_vccz .LBB157_58
; %bb.49:
	s_waitcnt vmcnt(0)
	v_lshlrev_b32_e32 v39, 1, v51
	v_cmp_gt_i32_e32 vcc, s47, v39
	v_mov_b32_e32 v38, 0
	v_lshlrev_b32_e32 v46, 9, v51
	v_mov_b32_e32 v34, 0
	v_mov_b32_e32 v35, 0
	;; [unrolled: 1-line block ×4, first 2 shown]
	s_and_saveexec_b64 s[0:1], vcc
	s_cbranch_execz .LBB157_51
; %bb.50:
	v_mov_b32_e32 v47, 0
	v_lshl_add_u64 v[34:35], s[4:5], 0, v[46:47]
	v_lshlrev_b32_e32 v36, 1, v52
	v_mov_b32_e32 v37, v47
	v_lshl_add_u64 v[34:35], v[34:35], 0, v[36:37]
	global_load_dwordx4 v[34:37], v[34:35], off
.LBB157_51:
	s_or_b64 exec, exec, s[0:1]
	v_or_b32_e32 v39, 1, v39
	v_cmp_gt_i32_e64 s[0:1], s47, v39
	v_lshlrev_b32_e32 v54, 8, v39
	v_mov_b32_e32 v39, 0
	v_mov_b32_e32 v40, 0
	;; [unrolled: 1-line block ×3, first 2 shown]
	s_and_saveexec_b64 s[2:3], s[0:1]
	s_cbranch_execz .LBB157_53
; %bb.52:
	v_mov_b32_e32 v55, 0
	v_lshl_add_u64 v[38:39], s[4:5], 0, v[54:55]
	v_lshlrev_b32_e32 v40, 1, v52
	v_mov_b32_e32 v41, v55
	v_lshl_add_u64 v[38:39], v[38:39], 0, v[40:41]
	global_load_dwordx4 v[38:41], v[38:39], off
.LBB157_53:
	s_or_b64 exec, exec, s[2:3]
	v_mov_b32_e32 v49, 0
	v_mov_b32_e32 v42, 0
	;; [unrolled: 1-line block ×5, first 2 shown]
	s_and_saveexec_b64 s[2:3], vcc
	s_cbranch_execz .LBB157_55
; %bb.54:
	v_mov_b32_e32 v47, 0
	v_lshl_add_u64 v[42:43], s[4:5], 0, v[46:47]
	v_lshlrev_b32_e32 v46, 1, v52
	v_lshl_add_u64 v[42:43], v[42:43], 0, v[46:47]
	global_load_dwordx4 v[42:45], v[42:43], off offset:128
.LBB157_55:
	s_or_b64 exec, exec, s[2:3]
	v_mov_b32_e32 v48, 0
	v_mov_b32_e32 v47, 0
	;; [unrolled: 1-line block ×3, first 2 shown]
	s_and_saveexec_b64 s[2:3], s[0:1]
	s_cbranch_execz .LBB157_57
; %bb.56:
	v_mov_b32_e32 v55, 0
	v_lshl_add_u64 v[46:47], s[4:5], 0, v[54:55]
	v_lshlrev_b32_e32 v54, 1, v52
	v_lshl_add_u64 v[46:47], v[46:47], 0, v[54:55]
	global_load_dwordx4 v[46:49], v[46:47], off offset:128
.LBB157_57:
	s_or_b64 exec, exec, s[2:3]
	s_branch .LBB157_60
.LBB157_58:
                                        ; implicit-def: $vgpr37
                                        ; implicit-def: $vgpr41
                                        ; implicit-def: $vgpr45
                                        ; implicit-def: $vgpr49
	s_cbranch_execz .LBB157_60
; %bb.59:
	s_waitcnt vmcnt(0)
	v_lshlrev_b32_e32 v34, 1, v52
	v_lshl_or_b32 v52, v51, 9, v34
	s_and_b32 s5, s5, 0xffff
	s_mov_b32 s7, 0x20000
	s_movk_i32 s6, 0x4000
	s_movk_i32 s0, 0x80
	buffer_load_dwordx4 v[34:37], v52, s[4:7], 0 offen
	buffer_load_dwordx4 v[38:41], v52, s[4:7], 0 offen offset:256
	buffer_load_dwordx4 v[42:45], v52, s[4:7], s0 offen
	buffer_load_dwordx4 v[46:49], v52, s[4:7], s0 offen offset:256
.LBB157_60:
	ds_read_b64 v[54:55], v64 offset:57344
	v_add_u32_e32 v52, 0x6000, v60
	ds_read2_b64 v[70:73], v52 offset1:16
	ds_read_b64 v[82:83], v65 offset:57344
	ds_read_b64 v[84:85], v66 offset:57344
	;; [unrolled: 1-line block ×3, first 2 shown]
	ds_read2_b64 v[64:67], v52 offset0:32 offset1:48
	v_and_b32_e32 v52, 12, v68
	v_and_b32_e32 v76, 6, v0
	v_xor_b32_e32 v51, v51, v76
	v_lshlrev_b32_e32 v51, 2, v51
	s_mov_b32 s0, 0x1000504
	s_waitcnt lgkmcnt(4)
	v_mfma_f32_16x16x16_bf16 a[4:7], v[54:55], v[72:73], a[4:7]
	s_mov_b32 s1, 0x3020706
	v_mfma_f32_16x16x16_bf16 a[0:3], v[54:55], v[70:71], a[0:3]
	ds_read2st64_b64 v[68:71], v60 offset0:52 offset1:56
	s_waitcnt lgkmcnt(1)
	v_mfma_f32_16x16x16_bf16 a[8:11], v[54:55], v[64:65], a[8:11]
	v_mfma_f32_16x16x16_bf16 a[12:15], v[54:55], v[66:67], a[12:15]
	ds_read2st64_b64 v[64:67], v61 offset0:52 offset1:56
	ds_read2st64_b64 v[72:75], v62 offset0:52 offset1:56
	;; [unrolled: 1-line block ×3, first 2 shown]
	s_waitcnt lgkmcnt(2)
	v_mfma_f32_16x16x16_bf16 a[4:7], v[82:83], v[64:65], a[4:7]
	v_and_b32_e32 v64, 1, v0
	v_xor_b32_e32 v65, 0x440, v51
	v_cmp_eq_u32_e32 vcc, 0, v64
	v_mfma_f32_16x16x16_bf16 a[0:3], v[82:83], v[68:69], a[0:3]
	s_waitcnt vmcnt(0)
	v_perm_b32 v64, v34, v38, s0
	v_cndmask_b32_e32 v51, v65, v51, vcc
	v_lshl_or_b32 v51, v76, 10, v51
	s_waitcnt lgkmcnt(1)
	v_mfma_f32_16x16x16_bf16 a[8:11], v[82:83], v[72:73], a[8:11]
	v_perm_b32 v65, v42, v46, s0
	ds_read_b64 v[54:55], v60 offset:30720
	ds_read_b64 v[68:69], v61 offset:30720
	;; [unrolled: 1-line block ×4, first 2 shown]
	ds_write2st64_b32 v51, v64, v65 offset0:128 offset1:160
	s_waitcnt lgkmcnt(5)
	v_mfma_f32_16x16x16_bf16 a[12:15], v[82:83], v[78:79], a[12:15]
	v_xor_b32_e32 v64, 8, v51
	v_perm_b32 v34, v34, v38, s1
	v_perm_b32 v38, v42, v46, s1
	v_add_u32_e32 v42, 0x80, v64
	ds_write2st64_b32 v42, v34, v38 offset0:128 offset1:160
	v_xor_b32_e32 v34, 16, v51
	v_perm_b32 v38, v35, v39, s0
	v_perm_b32 v42, v43, v47, s0
	v_mfma_f32_16x16x16_bf16 a[0:3], v[84:85], v[70:71], a[0:3]
	ds_write2st64_b32 v34, v38, v42 offset0:129 offset1:161
	v_xor_b32_e32 v34, 24, v51
	v_perm_b32 v35, v35, v39, s1
	v_mfma_f32_16x16x16_bf16 a[4:7], v[84:85], v[66:67], a[4:7]
	v_perm_b32 v38, v43, v47, s1
	v_add_u32_e32 v34, 0x80, v34
	ds_write2st64_b32 v34, v35, v38 offset0:129 offset1:161
	v_mfma_f32_16x16x16_bf16 a[16:19], v[84:85], v[74:75], a[8:11]
	v_xor_b32_e32 v34, 32, v51
	v_perm_b32 v35, v36, v40, s0
	v_perm_b32 v38, v44, v48, s0
	v_mfma_f32_16x16x16_bf16 a[20:23], v[84:85], v[80:81], a[12:15]
	ds_write2st64_b32 v34, v35, v38 offset0:130 offset1:162
	v_xor_b32_e32 v34, 40, v51
	v_perm_b32 v35, v36, v40, s1
	s_waitcnt lgkmcnt(8)
	v_mfma_f32_16x16x16_bf16 a[12:15], v[88:89], v[54:55], a[0:3]
	v_perm_b32 v36, v44, v48, s1
	v_add_u32_e32 v34, 0x80, v34
	ds_write2st64_b32 v34, v35, v36 offset0:130 offset1:162
	s_waitcnt lgkmcnt(8)
	v_mfma_f32_16x16x16_bf16 a[8:11], v[88:89], v[68:69], a[4:7]
	v_xor_b32_e32 v34, 48, v51
	v_perm_b32 v35, v37, v41, s0
	v_perm_b32 v36, v45, v49, s0
	s_waitcnt lgkmcnt(7)
	v_mfma_f32_16x16x16_bf16 a[4:7], v[88:89], v[90:91], a[16:19]
	ds_write2st64_b32 v34, v35, v36 offset0:131 offset1:163
	v_xor_b32_e32 v34, 56, v51
	v_or_b32_e32 v54, v52, v86
	s_waitcnt lgkmcnt(7)
	v_mfma_f32_16x16x16_bf16 a[0:3], v[88:89], v[92:93], a[20:23]
	v_perm_b32 v35, v37, v41, s1
	v_perm_b32 v36, v45, v49, s1
	v_add_u32_e32 v34, 0x80, v34
	v_cmp_gt_i32_e64 s[0:1], s47, v54
	v_mov_b32_e32 v64, 0
	v_mov_b32_e32 v65, 0
	ds_write2st64_b32 v34, v35, v36 offset0:131 offset1:163
	s_and_saveexec_b64 s[2:3], s[0:1]
	s_cbranch_execz .LBB157_62
; %bb.61:
	v_add_u32_e32 v34, s46, v54
	v_ashrrev_i32_e32 v35, 31, v34
	v_mul_lo_u32 v36, v35, s38
	v_mul_lo_u32 v37, v34, s39
	v_mad_u64_u32 v[34:35], s[4:5], v34, s38, 0
	v_add3_u32 v35, v35, v37, v36
	v_lshl_add_u64 v[34:35], v[34:35], 2, s[10:11]
	global_load_dword v34, v[34:35], off
	s_waitcnt vmcnt(0)
	v_sub_f32_e32 v34, s12, v34
	v_exp_f32_e32 v65, v34
.LBB157_62:
	s_or_b64 exec, exec, s[2:3]
	v_or_b32_e32 v46, 1, v54
	v_cmp_gt_i32_e64 s[4:5], s47, v46
	s_and_saveexec_b64 s[2:3], s[4:5]
	s_cbranch_execz .LBB157_64
; %bb.63:
	v_add_u32_e32 v34, s46, v46
	v_ashrrev_i32_e32 v35, 31, v34
	v_mul_lo_u32 v36, v35, s38
	v_mul_lo_u32 v37, v34, s39
	v_mad_u64_u32 v[34:35], s[6:7], v34, s38, 0
	v_add3_u32 v35, v35, v37, v36
	v_lshl_add_u64 v[34:35], v[34:35], 2, s[10:11]
	global_load_dword v34, v[34:35], off
	s_waitcnt vmcnt(0)
	v_sub_f32_e32 v34, s12, v34
	v_exp_f32_e32 v64, v34
.LBB157_64:
	s_or_b64 exec, exec, s[2:3]
	v_or_b32_e32 v42, 2, v54
	v_cmp_gt_i32_e64 s[2:3], s47, v42
	v_mov_b32_e32 v55, 0
	v_mov_b32_e32 v66, 0
	s_and_saveexec_b64 s[6:7], s[2:3]
	s_cbranch_execz .LBB157_66
; %bb.65:
	v_add_u32_e32 v34, s46, v42
	v_ashrrev_i32_e32 v35, 31, v34
	v_mul_lo_u32 v36, v35, s38
	v_mul_lo_u32 v37, v34, s39
	v_mad_u64_u32 v[34:35], s[20:21], v34, s38, 0
	v_add3_u32 v35, v35, v37, v36
	v_lshl_add_u64 v[34:35], v[34:35], 2, s[10:11]
	global_load_dword v34, v[34:35], off
	s_waitcnt vmcnt(0)
	v_sub_f32_e32 v34, s12, v34
	v_exp_f32_e32 v66, v34
.LBB157_66:
	s_or_b64 exec, exec, s[6:7]
	v_or_b32_e32 v43, 3, v54
	v_cmp_gt_i32_e32 vcc, s47, v43
	s_and_saveexec_b64 s[6:7], vcc
	s_cbranch_execz .LBB157_68
; %bb.67:
	v_add_u32_e32 v34, s46, v43
	v_ashrrev_i32_e32 v35, 31, v34
	v_mul_lo_u32 v36, v35, s38
	v_mul_lo_u32 v37, v34, s39
	v_mad_u64_u32 v[34:35], s[20:21], v34, s38, 0
	v_add3_u32 v35, v35, v37, v36
	v_lshl_add_u64 v[34:35], v[34:35], 2, s[10:11]
	global_load_dword v34, v[34:35], off
	s_waitcnt vmcnt(0)
	v_sub_f32_e32 v34, s12, v34
	v_exp_f32_e32 v55, v34
.LBB157_68:
	s_or_b64 exec, exec, s[6:7]
	s_add_u32 s6, s8, s30
	s_addc_u32 s7, s9, s31
	s_add_u32 s8, s18, s30
	v_ashrrev_i32_e32 v51, 31, v50
	v_accvgpr_read_b32 v37, a15
	s_addc_u32 s9, s19, s31
	v_lshlrev_b64 v[38:39], 1, v[50:51]
	v_accvgpr_read_b32 v36, a14
	v_accvgpr_read_b32 v35, a13
	;; [unrolled: 1-line block ×3, first 2 shown]
	v_lshl_add_u64 v[40:41], s[6:7], 0, v[38:39]
	v_lshl_add_u64 v[38:39], s[8:9], 0, v[38:39]
	v_mov_b32_e32 v47, 0
	v_lshlrev_b32_e32 v44, 8, v54
	v_mov_b32_e32 v45, 0
	s_and_saveexec_b64 s[6:7], s[0:1]
	s_cbranch_execz .LBB157_70
; %bb.69:
	v_mov_b32_e32 v45, 0
	v_lshl_add_u64 v[48:49], v[40:41], 0, v[44:45]
	global_load_ushort v51, v[48:49], off
	v_lshl_add_u64 v[48:49], v[38:39], 0, v[44:45]
	s_waitcnt vmcnt(0)
	v_lshlrev_b32_e32 v45, 16, v51
	v_sub_f32_e32 v34, v45, v34
	global_store_short_d16_hi v[48:49], v34, off
	v_mul_f32_e32 v34, v65, v34
	v_lshrrev_b32_e32 v45, 16, v34
.LBB157_70:
	s_or_b64 exec, exec, s[6:7]
	v_lshlrev_b32_e32 v46, 8, v46
	s_and_saveexec_b64 s[6:7], s[4:5]
	s_cbranch_execz .LBB157_72
; %bb.71:
	v_mov_b32_e32 v47, 0
	v_lshl_add_u64 v[48:49], v[40:41], 0, v[46:47]
	global_load_ushort v34, v[48:49], off
	v_lshl_add_u64 v[48:49], v[38:39], 0, v[46:47]
	s_waitcnt vmcnt(0)
	v_lshlrev_b32_e32 v34, 16, v34
	v_sub_f32_e32 v34, v34, v35
	global_store_short_d16_hi v[48:49], v34, off
	v_mul_f32_e32 v34, v64, v34
	v_lshrrev_b32_e32 v47, 16, v34
.LBB157_72:
	s_or_b64 exec, exec, s[6:7]
	v_mov_b32_e32 v67, 0
	v_lshlrev_b32_e32 v48, 8, v42
	v_mov_b32_e32 v49, 0
	s_and_saveexec_b64 s[6:7], s[2:3]
	s_cbranch_execz .LBB157_74
; %bb.73:
	v_mov_b32_e32 v49, 0
	v_lshl_add_u64 v[34:35], v[40:41], 0, v[48:49]
	global_load_ushort v42, v[34:35], off
	v_lshl_add_u64 v[34:35], v[38:39], 0, v[48:49]
	s_waitcnt vmcnt(0)
	v_lshlrev_b32_e32 v42, 16, v42
	v_sub_f32_e32 v36, v42, v36
	global_store_short_d16_hi v[34:35], v36, off
	v_mul_f32_e32 v34, v66, v36
	v_lshrrev_b32_e32 v49, 16, v34
.LBB157_74:
	s_or_b64 exec, exec, s[6:7]
	v_lshlrev_b32_e32 v42, 8, v43
	s_and_saveexec_b64 s[6:7], vcc
	s_cbranch_execz .LBB157_76
; %bb.75:
	v_mov_b32_e32 v43, 0
	v_lshl_add_u64 v[34:35], v[40:41], 0, v[42:43]
	global_load_ushort v36, v[34:35], off
	v_lshl_add_u64 v[34:35], v[38:39], 0, v[42:43]
	s_waitcnt vmcnt(0)
	v_lshlrev_b32_e32 v36, 16, v36
	v_sub_f32_e32 v36, v36, v37
	global_store_short_d16_hi v[34:35], v36, off
	v_mul_f32_e32 v34, v55, v36
	v_lshrrev_b32_e32 v67, 16, v34
.LBB157_76:
	s_or_b64 exec, exec, s[6:7]
	v_lshlrev_b32_e32 v51, 6, v54
	v_accvgpr_read_b32 v37, a11
	s_mov_b32 s6, 0x5040100
	v_or_b32_e32 v43, v51, v59
	v_accvgpr_read_b32 v36, a10
	v_accvgpr_read_b32 v35, a9
	;; [unrolled: 1-line block ×3, first 2 shown]
	v_perm_b32 v69, v67, v49, s6
	v_perm_b32 v68, v47, v45, s6
	v_lshlrev_b32_e32 v43, 1, v43
	v_mov_b32_e32 v47, 0
	v_mov_b32_e32 v45, 0
	ds_write_b64 v43, v[68:69] offset:24576
	s_and_saveexec_b64 s[6:7], s[0:1]
	s_cbranch_execz .LBB157_78
; %bb.77:
	v_mov_b32_e32 v45, 0
	v_lshl_add_u64 v[68:69], v[40:41], 0, v[44:45]
	global_load_ushort v43, v[68:69], off offset:32
	v_lshl_add_u64 v[68:69], v[38:39], 0, v[44:45]
	s_waitcnt vmcnt(0)
	v_lshlrev_b32_e32 v43, 16, v43
	v_sub_f32_e32 v34, v43, v34
	global_store_short_d16_hi v[68:69], v34, off offset:32
	v_mul_f32_e32 v34, v65, v34
	v_lshrrev_b32_e32 v45, 16, v34
.LBB157_78:
	s_or_b64 exec, exec, s[6:7]
	s_and_saveexec_b64 s[6:7], s[4:5]
	s_cbranch_execz .LBB157_80
; %bb.79:
	v_mov_b32_e32 v47, 0
	v_lshl_add_u64 v[68:69], v[40:41], 0, v[46:47]
	global_load_ushort v34, v[68:69], off offset:32
	v_lshl_add_u64 v[68:69], v[38:39], 0, v[46:47]
	s_waitcnt vmcnt(0)
	v_lshlrev_b32_e32 v34, 16, v34
	v_sub_f32_e32 v34, v34, v35
	global_store_short_d16_hi v[68:69], v34, off offset:32
	v_mul_f32_e32 v34, v64, v34
	v_lshrrev_b32_e32 v47, 16, v34
.LBB157_80:
	s_or_b64 exec, exec, s[6:7]
	v_mov_b32_e32 v43, 0
	v_mov_b32_e32 v49, 0
	s_and_saveexec_b64 s[6:7], s[2:3]
	s_cbranch_execz .LBB157_82
; %bb.81:
	v_mov_b32_e32 v49, 0
	v_lshl_add_u64 v[34:35], v[40:41], 0, v[48:49]
	global_load_ushort v59, v[34:35], off offset:32
	v_lshl_add_u64 v[34:35], v[38:39], 0, v[48:49]
	s_waitcnt vmcnt(0)
	v_lshlrev_b32_e32 v49, 16, v59
	v_sub_f32_e32 v36, v49, v36
	global_store_short_d16_hi v[34:35], v36, off offset:32
	v_mul_f32_e32 v34, v66, v36
	v_lshrrev_b32_e32 v49, 16, v34
.LBB157_82:
	s_or_b64 exec, exec, s[6:7]
	s_and_saveexec_b64 s[6:7], vcc
	s_cbranch_execz .LBB157_84
; %bb.83:
	v_mov_b32_e32 v43, 0
	v_lshl_add_u64 v[34:35], v[40:41], 0, v[42:43]
	global_load_ushort v36, v[34:35], off offset:32
	v_lshl_add_u64 v[34:35], v[38:39], 0, v[42:43]
	s_waitcnt vmcnt(0)
	v_lshlrev_b32_e32 v36, 16, v36
	v_sub_f32_e32 v36, v36, v37
	global_store_short_d16_hi v[34:35], v36, off offset:32
	v_mul_f32_e32 v34, v55, v36
	v_lshrrev_b32_e32 v43, 16, v34
.LBB157_84:
	s_or_b64 exec, exec, s[6:7]
	s_mov_b32 s6, 0x5040100
	v_accvgpr_read_b32 v37, a7
	v_perm_b32 v69, v43, v49, s6
	v_or_b32_e32 v43, v51, v57
	v_accvgpr_read_b32 v36, a6
	v_accvgpr_read_b32 v35, a5
	;; [unrolled: 1-line block ×3, first 2 shown]
	v_perm_b32 v68, v47, v45, s6
	v_lshlrev_b32_e32 v43, 1, v43
	v_mov_b32_e32 v47, 0
	v_mov_b32_e32 v45, 0
	ds_write_b64 v43, v[68:69] offset:24576
	s_and_saveexec_b64 s[6:7], s[0:1]
	s_cbranch_execz .LBB157_86
; %bb.85:
	v_mov_b32_e32 v45, 0
	v_lshl_add_u64 v[68:69], v[40:41], 0, v[44:45]
	global_load_ushort v43, v[68:69], off offset:64
	v_lshl_add_u64 v[68:69], v[38:39], 0, v[44:45]
	s_waitcnt vmcnt(0)
	v_lshlrev_b32_e32 v43, 16, v43
	v_sub_f32_e32 v34, v43, v34
	global_store_short_d16_hi v[68:69], v34, off offset:64
	v_mul_f32_e32 v34, v65, v34
	v_lshrrev_b32_e32 v45, 16, v34
.LBB157_86:
	s_or_b64 exec, exec, s[6:7]
	s_and_saveexec_b64 s[6:7], s[4:5]
	s_cbranch_execz .LBB157_88
; %bb.87:
	v_mov_b32_e32 v47, 0
	v_lshl_add_u64 v[68:69], v[40:41], 0, v[46:47]
	global_load_ushort v34, v[68:69], off offset:64
	v_lshl_add_u64 v[68:69], v[38:39], 0, v[46:47]
	s_waitcnt vmcnt(0)
	v_lshlrev_b32_e32 v34, 16, v34
	v_sub_f32_e32 v34, v34, v35
	global_store_short_d16_hi v[68:69], v34, off offset:64
	v_mul_f32_e32 v34, v64, v34
	v_lshrrev_b32_e32 v47, 16, v34
.LBB157_88:
	s_or_b64 exec, exec, s[6:7]
	v_mov_b32_e32 v43, 0
	v_mov_b32_e32 v49, 0
	s_and_saveexec_b64 s[6:7], s[2:3]
	s_cbranch_execz .LBB157_90
; %bb.89:
	v_mov_b32_e32 v49, 0
	v_lshl_add_u64 v[34:35], v[40:41], 0, v[48:49]
	global_load_ushort v57, v[34:35], off offset:64
	v_lshl_add_u64 v[34:35], v[38:39], 0, v[48:49]
	s_waitcnt vmcnt(0)
	v_lshlrev_b32_e32 v49, 16, v57
	v_sub_f32_e32 v36, v49, v36
	global_store_short_d16_hi v[34:35], v36, off offset:64
	v_mul_f32_e32 v34, v66, v36
	v_lshrrev_b32_e32 v49, 16, v34
.LBB157_90:
	s_or_b64 exec, exec, s[6:7]
	s_and_saveexec_b64 s[6:7], vcc
	s_cbranch_execz .LBB157_92
; %bb.91:
	v_mov_b32_e32 v43, 0
	v_lshl_add_u64 v[34:35], v[40:41], 0, v[42:43]
	global_load_ushort v36, v[34:35], off offset:64
	v_lshl_add_u64 v[34:35], v[38:39], 0, v[42:43]
	s_waitcnt vmcnt(0)
	v_lshlrev_b32_e32 v36, 16, v36
	v_sub_f32_e32 v36, v36, v37
	global_store_short_d16_hi v[34:35], v36, off offset:64
	v_mul_f32_e32 v34, v55, v36
	v_lshrrev_b32_e32 v43, 16, v34
.LBB157_92:
	s_or_b64 exec, exec, s[6:7]
	s_mov_b32 s6, 0x5040100
	v_accvgpr_read_b32 v37, a3
	v_perm_b32 v69, v43, v49, s6
	v_or_b32_e32 v43, v51, v56
	v_accvgpr_read_b32 v36, a2
	v_accvgpr_read_b32 v35, a1
	;; [unrolled: 1-line block ×3, first 2 shown]
	v_perm_b32 v68, v47, v45, s6
	v_lshlrev_b32_e32 v43, 1, v43
	v_mov_b32_e32 v47, 0
	v_mov_b32_e32 v45, 0
	ds_write_b64 v43, v[68:69] offset:24576
	s_and_saveexec_b64 s[6:7], s[0:1]
	s_cbranch_execz .LBB157_94
; %bb.93:
	v_mov_b32_e32 v45, 0
	v_lshl_add_u64 v[56:57], v[40:41], 0, v[44:45]
	global_load_ushort v43, v[56:57], off offset:96
	v_lshl_add_u64 v[44:45], v[38:39], 0, v[44:45]
	s_waitcnt vmcnt(0)
	v_lshlrev_b32_e32 v43, 16, v43
	v_sub_f32_e32 v34, v43, v34
	global_store_short_d16_hi v[44:45], v34, off offset:96
	v_mul_f32_e32 v34, v65, v34
	v_lshrrev_b32_e32 v45, 16, v34
.LBB157_94:
	s_or_b64 exec, exec, s[6:7]
	s_and_saveexec_b64 s[0:1], s[4:5]
	s_cbranch_execz .LBB157_96
; %bb.95:
	v_mov_b32_e32 v47, 0
	v_lshl_add_u64 v[56:57], v[40:41], 0, v[46:47]
	global_load_ushort v34, v[56:57], off offset:96
	v_lshl_add_u64 v[46:47], v[38:39], 0, v[46:47]
	s_waitcnt vmcnt(0)
	v_lshlrev_b32_e32 v34, 16, v34
	v_sub_f32_e32 v34, v34, v35
	global_store_short_d16_hi v[46:47], v34, off offset:96
	v_mul_f32_e32 v34, v64, v34
	v_lshrrev_b32_e32 v47, 16, v34
.LBB157_96:
	s_or_b64 exec, exec, s[0:1]
	v_mov_b32_e32 v43, 0
	v_mov_b32_e32 v46, 0
	s_and_saveexec_b64 s[0:1], s[2:3]
	s_cbranch_execz .LBB157_98
; %bb.97:
	v_mov_b32_e32 v49, 0
	v_lshl_add_u64 v[34:35], v[40:41], 0, v[48:49]
	global_load_ushort v44, v[34:35], off offset:96
	v_lshl_add_u64 v[34:35], v[38:39], 0, v[48:49]
	s_waitcnt vmcnt(0)
	v_lshlrev_b32_e32 v44, 16, v44
	v_sub_f32_e32 v36, v44, v36
	global_store_short_d16_hi v[34:35], v36, off offset:96
	v_mul_f32_e32 v34, v66, v36
	v_lshrrev_b32_e32 v46, 16, v34
.LBB157_98:
	s_or_b64 exec, exec, s[0:1]
	v_or_b32_e32 v34, 0x6000, v60
	v_or_b32_e32 v35, 0x6000, v61
	;; [unrolled: 1-line block ×4, first 2 shown]
	s_and_saveexec_b64 s[0:1], vcc
	s_cbranch_execz .LBB157_100
; %bb.99:
	v_mov_b32_e32 v43, 0
	v_lshl_add_u64 v[40:41], v[40:41], 0, v[42:43]
	global_load_ushort v40, v[40:41], off offset:96
	v_lshl_add_u64 v[38:39], v[38:39], 0, v[42:43]
	s_waitcnt vmcnt(0)
	v_lshlrev_b32_e32 v40, 16, v40
	v_sub_f32_e32 v37, v40, v37
	global_store_short_d16_hi v[38:39], v37, off offset:96
	v_mul_f32_e32 v37, v55, v37
	v_lshrrev_b32_e32 v43, 16, v37
.LBB157_100:
	s_or_b64 exec, exec, s[0:1]
	s_mov_b32 s0, 0x5040100
	v_or_b32_e32 v37, v51, v53
	v_perm_b32 v39, v43, v46, s0
	v_perm_b32 v38, v47, v45, s0
	v_lshlrev_b32_e32 v37, 1, v37
	ds_write_b64 v37, v[38:39] offset:24576
	v_and_b32_e32 v37, 7, v0
	v_and_b32_e32 v42, 8, v0
	v_lshlrev_b32_e32 v45, 3, v37
	v_lshlrev_b32_e32 v51, 7, v37
	v_lshrrev_b32_e32 v37, 1, v0
	v_and_b32_e32 v37, 24, v37
	v_mov_b32_e32 v43, 0x400
	v_cmp_eq_u32_e32 vcc, 0, v42
	s_movk_i32 s2, 0x100
	v_lshlrev_b32_e32 v55, 3, v77
	v_cndmask_b32_e64 v53, v43, 64, vcc
	v_mov_b32_e32 v42, 0xa000
	v_mov_b32_e32 v43, 0x8000
	v_cmp_gt_u32_e64 s[0:1], s2, v0
	v_xor_b32_e32 v59, v55, v37
	v_or_b32_e32 v46, 32, v37
	v_cndmask_b32_e64 v0, v42, v43, s[0:1]
	v_or_b32_e32 v42, 0x440, v59
	v_cndmask_b32_e32 v42, v42, v59, vcc
	v_or_b32_e32 v42, v42, v58
	v_xor_b32_e32 v82, v42, v45
	v_xor_b32_e32 v46, v55, v46
	v_add3_u32 v42, v0, v82, v51
	v_or_b32_e32 v47, 0x440, v46
	s_waitcnt lgkmcnt(0)
	s_barrier
	ds_read_b64 v[42:43], v42
	v_cndmask_b32_e32 v46, v47, v46, vcc
	v_or_b32_e32 v46, v46, v58
	v_xor_b32_e32 v83, v46, v45
	v_add3_u32 v46, v0, v83, v51
	ds_read_b64 v[56:57], v46
	ds_read2_b64 v[38:41], v34 offset1:16
	ds_read2_b64 v[46:49], v34 offset0:32 offset1:48
	v_or_b32_e32 v37, 0x60, v37
	s_add_i32 s0, s16, s48
	v_xor_b32_e32 v37, v55, v37
	s_waitcnt lgkmcnt(1)
	v_mfma_f32_16x16x16_bf16 a[0:3], v[42:43], v[38:39], 0
	s_mul_hi_i32 s1, s0, s13
	s_mul_i32 s0, s0, s13
	ds_read2st64_b64 v[60:63], v34 offset0:4 offset1:8
	v_mfma_f32_16x16x16_bf16 a[4:7], v[42:43], v[40:41], 0
	ds_read2st64_b64 v[64:67], v35 offset0:4 offset1:8
	s_add_u32 s0, s0, s33
	ds_read2st64_b64 v[68:71], v36 offset0:4 offset1:8
	s_waitcnt lgkmcnt(3)
	v_mfma_f32_16x16x16_bf16 a[8:11], v[42:43], v[46:47], 0
	ds_read2st64_b64 v[72:75], v44 offset0:4 offset1:8
	s_addc_u32 s1, s1, s14
	s_lshl_b64 s[0:1], s[0:1], 9
	v_mfma_f32_16x16x16_bf16 a[12:15], v[42:43], v[48:49], 0
	v_or3_b32 v42, v58, v53, v59
	v_xor_b32_e32 v53, 0x440, v37
	v_cndmask_b32_e32 v37, v53, v37, vcc
	v_xor_b32_e32 v42, v42, v45
	v_or_b32_e32 v37, v37, v58
	v_or_b32_e32 v84, v42, v51
	v_xor_b32_e32 v85, v37, v45
	v_or_b32_e32 v42, v0, v84
	v_add3_u32 v0, v0, v85, v51
	s_add_u32 s0, s36, s0
	ds_read_b64 v[42:43], v42
	ds_read_b64 v[58:59], v0
	s_addc_u32 s1, s37, s1
	v_lshlrev_b32_e32 v0, 2, v54
	s_waitcnt lgkmcnt(5)
	v_mfma_f32_16x16x16_bf16 a[0:3], v[56:57], v[60:61], a[0:3]
	v_lshlrev_b32_e32 v37, 2, v52
	s_waitcnt lgkmcnt(4)
	v_mfma_f32_16x16x16_bf16 a[4:7], v[56:57], v[64:65], a[4:7]
	s_waitcnt lgkmcnt(3)
	v_mfma_f32_16x16x16_bf16 a[8:11], v[56:57], v[68:69], a[8:11]
	;; [unrolled: 2-line block ×3, first 2 shown]
	global_load_dwordx4 v[54:57], v0, s[0:1]
	v_lshlrev_b32_e32 v0, 6, v77
	v_or3_b32 v0, v0, v37, s2
	global_load_dwordx4 v[76:79], v0, s[0:1]
	s_waitcnt lgkmcnt(1)
	v_mfma_f32_16x16x16_bf16 a[0:3], v[42:43], v[62:63], a[0:3]
	v_exp_f32_e32 v0, s12
	s_waitcnt vmcnt(1)
	v_exp_f32_e32 v37, v57
	v_mfma_f32_16x16x16_bf16 a[4:7], v[42:43], v[66:67], a[4:7]
	v_mfma_f32_16x16x16_bf16 a[8:11], v[42:43], v[70:71], a[8:11]
	;; [unrolled: 1-line block ×3, first 2 shown]
	ds_read_b64 v[42:43], v34 offset:6144
	ds_read_b64 v[52:53], v35 offset:6144
	ds_read_b64 v[80:81], v36 offset:6144
	ds_read_b64 v[44:45], v44 offset:6144
	v_exp_f32_e32 v34, v54
	v_add_u32_e32 v54, v82, v51
	v_exp_f32_e32 v35, v55
	ds_read_b64 v[54:55], v54 offset:40960
	s_waitcnt lgkmcnt(4)
	v_mfma_f32_16x16x16_bf16 a[0:3], v[58:59], v[42:43], a[0:3]
	v_exp_f32_e32 v36, v56
	v_pk_mul_f32 v[34:35], v[0:1], v[34:35] op_sel_hi:[0,1]
	v_pk_mul_f32 v[30:31], v[30:31], v[34:35]
	s_waitcnt lgkmcnt(3)
	v_mfma_f32_16x16x16_bf16 a[4:7], v[58:59], v[52:53], a[4:7]
	v_pk_mul_f32 v[36:37], v[0:1], v[36:37] op_sel_hi:[0,1]
	v_pk_mul_f32 v[32:33], v[32:33], v[36:37]
	v_pk_mul_f32 v[22:23], v[34:35], v[22:23]
	s_waitcnt lgkmcnt(0)
	v_mfma_f32_16x16x16_bf16 a[20:23], v[54:55], v[40:41], 0
	v_accvgpr_read_b32 v40, a0
	v_add_f32_e32 v30, v30, v40
	v_accvgpr_read_b32 v40, a1
	v_add_f32_e32 v31, v31, v40
	;; [unrolled: 2-line block ×4, first 2 shown]
	v_accvgpr_read_b32 v40, a4
	v_add_u32_e32 v56, v83, v51
	v_add_f32_e32 v22, v22, v40
	v_accvgpr_read_b32 v40, a5
	v_mfma_f32_16x16x16_bf16 a[8:11], v[58:59], v[80:81], a[8:11]
	v_add_u32_e32 v51, v85, v51
	v_add_f32_e32 v23, v23, v40
	v_pk_mul_f32 v[24:25], v[36:37], v[24:25]
	v_mfma_f32_16x16x16_bf16 a[12:15], v[58:59], v[44:45], a[12:15]
	ds_read_b64 v[56:57], v56 offset:40960
	ds_read_b64 v[58:59], v51 offset:40960
	;; [unrolled: 1-line block ×3, first 2 shown]
	v_pk_mul_f32 v[14:15], v[34:35], v[14:15]
	v_mfma_f32_16x16x16_bf16 a[16:19], v[54:55], v[38:39], 0
	v_pk_mul_f32 v[16:17], v[36:37], v[16:17]
	s_nop 0
	v_accvgpr_read_b32 v39, a15
	v_mfma_f32_16x16x16_bf16 a[24:27], v[54:55], v[46:47], 0
	v_accvgpr_read_b32 v46, a6
	v_add_f32_e32 v24, v24, v46
	v_accvgpr_read_b32 v46, a7
	s_waitcnt lgkmcnt(2)
	v_mfma_f32_16x16x16_bf16 a[0:3], v[56:57], v[60:61], a[16:19]
	v_add_f32_e32 v25, v25, v46
	v_accvgpr_read_b32 v46, a8
	v_add_f32_e32 v14, v14, v46
	v_accvgpr_read_b32 v46, a9
	;; [unrolled: 2-line block ×4, first 2 shown]
	v_accvgpr_read_b32 v38, a14
	v_mfma_f32_16x16x16_bf16 a[14:17], v[56:57], v[64:65], a[20:23]
	v_add_f32_e32 v17, v17, v46
	v_accvgpr_read_b32 v47, a13
	v_accvgpr_read_b32 v46, a12
	s_waitcnt lgkmcnt(0)
	v_mfma_f32_16x16x16_bf16 a[0:3], v[40:41], v[62:63], a[0:3]
	v_pk_fma_f32 v[2:3], v[34:35], v[2:3], v[46:47]
	v_pk_fma_f32 v[4:5], v[36:37], v[4:5], v[38:39]
	s_waitcnt vmcnt(0)
	v_mov_b32_e32 v34, v77
	v_mfma_f32_16x16x16_bf16 a[28:31], v[54:55], v[48:49], 0
	v_mov_b32_e32 v35, v78
	v_mov_b32_e32 v36, v79
	v_exp_f32_e32 v38, v76
	v_exp_f32_e32 v39, v34
	v_mfma_f32_16x16x16_bf16 a[18:21], v[56:57], v[68:69], a[24:27]
	v_exp_f32_e32 v34, v35
	v_exp_f32_e32 v35, v36
	v_pk_mul_f32 v[36:37], v[0:1], v[38:39] op_sel_hi:[0,1]
	v_mfma_f32_16x16x16_bf16 a[14:17], v[40:41], v[66:67], a[14:17]
	v_pk_mul_f32 v[26:27], v[26:27], v[36:37]
	v_pk_mul_f32 v[34:35], v[0:1], v[34:35] op_sel_hi:[0,1]
	v_pk_mul_f32 v[28:29], v[28:29], v[34:35]
	v_mfma_f32_16x16x16_bf16 a[0:3], v[58:59], v[42:43], a[0:3]
	v_pk_mul_f32 v[18:19], v[36:37], v[18:19]
	v_pk_mul_f32 v[20:21], v[34:35], v[20:21]
	;; [unrolled: 1-line block ×3, first 2 shown]
	v_mfma_f32_16x16x16_bf16 a[4:7], v[56:57], v[72:73], a[28:31]
	v_pk_mul_f32 v[12:13], v[34:35], v[12:13]
	v_mfma_f32_16x16x16_bf16 a[8:11], v[40:41], v[70:71], a[18:21]
	s_nop 0
	v_accvgpr_read_b32 v0, a0
	v_add_f32_e32 v26, v26, v0
	v_accvgpr_read_b32 v0, a1
	v_mfma_f32_16x16x16_bf16 a[12:15], v[58:59], v[52:53], a[14:17]
	v_add_f32_e32 v27, v27, v0
	v_accvgpr_read_b32 v0, a2
	v_add_f32_e32 v28, v28, v0
	v_mfma_f32_16x16x16_bf16 a[4:7], v[40:41], v[74:75], a[4:7]
	v_accvgpr_read_b32 v0, a3
	v_add_f32_e32 v29, v29, v0
	v_mfma_f32_16x16x16_bf16 a[8:11], v[58:59], v[80:81], a[8:11]
	v_accvgpr_read_b32 v0, a12
	v_add_f32_e32 v18, v18, v0
	v_accvgpr_read_b32 v0, a13
	v_mfma_f32_16x16x16_bf16 a[4:7], v[58:59], v[44:45], a[4:7]
	v_add_f32_e32 v19, v19, v0
	v_accvgpr_read_b32 v0, a14
	v_add_f32_e32 v20, v20, v0
	v_accvgpr_read_b32 v0, a15
	v_add_f32_e32 v21, v21, v0
	v_accvgpr_read_b32 v0, a8
	v_add_f32_e32 v10, v10, v0
	v_accvgpr_read_b32 v0, a9
	v_add_f32_e32 v11, v11, v0
	v_accvgpr_read_b32 v0, a10
	v_accvgpr_read_b32 v41, a5
	v_accvgpr_read_b32 v39, a7
	;; [unrolled: 1-line block ×3, first 2 shown]
	v_add_f32_e32 v12, v12, v0
	v_accvgpr_read_b32 v0, a11
	v_accvgpr_read_b32 v40, a4
	v_add_f32_e32 v13, v13, v0
	v_pk_fma_f32 v[6:7], v[36:37], v[6:7], v[40:41]
	v_pk_fma_f32 v[8:9], v[34:35], v[8:9], v[38:39]
	v_mov_b32_e32 v34, v50
.LBB157_101:
	s_lshl_b64 s[0:1], s[28:29], 16
	s_add_u32 s0, s34, s0
	v_lshlrev_b32_e32 v34, 7, v34
	s_addc_u32 s1, s35, s1
	v_ashrrev_i32_e32 v35, 31, v34
	v_lshl_add_u64 v[36:37], v[34:35], 2, s[0:1]
	v_lshlrev_b32_e32 v0, 2, v1
	v_mov_b32_e32 v1, 0
	v_lshl_add_u64 v[36:37], v[36:37], 0, v[0:1]
	global_store_dwordx4 v[36:37], v[30:33], off
	global_store_dwordx4 v[36:37], v[26:29], off offset:256
	s_nop 1
	v_or_b32_e32 v26, 0x800, v34
	v_ashrrev_i32_e32 v27, 31, v26
	v_lshl_add_u64 v[26:27], v[26:27], 2, s[0:1]
	v_lshl_add_u64 v[26:27], v[26:27], 0, v[0:1]
	global_store_dwordx4 v[26:27], v[22:25], off
	global_store_dwordx4 v[26:27], v[18:21], off offset:256
	s_nop 1
	v_or_b32_e32 v18, 0x1000, v34
	v_ashrrev_i32_e32 v19, 31, v18
	v_lshl_add_u64 v[18:19], v[18:19], 2, s[0:1]
	v_lshl_add_u64 v[18:19], v[18:19], 0, v[0:1]
	global_store_dwordx4 v[18:19], v[14:17], off
	global_store_dwordx4 v[18:19], v[10:13], off offset:256
	s_nop 1
	v_or_b32_e32 v10, 0x1800, v34
	v_ashrrev_i32_e32 v11, 31, v10
	v_lshl_add_u64 v[10:11], v[10:11], 2, s[0:1]
	v_lshl_add_u64 v[0:1], v[10:11], 0, v[0:1]
	global_store_dwordx4 v[0:1], v[2:5], off
	global_store_dwordx4 v[0:1], v[6:9], off offset:256
	s_endpgm
	.section	.rodata,"a",@progbits
	.p2align	6, 0x0
	.amdhsa_kernel _ZN12_GLOBAL__N_139chunk_gated_delta_rule_fwd_h_hip_kernelILi64ELb0ELb1ELb1ELb0ELb1ELb1ELb0ELb0EEEvPK12hip_bfloat16S3_S3_PKfS5_PKvPS1_S8_PvPKiSB_iiiiilll
		.amdhsa_group_segment_fixed_size 65536
		.amdhsa_private_segment_fixed_size 0
		.amdhsa_kernarg_size 136
		.amdhsa_user_sgpr_count 2
		.amdhsa_user_sgpr_dispatch_ptr 0
		.amdhsa_user_sgpr_queue_ptr 0
		.amdhsa_user_sgpr_kernarg_segment_ptr 1
		.amdhsa_user_sgpr_dispatch_id 0
		.amdhsa_user_sgpr_kernarg_preload_length 0
		.amdhsa_user_sgpr_kernarg_preload_offset 0
		.amdhsa_user_sgpr_private_segment_size 0
		.amdhsa_uses_dynamic_stack 0
		.amdhsa_enable_private_segment 0
		.amdhsa_system_sgpr_workgroup_id_x 1
		.amdhsa_system_sgpr_workgroup_id_y 1
		.amdhsa_system_sgpr_workgroup_id_z 0
		.amdhsa_system_sgpr_workgroup_info 0
		.amdhsa_system_vgpr_workitem_id 0
		.amdhsa_next_free_vgpr 232
		.amdhsa_next_free_sgpr 70
		.amdhsa_accum_offset 192
		.amdhsa_reserve_vcc 1
		.amdhsa_float_round_mode_32 0
		.amdhsa_float_round_mode_16_64 0
		.amdhsa_float_denorm_mode_32 3
		.amdhsa_float_denorm_mode_16_64 3
		.amdhsa_dx10_clamp 1
		.amdhsa_ieee_mode 1
		.amdhsa_fp16_overflow 0
		.amdhsa_tg_split 0
		.amdhsa_exception_fp_ieee_invalid_op 0
		.amdhsa_exception_fp_denorm_src 0
		.amdhsa_exception_fp_ieee_div_zero 0
		.amdhsa_exception_fp_ieee_overflow 0
		.amdhsa_exception_fp_ieee_underflow 0
		.amdhsa_exception_fp_ieee_inexact 0
		.amdhsa_exception_int_div_zero 0
	.end_amdhsa_kernel
	.section	.text._ZN12_GLOBAL__N_139chunk_gated_delta_rule_fwd_h_hip_kernelILi64ELb0ELb1ELb1ELb0ELb1ELb1ELb0ELb0EEEvPK12hip_bfloat16S3_S3_PKfS5_PKvPS1_S8_PvPKiSB_iiiiilll,"axG",@progbits,_ZN12_GLOBAL__N_139chunk_gated_delta_rule_fwd_h_hip_kernelILi64ELb0ELb1ELb1ELb0ELb1ELb1ELb0ELb0EEEvPK12hip_bfloat16S3_S3_PKfS5_PKvPS1_S8_PvPKiSB_iiiiilll,comdat
.Lfunc_end157:
	.size	_ZN12_GLOBAL__N_139chunk_gated_delta_rule_fwd_h_hip_kernelILi64ELb0ELb1ELb1ELb0ELb1ELb1ELb0ELb0EEEvPK12hip_bfloat16S3_S3_PKfS5_PKvPS1_S8_PvPKiSB_iiiiilll, .Lfunc_end157-_ZN12_GLOBAL__N_139chunk_gated_delta_rule_fwd_h_hip_kernelILi64ELb0ELb1ELb1ELb0ELb1ELb1ELb0ELb0EEEvPK12hip_bfloat16S3_S3_PKfS5_PKvPS1_S8_PvPKiSB_iiiiilll
                                        ; -- End function
	.section	.AMDGPU.csdata,"",@progbits
; Kernel info:
; codeLenInByte = 13044
; NumSgprs: 76
; NumVgprs: 190
; NumAgprs: 40
; TotalNumVgprs: 232
; ScratchSize: 0
; MemoryBound: 0
; FloatMode: 240
; IeeeMode: 1
; LDSByteSize: 65536 bytes/workgroup (compile time only)
; SGPRBlocks: 9
; VGPRBlocks: 28
; NumSGPRsForWavesPerEU: 76
; NumVGPRsForWavesPerEU: 232
; AccumOffset: 192
; Occupancy: 1
; WaveLimiterHint : 1
; COMPUTE_PGM_RSRC2:SCRATCH_EN: 0
; COMPUTE_PGM_RSRC2:USER_SGPR: 2
; COMPUTE_PGM_RSRC2:TRAP_HANDLER: 0
; COMPUTE_PGM_RSRC2:TGID_X_EN: 1
; COMPUTE_PGM_RSRC2:TGID_Y_EN: 1
; COMPUTE_PGM_RSRC2:TGID_Z_EN: 0
; COMPUTE_PGM_RSRC2:TIDIG_COMP_CNT: 0
; COMPUTE_PGM_RSRC3_GFX90A:ACCUM_OFFSET: 47
; COMPUTE_PGM_RSRC3_GFX90A:TG_SPLIT: 0
	.section	.text._ZN12_GLOBAL__N_139chunk_gated_delta_rule_fwd_h_hip_kernelILi64ELb0ELb1ELb0ELb0ELb1ELb1ELb0ELb0EEEvPK12hip_bfloat16S3_S3_PKfS5_PKvPS1_S8_PvPKiSB_iiiiilll,"axG",@progbits,_ZN12_GLOBAL__N_139chunk_gated_delta_rule_fwd_h_hip_kernelILi64ELb0ELb1ELb0ELb0ELb1ELb1ELb0ELb0EEEvPK12hip_bfloat16S3_S3_PKfS5_PKvPS1_S8_PvPKiSB_iiiiilll,comdat
	.globl	_ZN12_GLOBAL__N_139chunk_gated_delta_rule_fwd_h_hip_kernelILi64ELb0ELb1ELb0ELb0ELb1ELb1ELb0ELb0EEEvPK12hip_bfloat16S3_S3_PKfS5_PKvPS1_S8_PvPKiSB_iiiiilll ; -- Begin function _ZN12_GLOBAL__N_139chunk_gated_delta_rule_fwd_h_hip_kernelILi64ELb0ELb1ELb0ELb0ELb1ELb1ELb0ELb0EEEvPK12hip_bfloat16S3_S3_PKfS5_PKvPS1_S8_PvPKiSB_iiiiilll
	.p2align	8
	.type	_ZN12_GLOBAL__N_139chunk_gated_delta_rule_fwd_h_hip_kernelILi64ELb0ELb1ELb0ELb0ELb1ELb1ELb0ELb0EEEvPK12hip_bfloat16S3_S3_PKfS5_PKvPS1_S8_PvPKiSB_iiiiilll,@function
_ZN12_GLOBAL__N_139chunk_gated_delta_rule_fwd_h_hip_kernelILi64ELb0ELb1ELb0ELb0ELb1ELb1ELb0ELb0EEEvPK12hip_bfloat16S3_S3_PKfS5_PKvPS1_S8_PvPKiSB_iiiiilll: ; @_ZN12_GLOBAL__N_139chunk_gated_delta_rule_fwd_h_hip_kernelILi64ELb0ELb1ELb0ELb0ELb1ELb1ELb0ELb0EEEvPK12hip_bfloat16S3_S3_PKfS5_PKvPS1_S8_PvPKiSB_iiiiilll
; %bb.0:
	s_load_dwordx4 s[12:15], s[0:1], 0x5c
	s_load_dwordx8 s[4:11], s[0:1], 0x0
	s_load_dwordx4 s[16:19], s[0:1], 0x70
	s_abs_i32 s23, s3
	s_ashr_i32 s21, s3, 31
	s_waitcnt lgkmcnt(0)
	s_abs_i32 s20, s13
	v_cvt_f32_u32_e32 v1, s20
	s_sub_i32 s24, 0, s20
	s_ashr_i32 s22, s13, 31
	s_xor_b32 s21, s21, s22
	v_rcp_iflag_f32_e32 v1, v1
	s_load_dwordx2 s[30:31], s[0:1], 0x20
	s_load_dwordx2 s[28:29], s[0:1], 0x40
	;; [unrolled: 1-line block ×4, first 2 shown]
	v_lshrrev_b32_e32 v77, 6, v0
	v_mul_f32_e32 v1, 0x4f7ffffe, v1
	v_cvt_u32_f32_e32 v1, v1
	v_bfe_u32 v86, v0, 4, 2
	s_mov_b32 s0, 0
	v_lshlrev_b32_e32 v84, 4, v77
	v_readfirstlane_b32 s25, v1
	s_mul_i32 s24, s24, s25
	s_mul_hi_u32 s24, s25, s24
	s_add_i32 s25, s25, s24
	s_mul_hi_u32 s24, s23, s25
	s_mul_i32 s25, s24, s20
	s_sub_i32 s23, s23, s25
	s_add_i32 s25, s24, 1
	s_sub_i32 s26, s23, s20
	s_cmp_ge_u32 s23, s20
	s_cselect_b32 s24, s25, s24
	s_cselect_b32 s23, s26, s23
	s_add_i32 s25, s24, 1
	s_cmp_ge_u32 s23, s20
	s_cselect_b32 s23, s25, s24
	s_xor_b32 s23, s23, s21
	s_sub_i32 s50, s23, s21
	s_abs_i32 s21, s14
	v_cvt_f32_u32_e32 v1, s21
	s_ashr_i32 s49, s12, 31
	s_lshr_b32 s23, s49, 26
	s_add_i32 s23, s12, s23
	v_rcp_iflag_f32_e32 v1, v1
	s_ashr_i32 s51, s23, 6
	s_sub_i32 s23, 0, s21
	s_mul_i32 s48, s50, s13
	v_mul_f32_e32 v1, 0x4f7ffffe, v1
	v_cvt_u32_f32_e32 v1, v1
	s_ashr_i32 s52, s14, 31
	s_sub_i32 s33, s3, s48
	s_add_i32 s3, s12, 63
	v_readfirstlane_b32 s24, v1
	s_mul_i32 s23, s23, s24
	s_mul_hi_u32 s23, s24, s23
	s_add_i32 s24, s24, s23
	s_mul_hi_u32 s23, s20, s24
	s_mul_i32 s24, s23, s21
	s_sub_i32 s20, s20, s24
	s_xor_b32 s22, s22, s52
	s_add_i32 s24, s23, 1
	s_sub_i32 s25, s20, s21
	s_cmp_ge_u32 s20, s21
	s_cselect_b32 s23, s24, s23
	s_cselect_b32 s20, s25, s20
	s_add_i32 s24, s23, 1
	s_cmp_ge_u32 s20, s21
	s_cselect_b32 s20, s24, s23
	s_xor_b32 s20, s20, s22
	s_sub_i32 s20, s20, s22
	s_abs_i32 s21, s20
	v_cvt_f32_u32_e32 v1, s21
	s_sub_i32 s22, 0, s21
	s_xor_b32 s1, s33, s20
	s_abs_i32 s20, s33
	v_rcp_iflag_f32_e32 v1, v1
	s_ashr_i32 s1, s1, 31
	v_lshlrev_b32_e32 v34, 2, v86
	v_and_b32_e32 v85, 63, v0
	v_mul_f32_e32 v1, 0x4f7ffffe, v1
	v_cvt_u32_f32_e32 v1, v1
	v_mov_b32_e32 v17, 0
	s_mul_i32 s46, s50, s12
	v_and_b32_e32 v87, 15, v0
	v_readfirstlane_b32 s23, v1
	s_mul_i32 s22, s22, s23
	s_mul_hi_u32 s22, s23, s22
	s_add_i32 s23, s23, s22
	s_mul_hi_u32 s22, s20, s23
	s_mul_i32 s23, s22, s21
	s_sub_i32 s20, s20, s23
	s_add_i32 s23, s22, 1
	s_sub_i32 s24, s20, s21
	s_cmp_ge_u32 s20, s21
	s_cselect_b32 s22, s23, s22
	s_cselect_b32 s20, s24, s20
	s_add_i32 s23, s22, 1
	s_cmp_ge_u32 s20, s21
	s_cselect_b32 s20, s23, s22
	s_xor_b32 s20, s20, s1
	s_sub_i32 s55, s20, s1
	s_ashr_i32 s1, s3, 31
	s_lshr_b32 s1, s1, 26
	s_add_i32 s3, s3, s1
	s_ashr_i32 s1, s3, 6
	v_or_b32_e32 v1, v34, v84
	s_mul_i32 s53, s50, s1
	s_lshl_b32 s2, s2, 6
	s_mov_b32 s1, s0
	v_or_b32_e32 v90, 64, v1
	s_cmp_lt_i32 s12, 64
	v_mov_b64_e32 v[2:3], s[0:1]
	s_mul_hi_i32 s54, s50, s13
	v_lshrrev_b32_e32 v89, 3, v85
	v_lshlrev_b32_e32 v88, 3, v0
	s_mul_i32 s17, s50, s17
	s_mul_hi_u32 s47, s50, s16
	s_mul_i32 s36, s50, s16
	v_mov_b32_e32 v16, v17
	v_mov_b32_e32 v15, v17
	v_mov_b32_e32 v14, v17
	v_mov_b32_e32 v13, v17
	v_mov_b32_e32 v12, v17
	v_mov_b32_e32 v11, v17
	v_mov_b32_e32 v10, v17
	v_mov_b32_e32 v25, v17
	v_mov_b32_e32 v24, v17
	v_mov_b32_e32 v23, v17
	v_mov_b32_e32 v22, v17
	v_mov_b32_e32 v21, v17
	v_mov_b32_e32 v20, v17
	v_mov_b32_e32 v19, v17
	v_mov_b32_e32 v18, v17
	v_mov_b32_e32 v33, v17
	v_mov_b32_e32 v32, v17
	v_mov_b32_e32 v31, v17
	v_mov_b32_e32 v30, v17
	v_mov_b32_e32 v29, v17
	v_mov_b32_e32 v28, v17
	v_mov_b32_e32 v27, v17
	v_mov_b32_e32 v26, v17
	v_mov_b64_e32 v[4:5], s[0:1]
	v_mov_b64_e32 v[6:7], s[0:1]
	;; [unrolled: 1-line block ×3, first 2 shown]
	s_cbranch_scc1 .LBB158_18
; %bb.1:
	s_ashr_i32 s3, s50, 31
	s_ashr_i32 s57, s33, 31
	s_add_u32 s0, s48, s33
	s_addc_u32 s1, s54, s57
	s_mul_i32 s1, s12, s1
	s_mul_hi_u32 s20, s12, s0
	s_add_i32 s41, s20, s1
	s_mul_i32 s40, s12, s0
	s_lshl_b64 s[0:1], s[40:41], 8
	v_and_b32_e32 v92, 56, v88
	s_add_u32 s20, s6, s0
	v_lshl_or_b32 v91, v77, 3, v89
	v_lshlrev_b32_e32 v2, 1, v92
	s_addc_u32 s0, s7, s1
	v_lshl_or_b32 v93, v91, 8, v2
	s_and_b32 s21, s0, 0xffff
	s_mov_b32 s23, 0x20000
	s_movk_i32 s22, 0x4000
	s_movk_i32 s0, 0x80
	v_or_b32_e32 v94, 0x2000, v93
	buffer_load_dwordx4 v[4:7], v93, s[20:23], 0 offen
	buffer_load_dwordx4 v[8:11], v93, s[20:23], s0 offen
	buffer_load_dwordx4 v[12:15], v94, s[20:23], 0 offen
	buffer_load_dwordx4 v[16:19], v94, s[20:23], s0 offen
	v_lshlrev_b32_e32 v3, 3, v91
	v_and_or_b32 v21, v0, 7, v3
	v_and_b32_e32 v3, 0x78, v3
	v_lshlrev_b32_e32 v21, 4, v21
	v_xor_b32_e32 v95, v21, v3
	v_mul_lo_u32 v20, v91, s15
	v_or_b32_e32 v96, 0x1000, v95
	v_xor_b32_e32 v3, 8, v95
	s_cmpk_eq_i32 s15, 0x80
	s_mov_b32 s56, s14
	v_xor_b32_e32 v21, 8, v96
	s_cselect_b64 s[0:1], -1, 0
	s_cmpk_lg_i32 s15, 0x80
	s_waitcnt vmcnt(3)
	ds_write_b64 v95, v[4:5] offset:49152
	ds_write_b64 v3, v[6:7] offset:49152
	s_waitcnt vmcnt(2)
	ds_write_b64 v95, v[8:9] offset:57344
	ds_write_b64 v3, v[10:11] offset:57344
	;; [unrolled: 3-line block ×4, first 2 shown]
	v_lshl_add_u32 v3, v20, 1, v92
	s_cbranch_scc0 .LBB158_3
; %bb.2:
	v_lshlrev_b32_e32 v5, 1, v3
	v_add_lshl_u32 v4, v3, s15, 1
	s_lshl_b32 s22, s15, 7
	v_lshl_or_b32 v2, v91, 9, v2
	s_cbranch_execz .LBB158_4
	s_branch .LBB158_5
.LBB158_3:
                                        ; implicit-def: $vgpr4
                                        ; implicit-def: $vgpr5
                                        ; implicit-def: $sgpr22
	v_lshl_or_b32 v2, v91, 9, v2
.LBB158_4:
	v_or_b32_e32 v4, 0x100, v2
	s_movk_i32 s22, 0x4000
	v_mov_b32_e32 v5, v2
.LBB158_5:
	s_mul_hi_u32 s20, s14, s12
	s_mul_i32 s21, s52, s12
	s_add_i32 s20, s20, s21
	s_mul_i32 s21, s14, s12
	s_mul_i32 s23, s21, s3
	s_mul_hi_u32 s24, s21, s50
	s_add_i32 s23, s24, s23
	s_mul_i32 s20, s20, s50
	s_add_i32 s23, s23, s20
	s_mul_i32 s21, s21, s50
	s_ashr_i32 s58, s55, 31
	s_add_u32 s20, s21, s55
	s_addc_u32 s21, s23, s58
	s_lshl_b64 s[20:21], s[20:21], 8
	s_add_u32 s20, s4, s20
	s_addc_u32 s21, s5, s21
	s_and_b32 s21, s21, 0xffff
	s_mov_b32 s23, 0x20000
	s_movk_i32 s59, 0x80
	buffer_load_dwordx4 v[6:9], v5, s[20:23], 0 offen
	buffer_load_dwordx4 v[10:13], v5, s[20:23], s59 offen
	;; [unrolled: 1-line block ×4, first 2 shown]
	v_and_b32_e32 v5, 6, v0
	v_lshlrev_b32_e32 v4, 7, v1
	v_xor_b32_e32 v26, v91, v5
	v_and_b32_e32 v22, 1, v0
	v_lshl_or_b32 v29, v87, 3, v4
	v_lshlrev_b32_e32 v26, 2, v26
	v_or_b32_e32 v97, 0x4000, v29
	v_or_b32_e32 v98, 0x6000, v29
	v_xor_b32_e32 v29, 0x440, v26
	v_cmp_eq_u32_e32 vcc, 0, v22
	v_lshlrev_b32_e32 v23, 2, v87
	v_or_b32_e32 v25, 16, v87
	v_cndmask_b32_e32 v22, v29, v26, vcc
	s_mov_b32 s61, 0x1000504
	v_xor_b32_e32 v27, v1, v23
	v_xor_b32_e32 v28, v90, v23
	v_lshl_or_b32 v30, v25, 3, v4
	v_lshl_or_b32 v5, v5, 10, v22
	s_mov_b32 s62, 0x3020706
	s_mul_i32 s20, s3, s12
	s_mul_hi_u32 s21, s50, s12
	v_lshlrev_b32_e32 v24, 8, v87
	v_lshlrev_b32_e32 v27, 1, v27
	;; [unrolled: 1-line block ×3, first 2 shown]
	v_or_b32_e32 v99, 0x4000, v30
	v_or_b32_e32 v100, 0x6000, v30
	v_xor_b32_e32 v22, 8, v5
	v_xor_b32_e32 v26, 24, v5
	;; [unrolled: 1-line block ×4, first 2 shown]
	v_or_b32_e32 v101, v24, v27
	v_or_b32_e32 v102, v24, v28
	v_xor_b32_e32 v24, 16, v5
	v_xor_b32_e32 v29, 32, v5
	;; [unrolled: 1-line block ×3, first 2 shown]
	v_add_u32_e32 v22, 0x80, v22
	v_add_u32_e32 v26, 0x80, v26
	;; [unrolled: 1-line block ×4, first 2 shown]
	s_add_i32 s63, s21, s20
	s_add_i32 s20, s47, s17
	s_mul_i32 s3, s3, s16
	s_add_i32 s37, s20, s3
	s_mul_i32 s3, s33, s19
	s_mul_hi_u32 s20, s33, s18
	s_add_i32 s3, s20, s3
	s_mul_i32 s20, s57, s18
	s_add_i32 s21, s3, s20
	s_lshl_b64 s[24:25], s[36:37], 2
	s_mul_i32 s20, s33, s18
	s_add_u32 s3, s10, s24
	s_addc_u32 s24, s11, s25
	s_lshl_b64 s[20:21], s[20:21], 2
	s_add_u32 s42, s3, s20
	s_movk_i32 s3, 0xf8
	s_addc_u32 s43, s24, s21
	s_lshl_b32 s26, s15, 7
	s_movk_i32 s24, 0x100
	v_mov_b32_e32 v79, 0
	v_lshlrev_b32_e32 v78, 4, v87
	s_mov_b32 s60, 0
	s_movk_i32 s22, 0x4000
	v_add_u32_e32 v134, v84, v34
	s_mov_b32 s37, 0x7060302
	s_movk_i32 s64, 0x2000
	s_movk_i32 s65, 0x3000
	s_mov_b32 s67, 0
	s_waitcnt vmcnt(1)
	v_perm_b32 v33, v6, v14, s61
	s_waitcnt vmcnt(0)
	v_perm_b32 v35, v10, v18, s61
	v_perm_b32 v6, v6, v14, s62
	;; [unrolled: 1-line block ×15, first 2 shown]
	ds_write2st64_b32 v5, v33, v35 offset0:128 offset1:160
	ds_write2st64_b32 v22, v6, v10 offset0:128 offset1:160
	ds_write2st64_b32 v24, v14, v18 offset0:129 offset1:161
	ds_write2st64_b32 v26, v7, v11 offset0:129 offset1:161
	ds_write2st64_b32 v29, v15, v19 offset0:130 offset1:162
	ds_write2st64_b32 v30, v8, v12 offset0:130 offset1:162
	ds_write2st64_b32 v31, v16, v20 offset0:131 offset1:163
	ds_write2st64_b32 v32, v9, v13 offset0:131 offset1:163
	v_lshlrev_b32_e32 v5, 8, v25
	v_or_b32_e32 v103, v5, v27
	v_or_b32_e32 v104, v5, v28
	;; [unrolled: 1-line block ×3, first 2 shown]
	v_lshl_or_b32 v6, v5, 3, v4
	v_lshlrev_b32_e32 v5, 8, v5
	v_or_b32_e32 v107, v5, v27
	v_or_b32_e32 v108, v5, v28
	;; [unrolled: 1-line block ×5, first 2 shown]
	v_lshl_or_b32 v6, v5, 3, v4
	v_lshlrev_b32_e32 v5, 8, v5
	v_or_b32_e32 v111, v5, v27
	v_or_b32_e32 v112, v5, v28
	;; [unrolled: 1-line block ×3, first 2 shown]
	v_lshlrev_b32_e32 v5, 3, v5
	v_lshrrev_b32_e32 v7, 5, v85
	v_and_or_b32 v7, v5, s3, v7
	v_lshlrev_b32_e32 v7, 4, v7
	v_or_b32_e32 v109, 0x4000, v6
	v_or_b32_e32 v110, 0x6000, v6
	v_lshrrev_b32_e32 v6, 2, v85
	v_lshlrev_b32_e32 v11, 11, v77
	v_and_b32_e32 v5, 0x78, v5
	v_or_b32_e32 v13, 32, v7
	v_and_b32_e32 v10, 12, v6
	v_and_b32_e32 v6, 0x1000, v11
	v_lshrrev_b32_e32 v9, 1, v85
	v_xor_b32_e32 v13, v13, v5
	v_xor_b32_e32 v8, v7, v5
	v_and_b32_e32 v9, 8, v9
	v_or_b32_e32 v13, v13, v6
	v_or_b32_e32 v8, v8, v6
	v_lshlrev_b32_e32 v12, 8, v86
	v_xor_b32_e32 v115, v13, v9
	v_or_b32_e32 v13, 64, v7
	v_or_b32_e32 v7, 0x60, v7
	v_xor_b32_e32 v113, v8, v9
	v_or_b32_e32 v8, v12, v23
	v_xor_b32_e32 v13, v13, v5
	v_xor_b32_e32 v5, v7, v5
	s_ashr_i32 s3, s2, 31
	v_lshlrev_b32_e32 v8, 1, v8
	v_or_b32_e32 v13, v13, v6
	v_or_b32_e32 v5, v5, v6
	s_lshl_b64 s[20:21], s[2:3], 8
	v_lshlrev_b32_e32 v17, 2, v0
	v_or_b32_e32 v114, 0x4000, v8
	v_or_b32_e32 v116, 0x4080, v8
	;; [unrolled: 1-line block ×4, first 2 shown]
	v_xor_b32_e32 v119, v13, v9
	v_xor_b32_e32 v120, v5, v9
	v_or_b32_e32 v121, 0x6000, v8
	v_or_b32_e32 v122, 0x6080, v8
	;; [unrolled: 1-line block ×4, first 2 shown]
	v_lshlrev_b32_e32 v5, 1, v3
	v_add_lshl_u32 v3, v3, s15, 1
	v_or_b32_e32 v13, 0x100, v2
	s_waitcnt lgkmcnt(0)
	s_add_u32 s20, s38, s20
	v_lshlrev_b32_e32 v8, 1, v87
	v_lshrrev_b32_e32 v18, 1, v0
	v_and_or_b32 v12, v17, 60, v12
	v_lshrrev_b32_e32 v14, 4, v0
	s_addc_u32 s21, s39, s21
	v_or_b32_e32 v9, 1, v8
	v_and_b32_e32 v18, 24, v18
	v_lshlrev_b32_e32 v12, 1, v12
	v_cndmask_b32_e64 v131, v5, v2, s[0:1]
	v_cndmask_b32_e64 v132, v3, v13, s[0:1]
	v_mov_b32_e32 v3, 0xa000
	v_mov_b32_e32 v5, 0x8000
	v_cmp_gt_u32_e64 s[0:1], s24, v0
	v_xor_b32_e32 v15, v14, v8
	v_xor_b32_e32 v16, v9, v14
	v_lshl_add_u64 v[8:9], s[20:21], 0, v[78:79]
	v_lshlrev_b32_e32 v78, 8, v14
	v_or_b32_e32 v127, 0x6000, v12
	v_or_b32_e32 v17, 32, v18
	v_or_b32_e32 v128, 0x6080, v12
	v_or_b32_e32 v129, 0x6100, v12
	v_or_b32_e32 v130, 0x6180, v12
	v_or_b32_e32 v12, 0x60, v18
	v_cndmask_b32_e64 v3, v3, v5, s[0:1]
	v_lshlrev_b32_e32 v5, 3, v77
	v_lshl_or_b32 v125, v15, 3, v78
	v_and_b32_e32 v15, 8, v0
	v_xor_b32_e32 v13, v5, v18
	v_xor_b32_e32 v17, v5, v17
	;; [unrolled: 1-line block ×3, first 2 shown]
	v_mov_b32_e32 v19, 0x400
	v_cmp_eq_u32_e32 vcc, 0, v15
	v_or_b32_e32 v18, 0x440, v13
	v_or_b32_e32 v20, 0x440, v17
	v_xor_b32_e32 v12, 0x440, v5
	v_and_b32_e32 v14, 7, v0
	v_cndmask_b32_e64 v15, v19, 64, vcc
	v_cndmask_b32_e32 v18, v18, v13, vcc
	v_cndmask_b32_e32 v17, v20, v17, vcc
	;; [unrolled: 1-line block ×3, first 2 shown]
	v_lshl_or_b32 v126, v16, 3, v78
	v_lshlrev_b32_e32 v16, 3, v14
	v_or_b32_e32 v18, v18, v11
	v_or_b32_e32 v17, v17, v11
	v_or3_b32 v13, v11, v15, v13
	v_or_b32_e32 v5, v5, v11
	v_or_b32_e32 v6, s2, v87
	v_lshlrev_b32_e32 v14, 7, v14
	v_xor_b32_e32 v18, v18, v16
	v_xor_b32_e32 v17, v17, v16
	;; [unrolled: 1-line block ×4, first 2 shown]
	v_ashrrev_i32_e32 v7, 31, v6
	v_or_b32_e32 v2, v84, v10
	v_add_u32_e32 v19, v3, v18
	v_add_u32_e32 v20, v3, v17
	v_or_b32_e32 v133, v13, v14
	v_add_u32_e32 v11, v3, v5
	v_or3_b32 v10, v84, v10, 64
	v_add_u32_e32 v12, 0xa000, v18
	v_add_u32_e32 v13, 0xa000, v17
	;; [unrolled: 1-line block ×3, first 2 shown]
	v_lshl_add_u64 v[80:81], v[6:7], 1, s[8:9]
	v_lshl_add_u64 v[82:83], v[8:9], 0, v[78:79]
	s_add_i32 s3, s46, 63
	v_lshlrev_b32_e32 v78, 1, v4
	v_lshlrev_b32_e32 v135, 2, v2
	v_add_u32_e32 v136, v19, v14
	v_add_u32_e32 v137, v20, v14
	;; [unrolled: 1-line block ×4, first 2 shown]
	v_lshlrev_b32_e32 v140, 2, v10
	v_add_u32_e32 v141, v12, v14
	v_add_u32_e32 v142, v13, v14
	;; [unrolled: 1-line block ×3, first 2 shown]
	v_mov_b32_e32 v8, v79
	v_mov_b32_e32 v9, v79
	;; [unrolled: 1-line block ×32, first 2 shown]
	s_barrier
.LBB158_6:                              ; =>This Inner Loop Header: Depth=1
	s_add_i32 s66, s67, 1
	s_cmp_lt_i32 s66, s51
	s_mov_b64 s[24:25], 0
	s_cselect_b64 s[44:45], -1, 0
	s_cmp_ge_i32 s66, s51
	s_mov_b64 s[20:21], 0
	s_cbranch_scc1 .LBB158_8
; %bb.7:                                ;   in Loop: Header=BB158_6 Depth=1
	s_add_i32 s0, s60, 64
	s_add_u32 s0, s40, s0
	s_addc_u32 s1, s41, 0
	s_lshl_b64 s[0:1], s[0:1], 8
	s_add_u32 s20, s6, s0
	s_addc_u32 s21, s7, s1
.LBB158_8:                              ;   in Loop: Header=BB158_6 Depth=1
	v_cndmask_b32_e64 v34, 0, 1, s[44:45]
	v_cmp_ne_u32_e64 s[0:1], 1, v34
	s_andn2_b64 vcc, exec, s[44:45]
	s_cbranch_vccnz .LBB158_10
; %bb.9:                                ;   in Loop: Header=BB158_6 Depth=1
	s_add_i32 s24, s60, 64
	s_add_u32 s24, s46, s24
	s_addc_u32 s25, s63, 0
	s_mul_i32 s27, s24, s52
	s_mul_hi_u32 s44, s24, s56
	s_add_i32 s27, s44, s27
	s_mul_i32 s25, s25, s56
	s_add_i32 s27, s27, s25
	s_mul_i32 s24, s24, s56
	s_add_u32 s24, s24, s55
	s_addc_u32 s25, s27, s58
	s_lshl_b64 s[24:25], s[24:25], 8
	s_add_u32 s24, s4, s24
	s_addc_u32 s25, s5, s25
.LBB158_10:                             ;   in Loop: Header=BB158_6 Depth=1
	v_perm_b32 v35, v33, v32, s37
	v_perm_b32 v34, v31, v30, s37
	v_perm_b32 v37, v29, v28, s37
	v_perm_b32 v36, v27, v26, s37
	ds_write_b64 v97, v[34:35]
	ds_write_b64 v98, v[36:37]
	ds_write_b64 v101, v[34:35]
	ds_write_b64 v102, v[36:37]
	v_perm_b32 v35, v25, v24, s37
	v_perm_b32 v34, v23, v22, s37
	v_perm_b32 v37, v21, v20, s37
	v_perm_b32 v36, v19, v18, s37
	ds_write_b64 v99, v[34:35]
	ds_write_b64 v100, v[36:37]
	ds_write_b64 v103, v[34:35]
	ds_write_b64 v104, v[36:37]
	;; [unrolled: 8-line block ×4, first 2 shown]
	s_waitcnt lgkmcnt(0)
	s_barrier
	ds_read_b64 v[38:39], v113 offset:49152
	ds_read2_b64 v[34:37], v114 offset1:16
	ds_read_b64 v[50:51], v116 offset:6144
	ds_read_b64 v[52:53], v114 offset:6144
	s_waitcnt lgkmcnt(2)
	v_mfma_f32_16x16x16_bf16 a[0:3], v[38:39], v[34:35], 0
	ds_read_b64 v[54:55], v115 offset:49152
	ds_read2st64_b64 v[42:45], v117 offset0:4 offset1:8
	ds_read2st64_b64 v[46:49], v118 offset0:4 offset1:8
	v_mfma_f32_16x16x16_bf16 a[4:7], v[38:39], v[36:37], 0
	ds_read2_b64 v[34:37], v114 offset0:32 offset1:48
	s_add_i32 s27, s60, 63
	s_mul_i32 s44, s27, s35
	s_waitcnt lgkmcnt(0)
	v_mfma_f32_16x16x16_bf16 a[8:11], v[38:39], v[34:35], 0
	s_mul_hi_u32 s45, s27, s34
	s_add_i32 s45, s45, s44
	s_mul_i32 s44, s27, s34
	v_mfma_f32_16x16x16_bf16 a[12:15], v[38:39], v[36:37], 0
	ds_read2st64_b64 v[34:37], v114 offset0:4 offset1:8
	ds_read2st64_b64 v[38:41], v116 offset0:4 offset1:8
	s_lshl_b64 s[44:45], s[44:45], 2
	s_waitcnt lgkmcnt(1)
	v_mfma_f32_16x16x16_bf16 a[0:3], v[54:55], v[34:35], a[0:3]
	s_add_u32 s44, s42, s44
	s_addc_u32 s45, s43, s45
	s_and_b64 vcc, exec, s[0:1]
	s_waitcnt lgkmcnt(0)
	v_mfma_f32_16x16x16_bf16 a[4:7], v[54:55], v[38:39], a[4:7]
	v_mov_b32_e32 v146, 0
	v_mov_b32_e32 v145, 0
	;; [unrolled: 1-line block ×3, first 2 shown]
	v_mfma_f32_16x16x16_bf16 a[8:11], v[54:55], v[42:43], a[8:11]
	ds_read_b64 v[34:35], v119 offset:49152
	ds_read_b64 v[38:39], v120 offset:49152
	;; [unrolled: 1-line block ×3, first 2 shown]
	v_mfma_f32_16x16x16_bf16 a[12:15], v[54:55], v[46:47], a[12:15]
	v_mov_b32_e32 v46, 0
	v_mov_b32_e32 v47, 0
	s_waitcnt lgkmcnt(2)
	v_mfma_f32_16x16x16_bf16 a[0:3], v[34:35], v[36:37], a[0:3]
	v_mov_b32_e32 v36, 0
	v_mov_b32_e32 v37, 0
	v_mfma_f32_16x16x16_bf16 a[16:19], v[34:35], v[40:41], a[4:7]
	v_mov_b32_e32 v40, 0
	v_mov_b32_e32 v41, 0
	;; [unrolled: 3-line block ×3, first 2 shown]
	v_mfma_f32_16x16x16_bf16 a[24:27], v[34:35], v[48:49], a[12:15]
	ds_read_b64 v[34:35], v117 offset:6144
	v_mov_b32_e32 v48, 0
	v_mov_b32_e32 v49, 0
	s_waitcnt lgkmcnt(2)
	v_mfma_f32_16x16x16_bf16 a[4:7], v[38:39], v[52:53], a[0:3]
	v_mfma_f32_16x16x16_bf16 a[8:11], v[38:39], v[50:51], a[16:19]
	s_waitcnt lgkmcnt(0)
	v_mfma_f32_16x16x16_bf16 a[12:15], v[38:39], v[34:35], a[20:23]
	v_mov_b32_e32 v34, 0
	v_mov_b32_e32 v35, 0
	v_mfma_f32_16x16x16_bf16 a[0:3], v[38:39], v[42:43], a[24:27]
	v_mov_b32_e32 v38, 0
	v_mov_b32_e32 v39, 0
	v_mov_b32_e32 v42, 0
	v_mov_b32_e32 v43, 0
	s_cbranch_vccnz .LBB158_12
; %bb.11:                               ;   in Loop: Header=BB158_6 Depth=1
	s_and_b32 s21, s21, 0xffff
	buffer_load_dwordx4 v[46:49], v93, s[20:23], 0 offen
	buffer_load_dwordx4 v[42:45], v93, s[20:23], s59 offen
	;; [unrolled: 1-line block ×4, first 2 shown]
	v_mov_b32_e32 v145, v95
	v_mov_b32_e32 v144, v96
.LBB158_12:                             ;   in Loop: Header=BB158_6 Depth=1
	ds_read_b64 v[66:67], v113 offset:57344
	ds_read2_b64 v[50:53], v121 offset1:16
	ds_read_b64 v[68:69], v115 offset:57344
	ds_read_b64 v[70:71], v119 offset:57344
	ds_read_b64 v[72:73], v120 offset:57344
	v_add_u32_e32 v74, s60, v134
	s_waitcnt lgkmcnt(3)
	v_mfma_f32_16x16x16_bf16 a[4:7], v[66:67], v[50:51], a[4:7]
	v_mfma_f32_16x16x16_bf16 a[8:11], v[66:67], v[52:53], a[8:11]
	ds_read2_b64 v[50:53], v121 offset0:32 offset1:48
	ds_read2st64_b64 v[54:57], v121 offset0:4 offset1:8
	ds_read2st64_b64 v[58:61], v122 offset0:4 offset1:8
	;; [unrolled: 1-line block ×3, first 2 shown]
	s_waitcnt lgkmcnt(3)
	v_mfma_f32_16x16x16_bf16 a[12:15], v[66:67], v[50:51], a[12:15]
	v_ashrrev_i32_e32 v50, 31, v74
	v_mfma_f32_16x16x16_bf16 a[0:3], v[66:67], v[52:53], a[0:3]
	v_mul_lo_u32 v52, v50, s34
	v_mul_lo_u32 v53, v74, s35
	v_mad_u64_u32 v[50:51], s[20:21], v74, s34, 0
	v_add3_u32 v51, v51, v53, v52
	v_add_u32_e32 v52, 1, v74
	v_ashrrev_i32_e32 v53, 31, v52
	s_waitcnt lgkmcnt(2)
	v_mfma_f32_16x16x16_bf16 a[4:7], v[68:69], v[54:55], a[4:7]
	v_mul_lo_u32 v54, v53, s34
	v_mul_lo_u32 v55, v52, s35
	v_mad_u64_u32 v[52:53], s[20:21], v52, s34, 0
	v_add3_u32 v53, v53, v55, v54
	v_add_u32_e32 v54, 2, v74
	v_ashrrev_i32_e32 v55, 31, v54
	s_waitcnt lgkmcnt(1)
	v_mfma_f32_16x16x16_bf16 a[8:11], v[68:69], v[58:59], a[8:11]
	v_mul_lo_u32 v58, v55, s34
	v_mul_lo_u32 v59, v54, s35
	v_mad_u64_u32 v[54:55], s[20:21], v54, s34, 0
	v_add3_u32 v55, v55, v59, v58
	v_add_u32_e32 v58, 3, v74
	v_ashrrev_i32_e32 v59, 31, v58
	v_mul_lo_u32 v66, v59, s34
	v_mul_lo_u32 v67, v58, s35
	v_mad_u64_u32 v[58:59], s[20:21], v58, s34, 0
	s_add_u32 s20, s40, s60
	s_addc_u32 s21, s41, 0
	v_lshl_add_u64 v[50:51], v[50:51], 2, s[42:43]
	v_add3_u32 v59, v59, v67, v66
	s_lshl_b64 s[20:21], s[20:21], 8
	v_lshl_add_u64 v[52:53], v[52:53], 2, s[42:43]
	v_lshl_add_u64 v[54:55], v[54:55], 2, s[42:43]
	;; [unrolled: 1-line block ×3, first 2 shown]
	global_load_dword v66, v[50:51], off
	global_load_dword v67, v[52:53], off
	;; [unrolled: 1-line block ×4, first 2 shown]
	v_lshl_add_u64 v[50:51], v[80:81], 0, s[20:21]
	v_lshl_add_u64 v[54:55], v[50:51], 0, v[78:79]
	global_load_ushort v76, v[54:55], off offset:256
	global_load_ushort v147, v[54:55], off
	ds_read2st64_b64 v[50:53], v124 offset0:4 offset1:8
	global_load_ushort v148, v[54:55], off offset:768
	global_load_ushort v149, v[54:55], off offset:512
	s_waitcnt lgkmcnt(1)
	v_mfma_f32_16x16x16_bf16 a[12:15], v[68:69], v[62:63], a[12:15]
	s_and_b64 vcc, exec, s[0:1]
	s_waitcnt vmcnt(3)
	v_lshlrev_b32_e32 v63, 16, v76
	s_waitcnt lgkmcnt(0)
	v_mfma_f32_16x16x16_bf16 a[0:3], v[68:69], v[50:51], a[0:3]
	global_load_ushort v68, v[54:55], off offset:288
	global_load_ushort v69, v[54:55], off offset:32
	;; [unrolled: 1-line block ×8, first 2 shown]
	v_mfma_f32_16x16x16_bf16 a[4:7], v[70:71], v[56:57], a[4:7]
	ds_read_b64 v[50:51], v121 offset:6144
	s_waitcnt vmcnt(10)
	v_lshlrev_b32_e32 v62, 16, v147
	v_mov_b32_e32 v147, 0
	v_mfma_f32_16x16x16_bf16 a[8:11], v[70:71], v[60:61], a[8:11]
	v_mfma_f32_16x16x16_bf16 a[12:15], v[70:71], v[64:65], a[12:15]
	;; [unrolled: 1-line block ×3, first 2 shown]
	global_load_ushort v70, v[54:55], off offset:352
	global_load_ushort v71, v[54:55], off offset:96
	ds_read_b64 v[52:53], v122 offset:6144
	ds_read_b64 v[56:57], v123 offset:6144
	;; [unrolled: 1-line block ×3, first 2 shown]
	global_load_ushort v156, v[54:55], off offset:864
	global_load_ushort v157, v[54:55], off offset:608
	s_load_dword s20, s[44:45], 0x0
	s_waitcnt lgkmcnt(0)
	v_mfma_f32_16x16x16_bf16 a[4:7], v[72:73], v[50:51], a[4:7]
	v_sub_f32_e32 v60, s20, v74
	v_mfma_f32_16x16x16_bf16 a[0:3], v[72:73], v[58:59], a[0:3]
	v_sub_f32_e32 v58, s20, v66
	v_sub_f32_e32 v59, s20, v67
	;; [unrolled: 1-line block ×3, first 2 shown]
	v_mfma_f32_16x16x16_bf16 a[8:11], v[72:73], v[52:53], a[8:11]
	v_exp_f32_e32 v58, v58
	v_exp_f32_e32 v59, v59
	v_exp_f32_e32 v60, v60
	v_exp_f32_e32 v61, v61
	v_accvgpr_read_b32 v65, a5
	v_accvgpr_read_b32 v64, a4
	;; [unrolled: 1-line block ×4, first 2 shown]
	v_pk_add_f32 v[62:63], v[62:63], v[64:65] neg_lo:[0,1] neg_hi:[0,1]
	s_waitcnt vmcnt(13)
	v_lshlrev_b32_e32 v65, 16, v148
	s_waitcnt vmcnt(12)
	v_lshlrev_b32_e32 v64, 16, v149
	v_pk_add_f32 v[50:51], v[64:65], v[50:51] neg_lo:[0,1] neg_hi:[0,1]
	v_pk_mul_f32 v[62:63], v[58:59], v[62:63]
	v_pk_mul_f32 v[50:51], v[60:61], v[50:51]
	v_accvgpr_read_b32 v65, a9
	v_perm_b32 v51, v51, v50, s37
	v_perm_b32 v50, v63, v62, s37
	v_accvgpr_read_b32 v64, a8
	v_accvgpr_read_b32 v53, a11
	v_mfma_f32_16x16x16_bf16 a[12:15], v[72:73], v[56:57], a[12:15]
	v_accvgpr_read_b32 v52, a10
	v_accvgpr_read_b32 v57, a3
	;; [unrolled: 1-line block ×3, first 2 shown]
	s_waitcnt vmcnt(11)
	v_lshlrev_b32_e32 v63, 16, v68
	s_waitcnt vmcnt(10)
	v_lshlrev_b32_e32 v62, 16, v69
	v_pk_add_f32 v[62:63], v[62:63], v[64:65] neg_lo:[0,1] neg_hi:[0,1]
	s_waitcnt vmcnt(9)
	v_lshlrev_b32_e32 v65, 16, v150
	s_waitcnt vmcnt(8)
	v_lshlrev_b32_e32 v64, 16, v151
	v_pk_add_f32 v[52:53], v[64:65], v[52:53] neg_lo:[0,1] neg_hi:[0,1]
	v_pk_mul_f32 v[62:63], v[58:59], v[62:63]
	v_pk_mul_f32 v[52:53], v[60:61], v[52:53]
	v_accvgpr_read_b32 v55, a15
	v_perm_b32 v53, v53, v52, s37
	v_perm_b32 v52, v63, v62, s37
	ds_write2_b64 v98, v[50:51], v[52:53] offset1:16
	v_accvgpr_read_b32 v53, a13
	s_waitcnt vmcnt(7)
	v_lshlrev_b32_e32 v51, 16, v152
	s_waitcnt vmcnt(6)
	v_lshlrev_b32_e32 v50, 16, v153
	v_accvgpr_read_b32 v52, a12
	v_accvgpr_read_b32 v54, a14
	v_pk_add_f32 v[50:51], v[50:51], v[52:53] neg_lo:[0,1] neg_hi:[0,1]
	s_waitcnt vmcnt(5)
	v_lshlrev_b32_e32 v53, 16, v154
	s_waitcnt vmcnt(4)
	v_lshlrev_b32_e32 v52, 16, v155
	v_pk_add_f32 v[52:53], v[52:53], v[54:55] neg_lo:[0,1] neg_hi:[0,1]
	v_pk_mul_f32 v[50:51], v[58:59], v[50:51]
	v_pk_mul_f32 v[52:53], v[60:61], v[52:53]
	v_accvgpr_read_b32 v55, a1
	v_perm_b32 v53, v53, v52, s37
	v_perm_b32 v52, v51, v50, s37
	s_waitcnt vmcnt(3)
	v_lshlrev_b32_e32 v51, 16, v70
	s_waitcnt vmcnt(2)
	v_lshlrev_b32_e32 v50, 16, v71
	v_accvgpr_read_b32 v54, a0
	v_pk_add_f32 v[50:51], v[50:51], v[54:55] neg_lo:[0,1] neg_hi:[0,1]
	s_waitcnt vmcnt(1)
	v_lshlrev_b32_e32 v55, 16, v156
	s_waitcnt vmcnt(0)
	v_lshlrev_b32_e32 v54, 16, v157
	v_pk_add_f32 v[54:55], v[54:55], v[56:57] neg_lo:[0,1] neg_hi:[0,1]
	v_pk_mul_f32 v[50:51], v[58:59], v[50:51]
	v_pk_mul_f32 v[54:55], v[60:61], v[54:55]
	v_mov_b32_e32 v56, 0
	v_perm_b32 v55, v55, v54, s37
	v_perm_b32 v54, v51, v50, s37
	ds_write2_b64 v98, v[52:53], v[54:55] offset0:32 offset1:48
	v_mov_b32_e32 v50, 0
	v_mov_b32_e32 v51, 0
	;; [unrolled: 1-line block ×15, first 2 shown]
	s_cbranch_vccnz .LBB158_14
; %bb.13:                               ;   in Loop: Header=BB158_6 Depth=1
	s_and_b32 s25, s25, 0xffff
	s_mov_b32 s27, s23
	buffer_load_dwordx4 v[62:65], v131, s[24:27], 0 offen
	buffer_load_dwordx4 v[54:57], v131, s[24:27], s59 offen
	;; [unrolled: 1-line block ×4, first 2 shown]
	v_mov_b32_e32 v146, v92
	v_mov_b32_e32 v147, v91
.LBB158_14:                             ;   in Loop: Header=BB158_6 Depth=1
	s_waitcnt lgkmcnt(0)
	s_barrier
	ds_read_b64 v[74:75], v136
	ds_read2_b64 v[66:69], v127 offset1:16
	ds_read_b64 v[164:165], v137
	ds_read_b64 v[166:167], v138
	;; [unrolled: 1-line block ×3, first 2 shown]
	ds_read2_b64 v[70:73], v127 offset0:32 offset1:48
	ds_read2st64_b64 v[148:151], v127 offset0:4 offset1:8
	ds_read2st64_b64 v[152:155], v128 offset0:4 offset1:8
	;; [unrolled: 1-line block ×4, first 2 shown]
	s_waitcnt lgkmcnt(8)
	v_mfma_f32_16x16x16_bf16 a[0:3], v[74:75], v[66:67], 0
	s_add_i32 s21, s53, s67
	s_mul_hi_i32 s25, s21, s13
	s_mul_i32 s21, s21, s13
	v_mfma_f32_16x16x16_bf16 a[4:7], v[74:75], v[68:69], 0
	s_add_u32 s24, s21, s33
	s_addc_u32 s25, s25, s57
	s_add_i32 s21, s3, s60
	s_waitcnt lgkmcnt(4)
	v_mfma_f32_16x16x16_bf16 a[8:11], v[74:75], v[70:71], 0
	s_lshl_b64 s[24:25], s[24:25], 15
	s_mul_hi_i32 s27, s21, s13
	s_mul_i32 s21, s21, s13
	v_mfma_f32_16x16x16_bf16 a[12:15], v[74:75], v[72:73], 0
	ds_read_b64 v[74:75], v127 offset:6144
	ds_read_b64 v[176:177], v128 offset:6144
	;; [unrolled: 1-line block ×4, first 2 shown]
	s_add_u32 s44, s21, s33
	s_waitcnt lgkmcnt(7)
	v_mfma_f32_16x16x16_bf16 a[0:3], v[164:165], v[148:149], a[0:3]
	s_addc_u32 s45, s27, s57
	s_lshl_b64 s[44:45], s[44:45], 9
	s_add_u32 s44, s30, s44
	s_waitcnt lgkmcnt(6)
	v_mfma_f32_16x16x16_bf16 a[4:7], v[164:165], v[152:153], a[4:7]
	s_addc_u32 s45, s31, s45
	v_lshl_add_u64 v[186:187], v[82:83], 0, s[24:25]
	s_waitcnt lgkmcnt(5)
	v_mfma_f32_16x16x16_bf16 a[8:11], v[164:165], v[156:157], a[8:11]
	s_waitcnt lgkmcnt(4)
	v_mfma_f32_16x16x16_bf16 a[12:15], v[164:165], v[160:161], a[12:15]
	ds_read_b64 v[164:165], v141
	ds_read_b64 v[174:175], v142
	;; [unrolled: 1-line block ×3, first 2 shown]
	s_waitcnt lgkmcnt(2)
	v_mfma_f32_16x16x16_bf16 a[16:19], v[164:165], v[66:67], 0
	v_mfma_f32_16x16x16_bf16 a[20:23], v[164:165], v[68:69], 0
	global_load_dwordx4 v[66:69], v140, s[44:45]
	v_mfma_f32_16x16x16_bf16 a[24:27], v[164:165], v[70:71], 0
	v_mfma_f32_16x16x16_bf16 a[28:31], v[164:165], v[72:73], 0
	global_load_dwordx4 v[70:73], v135, s[44:45]
	v_mfma_f32_16x16x16_bf16 a[0:3], v[166:167], v[150:151], a[0:3]
	v_mfma_f32_16x16x16_bf16 a[4:7], v[166:167], v[154:155], a[4:7]
	;; [unrolled: 1-line block ×8, first 2 shown]
	ds_read2st64_b64 v[164:167], v125 offset1:8
	ds_read2st64_b64 v[168:171], v126 offset1:8
	ds_read_b64 v[184:185], v133 offset:40960
	s_waitcnt lgkmcnt(2)
	v_mov_b32_e32 v172, v164
	v_mfma_f32_16x16x16_bf16 a[16:19], v[174:175], v[148:149], a[16:19]
	v_mov_b32_e32 v173, v165
	v_mfma_f32_16x16x16_bf16 a[20:23], v[174:175], v[152:153], a[20:23]
	v_mfma_f32_16x16x16_bf16 a[24:27], v[174:175], v[156:157], a[24:27]
	;; [unrolled: 1-line block ×3, first 2 shown]
	v_add_co_u32_e32 v160, vcc, s64, v186
	s_waitcnt lgkmcnt(1)
	v_mov_b32_e32 v174, v168
	s_waitcnt lgkmcnt(0)
	v_mfma_f32_16x16x16_bf16 a[16:19], v[184:185], v[150:151], a[16:19]
	ds_read2st64_b64 v[148:151], v125 offset0:16 offset1:24
	v_addc_co_u32_e32 v161, vcc, 0, v187, vcc
	v_mfma_f32_16x16x16_bf16 a[32:35], v[184:185], v[154:155], a[20:23]
	ds_read2st64_b64 v[152:155], v126 offset0:16 offset1:24
	v_mov_b32_e32 v175, v169
	v_mov_b32_e32 v168, v166
	v_mfma_f32_16x16x16_bf16 a[24:27], v[184:185], v[158:159], a[24:27]
	v_mov_b32_e32 v169, v167
	s_waitcnt lgkmcnt(0)
	v_mov_b32_e32 v158, v152
	v_mov_b32_e32 v159, v153
	v_mfma_f32_16x16x16_bf16 a[36:39], v[184:185], v[162:163], a[28:31]
	v_mov_b32_e32 v152, v150
	v_mov_b32_e32 v153, v151
	;; [unrolled: 1-line block ×3, first 2 shown]
	v_mfma_f32_16x16x16_bf16 a[20:23], v[182:183], v[74:75], a[16:19]
	v_add_co_u32_e32 v74, vcc, s65, v186
	v_mov_b32_e32 v157, v149
	v_mfma_f32_16x16x16_bf16 a[28:31], v[182:183], v[176:177], a[32:35]
	v_addc_co_u32_e32 v75, vcc, 0, v187, vcc
	global_store_dwordx4 v[74:75], v[152:155], off
	v_mfma_f32_16x16x16_bf16 a[16:19], v[182:183], v[178:179], a[24:27]
	s_waitcnt vmcnt(2)
	v_mov_b32_e32 v76, v69
	v_mov_b32_e32 v75, v68
	;; [unrolled: 1-line block ×3, first 2 shown]
	v_mfma_f32_16x16x16_bf16 a[24:27], v[182:183], v[180:181], a[36:39]
	s_and_b64 vcc, exec, s[0:1]
	global_store_dwordx4 v[186:187], v[172:175], off
	global_store_dwordx4 v[160:161], v[168:171], off offset:-4096
	global_store_dwordx4 v[160:161], v[156:159], off
	s_cbranch_vccnz .LBB158_16
; %bb.15:                               ;   in Loop: Header=BB158_6 Depth=1
	v_lshrrev_b32_e32 v67, 3, v146
	v_and_b32_e32 v67, 6, v67
	v_xor_b32_e32 v68, v67, v147
	v_lshlrev_b32_e32 v68, 2, v68
	v_and_b32_e32 v69, 8, v146
	v_xor_b32_e32 v146, 0x440, v68
	v_cmp_eq_u32_e32 vcc, 0, v69
	v_perm_b32 v69, v54, v50, s61
	s_nop 0
	v_cndmask_b32_e32 v68, v146, v68, vcc
	v_lshl_or_b32 v67, v67, 10, v68
	v_perm_b32 v68, v62, v58, s61
	s_barrier
	ds_write2st64_b32 v67, v68, v69 offset0:128 offset1:160
	v_xor_b32_e32 v68, 8, v67
	v_perm_b32 v58, v62, v58, s62
	v_perm_b32 v50, v54, v50, s62
	v_add_u32_e32 v54, 0x80, v68
	ds_write2st64_b32 v54, v58, v50 offset0:128 offset1:160
	v_xor_b32_e32 v50, 16, v67
	v_perm_b32 v54, v63, v59, s61
	v_perm_b32 v58, v55, v51, s61
	ds_write2st64_b32 v50, v54, v58 offset0:129 offset1:161
	v_xor_b32_e32 v50, 24, v67
	v_perm_b32 v54, v63, v59, s62
	v_perm_b32 v51, v55, v51, s62
	v_add_u32_e32 v50, 0x80, v50
	ds_write2st64_b32 v50, v54, v51 offset0:129 offset1:161
	v_xor_b32_e32 v50, 32, v67
	v_perm_b32 v51, v64, v60, s61
	v_perm_b32 v54, v56, v52, s61
	ds_write2st64_b32 v50, v51, v54 offset0:130 offset1:162
	v_xor_b32_e32 v50, 40, v67
	v_perm_b32 v51, v64, v60, s62
	v_perm_b32 v52, v56, v52, s62
	v_add_u32_e32 v50, 0x80, v50
	ds_write2st64_b32 v50, v51, v52 offset0:130 offset1:162
	v_xor_b32_e32 v50, 48, v67
	v_perm_b32 v51, v65, v61, s61
	v_perm_b32 v52, v57, v53, s61
	ds_write2st64_b32 v50, v51, v52 offset0:131 offset1:163
	v_xor_b32_e32 v50, 56, v67
	v_perm_b32 v51, v65, v61, s62
	v_perm_b32 v52, v57, v53, s62
	v_add_u32_e32 v50, 0x80, v50
	ds_write2st64_b32 v50, v51, v52 offset0:131 offset1:163
	ds_write_b64 v145, v[46:47] offset:49152
	v_xor_b32_e32 v46, 8, v145
	ds_write_b64 v46, v[48:49] offset:49152
	ds_write_b64 v145, v[42:43] offset:57344
	;; [unrolled: 1-line block ×4, first 2 shown]
	v_xor_b32_e32 v38, 8, v144
	ds_write_b64 v38, v[40:41] offset:49152
	ds_write_b64 v144, v[34:35] offset:57344
	ds_write_b64 v38, v[36:37] offset:57344
.LBB158_16:                             ;   in Loop: Header=BB158_6 Depth=1
	v_exp_f32_e32 v68, s20
	s_waitcnt vmcnt(4)
	v_exp_f32_e32 v70, v70
	v_exp_f32_e32 v71, v71
	;; [unrolled: 1-line block ×4, first 2 shown]
	v_accvgpr_read_b32 v37, a3
	v_accvgpr_read_b32 v36, a2
	;; [unrolled: 1-line block ×4, first 2 shown]
	v_pk_mul_f32 v[70:71], v[68:69], v[70:71] op_sel_hi:[0,1]
	v_pk_mul_f32 v[72:73], v[68:69], v[72:73] op_sel_hi:[0,1]
	v_pk_fma_f32 v[30:31], v[30:31], v[70:71], v[34:35]
	v_pk_fma_f32 v[32:33], v[32:33], v[72:73], v[36:37]
	v_exp_f32_e32 v34, v66
	v_exp_f32_e32 v35, v74
	;; [unrolled: 1-line block ×4, first 2 shown]
	v_accvgpr_read_b32 v41, a7
	v_accvgpr_read_b32 v45, a11
	;; [unrolled: 1-line block ×28, first 2 shown]
	v_pk_mul_f32 v[34:35], v[68:69], v[34:35] op_sel_hi:[0,1]
	v_pk_mul_f32 v[36:37], v[68:69], v[36:37] op_sel_hi:[0,1]
	s_add_i32 s60, s60, 64
	v_pk_fma_f32 v[22:23], v[70:71], v[22:23], v[38:39]
	v_pk_fma_f32 v[24:25], v[72:73], v[24:25], v[40:41]
	;; [unrolled: 1-line block ×13, first 2 shown]
	s_cmp_eq_u32 s51, s66
	v_pk_fma_f32 v[8:9], v[36:37], v[8:9], v[64:65]
	s_cbranch_scc1 .LBB158_18
; %bb.17:                               ;   in Loop: Header=BB158_6 Depth=1
	s_mov_b32 s67, s66
	s_branch .LBB158_6
.LBB158_18:
	s_lshl_b32 s44, s51, 6
	s_sub_i32 s45, s12, s44
	s_cmp_gt_i32 s45, 0
	v_or_b32_e32 v50, s2, v87
	s_cbranch_scc1 .LBB158_20
; %bb.19:
	s_ashr_i32 s0, s33, 31
	s_add_u32 s24, s48, s33
	s_addc_u32 s25, s54, s0
	v_or_b32_e32 v34, s2, v87
	s_cbranch_execz .LBB158_21
	s_branch .LBB158_101
.LBB158_20:
                                        ; implicit-def: $sgpr24_sgpr25
                                        ; implicit-def: $vgpr34
.LBB158_21:
	s_ashr_i32 s37, s50, 31
	s_ashr_i32 s3, s44, 31
	s_cmpk_lg_i32 s15, 0x80
	s_cselect_b64 s[40:41], -1, 0
	s_and_b64 vcc, exec, s[40:41]
	s_cbranch_vccz .LBB158_23
; %bb.22:
	s_mul_hi_i32 s0, s50, s12
	s_add_u32 s1, s46, s44
	s_addc_u32 s0, s0, s3
	s_mul_i32 s20, s1, s52
	s_mul_hi_u32 s21, s1, s14
	s_add_i32 s20, s21, s20
	s_mul_i32 s0, s0, s14
	s_add_i32 s20, s20, s0
	s_mul_i32 s1, s1, s14
	s_ashr_i32 s0, s55, 31
	s_add_u32 s42, s1, s55
	s_addc_u32 s43, s20, s0
	s_cbranch_execz .LBB158_24
	s_branch .LBB158_25
.LBB158_23:
                                        ; implicit-def: $sgpr42_sgpr43
.LBB158_24:
	s_mul_hi_i32 s0, s50, s14
	s_mul_i32 s50, s50, s14
	s_ashr_i32 s1, s55, 31
	s_add_u32 s14, s50, s55
	s_addc_u32 s0, s0, s1
	s_mul_i32 s1, s14, s49
	s_mul_hi_u32 s20, s14, s12
	s_add_i32 s1, s20, s1
	s_mul_i32 s0, s0, s12
	s_add_i32 s1, s1, s0
	s_mul_i32 s14, s14, s12
	s_add_u32 s42, s14, s44
	s_addc_u32 s43, s1, s3
.LBB158_25:
	s_add_i32 s20, s53, s51
	s_ashr_i32 s14, s33, 31
	s_add_u32 s24, s48, s33
	s_addc_u32 s25, s54, s14
	s_mul_i32 s0, s24, s49
	s_mul_hi_u32 s1, s24, s12
	s_add_i32 s0, s1, s0
	s_mul_i32 s1, s25, s12
	s_add_i32 s1, s0, s1
	s_mul_i32 s0, s24, s12
	s_add_u32 s0, s0, s44
	v_lshlrev_b32_e32 v38, 6, v1
	v_lshlrev_b32_e32 v58, 2, v87
	s_addc_u32 s1, s1, s3
	s_mov_b32 s3, 0x7060302
	v_or_b32_e32 v41, v38, v58
	v_xor_b32_e32 v39, v1, v58
	v_perm_b32 v35, v33, v32, s3
	v_perm_b32 v34, v31, v30, s3
	;; [unrolled: 1-line block ×4, first 2 shown]
	v_lshlrev_b32_e32 v41, 1, v41
	v_xor_b32_e32 v40, v90, v58
	ds_write2st64_b64 v41, v[34:35], v[36:37] offset0:32 offset1:48
	v_lshlrev_b32_e32 v39, 1, v39
	v_lshlrev_b32_e32 v41, 8, v87
	v_or_b32_e32 v42, v39, v41
	v_lshlrev_b32_e32 v40, 1, v40
	ds_write_b64 v42, v[34:35]
	v_or_b32_e32 v34, v40, v41
	v_or_b32_e32 v41, 16, v87
	v_lshlrev_b32_e32 v57, 2, v41
	v_or_b32_e32 v42, v38, v57
	ds_write_b64 v34, v[36:37]
	v_perm_b32 v35, v25, v24, s3
	v_perm_b32 v34, v23, v22, s3
	;; [unrolled: 1-line block ×4, first 2 shown]
	v_lshlrev_b32_e32 v42, 1, v42
	v_lshlrev_b32_e32 v41, 8, v41
	ds_write2st64_b64 v42, v[34:35], v[36:37] offset0:32 offset1:48
	v_or_b32_e32 v42, v39, v41
	ds_write_b64 v42, v[34:35]
	v_or_b32_e32 v34, v40, v41
	v_or_b32_e32 v41, 32, v87
	v_lshlrev_b32_e32 v56, 2, v41
	v_or_b32_e32 v42, v38, v56
	ds_write_b64 v34, v[36:37]
	v_perm_b32 v35, v17, v16, s3
	v_perm_b32 v34, v15, v14, s3
	;; [unrolled: 1-line block ×4, first 2 shown]
	v_lshlrev_b32_e32 v42, 1, v42
	v_lshlrev_b32_e32 v41, 8, v41
	s_lshl_b64 s[26:27], s[0:1], 8
	ds_write2st64_b64 v42, v[34:35], v[36:37] offset0:32 offset1:48
	v_or_b32_e32 v42, v39, v41
	s_add_u32 s0, s6, s26
	ds_write_b64 v42, v[34:35]
	v_or_b32_e32 v34, v40, v41
	s_addc_u32 s1, s7, s27
	ds_write_b64 v34, v[36:37]
	v_perm_b32 v35, v5, v4, s3
	v_perm_b32 v34, v3, v2, s3
	;; [unrolled: 1-line block ×4, first 2 shown]
	v_or_b32_e32 v41, 48, v87
	s_mul_hi_i32 s3, s20, s13
	s_mul_i32 s20, s20, s13
	v_lshlrev_b32_e32 v53, 2, v41
	s_add_u32 s6, s20, s33
	v_or_b32_e32 v38, v38, v53
	s_addc_u32 s7, s3, s14
	v_lshlrev_b32_e32 v38, 1, v38
	s_ashr_i32 s3, s2, 31
	s_lshl_b64 s[6:7], s[6:7], 15
	ds_write2st64_b64 v38, v[34:35], v[36:37] offset0:32 offset1:48
	v_lshlrev_b32_e32 v38, 8, v41
	s_waitcnt lgkmcnt(0)
	s_add_u32 s6, s38, s6
	v_or_b32_e32 v39, v39, v38
	s_addc_u32 s7, s39, s7
	s_lshl_b64 s[2:3], s[2:3], 8
	ds_write_b64 v39, v[34:35]
	v_or_b32_e32 v34, v40, v38
	s_add_u32 s2, s6, s2
	v_lshlrev_b32_e32 v35, 1, v87
	ds_write_b64 v34, v[36:37]
	v_lshrrev_b32_e32 v34, 4, v0
	s_addc_u32 s3, s7, s3
	v_or_b32_e32 v36, 1, v35
	v_lshlrev_b32_e32 v42, 4, v87
	v_mov_b32_e32 v43, 0
	v_xor_b32_e32 v35, v34, v35
	v_xor_b32_e32 v38, v36, v34
	v_lshl_add_u64 v[44:45], s[2:3], 0, v[42:43]
	v_lshlrev_b32_e32 v42, 8, v34
	v_lshl_or_b32 v48, v35, 3, v42
	v_lshl_or_b32 v49, v38, 3, v42
	s_waitcnt lgkmcnt(0)
	s_barrier
	ds_read2st64_b64 v[34:37], v48 offset1:8
	ds_read2st64_b64 v[38:41], v49 offset1:8
	v_lshl_add_u64 v[46:47], v[44:45], 0, v[42:43]
	s_movk_i32 s2, 0x2000
	s_cmp_lg_u32 s45, 64
	s_waitcnt lgkmcnt(1)
	v_mov_b32_e32 v42, v34
	v_mov_b32_e32 v43, v35
	s_waitcnt lgkmcnt(0)
	v_mov_b32_e32 v44, v38
	v_mov_b32_e32 v45, v39
	global_store_dwordx4 v[46:47], v[42:45], off
	v_mov_b32_e32 v38, v36
	v_mov_b32_e32 v39, v37
	ds_read2st64_b64 v[34:37], v48 offset0:16 offset1:24
	ds_read2st64_b64 v[42:45], v49 offset0:16 offset1:24
	v_add_co_u32_e32 v48, vcc, s2, v46
	s_cselect_b64 s[6:7], -1, 0
	s_nop 0
	v_addc_co_u32_e32 v49, vcc, 0, v47, vcc
	global_store_dwordx4 v[48:49], v[38:41], off offset:-4096
	v_lshl_or_b32 v51, v77, 3, v89
	s_mov_b32 s20, 0
	s_waitcnt lgkmcnt(1)
	v_mov_b32_e32 v38, v34
	v_add_co_u32_e32 v34, vcc, 0x3000, v46
	v_mov_b32_e32 v39, v35
	s_nop 0
	v_addc_co_u32_e32 v35, vcc, 0, v47, vcc
	s_waitcnt lgkmcnt(0)
	v_mov_b32_e32 v40, v42
	v_mov_b32_e32 v41, v43
	;; [unrolled: 1-line block ×4, first 2 shown]
	v_or_b32_e32 v54, 32, v51
	v_and_b32_e32 v52, 56, v88
	s_and_b64 vcc, exec, s[6:7]
	global_store_dwordx4 v[48:49], v[38:41], off
	global_store_dwordx4 v[34:35], v[42:45], off
	s_cbranch_vccz .LBB158_31
; %bb.26:
	s_mov_b32 s22, s20
	s_mov_b32 s23, s20
	s_mov_b32 s21, s20
	v_mov_b64_e32 v[40:41], s[22:23]
	v_mov_b64_e32 v[38:39], s[20:21]
	;; [unrolled: 1-line block ×3, first 2 shown]
	v_cmp_gt_i32_e32 vcc, s45, v51
	v_mov_b64_e32 v[36:37], v[40:41]
	s_and_saveexec_b64 s[2:3], vcc
	s_cbranch_execz .LBB158_28
; %bb.27:
	v_lshlrev_b32_e32 v34, 8, v51
	v_mov_b32_e32 v35, 0
	v_lshl_add_u64 v[36:37], s[0:1], 0, v[34:35]
	v_lshlrev_b32_e32 v34, 1, v52
	v_lshl_add_u64 v[42:43], v[36:37], 0, v[34:35]
	global_load_dwordx4 v[38:41], v[42:43], off
	global_load_dwordx4 v[34:37], v[42:43], off offset:128
.LBB158_28:
	s_or_b64 exec, exec, s[2:3]
	s_mov_b32 s22, s20
	s_mov_b32 s23, s20
	;; [unrolled: 1-line block ×3, first 2 shown]
	v_mov_b64_e32 v[48:49], s[22:23]
	v_mov_b64_e32 v[46:47], s[20:21]
	;; [unrolled: 1-line block ×3, first 2 shown]
	v_cmp_gt_i32_e32 vcc, s45, v54
	v_lshlrev_b32_e32 v55, 7, v54
	v_mov_b64_e32 v[44:45], v[48:49]
	s_and_saveexec_b64 s[2:3], vcc
	s_cbranch_execz .LBB158_30
; %bb.29:
	v_lshlrev_b32_e32 v42, 1, v55
	v_mov_b32_e32 v43, 0
	v_lshl_add_u64 v[44:45], s[0:1], 0, v[42:43]
	v_lshlrev_b32_e32 v42, 1, v52
	v_lshl_add_u64 v[60:61], v[44:45], 0, v[42:43]
	global_load_dwordx4 v[46:49], v[60:61], off
	global_load_dwordx4 v[42:45], v[60:61], off offset:128
.LBB158_30:
	s_or_b64 exec, exec, s[2:3]
	v_lshrrev_b32_e32 v59, 3, v52
	v_lshlrev_b32_e32 v60, 3, v51
	v_or_b32_e32 v59, v60, v59
	v_lshlrev_b32_e32 v59, 4, v59
	v_and_b32_e32 v60, 0x78, v60
	v_xor_b32_e32 v59, v59, v60
	s_branch .LBB158_33
.LBB158_31:
                                        ; implicit-def: $vgpr59
                                        ; implicit-def: $vgpr55
                                        ; implicit-def: $vgpr38_vgpr39_vgpr40_vgpr41
                                        ; implicit-def: $vgpr34_vgpr35_vgpr36_vgpr37
                                        ; implicit-def: $vgpr46_vgpr47_vgpr48_vgpr49
                                        ; implicit-def: $vgpr42_vgpr43_vgpr44_vgpr45
	s_cbranch_execz .LBB158_33
; %bb.32:
	s_waitcnt vmcnt(0)
	v_lshlrev_b32_e32 v34, 1, v52
	v_lshl_or_b32 v55, v51, 8, v34
	s_and_b32 s1, s1, 0xffff
	s_mov_b32 s3, 0x20000
	s_movk_i32 s2, 0x4000
	v_lshl_or_b32 v59, v54, 8, v34
	s_movk_i32 s20, 0x80
	buffer_load_dwordx4 v[38:41], v55, s[0:3], 0 offen
	buffer_load_dwordx4 v[34:37], v55, s[0:3], s20 offen
	;; [unrolled: 1-line block ×4, first 2 shown]
	v_lshrrev_b32_e32 v55, 3, v52
	v_lshlrev_b32_e32 v59, 3, v51
	v_or_b32_e32 v55, v59, v55
	v_lshlrev_b32_e32 v55, 4, v55
	v_and_b32_e32 v59, 0x78, v59
	v_xor_b32_e32 v59, v55, v59
	v_lshlrev_b32_e32 v55, 7, v54
.LBB158_33:
	s_movk_i32 s0, 0x1000
	v_and_or_b32 v54, v55, s0, v59
	s_waitcnt vmcnt(1)
	ds_write_b64 v59, v[38:39] offset:49152
	v_xor_b32_e32 v38, 8, v59
	ds_write_b64 v38, v[40:41] offset:49152
	s_waitcnt vmcnt(0)
	ds_write_b64 v59, v[34:35] offset:57344
	ds_write_b64 v38, v[36:37] offset:57344
	;; [unrolled: 1-line block ×3, first 2 shown]
	v_xor_b32_e32 v34, 8, v54
	ds_write_b64 v34, v[48:49] offset:49152
	ds_write_b64 v54, v[42:43] offset:57344
	ds_write_b64 v34, v[44:45] offset:57344
	v_or_b32_e32 v34, v84, v87
	v_lshlrev_b32_e32 v34, 3, v34
	v_lshrrev_b32_e32 v35, 5, v85
	s_movk_i32 s0, 0xf8
	v_and_or_b32 v35, v34, s0, v35
	v_lshlrev_b32_e32 v39, 4, v35
	v_lshlrev_b32_e32 v59, 11, v77
	v_and_b32_e32 v40, 0x78, v34
	v_or_b32_e32 v42, 32, v39
	v_and_b32_e32 v38, 0x1000, v59
	v_lshrrev_b32_e32 v35, 1, v85
	v_xor_b32_e32 v42, v42, v40
	v_xor_b32_e32 v34, v39, v40
	v_and_b32_e32 v41, 8, v35
	v_or_b32_e32 v42, v42, v38
	v_or_b32_e32 v34, v34, v38
	v_xor_b32_e32 v65, v42, v41
	v_or_b32_e32 v42, 64, v39
	v_xor_b32_e32 v64, v34, v41
	v_xor_b32_e32 v42, v42, v40
	s_waitcnt lgkmcnt(0)
	s_barrier
	v_or_b32_e32 v45, v42, v38
	ds_read_b64 v[42:43], v64 offset:49152
	v_lshl_or_b32 v46, v86, 8, v58
	v_lshlrev_b32_e32 v60, 1, v46
	v_add_u32_e32 v44, 0x4000, v60
	ds_read2_b64 v[34:37], v44 offset1:16
	v_or_b32_e32 v39, 0x60, v39
	v_xor_b32_e32 v39, v39, v40
	v_or_b32_e32 v38, v39, v38
	v_xor_b32_e32 v66, v45, v41
	v_xor_b32_e32 v67, v38, v41
	ds_read_b64 v[54:55], v65 offset:49152
	ds_read_b64 v[68:69], v66 offset:49152
	;; [unrolled: 1-line block ×3, first 2 shown]
	s_waitcnt lgkmcnt(3)
	v_mfma_f32_16x16x16_bf16 a[0:3], v[42:43], v[34:35], 0
	ds_read2_b64 v[38:41], v44 offset0:32 offset1:48
	s_lshl_b64 s[0:1], s[42:43], 8
	s_add_u32 s4, s4, s0
	v_mfma_f32_16x16x16_bf16 a[4:7], v[42:43], v[36:37], 0
	ds_read2st64_b64 v[34:37], v60 offset0:36 offset1:40
	s_addc_u32 s5, s5, s1
	s_add_i32 s20, s12, -1
	s_waitcnt lgkmcnt(1)
	v_mfma_f32_16x16x16_bf16 a[8:11], v[42:43], v[38:39], 0
	v_or_b32_e32 v38, 64, v46
	v_lshlrev_b32_e32 v61, 1, v38
	s_add_i32 s0, s47, s17
	s_waitcnt lgkmcnt(0)
	v_mfma_f32_16x16x16_bf16 a[0:3], v[54:55], v[34:35], a[0:3]
	v_or_b32_e32 v34, 0x80, v46
	v_lshlrev_b32_e32 v62, 1, v34
	v_or_b32_e32 v34, 0xc0, v46
	v_mfma_f32_16x16x16_bf16 a[12:15], v[42:43], v[40:41], 0
	ds_read2st64_b64 v[38:41], v61 offset0:36 offset1:40
	v_lshlrev_b32_e32 v63, 1, v34
	ds_read2st64_b64 v[42:45], v62 offset0:36 offset1:40
	ds_read2st64_b64 v[46:49], v63 offset0:36 offset1:40
	s_mul_i32 s37, s37, s16
	s_add_i32 s37, s0, s37
	s_mul_i32 s0, s33, s19
	s_mul_hi_u32 s1, s33, s18
	s_ashr_i32 s2, s20, 31
	s_mul_i32 s3, s20, s35
	s_mul_hi_u32 s12, s20, s34
	s_waitcnt lgkmcnt(2)
	v_mfma_f32_16x16x16_bf16 a[4:7], v[54:55], v[38:39], a[4:7]
	s_add_i32 s0, s1, s0
	s_mul_i32 s1, s14, s18
	s_add_i32 s3, s12, s3
	s_mul_i32 s2, s2, s34
	s_waitcnt lgkmcnt(1)
	v_mfma_f32_16x16x16_bf16 a[8:11], v[54:55], v[42:43], a[8:11]
	s_add_i32 s1, s0, s1
	s_add_i32 s3, s3, s2
	s_lshl_b64 s[16:17], s[36:37], 2
	s_waitcnt lgkmcnt(0)
	v_mfma_f32_16x16x16_bf16 a[12:15], v[54:55], v[46:47], a[12:15]
	s_mul_i32 s0, s33, s18
	s_add_u32 s10, s10, s16
	s_addc_u32 s11, s11, s17
	s_lshl_b64 s[0:1], s[0:1], 2
	v_mfma_f32_16x16x16_bf16 a[0:3], v[68:69], v[36:37], a[0:3]
	s_mul_i32 s2, s20, s34
	ds_read_b64 v[34:35], v60 offset:22528
	s_add_u32 s10, s10, s0
	v_mfma_f32_16x16x16_bf16 a[4:7], v[68:69], v[40:41], a[4:7]
	ds_read_b64 v[36:37], v61 offset:22528
	ds_read_b64 v[38:39], v62 offset:22528
	;; [unrolled: 1-line block ×3, first 2 shown]
	s_addc_u32 s11, s11, s1
	s_lshl_b64 s[0:1], s[2:3], 2
	v_mfma_f32_16x16x16_bf16 a[8:11], v[68:69], v[44:45], a[8:11]
	s_add_u32 s0, s10, s0
	s_addc_u32 s1, s11, s1
	s_load_dword s12, s[0:1], 0x0
	v_mfma_f32_16x16x16_bf16 a[12:15], v[68:69], v[48:49], a[12:15]
	s_and_b64 vcc, exec, s[40:41]
	s_waitcnt lgkmcnt(0)
	v_mfma_f32_16x16x16_bf16 a[0:3], v[70:71], v[34:35], a[0:3]
	v_mfma_f32_16x16x16_bf16 a[4:7], v[70:71], v[36:37], a[4:7]
	;; [unrolled: 1-line block ×4, first 2 shown]
	s_cbranch_vccz .LBB158_44
; %bb.34:
	v_lshlrev_b32_e32 v54, 1, v51
	s_and_b64 vcc, exec, s[6:7]
	s_cbranch_vccz .LBB158_45
; %bb.35:
	v_cmp_gt_i32_e32 vcc, s45, v54
	v_mov_b32_e32 v38, 0
	v_mov_b32_e32 v34, 0
	v_mov_b32_e32 v35, 0
	v_mov_b32_e32 v36, 0
	v_mov_b32_e32 v37, 0
	s_and_saveexec_b64 s[0:1], vcc
	s_cbranch_execz .LBB158_37
; %bb.36:
	v_mad_i64_i32 v[34:35], s[2:3], s15, v54, 0
	v_lshl_add_u64 v[34:35], v[34:35], 1, s[4:5]
	v_lshlrev_b32_e32 v36, 1, v52
	v_mov_b32_e32 v37, 0
	v_lshl_add_u64 v[34:35], v[34:35], 0, v[36:37]
	global_load_dwordx4 v[34:37], v[34:35], off
.LBB158_37:
	s_or_b64 exec, exec, s[0:1]
	v_or_b32_e32 v55, 1, v54
	v_cmp_gt_i32_e64 s[0:1], s45, v55
	v_mov_b32_e32 v39, 0
	v_mov_b32_e32 v40, 0
	;; [unrolled: 1-line block ×3, first 2 shown]
	s_and_saveexec_b64 s[2:3], s[0:1]
	s_cbranch_execz .LBB158_39
; %bb.38:
	v_mad_i64_i32 v[38:39], s[16:17], s15, v55, 0
	v_lshl_add_u64 v[38:39], v[38:39], 1, s[4:5]
	v_lshlrev_b32_e32 v40, 1, v52
	v_mov_b32_e32 v41, 0
	v_lshl_add_u64 v[38:39], v[38:39], 0, v[40:41]
	global_load_dwordx4 v[38:41], v[38:39], off
.LBB158_39:
	s_or_b64 exec, exec, s[2:3]
	v_mov_b32_e32 v49, 0
	v_mov_b32_e32 v42, 0
	;; [unrolled: 1-line block ×5, first 2 shown]
	s_and_saveexec_b64 s[2:3], vcc
	s_cbranch_execz .LBB158_41
; %bb.40:
	v_mad_i64_i32 v[42:43], s[16:17], s15, v54, 0
	v_lshl_add_u64 v[42:43], v[42:43], 1, s[4:5]
	v_lshlrev_b32_e32 v44, 1, v52
	v_mov_b32_e32 v45, 0
	v_lshl_add_u64 v[42:43], v[42:43], 0, v[44:45]
	global_load_dwordx4 v[42:45], v[42:43], off offset:128
.LBB158_41:
	s_or_b64 exec, exec, s[2:3]
	v_mov_b32_e32 v48, 0
	v_mov_b32_e32 v47, 0
	;; [unrolled: 1-line block ×3, first 2 shown]
	s_and_saveexec_b64 s[2:3], s[0:1]
	s_cbranch_execz .LBB158_43
; %bb.42:
	v_mad_i64_i32 v[46:47], s[0:1], s15, v55, 0
	v_lshl_add_u64 v[46:47], v[46:47], 1, s[4:5]
	v_lshlrev_b32_e32 v48, 1, v52
	v_mov_b32_e32 v49, 0
	v_lshl_add_u64 v[46:47], v[46:47], 0, v[48:49]
	global_load_dwordx4 v[46:49], v[46:47], off offset:128
.LBB158_43:
	s_or_b64 exec, exec, s[2:3]
	s_branch .LBB158_47
.LBB158_44:
                                        ; implicit-def: $vgpr37
                                        ; implicit-def: $vgpr41
                                        ; implicit-def: $vgpr45
                                        ; implicit-def: $vgpr49
	v_lshrrev_b32_e32 v68, 2, v85
	s_branch .LBB158_48
.LBB158_45:
                                        ; implicit-def: $vgpr37
                                        ; implicit-def: $vgpr41
                                        ; implicit-def: $vgpr45
                                        ; implicit-def: $vgpr49
	s_cbranch_execz .LBB158_47
; %bb.46:
	s_waitcnt vmcnt(0)
	v_mad_u64_u32 v[34:35], s[0:1], v54, s15, v[52:53]
	v_lshlrev_b32_e32 v54, 1, v34
	s_lshl_b32 s2, s15, 7
	s_and_b32 s1, s5, 0xffff
	s_mov_b32 s3, 0x20000
	s_mov_b32 s0, s4
	v_add_lshl_u32 v55, v34, s15, 1
	s_movk_i32 s15, 0x80
	buffer_load_dwordx4 v[34:37], v54, s[0:3], 0 offen
	buffer_load_dwordx4 v[42:45], v54, s[0:3], s15 offen
	;; [unrolled: 1-line block ×4, first 2 shown]
.LBB158_47:
	v_lshrrev_b32_e32 v68, 2, v85
	s_cbranch_execnz .LBB158_60
.LBB158_48:
	s_and_b64 vcc, exec, s[6:7]
	s_cbranch_vccz .LBB158_58
; %bb.49:
	s_waitcnt vmcnt(0)
	v_lshlrev_b32_e32 v39, 1, v51
	v_cmp_gt_i32_e32 vcc, s45, v39
	v_mov_b32_e32 v38, 0
	v_lshlrev_b32_e32 v46, 9, v51
	v_mov_b32_e32 v34, 0
	v_mov_b32_e32 v35, 0
	;; [unrolled: 1-line block ×4, first 2 shown]
	s_and_saveexec_b64 s[0:1], vcc
	s_cbranch_execz .LBB158_51
; %bb.50:
	v_mov_b32_e32 v47, 0
	v_lshl_add_u64 v[34:35], s[4:5], 0, v[46:47]
	v_lshlrev_b32_e32 v36, 1, v52
	v_mov_b32_e32 v37, v47
	v_lshl_add_u64 v[34:35], v[34:35], 0, v[36:37]
	global_load_dwordx4 v[34:37], v[34:35], off
.LBB158_51:
	s_or_b64 exec, exec, s[0:1]
	v_or_b32_e32 v39, 1, v39
	v_cmp_gt_i32_e64 s[0:1], s45, v39
	v_lshlrev_b32_e32 v54, 8, v39
	v_mov_b32_e32 v39, 0
	v_mov_b32_e32 v40, 0
	;; [unrolled: 1-line block ×3, first 2 shown]
	s_and_saveexec_b64 s[2:3], s[0:1]
	s_cbranch_execz .LBB158_53
; %bb.52:
	v_mov_b32_e32 v55, 0
	v_lshl_add_u64 v[38:39], s[4:5], 0, v[54:55]
	v_lshlrev_b32_e32 v40, 1, v52
	v_mov_b32_e32 v41, v55
	v_lshl_add_u64 v[38:39], v[38:39], 0, v[40:41]
	global_load_dwordx4 v[38:41], v[38:39], off
.LBB158_53:
	s_or_b64 exec, exec, s[2:3]
	v_mov_b32_e32 v49, 0
	v_mov_b32_e32 v42, 0
	;; [unrolled: 1-line block ×5, first 2 shown]
	s_and_saveexec_b64 s[2:3], vcc
	s_cbranch_execz .LBB158_55
; %bb.54:
	v_mov_b32_e32 v47, 0
	v_lshl_add_u64 v[42:43], s[4:5], 0, v[46:47]
	v_lshlrev_b32_e32 v46, 1, v52
	v_lshl_add_u64 v[42:43], v[42:43], 0, v[46:47]
	global_load_dwordx4 v[42:45], v[42:43], off offset:128
.LBB158_55:
	s_or_b64 exec, exec, s[2:3]
	v_mov_b32_e32 v48, 0
	v_mov_b32_e32 v47, 0
	;; [unrolled: 1-line block ×3, first 2 shown]
	s_and_saveexec_b64 s[2:3], s[0:1]
	s_cbranch_execz .LBB158_57
; %bb.56:
	v_mov_b32_e32 v55, 0
	v_lshl_add_u64 v[46:47], s[4:5], 0, v[54:55]
	v_lshlrev_b32_e32 v54, 1, v52
	v_lshl_add_u64 v[46:47], v[46:47], 0, v[54:55]
	global_load_dwordx4 v[46:49], v[46:47], off offset:128
.LBB158_57:
	s_or_b64 exec, exec, s[2:3]
	s_branch .LBB158_60
.LBB158_58:
                                        ; implicit-def: $vgpr37
                                        ; implicit-def: $vgpr41
                                        ; implicit-def: $vgpr45
                                        ; implicit-def: $vgpr49
	s_cbranch_execz .LBB158_60
; %bb.59:
	s_waitcnt vmcnt(0)
	v_lshlrev_b32_e32 v34, 1, v52
	v_lshl_or_b32 v52, v51, 9, v34
	s_and_b32 s5, s5, 0xffff
	s_mov_b32 s7, 0x20000
	s_movk_i32 s6, 0x4000
	s_movk_i32 s0, 0x80
	buffer_load_dwordx4 v[34:37], v52, s[4:7], 0 offen
	buffer_load_dwordx4 v[38:41], v52, s[4:7], 0 offen offset:256
	buffer_load_dwordx4 v[42:45], v52, s[4:7], s0 offen
	buffer_load_dwordx4 v[46:49], v52, s[4:7], s0 offen offset:256
.LBB158_60:
	ds_read_b64 v[54:55], v64 offset:57344
	v_add_u32_e32 v52, 0x6000, v60
	ds_read2_b64 v[70:73], v52 offset1:16
	ds_read_b64 v[82:83], v65 offset:57344
	ds_read_b64 v[86:87], v66 offset:57344
	;; [unrolled: 1-line block ×3, first 2 shown]
	ds_read2_b64 v[64:67], v52 offset0:32 offset1:48
	v_and_b32_e32 v52, 12, v68
	v_and_b32_e32 v76, 6, v0
	v_xor_b32_e32 v51, v51, v76
	v_lshlrev_b32_e32 v51, 2, v51
	s_mov_b32 s0, 0x1000504
	s_waitcnt lgkmcnt(4)
	v_mfma_f32_16x16x16_bf16 a[4:7], v[54:55], v[72:73], a[4:7]
	s_mov_b32 s1, 0x3020706
	v_mfma_f32_16x16x16_bf16 a[0:3], v[54:55], v[70:71], a[0:3]
	ds_read2st64_b64 v[68:71], v60 offset0:52 offset1:56
	s_waitcnt lgkmcnt(1)
	v_mfma_f32_16x16x16_bf16 a[8:11], v[54:55], v[64:65], a[8:11]
	v_mfma_f32_16x16x16_bf16 a[12:15], v[54:55], v[66:67], a[12:15]
	ds_read2st64_b64 v[64:67], v61 offset0:52 offset1:56
	ds_read2st64_b64 v[72:75], v62 offset0:52 offset1:56
	;; [unrolled: 1-line block ×3, first 2 shown]
	s_waitcnt lgkmcnt(2)
	v_mfma_f32_16x16x16_bf16 a[4:7], v[82:83], v[64:65], a[4:7]
	v_and_b32_e32 v64, 1, v0
	v_xor_b32_e32 v65, 0x440, v51
	v_cmp_eq_u32_e32 vcc, 0, v64
	v_mfma_f32_16x16x16_bf16 a[0:3], v[82:83], v[68:69], a[0:3]
	s_waitcnt vmcnt(0)
	v_perm_b32 v64, v34, v38, s0
	v_cndmask_b32_e32 v51, v65, v51, vcc
	v_lshl_or_b32 v51, v76, 10, v51
	s_waitcnt lgkmcnt(1)
	v_mfma_f32_16x16x16_bf16 a[8:11], v[82:83], v[72:73], a[8:11]
	v_perm_b32 v65, v42, v46, s0
	ds_read_b64 v[54:55], v60 offset:30720
	ds_read_b64 v[68:69], v61 offset:30720
	;; [unrolled: 1-line block ×4, first 2 shown]
	ds_write2st64_b32 v51, v64, v65 offset0:128 offset1:160
	s_waitcnt lgkmcnt(5)
	v_mfma_f32_16x16x16_bf16 a[12:15], v[82:83], v[78:79], a[12:15]
	v_xor_b32_e32 v64, 8, v51
	v_perm_b32 v34, v34, v38, s1
	v_perm_b32 v38, v42, v46, s1
	v_add_u32_e32 v42, 0x80, v64
	ds_write2st64_b32 v42, v34, v38 offset0:128 offset1:160
	v_xor_b32_e32 v34, 16, v51
	v_perm_b32 v38, v35, v39, s0
	v_perm_b32 v42, v43, v47, s0
	v_mfma_f32_16x16x16_bf16 a[0:3], v[86:87], v[70:71], a[0:3]
	ds_write2st64_b32 v34, v38, v42 offset0:129 offset1:161
	v_xor_b32_e32 v34, 24, v51
	v_perm_b32 v35, v35, v39, s1
	v_mfma_f32_16x16x16_bf16 a[4:7], v[86:87], v[66:67], a[4:7]
	v_perm_b32 v38, v43, v47, s1
	v_add_u32_e32 v34, 0x80, v34
	ds_write2st64_b32 v34, v35, v38 offset0:129 offset1:161
	v_mfma_f32_16x16x16_bf16 a[16:19], v[86:87], v[74:75], a[8:11]
	v_xor_b32_e32 v34, 32, v51
	v_perm_b32 v35, v36, v40, s0
	v_perm_b32 v38, v44, v48, s0
	v_mfma_f32_16x16x16_bf16 a[20:23], v[86:87], v[80:81], a[12:15]
	ds_write2st64_b32 v34, v35, v38 offset0:130 offset1:162
	v_xor_b32_e32 v34, 40, v51
	v_perm_b32 v35, v36, v40, s1
	s_waitcnt lgkmcnt(8)
	v_mfma_f32_16x16x16_bf16 a[12:15], v[88:89], v[54:55], a[0:3]
	v_perm_b32 v36, v44, v48, s1
	v_add_u32_e32 v34, 0x80, v34
	ds_write2st64_b32 v34, v35, v36 offset0:130 offset1:162
	s_waitcnt lgkmcnt(8)
	v_mfma_f32_16x16x16_bf16 a[8:11], v[88:89], v[68:69], a[4:7]
	v_xor_b32_e32 v34, 48, v51
	v_perm_b32 v35, v37, v41, s0
	v_perm_b32 v36, v45, v49, s0
	s_waitcnt lgkmcnt(7)
	v_mfma_f32_16x16x16_bf16 a[4:7], v[88:89], v[90:91], a[16:19]
	ds_write2st64_b32 v34, v35, v36 offset0:131 offset1:163
	v_xor_b32_e32 v34, 56, v51
	v_or_b32_e32 v48, v52, v84
	s_waitcnt lgkmcnt(7)
	v_mfma_f32_16x16x16_bf16 a[0:3], v[88:89], v[92:93], a[20:23]
	v_perm_b32 v35, v37, v41, s1
	v_perm_b32 v36, v45, v49, s1
	v_add_u32_e32 v34, 0x80, v34
	v_cmp_gt_i32_e64 s[0:1], s45, v48
	v_mov_b32_e32 v54, 0
	v_mov_b32_e32 v55, 0
	ds_write2st64_b32 v34, v35, v36 offset0:131 offset1:163
	s_and_saveexec_b64 s[2:3], s[0:1]
	s_cbranch_execz .LBB158_62
; %bb.61:
	v_add_u32_e32 v34, s44, v48
	v_ashrrev_i32_e32 v35, 31, v34
	v_mul_lo_u32 v36, v35, s34
	v_mul_lo_u32 v37, v34, s35
	v_mad_u64_u32 v[34:35], s[4:5], v34, s34, 0
	v_add3_u32 v35, v35, v37, v36
	v_lshl_add_u64 v[34:35], v[34:35], 2, s[10:11]
	global_load_dword v34, v[34:35], off
	s_waitcnt vmcnt(0)
	v_sub_f32_e32 v34, s12, v34
	v_exp_f32_e32 v55, v34
.LBB158_62:
	s_or_b64 exec, exec, s[2:3]
	v_or_b32_e32 v40, 1, v48
	v_cmp_gt_i32_e64 s[2:3], s45, v40
	s_and_saveexec_b64 s[4:5], s[2:3]
	s_cbranch_execz .LBB158_64
; %bb.63:
	v_add_u32_e32 v34, s44, v40
	v_ashrrev_i32_e32 v35, 31, v34
	v_mul_lo_u32 v36, v35, s34
	v_mul_lo_u32 v37, v34, s35
	v_mad_u64_u32 v[34:35], s[6:7], v34, s34, 0
	v_add3_u32 v35, v35, v37, v36
	v_lshl_add_u64 v[34:35], v[34:35], 2, s[10:11]
	global_load_dword v34, v[34:35], off
	s_waitcnt vmcnt(0)
	v_sub_f32_e32 v34, s12, v34
	v_exp_f32_e32 v54, v34
.LBB158_64:
	s_or_b64 exec, exec, s[4:5]
	v_or_b32_e32 v41, 2, v48
	v_cmp_gt_i32_e64 s[4:5], s45, v41
	v_mov_b32_e32 v49, 0
	v_mov_b32_e32 v64, 0
	s_and_saveexec_b64 s[6:7], s[4:5]
	s_cbranch_execz .LBB158_66
; %bb.65:
	v_add_u32_e32 v34, s44, v41
	v_ashrrev_i32_e32 v35, 31, v34
	v_mul_lo_u32 v36, v35, s34
	v_mul_lo_u32 v37, v34, s35
	v_mad_u64_u32 v[34:35], s[16:17], v34, s34, 0
	v_add3_u32 v35, v35, v37, v36
	v_lshl_add_u64 v[34:35], v[34:35], 2, s[10:11]
	global_load_dword v34, v[34:35], off
	s_waitcnt vmcnt(0)
	v_sub_f32_e32 v34, s12, v34
	v_exp_f32_e32 v64, v34
.LBB158_66:
	s_or_b64 exec, exec, s[6:7]
	v_or_b32_e32 v65, 3, v48
	v_cmp_gt_i32_e32 vcc, s45, v65
	s_and_saveexec_b64 s[6:7], vcc
	s_cbranch_execz .LBB158_68
; %bb.67:
	v_add_u32_e32 v34, s44, v65
	v_ashrrev_i32_e32 v35, 31, v34
	v_mul_lo_u32 v36, v35, s34
	v_mul_lo_u32 v37, v34, s35
	v_mad_u64_u32 v[34:35], s[16:17], v34, s34, 0
	v_add3_u32 v35, v35, v37, v36
	v_lshl_add_u64 v[34:35], v[34:35], 2, s[10:11]
	global_load_dword v34, v[34:35], off
	s_waitcnt vmcnt(0)
	v_sub_f32_e32 v34, s12, v34
	v_exp_f32_e32 v49, v34
.LBB158_68:
	s_or_b64 exec, exec, s[6:7]
	s_add_u32 s6, s8, s26
	v_accvgpr_read_b32 v37, a15
	s_addc_u32 s7, s9, s27
	v_ashrrev_i32_e32 v51, 31, v50
	v_accvgpr_read_b32 v36, a14
	v_accvgpr_read_b32 v35, a13
	;; [unrolled: 1-line block ×3, first 2 shown]
	v_lshl_add_u64 v[38:39], v[50:51], 1, s[6:7]
	v_mov_b32_e32 v45, 0
	v_lshlrev_b32_e32 v42, 8, v48
	v_mov_b32_e32 v43, 0
	s_and_saveexec_b64 s[6:7], s[0:1]
	s_cbranch_execz .LBB158_70
; %bb.69:
	v_mov_b32_e32 v43, 0
	v_lshl_add_u64 v[46:47], v[38:39], 0, v[42:43]
	global_load_ushort v43, v[46:47], off
	s_waitcnt vmcnt(0)
	v_lshlrev_b32_e32 v43, 16, v43
	v_sub_f32_e32 v34, v43, v34
	v_mul_f32_e32 v34, v55, v34
	v_lshrrev_b32_e32 v43, 16, v34
.LBB158_70:
	s_or_b64 exec, exec, s[6:7]
	v_lshlrev_b32_e32 v44, 8, v40
	s_and_saveexec_b64 s[6:7], s[2:3]
	s_cbranch_execz .LBB158_72
; %bb.71:
	v_mov_b32_e32 v45, 0
	v_lshl_add_u64 v[46:47], v[38:39], 0, v[44:45]
	global_load_ushort v34, v[46:47], off
	s_waitcnt vmcnt(0)
	v_lshlrev_b32_e32 v34, 16, v34
	v_sub_f32_e32 v34, v34, v35
	v_mul_f32_e32 v34, v54, v34
	v_lshrrev_b32_e32 v45, 16, v34
.LBB158_72:
	s_or_b64 exec, exec, s[6:7]
	v_mov_b32_e32 v66, 0
	v_lshlrev_b32_e32 v46, 8, v41
	v_mov_b32_e32 v47, 0
	s_and_saveexec_b64 s[6:7], s[4:5]
	s_cbranch_execz .LBB158_74
; %bb.73:
	v_mov_b32_e32 v47, 0
	v_lshl_add_u64 v[34:35], v[38:39], 0, v[46:47]
	global_load_ushort v34, v[34:35], off
	s_waitcnt vmcnt(0)
	v_lshlrev_b32_e32 v34, 16, v34
	v_sub_f32_e32 v34, v34, v36
	v_mul_f32_e32 v34, v64, v34
	v_lshrrev_b32_e32 v47, 16, v34
.LBB158_74:
	s_or_b64 exec, exec, s[6:7]
	v_lshlrev_b32_e32 v40, 8, v65
	s_and_saveexec_b64 s[6:7], vcc
	s_cbranch_execz .LBB158_76
; %bb.75:
	v_mov_b32_e32 v41, 0
	v_lshl_add_u64 v[34:35], v[38:39], 0, v[40:41]
	global_load_ushort v34, v[34:35], off
	s_waitcnt vmcnt(0)
	v_lshlrev_b32_e32 v34, 16, v34
	v_sub_f32_e32 v34, v34, v37
	v_mul_f32_e32 v34, v49, v34
	v_lshrrev_b32_e32 v66, 16, v34
.LBB158_76:
	s_or_b64 exec, exec, s[6:7]
	v_lshlrev_b32_e32 v51, 6, v48
	v_accvgpr_read_b32 v37, a11
	s_mov_b32 s6, 0x5040100
	v_or_b32_e32 v41, v51, v58
	v_accvgpr_read_b32 v36, a10
	v_accvgpr_read_b32 v35, a9
	v_accvgpr_read_b32 v34, a8
	v_perm_b32 v67, v66, v47, s6
	v_perm_b32 v66, v45, v43, s6
	v_lshlrev_b32_e32 v41, 1, v41
	v_mov_b32_e32 v45, 0
	v_mov_b32_e32 v43, 0
	ds_write_b64 v41, v[66:67] offset:24576
	s_and_saveexec_b64 s[6:7], s[0:1]
	s_cbranch_execz .LBB158_78
; %bb.77:
	v_mov_b32_e32 v43, 0
	v_lshl_add_u64 v[66:67], v[38:39], 0, v[42:43]
	global_load_ushort v41, v[66:67], off offset:32
	s_waitcnt vmcnt(0)
	v_lshlrev_b32_e32 v41, 16, v41
	v_sub_f32_e32 v34, v41, v34
	v_mul_f32_e32 v34, v55, v34
	v_lshrrev_b32_e32 v43, 16, v34
.LBB158_78:
	s_or_b64 exec, exec, s[6:7]
	s_and_saveexec_b64 s[6:7], s[2:3]
	s_cbranch_execz .LBB158_80
; %bb.79:
	v_mov_b32_e32 v45, 0
	v_lshl_add_u64 v[66:67], v[38:39], 0, v[44:45]
	global_load_ushort v34, v[66:67], off offset:32
	s_waitcnt vmcnt(0)
	v_lshlrev_b32_e32 v34, 16, v34
	v_sub_f32_e32 v34, v34, v35
	v_mul_f32_e32 v34, v54, v34
	v_lshrrev_b32_e32 v45, 16, v34
.LBB158_80:
	s_or_b64 exec, exec, s[6:7]
	v_mov_b32_e32 v41, 0
	v_mov_b32_e32 v47, 0
	s_and_saveexec_b64 s[6:7], s[4:5]
	s_cbranch_execz .LBB158_82
; %bb.81:
	v_mov_b32_e32 v47, 0
	v_lshl_add_u64 v[34:35], v[38:39], 0, v[46:47]
	global_load_ushort v34, v[34:35], off offset:32
	s_waitcnt vmcnt(0)
	v_lshlrev_b32_e32 v34, 16, v34
	v_sub_f32_e32 v34, v34, v36
	v_mul_f32_e32 v34, v64, v34
	v_lshrrev_b32_e32 v47, 16, v34
.LBB158_82:
	s_or_b64 exec, exec, s[6:7]
	s_and_saveexec_b64 s[6:7], vcc
	s_cbranch_execz .LBB158_84
; %bb.83:
	v_mov_b32_e32 v41, 0
	v_lshl_add_u64 v[34:35], v[38:39], 0, v[40:41]
	global_load_ushort v34, v[34:35], off offset:32
	s_waitcnt vmcnt(0)
	v_lshlrev_b32_e32 v34, 16, v34
	v_sub_f32_e32 v34, v34, v37
	v_mul_f32_e32 v34, v49, v34
	v_lshrrev_b32_e32 v41, 16, v34
.LBB158_84:
	s_or_b64 exec, exec, s[6:7]
	s_mov_b32 s6, 0x5040100
	v_accvgpr_read_b32 v37, a7
	v_perm_b32 v67, v41, v47, s6
	v_or_b32_e32 v41, v51, v57
	v_accvgpr_read_b32 v36, a6
	v_accvgpr_read_b32 v35, a5
	;; [unrolled: 1-line block ×3, first 2 shown]
	v_perm_b32 v66, v45, v43, s6
	v_lshlrev_b32_e32 v41, 1, v41
	v_mov_b32_e32 v45, 0
	v_mov_b32_e32 v43, 0
	ds_write_b64 v41, v[66:67] offset:24576
	s_and_saveexec_b64 s[6:7], s[0:1]
	s_cbranch_execz .LBB158_86
; %bb.85:
	v_mov_b32_e32 v43, 0
	v_lshl_add_u64 v[66:67], v[38:39], 0, v[42:43]
	global_load_ushort v41, v[66:67], off offset:64
	s_waitcnt vmcnt(0)
	v_lshlrev_b32_e32 v41, 16, v41
	v_sub_f32_e32 v34, v41, v34
	v_mul_f32_e32 v34, v55, v34
	v_lshrrev_b32_e32 v43, 16, v34
.LBB158_86:
	s_or_b64 exec, exec, s[6:7]
	s_and_saveexec_b64 s[6:7], s[2:3]
	s_cbranch_execz .LBB158_88
; %bb.87:
	v_mov_b32_e32 v45, 0
	v_lshl_add_u64 v[66:67], v[38:39], 0, v[44:45]
	global_load_ushort v34, v[66:67], off offset:64
	s_waitcnt vmcnt(0)
	v_lshlrev_b32_e32 v34, 16, v34
	v_sub_f32_e32 v34, v34, v35
	v_mul_f32_e32 v34, v54, v34
	v_lshrrev_b32_e32 v45, 16, v34
.LBB158_88:
	s_or_b64 exec, exec, s[6:7]
	v_mov_b32_e32 v41, 0
	v_mov_b32_e32 v47, 0
	s_and_saveexec_b64 s[6:7], s[4:5]
	s_cbranch_execz .LBB158_90
; %bb.89:
	v_mov_b32_e32 v47, 0
	v_lshl_add_u64 v[34:35], v[38:39], 0, v[46:47]
	global_load_ushort v34, v[34:35], off offset:64
	s_waitcnt vmcnt(0)
	v_lshlrev_b32_e32 v34, 16, v34
	v_sub_f32_e32 v34, v34, v36
	v_mul_f32_e32 v34, v64, v34
	v_lshrrev_b32_e32 v47, 16, v34
.LBB158_90:
	s_or_b64 exec, exec, s[6:7]
	s_and_saveexec_b64 s[6:7], vcc
	s_cbranch_execz .LBB158_92
; %bb.91:
	v_mov_b32_e32 v41, 0
	v_lshl_add_u64 v[34:35], v[38:39], 0, v[40:41]
	global_load_ushort v34, v[34:35], off offset:64
	s_waitcnt vmcnt(0)
	v_lshlrev_b32_e32 v34, 16, v34
	v_sub_f32_e32 v34, v34, v37
	v_mul_f32_e32 v34, v49, v34
	v_lshrrev_b32_e32 v41, 16, v34
.LBB158_92:
	s_or_b64 exec, exec, s[6:7]
	s_mov_b32 s6, 0x5040100
	v_accvgpr_read_b32 v37, a3
	v_perm_b32 v67, v41, v47, s6
	v_or_b32_e32 v41, v51, v56
	v_accvgpr_read_b32 v36, a2
	v_accvgpr_read_b32 v35, a1
	;; [unrolled: 1-line block ×3, first 2 shown]
	v_perm_b32 v66, v45, v43, s6
	v_lshlrev_b32_e32 v41, 1, v41
	v_mov_b32_e32 v45, 0
	v_mov_b32_e32 v43, 0
	ds_write_b64 v41, v[66:67] offset:24576
	s_and_saveexec_b64 s[6:7], s[0:1]
	s_cbranch_execz .LBB158_94
; %bb.93:
	v_mov_b32_e32 v43, 0
	v_lshl_add_u64 v[42:43], v[38:39], 0, v[42:43]
	global_load_ushort v41, v[42:43], off offset:96
	s_waitcnt vmcnt(0)
	v_lshlrev_b32_e32 v41, 16, v41
	v_sub_f32_e32 v34, v41, v34
	v_mul_f32_e32 v34, v55, v34
	v_lshrrev_b32_e32 v43, 16, v34
.LBB158_94:
	s_or_b64 exec, exec, s[6:7]
	s_and_saveexec_b64 s[0:1], s[2:3]
	s_cbranch_execz .LBB158_96
; %bb.95:
	v_mov_b32_e32 v45, 0
	v_lshl_add_u64 v[44:45], v[38:39], 0, v[44:45]
	global_load_ushort v34, v[44:45], off offset:96
	s_waitcnt vmcnt(0)
	v_lshlrev_b32_e32 v34, 16, v34
	v_sub_f32_e32 v34, v34, v35
	v_mul_f32_e32 v34, v54, v34
	v_lshrrev_b32_e32 v45, 16, v34
.LBB158_96:
	s_or_b64 exec, exec, s[0:1]
	v_mov_b32_e32 v41, 0
	v_mov_b32_e32 v44, 0
	s_and_saveexec_b64 s[0:1], s[4:5]
	s_cbranch_execz .LBB158_98
; %bb.97:
	v_mov_b32_e32 v47, 0
	v_lshl_add_u64 v[34:35], v[38:39], 0, v[46:47]
	global_load_ushort v34, v[34:35], off offset:96
	s_waitcnt vmcnt(0)
	v_lshlrev_b32_e32 v34, 16, v34
	v_sub_f32_e32 v34, v34, v36
	v_mul_f32_e32 v34, v64, v34
	v_lshrrev_b32_e32 v44, 16, v34
.LBB158_98:
	s_or_b64 exec, exec, s[0:1]
	v_or_b32_e32 v34, 0x6000, v60
	v_or_b32_e32 v35, 0x6000, v61
	;; [unrolled: 1-line block ×4, first 2 shown]
	s_and_saveexec_b64 s[0:1], vcc
	s_cbranch_execz .LBB158_100
; %bb.99:
	v_mov_b32_e32 v41, 0
	v_lshl_add_u64 v[38:39], v[38:39], 0, v[40:41]
	global_load_ushort v38, v[38:39], off offset:96
	s_waitcnt vmcnt(0)
	v_lshlrev_b32_e32 v38, 16, v38
	v_sub_f32_e32 v37, v38, v37
	v_mul_f32_e32 v37, v49, v37
	v_lshrrev_b32_e32 v41, 16, v37
.LBB158_100:
	s_or_b64 exec, exec, s[0:1]
	s_mov_b32 s0, 0x5040100
	v_or_b32_e32 v37, v51, v53
	v_perm_b32 v39, v41, v44, s0
	v_perm_b32 v38, v45, v43, s0
	v_lshlrev_b32_e32 v37, 1, v37
	ds_write_b64 v37, v[38:39] offset:24576
	v_and_b32_e32 v37, 7, v0
	v_and_b32_e32 v43, 8, v0
	v_lshlrev_b32_e32 v49, 3, v37
	v_lshlrev_b32_e32 v51, 7, v37
	v_lshrrev_b32_e32 v37, 1, v0
	v_and_b32_e32 v37, 24, v37
	v_mov_b32_e32 v44, 0x400
	v_cmp_eq_u32_e32 vcc, 0, v43
	s_movk_i32 s2, 0x100
	v_lshlrev_b32_e32 v53, 3, v77
	v_cndmask_b32_e64 v43, v44, 64, vcc
	v_mov_b32_e32 v44, 0xa000
	v_mov_b32_e32 v45, 0x8000
	v_cmp_gt_u32_e64 s[0:1], s2, v0
	v_xor_b32_e32 v58, v53, v37
	v_or3_b32 v43, v59, v43, v58
	v_cndmask_b32_e64 v0, v44, v45, s[0:1]
	v_or_b32_e32 v44, 0x440, v58
	v_cndmask_b32_e32 v44, v44, v58, vcc
	v_or_b32_e32 v44, v44, v59
	v_xor_b32_e32 v43, v43, v49
	v_xor_b32_e32 v82, v44, v49
	v_or_b32_e32 v84, v43, v51
	v_add3_u32 v44, v0, v82, v51
	v_or_b32_e32 v43, v0, v84
	s_waitcnt lgkmcnt(0)
	s_barrier
	ds_read_b64 v[60:61], v44
	ds_read_b64 v[80:81], v43
	v_or_b32_e32 v44, 32, v37
	v_or_b32_e32 v37, 0x60, v37
	v_xor_b32_e32 v44, v53, v44
	v_xor_b32_e32 v37, v53, v37
	v_or_b32_e32 v45, 0x440, v44
	v_xor_b32_e32 v43, 0x440, v37
	v_cndmask_b32_e32 v44, v45, v44, vcc
	v_cndmask_b32_e32 v37, v43, v37, vcc
	v_or_b32_e32 v44, v44, v59
	v_or_b32_e32 v37, v37, v59
	v_xor_b32_e32 v83, v44, v49
	v_xor_b32_e32 v85, v37, v49
	v_add3_u32 v44, v0, v83, v51
	v_add3_u32 v0, v0, v85, v51
	ds_read2_b64 v[38:41], v34 offset1:16
	ds_read_b64 v[72:73], v44
	ds_read_b64 v[58:59], v0
	ds_read2_b64 v[44:47], v34 offset0:32 offset1:48
	s_add_i32 s0, s20, s46
	s_mul_hi_i32 s1, s0, s13
	s_mul_i32 s0, s0, s13
	s_waitcnt lgkmcnt(3)
	v_mfma_f32_16x16x16_bf16 a[0:3], v[60:61], v[38:39], 0
	ds_read2st64_b64 v[54:57], v34 offset0:4 offset1:8
	s_add_u32 s0, s0, s33
	ds_read2st64_b64 v[64:67], v36 offset0:4 offset1:8
	v_mfma_f32_16x16x16_bf16 a[4:7], v[60:61], v[40:41], 0
	ds_read2st64_b64 v[68:71], v42 offset0:4 offset1:8
	s_addc_u32 s1, s1, s14
	s_lshl_b64 s[0:1], s[0:1], 9
	s_waitcnt lgkmcnt(3)
	v_mfma_f32_16x16x16_bf16 a[8:11], v[60:61], v[44:45], 0
	s_add_u32 s0, s30, s0
	s_addc_u32 s1, s31, s1
	v_lshlrev_b32_e32 v0, 2, v48
	v_mfma_f32_16x16x16_bf16 a[12:15], v[60:61], v[46:47], 0
	ds_read2st64_b64 v[60:63], v35 offset0:4 offset1:8
	v_lshlrev_b32_e32 v37, 2, v52
	s_waitcnt lgkmcnt(3)
	v_mfma_f32_16x16x16_bf16 a[0:3], v[72:73], v[54:55], a[0:3]
	s_waitcnt lgkmcnt(0)
	v_mfma_f32_16x16x16_bf16 a[4:7], v[72:73], v[60:61], a[4:7]
	v_mfma_f32_16x16x16_bf16 a[8:11], v[72:73], v[64:65], a[8:11]
	;; [unrolled: 1-line block ×3, first 2 shown]
	global_load_dwordx4 v[72:75], v0, s[0:1]
	v_lshlrev_b32_e32 v0, 6, v77
	v_or3_b32 v0, v0, v37, s2
	global_load_dwordx4 v[76:79], v0, s[0:1]
	v_mfma_f32_16x16x16_bf16 a[0:3], v[80:81], v[56:57], a[0:3]
	v_exp_f32_e32 v0, s12
	s_waitcnt vmcnt(1)
	v_exp_f32_e32 v37, v75
	v_mfma_f32_16x16x16_bf16 a[4:7], v[80:81], v[62:63], a[4:7]
	v_mfma_f32_16x16x16_bf16 a[8:11], v[80:81], v[66:67], a[8:11]
	;; [unrolled: 1-line block ×3, first 2 shown]
	ds_read_b64 v[48:49], v34 offset:6144
	ds_read_b64 v[52:53], v35 offset:6144
	;; [unrolled: 1-line block ×4, first 2 shown]
	v_exp_f32_e32 v34, v72
	v_add_u32_e32 v72, v82, v51
	v_exp_f32_e32 v35, v73
	ds_read_b64 v[72:73], v72 offset:40960
	s_waitcnt lgkmcnt(4)
	v_mfma_f32_16x16x16_bf16 a[0:3], v[58:59], v[48:49], a[0:3]
	v_exp_f32_e32 v36, v74
	v_pk_mul_f32 v[34:35], v[0:1], v[34:35] op_sel_hi:[0,1]
	v_pk_mul_f32 v[30:31], v[30:31], v[34:35]
	s_waitcnt lgkmcnt(3)
	v_mfma_f32_16x16x16_bf16 a[4:7], v[58:59], v[52:53], a[4:7]
	v_pk_mul_f32 v[36:37], v[0:1], v[36:37] op_sel_hi:[0,1]
	v_pk_mul_f32 v[32:33], v[32:33], v[36:37]
	v_pk_mul_f32 v[22:23], v[34:35], v[22:23]
	s_waitcnt lgkmcnt(0)
	v_mfma_f32_16x16x16_bf16 a[20:23], v[72:73], v[40:41], 0
	v_accvgpr_read_b32 v40, a0
	v_add_f32_e32 v30, v30, v40
	v_accvgpr_read_b32 v40, a1
	v_add_f32_e32 v31, v31, v40
	;; [unrolled: 2-line block ×4, first 2 shown]
	v_accvgpr_read_b32 v40, a4
	v_mfma_f32_16x16x16_bf16 a[8:11], v[58:59], v[80:81], a[8:11]
	v_add_f32_e32 v22, v22, v40
	v_accvgpr_read_b32 v40, a5
	v_add_f32_e32 v23, v23, v40
	v_mfma_f32_16x16x16_bf16 a[12:15], v[58:59], v[42:43], a[12:15]
	v_add_u32_e32 v58, v83, v51
	v_add_u32_e32 v51, v85, v51
	ds_read_b64 v[58:59], v58 offset:40960
	ds_read_b64 v[74:75], v51 offset:40960
	;; [unrolled: 1-line block ×3, first 2 shown]
	v_mfma_f32_16x16x16_bf16 a[16:19], v[72:73], v[38:39], 0
	v_pk_mul_f32 v[24:25], v[36:37], v[24:25]
	v_pk_mul_f32 v[14:15], v[34:35], v[14:15]
	;; [unrolled: 1-line block ×3, first 2 shown]
	v_mfma_f32_16x16x16_bf16 a[24:27], v[72:73], v[44:45], 0
	v_accvgpr_read_b32 v44, a6
	v_add_f32_e32 v24, v24, v44
	v_accvgpr_read_b32 v44, a7
	s_waitcnt lgkmcnt(2)
	v_mfma_f32_16x16x16_bf16 a[0:3], v[58:59], v[54:55], a[16:19]
	v_add_f32_e32 v25, v25, v44
	v_accvgpr_read_b32 v44, a8
	v_add_f32_e32 v14, v14, v44
	v_accvgpr_read_b32 v44, a9
	;; [unrolled: 2-line block ×4, first 2 shown]
	v_accvgpr_read_b32 v39, a15
	v_accvgpr_read_b32 v38, a14
	v_mfma_f32_16x16x16_bf16 a[14:17], v[58:59], v[60:61], a[20:23]
	v_add_f32_e32 v17, v17, v44
	v_accvgpr_read_b32 v45, a13
	v_accvgpr_read_b32 v44, a12
	s_waitcnt lgkmcnt(0)
	v_mfma_f32_16x16x16_bf16 a[0:3], v[40:41], v[56:57], a[0:3]
	v_pk_fma_f32 v[2:3], v[34:35], v[2:3], v[44:45]
	v_pk_fma_f32 v[4:5], v[36:37], v[4:5], v[38:39]
	s_waitcnt vmcnt(0)
	v_mov_b32_e32 v34, v77
	v_mfma_f32_16x16x16_bf16 a[28:31], v[72:73], v[46:47], 0
	v_mov_b32_e32 v35, v78
	v_mov_b32_e32 v36, v79
	v_exp_f32_e32 v38, v76
	v_exp_f32_e32 v39, v34
	v_mfma_f32_16x16x16_bf16 a[18:21], v[58:59], v[64:65], a[24:27]
	v_exp_f32_e32 v34, v35
	v_exp_f32_e32 v35, v36
	v_pk_mul_f32 v[36:37], v[0:1], v[38:39] op_sel_hi:[0,1]
	v_mfma_f32_16x16x16_bf16 a[14:17], v[40:41], v[62:63], a[14:17]
	v_pk_mul_f32 v[26:27], v[26:27], v[36:37]
	v_pk_mul_f32 v[34:35], v[0:1], v[34:35] op_sel_hi:[0,1]
	v_pk_mul_f32 v[28:29], v[28:29], v[34:35]
	v_mfma_f32_16x16x16_bf16 a[0:3], v[74:75], v[48:49], a[0:3]
	v_pk_mul_f32 v[18:19], v[36:37], v[18:19]
	v_pk_mul_f32 v[20:21], v[34:35], v[20:21]
	v_pk_mul_f32 v[10:11], v[36:37], v[10:11]
	v_mfma_f32_16x16x16_bf16 a[4:7], v[58:59], v[68:69], a[28:31]
	v_pk_mul_f32 v[12:13], v[34:35], v[12:13]
	v_mfma_f32_16x16x16_bf16 a[8:11], v[40:41], v[66:67], a[18:21]
	s_nop 0
	v_accvgpr_read_b32 v0, a0
	v_add_f32_e32 v26, v26, v0
	v_accvgpr_read_b32 v0, a1
	v_mfma_f32_16x16x16_bf16 a[12:15], v[74:75], v[52:53], a[14:17]
	v_add_f32_e32 v27, v27, v0
	v_accvgpr_read_b32 v0, a2
	v_add_f32_e32 v28, v28, v0
	v_mfma_f32_16x16x16_bf16 a[4:7], v[40:41], v[70:71], a[4:7]
	v_accvgpr_read_b32 v0, a3
	v_add_f32_e32 v29, v29, v0
	v_mfma_f32_16x16x16_bf16 a[8:11], v[74:75], v[80:81], a[8:11]
	v_accvgpr_read_b32 v0, a12
	v_add_f32_e32 v18, v18, v0
	v_accvgpr_read_b32 v0, a13
	v_mfma_f32_16x16x16_bf16 a[4:7], v[74:75], v[42:43], a[4:7]
	v_add_f32_e32 v19, v19, v0
	v_accvgpr_read_b32 v0, a14
	v_add_f32_e32 v20, v20, v0
	v_accvgpr_read_b32 v0, a15
	;; [unrolled: 2-line block ×5, first 2 shown]
	v_accvgpr_read_b32 v41, a5
	v_accvgpr_read_b32 v39, a7
	;; [unrolled: 1-line block ×3, first 2 shown]
	v_add_f32_e32 v12, v12, v0
	v_accvgpr_read_b32 v0, a11
	v_accvgpr_read_b32 v40, a4
	v_add_f32_e32 v13, v13, v0
	v_pk_fma_f32 v[6:7], v[36:37], v[6:7], v[40:41]
	v_pk_fma_f32 v[8:9], v[34:35], v[8:9], v[38:39]
	v_mov_b32_e32 v34, v50
.LBB158_101:
	s_lshl_b64 s[0:1], s[24:25], 16
	s_waitcnt lgkmcnt(0)
	s_add_u32 s0, s28, s0
	v_lshlrev_b32_e32 v34, 7, v34
	s_addc_u32 s1, s29, s1
	v_ashrrev_i32_e32 v35, 31, v34
	v_lshl_add_u64 v[36:37], v[34:35], 2, s[0:1]
	v_lshlrev_b32_e32 v0, 2, v1
	v_mov_b32_e32 v1, 0
	v_lshl_add_u64 v[36:37], v[36:37], 0, v[0:1]
	global_store_dwordx4 v[36:37], v[30:33], off
	global_store_dwordx4 v[36:37], v[26:29], off offset:256
	s_nop 1
	v_or_b32_e32 v26, 0x800, v34
	v_ashrrev_i32_e32 v27, 31, v26
	v_lshl_add_u64 v[26:27], v[26:27], 2, s[0:1]
	v_lshl_add_u64 v[26:27], v[26:27], 0, v[0:1]
	global_store_dwordx4 v[26:27], v[22:25], off
	global_store_dwordx4 v[26:27], v[18:21], off offset:256
	s_nop 1
	v_or_b32_e32 v18, 0x1000, v34
	v_ashrrev_i32_e32 v19, 31, v18
	v_lshl_add_u64 v[18:19], v[18:19], 2, s[0:1]
	;; [unrolled: 7-line block ×3, first 2 shown]
	v_lshl_add_u64 v[0:1], v[10:11], 0, v[0:1]
	global_store_dwordx4 v[0:1], v[2:5], off
	global_store_dwordx4 v[0:1], v[6:9], off offset:256
	s_endpgm
	.section	.rodata,"a",@progbits
	.p2align	6, 0x0
	.amdhsa_kernel _ZN12_GLOBAL__N_139chunk_gated_delta_rule_fwd_h_hip_kernelILi64ELb0ELb1ELb0ELb0ELb1ELb1ELb0ELb0EEEvPK12hip_bfloat16S3_S3_PKfS5_PKvPS1_S8_PvPKiSB_iiiiilll
		.amdhsa_group_segment_fixed_size 65536
		.amdhsa_private_segment_fixed_size 0
		.amdhsa_kernarg_size 136
		.amdhsa_user_sgpr_count 2
		.amdhsa_user_sgpr_dispatch_ptr 0
		.amdhsa_user_sgpr_queue_ptr 0
		.amdhsa_user_sgpr_kernarg_segment_ptr 1
		.amdhsa_user_sgpr_dispatch_id 0
		.amdhsa_user_sgpr_kernarg_preload_length 0
		.amdhsa_user_sgpr_kernarg_preload_offset 0
		.amdhsa_user_sgpr_private_segment_size 0
		.amdhsa_uses_dynamic_stack 0
		.amdhsa_enable_private_segment 0
		.amdhsa_system_sgpr_workgroup_id_x 1
		.amdhsa_system_sgpr_workgroup_id_y 1
		.amdhsa_system_sgpr_workgroup_id_z 0
		.amdhsa_system_sgpr_workgroup_info 0
		.amdhsa_system_vgpr_workitem_id 0
		.amdhsa_next_free_vgpr 228
		.amdhsa_next_free_sgpr 68
		.amdhsa_accum_offset 188
		.amdhsa_reserve_vcc 1
		.amdhsa_float_round_mode_32 0
		.amdhsa_float_round_mode_16_64 0
		.amdhsa_float_denorm_mode_32 3
		.amdhsa_float_denorm_mode_16_64 3
		.amdhsa_dx10_clamp 1
		.amdhsa_ieee_mode 1
		.amdhsa_fp16_overflow 0
		.amdhsa_tg_split 0
		.amdhsa_exception_fp_ieee_invalid_op 0
		.amdhsa_exception_fp_denorm_src 0
		.amdhsa_exception_fp_ieee_div_zero 0
		.amdhsa_exception_fp_ieee_overflow 0
		.amdhsa_exception_fp_ieee_underflow 0
		.amdhsa_exception_fp_ieee_inexact 0
		.amdhsa_exception_int_div_zero 0
	.end_amdhsa_kernel
	.section	.text._ZN12_GLOBAL__N_139chunk_gated_delta_rule_fwd_h_hip_kernelILi64ELb0ELb1ELb0ELb0ELb1ELb1ELb0ELb0EEEvPK12hip_bfloat16S3_S3_PKfS5_PKvPS1_S8_PvPKiSB_iiiiilll,"axG",@progbits,_ZN12_GLOBAL__N_139chunk_gated_delta_rule_fwd_h_hip_kernelILi64ELb0ELb1ELb0ELb0ELb1ELb1ELb0ELb0EEEvPK12hip_bfloat16S3_S3_PKfS5_PKvPS1_S8_PvPKiSB_iiiiilll,comdat
.Lfunc_end158:
	.size	_ZN12_GLOBAL__N_139chunk_gated_delta_rule_fwd_h_hip_kernelILi64ELb0ELb1ELb0ELb0ELb1ELb1ELb0ELb0EEEvPK12hip_bfloat16S3_S3_PKfS5_PKvPS1_S8_PvPKiSB_iiiiilll, .Lfunc_end158-_ZN12_GLOBAL__N_139chunk_gated_delta_rule_fwd_h_hip_kernelILi64ELb0ELb1ELb0ELb0ELb1ELb1ELb0ELb0EEEvPK12hip_bfloat16S3_S3_PKfS5_PKvPS1_S8_PvPKiSB_iiiiilll
                                        ; -- End function
	.section	.AMDGPU.csdata,"",@progbits
; Kernel info:
; codeLenInByte = 12584
; NumSgprs: 74
; NumVgprs: 188
; NumAgprs: 40
; TotalNumVgprs: 228
; ScratchSize: 0
; MemoryBound: 0
; FloatMode: 240
; IeeeMode: 1
; LDSByteSize: 65536 bytes/workgroup (compile time only)
; SGPRBlocks: 9
; VGPRBlocks: 28
; NumSGPRsForWavesPerEU: 74
; NumVGPRsForWavesPerEU: 228
; AccumOffset: 188
; Occupancy: 1
; WaveLimiterHint : 1
; COMPUTE_PGM_RSRC2:SCRATCH_EN: 0
; COMPUTE_PGM_RSRC2:USER_SGPR: 2
; COMPUTE_PGM_RSRC2:TRAP_HANDLER: 0
; COMPUTE_PGM_RSRC2:TGID_X_EN: 1
; COMPUTE_PGM_RSRC2:TGID_Y_EN: 1
; COMPUTE_PGM_RSRC2:TGID_Z_EN: 0
; COMPUTE_PGM_RSRC2:TIDIG_COMP_CNT: 0
; COMPUTE_PGM_RSRC3_GFX90A:ACCUM_OFFSET: 46
; COMPUTE_PGM_RSRC3_GFX90A:TG_SPLIT: 0
	.section	.text._ZN12_GLOBAL__N_139chunk_gated_delta_rule_fwd_h_hip_kernelILi64ELb0ELb0ELb1ELb0ELb1ELb1ELb0ELb0EEEvPK12hip_bfloat16S3_S3_PKfS5_PKvPS1_S8_PvPKiSB_iiiiilll,"axG",@progbits,_ZN12_GLOBAL__N_139chunk_gated_delta_rule_fwd_h_hip_kernelILi64ELb0ELb0ELb1ELb0ELb1ELb1ELb0ELb0EEEvPK12hip_bfloat16S3_S3_PKfS5_PKvPS1_S8_PvPKiSB_iiiiilll,comdat
	.globl	_ZN12_GLOBAL__N_139chunk_gated_delta_rule_fwd_h_hip_kernelILi64ELb0ELb0ELb1ELb0ELb1ELb1ELb0ELb0EEEvPK12hip_bfloat16S3_S3_PKfS5_PKvPS1_S8_PvPKiSB_iiiiilll ; -- Begin function _ZN12_GLOBAL__N_139chunk_gated_delta_rule_fwd_h_hip_kernelILi64ELb0ELb0ELb1ELb0ELb1ELb1ELb0ELb0EEEvPK12hip_bfloat16S3_S3_PKfS5_PKvPS1_S8_PvPKiSB_iiiiilll
	.p2align	8
	.type	_ZN12_GLOBAL__N_139chunk_gated_delta_rule_fwd_h_hip_kernelILi64ELb0ELb0ELb1ELb0ELb1ELb1ELb0ELb0EEEvPK12hip_bfloat16S3_S3_PKfS5_PKvPS1_S8_PvPKiSB_iiiiilll,@function
_ZN12_GLOBAL__N_139chunk_gated_delta_rule_fwd_h_hip_kernelILi64ELb0ELb0ELb1ELb0ELb1ELb1ELb0ELb0EEEvPK12hip_bfloat16S3_S3_PKfS5_PKvPS1_S8_PvPKiSB_iiiiilll: ; @_ZN12_GLOBAL__N_139chunk_gated_delta_rule_fwd_h_hip_kernelILi64ELb0ELb0ELb1ELb0ELb1ELb1ELb0ELb0EEEvPK12hip_bfloat16S3_S3_PKfS5_PKvPS1_S8_PvPKiSB_iiiiilll
; %bb.0:
	s_load_dwordx4 s[16:19], s[0:1], 0x5c
	s_load_dwordx4 s[12:15], s[0:1], 0x30
	s_abs_i32 s22, s3
	s_ashr_i32 s21, s3, 31
	s_load_dwordx8 s[4:11], s[0:1], 0x0
	s_waitcnt lgkmcnt(0)
	s_abs_i32 s20, s17
	v_cvt_f32_u32_e32 v1, s20
	s_sub_i32 s24, 0, s20
	s_ashr_i32 s23, s17, 31
	s_xor_b32 s21, s21, s23
	v_rcp_iflag_f32_e32 v1, v1
	v_lshrrev_b32_e32 v87, 6, v0
	v_bfe_u32 v88, v0, 4, 2
	v_lshlrev_b32_e32 v2, 2, v88
	v_mul_f32_e32 v1, 0x4f7ffffe, v1
	v_cvt_u32_f32_e32 v1, v1
	v_and_b32_e32 v86, 63, v0
	v_mov_b32_e32 v47, 0
	v_and_b32_e32 v45, 15, v0
	v_readfirstlane_b32 s25, v1
	s_mul_i32 s24, s24, s25
	s_mul_hi_u32 s24, s25, s24
	s_add_i32 s25, s25, s24
	s_mul_hi_u32 s24, s22, s25
	s_mul_i32 s25, s24, s20
	s_sub_i32 s22, s22, s25
	s_add_i32 s26, s24, 1
	s_sub_i32 s25, s22, s20
	s_cmp_ge_u32 s22, s20
	s_cselect_b32 s24, s26, s24
	s_cselect_b32 s22, s25, s22
	s_add_i32 s25, s24, 1
	s_cmp_ge_u32 s22, s20
	s_cselect_b32 s22, s25, s24
	s_abs_i32 s24, s18
	v_cvt_f32_u32_e32 v1, s24
	s_xor_b32 s22, s22, s21
	s_ashr_i32 s48, s16, 31
	s_sub_i32 s50, s22, s21
	v_rcp_iflag_f32_e32 v1, v1
	s_lshr_b32 s21, s48, 26
	s_add_i32 s21, s16, s21
	s_ashr_i32 s51, s18, 31
	v_mul_f32_e32 v1, 0x4f7ffffe, v1
	v_cvt_u32_f32_e32 v1, v1
	s_ashr_i32 s49, s21, 6
	s_xor_b32 s21, s23, s51
	s_sub_i32 s22, 0, s24
	v_readfirstlane_b32 s23, v1
	s_mul_i32 s22, s22, s23
	s_mul_hi_u32 s22, s23, s22
	s_add_i32 s23, s23, s22
	s_mul_hi_u32 s22, s20, s23
	s_mul_i32 s23, s22, s24
	s_mul_i32 s47, s50, s17
	s_sub_i32 s20, s20, s23
	s_sub_i32 s33, s3, s47
	s_add_i32 s3, s16, 63
	s_add_i32 s23, s22, 1
	s_sub_i32 s25, s20, s24
	s_cmp_ge_u32 s20, s24
	s_cselect_b32 s22, s23, s22
	s_cselect_b32 s20, s25, s20
	s_add_i32 s23, s22, 1
	s_cmp_ge_u32 s20, s24
	s_cselect_b32 s20, s23, s22
	s_xor_b32 s20, s20, s21
	s_sub_i32 s24, s20, s21
	s_abs_i32 s25, s24
	v_cvt_f32_u32_e32 v1, s25
	s_sub_i32 s27, 0, s25
	s_abs_i32 s26, s33
	s_xor_b32 s24, s33, s24
	v_rcp_iflag_f32_e32 v1, v1
	s_ashr_i32 s24, s24, 31
	s_load_dwordx2 s[34:35], s[0:1], 0x80
	s_load_dwordx4 s[20:23], s[0:1], 0x70
	s_mul_hi_i32 s53, s50, s17
	v_mul_f32_e32 v1, 0x4f7ffffe, v1
	v_cvt_u32_f32_e32 v1, v1
	v_lshrrev_b32_e32 v90, 3, v86
	v_lshlrev_b32_e32 v89, 3, v0
	s_waitcnt lgkmcnt(0)
	s_mul_i32 s21, s50, s21
	v_readfirstlane_b32 s28, v1
	s_mul_i32 s27, s27, s28
	s_mul_hi_u32 s27, s28, s27
	s_add_i32 s28, s28, s27
	s_mul_hi_u32 s27, s26, s28
	s_mul_i32 s28, s27, s25
	s_sub_i32 s26, s26, s28
	s_add_i32 s28, s27, 1
	s_sub_i32 s29, s26, s25
	s_cmp_ge_u32 s26, s25
	s_cselect_b32 s27, s28, s27
	s_cselect_b32 s26, s29, s26
	s_add_i32 s28, s27, 1
	s_cmp_ge_u32 s26, s25
	s_cselect_b32 s25, s28, s27
	s_xor_b32 s25, s25, s24
	s_sub_i32 s54, s25, s24
	s_ashr_i32 s24, s3, 31
	s_lshr_b32 s24, s24, 26
	v_lshlrev_b32_e32 v1, 4, v87
	s_add_i32 s3, s3, s24
	v_or_b32_e32 v91, v2, v1
	s_ashr_i32 s3, s3, 6
	s_lshl_b32 s36, s2, 6
	s_mul_i32 s52, s50, s3
	v_or_b32_e32 v92, 64, v91
	s_cmp_lt_i32 s16, 64
	s_mul_hi_u32 s46, s50, s20
	s_mul_i32 s38, s50, s20
	v_mov_b32_e32 v46, v47
	v_mov_b32_e32 v53, v47
	v_mov_b32_e32 v52, v47
	v_mov_b32_e32 v51, v47
	v_mov_b32_e32 v50, v47
	v_mov_b32_e32 v49, v47
	v_mov_b32_e32 v48, v47
	v_mov_b32_e32 v61, v47
	v_mov_b32_e32 v60, v47
	v_mov_b32_e32 v59, v47
	v_mov_b32_e32 v58, v47
	v_mov_b32_e32 v57, v47
	v_mov_b32_e32 v56, v47
	v_mov_b32_e32 v55, v47
	v_mov_b32_e32 v54, v47
	v_mov_b32_e32 v69, v47
	v_mov_b32_e32 v68, v47
	v_mov_b32_e32 v67, v47
	v_mov_b32_e32 v66, v47
	v_mov_b32_e32 v65, v47
	v_mov_b32_e32 v64, v47
	v_mov_b32_e32 v63, v47
	v_mov_b32_e32 v62, v47
	v_mov_b32_e32 v77, v47
	v_mov_b32_e32 v76, v47
	v_mov_b32_e32 v75, v47
	v_mov_b32_e32 v74, v47
	v_mov_b32_e32 v73, v47
	v_mov_b32_e32 v72, v47
	v_mov_b32_e32 v71, v47
	v_mov_b32_e32 v70, v47
	s_cbranch_scc1 .LBB159_18
; %bb.1:
	s_ashr_i32 s28, s50, 31
	s_ashr_i32 s56, s33, 31
	s_add_u32 s2, s47, s33
	s_addc_u32 s3, s53, s56
	s_mul_i32 s3, s16, s3
	s_mul_hi_u32 s24, s16, s2
	s_add_i32 s41, s24, s3
	s_mul_i32 s40, s16, s2
	s_lshl_b64 s[2:3], s[40:41], 8
	v_and_b32_e32 v94, 56, v89
	s_add_u32 s24, s6, s2
	v_lshl_or_b32 v93, v87, 3, v90
	v_lshlrev_b32_e32 v3, 1, v94
	s_addc_u32 s2, s7, s3
	v_lshl_or_b32 v95, v93, 8, v3
	s_and_b32 s25, s2, 0xffff
	s_mov_b32 s27, 0x20000
	s_movk_i32 s26, 0x4000
	s_movk_i32 s2, 0x80
	v_or_b32_e32 v96, 0x2000, v95
	buffer_load_dwordx4 v[4:7], v95, s[24:27], 0 offen
	buffer_load_dwordx4 v[8:11], v95, s[24:27], s2 offen
	;; [unrolled: 1-line block ×4, first 2 shown]
	v_lshlrev_b32_e32 v20, 3, v93
	v_and_or_b32 v22, v0, 7, v20
	v_and_b32_e32 v20, 0x78, v20
	v_lshlrev_b32_e32 v22, 4, v22
	v_xor_b32_e32 v97, v22, v20
	v_mul_lo_u32 v21, v93, s19
	v_or_b32_e32 v98, 0x1000, v97
	s_cmpk_eq_i32 s19, 0x80
	s_mov_b32 s55, s18
	v_xor_b32_e32 v20, 8, v97
	v_xor_b32_e32 v22, 8, v98
	s_cselect_b64 s[2:3], -1, 0
	s_cmpk_lg_i32 s19, 0x80
	s_waitcnt vmcnt(3)
	ds_write_b64 v97, v[4:5] offset:49152
	ds_write_b64 v20, v[6:7] offset:49152
	s_waitcnt vmcnt(2)
	ds_write_b64 v97, v[8:9] offset:57344
	ds_write_b64 v20, v[10:11] offset:57344
	;; [unrolled: 3-line block ×4, first 2 shown]
	v_lshl_add_u32 v4, v21, 1, v94
	s_cbranch_scc0 .LBB159_3
; %bb.2:
	v_lshlrev_b32_e32 v6, 1, v4
	v_add_lshl_u32 v5, v4, s19, 1
	s_lshl_b32 s26, s19, 7
	s_load_dwordx2 s[42:43], s[0:1], 0x20
	v_lshl_or_b32 v3, v93, 9, v3
	s_cbranch_execz .LBB159_4
	s_branch .LBB159_5
.LBB159_3:
                                        ; implicit-def: $vgpr5
                                        ; implicit-def: $vgpr6
                                        ; implicit-def: $sgpr26
	s_load_dwordx2 s[42:43], s[0:1], 0x20
	v_lshl_or_b32 v3, v93, 9, v3
.LBB159_4:
	v_or_b32_e32 v5, 0x100, v3
	s_movk_i32 s26, 0x4000
	v_mov_b32_e32 v6, v3
.LBB159_5:
	s_mul_hi_u32 s0, s18, s16
	s_mul_i32 s1, s51, s16
	s_add_i32 s0, s0, s1
	s_mul_i32 s1, s18, s16
	s_mul_i32 s24, s1, s28
	s_mul_hi_u32 s25, s1, s50
	s_add_i32 s24, s25, s24
	s_mul_i32 s0, s0, s50
	s_add_i32 s24, s24, s0
	s_mul_i32 s1, s1, s50
	s_ashr_i32 s57, s54, 31
	s_add_u32 s0, s1, s54
	s_addc_u32 s1, s24, s57
	s_lshl_b64 s[0:1], s[0:1], 8
	s_add_u32 s24, s4, s0
	s_addc_u32 s0, s5, s1
	s_and_b32 s25, s0, 0xffff
	s_movk_i32 s58, 0x80
	buffer_load_dwordx4 v[8:11], v6, s[24:27], 0 offen
	buffer_load_dwordx4 v[12:15], v6, s[24:27], s58 offen
	;; [unrolled: 1-line block ×4, first 2 shown]
	v_and_b32_e32 v5, 6, v0
	v_lshlrev_b32_e32 v6, 7, v91
	v_xor_b32_e32 v27, v93, v5
	v_and_b32_e32 v7, 1, v0
	v_lshl_or_b32 v30, v45, 3, v6
	v_lshlrev_b32_e32 v27, 2, v27
	v_or_b32_e32 v99, 0x4000, v30
	v_or_b32_e32 v100, 0x6000, v30
	v_xor_b32_e32 v30, 0x440, v27
	v_cmp_eq_u32_e32 vcc, 0, v7
	v_lshlrev_b32_e32 v24, 2, v45
	s_mov_b32 s61, 0x1000504
	v_cndmask_b32_e32 v7, v30, v27, vcc
	v_xor_b32_e32 v28, v91, v24
	v_xor_b32_e32 v29, v92, v24
	v_lshl_or_b32 v5, v5, 10, v7
	s_mov_b32 s62, 0x3020706
	s_mul_i32 s0, s28, s16
	s_mul_hi_u32 s1, s50, s16
	v_lshlrev_b32_e32 v25, 8, v45
	v_or_b32_e32 v26, 16, v45
	v_lshlrev_b32_e32 v28, 1, v28
	v_lshlrev_b32_e32 v29, 1, v29
	v_xor_b32_e32 v7, 8, v5
	v_xor_b32_e32 v27, 24, v5
	;; [unrolled: 1-line block ×4, first 2 shown]
	v_or_b32_e32 v102, v25, v28
	v_or_b32_e32 v103, v25, v29
	v_xor_b32_e32 v25, 16, v5
	v_xor_b32_e32 v30, 32, v5
	;; [unrolled: 1-line block ×3, first 2 shown]
	v_add_u32_e32 v7, 0x80, v7
	v_add_u32_e32 v27, 0x80, v27
	;; [unrolled: 1-line block ×4, first 2 shown]
	s_add_i32 s63, s1, s0
	s_add_i32 s0, s46, s21
	s_mul_i32 s28, s28, s20
	s_add_i32 s39, s0, s28
	s_mul_i32 s0, s33, s23
	s_mul_hi_u32 s1, s33, s22
	s_add_i32 s0, s1, s0
	s_mul_i32 s1, s56, s22
	s_add_i32 s1, s0, s1
	s_lshl_b64 s[24:25], s[38:39], 2
	s_mul_i32 s0, s33, s22
	s_add_u32 s24, s10, s24
	s_addc_u32 s25, s11, s25
	s_lshl_b64 s[0:1], s[0:1], 2
	s_add_u32 s44, s24, s0
	s_movk_i32 s0, 0xf8
	s_addc_u32 s45, s25, s1
	s_ashr_i32 s37, s36, 31
	s_lshl_b32 s30, s19, 7
	v_mov_b32_e32 v79, 0
	s_movk_i32 s24, 0x100
	v_lshlrev_b32_e32 v78, 4, v45
	s_mul_i32 s59, s50, s16
	v_lshl_or_b32 v31, v26, 3, v6
	s_mov_b32 s60, 0
	v_or_b32_e32 v101, 0x4000, v31
	s_movk_i32 s26, 0x4000
	v_or_b32_e32 v104, 0x6000, v31
	v_add_u32_e32 v136, v1, v2
	s_mov_b32 s39, 0x7060302
	s_movk_i32 s64, 0x2000
	s_movk_i32 s65, 0x3000
	s_mov_b32 s67, 0
	v_mov_b32_e32 v70, v79
	v_mov_b32_e32 v71, v79
	;; [unrolled: 1-line block ×9, first 2 shown]
	s_waitcnt vmcnt(1)
	v_perm_b32 v35, v8, v16, s61
	s_waitcnt vmcnt(0)
	v_perm_b32 v36, v12, v20, s61
	v_perm_b32 v8, v8, v16, s62
	;; [unrolled: 1-line block ×15, first 2 shown]
	ds_write2st64_b32 v5, v35, v36 offset0:128 offset1:160
	ds_write2st64_b32 v7, v8, v12 offset0:128 offset1:160
	;; [unrolled: 1-line block ×8, first 2 shown]
	v_lshlrev_b32_e32 v5, 8, v26
	v_or_b32_e32 v105, v5, v28
	v_or_b32_e32 v106, v5, v29
	;; [unrolled: 1-line block ×3, first 2 shown]
	v_lshl_or_b32 v7, v5, 3, v6
	v_lshlrev_b32_e32 v5, 8, v5
	v_or_b32_e32 v109, v5, v28
	v_or_b32_e32 v110, v5, v29
	;; [unrolled: 1-line block ×5, first 2 shown]
	v_lshl_or_b32 v7, v5, 3, v6
	v_lshlrev_b32_e32 v5, 8, v5
	v_or_b32_e32 v113, v5, v28
	v_or_b32_e32 v114, v5, v29
	;; [unrolled: 1-line block ×3, first 2 shown]
	v_lshlrev_b32_e32 v5, 3, v5
	v_lshrrev_b32_e32 v9, 5, v86
	v_and_or_b32 v9, v5, s0, v9
	v_lshlrev_b32_e32 v9, 4, v9
	v_lshlrev_b32_e32 v11, 11, v87
	v_and_b32_e32 v5, 0x78, v5
	v_or_b32_e32 v14, 32, v9
	v_and_b32_e32 v8, 0x1000, v11
	v_xor_b32_e32 v10, v9, v5
	v_lshrrev_b32_e32 v12, 1, v86
	v_xor_b32_e32 v14, v14, v5
	v_or_b32_e32 v10, v10, v8
	v_and_b32_e32 v12, 8, v12
	v_or_b32_e32 v14, v14, v8
	v_xor_b32_e32 v115, v10, v12
	v_lshlrev_b32_e32 v10, 8, v88
	v_xor_b32_e32 v117, v14, v12
	v_or_b32_e32 v14, 64, v9
	v_or_b32_e32 v9, 0x60, v9
	;; [unrolled: 1-line block ×3, first 2 shown]
	v_xor_b32_e32 v14, v14, v5
	v_xor_b32_e32 v5, v9, v5
	v_lshlrev_b32_e32 v13, 1, v13
	v_or_b32_e32 v14, v14, v8
	v_or_b32_e32 v5, v5, v8
	s_lshl_b64 s[0:1], s[36:37], 8
	v_or_b32_e32 v116, 0x4000, v13
	v_or_b32_e32 v118, 0x4080, v13
	;; [unrolled: 1-line block ×4, first 2 shown]
	v_xor_b32_e32 v121, v14, v12
	v_xor_b32_e32 v122, v5, v12
	v_or_b32_e32 v123, 0x6000, v13
	v_or_b32_e32 v124, 0x6080, v13
	v_or_b32_e32 v125, 0x6100, v13
	v_or_b32_e32 v126, 0x6180, v13
	v_lshlrev_b32_e32 v12, 1, v4
	v_add_lshl_u32 v13, v4, s19, 1
	s_add_u32 s0, s12, s0
	v_lshlrev_b32_e32 v4, 1, v45
	v_lshrrev_b32_e32 v15, 4, v0
	s_addc_u32 s1, s13, s1
	v_or_b32_e32 v5, 1, v4
	v_lshlrev_b32_e32 v18, 2, v0
	v_or_b32_e32 v14, 0x100, v3
	v_xor_b32_e32 v16, v15, v4
	v_xor_b32_e32 v17, v5, v15
	v_lshl_add_u64 v[4:5], s[0:1], 0, v[78:79]
	v_lshlrev_b32_e32 v78, 8, v15
	v_lshrrev_b32_e32 v19, 1, v0
	v_and_or_b32 v10, v18, 60, v10
	v_cndmask_b32_e64 v133, v12, v3, s[2:3]
	v_mov_b32_e32 v3, 0xa000
	v_mov_b32_e32 v12, 0x8000
	v_cmp_gt_u32_e64 s[0:1], s24, v0
	v_lshl_or_b32 v127, v16, 3, v78
	v_and_b32_e32 v16, 8, v0
	v_and_b32_e32 v19, 24, v19
	v_lshlrev_b32_e32 v10, 1, v10
	v_cndmask_b32_e64 v3, v3, v12, s[0:1]
	v_lshlrev_b32_e32 v12, 3, v87
	v_or_b32_e32 v129, 0x6000, v10
	v_or_b32_e32 v130, 0x6080, v10
	;; [unrolled: 1-line block ×4, first 2 shown]
	v_mov_b32_e32 v10, 0x400
	v_cmp_eq_u32_e32 vcc, 0, v16
	v_cndmask_b32_e64 v134, v13, v14, s[2:3]
	v_xor_b32_e32 v13, v12, v19
	v_and_b32_e32 v15, 7, v0
	v_cndmask_b32_e64 v16, v10, 64, vcc
	v_or_b32_e32 v14, 0x440, v13
	v_lshl_or_b32 v128, v17, 3, v78
	v_lshlrev_b32_e32 v17, 3, v15
	v_or_b32_e32 v18, 32, v19
	v_or_b32_e32 v20, 0x60, v19
	v_cndmask_b32_e32 v14, v14, v13, vcc
	v_or3_b32 v13, v11, v16, v13
	v_lshlrev_b32_e32 v15, 7, v15
	v_xor_b32_e32 v18, v12, v18
	v_xor_b32_e32 v13, v13, v17
	v_xor_b32_e32 v12, v12, v20
	v_or_b32_e32 v21, 0x440, v18
	v_or_b32_e32 v135, v13, v15
	v_xor_b32_e32 v13, 0x440, v12
	v_cndmask_b32_e32 v18, v21, v18, vcc
	v_cndmask_b32_e32 v12, v13, v12, vcc
	v_or_b32_e32 v111, 0x4000, v7
	v_or_b32_e32 v112, 0x6000, v7
	v_lshrrev_b32_e32 v7, 2, v86
	v_or_b32_e32 v8, s36, v45
	v_or_b32_e32 v14, v14, v11
	v_or_b32_e32 v18, v18, v11
	v_or_b32_e32 v11, v12, v11
	v_and_b32_e32 v7, 12, v7
	v_ashrrev_i32_e32 v9, 31, v8
	v_xor_b32_e32 v14, v14, v17
	v_xor_b32_e32 v18, v18, v17
	;; [unrolled: 1-line block ×3, first 2 shown]
	v_or_b32_e32 v10, v1, v7
	v_add_u32_e32 v19, v3, v14
	v_add_u32_e32 v21, v3, v18
	;; [unrolled: 1-line block ×3, first 2 shown]
	v_or3_b32 v12, v1, v7, 64
	v_add_u32_e32 v7, 0xa000, v14
	v_add_u32_e32 v14, 0xa000, v18
	;; [unrolled: 1-line block ×3, first 2 shown]
	v_lshlrev_b64 v[8:9], 1, v[8:9]
	v_lshl_add_u64 v[80:81], s[8:9], 0, v[8:9]
	v_lshl_add_u64 v[82:83], s[14:15], 0, v[8:9]
	v_lshl_add_u64 v[84:85], v[4:5], 0, v[78:79]
	s_add_i32 s37, s59, 63
	v_lshlrev_b32_e32 v78, 1, v6
	v_lshlrev_b32_e32 v137, 2, v10
	v_add_u32_e32 v138, v19, v15
	v_add_u32_e32 v139, v21, v15
	;; [unrolled: 1-line block ×4, first 2 shown]
	v_lshlrev_b32_e32 v142, 2, v12
	v_add_u32_e32 v143, v7, v15
	v_add_u32_e32 v144, v14, v15
	;; [unrolled: 1-line block ×3, first 2 shown]
	v_mov_b32_e32 v63, v79
	v_mov_b32_e32 v64, v79
	;; [unrolled: 1-line block ×23, first 2 shown]
	s_waitcnt lgkmcnt(0)
	s_barrier
.LBB159_6:                              ; =>This Inner Loop Header: Depth=1
	s_add_i32 s66, s67, 1
	s_cmp_lt_i32 s66, s49
	s_mov_b64 s[28:29], 0
	s_cselect_b64 s[2:3], -1, 0
	s_cmp_ge_i32 s66, s49
	s_mov_b64 s[24:25], 0
	s_cbranch_scc1 .LBB159_8
; %bb.7:                                ;   in Loop: Header=BB159_6 Depth=1
	s_add_i32 s0, s60, 64
	s_add_u32 s0, s40, s0
	s_addc_u32 s1, s41, 0
	s_lshl_b64 s[0:1], s[0:1], 8
	s_add_u32 s24, s6, s0
	s_addc_u32 s25, s7, s1
.LBB159_8:                              ;   in Loop: Header=BB159_6 Depth=1
	v_cndmask_b32_e64 v2, 0, 1, s[2:3]
	v_cmp_ne_u32_e64 s[0:1], 1, v2
	s_andn2_b64 vcc, exec, s[2:3]
	s_cbranch_vccnz .LBB159_10
; %bb.9:                                ;   in Loop: Header=BB159_6 Depth=1
	s_add_i32 s2, s60, 64
	s_add_u32 s2, s59, s2
	s_addc_u32 s3, s63, 0
	s_mul_i32 s28, s2, s51
	s_mul_hi_u32 s29, s2, s55
	s_add_i32 s28, s29, s28
	s_mul_i32 s3, s3, s55
	s_add_i32 s28, s28, s3
	s_mul_i32 s2, s2, s55
	s_add_u32 s2, s2, s54
	s_addc_u32 s3, s28, s57
	s_lshl_b64 s[2:3], s[2:3], 8
	s_add_u32 s28, s4, s2
	s_addc_u32 s29, s5, s3
.LBB159_10:                             ;   in Loop: Header=BB159_6 Depth=1
	v_perm_b32 v3, v77, v76, s39
	v_perm_b32 v2, v75, v74, s39
	v_perm_b32 v5, v73, v72, s39
	v_perm_b32 v4, v71, v70, s39
	ds_write_b64 v99, v[2:3]
	ds_write_b64 v100, v[4:5]
	ds_write_b64 v102, v[2:3]
	ds_write_b64 v103, v[4:5]
	v_perm_b32 v3, v69, v68, s39
	v_perm_b32 v2, v67, v66, s39
	v_perm_b32 v5, v65, v64, s39
	v_perm_b32 v4, v63, v62, s39
	ds_write_b64 v101, v[2:3]
	ds_write_b64 v104, v[4:5]
	ds_write_b64 v105, v[2:3]
	ds_write_b64 v106, v[4:5]
	;; [unrolled: 8-line block ×4, first 2 shown]
	s_waitcnt lgkmcnt(0)
	s_barrier
	ds_read_b64 v[6:7], v115 offset:49152
	ds_read2_b64 v[2:5], v116 offset1:16
	ds_read_b64 v[18:19], v118 offset:6144
	ds_read_b64 v[20:21], v116 offset:6144
	s_waitcnt lgkmcnt(2)
	v_mfma_f32_16x16x16_bf16 a[0:3], v[6:7], v[2:3], 0
	ds_read_b64 v[22:23], v117 offset:49152
	ds_read2st64_b64 v[10:13], v119 offset0:4 offset1:8
	ds_read2st64_b64 v[14:17], v120 offset0:4 offset1:8
	v_mfma_f32_16x16x16_bf16 a[4:7], v[6:7], v[4:5], 0
	ds_read2_b64 v[2:5], v116 offset0:32 offset1:48
	s_add_i32 s2, s60, 63
	s_mul_i32 s3, s2, s35
	s_waitcnt lgkmcnt(0)
	v_mfma_f32_16x16x16_bf16 a[8:11], v[6:7], v[2:3], 0
	s_mul_hi_u32 s31, s2, s34
	s_add_i32 s3, s31, s3
	s_mul_i32 s2, s2, s34
	v_mfma_f32_16x16x16_bf16 a[12:15], v[6:7], v[4:5], 0
	ds_read2st64_b64 v[2:5], v116 offset0:4 offset1:8
	ds_read2st64_b64 v[6:9], v118 offset0:4 offset1:8
	s_lshl_b64 s[2:3], s[2:3], 2
	s_waitcnt lgkmcnt(1)
	v_mfma_f32_16x16x16_bf16 a[0:3], v[22:23], v[2:3], a[0:3]
	s_add_u32 s2, s44, s2
	s_addc_u32 s3, s45, s3
	s_and_b64 vcc, exec, s[0:1]
	s_waitcnt lgkmcnt(0)
	v_mfma_f32_16x16x16_bf16 a[4:7], v[22:23], v[6:7], a[4:7]
	v_mov_b32_e32 v148, 0
	v_mov_b32_e32 v147, 0
	;; [unrolled: 1-line block ×3, first 2 shown]
	v_mfma_f32_16x16x16_bf16 a[8:11], v[22:23], v[10:11], a[8:11]
	ds_read_b64 v[2:3], v121 offset:49152
	ds_read_b64 v[6:7], v122 offset:49152
	ds_read_b64 v[10:11], v120 offset:6144
	v_mfma_f32_16x16x16_bf16 a[12:15], v[22:23], v[14:15], a[12:15]
	v_mov_b32_e32 v14, 0
	v_mov_b32_e32 v15, 0
	s_waitcnt lgkmcnt(2)
	v_mfma_f32_16x16x16_bf16 a[0:3], v[2:3], v[4:5], a[0:3]
	v_mov_b32_e32 v4, 0
	v_mov_b32_e32 v5, 0
	v_mfma_f32_16x16x16_bf16 a[16:19], v[2:3], v[8:9], a[4:7]
	v_mov_b32_e32 v8, 0
	v_mov_b32_e32 v9, 0
	;; [unrolled: 3-line block ×3, first 2 shown]
	v_mfma_f32_16x16x16_bf16 a[24:27], v[2:3], v[16:17], a[12:15]
	ds_read_b64 v[2:3], v119 offset:6144
	v_mov_b32_e32 v16, 0
	v_mov_b32_e32 v17, 0
	s_waitcnt lgkmcnt(2)
	v_mfma_f32_16x16x16_bf16 a[4:7], v[6:7], v[20:21], a[0:3]
	v_mfma_f32_16x16x16_bf16 a[8:11], v[6:7], v[18:19], a[16:19]
	s_waitcnt lgkmcnt(0)
	v_mfma_f32_16x16x16_bf16 a[12:15], v[6:7], v[2:3], a[20:23]
	v_mov_b32_e32 v2, 0
	v_mov_b32_e32 v3, 0
	v_mfma_f32_16x16x16_bf16 a[0:3], v[6:7], v[10:11], a[24:27]
	v_mov_b32_e32 v6, 0
	v_mov_b32_e32 v7, 0
	;; [unrolled: 1-line block ×4, first 2 shown]
	s_cbranch_vccnz .LBB159_12
; %bb.11:                               ;   in Loop: Header=BB159_6 Depth=1
	s_and_b32 s25, s25, 0xffff
	buffer_load_dwordx4 v[14:17], v95, s[24:27], 0 offen
	buffer_load_dwordx4 v[10:13], v95, s[24:27], s58 offen
	;; [unrolled: 1-line block ×4, first 2 shown]
	v_mov_b32_e32 v147, v97
	v_mov_b32_e32 v146, v98
.LBB159_12:                             ;   in Loop: Header=BB159_6 Depth=1
	ds_read_b64 v[30:31], v115 offset:57344
	ds_read2_b64 v[18:21], v123 offset1:16
	ds_read_b64 v[34:35], v117 offset:57344
	ds_read_b64 v[36:37], v121 offset:57344
	;; [unrolled: 1-line block ×3, first 2 shown]
	v_add_u32_e32 v32, s60, v136
	s_waitcnt lgkmcnt(3)
	v_mfma_f32_16x16x16_bf16 a[4:7], v[30:31], v[18:19], a[4:7]
	v_mfma_f32_16x16x16_bf16 a[8:11], v[30:31], v[20:21], a[8:11]
	ds_read2_b64 v[18:21], v123 offset0:32 offset1:48
	ds_read2st64_b64 v[22:25], v123 offset0:4 offset1:8
	ds_read2st64_b64 v[26:29], v124 offset0:4 offset1:8
	s_waitcnt lgkmcnt(2)
	v_mfma_f32_16x16x16_bf16 a[12:15], v[30:31], v[18:19], a[12:15]
	v_ashrrev_i32_e32 v18, 31, v32
	v_mul_lo_u32 v33, v18, s34
	v_mad_u64_u32 v[18:19], s[24:25], v32, s34, 0
	v_mfma_f32_16x16x16_bf16 a[0:3], v[30:31], v[20:21], a[0:3]
	v_mul_lo_u32 v20, v32, s35
	v_add3_u32 v19, v19, v20, v33
	v_add_u32_e32 v20, 1, v32
	v_ashrrev_i32_e32 v21, 31, v20
	s_waitcnt lgkmcnt(1)
	v_mfma_f32_16x16x16_bf16 a[4:7], v[34:35], v[22:23], a[4:7]
	v_mul_lo_u32 v22, v21, s34
	v_mul_lo_u32 v23, v20, s35
	v_mad_u64_u32 v[20:21], s[24:25], v20, s34, 0
	v_add3_u32 v21, v21, v23, v22
	v_add_u32_e32 v22, 2, v32
	v_ashrrev_i32_e32 v23, 31, v22
	v_mul_lo_u32 v30, v23, s34
	v_mul_lo_u32 v31, v22, s35
	v_mad_u64_u32 v[22:23], s[24:25], v22, s34, 0
	v_add3_u32 v23, v23, v31, v30
	v_add_u32_e32 v30, 3, v32
	v_ashrrev_i32_e32 v31, 31, v30
	v_mul_lo_u32 v32, v31, s34
	v_mul_lo_u32 v33, v30, s35
	v_mad_u64_u32 v[30:31], s[24:25], v30, s34, 0
	s_add_u32 s24, s40, s60
	v_lshl_add_u64 v[18:19], v[18:19], 2, s[44:45]
	v_add3_u32 v31, v31, v33, v32
	s_addc_u32 s25, s41, 0
	v_lshl_add_u64 v[20:21], v[20:21], 2, s[44:45]
	global_load_dword v40, v[18:19], off
	v_lshl_add_u64 v[18:19], v[30:31], 2, s[44:45]
	s_lshl_b64 s[24:25], s[24:25], 8
	v_lshl_add_u64 v[22:23], v[22:23], 2, s[44:45]
	global_load_dword v41, v[20:21], off
	global_load_dword v42, v[22:23], off
	;; [unrolled: 1-line block ×3, first 2 shown]
	v_lshl_add_u64 v[18:19], v[80:81], 0, s[24:25]
	v_lshl_add_u64 v[22:23], v[18:19], 0, v[78:79]
	global_load_ushort v44, v[22:23], off offset:256
	global_load_ushort v149, v[22:23], off
	ds_read2st64_b64 v[18:21], v125 offset0:4 offset1:8
	global_load_ushort v150, v[22:23], off offset:768
	global_load_ushort v151, v[22:23], off offset:512
	ds_read2st64_b64 v[30:33], v126 offset0:4 offset1:8
	global_load_ushort v152, v[22:23], off offset:288
	global_load_ushort v153, v[22:23], off offset:32
	;; [unrolled: 1-line block ×4, first 2 shown]
	s_waitcnt lgkmcnt(2)
	v_mfma_f32_16x16x16_bf16 a[8:11], v[34:35], v[26:27], a[8:11]
	global_load_ushort v156, v[22:23], off offset:320
	global_load_ushort v157, v[22:23], off offset:64
	;; [unrolled: 1-line block ×4, first 2 shown]
	s_and_b64 vcc, exec, s[0:1]
	s_waitcnt lgkmcnt(1)
	v_mfma_f32_16x16x16_bf16 a[12:15], v[34:35], v[18:19], a[12:15]
	ds_read_b64 v[18:19], v123 offset:6144
	s_waitcnt lgkmcnt(1)
	v_mfma_f32_16x16x16_bf16 a[0:3], v[34:35], v[30:31], a[0:3]
	v_lshl_add_u64 v[30:31], v[82:83], 0, s[24:25]
	v_lshl_add_u64 v[30:31], v[30:31], 0, v[78:79]
	v_mfma_f32_16x16x16_bf16 a[4:7], v[36:37], v[24:25], a[4:7]
	v_mfma_f32_16x16x16_bf16 a[8:11], v[36:37], v[28:29], a[8:11]
	;; [unrolled: 1-line block ×4, first 2 shown]
	global_load_ushort v36, v[22:23], off offset:352
	global_load_ushort v37, v[22:23], off offset:96
	ds_read_b64 v[20:21], v124 offset:6144
	ds_read_b64 v[24:25], v125 offset:6144
	ds_read_b64 v[26:27], v126 offset:6144
	s_load_dword s2, s[2:3], 0x0
	global_load_ushort v160, v[22:23], off offset:864
	global_load_ushort v161, v[22:23], off offset:608
	s_waitcnt lgkmcnt(0)
	v_mfma_f32_16x16x16_bf16 a[4:7], v[38:39], v[18:19], a[4:7]
	s_waitcnt vmcnt(17)
	v_sub_f32_e32 v28, s2, v42
	v_mfma_f32_16x16x16_bf16 a[0:3], v[38:39], v[26:27], a[0:3]
	v_sub_f32_e32 v26, s2, v40
	v_sub_f32_e32 v27, s2, v41
	s_waitcnt vmcnt(16)
	v_sub_f32_e32 v29, s2, v43
	v_mfma_f32_16x16x16_bf16 a[8:11], v[38:39], v[20:21], a[8:11]
	v_exp_f32_e32 v26, v26
	v_exp_f32_e32 v27, v27
	;; [unrolled: 1-line block ×4, first 2 shown]
	v_accvgpr_read_b32 v35, a5
	s_waitcnt vmcnt(15)
	v_lshlrev_b32_e32 v33, 16, v44
	s_waitcnt vmcnt(14)
	v_lshlrev_b32_e32 v32, 16, v149
	v_accvgpr_read_b32 v34, a4
	v_accvgpr_read_b32 v19, a7
	;; [unrolled: 1-line block ×3, first 2 shown]
	v_pk_add_f32 v[32:33], v[32:33], v[34:35] neg_lo:[0,1] neg_hi:[0,1]
	s_waitcnt vmcnt(13)
	v_lshlrev_b32_e32 v35, 16, v150
	s_waitcnt vmcnt(12)
	v_lshlrev_b32_e32 v34, 16, v151
	v_pk_add_f32 v[18:19], v[34:35], v[18:19] neg_lo:[0,1] neg_hi:[0,1]
	global_store_short_d16_hi v[30:31], v32, off
	global_store_short_d16_hi v[30:31], v33, off offset:256
	global_store_short_d16_hi v[30:31], v18, off offset:512
	;; [unrolled: 1-line block ×3, first 2 shown]
	v_pk_mul_f32 v[32:33], v[26:27], v[32:33]
	v_pk_mul_f32 v[18:19], v[28:29], v[18:19]
	v_accvgpr_read_b32 v35, a9
	v_perm_b32 v32, v33, v32, s39
	v_perm_b32 v33, v19, v18, s39
	s_waitcnt vmcnt(15)
	v_lshlrev_b32_e32 v19, 16, v152
	s_waitcnt vmcnt(14)
	v_lshlrev_b32_e32 v18, 16, v153
	v_accvgpr_read_b32 v34, a8
	v_accvgpr_read_b32 v21, a11
	v_mfma_f32_16x16x16_bf16 a[12:15], v[38:39], v[24:25], a[12:15]
	v_accvgpr_read_b32 v20, a10
	v_pk_add_f32 v[18:19], v[18:19], v[34:35] neg_lo:[0,1] neg_hi:[0,1]
	s_waitcnt vmcnt(13)
	v_lshlrev_b32_e32 v35, 16, v154
	s_waitcnt vmcnt(12)
	v_lshlrev_b32_e32 v34, 16, v155
	v_pk_add_f32 v[20:21], v[34:35], v[20:21] neg_lo:[0,1] neg_hi:[0,1]
	global_store_short_d16_hi v[30:31], v18, off offset:32
	global_store_short_d16_hi v[30:31], v19, off offset:288
	;; [unrolled: 1-line block ×4, first 2 shown]
	v_pk_mul_f32 v[18:19], v[26:27], v[18:19]
	v_pk_mul_f32 v[20:21], v[28:29], v[20:21]
	v_accvgpr_read_b32 v23, a15
	v_perm_b32 v21, v21, v20, s39
	v_perm_b32 v20, v19, v18, s39
	ds_write2_b64 v100, v[32:33], v[20:21] offset1:16
	v_accvgpr_read_b32 v21, a13
	s_waitcnt vmcnt(15)
	v_lshlrev_b32_e32 v19, 16, v156
	s_waitcnt vmcnt(14)
	v_lshlrev_b32_e32 v18, 16, v157
	v_accvgpr_read_b32 v20, a12
	v_accvgpr_read_b32 v22, a14
	v_pk_add_f32 v[18:19], v[18:19], v[20:21] neg_lo:[0,1] neg_hi:[0,1]
	s_waitcnt vmcnt(13)
	v_lshlrev_b32_e32 v21, 16, v158
	s_waitcnt vmcnt(12)
	v_lshlrev_b32_e32 v20, 16, v159
	v_pk_add_f32 v[20:21], v[20:21], v[22:23] neg_lo:[0,1] neg_hi:[0,1]
	global_store_short_d16_hi v[30:31], v18, off offset:64
	global_store_short_d16_hi v[30:31], v19, off offset:320
	;; [unrolled: 1-line block ×4, first 2 shown]
	v_pk_mul_f32 v[18:19], v[26:27], v[18:19]
	v_pk_mul_f32 v[20:21], v[28:29], v[20:21]
	v_accvgpr_read_b32 v23, a1
	v_perm_b32 v18, v19, v18, s39
	v_perm_b32 v19, v21, v20, s39
	s_waitcnt vmcnt(15)
	v_lshlrev_b32_e32 v21, 16, v36
	s_waitcnt vmcnt(14)
	v_lshlrev_b32_e32 v20, 16, v37
	v_accvgpr_read_b32 v22, a0
	v_accvgpr_read_b32 v25, a3
	;; [unrolled: 1-line block ×3, first 2 shown]
	v_pk_add_f32 v[20:21], v[20:21], v[22:23] neg_lo:[0,1] neg_hi:[0,1]
	s_waitcnt vmcnt(13)
	v_lshlrev_b32_e32 v23, 16, v160
	s_waitcnt vmcnt(12)
	v_lshlrev_b32_e32 v22, 16, v161
	v_pk_add_f32 v[22:23], v[22:23], v[24:25] neg_lo:[0,1] neg_hi:[0,1]
	global_store_short_d16_hi v[30:31], v20, off offset:96
	global_store_short_d16_hi v[30:31], v21, off offset:352
	;; [unrolled: 1-line block ×4, first 2 shown]
	v_pk_mul_f32 v[20:21], v[26:27], v[20:21]
	v_pk_mul_f32 v[22:23], v[28:29], v[22:23]
	v_mov_b32_e32 v149, 0
	v_perm_b32 v23, v23, v22, s39
	v_perm_b32 v22, v21, v20, s39
	ds_write2_b64 v100, v[18:19], v[22:23] offset0:32 offset1:48
	v_mov_b32_e32 v18, 0
	v_mov_b32_e32 v19, 0
	;; [unrolled: 1-line block ×16, first 2 shown]
	s_cbranch_vccnz .LBB159_14
; %bb.13:                               ;   in Loop: Header=BB159_6 Depth=1
	s_and_b32 s29, s29, 0xffff
	s_mov_b32 s31, s27
	buffer_load_dwordx4 v[30:33], v133, s[28:31], 0 offen
	buffer_load_dwordx4 v[22:25], v133, s[28:31], s58 offen
	;; [unrolled: 1-line block ×4, first 2 shown]
	v_mov_b32_e32 v148, v94
	v_mov_b32_e32 v149, v93
.LBB159_14:                             ;   in Loop: Header=BB159_6 Depth=1
	s_waitcnt lgkmcnt(0)
	s_barrier
	ds_read_b64 v[42:43], v138
	ds_read2_b64 v[34:37], v129 offset1:16
	ds_read_b64 v[166:167], v139
	ds_read_b64 v[168:169], v140
	;; [unrolled: 1-line block ×3, first 2 shown]
	ds_read2_b64 v[38:41], v129 offset0:32 offset1:48
	ds_read2st64_b64 v[150:153], v129 offset0:4 offset1:8
	ds_read2st64_b64 v[154:157], v130 offset0:4 offset1:8
	;; [unrolled: 1-line block ×4, first 2 shown]
	s_waitcnt lgkmcnt(8)
	v_mfma_f32_16x16x16_bf16 a[0:3], v[42:43], v[34:35], 0
	s_add_i32 s3, s52, s67
	s_mul_hi_i32 s25, s3, s17
	s_mul_i32 s3, s3, s17
	v_mfma_f32_16x16x16_bf16 a[4:7], v[42:43], v[36:37], 0
	s_add_u32 s24, s3, s33
	s_addc_u32 s25, s25, s56
	s_add_i32 s3, s37, s60
	s_waitcnt lgkmcnt(4)
	v_mfma_f32_16x16x16_bf16 a[8:11], v[42:43], v[38:39], 0
	s_lshl_b64 s[24:25], s[24:25], 15
	s_mul_hi_i32 s29, s3, s17
	s_mul_i32 s3, s3, s17
	v_mfma_f32_16x16x16_bf16 a[12:15], v[42:43], v[40:41], 0
	ds_read_b64 v[42:43], v129 offset:6144
	ds_read_b64 v[178:179], v130 offset:6144
	;; [unrolled: 1-line block ×4, first 2 shown]
	s_add_u32 s28, s3, s33
	s_waitcnt lgkmcnt(7)
	v_mfma_f32_16x16x16_bf16 a[0:3], v[166:167], v[150:151], a[0:3]
	s_addc_u32 s29, s29, s56
	s_lshl_b64 s[28:29], s[28:29], 9
	s_add_u32 s28, s42, s28
	s_waitcnt lgkmcnt(6)
	v_mfma_f32_16x16x16_bf16 a[4:7], v[166:167], v[154:155], a[4:7]
	s_addc_u32 s29, s43, s29
	v_lshl_add_u64 v[188:189], v[84:85], 0, s[24:25]
	s_waitcnt lgkmcnt(5)
	v_mfma_f32_16x16x16_bf16 a[8:11], v[166:167], v[158:159], a[8:11]
	s_waitcnt lgkmcnt(4)
	v_mfma_f32_16x16x16_bf16 a[12:15], v[166:167], v[162:163], a[12:15]
	ds_read_b64 v[166:167], v143
	ds_read_b64 v[176:177], v144
	;; [unrolled: 1-line block ×3, first 2 shown]
	s_waitcnt lgkmcnt(2)
	v_mfma_f32_16x16x16_bf16 a[16:19], v[166:167], v[34:35], 0
	v_mfma_f32_16x16x16_bf16 a[20:23], v[166:167], v[36:37], 0
	global_load_dwordx4 v[34:37], v142, s[28:29]
	v_mfma_f32_16x16x16_bf16 a[24:27], v[166:167], v[38:39], 0
	v_mfma_f32_16x16x16_bf16 a[28:31], v[166:167], v[40:41], 0
	global_load_dwordx4 v[38:41], v137, s[28:29]
	v_mfma_f32_16x16x16_bf16 a[0:3], v[168:169], v[152:153], a[0:3]
	v_mfma_f32_16x16x16_bf16 a[4:7], v[168:169], v[156:157], a[4:7]
	;; [unrolled: 1-line block ×8, first 2 shown]
	ds_read2st64_b64 v[166:169], v127 offset1:8
	ds_read2st64_b64 v[170:173], v128 offset1:8
	ds_read_b64 v[186:187], v135 offset:40960
	s_waitcnt lgkmcnt(2)
	v_mov_b32_e32 v174, v166
	v_mfma_f32_16x16x16_bf16 a[16:19], v[176:177], v[150:151], a[16:19]
	v_mov_b32_e32 v175, v167
	v_mfma_f32_16x16x16_bf16 a[20:23], v[176:177], v[154:155], a[20:23]
	v_mfma_f32_16x16x16_bf16 a[24:27], v[176:177], v[158:159], a[24:27]
	;; [unrolled: 1-line block ×3, first 2 shown]
	v_add_co_u32_e32 v162, vcc, s64, v188
	s_waitcnt lgkmcnt(1)
	v_mov_b32_e32 v176, v170
	s_waitcnt lgkmcnt(0)
	v_mfma_f32_16x16x16_bf16 a[16:19], v[186:187], v[152:153], a[16:19]
	ds_read2st64_b64 v[150:153], v127 offset0:16 offset1:24
	v_addc_co_u32_e32 v163, vcc, 0, v189, vcc
	v_mfma_f32_16x16x16_bf16 a[20:23], v[186:187], v[156:157], a[20:23]
	ds_read2st64_b64 v[154:157], v128 offset0:16 offset1:24
	v_mov_b32_e32 v177, v171
	v_mov_b32_e32 v170, v168
	v_mfma_f32_16x16x16_bf16 a[32:35], v[186:187], v[160:161], a[24:27]
	v_mov_b32_e32 v171, v169
	s_waitcnt lgkmcnt(0)
	v_mov_b32_e32 v160, v154
	v_mov_b32_e32 v161, v155
	v_mfma_f32_16x16x16_bf16 a[36:39], v[186:187], v[164:165], a[28:31]
	v_mov_b32_e32 v154, v152
	v_mov_b32_e32 v155, v153
	;; [unrolled: 1-line block ×3, first 2 shown]
	v_mfma_f32_16x16x16_bf16 a[24:27], v[184:185], v[42:43], a[16:19]
	v_add_co_u32_e32 v42, vcc, s65, v188
	v_mov_b32_e32 v159, v151
	v_mfma_f32_16x16x16_bf16 a[28:31], v[184:185], v[178:179], a[20:23]
	v_addc_co_u32_e32 v43, vcc, 0, v189, vcc
	global_store_dwordx4 v[42:43], v[154:157], off
	v_mfma_f32_16x16x16_bf16 a[16:19], v[184:185], v[180:181], a[32:35]
	s_waitcnt vmcnt(2)
	v_mov_b32_e32 v44, v37
	v_mov_b32_e32 v43, v36
	v_mov_b32_e32 v42, v35
	v_mfma_f32_16x16x16_bf16 a[20:23], v[184:185], v[182:183], a[36:39]
	s_and_b64 vcc, exec, s[0:1]
	global_store_dwordx4 v[188:189], v[174:177], off
	global_store_dwordx4 v[162:163], v[170:173], off offset:-4096
	global_store_dwordx4 v[162:163], v[158:161], off
	s_cbranch_vccnz .LBB159_16
; %bb.15:                               ;   in Loop: Header=BB159_6 Depth=1
	v_lshrrev_b32_e32 v35, 3, v148
	v_and_b32_e32 v35, 6, v35
	v_xor_b32_e32 v36, v35, v149
	v_lshlrev_b32_e32 v36, 2, v36
	v_and_b32_e32 v37, 8, v148
	v_xor_b32_e32 v148, 0x440, v36
	v_cmp_eq_u32_e32 vcc, 0, v37
	v_perm_b32 v37, v22, v18, s61
	s_nop 0
	v_cndmask_b32_e32 v36, v148, v36, vcc
	v_lshl_or_b32 v35, v35, 10, v36
	v_perm_b32 v36, v30, v26, s61
	s_barrier
	ds_write2st64_b32 v35, v36, v37 offset0:128 offset1:160
	v_xor_b32_e32 v36, 8, v35
	v_perm_b32 v26, v30, v26, s62
	v_perm_b32 v18, v22, v18, s62
	v_add_u32_e32 v22, 0x80, v36
	ds_write2st64_b32 v22, v26, v18 offset0:128 offset1:160
	v_xor_b32_e32 v18, 16, v35
	v_perm_b32 v22, v31, v27, s61
	v_perm_b32 v26, v23, v19, s61
	ds_write2st64_b32 v18, v22, v26 offset0:129 offset1:161
	v_xor_b32_e32 v18, 24, v35
	v_perm_b32 v22, v31, v27, s62
	v_perm_b32 v19, v23, v19, s62
	v_add_u32_e32 v18, 0x80, v18
	ds_write2st64_b32 v18, v22, v19 offset0:129 offset1:161
	v_xor_b32_e32 v18, 32, v35
	v_perm_b32 v19, v32, v28, s61
	v_perm_b32 v22, v24, v20, s61
	;; [unrolled: 9-line block ×3, first 2 shown]
	ds_write2st64_b32 v18, v19, v20 offset0:131 offset1:163
	v_xor_b32_e32 v18, 56, v35
	v_perm_b32 v19, v33, v29, s62
	v_perm_b32 v20, v25, v21, s62
	v_add_u32_e32 v18, 0x80, v18
	ds_write2st64_b32 v18, v19, v20 offset0:131 offset1:163
	ds_write_b64 v147, v[14:15] offset:49152
	v_xor_b32_e32 v14, 8, v147
	ds_write_b64 v14, v[16:17] offset:49152
	ds_write_b64 v147, v[10:11] offset:57344
	;; [unrolled: 1-line block ×4, first 2 shown]
	v_xor_b32_e32 v6, 8, v146
	ds_write_b64 v6, v[8:9] offset:49152
	ds_write_b64 v146, v[2:3] offset:57344
	;; [unrolled: 1-line block ×3, first 2 shown]
.LBB159_16:                             ;   in Loop: Header=BB159_6 Depth=1
	v_exp_f32_e32 v36, s2
	s_waitcnt vmcnt(4)
	v_exp_f32_e32 v38, v38
	v_exp_f32_e32 v39, v39
	;; [unrolled: 1-line block ×4, first 2 shown]
	v_accvgpr_read_b32 v5, a3
	v_accvgpr_read_b32 v4, a2
	;; [unrolled: 1-line block ×4, first 2 shown]
	v_pk_mul_f32 v[38:39], v[36:37], v[38:39] op_sel_hi:[0,1]
	v_pk_mul_f32 v[40:41], v[36:37], v[40:41] op_sel_hi:[0,1]
	v_pk_fma_f32 v[74:75], v[74:75], v[38:39], v[2:3]
	v_pk_fma_f32 v[76:77], v[76:77], v[40:41], v[4:5]
	v_exp_f32_e32 v2, v34
	v_exp_f32_e32 v3, v42
	;; [unrolled: 1-line block ×4, first 2 shown]
	v_accvgpr_read_b32 v9, a7
	v_accvgpr_read_b32 v13, a11
	;; [unrolled: 1-line block ×28, first 2 shown]
	v_pk_mul_f32 v[2:3], v[36:37], v[2:3] op_sel_hi:[0,1]
	v_pk_mul_f32 v[4:5], v[36:37], v[4:5] op_sel_hi:[0,1]
	s_add_i32 s60, s60, 64
	v_pk_fma_f32 v[66:67], v[38:39], v[66:67], v[6:7]
	v_pk_fma_f32 v[68:69], v[40:41], v[68:69], v[8:9]
	v_pk_fma_f32 v[58:59], v[38:39], v[58:59], v[10:11]
	v_pk_fma_f32 v[60:61], v[40:41], v[60:61], v[12:13]
	v_pk_fma_f32 v[52:53], v[38:39], v[52:53], v[14:15]
	v_pk_fma_f32 v[46:47], v[40:41], v[46:47], v[16:17]
	v_pk_fma_f32 v[70:71], v[70:71], v[2:3], v[18:19]
	v_pk_fma_f32 v[72:73], v[72:73], v[4:5], v[20:21]
	v_pk_fma_f32 v[62:63], v[2:3], v[62:63], v[22:23]
	v_pk_fma_f32 v[64:65], v[4:5], v[64:65], v[24:25]
	v_pk_fma_f32 v[54:55], v[2:3], v[54:55], v[26:27]
	v_pk_fma_f32 v[56:57], v[4:5], v[56:57], v[28:29]
	v_pk_fma_f32 v[48:49], v[2:3], v[48:49], v[30:31]
	s_cmp_eq_u32 s49, s66
	v_pk_fma_f32 v[50:51], v[4:5], v[50:51], v[32:33]
	s_cbranch_scc1 .LBB159_18
; %bb.17:                               ;   in Loop: Header=BB159_6 Depth=1
	s_mov_b32 s67, s66
	s_branch .LBB159_6
.LBB159_18:
	s_lshl_b32 s42, s49, 6
	s_sub_i32 s43, s16, s42
	s_cmp_gt_i32 s43, 0
	s_cbranch_scc0 .LBB159_99
; %bb.19:
	s_ashr_i32 s39, s50, 31
	s_ashr_i32 s2, s42, 31
	s_cmpk_lg_i32 s19, 0x80
	s_cselect_b64 s[30:31], -1, 0
	s_and_b64 vcc, exec, s[30:31]
	s_cbranch_vccz .LBB159_21
; %bb.20:
	s_mul_i32 s1, s50, s16
	s_mul_hi_i32 s0, s50, s16
	s_add_u32 s1, s1, s42
	s_addc_u32 s0, s0, s2
	s_mul_i32 s3, s1, s51
	s_mul_hi_u32 s24, s1, s18
	s_add_i32 s3, s24, s3
	s_mul_i32 s0, s0, s18
	s_add_i32 s3, s3, s0
	s_mul_i32 s1, s1, s18
	s_ashr_i32 s0, s54, 31
	s_add_u32 s40, s1, s54
	s_addc_u32 s41, s3, s0
	s_cbranch_execz .LBB159_22
	s_branch .LBB159_23
.LBB159_21:
                                        ; implicit-def: $sgpr40_sgpr41
.LBB159_22:
	s_mul_hi_i32 s0, s50, s18
	s_mul_i32 s50, s50, s18
	s_ashr_i32 s1, s54, 31
	s_add_u32 s3, s50, s54
	s_addc_u32 s0, s0, s1
	s_mul_i32 s1, s3, s48
	s_mul_hi_u32 s18, s3, s16
	s_add_i32 s1, s18, s1
	s_mul_i32 s0, s0, s16
	s_add_i32 s1, s1, s0
	s_mul_i32 s3, s3, s16
	s_add_u32 s40, s3, s42
	s_addc_u32 s41, s1, s2
.LBB159_23:
	s_add_i32 s3, s52, s49
	s_ashr_i32 s18, s33, 31
	s_add_u32 s0, s47, s33
	s_addc_u32 s1, s53, s18
	s_mul_i32 s24, s0, s48
	s_mul_hi_u32 s25, s0, s16
	s_add_i32 s24, s25, s24
	s_mul_i32 s1, s1, s16
	s_add_i32 s24, s24, s1
	s_mul_i32 s0, s0, s16
	s_add_u32 s0, s0, s42
	v_lshlrev_b32_e32 v6, 6, v91
	v_lshlrev_b32_e32 v24, 2, v45
	s_addc_u32 s1, s24, s2
	s_mov_b32 s2, 0x7060302
	v_or_b32_e32 v9, v6, v24
	v_xor_b32_e32 v7, v91, v24
	v_perm_b32 v3, v77, v76, s2
	v_perm_b32 v2, v75, v74, s2
	;; [unrolled: 1-line block ×4, first 2 shown]
	v_lshlrev_b32_e32 v9, 1, v9
	v_xor_b32_e32 v8, v92, v24
	ds_write2st64_b64 v9, v[2:3], v[4:5] offset0:32 offset1:48
	v_lshlrev_b32_e32 v7, 1, v7
	v_lshlrev_b32_e32 v9, 8, v45
	v_or_b32_e32 v10, v7, v9
	v_lshlrev_b32_e32 v8, 1, v8
	ds_write_b64 v10, v[2:3]
	v_or_b32_e32 v2, v8, v9
	v_or_b32_e32 v9, 16, v45
	v_lshlrev_b32_e32 v23, 2, v9
	v_or_b32_e32 v10, v6, v23
	ds_write_b64 v2, v[4:5]
	v_perm_b32 v3, v69, v68, s2
	v_perm_b32 v2, v67, v66, s2
	v_perm_b32 v5, v65, v64, s2
	v_perm_b32 v4, v63, v62, s2
	v_lshlrev_b32_e32 v10, 1, v10
	v_lshlrev_b32_e32 v9, 8, v9
	ds_write2st64_b64 v10, v[2:3], v[4:5] offset0:32 offset1:48
	v_or_b32_e32 v10, v7, v9
	ds_write_b64 v10, v[2:3]
	v_or_b32_e32 v2, v8, v9
	v_or_b32_e32 v9, 32, v45
	v_lshlrev_b32_e32 v22, 2, v9
	v_or_b32_e32 v10, v6, v22
	s_lshl_b64 s[28:29], s[0:1], 8
	ds_write_b64 v2, v[4:5]
	v_perm_b32 v3, v61, v60, s2
	v_perm_b32 v2, v59, v58, s2
	;; [unrolled: 1-line block ×4, first 2 shown]
	v_lshlrev_b32_e32 v10, 1, v10
	v_lshlrev_b32_e32 v9, 8, v9
	s_add_u32 s0, s6, s28
	ds_write2st64_b64 v10, v[2:3], v[4:5] offset0:32 offset1:48
	v_or_b32_e32 v10, v7, v9
	s_addc_u32 s1, s7, s29
	ds_write_b64 v10, v[2:3]
	v_or_b32_e32 v2, v8, v9
	v_or_b32_e32 v9, 48, v45
	s_mul_hi_i32 s6, s3, s17
	s_mul_i32 s3, s3, s17
	ds_write_b64 v2, v[4:5]
	v_perm_b32 v3, v47, v46, s2
	v_perm_b32 v2, v53, v52, s2
	;; [unrolled: 1-line block ×4, first 2 shown]
	v_lshlrev_b32_e32 v19, 2, v9
	s_add_u32 s2, s3, s33
	v_or_b32_e32 v6, v6, v19
	s_addc_u32 s3, s6, s18
	v_lshlrev_b32_e32 v6, 1, v6
	s_ashr_i32 s37, s36, 31
	s_lshl_b64 s[2:3], s[2:3], 15
	ds_write2st64_b64 v6, v[2:3], v[4:5] offset0:32 offset1:48
	v_lshlrev_b32_e32 v6, 8, v9
	s_add_u32 s6, s12, s2
	v_or_b32_e32 v7, v7, v6
	s_addc_u32 s7, s13, s3
	s_lshl_b64 s[2:3], s[36:37], 8
	ds_write_b64 v7, v[2:3]
	v_or_b32_e32 v2, v8, v6
	s_add_u32 s2, s6, s2
	v_lshlrev_b32_e32 v3, 1, v45
	ds_write_b64 v2, v[4:5]
	v_lshrrev_b32_e32 v2, 4, v0
	s_addc_u32 s3, s7, s3
	v_or_b32_e32 v4, 1, v3
	v_lshlrev_b32_e32 v10, 4, v45
	v_mov_b32_e32 v11, 0
	v_xor_b32_e32 v3, v2, v3
	v_xor_b32_e32 v6, v4, v2
	v_lshl_add_u64 v[12:13], s[2:3], 0, v[10:11]
	v_lshlrev_b32_e32 v10, 8, v2
	v_lshl_or_b32 v16, v3, 3, v10
	v_lshl_or_b32 v17, v6, 3, v10
	s_waitcnt lgkmcnt(0)
	s_barrier
	ds_read2st64_b64 v[2:5], v16 offset1:8
	ds_read2st64_b64 v[6:9], v17 offset1:8
	v_lshl_add_u64 v[14:15], v[12:13], 0, v[10:11]
	s_movk_i32 s2, 0x2000
	s_cmp_lg_u32 s43, 64
	s_waitcnt lgkmcnt(1)
	v_mov_b32_e32 v10, v2
	v_mov_b32_e32 v11, v3
	s_waitcnt lgkmcnt(0)
	v_mov_b32_e32 v12, v6
	v_mov_b32_e32 v13, v7
	global_store_dwordx4 v[14:15], v[10:13], off
	v_mov_b32_e32 v6, v4
	v_mov_b32_e32 v7, v5
	ds_read2st64_b64 v[2:5], v16 offset0:16 offset1:24
	ds_read2st64_b64 v[10:13], v17 offset0:16 offset1:24
	v_add_co_u32_e32 v16, vcc, s2, v14
	s_cselect_b64 s[6:7], -1, 0
	s_nop 0
	v_addc_co_u32_e32 v17, vcc, 0, v15, vcc
	global_store_dwordx4 v[16:17], v[6:9], off offset:-4096
	v_lshl_or_b32 v25, v87, 3, v90
	s_mov_b32 s24, 0
	s_waitcnt lgkmcnt(1)
	v_mov_b32_e32 v6, v2
	v_add_co_u32_e32 v2, vcc, 0x3000, v14
	v_mov_b32_e32 v7, v3
	s_nop 0
	v_addc_co_u32_e32 v3, vcc, 0, v15, vcc
	s_waitcnt lgkmcnt(0)
	v_mov_b32_e32 v8, v10
	v_mov_b32_e32 v9, v11
	;; [unrolled: 1-line block ×4, first 2 shown]
	v_or_b32_e32 v20, 32, v25
	v_and_b32_e32 v18, 56, v89
	s_and_b64 vcc, exec, s[6:7]
	global_store_dwordx4 v[16:17], v[6:9], off
	global_store_dwordx4 v[2:3], v[10:13], off
	s_cbranch_vccz .LBB159_29
; %bb.24:
	s_mov_b32 s25, s24
	s_mov_b32 s26, s24
	;; [unrolled: 1-line block ×3, first 2 shown]
	v_mov_b64_e32 v[6:7], s[24:25]
	v_mov_b64_e32 v[8:9], s[26:27]
	;; [unrolled: 1-line block ×3, first 2 shown]
	v_cmp_gt_i32_e32 vcc, s43, v25
	v_mov_b64_e32 v[4:5], v[8:9]
	s_and_saveexec_b64 s[2:3], vcc
	s_cbranch_execz .LBB159_26
; %bb.25:
	v_lshlrev_b32_e32 v2, 8, v25
	v_mov_b32_e32 v3, 0
	v_lshl_add_u64 v[4:5], s[0:1], 0, v[2:3]
	v_lshlrev_b32_e32 v2, 1, v18
	v_lshl_add_u64 v[10:11], v[4:5], 0, v[2:3]
	global_load_dwordx4 v[6:9], v[10:11], off
	global_load_dwordx4 v[2:5], v[10:11], off offset:128
.LBB159_26:
	s_or_b64 exec, exec, s[2:3]
	s_mov_b32 s25, s24
	s_mov_b32 s26, s24
	;; [unrolled: 1-line block ×3, first 2 shown]
	v_mov_b64_e32 v[14:15], s[24:25]
	v_mov_b64_e32 v[16:17], s[26:27]
	;; [unrolled: 1-line block ×3, first 2 shown]
	v_cmp_gt_i32_e32 vcc, s43, v20
	v_lshlrev_b32_e32 v21, 7, v20
	v_mov_b64_e32 v[12:13], v[16:17]
	s_and_saveexec_b64 s[2:3], vcc
	s_cbranch_execz .LBB159_28
; %bb.27:
	v_lshlrev_b32_e32 v10, 1, v21
	v_mov_b32_e32 v11, 0
	v_lshl_add_u64 v[12:13], s[0:1], 0, v[10:11]
	v_lshlrev_b32_e32 v10, 1, v18
	v_lshl_add_u64 v[26:27], v[12:13], 0, v[10:11]
	global_load_dwordx4 v[14:17], v[26:27], off
	global_load_dwordx4 v[10:13], v[26:27], off offset:128
.LBB159_28:
	s_or_b64 exec, exec, s[2:3]
	v_lshrrev_b32_e32 v26, 3, v18
	v_lshlrev_b32_e32 v27, 3, v25
	v_or_b32_e32 v26, v27, v26
	v_lshlrev_b32_e32 v26, 4, v26
	v_and_b32_e32 v27, 0x78, v27
	v_xor_b32_e32 v26, v26, v27
	s_branch .LBB159_31
.LBB159_29:
                                        ; implicit-def: $vgpr26
                                        ; implicit-def: $vgpr21
                                        ; implicit-def: $vgpr6_vgpr7_vgpr8_vgpr9
                                        ; implicit-def: $vgpr2_vgpr3_vgpr4_vgpr5
                                        ; implicit-def: $vgpr14_vgpr15_vgpr16_vgpr17
                                        ; implicit-def: $vgpr10_vgpr11_vgpr12_vgpr13
	s_cbranch_execz .LBB159_31
; %bb.30:
	s_waitcnt vmcnt(0)
	v_lshlrev_b32_e32 v2, 1, v18
	v_lshl_or_b32 v21, v25, 8, v2
	s_and_b32 s1, s1, 0xffff
	s_mov_b32 s3, 0x20000
	s_movk_i32 s2, 0x4000
	v_lshl_or_b32 v26, v20, 8, v2
	s_movk_i32 s12, 0x80
	buffer_load_dwordx4 v[6:9], v21, s[0:3], 0 offen
	buffer_load_dwordx4 v[2:5], v21, s[0:3], s12 offen
	;; [unrolled: 1-line block ×4, first 2 shown]
	v_lshrrev_b32_e32 v21, 3, v18
	v_lshlrev_b32_e32 v26, 3, v25
	v_or_b32_e32 v21, v26, v21
	v_lshlrev_b32_e32 v21, 4, v21
	v_and_b32_e32 v26, 0x78, v26
	v_xor_b32_e32 v26, v21, v26
	v_lshlrev_b32_e32 v21, 7, v20
.LBB159_31:
	s_movk_i32 s0, 0x1000
	v_and_or_b32 v20, v21, s0, v26
	s_waitcnt vmcnt(1)
	ds_write_b64 v26, v[6:7] offset:49152
	v_xor_b32_e32 v6, 8, v26
	ds_write_b64 v6, v[8:9] offset:49152
	s_waitcnt vmcnt(0)
	ds_write_b64 v26, v[2:3] offset:57344
	ds_write_b64 v6, v[4:5] offset:57344
	;; [unrolled: 1-line block ×3, first 2 shown]
	v_xor_b32_e32 v2, 8, v20
	ds_write_b64 v2, v[16:17] offset:49152
	ds_write_b64 v20, v[10:11] offset:57344
	;; [unrolled: 1-line block ×3, first 2 shown]
	v_or_b32_e32 v2, v1, v45
	v_lshlrev_b32_e32 v3, 11, v87
	v_lshlrev_b32_e32 v2, 3, v2
	v_and_b32_e32 v6, 0x1000, v3
	v_lshrrev_b32_e32 v3, 5, v86
	s_movk_i32 s0, 0xf8
	v_and_or_b32 v3, v2, s0, v3
	v_lshlrev_b32_e32 v7, 4, v3
	v_and_b32_e32 v8, 0x78, v2
	v_or_b32_e32 v10, 32, v7
	v_lshrrev_b32_e32 v3, 1, v86
	v_xor_b32_e32 v10, v10, v8
	v_xor_b32_e32 v2, v7, v8
	v_and_b32_e32 v9, 8, v3
	v_or_b32_e32 v10, v10, v6
	v_or_b32_e32 v2, v2, v6
	v_xor_b32_e32 v28, v10, v9
	v_or_b32_e32 v10, 64, v7
	v_xor_b32_e32 v27, v2, v9
	v_xor_b32_e32 v10, v10, v8
	s_waitcnt lgkmcnt(0)
	s_barrier
	v_or_b32_e32 v13, v10, v6
	ds_read_b64 v[10:11], v27 offset:49152
	v_lshl_or_b32 v14, v88, 8, v24
	v_lshlrev_b32_e32 v26, 1, v14
	v_add_u32_e32 v12, 0x4000, v26
	ds_read2_b64 v[2:5], v12 offset1:16
	v_or_b32_e32 v7, 0x60, v7
	v_xor_b32_e32 v7, v7, v8
	v_or_b32_e32 v6, v7, v6
	v_xor_b32_e32 v29, v13, v9
	v_xor_b32_e32 v30, v6, v9
	ds_read_b64 v[20:21], v28 offset:49152
	ds_read_b64 v[34:35], v29 offset:49152
	;; [unrolled: 1-line block ×3, first 2 shown]
	s_waitcnt lgkmcnt(3)
	v_mfma_f32_16x16x16_bf16 a[0:3], v[10:11], v[2:3], 0
	ds_read2_b64 v[6:9], v12 offset0:32 offset1:48
	s_lshl_b64 s[0:1], s[40:41], 8
	s_add_u32 s4, s4, s0
	v_mfma_f32_16x16x16_bf16 a[4:7], v[10:11], v[4:5], 0
	ds_read2st64_b64 v[2:5], v26 offset0:36 offset1:40
	s_addc_u32 s5, s5, s1
	s_add_i32 s2, s16, -1
	s_waitcnt lgkmcnt(1)
	v_mfma_f32_16x16x16_bf16 a[8:11], v[10:11], v[6:7], 0
	v_or_b32_e32 v6, 64, v14
	v_lshlrev_b32_e32 v31, 1, v6
	s_add_i32 s0, s46, s21
	s_waitcnt lgkmcnt(0)
	v_mfma_f32_16x16x16_bf16 a[0:3], v[20:21], v[2:3], a[0:3]
	v_or_b32_e32 v2, 0x80, v14
	v_lshlrev_b32_e32 v32, 1, v2
	v_or_b32_e32 v2, 0xc0, v14
	v_mfma_f32_16x16x16_bf16 a[12:15], v[10:11], v[8:9], 0
	ds_read2st64_b64 v[6:9], v31 offset0:36 offset1:40
	v_lshlrev_b32_e32 v33, 1, v2
	ds_read2st64_b64 v[10:13], v32 offset0:36 offset1:40
	ds_read2st64_b64 v[14:17], v33 offset0:36 offset1:40
	s_mul_i32 s39, s39, s20
	s_add_i32 s39, s0, s39
	s_mul_i32 s0, s33, s23
	s_mul_hi_u32 s1, s33, s22
	s_ashr_i32 s3, s2, 31
	s_mul_i32 s12, s2, s35
	s_mul_hi_u32 s13, s2, s34
	s_waitcnt lgkmcnt(2)
	v_mfma_f32_16x16x16_bf16 a[4:7], v[20:21], v[6:7], a[4:7]
	s_add_i32 s0, s1, s0
	s_mul_i32 s1, s18, s22
	s_add_i32 s12, s13, s12
	s_mul_i32 s3, s3, s34
	s_waitcnt lgkmcnt(1)
	v_mfma_f32_16x16x16_bf16 a[8:11], v[20:21], v[10:11], a[8:11]
	s_add_i32 s1, s0, s1
	s_add_i32 s3, s12, s3
	s_lshl_b64 s[12:13], s[38:39], 2
	s_waitcnt lgkmcnt(0)
	v_mfma_f32_16x16x16_bf16 a[12:15], v[20:21], v[14:15], a[12:15]
	s_mul_i32 s0, s33, s22
	s_add_u32 s10, s10, s12
	s_addc_u32 s11, s11, s13
	s_lshl_b64 s[0:1], s[0:1], 2
	v_mfma_f32_16x16x16_bf16 a[0:3], v[34:35], v[4:5], a[0:3]
	s_mul_i32 s2, s2, s34
	ds_read_b64 v[2:3], v26 offset:22528
	s_add_u32 s10, s10, s0
	v_mfma_f32_16x16x16_bf16 a[4:7], v[34:35], v[8:9], a[4:7]
	ds_read_b64 v[4:5], v31 offset:22528
	ds_read_b64 v[6:7], v32 offset:22528
	ds_read_b64 v[8:9], v33 offset:22528
	s_addc_u32 s11, s11, s1
	s_lshl_b64 s[0:1], s[2:3], 2
	v_mfma_f32_16x16x16_bf16 a[8:11], v[34:35], v[12:13], a[8:11]
	s_add_u32 s0, s10, s0
	s_addc_u32 s1, s11, s1
	s_load_dword s12, s[0:1], 0x0
	v_mfma_f32_16x16x16_bf16 a[12:15], v[34:35], v[16:17], a[12:15]
	s_and_b64 vcc, exec, s[30:31]
	s_waitcnt lgkmcnt(0)
	v_mfma_f32_16x16x16_bf16 a[0:3], v[36:37], v[2:3], a[0:3]
	v_mfma_f32_16x16x16_bf16 a[4:7], v[36:37], v[4:5], a[4:7]
	;; [unrolled: 1-line block ×4, first 2 shown]
	s_cbranch_vccz .LBB159_42
; %bb.32:
	v_lshlrev_b32_e32 v20, 1, v25
	s_and_b64 vcc, exec, s[6:7]
	s_cbranch_vccz .LBB159_43
; %bb.33:
	v_cmp_gt_i32_e32 vcc, s43, v20
	v_mov_b32_e32 v6, 0
	v_mov_b32_e32 v2, 0
	;; [unrolled: 1-line block ×5, first 2 shown]
	s_and_saveexec_b64 s[0:1], vcc
	s_cbranch_execz .LBB159_35
; %bb.34:
	v_mad_i64_i32 v[2:3], s[2:3], s19, v20, 0
	v_lshl_add_u64 v[2:3], v[2:3], 1, s[4:5]
	v_lshlrev_b32_e32 v4, 1, v18
	v_mov_b32_e32 v5, 0
	v_lshl_add_u64 v[2:3], v[2:3], 0, v[4:5]
	global_load_dwordx4 v[2:5], v[2:3], off
.LBB159_35:
	s_or_b64 exec, exec, s[0:1]
	v_or_b32_e32 v21, 1, v20
	v_cmp_gt_i32_e64 s[0:1], s43, v21
	v_mov_b32_e32 v7, 0
	v_mov_b32_e32 v8, 0
	v_mov_b32_e32 v9, 0
	s_and_saveexec_b64 s[2:3], s[0:1]
	s_cbranch_execz .LBB159_37
; %bb.36:
	v_mad_i64_i32 v[6:7], s[16:17], s19, v21, 0
	v_lshl_add_u64 v[6:7], v[6:7], 1, s[4:5]
	v_lshlrev_b32_e32 v8, 1, v18
	v_mov_b32_e32 v9, 0
	v_lshl_add_u64 v[6:7], v[6:7], 0, v[8:9]
	global_load_dwordx4 v[6:9], v[6:7], off
.LBB159_37:
	s_or_b64 exec, exec, s[2:3]
	v_mov_b32_e32 v17, 0
	v_mov_b32_e32 v10, 0
	;; [unrolled: 1-line block ×5, first 2 shown]
	s_and_saveexec_b64 s[2:3], vcc
	s_cbranch_execz .LBB159_39
; %bb.38:
	v_mad_i64_i32 v[10:11], s[16:17], s19, v20, 0
	v_lshl_add_u64 v[10:11], v[10:11], 1, s[4:5]
	v_lshlrev_b32_e32 v12, 1, v18
	v_mov_b32_e32 v13, 0
	v_lshl_add_u64 v[10:11], v[10:11], 0, v[12:13]
	global_load_dwordx4 v[10:13], v[10:11], off offset:128
.LBB159_39:
	s_or_b64 exec, exec, s[2:3]
	v_mov_b32_e32 v16, 0
	v_mov_b32_e32 v15, 0
	;; [unrolled: 1-line block ×3, first 2 shown]
	s_and_saveexec_b64 s[2:3], s[0:1]
	s_cbranch_execz .LBB159_41
; %bb.40:
	v_mad_i64_i32 v[14:15], s[0:1], s19, v21, 0
	v_lshl_add_u64 v[14:15], v[14:15], 1, s[4:5]
	v_lshlrev_b32_e32 v16, 1, v18
	v_mov_b32_e32 v17, 0
	v_lshl_add_u64 v[14:15], v[14:15], 0, v[16:17]
	global_load_dwordx4 v[14:17], v[14:15], off offset:128
.LBB159_41:
	s_or_b64 exec, exec, s[2:3]
	s_branch .LBB159_45
.LBB159_42:
                                        ; implicit-def: $vgpr5
                                        ; implicit-def: $vgpr9
                                        ; implicit-def: $vgpr13
                                        ; implicit-def: $vgpr17
	v_lshrrev_b32_e32 v34, 2, v86
	s_branch .LBB159_46
.LBB159_43:
                                        ; implicit-def: $vgpr5
                                        ; implicit-def: $vgpr9
                                        ; implicit-def: $vgpr13
                                        ; implicit-def: $vgpr17
	s_cbranch_execz .LBB159_45
; %bb.44:
	s_waitcnt vmcnt(0)
	v_mad_u64_u32 v[2:3], s[0:1], v20, s19, v[18:19]
	v_lshlrev_b32_e32 v20, 1, v2
	s_lshl_b32 s2, s19, 7
	s_and_b32 s1, s5, 0xffff
	s_mov_b32 s3, 0x20000
	s_mov_b32 s0, s4
	v_add_lshl_u32 v21, v2, s19, 1
	s_movk_i32 s13, 0x80
	buffer_load_dwordx4 v[2:5], v20, s[0:3], 0 offen
	buffer_load_dwordx4 v[10:13], v20, s[0:3], s13 offen
	;; [unrolled: 1-line block ×4, first 2 shown]
.LBB159_45:
	v_lshrrev_b32_e32 v34, 2, v86
	s_cbranch_execnz .LBB159_58
.LBB159_46:
	s_and_b64 vcc, exec, s[6:7]
	s_cbranch_vccz .LBB159_56
; %bb.47:
	s_waitcnt vmcnt(0)
	v_lshlrev_b32_e32 v7, 1, v25
	v_cmp_gt_i32_e32 vcc, s43, v7
	v_mov_b32_e32 v6, 0
	v_lshlrev_b32_e32 v14, 9, v25
	v_mov_b32_e32 v2, 0
	v_mov_b32_e32 v3, 0
	;; [unrolled: 1-line block ×4, first 2 shown]
	s_and_saveexec_b64 s[0:1], vcc
	s_cbranch_execz .LBB159_49
; %bb.48:
	v_mov_b32_e32 v15, 0
	v_lshl_add_u64 v[2:3], s[4:5], 0, v[14:15]
	v_lshlrev_b32_e32 v4, 1, v18
	v_mov_b32_e32 v5, v15
	v_lshl_add_u64 v[2:3], v[2:3], 0, v[4:5]
	global_load_dwordx4 v[2:5], v[2:3], off
.LBB159_49:
	s_or_b64 exec, exec, s[0:1]
	v_or_b32_e32 v7, 1, v7
	v_cmp_gt_i32_e64 s[0:1], s43, v7
	v_lshlrev_b32_e32 v20, 8, v7
	v_mov_b32_e32 v7, 0
	v_mov_b32_e32 v8, 0
	;; [unrolled: 1-line block ×3, first 2 shown]
	s_and_saveexec_b64 s[2:3], s[0:1]
	s_cbranch_execz .LBB159_51
; %bb.50:
	v_mov_b32_e32 v21, 0
	v_lshl_add_u64 v[6:7], s[4:5], 0, v[20:21]
	v_lshlrev_b32_e32 v8, 1, v18
	v_mov_b32_e32 v9, v21
	v_lshl_add_u64 v[6:7], v[6:7], 0, v[8:9]
	global_load_dwordx4 v[6:9], v[6:7], off
.LBB159_51:
	s_or_b64 exec, exec, s[2:3]
	v_mov_b32_e32 v17, 0
	v_mov_b32_e32 v10, 0
	;; [unrolled: 1-line block ×5, first 2 shown]
	s_and_saveexec_b64 s[2:3], vcc
	s_cbranch_execz .LBB159_53
; %bb.52:
	v_mov_b32_e32 v15, 0
	v_lshl_add_u64 v[10:11], s[4:5], 0, v[14:15]
	v_lshlrev_b32_e32 v14, 1, v18
	v_lshl_add_u64 v[10:11], v[10:11], 0, v[14:15]
	global_load_dwordx4 v[10:13], v[10:11], off offset:128
.LBB159_53:
	s_or_b64 exec, exec, s[2:3]
	v_mov_b32_e32 v16, 0
	v_mov_b32_e32 v15, 0
	;; [unrolled: 1-line block ×3, first 2 shown]
	s_and_saveexec_b64 s[2:3], s[0:1]
	s_cbranch_execz .LBB159_55
; %bb.54:
	v_mov_b32_e32 v21, 0
	v_lshl_add_u64 v[14:15], s[4:5], 0, v[20:21]
	v_lshlrev_b32_e32 v20, 1, v18
	v_lshl_add_u64 v[14:15], v[14:15], 0, v[20:21]
	global_load_dwordx4 v[14:17], v[14:15], off offset:128
.LBB159_55:
	s_or_b64 exec, exec, s[2:3]
	s_branch .LBB159_58
.LBB159_56:
                                        ; implicit-def: $vgpr5
                                        ; implicit-def: $vgpr9
                                        ; implicit-def: $vgpr13
                                        ; implicit-def: $vgpr17
	s_cbranch_execz .LBB159_58
; %bb.57:
	s_waitcnt vmcnt(0)
	v_lshlrev_b32_e32 v2, 1, v18
	v_lshl_or_b32 v18, v25, 9, v2
	s_and_b32 s5, s5, 0xffff
	s_mov_b32 s7, 0x20000
	s_movk_i32 s6, 0x4000
	s_movk_i32 s0, 0x80
	buffer_load_dwordx4 v[2:5], v18, s[4:7], 0 offen
	buffer_load_dwordx4 v[6:9], v18, s[4:7], 0 offen offset:256
	buffer_load_dwordx4 v[10:13], v18, s[4:7], s0 offen
	buffer_load_dwordx4 v[14:17], v18, s[4:7], s0 offen offset:256
.LBB159_58:
	ds_read_b64 v[20:21], v27 offset:57344
	v_add_u32_e32 v18, 0x6000, v26
	ds_read2_b64 v[36:39], v18 offset1:16
	ds_read_b64 v[54:55], v28 offset:57344
	ds_read_b64 v[28:29], v29 offset:57344
	;; [unrolled: 1-line block ×3, first 2 shown]
	ds_read2st64_b64 v[40:43], v26 offset0:52 offset1:56
	s_mov_b32 s0, 0x1000504
	s_mov_b32 s1, 0x3020706
	s_waitcnt lgkmcnt(4)
	v_mfma_f32_16x16x16_bf16 a[0:3], v[20:21], v[36:37], a[0:3]
	v_mfma_f32_16x16x16_bf16 a[4:7], v[20:21], v[38:39], a[4:7]
	ds_read2_b64 v[36:39], v18 offset0:32 offset1:48
	v_and_b32_e32 v18, 6, v0
	v_xor_b32_e32 v25, v25, v18
	s_waitcnt lgkmcnt(0)
	v_mfma_f32_16x16x16_bf16 a[8:11], v[20:21], v[36:37], a[8:11]
	v_lshlrev_b32_e32 v25, 2, v25
	v_and_b32_e32 v0, 1, v0
	v_xor_b32_e32 v35, 0x440, v25
	v_mfma_f32_16x16x16_bf16 a[12:15], v[20:21], v[38:39], a[12:15]
	ds_read2st64_b64 v[36:39], v31 offset0:52 offset1:56
	ds_read2st64_b64 v[46:49], v32 offset0:52 offset1:56
	;; [unrolled: 1-line block ×3, first 2 shown]
	v_cmp_eq_u32_e32 vcc, 0, v0
	ds_read_b64 v[20:21], v26 offset:30720
	ds_read_b64 v[26:27], v31 offset:30720
	;; [unrolled: 1-line block ×4, first 2 shown]
	v_mfma_f32_16x16x16_bf16 a[0:3], v[54:55], v[40:41], a[0:3]
	v_cndmask_b32_e32 v0, v35, v25, vcc
	v_lshl_or_b32 v0, v18, 10, v0
	s_waitcnt vmcnt(0)
	v_perm_b32 v18, v2, v6, s0
	s_waitcnt lgkmcnt(6)
	v_mfma_f32_16x16x16_bf16 a[4:7], v[54:55], v[36:37], a[4:7]
	v_perm_b32 v25, v10, v14, s0
	ds_write2st64_b32 v0, v18, v25 offset0:128 offset1:160
	v_xor_b32_e32 v18, 8, v0
	s_waitcnt lgkmcnt(6)
	v_mfma_f32_16x16x16_bf16 a[8:11], v[54:55], v[46:47], a[8:11]
	v_perm_b32 v2, v2, v6, s1
	v_perm_b32 v6, v10, v14, s1
	v_add_u32_e32 v10, 0x80, v18
	s_waitcnt lgkmcnt(5)
	v_mfma_f32_16x16x16_bf16 a[12:15], v[54:55], v[50:51], a[12:15]
	ds_write2st64_b32 v10, v2, v6 offset0:128 offset1:160
	v_xor_b32_e32 v2, 16, v0
	v_perm_b32 v6, v3, v7, s0
	v_mfma_f32_16x16x16_bf16 a[0:3], v[28:29], v[42:43], a[0:3]
	v_perm_b32 v10, v11, v15, s0
	ds_write2st64_b32 v2, v6, v10 offset0:129 offset1:161
	v_xor_b32_e32 v2, 24, v0
	v_mfma_f32_16x16x16_bf16 a[4:7], v[28:29], v[38:39], a[4:7]
	v_perm_b32 v3, v3, v7, s1
	v_perm_b32 v6, v11, v15, s1
	v_add_u32_e32 v2, 0x80, v2
	v_mfma_f32_16x16x16_bf16 a[16:19], v[28:29], v[48:49], a[8:11]
	ds_write2st64_b32 v2, v3, v6 offset0:129 offset1:161
	v_xor_b32_e32 v2, 32, v0
	v_perm_b32 v3, v4, v8, s0
	v_mfma_f32_16x16x16_bf16 a[20:23], v[28:29], v[52:53], a[12:15]
	v_perm_b32 v6, v12, v16, s0
	ds_write2st64_b32 v2, v3, v6 offset0:130 offset1:162
	v_xor_b32_e32 v2, 40, v0
	s_waitcnt lgkmcnt(8)
	v_mfma_f32_16x16x16_bf16 a[12:15], v[56:57], v[20:21], a[0:3]
	v_perm_b32 v3, v4, v8, s1
	v_perm_b32 v4, v12, v16, s1
	v_add_u32_e32 v2, 0x80, v2
	s_waitcnt lgkmcnt(7)
	v_mfma_f32_16x16x16_bf16 a[8:11], v[56:57], v[26:27], a[4:7]
	ds_write2st64_b32 v2, v3, v4 offset0:130 offset1:162
	v_xor_b32_e32 v2, 48, v0
	v_perm_b32 v3, v5, v9, s0
	s_waitcnt lgkmcnt(7)
	v_mfma_f32_16x16x16_bf16 a[4:7], v[56:57], v[30:31], a[16:19]
	v_perm_b32 v4, v13, v17, s0
	v_xor_b32_e32 v0, 56, v0
	v_and_or_b32 v21, v34, 12, v1
	s_waitcnt lgkmcnt(6)
	v_mfma_f32_16x16x16_bf16 a[0:3], v[56:57], v[32:33], a[20:23]
	ds_write2st64_b32 v2, v3, v4 offset0:131 offset1:163
	v_perm_b32 v2, v5, v9, s1
	v_perm_b32 v3, v13, v17, s1
	v_add_u32_e32 v0, 0x80, v0
	v_cmp_gt_i32_e32 vcc, s43, v21
	v_mov_b32_e32 v16, 0
	v_mov_b32_e32 v18, 0
	ds_write2st64_b32 v0, v2, v3 offset0:131 offset1:163
	s_and_saveexec_b64 s[0:1], vcc
	s_cbranch_execz .LBB159_60
; %bb.59:
	v_add_u32_e32 v0, s42, v21
	v_ashrrev_i32_e32 v1, 31, v0
	v_mul_lo_u32 v2, v1, s34
	v_mul_lo_u32 v3, v0, s35
	v_mad_u64_u32 v[0:1], s[2:3], v0, s34, 0
	v_add3_u32 v1, v1, v3, v2
	v_lshl_add_u64 v[0:1], v[0:1], 2, s[10:11]
	global_load_dword v0, v[0:1], off
	s_waitcnt vmcnt(0)
	v_sub_f32_e32 v0, s12, v0
	v_exp_f32_e32 v18, v0
.LBB159_60:
	s_or_b64 exec, exec, s[0:1]
	v_or_b32_e32 v10, 1, v21
	v_cmp_gt_i32_e64 s[2:3], s43, v10
	s_and_saveexec_b64 s[0:1], s[2:3]
	s_cbranch_execz .LBB159_62
; %bb.61:
	v_add_u32_e32 v0, s42, v10
	v_ashrrev_i32_e32 v1, 31, v0
	v_mul_lo_u32 v2, v1, s34
	v_mul_lo_u32 v3, v0, s35
	v_mad_u64_u32 v[0:1], s[4:5], v0, s34, 0
	v_add3_u32 v1, v1, v3, v2
	v_lshl_add_u64 v[0:1], v[0:1], 2, s[10:11]
	global_load_dword v0, v[0:1], off
	s_waitcnt vmcnt(0)
	v_sub_f32_e32 v0, s12, v0
	v_exp_f32_e32 v16, v0
.LBB159_62:
	s_or_b64 exec, exec, s[0:1]
	v_or_b32_e32 v12, 2, v21
	v_cmp_gt_i32_e64 s[0:1], s43, v12
	v_mov_b32_e32 v17, 0
	v_mov_b32_e32 v20, 0
	s_and_saveexec_b64 s[4:5], s[0:1]
	s_cbranch_execz .LBB159_64
; %bb.63:
	v_add_u32_e32 v0, s42, v12
	v_ashrrev_i32_e32 v1, 31, v0
	v_mul_lo_u32 v2, v1, s34
	v_mul_lo_u32 v3, v0, s35
	v_mad_u64_u32 v[0:1], s[6:7], v0, s34, 0
	v_add3_u32 v1, v1, v3, v2
	v_lshl_add_u64 v[0:1], v[0:1], 2, s[10:11]
	global_load_dword v0, v[0:1], off
	s_waitcnt vmcnt(0)
	v_sub_f32_e32 v0, s12, v0
	v_exp_f32_e32 v20, v0
.LBB159_64:
	s_or_b64 exec, exec, s[4:5]
	v_or_b32_e32 v14, 3, v21
	v_cmp_gt_i32_e64 s[4:5], s43, v14
	s_and_saveexec_b64 s[6:7], s[4:5]
	s_cbranch_execz .LBB159_66
; %bb.65:
	v_add_u32_e32 v0, s42, v14
	v_ashrrev_i32_e32 v1, 31, v0
	v_mul_lo_u32 v2, v1, s34
	v_mul_lo_u32 v3, v0, s35
	v_mad_u64_u32 v[0:1], s[16:17], v0, s34, 0
	v_add3_u32 v1, v1, v3, v2
	v_lshl_add_u64 v[0:1], v[0:1], 2, s[10:11]
	global_load_dword v0, v[0:1], off
	s_waitcnt vmcnt(0)
	v_sub_f32_e32 v0, s12, v0
	v_exp_f32_e32 v17, v0
.LBB159_66:
	s_or_b64 exec, exec, s[6:7]
	s_add_u32 s6, s8, s28
	v_or_b32_e32 v4, s36, v45
	s_addc_u32 s7, s9, s29
	s_add_u32 s8, s14, s28
	v_ashrrev_i32_e32 v5, 31, v4
	v_accvgpr_read_b32 v0, a12
	s_addc_u32 s9, s15, s29
	v_lshlrev_b64 v[4:5], 1, v[4:5]
	v_accvgpr_read_b32 v1, a13
	v_accvgpr_read_b32 v2, a14
	;; [unrolled: 1-line block ×3, first 2 shown]
	v_lshl_add_u64 v[6:7], s[6:7], 0, v[4:5]
	v_lshl_add_u64 v[4:5], s[8:9], 0, v[4:5]
	v_mov_b32_e32 v11, 0
	v_lshlrev_b32_e32 v8, 8, v21
	v_mov_b32_e32 v9, 0
	s_and_saveexec_b64 s[6:7], vcc
	s_cbranch_execz .LBB159_68
; %bb.67:
	v_mov_b32_e32 v9, 0
	v_lshl_add_u64 v[26:27], v[6:7], 0, v[8:9]
	global_load_ushort v13, v[26:27], off
	v_lshl_add_u64 v[26:27], v[4:5], 0, v[8:9]
	s_waitcnt vmcnt(0)
	v_lshlrev_b32_e32 v9, 16, v13
	v_sub_f32_e32 v0, v9, v0
	global_store_short_d16_hi v[26:27], v0, off
	v_mul_f32_e32 v0, v18, v0
	v_lshrrev_b32_e32 v9, 16, v0
.LBB159_68:
	s_or_b64 exec, exec, s[6:7]
	v_lshlrev_b32_e32 v10, 8, v10
	s_and_saveexec_b64 s[6:7], s[2:3]
	s_cbranch_execz .LBB159_70
; %bb.69:
	v_mov_b32_e32 v11, 0
	v_lshl_add_u64 v[26:27], v[6:7], 0, v[10:11]
	global_load_ushort v0, v[26:27], off
	v_lshl_add_u64 v[26:27], v[4:5], 0, v[10:11]
	s_waitcnt vmcnt(0)
	v_lshlrev_b32_e32 v0, 16, v0
	v_sub_f32_e32 v0, v0, v1
	global_store_short_d16_hi v[26:27], v0, off
	v_mul_f32_e32 v0, v16, v0
	v_lshrrev_b32_e32 v11, 16, v0
.LBB159_70:
	s_or_b64 exec, exec, s[6:7]
	v_mov_b32_e32 v15, 0
	v_lshlrev_b32_e32 v12, 8, v12
	v_mov_b32_e32 v13, 0
	s_and_saveexec_b64 s[6:7], s[0:1]
	s_cbranch_execz .LBB159_72
; %bb.71:
	v_mov_b32_e32 v13, 0
	v_lshl_add_u64 v[0:1], v[6:7], 0, v[12:13]
	global_load_ushort v25, v[0:1], off
	v_lshl_add_u64 v[0:1], v[4:5], 0, v[12:13]
	s_waitcnt vmcnt(0)
	v_lshlrev_b32_e32 v13, 16, v25
	v_sub_f32_e32 v2, v13, v2
	global_store_short_d16_hi v[0:1], v2, off
	v_mul_f32_e32 v0, v20, v2
	v_lshrrev_b32_e32 v13, 16, v0
.LBB159_72:
	s_or_b64 exec, exec, s[6:7]
	v_lshlrev_b32_e32 v14, 8, v14
	s_and_saveexec_b64 s[6:7], s[4:5]
	s_cbranch_execz .LBB159_74
; %bb.73:
	v_mov_b32_e32 v15, 0
	v_lshl_add_u64 v[0:1], v[6:7], 0, v[14:15]
	global_load_ushort v2, v[0:1], off
	v_lshl_add_u64 v[0:1], v[4:5], 0, v[14:15]
	s_waitcnt vmcnt(0)
	v_lshlrev_b32_e32 v2, 16, v2
	v_sub_f32_e32 v2, v2, v3
	global_store_short_d16_hi v[0:1], v2, off
	v_mul_f32_e32 v0, v17, v2
	v_lshrrev_b32_e32 v15, 16, v0
.LBB159_74:
	s_or_b64 exec, exec, s[6:7]
	v_lshlrev_b32_e32 v21, 6, v21
	s_mov_b32 s6, 0x5040100
	v_perm_b32 v26, v11, v9, s6
	v_or_b32_e32 v9, v21, v24
	v_accvgpr_read_b32 v0, a8
	v_perm_b32 v27, v15, v13, s6
	v_lshlrev_b32_e32 v9, 1, v9
	v_accvgpr_read_b32 v1, a9
	v_accvgpr_read_b32 v2, a10
	;; [unrolled: 1-line block ×3, first 2 shown]
	ds_write_b64 v9, v[26:27] offset:24576
	v_mov_b32_e32 v11, 0
	v_mov_b32_e32 v9, 0
	s_and_saveexec_b64 s[6:7], vcc
	s_cbranch_execz .LBB159_76
; %bb.75:
	v_mov_b32_e32 v9, 0
	v_lshl_add_u64 v[24:25], v[6:7], 0, v[8:9]
	global_load_ushort v13, v[24:25], off offset:32
	v_lshl_add_u64 v[24:25], v[4:5], 0, v[8:9]
	s_waitcnt vmcnt(0)
	v_lshlrev_b32_e32 v9, 16, v13
	v_sub_f32_e32 v0, v9, v0
	global_store_short_d16_hi v[24:25], v0, off offset:32
	v_mul_f32_e32 v0, v18, v0
	v_lshrrev_b32_e32 v9, 16, v0
.LBB159_76:
	s_or_b64 exec, exec, s[6:7]
	s_and_saveexec_b64 s[6:7], s[2:3]
	s_cbranch_execz .LBB159_78
; %bb.77:
	v_mov_b32_e32 v11, 0
	v_lshl_add_u64 v[24:25], v[6:7], 0, v[10:11]
	global_load_ushort v0, v[24:25], off offset:32
	v_lshl_add_u64 v[24:25], v[4:5], 0, v[10:11]
	s_waitcnt vmcnt(0)
	v_lshlrev_b32_e32 v0, 16, v0
	v_sub_f32_e32 v0, v0, v1
	global_store_short_d16_hi v[24:25], v0, off offset:32
	v_mul_f32_e32 v0, v16, v0
	v_lshrrev_b32_e32 v11, 16, v0
.LBB159_78:
	s_or_b64 exec, exec, s[6:7]
	v_mov_b32_e32 v15, 0
	v_mov_b32_e32 v13, 0
	s_and_saveexec_b64 s[6:7], s[0:1]
	s_cbranch_execz .LBB159_80
; %bb.79:
	v_mov_b32_e32 v13, 0
	v_lshl_add_u64 v[0:1], v[6:7], 0, v[12:13]
	global_load_ushort v24, v[0:1], off offset:32
	v_lshl_add_u64 v[0:1], v[4:5], 0, v[12:13]
	s_waitcnt vmcnt(0)
	v_lshlrev_b32_e32 v13, 16, v24
	v_sub_f32_e32 v2, v13, v2
	global_store_short_d16_hi v[0:1], v2, off offset:32
	v_mul_f32_e32 v0, v20, v2
	v_lshrrev_b32_e32 v13, 16, v0
.LBB159_80:
	s_or_b64 exec, exec, s[6:7]
	s_and_saveexec_b64 s[6:7], s[4:5]
	s_cbranch_execz .LBB159_82
; %bb.81:
	v_mov_b32_e32 v15, 0
	v_lshl_add_u64 v[0:1], v[6:7], 0, v[14:15]
	global_load_ushort v2, v[0:1], off offset:32
	v_lshl_add_u64 v[0:1], v[4:5], 0, v[14:15]
	s_waitcnt vmcnt(0)
	v_lshlrev_b32_e32 v2, 16, v2
	v_sub_f32_e32 v2, v2, v3
	global_store_short_d16_hi v[0:1], v2, off offset:32
	v_mul_f32_e32 v0, v17, v2
	v_lshrrev_b32_e32 v15, 16, v0
.LBB159_82:
	s_or_b64 exec, exec, s[6:7]
	s_mov_b32 s6, 0x5040100
	v_perm_b32 v24, v11, v9, s6
	v_or_b32_e32 v9, v21, v23
	v_accvgpr_read_b32 v0, a4
	v_perm_b32 v25, v15, v13, s6
	v_lshlrev_b32_e32 v9, 1, v9
	v_accvgpr_read_b32 v1, a5
	v_accvgpr_read_b32 v2, a6
	;; [unrolled: 1-line block ×3, first 2 shown]
	ds_write_b64 v9, v[24:25] offset:24576
	v_mov_b32_e32 v11, 0
	v_mov_b32_e32 v9, 0
	s_and_saveexec_b64 s[6:7], vcc
	s_cbranch_execz .LBB159_84
; %bb.83:
	v_mov_b32_e32 v9, 0
	v_lshl_add_u64 v[24:25], v[6:7], 0, v[8:9]
	global_load_ushort v13, v[24:25], off offset:64
	v_lshl_add_u64 v[24:25], v[4:5], 0, v[8:9]
	s_waitcnt vmcnt(0)
	v_lshlrev_b32_e32 v9, 16, v13
	v_sub_f32_e32 v0, v9, v0
	global_store_short_d16_hi v[24:25], v0, off offset:64
	v_mul_f32_e32 v0, v18, v0
	v_lshrrev_b32_e32 v9, 16, v0
.LBB159_84:
	s_or_b64 exec, exec, s[6:7]
	s_and_saveexec_b64 s[6:7], s[2:3]
	s_cbranch_execz .LBB159_86
; %bb.85:
	v_mov_b32_e32 v11, 0
	v_lshl_add_u64 v[24:25], v[6:7], 0, v[10:11]
	global_load_ushort v0, v[24:25], off offset:64
	v_lshl_add_u64 v[24:25], v[4:5], 0, v[10:11]
	s_waitcnt vmcnt(0)
	v_lshlrev_b32_e32 v0, 16, v0
	v_sub_f32_e32 v0, v0, v1
	global_store_short_d16_hi v[24:25], v0, off offset:64
	v_mul_f32_e32 v0, v16, v0
	v_lshrrev_b32_e32 v11, 16, v0
.LBB159_86:
	s_or_b64 exec, exec, s[6:7]
	v_mov_b32_e32 v15, 0
	v_mov_b32_e32 v13, 0
	s_and_saveexec_b64 s[6:7], s[0:1]
	s_cbranch_execz .LBB159_88
; %bb.87:
	v_mov_b32_e32 v13, 0
	v_lshl_add_u64 v[0:1], v[6:7], 0, v[12:13]
	global_load_ushort v23, v[0:1], off offset:64
	v_lshl_add_u64 v[0:1], v[4:5], 0, v[12:13]
	s_waitcnt vmcnt(0)
	v_lshlrev_b32_e32 v13, 16, v23
	v_sub_f32_e32 v2, v13, v2
	global_store_short_d16_hi v[0:1], v2, off offset:64
	v_mul_f32_e32 v0, v20, v2
	v_lshrrev_b32_e32 v13, 16, v0
.LBB159_88:
	s_or_b64 exec, exec, s[6:7]
	s_and_saveexec_b64 s[6:7], s[4:5]
	s_cbranch_execz .LBB159_90
; %bb.89:
	v_mov_b32_e32 v15, 0
	v_lshl_add_u64 v[0:1], v[6:7], 0, v[14:15]
	global_load_ushort v2, v[0:1], off offset:64
	v_lshl_add_u64 v[0:1], v[4:5], 0, v[14:15]
	s_waitcnt vmcnt(0)
	v_lshlrev_b32_e32 v2, 16, v2
	v_sub_f32_e32 v2, v2, v3
	global_store_short_d16_hi v[0:1], v2, off offset:64
	v_mul_f32_e32 v0, v17, v2
	v_lshrrev_b32_e32 v15, 16, v0
.LBB159_90:
	s_or_b64 exec, exec, s[6:7]
	s_mov_b32 s6, 0x5040100
	v_perm_b32 v24, v11, v9, s6
	v_or_b32_e32 v9, v21, v22
	v_accvgpr_read_b32 v0, a0
	v_perm_b32 v25, v15, v13, s6
	v_lshlrev_b32_e32 v9, 1, v9
	v_accvgpr_read_b32 v1, a1
	v_accvgpr_read_b32 v2, a2
	;; [unrolled: 1-line block ×3, first 2 shown]
	ds_write_b64 v9, v[24:25] offset:24576
	v_mov_b32_e32 v11, 0
	v_mov_b32_e32 v9, 0
	s_and_saveexec_b64 s[6:7], vcc
	s_cbranch_execz .LBB159_92
; %bb.91:
	v_mov_b32_e32 v9, 0
	v_lshl_add_u64 v[22:23], v[6:7], 0, v[8:9]
	global_load_ushort v13, v[22:23], off offset:96
	v_lshl_add_u64 v[8:9], v[4:5], 0, v[8:9]
	s_waitcnt vmcnt(0)
	v_lshlrev_b32_e32 v13, 16, v13
	v_sub_f32_e32 v0, v13, v0
	global_store_short_d16_hi v[8:9], v0, off offset:96
	v_mul_f32_e32 v0, v18, v0
	v_lshrrev_b32_e32 v9, 16, v0
.LBB159_92:
	s_or_b64 exec, exec, s[6:7]
	s_and_saveexec_b64 s[6:7], s[2:3]
	s_cbranch_execz .LBB159_94
; %bb.93:
	v_mov_b32_e32 v11, 0
	v_lshl_add_u64 v[22:23], v[6:7], 0, v[10:11]
	global_load_ushort v0, v[22:23], off offset:96
	v_lshl_add_u64 v[10:11], v[4:5], 0, v[10:11]
	s_waitcnt vmcnt(0)
	v_lshlrev_b32_e32 v0, 16, v0
	v_sub_f32_e32 v0, v0, v1
	global_store_short_d16_hi v[10:11], v0, off offset:96
	v_mul_f32_e32 v0, v16, v0
	v_lshrrev_b32_e32 v11, 16, v0
.LBB159_94:
	s_or_b64 exec, exec, s[6:7]
	v_mov_b32_e32 v0, 0
	v_mov_b32_e32 v1, 0
	s_and_saveexec_b64 s[2:3], s[0:1]
	s_cbranch_execz .LBB159_96
; %bb.95:
	v_mov_b32_e32 v13, 0
	v_lshl_add_u64 v[22:23], v[6:7], 0, v[12:13]
	global_load_ushort v1, v[22:23], off offset:96
	v_lshl_add_u64 v[12:13], v[4:5], 0, v[12:13]
	s_waitcnt vmcnt(0)
	v_lshlrev_b32_e32 v1, 16, v1
	v_sub_f32_e32 v1, v1, v2
	global_store_short_d16_hi v[12:13], v1, off offset:96
	v_mul_f32_e32 v1, v20, v1
	v_lshrrev_b32_e32 v1, 16, v1
.LBB159_96:
	s_or_b64 exec, exec, s[2:3]
	s_and_saveexec_b64 s[0:1], s[4:5]
	s_cbranch_execz .LBB159_98
; %bb.97:
	v_mov_b32_e32 v15, 0
	v_lshl_add_u64 v[6:7], v[6:7], 0, v[14:15]
	global_load_ushort v0, v[6:7], off offset:96
	v_lshl_add_u64 v[4:5], v[4:5], 0, v[14:15]
	s_waitcnt vmcnt(0)
	v_lshlrev_b32_e32 v0, 16, v0
	v_sub_f32_e32 v0, v0, v3
	global_store_short_d16_hi v[4:5], v0, off offset:96
	v_mul_f32_e32 v0, v17, v0
	v_lshrrev_b32_e32 v0, 16, v0
.LBB159_98:
	s_or_b64 exec, exec, s[0:1]
	s_mov_b32 s0, 0x5040100
	v_or_b32_e32 v2, v21, v19
	v_perm_b32 v1, v0, v1, s0
	v_perm_b32 v0, v11, v9, s0
	v_lshlrev_b32_e32 v2, 1, v2
	ds_write_b64 v2, v[0:1] offset:24576
	s_waitcnt lgkmcnt(0)
	s_barrier
.LBB159_99:
	s_endpgm
	.section	.rodata,"a",@progbits
	.p2align	6, 0x0
	.amdhsa_kernel _ZN12_GLOBAL__N_139chunk_gated_delta_rule_fwd_h_hip_kernelILi64ELb0ELb0ELb1ELb0ELb1ELb1ELb0ELb0EEEvPK12hip_bfloat16S3_S3_PKfS5_PKvPS1_S8_PvPKiSB_iiiiilll
		.amdhsa_group_segment_fixed_size 65536
		.amdhsa_private_segment_fixed_size 0
		.amdhsa_kernarg_size 136
		.amdhsa_user_sgpr_count 2
		.amdhsa_user_sgpr_dispatch_ptr 0
		.amdhsa_user_sgpr_queue_ptr 0
		.amdhsa_user_sgpr_kernarg_segment_ptr 1
		.amdhsa_user_sgpr_dispatch_id 0
		.amdhsa_user_sgpr_kernarg_preload_length 0
		.amdhsa_user_sgpr_kernarg_preload_offset 0
		.amdhsa_user_sgpr_private_segment_size 0
		.amdhsa_uses_dynamic_stack 0
		.amdhsa_enable_private_segment 0
		.amdhsa_system_sgpr_workgroup_id_x 1
		.amdhsa_system_sgpr_workgroup_id_y 1
		.amdhsa_system_sgpr_workgroup_id_z 0
		.amdhsa_system_sgpr_workgroup_info 0
		.amdhsa_system_vgpr_workitem_id 0
		.amdhsa_next_free_vgpr 232
		.amdhsa_next_free_sgpr 68
		.amdhsa_accum_offset 192
		.amdhsa_reserve_vcc 1
		.amdhsa_float_round_mode_32 0
		.amdhsa_float_round_mode_16_64 0
		.amdhsa_float_denorm_mode_32 3
		.amdhsa_float_denorm_mode_16_64 3
		.amdhsa_dx10_clamp 1
		.amdhsa_ieee_mode 1
		.amdhsa_fp16_overflow 0
		.amdhsa_tg_split 0
		.amdhsa_exception_fp_ieee_invalid_op 0
		.amdhsa_exception_fp_denorm_src 0
		.amdhsa_exception_fp_ieee_div_zero 0
		.amdhsa_exception_fp_ieee_overflow 0
		.amdhsa_exception_fp_ieee_underflow 0
		.amdhsa_exception_fp_ieee_inexact 0
		.amdhsa_exception_int_div_zero 0
	.end_amdhsa_kernel
	.section	.text._ZN12_GLOBAL__N_139chunk_gated_delta_rule_fwd_h_hip_kernelILi64ELb0ELb0ELb1ELb0ELb1ELb1ELb0ELb0EEEvPK12hip_bfloat16S3_S3_PKfS5_PKvPS1_S8_PvPKiSB_iiiiilll,"axG",@progbits,_ZN12_GLOBAL__N_139chunk_gated_delta_rule_fwd_h_hip_kernelILi64ELb0ELb0ELb1ELb0ELb1ELb1ELb0ELb0EEEvPK12hip_bfloat16S3_S3_PKfS5_PKvPS1_S8_PvPKiSB_iiiiilll,comdat
.Lfunc_end159:
	.size	_ZN12_GLOBAL__N_139chunk_gated_delta_rule_fwd_h_hip_kernelILi64ELb0ELb0ELb1ELb0ELb1ELb1ELb0ELb0EEEvPK12hip_bfloat16S3_S3_PKfS5_PKvPS1_S8_PvPKiSB_iiiiilll, .Lfunc_end159-_ZN12_GLOBAL__N_139chunk_gated_delta_rule_fwd_h_hip_kernelILi64ELb0ELb0ELb1ELb0ELb1ELb1ELb0ELb0EEEvPK12hip_bfloat16S3_S3_PKfS5_PKvPS1_S8_PvPKiSB_iiiiilll
                                        ; -- End function
	.section	.AMDGPU.csdata,"",@progbits
; Kernel info:
; codeLenInByte = 11468
; NumSgprs: 74
; NumVgprs: 190
; NumAgprs: 40
; TotalNumVgprs: 232
; ScratchSize: 0
; MemoryBound: 0
; FloatMode: 240
; IeeeMode: 1
; LDSByteSize: 65536 bytes/workgroup (compile time only)
; SGPRBlocks: 9
; VGPRBlocks: 28
; NumSGPRsForWavesPerEU: 74
; NumVGPRsForWavesPerEU: 232
; AccumOffset: 192
; Occupancy: 1
; WaveLimiterHint : 1
; COMPUTE_PGM_RSRC2:SCRATCH_EN: 0
; COMPUTE_PGM_RSRC2:USER_SGPR: 2
; COMPUTE_PGM_RSRC2:TRAP_HANDLER: 0
; COMPUTE_PGM_RSRC2:TGID_X_EN: 1
; COMPUTE_PGM_RSRC2:TGID_Y_EN: 1
; COMPUTE_PGM_RSRC2:TGID_Z_EN: 0
; COMPUTE_PGM_RSRC2:TIDIG_COMP_CNT: 0
; COMPUTE_PGM_RSRC3_GFX90A:ACCUM_OFFSET: 47
; COMPUTE_PGM_RSRC3_GFX90A:TG_SPLIT: 0
	.section	.text._ZN12_GLOBAL__N_139chunk_gated_delta_rule_fwd_h_hip_kernelILi64ELb0ELb0ELb0ELb0ELb1ELb1ELb0ELb0EEEvPK12hip_bfloat16S3_S3_PKfS5_PKvPS1_S8_PvPKiSB_iiiiilll,"axG",@progbits,_ZN12_GLOBAL__N_139chunk_gated_delta_rule_fwd_h_hip_kernelILi64ELb0ELb0ELb0ELb0ELb1ELb1ELb0ELb0EEEvPK12hip_bfloat16S3_S3_PKfS5_PKvPS1_S8_PvPKiSB_iiiiilll,comdat
	.globl	_ZN12_GLOBAL__N_139chunk_gated_delta_rule_fwd_h_hip_kernelILi64ELb0ELb0ELb0ELb0ELb1ELb1ELb0ELb0EEEvPK12hip_bfloat16S3_S3_PKfS5_PKvPS1_S8_PvPKiSB_iiiiilll ; -- Begin function _ZN12_GLOBAL__N_139chunk_gated_delta_rule_fwd_h_hip_kernelILi64ELb0ELb0ELb0ELb0ELb1ELb1ELb0ELb0EEEvPK12hip_bfloat16S3_S3_PKfS5_PKvPS1_S8_PvPKiSB_iiiiilll
	.p2align	8
	.type	_ZN12_GLOBAL__N_139chunk_gated_delta_rule_fwd_h_hip_kernelILi64ELb0ELb0ELb0ELb0ELb1ELb1ELb0ELb0EEEvPK12hip_bfloat16S3_S3_PKfS5_PKvPS1_S8_PvPKiSB_iiiiilll,@function
_ZN12_GLOBAL__N_139chunk_gated_delta_rule_fwd_h_hip_kernelILi64ELb0ELb0ELb0ELb0ELb1ELb1ELb0ELb0EEEvPK12hip_bfloat16S3_S3_PKfS5_PKvPS1_S8_PvPKiSB_iiiiilll: ; @_ZN12_GLOBAL__N_139chunk_gated_delta_rule_fwd_h_hip_kernelILi64ELb0ELb0ELb0ELb0ELb1ELb1ELb0ELb0EEEvPK12hip_bfloat16S3_S3_PKfS5_PKvPS1_S8_PvPKiSB_iiiiilll
; %bb.0:
	s_load_dwordx4 s[12:15], s[0:1], 0x5c
	s_load_dwordx2 s[36:37], s[0:1], 0x30
	s_abs_i32 s18, s3
	s_ashr_i32 s17, s3, 31
	s_load_dwordx8 s[4:11], s[0:1], 0x0
	s_waitcnt lgkmcnt(0)
	s_abs_i32 s16, s13
	v_cvt_f32_u32_e32 v1, s16
	s_sub_i32 s20, 0, s16
	s_ashr_i32 s19, s13, 31
	s_xor_b32 s17, s17, s19
	v_rcp_iflag_f32_e32 v1, v1
	v_lshrrev_b32_e32 v85, 6, v0
	v_bfe_u32 v86, v0, 4, 2
	v_lshlrev_b32_e32 v2, 2, v86
	v_mul_f32_e32 v1, 0x4f7ffffe, v1
	v_cvt_u32_f32_e32 v1, v1
	v_and_b32_e32 v84, 63, v0
	v_mov_b32_e32 v47, 0
	v_and_b32_e32 v45, 15, v0
	v_readfirstlane_b32 s21, v1
	s_mul_i32 s20, s20, s21
	s_mul_hi_u32 s20, s21, s20
	s_add_i32 s21, s21, s20
	s_mul_hi_u32 s20, s18, s21
	s_mul_i32 s21, s20, s16
	s_sub_i32 s18, s18, s21
	s_add_i32 s22, s20, 1
	s_sub_i32 s21, s18, s16
	s_cmp_ge_u32 s18, s16
	s_cselect_b32 s20, s22, s20
	s_cselect_b32 s18, s21, s18
	s_add_i32 s21, s20, 1
	s_cmp_ge_u32 s18, s16
	s_cselect_b32 s18, s21, s20
	s_abs_i32 s20, s14
	v_cvt_f32_u32_e32 v1, s20
	s_xor_b32 s18, s18, s17
	s_ashr_i32 s46, s12, 31
	s_sub_i32 s48, s18, s17
	v_rcp_iflag_f32_e32 v1, v1
	s_lshr_b32 s17, s46, 26
	s_add_i32 s17, s12, s17
	s_ashr_i32 s49, s14, 31
	v_mul_f32_e32 v1, 0x4f7ffffe, v1
	v_cvt_u32_f32_e32 v1, v1
	s_ashr_i32 s47, s17, 6
	s_xor_b32 s17, s19, s49
	s_sub_i32 s18, 0, s20
	v_readfirstlane_b32 s19, v1
	s_mul_i32 s18, s18, s19
	s_mul_hi_u32 s18, s19, s18
	s_add_i32 s19, s19, s18
	s_mul_hi_u32 s18, s16, s19
	s_mul_i32 s19, s18, s20
	s_mul_i32 s45, s48, s13
	s_sub_i32 s16, s16, s19
	s_sub_i32 s33, s3, s45
	s_add_i32 s3, s12, 63
	s_add_i32 s19, s18, 1
	s_sub_i32 s21, s16, s20
	s_cmp_ge_u32 s16, s20
	s_cselect_b32 s18, s19, s18
	s_cselect_b32 s16, s21, s16
	s_add_i32 s19, s18, 1
	s_cmp_ge_u32 s16, s20
	s_cselect_b32 s16, s19, s18
	s_xor_b32 s16, s16, s17
	s_sub_i32 s20, s16, s17
	s_abs_i32 s21, s20
	v_cvt_f32_u32_e32 v1, s21
	s_sub_i32 s23, 0, s21
	s_abs_i32 s22, s33
	s_xor_b32 s20, s33, s20
	v_rcp_iflag_f32_e32 v1, v1
	s_ashr_i32 s20, s20, 31
	s_load_dwordx2 s[28:29], s[0:1], 0x80
	s_load_dwordx4 s[16:19], s[0:1], 0x70
	s_mul_hi_i32 s51, s48, s13
	v_mul_f32_e32 v1, 0x4f7ffffe, v1
	v_cvt_u32_f32_e32 v1, v1
	v_lshrrev_b32_e32 v88, 3, v84
	v_lshlrev_b32_e32 v87, 3, v0
	s_waitcnt lgkmcnt(0)
	s_mul_i32 s17, s48, s17
	v_readfirstlane_b32 s24, v1
	s_mul_i32 s23, s23, s24
	s_mul_hi_u32 s23, s24, s23
	s_add_i32 s24, s24, s23
	s_mul_hi_u32 s23, s22, s24
	s_mul_i32 s24, s23, s21
	s_sub_i32 s22, s22, s24
	s_add_i32 s24, s23, 1
	s_sub_i32 s25, s22, s21
	s_cmp_ge_u32 s22, s21
	s_cselect_b32 s23, s24, s23
	s_cselect_b32 s22, s25, s22
	s_add_i32 s24, s23, 1
	s_cmp_ge_u32 s22, s21
	s_cselect_b32 s21, s24, s23
	s_xor_b32 s21, s21, s20
	s_sub_i32 s52, s21, s20
	s_ashr_i32 s20, s3, 31
	s_lshr_b32 s20, s20, 26
	v_lshlrev_b32_e32 v1, 4, v85
	s_add_i32 s3, s3, s20
	v_or_b32_e32 v89, v2, v1
	s_ashr_i32 s3, s3, 6
	s_lshl_b32 s30, s2, 6
	s_mul_i32 s50, s48, s3
	v_or_b32_e32 v90, 64, v89
	s_cmp_lt_i32 s12, 64
	s_mul_hi_u32 s44, s48, s16
	s_mul_i32 s34, s48, s16
	v_mov_b32_e32 v46, v47
	v_mov_b32_e32 v53, v47
	;; [unrolled: 1-line block ×31, first 2 shown]
	s_cbranch_scc1 .LBB160_18
; %bb.1:
	s_ashr_i32 s24, s48, 31
	s_ashr_i32 s54, s33, 31
	s_add_u32 s2, s45, s33
	s_addc_u32 s3, s51, s54
	s_mul_i32 s3, s12, s3
	s_mul_hi_u32 s20, s12, s2
	s_add_i32 s39, s20, s3
	s_mul_i32 s38, s12, s2
	s_lshl_b64 s[2:3], s[38:39], 8
	v_and_b32_e32 v92, 56, v87
	s_add_u32 s20, s6, s2
	v_lshl_or_b32 v91, v85, 3, v88
	v_lshlrev_b32_e32 v3, 1, v92
	s_addc_u32 s2, s7, s3
	v_lshl_or_b32 v93, v91, 8, v3
	s_and_b32 s21, s2, 0xffff
	s_mov_b32 s23, 0x20000
	s_movk_i32 s22, 0x4000
	s_movk_i32 s2, 0x80
	v_or_b32_e32 v94, 0x2000, v93
	buffer_load_dwordx4 v[4:7], v93, s[20:23], 0 offen
	buffer_load_dwordx4 v[8:11], v93, s[20:23], s2 offen
	;; [unrolled: 1-line block ×4, first 2 shown]
	v_lshlrev_b32_e32 v20, 3, v91
	v_and_or_b32 v22, v0, 7, v20
	v_and_b32_e32 v20, 0x78, v20
	v_lshlrev_b32_e32 v22, 4, v22
	v_xor_b32_e32 v95, v22, v20
	v_mul_lo_u32 v21, v91, s15
	v_or_b32_e32 v96, 0x1000, v95
	s_cmpk_eq_i32 s15, 0x80
	s_mov_b32 s53, s14
	v_xor_b32_e32 v20, 8, v95
	v_xor_b32_e32 v22, 8, v96
	s_cselect_b64 s[2:3], -1, 0
	s_cmpk_lg_i32 s15, 0x80
	s_waitcnt vmcnt(3)
	ds_write_b64 v95, v[4:5] offset:49152
	ds_write_b64 v20, v[6:7] offset:49152
	s_waitcnt vmcnt(2)
	ds_write_b64 v95, v[8:9] offset:57344
	ds_write_b64 v20, v[10:11] offset:57344
	;; [unrolled: 3-line block ×4, first 2 shown]
	v_lshl_add_u32 v4, v21, 1, v92
	s_cbranch_scc0 .LBB160_3
; %bb.2:
	v_lshlrev_b32_e32 v6, 1, v4
	v_add_lshl_u32 v5, v4, s15, 1
	s_lshl_b32 s22, s15, 7
	s_load_dwordx2 s[40:41], s[0:1], 0x20
	v_lshl_or_b32 v3, v91, 9, v3
	s_cbranch_execz .LBB160_4
	s_branch .LBB160_5
.LBB160_3:
                                        ; implicit-def: $vgpr5
                                        ; implicit-def: $vgpr6
                                        ; implicit-def: $sgpr22
	s_load_dwordx2 s[40:41], s[0:1], 0x20
	v_lshl_or_b32 v3, v91, 9, v3
.LBB160_4:
	v_or_b32_e32 v5, 0x100, v3
	s_movk_i32 s22, 0x4000
	v_mov_b32_e32 v6, v3
.LBB160_5:
	s_mul_hi_u32 s0, s14, s12
	s_mul_i32 s1, s49, s12
	s_add_i32 s0, s0, s1
	s_mul_i32 s1, s14, s12
	s_mul_i32 s20, s1, s24
	s_mul_hi_u32 s21, s1, s48
	s_add_i32 s20, s21, s20
	s_mul_i32 s0, s0, s48
	s_add_i32 s20, s20, s0
	s_mul_i32 s1, s1, s48
	s_ashr_i32 s55, s52, 31
	s_add_u32 s0, s1, s52
	s_addc_u32 s1, s20, s55
	s_lshl_b64 s[0:1], s[0:1], 8
	s_add_u32 s20, s4, s0
	s_addc_u32 s0, s5, s1
	s_and_b32 s21, s0, 0xffff
	s_movk_i32 s56, 0x80
	buffer_load_dwordx4 v[8:11], v6, s[20:23], 0 offen
	buffer_load_dwordx4 v[12:15], v6, s[20:23], s56 offen
	;; [unrolled: 1-line block ×4, first 2 shown]
	v_and_b32_e32 v5, 6, v0
	v_lshlrev_b32_e32 v6, 7, v89
	v_xor_b32_e32 v27, v91, v5
	v_and_b32_e32 v7, 1, v0
	v_lshl_or_b32 v30, v45, 3, v6
	v_lshlrev_b32_e32 v27, 2, v27
	v_or_b32_e32 v97, 0x4000, v30
	v_or_b32_e32 v98, 0x6000, v30
	v_xor_b32_e32 v30, 0x440, v27
	v_cmp_eq_u32_e32 vcc, 0, v7
	v_lshlrev_b32_e32 v24, 2, v45
	s_mov_b32 s59, 0x1000504
	v_cndmask_b32_e32 v7, v30, v27, vcc
	v_xor_b32_e32 v28, v89, v24
	v_xor_b32_e32 v29, v90, v24
	v_lshl_or_b32 v5, v5, 10, v7
	s_mov_b32 s60, 0x3020706
	s_mul_i32 s0, s24, s12
	s_mul_hi_u32 s1, s48, s12
	v_lshlrev_b32_e32 v25, 8, v45
	v_or_b32_e32 v26, 16, v45
	v_lshlrev_b32_e32 v28, 1, v28
	v_lshlrev_b32_e32 v29, 1, v29
	v_xor_b32_e32 v7, 8, v5
	v_xor_b32_e32 v27, 24, v5
	;; [unrolled: 1-line block ×4, first 2 shown]
	v_or_b32_e32 v100, v25, v28
	v_or_b32_e32 v101, v25, v29
	v_xor_b32_e32 v25, 16, v5
	v_xor_b32_e32 v30, 32, v5
	;; [unrolled: 1-line block ×3, first 2 shown]
	v_add_u32_e32 v7, 0x80, v7
	v_add_u32_e32 v27, 0x80, v27
	;; [unrolled: 1-line block ×4, first 2 shown]
	s_add_i32 s61, s1, s0
	s_add_i32 s0, s44, s17
	s_mul_i32 s24, s24, s16
	s_add_i32 s35, s0, s24
	s_mul_i32 s0, s33, s19
	s_mul_hi_u32 s1, s33, s18
	s_add_i32 s0, s1, s0
	s_mul_i32 s1, s54, s18
	s_add_i32 s1, s0, s1
	s_lshl_b64 s[20:21], s[34:35], 2
	s_mul_i32 s0, s33, s18
	s_add_u32 s20, s10, s20
	s_addc_u32 s21, s11, s21
	s_lshl_b64 s[0:1], s[0:1], 2
	s_add_u32 s42, s20, s0
	s_movk_i32 s0, 0xf8
	s_addc_u32 s43, s21, s1
	s_ashr_i32 s31, s30, 31
	s_lshl_b32 s26, s15, 7
	v_mov_b32_e32 v79, 0
	s_movk_i32 s20, 0x100
	v_lshlrev_b32_e32 v78, 4, v45
	s_mul_i32 s57, s48, s12
	v_lshl_or_b32 v31, v26, 3, v6
	s_mov_b32 s58, 0
	v_or_b32_e32 v99, 0x4000, v31
	s_movk_i32 s22, 0x4000
	v_or_b32_e32 v102, 0x6000, v31
	v_add_u32_e32 v134, v1, v2
	s_mov_b32 s35, 0x7060302
	s_movk_i32 s62, 0x2000
	s_movk_i32 s63, 0x3000
	s_mov_b32 s65, 0
	v_mov_b32_e32 v70, v79
	v_mov_b32_e32 v71, v79
	;; [unrolled: 1-line block ×9, first 2 shown]
	s_waitcnt vmcnt(1)
	v_perm_b32 v35, v8, v16, s59
	s_waitcnt vmcnt(0)
	v_perm_b32 v36, v12, v20, s59
	v_perm_b32 v8, v8, v16, s60
	;; [unrolled: 1-line block ×15, first 2 shown]
	ds_write2st64_b32 v5, v35, v36 offset0:128 offset1:160
	ds_write2st64_b32 v7, v8, v12 offset0:128 offset1:160
	;; [unrolled: 1-line block ×8, first 2 shown]
	v_lshlrev_b32_e32 v5, 8, v26
	v_or_b32_e32 v103, v5, v28
	v_or_b32_e32 v104, v5, v29
	;; [unrolled: 1-line block ×3, first 2 shown]
	v_lshl_or_b32 v7, v5, 3, v6
	v_lshlrev_b32_e32 v5, 8, v5
	v_or_b32_e32 v107, v5, v28
	v_or_b32_e32 v108, v5, v29
	;; [unrolled: 1-line block ×5, first 2 shown]
	v_lshl_or_b32 v7, v5, 3, v6
	v_lshlrev_b32_e32 v5, 8, v5
	v_or_b32_e32 v111, v5, v28
	v_or_b32_e32 v112, v5, v29
	;; [unrolled: 1-line block ×3, first 2 shown]
	v_lshlrev_b32_e32 v5, 3, v5
	v_lshrrev_b32_e32 v9, 5, v84
	v_and_or_b32 v9, v5, s0, v9
	v_lshlrev_b32_e32 v9, 4, v9
	v_lshlrev_b32_e32 v11, 11, v85
	v_and_b32_e32 v5, 0x78, v5
	v_or_b32_e32 v14, 32, v9
	v_and_b32_e32 v8, 0x1000, v11
	v_xor_b32_e32 v10, v9, v5
	v_lshrrev_b32_e32 v12, 1, v84
	v_xor_b32_e32 v14, v14, v5
	v_or_b32_e32 v10, v10, v8
	v_and_b32_e32 v12, 8, v12
	v_or_b32_e32 v14, v14, v8
	v_xor_b32_e32 v113, v10, v12
	v_lshlrev_b32_e32 v10, 8, v86
	v_xor_b32_e32 v115, v14, v12
	v_or_b32_e32 v14, 64, v9
	v_or_b32_e32 v9, 0x60, v9
	;; [unrolled: 1-line block ×3, first 2 shown]
	v_xor_b32_e32 v14, v14, v5
	v_xor_b32_e32 v5, v9, v5
	v_lshlrev_b32_e32 v13, 1, v13
	v_or_b32_e32 v14, v14, v8
	v_or_b32_e32 v5, v5, v8
	s_lshl_b64 s[0:1], s[30:31], 8
	v_or_b32_e32 v114, 0x4000, v13
	v_or_b32_e32 v116, 0x4080, v13
	;; [unrolled: 1-line block ×4, first 2 shown]
	v_xor_b32_e32 v119, v14, v12
	v_xor_b32_e32 v120, v5, v12
	v_or_b32_e32 v121, 0x6000, v13
	v_or_b32_e32 v122, 0x6080, v13
	;; [unrolled: 1-line block ×4, first 2 shown]
	v_lshlrev_b32_e32 v12, 1, v4
	v_add_lshl_u32 v13, v4, s15, 1
	s_add_u32 s0, s36, s0
	v_lshlrev_b32_e32 v4, 1, v45
	v_lshrrev_b32_e32 v15, 4, v0
	s_addc_u32 s1, s37, s1
	v_or_b32_e32 v5, 1, v4
	v_lshlrev_b32_e32 v18, 2, v0
	v_or_b32_e32 v14, 0x100, v3
	v_xor_b32_e32 v16, v15, v4
	v_xor_b32_e32 v17, v5, v15
	v_lshl_add_u64 v[4:5], s[0:1], 0, v[78:79]
	v_lshlrev_b32_e32 v78, 8, v15
	v_lshrrev_b32_e32 v19, 1, v0
	v_and_or_b32 v10, v18, 60, v10
	v_cndmask_b32_e64 v131, v12, v3, s[2:3]
	v_mov_b32_e32 v3, 0xa000
	v_mov_b32_e32 v12, 0x8000
	v_cmp_gt_u32_e64 s[0:1], s20, v0
	v_lshl_or_b32 v125, v16, 3, v78
	v_and_b32_e32 v16, 8, v0
	v_and_b32_e32 v19, 24, v19
	v_lshlrev_b32_e32 v10, 1, v10
	v_cndmask_b32_e64 v3, v3, v12, s[0:1]
	v_lshlrev_b32_e32 v12, 3, v85
	v_or_b32_e32 v127, 0x6000, v10
	v_or_b32_e32 v128, 0x6080, v10
	;; [unrolled: 1-line block ×4, first 2 shown]
	v_mov_b32_e32 v10, 0x400
	v_cmp_eq_u32_e32 vcc, 0, v16
	v_cndmask_b32_e64 v132, v13, v14, s[2:3]
	v_xor_b32_e32 v13, v12, v19
	v_and_b32_e32 v15, 7, v0
	v_cndmask_b32_e64 v16, v10, 64, vcc
	v_or_b32_e32 v14, 0x440, v13
	v_lshl_or_b32 v126, v17, 3, v78
	v_lshlrev_b32_e32 v17, 3, v15
	v_or_b32_e32 v18, 32, v19
	v_or_b32_e32 v20, 0x60, v19
	v_cndmask_b32_e32 v14, v14, v13, vcc
	v_or3_b32 v13, v11, v16, v13
	v_lshlrev_b32_e32 v15, 7, v15
	v_xor_b32_e32 v18, v12, v18
	v_xor_b32_e32 v13, v13, v17
	;; [unrolled: 1-line block ×3, first 2 shown]
	v_or_b32_e32 v21, 0x440, v18
	v_or_b32_e32 v133, v13, v15
	v_xor_b32_e32 v13, 0x440, v12
	v_cndmask_b32_e32 v18, v21, v18, vcc
	v_cndmask_b32_e32 v12, v13, v12, vcc
	v_or_b32_e32 v109, 0x4000, v7
	v_or_b32_e32 v110, 0x6000, v7
	v_lshrrev_b32_e32 v7, 2, v84
	v_or_b32_e32 v14, v14, v11
	v_or_b32_e32 v18, v18, v11
	;; [unrolled: 1-line block ×3, first 2 shown]
	v_and_b32_e32 v7, 12, v7
	v_or_b32_e32 v8, s30, v45
	v_xor_b32_e32 v14, v14, v17
	v_xor_b32_e32 v18, v18, v17
	;; [unrolled: 1-line block ×3, first 2 shown]
	v_ashrrev_i32_e32 v9, 31, v8
	v_or_b32_e32 v10, v1, v7
	v_add_u32_e32 v19, v3, v14
	v_add_u32_e32 v21, v3, v18
	;; [unrolled: 1-line block ×3, first 2 shown]
	v_or3_b32 v12, v1, v7, 64
	v_add_u32_e32 v7, 0xa000, v14
	v_add_u32_e32 v14, 0xa000, v18
	;; [unrolled: 1-line block ×3, first 2 shown]
	v_lshl_add_u64 v[80:81], v[8:9], 1, s[8:9]
	v_lshl_add_u64 v[82:83], v[4:5], 0, v[78:79]
	s_add_i32 s31, s57, 63
	v_lshlrev_b32_e32 v78, 1, v6
	v_lshlrev_b32_e32 v135, 2, v10
	v_add_u32_e32 v136, v19, v15
	v_add_u32_e32 v137, v21, v15
	v_add_u32_e32 v138, v3, v133
	v_add_u32_e32 v139, v13, v15
	v_lshlrev_b32_e32 v140, 2, v12
	v_add_u32_e32 v141, v7, v15
	v_add_u32_e32 v142, v14, v15
	;; [unrolled: 1-line block ×3, first 2 shown]
	v_mov_b32_e32 v63, v79
	v_mov_b32_e32 v64, v79
	;; [unrolled: 1-line block ×23, first 2 shown]
	s_waitcnt lgkmcnt(0)
	s_barrier
.LBB160_6:                              ; =>This Inner Loop Header: Depth=1
	s_add_i32 s64, s65, 1
	s_cmp_lt_i32 s64, s47
	s_mov_b64 s[24:25], 0
	s_cselect_b64 s[2:3], -1, 0
	s_cmp_ge_i32 s64, s47
	s_mov_b64 s[20:21], 0
	s_cbranch_scc1 .LBB160_8
; %bb.7:                                ;   in Loop: Header=BB160_6 Depth=1
	s_add_i32 s0, s58, 64
	s_add_u32 s0, s38, s0
	s_addc_u32 s1, s39, 0
	s_lshl_b64 s[0:1], s[0:1], 8
	s_add_u32 s20, s6, s0
	s_addc_u32 s21, s7, s1
.LBB160_8:                              ;   in Loop: Header=BB160_6 Depth=1
	v_cndmask_b32_e64 v2, 0, 1, s[2:3]
	v_cmp_ne_u32_e64 s[0:1], 1, v2
	s_andn2_b64 vcc, exec, s[2:3]
	s_cbranch_vccnz .LBB160_10
; %bb.9:                                ;   in Loop: Header=BB160_6 Depth=1
	s_add_i32 s2, s58, 64
	s_add_u32 s2, s57, s2
	s_addc_u32 s3, s61, 0
	s_mul_i32 s24, s2, s49
	s_mul_hi_u32 s25, s2, s53
	s_add_i32 s24, s25, s24
	s_mul_i32 s3, s3, s53
	s_add_i32 s24, s24, s3
	s_mul_i32 s2, s2, s53
	s_add_u32 s2, s2, s52
	s_addc_u32 s3, s24, s55
	s_lshl_b64 s[2:3], s[2:3], 8
	s_add_u32 s24, s4, s2
	s_addc_u32 s25, s5, s3
.LBB160_10:                             ;   in Loop: Header=BB160_6 Depth=1
	v_perm_b32 v3, v77, v76, s35
	v_perm_b32 v2, v75, v74, s35
	v_perm_b32 v5, v73, v72, s35
	v_perm_b32 v4, v71, v70, s35
	ds_write_b64 v97, v[2:3]
	ds_write_b64 v98, v[4:5]
	ds_write_b64 v100, v[2:3]
	ds_write_b64 v101, v[4:5]
	v_perm_b32 v3, v69, v68, s35
	v_perm_b32 v2, v67, v66, s35
	v_perm_b32 v5, v65, v64, s35
	v_perm_b32 v4, v63, v62, s35
	ds_write_b64 v99, v[2:3]
	ds_write_b64 v102, v[4:5]
	ds_write_b64 v103, v[2:3]
	ds_write_b64 v104, v[4:5]
	;; [unrolled: 8-line block ×4, first 2 shown]
	s_waitcnt lgkmcnt(0)
	s_barrier
	ds_read_b64 v[6:7], v113 offset:49152
	ds_read2_b64 v[2:5], v114 offset1:16
	ds_read_b64 v[18:19], v116 offset:6144
	ds_read_b64 v[20:21], v114 offset:6144
	s_waitcnt lgkmcnt(2)
	v_mfma_f32_16x16x16_bf16 a[0:3], v[6:7], v[2:3], 0
	ds_read_b64 v[22:23], v115 offset:49152
	ds_read2st64_b64 v[10:13], v117 offset0:4 offset1:8
	ds_read2st64_b64 v[14:17], v118 offset0:4 offset1:8
	v_mfma_f32_16x16x16_bf16 a[4:7], v[6:7], v[4:5], 0
	ds_read2_b64 v[2:5], v114 offset0:32 offset1:48
	s_add_i32 s2, s58, 63
	s_mul_i32 s3, s2, s29
	s_waitcnt lgkmcnt(0)
	v_mfma_f32_16x16x16_bf16 a[8:11], v[6:7], v[2:3], 0
	s_mul_hi_u32 s27, s2, s28
	s_add_i32 s3, s27, s3
	s_mul_i32 s2, s2, s28
	v_mfma_f32_16x16x16_bf16 a[12:15], v[6:7], v[4:5], 0
	ds_read2st64_b64 v[2:5], v114 offset0:4 offset1:8
	ds_read2st64_b64 v[6:9], v116 offset0:4 offset1:8
	s_lshl_b64 s[2:3], s[2:3], 2
	s_waitcnt lgkmcnt(1)
	v_mfma_f32_16x16x16_bf16 a[0:3], v[22:23], v[2:3], a[0:3]
	s_add_u32 s2, s42, s2
	s_addc_u32 s3, s43, s3
	s_and_b64 vcc, exec, s[0:1]
	s_waitcnt lgkmcnt(0)
	v_mfma_f32_16x16x16_bf16 a[4:7], v[22:23], v[6:7], a[4:7]
	v_mov_b32_e32 v146, 0
	v_mov_b32_e32 v145, 0
	;; [unrolled: 1-line block ×3, first 2 shown]
	v_mfma_f32_16x16x16_bf16 a[8:11], v[22:23], v[10:11], a[8:11]
	ds_read_b64 v[2:3], v119 offset:49152
	ds_read_b64 v[6:7], v120 offset:49152
	;; [unrolled: 1-line block ×3, first 2 shown]
	v_mfma_f32_16x16x16_bf16 a[12:15], v[22:23], v[14:15], a[12:15]
	v_mov_b32_e32 v14, 0
	v_mov_b32_e32 v15, 0
	s_waitcnt lgkmcnt(2)
	v_mfma_f32_16x16x16_bf16 a[0:3], v[2:3], v[4:5], a[0:3]
	v_mov_b32_e32 v4, 0
	v_mov_b32_e32 v5, 0
	v_mfma_f32_16x16x16_bf16 a[16:19], v[2:3], v[8:9], a[4:7]
	v_mov_b32_e32 v8, 0
	v_mov_b32_e32 v9, 0
	;; [unrolled: 3-line block ×3, first 2 shown]
	v_mfma_f32_16x16x16_bf16 a[24:27], v[2:3], v[16:17], a[12:15]
	ds_read_b64 v[2:3], v117 offset:6144
	v_mov_b32_e32 v16, 0
	v_mov_b32_e32 v17, 0
	s_waitcnt lgkmcnt(2)
	v_mfma_f32_16x16x16_bf16 a[4:7], v[6:7], v[20:21], a[0:3]
	v_mfma_f32_16x16x16_bf16 a[8:11], v[6:7], v[18:19], a[16:19]
	s_waitcnt lgkmcnt(0)
	v_mfma_f32_16x16x16_bf16 a[12:15], v[6:7], v[2:3], a[20:23]
	v_mov_b32_e32 v2, 0
	v_mov_b32_e32 v3, 0
	v_mfma_f32_16x16x16_bf16 a[0:3], v[6:7], v[10:11], a[24:27]
	v_mov_b32_e32 v6, 0
	v_mov_b32_e32 v7, 0
	;; [unrolled: 1-line block ×4, first 2 shown]
	s_cbranch_vccnz .LBB160_12
; %bb.11:                               ;   in Loop: Header=BB160_6 Depth=1
	s_and_b32 s21, s21, 0xffff
	buffer_load_dwordx4 v[14:17], v93, s[20:23], 0 offen
	buffer_load_dwordx4 v[10:13], v93, s[20:23], s56 offen
	;; [unrolled: 1-line block ×4, first 2 shown]
	v_mov_b32_e32 v145, v95
	v_mov_b32_e32 v144, v96
.LBB160_12:                             ;   in Loop: Header=BB160_6 Depth=1
	ds_read_b64 v[34:35], v113 offset:57344
	ds_read2_b64 v[18:21], v121 offset1:16
	ds_read_b64 v[36:37], v115 offset:57344
	ds_read_b64 v[38:39], v119 offset:57344
	;; [unrolled: 1-line block ×3, first 2 shown]
	v_add_u32_e32 v42, s58, v134
	s_waitcnt lgkmcnt(3)
	v_mfma_f32_16x16x16_bf16 a[4:7], v[34:35], v[18:19], a[4:7]
	v_mfma_f32_16x16x16_bf16 a[8:11], v[34:35], v[20:21], a[8:11]
	ds_read2_b64 v[18:21], v121 offset0:32 offset1:48
	ds_read2st64_b64 v[22:25], v121 offset0:4 offset1:8
	ds_read2st64_b64 v[26:29], v122 offset0:4 offset1:8
	;; [unrolled: 1-line block ×3, first 2 shown]
	s_waitcnt lgkmcnt(3)
	v_mfma_f32_16x16x16_bf16 a[12:15], v[34:35], v[18:19], a[12:15]
	v_ashrrev_i32_e32 v18, 31, v42
	v_mfma_f32_16x16x16_bf16 a[0:3], v[34:35], v[20:21], a[0:3]
	v_mul_lo_u32 v20, v18, s28
	v_mul_lo_u32 v21, v42, s29
	v_mad_u64_u32 v[18:19], s[20:21], v42, s28, 0
	v_add3_u32 v19, v19, v21, v20
	v_add_u32_e32 v20, 1, v42
	v_ashrrev_i32_e32 v21, 31, v20
	s_waitcnt lgkmcnt(2)
	v_mfma_f32_16x16x16_bf16 a[4:7], v[36:37], v[22:23], a[4:7]
	v_mul_lo_u32 v22, v21, s28
	v_mul_lo_u32 v23, v20, s29
	v_mad_u64_u32 v[20:21], s[20:21], v20, s28, 0
	v_add3_u32 v21, v21, v23, v22
	v_add_u32_e32 v22, 2, v42
	v_ashrrev_i32_e32 v23, 31, v22
	s_waitcnt lgkmcnt(1)
	v_mfma_f32_16x16x16_bf16 a[8:11], v[36:37], v[26:27], a[8:11]
	v_mul_lo_u32 v26, v23, s28
	v_mul_lo_u32 v27, v22, s29
	v_mad_u64_u32 v[22:23], s[20:21], v22, s28, 0
	v_add3_u32 v23, v23, v27, v26
	v_add_u32_e32 v26, 3, v42
	v_ashrrev_i32_e32 v27, 31, v26
	v_mul_lo_u32 v34, v27, s28
	v_mul_lo_u32 v35, v26, s29
	v_mad_u64_u32 v[26:27], s[20:21], v26, s28, 0
	s_add_u32 s20, s38, s58
	s_addc_u32 s21, s39, 0
	v_lshl_add_u64 v[18:19], v[18:19], 2, s[42:43]
	v_add3_u32 v27, v27, v35, v34
	s_lshl_b64 s[20:21], s[20:21], 8
	v_lshl_add_u64 v[20:21], v[20:21], 2, s[42:43]
	v_lshl_add_u64 v[22:23], v[22:23], 2, s[42:43]
	;; [unrolled: 1-line block ×3, first 2 shown]
	global_load_dword v34, v[18:19], off
	global_load_dword v35, v[20:21], off
	;; [unrolled: 1-line block ×4, first 2 shown]
	v_lshl_add_u64 v[18:19], v[80:81], 0, s[20:21]
	v_lshl_add_u64 v[22:23], v[18:19], 0, v[78:79]
	global_load_ushort v44, v[22:23], off offset:256
	global_load_ushort v147, v[22:23], off
	ds_read2st64_b64 v[18:21], v124 offset0:4 offset1:8
	global_load_ushort v148, v[22:23], off offset:768
	global_load_ushort v149, v[22:23], off offset:512
	s_waitcnt lgkmcnt(1)
	v_mfma_f32_16x16x16_bf16 a[12:15], v[36:37], v[30:31], a[12:15]
	s_and_b64 vcc, exec, s[0:1]
	s_waitcnt vmcnt(3)
	v_lshlrev_b32_e32 v31, 16, v44
	s_waitcnt lgkmcnt(0)
	v_mfma_f32_16x16x16_bf16 a[0:3], v[36:37], v[18:19], a[0:3]
	global_load_ushort v36, v[22:23], off offset:288
	global_load_ushort v37, v[22:23], off offset:32
	;; [unrolled: 1-line block ×8, first 2 shown]
	v_mfma_f32_16x16x16_bf16 a[4:7], v[38:39], v[24:25], a[4:7]
	ds_read_b64 v[18:19], v121 offset:6144
	s_waitcnt vmcnt(10)
	v_lshlrev_b32_e32 v30, 16, v147
	v_mov_b32_e32 v147, 0
	v_mfma_f32_16x16x16_bf16 a[8:11], v[38:39], v[28:29], a[8:11]
	v_mfma_f32_16x16x16_bf16 a[12:15], v[38:39], v[32:33], a[12:15]
	;; [unrolled: 1-line block ×3, first 2 shown]
	global_load_ushort v38, v[22:23], off offset:352
	global_load_ushort v39, v[22:23], off offset:96
	ds_read_b64 v[20:21], v122 offset:6144
	ds_read_b64 v[24:25], v123 offset:6144
	;; [unrolled: 1-line block ×3, first 2 shown]
	global_load_ushort v156, v[22:23], off offset:864
	global_load_ushort v157, v[22:23], off offset:608
	s_load_dword s2, s[2:3], 0x0
	s_waitcnt lgkmcnt(0)
	v_mfma_f32_16x16x16_bf16 a[4:7], v[40:41], v[18:19], a[4:7]
	v_sub_f32_e32 v28, s2, v42
	v_mfma_f32_16x16x16_bf16 a[0:3], v[40:41], v[26:27], a[0:3]
	v_sub_f32_e32 v26, s2, v34
	v_sub_f32_e32 v27, s2, v35
	;; [unrolled: 1-line block ×3, first 2 shown]
	v_mfma_f32_16x16x16_bf16 a[8:11], v[40:41], v[20:21], a[8:11]
	v_exp_f32_e32 v26, v26
	v_exp_f32_e32 v27, v27
	;; [unrolled: 1-line block ×4, first 2 shown]
	v_accvgpr_read_b32 v33, a5
	v_accvgpr_read_b32 v32, a4
	;; [unrolled: 1-line block ×4, first 2 shown]
	v_pk_add_f32 v[30:31], v[30:31], v[32:33] neg_lo:[0,1] neg_hi:[0,1]
	s_waitcnt vmcnt(13)
	v_lshlrev_b32_e32 v33, 16, v148
	s_waitcnt vmcnt(12)
	v_lshlrev_b32_e32 v32, 16, v149
	v_pk_add_f32 v[18:19], v[32:33], v[18:19] neg_lo:[0,1] neg_hi:[0,1]
	v_pk_mul_f32 v[30:31], v[26:27], v[30:31]
	v_pk_mul_f32 v[18:19], v[28:29], v[18:19]
	v_accvgpr_read_b32 v33, a9
	v_perm_b32 v19, v19, v18, s35
	v_perm_b32 v18, v31, v30, s35
	v_accvgpr_read_b32 v32, a8
	v_accvgpr_read_b32 v21, a11
	v_mfma_f32_16x16x16_bf16 a[12:15], v[40:41], v[24:25], a[12:15]
	v_accvgpr_read_b32 v20, a10
	v_accvgpr_read_b32 v25, a3
	;; [unrolled: 1-line block ×3, first 2 shown]
	s_waitcnt vmcnt(11)
	v_lshlrev_b32_e32 v31, 16, v36
	s_waitcnt vmcnt(10)
	v_lshlrev_b32_e32 v30, 16, v37
	v_pk_add_f32 v[30:31], v[30:31], v[32:33] neg_lo:[0,1] neg_hi:[0,1]
	s_waitcnt vmcnt(9)
	v_lshlrev_b32_e32 v33, 16, v150
	s_waitcnt vmcnt(8)
	v_lshlrev_b32_e32 v32, 16, v151
	v_pk_add_f32 v[20:21], v[32:33], v[20:21] neg_lo:[0,1] neg_hi:[0,1]
	v_pk_mul_f32 v[30:31], v[26:27], v[30:31]
	v_pk_mul_f32 v[20:21], v[28:29], v[20:21]
	v_accvgpr_read_b32 v23, a15
	v_perm_b32 v21, v21, v20, s35
	v_perm_b32 v20, v31, v30, s35
	ds_write2_b64 v98, v[18:19], v[20:21] offset1:16
	v_accvgpr_read_b32 v21, a13
	s_waitcnt vmcnt(7)
	v_lshlrev_b32_e32 v19, 16, v152
	s_waitcnt vmcnt(6)
	v_lshlrev_b32_e32 v18, 16, v153
	v_accvgpr_read_b32 v20, a12
	v_accvgpr_read_b32 v22, a14
	v_pk_add_f32 v[18:19], v[18:19], v[20:21] neg_lo:[0,1] neg_hi:[0,1]
	s_waitcnt vmcnt(5)
	v_lshlrev_b32_e32 v21, 16, v154
	s_waitcnt vmcnt(4)
	v_lshlrev_b32_e32 v20, 16, v155
	v_pk_add_f32 v[20:21], v[20:21], v[22:23] neg_lo:[0,1] neg_hi:[0,1]
	v_pk_mul_f32 v[18:19], v[26:27], v[18:19]
	v_pk_mul_f32 v[20:21], v[28:29], v[20:21]
	v_accvgpr_read_b32 v23, a1
	v_perm_b32 v21, v21, v20, s35
	v_perm_b32 v20, v19, v18, s35
	s_waitcnt vmcnt(3)
	v_lshlrev_b32_e32 v19, 16, v38
	s_waitcnt vmcnt(2)
	v_lshlrev_b32_e32 v18, 16, v39
	v_accvgpr_read_b32 v22, a0
	v_pk_add_f32 v[18:19], v[18:19], v[22:23] neg_lo:[0,1] neg_hi:[0,1]
	s_waitcnt vmcnt(1)
	v_lshlrev_b32_e32 v23, 16, v156
	s_waitcnt vmcnt(0)
	v_lshlrev_b32_e32 v22, 16, v157
	v_pk_add_f32 v[22:23], v[22:23], v[24:25] neg_lo:[0,1] neg_hi:[0,1]
	v_pk_mul_f32 v[18:19], v[26:27], v[18:19]
	v_pk_mul_f32 v[22:23], v[28:29], v[22:23]
	v_mov_b32_e32 v24, 0
	v_perm_b32 v23, v23, v22, s35
	v_perm_b32 v22, v19, v18, s35
	ds_write2_b64 v98, v[20:21], v[22:23] offset0:32 offset1:48
	v_mov_b32_e32 v18, 0
	v_mov_b32_e32 v19, 0
	;; [unrolled: 1-line block ×15, first 2 shown]
	s_cbranch_vccnz .LBB160_14
; %bb.13:                               ;   in Loop: Header=BB160_6 Depth=1
	s_and_b32 s25, s25, 0xffff
	s_mov_b32 s27, s23
	buffer_load_dwordx4 v[30:33], v131, s[24:27], 0 offen
	buffer_load_dwordx4 v[22:25], v131, s[24:27], s56 offen
	;; [unrolled: 1-line block ×4, first 2 shown]
	v_mov_b32_e32 v146, v92
	v_mov_b32_e32 v147, v91
.LBB160_14:                             ;   in Loop: Header=BB160_6 Depth=1
	s_waitcnt lgkmcnt(0)
	s_barrier
	ds_read_b64 v[42:43], v136
	ds_read2_b64 v[34:37], v127 offset1:16
	ds_read_b64 v[164:165], v137
	ds_read_b64 v[166:167], v138
	;; [unrolled: 1-line block ×3, first 2 shown]
	ds_read2_b64 v[38:41], v127 offset0:32 offset1:48
	ds_read2st64_b64 v[148:151], v127 offset0:4 offset1:8
	ds_read2st64_b64 v[152:155], v128 offset0:4 offset1:8
	ds_read2st64_b64 v[156:159], v129 offset0:4 offset1:8
	ds_read2st64_b64 v[160:163], v130 offset0:4 offset1:8
	s_waitcnt lgkmcnt(8)
	v_mfma_f32_16x16x16_bf16 a[0:3], v[42:43], v[34:35], 0
	s_add_i32 s3, s50, s65
	s_mul_hi_i32 s21, s3, s13
	s_mul_i32 s3, s3, s13
	v_mfma_f32_16x16x16_bf16 a[4:7], v[42:43], v[36:37], 0
	s_add_u32 s20, s3, s33
	s_addc_u32 s21, s21, s54
	s_add_i32 s3, s31, s58
	s_waitcnt lgkmcnt(4)
	v_mfma_f32_16x16x16_bf16 a[8:11], v[42:43], v[38:39], 0
	s_lshl_b64 s[20:21], s[20:21], 15
	s_mul_hi_i32 s25, s3, s13
	s_mul_i32 s3, s3, s13
	v_mfma_f32_16x16x16_bf16 a[12:15], v[42:43], v[40:41], 0
	ds_read_b64 v[42:43], v127 offset:6144
	ds_read_b64 v[176:177], v128 offset:6144
	;; [unrolled: 1-line block ×4, first 2 shown]
	s_add_u32 s24, s3, s33
	s_waitcnt lgkmcnt(7)
	v_mfma_f32_16x16x16_bf16 a[0:3], v[164:165], v[148:149], a[0:3]
	s_addc_u32 s25, s25, s54
	s_lshl_b64 s[24:25], s[24:25], 9
	s_add_u32 s24, s40, s24
	s_waitcnt lgkmcnt(6)
	v_mfma_f32_16x16x16_bf16 a[4:7], v[164:165], v[152:153], a[4:7]
	s_addc_u32 s25, s41, s25
	v_lshl_add_u64 v[186:187], v[82:83], 0, s[20:21]
	s_waitcnt lgkmcnt(5)
	v_mfma_f32_16x16x16_bf16 a[8:11], v[164:165], v[156:157], a[8:11]
	s_waitcnt lgkmcnt(4)
	v_mfma_f32_16x16x16_bf16 a[12:15], v[164:165], v[160:161], a[12:15]
	ds_read_b64 v[164:165], v141
	ds_read_b64 v[174:175], v142
	ds_read_b64 v[182:183], v143
	s_waitcnt lgkmcnt(2)
	v_mfma_f32_16x16x16_bf16 a[16:19], v[164:165], v[34:35], 0
	v_mfma_f32_16x16x16_bf16 a[20:23], v[164:165], v[36:37], 0
	global_load_dwordx4 v[34:37], v140, s[24:25]
	v_mfma_f32_16x16x16_bf16 a[24:27], v[164:165], v[38:39], 0
	v_mfma_f32_16x16x16_bf16 a[28:31], v[164:165], v[40:41], 0
	global_load_dwordx4 v[38:41], v135, s[24:25]
	v_mfma_f32_16x16x16_bf16 a[0:3], v[166:167], v[150:151], a[0:3]
	v_mfma_f32_16x16x16_bf16 a[4:7], v[166:167], v[154:155], a[4:7]
	;; [unrolled: 1-line block ×8, first 2 shown]
	ds_read2st64_b64 v[164:167], v125 offset1:8
	ds_read2st64_b64 v[168:171], v126 offset1:8
	ds_read_b64 v[184:185], v133 offset:40960
	s_waitcnt lgkmcnt(2)
	v_mov_b32_e32 v172, v164
	v_mfma_f32_16x16x16_bf16 a[16:19], v[174:175], v[148:149], a[16:19]
	v_mov_b32_e32 v173, v165
	v_mfma_f32_16x16x16_bf16 a[20:23], v[174:175], v[152:153], a[20:23]
	v_mfma_f32_16x16x16_bf16 a[24:27], v[174:175], v[156:157], a[24:27]
	;; [unrolled: 1-line block ×3, first 2 shown]
	v_add_co_u32_e32 v160, vcc, s62, v186
	s_waitcnt lgkmcnt(1)
	v_mov_b32_e32 v174, v168
	s_waitcnt lgkmcnt(0)
	v_mfma_f32_16x16x16_bf16 a[16:19], v[184:185], v[150:151], a[16:19]
	ds_read2st64_b64 v[148:151], v125 offset0:16 offset1:24
	v_addc_co_u32_e32 v161, vcc, 0, v187, vcc
	v_mfma_f32_16x16x16_bf16 a[20:23], v[184:185], v[154:155], a[20:23]
	ds_read2st64_b64 v[152:155], v126 offset0:16 offset1:24
	v_mov_b32_e32 v175, v169
	v_mov_b32_e32 v168, v166
	v_mfma_f32_16x16x16_bf16 a[32:35], v[184:185], v[158:159], a[24:27]
	v_mov_b32_e32 v169, v167
	s_waitcnt lgkmcnt(0)
	v_mov_b32_e32 v158, v152
	v_mov_b32_e32 v159, v153
	v_mfma_f32_16x16x16_bf16 a[36:39], v[184:185], v[162:163], a[28:31]
	v_mov_b32_e32 v152, v150
	v_mov_b32_e32 v153, v151
	v_mov_b32_e32 v156, v148
	v_mfma_f32_16x16x16_bf16 a[24:27], v[182:183], v[42:43], a[16:19]
	v_add_co_u32_e32 v42, vcc, s63, v186
	v_mov_b32_e32 v157, v149
	v_mfma_f32_16x16x16_bf16 a[28:31], v[182:183], v[176:177], a[20:23]
	v_addc_co_u32_e32 v43, vcc, 0, v187, vcc
	global_store_dwordx4 v[42:43], v[152:155], off
	v_mfma_f32_16x16x16_bf16 a[16:19], v[182:183], v[178:179], a[32:35]
	s_waitcnt vmcnt(2)
	v_mov_b32_e32 v44, v37
	v_mov_b32_e32 v43, v36
	;; [unrolled: 1-line block ×3, first 2 shown]
	v_mfma_f32_16x16x16_bf16 a[20:23], v[182:183], v[180:181], a[36:39]
	s_and_b64 vcc, exec, s[0:1]
	global_store_dwordx4 v[186:187], v[172:175], off
	global_store_dwordx4 v[160:161], v[168:171], off offset:-4096
	global_store_dwordx4 v[160:161], v[156:159], off
	s_cbranch_vccnz .LBB160_16
; %bb.15:                               ;   in Loop: Header=BB160_6 Depth=1
	v_lshrrev_b32_e32 v35, 3, v146
	v_and_b32_e32 v35, 6, v35
	v_xor_b32_e32 v36, v35, v147
	v_lshlrev_b32_e32 v36, 2, v36
	v_and_b32_e32 v37, 8, v146
	v_xor_b32_e32 v146, 0x440, v36
	v_cmp_eq_u32_e32 vcc, 0, v37
	v_perm_b32 v37, v22, v18, s59
	s_nop 0
	v_cndmask_b32_e32 v36, v146, v36, vcc
	v_lshl_or_b32 v35, v35, 10, v36
	v_perm_b32 v36, v30, v26, s59
	s_barrier
	ds_write2st64_b32 v35, v36, v37 offset0:128 offset1:160
	v_xor_b32_e32 v36, 8, v35
	v_perm_b32 v26, v30, v26, s60
	v_perm_b32 v18, v22, v18, s60
	v_add_u32_e32 v22, 0x80, v36
	ds_write2st64_b32 v22, v26, v18 offset0:128 offset1:160
	v_xor_b32_e32 v18, 16, v35
	v_perm_b32 v22, v31, v27, s59
	v_perm_b32 v26, v23, v19, s59
	ds_write2st64_b32 v18, v22, v26 offset0:129 offset1:161
	v_xor_b32_e32 v18, 24, v35
	v_perm_b32 v22, v31, v27, s60
	v_perm_b32 v19, v23, v19, s60
	v_add_u32_e32 v18, 0x80, v18
	ds_write2st64_b32 v18, v22, v19 offset0:129 offset1:161
	v_xor_b32_e32 v18, 32, v35
	v_perm_b32 v19, v32, v28, s59
	v_perm_b32 v22, v24, v20, s59
	;; [unrolled: 9-line block ×3, first 2 shown]
	ds_write2st64_b32 v18, v19, v20 offset0:131 offset1:163
	v_xor_b32_e32 v18, 56, v35
	v_perm_b32 v19, v33, v29, s60
	v_perm_b32 v20, v25, v21, s60
	v_add_u32_e32 v18, 0x80, v18
	ds_write2st64_b32 v18, v19, v20 offset0:131 offset1:163
	ds_write_b64 v145, v[14:15] offset:49152
	v_xor_b32_e32 v14, 8, v145
	ds_write_b64 v14, v[16:17] offset:49152
	ds_write_b64 v145, v[10:11] offset:57344
	;; [unrolled: 1-line block ×4, first 2 shown]
	v_xor_b32_e32 v6, 8, v144
	ds_write_b64 v6, v[8:9] offset:49152
	ds_write_b64 v144, v[2:3] offset:57344
	;; [unrolled: 1-line block ×3, first 2 shown]
.LBB160_16:                             ;   in Loop: Header=BB160_6 Depth=1
	v_exp_f32_e32 v36, s2
	s_waitcnt vmcnt(4)
	v_exp_f32_e32 v38, v38
	v_exp_f32_e32 v39, v39
	;; [unrolled: 1-line block ×4, first 2 shown]
	v_accvgpr_read_b32 v5, a3
	v_accvgpr_read_b32 v4, a2
	;; [unrolled: 1-line block ×4, first 2 shown]
	v_pk_mul_f32 v[38:39], v[36:37], v[38:39] op_sel_hi:[0,1]
	v_pk_mul_f32 v[40:41], v[36:37], v[40:41] op_sel_hi:[0,1]
	v_pk_fma_f32 v[74:75], v[74:75], v[38:39], v[2:3]
	v_pk_fma_f32 v[76:77], v[76:77], v[40:41], v[4:5]
	v_exp_f32_e32 v2, v34
	v_exp_f32_e32 v3, v42
	;; [unrolled: 1-line block ×4, first 2 shown]
	v_accvgpr_read_b32 v9, a7
	v_accvgpr_read_b32 v13, a11
	;; [unrolled: 1-line block ×28, first 2 shown]
	v_pk_mul_f32 v[2:3], v[36:37], v[2:3] op_sel_hi:[0,1]
	v_pk_mul_f32 v[4:5], v[36:37], v[4:5] op_sel_hi:[0,1]
	s_add_i32 s58, s58, 64
	v_pk_fma_f32 v[66:67], v[38:39], v[66:67], v[6:7]
	v_pk_fma_f32 v[68:69], v[40:41], v[68:69], v[8:9]
	;; [unrolled: 1-line block ×13, first 2 shown]
	s_cmp_eq_u32 s47, s64
	v_pk_fma_f32 v[50:51], v[4:5], v[50:51], v[32:33]
	s_cbranch_scc1 .LBB160_18
; %bb.17:                               ;   in Loop: Header=BB160_6 Depth=1
	s_mov_b32 s65, s64
	s_branch .LBB160_6
.LBB160_18:
	s_lshl_b32 s40, s47, 6
	s_sub_i32 s41, s12, s40
	s_cmp_gt_i32 s41, 0
	s_cbranch_scc0 .LBB160_99
; %bb.19:
	s_ashr_i32 s35, s48, 31
	s_ashr_i32 s2, s40, 31
	s_cmpk_lg_i32 s15, 0x80
	s_cselect_b64 s[26:27], -1, 0
	s_and_b64 vcc, exec, s[26:27]
	s_cbranch_vccz .LBB160_21
; %bb.20:
	s_mul_i32 s1, s48, s12
	s_mul_hi_i32 s0, s48, s12
	s_add_u32 s1, s1, s40
	s_addc_u32 s0, s0, s2
	s_mul_i32 s3, s1, s49
	s_mul_hi_u32 s20, s1, s14
	s_add_i32 s3, s20, s3
	s_mul_i32 s0, s0, s14
	s_add_i32 s3, s3, s0
	s_mul_i32 s1, s1, s14
	s_ashr_i32 s0, s52, 31
	s_add_u32 s38, s1, s52
	s_addc_u32 s39, s3, s0
	s_cbranch_execz .LBB160_22
	s_branch .LBB160_23
.LBB160_21:
                                        ; implicit-def: $sgpr38_sgpr39
.LBB160_22:
	s_mul_hi_i32 s0, s48, s14
	s_mul_i32 s48, s48, s14
	s_ashr_i32 s1, s52, 31
	s_add_u32 s3, s48, s52
	s_addc_u32 s0, s0, s1
	s_mul_i32 s1, s3, s46
	s_mul_hi_u32 s14, s3, s12
	s_add_i32 s1, s14, s1
	s_mul_i32 s0, s0, s12
	s_add_i32 s1, s1, s0
	s_mul_i32 s3, s3, s12
	s_add_u32 s38, s3, s40
	s_addc_u32 s39, s1, s2
.LBB160_23:
	s_add_i32 s3, s50, s47
	s_ashr_i32 s14, s33, 31
	s_add_u32 s0, s45, s33
	s_addc_u32 s1, s51, s14
	s_mul_i32 s20, s0, s46
	s_mul_hi_u32 s21, s0, s12
	s_add_i32 s20, s21, s20
	s_mul_i32 s1, s1, s12
	s_add_i32 s20, s20, s1
	s_mul_i32 s0, s0, s12
	s_add_u32 s0, s0, s40
	v_lshlrev_b32_e32 v6, 6, v89
	v_lshlrev_b32_e32 v24, 2, v45
	s_addc_u32 s1, s20, s2
	s_mov_b32 s2, 0x7060302
	v_or_b32_e32 v9, v6, v24
	v_xor_b32_e32 v7, v89, v24
	v_perm_b32 v3, v77, v76, s2
	v_perm_b32 v2, v75, v74, s2
	;; [unrolled: 1-line block ×4, first 2 shown]
	v_lshlrev_b32_e32 v9, 1, v9
	v_xor_b32_e32 v8, v90, v24
	ds_write2st64_b64 v9, v[2:3], v[4:5] offset0:32 offset1:48
	v_lshlrev_b32_e32 v7, 1, v7
	v_lshlrev_b32_e32 v9, 8, v45
	v_or_b32_e32 v10, v7, v9
	v_lshlrev_b32_e32 v8, 1, v8
	ds_write_b64 v10, v[2:3]
	v_or_b32_e32 v2, v8, v9
	v_or_b32_e32 v9, 16, v45
	v_lshlrev_b32_e32 v23, 2, v9
	v_or_b32_e32 v10, v6, v23
	ds_write_b64 v2, v[4:5]
	v_perm_b32 v3, v69, v68, s2
	v_perm_b32 v2, v67, v66, s2
	;; [unrolled: 1-line block ×4, first 2 shown]
	v_lshlrev_b32_e32 v10, 1, v10
	v_lshlrev_b32_e32 v9, 8, v9
	ds_write2st64_b64 v10, v[2:3], v[4:5] offset0:32 offset1:48
	v_or_b32_e32 v10, v7, v9
	ds_write_b64 v10, v[2:3]
	v_or_b32_e32 v2, v8, v9
	v_or_b32_e32 v9, 32, v45
	v_lshlrev_b32_e32 v22, 2, v9
	v_or_b32_e32 v10, v6, v22
	s_lshl_b64 s[24:25], s[0:1], 8
	ds_write_b64 v2, v[4:5]
	v_perm_b32 v3, v61, v60, s2
	v_perm_b32 v2, v59, v58, s2
	;; [unrolled: 1-line block ×4, first 2 shown]
	v_lshlrev_b32_e32 v10, 1, v10
	v_lshlrev_b32_e32 v9, 8, v9
	s_add_u32 s0, s6, s24
	ds_write2st64_b64 v10, v[2:3], v[4:5] offset0:32 offset1:48
	v_or_b32_e32 v10, v7, v9
	s_addc_u32 s1, s7, s25
	ds_write_b64 v10, v[2:3]
	v_or_b32_e32 v2, v8, v9
	v_or_b32_e32 v9, 48, v45
	s_mul_hi_i32 s6, s3, s13
	s_mul_i32 s3, s3, s13
	ds_write_b64 v2, v[4:5]
	v_perm_b32 v3, v47, v46, s2
	v_perm_b32 v2, v53, v52, s2
	;; [unrolled: 1-line block ×4, first 2 shown]
	v_lshlrev_b32_e32 v19, 2, v9
	s_add_u32 s2, s3, s33
	v_or_b32_e32 v6, v6, v19
	s_addc_u32 s3, s6, s14
	v_lshlrev_b32_e32 v6, 1, v6
	s_ashr_i32 s31, s30, 31
	s_lshl_b64 s[2:3], s[2:3], 15
	ds_write2st64_b64 v6, v[2:3], v[4:5] offset0:32 offset1:48
	v_lshlrev_b32_e32 v6, 8, v9
	s_add_u32 s6, s36, s2
	v_or_b32_e32 v7, v7, v6
	s_addc_u32 s7, s37, s3
	s_lshl_b64 s[2:3], s[30:31], 8
	ds_write_b64 v7, v[2:3]
	v_or_b32_e32 v2, v8, v6
	s_add_u32 s2, s6, s2
	v_lshlrev_b32_e32 v3, 1, v45
	ds_write_b64 v2, v[4:5]
	v_lshrrev_b32_e32 v2, 4, v0
	s_addc_u32 s3, s7, s3
	v_or_b32_e32 v4, 1, v3
	v_lshlrev_b32_e32 v10, 4, v45
	v_mov_b32_e32 v11, 0
	v_xor_b32_e32 v3, v2, v3
	v_xor_b32_e32 v6, v4, v2
	v_lshl_add_u64 v[12:13], s[2:3], 0, v[10:11]
	v_lshlrev_b32_e32 v10, 8, v2
	v_lshl_or_b32 v16, v3, 3, v10
	v_lshl_or_b32 v17, v6, 3, v10
	s_waitcnt lgkmcnt(0)
	s_barrier
	ds_read2st64_b64 v[2:5], v16 offset1:8
	ds_read2st64_b64 v[6:9], v17 offset1:8
	v_lshl_add_u64 v[14:15], v[12:13], 0, v[10:11]
	s_movk_i32 s2, 0x2000
	s_cmp_lg_u32 s41, 64
	s_waitcnt lgkmcnt(1)
	v_mov_b32_e32 v10, v2
	v_mov_b32_e32 v11, v3
	s_waitcnt lgkmcnt(0)
	v_mov_b32_e32 v12, v6
	v_mov_b32_e32 v13, v7
	global_store_dwordx4 v[14:15], v[10:13], off
	v_mov_b32_e32 v6, v4
	v_mov_b32_e32 v7, v5
	ds_read2st64_b64 v[2:5], v16 offset0:16 offset1:24
	ds_read2st64_b64 v[10:13], v17 offset0:16 offset1:24
	v_add_co_u32_e32 v16, vcc, s2, v14
	s_cselect_b64 s[6:7], -1, 0
	s_nop 0
	v_addc_co_u32_e32 v17, vcc, 0, v15, vcc
	global_store_dwordx4 v[16:17], v[6:9], off offset:-4096
	v_lshl_or_b32 v25, v85, 3, v88
	s_mov_b32 s20, 0
	s_waitcnt lgkmcnt(1)
	v_mov_b32_e32 v6, v2
	v_add_co_u32_e32 v2, vcc, 0x3000, v14
	v_mov_b32_e32 v7, v3
	s_nop 0
	v_addc_co_u32_e32 v3, vcc, 0, v15, vcc
	s_waitcnt lgkmcnt(0)
	v_mov_b32_e32 v8, v10
	v_mov_b32_e32 v9, v11
	;; [unrolled: 1-line block ×4, first 2 shown]
	v_or_b32_e32 v20, 32, v25
	v_and_b32_e32 v18, 56, v87
	s_and_b64 vcc, exec, s[6:7]
	global_store_dwordx4 v[16:17], v[6:9], off
	global_store_dwordx4 v[2:3], v[10:13], off
	s_cbranch_vccz .LBB160_29
; %bb.24:
	s_mov_b32 s21, s20
	s_mov_b32 s22, s20
	;; [unrolled: 1-line block ×3, first 2 shown]
	v_mov_b64_e32 v[6:7], s[20:21]
	v_mov_b64_e32 v[8:9], s[22:23]
	;; [unrolled: 1-line block ×3, first 2 shown]
	v_cmp_gt_i32_e32 vcc, s41, v25
	v_mov_b64_e32 v[4:5], v[8:9]
	s_and_saveexec_b64 s[2:3], vcc
	s_cbranch_execz .LBB160_26
; %bb.25:
	v_lshlrev_b32_e32 v2, 8, v25
	v_mov_b32_e32 v3, 0
	v_lshl_add_u64 v[4:5], s[0:1], 0, v[2:3]
	v_lshlrev_b32_e32 v2, 1, v18
	v_lshl_add_u64 v[10:11], v[4:5], 0, v[2:3]
	global_load_dwordx4 v[6:9], v[10:11], off
	global_load_dwordx4 v[2:5], v[10:11], off offset:128
.LBB160_26:
	s_or_b64 exec, exec, s[2:3]
	s_mov_b32 s21, s20
	s_mov_b32 s22, s20
	;; [unrolled: 1-line block ×3, first 2 shown]
	v_mov_b64_e32 v[14:15], s[20:21]
	v_mov_b64_e32 v[16:17], s[22:23]
	v_mov_b64_e32 v[10:11], v[14:15]
	v_cmp_gt_i32_e32 vcc, s41, v20
	v_lshlrev_b32_e32 v21, 7, v20
	v_mov_b64_e32 v[12:13], v[16:17]
	s_and_saveexec_b64 s[2:3], vcc
	s_cbranch_execz .LBB160_28
; %bb.27:
	v_lshlrev_b32_e32 v10, 1, v21
	v_mov_b32_e32 v11, 0
	v_lshl_add_u64 v[12:13], s[0:1], 0, v[10:11]
	v_lshlrev_b32_e32 v10, 1, v18
	v_lshl_add_u64 v[26:27], v[12:13], 0, v[10:11]
	global_load_dwordx4 v[14:17], v[26:27], off
	global_load_dwordx4 v[10:13], v[26:27], off offset:128
.LBB160_28:
	s_or_b64 exec, exec, s[2:3]
	v_lshrrev_b32_e32 v26, 3, v18
	v_lshlrev_b32_e32 v27, 3, v25
	v_or_b32_e32 v26, v27, v26
	v_lshlrev_b32_e32 v26, 4, v26
	v_and_b32_e32 v27, 0x78, v27
	v_xor_b32_e32 v26, v26, v27
	s_branch .LBB160_31
.LBB160_29:
                                        ; implicit-def: $vgpr26
                                        ; implicit-def: $vgpr21
                                        ; implicit-def: $vgpr6_vgpr7_vgpr8_vgpr9
                                        ; implicit-def: $vgpr2_vgpr3_vgpr4_vgpr5
                                        ; implicit-def: $vgpr14_vgpr15_vgpr16_vgpr17
                                        ; implicit-def: $vgpr10_vgpr11_vgpr12_vgpr13
	s_cbranch_execz .LBB160_31
; %bb.30:
	s_waitcnt vmcnt(0)
	v_lshlrev_b32_e32 v2, 1, v18
	v_lshl_or_b32 v21, v25, 8, v2
	s_and_b32 s1, s1, 0xffff
	s_mov_b32 s3, 0x20000
	s_movk_i32 s2, 0x4000
	v_lshl_or_b32 v26, v20, 8, v2
	s_movk_i32 s13, 0x80
	buffer_load_dwordx4 v[6:9], v21, s[0:3], 0 offen
	buffer_load_dwordx4 v[2:5], v21, s[0:3], s13 offen
	;; [unrolled: 1-line block ×4, first 2 shown]
	v_lshrrev_b32_e32 v21, 3, v18
	v_lshlrev_b32_e32 v26, 3, v25
	v_or_b32_e32 v21, v26, v21
	v_lshlrev_b32_e32 v21, 4, v21
	v_and_b32_e32 v26, 0x78, v26
	v_xor_b32_e32 v26, v21, v26
	v_lshlrev_b32_e32 v21, 7, v20
.LBB160_31:
	s_movk_i32 s0, 0x1000
	v_and_or_b32 v20, v21, s0, v26
	s_waitcnt vmcnt(1)
	ds_write_b64 v26, v[6:7] offset:49152
	v_xor_b32_e32 v6, 8, v26
	ds_write_b64 v6, v[8:9] offset:49152
	s_waitcnt vmcnt(0)
	ds_write_b64 v26, v[2:3] offset:57344
	ds_write_b64 v6, v[4:5] offset:57344
	;; [unrolled: 1-line block ×3, first 2 shown]
	v_xor_b32_e32 v2, 8, v20
	ds_write_b64 v2, v[16:17] offset:49152
	ds_write_b64 v20, v[10:11] offset:57344
	;; [unrolled: 1-line block ×3, first 2 shown]
	v_or_b32_e32 v2, v1, v45
	v_lshlrev_b32_e32 v3, 11, v85
	v_lshlrev_b32_e32 v2, 3, v2
	v_and_b32_e32 v6, 0x1000, v3
	v_lshrrev_b32_e32 v3, 5, v84
	s_movk_i32 s0, 0xf8
	v_and_or_b32 v3, v2, s0, v3
	v_lshlrev_b32_e32 v7, 4, v3
	v_and_b32_e32 v8, 0x78, v2
	v_or_b32_e32 v10, 32, v7
	v_lshrrev_b32_e32 v3, 1, v84
	v_xor_b32_e32 v10, v10, v8
	v_xor_b32_e32 v2, v7, v8
	v_and_b32_e32 v9, 8, v3
	v_or_b32_e32 v10, v10, v6
	v_or_b32_e32 v2, v2, v6
	v_xor_b32_e32 v28, v10, v9
	v_or_b32_e32 v10, 64, v7
	v_xor_b32_e32 v27, v2, v9
	v_xor_b32_e32 v10, v10, v8
	s_waitcnt lgkmcnt(0)
	s_barrier
	v_or_b32_e32 v13, v10, v6
	ds_read_b64 v[10:11], v27 offset:49152
	v_lshl_or_b32 v14, v86, 8, v24
	v_lshlrev_b32_e32 v26, 1, v14
	v_add_u32_e32 v12, 0x4000, v26
	ds_read2_b64 v[2:5], v12 offset1:16
	v_or_b32_e32 v7, 0x60, v7
	v_xor_b32_e32 v7, v7, v8
	v_or_b32_e32 v6, v7, v6
	v_xor_b32_e32 v29, v13, v9
	v_xor_b32_e32 v30, v6, v9
	ds_read_b64 v[20:21], v28 offset:49152
	ds_read_b64 v[34:35], v29 offset:49152
	;; [unrolled: 1-line block ×3, first 2 shown]
	s_waitcnt lgkmcnt(3)
	v_mfma_f32_16x16x16_bf16 a[0:3], v[10:11], v[2:3], 0
	ds_read2_b64 v[6:9], v12 offset0:32 offset1:48
	s_lshl_b64 s[0:1], s[38:39], 8
	s_add_u32 s4, s4, s0
	v_mfma_f32_16x16x16_bf16 a[4:7], v[10:11], v[4:5], 0
	ds_read2st64_b64 v[2:5], v26 offset0:36 offset1:40
	s_addc_u32 s5, s5, s1
	s_add_i32 s2, s12, -1
	s_waitcnt lgkmcnt(1)
	v_mfma_f32_16x16x16_bf16 a[8:11], v[10:11], v[6:7], 0
	v_or_b32_e32 v6, 64, v14
	v_lshlrev_b32_e32 v31, 1, v6
	s_add_i32 s0, s44, s17
	s_waitcnt lgkmcnt(0)
	v_mfma_f32_16x16x16_bf16 a[0:3], v[20:21], v[2:3], a[0:3]
	v_or_b32_e32 v2, 0x80, v14
	v_lshlrev_b32_e32 v32, 1, v2
	v_or_b32_e32 v2, 0xc0, v14
	v_mfma_f32_16x16x16_bf16 a[12:15], v[10:11], v[8:9], 0
	ds_read2st64_b64 v[6:9], v31 offset0:36 offset1:40
	v_lshlrev_b32_e32 v33, 1, v2
	ds_read2st64_b64 v[10:13], v32 offset0:36 offset1:40
	ds_read2st64_b64 v[14:17], v33 offset0:36 offset1:40
	s_mul_i32 s35, s35, s16
	s_add_i32 s35, s0, s35
	s_mul_i32 s0, s33, s19
	s_mul_hi_u32 s1, s33, s18
	s_ashr_i32 s3, s2, 31
	s_mul_i32 s12, s2, s29
	s_mul_hi_u32 s13, s2, s28
	s_waitcnt lgkmcnt(2)
	v_mfma_f32_16x16x16_bf16 a[4:7], v[20:21], v[6:7], a[4:7]
	s_add_i32 s0, s1, s0
	s_mul_i32 s1, s14, s18
	s_add_i32 s12, s13, s12
	s_mul_i32 s3, s3, s28
	s_waitcnt lgkmcnt(1)
	v_mfma_f32_16x16x16_bf16 a[8:11], v[20:21], v[10:11], a[8:11]
	s_add_i32 s1, s0, s1
	s_add_i32 s3, s12, s3
	s_lshl_b64 s[12:13], s[34:35], 2
	s_waitcnt lgkmcnt(0)
	v_mfma_f32_16x16x16_bf16 a[12:15], v[20:21], v[14:15], a[12:15]
	s_mul_i32 s0, s33, s18
	s_add_u32 s10, s10, s12
	s_addc_u32 s11, s11, s13
	s_lshl_b64 s[0:1], s[0:1], 2
	v_mfma_f32_16x16x16_bf16 a[0:3], v[34:35], v[4:5], a[0:3]
	s_mul_i32 s2, s2, s28
	ds_read_b64 v[2:3], v26 offset:22528
	s_add_u32 s10, s10, s0
	v_mfma_f32_16x16x16_bf16 a[4:7], v[34:35], v[8:9], a[4:7]
	ds_read_b64 v[4:5], v31 offset:22528
	ds_read_b64 v[6:7], v32 offset:22528
	;; [unrolled: 1-line block ×3, first 2 shown]
	s_addc_u32 s11, s11, s1
	s_lshl_b64 s[0:1], s[2:3], 2
	v_mfma_f32_16x16x16_bf16 a[8:11], v[34:35], v[12:13], a[8:11]
	s_add_u32 s0, s10, s0
	s_addc_u32 s1, s11, s1
	s_load_dword s12, s[0:1], 0x0
	v_mfma_f32_16x16x16_bf16 a[12:15], v[34:35], v[16:17], a[12:15]
	s_and_b64 vcc, exec, s[26:27]
	s_waitcnt lgkmcnt(0)
	v_mfma_f32_16x16x16_bf16 a[0:3], v[36:37], v[2:3], a[0:3]
	v_mfma_f32_16x16x16_bf16 a[4:7], v[36:37], v[4:5], a[4:7]
	;; [unrolled: 1-line block ×4, first 2 shown]
	s_cbranch_vccz .LBB160_42
; %bb.32:
	v_lshlrev_b32_e32 v20, 1, v25
	s_and_b64 vcc, exec, s[6:7]
	s_cbranch_vccz .LBB160_43
; %bb.33:
	v_cmp_gt_i32_e32 vcc, s41, v20
	v_mov_b32_e32 v6, 0
	v_mov_b32_e32 v2, 0
	;; [unrolled: 1-line block ×5, first 2 shown]
	s_and_saveexec_b64 s[0:1], vcc
	s_cbranch_execz .LBB160_35
; %bb.34:
	v_mad_i64_i32 v[2:3], s[2:3], s15, v20, 0
	v_lshl_add_u64 v[2:3], v[2:3], 1, s[4:5]
	v_lshlrev_b32_e32 v4, 1, v18
	v_mov_b32_e32 v5, 0
	v_lshl_add_u64 v[2:3], v[2:3], 0, v[4:5]
	global_load_dwordx4 v[2:5], v[2:3], off
.LBB160_35:
	s_or_b64 exec, exec, s[0:1]
	v_or_b32_e32 v21, 1, v20
	v_cmp_gt_i32_e64 s[0:1], s41, v21
	v_mov_b32_e32 v7, 0
	v_mov_b32_e32 v8, 0
	;; [unrolled: 1-line block ×3, first 2 shown]
	s_and_saveexec_b64 s[2:3], s[0:1]
	s_cbranch_execz .LBB160_37
; %bb.36:
	v_mad_i64_i32 v[6:7], s[16:17], s15, v21, 0
	v_lshl_add_u64 v[6:7], v[6:7], 1, s[4:5]
	v_lshlrev_b32_e32 v8, 1, v18
	v_mov_b32_e32 v9, 0
	v_lshl_add_u64 v[6:7], v[6:7], 0, v[8:9]
	global_load_dwordx4 v[6:9], v[6:7], off
.LBB160_37:
	s_or_b64 exec, exec, s[2:3]
	v_mov_b32_e32 v17, 0
	v_mov_b32_e32 v10, 0
	;; [unrolled: 1-line block ×5, first 2 shown]
	s_and_saveexec_b64 s[2:3], vcc
	s_cbranch_execz .LBB160_39
; %bb.38:
	v_mad_i64_i32 v[10:11], s[16:17], s15, v20, 0
	v_lshl_add_u64 v[10:11], v[10:11], 1, s[4:5]
	v_lshlrev_b32_e32 v12, 1, v18
	v_mov_b32_e32 v13, 0
	v_lshl_add_u64 v[10:11], v[10:11], 0, v[12:13]
	global_load_dwordx4 v[10:13], v[10:11], off offset:128
.LBB160_39:
	s_or_b64 exec, exec, s[2:3]
	v_mov_b32_e32 v16, 0
	v_mov_b32_e32 v15, 0
	;; [unrolled: 1-line block ×3, first 2 shown]
	s_and_saveexec_b64 s[2:3], s[0:1]
	s_cbranch_execz .LBB160_41
; %bb.40:
	v_mad_i64_i32 v[14:15], s[0:1], s15, v21, 0
	v_lshl_add_u64 v[14:15], v[14:15], 1, s[4:5]
	v_lshlrev_b32_e32 v16, 1, v18
	v_mov_b32_e32 v17, 0
	v_lshl_add_u64 v[14:15], v[14:15], 0, v[16:17]
	global_load_dwordx4 v[14:17], v[14:15], off offset:128
.LBB160_41:
	s_or_b64 exec, exec, s[2:3]
	s_branch .LBB160_45
.LBB160_42:
                                        ; implicit-def: $vgpr5
                                        ; implicit-def: $vgpr9
                                        ; implicit-def: $vgpr13
                                        ; implicit-def: $vgpr17
	v_lshrrev_b32_e32 v34, 2, v84
	s_branch .LBB160_46
.LBB160_43:
                                        ; implicit-def: $vgpr5
                                        ; implicit-def: $vgpr9
                                        ; implicit-def: $vgpr13
                                        ; implicit-def: $vgpr17
	s_cbranch_execz .LBB160_45
; %bb.44:
	s_waitcnt vmcnt(0)
	v_mad_u64_u32 v[2:3], s[0:1], v20, s15, v[18:19]
	v_lshlrev_b32_e32 v20, 1, v2
	s_lshl_b32 s2, s15, 7
	s_and_b32 s1, s5, 0xffff
	s_mov_b32 s3, 0x20000
	s_mov_b32 s0, s4
	v_add_lshl_u32 v21, v2, s15, 1
	s_movk_i32 s13, 0x80
	buffer_load_dwordx4 v[2:5], v20, s[0:3], 0 offen
	buffer_load_dwordx4 v[10:13], v20, s[0:3], s13 offen
	;; [unrolled: 1-line block ×4, first 2 shown]
.LBB160_45:
	v_lshrrev_b32_e32 v34, 2, v84
	s_cbranch_execnz .LBB160_58
.LBB160_46:
	s_and_b64 vcc, exec, s[6:7]
	s_cbranch_vccz .LBB160_56
; %bb.47:
	s_waitcnt vmcnt(0)
	v_lshlrev_b32_e32 v7, 1, v25
	v_cmp_gt_i32_e32 vcc, s41, v7
	v_mov_b32_e32 v6, 0
	v_lshlrev_b32_e32 v14, 9, v25
	v_mov_b32_e32 v2, 0
	v_mov_b32_e32 v3, 0
	;; [unrolled: 1-line block ×4, first 2 shown]
	s_and_saveexec_b64 s[0:1], vcc
	s_cbranch_execz .LBB160_49
; %bb.48:
	v_mov_b32_e32 v15, 0
	v_lshl_add_u64 v[2:3], s[4:5], 0, v[14:15]
	v_lshlrev_b32_e32 v4, 1, v18
	v_mov_b32_e32 v5, v15
	v_lshl_add_u64 v[2:3], v[2:3], 0, v[4:5]
	global_load_dwordx4 v[2:5], v[2:3], off
.LBB160_49:
	s_or_b64 exec, exec, s[0:1]
	v_or_b32_e32 v7, 1, v7
	v_cmp_gt_i32_e64 s[0:1], s41, v7
	v_lshlrev_b32_e32 v20, 8, v7
	v_mov_b32_e32 v7, 0
	v_mov_b32_e32 v8, 0
	;; [unrolled: 1-line block ×3, first 2 shown]
	s_and_saveexec_b64 s[2:3], s[0:1]
	s_cbranch_execz .LBB160_51
; %bb.50:
	v_mov_b32_e32 v21, 0
	v_lshl_add_u64 v[6:7], s[4:5], 0, v[20:21]
	v_lshlrev_b32_e32 v8, 1, v18
	v_mov_b32_e32 v9, v21
	v_lshl_add_u64 v[6:7], v[6:7], 0, v[8:9]
	global_load_dwordx4 v[6:9], v[6:7], off
.LBB160_51:
	s_or_b64 exec, exec, s[2:3]
	v_mov_b32_e32 v17, 0
	v_mov_b32_e32 v10, 0
	;; [unrolled: 1-line block ×5, first 2 shown]
	s_and_saveexec_b64 s[2:3], vcc
	s_cbranch_execz .LBB160_53
; %bb.52:
	v_mov_b32_e32 v15, 0
	v_lshl_add_u64 v[10:11], s[4:5], 0, v[14:15]
	v_lshlrev_b32_e32 v14, 1, v18
	v_lshl_add_u64 v[10:11], v[10:11], 0, v[14:15]
	global_load_dwordx4 v[10:13], v[10:11], off offset:128
.LBB160_53:
	s_or_b64 exec, exec, s[2:3]
	v_mov_b32_e32 v16, 0
	v_mov_b32_e32 v15, 0
	;; [unrolled: 1-line block ×3, first 2 shown]
	s_and_saveexec_b64 s[2:3], s[0:1]
	s_cbranch_execz .LBB160_55
; %bb.54:
	v_mov_b32_e32 v21, 0
	v_lshl_add_u64 v[14:15], s[4:5], 0, v[20:21]
	v_lshlrev_b32_e32 v20, 1, v18
	v_lshl_add_u64 v[14:15], v[14:15], 0, v[20:21]
	global_load_dwordx4 v[14:17], v[14:15], off offset:128
.LBB160_55:
	s_or_b64 exec, exec, s[2:3]
	s_branch .LBB160_58
.LBB160_56:
                                        ; implicit-def: $vgpr5
                                        ; implicit-def: $vgpr9
                                        ; implicit-def: $vgpr13
                                        ; implicit-def: $vgpr17
	s_cbranch_execz .LBB160_58
; %bb.57:
	s_waitcnt vmcnt(0)
	v_lshlrev_b32_e32 v2, 1, v18
	v_lshl_or_b32 v18, v25, 9, v2
	s_and_b32 s5, s5, 0xffff
	s_mov_b32 s7, 0x20000
	s_movk_i32 s6, 0x4000
	s_movk_i32 s0, 0x80
	buffer_load_dwordx4 v[2:5], v18, s[4:7], 0 offen
	buffer_load_dwordx4 v[6:9], v18, s[4:7], 0 offen offset:256
	buffer_load_dwordx4 v[10:13], v18, s[4:7], s0 offen
	buffer_load_dwordx4 v[14:17], v18, s[4:7], s0 offen offset:256
.LBB160_58:
	ds_read_b64 v[20:21], v27 offset:57344
	v_add_u32_e32 v18, 0x6000, v26
	ds_read2_b64 v[36:39], v18 offset1:16
	ds_read_b64 v[54:55], v28 offset:57344
	ds_read_b64 v[28:29], v29 offset:57344
	;; [unrolled: 1-line block ×3, first 2 shown]
	ds_read2st64_b64 v[40:43], v26 offset0:52 offset1:56
	s_mov_b32 s0, 0x1000504
	s_mov_b32 s1, 0x3020706
	s_waitcnt lgkmcnt(4)
	v_mfma_f32_16x16x16_bf16 a[0:3], v[20:21], v[36:37], a[0:3]
	v_mfma_f32_16x16x16_bf16 a[4:7], v[20:21], v[38:39], a[4:7]
	ds_read2_b64 v[36:39], v18 offset0:32 offset1:48
	v_and_b32_e32 v18, 6, v0
	v_xor_b32_e32 v25, v25, v18
	s_waitcnt lgkmcnt(0)
	v_mfma_f32_16x16x16_bf16 a[8:11], v[20:21], v[36:37], a[8:11]
	v_lshlrev_b32_e32 v25, 2, v25
	v_and_b32_e32 v0, 1, v0
	v_xor_b32_e32 v35, 0x440, v25
	v_mfma_f32_16x16x16_bf16 a[12:15], v[20:21], v[38:39], a[12:15]
	ds_read2st64_b64 v[36:39], v31 offset0:52 offset1:56
	ds_read2st64_b64 v[46:49], v32 offset0:52 offset1:56
	;; [unrolled: 1-line block ×3, first 2 shown]
	v_cmp_eq_u32_e32 vcc, 0, v0
	ds_read_b64 v[20:21], v26 offset:30720
	ds_read_b64 v[26:27], v31 offset:30720
	;; [unrolled: 1-line block ×4, first 2 shown]
	v_mfma_f32_16x16x16_bf16 a[0:3], v[54:55], v[40:41], a[0:3]
	v_cndmask_b32_e32 v0, v35, v25, vcc
	v_lshl_or_b32 v0, v18, 10, v0
	s_waitcnt vmcnt(0)
	v_perm_b32 v18, v2, v6, s0
	s_waitcnt lgkmcnt(6)
	v_mfma_f32_16x16x16_bf16 a[4:7], v[54:55], v[36:37], a[4:7]
	v_perm_b32 v25, v10, v14, s0
	ds_write2st64_b32 v0, v18, v25 offset0:128 offset1:160
	v_xor_b32_e32 v18, 8, v0
	s_waitcnt lgkmcnt(6)
	v_mfma_f32_16x16x16_bf16 a[8:11], v[54:55], v[46:47], a[8:11]
	v_perm_b32 v2, v2, v6, s1
	v_perm_b32 v6, v10, v14, s1
	v_add_u32_e32 v10, 0x80, v18
	s_waitcnt lgkmcnt(5)
	v_mfma_f32_16x16x16_bf16 a[12:15], v[54:55], v[50:51], a[12:15]
	ds_write2st64_b32 v10, v2, v6 offset0:128 offset1:160
	v_xor_b32_e32 v2, 16, v0
	v_perm_b32 v6, v3, v7, s0
	v_mfma_f32_16x16x16_bf16 a[0:3], v[28:29], v[42:43], a[0:3]
	v_perm_b32 v10, v11, v15, s0
	ds_write2st64_b32 v2, v6, v10 offset0:129 offset1:161
	v_xor_b32_e32 v2, 24, v0
	v_mfma_f32_16x16x16_bf16 a[4:7], v[28:29], v[38:39], a[4:7]
	v_perm_b32 v3, v3, v7, s1
	v_perm_b32 v6, v11, v15, s1
	v_add_u32_e32 v2, 0x80, v2
	v_mfma_f32_16x16x16_bf16 a[16:19], v[28:29], v[48:49], a[8:11]
	ds_write2st64_b32 v2, v3, v6 offset0:129 offset1:161
	v_xor_b32_e32 v2, 32, v0
	v_perm_b32 v3, v4, v8, s0
	v_mfma_f32_16x16x16_bf16 a[20:23], v[28:29], v[52:53], a[12:15]
	v_perm_b32 v6, v12, v16, s0
	ds_write2st64_b32 v2, v3, v6 offset0:130 offset1:162
	v_xor_b32_e32 v2, 40, v0
	s_waitcnt lgkmcnt(8)
	v_mfma_f32_16x16x16_bf16 a[12:15], v[56:57], v[20:21], a[0:3]
	v_perm_b32 v3, v4, v8, s1
	v_perm_b32 v4, v12, v16, s1
	v_add_u32_e32 v2, 0x80, v2
	s_waitcnt lgkmcnt(7)
	v_mfma_f32_16x16x16_bf16 a[8:11], v[56:57], v[26:27], a[4:7]
	ds_write2st64_b32 v2, v3, v4 offset0:130 offset1:162
	v_xor_b32_e32 v2, 48, v0
	v_perm_b32 v3, v5, v9, s0
	s_waitcnt lgkmcnt(7)
	v_mfma_f32_16x16x16_bf16 a[4:7], v[56:57], v[30:31], a[16:19]
	v_perm_b32 v4, v13, v17, s0
	v_xor_b32_e32 v0, 56, v0
	v_and_or_b32 v18, v34, 12, v1
	s_waitcnt lgkmcnt(6)
	v_mfma_f32_16x16x16_bf16 a[0:3], v[56:57], v[32:33], a[20:23]
	ds_write2st64_b32 v2, v3, v4 offset0:131 offset1:163
	v_perm_b32 v2, v5, v9, s1
	v_perm_b32 v3, v13, v17, s1
	v_add_u32_e32 v0, 0x80, v0
	v_cmp_gt_i32_e32 vcc, s41, v18
	v_mov_b32_e32 v14, 0
	v_mov_b32_e32 v16, 0
	ds_write2st64_b32 v0, v2, v3 offset0:131 offset1:163
	s_and_saveexec_b64 s[0:1], vcc
	s_cbranch_execz .LBB160_60
; %bb.59:
	v_add_u32_e32 v0, s40, v18
	v_ashrrev_i32_e32 v1, 31, v0
	v_mul_lo_u32 v2, v1, s28
	v_mul_lo_u32 v3, v0, s29
	v_mad_u64_u32 v[0:1], s[2:3], v0, s28, 0
	v_add3_u32 v1, v1, v3, v2
	v_lshl_add_u64 v[0:1], v[0:1], 2, s[10:11]
	global_load_dword v0, v[0:1], off
	s_waitcnt vmcnt(0)
	v_sub_f32_e32 v0, s12, v0
	v_exp_f32_e32 v16, v0
.LBB160_60:
	s_or_b64 exec, exec, s[0:1]
	v_or_b32_e32 v8, 1, v18
	v_cmp_gt_i32_e64 s[0:1], s41, v8
	s_and_saveexec_b64 s[2:3], s[0:1]
	s_cbranch_execz .LBB160_62
; %bb.61:
	v_add_u32_e32 v0, s40, v8
	v_ashrrev_i32_e32 v1, 31, v0
	v_mul_lo_u32 v2, v1, s28
	v_mul_lo_u32 v3, v0, s29
	v_mad_u64_u32 v[0:1], s[4:5], v0, s28, 0
	v_add3_u32 v1, v1, v3, v2
	v_lshl_add_u64 v[0:1], v[0:1], 2, s[10:11]
	global_load_dword v0, v[0:1], off
	s_waitcnt vmcnt(0)
	v_sub_f32_e32 v0, s12, v0
	v_exp_f32_e32 v14, v0
.LBB160_62:
	s_or_b64 exec, exec, s[2:3]
	v_or_b32_e32 v10, 2, v18
	v_cmp_gt_i32_e64 s[2:3], s41, v10
	v_mov_b32_e32 v15, 0
	v_mov_b32_e32 v17, 0
	s_and_saveexec_b64 s[4:5], s[2:3]
	s_cbranch_execz .LBB160_64
; %bb.63:
	v_add_u32_e32 v0, s40, v10
	v_ashrrev_i32_e32 v1, 31, v0
	v_mul_lo_u32 v2, v1, s28
	v_mul_lo_u32 v3, v0, s29
	v_mad_u64_u32 v[0:1], s[6:7], v0, s28, 0
	v_add3_u32 v1, v1, v3, v2
	v_lshl_add_u64 v[0:1], v[0:1], 2, s[10:11]
	global_load_dword v0, v[0:1], off
	s_waitcnt vmcnt(0)
	v_sub_f32_e32 v0, s12, v0
	v_exp_f32_e32 v17, v0
.LBB160_64:
	s_or_b64 exec, exec, s[4:5]
	v_or_b32_e32 v12, 3, v18
	v_cmp_gt_i32_e64 s[4:5], s41, v12
	s_and_saveexec_b64 s[6:7], s[4:5]
	s_cbranch_execz .LBB160_66
; %bb.65:
	v_add_u32_e32 v0, s40, v12
	v_ashrrev_i32_e32 v1, 31, v0
	v_mul_lo_u32 v2, v1, s28
	v_mul_lo_u32 v3, v0, s29
	v_mad_u64_u32 v[0:1], s[14:15], v0, s28, 0
	v_add3_u32 v1, v1, v3, v2
	v_lshl_add_u64 v[0:1], v[0:1], 2, s[10:11]
	global_load_dword v0, v[0:1], off
	s_waitcnt vmcnt(0)
	v_sub_f32_e32 v0, s12, v0
	v_exp_f32_e32 v15, v0
.LBB160_66:
	s_or_b64 exec, exec, s[6:7]
	v_or_b32_e32 v4, s30, v45
	s_add_u32 s6, s8, s24
	v_accvgpr_read_b32 v0, a12
	s_addc_u32 s7, s9, s25
	v_ashrrev_i32_e32 v5, 31, v4
	v_accvgpr_read_b32 v1, a13
	v_accvgpr_read_b32 v2, a14
	;; [unrolled: 1-line block ×3, first 2 shown]
	v_lshl_add_u64 v[4:5], v[4:5], 1, s[6:7]
	v_mov_b32_e32 v9, 0
	v_lshlrev_b32_e32 v6, 8, v18
	v_mov_b32_e32 v7, 0
	s_and_saveexec_b64 s[6:7], vcc
	s_cbranch_execz .LBB160_68
; %bb.67:
	v_mov_b32_e32 v7, 0
	v_lshl_add_u64 v[20:21], v[4:5], 0, v[6:7]
	global_load_ushort v7, v[20:21], off
	s_waitcnt vmcnt(0)
	v_lshlrev_b32_e32 v7, 16, v7
	v_sub_f32_e32 v0, v7, v0
	v_mul_f32_e32 v0, v16, v0
	v_lshrrev_b32_e32 v7, 16, v0
.LBB160_68:
	s_or_b64 exec, exec, s[6:7]
	v_lshlrev_b32_e32 v8, 8, v8
	s_and_saveexec_b64 s[6:7], s[0:1]
	s_cbranch_execz .LBB160_70
; %bb.69:
	v_mov_b32_e32 v9, 0
	v_lshl_add_u64 v[20:21], v[4:5], 0, v[8:9]
	global_load_ushort v0, v[20:21], off
	s_waitcnt vmcnt(0)
	v_lshlrev_b32_e32 v0, 16, v0
	v_sub_f32_e32 v0, v0, v1
	v_mul_f32_e32 v0, v14, v0
	v_lshrrev_b32_e32 v9, 16, v0
.LBB160_70:
	s_or_b64 exec, exec, s[6:7]
	v_mov_b32_e32 v13, 0
	v_lshlrev_b32_e32 v10, 8, v10
	v_mov_b32_e32 v11, 0
	s_and_saveexec_b64 s[6:7], s[2:3]
	s_cbranch_execz .LBB160_72
; %bb.71:
	v_mov_b32_e32 v11, 0
	v_lshl_add_u64 v[0:1], v[4:5], 0, v[10:11]
	global_load_ushort v0, v[0:1], off
	s_waitcnt vmcnt(0)
	v_lshlrev_b32_e32 v0, 16, v0
	v_sub_f32_e32 v0, v0, v2
	v_mul_f32_e32 v0, v17, v0
	v_lshrrev_b32_e32 v11, 16, v0
.LBB160_72:
	s_or_b64 exec, exec, s[6:7]
	v_lshlrev_b32_e32 v12, 8, v12
	s_and_saveexec_b64 s[6:7], s[4:5]
	s_cbranch_execz .LBB160_74
; %bb.73:
	v_mov_b32_e32 v13, 0
	v_lshl_add_u64 v[0:1], v[4:5], 0, v[12:13]
	global_load_ushort v0, v[0:1], off
	s_waitcnt vmcnt(0)
	v_lshlrev_b32_e32 v0, 16, v0
	v_sub_f32_e32 v0, v0, v3
	v_mul_f32_e32 v0, v15, v0
	v_lshrrev_b32_e32 v13, 16, v0
.LBB160_74:
	s_or_b64 exec, exec, s[6:7]
	v_lshlrev_b32_e32 v18, 6, v18
	s_mov_b32 s6, 0x5040100
	v_perm_b32 v20, v9, v7, s6
	v_or_b32_e32 v7, v18, v24
	v_accvgpr_read_b32 v0, a8
	v_perm_b32 v21, v13, v11, s6
	v_lshlrev_b32_e32 v7, 1, v7
	v_accvgpr_read_b32 v1, a9
	v_accvgpr_read_b32 v2, a10
	;; [unrolled: 1-line block ×3, first 2 shown]
	ds_write_b64 v7, v[20:21] offset:24576
	v_mov_b32_e32 v9, 0
	v_mov_b32_e32 v7, 0
	s_and_saveexec_b64 s[6:7], vcc
	s_cbranch_execz .LBB160_76
; %bb.75:
	v_mov_b32_e32 v7, 0
	v_lshl_add_u64 v[20:21], v[4:5], 0, v[6:7]
	global_load_ushort v7, v[20:21], off offset:32
	s_waitcnt vmcnt(0)
	v_lshlrev_b32_e32 v7, 16, v7
	v_sub_f32_e32 v0, v7, v0
	v_mul_f32_e32 v0, v16, v0
	v_lshrrev_b32_e32 v7, 16, v0
.LBB160_76:
	s_or_b64 exec, exec, s[6:7]
	s_and_saveexec_b64 s[6:7], s[0:1]
	s_cbranch_execz .LBB160_78
; %bb.77:
	v_mov_b32_e32 v9, 0
	v_lshl_add_u64 v[20:21], v[4:5], 0, v[8:9]
	global_load_ushort v0, v[20:21], off offset:32
	s_waitcnt vmcnt(0)
	v_lshlrev_b32_e32 v0, 16, v0
	v_sub_f32_e32 v0, v0, v1
	v_mul_f32_e32 v0, v14, v0
	v_lshrrev_b32_e32 v9, 16, v0
.LBB160_78:
	s_or_b64 exec, exec, s[6:7]
	v_mov_b32_e32 v13, 0
	v_mov_b32_e32 v11, 0
	s_and_saveexec_b64 s[6:7], s[2:3]
	s_cbranch_execz .LBB160_80
; %bb.79:
	v_mov_b32_e32 v11, 0
	v_lshl_add_u64 v[0:1], v[4:5], 0, v[10:11]
	global_load_ushort v0, v[0:1], off offset:32
	s_waitcnt vmcnt(0)
	v_lshlrev_b32_e32 v0, 16, v0
	v_sub_f32_e32 v0, v0, v2
	v_mul_f32_e32 v0, v17, v0
	v_lshrrev_b32_e32 v11, 16, v0
.LBB160_80:
	s_or_b64 exec, exec, s[6:7]
	s_and_saveexec_b64 s[6:7], s[4:5]
	s_cbranch_execz .LBB160_82
; %bb.81:
	v_mov_b32_e32 v13, 0
	v_lshl_add_u64 v[0:1], v[4:5], 0, v[12:13]
	global_load_ushort v0, v[0:1], off offset:32
	s_waitcnt vmcnt(0)
	v_lshlrev_b32_e32 v0, 16, v0
	v_sub_f32_e32 v0, v0, v3
	v_mul_f32_e32 v0, v15, v0
	v_lshrrev_b32_e32 v13, 16, v0
.LBB160_82:
	s_or_b64 exec, exec, s[6:7]
	s_mov_b32 s6, 0x5040100
	v_perm_b32 v20, v9, v7, s6
	v_or_b32_e32 v7, v18, v23
	v_accvgpr_read_b32 v0, a4
	v_perm_b32 v21, v13, v11, s6
	v_lshlrev_b32_e32 v7, 1, v7
	v_accvgpr_read_b32 v1, a5
	v_accvgpr_read_b32 v2, a6
	v_accvgpr_read_b32 v3, a7
	ds_write_b64 v7, v[20:21] offset:24576
	v_mov_b32_e32 v9, 0
	v_mov_b32_e32 v7, 0
	s_and_saveexec_b64 s[6:7], vcc
	s_cbranch_execz .LBB160_84
; %bb.83:
	v_mov_b32_e32 v7, 0
	v_lshl_add_u64 v[20:21], v[4:5], 0, v[6:7]
	global_load_ushort v7, v[20:21], off offset:64
	s_waitcnt vmcnt(0)
	v_lshlrev_b32_e32 v7, 16, v7
	v_sub_f32_e32 v0, v7, v0
	v_mul_f32_e32 v0, v16, v0
	v_lshrrev_b32_e32 v7, 16, v0
.LBB160_84:
	s_or_b64 exec, exec, s[6:7]
	s_and_saveexec_b64 s[6:7], s[0:1]
	s_cbranch_execz .LBB160_86
; %bb.85:
	v_mov_b32_e32 v9, 0
	v_lshl_add_u64 v[20:21], v[4:5], 0, v[8:9]
	global_load_ushort v0, v[20:21], off offset:64
	s_waitcnt vmcnt(0)
	v_lshlrev_b32_e32 v0, 16, v0
	v_sub_f32_e32 v0, v0, v1
	v_mul_f32_e32 v0, v14, v0
	v_lshrrev_b32_e32 v9, 16, v0
.LBB160_86:
	s_or_b64 exec, exec, s[6:7]
	v_mov_b32_e32 v13, 0
	v_mov_b32_e32 v11, 0
	s_and_saveexec_b64 s[6:7], s[2:3]
	s_cbranch_execz .LBB160_88
; %bb.87:
	v_mov_b32_e32 v11, 0
	v_lshl_add_u64 v[0:1], v[4:5], 0, v[10:11]
	global_load_ushort v0, v[0:1], off offset:64
	s_waitcnt vmcnt(0)
	v_lshlrev_b32_e32 v0, 16, v0
	v_sub_f32_e32 v0, v0, v2
	v_mul_f32_e32 v0, v17, v0
	v_lshrrev_b32_e32 v11, 16, v0
.LBB160_88:
	s_or_b64 exec, exec, s[6:7]
	s_and_saveexec_b64 s[6:7], s[4:5]
	s_cbranch_execz .LBB160_90
; %bb.89:
	v_mov_b32_e32 v13, 0
	v_lshl_add_u64 v[0:1], v[4:5], 0, v[12:13]
	global_load_ushort v0, v[0:1], off offset:64
	s_waitcnt vmcnt(0)
	v_lshlrev_b32_e32 v0, 16, v0
	v_sub_f32_e32 v0, v0, v3
	v_mul_f32_e32 v0, v15, v0
	v_lshrrev_b32_e32 v13, 16, v0
.LBB160_90:
	s_or_b64 exec, exec, s[6:7]
	s_mov_b32 s6, 0x5040100
	v_perm_b32 v20, v9, v7, s6
	v_or_b32_e32 v7, v18, v22
	v_accvgpr_read_b32 v0, a0
	v_perm_b32 v21, v13, v11, s6
	v_lshlrev_b32_e32 v7, 1, v7
	v_accvgpr_read_b32 v1, a1
	v_accvgpr_read_b32 v2, a2
	;; [unrolled: 1-line block ×3, first 2 shown]
	ds_write_b64 v7, v[20:21] offset:24576
	v_mov_b32_e32 v9, 0
	v_mov_b32_e32 v7, 0
	s_and_saveexec_b64 s[6:7], vcc
	s_cbranch_execz .LBB160_92
; %bb.91:
	v_mov_b32_e32 v7, 0
	v_lshl_add_u64 v[6:7], v[4:5], 0, v[6:7]
	global_load_ushort v6, v[6:7], off offset:96
	s_waitcnt vmcnt(0)
	v_lshlrev_b32_e32 v6, 16, v6
	v_sub_f32_e32 v0, v6, v0
	v_mul_f32_e32 v0, v16, v0
	v_lshrrev_b32_e32 v7, 16, v0
.LBB160_92:
	s_or_b64 exec, exec, s[6:7]
	s_and_saveexec_b64 s[6:7], s[0:1]
	s_cbranch_execz .LBB160_94
; %bb.93:
	v_mov_b32_e32 v9, 0
	v_lshl_add_u64 v[8:9], v[4:5], 0, v[8:9]
	global_load_ushort v0, v[8:9], off offset:96
	s_waitcnt vmcnt(0)
	v_lshlrev_b32_e32 v0, 16, v0
	v_sub_f32_e32 v0, v0, v1
	v_mul_f32_e32 v0, v14, v0
	v_lshrrev_b32_e32 v9, 16, v0
.LBB160_94:
	s_or_b64 exec, exec, s[6:7]
	v_mov_b32_e32 v0, 0
	v_mov_b32_e32 v1, 0
	s_and_saveexec_b64 s[0:1], s[2:3]
	s_cbranch_execz .LBB160_96
; %bb.95:
	v_mov_b32_e32 v11, 0
	v_lshl_add_u64 v[10:11], v[4:5], 0, v[10:11]
	global_load_ushort v1, v[10:11], off offset:96
	s_waitcnt vmcnt(0)
	v_lshlrev_b32_e32 v1, 16, v1
	v_sub_f32_e32 v1, v1, v2
	v_mul_f32_e32 v1, v17, v1
	v_lshrrev_b32_e32 v1, 16, v1
.LBB160_96:
	s_or_b64 exec, exec, s[0:1]
	s_and_saveexec_b64 s[0:1], s[4:5]
	s_cbranch_execz .LBB160_98
; %bb.97:
	v_mov_b32_e32 v13, 0
	v_lshl_add_u64 v[4:5], v[4:5], 0, v[12:13]
	global_load_ushort v0, v[4:5], off offset:96
	s_waitcnt vmcnt(0)
	v_lshlrev_b32_e32 v0, 16, v0
	v_sub_f32_e32 v0, v0, v3
	v_mul_f32_e32 v0, v15, v0
	v_lshrrev_b32_e32 v0, 16, v0
.LBB160_98:
	s_or_b64 exec, exec, s[0:1]
	s_mov_b32 s0, 0x5040100
	v_or_b32_e32 v2, v18, v19
	v_perm_b32 v1, v0, v1, s0
	v_perm_b32 v0, v9, v7, s0
	v_lshlrev_b32_e32 v2, 1, v2
	ds_write_b64 v2, v[0:1] offset:24576
	s_waitcnt lgkmcnt(0)
	s_barrier
.LBB160_99:
	s_endpgm
	.section	.rodata,"a",@progbits
	.p2align	6, 0x0
	.amdhsa_kernel _ZN12_GLOBAL__N_139chunk_gated_delta_rule_fwd_h_hip_kernelILi64ELb0ELb0ELb0ELb0ELb1ELb1ELb0ELb0EEEvPK12hip_bfloat16S3_S3_PKfS5_PKvPS1_S8_PvPKiSB_iiiiilll
		.amdhsa_group_segment_fixed_size 65536
		.amdhsa_private_segment_fixed_size 0
		.amdhsa_kernarg_size 136
		.amdhsa_user_sgpr_count 2
		.amdhsa_user_sgpr_dispatch_ptr 0
		.amdhsa_user_sgpr_queue_ptr 0
		.amdhsa_user_sgpr_kernarg_segment_ptr 1
		.amdhsa_user_sgpr_dispatch_id 0
		.amdhsa_user_sgpr_kernarg_preload_length 0
		.amdhsa_user_sgpr_kernarg_preload_offset 0
		.amdhsa_user_sgpr_private_segment_size 0
		.amdhsa_uses_dynamic_stack 0
		.amdhsa_enable_private_segment 0
		.amdhsa_system_sgpr_workgroup_id_x 1
		.amdhsa_system_sgpr_workgroup_id_y 1
		.amdhsa_system_sgpr_workgroup_id_z 0
		.amdhsa_system_sgpr_workgroup_info 0
		.amdhsa_system_vgpr_workitem_id 0
		.amdhsa_next_free_vgpr 228
		.amdhsa_next_free_sgpr 66
		.amdhsa_accum_offset 188
		.amdhsa_reserve_vcc 1
		.amdhsa_float_round_mode_32 0
		.amdhsa_float_round_mode_16_64 0
		.amdhsa_float_denorm_mode_32 3
		.amdhsa_float_denorm_mode_16_64 3
		.amdhsa_dx10_clamp 1
		.amdhsa_ieee_mode 1
		.amdhsa_fp16_overflow 0
		.amdhsa_tg_split 0
		.amdhsa_exception_fp_ieee_invalid_op 0
		.amdhsa_exception_fp_denorm_src 0
		.amdhsa_exception_fp_ieee_div_zero 0
		.amdhsa_exception_fp_ieee_overflow 0
		.amdhsa_exception_fp_ieee_underflow 0
		.amdhsa_exception_fp_ieee_inexact 0
		.amdhsa_exception_int_div_zero 0
	.end_amdhsa_kernel
	.section	.text._ZN12_GLOBAL__N_139chunk_gated_delta_rule_fwd_h_hip_kernelILi64ELb0ELb0ELb0ELb0ELb1ELb1ELb0ELb0EEEvPK12hip_bfloat16S3_S3_PKfS5_PKvPS1_S8_PvPKiSB_iiiiilll,"axG",@progbits,_ZN12_GLOBAL__N_139chunk_gated_delta_rule_fwd_h_hip_kernelILi64ELb0ELb0ELb0ELb0ELb1ELb1ELb0ELb0EEEvPK12hip_bfloat16S3_S3_PKfS5_PKvPS1_S8_PvPKiSB_iiiiilll,comdat
.Lfunc_end160:
	.size	_ZN12_GLOBAL__N_139chunk_gated_delta_rule_fwd_h_hip_kernelILi64ELb0ELb0ELb0ELb0ELb1ELb1ELb0ELb0EEEvPK12hip_bfloat16S3_S3_PKfS5_PKvPS1_S8_PvPKiSB_iiiiilll, .Lfunc_end160-_ZN12_GLOBAL__N_139chunk_gated_delta_rule_fwd_h_hip_kernelILi64ELb0ELb0ELb0ELb0ELb1ELb1ELb0ELb0EEEvPK12hip_bfloat16S3_S3_PKfS5_PKvPS1_S8_PvPKiSB_iiiiilll
                                        ; -- End function
	.section	.AMDGPU.csdata,"",@progbits
; Kernel info:
; codeLenInByte = 11020
; NumSgprs: 72
; NumVgprs: 188
; NumAgprs: 40
; TotalNumVgprs: 228
; ScratchSize: 0
; MemoryBound: 0
; FloatMode: 240
; IeeeMode: 1
; LDSByteSize: 65536 bytes/workgroup (compile time only)
; SGPRBlocks: 8
; VGPRBlocks: 28
; NumSGPRsForWavesPerEU: 72
; NumVGPRsForWavesPerEU: 228
; AccumOffset: 188
; Occupancy: 1
; WaveLimiterHint : 1
; COMPUTE_PGM_RSRC2:SCRATCH_EN: 0
; COMPUTE_PGM_RSRC2:USER_SGPR: 2
; COMPUTE_PGM_RSRC2:TRAP_HANDLER: 0
; COMPUTE_PGM_RSRC2:TGID_X_EN: 1
; COMPUTE_PGM_RSRC2:TGID_Y_EN: 1
; COMPUTE_PGM_RSRC2:TGID_Z_EN: 0
; COMPUTE_PGM_RSRC2:TIDIG_COMP_CNT: 0
; COMPUTE_PGM_RSRC3_GFX90A:ACCUM_OFFSET: 46
; COMPUTE_PGM_RSRC3_GFX90A:TG_SPLIT: 0
	.section	.text._ZN12_GLOBAL__N_139chunk_gated_delta_rule_fwd_h_hip_kernelILi64ELb1ELb1ELb1ELb1ELb1ELb0ELb1ELb0EEEvPK12hip_bfloat16S3_S3_PKfS5_PKvPS1_S8_PvPKiSB_iiiiilll,"axG",@progbits,_ZN12_GLOBAL__N_139chunk_gated_delta_rule_fwd_h_hip_kernelILi64ELb1ELb1ELb1ELb1ELb1ELb0ELb1ELb0EEEvPK12hip_bfloat16S3_S3_PKfS5_PKvPS1_S8_PvPKiSB_iiiiilll,comdat
	.globl	_ZN12_GLOBAL__N_139chunk_gated_delta_rule_fwd_h_hip_kernelILi64ELb1ELb1ELb1ELb1ELb1ELb0ELb1ELb0EEEvPK12hip_bfloat16S3_S3_PKfS5_PKvPS1_S8_PvPKiSB_iiiiilll ; -- Begin function _ZN12_GLOBAL__N_139chunk_gated_delta_rule_fwd_h_hip_kernelILi64ELb1ELb1ELb1ELb1ELb1ELb0ELb1ELb0EEEvPK12hip_bfloat16S3_S3_PKfS5_PKvPS1_S8_PvPKiSB_iiiiilll
	.p2align	8
	.type	_ZN12_GLOBAL__N_139chunk_gated_delta_rule_fwd_h_hip_kernelILi64ELb1ELb1ELb1ELb1ELb1ELb0ELb1ELb0EEEvPK12hip_bfloat16S3_S3_PKfS5_PKvPS1_S8_PvPKiSB_iiiiilll,@function
_ZN12_GLOBAL__N_139chunk_gated_delta_rule_fwd_h_hip_kernelILi64ELb1ELb1ELb1ELb1ELb1ELb0ELb1ELb0EEEvPK12hip_bfloat16S3_S3_PKfS5_PKvPS1_S8_PvPKiSB_iiiiilll: ; @_ZN12_GLOBAL__N_139chunk_gated_delta_rule_fwd_h_hip_kernelILi64ELb1ELb1ELb1ELb1ELb1ELb0ELb1ELb0EEEvPK12hip_bfloat16S3_S3_PKfS5_PKvPS1_S8_PvPKiSB_iiiiilll
; %bb.0:
	s_load_dwordx4 s[20:23], s[0:1], 0x5c
	s_load_dwordx4 s[4:7], s[0:1], 0x48
	s_abs_i32 s9, s3
	s_ashr_i32 s8, s3, 31
	v_and_b32_e32 v88, 15, v0
	s_waitcnt lgkmcnt(0)
	s_abs_i32 s10, s21
	v_cvt_f32_u32_e32 v1, s10
	s_sub_i32 s12, 0, s10
	s_ashr_i32 s11, s21, 31
	s_xor_b32 s8, s8, s11
	v_rcp_iflag_f32_e32 v1, v1
	v_bfe_u32 v87, v0, 4, 2
	v_mov_b32_e32 v67, 0
	v_lshlrev_b32_e32 v89, 3, v0
	v_mul_f32_e32 v1, 0x4f7ffffe, v1
	v_cvt_u32_f32_e32 v1, v1
	s_nop 0
	v_readfirstlane_b32 s13, v1
	s_mul_i32 s12, s12, s13
	s_mul_hi_u32 s12, s13, s12
	s_add_i32 s13, s13, s12
	s_mul_hi_u32 s12, s9, s13
	s_mul_i32 s13, s12, s10
	s_sub_i32 s9, s9, s13
	s_add_i32 s14, s12, 1
	s_sub_i32 s13, s9, s10
	s_cmp_ge_u32 s9, s10
	s_cselect_b32 s12, s14, s12
	s_cselect_b32 s9, s13, s9
	s_add_i32 s13, s12, 1
	s_cmp_ge_u32 s9, s10
	s_cselect_b32 s9, s13, s12
	s_xor_b32 s9, s9, s8
	s_sub_i32 s24, s9, s8
	s_mul_i32 s12, s24, s21
	s_ashr_i32 s25, s24, 31
	s_sub_i32 s51, s3, s12
	s_lshl_b64 s[8:9], s[24:25], 2
	s_add_u32 s4, s4, s8
	s_addc_u32 s5, s5, s9
	s_add_u32 s26, s6, s8
	s_addc_u32 s27, s7, s9
	s_abs_i32 s3, s22
	v_cvt_f32_u32_e32 v1, s3
	s_load_dwordx2 s[38:39], s[4:5], 0x0
	s_sub_i32 s5, 0, s3
	s_lshl_b32 s2, s2, 6
	v_rcp_iflag_f32_e32 v1, v1
	v_or_b32_e32 v76, s2, v88
	s_waitcnt lgkmcnt(0)
	s_sub_i32 s54, s39, s38
	s_ashr_i32 s4, s54, 31
	v_mul_f32_e32 v1, 0x4f7ffffe, v1
	v_cvt_u32_f32_e32 v1, v1
	s_lshr_b32 s4, s4, 26
	s_add_i32 s4, s54, s4
	s_ashr_i32 s53, s4, 6
	v_readfirstlane_b32 s6, v1
	s_mul_i32 s5, s5, s6
	s_mul_hi_u32 s5, s6, s5
	s_add_i32 s6, s6, s5
	s_mul_hi_u32 s5, s10, s6
	s_mul_i32 s6, s5, s3
	s_ashr_i32 s4, s22, 31
	s_sub_i32 s6, s10, s6
	s_xor_b32 s4, s11, s4
	s_add_i32 s7, s5, 1
	s_sub_i32 s8, s6, s3
	s_cmp_ge_u32 s6, s3
	s_cselect_b32 s5, s7, s5
	s_cselect_b32 s6, s8, s6
	s_add_i32 s7, s5, 1
	s_cmp_ge_u32 s6, s3
	s_cselect_b32 s3, s7, s5
	s_xor_b32 s3, s3, s4
	s_sub_i32 s3, s3, s4
	s_abs_i32 s13, s3
	v_cvt_f32_u32_e32 v1, s13
	s_sub_i32 s15, 0, s13
	s_abs_i32 s14, s51
	s_xor_b32 s3, s51, s3
	v_rcp_iflag_f32_e32 v2, v1
	s_ashr_i32 s3, s3, 31
	s_load_dwordx8 s[4:11], s[0:1], 0x28
	v_lshrrev_b32_e32 v1, 6, v0
	v_mul_f32_e32 v2, 0x4f7ffffe, v2
	v_cvt_u32_f32_e32 v2, v2
	v_lshlrev_b32_e32 v86, 4, v1
	v_lshlrev_b32_e32 v68, 7, v76
	v_lshl_or_b32 v91, v87, 2, v86
	v_readfirstlane_b32 s16, v2
	s_mul_i32 s15, s15, s16
	s_mul_hi_u32 s15, s16, s15
	s_add_i32 s16, s16, s15
	s_mul_hi_u32 s15, s14, s16
	s_mul_i32 s16, s15, s13
	s_sub_i32 s14, s14, s16
	s_add_i32 s16, s15, 1
	s_sub_i32 s17, s14, s13
	s_cmp_ge_u32 s14, s13
	s_cselect_b32 s15, s16, s15
	s_cselect_b32 s14, s17, s14
	s_add_i32 s16, s15, 1
	s_cmp_ge_u32 s14, s13
	s_cselect_b32 s13, s16, s15
	s_xor_b32 s13, s13, s3
	s_sub_i32 s55, s13, s3
	s_ashr_i32 s52, s51, 31
	s_mul_hi_i32 s3, s24, s21
	s_add_u32 s12, s12, s51
	s_addc_u32 s13, s3, s52
	s_lshl_b64 s[34:35], s[12:13], 16
	s_waitcnt lgkmcnt(0)
	s_add_u32 s4, s4, s34
	s_addc_u32 s5, s5, s35
	v_ashrrev_i32_e32 v69, 31, v68
	v_lshl_add_u64 v[2:3], v[68:69], 2, s[4:5]
	v_lshlrev_b32_e32 v66, 2, v91
	v_or_b32_e32 v70, 0x800, v68
	v_lshl_add_u64 v[10:11], v[2:3], 0, v[66:67]
	v_ashrrev_i32_e32 v71, 31, v70
	global_load_dwordx4 v[6:9], v[10:11], off
	global_load_dwordx4 v[2:5], v[10:11], off offset:256
	v_lshl_add_u64 v[10:11], v[70:71], 2, s[4:5]
	v_or_b32_e32 v72, 0x1000, v68
	v_lshl_add_u64 v[18:19], v[10:11], 0, v[66:67]
	v_ashrrev_i32_e32 v73, 31, v72
	global_load_dwordx4 v[14:17], v[18:19], off
	global_load_dwordx4 v[10:13], v[18:19], off offset:256
	v_lshl_add_u64 v[18:19], v[72:73], 2, s[4:5]
	;; [unrolled: 6-line block ×3, first 2 shown]
	v_lshl_add_u64 v[34:35], v[26:27], 0, v[66:67]
	global_load_dwordx4 v[30:33], v[34:35], off
	global_load_dwordx4 v[26:29], v[34:35], off offset:256
	s_load_dwordx8 s[12:19], s[0:1], 0x0
	s_load_dwordx2 s[36:37], s[0:1], 0x80
	s_load_dwordx4 s[28:31], s[0:1], 0x70
	s_load_dword s56, s[26:27], 0x0
	v_and_b32_e32 v67, 63, v0
	v_or_b32_e32 v92, 64, v91
	s_cmp_lt_i32 s54, 64
	s_mul_hi_i32 s57, s51, s20
	s_mul_i32 s58, s51, s20
	v_lshrrev_b32_e32 v90, 3, v67
	s_waitcnt lgkmcnt(0)
	s_mul_i32 s33, s24, s29
	s_mul_hi_u32 s47, s24, s28
	s_mul_i32 s46, s25, s28
	s_mul_i32 s42, s24, s28
	;; [unrolled: 1-line block ×3, first 2 shown]
	s_mul_hi_u32 s49, s51, s30
	s_mul_i32 s50, s52, s30
	s_mul_i32 s40, s51, s30
	s_cbranch_scc1 .LBB161_18
; %bb.1:
	s_ashr_i32 s1, s38, 31
	s_add_u32 s0, s58, s38
	s_addc_u32 s1, s57, s1
	s_lshl_b64 s[0:1], s[0:1], 8
	v_and_b32_e32 v94, 56, v89
	s_add_u32 s24, s14, s0
	v_lshl_or_b32 v93, v1, 3, v90
	v_lshlrev_b32_e32 v34, 1, v94
	s_addc_u32 s0, s15, s1
	v_lshl_or_b32 v95, v93, 8, v34
	s_and_b32 s25, s0, 0xffff
	s_mov_b32 s27, 0x20000
	s_movk_i32 s26, 0x4000
	s_movk_i32 s0, 0x80
	v_or_b32_e32 v96, 0x2000, v95
	buffer_load_dwordx4 v[36:39], v95, s[24:27], 0 offen
	buffer_load_dwordx4 v[40:43], v95, s[24:27], s0 offen
	;; [unrolled: 1-line block ×4, first 2 shown]
	v_lshlrev_b32_e32 v35, 3, v93
	v_and_or_b32 v53, v0, 7, v35
	v_and_b32_e32 v35, 0x78, v35
	v_lshlrev_b32_e32 v53, 4, v53
	v_xor_b32_e32 v97, v53, v35
	v_mul_lo_u32 v52, v93, s23
	v_or_b32_e32 v98, 0x1000, v97
	v_xor_b32_e32 v35, 8, v97
	s_cmpk_eq_i32 s23, 0x80
	s_mov_b32 s59, s38
	v_xor_b32_e32 v53, 8, v98
	s_cselect_b64 s[0:1], -1, 0
	s_cmpk_lg_i32 s23, 0x80
	s_waitcnt vmcnt(3)
	ds_write_b64 v97, v[36:37] offset:49152
	ds_write_b64 v35, v[38:39] offset:49152
	s_waitcnt vmcnt(2)
	ds_write_b64 v97, v[40:41] offset:57344
	ds_write_b64 v35, v[42:43] offset:57344
	;; [unrolled: 3-line block ×4, first 2 shown]
	v_lshl_add_u32 v35, v52, 1, v94
	s_cbranch_scc0 .LBB161_3
; %bb.2:
	v_lshlrev_b32_e32 v37, 1, v35
	v_add_lshl_u32 v36, v35, s23, 1
	s_lshl_b32 s26, s23, 7
	v_lshl_or_b32 v34, v93, 9, v34
	s_cbranch_execz .LBB161_4
	s_branch .LBB161_5
.LBB161_3:
                                        ; implicit-def: $vgpr36
                                        ; implicit-def: $vgpr37
                                        ; implicit-def: $sgpr26
	v_lshl_or_b32 v34, v93, 9, v34
.LBB161_4:
	v_or_b32_e32 v36, 0x100, v34
	s_movk_i32 s26, 0x4000
	v_mov_b32_e32 v37, v34
.LBB161_5:
	s_mul_i32 s4, s38, s22
	s_ashr_i32 s60, s55, 31
	s_mul_hi_i32 s3, s38, s22
	s_add_u32 s4, s4, s55
	s_addc_u32 s5, s3, s60
	s_lshl_b64 s[4:5], s[4:5], 8
	s_add_u32 s24, s12, s4
	s_addc_u32 s3, s13, s5
	s_and_b32 s25, s3, 0xffff
	s_movk_i32 s61, 0x80
	buffer_load_dwordx4 v[38:41], v37, s[24:27], 0 offen
	buffer_load_dwordx4 v[42:45], v37, s[24:27], s61 offen
	;; [unrolled: 1-line block ×4, first 2 shown]
	v_and_b32_e32 v37, 6, v0
	v_lshlrev_b32_e32 v36, 7, v91
	v_xor_b32_e32 v59, v93, v37
	v_and_b32_e32 v54, 1, v0
	v_lshl_or_b32 v62, v88, 3, v36
	v_lshlrev_b32_e32 v59, 2, v59
	v_lshlrev_b32_e32 v55, 2, v88
	v_or_b32_e32 v99, 0x4000, v62
	v_or_b32_e32 v100, 0x6000, v62
	v_xor_b32_e32 v62, 0x440, v59
	v_cmp_eq_u32_e32 vcc, 0, v54
	v_or_b32_e32 v57, 16, v88
	v_or_b32_e32 v58, 32, v88
	v_xor_b32_e32 v60, v91, v55
	v_xor_b32_e32 v61, v92, v55
	v_cndmask_b32_e32 v54, v62, v59, vcc
	s_mov_b32 s62, 0x1000504
	v_lshl_or_b32 v63, v57, 3, v36
	v_lshlrev_b32_e32 v57, 8, v57
	v_lshl_or_b32 v64, v58, 3, v36
	v_lshlrev_b32_e32 v60, 1, v60
	v_lshlrev_b32_e32 v61, 1, v61
	v_lshl_or_b32 v37, v37, 10, v54
	s_add_i32 s3, s47, s33
	s_mov_b32 s63, 0x3020706
	v_lshlrev_b32_e32 v56, 8, v88
	v_or_b32_e32 v103, 0x4000, v64
	v_or_b32_e32 v104, 0x6000, v64
	;; [unrolled: 1-line block ×4, first 2 shown]
	v_xor_b32_e32 v54, 8, v37
	v_xor_b32_e32 v57, 24, v37
	;; [unrolled: 1-line block ×4, first 2 shown]
	s_add_i32 s43, s3, s46
	s_add_i32 s3, s49, s48
	v_or_b32_e32 v101, 0x4000, v63
	v_or_b32_e32 v102, 0x6000, v63
	v_or_b32_e32 v105, v56, v60
	v_or_b32_e32 v106, v56, v61
	v_xor_b32_e32 v56, 16, v37
	v_xor_b32_e32 v59, 32, v37
	v_xor_b32_e32 v63, 48, v37
	v_add_u32_e32 v54, 0x80, v54
	v_add_u32_e32 v57, 0x80, v57
	v_add_u32_e32 v62, 0x80, v62
	v_add_u32_e32 v64, 0x80, v64
	s_add_i32 s41, s3, s50
	s_lshl_b64 s[4:5], s[42:43], 2
	s_add_u32 s3, s18, s4
	s_addc_u32 s24, s19, s5
	s_lshl_b64 s[4:5], s[40:41], 2
	s_add_u32 s4, s3, s4
	s_movk_i32 s3, 0xf8
	s_addc_u32 s5, s24, s5
	s_lshl_b32 s30, s23, 7
	s_movk_i32 s28, 0x100
	v_mov_b32_e32 v79, 0
	v_lshlrev_b32_e32 v78, 4, v88
	v_cmp_gt_u32_e32 vcc, s28, v0
	v_lshlrev_b32_e32 v58, 8, v58
	s_mov_b32 s64, 0
	s_movk_i32 s26, 0x4000
	v_or_b32_e32 v109, v58, v60
	v_or_b32_e32 v110, v58, v61
	s_movk_i32 s41, 0x2000
	s_movk_i32 s43, 0x3000
	s_waitcnt vmcnt(1)
	v_perm_b32 v65, v38, v46, s62
	s_waitcnt vmcnt(0)
	v_perm_b32 v77, v42, v50, s62
	v_perm_b32 v38, v38, v46, s63
	;; [unrolled: 1-line block ×15, first 2 shown]
	ds_write2st64_b32 v37, v65, v77 offset0:128 offset1:160
	ds_write2st64_b32 v54, v38, v42 offset0:128 offset1:160
	;; [unrolled: 1-line block ×8, first 2 shown]
	v_or_b32_e32 v37, 48, v88
	v_lshl_or_b32 v38, v37, 3, v36
	v_lshlrev_b32_e32 v37, 8, v37
	v_or_b32_e32 v113, v37, v60
	v_or_b32_e32 v114, v37, v61
	;; [unrolled: 1-line block ×3, first 2 shown]
	v_lshlrev_b32_e32 v37, 3, v37
	v_lshrrev_b32_e32 v39, 5, v67
	v_and_or_b32 v39, v37, s3, v39
	v_lshlrev_b32_e32 v39, 4, v39
	v_lshlrev_b32_e32 v40, 11, v1
	v_and_b32_e32 v37, 0x78, v37
	v_or_b32_e32 v45, 32, v39
	v_or_b32_e32 v111, 0x4000, v38
	;; [unrolled: 1-line block ×3, first 2 shown]
	v_and_b32_e32 v38, 0x1000, v40
	v_xor_b32_e32 v41, v39, v37
	v_lshrrev_b32_e32 v42, 1, v0
	v_xor_b32_e32 v45, v45, v37
	v_or_b32_e32 v41, v41, v38
	v_and_b32_e32 v43, 8, v42
	v_or_b32_e32 v45, v45, v38
	v_xor_b32_e32 v115, v41, v43
	v_lshlrev_b32_e32 v41, 8, v87
	v_xor_b32_e32 v117, v45, v43
	v_or_b32_e32 v45, 64, v39
	v_or_b32_e32 v39, 0x60, v39
	s_ashr_i32 s3, s2, 31
	v_or_b32_e32 v44, v41, v55
	v_xor_b32_e32 v45, v45, v37
	v_xor_b32_e32 v37, v39, v37
	s_lshl_b64 s[24:25], s[2:3], 8
	v_lshlrev_b32_e32 v44, 1, v44
	v_or_b32_e32 v45, v45, v38
	v_or_b32_e32 v37, v37, v38
	s_add_u32 s24, s6, s24
	v_lshlrev_b32_e32 v38, 1, v88
	v_or_b32_e32 v116, 0x4000, v44
	v_or_b32_e32 v118, 0x4080, v44
	;; [unrolled: 1-line block ×8, first 2 shown]
	v_lshrrev_b32_e32 v44, 4, v0
	s_addc_u32 s25, s7, s25
	v_or_b32_e32 v39, 1, v38
	v_mov_b32_e32 v48, 0xa000
	v_mov_b32_e32 v49, 0x8000
	v_xor_b32_e32 v121, v45, v43
	v_xor_b32_e32 v45, v44, v38
	;; [unrolled: 1-line block ×3, first 2 shown]
	v_lshl_add_u64 v[38:39], s[24:25], 0, v[78:79]
	v_lshlrev_b32_e32 v78, 8, v44
	v_cndmask_b32_e32 v48, v48, v49, vcc
	v_lshlrev_b32_e32 v49, 3, v1
	v_and_b32_e32 v42, 24, v42
	v_lshl_or_b32 v127, v45, 3, v78
	v_and_b32_e32 v45, 8, v0
	v_xor_b32_e32 v50, v49, v42
	v_or_b32_e32 v51, 0x440, v50
	v_cmp_eq_u32_e32 vcc, 0, v45
	v_and_b32_e32 v44, 7, v0
	v_lshl_or_b32 v128, v46, 3, v78
	v_cndmask_b32_e32 v45, v51, v50, vcc
	v_lshlrev_b32_e32 v46, 3, v44
	v_lshlrev_b32_e32 v44, 7, v44
	v_or_b32_e32 v45, v45, v40
	v_lshlrev_b32_e32 v47, 2, v0
	v_xad_u32 v129, v45, v46, v44
	v_or_b32_e32 v45, 32, v42
	v_and_or_b32 v41, v47, 60, v41
	v_xor_b32_e32 v45, v49, v45
	v_lshlrev_b32_e32 v41, 1, v41
	v_or_b32_e32 v47, 0x440, v45
	v_or_b32_e32 v130, 0x6000, v41
	v_cndmask_b32_e32 v45, v47, v45, vcc
	v_or_b32_e32 v132, 0x6080, v41
	v_or_b32_e32 v133, 0x6100, v41
	;; [unrolled: 1-line block ×5, first 2 shown]
	v_xor_b32_e32 v41, v49, v41
	v_xad_u32 v131, v45, v46, v44
	v_xor_b32_e32 v45, 0x440, v41
	v_cndmask_b32_e32 v41, v45, v41, vcc
	v_or_b32_e32 v41, v41, v40
	v_xad_u32 v135, v41, v46, v44
	v_or_b32_e32 v41, 0x60, v42
	v_xor_b32_e32 v41, v49, v41
	v_xor_b32_e32 v42, 0x440, v41
	v_cndmask_b32_e32 v41, v42, v41, vcc
	v_xor_b32_e32 v122, v37, v43
	v_ashrrev_i32_e32 v77, 31, v76
	v_lshlrev_b32_e32 v37, 1, v35
	v_add_lshl_u32 v35, v35, s23, 1
	v_or_b32_e32 v43, 0x100, v34
	v_or_b32_e32 v40, v41, v40
	v_xad_u32 v136, v40, v46, v44
	v_cndmask_b32_e64 v137, v37, v34, s[0:1]
	v_cndmask_b32_e64 v138, v35, v43, s[0:1]
	v_lshlrev_b64 v[34:35], 1, v[76:77]
	v_lshl_add_u64 v[80:81], s[16:17], 0, v[34:35]
	v_lshl_add_u64 v[82:83], s[8:9], 0, v[34:35]
	;; [unrolled: 1-line block ×3, first 2 shown]
	s_mov_b32 s3, 0x7060302
	v_lshlrev_b32_e32 v78, 1, v36
	v_add_u32_e32 v77, v48, v129
	v_add_u32_e32 v139, v48, v131
	v_add_u32_e32 v140, v48, v135
	v_add_u32_e32 v141, v48, v136
	s_waitcnt lgkmcnt(0)
	s_barrier
.LBB161_6:                              ; =>This Inner Loop Header: Depth=1
	s_add_i32 s65, s64, 1
	s_cmp_lt_i32 s65, s53
	s_mov_b64 s[28:29], 0
	s_cselect_b64 s[44:45], -1, 0
	s_cmp_ge_i32 s65, s53
	s_mov_b64 s[24:25], 0
	s_cbranch_scc1 .LBB161_8
; %bb.7:                                ;   in Loop: Header=BB161_6 Depth=1
	s_add_i32 s0, s59, 64
	s_ashr_i32 s1, s0, 31
	s_add_u32 s0, s58, s0
	s_addc_u32 s1, s57, s1
	s_lshl_b64 s[0:1], s[0:1], 8
	s_add_u32 s24, s14, s0
	s_addc_u32 s25, s15, s1
.LBB161_8:                              ;   in Loop: Header=BB161_6 Depth=1
	v_cndmask_b32_e64 v34, 0, 1, s[44:45]
	v_cmp_ne_u32_e64 s[0:1], 1, v34
	s_andn2_b64 vcc, exec, s[44:45]
	s_cbranch_vccnz .LBB161_10
; %bb.9:                                ;   in Loop: Header=BB161_6 Depth=1
	s_add_i32 s28, s59, 64
	s_mul_hi_i32 s29, s28, s22
	s_mul_i32 s28, s28, s22
	s_add_u32 s28, s28, s55
	s_addc_u32 s29, s29, s60
	s_lshl_b64 s[28:29], s[28:29], 8
	s_add_u32 s28, s12, s28
	s_addc_u32 s29, s13, s29
.LBB161_10:                             ;   in Loop: Header=BB161_6 Depth=1
	v_perm_b32 v35, v9, v8, s3
	v_perm_b32 v34, v7, v6, s3
	v_perm_b32 v37, v5, v4, s3
	v_perm_b32 v36, v3, v2, s3
	ds_write_b64 v99, v[34:35]
	ds_write_b64 v100, v[36:37]
	ds_write_b64 v105, v[34:35]
	ds_write_b64 v106, v[36:37]
	v_perm_b32 v35, v17, v16, s3
	v_perm_b32 v34, v15, v14, s3
	v_perm_b32 v37, v13, v12, s3
	v_perm_b32 v36, v11, v10, s3
	ds_write_b64 v101, v[34:35]
	ds_write_b64 v102, v[36:37]
	ds_write_b64 v107, v[34:35]
	ds_write_b64 v108, v[36:37]
	;; [unrolled: 8-line block ×4, first 2 shown]
	s_waitcnt lgkmcnt(0)
	s_barrier
	ds_read_b64 v[38:39], v115 offset:49152
	ds_read2_b64 v[34:37], v116 offset1:16
	ds_read_b64 v[50:51], v118 offset:6144
	ds_read_b64 v[52:53], v116 offset:6144
	s_waitcnt lgkmcnt(2)
	v_mfma_f32_16x16x16_bf16 a[0:3], v[38:39], v[34:35], 0
	ds_read_b64 v[54:55], v117 offset:49152
	ds_read2st64_b64 v[42:45], v119 offset0:4 offset1:8
	ds_read2st64_b64 v[46:49], v120 offset0:4 offset1:8
	v_mfma_f32_16x16x16_bf16 a[4:7], v[38:39], v[36:37], 0
	ds_read2_b64 v[34:37], v116 offset0:32 offset1:48
	s_add_i32 s31, s59, 63
	s_ashr_i32 s44, s31, 31
	s_waitcnt lgkmcnt(0)
	v_mfma_f32_16x16x16_bf16 a[8:11], v[38:39], v[34:35], 0
	s_mul_i32 s45, s31, s37
	s_mul_hi_u32 s66, s31, s36
	s_add_i32 s45, s66, s45
	v_mfma_f32_16x16x16_bf16 a[12:15], v[38:39], v[36:37], 0
	ds_read2st64_b64 v[34:37], v116 offset0:4 offset1:8
	ds_read2st64_b64 v[38:41], v118 offset0:4 offset1:8
	s_mul_i32 s44, s44, s36
	s_waitcnt lgkmcnt(1)
	v_mfma_f32_16x16x16_bf16 a[0:3], v[54:55], v[34:35], a[0:3]
	s_add_i32 s45, s45, s44
	s_mul_i32 s44, s31, s36
	s_lshl_b64 s[44:45], s[44:45], 2
	s_waitcnt lgkmcnt(0)
	v_mfma_f32_16x16x16_bf16 a[4:7], v[54:55], v[38:39], a[4:7]
	s_add_u32 s44, s4, s44
	s_addc_u32 s45, s5, s45
	s_and_b64 vcc, exec, s[0:1]
	v_mfma_f32_16x16x16_bf16 a[8:11], v[54:55], v[42:43], a[8:11]
	ds_read_b64 v[34:35], v121 offset:49152
	ds_read_b64 v[38:39], v122 offset:49152
	ds_read_b64 v[42:43], v120 offset:6144
	v_mov_b32_e32 v144, 0
	v_mov_b32_e32 v143, 0
	v_mfma_f32_16x16x16_bf16 a[12:15], v[54:55], v[46:47], a[12:15]
	v_mov_b32_e32 v142, 0
	v_mov_b32_e32 v46, 0
	;; [unrolled: 1-line block ×3, first 2 shown]
	s_waitcnt lgkmcnt(2)
	v_mfma_f32_16x16x16_bf16 a[0:3], v[34:35], v[36:37], a[0:3]
	v_mov_b32_e32 v36, 0
	v_mov_b32_e32 v37, 0
	v_mfma_f32_16x16x16_bf16 a[16:19], v[34:35], v[40:41], a[4:7]
	v_mov_b32_e32 v40, 0
	v_mov_b32_e32 v41, 0
	v_mfma_f32_16x16x16_bf16 a[20:23], v[34:35], v[44:45], a[8:11]
	v_mov_b32_e32 v44, 0
	v_mov_b32_e32 v45, 0
	v_mfma_f32_16x16x16_bf16 a[24:27], v[34:35], v[48:49], a[12:15]
	ds_read_b64 v[34:35], v119 offset:6144
	v_mov_b32_e32 v48, 0
	v_mov_b32_e32 v49, 0
	s_waitcnt lgkmcnt(2)
	v_mfma_f32_16x16x16_bf16 a[4:7], v[38:39], v[52:53], a[0:3]
	v_mfma_f32_16x16x16_bf16 a[8:11], v[38:39], v[50:51], a[16:19]
	s_waitcnt lgkmcnt(0)
	v_mfma_f32_16x16x16_bf16 a[12:15], v[38:39], v[34:35], a[20:23]
	v_mov_b32_e32 v34, 0
	v_mov_b32_e32 v35, 0
	v_mfma_f32_16x16x16_bf16 a[0:3], v[38:39], v[42:43], a[24:27]
	v_mov_b32_e32 v38, 0
	v_mov_b32_e32 v39, 0
	v_mov_b32_e32 v42, 0
	v_mov_b32_e32 v43, 0
	s_cbranch_vccnz .LBB161_12
; %bb.11:                               ;   in Loop: Header=BB161_6 Depth=1
	s_and_b32 s25, s25, 0xffff
	buffer_load_dwordx4 v[46:49], v95, s[24:27], 0 offen
	buffer_load_dwordx4 v[42:45], v95, s[24:27], s61 offen
	;; [unrolled: 1-line block ×4, first 2 shown]
	v_mov_b32_e32 v143, v97
	v_mov_b32_e32 v142, v98
.LBB161_12:                             ;   in Loop: Header=BB161_6 Depth=1
	ds_read_b64 v[62:63], v115 offset:57344
	ds_read2_b64 v[50:53], v123 offset1:16
	ds_read_b64 v[146:147], v117 offset:57344
	ds_read_b64 v[148:149], v121 offset:57344
	;; [unrolled: 1-line block ×3, first 2 shown]
	v_add_u32_e32 v64, s59, v91
	s_waitcnt lgkmcnt(3)
	v_mfma_f32_16x16x16_bf16 a[4:7], v[62:63], v[50:51], a[4:7]
	v_mfma_f32_16x16x16_bf16 a[8:11], v[62:63], v[52:53], a[8:11]
	ds_read2_b64 v[50:53], v123 offset0:32 offset1:48
	ds_read2st64_b64 v[54:57], v123 offset0:4 offset1:8
	ds_read2st64_b64 v[58:61], v124 offset0:4 offset1:8
	s_waitcnt lgkmcnt(2)
	v_mfma_f32_16x16x16_bf16 a[12:15], v[62:63], v[50:51], a[12:15]
	v_ashrrev_i32_e32 v50, 31, v64
	v_mul_lo_u32 v65, v50, s36
	v_mad_u64_u32 v[50:51], s[24:25], v64, s36, 0
	v_mfma_f32_16x16x16_bf16 a[0:3], v[62:63], v[52:53], a[0:3]
	v_mul_lo_u32 v52, v64, s37
	v_add3_u32 v51, v51, v52, v65
	v_add_u32_e32 v52, 1, v64
	v_ashrrev_i32_e32 v53, 31, v52
	s_waitcnt lgkmcnt(1)
	v_mfma_f32_16x16x16_bf16 a[4:7], v[146:147], v[54:55], a[4:7]
	v_mul_lo_u32 v54, v53, s36
	v_mul_lo_u32 v55, v52, s37
	v_mad_u64_u32 v[52:53], s[24:25], v52, s36, 0
	v_add3_u32 v53, v53, v55, v54
	v_add_u32_e32 v54, 2, v64
	v_ashrrev_i32_e32 v55, 31, v54
	v_mul_lo_u32 v62, v55, s36
	v_mul_lo_u32 v63, v54, s37
	v_mad_u64_u32 v[54:55], s[24:25], v54, s36, 0
	v_add3_u32 v55, v55, v63, v62
	v_add_u32_e32 v62, 3, v64
	v_ashrrev_i32_e32 v63, 31, v62
	v_mul_lo_u32 v64, v63, s36
	v_mul_lo_u32 v65, v62, s37
	v_mad_u64_u32 v[62:63], s[24:25], v62, s36, 0
	s_ashr_i32 s25, s59, 31
	s_add_u32 s24, s58, s59
	s_addc_u32 s25, s57, s25
	v_lshl_add_u64 v[50:51], v[50:51], 2, s[4:5]
	v_add3_u32 v63, v63, v65, v64
	s_lshl_b64 s[24:25], s[24:25], 8
	v_lshl_add_u64 v[52:53], v[52:53], 2, s[4:5]
	v_lshl_add_u64 v[54:55], v[54:55], 2, s[4:5]
	;; [unrolled: 1-line block ×3, first 2 shown]
	global_load_dword v145, v[50:51], off
	global_load_dword v152, v[52:53], off
	global_load_dword v153, v[54:55], off
	global_load_dword v154, v[62:63], off
	v_lshl_add_u64 v[50:51], v[80:81], 0, s[24:25]
	v_lshl_add_u64 v[54:55], v[50:51], 0, v[78:79]
	global_load_ushort v155, v[54:55], off offset:256
	global_load_ushort v156, v[54:55], off
	ds_read2st64_b64 v[50:53], v125 offset0:4 offset1:8
	global_load_ushort v157, v[54:55], off offset:768
	global_load_ushort v158, v[54:55], off offset:512
	ds_read2st64_b64 v[62:65], v126 offset0:4 offset1:8
	global_load_ushort v159, v[54:55], off offset:288
	global_load_ushort v160, v[54:55], off offset:32
	;; [unrolled: 1-line block ×4, first 2 shown]
	s_waitcnt lgkmcnt(2)
	v_mfma_f32_16x16x16_bf16 a[8:11], v[146:147], v[58:59], a[8:11]
	global_load_ushort v163, v[54:55], off offset:320
	global_load_ushort v164, v[54:55], off offset:64
	;; [unrolled: 1-line block ×4, first 2 shown]
	s_and_b64 vcc, exec, s[0:1]
	s_waitcnt lgkmcnt(1)
	v_mfma_f32_16x16x16_bf16 a[12:15], v[146:147], v[50:51], a[12:15]
	ds_read_b64 v[50:51], v123 offset:6144
	s_waitcnt lgkmcnt(1)
	v_mfma_f32_16x16x16_bf16 a[0:3], v[146:147], v[62:63], a[0:3]
	v_lshl_add_u64 v[62:63], v[82:83], 0, s[24:25]
	v_lshl_add_u64 v[62:63], v[62:63], 0, v[78:79]
	v_mfma_f32_16x16x16_bf16 a[4:7], v[148:149], v[56:57], a[4:7]
	v_mfma_f32_16x16x16_bf16 a[8:11], v[148:149], v[60:61], a[8:11]
	;; [unrolled: 1-line block ×4, first 2 shown]
	global_load_ushort v148, v[54:55], off offset:352
	global_load_ushort v149, v[54:55], off offset:96
	ds_read_b64 v[52:53], v124 offset:6144
	ds_read_b64 v[56:57], v125 offset:6144
	;; [unrolled: 1-line block ×3, first 2 shown]
	s_load_dword s44, s[44:45], 0x0
	global_load_ushort v167, v[54:55], off offset:864
	global_load_ushort v168, v[54:55], off offset:608
	s_waitcnt lgkmcnt(0)
	v_mfma_f32_16x16x16_bf16 a[4:7], v[150:151], v[50:51], a[4:7]
	s_waitcnt vmcnt(17)
	v_sub_f32_e32 v60, s44, v153
	v_mfma_f32_16x16x16_bf16 a[0:3], v[150:151], v[58:59], a[0:3]
	v_sub_f32_e32 v58, s44, v145
	v_sub_f32_e32 v59, s44, v152
	s_waitcnt vmcnt(16)
	v_sub_f32_e32 v61, s44, v154
	v_mfma_f32_16x16x16_bf16 a[8:11], v[150:151], v[52:53], a[8:11]
	v_exp_f32_e32 v58, v58
	v_exp_f32_e32 v59, v59
	;; [unrolled: 1-line block ×4, first 2 shown]
	v_accvgpr_read_b32 v147, a5
	s_waitcnt vmcnt(15)
	v_lshlrev_b32_e32 v65, 16, v155
	s_waitcnt vmcnt(14)
	v_lshlrev_b32_e32 v64, 16, v156
	v_accvgpr_read_b32 v146, a4
	v_accvgpr_read_b32 v51, a7
	;; [unrolled: 1-line block ×3, first 2 shown]
	v_pk_add_f32 v[64:65], v[64:65], v[146:147] neg_lo:[0,1] neg_hi:[0,1]
	s_waitcnt vmcnt(13)
	v_lshlrev_b32_e32 v147, 16, v157
	s_waitcnt vmcnt(12)
	v_lshlrev_b32_e32 v146, 16, v158
	v_pk_add_f32 v[50:51], v[146:147], v[50:51] neg_lo:[0,1] neg_hi:[0,1]
	global_store_short_d16_hi v[62:63], v64, off
	global_store_short_d16_hi v[62:63], v65, off offset:256
	global_store_short_d16_hi v[62:63], v50, off offset:512
	;; [unrolled: 1-line block ×3, first 2 shown]
	v_pk_mul_f32 v[64:65], v[58:59], v[64:65]
	v_pk_mul_f32 v[50:51], v[60:61], v[50:51]
	v_accvgpr_read_b32 v147, a9
	v_perm_b32 v64, v65, v64, s3
	v_perm_b32 v65, v51, v50, s3
	s_waitcnt vmcnt(15)
	v_lshlrev_b32_e32 v51, 16, v159
	s_waitcnt vmcnt(14)
	v_lshlrev_b32_e32 v50, 16, v160
	v_accvgpr_read_b32 v146, a8
	v_accvgpr_read_b32 v53, a11
	v_mfma_f32_16x16x16_bf16 a[12:15], v[150:151], v[56:57], a[12:15]
	v_accvgpr_read_b32 v52, a10
	v_pk_add_f32 v[50:51], v[50:51], v[146:147] neg_lo:[0,1] neg_hi:[0,1]
	s_waitcnt vmcnt(13)
	v_lshlrev_b32_e32 v147, 16, v161
	s_waitcnt vmcnt(12)
	v_lshlrev_b32_e32 v146, 16, v162
	v_pk_add_f32 v[52:53], v[146:147], v[52:53] neg_lo:[0,1] neg_hi:[0,1]
	global_store_short_d16_hi v[62:63], v50, off offset:32
	global_store_short_d16_hi v[62:63], v51, off offset:288
	;; [unrolled: 1-line block ×4, first 2 shown]
	v_pk_mul_f32 v[50:51], v[58:59], v[50:51]
	v_pk_mul_f32 v[52:53], v[60:61], v[52:53]
	v_accvgpr_read_b32 v55, a15
	v_perm_b32 v53, v53, v52, s3
	v_perm_b32 v52, v51, v50, s3
	ds_write2_b64 v100, v[64:65], v[52:53] offset1:16
	v_accvgpr_read_b32 v53, a13
	s_waitcnt vmcnt(15)
	v_lshlrev_b32_e32 v51, 16, v163
	s_waitcnt vmcnt(14)
	v_lshlrev_b32_e32 v50, 16, v164
	v_accvgpr_read_b32 v52, a12
	v_accvgpr_read_b32 v54, a14
	v_pk_add_f32 v[50:51], v[50:51], v[52:53] neg_lo:[0,1] neg_hi:[0,1]
	s_waitcnt vmcnt(13)
	v_lshlrev_b32_e32 v53, 16, v165
	s_waitcnt vmcnt(12)
	v_lshlrev_b32_e32 v52, 16, v166
	v_pk_add_f32 v[52:53], v[52:53], v[54:55] neg_lo:[0,1] neg_hi:[0,1]
	global_store_short_d16_hi v[62:63], v50, off offset:64
	global_store_short_d16_hi v[62:63], v51, off offset:320
	;; [unrolled: 1-line block ×4, first 2 shown]
	v_pk_mul_f32 v[50:51], v[58:59], v[50:51]
	v_pk_mul_f32 v[52:53], v[60:61], v[52:53]
	v_accvgpr_read_b32 v55, a1
	v_perm_b32 v50, v51, v50, s3
	v_perm_b32 v51, v53, v52, s3
	s_waitcnt vmcnt(15)
	v_lshlrev_b32_e32 v53, 16, v148
	s_waitcnt vmcnt(14)
	v_lshlrev_b32_e32 v52, 16, v149
	v_accvgpr_read_b32 v54, a0
	v_accvgpr_read_b32 v57, a3
	v_accvgpr_read_b32 v56, a2
	v_pk_add_f32 v[52:53], v[52:53], v[54:55] neg_lo:[0,1] neg_hi:[0,1]
	s_waitcnt vmcnt(13)
	v_lshlrev_b32_e32 v55, 16, v167
	s_waitcnt vmcnt(12)
	v_lshlrev_b32_e32 v54, 16, v168
	v_pk_add_f32 v[54:55], v[54:55], v[56:57] neg_lo:[0,1] neg_hi:[0,1]
	global_store_short_d16_hi v[62:63], v52, off offset:96
	global_store_short_d16_hi v[62:63], v53, off offset:352
	;; [unrolled: 1-line block ×4, first 2 shown]
	v_pk_mul_f32 v[52:53], v[58:59], v[52:53]
	v_pk_mul_f32 v[54:55], v[60:61], v[54:55]
	v_mov_b32_e32 v145, 0
	v_perm_b32 v55, v55, v54, s3
	v_perm_b32 v54, v53, v52, s3
	ds_write2_b64 v100, v[50:51], v[54:55] offset0:32 offset1:48
	v_mov_b32_e32 v50, 0
	v_mov_b32_e32 v51, 0
	;; [unrolled: 1-line block ×16, first 2 shown]
	s_cbranch_vccnz .LBB161_14
; %bb.13:                               ;   in Loop: Header=BB161_6 Depth=1
	s_and_b32 s29, s29, 0xffff
	s_mov_b32 s31, s27
	buffer_load_dwordx4 v[62:65], v137, s[28:31], 0 offen
	buffer_load_dwordx4 v[54:57], v137, s[28:31], s61 offen
	;; [unrolled: 1-line block ×4, first 2 shown]
	v_mov_b32_e32 v144, v94
	v_mov_b32_e32 v145, v93
.LBB161_14:                             ;   in Loop: Header=BB161_6 Depth=1
	s_waitcnt lgkmcnt(0)
	s_barrier
	ds_read_b64 v[154:155], v77
	ds_read2_b64 v[146:149], v130 offset1:16
	ds_read_b64 v[170:171], v139
	ds_read_b64 v[172:173], v140
	;; [unrolled: 1-line block ×3, first 2 shown]
	ds_read2_b64 v[150:153], v130 offset0:32 offset1:48
	s_waitcnt lgkmcnt(4)
	v_mfma_f32_16x16x16_bf16 a[0:3], v[154:155], v[146:147], 0
	ds_read2st64_b64 v[158:161], v132 offset0:4 offset1:8
	ds_read2st64_b64 v[162:165], v133 offset0:4 offset1:8
	;; [unrolled: 1-line block ×3, first 2 shown]
	v_mfma_f32_16x16x16_bf16 a[4:7], v[154:155], v[148:149], 0
	s_add_i32 s24, s56, s64
	s_mul_hi_i32 s25, s24, s21
	s_mul_i32 s24, s24, s21
	s_waitcnt lgkmcnt(3)
	v_mfma_f32_16x16x16_bf16 a[8:11], v[154:155], v[150:151], 0
	s_add_u32 s24, s24, s51
	s_addc_u32 s25, s25, s52
	s_lshl_b64 s[24:25], s[24:25], 15
	v_mfma_f32_16x16x16_bf16 a[12:15], v[154:155], v[152:153], 0
	ds_read2st64_b64 v[154:157], v130 offset0:4 offset1:8
	s_waitcnt lgkmcnt(0)
	v_mfma_f32_16x16x16_bf16 a[0:3], v[170:171], v[154:155], a[0:3]
	v_mfma_f32_16x16x16_bf16 a[4:7], v[170:171], v[158:159], a[4:7]
	;; [unrolled: 1-line block ×8, first 2 shown]
	ds_read_b64 v[170:171], v130 offset:6144
	ds_read_b64 v[172:173], v131 offset:40960
	;; [unrolled: 1-line block ×8, first 2 shown]
	s_waitcnt lgkmcnt(5)
	v_mfma_f32_16x16x16_bf16 a[16:19], v[176:177], v[146:147], 0
	v_mfma_f32_16x16x16_bf16 a[20:23], v[176:177], v[148:149], 0
	ds_read2st64_b64 v[146:149], v127 offset1:8
	v_mfma_f32_16x16x16_bf16 a[24:27], v[176:177], v[150:151], 0
	v_mfma_f32_16x16x16_bf16 a[28:31], v[176:177], v[152:153], 0
	ds_read2st64_b64 v[150:153], v128 offset1:8
	v_mfma_f32_16x16x16_bf16 a[16:19], v[172:173], v[154:155], a[16:19]
	s_waitcnt lgkmcnt(1)
	v_mov_b32_e32 v154, v146
	v_mov_b32_e32 v155, v147
	v_mfma_f32_16x16x16_bf16 a[20:23], v[172:173], v[158:159], a[20:23]
	v_lshl_add_u64 v[158:159], v[84:85], 0, s[24:25]
	v_mfma_f32_16x16x16_bf16 a[24:27], v[172:173], v[162:163], a[24:27]
	v_mfma_f32_16x16x16_bf16 a[28:31], v[172:173], v[166:167], a[28:31]
	;; [unrolled: 1-line block ×3, first 2 shown]
	s_waitcnt lgkmcnt(0)
	v_mov_b32_e32 v156, v150
	v_mov_b32_e32 v157, v151
	;; [unrolled: 1-line block ×3, first 2 shown]
	v_mfma_f32_16x16x16_bf16 a[32:35], v[184:185], v[160:161], a[20:23]
	v_mov_b32_e32 v151, v149
	ds_read2st64_b64 v[146:149], v127 offset0:16 offset1:24
	global_store_dwordx4 v[158:159], v[154:157], off
	v_mfma_f32_16x16x16_bf16 a[24:27], v[184:185], v[164:165], a[24:27]
	ds_read2st64_b64 v[154:157], v128 offset0:16 offset1:24
	v_add_co_u32_e32 v160, vcc, s41, v158
	v_mfma_f32_16x16x16_bf16 a[28:31], v[184:185], v[168:169], a[28:31]
	s_nop 0
	v_addc_co_u32_e32 v161, vcc, 0, v159, vcc
	global_store_dwordx4 v[160:161], v[150:153], off offset:-4096
	v_mfma_f32_16x16x16_bf16 a[0:3], v[174:175], v[170:171], a[0:3]
	s_waitcnt lgkmcnt(1)
	v_mov_b32_e32 v150, v146
	v_add_co_u32_e32 v146, vcc, s43, v158
	v_mfma_f32_16x16x16_bf16 a[4:7], v[174:175], v[178:179], a[4:7]
	v_mov_b32_e32 v151, v147
	v_addc_co_u32_e32 v147, vcc, 0, v159, vcc
	v_mfma_f32_16x16x16_bf16 a[8:11], v[174:175], v[180:181], a[8:11]
	s_waitcnt lgkmcnt(0)
	v_mov_b32_e32 v152, v154
	v_mov_b32_e32 v153, v155
	;; [unrolled: 1-line block ×3, first 2 shown]
	v_mfma_f32_16x16x16_bf16 a[12:15], v[174:175], v[182:183], a[12:15]
	v_mov_b32_e32 v155, v149
	s_and_b64 vcc, exec, s[0:1]
	global_store_dwordx4 v[160:161], v[150:153], off
	v_mfma_f32_16x16x16_bf16 a[20:23], v[186:187], v[170:171], a[16:19]
	global_store_dwordx4 v[146:147], v[154:157], off
	v_mfma_f32_16x16x16_bf16 a[16:19], v[186:187], v[178:179], a[32:35]
	v_mfma_f32_16x16x16_bf16 a[24:27], v[186:187], v[180:181], a[24:27]
	;; [unrolled: 1-line block ×3, first 2 shown]
	s_cbranch_vccnz .LBB161_16
; %bb.15:                               ;   in Loop: Header=BB161_6 Depth=1
	v_lshrrev_b32_e32 v146, 3, v144
	v_and_b32_e32 v146, 6, v146
	v_xor_b32_e32 v145, v146, v145
	v_lshlrev_b32_e32 v145, 2, v145
	v_and_b32_e32 v144, 8, v144
	v_xor_b32_e32 v147, 0x440, v145
	v_cmp_eq_u32_e32 vcc, 0, v144
	s_barrier
	s_nop 0
	v_cndmask_b32_e32 v144, v147, v145, vcc
	v_lshl_or_b32 v144, v146, 10, v144
	s_waitcnt vmcnt(5)
	v_perm_b32 v145, v62, v58, s62
	s_waitcnt vmcnt(4)
	v_perm_b32 v146, v54, v50, s62
	ds_write2st64_b32 v144, v145, v146 offset0:128 offset1:160
	v_xor_b32_e32 v145, 8, v144
	v_perm_b32 v58, v62, v58, s63
	v_perm_b32 v50, v54, v50, s63
	v_add_u32_e32 v54, 0x80, v145
	ds_write2st64_b32 v54, v58, v50 offset0:128 offset1:160
	v_xor_b32_e32 v50, 16, v144
	v_perm_b32 v54, v63, v59, s62
	v_perm_b32 v58, v55, v51, s62
	ds_write2st64_b32 v50, v54, v58 offset0:129 offset1:161
	v_xor_b32_e32 v50, 24, v144
	v_perm_b32 v54, v63, v59, s63
	v_perm_b32 v51, v55, v51, s63
	v_add_u32_e32 v50, 0x80, v50
	ds_write2st64_b32 v50, v54, v51 offset0:129 offset1:161
	v_xor_b32_e32 v50, 32, v144
	v_perm_b32 v51, v64, v60, s62
	;; [unrolled: 9-line block ×3, first 2 shown]
	v_perm_b32 v52, v57, v53, s62
	ds_write2st64_b32 v50, v51, v52 offset0:131 offset1:163
	v_xor_b32_e32 v50, 56, v144
	v_perm_b32 v51, v65, v61, s63
	v_perm_b32 v52, v57, v53, s63
	v_add_u32_e32 v50, 0x80, v50
	ds_write2st64_b32 v50, v51, v52 offset0:131 offset1:163
	ds_write_b64 v143, v[46:47] offset:49152
	v_xor_b32_e32 v46, 8, v143
	ds_write_b64 v46, v[48:49] offset:49152
	ds_write_b64 v143, v[42:43] offset:57344
	;; [unrolled: 1-line block ×4, first 2 shown]
	v_xor_b32_e32 v38, 8, v142
	ds_write_b64 v38, v[40:41] offset:49152
	ds_write_b64 v142, v[34:35] offset:57344
	;; [unrolled: 1-line block ×3, first 2 shown]
.LBB161_16:                             ;   in Loop: Header=BB161_6 Depth=1
	v_exp_f32_e32 v142, s44
	v_accvgpr_read_b32 v37, a3
	v_accvgpr_read_b32 v41, a7
	;; [unrolled: 1-line block ×4, first 2 shown]
	s_waitcnt vmcnt(4)
	v_accvgpr_read_b32 v53, a23
	v_accvgpr_read_b32 v57, a19
	;; [unrolled: 1-line block ×28, first 2 shown]
	s_add_i32 s59, s59, 64
	v_pk_fma_f32 v[6:7], v[6:7], v[142:143], v[34:35] op_sel_hi:[1,0,1]
	v_pk_fma_f32 v[8:9], v[8:9], v[142:143], v[36:37] op_sel_hi:[1,0,1]
	;; [unrolled: 1-line block ×15, first 2 shown]
	s_cmp_eq_u32 s53, s65
	v_pk_fma_f32 v[28:29], v[28:29], v[142:143], v[64:65] op_sel_hi:[1,0,1]
	s_cbranch_scc1 .LBB161_18
; %bb.17:                               ;   in Loop: Header=BB161_6 Depth=1
	s_mov_b32 s64, s65
	s_branch .LBB161_6
.LBB161_18:
	s_lshl_b32 s30, s53, 6
	s_sub_i32 s31, s54, s30
	s_cmp_gt_i32 s31, 0
	s_cbranch_scc0 .LBB161_99
; %bb.19:
	s_add_i32 s30, s30, s38
	s_ashr_i32 s3, s30, 31
	s_cmpk_lg_i32 s23, 0x80
	s_cselect_b64 s[26:27], -1, 0
	s_and_b64 vcc, exec, s[26:27]
	s_cbranch_vccz .LBB161_21
; %bb.20:
	s_mul_i32 s1, s30, s22
	s_ashr_i32 s4, s55, 31
	s_mul_hi_i32 s0, s30, s22
	s_add_u32 s28, s1, s55
	s_addc_u32 s29, s0, s4
	s_cbranch_execz .LBB161_22
	s_branch .LBB161_23
.LBB161_21:
                                        ; implicit-def: $sgpr28_sgpr29
.LBB161_22:
	s_mul_i32 s1, s55, s20
	s_mul_hi_i32 s0, s55, s20
	s_add_u32 s28, s1, s30
	s_addc_u32 s29, s0, s3
.LBB161_23:
	s_add_i32 s4, s53, s56
	s_add_u32 s0, s58, s30
	v_lshlrev_b32_e32 v38, 6, v91
	v_lshlrev_b32_e32 v56, 2, v88
	s_addc_u32 s1, s57, s3
	s_mov_b32 s3, 0x7060302
	v_or_b32_e32 v41, v38, v56
	v_xor_b32_e32 v39, v91, v56
	s_waitcnt vmcnt(7)
	v_perm_b32 v35, v9, v8, s3
	v_perm_b32 v34, v7, v6, s3
	s_waitcnt vmcnt(6)
	v_perm_b32 v37, v5, v4, s3
	v_perm_b32 v36, v3, v2, s3
	v_lshlrev_b32_e32 v41, 1, v41
	v_xor_b32_e32 v40, v92, v56
	ds_write2st64_b64 v41, v[34:35], v[36:37] offset0:32 offset1:48
	v_lshlrev_b32_e32 v39, 1, v39
	v_lshlrev_b32_e32 v41, 8, v88
	v_or_b32_e32 v42, v39, v41
	v_lshlrev_b32_e32 v40, 1, v40
	ds_write_b64 v42, v[34:35]
	v_or_b32_e32 v34, v40, v41
	v_or_b32_e32 v41, 16, v88
	v_lshlrev_b32_e32 v55, 2, v41
	v_or_b32_e32 v42, v38, v55
	ds_write_b64 v34, v[36:37]
	s_waitcnt vmcnt(5)
	v_perm_b32 v35, v17, v16, s3
	v_perm_b32 v34, v15, v14, s3
	s_waitcnt vmcnt(4)
	v_perm_b32 v37, v13, v12, s3
	v_perm_b32 v36, v11, v10, s3
	v_lshlrev_b32_e32 v42, 1, v42
	v_lshlrev_b32_e32 v41, 8, v41
	ds_write2st64_b64 v42, v[34:35], v[36:37] offset0:32 offset1:48
	v_or_b32_e32 v42, v39, v41
	ds_write_b64 v42, v[34:35]
	v_or_b32_e32 v34, v40, v41
	v_or_b32_e32 v41, 32, v88
	v_lshlrev_b32_e32 v54, 2, v41
	v_or_b32_e32 v42, v38, v54
	ds_write_b64 v34, v[36:37]
	s_waitcnt vmcnt(3)
	v_perm_b32 v35, v25, v24, s3
	v_perm_b32 v34, v23, v22, s3
	s_waitcnt vmcnt(2)
	v_perm_b32 v37, v21, v20, s3
	v_perm_b32 v36, v19, v18, s3
	v_lshlrev_b32_e32 v42, 1, v42
	v_lshlrev_b32_e32 v41, 8, v41
	s_lshl_b64 s[24:25], s[0:1], 8
	ds_write2st64_b64 v42, v[34:35], v[36:37] offset0:32 offset1:48
	v_or_b32_e32 v42, v39, v41
	s_add_u32 s0, s14, s24
	ds_write_b64 v42, v[34:35]
	v_or_b32_e32 v34, v40, v41
	s_addc_u32 s1, s15, s25
	ds_write_b64 v34, v[36:37]
	s_waitcnt vmcnt(1)
	v_perm_b32 v35, v33, v32, s3
	v_perm_b32 v34, v31, v30, s3
	s_waitcnt vmcnt(0)
	v_perm_b32 v37, v29, v28, s3
	v_perm_b32 v36, v27, v26, s3
	v_or_b32_e32 v41, 48, v88
	s_mul_hi_i32 s3, s4, s21
	s_mul_i32 s4, s4, s21
	v_lshlrev_b32_e32 v51, 2, v41
	s_add_u32 s4, s4, s51
	v_or_b32_e32 v38, v38, v51
	s_addc_u32 s5, s3, s52
	v_lshlrev_b32_e32 v38, 1, v38
	s_ashr_i32 s3, s2, 31
	s_lshl_b64 s[4:5], s[4:5], 15
	ds_write2st64_b64 v38, v[34:35], v[36:37] offset0:32 offset1:48
	v_lshlrev_b32_e32 v38, 8, v41
	s_add_u32 s4, s6, s4
	v_or_b32_e32 v39, v39, v38
	s_addc_u32 s5, s7, s5
	s_lshl_b64 s[2:3], s[2:3], 8
	ds_write_b64 v39, v[34:35]
	v_or_b32_e32 v34, v40, v38
	s_add_u32 s2, s4, s2
	v_lshlrev_b32_e32 v35, 1, v88
	ds_write_b64 v34, v[36:37]
	v_lshrrev_b32_e32 v34, 4, v0
	s_addc_u32 s3, s5, s3
	v_or_b32_e32 v36, 1, v35
	v_lshlrev_b32_e32 v42, 4, v88
	v_mov_b32_e32 v43, 0
	v_xor_b32_e32 v35, v34, v35
	v_xor_b32_e32 v38, v36, v34
	v_lshl_add_u64 v[44:45], s[2:3], 0, v[42:43]
	v_lshlrev_b32_e32 v42, 8, v34
	v_lshl_or_b32 v48, v35, 3, v42
	v_lshl_or_b32 v49, v38, 3, v42
	s_waitcnt lgkmcnt(0)
	s_barrier
	ds_read2st64_b64 v[34:37], v48 offset1:8
	ds_read2st64_b64 v[38:41], v49 offset1:8
	v_lshl_add_u64 v[46:47], v[44:45], 0, v[42:43]
	s_movk_i32 s2, 0x2000
	s_cmp_lg_u32 s31, 64
	s_waitcnt lgkmcnt(1)
	v_mov_b32_e32 v42, v34
	v_mov_b32_e32 v43, v35
	s_waitcnt lgkmcnt(0)
	v_mov_b32_e32 v44, v38
	v_mov_b32_e32 v45, v39
	global_store_dwordx4 v[46:47], v[42:45], off
	v_mov_b32_e32 v38, v36
	v_mov_b32_e32 v39, v37
	ds_read2st64_b64 v[34:37], v48 offset0:16 offset1:24
	ds_read2st64_b64 v[42:45], v49 offset0:16 offset1:24
	v_add_co_u32_e32 v48, vcc, s2, v46
	s_cselect_b64 s[14:15], -1, 0
	s_nop 0
	v_addc_co_u32_e32 v49, vcc, 0, v47, vcc
	global_store_dwordx4 v[48:49], v[38:41], off offset:-4096
	v_lshl_or_b32 v62, v1, 3, v90
	s_mov_b32 s4, 0
	s_waitcnt lgkmcnt(1)
	v_mov_b32_e32 v38, v34
	v_add_co_u32_e32 v34, vcc, 0x3000, v46
	v_mov_b32_e32 v39, v35
	s_nop 0
	v_addc_co_u32_e32 v35, vcc, 0, v47, vcc
	s_waitcnt lgkmcnt(0)
	v_mov_b32_e32 v40, v42
	v_mov_b32_e32 v41, v43
	;; [unrolled: 1-line block ×4, first 2 shown]
	v_or_b32_e32 v52, 32, v62
	v_and_b32_e32 v50, 56, v89
	s_and_b64 vcc, exec, s[14:15]
	global_store_dwordx4 v[48:49], v[38:41], off
	global_store_dwordx4 v[34:35], v[42:45], off
	s_cbranch_vccz .LBB161_29
; %bb.24:
	s_mov_b32 s6, s4
	s_mov_b32 s7, s4
	;; [unrolled: 1-line block ×3, first 2 shown]
	v_mov_b64_e32 v[40:41], s[6:7]
	v_mov_b64_e32 v[38:39], s[4:5]
	;; [unrolled: 1-line block ×3, first 2 shown]
	v_cmp_gt_i32_e32 vcc, s31, v62
	v_mov_b64_e32 v[36:37], v[40:41]
	s_and_saveexec_b64 s[2:3], vcc
	s_cbranch_execz .LBB161_26
; %bb.25:
	v_lshlrev_b32_e32 v34, 8, v62
	v_mov_b32_e32 v35, 0
	v_lshl_add_u64 v[36:37], s[0:1], 0, v[34:35]
	v_lshlrev_b32_e32 v34, 1, v50
	v_lshl_add_u64 v[42:43], v[36:37], 0, v[34:35]
	global_load_dwordx4 v[38:41], v[42:43], off
	global_load_dwordx4 v[34:37], v[42:43], off offset:128
.LBB161_26:
	s_or_b64 exec, exec, s[2:3]
	s_mov_b32 s6, s4
	s_mov_b32 s7, s4
	;; [unrolled: 1-line block ×3, first 2 shown]
	v_mov_b64_e32 v[48:49], s[6:7]
	v_mov_b64_e32 v[46:47], s[4:5]
	;; [unrolled: 1-line block ×3, first 2 shown]
	v_cmp_gt_i32_e32 vcc, s31, v52
	v_lshlrev_b32_e32 v53, 7, v52
	v_mov_b64_e32 v[44:45], v[48:49]
	s_and_saveexec_b64 s[2:3], vcc
	s_cbranch_execz .LBB161_28
; %bb.27:
	v_lshlrev_b32_e32 v42, 1, v53
	v_mov_b32_e32 v43, 0
	v_lshl_add_u64 v[44:45], s[0:1], 0, v[42:43]
	v_lshlrev_b32_e32 v42, 1, v50
	v_lshl_add_u64 v[58:59], v[44:45], 0, v[42:43]
	global_load_dwordx4 v[46:49], v[58:59], off
	global_load_dwordx4 v[42:45], v[58:59], off offset:128
.LBB161_28:
	s_or_b64 exec, exec, s[2:3]
	v_lshrrev_b32_e32 v57, 3, v50
	v_lshlrev_b32_e32 v58, 3, v62
	v_or_b32_e32 v57, v58, v57
	v_lshlrev_b32_e32 v57, 4, v57
	v_and_b32_e32 v58, 0x78, v58
	v_xor_b32_e32 v57, v57, v58
	s_branch .LBB161_31
.LBB161_29:
                                        ; implicit-def: $vgpr57
                                        ; implicit-def: $vgpr53
                                        ; implicit-def: $vgpr38_vgpr39_vgpr40_vgpr41
                                        ; implicit-def: $vgpr34_vgpr35_vgpr36_vgpr37
                                        ; implicit-def: $vgpr46_vgpr47_vgpr48_vgpr49
                                        ; implicit-def: $vgpr42_vgpr43_vgpr44_vgpr45
	s_cbranch_execz .LBB161_31
; %bb.30:
	s_waitcnt vmcnt(0)
	v_lshlrev_b32_e32 v34, 1, v50
	v_lshl_or_b32 v53, v62, 8, v34
	s_and_b32 s1, s1, 0xffff
	s_mov_b32 s3, 0x20000
	s_movk_i32 s2, 0x4000
	v_lshl_or_b32 v57, v52, 8, v34
	s_movk_i32 s4, 0x80
	buffer_load_dwordx4 v[38:41], v53, s[0:3], 0 offen
	buffer_load_dwordx4 v[34:37], v53, s[0:3], s4 offen
	;; [unrolled: 1-line block ×4, first 2 shown]
	v_lshrrev_b32_e32 v53, 3, v50
	v_lshlrev_b32_e32 v57, 3, v62
	v_or_b32_e32 v53, v57, v53
	v_lshlrev_b32_e32 v53, 4, v53
	v_and_b32_e32 v57, 0x78, v57
	v_xor_b32_e32 v57, v53, v57
	v_lshlrev_b32_e32 v53, 7, v52
.LBB161_31:
	s_movk_i32 s0, 0x1000
	v_and_or_b32 v52, v53, s0, v57
	s_waitcnt vmcnt(1)
	ds_write_b64 v57, v[38:39] offset:49152
	v_xor_b32_e32 v38, 8, v57
	ds_write_b64 v38, v[40:41] offset:49152
	s_waitcnt vmcnt(0)
	ds_write_b64 v57, v[34:35] offset:57344
	ds_write_b64 v38, v[36:37] offset:57344
	ds_write_b64 v52, v[46:47] offset:49152
	v_xor_b32_e32 v34, 8, v52
	ds_write_b64 v34, v[48:49] offset:49152
	ds_write_b64 v52, v[42:43] offset:57344
	ds_write_b64 v34, v[44:45] offset:57344
	v_or_b32_e32 v34, v86, v88
	v_lshlrev_b32_e32 v34, 3, v34
	v_lshrrev_b32_e32 v35, 5, v67
	s_movk_i32 s0, 0xf8
	v_and_or_b32 v35, v34, s0, v35
	v_lshlrev_b32_e32 v39, 4, v35
	v_lshlrev_b32_e32 v57, 11, v1
	v_and_b32_e32 v40, 0x78, v34
	v_or_b32_e32 v42, 32, v39
	v_and_b32_e32 v38, 0x1000, v57
	v_lshrrev_b32_e32 v35, 1, v67
	v_xor_b32_e32 v42, v42, v40
	v_xor_b32_e32 v34, v39, v40
	v_and_b32_e32 v41, 8, v35
	v_or_b32_e32 v42, v42, v38
	v_or_b32_e32 v34, v34, v38
	v_xor_b32_e32 v64, v42, v41
	v_or_b32_e32 v42, 64, v39
	v_xor_b32_e32 v63, v34, v41
	v_xor_b32_e32 v42, v42, v40
	s_waitcnt lgkmcnt(0)
	s_barrier
	v_or_b32_e32 v45, v42, v38
	ds_read_b64 v[42:43], v63 offset:49152
	v_lshl_or_b32 v46, v87, 8, v56
	v_lshlrev_b32_e32 v58, 1, v46
	v_add_u32_e32 v44, 0x4000, v58
	ds_read2_b64 v[34:37], v44 offset1:16
	v_or_b32_e32 v39, 0x60, v39
	v_xor_b32_e32 v39, v39, v40
	v_or_b32_e32 v38, v39, v38
	v_xor_b32_e32 v65, v45, v41
	v_xor_b32_e32 v77, v38, v41
	ds_read_b64 v[52:53], v64 offset:49152
	ds_read_b64 v[78:79], v65 offset:49152
	;; [unrolled: 1-line block ×3, first 2 shown]
	s_waitcnt lgkmcnt(3)
	v_mfma_f32_16x16x16_bf16 a[0:3], v[42:43], v[34:35], 0
	ds_read2st64_b64 v[38:41], v58 offset0:36 offset1:40
	s_lshl_b64 s[0:1], s[28:29], 8
	s_add_u32 s4, s12, s0
	v_mfma_f32_16x16x16_bf16 a[4:7], v[42:43], v[36:37], 0
	ds_read2_b64 v[34:37], v44 offset0:32 offset1:48
	s_addc_u32 s5, s13, s1
	s_add_i32 s1, s47, s33
	s_waitcnt lgkmcnt(0)
	v_mfma_f32_16x16x16_bf16 a[8:11], v[42:43], v[34:35], 0
	v_or_b32_e32 v34, 64, v46
	v_lshlrev_b32_e32 v59, 1, v34
	s_add_i32 s0, s39, -1
	v_mfma_f32_16x16x16_bf16 a[12:15], v[42:43], v[36:37], 0
	ds_read2st64_b64 v[34:37], v59 offset0:36 offset1:40
	s_add_i32 s43, s1, s46
	s_add_i32 s1, s49, s48
	v_mfma_f32_16x16x16_bf16 a[0:3], v[52:53], v[38:39], a[0:3]
	v_or_b32_e32 v38, 0x80, v46
	v_lshlrev_b32_e32 v60, 1, v38
	ds_read2st64_b64 v[42:45], v60 offset0:36 offset1:40
	s_waitcnt lgkmcnt(1)
	v_mfma_f32_16x16x16_bf16 a[4:7], v[52:53], v[34:35], a[4:7]
	v_or_b32_e32 v34, 0xc0, v46
	v_lshlrev_b32_e32 v61, 1, v34
	ds_read2st64_b64 v[46:49], v61 offset0:36 offset1:40
	s_add_i32 s41, s1, s50
	s_ashr_i32 s1, s0, 31
	s_mul_i32 s2, s0, s37
	s_mul_hi_u32 s3, s0, s36
	s_add_i32 s2, s3, s2
	s_mul_i32 s1, s1, s36
	s_waitcnt lgkmcnt(1)
	v_mfma_f32_16x16x16_bf16 a[8:11], v[52:53], v[42:43], a[8:11]
	s_add_i32 s1, s2, s1
	s_lshl_b64 s[2:3], s[42:43], 2
	s_add_u32 s6, s18, s2
	s_waitcnt lgkmcnt(0)
	v_mfma_f32_16x16x16_bf16 a[12:15], v[52:53], v[46:47], a[12:15]
	s_addc_u32 s7, s19, s3
	s_lshl_b64 s[2:3], s[40:41], 2
	s_mul_i32 s0, s0, s36
	v_mfma_f32_16x16x16_bf16 a[0:3], v[78:79], v[40:41], a[0:3]
	ds_read_b64 v[34:35], v58 offset:22528
	s_add_u32 s12, s6, s2
	s_addc_u32 s13, s7, s3
	v_mfma_f32_16x16x16_bf16 a[4:7], v[78:79], v[36:37], a[4:7]
	ds_read_b64 v[36:37], v59 offset:22528
	ds_read_b64 v[38:39], v60 offset:22528
	;; [unrolled: 1-line block ×3, first 2 shown]
	s_lshl_b64 s[0:1], s[0:1], 2
	s_add_u32 s0, s12, s0
	v_mfma_f32_16x16x16_bf16 a[8:11], v[78:79], v[44:45], a[8:11]
	s_addc_u32 s1, s13, s1
	s_load_dword s18, s[0:1], 0x0
	s_and_b64 vcc, exec, s[26:27]
	v_mfma_f32_16x16x16_bf16 a[12:15], v[78:79], v[48:49], a[12:15]
	s_waitcnt lgkmcnt(0)
	v_mfma_f32_16x16x16_bf16 a[0:3], v[80:81], v[34:35], a[0:3]
	v_mfma_f32_16x16x16_bf16 a[4:7], v[80:81], v[36:37], a[4:7]
	;; [unrolled: 1-line block ×4, first 2 shown]
	s_cbranch_vccz .LBB161_42
; %bb.32:
	v_lshlrev_b32_e32 v52, 1, v62
	s_and_b64 vcc, exec, s[14:15]
	s_cbranch_vccz .LBB161_43
; %bb.33:
	v_cmp_gt_i32_e32 vcc, s31, v52
	v_mov_b32_e32 v38, 0
	v_mov_b32_e32 v34, 0
	v_mov_b32_e32 v35, 0
	v_mov_b32_e32 v36, 0
	v_mov_b32_e32 v37, 0
	s_and_saveexec_b64 s[0:1], vcc
	s_cbranch_execz .LBB161_35
; %bb.34:
	v_mad_i64_i32 v[34:35], s[2:3], s23, v52, 0
	v_lshl_add_u64 v[34:35], v[34:35], 1, s[4:5]
	v_lshlrev_b32_e32 v36, 1, v50
	v_mov_b32_e32 v37, 0
	v_lshl_add_u64 v[34:35], v[34:35], 0, v[36:37]
	global_load_dwordx4 v[34:37], v[34:35], off
.LBB161_35:
	s_or_b64 exec, exec, s[0:1]
	v_or_b32_e32 v53, 1, v52
	v_cmp_gt_i32_e64 s[0:1], s31, v53
	v_mov_b32_e32 v39, 0
	v_mov_b32_e32 v40, 0
	;; [unrolled: 1-line block ×3, first 2 shown]
	s_and_saveexec_b64 s[2:3], s[0:1]
	s_cbranch_execz .LBB161_37
; %bb.36:
	v_mad_i64_i32 v[38:39], s[6:7], s23, v53, 0
	v_lshl_add_u64 v[38:39], v[38:39], 1, s[4:5]
	v_lshlrev_b32_e32 v40, 1, v50
	v_mov_b32_e32 v41, 0
	v_lshl_add_u64 v[38:39], v[38:39], 0, v[40:41]
	global_load_dwordx4 v[38:41], v[38:39], off
.LBB161_37:
	s_or_b64 exec, exec, s[2:3]
	v_mov_b32_e32 v49, 0
	v_mov_b32_e32 v42, 0
	;; [unrolled: 1-line block ×5, first 2 shown]
	s_and_saveexec_b64 s[2:3], vcc
	s_cbranch_execz .LBB161_39
; %bb.38:
	v_mad_i64_i32 v[42:43], s[6:7], s23, v52, 0
	v_lshl_add_u64 v[42:43], v[42:43], 1, s[4:5]
	v_lshlrev_b32_e32 v44, 1, v50
	v_mov_b32_e32 v45, 0
	v_lshl_add_u64 v[42:43], v[42:43], 0, v[44:45]
	global_load_dwordx4 v[42:45], v[42:43], off offset:128
.LBB161_39:
	s_or_b64 exec, exec, s[2:3]
	v_mov_b32_e32 v48, 0
	v_mov_b32_e32 v47, 0
	v_mov_b32_e32 v46, 0
	s_and_saveexec_b64 s[2:3], s[0:1]
	s_cbranch_execz .LBB161_41
; %bb.40:
	v_mad_i64_i32 v[46:47], s[0:1], s23, v53, 0
	v_lshl_add_u64 v[46:47], v[46:47], 1, s[4:5]
	v_lshlrev_b32_e32 v48, 1, v50
	v_mov_b32_e32 v49, 0
	v_lshl_add_u64 v[46:47], v[46:47], 0, v[48:49]
	global_load_dwordx4 v[46:49], v[46:47], off offset:128
.LBB161_41:
	s_or_b64 exec, exec, s[2:3]
	s_branch .LBB161_45
.LBB161_42:
                                        ; implicit-def: $vgpr37
                                        ; implicit-def: $vgpr41
                                        ; implicit-def: $vgpr45
                                        ; implicit-def: $vgpr49
	v_lshrrev_b32_e32 v67, 2, v67
	s_branch .LBB161_46
.LBB161_43:
                                        ; implicit-def: $vgpr37
                                        ; implicit-def: $vgpr41
                                        ; implicit-def: $vgpr45
                                        ; implicit-def: $vgpr49
	s_cbranch_execz .LBB161_45
; %bb.44:
	s_waitcnt vmcnt(0)
	v_mad_u64_u32 v[34:35], s[0:1], v52, s23, v[50:51]
	v_lshlrev_b32_e32 v52, 1, v34
	s_lshl_b32 s2, s23, 7
	s_and_b32 s1, s5, 0xffff
	s_mov_b32 s3, 0x20000
	s_mov_b32 s0, s4
	v_add_lshl_u32 v53, v34, s23, 1
	s_movk_i32 s6, 0x80
	buffer_load_dwordx4 v[34:37], v52, s[0:3], 0 offen
	buffer_load_dwordx4 v[42:45], v52, s[0:3], s6 offen
	;; [unrolled: 1-line block ×4, first 2 shown]
.LBB161_45:
	v_lshrrev_b32_e32 v67, 2, v67
	s_cbranch_execnz .LBB161_58
.LBB161_46:
	s_and_b64 vcc, exec, s[14:15]
	s_cbranch_vccz .LBB161_56
; %bb.47:
	s_waitcnt vmcnt(0)
	v_lshlrev_b32_e32 v39, 1, v62
	v_cmp_gt_i32_e32 vcc, s31, v39
	v_mov_b32_e32 v38, 0
	v_lshlrev_b32_e32 v46, 9, v62
	v_mov_b32_e32 v34, 0
	v_mov_b32_e32 v35, 0
	v_mov_b32_e32 v36, 0
	v_mov_b32_e32 v37, 0
	s_and_saveexec_b64 s[0:1], vcc
	s_cbranch_execz .LBB161_49
; %bb.48:
	v_mov_b32_e32 v47, 0
	v_lshl_add_u64 v[34:35], s[4:5], 0, v[46:47]
	v_lshlrev_b32_e32 v36, 1, v50
	v_mov_b32_e32 v37, v47
	v_lshl_add_u64 v[34:35], v[34:35], 0, v[36:37]
	global_load_dwordx4 v[34:37], v[34:35], off
.LBB161_49:
	s_or_b64 exec, exec, s[0:1]
	v_or_b32_e32 v39, 1, v39
	v_cmp_gt_i32_e64 s[0:1], s31, v39
	v_lshlrev_b32_e32 v52, 8, v39
	v_mov_b32_e32 v39, 0
	v_mov_b32_e32 v40, 0
	;; [unrolled: 1-line block ×3, first 2 shown]
	s_and_saveexec_b64 s[2:3], s[0:1]
	s_cbranch_execz .LBB161_51
; %bb.50:
	v_mov_b32_e32 v53, 0
	v_lshl_add_u64 v[38:39], s[4:5], 0, v[52:53]
	v_lshlrev_b32_e32 v40, 1, v50
	v_mov_b32_e32 v41, v53
	v_lshl_add_u64 v[38:39], v[38:39], 0, v[40:41]
	global_load_dwordx4 v[38:41], v[38:39], off
.LBB161_51:
	s_or_b64 exec, exec, s[2:3]
	v_mov_b32_e32 v49, 0
	v_mov_b32_e32 v42, 0
	;; [unrolled: 1-line block ×5, first 2 shown]
	s_and_saveexec_b64 s[2:3], vcc
	s_cbranch_execz .LBB161_53
; %bb.52:
	v_mov_b32_e32 v47, 0
	v_lshl_add_u64 v[42:43], s[4:5], 0, v[46:47]
	v_lshlrev_b32_e32 v46, 1, v50
	v_lshl_add_u64 v[42:43], v[42:43], 0, v[46:47]
	global_load_dwordx4 v[42:45], v[42:43], off offset:128
.LBB161_53:
	s_or_b64 exec, exec, s[2:3]
	v_mov_b32_e32 v48, 0
	v_mov_b32_e32 v47, 0
	;; [unrolled: 1-line block ×3, first 2 shown]
	s_and_saveexec_b64 s[2:3], s[0:1]
	s_cbranch_execz .LBB161_55
; %bb.54:
	v_mov_b32_e32 v53, 0
	v_lshl_add_u64 v[46:47], s[4:5], 0, v[52:53]
	v_lshlrev_b32_e32 v52, 1, v50
	v_lshl_add_u64 v[46:47], v[46:47], 0, v[52:53]
	global_load_dwordx4 v[46:49], v[46:47], off offset:128
.LBB161_55:
	s_or_b64 exec, exec, s[2:3]
	s_branch .LBB161_58
.LBB161_56:
                                        ; implicit-def: $vgpr37
                                        ; implicit-def: $vgpr41
                                        ; implicit-def: $vgpr45
                                        ; implicit-def: $vgpr49
	s_cbranch_execz .LBB161_58
; %bb.57:
	s_waitcnt vmcnt(0)
	v_lshlrev_b32_e32 v34, 1, v50
	v_lshl_or_b32 v50, v62, 9, v34
	s_and_b32 s5, s5, 0xffff
	s_mov_b32 s7, 0x20000
	s_movk_i32 s6, 0x4000
	s_movk_i32 s0, 0x80
	buffer_load_dwordx4 v[34:37], v50, s[4:7], 0 offen
	buffer_load_dwordx4 v[38:41], v50, s[4:7], 0 offen offset:256
	buffer_load_dwordx4 v[42:45], v50, s[4:7], s0 offen
	buffer_load_dwordx4 v[46:49], v50, s[4:7], s0 offen offset:256
.LBB161_58:
	ds_read_b64 v[52:53], v63 offset:57344
	v_add_u32_e32 v50, 0x6000, v58
	ds_read2_b64 v[78:81], v50 offset1:16
	ds_read_b64 v[96:97], v64 offset:57344
	ds_read_b64 v[64:65], v65 offset:57344
	;; [unrolled: 1-line block ×3, first 2 shown]
	ds_read2st64_b64 v[82:85], v58 offset0:52 offset1:56
	v_and_b32_e32 v63, 1, v0
	v_cmp_eq_u32_e32 vcc, 0, v63
	s_mov_b32 s0, 0x1000504
	s_waitcnt vmcnt(0)
	v_perm_b32 v63, v42, v46, s0
	s_mov_b32 s1, 0x3020706
	s_waitcnt lgkmcnt(4)
	v_mfma_f32_16x16x16_bf16 a[0:3], v[52:53], v[78:79], a[0:3]
	v_mfma_f32_16x16x16_bf16 a[4:7], v[52:53], v[80:81], a[4:7]
	ds_read2_b64 v[78:81], v50 offset0:32 offset1:48
	v_and_b32_e32 v50, 6, v0
	v_xor_b32_e32 v62, v62, v50
	s_waitcnt lgkmcnt(0)
	v_mfma_f32_16x16x16_bf16 a[8:11], v[52:53], v[78:79], a[8:11]
	v_lshlrev_b32_e32 v62, 2, v62
	v_xor_b32_e32 v77, 0x440, v62
	v_cndmask_b32_e32 v62, v77, v62, vcc
	v_mfma_f32_16x16x16_bf16 a[12:15], v[52:53], v[80:81], a[12:15]
	ds_read2st64_b64 v[78:81], v59 offset0:52 offset1:56
	ds_read2st64_b64 v[88:91], v60 offset0:52 offset1:56
	;; [unrolled: 1-line block ×3, first 2 shown]
	v_lshl_or_b32 v50, v50, 10, v62
	v_perm_b32 v62, v34, v38, s0
	v_mfma_f32_16x16x16_bf16 a[0:3], v[96:97], v[82:83], a[0:3]
	ds_read_b64 v[52:53], v58 offset:30720
	ds_read_b64 v[82:83], v59 offset:30720
	;; [unrolled: 1-line block ×4, first 2 shown]
	ds_write2st64_b32 v50, v62, v63 offset0:128 offset1:160
	v_xor_b32_e32 v62, 8, v50
	s_waitcnt lgkmcnt(7)
	v_mfma_f32_16x16x16_bf16 a[4:7], v[96:97], v[78:79], a[4:7]
	v_perm_b32 v34, v34, v38, s1
	v_perm_b32 v38, v42, v46, s1
	v_add_u32_e32 v42, 0x80, v62
	s_waitcnt lgkmcnt(6)
	v_mfma_f32_16x16x16_bf16 a[8:11], v[96:97], v[88:89], a[8:11]
	ds_write2st64_b32 v42, v34, v38 offset0:128 offset1:160
	v_xor_b32_e32 v34, 16, v50
	v_perm_b32 v38, v35, v39, s0
	s_waitcnt lgkmcnt(6)
	v_mfma_f32_16x16x16_bf16 a[12:15], v[96:97], v[92:93], a[12:15]
	v_perm_b32 v42, v43, v47, s0
	ds_write2st64_b32 v34, v38, v42 offset0:129 offset1:161
	v_xor_b32_e32 v34, 24, v50
	v_mfma_f32_16x16x16_bf16 a[0:3], v[64:65], v[84:85], a[0:3]
	v_perm_b32 v35, v35, v39, s1
	v_perm_b32 v38, v43, v47, s1
	v_add_u32_e32 v34, 0x80, v34
	v_mfma_f32_16x16x16_bf16 a[4:7], v[64:65], v[80:81], a[4:7]
	ds_write2st64_b32 v34, v35, v38 offset0:129 offset1:161
	v_xor_b32_e32 v34, 32, v50
	v_perm_b32 v35, v36, v40, s0
	v_mfma_f32_16x16x16_bf16 a[16:19], v[64:65], v[90:91], a[8:11]
	v_perm_b32 v38, v44, v48, s0
	ds_write2st64_b32 v34, v35, v38 offset0:130 offset1:162
	v_xor_b32_e32 v34, 40, v50
	v_mfma_f32_16x16x16_bf16 a[20:23], v[64:65], v[94:95], a[12:15]
	v_perm_b32 v35, v36, v40, s1
	v_perm_b32 v36, v44, v48, s1
	v_add_u32_e32 v34, 0x80, v34
	s_waitcnt lgkmcnt(8)
	v_mfma_f32_16x16x16_bf16 a[12:15], v[98:99], v[52:53], a[0:3]
	ds_write2st64_b32 v34, v35, v36 offset0:130 offset1:162
	v_xor_b32_e32 v34, 48, v50
	v_perm_b32 v35, v37, v41, s0
	s_waitcnt lgkmcnt(8)
	v_mfma_f32_16x16x16_bf16 a[8:11], v[98:99], v[82:83], a[4:7]
	v_perm_b32 v36, v45, v49, s0
	ds_write2st64_b32 v34, v35, v36 offset0:131 offset1:163
	v_xor_b32_e32 v34, 56, v50
	s_waitcnt lgkmcnt(8)
	v_mfma_f32_16x16x16_bf16 a[4:7], v[98:99], v[100:101], a[16:19]
	v_and_or_b32 v63, v67, 12, v86
	v_perm_b32 v35, v37, v41, s1
	v_perm_b32 v36, v45, v49, s1
	s_waitcnt lgkmcnt(7)
	v_mfma_f32_16x16x16_bf16 a[0:3], v[98:99], v[102:103], a[20:23]
	v_add_u32_e32 v34, 0x80, v34
	v_cmp_gt_i32_e64 s[0:1], s31, v63
	v_mov_b32_e32 v52, 0
	v_mov_b32_e32 v53, 0
	ds_write2st64_b32 v34, v35, v36 offset0:131 offset1:163
	s_and_saveexec_b64 s[2:3], s[0:1]
	s_cbranch_execz .LBB161_60
; %bb.59:
	v_add_u32_e32 v34, s30, v63
	v_ashrrev_i32_e32 v35, 31, v34
	v_mul_lo_u32 v36, v35, s36
	v_mul_lo_u32 v37, v34, s37
	v_mad_u64_u32 v[34:35], s[4:5], v34, s36, 0
	v_add3_u32 v35, v35, v37, v36
	v_lshl_add_u64 v[34:35], v[34:35], 2, s[12:13]
	global_load_dword v34, v[34:35], off
	s_waitcnt vmcnt(0)
	v_sub_f32_e32 v34, s18, v34
	v_exp_f32_e32 v53, v34
.LBB161_60:
	s_or_b64 exec, exec, s[2:3]
	v_or_b32_e32 v46, 1, v63
	v_cmp_gt_i32_e64 s[4:5], s31, v46
	s_and_saveexec_b64 s[2:3], s[4:5]
	s_cbranch_execz .LBB161_62
; %bb.61:
	v_add_u32_e32 v34, s30, v46
	v_ashrrev_i32_e32 v35, 31, v34
	v_mul_lo_u32 v36, v35, s36
	v_mul_lo_u32 v37, v34, s37
	v_mad_u64_u32 v[34:35], s[6:7], v34, s36, 0
	v_add3_u32 v35, v35, v37, v36
	v_lshl_add_u64 v[34:35], v[34:35], 2, s[12:13]
	global_load_dword v34, v[34:35], off
	s_waitcnt vmcnt(0)
	v_sub_f32_e32 v34, s18, v34
	v_exp_f32_e32 v52, v34
.LBB161_62:
	s_or_b64 exec, exec, s[2:3]
	v_or_b32_e32 v42, 2, v63
	v_cmp_gt_i32_e64 s[2:3], s31, v42
	v_mov_b32_e32 v50, 0
	v_mov_b32_e32 v62, 0
	s_and_saveexec_b64 s[6:7], s[2:3]
	s_cbranch_execz .LBB161_64
; %bb.63:
	v_add_u32_e32 v34, s30, v42
	v_ashrrev_i32_e32 v35, 31, v34
	v_mul_lo_u32 v36, v35, s36
	v_mul_lo_u32 v37, v34, s37
	v_mad_u64_u32 v[34:35], s[14:15], v34, s36, 0
	v_add3_u32 v35, v35, v37, v36
	v_lshl_add_u64 v[34:35], v[34:35], 2, s[12:13]
	global_load_dword v34, v[34:35], off
	s_waitcnt vmcnt(0)
	v_sub_f32_e32 v34, s18, v34
	v_exp_f32_e32 v62, v34
.LBB161_64:
	s_or_b64 exec, exec, s[6:7]
	v_or_b32_e32 v43, 3, v63
	v_cmp_gt_i32_e32 vcc, s31, v43
	s_and_saveexec_b64 s[6:7], vcc
	s_cbranch_execz .LBB161_66
; %bb.65:
	v_add_u32_e32 v34, s30, v43
	v_ashrrev_i32_e32 v35, 31, v34
	v_mul_lo_u32 v36, v35, s36
	v_mul_lo_u32 v37, v34, s37
	v_mad_u64_u32 v[34:35], s[14:15], v34, s36, 0
	v_add3_u32 v35, v35, v37, v36
	v_lshl_add_u64 v[34:35], v[34:35], 2, s[12:13]
	global_load_dword v34, v[34:35], off
	s_waitcnt vmcnt(0)
	v_sub_f32_e32 v34, s18, v34
	v_exp_f32_e32 v50, v34
.LBB161_66:
	s_or_b64 exec, exec, s[6:7]
	s_add_u32 s6, s16, s24
	s_addc_u32 s7, s17, s25
	s_add_u32 s8, s8, s24
	v_ashrrev_i32_e32 v77, 31, v76
	v_accvgpr_read_b32 v37, a15
	s_addc_u32 s9, s9, s25
	v_lshlrev_b64 v[38:39], 1, v[76:77]
	v_accvgpr_read_b32 v36, a14
	v_accvgpr_read_b32 v35, a13
	;; [unrolled: 1-line block ×3, first 2 shown]
	v_lshl_add_u64 v[40:41], s[6:7], 0, v[38:39]
	v_lshl_add_u64 v[38:39], s[8:9], 0, v[38:39]
	v_mov_b32_e32 v47, 0
	v_lshlrev_b32_e32 v44, 8, v63
	v_mov_b32_e32 v45, 0
	s_and_saveexec_b64 s[6:7], s[0:1]
	s_cbranch_execz .LBB161_68
; %bb.67:
	v_mov_b32_e32 v45, 0
	v_lshl_add_u64 v[48:49], v[40:41], 0, v[44:45]
	global_load_ushort v64, v[48:49], off
	v_lshl_add_u64 v[48:49], v[38:39], 0, v[44:45]
	s_waitcnt vmcnt(0)
	v_lshlrev_b32_e32 v45, 16, v64
	v_sub_f32_e32 v34, v45, v34
	global_store_short_d16_hi v[48:49], v34, off
	v_mul_f32_e32 v34, v53, v34
	v_lshrrev_b32_e32 v45, 16, v34
.LBB161_68:
	s_or_b64 exec, exec, s[6:7]
	v_lshlrev_b32_e32 v46, 8, v46
	s_and_saveexec_b64 s[6:7], s[4:5]
	s_cbranch_execz .LBB161_70
; %bb.69:
	v_mov_b32_e32 v47, 0
	v_lshl_add_u64 v[48:49], v[40:41], 0, v[46:47]
	global_load_ushort v34, v[48:49], off
	v_lshl_add_u64 v[48:49], v[38:39], 0, v[46:47]
	s_waitcnt vmcnt(0)
	v_lshlrev_b32_e32 v34, 16, v34
	v_sub_f32_e32 v34, v34, v35
	global_store_short_d16_hi v[48:49], v34, off
	v_mul_f32_e32 v34, v52, v34
	v_lshrrev_b32_e32 v47, 16, v34
.LBB161_70:
	s_or_b64 exec, exec, s[6:7]
	v_mov_b32_e32 v64, 0
	v_lshlrev_b32_e32 v48, 8, v42
	v_mov_b32_e32 v49, 0
	s_and_saveexec_b64 s[6:7], s[2:3]
	s_cbranch_execz .LBB161_72
; %bb.71:
	v_mov_b32_e32 v49, 0
	v_lshl_add_u64 v[34:35], v[40:41], 0, v[48:49]
	global_load_ushort v42, v[34:35], off
	v_lshl_add_u64 v[34:35], v[38:39], 0, v[48:49]
	s_waitcnt vmcnt(0)
	v_lshlrev_b32_e32 v42, 16, v42
	v_sub_f32_e32 v36, v42, v36
	global_store_short_d16_hi v[34:35], v36, off
	v_mul_f32_e32 v34, v62, v36
	v_lshrrev_b32_e32 v49, 16, v34
.LBB161_72:
	s_or_b64 exec, exec, s[6:7]
	v_lshlrev_b32_e32 v42, 8, v43
	s_and_saveexec_b64 s[6:7], vcc
	s_cbranch_execz .LBB161_74
; %bb.73:
	v_mov_b32_e32 v43, 0
	v_lshl_add_u64 v[34:35], v[40:41], 0, v[42:43]
	global_load_ushort v36, v[34:35], off
	v_lshl_add_u64 v[34:35], v[38:39], 0, v[42:43]
	s_waitcnt vmcnt(0)
	v_lshlrev_b32_e32 v36, 16, v36
	v_sub_f32_e32 v36, v36, v37
	global_store_short_d16_hi v[34:35], v36, off
	v_mul_f32_e32 v34, v50, v36
	v_lshrrev_b32_e32 v64, 16, v34
.LBB161_74:
	s_or_b64 exec, exec, s[6:7]
	v_lshlrev_b32_e32 v63, 6, v63
	v_accvgpr_read_b32 v37, a11
	s_mov_b32 s6, 0x5040100
	v_or_b32_e32 v43, v63, v56
	v_accvgpr_read_b32 v36, a10
	v_accvgpr_read_b32 v35, a9
	;; [unrolled: 1-line block ×3, first 2 shown]
	v_perm_b32 v65, v64, v49, s6
	v_perm_b32 v64, v47, v45, s6
	v_lshlrev_b32_e32 v43, 1, v43
	v_mov_b32_e32 v47, 0
	v_mov_b32_e32 v45, 0
	ds_write_b64 v43, v[64:65] offset:24576
	s_and_saveexec_b64 s[6:7], s[0:1]
	s_cbranch_execz .LBB161_76
; %bb.75:
	v_mov_b32_e32 v45, 0
	v_lshl_add_u64 v[64:65], v[40:41], 0, v[44:45]
	global_load_ushort v43, v[64:65], off offset:32
	v_lshl_add_u64 v[64:65], v[38:39], 0, v[44:45]
	s_waitcnt vmcnt(0)
	v_lshlrev_b32_e32 v43, 16, v43
	v_sub_f32_e32 v34, v43, v34
	global_store_short_d16_hi v[64:65], v34, off offset:32
	v_mul_f32_e32 v34, v53, v34
	v_lshrrev_b32_e32 v45, 16, v34
.LBB161_76:
	s_or_b64 exec, exec, s[6:7]
	s_and_saveexec_b64 s[6:7], s[4:5]
	s_cbranch_execz .LBB161_78
; %bb.77:
	v_mov_b32_e32 v47, 0
	v_lshl_add_u64 v[64:65], v[40:41], 0, v[46:47]
	global_load_ushort v34, v[64:65], off offset:32
	v_lshl_add_u64 v[64:65], v[38:39], 0, v[46:47]
	s_waitcnt vmcnt(0)
	v_lshlrev_b32_e32 v34, 16, v34
	v_sub_f32_e32 v34, v34, v35
	global_store_short_d16_hi v[64:65], v34, off offset:32
	v_mul_f32_e32 v34, v52, v34
	v_lshrrev_b32_e32 v47, 16, v34
.LBB161_78:
	s_or_b64 exec, exec, s[6:7]
	v_mov_b32_e32 v43, 0
	v_mov_b32_e32 v49, 0
	s_and_saveexec_b64 s[6:7], s[2:3]
	s_cbranch_execz .LBB161_80
; %bb.79:
	v_mov_b32_e32 v49, 0
	v_lshl_add_u64 v[34:35], v[40:41], 0, v[48:49]
	global_load_ushort v56, v[34:35], off offset:32
	v_lshl_add_u64 v[34:35], v[38:39], 0, v[48:49]
	s_waitcnt vmcnt(0)
	v_lshlrev_b32_e32 v49, 16, v56
	v_sub_f32_e32 v36, v49, v36
	global_store_short_d16_hi v[34:35], v36, off offset:32
	v_mul_f32_e32 v34, v62, v36
	v_lshrrev_b32_e32 v49, 16, v34
.LBB161_80:
	s_or_b64 exec, exec, s[6:7]
	s_and_saveexec_b64 s[6:7], vcc
	s_cbranch_execz .LBB161_82
; %bb.81:
	v_mov_b32_e32 v43, 0
	v_lshl_add_u64 v[34:35], v[40:41], 0, v[42:43]
	global_load_ushort v36, v[34:35], off offset:32
	v_lshl_add_u64 v[34:35], v[38:39], 0, v[42:43]
	s_waitcnt vmcnt(0)
	v_lshlrev_b32_e32 v36, 16, v36
	v_sub_f32_e32 v36, v36, v37
	global_store_short_d16_hi v[34:35], v36, off offset:32
	v_mul_f32_e32 v34, v50, v36
	v_lshrrev_b32_e32 v43, 16, v34
.LBB161_82:
	s_or_b64 exec, exec, s[6:7]
	s_mov_b32 s6, 0x5040100
	v_accvgpr_read_b32 v37, a7
	v_perm_b32 v65, v43, v49, s6
	v_or_b32_e32 v43, v63, v55
	v_accvgpr_read_b32 v36, a6
	v_accvgpr_read_b32 v35, a5
	;; [unrolled: 1-line block ×3, first 2 shown]
	v_perm_b32 v64, v47, v45, s6
	v_lshlrev_b32_e32 v43, 1, v43
	v_mov_b32_e32 v47, 0
	v_mov_b32_e32 v45, 0
	ds_write_b64 v43, v[64:65] offset:24576
	s_and_saveexec_b64 s[6:7], s[0:1]
	s_cbranch_execz .LBB161_84
; %bb.83:
	v_mov_b32_e32 v45, 0
	v_lshl_add_u64 v[64:65], v[40:41], 0, v[44:45]
	global_load_ushort v43, v[64:65], off offset:64
	v_lshl_add_u64 v[64:65], v[38:39], 0, v[44:45]
	s_waitcnt vmcnt(0)
	v_lshlrev_b32_e32 v43, 16, v43
	v_sub_f32_e32 v34, v43, v34
	global_store_short_d16_hi v[64:65], v34, off offset:64
	v_mul_f32_e32 v34, v53, v34
	v_lshrrev_b32_e32 v45, 16, v34
.LBB161_84:
	s_or_b64 exec, exec, s[6:7]
	s_and_saveexec_b64 s[6:7], s[4:5]
	s_cbranch_execz .LBB161_86
; %bb.85:
	v_mov_b32_e32 v47, 0
	v_lshl_add_u64 v[64:65], v[40:41], 0, v[46:47]
	global_load_ushort v34, v[64:65], off offset:64
	v_lshl_add_u64 v[64:65], v[38:39], 0, v[46:47]
	s_waitcnt vmcnt(0)
	v_lshlrev_b32_e32 v34, 16, v34
	v_sub_f32_e32 v34, v34, v35
	global_store_short_d16_hi v[64:65], v34, off offset:64
	v_mul_f32_e32 v34, v52, v34
	v_lshrrev_b32_e32 v47, 16, v34
.LBB161_86:
	s_or_b64 exec, exec, s[6:7]
	v_mov_b32_e32 v43, 0
	v_mov_b32_e32 v49, 0
	s_and_saveexec_b64 s[6:7], s[2:3]
	s_cbranch_execz .LBB161_88
; %bb.87:
	v_mov_b32_e32 v49, 0
	v_lshl_add_u64 v[34:35], v[40:41], 0, v[48:49]
	global_load_ushort v55, v[34:35], off offset:64
	v_lshl_add_u64 v[34:35], v[38:39], 0, v[48:49]
	s_waitcnt vmcnt(0)
	v_lshlrev_b32_e32 v49, 16, v55
	v_sub_f32_e32 v36, v49, v36
	global_store_short_d16_hi v[34:35], v36, off offset:64
	v_mul_f32_e32 v34, v62, v36
	v_lshrrev_b32_e32 v49, 16, v34
.LBB161_88:
	s_or_b64 exec, exec, s[6:7]
	s_and_saveexec_b64 s[6:7], vcc
	s_cbranch_execz .LBB161_90
; %bb.89:
	v_mov_b32_e32 v43, 0
	v_lshl_add_u64 v[34:35], v[40:41], 0, v[42:43]
	global_load_ushort v36, v[34:35], off offset:64
	v_lshl_add_u64 v[34:35], v[38:39], 0, v[42:43]
	s_waitcnt vmcnt(0)
	v_lshlrev_b32_e32 v36, 16, v36
	v_sub_f32_e32 v36, v36, v37
	global_store_short_d16_hi v[34:35], v36, off offset:64
	v_mul_f32_e32 v34, v50, v36
	v_lshrrev_b32_e32 v43, 16, v34
.LBB161_90:
	s_or_b64 exec, exec, s[6:7]
	s_mov_b32 s6, 0x5040100
	v_accvgpr_read_b32 v37, a3
	v_perm_b32 v65, v43, v49, s6
	v_or_b32_e32 v43, v63, v54
	v_accvgpr_read_b32 v36, a2
	v_accvgpr_read_b32 v35, a1
	;; [unrolled: 1-line block ×3, first 2 shown]
	v_perm_b32 v64, v47, v45, s6
	v_lshlrev_b32_e32 v43, 1, v43
	v_mov_b32_e32 v47, 0
	v_mov_b32_e32 v45, 0
	ds_write_b64 v43, v[64:65] offset:24576
	s_and_saveexec_b64 s[6:7], s[0:1]
	s_cbranch_execz .LBB161_92
; %bb.91:
	v_mov_b32_e32 v45, 0
	v_lshl_add_u64 v[54:55], v[40:41], 0, v[44:45]
	global_load_ushort v43, v[54:55], off offset:96
	v_lshl_add_u64 v[44:45], v[38:39], 0, v[44:45]
	s_waitcnt vmcnt(0)
	v_lshlrev_b32_e32 v43, 16, v43
	v_sub_f32_e32 v34, v43, v34
	global_store_short_d16_hi v[44:45], v34, off offset:96
	v_mul_f32_e32 v34, v53, v34
	v_lshrrev_b32_e32 v45, 16, v34
.LBB161_92:
	s_or_b64 exec, exec, s[6:7]
	s_and_saveexec_b64 s[0:1], s[4:5]
	s_cbranch_execz .LBB161_94
; %bb.93:
	v_mov_b32_e32 v47, 0
	v_lshl_add_u64 v[54:55], v[40:41], 0, v[46:47]
	global_load_ushort v34, v[54:55], off offset:96
	v_lshl_add_u64 v[46:47], v[38:39], 0, v[46:47]
	s_waitcnt vmcnt(0)
	v_lshlrev_b32_e32 v34, 16, v34
	v_sub_f32_e32 v34, v34, v35
	global_store_short_d16_hi v[46:47], v34, off offset:96
	v_mul_f32_e32 v34, v52, v34
	v_lshrrev_b32_e32 v47, 16, v34
.LBB161_94:
	s_or_b64 exec, exec, s[0:1]
	v_mov_b32_e32 v43, 0
	v_mov_b32_e32 v46, 0
	s_and_saveexec_b64 s[0:1], s[2:3]
	s_cbranch_execz .LBB161_96
; %bb.95:
	v_mov_b32_e32 v49, 0
	v_lshl_add_u64 v[34:35], v[40:41], 0, v[48:49]
	global_load_ushort v44, v[34:35], off offset:96
	v_lshl_add_u64 v[34:35], v[38:39], 0, v[48:49]
	s_waitcnt vmcnt(0)
	v_lshlrev_b32_e32 v44, 16, v44
	v_sub_f32_e32 v36, v44, v36
	global_store_short_d16_hi v[34:35], v36, off offset:96
	v_mul_f32_e32 v34, v62, v36
	v_lshrrev_b32_e32 v46, 16, v34
.LBB161_96:
	s_or_b64 exec, exec, s[0:1]
	v_or_b32_e32 v44, 0x6000, v58
	v_or_b32_e32 v36, 0x6000, v59
	;; [unrolled: 1-line block ×4, first 2 shown]
	s_and_saveexec_b64 s[0:1], vcc
	s_cbranch_execz .LBB161_98
; %bb.97:
	v_mov_b32_e32 v43, 0
	v_lshl_add_u64 v[40:41], v[40:41], 0, v[42:43]
	global_load_ushort v40, v[40:41], off offset:96
	v_lshl_add_u64 v[38:39], v[38:39], 0, v[42:43]
	s_waitcnt vmcnt(0)
	v_lshlrev_b32_e32 v40, 16, v40
	v_sub_f32_e32 v37, v40, v37
	global_store_short_d16_hi v[38:39], v37, off offset:96
	v_mul_f32_e32 v37, v50, v37
	v_lshrrev_b32_e32 v43, 16, v37
.LBB161_98:
	s_or_b64 exec, exec, s[0:1]
	s_mov_b32 s0, 0x5040100
	v_or_b32_e32 v37, v63, v51
	v_perm_b32 v39, v43, v46, s0
	v_perm_b32 v38, v47, v45, s0
	v_lshlrev_b32_e32 v37, 1, v37
	s_movk_i32 s0, 0x100
	ds_write_b64 v37, v[38:39] offset:24576
	v_and_b32_e32 v37, 7, v0
	v_and_b32_e32 v38, 8, v0
	v_cmp_gt_u32_e32 vcc, s0, v0
	v_lshrrev_b32_e32 v0, 1, v0
	v_lshlrev_b32_e32 v55, 3, v1
	v_and_b32_e32 v56, 24, v0
	v_mov_b32_e32 v39, 0xa000
	v_mov_b32_e32 v40, 0x8000
	v_xor_b32_e32 v0, v55, v56
	v_cndmask_b32_e32 v54, v39, v40, vcc
	v_or_b32_e32 v1, 0x440, v0
	v_cmp_eq_u32_e32 vcc, 0, v38
	v_lshlrev_b32_e32 v45, 3, v37
	v_lshlrev_b32_e32 v37, 7, v37
	v_cndmask_b32_e32 v0, v1, v0, vcc
	v_or_b32_e32 v0, v0, v57
	v_xad_u32 v67, v0, v45, v37
	v_or_b32_e32 v42, 32, v56
	v_add_u32_e32 v0, v54, v67
	v_xor_b32_e32 v42, v55, v42
	s_waitcnt lgkmcnt(0)
	s_barrier
	ds_read_b64 v[0:1], v0
	ds_read2_b64 v[38:41], v44 offset1:16
	ds_read2_b64 v[46:49], v44 offset0:32 offset1:48
	v_or_b32_e32 v43, 0x440, v42
	v_cndmask_b32_e32 v42, v43, v42, vcc
	v_or_b32_e32 v42, v42, v57
	v_xad_u32 v80, v42, v45, v37
	v_add_u32_e32 v42, v54, v80
	s_waitcnt lgkmcnt(1)
	v_mfma_f32_16x16x16_bf16 a[0:3], v[0:1], v[38:39], 0
	ds_read_b64 v[42:43], v42
	ds_read2st64_b64 v[50:53], v44 offset0:4 offset1:8
	ds_read2st64_b64 v[58:61], v36 offset0:4 offset1:8
	v_mfma_f32_16x16x16_bf16 a[4:7], v[0:1], v[40:41], 0
	ds_read2st64_b64 v[62:65], v35 offset0:4 offset1:8
	ds_read2st64_b64 v[76:79], v34 offset0:4 offset1:8
	s_waitcnt lgkmcnt(5)
	v_mfma_f32_16x16x16_bf16 a[8:11], v[0:1], v[46:47], 0
	v_mfma_f32_16x16x16_bf16 a[12:15], v[0:1], v[48:49], 0
	v_or_b32_e32 v0, 64, v56
	v_xor_b32_e32 v0, v55, v0
	v_xor_b32_e32 v1, 0x440, v0
	v_cndmask_b32_e32 v0, v1, v0, vcc
	v_or_b32_e32 v0, v0, v57
	v_xad_u32 v81, v0, v45, v37
	v_add_u32_e32 v0, v54, v81
	ds_read_b64 v[0:1], v0
	s_waitcnt lgkmcnt(4)
	v_mfma_f32_16x16x16_bf16 a[0:3], v[42:43], v[50:51], a[0:3]
	s_waitcnt lgkmcnt(3)
	v_mfma_f32_16x16x16_bf16 a[4:7], v[42:43], v[58:59], a[4:7]
	;; [unrolled: 2-line block ×4, first 2 shown]
	v_or_b32_e32 v42, 0x60, v56
	v_xor_b32_e32 v42, v55, v42
	v_xor_b32_e32 v43, 0x440, v42
	v_cndmask_b32_e32 v42, v43, v42, vcc
	v_or_b32_e32 v42, v42, v57
	v_xad_u32 v55, v42, v45, v37
	v_add_u32_e32 v37, v54, v55
	s_waitcnt lgkmcnt(0)
	v_mfma_f32_16x16x16_bf16 a[0:3], v[0:1], v[52:53], a[0:3]
	ds_read_b64 v[42:43], v37
	ds_read_b64 v[44:45], v44 offset:6144
	v_mfma_f32_16x16x16_bf16 a[4:7], v[0:1], v[60:61], a[4:7]
	v_mfma_f32_16x16x16_bf16 a[8:11], v[0:1], v[64:65], a[8:11]
	v_mfma_f32_16x16x16_bf16 a[12:15], v[0:1], v[78:79], a[12:15]
	ds_read_b64 v[0:1], v36 offset:6144
	ds_read_b64 v[36:37], v35 offset:6144
	;; [unrolled: 1-line block ×3, first 2 shown]
	s_waitcnt lgkmcnt(3)
	v_mfma_f32_16x16x16_bf16 a[0:3], v[42:43], v[44:45], a[0:3]
	s_waitcnt lgkmcnt(2)
	v_mfma_f32_16x16x16_bf16 a[4:7], v[42:43], v[0:1], a[4:7]
	;; [unrolled: 2-line block ×4, first 2 shown]
	ds_read_b64 v[42:43], v67 offset:40960
	s_waitcnt lgkmcnt(0)
	v_mfma_f32_16x16x16_bf16 a[16:19], v[42:43], v[38:39], 0
	ds_read_b64 v[38:39], v80 offset:40960
	v_mfma_f32_16x16x16_bf16 a[20:23], v[42:43], v[40:41], 0
	v_accvgpr_read_b32 v40, a0
	v_mfma_f32_16x16x16_bf16 a[24:27], v[42:43], v[46:47], 0
	v_accvgpr_read_b32 v46, a7
	v_mfma_f32_16x16x16_bf16 a[28:31], v[42:43], v[48:49], 0
	v_exp_f32_e32 v42, s18
	v_accvgpr_read_b32 v43, a3
	v_fma_f32 v6, v6, v42, v40
	v_accvgpr_read_b32 v40, a1
	v_fma_f32 v7, v7, v42, v40
	;; [unrolled: 2-line block ×3, first 2 shown]
	ds_read_b64 v[40:41], v81 offset:40960
	s_waitcnt lgkmcnt(1)
	v_mfma_f32_16x16x16_bf16 a[16:19], v[38:39], v[50:51], a[16:19]
	v_fmac_f32_e32 v43, v9, v42
	v_accvgpr_read_b32 v9, a4
	v_fma_f32 v14, v14, v42, v9
	v_mfma_f32_16x16x16_bf16 a[20:23], v[38:39], v[58:59], a[20:23]
	v_accvgpr_read_b32 v9, a5
	v_fma_f32 v15, v15, v42, v9
	v_accvgpr_read_b32 v9, a6
	v_mfma_f32_16x16x16_bf16 a[24:27], v[38:39], v[62:63], a[24:27]
	v_fma_f32 v16, v16, v42, v9
	v_accvgpr_read_b32 v9, a8
	v_fma_f32 v22, v22, v42, v9
	v_mfma_f32_16x16x16_bf16 a[0:3], v[38:39], v[76:77], a[28:31]
	ds_read_b64 v[38:39], v55 offset:40960
	v_accvgpr_read_b32 v9, a9
	v_fma_f32 v23, v23, v42, v9
	s_waitcnt lgkmcnt(1)
	v_mfma_f32_16x16x16_bf16 a[16:19], v[40:41], v[52:53], a[16:19]
	v_accvgpr_read_b32 v9, a10
	v_fma_f32 v24, v24, v42, v9
	v_accvgpr_read_b32 v9, a12
	v_mfma_f32_16x16x16_bf16 a[4:7], v[40:41], v[60:61], a[20:23]
	v_fma_f32 v30, v30, v42, v9
	v_fmac_f32_e32 v46, v17, v42
	v_mov_b32_e32 v17, v46
	v_mfma_f32_16x16x16_bf16 a[20:23], v[40:41], v[64:65], a[24:27]
	v_mfma_f32_16x16x16_bf16 a[0:3], v[40:41], v[78:79], a[0:3]
	v_accvgpr_read_b32 v40, a11
	v_fmac_f32_e32 v40, v25, v42
	s_waitcnt lgkmcnt(0)
	v_mfma_f32_16x16x16_bf16 a[8:11], v[38:39], v[44:45], a[16:19]
	v_mfma_f32_16x16x16_bf16 a[4:7], v[38:39], v[0:1], a[4:7]
	v_accvgpr_read_b32 v0, a13
	v_fma_f32 v31, v31, v42, v0
	v_accvgpr_read_b32 v0, a14
	s_nop 2
	v_accvgpr_read_b32 v1, a8
	v_fma_f32 v2, v2, v42, v1
	v_accvgpr_read_b32 v1, a9
	v_fma_f32 v3, v3, v42, v1
	v_accvgpr_read_b32 v1, a10
	v_mfma_f32_16x16x16_bf16 a[16:19], v[38:39], v[36:37], a[20:23]
	v_fma_f32 v4, v4, v42, v1
	v_accvgpr_read_b32 v1, a11
	v_fmac_f32_e32 v1, v5, v42
	v_mfma_f32_16x16x16_bf16 a[0:3], v[38:39], v[34:35], a[0:3]
	v_accvgpr_read_b32 v5, a4
	v_fma_f32 v10, v10, v42, v5
	v_accvgpr_read_b32 v5, a5
	v_fma_f32 v11, v11, v42, v5
	;; [unrolled: 2-line block ×3, first 2 shown]
	v_accvgpr_read_b32 v5, a16
	v_accvgpr_read_b32 v9, a0
	v_fma_f32 v18, v18, v42, v5
	v_accvgpr_read_b32 v5, a17
	v_fma_f32 v26, v26, v42, v9
	v_accvgpr_read_b32 v9, a1
	v_fma_f32 v19, v19, v42, v5
	v_accvgpr_read_b32 v5, a18
	v_fma_f32 v27, v27, v42, v9
	v_accvgpr_read_b32 v9, a2
	v_fma_f32 v32, v32, v42, v0
	v_accvgpr_read_b32 v0, a15
	v_accvgpr_read_b32 v25, a7
	v_fma_f32 v20, v20, v42, v5
	v_accvgpr_read_b32 v5, a19
	v_fma_f32 v28, v28, v42, v9
	v_accvgpr_read_b32 v9, a3
	v_fmac_f32_e32 v0, v33, v42
	v_fmac_f32_e32 v25, v13, v42
	;; [unrolled: 1-line block ×4, first 2 shown]
	v_mov_b32_e32 v29, v9
	v_mov_b32_e32 v33, v0
	;; [unrolled: 1-line block ×7, first 2 shown]
.LBB161_99:
	s_add_u32 s0, s10, s34
	s_addc_u32 s1, s11, s35
	v_lshl_add_u64 v[0:1], v[68:69], 2, s[0:1]
	v_mov_b32_e32 v67, 0
	v_lshl_add_u64 v[0:1], v[0:1], 0, v[66:67]
	s_waitcnt vmcnt(7)
	global_store_dwordx4 v[0:1], v[6:9], off
	s_waitcnt vmcnt(7)
	global_store_dwordx4 v[0:1], v[2:5], off offset:256
	v_lshl_add_u64 v[0:1], v[70:71], 2, s[0:1]
	v_lshl_add_u64 v[0:1], v[0:1], 0, v[66:67]
	s_waitcnt vmcnt(7)
	global_store_dwordx4 v[0:1], v[14:17], off
	s_waitcnt vmcnt(7)
	global_store_dwordx4 v[0:1], v[10:13], off offset:256
	v_lshl_add_u64 v[0:1], v[72:73], 2, s[0:1]
	;; [unrolled: 6-line block ×3, first 2 shown]
	v_lshl_add_u64 v[0:1], v[0:1], 0, v[66:67]
	s_waitcnt vmcnt(7)
	global_store_dwordx4 v[0:1], v[30:33], off
	s_waitcnt vmcnt(7)
	global_store_dwordx4 v[0:1], v[26:29], off offset:256
	s_endpgm
	.section	.rodata,"a",@progbits
	.p2align	6, 0x0
	.amdhsa_kernel _ZN12_GLOBAL__N_139chunk_gated_delta_rule_fwd_h_hip_kernelILi64ELb1ELb1ELb1ELb1ELb1ELb0ELb1ELb0EEEvPK12hip_bfloat16S3_S3_PKfS5_PKvPS1_S8_PvPKiSB_iiiiilll
		.amdhsa_group_segment_fixed_size 65536
		.amdhsa_private_segment_fixed_size 0
		.amdhsa_kernarg_size 136
		.amdhsa_user_sgpr_count 2
		.amdhsa_user_sgpr_dispatch_ptr 0
		.amdhsa_user_sgpr_queue_ptr 0
		.amdhsa_user_sgpr_kernarg_segment_ptr 1
		.amdhsa_user_sgpr_dispatch_id 0
		.amdhsa_user_sgpr_kernarg_preload_length 0
		.amdhsa_user_sgpr_kernarg_preload_offset 0
		.amdhsa_user_sgpr_private_segment_size 0
		.amdhsa_uses_dynamic_stack 0
		.amdhsa_enable_private_segment 0
		.amdhsa_system_sgpr_workgroup_id_x 1
		.amdhsa_system_sgpr_workgroup_id_y 1
		.amdhsa_system_sgpr_workgroup_id_z 0
		.amdhsa_system_sgpr_workgroup_info 0
		.amdhsa_system_vgpr_workitem_id 0
		.amdhsa_next_free_vgpr 224
		.amdhsa_next_free_sgpr 67
		.amdhsa_accum_offset 188
		.amdhsa_reserve_vcc 1
		.amdhsa_float_round_mode_32 0
		.amdhsa_float_round_mode_16_64 0
		.amdhsa_float_denorm_mode_32 3
		.amdhsa_float_denorm_mode_16_64 3
		.amdhsa_dx10_clamp 1
		.amdhsa_ieee_mode 1
		.amdhsa_fp16_overflow 0
		.amdhsa_tg_split 0
		.amdhsa_exception_fp_ieee_invalid_op 0
		.amdhsa_exception_fp_denorm_src 0
		.amdhsa_exception_fp_ieee_div_zero 0
		.amdhsa_exception_fp_ieee_overflow 0
		.amdhsa_exception_fp_ieee_underflow 0
		.amdhsa_exception_fp_ieee_inexact 0
		.amdhsa_exception_int_div_zero 0
	.end_amdhsa_kernel
	.section	.text._ZN12_GLOBAL__N_139chunk_gated_delta_rule_fwd_h_hip_kernelILi64ELb1ELb1ELb1ELb1ELb1ELb0ELb1ELb0EEEvPK12hip_bfloat16S3_S3_PKfS5_PKvPS1_S8_PvPKiSB_iiiiilll,"axG",@progbits,_ZN12_GLOBAL__N_139chunk_gated_delta_rule_fwd_h_hip_kernelILi64ELb1ELb1ELb1ELb1ELb1ELb0ELb1ELb0EEEvPK12hip_bfloat16S3_S3_PKfS5_PKvPS1_S8_PvPKiSB_iiiiilll,comdat
.Lfunc_end161:
	.size	_ZN12_GLOBAL__N_139chunk_gated_delta_rule_fwd_h_hip_kernelILi64ELb1ELb1ELb1ELb1ELb1ELb0ELb1ELb0EEEvPK12hip_bfloat16S3_S3_PKfS5_PKvPS1_S8_PvPKiSB_iiiiilll, .Lfunc_end161-_ZN12_GLOBAL__N_139chunk_gated_delta_rule_fwd_h_hip_kernelILi64ELb1ELb1ELb1ELb1ELb1ELb0ELb1ELb0EEEvPK12hip_bfloat16S3_S3_PKfS5_PKvPS1_S8_PvPKiSB_iiiiilll
                                        ; -- End function
	.section	.AMDGPU.csdata,"",@progbits
; Kernel info:
; codeLenInByte = 12448
; NumSgprs: 73
; NumVgprs: 188
; NumAgprs: 36
; TotalNumVgprs: 224
; ScratchSize: 0
; MemoryBound: 0
; FloatMode: 240
; IeeeMode: 1
; LDSByteSize: 65536 bytes/workgroup (compile time only)
; SGPRBlocks: 9
; VGPRBlocks: 27
; NumSGPRsForWavesPerEU: 73
; NumVGPRsForWavesPerEU: 224
; AccumOffset: 188
; Occupancy: 1
; WaveLimiterHint : 1
; COMPUTE_PGM_RSRC2:SCRATCH_EN: 0
; COMPUTE_PGM_RSRC2:USER_SGPR: 2
; COMPUTE_PGM_RSRC2:TRAP_HANDLER: 0
; COMPUTE_PGM_RSRC2:TGID_X_EN: 1
; COMPUTE_PGM_RSRC2:TGID_Y_EN: 1
; COMPUTE_PGM_RSRC2:TGID_Z_EN: 0
; COMPUTE_PGM_RSRC2:TIDIG_COMP_CNT: 0
; COMPUTE_PGM_RSRC3_GFX90A:ACCUM_OFFSET: 46
; COMPUTE_PGM_RSRC3_GFX90A:TG_SPLIT: 0
	.section	.text._ZN12_GLOBAL__N_139chunk_gated_delta_rule_fwd_h_hip_kernelILi64ELb1ELb1ELb0ELb1ELb1ELb0ELb1ELb0EEEvPK12hip_bfloat16S3_S3_PKfS5_PKvPS1_S8_PvPKiSB_iiiiilll,"axG",@progbits,_ZN12_GLOBAL__N_139chunk_gated_delta_rule_fwd_h_hip_kernelILi64ELb1ELb1ELb0ELb1ELb1ELb0ELb1ELb0EEEvPK12hip_bfloat16S3_S3_PKfS5_PKvPS1_S8_PvPKiSB_iiiiilll,comdat
	.globl	_ZN12_GLOBAL__N_139chunk_gated_delta_rule_fwd_h_hip_kernelILi64ELb1ELb1ELb0ELb1ELb1ELb0ELb1ELb0EEEvPK12hip_bfloat16S3_S3_PKfS5_PKvPS1_S8_PvPKiSB_iiiiilll ; -- Begin function _ZN12_GLOBAL__N_139chunk_gated_delta_rule_fwd_h_hip_kernelILi64ELb1ELb1ELb0ELb1ELb1ELb0ELb1ELb0EEEvPK12hip_bfloat16S3_S3_PKfS5_PKvPS1_S8_PvPKiSB_iiiiilll
	.p2align	8
	.type	_ZN12_GLOBAL__N_139chunk_gated_delta_rule_fwd_h_hip_kernelILi64ELb1ELb1ELb0ELb1ELb1ELb0ELb1ELb0EEEvPK12hip_bfloat16S3_S3_PKfS5_PKvPS1_S8_PvPKiSB_iiiiilll,@function
_ZN12_GLOBAL__N_139chunk_gated_delta_rule_fwd_h_hip_kernelILi64ELb1ELb1ELb0ELb1ELb1ELb0ELb1ELb0EEEvPK12hip_bfloat16S3_S3_PKfS5_PKvPS1_S8_PvPKiSB_iiiiilll: ; @_ZN12_GLOBAL__N_139chunk_gated_delta_rule_fwd_h_hip_kernelILi64ELb1ELb1ELb0ELb1ELb1ELb0ELb1ELb0EEEvPK12hip_bfloat16S3_S3_PKfS5_PKvPS1_S8_PvPKiSB_iiiiilll
; %bb.0:
	s_load_dwordx4 s[16:19], s[0:1], 0x5c
	s_load_dwordx2 s[4:5], s[0:1], 0x50
	s_abs_i32 s7, s3
	s_ashr_i32 s6, s3, 31
	s_load_dwordx4 s[12:15], s[0:1], 0x40
	s_load_dwordx4 s[20:23], s[0:1], 0x28
	s_waitcnt lgkmcnt(0)
	s_abs_i32 s10, s17
	v_cvt_f32_u32_e32 v1, s10
	s_sub_i32 s8, 0, s10
	s_ashr_i32 s11, s17, 31
	s_xor_b32 s6, s6, s11
	v_rcp_iflag_f32_e32 v1, v1
	v_and_b32_e32 v86, 15, v0
	v_bfe_u32 v85, v0, 4, 2
	v_mov_b32_e32 v67, 0
	v_mul_f32_e32 v1, 0x4f7ffffe, v1
	v_cvt_u32_f32_e32 v1, v1
	v_lshlrev_b32_e32 v87, 3, v0
	v_readfirstlane_b32 s9, v1
	s_mul_i32 s8, s8, s9
	s_mul_hi_u32 s8, s9, s8
	s_add_i32 s9, s9, s8
	s_mul_hi_u32 s8, s7, s9
	s_mul_i32 s9, s8, s10
	s_sub_i32 s7, s7, s9
	s_add_i32 s24, s8, 1
	s_sub_i32 s9, s7, s10
	s_cmp_ge_u32 s7, s10
	s_cselect_b32 s8, s24, s8
	s_cselect_b32 s7, s9, s7
	s_add_i32 s9, s8, 1
	s_cmp_ge_u32 s7, s10
	s_cselect_b32 s7, s9, s8
	s_xor_b32 s7, s7, s6
	s_sub_i32 s24, s7, s6
	s_mul_i32 s28, s24, s17
	s_ashr_i32 s25, s24, 31
	s_sub_i32 s49, s3, s28
	s_lshl_b64 s[6:7], s[24:25], 2
	s_add_u32 s8, s14, s6
	s_addc_u32 s9, s15, s7
	s_add_u32 s26, s4, s6
	s_addc_u32 s27, s5, s7
	s_abs_i32 s3, s18
	v_cvt_f32_u32_e32 v1, s3
	s_load_dwordx2 s[36:37], s[8:9], 0x0
	s_sub_i32 s5, 0, s3
	s_lshl_b32 s2, s2, 6
	v_rcp_iflag_f32_e32 v1, v1
	v_or_b32_e32 v76, s2, v86
	s_waitcnt lgkmcnt(0)
	s_sub_i32 s52, s37, s36
	s_ashr_i32 s4, s52, 31
	v_mul_f32_e32 v1, 0x4f7ffffe, v1
	v_cvt_u32_f32_e32 v1, v1
	s_lshr_b32 s4, s4, 26
	s_add_i32 s4, s52, s4
	s_ashr_i32 s51, s4, 6
	v_readfirstlane_b32 s6, v1
	s_mul_i32 s5, s5, s6
	s_mul_hi_u32 s5, s6, s5
	s_add_i32 s6, s6, s5
	s_mul_hi_u32 s5, s10, s6
	s_mul_i32 s6, s5, s3
	s_ashr_i32 s4, s18, 31
	s_sub_i32 s6, s10, s6
	s_xor_b32 s4, s11, s4
	s_add_i32 s7, s5, 1
	s_sub_i32 s8, s6, s3
	s_cmp_ge_u32 s6, s3
	s_cselect_b32 s5, s7, s5
	s_cselect_b32 s6, s8, s6
	s_add_i32 s7, s5, 1
	s_cmp_ge_u32 s6, s3
	s_cselect_b32 s3, s7, s5
	s_xor_b32 s3, s3, s4
	s_sub_i32 s3, s3, s4
	s_abs_i32 s4, s3
	v_cvt_f32_u32_e32 v1, s4
	s_sub_i32 s6, 0, s4
	s_abs_i32 s5, s49
	s_xor_b32 s3, s49, s3
	v_rcp_iflag_f32_e32 v2, v1
	s_ashr_i32 s3, s3, 31
	v_lshrrev_b32_e32 v1, 6, v0
	v_lshlrev_b32_e32 v84, 4, v1
	v_mul_f32_e32 v2, 0x4f7ffffe, v2
	v_cvt_u32_f32_e32 v2, v2
	v_lshlrev_b32_e32 v68, 7, v76
	v_lshl_or_b32 v89, v85, 2, v84
	v_ashrrev_i32_e32 v69, 31, v68
	v_readfirstlane_b32 s7, v2
	s_mul_i32 s6, s6, s7
	s_mul_hi_u32 s6, s7, s6
	s_add_i32 s7, s7, s6
	s_mul_hi_u32 s6, s5, s7
	s_mul_i32 s7, s6, s4
	s_sub_i32 s5, s5, s7
	s_add_i32 s7, s6, 1
	s_sub_i32 s8, s5, s4
	s_cmp_ge_u32 s5, s4
	s_cselect_b32 s6, s7, s6
	s_cselect_b32 s5, s8, s5
	s_add_i32 s7, s6, 1
	s_cmp_ge_u32 s5, s4
	s_cselect_b32 s4, s7, s6
	s_xor_b32 s4, s4, s3
	s_sub_i32 s53, s4, s3
	s_ashr_i32 s50, s49, 31
	s_mul_hi_i32 s3, s24, s17
	s_add_u32 s4, s28, s49
	s_addc_u32 s5, s3, s50
	s_lshl_b64 s[14:15], s[4:5], 16
	s_add_u32 s4, s20, s14
	s_addc_u32 s5, s21, s15
	v_lshl_add_u64 v[2:3], v[68:69], 2, s[4:5]
	v_lshlrev_b32_e32 v66, 2, v89
	v_or_b32_e32 v70, 0x800, v68
	v_lshl_add_u64 v[10:11], v[2:3], 0, v[66:67]
	v_ashrrev_i32_e32 v71, 31, v70
	global_load_dwordx4 v[6:9], v[10:11], off
	global_load_dwordx4 v[2:5], v[10:11], off offset:256
	v_lshl_add_u64 v[10:11], v[70:71], 2, s[4:5]
	v_or_b32_e32 v72, 0x1000, v68
	v_lshl_add_u64 v[18:19], v[10:11], 0, v[66:67]
	v_ashrrev_i32_e32 v73, 31, v72
	global_load_dwordx4 v[14:17], v[18:19], off
	global_load_dwordx4 v[10:13], v[18:19], off offset:256
	v_lshl_add_u64 v[18:19], v[72:73], 2, s[4:5]
	;; [unrolled: 6-line block ×3, first 2 shown]
	v_lshl_add_u64 v[34:35], v[26:27], 0, v[66:67]
	global_load_dwordx4 v[30:33], v[34:35], off
	global_load_dwordx4 v[26:29], v[34:35], off offset:256
	s_load_dwordx8 s[4:11], s[0:1], 0x0
	s_load_dwordx2 s[34:35], s[0:1], 0x80
	s_load_dwordx4 s[28:31], s[0:1], 0x70
	s_load_dword s54, s[26:27], 0x0
	v_and_b32_e32 v67, 63, v0
	v_or_b32_e32 v90, 64, v89
	s_cmp_lt_i32 s52, 64
	s_mul_hi_i32 s55, s49, s16
	s_mul_i32 s56, s49, s16
	v_lshrrev_b32_e32 v88, 3, v67
	s_waitcnt lgkmcnt(0)
	s_mul_i32 s33, s24, s29
	s_mul_hi_u32 s45, s24, s28
	s_mul_i32 s44, s25, s28
	s_mul_i32 s40, s24, s28
	s_mul_i32 s46, s49, s31
	s_mul_hi_u32 s47, s49, s30
	s_mul_i32 s48, s50, s30
	s_mul_i32 s38, s49, s30
	s_cbranch_scc1 .LBB162_18
; %bb.1:
	s_ashr_i32 s1, s36, 31
	s_add_u32 s0, s56, s36
	s_addc_u32 s1, s55, s1
	s_lshl_b64 s[0:1], s[0:1], 8
	v_and_b32_e32 v92, 56, v87
	s_add_u32 s24, s6, s0
	v_lshl_or_b32 v91, v1, 3, v88
	v_lshlrev_b32_e32 v34, 1, v92
	s_addc_u32 s0, s7, s1
	v_lshl_or_b32 v93, v91, 8, v34
	s_and_b32 s25, s0, 0xffff
	s_mov_b32 s27, 0x20000
	s_movk_i32 s26, 0x4000
	s_movk_i32 s0, 0x80
	v_or_b32_e32 v94, 0x2000, v93
	buffer_load_dwordx4 v[36:39], v93, s[24:27], 0 offen
	buffer_load_dwordx4 v[40:43], v93, s[24:27], s0 offen
	;; [unrolled: 1-line block ×4, first 2 shown]
	v_lshlrev_b32_e32 v35, 3, v91
	v_and_or_b32 v53, v0, 7, v35
	v_and_b32_e32 v35, 0x78, v35
	v_lshlrev_b32_e32 v53, 4, v53
	v_xor_b32_e32 v95, v53, v35
	v_mul_lo_u32 v52, v91, s19
	v_or_b32_e32 v96, 0x1000, v95
	v_xor_b32_e32 v35, 8, v95
	s_cmpk_eq_i32 s19, 0x80
	s_mov_b32 s57, s36
	v_xor_b32_e32 v53, 8, v96
	s_cselect_b64 s[0:1], -1, 0
	s_cmpk_lg_i32 s19, 0x80
	s_waitcnt vmcnt(3)
	ds_write_b64 v95, v[36:37] offset:49152
	ds_write_b64 v35, v[38:39] offset:49152
	s_waitcnt vmcnt(2)
	ds_write_b64 v95, v[40:41] offset:57344
	ds_write_b64 v35, v[42:43] offset:57344
	s_waitcnt vmcnt(1)
	ds_write_b64 v95, v[44:45] offset:53248
	ds_write_b64 v53, v[46:47] offset:49152
	s_waitcnt vmcnt(0)
	ds_write_b64 v95, v[48:49] offset:61440
	ds_write_b64 v53, v[50:51] offset:57344
	v_lshl_add_u32 v35, v52, 1, v92
	s_cbranch_scc0 .LBB162_3
; %bb.2:
	v_lshlrev_b32_e32 v37, 1, v35
	v_add_lshl_u32 v36, v35, s19, 1
	s_lshl_b32 s26, s19, 7
	v_lshl_or_b32 v34, v91, 9, v34
	s_cbranch_execz .LBB162_4
	s_branch .LBB162_5
.LBB162_3:
                                        ; implicit-def: $vgpr36
                                        ; implicit-def: $vgpr37
                                        ; implicit-def: $sgpr26
	v_lshl_or_b32 v34, v91, 9, v34
.LBB162_4:
	v_or_b32_e32 v36, 0x100, v34
	s_movk_i32 s26, 0x4000
	v_mov_b32_e32 v37, v34
.LBB162_5:
	s_mul_i32 s20, s36, s18
	s_ashr_i32 s58, s53, 31
	s_mul_hi_i32 s3, s36, s18
	s_add_u32 s20, s20, s53
	s_addc_u32 s21, s3, s58
	s_lshl_b64 s[20:21], s[20:21], 8
	s_add_u32 s24, s4, s20
	s_addc_u32 s3, s5, s21
	s_and_b32 s25, s3, 0xffff
	s_movk_i32 s59, 0x80
	buffer_load_dwordx4 v[38:41], v37, s[24:27], 0 offen
	buffer_load_dwordx4 v[42:45], v37, s[24:27], s59 offen
	;; [unrolled: 1-line block ×4, first 2 shown]
	v_and_b32_e32 v37, 6, v0
	v_lshlrev_b32_e32 v36, 7, v89
	v_xor_b32_e32 v59, v91, v37
	v_and_b32_e32 v54, 1, v0
	v_lshl_or_b32 v62, v86, 3, v36
	v_lshlrev_b32_e32 v59, 2, v59
	v_lshlrev_b32_e32 v55, 2, v86
	v_or_b32_e32 v97, 0x4000, v62
	v_or_b32_e32 v98, 0x6000, v62
	v_xor_b32_e32 v62, 0x440, v59
	v_cmp_eq_u32_e32 vcc, 0, v54
	v_or_b32_e32 v57, 16, v86
	v_or_b32_e32 v58, 32, v86
	v_xor_b32_e32 v60, v89, v55
	v_xor_b32_e32 v61, v90, v55
	v_cndmask_b32_e32 v54, v62, v59, vcc
	s_mov_b32 s60, 0x1000504
	v_lshl_or_b32 v63, v57, 3, v36
	v_lshlrev_b32_e32 v57, 8, v57
	v_lshl_or_b32 v64, v58, 3, v36
	v_lshlrev_b32_e32 v60, 1, v60
	v_lshlrev_b32_e32 v61, 1, v61
	v_lshl_or_b32 v37, v37, 10, v54
	s_add_i32 s3, s45, s33
	s_mov_b32 s61, 0x3020706
	v_lshlrev_b32_e32 v56, 8, v86
	v_or_b32_e32 v101, 0x4000, v64
	v_or_b32_e32 v102, 0x6000, v64
	;; [unrolled: 1-line block ×4, first 2 shown]
	v_xor_b32_e32 v54, 8, v37
	v_xor_b32_e32 v57, 24, v37
	;; [unrolled: 1-line block ×4, first 2 shown]
	s_add_i32 s41, s3, s44
	s_add_i32 s3, s47, s46
	v_or_b32_e32 v99, 0x4000, v63
	v_or_b32_e32 v100, 0x6000, v63
	v_or_b32_e32 v103, v56, v60
	v_or_b32_e32 v104, v56, v61
	v_xor_b32_e32 v56, 16, v37
	v_xor_b32_e32 v59, 32, v37
	;; [unrolled: 1-line block ×3, first 2 shown]
	v_add_u32_e32 v54, 0x80, v54
	v_add_u32_e32 v57, 0x80, v57
	;; [unrolled: 1-line block ×4, first 2 shown]
	s_add_i32 s39, s3, s48
	s_lshl_b64 s[20:21], s[40:41], 2
	s_add_u32 s3, s10, s20
	s_addc_u32 s24, s11, s21
	s_lshl_b64 s[20:21], s[38:39], 2
	s_add_u32 s20, s3, s20
	s_movk_i32 s3, 0xf8
	s_addc_u32 s21, s24, s21
	s_lshl_b32 s30, s19, 7
	s_movk_i32 s28, 0x100
	v_mov_b32_e32 v79, 0
	v_lshlrev_b32_e32 v78, 4, v86
	v_cmp_gt_u32_e32 vcc, s28, v0
	v_lshlrev_b32_e32 v58, 8, v58
	s_mov_b32 s62, 0
	s_movk_i32 s26, 0x4000
	v_or_b32_e32 v107, v58, v60
	v_or_b32_e32 v108, v58, v61
	s_movk_i32 s39, 0x2000
	s_movk_i32 s41, 0x3000
	s_waitcnt vmcnt(1)
	v_perm_b32 v65, v38, v46, s60
	s_waitcnt vmcnt(0)
	v_perm_b32 v77, v42, v50, s60
	v_perm_b32 v38, v38, v46, s61
	;; [unrolled: 1-line block ×15, first 2 shown]
	ds_write2st64_b32 v37, v65, v77 offset0:128 offset1:160
	ds_write2st64_b32 v54, v38, v42 offset0:128 offset1:160
	;; [unrolled: 1-line block ×8, first 2 shown]
	v_or_b32_e32 v37, 48, v86
	v_lshl_or_b32 v38, v37, 3, v36
	v_lshlrev_b32_e32 v37, 8, v37
	v_or_b32_e32 v111, v37, v60
	v_or_b32_e32 v112, v37, v61
	;; [unrolled: 1-line block ×3, first 2 shown]
	v_lshlrev_b32_e32 v37, 3, v37
	v_lshrrev_b32_e32 v39, 5, v67
	v_and_or_b32 v39, v37, s3, v39
	v_lshlrev_b32_e32 v39, 4, v39
	v_lshlrev_b32_e32 v40, 11, v1
	v_and_b32_e32 v37, 0x78, v37
	v_or_b32_e32 v45, 32, v39
	v_or_b32_e32 v109, 0x4000, v38
	;; [unrolled: 1-line block ×3, first 2 shown]
	v_and_b32_e32 v38, 0x1000, v40
	v_xor_b32_e32 v41, v39, v37
	v_lshrrev_b32_e32 v42, 1, v0
	v_xor_b32_e32 v45, v45, v37
	v_or_b32_e32 v41, v41, v38
	v_and_b32_e32 v43, 8, v42
	v_or_b32_e32 v45, v45, v38
	v_xor_b32_e32 v113, v41, v43
	v_lshlrev_b32_e32 v41, 8, v85
	v_xor_b32_e32 v115, v45, v43
	v_or_b32_e32 v45, 64, v39
	v_or_b32_e32 v39, 0x60, v39
	s_ashr_i32 s3, s2, 31
	v_or_b32_e32 v44, v41, v55
	v_xor_b32_e32 v45, v45, v37
	v_xor_b32_e32 v37, v39, v37
	s_lshl_b64 s[24:25], s[2:3], 8
	v_lshlrev_b32_e32 v44, 1, v44
	v_or_b32_e32 v45, v45, v38
	v_or_b32_e32 v37, v37, v38
	s_add_u32 s24, s22, s24
	v_lshlrev_b32_e32 v38, 1, v86
	v_or_b32_e32 v114, 0x4000, v44
	v_or_b32_e32 v116, 0x4080, v44
	;; [unrolled: 1-line block ×8, first 2 shown]
	v_lshrrev_b32_e32 v44, 4, v0
	s_addc_u32 s25, s23, s25
	v_or_b32_e32 v39, 1, v38
	v_mov_b32_e32 v48, 0xa000
	v_mov_b32_e32 v49, 0x8000
	v_xor_b32_e32 v119, v45, v43
	v_xor_b32_e32 v45, v44, v38
	;; [unrolled: 1-line block ×3, first 2 shown]
	v_lshl_add_u64 v[38:39], s[24:25], 0, v[78:79]
	v_lshlrev_b32_e32 v78, 8, v44
	v_cndmask_b32_e32 v48, v48, v49, vcc
	v_lshlrev_b32_e32 v49, 3, v1
	v_and_b32_e32 v42, 24, v42
	v_lshl_or_b32 v125, v45, 3, v78
	v_and_b32_e32 v45, 8, v0
	v_xor_b32_e32 v50, v49, v42
	v_or_b32_e32 v51, 0x440, v50
	v_cmp_eq_u32_e32 vcc, 0, v45
	v_and_b32_e32 v44, 7, v0
	v_lshl_or_b32 v126, v46, 3, v78
	v_cndmask_b32_e32 v45, v51, v50, vcc
	v_lshlrev_b32_e32 v46, 3, v44
	v_lshlrev_b32_e32 v44, 7, v44
	v_or_b32_e32 v45, v45, v40
	v_lshlrev_b32_e32 v47, 2, v0
	v_xad_u32 v127, v45, v46, v44
	v_or_b32_e32 v45, 32, v42
	v_and_or_b32 v41, v47, 60, v41
	v_xor_b32_e32 v45, v49, v45
	v_lshlrev_b32_e32 v41, 1, v41
	v_or_b32_e32 v47, 0x440, v45
	v_or_b32_e32 v128, 0x6000, v41
	v_cndmask_b32_e32 v45, v47, v45, vcc
	v_or_b32_e32 v130, 0x6080, v41
	v_or_b32_e32 v131, 0x6100, v41
	;; [unrolled: 1-line block ×5, first 2 shown]
	v_xor_b32_e32 v41, v49, v41
	v_xad_u32 v129, v45, v46, v44
	v_xor_b32_e32 v45, 0x440, v41
	v_cndmask_b32_e32 v41, v45, v41, vcc
	v_or_b32_e32 v41, v41, v40
	v_xad_u32 v133, v41, v46, v44
	v_or_b32_e32 v41, 0x60, v42
	v_xor_b32_e32 v41, v49, v41
	v_xor_b32_e32 v42, 0x440, v41
	v_cndmask_b32_e32 v41, v42, v41, vcc
	v_or_b32_e32 v40, v41, v40
	v_xor_b32_e32 v120, v37, v43
	v_ashrrev_i32_e32 v77, 31, v76
	v_lshlrev_b32_e32 v37, 1, v35
	v_add_lshl_u32 v35, v35, s19, 1
	v_or_b32_e32 v43, 0x100, v34
	v_xad_u32 v134, v40, v46, v44
	v_cndmask_b32_e64 v135, v37, v34, s[0:1]
	v_cndmask_b32_e64 v136, v35, v43, s[0:1]
	v_lshl_add_u64 v[80:81], v[76:77], 1, s[8:9]
	v_lshl_add_u64 v[82:83], v[38:39], 0, v[78:79]
	s_mov_b32 s3, 0x7060302
	v_lshlrev_b32_e32 v78, 1, v36
	v_add_u32_e32 v77, v48, v127
	v_add_u32_e32 v137, v48, v129
	;; [unrolled: 1-line block ×4, first 2 shown]
	s_waitcnt lgkmcnt(0)
	s_barrier
.LBB162_6:                              ; =>This Inner Loop Header: Depth=1
	s_add_i32 s63, s62, 1
	s_cmp_lt_i32 s63, s51
	s_mov_b64 s[28:29], 0
	s_cselect_b64 s[42:43], -1, 0
	s_cmp_ge_i32 s63, s51
	s_mov_b64 s[24:25], 0
	s_cbranch_scc1 .LBB162_8
; %bb.7:                                ;   in Loop: Header=BB162_6 Depth=1
	s_add_i32 s0, s57, 64
	s_ashr_i32 s1, s0, 31
	s_add_u32 s0, s56, s0
	s_addc_u32 s1, s55, s1
	s_lshl_b64 s[0:1], s[0:1], 8
	s_add_u32 s24, s6, s0
	s_addc_u32 s25, s7, s1
.LBB162_8:                              ;   in Loop: Header=BB162_6 Depth=1
	v_cndmask_b32_e64 v34, 0, 1, s[42:43]
	v_cmp_ne_u32_e64 s[0:1], 1, v34
	s_andn2_b64 vcc, exec, s[42:43]
	s_cbranch_vccnz .LBB162_10
; %bb.9:                                ;   in Loop: Header=BB162_6 Depth=1
	s_add_i32 s28, s57, 64
	s_mul_hi_i32 s29, s28, s18
	s_mul_i32 s28, s28, s18
	s_add_u32 s28, s28, s53
	s_addc_u32 s29, s29, s58
	s_lshl_b64 s[28:29], s[28:29], 8
	s_add_u32 s28, s4, s28
	s_addc_u32 s29, s5, s29
.LBB162_10:                             ;   in Loop: Header=BB162_6 Depth=1
	v_perm_b32 v35, v9, v8, s3
	v_perm_b32 v34, v7, v6, s3
	v_perm_b32 v37, v5, v4, s3
	v_perm_b32 v36, v3, v2, s3
	ds_write_b64 v97, v[34:35]
	ds_write_b64 v98, v[36:37]
	ds_write_b64 v103, v[34:35]
	ds_write_b64 v104, v[36:37]
	v_perm_b32 v35, v17, v16, s3
	v_perm_b32 v34, v15, v14, s3
	v_perm_b32 v37, v13, v12, s3
	v_perm_b32 v36, v11, v10, s3
	ds_write_b64 v99, v[34:35]
	ds_write_b64 v100, v[36:37]
	ds_write_b64 v105, v[34:35]
	ds_write_b64 v106, v[36:37]
	;; [unrolled: 8-line block ×4, first 2 shown]
	s_waitcnt lgkmcnt(0)
	s_barrier
	ds_read_b64 v[38:39], v113 offset:49152
	ds_read2_b64 v[34:37], v114 offset1:16
	ds_read_b64 v[50:51], v116 offset:6144
	ds_read_b64 v[52:53], v114 offset:6144
	s_waitcnt lgkmcnt(2)
	v_mfma_f32_16x16x16_bf16 a[0:3], v[38:39], v[34:35], 0
	ds_read_b64 v[54:55], v115 offset:49152
	ds_read2st64_b64 v[42:45], v117 offset0:4 offset1:8
	ds_read2st64_b64 v[46:49], v118 offset0:4 offset1:8
	v_mfma_f32_16x16x16_bf16 a[4:7], v[38:39], v[36:37], 0
	ds_read2_b64 v[34:37], v114 offset0:32 offset1:48
	s_add_i32 s31, s57, 63
	s_ashr_i32 s42, s31, 31
	s_waitcnt lgkmcnt(0)
	v_mfma_f32_16x16x16_bf16 a[8:11], v[38:39], v[34:35], 0
	s_mul_i32 s43, s31, s35
	s_mul_hi_u32 s64, s31, s34
	s_add_i32 s43, s64, s43
	v_mfma_f32_16x16x16_bf16 a[12:15], v[38:39], v[36:37], 0
	ds_read2st64_b64 v[34:37], v114 offset0:4 offset1:8
	ds_read2st64_b64 v[38:41], v116 offset0:4 offset1:8
	s_mul_i32 s42, s42, s34
	s_waitcnt lgkmcnt(1)
	v_mfma_f32_16x16x16_bf16 a[0:3], v[54:55], v[34:35], a[0:3]
	s_add_i32 s43, s43, s42
	s_mul_i32 s42, s31, s34
	s_lshl_b64 s[42:43], s[42:43], 2
	s_waitcnt lgkmcnt(0)
	v_mfma_f32_16x16x16_bf16 a[4:7], v[54:55], v[38:39], a[4:7]
	s_add_u32 s42, s20, s42
	s_addc_u32 s43, s21, s43
	s_and_b64 vcc, exec, s[0:1]
	v_mfma_f32_16x16x16_bf16 a[8:11], v[54:55], v[42:43], a[8:11]
	ds_read_b64 v[34:35], v119 offset:49152
	ds_read_b64 v[38:39], v120 offset:49152
	;; [unrolled: 1-line block ×3, first 2 shown]
	v_mov_b32_e32 v142, 0
	v_mov_b32_e32 v141, 0
	v_mfma_f32_16x16x16_bf16 a[12:15], v[54:55], v[46:47], a[12:15]
	v_mov_b32_e32 v140, 0
	v_mov_b32_e32 v46, 0
	;; [unrolled: 1-line block ×3, first 2 shown]
	s_waitcnt lgkmcnt(2)
	v_mfma_f32_16x16x16_bf16 a[0:3], v[34:35], v[36:37], a[0:3]
	v_mov_b32_e32 v36, 0
	v_mov_b32_e32 v37, 0
	v_mfma_f32_16x16x16_bf16 a[16:19], v[34:35], v[40:41], a[4:7]
	v_mov_b32_e32 v40, 0
	v_mov_b32_e32 v41, 0
	;; [unrolled: 3-line block ×3, first 2 shown]
	v_mfma_f32_16x16x16_bf16 a[24:27], v[34:35], v[48:49], a[12:15]
	ds_read_b64 v[34:35], v117 offset:6144
	v_mov_b32_e32 v48, 0
	v_mov_b32_e32 v49, 0
	s_waitcnt lgkmcnt(2)
	v_mfma_f32_16x16x16_bf16 a[4:7], v[38:39], v[52:53], a[0:3]
	v_mfma_f32_16x16x16_bf16 a[8:11], v[38:39], v[50:51], a[16:19]
	s_waitcnt lgkmcnt(0)
	v_mfma_f32_16x16x16_bf16 a[12:15], v[38:39], v[34:35], a[20:23]
	v_mov_b32_e32 v34, 0
	v_mov_b32_e32 v35, 0
	v_mfma_f32_16x16x16_bf16 a[0:3], v[38:39], v[42:43], a[24:27]
	v_mov_b32_e32 v38, 0
	v_mov_b32_e32 v39, 0
	;; [unrolled: 1-line block ×4, first 2 shown]
	s_cbranch_vccnz .LBB162_12
; %bb.11:                               ;   in Loop: Header=BB162_6 Depth=1
	s_and_b32 s25, s25, 0xffff
	buffer_load_dwordx4 v[46:49], v93, s[24:27], 0 offen
	buffer_load_dwordx4 v[42:45], v93, s[24:27], s59 offen
	;; [unrolled: 1-line block ×4, first 2 shown]
	v_mov_b32_e32 v141, v95
	v_mov_b32_e32 v140, v96
.LBB162_12:                             ;   in Loop: Header=BB162_6 Depth=1
	ds_read_b64 v[144:145], v113 offset:57344
	ds_read2_b64 v[50:53], v121 offset1:16
	ds_read_b64 v[146:147], v115 offset:57344
	ds_read_b64 v[148:149], v119 offset:57344
	;; [unrolled: 1-line block ×3, first 2 shown]
	v_add_u32_e32 v143, s57, v89
	s_waitcnt lgkmcnt(3)
	v_mfma_f32_16x16x16_bf16 a[4:7], v[144:145], v[50:51], a[4:7]
	v_mfma_f32_16x16x16_bf16 a[8:11], v[144:145], v[52:53], a[8:11]
	ds_read2_b64 v[50:53], v121 offset0:32 offset1:48
	ds_read2st64_b64 v[54:57], v121 offset0:4 offset1:8
	ds_read2st64_b64 v[58:61], v122 offset0:4 offset1:8
	;; [unrolled: 1-line block ×3, first 2 shown]
	s_waitcnt lgkmcnt(3)
	v_mfma_f32_16x16x16_bf16 a[12:15], v[144:145], v[50:51], a[12:15]
	v_ashrrev_i32_e32 v50, 31, v143
	v_mfma_f32_16x16x16_bf16 a[0:3], v[144:145], v[52:53], a[0:3]
	v_mul_lo_u32 v52, v50, s34
	v_mul_lo_u32 v53, v143, s35
	v_mad_u64_u32 v[50:51], s[24:25], v143, s34, 0
	v_add3_u32 v51, v51, v53, v52
	v_add_u32_e32 v52, 1, v143
	v_ashrrev_i32_e32 v53, 31, v52
	s_waitcnt lgkmcnt(2)
	v_mfma_f32_16x16x16_bf16 a[4:7], v[146:147], v[54:55], a[4:7]
	v_mul_lo_u32 v54, v53, s34
	v_mul_lo_u32 v55, v52, s35
	v_mad_u64_u32 v[52:53], s[24:25], v52, s34, 0
	v_add3_u32 v53, v53, v55, v54
	v_add_u32_e32 v54, 2, v143
	v_ashrrev_i32_e32 v55, 31, v54
	s_waitcnt lgkmcnt(1)
	v_mfma_f32_16x16x16_bf16 a[8:11], v[146:147], v[58:59], a[8:11]
	v_mul_lo_u32 v58, v55, s34
	v_mul_lo_u32 v59, v54, s35
	v_mad_u64_u32 v[54:55], s[24:25], v54, s34, 0
	v_add3_u32 v55, v55, v59, v58
	v_add_u32_e32 v58, 3, v143
	v_ashrrev_i32_e32 v59, 31, v58
	v_mul_lo_u32 v143, v59, s34
	v_mul_lo_u32 v144, v58, s35
	v_mad_u64_u32 v[58:59], s[24:25], v58, s34, 0
	s_ashr_i32 s25, s57, 31
	s_add_u32 s24, s56, s57
	s_addc_u32 s25, s55, s25
	v_lshl_add_u64 v[50:51], v[50:51], 2, s[20:21]
	v_add3_u32 v59, v59, v144, v143
	s_lshl_b64 s[24:25], s[24:25], 8
	v_lshl_add_u64 v[52:53], v[52:53], 2, s[20:21]
	v_lshl_add_u64 v[54:55], v[54:55], 2, s[20:21]
	;; [unrolled: 1-line block ×3, first 2 shown]
	global_load_dword v143, v[50:51], off
	global_load_dword v144, v[52:53], off
	;; [unrolled: 1-line block ×4, first 2 shown]
	v_lshl_add_u64 v[50:51], v[80:81], 0, s[24:25]
	v_lshl_add_u64 v[54:55], v[50:51], 0, v[78:79]
	global_load_ushort v153, v[54:55], off offset:256
	global_load_ushort v154, v[54:55], off
	ds_read2st64_b64 v[50:53], v124 offset0:4 offset1:8
	global_load_ushort v155, v[54:55], off offset:768
	global_load_ushort v156, v[54:55], off offset:512
	s_waitcnt lgkmcnt(1)
	v_mfma_f32_16x16x16_bf16 a[12:15], v[146:147], v[62:63], a[12:15]
	s_and_b64 vcc, exec, s[0:1]
	s_waitcnt vmcnt(3)
	v_lshlrev_b32_e32 v63, 16, v153
	s_waitcnt lgkmcnt(0)
	v_mfma_f32_16x16x16_bf16 a[0:3], v[146:147], v[50:51], a[0:3]
	global_load_ushort v146, v[54:55], off offset:288
	global_load_ushort v147, v[54:55], off offset:32
	;; [unrolled: 1-line block ×8, first 2 shown]
	v_mfma_f32_16x16x16_bf16 a[4:7], v[148:149], v[56:57], a[4:7]
	ds_read_b64 v[50:51], v121 offset:6144
	s_waitcnt vmcnt(10)
	v_lshlrev_b32_e32 v62, 16, v154
	v_mfma_f32_16x16x16_bf16 a[8:11], v[148:149], v[60:61], a[8:11]
	v_mfma_f32_16x16x16_bf16 a[12:15], v[148:149], v[64:65], a[12:15]
	;; [unrolled: 1-line block ×3, first 2 shown]
	global_load_ushort v148, v[54:55], off offset:352
	global_load_ushort v149, v[54:55], off offset:96
	ds_read_b64 v[52:53], v122 offset:6144
	ds_read_b64 v[56:57], v123 offset:6144
	;; [unrolled: 1-line block ×3, first 2 shown]
	global_load_ushort v163, v[54:55], off offset:864
	global_load_ushort v164, v[54:55], off offset:608
	s_load_dword s24, s[42:43], 0x0
	s_waitcnt lgkmcnt(0)
	v_mfma_f32_16x16x16_bf16 a[4:7], v[150:151], v[50:51], a[4:7]
	v_sub_f32_e32 v60, s24, v145
	v_mfma_f32_16x16x16_bf16 a[0:3], v[150:151], v[58:59], a[0:3]
	v_sub_f32_e32 v58, s24, v143
	v_sub_f32_e32 v59, s24, v144
	v_sub_f32_e32 v61, s24, v152
	v_mfma_f32_16x16x16_bf16 a[8:11], v[150:151], v[52:53], a[8:11]
	v_exp_f32_e32 v58, v58
	v_exp_f32_e32 v59, v59
	;; [unrolled: 1-line block ×4, first 2 shown]
	v_accvgpr_read_b32 v65, a5
	v_accvgpr_read_b32 v64, a4
	;; [unrolled: 1-line block ×4, first 2 shown]
	v_pk_add_f32 v[62:63], v[62:63], v[64:65] neg_lo:[0,1] neg_hi:[0,1]
	s_waitcnt vmcnt(13)
	v_lshlrev_b32_e32 v65, 16, v155
	s_waitcnt vmcnt(12)
	v_lshlrev_b32_e32 v64, 16, v156
	v_pk_add_f32 v[50:51], v[64:65], v[50:51] neg_lo:[0,1] neg_hi:[0,1]
	v_pk_mul_f32 v[62:63], v[58:59], v[62:63]
	v_pk_mul_f32 v[50:51], v[60:61], v[50:51]
	v_accvgpr_read_b32 v65, a9
	v_perm_b32 v51, v51, v50, s3
	v_perm_b32 v50, v63, v62, s3
	v_accvgpr_read_b32 v64, a8
	v_accvgpr_read_b32 v53, a11
	v_mfma_f32_16x16x16_bf16 a[12:15], v[150:151], v[56:57], a[12:15]
	v_accvgpr_read_b32 v52, a10
	v_accvgpr_read_b32 v57, a3
	;; [unrolled: 1-line block ×3, first 2 shown]
	v_mov_b32_e32 v143, 0
	s_waitcnt vmcnt(11)
	v_lshlrev_b32_e32 v63, 16, v146
	s_waitcnt vmcnt(10)
	v_lshlrev_b32_e32 v62, 16, v147
	v_pk_add_f32 v[62:63], v[62:63], v[64:65] neg_lo:[0,1] neg_hi:[0,1]
	s_waitcnt vmcnt(9)
	v_lshlrev_b32_e32 v65, 16, v157
	s_waitcnt vmcnt(8)
	v_lshlrev_b32_e32 v64, 16, v158
	v_pk_add_f32 v[52:53], v[64:65], v[52:53] neg_lo:[0,1] neg_hi:[0,1]
	v_pk_mul_f32 v[62:63], v[58:59], v[62:63]
	v_pk_mul_f32 v[52:53], v[60:61], v[52:53]
	v_accvgpr_read_b32 v55, a15
	v_perm_b32 v53, v53, v52, s3
	v_perm_b32 v52, v63, v62, s3
	ds_write2_b64 v98, v[50:51], v[52:53] offset1:16
	v_accvgpr_read_b32 v53, a13
	s_waitcnt vmcnt(7)
	v_lshlrev_b32_e32 v51, 16, v159
	s_waitcnt vmcnt(6)
	v_lshlrev_b32_e32 v50, 16, v160
	v_accvgpr_read_b32 v52, a12
	v_accvgpr_read_b32 v54, a14
	v_pk_add_f32 v[50:51], v[50:51], v[52:53] neg_lo:[0,1] neg_hi:[0,1]
	s_waitcnt vmcnt(5)
	v_lshlrev_b32_e32 v53, 16, v161
	s_waitcnt vmcnt(4)
	v_lshlrev_b32_e32 v52, 16, v162
	v_pk_add_f32 v[52:53], v[52:53], v[54:55] neg_lo:[0,1] neg_hi:[0,1]
	v_pk_mul_f32 v[50:51], v[58:59], v[50:51]
	v_pk_mul_f32 v[52:53], v[60:61], v[52:53]
	v_accvgpr_read_b32 v55, a1
	v_perm_b32 v53, v53, v52, s3
	v_perm_b32 v52, v51, v50, s3
	s_waitcnt vmcnt(3)
	v_lshlrev_b32_e32 v51, 16, v148
	s_waitcnt vmcnt(2)
	v_lshlrev_b32_e32 v50, 16, v149
	v_accvgpr_read_b32 v54, a0
	v_pk_add_f32 v[50:51], v[50:51], v[54:55] neg_lo:[0,1] neg_hi:[0,1]
	s_waitcnt vmcnt(1)
	v_lshlrev_b32_e32 v55, 16, v163
	s_waitcnt vmcnt(0)
	v_lshlrev_b32_e32 v54, 16, v164
	v_pk_add_f32 v[54:55], v[54:55], v[56:57] neg_lo:[0,1] neg_hi:[0,1]
	v_pk_mul_f32 v[50:51], v[58:59], v[50:51]
	v_pk_mul_f32 v[54:55], v[60:61], v[54:55]
	v_mov_b32_e32 v56, 0
	v_perm_b32 v55, v55, v54, s3
	v_perm_b32 v54, v51, v50, s3
	ds_write2_b64 v98, v[52:53], v[54:55] offset0:32 offset1:48
	v_mov_b32_e32 v50, 0
	v_mov_b32_e32 v51, 0
	;; [unrolled: 1-line block ×15, first 2 shown]
	s_cbranch_vccnz .LBB162_14
; %bb.13:                               ;   in Loop: Header=BB162_6 Depth=1
	s_and_b32 s29, s29, 0xffff
	s_mov_b32 s31, s27
	buffer_load_dwordx4 v[62:65], v135, s[28:31], 0 offen
	buffer_load_dwordx4 v[54:57], v135, s[28:31], s59 offen
	;; [unrolled: 1-line block ×4, first 2 shown]
	v_mov_b32_e32 v142, v92
	v_mov_b32_e32 v143, v91
.LBB162_14:                             ;   in Loop: Header=BB162_6 Depth=1
	s_waitcnt lgkmcnt(0)
	s_barrier
	ds_read_b64 v[152:153], v77
	ds_read2_b64 v[144:147], v128 offset1:16
	ds_read_b64 v[168:169], v137
	ds_read_b64 v[170:171], v138
	;; [unrolled: 1-line block ×3, first 2 shown]
	ds_read2_b64 v[148:151], v128 offset0:32 offset1:48
	s_waitcnt lgkmcnt(4)
	v_mfma_f32_16x16x16_bf16 a[0:3], v[152:153], v[144:145], 0
	ds_read2st64_b64 v[156:159], v130 offset0:4 offset1:8
	ds_read2st64_b64 v[160:163], v131 offset0:4 offset1:8
	;; [unrolled: 1-line block ×3, first 2 shown]
	v_mfma_f32_16x16x16_bf16 a[4:7], v[152:153], v[146:147], 0
	s_add_i32 s25, s54, s62
	s_mul_hi_i32 s29, s25, s17
	s_mul_i32 s25, s25, s17
	s_waitcnt lgkmcnt(3)
	v_mfma_f32_16x16x16_bf16 a[8:11], v[152:153], v[148:149], 0
	s_add_u32 s28, s25, s49
	s_addc_u32 s29, s29, s50
	s_lshl_b64 s[28:29], s[28:29], 15
	v_mfma_f32_16x16x16_bf16 a[12:15], v[152:153], v[150:151], 0
	ds_read2st64_b64 v[152:155], v128 offset0:4 offset1:8
	s_waitcnt lgkmcnt(0)
	v_mfma_f32_16x16x16_bf16 a[0:3], v[168:169], v[152:153], a[0:3]
	v_mfma_f32_16x16x16_bf16 a[4:7], v[168:169], v[156:157], a[4:7]
	;; [unrolled: 1-line block ×8, first 2 shown]
	ds_read_b64 v[168:169], v128 offset:6144
	ds_read_b64 v[170:171], v129 offset:40960
	;; [unrolled: 1-line block ×8, first 2 shown]
	s_waitcnt lgkmcnt(5)
	v_mfma_f32_16x16x16_bf16 a[16:19], v[174:175], v[144:145], 0
	v_mfma_f32_16x16x16_bf16 a[20:23], v[174:175], v[146:147], 0
	ds_read2st64_b64 v[144:147], v125 offset1:8
	v_mfma_f32_16x16x16_bf16 a[24:27], v[174:175], v[148:149], 0
	v_mfma_f32_16x16x16_bf16 a[28:31], v[174:175], v[150:151], 0
	ds_read2st64_b64 v[148:151], v126 offset1:8
	v_mfma_f32_16x16x16_bf16 a[16:19], v[170:171], v[152:153], a[16:19]
	s_waitcnt lgkmcnt(1)
	v_mov_b32_e32 v152, v144
	v_mov_b32_e32 v153, v145
	v_mfma_f32_16x16x16_bf16 a[20:23], v[170:171], v[156:157], a[20:23]
	v_lshl_add_u64 v[156:157], v[82:83], 0, s[28:29]
	v_mfma_f32_16x16x16_bf16 a[24:27], v[170:171], v[160:161], a[24:27]
	v_mfma_f32_16x16x16_bf16 a[28:31], v[170:171], v[164:165], a[28:31]
	;; [unrolled: 1-line block ×3, first 2 shown]
	s_waitcnt lgkmcnt(0)
	v_mov_b32_e32 v154, v148
	v_mov_b32_e32 v155, v149
	;; [unrolled: 1-line block ×3, first 2 shown]
	v_mfma_f32_16x16x16_bf16 a[32:35], v[182:183], v[158:159], a[20:23]
	v_mov_b32_e32 v149, v147
	ds_read2st64_b64 v[144:147], v125 offset0:16 offset1:24
	global_store_dwordx4 v[156:157], v[152:155], off
	v_mfma_f32_16x16x16_bf16 a[24:27], v[182:183], v[162:163], a[24:27]
	ds_read2st64_b64 v[152:155], v126 offset0:16 offset1:24
	v_add_co_u32_e32 v158, vcc, s39, v156
	v_mfma_f32_16x16x16_bf16 a[28:31], v[182:183], v[166:167], a[28:31]
	s_nop 0
	v_addc_co_u32_e32 v159, vcc, 0, v157, vcc
	global_store_dwordx4 v[158:159], v[148:151], off offset:-4096
	v_mfma_f32_16x16x16_bf16 a[0:3], v[172:173], v[168:169], a[0:3]
	s_waitcnt lgkmcnt(1)
	v_mov_b32_e32 v148, v144
	v_add_co_u32_e32 v144, vcc, s41, v156
	v_mfma_f32_16x16x16_bf16 a[4:7], v[172:173], v[176:177], a[4:7]
	v_mov_b32_e32 v149, v145
	v_addc_co_u32_e32 v145, vcc, 0, v157, vcc
	v_mfma_f32_16x16x16_bf16 a[8:11], v[172:173], v[178:179], a[8:11]
	s_waitcnt lgkmcnt(0)
	v_mov_b32_e32 v150, v152
	v_mov_b32_e32 v151, v153
	;; [unrolled: 1-line block ×3, first 2 shown]
	v_mfma_f32_16x16x16_bf16 a[12:15], v[172:173], v[180:181], a[12:15]
	v_mov_b32_e32 v153, v147
	s_and_b64 vcc, exec, s[0:1]
	global_store_dwordx4 v[158:159], v[148:151], off
	v_mfma_f32_16x16x16_bf16 a[20:23], v[184:185], v[168:169], a[16:19]
	global_store_dwordx4 v[144:145], v[152:155], off
	v_mfma_f32_16x16x16_bf16 a[16:19], v[184:185], v[176:177], a[32:35]
	v_mfma_f32_16x16x16_bf16 a[24:27], v[184:185], v[178:179], a[24:27]
	;; [unrolled: 1-line block ×3, first 2 shown]
	s_cbranch_vccnz .LBB162_16
; %bb.15:                               ;   in Loop: Header=BB162_6 Depth=1
	v_lshrrev_b32_e32 v144, 3, v142
	v_and_b32_e32 v144, 6, v144
	v_xor_b32_e32 v143, v144, v143
	v_lshlrev_b32_e32 v143, 2, v143
	v_and_b32_e32 v142, 8, v142
	v_xor_b32_e32 v145, 0x440, v143
	v_cmp_eq_u32_e32 vcc, 0, v142
	s_barrier
	s_nop 0
	v_cndmask_b32_e32 v142, v145, v143, vcc
	v_lshl_or_b32 v142, v144, 10, v142
	s_waitcnt vmcnt(5)
	v_perm_b32 v143, v62, v58, s60
	s_waitcnt vmcnt(4)
	v_perm_b32 v144, v54, v50, s60
	ds_write2st64_b32 v142, v143, v144 offset0:128 offset1:160
	v_xor_b32_e32 v143, 8, v142
	v_perm_b32 v58, v62, v58, s61
	v_perm_b32 v50, v54, v50, s61
	v_add_u32_e32 v54, 0x80, v143
	ds_write2st64_b32 v54, v58, v50 offset0:128 offset1:160
	v_xor_b32_e32 v50, 16, v142
	v_perm_b32 v54, v63, v59, s60
	v_perm_b32 v58, v55, v51, s60
	ds_write2st64_b32 v50, v54, v58 offset0:129 offset1:161
	v_xor_b32_e32 v50, 24, v142
	v_perm_b32 v54, v63, v59, s61
	v_perm_b32 v51, v55, v51, s61
	v_add_u32_e32 v50, 0x80, v50
	ds_write2st64_b32 v50, v54, v51 offset0:129 offset1:161
	v_xor_b32_e32 v50, 32, v142
	v_perm_b32 v51, v64, v60, s60
	;; [unrolled: 9-line block ×3, first 2 shown]
	v_perm_b32 v52, v57, v53, s60
	ds_write2st64_b32 v50, v51, v52 offset0:131 offset1:163
	v_xor_b32_e32 v50, 56, v142
	v_perm_b32 v51, v65, v61, s61
	v_perm_b32 v52, v57, v53, s61
	v_add_u32_e32 v50, 0x80, v50
	ds_write2st64_b32 v50, v51, v52 offset0:131 offset1:163
	ds_write_b64 v141, v[46:47] offset:49152
	v_xor_b32_e32 v46, 8, v141
	ds_write_b64 v46, v[48:49] offset:49152
	ds_write_b64 v141, v[42:43] offset:57344
	;; [unrolled: 1-line block ×4, first 2 shown]
	v_xor_b32_e32 v38, 8, v140
	ds_write_b64 v38, v[40:41] offset:49152
	ds_write_b64 v140, v[34:35] offset:57344
	;; [unrolled: 1-line block ×3, first 2 shown]
.LBB162_16:                             ;   in Loop: Header=BB162_6 Depth=1
	v_exp_f32_e32 v140, s24
	v_accvgpr_read_b32 v37, a3
	v_accvgpr_read_b32 v41, a7
	;; [unrolled: 1-line block ×4, first 2 shown]
	s_waitcnt vmcnt(4)
	v_accvgpr_read_b32 v53, a23
	v_accvgpr_read_b32 v57, a19
	;; [unrolled: 1-line block ×28, first 2 shown]
	s_add_i32 s57, s57, 64
	v_pk_fma_f32 v[6:7], v[6:7], v[140:141], v[34:35] op_sel_hi:[1,0,1]
	v_pk_fma_f32 v[8:9], v[8:9], v[140:141], v[36:37] op_sel_hi:[1,0,1]
	;; [unrolled: 1-line block ×15, first 2 shown]
	s_cmp_eq_u32 s51, s63
	v_pk_fma_f32 v[28:29], v[28:29], v[140:141], v[64:65] op_sel_hi:[1,0,1]
	s_cbranch_scc1 .LBB162_18
; %bb.17:                               ;   in Loop: Header=BB162_6 Depth=1
	s_mov_b32 s62, s63
	s_branch .LBB162_6
.LBB162_18:
	s_lshl_b32 s30, s51, 6
	s_sub_i32 s31, s52, s30
	s_cmp_gt_i32 s31, 0
	s_cbranch_scc0 .LBB162_99
; %bb.19:
	s_add_i32 s30, s30, s36
	s_ashr_i32 s3, s30, 31
	s_cmpk_lg_i32 s19, 0x80
	s_cselect_b64 s[26:27], -1, 0
	s_and_b64 vcc, exec, s[26:27]
	s_cbranch_vccz .LBB162_21
; %bb.20:
	s_mul_hi_i32 s0, s30, s18
	s_mul_i32 s1, s30, s18
	s_ashr_i32 s18, s53, 31
	s_add_u32 s28, s1, s53
	s_addc_u32 s29, s0, s18
	s_cbranch_execz .LBB162_22
	s_branch .LBB162_23
.LBB162_21:
                                        ; implicit-def: $sgpr28_sgpr29
.LBB162_22:
	s_mul_i32 s1, s53, s16
	s_mul_hi_i32 s0, s53, s16
	s_add_u32 s28, s1, s30
	s_addc_u32 s29, s0, s3
.LBB162_23:
	s_add_i32 s16, s51, s54
	s_add_u32 s0, s56, s30
	v_lshlrev_b32_e32 v38, 6, v89
	v_lshlrev_b32_e32 v56, 2, v86
	s_addc_u32 s1, s55, s3
	s_mov_b32 s3, 0x7060302
	v_or_b32_e32 v41, v38, v56
	v_xor_b32_e32 v39, v89, v56
	s_waitcnt vmcnt(7)
	v_perm_b32 v35, v9, v8, s3
	v_perm_b32 v34, v7, v6, s3
	s_waitcnt vmcnt(6)
	v_perm_b32 v37, v5, v4, s3
	v_perm_b32 v36, v3, v2, s3
	v_lshlrev_b32_e32 v41, 1, v41
	v_xor_b32_e32 v40, v90, v56
	ds_write2st64_b64 v41, v[34:35], v[36:37] offset0:32 offset1:48
	v_lshlrev_b32_e32 v39, 1, v39
	v_lshlrev_b32_e32 v41, 8, v86
	v_or_b32_e32 v42, v39, v41
	v_lshlrev_b32_e32 v40, 1, v40
	ds_write_b64 v42, v[34:35]
	v_or_b32_e32 v34, v40, v41
	v_or_b32_e32 v41, 16, v86
	v_lshlrev_b32_e32 v55, 2, v41
	v_or_b32_e32 v42, v38, v55
	ds_write_b64 v34, v[36:37]
	s_waitcnt vmcnt(5)
	v_perm_b32 v35, v17, v16, s3
	v_perm_b32 v34, v15, v14, s3
	s_waitcnt vmcnt(4)
	v_perm_b32 v37, v13, v12, s3
	v_perm_b32 v36, v11, v10, s3
	v_lshlrev_b32_e32 v42, 1, v42
	v_lshlrev_b32_e32 v41, 8, v41
	ds_write2st64_b64 v42, v[34:35], v[36:37] offset0:32 offset1:48
	v_or_b32_e32 v42, v39, v41
	ds_write_b64 v42, v[34:35]
	v_or_b32_e32 v34, v40, v41
	v_or_b32_e32 v41, 32, v86
	v_lshlrev_b32_e32 v54, 2, v41
	v_or_b32_e32 v42, v38, v54
	ds_write_b64 v34, v[36:37]
	s_waitcnt vmcnt(3)
	v_perm_b32 v35, v25, v24, s3
	v_perm_b32 v34, v23, v22, s3
	s_waitcnt vmcnt(2)
	v_perm_b32 v37, v21, v20, s3
	v_perm_b32 v36, v19, v18, s3
	v_lshlrev_b32_e32 v42, 1, v42
	v_lshlrev_b32_e32 v41, 8, v41
	s_lshl_b64 s[24:25], s[0:1], 8
	ds_write2st64_b64 v42, v[34:35], v[36:37] offset0:32 offset1:48
	v_or_b32_e32 v42, v39, v41
	s_add_u32 s0, s6, s24
	ds_write_b64 v42, v[34:35]
	v_or_b32_e32 v34, v40, v41
	s_addc_u32 s1, s7, s25
	ds_write_b64 v34, v[36:37]
	s_waitcnt vmcnt(1)
	v_perm_b32 v35, v33, v32, s3
	v_perm_b32 v34, v31, v30, s3
	s_waitcnt vmcnt(0)
	v_perm_b32 v37, v29, v28, s3
	v_perm_b32 v36, v27, v26, s3
	v_or_b32_e32 v41, 48, v86
	s_mul_hi_i32 s3, s16, s17
	s_mul_i32 s16, s16, s17
	v_lshlrev_b32_e32 v51, 2, v41
	s_add_u32 s6, s16, s49
	v_or_b32_e32 v38, v38, v51
	s_addc_u32 s7, s3, s50
	v_lshlrev_b32_e32 v38, 1, v38
	s_ashr_i32 s3, s2, 31
	s_lshl_b64 s[6:7], s[6:7], 15
	ds_write2st64_b64 v38, v[34:35], v[36:37] offset0:32 offset1:48
	v_lshlrev_b32_e32 v38, 8, v41
	s_add_u32 s6, s22, s6
	v_or_b32_e32 v39, v39, v38
	s_addc_u32 s7, s23, s7
	s_lshl_b64 s[2:3], s[2:3], 8
	ds_write_b64 v39, v[34:35]
	v_or_b32_e32 v34, v40, v38
	s_add_u32 s2, s6, s2
	v_lshlrev_b32_e32 v35, 1, v86
	ds_write_b64 v34, v[36:37]
	v_lshrrev_b32_e32 v34, 4, v0
	s_addc_u32 s3, s7, s3
	v_or_b32_e32 v36, 1, v35
	v_lshlrev_b32_e32 v42, 4, v86
	v_mov_b32_e32 v43, 0
	v_xor_b32_e32 v35, v34, v35
	v_xor_b32_e32 v38, v36, v34
	v_lshl_add_u64 v[44:45], s[2:3], 0, v[42:43]
	v_lshlrev_b32_e32 v42, 8, v34
	v_lshl_or_b32 v48, v35, 3, v42
	v_lshl_or_b32 v49, v38, 3, v42
	s_waitcnt lgkmcnt(0)
	s_barrier
	ds_read2st64_b64 v[34:37], v48 offset1:8
	ds_read2st64_b64 v[38:41], v49 offset1:8
	v_lshl_add_u64 v[46:47], v[44:45], 0, v[42:43]
	s_movk_i32 s2, 0x2000
	s_cmp_lg_u32 s31, 64
	s_waitcnt lgkmcnt(1)
	v_mov_b32_e32 v42, v34
	v_mov_b32_e32 v43, v35
	s_waitcnt lgkmcnt(0)
	v_mov_b32_e32 v44, v38
	v_mov_b32_e32 v45, v39
	global_store_dwordx4 v[46:47], v[42:45], off
	v_mov_b32_e32 v38, v36
	v_mov_b32_e32 v39, v37
	ds_read2st64_b64 v[34:37], v48 offset0:16 offset1:24
	ds_read2st64_b64 v[42:45], v49 offset0:16 offset1:24
	v_add_co_u32_e32 v48, vcc, s2, v46
	s_cselect_b64 s[6:7], -1, 0
	s_nop 0
	v_addc_co_u32_e32 v49, vcc, 0, v47, vcc
	global_store_dwordx4 v[48:49], v[38:41], off offset:-4096
	v_lshl_or_b32 v62, v1, 3, v88
	s_mov_b32 s20, 0
	s_waitcnt lgkmcnt(1)
	v_mov_b32_e32 v38, v34
	v_add_co_u32_e32 v34, vcc, 0x3000, v46
	v_mov_b32_e32 v39, v35
	s_nop 0
	v_addc_co_u32_e32 v35, vcc, 0, v47, vcc
	s_waitcnt lgkmcnt(0)
	v_mov_b32_e32 v40, v42
	v_mov_b32_e32 v41, v43
	;; [unrolled: 1-line block ×4, first 2 shown]
	v_or_b32_e32 v52, 32, v62
	v_and_b32_e32 v50, 56, v87
	s_and_b64 vcc, exec, s[6:7]
	global_store_dwordx4 v[48:49], v[38:41], off
	global_store_dwordx4 v[34:35], v[42:45], off
	s_cbranch_vccz .LBB162_29
; %bb.24:
	s_mov_b32 s22, s20
	s_mov_b32 s23, s20
	;; [unrolled: 1-line block ×3, first 2 shown]
	v_mov_b64_e32 v[40:41], s[22:23]
	v_mov_b64_e32 v[38:39], s[20:21]
	;; [unrolled: 1-line block ×3, first 2 shown]
	v_cmp_gt_i32_e32 vcc, s31, v62
	v_mov_b64_e32 v[36:37], v[40:41]
	s_and_saveexec_b64 s[2:3], vcc
	s_cbranch_execz .LBB162_26
; %bb.25:
	v_lshlrev_b32_e32 v34, 8, v62
	v_mov_b32_e32 v35, 0
	v_lshl_add_u64 v[36:37], s[0:1], 0, v[34:35]
	v_lshlrev_b32_e32 v34, 1, v50
	v_lshl_add_u64 v[42:43], v[36:37], 0, v[34:35]
	global_load_dwordx4 v[38:41], v[42:43], off
	global_load_dwordx4 v[34:37], v[42:43], off offset:128
.LBB162_26:
	s_or_b64 exec, exec, s[2:3]
	s_mov_b32 s22, s20
	s_mov_b32 s23, s20
	;; [unrolled: 1-line block ×3, first 2 shown]
	v_mov_b64_e32 v[48:49], s[22:23]
	v_mov_b64_e32 v[46:47], s[20:21]
	;; [unrolled: 1-line block ×3, first 2 shown]
	v_cmp_gt_i32_e32 vcc, s31, v52
	v_lshlrev_b32_e32 v53, 7, v52
	v_mov_b64_e32 v[44:45], v[48:49]
	s_and_saveexec_b64 s[2:3], vcc
	s_cbranch_execz .LBB162_28
; %bb.27:
	v_lshlrev_b32_e32 v42, 1, v53
	v_mov_b32_e32 v43, 0
	v_lshl_add_u64 v[44:45], s[0:1], 0, v[42:43]
	v_lshlrev_b32_e32 v42, 1, v50
	v_lshl_add_u64 v[58:59], v[44:45], 0, v[42:43]
	global_load_dwordx4 v[46:49], v[58:59], off
	global_load_dwordx4 v[42:45], v[58:59], off offset:128
.LBB162_28:
	s_or_b64 exec, exec, s[2:3]
	v_lshrrev_b32_e32 v57, 3, v50
	v_lshlrev_b32_e32 v58, 3, v62
	v_or_b32_e32 v57, v58, v57
	v_lshlrev_b32_e32 v57, 4, v57
	v_and_b32_e32 v58, 0x78, v58
	v_xor_b32_e32 v57, v57, v58
	s_branch .LBB162_31
.LBB162_29:
                                        ; implicit-def: $vgpr57
                                        ; implicit-def: $vgpr53
                                        ; implicit-def: $vgpr38_vgpr39_vgpr40_vgpr41
                                        ; implicit-def: $vgpr34_vgpr35_vgpr36_vgpr37
                                        ; implicit-def: $vgpr46_vgpr47_vgpr48_vgpr49
                                        ; implicit-def: $vgpr42_vgpr43_vgpr44_vgpr45
	s_cbranch_execz .LBB162_31
; %bb.30:
	s_waitcnt vmcnt(0)
	v_lshlrev_b32_e32 v34, 1, v50
	v_lshl_or_b32 v53, v62, 8, v34
	s_and_b32 s1, s1, 0xffff
	s_mov_b32 s3, 0x20000
	s_movk_i32 s2, 0x4000
	v_lshl_or_b32 v57, v52, 8, v34
	s_movk_i32 s16, 0x80
	buffer_load_dwordx4 v[38:41], v53, s[0:3], 0 offen
	buffer_load_dwordx4 v[34:37], v53, s[0:3], s16 offen
	;; [unrolled: 1-line block ×4, first 2 shown]
	v_lshrrev_b32_e32 v53, 3, v50
	v_lshlrev_b32_e32 v57, 3, v62
	v_or_b32_e32 v53, v57, v53
	v_lshlrev_b32_e32 v53, 4, v53
	v_and_b32_e32 v57, 0x78, v57
	v_xor_b32_e32 v57, v53, v57
	v_lshlrev_b32_e32 v53, 7, v52
.LBB162_31:
	s_movk_i32 s0, 0x1000
	v_and_or_b32 v52, v53, s0, v57
	s_waitcnt vmcnt(1)
	ds_write_b64 v57, v[38:39] offset:49152
	v_xor_b32_e32 v38, 8, v57
	ds_write_b64 v38, v[40:41] offset:49152
	s_waitcnt vmcnt(0)
	ds_write_b64 v57, v[34:35] offset:57344
	ds_write_b64 v38, v[36:37] offset:57344
	;; [unrolled: 1-line block ×3, first 2 shown]
	v_xor_b32_e32 v34, 8, v52
	ds_write_b64 v34, v[48:49] offset:49152
	ds_write_b64 v52, v[42:43] offset:57344
	;; [unrolled: 1-line block ×3, first 2 shown]
	v_or_b32_e32 v34, v84, v86
	v_lshlrev_b32_e32 v34, 3, v34
	v_lshrrev_b32_e32 v35, 5, v67
	s_movk_i32 s0, 0xf8
	v_and_or_b32 v35, v34, s0, v35
	v_lshlrev_b32_e32 v39, 4, v35
	v_lshlrev_b32_e32 v57, 11, v1
	v_and_b32_e32 v40, 0x78, v34
	v_or_b32_e32 v42, 32, v39
	v_and_b32_e32 v38, 0x1000, v57
	v_lshrrev_b32_e32 v35, 1, v67
	v_xor_b32_e32 v42, v42, v40
	v_xor_b32_e32 v34, v39, v40
	v_and_b32_e32 v41, 8, v35
	v_or_b32_e32 v42, v42, v38
	v_or_b32_e32 v34, v34, v38
	v_xor_b32_e32 v64, v42, v41
	v_or_b32_e32 v42, 64, v39
	v_xor_b32_e32 v63, v34, v41
	v_xor_b32_e32 v42, v42, v40
	s_waitcnt lgkmcnt(0)
	s_barrier
	v_or_b32_e32 v45, v42, v38
	ds_read_b64 v[42:43], v63 offset:49152
	v_lshl_or_b32 v46, v85, 8, v56
	v_lshlrev_b32_e32 v58, 1, v46
	v_add_u32_e32 v44, 0x4000, v58
	ds_read2_b64 v[34:37], v44 offset1:16
	v_or_b32_e32 v39, 0x60, v39
	v_xor_b32_e32 v39, v39, v40
	v_or_b32_e32 v38, v39, v38
	v_xor_b32_e32 v65, v45, v41
	v_xor_b32_e32 v77, v38, v41
	ds_read_b64 v[52:53], v64 offset:49152
	ds_read_b64 v[78:79], v65 offset:49152
	;; [unrolled: 1-line block ×3, first 2 shown]
	s_waitcnt lgkmcnt(3)
	v_mfma_f32_16x16x16_bf16 a[0:3], v[42:43], v[34:35], 0
	ds_read2st64_b64 v[38:41], v58 offset0:36 offset1:40
	s_lshl_b64 s[0:1], s[28:29], 8
	s_add_u32 s4, s4, s0
	v_mfma_f32_16x16x16_bf16 a[4:7], v[42:43], v[36:37], 0
	ds_read2_b64 v[34:37], v44 offset0:32 offset1:48
	s_addc_u32 s5, s5, s1
	s_add_i32 s1, s45, s33
	s_waitcnt lgkmcnt(0)
	v_mfma_f32_16x16x16_bf16 a[8:11], v[42:43], v[34:35], 0
	v_or_b32_e32 v34, 64, v46
	v_lshlrev_b32_e32 v59, 1, v34
	s_add_i32 s0, s37, -1
	v_mfma_f32_16x16x16_bf16 a[12:15], v[42:43], v[36:37], 0
	ds_read2st64_b64 v[34:37], v59 offset0:36 offset1:40
	s_add_i32 s41, s1, s44
	s_add_i32 s1, s47, s46
	v_mfma_f32_16x16x16_bf16 a[0:3], v[52:53], v[38:39], a[0:3]
	v_or_b32_e32 v38, 0x80, v46
	v_lshlrev_b32_e32 v60, 1, v38
	ds_read2st64_b64 v[42:45], v60 offset0:36 offset1:40
	s_waitcnt lgkmcnt(1)
	v_mfma_f32_16x16x16_bf16 a[4:7], v[52:53], v[34:35], a[4:7]
	v_or_b32_e32 v34, 0xc0, v46
	v_lshlrev_b32_e32 v61, 1, v34
	ds_read2st64_b64 v[46:49], v61 offset0:36 offset1:40
	s_add_i32 s39, s1, s48
	s_ashr_i32 s1, s0, 31
	s_mul_i32 s2, s0, s35
	s_mul_hi_u32 s3, s0, s34
	s_add_i32 s2, s3, s2
	s_mul_i32 s1, s1, s34
	s_waitcnt lgkmcnt(1)
	v_mfma_f32_16x16x16_bf16 a[8:11], v[52:53], v[42:43], a[8:11]
	s_add_i32 s1, s2, s1
	s_lshl_b64 s[2:3], s[40:41], 2
	s_add_u32 s10, s10, s2
	s_waitcnt lgkmcnt(0)
	v_mfma_f32_16x16x16_bf16 a[12:15], v[52:53], v[46:47], a[12:15]
	s_addc_u32 s11, s11, s3
	s_lshl_b64 s[2:3], s[38:39], 2
	s_mul_i32 s0, s0, s34
	v_mfma_f32_16x16x16_bf16 a[0:3], v[78:79], v[40:41], a[0:3]
	ds_read_b64 v[34:35], v58 offset:22528
	s_add_u32 s10, s10, s2
	s_addc_u32 s11, s11, s3
	v_mfma_f32_16x16x16_bf16 a[4:7], v[78:79], v[36:37], a[4:7]
	ds_read_b64 v[36:37], v59 offset:22528
	ds_read_b64 v[38:39], v60 offset:22528
	;; [unrolled: 1-line block ×3, first 2 shown]
	s_lshl_b64 s[0:1], s[0:1], 2
	s_add_u32 s0, s10, s0
	v_mfma_f32_16x16x16_bf16 a[8:11], v[78:79], v[44:45], a[8:11]
	s_addc_u32 s1, s11, s1
	s_load_dword s16, s[0:1], 0x0
	s_and_b64 vcc, exec, s[26:27]
	v_mfma_f32_16x16x16_bf16 a[12:15], v[78:79], v[48:49], a[12:15]
	s_waitcnt lgkmcnt(0)
	v_mfma_f32_16x16x16_bf16 a[0:3], v[80:81], v[34:35], a[0:3]
	v_mfma_f32_16x16x16_bf16 a[4:7], v[80:81], v[36:37], a[4:7]
	;; [unrolled: 1-line block ×4, first 2 shown]
	s_cbranch_vccz .LBB162_42
; %bb.32:
	v_lshlrev_b32_e32 v52, 1, v62
	s_and_b64 vcc, exec, s[6:7]
	s_cbranch_vccz .LBB162_43
; %bb.33:
	v_cmp_gt_i32_e32 vcc, s31, v52
	v_mov_b32_e32 v38, 0
	v_mov_b32_e32 v34, 0
	;; [unrolled: 1-line block ×5, first 2 shown]
	s_and_saveexec_b64 s[0:1], vcc
	s_cbranch_execz .LBB162_35
; %bb.34:
	v_mad_i64_i32 v[34:35], s[2:3], s19, v52, 0
	v_lshl_add_u64 v[34:35], v[34:35], 1, s[4:5]
	v_lshlrev_b32_e32 v36, 1, v50
	v_mov_b32_e32 v37, 0
	v_lshl_add_u64 v[34:35], v[34:35], 0, v[36:37]
	global_load_dwordx4 v[34:37], v[34:35], off
.LBB162_35:
	s_or_b64 exec, exec, s[0:1]
	v_or_b32_e32 v53, 1, v52
	v_cmp_gt_i32_e64 s[0:1], s31, v53
	v_mov_b32_e32 v39, 0
	v_mov_b32_e32 v40, 0
	v_mov_b32_e32 v41, 0
	s_and_saveexec_b64 s[2:3], s[0:1]
	s_cbranch_execz .LBB162_37
; %bb.36:
	v_mad_i64_i32 v[38:39], s[20:21], s19, v53, 0
	v_lshl_add_u64 v[38:39], v[38:39], 1, s[4:5]
	v_lshlrev_b32_e32 v40, 1, v50
	v_mov_b32_e32 v41, 0
	v_lshl_add_u64 v[38:39], v[38:39], 0, v[40:41]
	global_load_dwordx4 v[38:41], v[38:39], off
.LBB162_37:
	s_or_b64 exec, exec, s[2:3]
	v_mov_b32_e32 v49, 0
	v_mov_b32_e32 v42, 0
	;; [unrolled: 1-line block ×5, first 2 shown]
	s_and_saveexec_b64 s[2:3], vcc
	s_cbranch_execz .LBB162_39
; %bb.38:
	v_mad_i64_i32 v[42:43], s[20:21], s19, v52, 0
	v_lshl_add_u64 v[42:43], v[42:43], 1, s[4:5]
	v_lshlrev_b32_e32 v44, 1, v50
	v_mov_b32_e32 v45, 0
	v_lshl_add_u64 v[42:43], v[42:43], 0, v[44:45]
	global_load_dwordx4 v[42:45], v[42:43], off offset:128
.LBB162_39:
	s_or_b64 exec, exec, s[2:3]
	v_mov_b32_e32 v48, 0
	v_mov_b32_e32 v47, 0
	;; [unrolled: 1-line block ×3, first 2 shown]
	s_and_saveexec_b64 s[2:3], s[0:1]
	s_cbranch_execz .LBB162_41
; %bb.40:
	v_mad_i64_i32 v[46:47], s[0:1], s19, v53, 0
	v_lshl_add_u64 v[46:47], v[46:47], 1, s[4:5]
	v_lshlrev_b32_e32 v48, 1, v50
	v_mov_b32_e32 v49, 0
	v_lshl_add_u64 v[46:47], v[46:47], 0, v[48:49]
	global_load_dwordx4 v[46:49], v[46:47], off offset:128
.LBB162_41:
	s_or_b64 exec, exec, s[2:3]
	s_branch .LBB162_45
.LBB162_42:
                                        ; implicit-def: $vgpr37
                                        ; implicit-def: $vgpr41
                                        ; implicit-def: $vgpr45
                                        ; implicit-def: $vgpr49
	v_lshrrev_b32_e32 v67, 2, v67
	s_branch .LBB162_46
.LBB162_43:
                                        ; implicit-def: $vgpr37
                                        ; implicit-def: $vgpr41
                                        ; implicit-def: $vgpr45
                                        ; implicit-def: $vgpr49
	s_cbranch_execz .LBB162_45
; %bb.44:
	s_waitcnt vmcnt(0)
	v_mad_u64_u32 v[34:35], s[0:1], v52, s19, v[50:51]
	v_lshlrev_b32_e32 v52, 1, v34
	s_lshl_b32 s2, s19, 7
	s_and_b32 s1, s5, 0xffff
	s_mov_b32 s3, 0x20000
	s_mov_b32 s0, s4
	v_add_lshl_u32 v53, v34, s19, 1
	s_movk_i32 s17, 0x80
	buffer_load_dwordx4 v[34:37], v52, s[0:3], 0 offen
	buffer_load_dwordx4 v[42:45], v52, s[0:3], s17 offen
	;; [unrolled: 1-line block ×4, first 2 shown]
.LBB162_45:
	v_lshrrev_b32_e32 v67, 2, v67
	s_cbranch_execnz .LBB162_58
.LBB162_46:
	s_and_b64 vcc, exec, s[6:7]
	s_cbranch_vccz .LBB162_56
; %bb.47:
	s_waitcnt vmcnt(0)
	v_lshlrev_b32_e32 v39, 1, v62
	v_cmp_gt_i32_e32 vcc, s31, v39
	v_mov_b32_e32 v38, 0
	v_lshlrev_b32_e32 v46, 9, v62
	v_mov_b32_e32 v34, 0
	v_mov_b32_e32 v35, 0
	;; [unrolled: 1-line block ×4, first 2 shown]
	s_and_saveexec_b64 s[0:1], vcc
	s_cbranch_execz .LBB162_49
; %bb.48:
	v_mov_b32_e32 v47, 0
	v_lshl_add_u64 v[34:35], s[4:5], 0, v[46:47]
	v_lshlrev_b32_e32 v36, 1, v50
	v_mov_b32_e32 v37, v47
	v_lshl_add_u64 v[34:35], v[34:35], 0, v[36:37]
	global_load_dwordx4 v[34:37], v[34:35], off
.LBB162_49:
	s_or_b64 exec, exec, s[0:1]
	v_or_b32_e32 v39, 1, v39
	v_cmp_gt_i32_e64 s[0:1], s31, v39
	v_lshlrev_b32_e32 v52, 8, v39
	v_mov_b32_e32 v39, 0
	v_mov_b32_e32 v40, 0
	;; [unrolled: 1-line block ×3, first 2 shown]
	s_and_saveexec_b64 s[2:3], s[0:1]
	s_cbranch_execz .LBB162_51
; %bb.50:
	v_mov_b32_e32 v53, 0
	v_lshl_add_u64 v[38:39], s[4:5], 0, v[52:53]
	v_lshlrev_b32_e32 v40, 1, v50
	v_mov_b32_e32 v41, v53
	v_lshl_add_u64 v[38:39], v[38:39], 0, v[40:41]
	global_load_dwordx4 v[38:41], v[38:39], off
.LBB162_51:
	s_or_b64 exec, exec, s[2:3]
	v_mov_b32_e32 v49, 0
	v_mov_b32_e32 v42, 0
	;; [unrolled: 1-line block ×5, first 2 shown]
	s_and_saveexec_b64 s[2:3], vcc
	s_cbranch_execz .LBB162_53
; %bb.52:
	v_mov_b32_e32 v47, 0
	v_lshl_add_u64 v[42:43], s[4:5], 0, v[46:47]
	v_lshlrev_b32_e32 v46, 1, v50
	v_lshl_add_u64 v[42:43], v[42:43], 0, v[46:47]
	global_load_dwordx4 v[42:45], v[42:43], off offset:128
.LBB162_53:
	s_or_b64 exec, exec, s[2:3]
	v_mov_b32_e32 v48, 0
	v_mov_b32_e32 v47, 0
	v_mov_b32_e32 v46, 0
	s_and_saveexec_b64 s[2:3], s[0:1]
	s_cbranch_execz .LBB162_55
; %bb.54:
	v_mov_b32_e32 v53, 0
	v_lshl_add_u64 v[46:47], s[4:5], 0, v[52:53]
	v_lshlrev_b32_e32 v52, 1, v50
	v_lshl_add_u64 v[46:47], v[46:47], 0, v[52:53]
	global_load_dwordx4 v[46:49], v[46:47], off offset:128
.LBB162_55:
	s_or_b64 exec, exec, s[2:3]
	s_branch .LBB162_58
.LBB162_56:
                                        ; implicit-def: $vgpr37
                                        ; implicit-def: $vgpr41
                                        ; implicit-def: $vgpr45
                                        ; implicit-def: $vgpr49
	s_cbranch_execz .LBB162_58
; %bb.57:
	s_waitcnt vmcnt(0)
	v_lshlrev_b32_e32 v34, 1, v50
	v_lshl_or_b32 v50, v62, 9, v34
	s_and_b32 s5, s5, 0xffff
	s_mov_b32 s7, 0x20000
	s_movk_i32 s6, 0x4000
	s_movk_i32 s0, 0x80
	buffer_load_dwordx4 v[34:37], v50, s[4:7], 0 offen
	buffer_load_dwordx4 v[38:41], v50, s[4:7], 0 offen offset:256
	buffer_load_dwordx4 v[42:45], v50, s[4:7], s0 offen
	buffer_load_dwordx4 v[46:49], v50, s[4:7], s0 offen offset:256
.LBB162_58:
	ds_read_b64 v[52:53], v63 offset:57344
	v_add_u32_e32 v50, 0x6000, v58
	ds_read2_b64 v[78:81], v50 offset1:16
	ds_read_b64 v[82:83], v64 offset:57344
	ds_read_b64 v[64:65], v65 offset:57344
	;; [unrolled: 1-line block ×3, first 2 shown]
	ds_read2st64_b64 v[86:89], v58 offset0:52 offset1:56
	v_and_b32_e32 v63, 1, v0
	v_cmp_eq_u32_e32 vcc, 0, v63
	s_mov_b32 s0, 0x1000504
	s_waitcnt vmcnt(0)
	v_perm_b32 v63, v42, v46, s0
	s_mov_b32 s1, 0x3020706
	s_waitcnt lgkmcnt(4)
	v_mfma_f32_16x16x16_bf16 a[0:3], v[52:53], v[78:79], a[0:3]
	v_mfma_f32_16x16x16_bf16 a[4:7], v[52:53], v[80:81], a[4:7]
	ds_read2_b64 v[78:81], v50 offset0:32 offset1:48
	v_and_b32_e32 v50, 6, v0
	v_xor_b32_e32 v62, v62, v50
	s_waitcnt lgkmcnt(0)
	v_mfma_f32_16x16x16_bf16 a[8:11], v[52:53], v[78:79], a[8:11]
	v_lshlrev_b32_e32 v62, 2, v62
	v_xor_b32_e32 v77, 0x440, v62
	v_cndmask_b32_e32 v62, v77, v62, vcc
	v_mfma_f32_16x16x16_bf16 a[12:15], v[52:53], v[80:81], a[12:15]
	ds_read2st64_b64 v[78:81], v59 offset0:52 offset1:56
	ds_read2st64_b64 v[90:93], v60 offset0:52 offset1:56
	;; [unrolled: 1-line block ×3, first 2 shown]
	v_lshl_or_b32 v50, v50, 10, v62
	v_perm_b32 v62, v34, v38, s0
	v_mfma_f32_16x16x16_bf16 a[0:3], v[82:83], v[86:87], a[0:3]
	ds_read_b64 v[52:53], v58 offset:30720
	ds_read_b64 v[86:87], v59 offset:30720
	;; [unrolled: 1-line block ×4, first 2 shown]
	ds_write2st64_b32 v50, v62, v63 offset0:128 offset1:160
	v_xor_b32_e32 v62, 8, v50
	s_waitcnt lgkmcnt(7)
	v_mfma_f32_16x16x16_bf16 a[4:7], v[82:83], v[78:79], a[4:7]
	v_perm_b32 v34, v34, v38, s1
	v_perm_b32 v38, v42, v46, s1
	v_add_u32_e32 v42, 0x80, v62
	s_waitcnt lgkmcnt(6)
	v_mfma_f32_16x16x16_bf16 a[8:11], v[82:83], v[90:91], a[8:11]
	ds_write2st64_b32 v42, v34, v38 offset0:128 offset1:160
	v_xor_b32_e32 v34, 16, v50
	v_perm_b32 v38, v35, v39, s0
	s_waitcnt lgkmcnt(6)
	v_mfma_f32_16x16x16_bf16 a[12:15], v[82:83], v[94:95], a[12:15]
	v_perm_b32 v42, v43, v47, s0
	ds_write2st64_b32 v34, v38, v42 offset0:129 offset1:161
	v_xor_b32_e32 v34, 24, v50
	v_mfma_f32_16x16x16_bf16 a[0:3], v[64:65], v[88:89], a[0:3]
	v_perm_b32 v35, v35, v39, s1
	v_perm_b32 v38, v43, v47, s1
	v_add_u32_e32 v34, 0x80, v34
	v_mfma_f32_16x16x16_bf16 a[4:7], v[64:65], v[80:81], a[4:7]
	ds_write2st64_b32 v34, v35, v38 offset0:129 offset1:161
	v_xor_b32_e32 v34, 32, v50
	v_perm_b32 v35, v36, v40, s0
	v_mfma_f32_16x16x16_bf16 a[16:19], v[64:65], v[92:93], a[8:11]
	v_perm_b32 v38, v44, v48, s0
	ds_write2st64_b32 v34, v35, v38 offset0:130 offset1:162
	v_xor_b32_e32 v34, 40, v50
	v_mfma_f32_16x16x16_bf16 a[20:23], v[64:65], v[96:97], a[12:15]
	v_perm_b32 v35, v36, v40, s1
	v_perm_b32 v36, v44, v48, s1
	v_add_u32_e32 v34, 0x80, v34
	s_waitcnt lgkmcnt(8)
	v_mfma_f32_16x16x16_bf16 a[12:15], v[98:99], v[52:53], a[0:3]
	ds_write2st64_b32 v34, v35, v36 offset0:130 offset1:162
	v_xor_b32_e32 v34, 48, v50
	v_perm_b32 v35, v37, v41, s0
	s_waitcnt lgkmcnt(8)
	v_mfma_f32_16x16x16_bf16 a[8:11], v[98:99], v[86:87], a[4:7]
	v_perm_b32 v36, v45, v49, s0
	ds_write2st64_b32 v34, v35, v36 offset0:131 offset1:163
	v_xor_b32_e32 v34, 56, v50
	s_waitcnt lgkmcnt(8)
	v_mfma_f32_16x16x16_bf16 a[4:7], v[98:99], v[100:101], a[16:19]
	v_and_or_b32 v53, v67, 12, v84
	v_perm_b32 v35, v37, v41, s1
	v_perm_b32 v36, v45, v49, s1
	s_waitcnt lgkmcnt(7)
	v_mfma_f32_16x16x16_bf16 a[0:3], v[98:99], v[102:103], a[20:23]
	v_add_u32_e32 v34, 0x80, v34
	v_cmp_gt_i32_e32 vcc, s31, v53
	v_mov_b32_e32 v48, 0
	v_mov_b32_e32 v50, 0
	ds_write2st64_b32 v34, v35, v36 offset0:131 offset1:163
	s_and_saveexec_b64 s[0:1], vcc
	s_cbranch_execz .LBB162_60
; %bb.59:
	v_add_u32_e32 v34, s30, v53
	v_ashrrev_i32_e32 v35, 31, v34
	v_mul_lo_u32 v36, v35, s34
	v_mul_lo_u32 v37, v34, s35
	v_mad_u64_u32 v[34:35], s[2:3], v34, s34, 0
	v_add3_u32 v35, v35, v37, v36
	v_lshl_add_u64 v[34:35], v[34:35], 2, s[10:11]
	global_load_dword v34, v[34:35], off
	s_waitcnt vmcnt(0)
	v_sub_f32_e32 v34, s16, v34
	v_exp_f32_e32 v50, v34
.LBB162_60:
	s_or_b64 exec, exec, s[0:1]
	v_or_b32_e32 v40, 1, v53
	v_cmp_gt_i32_e64 s[0:1], s31, v40
	s_and_saveexec_b64 s[2:3], s[0:1]
	s_cbranch_execz .LBB162_62
; %bb.61:
	v_add_u32_e32 v34, s30, v40
	v_ashrrev_i32_e32 v35, 31, v34
	v_mul_lo_u32 v36, v35, s34
	v_mul_lo_u32 v37, v34, s35
	v_mad_u64_u32 v[34:35], s[4:5], v34, s34, 0
	v_add3_u32 v35, v35, v37, v36
	v_lshl_add_u64 v[34:35], v[34:35], 2, s[10:11]
	global_load_dword v34, v[34:35], off
	s_waitcnt vmcnt(0)
	v_sub_f32_e32 v34, s16, v34
	v_exp_f32_e32 v48, v34
.LBB162_62:
	s_or_b64 exec, exec, s[2:3]
	v_or_b32_e32 v41, 2, v53
	v_cmp_gt_i32_e64 s[2:3], s31, v41
	v_mov_b32_e32 v49, 0
	v_mov_b32_e32 v52, 0
	s_and_saveexec_b64 s[4:5], s[2:3]
	s_cbranch_execz .LBB162_64
; %bb.63:
	v_add_u32_e32 v34, s30, v41
	v_ashrrev_i32_e32 v35, 31, v34
	v_mul_lo_u32 v36, v35, s34
	v_mul_lo_u32 v37, v34, s35
	v_mad_u64_u32 v[34:35], s[6:7], v34, s34, 0
	v_add3_u32 v35, v35, v37, v36
	v_lshl_add_u64 v[34:35], v[34:35], 2, s[10:11]
	global_load_dword v34, v[34:35], off
	s_waitcnt vmcnt(0)
	v_sub_f32_e32 v34, s16, v34
	v_exp_f32_e32 v52, v34
.LBB162_64:
	s_or_b64 exec, exec, s[4:5]
	v_or_b32_e32 v62, 3, v53
	v_cmp_gt_i32_e64 s[4:5], s31, v62
	s_and_saveexec_b64 s[6:7], s[4:5]
	s_cbranch_execz .LBB162_66
; %bb.65:
	v_add_u32_e32 v34, s30, v62
	v_ashrrev_i32_e32 v35, 31, v34
	v_mul_lo_u32 v36, v35, s34
	v_mul_lo_u32 v37, v34, s35
	v_mad_u64_u32 v[34:35], s[18:19], v34, s34, 0
	v_add3_u32 v35, v35, v37, v36
	v_lshl_add_u64 v[34:35], v[34:35], 2, s[10:11]
	global_load_dword v34, v[34:35], off
	s_waitcnt vmcnt(0)
	v_sub_f32_e32 v34, s16, v34
	v_exp_f32_e32 v49, v34
.LBB162_66:
	s_or_b64 exec, exec, s[6:7]
	s_add_u32 s6, s8, s24
	v_accvgpr_read_b32 v37, a15
	s_addc_u32 s7, s9, s25
	v_ashrrev_i32_e32 v77, 31, v76
	v_accvgpr_read_b32 v36, a14
	v_accvgpr_read_b32 v35, a13
	;; [unrolled: 1-line block ×3, first 2 shown]
	v_lshl_add_u64 v[38:39], v[76:77], 1, s[6:7]
	v_mov_b32_e32 v45, 0
	v_lshlrev_b32_e32 v42, 8, v53
	v_mov_b32_e32 v43, 0
	s_and_saveexec_b64 s[6:7], vcc
	s_cbranch_execz .LBB162_68
; %bb.67:
	v_mov_b32_e32 v43, 0
	v_lshl_add_u64 v[46:47], v[38:39], 0, v[42:43]
	global_load_ushort v43, v[46:47], off
	s_waitcnt vmcnt(0)
	v_lshlrev_b32_e32 v43, 16, v43
	v_sub_f32_e32 v34, v43, v34
	v_mul_f32_e32 v34, v50, v34
	v_lshrrev_b32_e32 v43, 16, v34
.LBB162_68:
	s_or_b64 exec, exec, s[6:7]
	v_lshlrev_b32_e32 v44, 8, v40
	s_and_saveexec_b64 s[6:7], s[0:1]
	s_cbranch_execz .LBB162_70
; %bb.69:
	v_mov_b32_e32 v45, 0
	v_lshl_add_u64 v[46:47], v[38:39], 0, v[44:45]
	global_load_ushort v34, v[46:47], off
	s_waitcnt vmcnt(0)
	v_lshlrev_b32_e32 v34, 16, v34
	v_sub_f32_e32 v34, v34, v35
	v_mul_f32_e32 v34, v48, v34
	v_lshrrev_b32_e32 v45, 16, v34
.LBB162_70:
	s_or_b64 exec, exec, s[6:7]
	v_mov_b32_e32 v63, 0
	v_lshlrev_b32_e32 v46, 8, v41
	v_mov_b32_e32 v47, 0
	s_and_saveexec_b64 s[6:7], s[2:3]
	s_cbranch_execz .LBB162_72
; %bb.71:
	v_mov_b32_e32 v47, 0
	v_lshl_add_u64 v[34:35], v[38:39], 0, v[46:47]
	global_load_ushort v34, v[34:35], off
	s_waitcnt vmcnt(0)
	v_lshlrev_b32_e32 v34, 16, v34
	v_sub_f32_e32 v34, v34, v36
	v_mul_f32_e32 v34, v52, v34
	v_lshrrev_b32_e32 v47, 16, v34
.LBB162_72:
	s_or_b64 exec, exec, s[6:7]
	v_lshlrev_b32_e32 v40, 8, v62
	s_and_saveexec_b64 s[6:7], s[4:5]
	s_cbranch_execz .LBB162_74
; %bb.73:
	v_mov_b32_e32 v41, 0
	v_lshl_add_u64 v[34:35], v[38:39], 0, v[40:41]
	global_load_ushort v34, v[34:35], off
	s_waitcnt vmcnt(0)
	v_lshlrev_b32_e32 v34, 16, v34
	v_sub_f32_e32 v34, v34, v37
	v_mul_f32_e32 v34, v49, v34
	v_lshrrev_b32_e32 v63, 16, v34
.LBB162_74:
	s_or_b64 exec, exec, s[6:7]
	v_lshlrev_b32_e32 v53, 6, v53
	v_accvgpr_read_b32 v37, a11
	s_mov_b32 s6, 0x5040100
	v_or_b32_e32 v41, v53, v56
	v_accvgpr_read_b32 v36, a10
	v_accvgpr_read_b32 v35, a9
	;; [unrolled: 1-line block ×3, first 2 shown]
	v_perm_b32 v63, v63, v47, s6
	v_perm_b32 v62, v45, v43, s6
	v_lshlrev_b32_e32 v41, 1, v41
	v_mov_b32_e32 v45, 0
	v_mov_b32_e32 v43, 0
	ds_write_b64 v41, v[62:63] offset:24576
	s_and_saveexec_b64 s[6:7], vcc
	s_cbranch_execz .LBB162_76
; %bb.75:
	v_mov_b32_e32 v43, 0
	v_lshl_add_u64 v[62:63], v[38:39], 0, v[42:43]
	global_load_ushort v41, v[62:63], off offset:32
	s_waitcnt vmcnt(0)
	v_lshlrev_b32_e32 v41, 16, v41
	v_sub_f32_e32 v34, v41, v34
	v_mul_f32_e32 v34, v50, v34
	v_lshrrev_b32_e32 v43, 16, v34
.LBB162_76:
	s_or_b64 exec, exec, s[6:7]
	s_and_saveexec_b64 s[6:7], s[0:1]
	s_cbranch_execz .LBB162_78
; %bb.77:
	v_mov_b32_e32 v45, 0
	v_lshl_add_u64 v[62:63], v[38:39], 0, v[44:45]
	global_load_ushort v34, v[62:63], off offset:32
	s_waitcnt vmcnt(0)
	v_lshlrev_b32_e32 v34, 16, v34
	v_sub_f32_e32 v34, v34, v35
	v_mul_f32_e32 v34, v48, v34
	v_lshrrev_b32_e32 v45, 16, v34
.LBB162_78:
	s_or_b64 exec, exec, s[6:7]
	v_mov_b32_e32 v41, 0
	v_mov_b32_e32 v47, 0
	s_and_saveexec_b64 s[6:7], s[2:3]
	s_cbranch_execz .LBB162_80
; %bb.79:
	v_mov_b32_e32 v47, 0
	v_lshl_add_u64 v[34:35], v[38:39], 0, v[46:47]
	global_load_ushort v34, v[34:35], off offset:32
	s_waitcnt vmcnt(0)
	v_lshlrev_b32_e32 v34, 16, v34
	v_sub_f32_e32 v34, v34, v36
	v_mul_f32_e32 v34, v52, v34
	v_lshrrev_b32_e32 v47, 16, v34
.LBB162_80:
	s_or_b64 exec, exec, s[6:7]
	s_and_saveexec_b64 s[6:7], s[4:5]
	s_cbranch_execz .LBB162_82
; %bb.81:
	v_mov_b32_e32 v41, 0
	v_lshl_add_u64 v[34:35], v[38:39], 0, v[40:41]
	global_load_ushort v34, v[34:35], off offset:32
	s_waitcnt vmcnt(0)
	v_lshlrev_b32_e32 v34, 16, v34
	v_sub_f32_e32 v34, v34, v37
	v_mul_f32_e32 v34, v49, v34
	v_lshrrev_b32_e32 v41, 16, v34
.LBB162_82:
	s_or_b64 exec, exec, s[6:7]
	s_mov_b32 s6, 0x5040100
	v_accvgpr_read_b32 v37, a7
	v_perm_b32 v63, v41, v47, s6
	v_or_b32_e32 v41, v53, v55
	v_accvgpr_read_b32 v36, a6
	v_accvgpr_read_b32 v35, a5
	;; [unrolled: 1-line block ×3, first 2 shown]
	v_perm_b32 v62, v45, v43, s6
	v_lshlrev_b32_e32 v41, 1, v41
	v_mov_b32_e32 v45, 0
	v_mov_b32_e32 v43, 0
	ds_write_b64 v41, v[62:63] offset:24576
	s_and_saveexec_b64 s[6:7], vcc
	s_cbranch_execz .LBB162_84
; %bb.83:
	v_mov_b32_e32 v43, 0
	v_lshl_add_u64 v[62:63], v[38:39], 0, v[42:43]
	global_load_ushort v41, v[62:63], off offset:64
	s_waitcnt vmcnt(0)
	v_lshlrev_b32_e32 v41, 16, v41
	v_sub_f32_e32 v34, v41, v34
	v_mul_f32_e32 v34, v50, v34
	v_lshrrev_b32_e32 v43, 16, v34
.LBB162_84:
	s_or_b64 exec, exec, s[6:7]
	s_and_saveexec_b64 s[6:7], s[0:1]
	s_cbranch_execz .LBB162_86
; %bb.85:
	v_mov_b32_e32 v45, 0
	v_lshl_add_u64 v[62:63], v[38:39], 0, v[44:45]
	global_load_ushort v34, v[62:63], off offset:64
	s_waitcnt vmcnt(0)
	v_lshlrev_b32_e32 v34, 16, v34
	v_sub_f32_e32 v34, v34, v35
	v_mul_f32_e32 v34, v48, v34
	v_lshrrev_b32_e32 v45, 16, v34
.LBB162_86:
	s_or_b64 exec, exec, s[6:7]
	v_mov_b32_e32 v41, 0
	v_mov_b32_e32 v47, 0
	s_and_saveexec_b64 s[6:7], s[2:3]
	s_cbranch_execz .LBB162_88
; %bb.87:
	v_mov_b32_e32 v47, 0
	v_lshl_add_u64 v[34:35], v[38:39], 0, v[46:47]
	global_load_ushort v34, v[34:35], off offset:64
	s_waitcnt vmcnt(0)
	v_lshlrev_b32_e32 v34, 16, v34
	v_sub_f32_e32 v34, v34, v36
	v_mul_f32_e32 v34, v52, v34
	v_lshrrev_b32_e32 v47, 16, v34
.LBB162_88:
	s_or_b64 exec, exec, s[6:7]
	s_and_saveexec_b64 s[6:7], s[4:5]
	s_cbranch_execz .LBB162_90
; %bb.89:
	v_mov_b32_e32 v41, 0
	v_lshl_add_u64 v[34:35], v[38:39], 0, v[40:41]
	global_load_ushort v34, v[34:35], off offset:64
	s_waitcnt vmcnt(0)
	v_lshlrev_b32_e32 v34, 16, v34
	v_sub_f32_e32 v34, v34, v37
	v_mul_f32_e32 v34, v49, v34
	v_lshrrev_b32_e32 v41, 16, v34
.LBB162_90:
	s_or_b64 exec, exec, s[6:7]
	s_mov_b32 s6, 0x5040100
	v_accvgpr_read_b32 v37, a3
	v_perm_b32 v63, v41, v47, s6
	v_or_b32_e32 v41, v53, v54
	v_accvgpr_read_b32 v36, a2
	v_accvgpr_read_b32 v35, a1
	;; [unrolled: 1-line block ×3, first 2 shown]
	v_perm_b32 v62, v45, v43, s6
	v_lshlrev_b32_e32 v41, 1, v41
	v_mov_b32_e32 v45, 0
	v_mov_b32_e32 v43, 0
	ds_write_b64 v41, v[62:63] offset:24576
	s_and_saveexec_b64 s[6:7], vcc
	s_cbranch_execz .LBB162_92
; %bb.91:
	v_mov_b32_e32 v43, 0
	v_lshl_add_u64 v[42:43], v[38:39], 0, v[42:43]
	global_load_ushort v41, v[42:43], off offset:96
	s_waitcnt vmcnt(0)
	v_lshlrev_b32_e32 v41, 16, v41
	v_sub_f32_e32 v34, v41, v34
	v_mul_f32_e32 v34, v50, v34
	v_lshrrev_b32_e32 v43, 16, v34
.LBB162_92:
	s_or_b64 exec, exec, s[6:7]
	s_and_saveexec_b64 s[6:7], s[0:1]
	s_cbranch_execz .LBB162_94
; %bb.93:
	v_mov_b32_e32 v45, 0
	v_lshl_add_u64 v[44:45], v[38:39], 0, v[44:45]
	global_load_ushort v34, v[44:45], off offset:96
	s_waitcnt vmcnt(0)
	v_lshlrev_b32_e32 v34, 16, v34
	v_sub_f32_e32 v34, v34, v35
	v_mul_f32_e32 v34, v48, v34
	v_lshrrev_b32_e32 v45, 16, v34
.LBB162_94:
	s_or_b64 exec, exec, s[6:7]
	v_mov_b32_e32 v41, 0
	v_mov_b32_e32 v44, 0
	s_and_saveexec_b64 s[0:1], s[2:3]
	s_cbranch_execz .LBB162_96
; %bb.95:
	v_mov_b32_e32 v47, 0
	v_lshl_add_u64 v[34:35], v[38:39], 0, v[46:47]
	global_load_ushort v34, v[34:35], off offset:96
	s_waitcnt vmcnt(0)
	v_lshlrev_b32_e32 v34, 16, v34
	v_sub_f32_e32 v34, v34, v36
	v_mul_f32_e32 v34, v52, v34
	v_lshrrev_b32_e32 v44, 16, v34
.LBB162_96:
	s_or_b64 exec, exec, s[0:1]
	v_or_b32_e32 v42, 0x6000, v58
	v_or_b32_e32 v36, 0x6000, v59
	v_or_b32_e32 v35, 0x6000, v60
	v_or_b32_e32 v34, 0x6000, v61
	s_and_saveexec_b64 s[0:1], s[4:5]
	s_cbranch_execz .LBB162_98
; %bb.97:
	v_mov_b32_e32 v41, 0
	v_lshl_add_u64 v[38:39], v[38:39], 0, v[40:41]
	global_load_ushort v38, v[38:39], off offset:96
	s_waitcnt vmcnt(0)
	v_lshlrev_b32_e32 v38, 16, v38
	v_sub_f32_e32 v37, v38, v37
	v_mul_f32_e32 v37, v49, v37
	v_lshrrev_b32_e32 v41, 16, v37
.LBB162_98:
	s_or_b64 exec, exec, s[0:1]
	s_mov_b32 s0, 0x5040100
	v_or_b32_e32 v37, v53, v51
	v_perm_b32 v39, v41, v44, s0
	v_perm_b32 v38, v45, v43, s0
	v_lshlrev_b32_e32 v37, 1, v37
	s_movk_i32 s0, 0x100
	ds_write_b64 v37, v[38:39] offset:24576
	v_and_b32_e32 v37, 7, v0
	v_and_b32_e32 v38, 8, v0
	v_cmp_gt_u32_e32 vcc, s0, v0
	v_lshrrev_b32_e32 v0, 1, v0
	v_lshlrev_b32_e32 v67, 3, v1
	v_and_b32_e32 v78, 24, v0
	v_mov_b32_e32 v39, 0xa000
	v_mov_b32_e32 v40, 0x8000
	v_xor_b32_e32 v0, v67, v78
	v_or_b32_e32 v48, 32, v78
	v_cndmask_b32_e32 v56, v39, v40, vcc
	v_or_b32_e32 v1, 0x440, v0
	v_cmp_eq_u32_e32 vcc, 0, v38
	v_xor_b32_e32 v48, v67, v48
	v_or_b32_e32 v49, 0x440, v48
	v_cndmask_b32_e32 v0, v1, v0, vcc
	v_lshlrev_b32_e32 v43, 3, v37
	v_lshlrev_b32_e32 v37, 7, v37
	v_or_b32_e32 v0, v0, v57
	v_cndmask_b32_e32 v48, v49, v48, vcc
	v_xad_u32 v79, v0, v43, v37
	v_or_b32_e32 v48, v48, v57
	v_add_u32_e32 v0, v56, v79
	v_xad_u32 v80, v48, v43, v37
	s_waitcnt lgkmcnt(0)
	s_barrier
	ds_read_b64 v[0:1], v0
	ds_read2_b64 v[38:41], v42 offset1:16
	ds_read2_b64 v[44:47], v42 offset0:32 offset1:48
	v_add_u32_e32 v48, v56, v80
	ds_read_b64 v[76:77], v48
	s_waitcnt lgkmcnt(2)
	v_mfma_f32_16x16x16_bf16 a[0:3], v[0:1], v[38:39], 0
	ds_read2st64_b64 v[48:51], v42 offset0:4 offset1:8
	ds_read2st64_b64 v[52:55], v36 offset0:4 offset1:8
	ds_read2st64_b64 v[58:61], v35 offset0:4 offset1:8
	v_mfma_f32_16x16x16_bf16 a[4:7], v[0:1], v[40:41], 0
	ds_read2st64_b64 v[62:65], v34 offset0:4 offset1:8
	s_waitcnt lgkmcnt(5)
	v_mfma_f32_16x16x16_bf16 a[8:11], v[0:1], v[44:45], 0
	v_mfma_f32_16x16x16_bf16 a[12:15], v[0:1], v[46:47], 0
	v_or_b32_e32 v0, 64, v78
	v_xor_b32_e32 v0, v67, v0
	v_xor_b32_e32 v1, 0x440, v0
	v_cndmask_b32_e32 v0, v1, v0, vcc
	v_or_b32_e32 v0, v0, v57
	s_waitcnt lgkmcnt(3)
	v_mfma_f32_16x16x16_bf16 a[0:3], v[76:77], v[48:49], a[0:3]
	s_waitcnt lgkmcnt(2)
	v_mfma_f32_16x16x16_bf16 a[4:7], v[76:77], v[52:53], a[4:7]
	;; [unrolled: 2-line block ×4, first 2 shown]
	v_xad_u32 v76, v0, v43, v37
	v_add_u32_e32 v0, v56, v76
	ds_read_b64 v[0:1], v0
	v_or_b32_e32 v77, 0x60, v78
	v_xor_b32_e32 v67, v67, v77
	v_xor_b32_e32 v77, 0x440, v67
	v_cndmask_b32_e32 v67, v77, v67, vcc
	v_or_b32_e32 v57, v67, v57
	v_xad_u32 v67, v57, v43, v37
	v_add_u32_e32 v37, v56, v67
	s_waitcnt lgkmcnt(0)
	v_mfma_f32_16x16x16_bf16 a[0:3], v[0:1], v[50:51], a[0:3]
	ds_read_b64 v[56:57], v37
	ds_read_b64 v[42:43], v42 offset:6144
	v_mfma_f32_16x16x16_bf16 a[4:7], v[0:1], v[54:55], a[4:7]
	v_mfma_f32_16x16x16_bf16 a[8:11], v[0:1], v[60:61], a[8:11]
	;; [unrolled: 1-line block ×3, first 2 shown]
	ds_read_b64 v[0:1], v36 offset:6144
	ds_read_b64 v[36:37], v35 offset:6144
	;; [unrolled: 1-line block ×3, first 2 shown]
	s_waitcnt lgkmcnt(3)
	v_mfma_f32_16x16x16_bf16 a[0:3], v[56:57], v[42:43], a[0:3]
	s_waitcnt lgkmcnt(2)
	v_mfma_f32_16x16x16_bf16 a[4:7], v[56:57], v[0:1], a[4:7]
	;; [unrolled: 2-line block ×4, first 2 shown]
	ds_read_b64 v[56:57], v79 offset:40960
	s_waitcnt lgkmcnt(0)
	v_mfma_f32_16x16x16_bf16 a[24:27], v[56:57], v[44:45], 0
	v_exp_f32_e32 v44, s16
	v_accvgpr_read_b32 v45, a3
	v_fmac_f32_e32 v45, v9, v44
	v_mfma_f32_16x16x16_bf16 a[16:19], v[56:57], v[38:39], 0
	ds_read_b64 v[38:39], v80 offset:40960
	v_accvgpr_read_b32 v9, a4
	v_fma_f32 v14, v14, v44, v9
	v_mfma_f32_16x16x16_bf16 a[20:23], v[56:57], v[40:41], 0
	v_accvgpr_read_b32 v40, a0
	v_fma_f32 v6, v6, v44, v40
	v_accvgpr_read_b32 v40, a1
	v_fma_f32 v7, v7, v44, v40
	v_accvgpr_read_b32 v40, a2
	v_mfma_f32_16x16x16_bf16 a[28:31], v[56:57], v[46:47], 0
	v_fma_f32 v8, v8, v44, v40
	ds_read_b64 v[40:41], v76 offset:40960
	v_accvgpr_read_b32 v9, a5
	s_waitcnt lgkmcnt(1)
	v_mfma_f32_16x16x16_bf16 a[16:19], v[38:39], v[48:49], a[16:19]
	v_fma_f32 v15, v15, v44, v9
	v_accvgpr_read_b32 v9, a6
	v_fma_f32 v16, v16, v44, v9
	v_mfma_f32_16x16x16_bf16 a[20:23], v[38:39], v[52:53], a[20:23]
	v_accvgpr_read_b32 v9, a8
	v_fma_f32 v22, v22, v44, v9
	v_accvgpr_read_b32 v9, a9
	v_mfma_f32_16x16x16_bf16 a[24:27], v[38:39], v[58:59], a[24:27]
	v_accvgpr_read_b32 v46, a7
	v_fma_f32 v23, v23, v44, v9
	v_accvgpr_read_b32 v9, a10
	v_mfma_f32_16x16x16_bf16 a[0:3], v[38:39], v[62:63], a[28:31]
	ds_read_b64 v[38:39], v67 offset:40960
	v_fma_f32 v24, v24, v44, v9
	v_accvgpr_read_b32 v9, a12
	s_waitcnt lgkmcnt(1)
	v_mfma_f32_16x16x16_bf16 a[16:19], v[40:41], v[50:51], a[16:19]
	v_fma_f32 v30, v30, v44, v9
	v_fmac_f32_e32 v46, v17, v44
	v_mov_b32_e32 v17, v46
	v_mfma_f32_16x16x16_bf16 a[4:7], v[40:41], v[54:55], a[20:23]
	v_mfma_f32_16x16x16_bf16 a[20:23], v[40:41], v[60:61], a[24:27]
	;; [unrolled: 1-line block ×3, first 2 shown]
	v_accvgpr_read_b32 v40, a11
	v_fmac_f32_e32 v40, v25, v44
	s_waitcnt lgkmcnt(0)
	v_mfma_f32_16x16x16_bf16 a[8:11], v[38:39], v[42:43], a[16:19]
	v_mfma_f32_16x16x16_bf16 a[4:7], v[38:39], v[0:1], a[4:7]
	v_accvgpr_read_b32 v0, a13
	v_fma_f32 v31, v31, v44, v0
	v_accvgpr_read_b32 v0, a14
	s_nop 2
	v_accvgpr_read_b32 v1, a8
	v_fma_f32 v2, v2, v44, v1
	v_accvgpr_read_b32 v1, a9
	v_fma_f32 v3, v3, v44, v1
	v_accvgpr_read_b32 v1, a10
	v_mfma_f32_16x16x16_bf16 a[16:19], v[38:39], v[36:37], a[20:23]
	v_fma_f32 v4, v4, v44, v1
	v_accvgpr_read_b32 v1, a11
	v_fmac_f32_e32 v1, v5, v44
	v_mfma_f32_16x16x16_bf16 a[0:3], v[38:39], v[34:35], a[0:3]
	v_accvgpr_read_b32 v5, a4
	v_fma_f32 v10, v10, v44, v5
	v_accvgpr_read_b32 v5, a5
	v_fma_f32 v11, v11, v44, v5
	;; [unrolled: 2-line block ×3, first 2 shown]
	v_accvgpr_read_b32 v5, a16
	v_accvgpr_read_b32 v9, a0
	v_fma_f32 v18, v18, v44, v5
	v_accvgpr_read_b32 v5, a17
	v_fma_f32 v26, v26, v44, v9
	;; [unrolled: 2-line block ×5, first 2 shown]
	v_accvgpr_read_b32 v0, a15
	v_accvgpr_read_b32 v25, a7
	v_fma_f32 v20, v20, v44, v5
	v_accvgpr_read_b32 v5, a19
	v_fma_f32 v28, v28, v44, v9
	v_accvgpr_read_b32 v9, a3
	v_fmac_f32_e32 v0, v33, v44
	v_fmac_f32_e32 v25, v13, v44
	;; [unrolled: 1-line block ×4, first 2 shown]
	v_mov_b32_e32 v29, v9
	v_mov_b32_e32 v33, v0
	;; [unrolled: 1-line block ×7, first 2 shown]
.LBB162_99:
	s_add_u32 s0, s12, s14
	s_addc_u32 s1, s13, s15
	v_lshl_add_u64 v[0:1], v[68:69], 2, s[0:1]
	v_mov_b32_e32 v67, 0
	v_lshl_add_u64 v[0:1], v[0:1], 0, v[66:67]
	s_waitcnt vmcnt(7)
	global_store_dwordx4 v[0:1], v[6:9], off
	s_waitcnt vmcnt(7)
	global_store_dwordx4 v[0:1], v[2:5], off offset:256
	v_lshl_add_u64 v[0:1], v[70:71], 2, s[0:1]
	v_lshl_add_u64 v[0:1], v[0:1], 0, v[66:67]
	s_waitcnt vmcnt(7)
	global_store_dwordx4 v[0:1], v[14:17], off
	s_waitcnt vmcnt(7)
	global_store_dwordx4 v[0:1], v[10:13], off offset:256
	v_lshl_add_u64 v[0:1], v[72:73], 2, s[0:1]
	;; [unrolled: 6-line block ×3, first 2 shown]
	v_lshl_add_u64 v[0:1], v[0:1], 0, v[66:67]
	s_waitcnt vmcnt(7)
	global_store_dwordx4 v[0:1], v[30:33], off
	s_waitcnt vmcnt(7)
	global_store_dwordx4 v[0:1], v[26:29], off offset:256
	s_endpgm
	.section	.rodata,"a",@progbits
	.p2align	6, 0x0
	.amdhsa_kernel _ZN12_GLOBAL__N_139chunk_gated_delta_rule_fwd_h_hip_kernelILi64ELb1ELb1ELb0ELb1ELb1ELb0ELb1ELb0EEEvPK12hip_bfloat16S3_S3_PKfS5_PKvPS1_S8_PvPKiSB_iiiiilll
		.amdhsa_group_segment_fixed_size 65536
		.amdhsa_private_segment_fixed_size 0
		.amdhsa_kernarg_size 136
		.amdhsa_user_sgpr_count 2
		.amdhsa_user_sgpr_dispatch_ptr 0
		.amdhsa_user_sgpr_queue_ptr 0
		.amdhsa_user_sgpr_kernarg_segment_ptr 1
		.amdhsa_user_sgpr_dispatch_id 0
		.amdhsa_user_sgpr_kernarg_preload_length 0
		.amdhsa_user_sgpr_kernarg_preload_offset 0
		.amdhsa_user_sgpr_private_segment_size 0
		.amdhsa_uses_dynamic_stack 0
		.amdhsa_enable_private_segment 0
		.amdhsa_system_sgpr_workgroup_id_x 1
		.amdhsa_system_sgpr_workgroup_id_y 1
		.amdhsa_system_sgpr_workgroup_id_z 0
		.amdhsa_system_sgpr_workgroup_info 0
		.amdhsa_system_vgpr_workitem_id 0
		.amdhsa_next_free_vgpr 224
		.amdhsa_next_free_sgpr 65
		.amdhsa_accum_offset 188
		.amdhsa_reserve_vcc 1
		.amdhsa_float_round_mode_32 0
		.amdhsa_float_round_mode_16_64 0
		.amdhsa_float_denorm_mode_32 3
		.amdhsa_float_denorm_mode_16_64 3
		.amdhsa_dx10_clamp 1
		.amdhsa_ieee_mode 1
		.amdhsa_fp16_overflow 0
		.amdhsa_tg_split 0
		.amdhsa_exception_fp_ieee_invalid_op 0
		.amdhsa_exception_fp_denorm_src 0
		.amdhsa_exception_fp_ieee_div_zero 0
		.amdhsa_exception_fp_ieee_overflow 0
		.amdhsa_exception_fp_ieee_underflow 0
		.amdhsa_exception_fp_ieee_inexact 0
		.amdhsa_exception_int_div_zero 0
	.end_amdhsa_kernel
	.section	.text._ZN12_GLOBAL__N_139chunk_gated_delta_rule_fwd_h_hip_kernelILi64ELb1ELb1ELb0ELb1ELb1ELb0ELb1ELb0EEEvPK12hip_bfloat16S3_S3_PKfS5_PKvPS1_S8_PvPKiSB_iiiiilll,"axG",@progbits,_ZN12_GLOBAL__N_139chunk_gated_delta_rule_fwd_h_hip_kernelILi64ELb1ELb1ELb0ELb1ELb1ELb0ELb1ELb0EEEvPK12hip_bfloat16S3_S3_PKfS5_PKvPS1_S8_PvPKiSB_iiiiilll,comdat
.Lfunc_end162:
	.size	_ZN12_GLOBAL__N_139chunk_gated_delta_rule_fwd_h_hip_kernelILi64ELb1ELb1ELb0ELb1ELb1ELb0ELb1ELb0EEEvPK12hip_bfloat16S3_S3_PKfS5_PKvPS1_S8_PvPKiSB_iiiiilll, .Lfunc_end162-_ZN12_GLOBAL__N_139chunk_gated_delta_rule_fwd_h_hip_kernelILi64ELb1ELb1ELb0ELb1ELb1ELb0ELb1ELb0EEEvPK12hip_bfloat16S3_S3_PKfS5_PKvPS1_S8_PvPKiSB_iiiiilll
                                        ; -- End function
	.section	.AMDGPU.csdata,"",@progbits
; Kernel info:
; codeLenInByte = 12000
; NumSgprs: 71
; NumVgprs: 186
; NumAgprs: 36
; TotalNumVgprs: 224
; ScratchSize: 0
; MemoryBound: 0
; FloatMode: 240
; IeeeMode: 1
; LDSByteSize: 65536 bytes/workgroup (compile time only)
; SGPRBlocks: 8
; VGPRBlocks: 27
; NumSGPRsForWavesPerEU: 71
; NumVGPRsForWavesPerEU: 224
; AccumOffset: 188
; Occupancy: 1
; WaveLimiterHint : 1
; COMPUTE_PGM_RSRC2:SCRATCH_EN: 0
; COMPUTE_PGM_RSRC2:USER_SGPR: 2
; COMPUTE_PGM_RSRC2:TRAP_HANDLER: 0
; COMPUTE_PGM_RSRC2:TGID_X_EN: 1
; COMPUTE_PGM_RSRC2:TGID_Y_EN: 1
; COMPUTE_PGM_RSRC2:TGID_Z_EN: 0
; COMPUTE_PGM_RSRC2:TIDIG_COMP_CNT: 0
; COMPUTE_PGM_RSRC3_GFX90A:ACCUM_OFFSET: 46
; COMPUTE_PGM_RSRC3_GFX90A:TG_SPLIT: 0
	.section	.text._ZN12_GLOBAL__N_139chunk_gated_delta_rule_fwd_h_hip_kernelILi64ELb1ELb0ELb1ELb1ELb1ELb0ELb1ELb0EEEvPK12hip_bfloat16S3_S3_PKfS5_PKvPS1_S8_PvPKiSB_iiiiilll,"axG",@progbits,_ZN12_GLOBAL__N_139chunk_gated_delta_rule_fwd_h_hip_kernelILi64ELb1ELb0ELb1ELb1ELb1ELb0ELb1ELb0EEEvPK12hip_bfloat16S3_S3_PKfS5_PKvPS1_S8_PvPKiSB_iiiiilll,comdat
	.globl	_ZN12_GLOBAL__N_139chunk_gated_delta_rule_fwd_h_hip_kernelILi64ELb1ELb0ELb1ELb1ELb1ELb0ELb1ELb0EEEvPK12hip_bfloat16S3_S3_PKfS5_PKvPS1_S8_PvPKiSB_iiiiilll ; -- Begin function _ZN12_GLOBAL__N_139chunk_gated_delta_rule_fwd_h_hip_kernelILi64ELb1ELb0ELb1ELb1ELb1ELb0ELb1ELb0EEEvPK12hip_bfloat16S3_S3_PKfS5_PKvPS1_S8_PvPKiSB_iiiiilll
	.p2align	8
	.type	_ZN12_GLOBAL__N_139chunk_gated_delta_rule_fwd_h_hip_kernelILi64ELb1ELb0ELb1ELb1ELb1ELb0ELb1ELb0EEEvPK12hip_bfloat16S3_S3_PKfS5_PKvPS1_S8_PvPKiSB_iiiiilll,@function
_ZN12_GLOBAL__N_139chunk_gated_delta_rule_fwd_h_hip_kernelILi64ELb1ELb0ELb1ELb1ELb1ELb0ELb1ELb0EEEvPK12hip_bfloat16S3_S3_PKfS5_PKvPS1_S8_PvPKiSB_iiiiilll: ; @_ZN12_GLOBAL__N_139chunk_gated_delta_rule_fwd_h_hip_kernelILi64ELb1ELb0ELb1ELb1ELb1ELb0ELb1ELb0EEEvPK12hip_bfloat16S3_S3_PKfS5_PKvPS1_S8_PvPKiSB_iiiiilll
; %bb.0:
	s_load_dwordx4 s[12:15], s[0:1], 0x5c
	s_load_dwordx4 s[4:7], s[0:1], 0x48
	s_abs_i32 s9, s3
	s_ashr_i32 s8, s3, 31
	v_and_b32_e32 v79, 15, v0
	s_waitcnt lgkmcnt(0)
	s_abs_i32 s10, s13
	v_cvt_f32_u32_e32 v1, s10
	s_sub_i32 s16, 0, s10
	s_ashr_i32 s11, s13, 31
	s_xor_b32 s8, s8, s11
	v_rcp_iflag_f32_e32 v1, v1
	v_lshrrev_b32_e32 v77, 6, v0
	v_bfe_u32 v78, v0, 4, 2
	v_mov_b32_e32 v11, 0
	v_mul_f32_e32 v1, 0x4f7ffffe, v1
	v_cvt_u32_f32_e32 v1, v1
	v_and_b32_e32 v76, 63, v0
	v_lshrrev_b32_e32 v81, 3, v76
	v_lshlrev_b32_e32 v80, 3, v0
	v_readfirstlane_b32 s17, v1
	s_mul_i32 s16, s16, s17
	s_mul_hi_u32 s16, s17, s16
	s_add_i32 s17, s17, s16
	s_mul_hi_u32 s16, s9, s17
	s_mul_i32 s17, s16, s10
	s_sub_i32 s9, s9, s17
	s_add_i32 s18, s16, 1
	s_sub_i32 s17, s9, s10
	s_cmp_ge_u32 s9, s10
	s_cselect_b32 s16, s18, s16
	s_cselect_b32 s9, s17, s9
	s_add_i32 s17, s16, 1
	s_cmp_ge_u32 s9, s10
	s_cselect_b32 s9, s17, s16
	s_xor_b32 s9, s9, s8
	s_sub_i32 s20, s9, s8
	s_mul_i32 s24, s20, s13
	s_ashr_i32 s21, s20, 31
	s_sub_i32 s47, s3, s24
	s_lshl_b64 s[8:9], s[20:21], 2
	s_add_u32 s4, s4, s8
	s_addc_u32 s5, s5, s9
	s_add_u32 s22, s6, s8
	s_addc_u32 s23, s7, s9
	s_abs_i32 s3, s14
	v_cvt_f32_u32_e32 v1, s3
	s_load_dwordx2 s[34:35], s[4:5], 0x0
	s_sub_i32 s5, 0, s3
	s_lshl_b32 s2, s2, 6
	v_rcp_iflag_f32_e32 v1, v1
	s_load_dwordx4 s[16:19], s[0:1], 0x28
	s_load_dwordx2 s[28:29], s[0:1], 0x38
	s_waitcnt lgkmcnt(0)
	s_sub_i32 s50, s35, s34
	s_ashr_i32 s4, s50, 31
	v_mul_f32_e32 v1, 0x4f7ffffe, v1
	v_cvt_u32_f32_e32 v1, v1
	s_lshr_b32 s4, s4, 26
	s_add_i32 s4, s50, s4
	s_ashr_i32 s49, s4, 6
	v_readfirstlane_b32 s6, v1
	s_mul_i32 s5, s5, s6
	s_mul_hi_u32 s5, s6, s5
	s_add_i32 s6, s6, s5
	s_mul_hi_u32 s5, s10, s6
	s_mul_i32 s6, s5, s3
	s_ashr_i32 s4, s14, 31
	s_sub_i32 s6, s10, s6
	s_xor_b32 s4, s11, s4
	s_add_i32 s7, s5, 1
	s_sub_i32 s8, s6, s3
	s_cmp_ge_u32 s6, s3
	s_cselect_b32 s5, s7, s5
	s_cselect_b32 s6, s8, s6
	s_add_i32 s7, s5, 1
	s_cmp_ge_u32 s6, s3
	s_cselect_b32 s3, s7, s5
	s_xor_b32 s3, s3, s4
	s_sub_i32 s3, s3, s4
	s_abs_i32 s4, s3
	v_cvt_f32_u32_e32 v1, s4
	s_sub_i32 s6, 0, s4
	s_abs_i32 s5, s47
	s_xor_b32 s3, s47, s3
	v_rcp_iflag_f32_e32 v1, v1
	s_ashr_i32 s3, s3, 31
	v_or_b32_e32 v66, s2, v79
	v_lshlrev_b32_e32 v2, 7, v66
	v_mul_f32_e32 v1, 0x4f7ffffe, v1
	v_cvt_u32_f32_e32 v1, v1
	v_ashrrev_i32_e32 v3, 31, v2
	s_mul_hi_i32 s53, s47, s12
	s_mul_i32 s54, s47, s12
	v_readfirstlane_b32 s7, v1
	s_mul_i32 s6, s6, s7
	s_mul_hi_u32 s6, s7, s6
	s_add_i32 s7, s7, s6
	s_mul_hi_u32 s6, s5, s7
	s_mul_i32 s7, s6, s4
	s_sub_i32 s5, s5, s7
	s_add_i32 s7, s6, 1
	s_sub_i32 s8, s5, s4
	s_cmp_ge_u32 s5, s4
	s_cselect_b32 s6, s7, s6
	s_cselect_b32 s5, s8, s5
	s_add_i32 s7, s6, 1
	s_cmp_ge_u32 s5, s4
	s_cselect_b32 s4, s7, s6
	s_xor_b32 s4, s4, s3
	s_sub_i32 s51, s4, s3
	s_ashr_i32 s48, s47, 31
	s_mul_hi_i32 s3, s20, s13
	s_add_u32 s4, s24, s47
	s_addc_u32 s5, s3, s48
	s_lshl_b64 s[4:5], s[4:5], 16
	v_lshlrev_b32_e32 v1, 4, v77
	s_add_u32 s4, s16, s4
	v_lshl_or_b32 v82, v78, 2, v1
	s_addc_u32 s5, s17, s5
	v_lshl_add_u64 v[4:5], v[2:3], 2, s[4:5]
	v_lshlrev_b32_e32 v10, 2, v82
	v_lshl_add_u64 v[4:5], v[4:5], 0, v[10:11]
	global_load_dwordx4 v[22:25], v[4:5], off
	global_load_dwordx4 v[30:33], v[4:5], off offset:256
	v_or_b32_e32 v4, 0x800, v2
	v_ashrrev_i32_e32 v5, 31, v4
	v_lshl_add_u64 v[4:5], v[4:5], 2, s[4:5]
	v_lshl_add_u64 v[4:5], v[4:5], 0, v[10:11]
	global_load_dwordx4 v[14:17], v[4:5], off
	global_load_dwordx4 v[26:29], v[4:5], off offset:256
	v_or_b32_e32 v4, 0x1000, v2
	v_or_b32_e32 v2, 0x1800, v2
	v_ashrrev_i32_e32 v5, 31, v4
	v_ashrrev_i32_e32 v3, 31, v2
	v_lshl_add_u64 v[4:5], v[4:5], 2, s[4:5]
	v_lshl_add_u64 v[2:3], v[2:3], 2, s[4:5]
	;; [unrolled: 1-line block ×4, first 2 shown]
	global_load_dwordx4 v[6:9], v[4:5], off
	global_load_dwordx4 v[18:21], v[4:5], off offset:256
	s_nop 0
	global_load_dwordx4 v[2:5], v[34:35], off
	global_load_dwordx4 v[10:13], v[34:35], off offset:256
	s_load_dwordx8 s[4:11], s[0:1], 0x0
	s_load_dwordx2 s[30:31], s[0:1], 0x80
	s_load_dwordx4 s[24:27], s[0:1], 0x70
	s_load_dword s52, s[22:23], 0x0
	v_or_b32_e32 v83, 64, v82
	s_cmp_lt_i32 s50, 64
	s_waitcnt lgkmcnt(0)
	s_mul_i32 s33, s20, s25
	s_mul_hi_u32 s43, s20, s24
	s_mul_i32 s42, s21, s24
	s_mul_i32 s38, s20, s24
	;; [unrolled: 1-line block ×3, first 2 shown]
	s_mul_hi_u32 s45, s47, s26
	s_mul_i32 s46, s48, s26
	s_mul_i32 s36, s47, s26
	s_cbranch_scc1 .LBB163_18
; %bb.1:
	s_ashr_i32 s1, s34, 31
	s_add_u32 s0, s54, s34
	s_addc_u32 s1, s53, s1
	s_lshl_b64 s[0:1], s[0:1], 8
	v_and_b32_e32 v85, 56, v80
	s_add_u32 s20, s6, s0
	v_lshl_or_b32 v84, v77, 3, v81
	v_lshlrev_b32_e32 v34, 1, v85
	s_addc_u32 s0, s7, s1
	v_lshl_or_b32 v86, v84, 8, v34
	s_and_b32 s21, s0, 0xffff
	s_mov_b32 s23, 0x20000
	s_movk_i32 s22, 0x4000
	s_movk_i32 s0, 0x80
	v_or_b32_e32 v87, 0x2000, v86
	buffer_load_dwordx4 v[36:39], v86, s[20:23], 0 offen
	buffer_load_dwordx4 v[40:43], v86, s[20:23], s0 offen
	;; [unrolled: 1-line block ×4, first 2 shown]
	v_lshlrev_b32_e32 v35, 3, v84
	v_and_or_b32 v53, v0, 7, v35
	v_and_b32_e32 v35, 0x78, v35
	v_lshlrev_b32_e32 v53, 4, v53
	v_xor_b32_e32 v88, v53, v35
	v_mul_lo_u32 v52, v84, s15
	v_or_b32_e32 v89, 0x1000, v88
	v_xor_b32_e32 v35, 8, v88
	s_cmpk_eq_i32 s15, 0x80
	s_mov_b32 s55, s34
	v_xor_b32_e32 v53, 8, v89
	s_cselect_b64 s[0:1], -1, 0
	s_cmpk_lg_i32 s15, 0x80
	s_waitcnt vmcnt(3)
	ds_write_b64 v88, v[36:37] offset:49152
	ds_write_b64 v35, v[38:39] offset:49152
	s_waitcnt vmcnt(2)
	ds_write_b64 v88, v[40:41] offset:57344
	ds_write_b64 v35, v[42:43] offset:57344
	s_waitcnt vmcnt(1)
	ds_write_b64 v88, v[44:45] offset:53248
	ds_write_b64 v53, v[46:47] offset:49152
	s_waitcnt vmcnt(0)
	ds_write_b64 v88, v[48:49] offset:61440
	ds_write_b64 v53, v[50:51] offset:57344
	v_lshl_add_u32 v35, v52, 1, v85
	s_cbranch_scc0 .LBB163_3
; %bb.2:
	v_lshlrev_b32_e32 v37, 1, v35
	v_add_lshl_u32 v36, v35, s15, 1
	s_lshl_b32 s22, s15, 7
	v_lshl_or_b32 v34, v84, 9, v34
	s_cbranch_execz .LBB163_4
	s_branch .LBB163_5
.LBB163_3:
                                        ; implicit-def: $vgpr36
                                        ; implicit-def: $vgpr37
                                        ; implicit-def: $sgpr22
	v_lshl_or_b32 v34, v84, 9, v34
.LBB163_4:
	v_or_b32_e32 v36, 0x100, v34
	s_movk_i32 s22, 0x4000
	v_mov_b32_e32 v37, v34
.LBB163_5:
	s_mul_i32 s16, s34, s14
	s_ashr_i32 s56, s51, 31
	s_mul_hi_i32 s3, s34, s14
	s_add_u32 s16, s16, s51
	s_addc_u32 s17, s3, s56
	s_lshl_b64 s[16:17], s[16:17], 8
	s_add_u32 s20, s4, s16
	s_addc_u32 s3, s5, s17
	s_and_b32 s21, s3, 0xffff
	s_movk_i32 s57, 0x80
	buffer_load_dwordx4 v[38:41], v37, s[20:23], 0 offen
	buffer_load_dwordx4 v[42:45], v37, s[20:23], s57 offen
	;; [unrolled: 1-line block ×4, first 2 shown]
	v_and_b32_e32 v37, 6, v0
	v_lshlrev_b32_e32 v36, 7, v82
	v_xor_b32_e32 v59, v84, v37
	v_and_b32_e32 v54, 1, v0
	v_lshl_or_b32 v62, v79, 3, v36
	v_lshlrev_b32_e32 v59, 2, v59
	v_lshlrev_b32_e32 v55, 2, v79
	v_or_b32_e32 v90, 0x4000, v62
	v_or_b32_e32 v91, 0x6000, v62
	v_xor_b32_e32 v62, 0x440, v59
	v_cmp_eq_u32_e32 vcc, 0, v54
	v_or_b32_e32 v57, 16, v79
	v_or_b32_e32 v58, 32, v79
	v_xor_b32_e32 v60, v82, v55
	v_xor_b32_e32 v61, v83, v55
	v_cndmask_b32_e32 v54, v62, v59, vcc
	s_mov_b32 s58, 0x1000504
	v_lshl_or_b32 v63, v57, 3, v36
	v_lshlrev_b32_e32 v57, 8, v57
	v_lshl_or_b32 v64, v58, 3, v36
	v_lshlrev_b32_e32 v60, 1, v60
	v_lshlrev_b32_e32 v61, 1, v61
	v_lshl_or_b32 v37, v37, 10, v54
	s_add_i32 s3, s43, s33
	s_mov_b32 s59, 0x3020706
	v_lshlrev_b32_e32 v56, 8, v79
	v_or_b32_e32 v94, 0x4000, v64
	v_or_b32_e32 v95, 0x6000, v64
	;; [unrolled: 1-line block ×4, first 2 shown]
	v_xor_b32_e32 v54, 8, v37
	v_xor_b32_e32 v57, 24, v37
	;; [unrolled: 1-line block ×4, first 2 shown]
	s_add_i32 s39, s3, s42
	s_add_i32 s3, s45, s44
	v_or_b32_e32 v92, 0x4000, v63
	v_or_b32_e32 v93, 0x6000, v63
	;; [unrolled: 1-line block ×4, first 2 shown]
	v_xor_b32_e32 v56, 16, v37
	v_xor_b32_e32 v59, 32, v37
	;; [unrolled: 1-line block ×3, first 2 shown]
	v_add_u32_e32 v54, 0x80, v54
	v_add_u32_e32 v57, 0x80, v57
	;; [unrolled: 1-line block ×4, first 2 shown]
	s_add_i32 s37, s3, s46
	s_lshl_b64 s[16:17], s[38:39], 2
	s_add_u32 s3, s10, s16
	s_addc_u32 s20, s11, s17
	s_lshl_b64 s[16:17], s[36:37], 2
	s_add_u32 s16, s3, s16
	s_movk_i32 s3, 0xf8
	s_addc_u32 s17, s20, s17
	s_lshl_b32 s26, s15, 7
	s_movk_i32 s24, 0x100
	v_mov_b32_e32 v69, 0
	v_lshlrev_b32_e32 v68, 4, v79
	v_cmp_gt_u32_e32 vcc, s24, v0
	v_lshlrev_b32_e32 v58, 8, v58
	s_mov_b32 s60, 0
	s_movk_i32 s22, 0x4000
	v_or_b32_e32 v100, v58, v60
	v_or_b32_e32 v101, v58, v61
	s_movk_i32 s37, 0x2000
	s_movk_i32 s39, 0x3000
	s_waitcnt vmcnt(1)
	v_perm_b32 v65, v38, v46, s58
	s_waitcnt vmcnt(0)
	v_perm_b32 v67, v42, v50, s58
	v_perm_b32 v38, v38, v46, s59
	;; [unrolled: 1-line block ×15, first 2 shown]
	ds_write2st64_b32 v37, v65, v67 offset0:128 offset1:160
	ds_write2st64_b32 v54, v38, v42 offset0:128 offset1:160
	ds_write2st64_b32 v56, v46, v50 offset0:129 offset1:161
	ds_write2st64_b32 v57, v39, v43 offset0:129 offset1:161
	ds_write2st64_b32 v59, v47, v51 offset0:130 offset1:162
	ds_write2st64_b32 v62, v40, v44 offset0:130 offset1:162
	ds_write2st64_b32 v63, v48, v52 offset0:131 offset1:163
	ds_write2st64_b32 v64, v41, v45 offset0:131 offset1:163
	v_or_b32_e32 v37, 48, v79
	v_lshl_or_b32 v38, v37, 3, v36
	v_lshlrev_b32_e32 v37, 8, v37
	v_or_b32_e32 v104, v37, v60
	v_or_b32_e32 v105, v37, v61
	;; [unrolled: 1-line block ×3, first 2 shown]
	v_lshlrev_b32_e32 v37, 3, v37
	v_lshrrev_b32_e32 v39, 5, v76
	v_and_or_b32 v39, v37, s3, v39
	v_lshlrev_b32_e32 v39, 4, v39
	v_lshlrev_b32_e32 v40, 11, v77
	v_and_b32_e32 v37, 0x78, v37
	v_or_b32_e32 v45, 32, v39
	v_or_b32_e32 v102, 0x4000, v38
	v_or_b32_e32 v103, 0x6000, v38
	v_and_b32_e32 v38, 0x1000, v40
	v_xor_b32_e32 v41, v39, v37
	v_lshrrev_b32_e32 v42, 1, v0
	v_xor_b32_e32 v45, v45, v37
	v_or_b32_e32 v41, v41, v38
	v_and_b32_e32 v43, 8, v42
	v_or_b32_e32 v45, v45, v38
	v_xor_b32_e32 v106, v41, v43
	v_lshlrev_b32_e32 v41, 8, v78
	v_xor_b32_e32 v108, v45, v43
	v_or_b32_e32 v45, 64, v39
	v_or_b32_e32 v39, 0x60, v39
	s_ashr_i32 s3, s2, 31
	v_or_b32_e32 v44, v41, v55
	v_xor_b32_e32 v45, v45, v37
	v_xor_b32_e32 v37, v39, v37
	s_lshl_b64 s[20:21], s[2:3], 8
	v_lshlrev_b32_e32 v44, 1, v44
	v_or_b32_e32 v45, v45, v38
	v_or_b32_e32 v37, v37, v38
	s_add_u32 s20, s18, s20
	v_lshlrev_b32_e32 v38, 1, v79
	v_or_b32_e32 v107, 0x4000, v44
	v_or_b32_e32 v109, 0x4080, v44
	;; [unrolled: 1-line block ×8, first 2 shown]
	v_lshrrev_b32_e32 v44, 4, v0
	s_addc_u32 s21, s19, s21
	v_or_b32_e32 v39, 1, v38
	v_mov_b32_e32 v48, 0xa000
	v_mov_b32_e32 v49, 0x8000
	v_xor_b32_e32 v112, v45, v43
	v_xor_b32_e32 v45, v44, v38
	;; [unrolled: 1-line block ×3, first 2 shown]
	v_lshl_add_u64 v[38:39], s[20:21], 0, v[68:69]
	v_lshlrev_b32_e32 v68, 8, v44
	v_cndmask_b32_e32 v48, v48, v49, vcc
	v_lshlrev_b32_e32 v49, 3, v77
	v_and_b32_e32 v42, 24, v42
	v_lshl_or_b32 v118, v45, 3, v68
	v_and_b32_e32 v45, 8, v0
	v_xor_b32_e32 v50, v49, v42
	v_or_b32_e32 v51, 0x440, v50
	v_cmp_eq_u32_e32 vcc, 0, v45
	v_and_b32_e32 v44, 7, v0
	v_lshl_or_b32 v119, v46, 3, v68
	v_cndmask_b32_e32 v45, v51, v50, vcc
	v_lshlrev_b32_e32 v46, 3, v44
	v_lshlrev_b32_e32 v44, 7, v44
	v_or_b32_e32 v45, v45, v40
	v_lshlrev_b32_e32 v47, 2, v0
	v_xad_u32 v120, v45, v46, v44
	v_or_b32_e32 v45, 32, v42
	v_and_or_b32 v41, v47, 60, v41
	v_xor_b32_e32 v45, v49, v45
	v_lshlrev_b32_e32 v41, 1, v41
	v_or_b32_e32 v47, 0x440, v45
	v_or_b32_e32 v121, 0x6000, v41
	v_cndmask_b32_e32 v45, v47, v45, vcc
	v_or_b32_e32 v123, 0x6080, v41
	v_or_b32_e32 v124, 0x6100, v41
	;; [unrolled: 1-line block ×5, first 2 shown]
	v_xor_b32_e32 v41, v49, v41
	v_xad_u32 v122, v45, v46, v44
	v_xor_b32_e32 v45, 0x440, v41
	v_cndmask_b32_e32 v41, v45, v41, vcc
	v_or_b32_e32 v41, v41, v40
	v_xad_u32 v126, v41, v46, v44
	v_or_b32_e32 v41, 0x60, v42
	v_xor_b32_e32 v41, v49, v41
	v_xor_b32_e32 v42, 0x440, v41
	v_cndmask_b32_e32 v41, v42, v41, vcc
	v_xor_b32_e32 v113, v37, v43
	v_ashrrev_i32_e32 v67, 31, v66
	v_lshlrev_b32_e32 v37, 1, v35
	v_add_lshl_u32 v35, v35, s15, 1
	v_or_b32_e32 v43, 0x100, v34
	v_or_b32_e32 v40, v41, v40
	v_xad_u32 v127, v40, v46, v44
	v_cndmask_b32_e64 v128, v37, v34, s[0:1]
	v_cndmask_b32_e64 v129, v35, v43, s[0:1]
	v_lshlrev_b64 v[34:35], 1, v[66:67]
	v_lshl_add_u64 v[70:71], s[8:9], 0, v[34:35]
	v_lshl_add_u64 v[72:73], s[28:29], 0, v[34:35]
	;; [unrolled: 1-line block ×3, first 2 shown]
	s_mov_b32 s3, 0x7060302
	v_lshlrev_b32_e32 v68, 1, v36
	v_add_u32_e32 v67, v48, v120
	v_add_u32_e32 v130, v48, v122
	;; [unrolled: 1-line block ×4, first 2 shown]
	s_waitcnt lgkmcnt(0)
	s_barrier
.LBB163_6:                              ; =>This Inner Loop Header: Depth=1
	s_add_i32 s61, s60, 1
	s_cmp_lt_i32 s61, s49
	s_mov_b64 s[24:25], 0
	s_cselect_b64 s[40:41], -1, 0
	s_cmp_ge_i32 s61, s49
	s_mov_b64 s[20:21], 0
	s_cbranch_scc1 .LBB163_8
; %bb.7:                                ;   in Loop: Header=BB163_6 Depth=1
	s_add_i32 s0, s55, 64
	s_ashr_i32 s1, s0, 31
	s_add_u32 s0, s54, s0
	s_addc_u32 s1, s53, s1
	s_lshl_b64 s[0:1], s[0:1], 8
	s_add_u32 s20, s6, s0
	s_addc_u32 s21, s7, s1
.LBB163_8:                              ;   in Loop: Header=BB163_6 Depth=1
	v_cndmask_b32_e64 v34, 0, 1, s[40:41]
	v_cmp_ne_u32_e64 s[0:1], 1, v34
	s_andn2_b64 vcc, exec, s[40:41]
	s_cbranch_vccnz .LBB163_10
; %bb.9:                                ;   in Loop: Header=BB163_6 Depth=1
	s_add_i32 s24, s55, 64
	s_mul_hi_i32 s25, s24, s14
	s_mul_i32 s24, s24, s14
	s_add_u32 s24, s24, s51
	s_addc_u32 s25, s25, s56
	s_lshl_b64 s[24:25], s[24:25], 8
	s_add_u32 s24, s4, s24
	s_addc_u32 s25, s5, s25
.LBB163_10:                             ;   in Loop: Header=BB163_6 Depth=1
	v_perm_b32 v35, v25, v24, s3
	v_perm_b32 v34, v23, v22, s3
	v_perm_b32 v37, v33, v32, s3
	v_perm_b32 v36, v31, v30, s3
	ds_write_b64 v90, v[34:35]
	ds_write_b64 v91, v[36:37]
	ds_write_b64 v96, v[34:35]
	ds_write_b64 v97, v[36:37]
	v_perm_b32 v35, v17, v16, s3
	v_perm_b32 v34, v15, v14, s3
	v_perm_b32 v37, v29, v28, s3
	v_perm_b32 v36, v27, v26, s3
	ds_write_b64 v92, v[34:35]
	ds_write_b64 v93, v[36:37]
	ds_write_b64 v98, v[34:35]
	ds_write_b64 v99, v[36:37]
	v_perm_b32 v35, v9, v8, s3
	v_perm_b32 v34, v7, v6, s3
	v_perm_b32 v37, v21, v20, s3
	v_perm_b32 v36, v19, v18, s3
	ds_write_b64 v94, v[34:35]
	ds_write_b64 v95, v[36:37]
	ds_write_b64 v100, v[34:35]
	ds_write_b64 v101, v[36:37]
	v_perm_b32 v35, v5, v4, s3
	v_perm_b32 v34, v3, v2, s3
	v_perm_b32 v37, v13, v12, s3
	v_perm_b32 v36, v11, v10, s3
	ds_write_b64 v102, v[34:35]
	ds_write_b64 v103, v[36:37]
	ds_write_b64 v104, v[34:35]
	ds_write_b64 v105, v[36:37]
	s_waitcnt lgkmcnt(0)
	s_barrier
	ds_read_b64 v[38:39], v106 offset:49152
	ds_read2_b64 v[34:37], v107 offset1:16
	ds_read_b64 v[50:51], v109 offset:6144
	ds_read_b64 v[52:53], v107 offset:6144
	s_waitcnt lgkmcnt(2)
	v_mfma_f32_16x16x16_bf16 a[0:3], v[38:39], v[34:35], 0
	ds_read_b64 v[54:55], v108 offset:49152
	ds_read2st64_b64 v[42:45], v110 offset0:4 offset1:8
	ds_read2st64_b64 v[46:49], v111 offset0:4 offset1:8
	v_mfma_f32_16x16x16_bf16 a[4:7], v[38:39], v[36:37], 0
	ds_read2_b64 v[34:37], v107 offset0:32 offset1:48
	s_add_i32 s27, s55, 63
	s_ashr_i32 s40, s27, 31
	s_waitcnt lgkmcnt(0)
	v_mfma_f32_16x16x16_bf16 a[8:11], v[38:39], v[34:35], 0
	s_mul_i32 s41, s27, s31
	s_mul_hi_u32 s62, s27, s30
	s_add_i32 s41, s62, s41
	v_mfma_f32_16x16x16_bf16 a[12:15], v[38:39], v[36:37], 0
	ds_read2st64_b64 v[34:37], v107 offset0:4 offset1:8
	ds_read2st64_b64 v[38:41], v109 offset0:4 offset1:8
	s_mul_i32 s40, s40, s30
	s_waitcnt lgkmcnt(1)
	v_mfma_f32_16x16x16_bf16 a[0:3], v[54:55], v[34:35], a[0:3]
	s_add_i32 s41, s41, s40
	s_mul_i32 s40, s27, s30
	s_lshl_b64 s[40:41], s[40:41], 2
	s_waitcnt lgkmcnt(0)
	v_mfma_f32_16x16x16_bf16 a[4:7], v[54:55], v[38:39], a[4:7]
	s_add_u32 s40, s16, s40
	s_addc_u32 s41, s17, s41
	s_and_b64 vcc, exec, s[0:1]
	v_mfma_f32_16x16x16_bf16 a[8:11], v[54:55], v[42:43], a[8:11]
	ds_read_b64 v[34:35], v112 offset:49152
	ds_read_b64 v[38:39], v113 offset:49152
	;; [unrolled: 1-line block ×3, first 2 shown]
	v_mov_b32_e32 v135, 0
	v_mov_b32_e32 v134, 0
	v_mfma_f32_16x16x16_bf16 a[12:15], v[54:55], v[46:47], a[12:15]
	v_mov_b32_e32 v133, 0
	v_mov_b32_e32 v46, 0
	;; [unrolled: 1-line block ×3, first 2 shown]
	s_waitcnt lgkmcnt(2)
	v_mfma_f32_16x16x16_bf16 a[0:3], v[34:35], v[36:37], a[0:3]
	v_mov_b32_e32 v36, 0
	v_mov_b32_e32 v37, 0
	v_mfma_f32_16x16x16_bf16 a[16:19], v[34:35], v[40:41], a[4:7]
	v_mov_b32_e32 v40, 0
	v_mov_b32_e32 v41, 0
	;; [unrolled: 3-line block ×3, first 2 shown]
	v_mfma_f32_16x16x16_bf16 a[24:27], v[34:35], v[48:49], a[12:15]
	ds_read_b64 v[34:35], v110 offset:6144
	v_mov_b32_e32 v48, 0
	v_mov_b32_e32 v49, 0
	s_waitcnt lgkmcnt(2)
	v_mfma_f32_16x16x16_bf16 a[4:7], v[38:39], v[52:53], a[0:3]
	v_mfma_f32_16x16x16_bf16 a[8:11], v[38:39], v[50:51], a[16:19]
	s_waitcnt lgkmcnt(0)
	v_mfma_f32_16x16x16_bf16 a[12:15], v[38:39], v[34:35], a[20:23]
	v_mov_b32_e32 v34, 0
	v_mov_b32_e32 v35, 0
	v_mfma_f32_16x16x16_bf16 a[0:3], v[38:39], v[42:43], a[24:27]
	v_mov_b32_e32 v38, 0
	v_mov_b32_e32 v39, 0
	;; [unrolled: 1-line block ×4, first 2 shown]
	s_cbranch_vccnz .LBB163_12
; %bb.11:                               ;   in Loop: Header=BB163_6 Depth=1
	s_and_b32 s21, s21, 0xffff
	buffer_load_dwordx4 v[46:49], v86, s[20:23], 0 offen
	buffer_load_dwordx4 v[42:45], v86, s[20:23], s57 offen
	;; [unrolled: 1-line block ×4, first 2 shown]
	v_mov_b32_e32 v134, v88
	v_mov_b32_e32 v133, v89
.LBB163_12:                             ;   in Loop: Header=BB163_6 Depth=1
	ds_read_b64 v[62:63], v106 offset:57344
	ds_read2_b64 v[50:53], v114 offset1:16
	ds_read_b64 v[136:137], v108 offset:57344
	ds_read_b64 v[138:139], v112 offset:57344
	;; [unrolled: 1-line block ×3, first 2 shown]
	v_add_u32_e32 v64, s55, v82
	s_waitcnt lgkmcnt(3)
	v_mfma_f32_16x16x16_bf16 a[4:7], v[62:63], v[50:51], a[4:7]
	v_mfma_f32_16x16x16_bf16 a[8:11], v[62:63], v[52:53], a[8:11]
	ds_read2_b64 v[50:53], v114 offset0:32 offset1:48
	ds_read2st64_b64 v[54:57], v114 offset0:4 offset1:8
	ds_read2st64_b64 v[58:61], v115 offset0:4 offset1:8
	s_waitcnt lgkmcnt(2)
	v_mfma_f32_16x16x16_bf16 a[12:15], v[62:63], v[50:51], a[12:15]
	v_ashrrev_i32_e32 v50, 31, v64
	v_mul_lo_u32 v65, v50, s30
	v_mad_u64_u32 v[50:51], s[20:21], v64, s30, 0
	v_mfma_f32_16x16x16_bf16 a[0:3], v[62:63], v[52:53], a[0:3]
	v_mul_lo_u32 v52, v64, s31
	v_add3_u32 v51, v51, v52, v65
	v_add_u32_e32 v52, 1, v64
	v_ashrrev_i32_e32 v53, 31, v52
	s_waitcnt lgkmcnt(1)
	v_mfma_f32_16x16x16_bf16 a[4:7], v[136:137], v[54:55], a[4:7]
	v_mul_lo_u32 v54, v53, s30
	v_mul_lo_u32 v55, v52, s31
	v_mad_u64_u32 v[52:53], s[20:21], v52, s30, 0
	v_add3_u32 v53, v53, v55, v54
	v_add_u32_e32 v54, 2, v64
	v_ashrrev_i32_e32 v55, 31, v54
	v_mul_lo_u32 v62, v55, s30
	v_mul_lo_u32 v63, v54, s31
	v_mad_u64_u32 v[54:55], s[20:21], v54, s30, 0
	v_add3_u32 v55, v55, v63, v62
	v_add_u32_e32 v62, 3, v64
	v_ashrrev_i32_e32 v63, 31, v62
	v_mul_lo_u32 v64, v63, s30
	v_mul_lo_u32 v65, v62, s31
	v_mad_u64_u32 v[62:63], s[20:21], v62, s30, 0
	s_ashr_i32 s21, s55, 31
	s_add_u32 s20, s54, s55
	s_addc_u32 s21, s53, s21
	v_lshl_add_u64 v[50:51], v[50:51], 2, s[16:17]
	v_add3_u32 v63, v63, v65, v64
	s_lshl_b64 s[20:21], s[20:21], 8
	v_lshl_add_u64 v[52:53], v[52:53], 2, s[16:17]
	v_lshl_add_u64 v[54:55], v[54:55], 2, s[16:17]
	;; [unrolled: 1-line block ×3, first 2 shown]
	global_load_dword v142, v[50:51], off
	global_load_dword v143, v[52:53], off
	;; [unrolled: 1-line block ×4, first 2 shown]
	v_lshl_add_u64 v[50:51], v[70:71], 0, s[20:21]
	v_lshl_add_u64 v[54:55], v[50:51], 0, v[68:69]
	global_load_ushort v146, v[54:55], off offset:256
	global_load_ushort v147, v[54:55], off
	ds_read2st64_b64 v[50:53], v116 offset0:4 offset1:8
	global_load_ushort v148, v[54:55], off offset:768
	global_load_ushort v149, v[54:55], off offset:512
	ds_read2st64_b64 v[62:65], v117 offset0:4 offset1:8
	global_load_ushort v150, v[54:55], off offset:288
	global_load_ushort v151, v[54:55], off offset:32
	;; [unrolled: 1-line block ×4, first 2 shown]
	s_waitcnt lgkmcnt(2)
	v_mfma_f32_16x16x16_bf16 a[8:11], v[136:137], v[58:59], a[8:11]
	global_load_ushort v154, v[54:55], off offset:320
	global_load_ushort v155, v[54:55], off offset:64
	global_load_ushort v156, v[54:55], off offset:832
	global_load_ushort v157, v[54:55], off offset:576
	s_and_b64 vcc, exec, s[0:1]
	s_waitcnt lgkmcnt(1)
	v_mfma_f32_16x16x16_bf16 a[12:15], v[136:137], v[50:51], a[12:15]
	ds_read_b64 v[50:51], v114 offset:6144
	s_waitcnt lgkmcnt(1)
	v_mfma_f32_16x16x16_bf16 a[0:3], v[136:137], v[62:63], a[0:3]
	v_lshl_add_u64 v[62:63], v[72:73], 0, s[20:21]
	v_lshl_add_u64 v[62:63], v[62:63], 0, v[68:69]
	v_mfma_f32_16x16x16_bf16 a[4:7], v[138:139], v[56:57], a[4:7]
	v_mfma_f32_16x16x16_bf16 a[8:11], v[138:139], v[60:61], a[8:11]
	;; [unrolled: 1-line block ×4, first 2 shown]
	global_load_ushort v138, v[54:55], off offset:352
	global_load_ushort v139, v[54:55], off offset:96
	ds_read_b64 v[52:53], v115 offset:6144
	ds_read_b64 v[56:57], v116 offset:6144
	;; [unrolled: 1-line block ×3, first 2 shown]
	s_load_dword s40, s[40:41], 0x0
	global_load_ushort v158, v[54:55], off offset:864
	global_load_ushort v159, v[54:55], off offset:608
	s_waitcnt lgkmcnt(0)
	v_mfma_f32_16x16x16_bf16 a[4:7], v[140:141], v[50:51], a[4:7]
	s_waitcnt vmcnt(17)
	v_sub_f32_e32 v60, s40, v144
	v_mfma_f32_16x16x16_bf16 a[0:3], v[140:141], v[58:59], a[0:3]
	v_sub_f32_e32 v58, s40, v142
	v_sub_f32_e32 v59, s40, v143
	s_waitcnt vmcnt(16)
	v_sub_f32_e32 v61, s40, v145
	v_mfma_f32_16x16x16_bf16 a[8:11], v[140:141], v[52:53], a[8:11]
	v_exp_f32_e32 v58, v58
	v_exp_f32_e32 v59, v59
	;; [unrolled: 1-line block ×4, first 2 shown]
	v_accvgpr_read_b32 v137, a5
	s_waitcnt vmcnt(15)
	v_lshlrev_b32_e32 v65, 16, v146
	s_waitcnt vmcnt(14)
	v_lshlrev_b32_e32 v64, 16, v147
	v_accvgpr_read_b32 v136, a4
	v_accvgpr_read_b32 v51, a7
	;; [unrolled: 1-line block ×3, first 2 shown]
	v_pk_add_f32 v[64:65], v[64:65], v[136:137] neg_lo:[0,1] neg_hi:[0,1]
	s_waitcnt vmcnt(13)
	v_lshlrev_b32_e32 v137, 16, v148
	s_waitcnt vmcnt(12)
	v_lshlrev_b32_e32 v136, 16, v149
	v_pk_add_f32 v[50:51], v[136:137], v[50:51] neg_lo:[0,1] neg_hi:[0,1]
	global_store_short_d16_hi v[62:63], v64, off
	global_store_short_d16_hi v[62:63], v65, off offset:256
	global_store_short_d16_hi v[62:63], v50, off offset:512
	;; [unrolled: 1-line block ×3, first 2 shown]
	v_pk_mul_f32 v[64:65], v[58:59], v[64:65]
	v_pk_mul_f32 v[50:51], v[60:61], v[50:51]
	v_accvgpr_read_b32 v137, a9
	v_perm_b32 v64, v65, v64, s3
	v_perm_b32 v65, v51, v50, s3
	s_waitcnt vmcnt(15)
	v_lshlrev_b32_e32 v51, 16, v150
	s_waitcnt vmcnt(14)
	v_lshlrev_b32_e32 v50, 16, v151
	v_accvgpr_read_b32 v136, a8
	v_accvgpr_read_b32 v53, a11
	v_mfma_f32_16x16x16_bf16 a[12:15], v[140:141], v[56:57], a[12:15]
	v_accvgpr_read_b32 v52, a10
	v_pk_add_f32 v[50:51], v[50:51], v[136:137] neg_lo:[0,1] neg_hi:[0,1]
	s_waitcnt vmcnt(13)
	v_lshlrev_b32_e32 v137, 16, v152
	s_waitcnt vmcnt(12)
	v_lshlrev_b32_e32 v136, 16, v153
	v_pk_add_f32 v[52:53], v[136:137], v[52:53] neg_lo:[0,1] neg_hi:[0,1]
	global_store_short_d16_hi v[62:63], v50, off offset:32
	global_store_short_d16_hi v[62:63], v51, off offset:288
	;; [unrolled: 1-line block ×4, first 2 shown]
	v_pk_mul_f32 v[50:51], v[58:59], v[50:51]
	v_pk_mul_f32 v[52:53], v[60:61], v[52:53]
	v_accvgpr_read_b32 v55, a15
	v_perm_b32 v53, v53, v52, s3
	v_perm_b32 v52, v51, v50, s3
	ds_write2_b64 v91, v[64:65], v[52:53] offset1:16
	v_accvgpr_read_b32 v53, a13
	s_waitcnt vmcnt(15)
	v_lshlrev_b32_e32 v51, 16, v154
	s_waitcnt vmcnt(14)
	v_lshlrev_b32_e32 v50, 16, v155
	v_accvgpr_read_b32 v52, a12
	v_accvgpr_read_b32 v54, a14
	v_pk_add_f32 v[50:51], v[50:51], v[52:53] neg_lo:[0,1] neg_hi:[0,1]
	s_waitcnt vmcnt(13)
	v_lshlrev_b32_e32 v53, 16, v156
	s_waitcnt vmcnt(12)
	v_lshlrev_b32_e32 v52, 16, v157
	v_pk_add_f32 v[52:53], v[52:53], v[54:55] neg_lo:[0,1] neg_hi:[0,1]
	global_store_short_d16_hi v[62:63], v50, off offset:64
	global_store_short_d16_hi v[62:63], v51, off offset:320
	;; [unrolled: 1-line block ×4, first 2 shown]
	v_pk_mul_f32 v[50:51], v[58:59], v[50:51]
	v_pk_mul_f32 v[52:53], v[60:61], v[52:53]
	v_accvgpr_read_b32 v55, a1
	v_perm_b32 v50, v51, v50, s3
	v_perm_b32 v51, v53, v52, s3
	s_waitcnt vmcnt(15)
	v_lshlrev_b32_e32 v53, 16, v138
	s_waitcnt vmcnt(14)
	v_lshlrev_b32_e32 v52, 16, v139
	v_accvgpr_read_b32 v54, a0
	v_accvgpr_read_b32 v57, a3
	;; [unrolled: 1-line block ×3, first 2 shown]
	v_pk_add_f32 v[52:53], v[52:53], v[54:55] neg_lo:[0,1] neg_hi:[0,1]
	s_waitcnt vmcnt(13)
	v_lshlrev_b32_e32 v55, 16, v158
	s_waitcnt vmcnt(12)
	v_lshlrev_b32_e32 v54, 16, v159
	v_pk_add_f32 v[54:55], v[54:55], v[56:57] neg_lo:[0,1] neg_hi:[0,1]
	global_store_short_d16_hi v[62:63], v52, off offset:96
	global_store_short_d16_hi v[62:63], v53, off offset:352
	;; [unrolled: 1-line block ×4, first 2 shown]
	v_pk_mul_f32 v[52:53], v[58:59], v[52:53]
	v_pk_mul_f32 v[54:55], v[60:61], v[54:55]
	v_mov_b32_e32 v136, 0
	v_perm_b32 v55, v55, v54, s3
	v_perm_b32 v54, v53, v52, s3
	ds_write2_b64 v91, v[50:51], v[54:55] offset0:32 offset1:48
	v_mov_b32_e32 v50, 0
	v_mov_b32_e32 v51, 0
	;; [unrolled: 1-line block ×16, first 2 shown]
	s_cbranch_vccnz .LBB163_14
; %bb.13:                               ;   in Loop: Header=BB163_6 Depth=1
	s_and_b32 s25, s25, 0xffff
	s_mov_b32 s27, s23
	buffer_load_dwordx4 v[62:65], v128, s[24:27], 0 offen
	buffer_load_dwordx4 v[54:57], v128, s[24:27], s57 offen
	;; [unrolled: 1-line block ×4, first 2 shown]
	v_mov_b32_e32 v135, v85
	v_mov_b32_e32 v136, v84
.LBB163_14:                             ;   in Loop: Header=BB163_6 Depth=1
	s_waitcnt lgkmcnt(0)
	s_barrier
	ds_read_b64 v[146:147], v67
	ds_read2_b64 v[138:141], v121 offset1:16
	ds_read_b64 v[162:163], v130
	ds_read_b64 v[164:165], v131
	;; [unrolled: 1-line block ×3, first 2 shown]
	ds_read2_b64 v[142:145], v121 offset0:32 offset1:48
	s_waitcnt lgkmcnt(4)
	v_mfma_f32_16x16x16_bf16 a[0:3], v[146:147], v[138:139], 0
	ds_read2st64_b64 v[150:153], v123 offset0:4 offset1:8
	ds_read2st64_b64 v[154:157], v124 offset0:4 offset1:8
	;; [unrolled: 1-line block ×3, first 2 shown]
	v_mfma_f32_16x16x16_bf16 a[4:7], v[146:147], v[140:141], 0
	s_add_i32 s20, s52, s60
	s_mul_hi_i32 s21, s20, s13
	s_mul_i32 s20, s20, s13
	s_waitcnt lgkmcnt(3)
	v_mfma_f32_16x16x16_bf16 a[8:11], v[146:147], v[142:143], 0
	s_add_u32 s20, s20, s47
	s_addc_u32 s21, s21, s48
	s_lshl_b64 s[20:21], s[20:21], 15
	v_mfma_f32_16x16x16_bf16 a[12:15], v[146:147], v[144:145], 0
	ds_read2st64_b64 v[146:149], v121 offset0:4 offset1:8
	s_waitcnt lgkmcnt(0)
	v_mfma_f32_16x16x16_bf16 a[0:3], v[162:163], v[146:147], a[0:3]
	v_mfma_f32_16x16x16_bf16 a[4:7], v[162:163], v[150:151], a[4:7]
	;; [unrolled: 1-line block ×8, first 2 shown]
	ds_read_b64 v[162:163], v121 offset:6144
	ds_read_b64 v[164:165], v122 offset:40960
	;; [unrolled: 1-line block ×8, first 2 shown]
	s_waitcnt lgkmcnt(5)
	v_mfma_f32_16x16x16_bf16 a[16:19], v[168:169], v[138:139], 0
	v_mfma_f32_16x16x16_bf16 a[20:23], v[168:169], v[140:141], 0
	ds_read2st64_b64 v[138:141], v118 offset1:8
	v_mfma_f32_16x16x16_bf16 a[24:27], v[168:169], v[142:143], 0
	v_mfma_f32_16x16x16_bf16 a[28:31], v[168:169], v[144:145], 0
	ds_read2st64_b64 v[142:145], v119 offset1:8
	v_mfma_f32_16x16x16_bf16 a[16:19], v[164:165], v[146:147], a[16:19]
	s_waitcnt lgkmcnt(1)
	v_mov_b32_e32 v146, v138
	v_mov_b32_e32 v147, v139
	v_mfma_f32_16x16x16_bf16 a[20:23], v[164:165], v[150:151], a[20:23]
	v_lshl_add_u64 v[150:151], v[74:75], 0, s[20:21]
	v_mfma_f32_16x16x16_bf16 a[24:27], v[164:165], v[154:155], a[24:27]
	v_mfma_f32_16x16x16_bf16 a[28:31], v[164:165], v[158:159], a[28:31]
	;; [unrolled: 1-line block ×3, first 2 shown]
	s_waitcnt lgkmcnt(0)
	v_mov_b32_e32 v148, v142
	v_mov_b32_e32 v149, v143
	;; [unrolled: 1-line block ×3, first 2 shown]
	v_mfma_f32_16x16x16_bf16 a[32:35], v[176:177], v[152:153], a[20:23]
	v_mov_b32_e32 v143, v141
	ds_read2st64_b64 v[138:141], v118 offset0:16 offset1:24
	global_store_dwordx4 v[150:151], v[146:149], off
	v_mfma_f32_16x16x16_bf16 a[24:27], v[176:177], v[156:157], a[24:27]
	ds_read2st64_b64 v[146:149], v119 offset0:16 offset1:24
	v_add_co_u32_e32 v152, vcc, s37, v150
	v_mfma_f32_16x16x16_bf16 a[28:31], v[176:177], v[160:161], a[28:31]
	s_nop 0
	v_addc_co_u32_e32 v153, vcc, 0, v151, vcc
	global_store_dwordx4 v[152:153], v[142:145], off offset:-4096
	v_mfma_f32_16x16x16_bf16 a[0:3], v[166:167], v[162:163], a[0:3]
	s_waitcnt lgkmcnt(1)
	v_mov_b32_e32 v142, v138
	v_add_co_u32_e32 v138, vcc, s39, v150
	v_mfma_f32_16x16x16_bf16 a[4:7], v[166:167], v[170:171], a[4:7]
	v_mov_b32_e32 v143, v139
	v_addc_co_u32_e32 v139, vcc, 0, v151, vcc
	v_mfma_f32_16x16x16_bf16 a[8:11], v[166:167], v[172:173], a[8:11]
	s_waitcnt lgkmcnt(0)
	v_mov_b32_e32 v144, v146
	v_mov_b32_e32 v145, v147
	;; [unrolled: 1-line block ×3, first 2 shown]
	v_mfma_f32_16x16x16_bf16 a[12:15], v[166:167], v[174:175], a[12:15]
	v_mov_b32_e32 v147, v141
	s_and_b64 vcc, exec, s[0:1]
	global_store_dwordx4 v[152:153], v[142:145], off
	v_mfma_f32_16x16x16_bf16 a[20:23], v[178:179], v[162:163], a[16:19]
	global_store_dwordx4 v[138:139], v[146:149], off
	v_mfma_f32_16x16x16_bf16 a[16:19], v[178:179], v[170:171], a[32:35]
	v_mfma_f32_16x16x16_bf16 a[24:27], v[178:179], v[172:173], a[24:27]
	;; [unrolled: 1-line block ×3, first 2 shown]
	s_cbranch_vccnz .LBB163_16
; %bb.15:                               ;   in Loop: Header=BB163_6 Depth=1
	v_lshrrev_b32_e32 v137, 3, v135
	v_and_b32_e32 v137, 6, v137
	v_xor_b32_e32 v136, v137, v136
	v_lshlrev_b32_e32 v136, 2, v136
	v_and_b32_e32 v135, 8, v135
	v_xor_b32_e32 v138, 0x440, v136
	v_cmp_eq_u32_e32 vcc, 0, v135
	s_barrier
	s_nop 0
	v_cndmask_b32_e32 v135, v138, v136, vcc
	v_lshl_or_b32 v135, v137, 10, v135
	s_waitcnt vmcnt(5)
	v_perm_b32 v136, v62, v58, s58
	s_waitcnt vmcnt(4)
	v_perm_b32 v137, v54, v50, s58
	ds_write2st64_b32 v135, v136, v137 offset0:128 offset1:160
	v_xor_b32_e32 v136, 8, v135
	v_perm_b32 v58, v62, v58, s59
	v_perm_b32 v50, v54, v50, s59
	v_add_u32_e32 v54, 0x80, v136
	ds_write2st64_b32 v54, v58, v50 offset0:128 offset1:160
	v_xor_b32_e32 v50, 16, v135
	v_perm_b32 v54, v63, v59, s58
	v_perm_b32 v58, v55, v51, s58
	ds_write2st64_b32 v50, v54, v58 offset0:129 offset1:161
	v_xor_b32_e32 v50, 24, v135
	v_perm_b32 v54, v63, v59, s59
	v_perm_b32 v51, v55, v51, s59
	v_add_u32_e32 v50, 0x80, v50
	ds_write2st64_b32 v50, v54, v51 offset0:129 offset1:161
	v_xor_b32_e32 v50, 32, v135
	v_perm_b32 v51, v64, v60, s58
	;; [unrolled: 9-line block ×3, first 2 shown]
	v_perm_b32 v52, v57, v53, s58
	ds_write2st64_b32 v50, v51, v52 offset0:131 offset1:163
	v_xor_b32_e32 v50, 56, v135
	v_perm_b32 v51, v65, v61, s59
	v_perm_b32 v52, v57, v53, s59
	v_add_u32_e32 v50, 0x80, v50
	ds_write2st64_b32 v50, v51, v52 offset0:131 offset1:163
	ds_write_b64 v134, v[46:47] offset:49152
	v_xor_b32_e32 v46, 8, v134
	ds_write_b64 v46, v[48:49] offset:49152
	ds_write_b64 v134, v[42:43] offset:57344
	;; [unrolled: 1-line block ×4, first 2 shown]
	v_xor_b32_e32 v38, 8, v133
	ds_write_b64 v38, v[40:41] offset:49152
	ds_write_b64 v133, v[34:35] offset:57344
	;; [unrolled: 1-line block ×3, first 2 shown]
.LBB163_16:                             ;   in Loop: Header=BB163_6 Depth=1
	v_exp_f32_e32 v134, s40
	v_accvgpr_read_b32 v37, a3
	v_accvgpr_read_b32 v41, a7
	;; [unrolled: 1-line block ×4, first 2 shown]
	s_waitcnt vmcnt(4)
	v_accvgpr_read_b32 v53, a23
	v_accvgpr_read_b32 v57, a19
	;; [unrolled: 1-line block ×28, first 2 shown]
	s_add_i32 s55, s55, 64
	v_pk_fma_f32 v[22:23], v[22:23], v[134:135], v[34:35] op_sel_hi:[1,0,1]
	v_pk_fma_f32 v[24:25], v[24:25], v[134:135], v[36:37] op_sel_hi:[1,0,1]
	;; [unrolled: 1-line block ×15, first 2 shown]
	s_cmp_eq_u32 s49, s61
	v_pk_fma_f32 v[12:13], v[12:13], v[134:135], v[64:65] op_sel_hi:[1,0,1]
	s_cbranch_scc1 .LBB163_18
; %bb.17:                               ;   in Loop: Header=BB163_6 Depth=1
	s_mov_b32 s60, s61
	s_branch .LBB163_6
.LBB163_18:
	s_lshl_b32 s26, s49, 6
	s_sub_i32 s27, s50, s26
	s_cmp_gt_i32 s27, 0
	s_cbranch_scc0 .LBB163_99
; %bb.19:
	s_add_i32 s26, s26, s34
	s_ashr_i32 s3, s26, 31
	s_cmpk_lg_i32 s15, 0x80
	s_cselect_b64 s[22:23], -1, 0
	s_and_b64 vcc, exec, s[22:23]
	s_cbranch_vccz .LBB163_21
; %bb.20:
	s_mul_hi_i32 s0, s26, s14
	s_mul_i32 s1, s26, s14
	s_ashr_i32 s14, s51, 31
	s_add_u32 s24, s1, s51
	s_addc_u32 s25, s0, s14
	s_cbranch_execz .LBB163_22
	s_branch .LBB163_23
.LBB163_21:
                                        ; implicit-def: $sgpr24_sgpr25
.LBB163_22:
	s_mul_i32 s1, s51, s12
	s_mul_hi_i32 s0, s51, s12
	s_add_u32 s24, s1, s26
	s_addc_u32 s25, s0, s3
.LBB163_23:
	s_add_i32 s12, s49, s52
	s_add_u32 s0, s54, s26
	s_addc_u32 s1, s53, s3
	v_lshlrev_b32_e32 v35, 6, v82
	v_lshlrev_b32_e32 v34, 2, v79
	s_mov_b32 s3, 0x7060302
	s_waitcnt vmcnt(7)
	v_perm_b32 v25, v25, v24, s3
	v_perm_b32 v24, v23, v22, s3
	s_waitcnt vmcnt(6)
	v_perm_b32 v22, v31, v30, s3
	v_or_b32_e32 v30, v35, v34
	v_xor_b32_e32 v36, v82, v34
	v_perm_b32 v23, v33, v32, s3
	v_lshlrev_b32_e32 v30, 1, v30
	ds_write2st64_b64 v30, v[24:25], v[22:23] offset0:32 offset1:48
	v_lshlrev_b32_e32 v30, 1, v36
	v_lshlrev_b32_e32 v31, 8, v79
	v_xor_b32_e32 v37, v83, v34
	v_or_b32_e32 v32, v30, v31
	ds_write_b64 v32, v[24:25]
	v_lshlrev_b32_e32 v24, 1, v37
	v_or_b32_e32 v25, v24, v31
	ds_write_b64 v25, v[22:23]
	v_or_b32_e32 v22, 16, v79
	v_lshlrev_b32_e32 v23, 2, v22
	v_or_b32_e32 v25, v35, v23
	s_waitcnt vmcnt(5)
	v_perm_b32 v17, v17, v16, s3
	v_perm_b32 v16, v15, v14, s3
	s_waitcnt vmcnt(4)
	v_perm_b32 v15, v29, v28, s3
	v_perm_b32 v14, v27, v26, s3
	v_lshlrev_b32_e32 v25, 1, v25
	v_lshlrev_b32_e32 v22, 8, v22
	ds_write2st64_b64 v25, v[16:17], v[14:15] offset0:32 offset1:48
	v_or_b32_e32 v25, v30, v22
	ds_write_b64 v25, v[16:17]
	v_or_b32_e32 v16, v24, v22
	ds_write_b64 v16, v[14:15]
	v_or_b32_e32 v14, 32, v79
	v_lshlrev_b32_e32 v22, 2, v14
	v_or_b32_e32 v15, v35, v22
	s_waitcnt vmcnt(3)
	v_perm_b32 v9, v9, v8, s3
	v_perm_b32 v8, v7, v6, s3
	s_waitcnt vmcnt(2)
	v_perm_b32 v7, v21, v20, s3
	v_perm_b32 v6, v19, v18, s3
	v_lshlrev_b32_e32 v15, 1, v15
	v_lshlrev_b32_e32 v14, 8, v14
	s_lshl_b64 s[20:21], s[0:1], 8
	ds_write2st64_b64 v15, v[8:9], v[6:7] offset0:32 offset1:48
	v_or_b32_e32 v15, v30, v14
	s_add_u32 s0, s6, s20
	ds_write_b64 v15, v[8:9]
	v_or_b32_e32 v8, v24, v14
	s_addc_u32 s1, s7, s21
	ds_write_b64 v8, v[6:7]
	s_waitcnt vmcnt(1)
	v_perm_b32 v5, v5, v4, s3
	v_perm_b32 v4, v3, v2, s3
	s_waitcnt vmcnt(0)
	v_perm_b32 v3, v13, v12, s3
	v_perm_b32 v2, v11, v10, s3
	v_or_b32_e32 v6, 48, v79
	s_mul_hi_i32 s3, s12, s13
	s_mul_i32 s12, s12, s13
	v_lshlrev_b32_e32 v19, 2, v6
	s_add_u32 s6, s12, s47
	v_or_b32_e32 v7, v35, v19
	s_addc_u32 s7, s3, s48
	v_lshlrev_b32_e32 v7, 1, v7
	v_lshlrev_b32_e32 v6, 8, v6
	s_ashr_i32 s3, s2, 31
	s_lshl_b64 s[6:7], s[6:7], 15
	ds_write2st64_b64 v7, v[4:5], v[2:3] offset0:32 offset1:48
	v_or_b32_e32 v7, v30, v6
	s_add_u32 s6, s18, s6
	ds_write_b64 v7, v[4:5]
	v_or_b32_e32 v4, v24, v6
	s_addc_u32 s7, s19, s7
	s_lshl_b64 s[2:3], s[2:3], 8
	ds_write_b64 v4, v[2:3]
	s_add_u32 s2, s6, s2
	v_lshlrev_b32_e32 v3, 1, v79
	v_lshrrev_b32_e32 v2, 4, v0
	s_addc_u32 s3, s7, s3
	v_or_b32_e32 v4, 1, v3
	v_lshlrev_b32_e32 v10, 4, v79
	v_mov_b32_e32 v11, 0
	v_xor_b32_e32 v3, v2, v3
	v_xor_b32_e32 v6, v4, v2
	v_lshl_add_u64 v[12:13], s[2:3], 0, v[10:11]
	v_lshlrev_b32_e32 v10, 8, v2
	v_lshl_or_b32 v16, v3, 3, v10
	v_lshl_or_b32 v17, v6, 3, v10
	s_waitcnt lgkmcnt(0)
	s_barrier
	ds_read2st64_b64 v[2:5], v16 offset1:8
	ds_read2st64_b64 v[6:9], v17 offset1:8
	v_lshl_add_u64 v[14:15], v[12:13], 0, v[10:11]
	s_movk_i32 s2, 0x2000
	s_cmp_lg_u32 s27, 64
	s_waitcnt lgkmcnt(1)
	v_mov_b32_e32 v10, v2
	v_mov_b32_e32 v11, v3
	s_waitcnt lgkmcnt(0)
	v_mov_b32_e32 v12, v6
	v_mov_b32_e32 v13, v7
	global_store_dwordx4 v[14:15], v[10:13], off
	v_mov_b32_e32 v6, v4
	v_mov_b32_e32 v7, v5
	ds_read2st64_b64 v[2:5], v16 offset0:16 offset1:24
	ds_read2st64_b64 v[10:13], v17 offset0:16 offset1:24
	v_add_co_u32_e32 v16, vcc, s2, v14
	s_cselect_b64 s[6:7], -1, 0
	s_nop 0
	v_addc_co_u32_e32 v17, vcc, 0, v15, vcc
	global_store_dwordx4 v[16:17], v[6:9], off offset:-4096
	v_lshl_or_b32 v24, v77, 3, v81
	s_mov_b32 s16, 0
	s_waitcnt lgkmcnt(1)
	v_mov_b32_e32 v6, v2
	v_add_co_u32_e32 v2, vcc, 0x3000, v14
	v_mov_b32_e32 v7, v3
	s_nop 0
	v_addc_co_u32_e32 v3, vcc, 0, v15, vcc
	s_waitcnt lgkmcnt(0)
	v_mov_b32_e32 v8, v10
	v_mov_b32_e32 v9, v11
	;; [unrolled: 1-line block ×4, first 2 shown]
	v_or_b32_e32 v20, 32, v24
	v_and_b32_e32 v18, 56, v80
	s_and_b64 vcc, exec, s[6:7]
	global_store_dwordx4 v[16:17], v[6:9], off
	global_store_dwordx4 v[2:3], v[10:13], off
	s_cbranch_vccz .LBB163_29
; %bb.24:
	s_mov_b32 s17, s16
	s_mov_b32 s18, s16
	;; [unrolled: 1-line block ×3, first 2 shown]
	v_mov_b64_e32 v[6:7], s[16:17]
	v_mov_b64_e32 v[8:9], s[18:19]
	;; [unrolled: 1-line block ×3, first 2 shown]
	v_cmp_gt_i32_e32 vcc, s27, v24
	v_mov_b64_e32 v[4:5], v[8:9]
	s_and_saveexec_b64 s[2:3], vcc
	s_cbranch_execz .LBB163_26
; %bb.25:
	v_lshlrev_b32_e32 v2, 8, v24
	v_mov_b32_e32 v3, 0
	v_lshl_add_u64 v[4:5], s[0:1], 0, v[2:3]
	v_lshlrev_b32_e32 v2, 1, v18
	v_lshl_add_u64 v[10:11], v[4:5], 0, v[2:3]
	global_load_dwordx4 v[6:9], v[10:11], off
	global_load_dwordx4 v[2:5], v[10:11], off offset:128
.LBB163_26:
	s_or_b64 exec, exec, s[2:3]
	s_mov_b32 s17, s16
	s_mov_b32 s18, s16
	;; [unrolled: 1-line block ×3, first 2 shown]
	v_mov_b64_e32 v[14:15], s[16:17]
	v_mov_b64_e32 v[16:17], s[18:19]
	;; [unrolled: 1-line block ×3, first 2 shown]
	v_cmp_gt_i32_e32 vcc, s27, v20
	v_lshlrev_b32_e32 v21, 7, v20
	v_mov_b64_e32 v[12:13], v[16:17]
	s_and_saveexec_b64 s[2:3], vcc
	s_cbranch_execz .LBB163_28
; %bb.27:
	v_lshlrev_b32_e32 v10, 1, v21
	v_mov_b32_e32 v11, 0
	v_lshl_add_u64 v[12:13], s[0:1], 0, v[10:11]
	v_lshlrev_b32_e32 v10, 1, v18
	v_lshl_add_u64 v[26:27], v[12:13], 0, v[10:11]
	global_load_dwordx4 v[14:17], v[26:27], off
	global_load_dwordx4 v[10:13], v[26:27], off offset:128
.LBB163_28:
	s_or_b64 exec, exec, s[2:3]
	v_lshrrev_b32_e32 v25, 3, v18
	v_lshlrev_b32_e32 v26, 3, v24
	v_or_b32_e32 v25, v26, v25
	v_lshlrev_b32_e32 v25, 4, v25
	v_and_b32_e32 v26, 0x78, v26
	v_xor_b32_e32 v25, v25, v26
	s_branch .LBB163_31
.LBB163_29:
                                        ; implicit-def: $vgpr25
                                        ; implicit-def: $vgpr21
                                        ; implicit-def: $vgpr6_vgpr7_vgpr8_vgpr9
                                        ; implicit-def: $vgpr2_vgpr3_vgpr4_vgpr5
                                        ; implicit-def: $vgpr14_vgpr15_vgpr16_vgpr17
                                        ; implicit-def: $vgpr10_vgpr11_vgpr12_vgpr13
	s_cbranch_execz .LBB163_31
; %bb.30:
	s_waitcnt vmcnt(0)
	v_lshlrev_b32_e32 v2, 1, v18
	v_lshl_or_b32 v21, v24, 8, v2
	s_and_b32 s1, s1, 0xffff
	s_mov_b32 s3, 0x20000
	s_movk_i32 s2, 0x4000
	v_lshl_or_b32 v25, v20, 8, v2
	s_movk_i32 s12, 0x80
	buffer_load_dwordx4 v[6:9], v21, s[0:3], 0 offen
	buffer_load_dwordx4 v[2:5], v21, s[0:3], s12 offen
	;; [unrolled: 1-line block ×4, first 2 shown]
	v_lshrrev_b32_e32 v21, 3, v18
	v_lshlrev_b32_e32 v25, 3, v24
	v_or_b32_e32 v21, v25, v21
	v_lshlrev_b32_e32 v21, 4, v21
	v_and_b32_e32 v25, 0x78, v25
	v_xor_b32_e32 v25, v21, v25
	v_lshlrev_b32_e32 v21, 7, v20
.LBB163_31:
	s_movk_i32 s0, 0x1000
	v_and_or_b32 v20, v21, s0, v25
	s_waitcnt vmcnt(1)
	ds_write_b64 v25, v[6:7] offset:49152
	v_xor_b32_e32 v6, 8, v25
	ds_write_b64 v6, v[8:9] offset:49152
	s_waitcnt vmcnt(0)
	ds_write_b64 v25, v[2:3] offset:57344
	ds_write_b64 v6, v[4:5] offset:57344
	ds_write_b64 v20, v[14:15] offset:49152
	v_xor_b32_e32 v2, 8, v20
	ds_write_b64 v2, v[16:17] offset:49152
	ds_write_b64 v20, v[10:11] offset:57344
	;; [unrolled: 1-line block ×3, first 2 shown]
	v_or_b32_e32 v2, v1, v79
	v_lshlrev_b32_e32 v3, 11, v77
	v_lshlrev_b32_e32 v2, 3, v2
	v_and_b32_e32 v6, 0x1000, v3
	v_lshrrev_b32_e32 v3, 5, v76
	s_movk_i32 s0, 0xf8
	v_and_or_b32 v3, v2, s0, v3
	v_lshlrev_b32_e32 v7, 4, v3
	v_and_b32_e32 v8, 0x78, v2
	v_or_b32_e32 v10, 32, v7
	v_lshrrev_b32_e32 v3, 1, v76
	v_xor_b32_e32 v10, v10, v8
	v_xor_b32_e32 v2, v7, v8
	v_and_b32_e32 v9, 8, v3
	v_or_b32_e32 v10, v10, v6
	v_or_b32_e32 v2, v2, v6
	v_xor_b32_e32 v27, v10, v9
	v_or_b32_e32 v10, 64, v7
	v_xor_b32_e32 v26, v2, v9
	v_xor_b32_e32 v10, v10, v8
	s_waitcnt lgkmcnt(0)
	s_barrier
	v_or_b32_e32 v13, v10, v6
	ds_read_b64 v[10:11], v26 offset:49152
	v_lshl_or_b32 v14, v78, 8, v34
	v_lshlrev_b32_e32 v25, 1, v14
	v_add_u32_e32 v12, 0x4000, v25
	ds_read2_b64 v[2:5], v12 offset1:16
	v_or_b32_e32 v7, 0x60, v7
	v_xor_b32_e32 v7, v7, v8
	v_or_b32_e32 v6, v7, v6
	v_xor_b32_e32 v28, v13, v9
	v_xor_b32_e32 v29, v6, v9
	ds_read_b64 v[20:21], v27 offset:49152
	ds_read_b64 v[36:37], v28 offset:49152
	;; [unrolled: 1-line block ×3, first 2 shown]
	s_waitcnt lgkmcnt(3)
	v_mfma_f32_16x16x16_bf16 a[0:3], v[10:11], v[2:3], 0
	ds_read2st64_b64 v[6:9], v25 offset0:36 offset1:40
	s_lshl_b64 s[0:1], s[24:25], 8
	s_add_u32 s4, s4, s0
	v_mfma_f32_16x16x16_bf16 a[4:7], v[10:11], v[4:5], 0
	ds_read2_b64 v[2:5], v12 offset0:32 offset1:48
	s_addc_u32 s5, s5, s1
	s_add_i32 s1, s43, s33
	s_waitcnt lgkmcnt(0)
	v_mfma_f32_16x16x16_bf16 a[8:11], v[10:11], v[2:3], 0
	v_or_b32_e32 v2, 64, v14
	v_lshlrev_b32_e32 v30, 1, v2
	s_add_i32 s0, s35, -1
	v_mfma_f32_16x16x16_bf16 a[12:15], v[10:11], v[4:5], 0
	ds_read2st64_b64 v[2:5], v30 offset0:36 offset1:40
	s_add_i32 s39, s1, s42
	s_add_i32 s1, s45, s44
	v_mfma_f32_16x16x16_bf16 a[0:3], v[20:21], v[6:7], a[0:3]
	v_or_b32_e32 v6, 0x80, v14
	v_lshlrev_b32_e32 v31, 1, v6
	ds_read2st64_b64 v[10:13], v31 offset0:36 offset1:40
	s_waitcnt lgkmcnt(1)
	v_mfma_f32_16x16x16_bf16 a[4:7], v[20:21], v[2:3], a[4:7]
	v_or_b32_e32 v2, 0xc0, v14
	v_lshlrev_b32_e32 v32, 1, v2
	ds_read2st64_b64 v[14:17], v32 offset0:36 offset1:40
	s_add_i32 s37, s1, s46
	s_ashr_i32 s1, s0, 31
	s_mul_i32 s2, s0, s31
	s_mul_hi_u32 s3, s0, s30
	s_add_i32 s2, s3, s2
	s_mul_i32 s1, s1, s30
	s_waitcnt lgkmcnt(1)
	v_mfma_f32_16x16x16_bf16 a[8:11], v[20:21], v[10:11], a[8:11]
	s_add_i32 s1, s2, s1
	s_lshl_b64 s[2:3], s[38:39], 2
	s_add_u32 s10, s10, s2
	s_waitcnt lgkmcnt(0)
	v_mfma_f32_16x16x16_bf16 a[12:15], v[20:21], v[14:15], a[12:15]
	s_addc_u32 s11, s11, s3
	s_lshl_b64 s[2:3], s[36:37], 2
	s_mul_i32 s0, s0, s30
	v_mfma_f32_16x16x16_bf16 a[0:3], v[36:37], v[8:9], a[0:3]
	ds_read_b64 v[2:3], v25 offset:22528
	s_add_u32 s10, s10, s2
	s_addc_u32 s11, s11, s3
	v_mfma_f32_16x16x16_bf16 a[4:7], v[36:37], v[4:5], a[4:7]
	ds_read_b64 v[4:5], v30 offset:22528
	ds_read_b64 v[6:7], v31 offset:22528
	;; [unrolled: 1-line block ×3, first 2 shown]
	s_lshl_b64 s[0:1], s[0:1], 2
	s_add_u32 s0, s10, s0
	v_mfma_f32_16x16x16_bf16 a[8:11], v[36:37], v[12:13], a[8:11]
	s_addc_u32 s1, s11, s1
	s_load_dword s12, s[0:1], 0x0
	s_and_b64 vcc, exec, s[22:23]
	v_mfma_f32_16x16x16_bf16 a[12:15], v[36:37], v[16:17], a[12:15]
	s_waitcnt lgkmcnt(0)
	v_mfma_f32_16x16x16_bf16 a[0:3], v[38:39], v[2:3], a[0:3]
	v_mfma_f32_16x16x16_bf16 a[4:7], v[38:39], v[4:5], a[4:7]
	;; [unrolled: 1-line block ×4, first 2 shown]
	s_cbranch_vccz .LBB163_42
; %bb.32:
	v_lshlrev_b32_e32 v20, 1, v24
	s_and_b64 vcc, exec, s[6:7]
	s_cbranch_vccz .LBB163_43
; %bb.33:
	v_cmp_gt_i32_e32 vcc, s27, v20
	v_mov_b32_e32 v6, 0
	v_mov_b32_e32 v2, 0
	;; [unrolled: 1-line block ×5, first 2 shown]
	s_and_saveexec_b64 s[0:1], vcc
	s_cbranch_execz .LBB163_35
; %bb.34:
	v_mad_i64_i32 v[2:3], s[2:3], s15, v20, 0
	v_lshl_add_u64 v[2:3], v[2:3], 1, s[4:5]
	v_lshlrev_b32_e32 v4, 1, v18
	v_mov_b32_e32 v5, 0
	v_lshl_add_u64 v[2:3], v[2:3], 0, v[4:5]
	global_load_dwordx4 v[2:5], v[2:3], off
.LBB163_35:
	s_or_b64 exec, exec, s[0:1]
	v_or_b32_e32 v21, 1, v20
	v_cmp_gt_i32_e64 s[0:1], s27, v21
	v_mov_b32_e32 v7, 0
	v_mov_b32_e32 v8, 0
	;; [unrolled: 1-line block ×3, first 2 shown]
	s_and_saveexec_b64 s[2:3], s[0:1]
	s_cbranch_execz .LBB163_37
; %bb.36:
	v_mad_i64_i32 v[6:7], s[16:17], s15, v21, 0
	v_lshl_add_u64 v[6:7], v[6:7], 1, s[4:5]
	v_lshlrev_b32_e32 v8, 1, v18
	v_mov_b32_e32 v9, 0
	v_lshl_add_u64 v[6:7], v[6:7], 0, v[8:9]
	global_load_dwordx4 v[6:9], v[6:7], off
.LBB163_37:
	s_or_b64 exec, exec, s[2:3]
	v_mov_b32_e32 v17, 0
	v_mov_b32_e32 v10, 0
	;; [unrolled: 1-line block ×5, first 2 shown]
	s_and_saveexec_b64 s[2:3], vcc
	s_cbranch_execz .LBB163_39
; %bb.38:
	v_mad_i64_i32 v[10:11], s[16:17], s15, v20, 0
	v_lshl_add_u64 v[10:11], v[10:11], 1, s[4:5]
	v_lshlrev_b32_e32 v12, 1, v18
	v_mov_b32_e32 v13, 0
	v_lshl_add_u64 v[10:11], v[10:11], 0, v[12:13]
	global_load_dwordx4 v[10:13], v[10:11], off offset:128
.LBB163_39:
	s_or_b64 exec, exec, s[2:3]
	v_mov_b32_e32 v16, 0
	v_mov_b32_e32 v15, 0
	;; [unrolled: 1-line block ×3, first 2 shown]
	s_and_saveexec_b64 s[2:3], s[0:1]
	s_cbranch_execz .LBB163_41
; %bb.40:
	v_mad_i64_i32 v[14:15], s[0:1], s15, v21, 0
	v_lshl_add_u64 v[14:15], v[14:15], 1, s[4:5]
	v_lshlrev_b32_e32 v16, 1, v18
	v_mov_b32_e32 v17, 0
	v_lshl_add_u64 v[14:15], v[14:15], 0, v[16:17]
	global_load_dwordx4 v[14:17], v[14:15], off offset:128
.LBB163_41:
	s_or_b64 exec, exec, s[2:3]
	s_branch .LBB163_45
.LBB163_42:
                                        ; implicit-def: $vgpr5
                                        ; implicit-def: $vgpr9
                                        ; implicit-def: $vgpr13
                                        ; implicit-def: $vgpr17
	v_lshrrev_b32_e32 v33, 2, v76
	s_branch .LBB163_46
.LBB163_43:
                                        ; implicit-def: $vgpr5
                                        ; implicit-def: $vgpr9
                                        ; implicit-def: $vgpr13
                                        ; implicit-def: $vgpr17
	s_cbranch_execz .LBB163_45
; %bb.44:
	s_waitcnt vmcnt(0)
	v_mad_u64_u32 v[2:3], s[0:1], v20, s15, v[18:19]
	v_lshlrev_b32_e32 v20, 1, v2
	s_lshl_b32 s2, s15, 7
	s_and_b32 s1, s5, 0xffff
	s_mov_b32 s3, 0x20000
	s_mov_b32 s0, s4
	v_add_lshl_u32 v21, v2, s15, 1
	s_movk_i32 s13, 0x80
	buffer_load_dwordx4 v[2:5], v20, s[0:3], 0 offen
	buffer_load_dwordx4 v[10:13], v20, s[0:3], s13 offen
	;; [unrolled: 1-line block ×4, first 2 shown]
.LBB163_45:
	v_lshrrev_b32_e32 v33, 2, v76
	s_cbranch_execnz .LBB163_58
.LBB163_46:
	s_and_b64 vcc, exec, s[6:7]
	s_cbranch_vccz .LBB163_56
; %bb.47:
	s_waitcnt vmcnt(0)
	v_lshlrev_b32_e32 v7, 1, v24
	v_cmp_gt_i32_e32 vcc, s27, v7
	v_mov_b32_e32 v6, 0
	v_lshlrev_b32_e32 v14, 9, v24
	v_mov_b32_e32 v2, 0
	v_mov_b32_e32 v3, 0
	;; [unrolled: 1-line block ×4, first 2 shown]
	s_and_saveexec_b64 s[0:1], vcc
	s_cbranch_execz .LBB163_49
; %bb.48:
	v_mov_b32_e32 v15, 0
	v_lshl_add_u64 v[2:3], s[4:5], 0, v[14:15]
	v_lshlrev_b32_e32 v4, 1, v18
	v_mov_b32_e32 v5, v15
	v_lshl_add_u64 v[2:3], v[2:3], 0, v[4:5]
	global_load_dwordx4 v[2:5], v[2:3], off
.LBB163_49:
	s_or_b64 exec, exec, s[0:1]
	v_or_b32_e32 v7, 1, v7
	v_cmp_gt_i32_e64 s[0:1], s27, v7
	v_lshlrev_b32_e32 v20, 8, v7
	v_mov_b32_e32 v7, 0
	v_mov_b32_e32 v8, 0
	;; [unrolled: 1-line block ×3, first 2 shown]
	s_and_saveexec_b64 s[2:3], s[0:1]
	s_cbranch_execz .LBB163_51
; %bb.50:
	v_mov_b32_e32 v21, 0
	v_lshl_add_u64 v[6:7], s[4:5], 0, v[20:21]
	v_lshlrev_b32_e32 v8, 1, v18
	v_mov_b32_e32 v9, v21
	v_lshl_add_u64 v[6:7], v[6:7], 0, v[8:9]
	global_load_dwordx4 v[6:9], v[6:7], off
.LBB163_51:
	s_or_b64 exec, exec, s[2:3]
	v_mov_b32_e32 v17, 0
	v_mov_b32_e32 v10, 0
	v_mov_b32_e32 v11, 0
	v_mov_b32_e32 v12, 0
	v_mov_b32_e32 v13, 0
	s_and_saveexec_b64 s[2:3], vcc
	s_cbranch_execz .LBB163_53
; %bb.52:
	v_mov_b32_e32 v15, 0
	v_lshl_add_u64 v[10:11], s[4:5], 0, v[14:15]
	v_lshlrev_b32_e32 v14, 1, v18
	v_lshl_add_u64 v[10:11], v[10:11], 0, v[14:15]
	global_load_dwordx4 v[10:13], v[10:11], off offset:128
.LBB163_53:
	s_or_b64 exec, exec, s[2:3]
	v_mov_b32_e32 v16, 0
	v_mov_b32_e32 v15, 0
	;; [unrolled: 1-line block ×3, first 2 shown]
	s_and_saveexec_b64 s[2:3], s[0:1]
	s_cbranch_execz .LBB163_55
; %bb.54:
	v_mov_b32_e32 v21, 0
	v_lshl_add_u64 v[14:15], s[4:5], 0, v[20:21]
	v_lshlrev_b32_e32 v20, 1, v18
	v_lshl_add_u64 v[14:15], v[14:15], 0, v[20:21]
	global_load_dwordx4 v[14:17], v[14:15], off offset:128
.LBB163_55:
	s_or_b64 exec, exec, s[2:3]
	s_branch .LBB163_58
.LBB163_56:
                                        ; implicit-def: $vgpr5
                                        ; implicit-def: $vgpr9
                                        ; implicit-def: $vgpr13
                                        ; implicit-def: $vgpr17
	s_cbranch_execz .LBB163_58
; %bb.57:
	s_waitcnt vmcnt(0)
	v_lshlrev_b32_e32 v2, 1, v18
	v_lshl_or_b32 v18, v24, 9, v2
	s_and_b32 s5, s5, 0xffff
	s_mov_b32 s7, 0x20000
	s_movk_i32 s6, 0x4000
	s_movk_i32 s0, 0x80
	buffer_load_dwordx4 v[2:5], v18, s[4:7], 0 offen
	buffer_load_dwordx4 v[6:9], v18, s[4:7], 0 offen offset:256
	buffer_load_dwordx4 v[10:13], v18, s[4:7], s0 offen
	buffer_load_dwordx4 v[14:17], v18, s[4:7], s0 offen offset:256
.LBB163_58:
	ds_read_b64 v[20:21], v26 offset:57344
	v_add_u32_e32 v18, 0x6000, v25
	ds_read2_b64 v[36:39], v18 offset1:16
	ds_read_b64 v[48:49], v27 offset:57344
	ds_read_b64 v[50:51], v28 offset:57344
	;; [unrolled: 1-line block ×3, first 2 shown]
	ds_read2_b64 v[26:29], v18 offset0:32 offset1:48
	v_and_b32_e32 v18, 6, v0
	v_xor_b32_e32 v24, v24, v18
	v_lshlrev_b32_e32 v24, 2, v24
	v_and_b32_e32 v0, 1, v0
	v_cmp_eq_u32_e32 vcc, 0, v0
	s_waitcnt lgkmcnt(4)
	v_mfma_f32_16x16x16_bf16 a[0:3], v[20:21], v[36:37], a[0:3]
	s_mov_b32 s0, 0x1000504
	s_mov_b32 s1, 0x3020706
	v_mfma_f32_16x16x16_bf16 a[4:7], v[20:21], v[38:39], a[4:7]
	ds_read2st64_b64 v[36:39], v25 offset0:52 offset1:56
	s_waitcnt lgkmcnt(1)
	v_mfma_f32_16x16x16_bf16 a[8:11], v[20:21], v[26:27], a[8:11]
	v_mfma_f32_16x16x16_bf16 a[12:15], v[20:21], v[28:29], a[12:15]
	ds_read2st64_b64 v[26:29], v30 offset0:52 offset1:56
	ds_read2st64_b64 v[40:43], v31 offset0:52 offset1:56
	;; [unrolled: 1-line block ×3, first 2 shown]
	s_waitcnt lgkmcnt(3)
	v_mfma_f32_16x16x16_bf16 a[0:3], v[48:49], v[36:37], a[0:3]
	ds_read_b64 v[20:21], v25 offset:30720
	ds_read_b64 v[36:37], v30 offset:30720
	;; [unrolled: 1-line block ×4, first 2 shown]
	v_xor_b32_e32 v25, 0x440, v24
	v_cndmask_b32_e32 v0, v25, v24, vcc
	s_waitcnt lgkmcnt(6)
	v_mfma_f32_16x16x16_bf16 a[4:7], v[48:49], v[26:27], a[4:7]
	v_lshl_or_b32 v0, v18, 10, v0
	s_waitcnt vmcnt(0)
	v_perm_b32 v18, v2, v6, s0
	v_perm_b32 v24, v10, v14, s0
	s_waitcnt lgkmcnt(5)
	v_mfma_f32_16x16x16_bf16 a[8:11], v[48:49], v[40:41], a[8:11]
	ds_write2st64_b32 v0, v18, v24 offset0:128 offset1:160
	v_xor_b32_e32 v18, 8, v0
	v_perm_b32 v2, v2, v6, s1
	s_waitcnt lgkmcnt(5)
	v_mfma_f32_16x16x16_bf16 a[12:15], v[48:49], v[44:45], a[12:15]
	v_perm_b32 v6, v10, v14, s1
	v_add_u32_e32 v10, 0x80, v18
	ds_write2st64_b32 v10, v2, v6 offset0:128 offset1:160
	v_mfma_f32_16x16x16_bf16 a[0:3], v[50:51], v[38:39], a[0:3]
	v_xor_b32_e32 v2, 16, v0
	v_perm_b32 v6, v3, v7, s0
	v_perm_b32 v10, v11, v15, s0
	v_mfma_f32_16x16x16_bf16 a[4:7], v[50:51], v[28:29], a[4:7]
	ds_write2st64_b32 v2, v6, v10 offset0:129 offset1:161
	v_xor_b32_e32 v2, 24, v0
	v_perm_b32 v3, v3, v7, s1
	v_mfma_f32_16x16x16_bf16 a[16:19], v[50:51], v[42:43], a[8:11]
	v_perm_b32 v6, v11, v15, s1
	v_add_u32_e32 v2, 0x80, v2
	ds_write2st64_b32 v2, v3, v6 offset0:129 offset1:161
	v_mfma_f32_16x16x16_bf16 a[20:23], v[50:51], v[46:47], a[12:15]
	v_xor_b32_e32 v2, 32, v0
	v_perm_b32 v3, v4, v8, s0
	v_perm_b32 v6, v12, v16, s0
	s_waitcnt lgkmcnt(7)
	v_mfma_f32_16x16x16_bf16 a[12:15], v[52:53], v[20:21], a[0:3]
	ds_write2st64_b32 v2, v3, v6 offset0:130 offset1:162
	v_xor_b32_e32 v2, 40, v0
	v_perm_b32 v3, v4, v8, s1
	s_waitcnt lgkmcnt(7)
	v_mfma_f32_16x16x16_bf16 a[8:11], v[52:53], v[36:37], a[4:7]
	v_perm_b32 v4, v12, v16, s1
	v_add_u32_e32 v2, 0x80, v2
	ds_write2st64_b32 v2, v3, v4 offset0:130 offset1:162
	s_waitcnt lgkmcnt(7)
	v_mfma_f32_16x16x16_bf16 a[4:7], v[52:53], v[30:31], a[16:19]
	v_xor_b32_e32 v2, 48, v0
	v_perm_b32 v3, v5, v9, s0
	v_perm_b32 v4, v13, v17, s0
	s_waitcnt lgkmcnt(6)
	v_mfma_f32_16x16x16_bf16 a[0:3], v[52:53], v[54:55], a[20:23]
	v_xor_b32_e32 v0, 56, v0
	v_and_or_b32 v21, v33, 12, v1
	ds_write2st64_b32 v2, v3, v4 offset0:131 offset1:163
	v_perm_b32 v2, v5, v9, s1
	v_perm_b32 v3, v13, v17, s1
	v_add_u32_e32 v0, 0x80, v0
	v_cmp_gt_i32_e32 vcc, s27, v21
	v_mov_b32_e32 v16, 0
	v_mov_b32_e32 v18, 0
	ds_write2st64_b32 v0, v2, v3 offset0:131 offset1:163
	s_and_saveexec_b64 s[0:1], vcc
	s_cbranch_execz .LBB163_60
; %bb.59:
	v_add_u32_e32 v0, s26, v21
	v_ashrrev_i32_e32 v1, 31, v0
	v_mul_lo_u32 v2, v1, s30
	v_mul_lo_u32 v3, v0, s31
	v_mad_u64_u32 v[0:1], s[2:3], v0, s30, 0
	v_add3_u32 v1, v1, v3, v2
	v_lshl_add_u64 v[0:1], v[0:1], 2, s[10:11]
	global_load_dword v0, v[0:1], off
	s_waitcnt vmcnt(0)
	v_sub_f32_e32 v0, s12, v0
	v_exp_f32_e32 v18, v0
.LBB163_60:
	s_or_b64 exec, exec, s[0:1]
	v_or_b32_e32 v10, 1, v21
	v_cmp_gt_i32_e64 s[2:3], s27, v10
	s_and_saveexec_b64 s[0:1], s[2:3]
	s_cbranch_execz .LBB163_62
; %bb.61:
	v_add_u32_e32 v0, s26, v10
	v_ashrrev_i32_e32 v1, 31, v0
	v_mul_lo_u32 v2, v1, s30
	v_mul_lo_u32 v3, v0, s31
	v_mad_u64_u32 v[0:1], s[4:5], v0, s30, 0
	v_add3_u32 v1, v1, v3, v2
	v_lshl_add_u64 v[0:1], v[0:1], 2, s[10:11]
	global_load_dword v0, v[0:1], off
	s_waitcnt vmcnt(0)
	v_sub_f32_e32 v0, s12, v0
	v_exp_f32_e32 v16, v0
.LBB163_62:
	s_or_b64 exec, exec, s[0:1]
	v_or_b32_e32 v12, 2, v21
	v_cmp_gt_i32_e64 s[0:1], s27, v12
	v_mov_b32_e32 v17, 0
	v_mov_b32_e32 v20, 0
	s_and_saveexec_b64 s[4:5], s[0:1]
	s_cbranch_execz .LBB163_64
; %bb.63:
	v_add_u32_e32 v0, s26, v12
	v_ashrrev_i32_e32 v1, 31, v0
	v_mul_lo_u32 v2, v1, s30
	v_mul_lo_u32 v3, v0, s31
	v_mad_u64_u32 v[0:1], s[6:7], v0, s30, 0
	v_add3_u32 v1, v1, v3, v2
	v_lshl_add_u64 v[0:1], v[0:1], 2, s[10:11]
	global_load_dword v0, v[0:1], off
	s_waitcnt vmcnt(0)
	v_sub_f32_e32 v0, s12, v0
	v_exp_f32_e32 v20, v0
.LBB163_64:
	s_or_b64 exec, exec, s[4:5]
	v_or_b32_e32 v14, 3, v21
	v_cmp_gt_i32_e64 s[4:5], s27, v14
	s_and_saveexec_b64 s[6:7], s[4:5]
	s_cbranch_execz .LBB163_66
; %bb.65:
	v_add_u32_e32 v0, s26, v14
	v_ashrrev_i32_e32 v1, 31, v0
	v_mul_lo_u32 v2, v1, s30
	v_mul_lo_u32 v3, v0, s31
	v_mad_u64_u32 v[0:1], s[14:15], v0, s30, 0
	v_add3_u32 v1, v1, v3, v2
	v_lshl_add_u64 v[0:1], v[0:1], 2, s[10:11]
	global_load_dword v0, v[0:1], off
	s_waitcnt vmcnt(0)
	v_sub_f32_e32 v0, s12, v0
	v_exp_f32_e32 v17, v0
.LBB163_66:
	s_or_b64 exec, exec, s[6:7]
	s_add_u32 s6, s8, s20
	s_addc_u32 s7, s9, s21
	s_add_u32 s8, s28, s20
	v_ashrrev_i32_e32 v67, 31, v66
	v_accvgpr_read_b32 v0, a12
	s_addc_u32 s9, s29, s21
	v_lshlrev_b64 v[4:5], 1, v[66:67]
	v_accvgpr_read_b32 v1, a13
	v_accvgpr_read_b32 v2, a14
	;; [unrolled: 1-line block ×3, first 2 shown]
	v_lshl_add_u64 v[6:7], s[6:7], 0, v[4:5]
	v_lshl_add_u64 v[4:5], s[8:9], 0, v[4:5]
	v_mov_b32_e32 v11, 0
	v_lshlrev_b32_e32 v8, 8, v21
	v_mov_b32_e32 v9, 0
	s_and_saveexec_b64 s[6:7], vcc
	s_cbranch_execz .LBB163_68
; %bb.67:
	v_mov_b32_e32 v9, 0
	v_lshl_add_u64 v[24:25], v[6:7], 0, v[8:9]
	global_load_ushort v13, v[24:25], off
	v_lshl_add_u64 v[24:25], v[4:5], 0, v[8:9]
	s_waitcnt vmcnt(0)
	v_lshlrev_b32_e32 v9, 16, v13
	v_sub_f32_e32 v0, v9, v0
	global_store_short_d16_hi v[24:25], v0, off
	v_mul_f32_e32 v0, v18, v0
	v_lshrrev_b32_e32 v9, 16, v0
.LBB163_68:
	s_or_b64 exec, exec, s[6:7]
	v_lshlrev_b32_e32 v10, 8, v10
	s_and_saveexec_b64 s[6:7], s[2:3]
	s_cbranch_execz .LBB163_70
; %bb.69:
	v_mov_b32_e32 v11, 0
	v_lshl_add_u64 v[24:25], v[6:7], 0, v[10:11]
	global_load_ushort v0, v[24:25], off
	v_lshl_add_u64 v[24:25], v[4:5], 0, v[10:11]
	s_waitcnt vmcnt(0)
	v_lshlrev_b32_e32 v0, 16, v0
	v_sub_f32_e32 v0, v0, v1
	global_store_short_d16_hi v[24:25], v0, off
	v_mul_f32_e32 v0, v16, v0
	v_lshrrev_b32_e32 v11, 16, v0
.LBB163_70:
	s_or_b64 exec, exec, s[6:7]
	v_mov_b32_e32 v15, 0
	v_lshlrev_b32_e32 v12, 8, v12
	v_mov_b32_e32 v13, 0
	s_and_saveexec_b64 s[6:7], s[0:1]
	s_cbranch_execz .LBB163_72
; %bb.71:
	v_mov_b32_e32 v13, 0
	v_lshl_add_u64 v[0:1], v[6:7], 0, v[12:13]
	global_load_ushort v24, v[0:1], off
	v_lshl_add_u64 v[0:1], v[4:5], 0, v[12:13]
	s_waitcnt vmcnt(0)
	v_lshlrev_b32_e32 v13, 16, v24
	v_sub_f32_e32 v2, v13, v2
	global_store_short_d16_hi v[0:1], v2, off
	v_mul_f32_e32 v0, v20, v2
	v_lshrrev_b32_e32 v13, 16, v0
.LBB163_72:
	s_or_b64 exec, exec, s[6:7]
	v_lshlrev_b32_e32 v14, 8, v14
	s_and_saveexec_b64 s[6:7], s[4:5]
	s_cbranch_execz .LBB163_74
; %bb.73:
	v_mov_b32_e32 v15, 0
	v_lshl_add_u64 v[0:1], v[6:7], 0, v[14:15]
	global_load_ushort v2, v[0:1], off
	v_lshl_add_u64 v[0:1], v[4:5], 0, v[14:15]
	s_waitcnt vmcnt(0)
	v_lshlrev_b32_e32 v2, 16, v2
	v_sub_f32_e32 v2, v2, v3
	global_store_short_d16_hi v[0:1], v2, off
	v_mul_f32_e32 v0, v17, v2
	v_lshrrev_b32_e32 v15, 16, v0
.LBB163_74:
	s_or_b64 exec, exec, s[6:7]
	v_lshlrev_b32_e32 v21, 6, v21
	s_mov_b32 s6, 0x5040100
	v_perm_b32 v24, v11, v9, s6
	v_or_b32_e32 v9, v21, v34
	v_accvgpr_read_b32 v0, a8
	v_perm_b32 v25, v15, v13, s6
	v_lshlrev_b32_e32 v9, 1, v9
	v_accvgpr_read_b32 v1, a9
	v_accvgpr_read_b32 v2, a10
	;; [unrolled: 1-line block ×3, first 2 shown]
	ds_write_b64 v9, v[24:25] offset:24576
	v_mov_b32_e32 v11, 0
	v_mov_b32_e32 v9, 0
	s_and_saveexec_b64 s[6:7], vcc
	s_cbranch_execz .LBB163_76
; %bb.75:
	v_mov_b32_e32 v9, 0
	v_lshl_add_u64 v[24:25], v[6:7], 0, v[8:9]
	global_load_ushort v13, v[24:25], off offset:32
	v_lshl_add_u64 v[24:25], v[4:5], 0, v[8:9]
	s_waitcnt vmcnt(0)
	v_lshlrev_b32_e32 v9, 16, v13
	v_sub_f32_e32 v0, v9, v0
	global_store_short_d16_hi v[24:25], v0, off offset:32
	v_mul_f32_e32 v0, v18, v0
	v_lshrrev_b32_e32 v9, 16, v0
.LBB163_76:
	s_or_b64 exec, exec, s[6:7]
	s_and_saveexec_b64 s[6:7], s[2:3]
	s_cbranch_execz .LBB163_78
; %bb.77:
	v_mov_b32_e32 v11, 0
	v_lshl_add_u64 v[24:25], v[6:7], 0, v[10:11]
	global_load_ushort v0, v[24:25], off offset:32
	v_lshl_add_u64 v[24:25], v[4:5], 0, v[10:11]
	s_waitcnt vmcnt(0)
	v_lshlrev_b32_e32 v0, 16, v0
	v_sub_f32_e32 v0, v0, v1
	global_store_short_d16_hi v[24:25], v0, off offset:32
	v_mul_f32_e32 v0, v16, v0
	v_lshrrev_b32_e32 v11, 16, v0
.LBB163_78:
	s_or_b64 exec, exec, s[6:7]
	v_mov_b32_e32 v15, 0
	v_mov_b32_e32 v13, 0
	s_and_saveexec_b64 s[6:7], s[0:1]
	s_cbranch_execz .LBB163_80
; %bb.79:
	v_mov_b32_e32 v13, 0
	v_lshl_add_u64 v[0:1], v[6:7], 0, v[12:13]
	global_load_ushort v24, v[0:1], off offset:32
	v_lshl_add_u64 v[0:1], v[4:5], 0, v[12:13]
	s_waitcnt vmcnt(0)
	v_lshlrev_b32_e32 v13, 16, v24
	v_sub_f32_e32 v2, v13, v2
	global_store_short_d16_hi v[0:1], v2, off offset:32
	v_mul_f32_e32 v0, v20, v2
	v_lshrrev_b32_e32 v13, 16, v0
.LBB163_80:
	s_or_b64 exec, exec, s[6:7]
	s_and_saveexec_b64 s[6:7], s[4:5]
	s_cbranch_execz .LBB163_82
; %bb.81:
	v_mov_b32_e32 v15, 0
	v_lshl_add_u64 v[0:1], v[6:7], 0, v[14:15]
	global_load_ushort v2, v[0:1], off offset:32
	v_lshl_add_u64 v[0:1], v[4:5], 0, v[14:15]
	s_waitcnt vmcnt(0)
	v_lshlrev_b32_e32 v2, 16, v2
	v_sub_f32_e32 v2, v2, v3
	global_store_short_d16_hi v[0:1], v2, off offset:32
	v_mul_f32_e32 v0, v17, v2
	v_lshrrev_b32_e32 v15, 16, v0
.LBB163_82:
	s_or_b64 exec, exec, s[6:7]
	s_mov_b32 s6, 0x5040100
	v_perm_b32 v24, v11, v9, s6
	v_or_b32_e32 v9, v21, v23
	v_accvgpr_read_b32 v0, a4
	v_perm_b32 v25, v15, v13, s6
	v_lshlrev_b32_e32 v9, 1, v9
	v_accvgpr_read_b32 v1, a5
	v_accvgpr_read_b32 v2, a6
	;; [unrolled: 1-line block ×3, first 2 shown]
	ds_write_b64 v9, v[24:25] offset:24576
	v_mov_b32_e32 v11, 0
	v_mov_b32_e32 v9, 0
	s_and_saveexec_b64 s[6:7], vcc
	s_cbranch_execz .LBB163_84
; %bb.83:
	v_mov_b32_e32 v9, 0
	v_lshl_add_u64 v[24:25], v[6:7], 0, v[8:9]
	global_load_ushort v13, v[24:25], off offset:64
	v_lshl_add_u64 v[24:25], v[4:5], 0, v[8:9]
	s_waitcnt vmcnt(0)
	v_lshlrev_b32_e32 v9, 16, v13
	v_sub_f32_e32 v0, v9, v0
	global_store_short_d16_hi v[24:25], v0, off offset:64
	v_mul_f32_e32 v0, v18, v0
	v_lshrrev_b32_e32 v9, 16, v0
.LBB163_84:
	s_or_b64 exec, exec, s[6:7]
	s_and_saveexec_b64 s[6:7], s[2:3]
	s_cbranch_execz .LBB163_86
; %bb.85:
	v_mov_b32_e32 v11, 0
	v_lshl_add_u64 v[24:25], v[6:7], 0, v[10:11]
	global_load_ushort v0, v[24:25], off offset:64
	v_lshl_add_u64 v[24:25], v[4:5], 0, v[10:11]
	s_waitcnt vmcnt(0)
	v_lshlrev_b32_e32 v0, 16, v0
	v_sub_f32_e32 v0, v0, v1
	global_store_short_d16_hi v[24:25], v0, off offset:64
	v_mul_f32_e32 v0, v16, v0
	v_lshrrev_b32_e32 v11, 16, v0
.LBB163_86:
	s_or_b64 exec, exec, s[6:7]
	v_mov_b32_e32 v15, 0
	v_mov_b32_e32 v13, 0
	s_and_saveexec_b64 s[6:7], s[0:1]
	s_cbranch_execz .LBB163_88
; %bb.87:
	v_mov_b32_e32 v13, 0
	v_lshl_add_u64 v[0:1], v[6:7], 0, v[12:13]
	global_load_ushort v23, v[0:1], off offset:64
	v_lshl_add_u64 v[0:1], v[4:5], 0, v[12:13]
	s_waitcnt vmcnt(0)
	v_lshlrev_b32_e32 v13, 16, v23
	v_sub_f32_e32 v2, v13, v2
	global_store_short_d16_hi v[0:1], v2, off offset:64
	v_mul_f32_e32 v0, v20, v2
	v_lshrrev_b32_e32 v13, 16, v0
.LBB163_88:
	s_or_b64 exec, exec, s[6:7]
	s_and_saveexec_b64 s[6:7], s[4:5]
	s_cbranch_execz .LBB163_90
; %bb.89:
	v_mov_b32_e32 v15, 0
	v_lshl_add_u64 v[0:1], v[6:7], 0, v[14:15]
	global_load_ushort v2, v[0:1], off offset:64
	v_lshl_add_u64 v[0:1], v[4:5], 0, v[14:15]
	s_waitcnt vmcnt(0)
	v_lshlrev_b32_e32 v2, 16, v2
	v_sub_f32_e32 v2, v2, v3
	global_store_short_d16_hi v[0:1], v2, off offset:64
	v_mul_f32_e32 v0, v17, v2
	v_lshrrev_b32_e32 v15, 16, v0
.LBB163_90:
	s_or_b64 exec, exec, s[6:7]
	s_mov_b32 s6, 0x5040100
	v_perm_b32 v24, v11, v9, s6
	v_or_b32_e32 v9, v21, v22
	v_accvgpr_read_b32 v0, a0
	v_perm_b32 v25, v15, v13, s6
	v_lshlrev_b32_e32 v9, 1, v9
	v_accvgpr_read_b32 v1, a1
	v_accvgpr_read_b32 v2, a2
	;; [unrolled: 1-line block ×3, first 2 shown]
	ds_write_b64 v9, v[24:25] offset:24576
	v_mov_b32_e32 v11, 0
	v_mov_b32_e32 v9, 0
	s_and_saveexec_b64 s[6:7], vcc
	s_cbranch_execz .LBB163_92
; %bb.91:
	v_mov_b32_e32 v9, 0
	v_lshl_add_u64 v[22:23], v[6:7], 0, v[8:9]
	global_load_ushort v13, v[22:23], off offset:96
	v_lshl_add_u64 v[8:9], v[4:5], 0, v[8:9]
	s_waitcnt vmcnt(0)
	v_lshlrev_b32_e32 v13, 16, v13
	v_sub_f32_e32 v0, v13, v0
	global_store_short_d16_hi v[8:9], v0, off offset:96
	v_mul_f32_e32 v0, v18, v0
	v_lshrrev_b32_e32 v9, 16, v0
.LBB163_92:
	s_or_b64 exec, exec, s[6:7]
	s_and_saveexec_b64 s[6:7], s[2:3]
	s_cbranch_execz .LBB163_94
; %bb.93:
	v_mov_b32_e32 v11, 0
	v_lshl_add_u64 v[22:23], v[6:7], 0, v[10:11]
	global_load_ushort v0, v[22:23], off offset:96
	v_lshl_add_u64 v[10:11], v[4:5], 0, v[10:11]
	s_waitcnt vmcnt(0)
	v_lshlrev_b32_e32 v0, 16, v0
	v_sub_f32_e32 v0, v0, v1
	global_store_short_d16_hi v[10:11], v0, off offset:96
	v_mul_f32_e32 v0, v16, v0
	v_lshrrev_b32_e32 v11, 16, v0
.LBB163_94:
	s_or_b64 exec, exec, s[6:7]
	v_mov_b32_e32 v0, 0
	v_mov_b32_e32 v1, 0
	s_and_saveexec_b64 s[2:3], s[0:1]
	s_cbranch_execz .LBB163_96
; %bb.95:
	v_mov_b32_e32 v13, 0
	v_lshl_add_u64 v[22:23], v[6:7], 0, v[12:13]
	global_load_ushort v1, v[22:23], off offset:96
	v_lshl_add_u64 v[12:13], v[4:5], 0, v[12:13]
	s_waitcnt vmcnt(0)
	v_lshlrev_b32_e32 v1, 16, v1
	v_sub_f32_e32 v1, v1, v2
	global_store_short_d16_hi v[12:13], v1, off offset:96
	v_mul_f32_e32 v1, v20, v1
	v_lshrrev_b32_e32 v1, 16, v1
.LBB163_96:
	s_or_b64 exec, exec, s[2:3]
	s_and_saveexec_b64 s[0:1], s[4:5]
	s_cbranch_execz .LBB163_98
; %bb.97:
	v_mov_b32_e32 v15, 0
	v_lshl_add_u64 v[6:7], v[6:7], 0, v[14:15]
	global_load_ushort v0, v[6:7], off offset:96
	v_lshl_add_u64 v[4:5], v[4:5], 0, v[14:15]
	s_waitcnt vmcnt(0)
	v_lshlrev_b32_e32 v0, 16, v0
	v_sub_f32_e32 v0, v0, v3
	global_store_short_d16_hi v[4:5], v0, off offset:96
	v_mul_f32_e32 v0, v17, v0
	v_lshrrev_b32_e32 v0, 16, v0
.LBB163_98:
	s_or_b64 exec, exec, s[0:1]
	s_mov_b32 s0, 0x5040100
	v_or_b32_e32 v2, v21, v19
	v_perm_b32 v1, v0, v1, s0
	v_perm_b32 v0, v11, v9, s0
	v_lshlrev_b32_e32 v2, 1, v2
	ds_write_b64 v2, v[0:1] offset:24576
	s_waitcnt lgkmcnt(0)
	s_barrier
.LBB163_99:
	s_endpgm
	.section	.rodata,"a",@progbits
	.p2align	6, 0x0
	.amdhsa_kernel _ZN12_GLOBAL__N_139chunk_gated_delta_rule_fwd_h_hip_kernelILi64ELb1ELb0ELb1ELb1ELb1ELb0ELb1ELb0EEEvPK12hip_bfloat16S3_S3_PKfS5_PKvPS1_S8_PvPKiSB_iiiiilll
		.amdhsa_group_segment_fixed_size 65536
		.amdhsa_private_segment_fixed_size 0
		.amdhsa_kernarg_size 136
		.amdhsa_user_sgpr_count 2
		.amdhsa_user_sgpr_dispatch_ptr 0
		.amdhsa_user_sgpr_queue_ptr 0
		.amdhsa_user_sgpr_kernarg_segment_ptr 1
		.amdhsa_user_sgpr_dispatch_id 0
		.amdhsa_user_sgpr_kernarg_preload_length 0
		.amdhsa_user_sgpr_kernarg_preload_offset 0
		.amdhsa_user_sgpr_private_segment_size 0
		.amdhsa_uses_dynamic_stack 0
		.amdhsa_enable_private_segment 0
		.amdhsa_system_sgpr_workgroup_id_x 1
		.amdhsa_system_sgpr_workgroup_id_y 1
		.amdhsa_system_sgpr_workgroup_id_z 0
		.amdhsa_system_sgpr_workgroup_info 0
		.amdhsa_system_vgpr_workitem_id 0
		.amdhsa_next_free_vgpr 216
		.amdhsa_next_free_sgpr 63
		.amdhsa_accum_offset 180
		.amdhsa_reserve_vcc 1
		.amdhsa_float_round_mode_32 0
		.amdhsa_float_round_mode_16_64 0
		.amdhsa_float_denorm_mode_32 3
		.amdhsa_float_denorm_mode_16_64 3
		.amdhsa_dx10_clamp 1
		.amdhsa_ieee_mode 1
		.amdhsa_fp16_overflow 0
		.amdhsa_tg_split 0
		.amdhsa_exception_fp_ieee_invalid_op 0
		.amdhsa_exception_fp_denorm_src 0
		.amdhsa_exception_fp_ieee_div_zero 0
		.amdhsa_exception_fp_ieee_overflow 0
		.amdhsa_exception_fp_ieee_underflow 0
		.amdhsa_exception_fp_ieee_inexact 0
		.amdhsa_exception_int_div_zero 0
	.end_amdhsa_kernel
	.section	.text._ZN12_GLOBAL__N_139chunk_gated_delta_rule_fwd_h_hip_kernelILi64ELb1ELb0ELb1ELb1ELb1ELb0ELb1ELb0EEEvPK12hip_bfloat16S3_S3_PKfS5_PKvPS1_S8_PvPKiSB_iiiiilll,"axG",@progbits,_ZN12_GLOBAL__N_139chunk_gated_delta_rule_fwd_h_hip_kernelILi64ELb1ELb0ELb1ELb1ELb1ELb0ELb1ELb0EEEvPK12hip_bfloat16S3_S3_PKfS5_PKvPS1_S8_PvPKiSB_iiiiilll,comdat
.Lfunc_end163:
	.size	_ZN12_GLOBAL__N_139chunk_gated_delta_rule_fwd_h_hip_kernelILi64ELb1ELb0ELb1ELb1ELb1ELb0ELb1ELb0EEEvPK12hip_bfloat16S3_S3_PKfS5_PKvPS1_S8_PvPKiSB_iiiiilll, .Lfunc_end163-_ZN12_GLOBAL__N_139chunk_gated_delta_rule_fwd_h_hip_kernelILi64ELb1ELb0ELb1ELb1ELb1ELb0ELb1ELb0EEEvPK12hip_bfloat16S3_S3_PKfS5_PKvPS1_S8_PvPKiSB_iiiiilll
                                        ; -- End function
	.section	.AMDGPU.csdata,"",@progbits
; Kernel info:
; codeLenInByte = 11068
; NumSgprs: 69
; NumVgprs: 180
; NumAgprs: 36
; TotalNumVgprs: 216
; ScratchSize: 0
; MemoryBound: 0
; FloatMode: 240
; IeeeMode: 1
; LDSByteSize: 65536 bytes/workgroup (compile time only)
; SGPRBlocks: 8
; VGPRBlocks: 26
; NumSGPRsForWavesPerEU: 69
; NumVGPRsForWavesPerEU: 216
; AccumOffset: 180
; Occupancy: 1
; WaveLimiterHint : 1
; COMPUTE_PGM_RSRC2:SCRATCH_EN: 0
; COMPUTE_PGM_RSRC2:USER_SGPR: 2
; COMPUTE_PGM_RSRC2:TRAP_HANDLER: 0
; COMPUTE_PGM_RSRC2:TGID_X_EN: 1
; COMPUTE_PGM_RSRC2:TGID_Y_EN: 1
; COMPUTE_PGM_RSRC2:TGID_Z_EN: 0
; COMPUTE_PGM_RSRC2:TIDIG_COMP_CNT: 0
; COMPUTE_PGM_RSRC3_GFX90A:ACCUM_OFFSET: 44
; COMPUTE_PGM_RSRC3_GFX90A:TG_SPLIT: 0
	.section	.text._ZN12_GLOBAL__N_139chunk_gated_delta_rule_fwd_h_hip_kernelILi64ELb1ELb0ELb0ELb1ELb1ELb0ELb1ELb0EEEvPK12hip_bfloat16S3_S3_PKfS5_PKvPS1_S8_PvPKiSB_iiiiilll,"axG",@progbits,_ZN12_GLOBAL__N_139chunk_gated_delta_rule_fwd_h_hip_kernelILi64ELb1ELb0ELb0ELb1ELb1ELb0ELb1ELb0EEEvPK12hip_bfloat16S3_S3_PKfS5_PKvPS1_S8_PvPKiSB_iiiiilll,comdat
	.globl	_ZN12_GLOBAL__N_139chunk_gated_delta_rule_fwd_h_hip_kernelILi64ELb1ELb0ELb0ELb1ELb1ELb0ELb1ELb0EEEvPK12hip_bfloat16S3_S3_PKfS5_PKvPS1_S8_PvPKiSB_iiiiilll ; -- Begin function _ZN12_GLOBAL__N_139chunk_gated_delta_rule_fwd_h_hip_kernelILi64ELb1ELb0ELb0ELb1ELb1ELb0ELb1ELb0EEEvPK12hip_bfloat16S3_S3_PKfS5_PKvPS1_S8_PvPKiSB_iiiiilll
	.p2align	8
	.type	_ZN12_GLOBAL__N_139chunk_gated_delta_rule_fwd_h_hip_kernelILi64ELb1ELb0ELb0ELb1ELb1ELb0ELb1ELb0EEEvPK12hip_bfloat16S3_S3_PKfS5_PKvPS1_S8_PvPKiSB_iiiiilll,@function
_ZN12_GLOBAL__N_139chunk_gated_delta_rule_fwd_h_hip_kernelILi64ELb1ELb0ELb0ELb1ELb1ELb0ELb1ELb0EEEvPK12hip_bfloat16S3_S3_PKfS5_PKvPS1_S8_PvPKiSB_iiiiilll: ; @_ZN12_GLOBAL__N_139chunk_gated_delta_rule_fwd_h_hip_kernelILi64ELb1ELb0ELb0ELb1ELb1ELb0ELb1ELb0EEEvPK12hip_bfloat16S3_S3_PKfS5_PKvPS1_S8_PvPKiSB_iiiiilll
; %bb.0:
	s_load_dwordx4 s[12:15], s[0:1], 0x5c
	s_load_dwordx4 s[20:23], s[0:1], 0x70
	s_abs_i32 s9, s3
	s_ashr_i32 s8, s3, 31
	s_load_dwordx4 s[4:7], s[0:1], 0x48
	s_waitcnt lgkmcnt(0)
	s_abs_i32 s10, s13
	v_cvt_f32_u32_e32 v1, s10
	s_sub_i32 s16, 0, s10
	s_ashr_i32 s11, s13, 31
	s_xor_b32 s8, s8, s11
	v_rcp_iflag_f32_e32 v1, v1
	v_and_b32_e32 v77, 15, v0
	v_lshrrev_b32_e32 v75, 6, v0
	v_bfe_u32 v76, v0, 4, 2
	v_mul_f32_e32 v1, 0x4f7ffffe, v1
	v_cvt_u32_f32_e32 v1, v1
	v_mov_b32_e32 v11, 0
	v_and_b32_e32 v74, 63, v0
	v_lshrrev_b32_e32 v79, 3, v74
	v_readfirstlane_b32 s17, v1
	s_mul_i32 s16, s16, s17
	s_mul_hi_u32 s16, s17, s16
	s_add_i32 s17, s17, s16
	s_mul_hi_u32 s16, s9, s17
	s_mul_i32 s17, s16, s10
	s_sub_i32 s9, s9, s17
	s_add_i32 s18, s16, 1
	s_sub_i32 s17, s9, s10
	s_cmp_ge_u32 s9, s10
	s_cselect_b32 s16, s18, s16
	s_cselect_b32 s9, s17, s9
	s_add_i32 s17, s16, 1
	s_cmp_ge_u32 s9, s10
	s_cselect_b32 s9, s17, s16
	s_load_dwordx4 s[16:19], s[0:1], 0x28
	s_xor_b32 s9, s9, s8
	s_sub_i32 s24, s9, s8
	s_mul_i32 s28, s24, s13
	s_ashr_i32 s25, s24, 31
	s_sub_i32 s45, s3, s28
	s_lshl_b64 s[8:9], s[24:25], 2
	s_add_u32 s4, s4, s8
	s_addc_u32 s5, s5, s9
	s_add_u32 s26, s6, s8
	s_addc_u32 s27, s7, s9
	s_abs_i32 s3, s14
	v_cvt_f32_u32_e32 v1, s3
	s_load_dwordx2 s[30:31], s[4:5], 0x0
	s_sub_i32 s5, 0, s3
	s_lshl_b32 s2, s2, 6
	v_rcp_iflag_f32_e32 v1, v1
	v_or_b32_e32 v66, s2, v77
	s_waitcnt lgkmcnt(0)
	s_sub_i32 s48, s31, s30
	s_ashr_i32 s4, s48, 31
	v_mul_f32_e32 v1, 0x4f7ffffe, v1
	v_cvt_u32_f32_e32 v1, v1
	s_lshr_b32 s4, s4, 26
	s_add_i32 s4, s48, s4
	s_ashr_i32 s47, s4, 6
	v_readfirstlane_b32 s6, v1
	s_mul_i32 s5, s5, s6
	s_mul_hi_u32 s5, s6, s5
	s_add_i32 s6, s6, s5
	s_mul_hi_u32 s5, s10, s6
	s_mul_i32 s6, s5, s3
	s_ashr_i32 s4, s14, 31
	s_sub_i32 s6, s10, s6
	s_xor_b32 s4, s11, s4
	s_add_i32 s7, s5, 1
	s_sub_i32 s8, s6, s3
	s_cmp_ge_u32 s6, s3
	s_cselect_b32 s5, s7, s5
	s_cselect_b32 s6, s8, s6
	s_add_i32 s7, s5, 1
	s_cmp_ge_u32 s6, s3
	s_cselect_b32 s3, s7, s5
	s_xor_b32 s3, s3, s4
	s_sub_i32 s3, s3, s4
	s_abs_i32 s4, s3
	v_cvt_f32_u32_e32 v1, s4
	s_sub_i32 s6, 0, s4
	s_abs_i32 s5, s45
	s_xor_b32 s3, s45, s3
	v_rcp_iflag_f32_e32 v1, v1
	s_ashr_i32 s3, s3, 31
	v_lshlrev_b32_e32 v2, 7, v66
	v_ashrrev_i32_e32 v3, 31, v2
	v_mul_f32_e32 v1, 0x4f7ffffe, v1
	v_cvt_u32_f32_e32 v1, v1
	s_mul_hi_i32 s51, s45, s12
	s_mul_i32 s52, s45, s12
	v_lshlrev_b32_e32 v78, 3, v0
	v_readfirstlane_b32 s7, v1
	s_mul_i32 s6, s6, s7
	s_mul_hi_u32 s6, s7, s6
	s_add_i32 s7, s7, s6
	s_mul_hi_u32 s6, s5, s7
	s_mul_i32 s7, s6, s4
	s_sub_i32 s5, s5, s7
	s_add_i32 s7, s6, 1
	s_sub_i32 s8, s5, s4
	s_cmp_ge_u32 s5, s4
	s_cselect_b32 s6, s7, s6
	s_cselect_b32 s5, s8, s5
	s_add_i32 s7, s6, 1
	s_cmp_ge_u32 s5, s4
	s_cselect_b32 s4, s7, s6
	s_xor_b32 s4, s4, s3
	s_sub_i32 s49, s4, s3
	s_ashr_i32 s46, s45, 31
	s_mul_hi_i32 s3, s24, s13
	s_add_u32 s4, s28, s45
	s_addc_u32 s5, s3, s46
	s_lshl_b64 s[4:5], s[4:5], 16
	v_lshlrev_b32_e32 v1, 4, v75
	s_add_u32 s4, s16, s4
	v_lshl_or_b32 v80, v76, 2, v1
	s_addc_u32 s5, s17, s5
	v_lshl_add_u64 v[4:5], v[2:3], 2, s[4:5]
	v_lshlrev_b32_e32 v10, 2, v80
	v_lshl_add_u64 v[4:5], v[4:5], 0, v[10:11]
	global_load_dwordx4 v[22:25], v[4:5], off
	global_load_dwordx4 v[30:33], v[4:5], off offset:256
	v_or_b32_e32 v4, 0x800, v2
	v_ashrrev_i32_e32 v5, 31, v4
	v_lshl_add_u64 v[4:5], v[4:5], 2, s[4:5]
	v_lshl_add_u64 v[4:5], v[4:5], 0, v[10:11]
	global_load_dwordx4 v[14:17], v[4:5], off
	global_load_dwordx4 v[26:29], v[4:5], off offset:256
	v_or_b32_e32 v4, 0x1000, v2
	v_or_b32_e32 v2, 0x1800, v2
	v_ashrrev_i32_e32 v5, 31, v4
	v_ashrrev_i32_e32 v3, 31, v2
	v_lshl_add_u64 v[4:5], v[4:5], 2, s[4:5]
	v_lshl_add_u64 v[2:3], v[2:3], 2, s[4:5]
	;; [unrolled: 1-line block ×4, first 2 shown]
	global_load_dwordx4 v[6:9], v[4:5], off
	global_load_dwordx4 v[18:21], v[4:5], off offset:256
	s_nop 0
	global_load_dwordx4 v[2:5], v[34:35], off
	global_load_dwordx4 v[10:13], v[34:35], off offset:256
	s_load_dwordx8 s[4:11], s[0:1], 0x0
	s_load_dwordx2 s[28:29], s[0:1], 0x80
	s_load_dword s50, s[26:27], 0x0
	v_or_b32_e32 v81, 64, v80
	s_cmp_lt_i32 s48, 64
	s_mul_i32 s33, s24, s21
	s_mul_hi_u32 s41, s24, s20
	s_mul_i32 s40, s25, s20
	s_mul_i32 s36, s24, s20
	;; [unrolled: 1-line block ×3, first 2 shown]
	s_mul_hi_u32 s43, s45, s22
	s_mul_i32 s44, s46, s22
	s_mul_i32 s34, s45, s22
	s_cbranch_scc1 .LBB164_18
; %bb.1:
	s_ashr_i32 s1, s30, 31
	s_add_u32 s0, s52, s30
	s_addc_u32 s1, s51, s1
	s_lshl_b64 s[0:1], s[0:1], 8
	v_and_b32_e32 v83, 56, v78
	s_waitcnt lgkmcnt(0)
	s_add_u32 s20, s6, s0
	v_lshl_or_b32 v82, v75, 3, v79
	v_lshlrev_b32_e32 v34, 1, v83
	s_addc_u32 s0, s7, s1
	v_lshl_or_b32 v84, v82, 8, v34
	s_and_b32 s21, s0, 0xffff
	s_mov_b32 s23, 0x20000
	s_movk_i32 s22, 0x4000
	s_movk_i32 s0, 0x80
	v_or_b32_e32 v85, 0x2000, v84
	buffer_load_dwordx4 v[36:39], v84, s[20:23], 0 offen
	buffer_load_dwordx4 v[40:43], v84, s[20:23], s0 offen
	;; [unrolled: 1-line block ×4, first 2 shown]
	v_lshlrev_b32_e32 v35, 3, v82
	v_and_or_b32 v53, v0, 7, v35
	v_and_b32_e32 v35, 0x78, v35
	v_lshlrev_b32_e32 v53, 4, v53
	v_xor_b32_e32 v86, v53, v35
	v_mul_lo_u32 v52, v82, s15
	v_or_b32_e32 v87, 0x1000, v86
	v_xor_b32_e32 v35, 8, v86
	s_cmpk_eq_i32 s15, 0x80
	s_mov_b32 s53, s30
	v_xor_b32_e32 v53, 8, v87
	s_cselect_b64 s[0:1], -1, 0
	s_cmpk_lg_i32 s15, 0x80
	s_waitcnt vmcnt(3)
	ds_write_b64 v86, v[36:37] offset:49152
	ds_write_b64 v35, v[38:39] offset:49152
	s_waitcnt vmcnt(2)
	ds_write_b64 v86, v[40:41] offset:57344
	ds_write_b64 v35, v[42:43] offset:57344
	;; [unrolled: 3-line block ×4, first 2 shown]
	v_lshl_add_u32 v35, v52, 1, v83
	s_cbranch_scc0 .LBB164_3
; %bb.2:
	v_lshlrev_b32_e32 v37, 1, v35
	v_add_lshl_u32 v36, v35, s15, 1
	s_lshl_b32 s22, s15, 7
	v_lshl_or_b32 v34, v82, 9, v34
	s_cbranch_execz .LBB164_4
	s_branch .LBB164_5
.LBB164_3:
                                        ; implicit-def: $vgpr36
                                        ; implicit-def: $vgpr37
                                        ; implicit-def: $sgpr22
	v_lshl_or_b32 v34, v82, 9, v34
.LBB164_4:
	v_or_b32_e32 v36, 0x100, v34
	s_movk_i32 s22, 0x4000
	v_mov_b32_e32 v37, v34
.LBB164_5:
	s_mul_i32 s16, s30, s14
	s_ashr_i32 s54, s49, 31
	s_mul_hi_i32 s3, s30, s14
	s_add_u32 s16, s16, s49
	s_addc_u32 s17, s3, s54
	s_lshl_b64 s[16:17], s[16:17], 8
	s_add_u32 s20, s4, s16
	s_addc_u32 s3, s5, s17
	s_and_b32 s21, s3, 0xffff
	s_movk_i32 s55, 0x80
	buffer_load_dwordx4 v[38:41], v37, s[20:23], 0 offen
	buffer_load_dwordx4 v[42:45], v37, s[20:23], s55 offen
	;; [unrolled: 1-line block ×4, first 2 shown]
	v_and_b32_e32 v37, 6, v0
	v_lshlrev_b32_e32 v36, 7, v80
	v_xor_b32_e32 v59, v82, v37
	v_and_b32_e32 v54, 1, v0
	v_lshl_or_b32 v62, v77, 3, v36
	v_lshlrev_b32_e32 v59, 2, v59
	v_lshlrev_b32_e32 v55, 2, v77
	v_or_b32_e32 v88, 0x4000, v62
	v_or_b32_e32 v89, 0x6000, v62
	v_xor_b32_e32 v62, 0x440, v59
	v_cmp_eq_u32_e32 vcc, 0, v54
	v_or_b32_e32 v57, 16, v77
	v_or_b32_e32 v58, 32, v77
	v_xor_b32_e32 v60, v80, v55
	v_xor_b32_e32 v61, v81, v55
	v_cndmask_b32_e32 v54, v62, v59, vcc
	s_mov_b32 s56, 0x1000504
	v_lshl_or_b32 v63, v57, 3, v36
	v_lshlrev_b32_e32 v57, 8, v57
	v_lshl_or_b32 v64, v58, 3, v36
	v_lshlrev_b32_e32 v60, 1, v60
	v_lshlrev_b32_e32 v61, 1, v61
	v_lshl_or_b32 v37, v37, 10, v54
	s_add_i32 s3, s41, s33
	s_mov_b32 s57, 0x3020706
	v_lshlrev_b32_e32 v56, 8, v77
	v_or_b32_e32 v92, 0x4000, v64
	v_or_b32_e32 v93, 0x6000, v64
	;; [unrolled: 1-line block ×4, first 2 shown]
	v_xor_b32_e32 v54, 8, v37
	v_xor_b32_e32 v57, 24, v37
	;; [unrolled: 1-line block ×4, first 2 shown]
	s_add_i32 s37, s3, s40
	s_add_i32 s3, s43, s42
	v_or_b32_e32 v90, 0x4000, v63
	v_or_b32_e32 v91, 0x6000, v63
	;; [unrolled: 1-line block ×4, first 2 shown]
	v_xor_b32_e32 v56, 16, v37
	v_xor_b32_e32 v59, 32, v37
	;; [unrolled: 1-line block ×3, first 2 shown]
	v_add_u32_e32 v54, 0x80, v54
	v_add_u32_e32 v57, 0x80, v57
	;; [unrolled: 1-line block ×4, first 2 shown]
	s_add_i32 s35, s3, s44
	s_lshl_b64 s[16:17], s[36:37], 2
	s_add_u32 s3, s10, s16
	s_addc_u32 s20, s11, s17
	s_lshl_b64 s[16:17], s[34:35], 2
	s_add_u32 s16, s3, s16
	s_movk_i32 s3, 0xf8
	s_addc_u32 s17, s20, s17
	s_lshl_b32 s26, s15, 7
	s_movk_i32 s24, 0x100
	v_mov_b32_e32 v69, 0
	v_lshlrev_b32_e32 v68, 4, v77
	v_cmp_gt_u32_e32 vcc, s24, v0
	v_lshlrev_b32_e32 v58, 8, v58
	s_mov_b32 s58, 0
	s_movk_i32 s22, 0x4000
	v_or_b32_e32 v98, v58, v60
	v_or_b32_e32 v99, v58, v61
	s_movk_i32 s35, 0x2000
	s_movk_i32 s37, 0x3000
	s_waitcnt vmcnt(1)
	v_perm_b32 v65, v38, v46, s56
	s_waitcnt vmcnt(0)
	v_perm_b32 v67, v42, v50, s56
	v_perm_b32 v38, v38, v46, s57
	;; [unrolled: 1-line block ×15, first 2 shown]
	ds_write2st64_b32 v37, v65, v67 offset0:128 offset1:160
	ds_write2st64_b32 v54, v38, v42 offset0:128 offset1:160
	ds_write2st64_b32 v56, v46, v50 offset0:129 offset1:161
	ds_write2st64_b32 v57, v39, v43 offset0:129 offset1:161
	ds_write2st64_b32 v59, v47, v51 offset0:130 offset1:162
	ds_write2st64_b32 v62, v40, v44 offset0:130 offset1:162
	ds_write2st64_b32 v63, v48, v52 offset0:131 offset1:163
	ds_write2st64_b32 v64, v41, v45 offset0:131 offset1:163
	v_or_b32_e32 v37, 48, v77
	v_lshl_or_b32 v38, v37, 3, v36
	v_lshlrev_b32_e32 v37, 8, v37
	v_or_b32_e32 v102, v37, v60
	v_or_b32_e32 v103, v37, v61
	v_or_b32_e32 v37, v1, v77
	v_lshlrev_b32_e32 v37, 3, v37
	v_lshrrev_b32_e32 v39, 5, v74
	v_and_or_b32 v39, v37, s3, v39
	v_lshlrev_b32_e32 v39, 4, v39
	v_lshlrev_b32_e32 v40, 11, v75
	v_and_b32_e32 v37, 0x78, v37
	v_or_b32_e32 v45, 32, v39
	v_or_b32_e32 v100, 0x4000, v38
	;; [unrolled: 1-line block ×3, first 2 shown]
	v_and_b32_e32 v38, 0x1000, v40
	v_xor_b32_e32 v41, v39, v37
	v_lshrrev_b32_e32 v42, 1, v0
	v_xor_b32_e32 v45, v45, v37
	v_or_b32_e32 v41, v41, v38
	v_and_b32_e32 v43, 8, v42
	v_or_b32_e32 v45, v45, v38
	v_xor_b32_e32 v104, v41, v43
	v_lshlrev_b32_e32 v41, 8, v76
	v_xor_b32_e32 v106, v45, v43
	v_or_b32_e32 v45, 64, v39
	v_or_b32_e32 v39, 0x60, v39
	s_ashr_i32 s3, s2, 31
	v_or_b32_e32 v44, v41, v55
	v_xor_b32_e32 v45, v45, v37
	v_xor_b32_e32 v37, v39, v37
	s_lshl_b64 s[20:21], s[2:3], 8
	v_lshlrev_b32_e32 v44, 1, v44
	v_or_b32_e32 v45, v45, v38
	v_or_b32_e32 v37, v37, v38
	s_add_u32 s20, s18, s20
	v_lshlrev_b32_e32 v38, 1, v77
	v_or_b32_e32 v105, 0x4000, v44
	v_or_b32_e32 v107, 0x4080, v44
	;; [unrolled: 1-line block ×8, first 2 shown]
	v_lshrrev_b32_e32 v44, 4, v0
	s_addc_u32 s21, s19, s21
	v_or_b32_e32 v39, 1, v38
	v_mov_b32_e32 v48, 0xa000
	v_mov_b32_e32 v49, 0x8000
	v_xor_b32_e32 v110, v45, v43
	v_xor_b32_e32 v45, v44, v38
	;; [unrolled: 1-line block ×3, first 2 shown]
	v_lshl_add_u64 v[38:39], s[20:21], 0, v[68:69]
	v_lshlrev_b32_e32 v68, 8, v44
	v_cndmask_b32_e32 v48, v48, v49, vcc
	v_lshlrev_b32_e32 v49, 3, v75
	v_and_b32_e32 v42, 24, v42
	v_lshl_or_b32 v116, v45, 3, v68
	v_and_b32_e32 v45, 8, v0
	v_xor_b32_e32 v50, v49, v42
	v_or_b32_e32 v51, 0x440, v50
	v_cmp_eq_u32_e32 vcc, 0, v45
	v_and_b32_e32 v44, 7, v0
	v_lshl_or_b32 v117, v46, 3, v68
	v_cndmask_b32_e32 v45, v51, v50, vcc
	v_lshlrev_b32_e32 v46, 3, v44
	v_lshlrev_b32_e32 v44, 7, v44
	v_or_b32_e32 v45, v45, v40
	v_lshlrev_b32_e32 v47, 2, v0
	v_xad_u32 v118, v45, v46, v44
	v_or_b32_e32 v45, 32, v42
	v_and_or_b32 v41, v47, 60, v41
	v_xor_b32_e32 v45, v49, v45
	v_lshlrev_b32_e32 v41, 1, v41
	v_or_b32_e32 v47, 0x440, v45
	v_or_b32_e32 v119, 0x6000, v41
	v_cndmask_b32_e32 v45, v47, v45, vcc
	v_or_b32_e32 v121, 0x6080, v41
	v_or_b32_e32 v122, 0x6100, v41
	;; [unrolled: 1-line block ×5, first 2 shown]
	v_xor_b32_e32 v41, v49, v41
	v_xad_u32 v120, v45, v46, v44
	v_xor_b32_e32 v45, 0x440, v41
	v_cndmask_b32_e32 v41, v45, v41, vcc
	v_or_b32_e32 v41, v41, v40
	v_xad_u32 v124, v41, v46, v44
	v_or_b32_e32 v41, 0x60, v42
	v_xor_b32_e32 v41, v49, v41
	v_xor_b32_e32 v42, 0x440, v41
	v_cndmask_b32_e32 v41, v42, v41, vcc
	v_or_b32_e32 v40, v41, v40
	v_xor_b32_e32 v111, v37, v43
	v_ashrrev_i32_e32 v67, 31, v66
	v_lshlrev_b32_e32 v37, 1, v35
	v_add_lshl_u32 v35, v35, s15, 1
	v_or_b32_e32 v43, 0x100, v34
	v_xad_u32 v125, v40, v46, v44
	v_cndmask_b32_e64 v126, v37, v34, s[0:1]
	v_cndmask_b32_e64 v127, v35, v43, s[0:1]
	v_lshl_add_u64 v[70:71], v[66:67], 1, s[8:9]
	v_lshl_add_u64 v[72:73], v[38:39], 0, v[68:69]
	s_mov_b32 s3, 0x7060302
	v_lshlrev_b32_e32 v68, 1, v36
	v_add_u32_e32 v67, v48, v118
	v_add_u32_e32 v128, v48, v120
	;; [unrolled: 1-line block ×4, first 2 shown]
	s_waitcnt lgkmcnt(0)
	s_barrier
.LBB164_6:                              ; =>This Inner Loop Header: Depth=1
	s_add_i32 s59, s58, 1
	s_cmp_lt_i32 s59, s47
	s_mov_b64 s[24:25], 0
	s_cselect_b64 s[38:39], -1, 0
	s_cmp_ge_i32 s59, s47
	s_mov_b64 s[20:21], 0
	s_cbranch_scc1 .LBB164_8
; %bb.7:                                ;   in Loop: Header=BB164_6 Depth=1
	s_add_i32 s0, s53, 64
	s_ashr_i32 s1, s0, 31
	s_add_u32 s0, s52, s0
	s_addc_u32 s1, s51, s1
	s_lshl_b64 s[0:1], s[0:1], 8
	s_add_u32 s20, s6, s0
	s_addc_u32 s21, s7, s1
.LBB164_8:                              ;   in Loop: Header=BB164_6 Depth=1
	v_cndmask_b32_e64 v34, 0, 1, s[38:39]
	v_cmp_ne_u32_e64 s[0:1], 1, v34
	s_andn2_b64 vcc, exec, s[38:39]
	s_cbranch_vccnz .LBB164_10
; %bb.9:                                ;   in Loop: Header=BB164_6 Depth=1
	s_add_i32 s24, s53, 64
	s_mul_hi_i32 s25, s24, s14
	s_mul_i32 s24, s24, s14
	s_add_u32 s24, s24, s49
	s_addc_u32 s25, s25, s54
	s_lshl_b64 s[24:25], s[24:25], 8
	s_add_u32 s24, s4, s24
	s_addc_u32 s25, s5, s25
.LBB164_10:                             ;   in Loop: Header=BB164_6 Depth=1
	v_perm_b32 v35, v25, v24, s3
	v_perm_b32 v34, v23, v22, s3
	v_perm_b32 v37, v33, v32, s3
	v_perm_b32 v36, v31, v30, s3
	ds_write_b64 v88, v[34:35]
	ds_write_b64 v89, v[36:37]
	ds_write_b64 v94, v[34:35]
	ds_write_b64 v95, v[36:37]
	v_perm_b32 v35, v17, v16, s3
	v_perm_b32 v34, v15, v14, s3
	v_perm_b32 v37, v29, v28, s3
	v_perm_b32 v36, v27, v26, s3
	ds_write_b64 v90, v[34:35]
	ds_write_b64 v91, v[36:37]
	ds_write_b64 v96, v[34:35]
	ds_write_b64 v97, v[36:37]
	;; [unrolled: 8-line block ×4, first 2 shown]
	s_waitcnt lgkmcnt(0)
	s_barrier
	ds_read_b64 v[38:39], v104 offset:49152
	ds_read2_b64 v[34:37], v105 offset1:16
	ds_read_b64 v[50:51], v107 offset:6144
	ds_read_b64 v[52:53], v105 offset:6144
	s_waitcnt lgkmcnt(2)
	v_mfma_f32_16x16x16_bf16 a[0:3], v[38:39], v[34:35], 0
	ds_read_b64 v[54:55], v106 offset:49152
	ds_read2st64_b64 v[42:45], v108 offset0:4 offset1:8
	ds_read2st64_b64 v[46:49], v109 offset0:4 offset1:8
	v_mfma_f32_16x16x16_bf16 a[4:7], v[38:39], v[36:37], 0
	ds_read2_b64 v[34:37], v105 offset0:32 offset1:48
	s_add_i32 s27, s53, 63
	s_ashr_i32 s38, s27, 31
	s_waitcnt lgkmcnt(0)
	v_mfma_f32_16x16x16_bf16 a[8:11], v[38:39], v[34:35], 0
	s_mul_i32 s39, s27, s29
	s_mul_hi_u32 s60, s27, s28
	s_add_i32 s39, s60, s39
	v_mfma_f32_16x16x16_bf16 a[12:15], v[38:39], v[36:37], 0
	ds_read2st64_b64 v[34:37], v105 offset0:4 offset1:8
	ds_read2st64_b64 v[38:41], v107 offset0:4 offset1:8
	s_mul_i32 s38, s38, s28
	s_waitcnt lgkmcnt(1)
	v_mfma_f32_16x16x16_bf16 a[0:3], v[54:55], v[34:35], a[0:3]
	s_add_i32 s39, s39, s38
	s_mul_i32 s38, s27, s28
	s_lshl_b64 s[38:39], s[38:39], 2
	s_waitcnt lgkmcnt(0)
	v_mfma_f32_16x16x16_bf16 a[4:7], v[54:55], v[38:39], a[4:7]
	s_add_u32 s38, s16, s38
	s_addc_u32 s39, s17, s39
	s_and_b64 vcc, exec, s[0:1]
	v_mfma_f32_16x16x16_bf16 a[8:11], v[54:55], v[42:43], a[8:11]
	ds_read_b64 v[34:35], v110 offset:49152
	ds_read_b64 v[38:39], v111 offset:49152
	;; [unrolled: 1-line block ×3, first 2 shown]
	v_mov_b32_e32 v133, 0
	v_mov_b32_e32 v132, 0
	v_mfma_f32_16x16x16_bf16 a[12:15], v[54:55], v[46:47], a[12:15]
	v_mov_b32_e32 v131, 0
	v_mov_b32_e32 v46, 0
	;; [unrolled: 1-line block ×3, first 2 shown]
	s_waitcnt lgkmcnt(2)
	v_mfma_f32_16x16x16_bf16 a[0:3], v[34:35], v[36:37], a[0:3]
	v_mov_b32_e32 v36, 0
	v_mov_b32_e32 v37, 0
	v_mfma_f32_16x16x16_bf16 a[16:19], v[34:35], v[40:41], a[4:7]
	v_mov_b32_e32 v40, 0
	v_mov_b32_e32 v41, 0
	;; [unrolled: 3-line block ×3, first 2 shown]
	v_mfma_f32_16x16x16_bf16 a[24:27], v[34:35], v[48:49], a[12:15]
	ds_read_b64 v[34:35], v108 offset:6144
	v_mov_b32_e32 v48, 0
	v_mov_b32_e32 v49, 0
	s_waitcnt lgkmcnt(2)
	v_mfma_f32_16x16x16_bf16 a[4:7], v[38:39], v[52:53], a[0:3]
	v_mfma_f32_16x16x16_bf16 a[8:11], v[38:39], v[50:51], a[16:19]
	s_waitcnt lgkmcnt(0)
	v_mfma_f32_16x16x16_bf16 a[12:15], v[38:39], v[34:35], a[20:23]
	v_mov_b32_e32 v34, 0
	v_mov_b32_e32 v35, 0
	v_mfma_f32_16x16x16_bf16 a[0:3], v[38:39], v[42:43], a[24:27]
	v_mov_b32_e32 v38, 0
	v_mov_b32_e32 v39, 0
	;; [unrolled: 1-line block ×4, first 2 shown]
	s_cbranch_vccnz .LBB164_12
; %bb.11:                               ;   in Loop: Header=BB164_6 Depth=1
	s_and_b32 s21, s21, 0xffff
	buffer_load_dwordx4 v[46:49], v84, s[20:23], 0 offen
	buffer_load_dwordx4 v[42:45], v84, s[20:23], s55 offen
	;; [unrolled: 1-line block ×4, first 2 shown]
	v_mov_b32_e32 v132, v86
	v_mov_b32_e32 v131, v87
.LBB164_12:                             ;   in Loop: Header=BB164_6 Depth=1
	ds_read_b64 v[134:135], v104 offset:57344
	ds_read2_b64 v[50:53], v112 offset1:16
	ds_read_b64 v[136:137], v106 offset:57344
	ds_read_b64 v[138:139], v110 offset:57344
	;; [unrolled: 1-line block ×3, first 2 shown]
	v_add_u32_e32 v142, s53, v80
	s_waitcnt lgkmcnt(3)
	v_mfma_f32_16x16x16_bf16 a[4:7], v[134:135], v[50:51], a[4:7]
	v_mfma_f32_16x16x16_bf16 a[8:11], v[134:135], v[52:53], a[8:11]
	ds_read2_b64 v[50:53], v112 offset0:32 offset1:48
	ds_read2st64_b64 v[54:57], v112 offset0:4 offset1:8
	ds_read2st64_b64 v[58:61], v113 offset0:4 offset1:8
	;; [unrolled: 1-line block ×3, first 2 shown]
	s_waitcnt lgkmcnt(3)
	v_mfma_f32_16x16x16_bf16 a[12:15], v[134:135], v[50:51], a[12:15]
	v_ashrrev_i32_e32 v50, 31, v142
	v_mfma_f32_16x16x16_bf16 a[0:3], v[134:135], v[52:53], a[0:3]
	v_mul_lo_u32 v52, v50, s28
	v_mul_lo_u32 v53, v142, s29
	v_mad_u64_u32 v[50:51], s[20:21], v142, s28, 0
	v_add3_u32 v51, v51, v53, v52
	v_add_u32_e32 v52, 1, v142
	v_ashrrev_i32_e32 v53, 31, v52
	s_waitcnt lgkmcnt(2)
	v_mfma_f32_16x16x16_bf16 a[4:7], v[136:137], v[54:55], a[4:7]
	v_mul_lo_u32 v54, v53, s28
	v_mul_lo_u32 v55, v52, s29
	v_mad_u64_u32 v[52:53], s[20:21], v52, s28, 0
	v_add3_u32 v53, v53, v55, v54
	v_add_u32_e32 v54, 2, v142
	v_ashrrev_i32_e32 v55, 31, v54
	s_waitcnt lgkmcnt(1)
	v_mfma_f32_16x16x16_bf16 a[8:11], v[136:137], v[58:59], a[8:11]
	v_mul_lo_u32 v58, v55, s28
	v_mul_lo_u32 v59, v54, s29
	v_mad_u64_u32 v[54:55], s[20:21], v54, s28, 0
	v_add3_u32 v55, v55, v59, v58
	v_add_u32_e32 v58, 3, v142
	v_ashrrev_i32_e32 v59, 31, v58
	v_mul_lo_u32 v134, v59, s28
	v_mul_lo_u32 v135, v58, s29
	v_mad_u64_u32 v[58:59], s[20:21], v58, s28, 0
	s_ashr_i32 s21, s53, 31
	s_add_u32 s20, s52, s53
	s_addc_u32 s21, s51, s21
	v_lshl_add_u64 v[50:51], v[50:51], 2, s[16:17]
	v_add3_u32 v59, v59, v135, v134
	s_lshl_b64 s[20:21], s[20:21], 8
	v_lshl_add_u64 v[52:53], v[52:53], 2, s[16:17]
	v_lshl_add_u64 v[54:55], v[54:55], 2, s[16:17]
	;; [unrolled: 1-line block ×3, first 2 shown]
	global_load_dword v134, v[50:51], off
	global_load_dword v135, v[52:53], off
	;; [unrolled: 1-line block ×4, first 2 shown]
	v_lshl_add_u64 v[50:51], v[70:71], 0, s[20:21]
	v_lshl_add_u64 v[54:55], v[50:51], 0, v[68:69]
	global_load_ushort v144, v[54:55], off offset:256
	global_load_ushort v145, v[54:55], off
	ds_read2st64_b64 v[50:53], v115 offset0:4 offset1:8
	global_load_ushort v146, v[54:55], off offset:768
	global_load_ushort v147, v[54:55], off offset:512
	s_waitcnt lgkmcnt(1)
	v_mfma_f32_16x16x16_bf16 a[12:15], v[136:137], v[62:63], a[12:15]
	s_and_b64 vcc, exec, s[0:1]
	s_waitcnt vmcnt(3)
	v_lshlrev_b32_e32 v63, 16, v144
	s_waitcnt lgkmcnt(0)
	v_mfma_f32_16x16x16_bf16 a[0:3], v[136:137], v[50:51], a[0:3]
	global_load_ushort v136, v[54:55], off offset:288
	global_load_ushort v137, v[54:55], off offset:32
	;; [unrolled: 1-line block ×8, first 2 shown]
	v_mfma_f32_16x16x16_bf16 a[4:7], v[138:139], v[56:57], a[4:7]
	ds_read_b64 v[50:51], v112 offset:6144
	s_waitcnt vmcnt(10)
	v_lshlrev_b32_e32 v62, 16, v145
	v_mfma_f32_16x16x16_bf16 a[8:11], v[138:139], v[60:61], a[8:11]
	v_mfma_f32_16x16x16_bf16 a[12:15], v[138:139], v[64:65], a[12:15]
	;; [unrolled: 1-line block ×3, first 2 shown]
	global_load_ushort v138, v[54:55], off offset:352
	global_load_ushort v139, v[54:55], off offset:96
	ds_read_b64 v[52:53], v113 offset:6144
	ds_read_b64 v[56:57], v114 offset:6144
	;; [unrolled: 1-line block ×3, first 2 shown]
	global_load_ushort v154, v[54:55], off offset:864
	global_load_ushort v155, v[54:55], off offset:608
	s_load_dword s20, s[38:39], 0x0
	s_waitcnt lgkmcnt(0)
	v_mfma_f32_16x16x16_bf16 a[4:7], v[140:141], v[50:51], a[4:7]
	v_sub_f32_e32 v60, s20, v142
	v_mfma_f32_16x16x16_bf16 a[0:3], v[140:141], v[58:59], a[0:3]
	v_sub_f32_e32 v58, s20, v134
	v_sub_f32_e32 v59, s20, v135
	;; [unrolled: 1-line block ×3, first 2 shown]
	v_mfma_f32_16x16x16_bf16 a[8:11], v[140:141], v[52:53], a[8:11]
	v_exp_f32_e32 v58, v58
	v_exp_f32_e32 v59, v59
	v_exp_f32_e32 v60, v60
	v_exp_f32_e32 v61, v61
	v_accvgpr_read_b32 v65, a5
	v_accvgpr_read_b32 v64, a4
	;; [unrolled: 1-line block ×4, first 2 shown]
	v_pk_add_f32 v[62:63], v[62:63], v[64:65] neg_lo:[0,1] neg_hi:[0,1]
	s_waitcnt vmcnt(13)
	v_lshlrev_b32_e32 v65, 16, v146
	s_waitcnt vmcnt(12)
	v_lshlrev_b32_e32 v64, 16, v147
	v_pk_add_f32 v[50:51], v[64:65], v[50:51] neg_lo:[0,1] neg_hi:[0,1]
	v_pk_mul_f32 v[62:63], v[58:59], v[62:63]
	v_pk_mul_f32 v[50:51], v[60:61], v[50:51]
	v_accvgpr_read_b32 v65, a9
	v_perm_b32 v51, v51, v50, s3
	v_perm_b32 v50, v63, v62, s3
	v_accvgpr_read_b32 v64, a8
	v_accvgpr_read_b32 v53, a11
	v_mfma_f32_16x16x16_bf16 a[12:15], v[140:141], v[56:57], a[12:15]
	v_accvgpr_read_b32 v52, a10
	v_accvgpr_read_b32 v57, a3
	;; [unrolled: 1-line block ×3, first 2 shown]
	v_mov_b32_e32 v134, 0
	s_waitcnt vmcnt(11)
	v_lshlrev_b32_e32 v63, 16, v136
	s_waitcnt vmcnt(10)
	v_lshlrev_b32_e32 v62, 16, v137
	v_pk_add_f32 v[62:63], v[62:63], v[64:65] neg_lo:[0,1] neg_hi:[0,1]
	s_waitcnt vmcnt(9)
	v_lshlrev_b32_e32 v65, 16, v148
	s_waitcnt vmcnt(8)
	v_lshlrev_b32_e32 v64, 16, v149
	v_pk_add_f32 v[52:53], v[64:65], v[52:53] neg_lo:[0,1] neg_hi:[0,1]
	v_pk_mul_f32 v[62:63], v[58:59], v[62:63]
	v_pk_mul_f32 v[52:53], v[60:61], v[52:53]
	v_accvgpr_read_b32 v55, a15
	v_perm_b32 v53, v53, v52, s3
	v_perm_b32 v52, v63, v62, s3
	ds_write2_b64 v89, v[50:51], v[52:53] offset1:16
	v_accvgpr_read_b32 v53, a13
	s_waitcnt vmcnt(7)
	v_lshlrev_b32_e32 v51, 16, v150
	s_waitcnt vmcnt(6)
	v_lshlrev_b32_e32 v50, 16, v151
	v_accvgpr_read_b32 v52, a12
	v_accvgpr_read_b32 v54, a14
	v_pk_add_f32 v[50:51], v[50:51], v[52:53] neg_lo:[0,1] neg_hi:[0,1]
	s_waitcnt vmcnt(5)
	v_lshlrev_b32_e32 v53, 16, v152
	s_waitcnt vmcnt(4)
	v_lshlrev_b32_e32 v52, 16, v153
	v_pk_add_f32 v[52:53], v[52:53], v[54:55] neg_lo:[0,1] neg_hi:[0,1]
	v_pk_mul_f32 v[50:51], v[58:59], v[50:51]
	v_pk_mul_f32 v[52:53], v[60:61], v[52:53]
	v_accvgpr_read_b32 v55, a1
	v_perm_b32 v53, v53, v52, s3
	v_perm_b32 v52, v51, v50, s3
	s_waitcnt vmcnt(3)
	v_lshlrev_b32_e32 v51, 16, v138
	s_waitcnt vmcnt(2)
	v_lshlrev_b32_e32 v50, 16, v139
	v_accvgpr_read_b32 v54, a0
	v_pk_add_f32 v[50:51], v[50:51], v[54:55] neg_lo:[0,1] neg_hi:[0,1]
	s_waitcnt vmcnt(1)
	v_lshlrev_b32_e32 v55, 16, v154
	s_waitcnt vmcnt(0)
	v_lshlrev_b32_e32 v54, 16, v155
	v_pk_add_f32 v[54:55], v[54:55], v[56:57] neg_lo:[0,1] neg_hi:[0,1]
	v_pk_mul_f32 v[50:51], v[58:59], v[50:51]
	v_pk_mul_f32 v[54:55], v[60:61], v[54:55]
	v_mov_b32_e32 v56, 0
	v_perm_b32 v55, v55, v54, s3
	v_perm_b32 v54, v51, v50, s3
	ds_write2_b64 v89, v[52:53], v[54:55] offset0:32 offset1:48
	v_mov_b32_e32 v50, 0
	v_mov_b32_e32 v51, 0
	;; [unrolled: 1-line block ×15, first 2 shown]
	s_cbranch_vccnz .LBB164_14
; %bb.13:                               ;   in Loop: Header=BB164_6 Depth=1
	s_and_b32 s25, s25, 0xffff
	s_mov_b32 s27, s23
	buffer_load_dwordx4 v[62:65], v126, s[24:27], 0 offen
	buffer_load_dwordx4 v[54:57], v126, s[24:27], s55 offen
	;; [unrolled: 1-line block ×4, first 2 shown]
	v_mov_b32_e32 v133, v83
	v_mov_b32_e32 v134, v82
.LBB164_14:                             ;   in Loop: Header=BB164_6 Depth=1
	s_waitcnt lgkmcnt(0)
	s_barrier
	ds_read_b64 v[144:145], v67
	ds_read2_b64 v[136:139], v119 offset1:16
	ds_read_b64 v[160:161], v128
	ds_read_b64 v[162:163], v129
	;; [unrolled: 1-line block ×3, first 2 shown]
	ds_read2_b64 v[140:143], v119 offset0:32 offset1:48
	s_waitcnt lgkmcnt(4)
	v_mfma_f32_16x16x16_bf16 a[0:3], v[144:145], v[136:137], 0
	ds_read2st64_b64 v[148:151], v121 offset0:4 offset1:8
	ds_read2st64_b64 v[152:155], v122 offset0:4 offset1:8
	;; [unrolled: 1-line block ×3, first 2 shown]
	v_mfma_f32_16x16x16_bf16 a[4:7], v[144:145], v[138:139], 0
	s_add_i32 s21, s50, s58
	s_mul_hi_i32 s25, s21, s13
	s_mul_i32 s21, s21, s13
	s_waitcnt lgkmcnt(3)
	v_mfma_f32_16x16x16_bf16 a[8:11], v[144:145], v[140:141], 0
	s_add_u32 s24, s21, s45
	s_addc_u32 s25, s25, s46
	s_lshl_b64 s[24:25], s[24:25], 15
	v_mfma_f32_16x16x16_bf16 a[12:15], v[144:145], v[142:143], 0
	ds_read2st64_b64 v[144:147], v119 offset0:4 offset1:8
	s_waitcnt lgkmcnt(0)
	v_mfma_f32_16x16x16_bf16 a[0:3], v[160:161], v[144:145], a[0:3]
	v_mfma_f32_16x16x16_bf16 a[4:7], v[160:161], v[148:149], a[4:7]
	;; [unrolled: 1-line block ×8, first 2 shown]
	ds_read_b64 v[160:161], v119 offset:6144
	ds_read_b64 v[162:163], v120 offset:40960
	;; [unrolled: 1-line block ×8, first 2 shown]
	s_waitcnt lgkmcnt(5)
	v_mfma_f32_16x16x16_bf16 a[16:19], v[166:167], v[136:137], 0
	v_mfma_f32_16x16x16_bf16 a[20:23], v[166:167], v[138:139], 0
	ds_read2st64_b64 v[136:139], v116 offset1:8
	v_mfma_f32_16x16x16_bf16 a[24:27], v[166:167], v[140:141], 0
	v_mfma_f32_16x16x16_bf16 a[28:31], v[166:167], v[142:143], 0
	ds_read2st64_b64 v[140:143], v117 offset1:8
	v_mfma_f32_16x16x16_bf16 a[16:19], v[162:163], v[144:145], a[16:19]
	s_waitcnt lgkmcnt(1)
	v_mov_b32_e32 v144, v136
	v_mov_b32_e32 v145, v137
	v_mfma_f32_16x16x16_bf16 a[20:23], v[162:163], v[148:149], a[20:23]
	v_lshl_add_u64 v[148:149], v[72:73], 0, s[24:25]
	v_mfma_f32_16x16x16_bf16 a[24:27], v[162:163], v[152:153], a[24:27]
	v_mfma_f32_16x16x16_bf16 a[28:31], v[162:163], v[156:157], a[28:31]
	v_mfma_f32_16x16x16_bf16 a[16:19], v[174:175], v[146:147], a[16:19]
	s_waitcnt lgkmcnt(0)
	v_mov_b32_e32 v146, v140
	v_mov_b32_e32 v147, v141
	;; [unrolled: 1-line block ×3, first 2 shown]
	v_mfma_f32_16x16x16_bf16 a[32:35], v[174:175], v[150:151], a[20:23]
	v_mov_b32_e32 v141, v139
	ds_read2st64_b64 v[136:139], v116 offset0:16 offset1:24
	global_store_dwordx4 v[148:149], v[144:147], off
	v_mfma_f32_16x16x16_bf16 a[24:27], v[174:175], v[154:155], a[24:27]
	ds_read2st64_b64 v[144:147], v117 offset0:16 offset1:24
	v_add_co_u32_e32 v150, vcc, s35, v148
	v_mfma_f32_16x16x16_bf16 a[28:31], v[174:175], v[158:159], a[28:31]
	s_nop 0
	v_addc_co_u32_e32 v151, vcc, 0, v149, vcc
	global_store_dwordx4 v[150:151], v[140:143], off offset:-4096
	v_mfma_f32_16x16x16_bf16 a[0:3], v[164:165], v[160:161], a[0:3]
	s_waitcnt lgkmcnt(1)
	v_mov_b32_e32 v140, v136
	v_add_co_u32_e32 v136, vcc, s37, v148
	v_mfma_f32_16x16x16_bf16 a[4:7], v[164:165], v[168:169], a[4:7]
	v_mov_b32_e32 v141, v137
	v_addc_co_u32_e32 v137, vcc, 0, v149, vcc
	v_mfma_f32_16x16x16_bf16 a[8:11], v[164:165], v[170:171], a[8:11]
	s_waitcnt lgkmcnt(0)
	v_mov_b32_e32 v142, v144
	v_mov_b32_e32 v143, v145
	;; [unrolled: 1-line block ×3, first 2 shown]
	v_mfma_f32_16x16x16_bf16 a[12:15], v[164:165], v[172:173], a[12:15]
	v_mov_b32_e32 v145, v139
	s_and_b64 vcc, exec, s[0:1]
	global_store_dwordx4 v[150:151], v[140:143], off
	v_mfma_f32_16x16x16_bf16 a[20:23], v[176:177], v[160:161], a[16:19]
	global_store_dwordx4 v[136:137], v[144:147], off
	v_mfma_f32_16x16x16_bf16 a[16:19], v[176:177], v[168:169], a[32:35]
	v_mfma_f32_16x16x16_bf16 a[24:27], v[176:177], v[170:171], a[24:27]
	;; [unrolled: 1-line block ×3, first 2 shown]
	s_cbranch_vccnz .LBB164_16
; %bb.15:                               ;   in Loop: Header=BB164_6 Depth=1
	v_lshrrev_b32_e32 v135, 3, v133
	v_and_b32_e32 v135, 6, v135
	v_xor_b32_e32 v134, v135, v134
	v_lshlrev_b32_e32 v134, 2, v134
	v_and_b32_e32 v133, 8, v133
	v_xor_b32_e32 v136, 0x440, v134
	v_cmp_eq_u32_e32 vcc, 0, v133
	s_barrier
	s_nop 0
	v_cndmask_b32_e32 v133, v136, v134, vcc
	v_lshl_or_b32 v133, v135, 10, v133
	s_waitcnt vmcnt(5)
	v_perm_b32 v134, v62, v58, s56
	s_waitcnt vmcnt(4)
	v_perm_b32 v135, v54, v50, s56
	ds_write2st64_b32 v133, v134, v135 offset0:128 offset1:160
	v_xor_b32_e32 v134, 8, v133
	v_perm_b32 v58, v62, v58, s57
	v_perm_b32 v50, v54, v50, s57
	v_add_u32_e32 v54, 0x80, v134
	ds_write2st64_b32 v54, v58, v50 offset0:128 offset1:160
	v_xor_b32_e32 v50, 16, v133
	v_perm_b32 v54, v63, v59, s56
	v_perm_b32 v58, v55, v51, s56
	ds_write2st64_b32 v50, v54, v58 offset0:129 offset1:161
	v_xor_b32_e32 v50, 24, v133
	v_perm_b32 v54, v63, v59, s57
	v_perm_b32 v51, v55, v51, s57
	v_add_u32_e32 v50, 0x80, v50
	ds_write2st64_b32 v50, v54, v51 offset0:129 offset1:161
	v_xor_b32_e32 v50, 32, v133
	v_perm_b32 v51, v64, v60, s56
	;; [unrolled: 9-line block ×3, first 2 shown]
	v_perm_b32 v52, v57, v53, s56
	ds_write2st64_b32 v50, v51, v52 offset0:131 offset1:163
	v_xor_b32_e32 v50, 56, v133
	v_perm_b32 v51, v65, v61, s57
	v_perm_b32 v52, v57, v53, s57
	v_add_u32_e32 v50, 0x80, v50
	ds_write2st64_b32 v50, v51, v52 offset0:131 offset1:163
	ds_write_b64 v132, v[46:47] offset:49152
	v_xor_b32_e32 v46, 8, v132
	ds_write_b64 v46, v[48:49] offset:49152
	ds_write_b64 v132, v[42:43] offset:57344
	;; [unrolled: 1-line block ×4, first 2 shown]
	v_xor_b32_e32 v38, 8, v131
	ds_write_b64 v38, v[40:41] offset:49152
	ds_write_b64 v131, v[34:35] offset:57344
	;; [unrolled: 1-line block ×3, first 2 shown]
.LBB164_16:                             ;   in Loop: Header=BB164_6 Depth=1
	v_exp_f32_e32 v132, s20
	v_accvgpr_read_b32 v37, a3
	v_accvgpr_read_b32 v41, a7
	;; [unrolled: 1-line block ×4, first 2 shown]
	s_waitcnt vmcnt(4)
	v_accvgpr_read_b32 v53, a23
	v_accvgpr_read_b32 v57, a19
	v_accvgpr_read_b32 v61, a27
	v_accvgpr_read_b32 v65, a31
	v_accvgpr_read_b32 v36, a2
	v_accvgpr_read_b32 v35, a1
	v_accvgpr_read_b32 v34, a0
	v_accvgpr_read_b32 v40, a6
	v_accvgpr_read_b32 v39, a5
	v_accvgpr_read_b32 v38, a4
	v_accvgpr_read_b32 v44, a10
	v_accvgpr_read_b32 v43, a9
	v_accvgpr_read_b32 v42, a8
	v_accvgpr_read_b32 v48, a14
	v_accvgpr_read_b32 v47, a13
	v_accvgpr_read_b32 v46, a12
	v_accvgpr_read_b32 v52, a22
	v_accvgpr_read_b32 v51, a21
	v_accvgpr_read_b32 v50, a20
	v_accvgpr_read_b32 v56, a18
	v_accvgpr_read_b32 v55, a17
	v_accvgpr_read_b32 v54, a16
	v_accvgpr_read_b32 v60, a26
	v_accvgpr_read_b32 v59, a25
	v_accvgpr_read_b32 v58, a24
	v_accvgpr_read_b32 v64, a30
	v_accvgpr_read_b32 v63, a29
	v_accvgpr_read_b32 v62, a28
	s_add_i32 s53, s53, 64
	v_pk_fma_f32 v[22:23], v[22:23], v[132:133], v[34:35] op_sel_hi:[1,0,1]
	v_pk_fma_f32 v[24:25], v[24:25], v[132:133], v[36:37] op_sel_hi:[1,0,1]
	v_pk_fma_f32 v[14:15], v[14:15], v[132:133], v[38:39] op_sel_hi:[1,0,1]
	v_pk_fma_f32 v[16:17], v[16:17], v[132:133], v[40:41] op_sel_hi:[1,0,1]
	v_pk_fma_f32 v[6:7], v[6:7], v[132:133], v[42:43] op_sel_hi:[1,0,1]
	v_pk_fma_f32 v[8:9], v[8:9], v[132:133], v[44:45] op_sel_hi:[1,0,1]
	v_pk_fma_f32 v[2:3], v[2:3], v[132:133], v[46:47] op_sel_hi:[1,0,1]
	v_pk_fma_f32 v[4:5], v[4:5], v[132:133], v[48:49] op_sel_hi:[1,0,1]
	v_pk_fma_f32 v[30:31], v[30:31], v[132:133], v[50:51] op_sel_hi:[1,0,1]
	v_pk_fma_f32 v[32:33], v[32:33], v[132:133], v[52:53] op_sel_hi:[1,0,1]
	v_pk_fma_f32 v[26:27], v[26:27], v[132:133], v[54:55] op_sel_hi:[1,0,1]
	v_pk_fma_f32 v[28:29], v[28:29], v[132:133], v[56:57] op_sel_hi:[1,0,1]
	v_pk_fma_f32 v[18:19], v[18:19], v[132:133], v[58:59] op_sel_hi:[1,0,1]
	v_pk_fma_f32 v[20:21], v[20:21], v[132:133], v[60:61] op_sel_hi:[1,0,1]
	v_pk_fma_f32 v[10:11], v[10:11], v[132:133], v[62:63] op_sel_hi:[1,0,1]
	s_cmp_eq_u32 s47, s59
	v_pk_fma_f32 v[12:13], v[12:13], v[132:133], v[64:65] op_sel_hi:[1,0,1]
	s_cbranch_scc1 .LBB164_18
; %bb.17:                               ;   in Loop: Header=BB164_6 Depth=1
	s_mov_b32 s58, s59
	s_branch .LBB164_6
.LBB164_18:
	s_lshl_b32 s26, s47, 6
	s_sub_i32 s27, s48, s26
	s_cmp_gt_i32 s27, 0
	s_cbranch_scc0 .LBB164_99
; %bb.19:
	s_add_i32 s26, s26, s30
	s_ashr_i32 s3, s26, 31
	s_cmpk_lg_i32 s15, 0x80
	s_cselect_b64 s[22:23], -1, 0
	s_and_b64 vcc, exec, s[22:23]
	s_cbranch_vccz .LBB164_21
; %bb.20:
	s_mul_hi_i32 s0, s26, s14
	s_mul_i32 s1, s26, s14
	s_ashr_i32 s14, s49, 31
	s_add_u32 s24, s1, s49
	s_addc_u32 s25, s0, s14
	s_cbranch_execz .LBB164_22
	s_branch .LBB164_23
.LBB164_21:
                                        ; implicit-def: $sgpr24_sgpr25
.LBB164_22:
	s_mul_i32 s1, s49, s12
	s_mul_hi_i32 s0, s49, s12
	s_add_u32 s24, s1, s26
	s_addc_u32 s25, s0, s3
.LBB164_23:
	s_waitcnt lgkmcnt(0)
	s_add_i32 s12, s47, s50
	s_add_u32 s0, s52, s26
	s_addc_u32 s1, s51, s3
	v_lshlrev_b32_e32 v35, 6, v80
	v_lshlrev_b32_e32 v34, 2, v77
	s_mov_b32 s3, 0x7060302
	s_waitcnt vmcnt(7)
	v_perm_b32 v25, v25, v24, s3
	v_perm_b32 v24, v23, v22, s3
	s_waitcnt vmcnt(6)
	v_perm_b32 v22, v31, v30, s3
	v_or_b32_e32 v30, v35, v34
	v_xor_b32_e32 v36, v80, v34
	v_perm_b32 v23, v33, v32, s3
	v_lshlrev_b32_e32 v30, 1, v30
	ds_write2st64_b64 v30, v[24:25], v[22:23] offset0:32 offset1:48
	v_lshlrev_b32_e32 v30, 1, v36
	v_lshlrev_b32_e32 v31, 8, v77
	v_xor_b32_e32 v37, v81, v34
	v_or_b32_e32 v32, v30, v31
	ds_write_b64 v32, v[24:25]
	v_lshlrev_b32_e32 v24, 1, v37
	v_or_b32_e32 v25, v24, v31
	ds_write_b64 v25, v[22:23]
	v_or_b32_e32 v22, 16, v77
	v_lshlrev_b32_e32 v23, 2, v22
	v_or_b32_e32 v25, v35, v23
	s_waitcnt vmcnt(5)
	v_perm_b32 v17, v17, v16, s3
	v_perm_b32 v16, v15, v14, s3
	s_waitcnt vmcnt(4)
	v_perm_b32 v15, v29, v28, s3
	v_perm_b32 v14, v27, v26, s3
	v_lshlrev_b32_e32 v25, 1, v25
	v_lshlrev_b32_e32 v22, 8, v22
	ds_write2st64_b64 v25, v[16:17], v[14:15] offset0:32 offset1:48
	v_or_b32_e32 v25, v30, v22
	ds_write_b64 v25, v[16:17]
	v_or_b32_e32 v16, v24, v22
	ds_write_b64 v16, v[14:15]
	v_or_b32_e32 v14, 32, v77
	v_lshlrev_b32_e32 v22, 2, v14
	v_or_b32_e32 v15, v35, v22
	s_waitcnt vmcnt(3)
	v_perm_b32 v9, v9, v8, s3
	v_perm_b32 v8, v7, v6, s3
	s_waitcnt vmcnt(2)
	v_perm_b32 v7, v21, v20, s3
	v_perm_b32 v6, v19, v18, s3
	v_lshlrev_b32_e32 v15, 1, v15
	v_lshlrev_b32_e32 v14, 8, v14
	s_lshl_b64 s[20:21], s[0:1], 8
	ds_write2st64_b64 v15, v[8:9], v[6:7] offset0:32 offset1:48
	v_or_b32_e32 v15, v30, v14
	s_add_u32 s0, s6, s20
	ds_write_b64 v15, v[8:9]
	v_or_b32_e32 v8, v24, v14
	s_addc_u32 s1, s7, s21
	ds_write_b64 v8, v[6:7]
	s_waitcnt vmcnt(1)
	v_perm_b32 v5, v5, v4, s3
	v_perm_b32 v4, v3, v2, s3
	s_waitcnt vmcnt(0)
	v_perm_b32 v3, v13, v12, s3
	v_perm_b32 v2, v11, v10, s3
	v_or_b32_e32 v6, 48, v77
	s_mul_hi_i32 s3, s12, s13
	s_mul_i32 s12, s12, s13
	v_lshlrev_b32_e32 v19, 2, v6
	s_add_u32 s6, s12, s45
	v_or_b32_e32 v7, v35, v19
	s_addc_u32 s7, s3, s46
	v_lshlrev_b32_e32 v7, 1, v7
	v_lshlrev_b32_e32 v6, 8, v6
	s_ashr_i32 s3, s2, 31
	s_lshl_b64 s[6:7], s[6:7], 15
	ds_write2st64_b64 v7, v[4:5], v[2:3] offset0:32 offset1:48
	v_or_b32_e32 v7, v30, v6
	s_add_u32 s6, s18, s6
	ds_write_b64 v7, v[4:5]
	v_or_b32_e32 v4, v24, v6
	s_addc_u32 s7, s19, s7
	s_lshl_b64 s[2:3], s[2:3], 8
	ds_write_b64 v4, v[2:3]
	s_add_u32 s2, s6, s2
	v_lshlrev_b32_e32 v3, 1, v77
	v_lshrrev_b32_e32 v2, 4, v0
	s_addc_u32 s3, s7, s3
	v_or_b32_e32 v4, 1, v3
	v_lshlrev_b32_e32 v10, 4, v77
	v_mov_b32_e32 v11, 0
	v_xor_b32_e32 v3, v2, v3
	v_xor_b32_e32 v6, v4, v2
	v_lshl_add_u64 v[12:13], s[2:3], 0, v[10:11]
	v_lshlrev_b32_e32 v10, 8, v2
	v_lshl_or_b32 v16, v3, 3, v10
	v_lshl_or_b32 v17, v6, 3, v10
	s_waitcnt lgkmcnt(0)
	s_barrier
	ds_read2st64_b64 v[2:5], v16 offset1:8
	ds_read2st64_b64 v[6:9], v17 offset1:8
	v_lshl_add_u64 v[14:15], v[12:13], 0, v[10:11]
	s_movk_i32 s2, 0x2000
	s_cmp_lg_u32 s27, 64
	s_waitcnt lgkmcnt(1)
	v_mov_b32_e32 v10, v2
	v_mov_b32_e32 v11, v3
	s_waitcnt lgkmcnt(0)
	v_mov_b32_e32 v12, v6
	v_mov_b32_e32 v13, v7
	global_store_dwordx4 v[14:15], v[10:13], off
	v_mov_b32_e32 v6, v4
	v_mov_b32_e32 v7, v5
	ds_read2st64_b64 v[2:5], v16 offset0:16 offset1:24
	ds_read2st64_b64 v[10:13], v17 offset0:16 offset1:24
	v_add_co_u32_e32 v16, vcc, s2, v14
	s_cselect_b64 s[6:7], -1, 0
	s_nop 0
	v_addc_co_u32_e32 v17, vcc, 0, v15, vcc
	global_store_dwordx4 v[16:17], v[6:9], off offset:-4096
	v_lshl_or_b32 v24, v75, 3, v79
	s_mov_b32 s16, 0
	s_waitcnt lgkmcnt(1)
	v_mov_b32_e32 v6, v2
	v_add_co_u32_e32 v2, vcc, 0x3000, v14
	v_mov_b32_e32 v7, v3
	s_nop 0
	v_addc_co_u32_e32 v3, vcc, 0, v15, vcc
	s_waitcnt lgkmcnt(0)
	v_mov_b32_e32 v8, v10
	v_mov_b32_e32 v9, v11
	;; [unrolled: 1-line block ×4, first 2 shown]
	v_or_b32_e32 v20, 32, v24
	v_and_b32_e32 v18, 56, v78
	s_and_b64 vcc, exec, s[6:7]
	global_store_dwordx4 v[16:17], v[6:9], off
	global_store_dwordx4 v[2:3], v[10:13], off
	s_cbranch_vccz .LBB164_29
; %bb.24:
	s_mov_b32 s17, s16
	s_mov_b32 s18, s16
	;; [unrolled: 1-line block ×3, first 2 shown]
	v_mov_b64_e32 v[6:7], s[16:17]
	v_mov_b64_e32 v[8:9], s[18:19]
	;; [unrolled: 1-line block ×3, first 2 shown]
	v_cmp_gt_i32_e32 vcc, s27, v24
	v_mov_b64_e32 v[4:5], v[8:9]
	s_and_saveexec_b64 s[2:3], vcc
	s_cbranch_execz .LBB164_26
; %bb.25:
	v_lshlrev_b32_e32 v2, 8, v24
	v_mov_b32_e32 v3, 0
	v_lshl_add_u64 v[4:5], s[0:1], 0, v[2:3]
	v_lshlrev_b32_e32 v2, 1, v18
	v_lshl_add_u64 v[10:11], v[4:5], 0, v[2:3]
	global_load_dwordx4 v[6:9], v[10:11], off
	global_load_dwordx4 v[2:5], v[10:11], off offset:128
.LBB164_26:
	s_or_b64 exec, exec, s[2:3]
	s_mov_b32 s17, s16
	s_mov_b32 s18, s16
	;; [unrolled: 1-line block ×3, first 2 shown]
	v_mov_b64_e32 v[14:15], s[16:17]
	v_mov_b64_e32 v[16:17], s[18:19]
	;; [unrolled: 1-line block ×3, first 2 shown]
	v_cmp_gt_i32_e32 vcc, s27, v20
	v_lshlrev_b32_e32 v21, 7, v20
	v_mov_b64_e32 v[12:13], v[16:17]
	s_and_saveexec_b64 s[2:3], vcc
	s_cbranch_execz .LBB164_28
; %bb.27:
	v_lshlrev_b32_e32 v10, 1, v21
	v_mov_b32_e32 v11, 0
	v_lshl_add_u64 v[12:13], s[0:1], 0, v[10:11]
	v_lshlrev_b32_e32 v10, 1, v18
	v_lshl_add_u64 v[26:27], v[12:13], 0, v[10:11]
	global_load_dwordx4 v[14:17], v[26:27], off
	global_load_dwordx4 v[10:13], v[26:27], off offset:128
.LBB164_28:
	s_or_b64 exec, exec, s[2:3]
	v_lshrrev_b32_e32 v25, 3, v18
	v_lshlrev_b32_e32 v26, 3, v24
	v_or_b32_e32 v25, v26, v25
	v_lshlrev_b32_e32 v25, 4, v25
	v_and_b32_e32 v26, 0x78, v26
	v_xor_b32_e32 v25, v25, v26
	s_branch .LBB164_31
.LBB164_29:
                                        ; implicit-def: $vgpr25
                                        ; implicit-def: $vgpr21
                                        ; implicit-def: $vgpr6_vgpr7_vgpr8_vgpr9
                                        ; implicit-def: $vgpr2_vgpr3_vgpr4_vgpr5
                                        ; implicit-def: $vgpr14_vgpr15_vgpr16_vgpr17
                                        ; implicit-def: $vgpr10_vgpr11_vgpr12_vgpr13
	s_cbranch_execz .LBB164_31
; %bb.30:
	s_waitcnt vmcnt(0)
	v_lshlrev_b32_e32 v2, 1, v18
	v_lshl_or_b32 v21, v24, 8, v2
	s_and_b32 s1, s1, 0xffff
	s_mov_b32 s3, 0x20000
	s_movk_i32 s2, 0x4000
	v_lshl_or_b32 v25, v20, 8, v2
	s_movk_i32 s12, 0x80
	buffer_load_dwordx4 v[6:9], v21, s[0:3], 0 offen
	buffer_load_dwordx4 v[2:5], v21, s[0:3], s12 offen
	;; [unrolled: 1-line block ×4, first 2 shown]
	v_lshrrev_b32_e32 v21, 3, v18
	v_lshlrev_b32_e32 v25, 3, v24
	v_or_b32_e32 v21, v25, v21
	v_lshlrev_b32_e32 v21, 4, v21
	v_and_b32_e32 v25, 0x78, v25
	v_xor_b32_e32 v25, v21, v25
	v_lshlrev_b32_e32 v21, 7, v20
.LBB164_31:
	s_movk_i32 s0, 0x1000
	v_and_or_b32 v20, v21, s0, v25
	s_waitcnt vmcnt(1)
	ds_write_b64 v25, v[6:7] offset:49152
	v_xor_b32_e32 v6, 8, v25
	ds_write_b64 v6, v[8:9] offset:49152
	s_waitcnt vmcnt(0)
	ds_write_b64 v25, v[2:3] offset:57344
	ds_write_b64 v6, v[4:5] offset:57344
	ds_write_b64 v20, v[14:15] offset:49152
	v_xor_b32_e32 v2, 8, v20
	ds_write_b64 v2, v[16:17] offset:49152
	ds_write_b64 v20, v[10:11] offset:57344
	;; [unrolled: 1-line block ×3, first 2 shown]
	v_or_b32_e32 v2, v1, v77
	v_lshlrev_b32_e32 v3, 11, v75
	v_lshlrev_b32_e32 v2, 3, v2
	v_and_b32_e32 v6, 0x1000, v3
	v_lshrrev_b32_e32 v3, 5, v74
	s_movk_i32 s0, 0xf8
	v_and_or_b32 v3, v2, s0, v3
	v_lshlrev_b32_e32 v7, 4, v3
	v_and_b32_e32 v8, 0x78, v2
	v_or_b32_e32 v10, 32, v7
	v_lshrrev_b32_e32 v3, 1, v74
	v_xor_b32_e32 v10, v10, v8
	v_xor_b32_e32 v2, v7, v8
	v_and_b32_e32 v9, 8, v3
	v_or_b32_e32 v10, v10, v6
	v_or_b32_e32 v2, v2, v6
	v_xor_b32_e32 v27, v10, v9
	v_or_b32_e32 v10, 64, v7
	v_xor_b32_e32 v26, v2, v9
	v_xor_b32_e32 v10, v10, v8
	s_waitcnt lgkmcnt(0)
	s_barrier
	v_or_b32_e32 v13, v10, v6
	ds_read_b64 v[10:11], v26 offset:49152
	v_lshl_or_b32 v14, v76, 8, v34
	v_lshlrev_b32_e32 v25, 1, v14
	v_add_u32_e32 v12, 0x4000, v25
	ds_read2_b64 v[2:5], v12 offset1:16
	v_or_b32_e32 v7, 0x60, v7
	v_xor_b32_e32 v7, v7, v8
	v_or_b32_e32 v6, v7, v6
	v_xor_b32_e32 v28, v13, v9
	v_xor_b32_e32 v29, v6, v9
	ds_read_b64 v[20:21], v27 offset:49152
	ds_read_b64 v[36:37], v28 offset:49152
	;; [unrolled: 1-line block ×3, first 2 shown]
	s_waitcnt lgkmcnt(3)
	v_mfma_f32_16x16x16_bf16 a[0:3], v[10:11], v[2:3], 0
	ds_read2st64_b64 v[6:9], v25 offset0:36 offset1:40
	s_lshl_b64 s[0:1], s[24:25], 8
	s_add_u32 s4, s4, s0
	v_mfma_f32_16x16x16_bf16 a[4:7], v[10:11], v[4:5], 0
	ds_read2_b64 v[2:5], v12 offset0:32 offset1:48
	s_addc_u32 s5, s5, s1
	s_add_i32 s1, s41, s33
	s_waitcnt lgkmcnt(0)
	v_mfma_f32_16x16x16_bf16 a[8:11], v[10:11], v[2:3], 0
	v_or_b32_e32 v2, 64, v14
	v_lshlrev_b32_e32 v30, 1, v2
	s_add_i32 s0, s31, -1
	v_mfma_f32_16x16x16_bf16 a[12:15], v[10:11], v[4:5], 0
	ds_read2st64_b64 v[2:5], v30 offset0:36 offset1:40
	s_add_i32 s37, s1, s40
	s_add_i32 s1, s43, s42
	v_mfma_f32_16x16x16_bf16 a[0:3], v[20:21], v[6:7], a[0:3]
	v_or_b32_e32 v6, 0x80, v14
	v_lshlrev_b32_e32 v31, 1, v6
	ds_read2st64_b64 v[10:13], v31 offset0:36 offset1:40
	s_waitcnt lgkmcnt(1)
	v_mfma_f32_16x16x16_bf16 a[4:7], v[20:21], v[2:3], a[4:7]
	v_or_b32_e32 v2, 0xc0, v14
	v_lshlrev_b32_e32 v32, 1, v2
	ds_read2st64_b64 v[14:17], v32 offset0:36 offset1:40
	s_add_i32 s35, s1, s44
	s_ashr_i32 s1, s0, 31
	s_mul_i32 s2, s0, s29
	s_mul_hi_u32 s3, s0, s28
	s_add_i32 s2, s3, s2
	s_mul_i32 s1, s1, s28
	s_waitcnt lgkmcnt(1)
	v_mfma_f32_16x16x16_bf16 a[8:11], v[20:21], v[10:11], a[8:11]
	s_add_i32 s1, s2, s1
	s_lshl_b64 s[2:3], s[36:37], 2
	s_add_u32 s10, s10, s2
	s_waitcnt lgkmcnt(0)
	v_mfma_f32_16x16x16_bf16 a[12:15], v[20:21], v[14:15], a[12:15]
	s_addc_u32 s11, s11, s3
	s_lshl_b64 s[2:3], s[34:35], 2
	s_mul_i32 s0, s0, s28
	v_mfma_f32_16x16x16_bf16 a[0:3], v[36:37], v[8:9], a[0:3]
	ds_read_b64 v[2:3], v25 offset:22528
	s_add_u32 s10, s10, s2
	s_addc_u32 s11, s11, s3
	v_mfma_f32_16x16x16_bf16 a[4:7], v[36:37], v[4:5], a[4:7]
	ds_read_b64 v[4:5], v30 offset:22528
	ds_read_b64 v[6:7], v31 offset:22528
	;; [unrolled: 1-line block ×3, first 2 shown]
	s_lshl_b64 s[0:1], s[0:1], 2
	s_add_u32 s0, s10, s0
	v_mfma_f32_16x16x16_bf16 a[8:11], v[36:37], v[12:13], a[8:11]
	s_addc_u32 s1, s11, s1
	s_load_dword s12, s[0:1], 0x0
	s_and_b64 vcc, exec, s[22:23]
	v_mfma_f32_16x16x16_bf16 a[12:15], v[36:37], v[16:17], a[12:15]
	s_waitcnt lgkmcnt(0)
	v_mfma_f32_16x16x16_bf16 a[0:3], v[38:39], v[2:3], a[0:3]
	v_mfma_f32_16x16x16_bf16 a[4:7], v[38:39], v[4:5], a[4:7]
	;; [unrolled: 1-line block ×4, first 2 shown]
	s_cbranch_vccz .LBB164_42
; %bb.32:
	v_lshlrev_b32_e32 v20, 1, v24
	s_and_b64 vcc, exec, s[6:7]
	s_cbranch_vccz .LBB164_43
; %bb.33:
	v_cmp_gt_i32_e32 vcc, s27, v20
	v_mov_b32_e32 v6, 0
	v_mov_b32_e32 v2, 0
	;; [unrolled: 1-line block ×5, first 2 shown]
	s_and_saveexec_b64 s[0:1], vcc
	s_cbranch_execz .LBB164_35
; %bb.34:
	v_mad_i64_i32 v[2:3], s[2:3], s15, v20, 0
	v_lshl_add_u64 v[2:3], v[2:3], 1, s[4:5]
	v_lshlrev_b32_e32 v4, 1, v18
	v_mov_b32_e32 v5, 0
	v_lshl_add_u64 v[2:3], v[2:3], 0, v[4:5]
	global_load_dwordx4 v[2:5], v[2:3], off
.LBB164_35:
	s_or_b64 exec, exec, s[0:1]
	v_or_b32_e32 v21, 1, v20
	v_cmp_gt_i32_e64 s[0:1], s27, v21
	v_mov_b32_e32 v7, 0
	v_mov_b32_e32 v8, 0
	;; [unrolled: 1-line block ×3, first 2 shown]
	s_and_saveexec_b64 s[2:3], s[0:1]
	s_cbranch_execz .LBB164_37
; %bb.36:
	v_mad_i64_i32 v[6:7], s[16:17], s15, v21, 0
	v_lshl_add_u64 v[6:7], v[6:7], 1, s[4:5]
	v_lshlrev_b32_e32 v8, 1, v18
	v_mov_b32_e32 v9, 0
	v_lshl_add_u64 v[6:7], v[6:7], 0, v[8:9]
	global_load_dwordx4 v[6:9], v[6:7], off
.LBB164_37:
	s_or_b64 exec, exec, s[2:3]
	v_mov_b32_e32 v17, 0
	v_mov_b32_e32 v10, 0
	;; [unrolled: 1-line block ×5, first 2 shown]
	s_and_saveexec_b64 s[2:3], vcc
	s_cbranch_execz .LBB164_39
; %bb.38:
	v_mad_i64_i32 v[10:11], s[16:17], s15, v20, 0
	v_lshl_add_u64 v[10:11], v[10:11], 1, s[4:5]
	v_lshlrev_b32_e32 v12, 1, v18
	v_mov_b32_e32 v13, 0
	v_lshl_add_u64 v[10:11], v[10:11], 0, v[12:13]
	global_load_dwordx4 v[10:13], v[10:11], off offset:128
.LBB164_39:
	s_or_b64 exec, exec, s[2:3]
	v_mov_b32_e32 v16, 0
	v_mov_b32_e32 v15, 0
	;; [unrolled: 1-line block ×3, first 2 shown]
	s_and_saveexec_b64 s[2:3], s[0:1]
	s_cbranch_execz .LBB164_41
; %bb.40:
	v_mad_i64_i32 v[14:15], s[0:1], s15, v21, 0
	v_lshl_add_u64 v[14:15], v[14:15], 1, s[4:5]
	v_lshlrev_b32_e32 v16, 1, v18
	v_mov_b32_e32 v17, 0
	v_lshl_add_u64 v[14:15], v[14:15], 0, v[16:17]
	global_load_dwordx4 v[14:17], v[14:15], off offset:128
.LBB164_41:
	s_or_b64 exec, exec, s[2:3]
	s_branch .LBB164_45
.LBB164_42:
                                        ; implicit-def: $vgpr5
                                        ; implicit-def: $vgpr9
                                        ; implicit-def: $vgpr13
                                        ; implicit-def: $vgpr17
	v_lshrrev_b32_e32 v33, 2, v74
	s_branch .LBB164_46
.LBB164_43:
                                        ; implicit-def: $vgpr5
                                        ; implicit-def: $vgpr9
                                        ; implicit-def: $vgpr13
                                        ; implicit-def: $vgpr17
	s_cbranch_execz .LBB164_45
; %bb.44:
	s_waitcnt vmcnt(0)
	v_mad_u64_u32 v[2:3], s[0:1], v20, s15, v[18:19]
	v_lshlrev_b32_e32 v20, 1, v2
	s_lshl_b32 s2, s15, 7
	s_and_b32 s1, s5, 0xffff
	s_mov_b32 s3, 0x20000
	s_mov_b32 s0, s4
	v_add_lshl_u32 v21, v2, s15, 1
	s_movk_i32 s13, 0x80
	buffer_load_dwordx4 v[2:5], v20, s[0:3], 0 offen
	buffer_load_dwordx4 v[10:13], v20, s[0:3], s13 offen
	;; [unrolled: 1-line block ×4, first 2 shown]
.LBB164_45:
	v_lshrrev_b32_e32 v33, 2, v74
	s_cbranch_execnz .LBB164_58
.LBB164_46:
	s_and_b64 vcc, exec, s[6:7]
	s_cbranch_vccz .LBB164_56
; %bb.47:
	s_waitcnt vmcnt(0)
	v_lshlrev_b32_e32 v7, 1, v24
	v_cmp_gt_i32_e32 vcc, s27, v7
	v_mov_b32_e32 v6, 0
	v_lshlrev_b32_e32 v14, 9, v24
	v_mov_b32_e32 v2, 0
	v_mov_b32_e32 v3, 0
	v_mov_b32_e32 v4, 0
	v_mov_b32_e32 v5, 0
	s_and_saveexec_b64 s[0:1], vcc
	s_cbranch_execz .LBB164_49
; %bb.48:
	v_mov_b32_e32 v15, 0
	v_lshl_add_u64 v[2:3], s[4:5], 0, v[14:15]
	v_lshlrev_b32_e32 v4, 1, v18
	v_mov_b32_e32 v5, v15
	v_lshl_add_u64 v[2:3], v[2:3], 0, v[4:5]
	global_load_dwordx4 v[2:5], v[2:3], off
.LBB164_49:
	s_or_b64 exec, exec, s[0:1]
	v_or_b32_e32 v7, 1, v7
	v_cmp_gt_i32_e64 s[0:1], s27, v7
	v_lshlrev_b32_e32 v20, 8, v7
	v_mov_b32_e32 v7, 0
	v_mov_b32_e32 v8, 0
	;; [unrolled: 1-line block ×3, first 2 shown]
	s_and_saveexec_b64 s[2:3], s[0:1]
	s_cbranch_execz .LBB164_51
; %bb.50:
	v_mov_b32_e32 v21, 0
	v_lshl_add_u64 v[6:7], s[4:5], 0, v[20:21]
	v_lshlrev_b32_e32 v8, 1, v18
	v_mov_b32_e32 v9, v21
	v_lshl_add_u64 v[6:7], v[6:7], 0, v[8:9]
	global_load_dwordx4 v[6:9], v[6:7], off
.LBB164_51:
	s_or_b64 exec, exec, s[2:3]
	v_mov_b32_e32 v17, 0
	v_mov_b32_e32 v10, 0
	;; [unrolled: 1-line block ×5, first 2 shown]
	s_and_saveexec_b64 s[2:3], vcc
	s_cbranch_execz .LBB164_53
; %bb.52:
	v_mov_b32_e32 v15, 0
	v_lshl_add_u64 v[10:11], s[4:5], 0, v[14:15]
	v_lshlrev_b32_e32 v14, 1, v18
	v_lshl_add_u64 v[10:11], v[10:11], 0, v[14:15]
	global_load_dwordx4 v[10:13], v[10:11], off offset:128
.LBB164_53:
	s_or_b64 exec, exec, s[2:3]
	v_mov_b32_e32 v16, 0
	v_mov_b32_e32 v15, 0
	;; [unrolled: 1-line block ×3, first 2 shown]
	s_and_saveexec_b64 s[2:3], s[0:1]
	s_cbranch_execz .LBB164_55
; %bb.54:
	v_mov_b32_e32 v21, 0
	v_lshl_add_u64 v[14:15], s[4:5], 0, v[20:21]
	v_lshlrev_b32_e32 v20, 1, v18
	v_lshl_add_u64 v[14:15], v[14:15], 0, v[20:21]
	global_load_dwordx4 v[14:17], v[14:15], off offset:128
.LBB164_55:
	s_or_b64 exec, exec, s[2:3]
	s_branch .LBB164_58
.LBB164_56:
                                        ; implicit-def: $vgpr5
                                        ; implicit-def: $vgpr9
                                        ; implicit-def: $vgpr13
                                        ; implicit-def: $vgpr17
	s_cbranch_execz .LBB164_58
; %bb.57:
	s_waitcnt vmcnt(0)
	v_lshlrev_b32_e32 v2, 1, v18
	v_lshl_or_b32 v18, v24, 9, v2
	s_and_b32 s5, s5, 0xffff
	s_mov_b32 s7, 0x20000
	s_movk_i32 s6, 0x4000
	s_movk_i32 s0, 0x80
	buffer_load_dwordx4 v[2:5], v18, s[4:7], 0 offen
	buffer_load_dwordx4 v[6:9], v18, s[4:7], 0 offen offset:256
	buffer_load_dwordx4 v[10:13], v18, s[4:7], s0 offen
	buffer_load_dwordx4 v[14:17], v18, s[4:7], s0 offen offset:256
.LBB164_58:
	ds_read_b64 v[20:21], v26 offset:57344
	v_add_u32_e32 v18, 0x6000, v25
	ds_read2_b64 v[36:39], v18 offset1:16
	ds_read_b64 v[48:49], v27 offset:57344
	ds_read_b64 v[50:51], v28 offset:57344
	;; [unrolled: 1-line block ×3, first 2 shown]
	ds_read2_b64 v[26:29], v18 offset0:32 offset1:48
	v_and_b32_e32 v18, 6, v0
	v_xor_b32_e32 v24, v24, v18
	v_lshlrev_b32_e32 v24, 2, v24
	v_and_b32_e32 v0, 1, v0
	v_cmp_eq_u32_e32 vcc, 0, v0
	s_waitcnt lgkmcnt(4)
	v_mfma_f32_16x16x16_bf16 a[0:3], v[20:21], v[36:37], a[0:3]
	s_mov_b32 s0, 0x1000504
	s_mov_b32 s1, 0x3020706
	v_mfma_f32_16x16x16_bf16 a[4:7], v[20:21], v[38:39], a[4:7]
	ds_read2st64_b64 v[36:39], v25 offset0:52 offset1:56
	s_waitcnt lgkmcnt(1)
	v_mfma_f32_16x16x16_bf16 a[8:11], v[20:21], v[26:27], a[8:11]
	v_mfma_f32_16x16x16_bf16 a[12:15], v[20:21], v[28:29], a[12:15]
	ds_read2st64_b64 v[26:29], v30 offset0:52 offset1:56
	ds_read2st64_b64 v[40:43], v31 offset0:52 offset1:56
	;; [unrolled: 1-line block ×3, first 2 shown]
	s_waitcnt lgkmcnt(3)
	v_mfma_f32_16x16x16_bf16 a[0:3], v[48:49], v[36:37], a[0:3]
	ds_read_b64 v[20:21], v25 offset:30720
	ds_read_b64 v[36:37], v30 offset:30720
	;; [unrolled: 1-line block ×4, first 2 shown]
	v_xor_b32_e32 v25, 0x440, v24
	v_cndmask_b32_e32 v0, v25, v24, vcc
	s_waitcnt lgkmcnt(6)
	v_mfma_f32_16x16x16_bf16 a[4:7], v[48:49], v[26:27], a[4:7]
	v_lshl_or_b32 v0, v18, 10, v0
	s_waitcnt vmcnt(0)
	v_perm_b32 v18, v2, v6, s0
	v_perm_b32 v24, v10, v14, s0
	s_waitcnt lgkmcnt(5)
	v_mfma_f32_16x16x16_bf16 a[8:11], v[48:49], v[40:41], a[8:11]
	ds_write2st64_b32 v0, v18, v24 offset0:128 offset1:160
	v_xor_b32_e32 v18, 8, v0
	v_perm_b32 v2, v2, v6, s1
	s_waitcnt lgkmcnt(5)
	v_mfma_f32_16x16x16_bf16 a[12:15], v[48:49], v[44:45], a[12:15]
	v_perm_b32 v6, v10, v14, s1
	v_add_u32_e32 v10, 0x80, v18
	ds_write2st64_b32 v10, v2, v6 offset0:128 offset1:160
	v_mfma_f32_16x16x16_bf16 a[0:3], v[50:51], v[38:39], a[0:3]
	v_xor_b32_e32 v2, 16, v0
	v_perm_b32 v6, v3, v7, s0
	v_perm_b32 v10, v11, v15, s0
	v_mfma_f32_16x16x16_bf16 a[4:7], v[50:51], v[28:29], a[4:7]
	ds_write2st64_b32 v2, v6, v10 offset0:129 offset1:161
	v_xor_b32_e32 v2, 24, v0
	v_perm_b32 v3, v3, v7, s1
	v_mfma_f32_16x16x16_bf16 a[16:19], v[50:51], v[42:43], a[8:11]
	v_perm_b32 v6, v11, v15, s1
	v_add_u32_e32 v2, 0x80, v2
	ds_write2st64_b32 v2, v3, v6 offset0:129 offset1:161
	v_mfma_f32_16x16x16_bf16 a[20:23], v[50:51], v[46:47], a[12:15]
	v_xor_b32_e32 v2, 32, v0
	v_perm_b32 v3, v4, v8, s0
	v_perm_b32 v6, v12, v16, s0
	s_waitcnt lgkmcnt(7)
	v_mfma_f32_16x16x16_bf16 a[12:15], v[52:53], v[20:21], a[0:3]
	ds_write2st64_b32 v2, v3, v6 offset0:130 offset1:162
	v_xor_b32_e32 v2, 40, v0
	v_perm_b32 v3, v4, v8, s1
	s_waitcnt lgkmcnt(7)
	v_mfma_f32_16x16x16_bf16 a[8:11], v[52:53], v[36:37], a[4:7]
	v_perm_b32 v4, v12, v16, s1
	v_add_u32_e32 v2, 0x80, v2
	ds_write2st64_b32 v2, v3, v4 offset0:130 offset1:162
	s_waitcnt lgkmcnt(7)
	v_mfma_f32_16x16x16_bf16 a[4:7], v[52:53], v[30:31], a[16:19]
	v_xor_b32_e32 v2, 48, v0
	v_perm_b32 v3, v5, v9, s0
	v_perm_b32 v4, v13, v17, s0
	s_waitcnt lgkmcnt(6)
	v_mfma_f32_16x16x16_bf16 a[0:3], v[52:53], v[54:55], a[20:23]
	v_xor_b32_e32 v0, 56, v0
	v_and_or_b32 v18, v33, 12, v1
	ds_write2st64_b32 v2, v3, v4 offset0:131 offset1:163
	v_perm_b32 v2, v5, v9, s1
	v_perm_b32 v3, v13, v17, s1
	v_add_u32_e32 v0, 0x80, v0
	v_cmp_gt_i32_e32 vcc, s27, v18
	v_mov_b32_e32 v14, 0
	v_mov_b32_e32 v16, 0
	ds_write2st64_b32 v0, v2, v3 offset0:131 offset1:163
	s_and_saveexec_b64 s[0:1], vcc
	s_cbranch_execz .LBB164_60
; %bb.59:
	v_add_u32_e32 v0, s26, v18
	v_ashrrev_i32_e32 v1, 31, v0
	v_mul_lo_u32 v2, v1, s28
	v_mul_lo_u32 v3, v0, s29
	v_mad_u64_u32 v[0:1], s[2:3], v0, s28, 0
	v_add3_u32 v1, v1, v3, v2
	v_lshl_add_u64 v[0:1], v[0:1], 2, s[10:11]
	global_load_dword v0, v[0:1], off
	s_waitcnt vmcnt(0)
	v_sub_f32_e32 v0, s12, v0
	v_exp_f32_e32 v16, v0
.LBB164_60:
	s_or_b64 exec, exec, s[0:1]
	v_or_b32_e32 v8, 1, v18
	v_cmp_gt_i32_e64 s[0:1], s27, v8
	s_and_saveexec_b64 s[2:3], s[0:1]
	s_cbranch_execz .LBB164_62
; %bb.61:
	v_add_u32_e32 v0, s26, v8
	v_ashrrev_i32_e32 v1, 31, v0
	v_mul_lo_u32 v2, v1, s28
	v_mul_lo_u32 v3, v0, s29
	v_mad_u64_u32 v[0:1], s[4:5], v0, s28, 0
	v_add3_u32 v1, v1, v3, v2
	v_lshl_add_u64 v[0:1], v[0:1], 2, s[10:11]
	global_load_dword v0, v[0:1], off
	s_waitcnt vmcnt(0)
	v_sub_f32_e32 v0, s12, v0
	v_exp_f32_e32 v14, v0
.LBB164_62:
	s_or_b64 exec, exec, s[2:3]
	v_or_b32_e32 v10, 2, v18
	v_cmp_gt_i32_e64 s[2:3], s27, v10
	v_mov_b32_e32 v15, 0
	v_mov_b32_e32 v17, 0
	s_and_saveexec_b64 s[4:5], s[2:3]
	s_cbranch_execz .LBB164_64
; %bb.63:
	v_add_u32_e32 v0, s26, v10
	v_ashrrev_i32_e32 v1, 31, v0
	v_mul_lo_u32 v2, v1, s28
	v_mul_lo_u32 v3, v0, s29
	v_mad_u64_u32 v[0:1], s[6:7], v0, s28, 0
	v_add3_u32 v1, v1, v3, v2
	v_lshl_add_u64 v[0:1], v[0:1], 2, s[10:11]
	global_load_dword v0, v[0:1], off
	s_waitcnt vmcnt(0)
	v_sub_f32_e32 v0, s12, v0
	v_exp_f32_e32 v17, v0
.LBB164_64:
	s_or_b64 exec, exec, s[4:5]
	v_or_b32_e32 v12, 3, v18
	v_cmp_gt_i32_e64 s[4:5], s27, v12
	s_and_saveexec_b64 s[6:7], s[4:5]
	s_cbranch_execz .LBB164_66
; %bb.65:
	v_add_u32_e32 v0, s26, v12
	v_ashrrev_i32_e32 v1, 31, v0
	v_mul_lo_u32 v2, v1, s28
	v_mul_lo_u32 v3, v0, s29
	v_mad_u64_u32 v[0:1], s[14:15], v0, s28, 0
	v_add3_u32 v1, v1, v3, v2
	v_lshl_add_u64 v[0:1], v[0:1], 2, s[10:11]
	global_load_dword v0, v[0:1], off
	s_waitcnt vmcnt(0)
	v_sub_f32_e32 v0, s12, v0
	v_exp_f32_e32 v15, v0
.LBB164_66:
	s_or_b64 exec, exec, s[6:7]
	s_add_u32 s6, s8, s20
	v_accvgpr_read_b32 v0, a12
	s_addc_u32 s7, s9, s21
	v_ashrrev_i32_e32 v67, 31, v66
	v_accvgpr_read_b32 v1, a13
	v_accvgpr_read_b32 v2, a14
	;; [unrolled: 1-line block ×3, first 2 shown]
	v_lshl_add_u64 v[4:5], v[66:67], 1, s[6:7]
	v_mov_b32_e32 v9, 0
	v_lshlrev_b32_e32 v6, 8, v18
	v_mov_b32_e32 v7, 0
	s_and_saveexec_b64 s[6:7], vcc
	s_cbranch_execz .LBB164_68
; %bb.67:
	v_mov_b32_e32 v7, 0
	v_lshl_add_u64 v[20:21], v[4:5], 0, v[6:7]
	global_load_ushort v7, v[20:21], off
	s_waitcnt vmcnt(0)
	v_lshlrev_b32_e32 v7, 16, v7
	v_sub_f32_e32 v0, v7, v0
	v_mul_f32_e32 v0, v16, v0
	v_lshrrev_b32_e32 v7, 16, v0
.LBB164_68:
	s_or_b64 exec, exec, s[6:7]
	v_lshlrev_b32_e32 v8, 8, v8
	s_and_saveexec_b64 s[6:7], s[0:1]
	s_cbranch_execz .LBB164_70
; %bb.69:
	v_mov_b32_e32 v9, 0
	v_lshl_add_u64 v[20:21], v[4:5], 0, v[8:9]
	global_load_ushort v0, v[20:21], off
	s_waitcnt vmcnt(0)
	v_lshlrev_b32_e32 v0, 16, v0
	v_sub_f32_e32 v0, v0, v1
	v_mul_f32_e32 v0, v14, v0
	v_lshrrev_b32_e32 v9, 16, v0
.LBB164_70:
	s_or_b64 exec, exec, s[6:7]
	v_mov_b32_e32 v13, 0
	v_lshlrev_b32_e32 v10, 8, v10
	v_mov_b32_e32 v11, 0
	s_and_saveexec_b64 s[6:7], s[2:3]
	s_cbranch_execz .LBB164_72
; %bb.71:
	v_mov_b32_e32 v11, 0
	v_lshl_add_u64 v[0:1], v[4:5], 0, v[10:11]
	global_load_ushort v0, v[0:1], off
	s_waitcnt vmcnt(0)
	v_lshlrev_b32_e32 v0, 16, v0
	v_sub_f32_e32 v0, v0, v2
	v_mul_f32_e32 v0, v17, v0
	v_lshrrev_b32_e32 v11, 16, v0
.LBB164_72:
	s_or_b64 exec, exec, s[6:7]
	v_lshlrev_b32_e32 v12, 8, v12
	s_and_saveexec_b64 s[6:7], s[4:5]
	s_cbranch_execz .LBB164_74
; %bb.73:
	v_mov_b32_e32 v13, 0
	v_lshl_add_u64 v[0:1], v[4:5], 0, v[12:13]
	global_load_ushort v0, v[0:1], off
	s_waitcnt vmcnt(0)
	v_lshlrev_b32_e32 v0, 16, v0
	v_sub_f32_e32 v0, v0, v3
	v_mul_f32_e32 v0, v15, v0
	v_lshrrev_b32_e32 v13, 16, v0
.LBB164_74:
	s_or_b64 exec, exec, s[6:7]
	v_lshlrev_b32_e32 v18, 6, v18
	s_mov_b32 s6, 0x5040100
	v_perm_b32 v20, v9, v7, s6
	v_or_b32_e32 v7, v18, v34
	v_accvgpr_read_b32 v0, a8
	v_perm_b32 v21, v13, v11, s6
	v_lshlrev_b32_e32 v7, 1, v7
	v_accvgpr_read_b32 v1, a9
	v_accvgpr_read_b32 v2, a10
	;; [unrolled: 1-line block ×3, first 2 shown]
	ds_write_b64 v7, v[20:21] offset:24576
	v_mov_b32_e32 v9, 0
	v_mov_b32_e32 v7, 0
	s_and_saveexec_b64 s[6:7], vcc
	s_cbranch_execz .LBB164_76
; %bb.75:
	v_mov_b32_e32 v7, 0
	v_lshl_add_u64 v[20:21], v[4:5], 0, v[6:7]
	global_load_ushort v7, v[20:21], off offset:32
	s_waitcnt vmcnt(0)
	v_lshlrev_b32_e32 v7, 16, v7
	v_sub_f32_e32 v0, v7, v0
	v_mul_f32_e32 v0, v16, v0
	v_lshrrev_b32_e32 v7, 16, v0
.LBB164_76:
	s_or_b64 exec, exec, s[6:7]
	s_and_saveexec_b64 s[6:7], s[0:1]
	s_cbranch_execz .LBB164_78
; %bb.77:
	v_mov_b32_e32 v9, 0
	v_lshl_add_u64 v[20:21], v[4:5], 0, v[8:9]
	global_load_ushort v0, v[20:21], off offset:32
	s_waitcnt vmcnt(0)
	v_lshlrev_b32_e32 v0, 16, v0
	v_sub_f32_e32 v0, v0, v1
	v_mul_f32_e32 v0, v14, v0
	v_lshrrev_b32_e32 v9, 16, v0
.LBB164_78:
	s_or_b64 exec, exec, s[6:7]
	v_mov_b32_e32 v13, 0
	v_mov_b32_e32 v11, 0
	s_and_saveexec_b64 s[6:7], s[2:3]
	s_cbranch_execz .LBB164_80
; %bb.79:
	v_mov_b32_e32 v11, 0
	v_lshl_add_u64 v[0:1], v[4:5], 0, v[10:11]
	global_load_ushort v0, v[0:1], off offset:32
	s_waitcnt vmcnt(0)
	v_lshlrev_b32_e32 v0, 16, v0
	v_sub_f32_e32 v0, v0, v2
	v_mul_f32_e32 v0, v17, v0
	v_lshrrev_b32_e32 v11, 16, v0
.LBB164_80:
	s_or_b64 exec, exec, s[6:7]
	s_and_saveexec_b64 s[6:7], s[4:5]
	s_cbranch_execz .LBB164_82
; %bb.81:
	v_mov_b32_e32 v13, 0
	v_lshl_add_u64 v[0:1], v[4:5], 0, v[12:13]
	global_load_ushort v0, v[0:1], off offset:32
	s_waitcnt vmcnt(0)
	v_lshlrev_b32_e32 v0, 16, v0
	v_sub_f32_e32 v0, v0, v3
	v_mul_f32_e32 v0, v15, v0
	v_lshrrev_b32_e32 v13, 16, v0
.LBB164_82:
	s_or_b64 exec, exec, s[6:7]
	s_mov_b32 s6, 0x5040100
	v_perm_b32 v20, v9, v7, s6
	v_or_b32_e32 v7, v18, v23
	v_accvgpr_read_b32 v0, a4
	v_perm_b32 v21, v13, v11, s6
	v_lshlrev_b32_e32 v7, 1, v7
	v_accvgpr_read_b32 v1, a5
	v_accvgpr_read_b32 v2, a6
	;; [unrolled: 1-line block ×3, first 2 shown]
	ds_write_b64 v7, v[20:21] offset:24576
	v_mov_b32_e32 v9, 0
	v_mov_b32_e32 v7, 0
	s_and_saveexec_b64 s[6:7], vcc
	s_cbranch_execz .LBB164_84
; %bb.83:
	v_mov_b32_e32 v7, 0
	v_lshl_add_u64 v[20:21], v[4:5], 0, v[6:7]
	global_load_ushort v7, v[20:21], off offset:64
	s_waitcnt vmcnt(0)
	v_lshlrev_b32_e32 v7, 16, v7
	v_sub_f32_e32 v0, v7, v0
	v_mul_f32_e32 v0, v16, v0
	v_lshrrev_b32_e32 v7, 16, v0
.LBB164_84:
	s_or_b64 exec, exec, s[6:7]
	s_and_saveexec_b64 s[6:7], s[0:1]
	s_cbranch_execz .LBB164_86
; %bb.85:
	v_mov_b32_e32 v9, 0
	v_lshl_add_u64 v[20:21], v[4:5], 0, v[8:9]
	global_load_ushort v0, v[20:21], off offset:64
	s_waitcnt vmcnt(0)
	v_lshlrev_b32_e32 v0, 16, v0
	v_sub_f32_e32 v0, v0, v1
	v_mul_f32_e32 v0, v14, v0
	v_lshrrev_b32_e32 v9, 16, v0
.LBB164_86:
	s_or_b64 exec, exec, s[6:7]
	v_mov_b32_e32 v13, 0
	v_mov_b32_e32 v11, 0
	s_and_saveexec_b64 s[6:7], s[2:3]
	s_cbranch_execz .LBB164_88
; %bb.87:
	v_mov_b32_e32 v11, 0
	v_lshl_add_u64 v[0:1], v[4:5], 0, v[10:11]
	global_load_ushort v0, v[0:1], off offset:64
	s_waitcnt vmcnt(0)
	v_lshlrev_b32_e32 v0, 16, v0
	v_sub_f32_e32 v0, v0, v2
	v_mul_f32_e32 v0, v17, v0
	v_lshrrev_b32_e32 v11, 16, v0
.LBB164_88:
	s_or_b64 exec, exec, s[6:7]
	s_and_saveexec_b64 s[6:7], s[4:5]
	s_cbranch_execz .LBB164_90
; %bb.89:
	v_mov_b32_e32 v13, 0
	v_lshl_add_u64 v[0:1], v[4:5], 0, v[12:13]
	global_load_ushort v0, v[0:1], off offset:64
	s_waitcnt vmcnt(0)
	v_lshlrev_b32_e32 v0, 16, v0
	v_sub_f32_e32 v0, v0, v3
	v_mul_f32_e32 v0, v15, v0
	v_lshrrev_b32_e32 v13, 16, v0
.LBB164_90:
	s_or_b64 exec, exec, s[6:7]
	s_mov_b32 s6, 0x5040100
	v_perm_b32 v20, v9, v7, s6
	v_or_b32_e32 v7, v18, v22
	v_accvgpr_read_b32 v0, a0
	v_perm_b32 v21, v13, v11, s6
	v_lshlrev_b32_e32 v7, 1, v7
	v_accvgpr_read_b32 v1, a1
	v_accvgpr_read_b32 v2, a2
	;; [unrolled: 1-line block ×3, first 2 shown]
	ds_write_b64 v7, v[20:21] offset:24576
	v_mov_b32_e32 v9, 0
	v_mov_b32_e32 v7, 0
	s_and_saveexec_b64 s[6:7], vcc
	s_cbranch_execz .LBB164_92
; %bb.91:
	v_mov_b32_e32 v7, 0
	v_lshl_add_u64 v[6:7], v[4:5], 0, v[6:7]
	global_load_ushort v6, v[6:7], off offset:96
	s_waitcnt vmcnt(0)
	v_lshlrev_b32_e32 v6, 16, v6
	v_sub_f32_e32 v0, v6, v0
	v_mul_f32_e32 v0, v16, v0
	v_lshrrev_b32_e32 v7, 16, v0
.LBB164_92:
	s_or_b64 exec, exec, s[6:7]
	s_and_saveexec_b64 s[6:7], s[0:1]
	s_cbranch_execz .LBB164_94
; %bb.93:
	v_mov_b32_e32 v9, 0
	v_lshl_add_u64 v[8:9], v[4:5], 0, v[8:9]
	global_load_ushort v0, v[8:9], off offset:96
	s_waitcnt vmcnt(0)
	v_lshlrev_b32_e32 v0, 16, v0
	v_sub_f32_e32 v0, v0, v1
	v_mul_f32_e32 v0, v14, v0
	v_lshrrev_b32_e32 v9, 16, v0
.LBB164_94:
	s_or_b64 exec, exec, s[6:7]
	v_mov_b32_e32 v0, 0
	v_mov_b32_e32 v1, 0
	s_and_saveexec_b64 s[0:1], s[2:3]
	s_cbranch_execz .LBB164_96
; %bb.95:
	v_mov_b32_e32 v11, 0
	v_lshl_add_u64 v[10:11], v[4:5], 0, v[10:11]
	global_load_ushort v1, v[10:11], off offset:96
	s_waitcnt vmcnt(0)
	v_lshlrev_b32_e32 v1, 16, v1
	v_sub_f32_e32 v1, v1, v2
	v_mul_f32_e32 v1, v17, v1
	v_lshrrev_b32_e32 v1, 16, v1
.LBB164_96:
	s_or_b64 exec, exec, s[0:1]
	s_and_saveexec_b64 s[0:1], s[4:5]
	s_cbranch_execz .LBB164_98
; %bb.97:
	v_mov_b32_e32 v13, 0
	v_lshl_add_u64 v[4:5], v[4:5], 0, v[12:13]
	global_load_ushort v0, v[4:5], off offset:96
	s_waitcnt vmcnt(0)
	v_lshlrev_b32_e32 v0, 16, v0
	v_sub_f32_e32 v0, v0, v3
	v_mul_f32_e32 v0, v15, v0
	v_lshrrev_b32_e32 v0, 16, v0
.LBB164_98:
	s_or_b64 exec, exec, s[0:1]
	s_mov_b32 s0, 0x5040100
	v_or_b32_e32 v2, v18, v19
	v_perm_b32 v1, v0, v1, s0
	v_perm_b32 v0, v9, v7, s0
	v_lshlrev_b32_e32 v2, 1, v2
	ds_write_b64 v2, v[0:1] offset:24576
	s_waitcnt lgkmcnt(0)
	s_barrier
.LBB164_99:
	s_endpgm
	.section	.rodata,"a",@progbits
	.p2align	6, 0x0
	.amdhsa_kernel _ZN12_GLOBAL__N_139chunk_gated_delta_rule_fwd_h_hip_kernelILi64ELb1ELb0ELb0ELb1ELb1ELb0ELb1ELb0EEEvPK12hip_bfloat16S3_S3_PKfS5_PKvPS1_S8_PvPKiSB_iiiiilll
		.amdhsa_group_segment_fixed_size 65536
		.amdhsa_private_segment_fixed_size 0
		.amdhsa_kernarg_size 136
		.amdhsa_user_sgpr_count 2
		.amdhsa_user_sgpr_dispatch_ptr 0
		.amdhsa_user_sgpr_queue_ptr 0
		.amdhsa_user_sgpr_kernarg_segment_ptr 1
		.amdhsa_user_sgpr_dispatch_id 0
		.amdhsa_user_sgpr_kernarg_preload_length 0
		.amdhsa_user_sgpr_kernarg_preload_offset 0
		.amdhsa_user_sgpr_private_segment_size 0
		.amdhsa_uses_dynamic_stack 0
		.amdhsa_enable_private_segment 0
		.amdhsa_system_sgpr_workgroup_id_x 1
		.amdhsa_system_sgpr_workgroup_id_y 1
		.amdhsa_system_sgpr_workgroup_id_z 0
		.amdhsa_system_sgpr_workgroup_info 0
		.amdhsa_system_vgpr_workitem_id 0
		.amdhsa_next_free_vgpr 216
		.amdhsa_next_free_sgpr 61
		.amdhsa_accum_offset 180
		.amdhsa_reserve_vcc 1
		.amdhsa_float_round_mode_32 0
		.amdhsa_float_round_mode_16_64 0
		.amdhsa_float_denorm_mode_32 3
		.amdhsa_float_denorm_mode_16_64 3
		.amdhsa_dx10_clamp 1
		.amdhsa_ieee_mode 1
		.amdhsa_fp16_overflow 0
		.amdhsa_tg_split 0
		.amdhsa_exception_fp_ieee_invalid_op 0
		.amdhsa_exception_fp_denorm_src 0
		.amdhsa_exception_fp_ieee_div_zero 0
		.amdhsa_exception_fp_ieee_overflow 0
		.amdhsa_exception_fp_ieee_underflow 0
		.amdhsa_exception_fp_ieee_inexact 0
		.amdhsa_exception_int_div_zero 0
	.end_amdhsa_kernel
	.section	.text._ZN12_GLOBAL__N_139chunk_gated_delta_rule_fwd_h_hip_kernelILi64ELb1ELb0ELb0ELb1ELb1ELb0ELb1ELb0EEEvPK12hip_bfloat16S3_S3_PKfS5_PKvPS1_S8_PvPKiSB_iiiiilll,"axG",@progbits,_ZN12_GLOBAL__N_139chunk_gated_delta_rule_fwd_h_hip_kernelILi64ELb1ELb0ELb0ELb1ELb1ELb0ELb1ELb0EEEvPK12hip_bfloat16S3_S3_PKfS5_PKvPS1_S8_PvPKiSB_iiiiilll,comdat
.Lfunc_end164:
	.size	_ZN12_GLOBAL__N_139chunk_gated_delta_rule_fwd_h_hip_kernelILi64ELb1ELb0ELb0ELb1ELb1ELb0ELb1ELb0EEEvPK12hip_bfloat16S3_S3_PKfS5_PKvPS1_S8_PvPKiSB_iiiiilll, .Lfunc_end164-_ZN12_GLOBAL__N_139chunk_gated_delta_rule_fwd_h_hip_kernelILi64ELb1ELb0ELb0ELb1ELb1ELb0ELb1ELb0EEEvPK12hip_bfloat16S3_S3_PKfS5_PKvPS1_S8_PvPKiSB_iiiiilll
                                        ; -- End function
	.section	.AMDGPU.csdata,"",@progbits
; Kernel info:
; codeLenInByte = 10616
; NumSgprs: 67
; NumVgprs: 178
; NumAgprs: 36
; TotalNumVgprs: 216
; ScratchSize: 0
; MemoryBound: 0
; FloatMode: 240
; IeeeMode: 1
; LDSByteSize: 65536 bytes/workgroup (compile time only)
; SGPRBlocks: 8
; VGPRBlocks: 26
; NumSGPRsForWavesPerEU: 67
; NumVGPRsForWavesPerEU: 216
; AccumOffset: 180
; Occupancy: 1
; WaveLimiterHint : 1
; COMPUTE_PGM_RSRC2:SCRATCH_EN: 0
; COMPUTE_PGM_RSRC2:USER_SGPR: 2
; COMPUTE_PGM_RSRC2:TRAP_HANDLER: 0
; COMPUTE_PGM_RSRC2:TGID_X_EN: 1
; COMPUTE_PGM_RSRC2:TGID_Y_EN: 1
; COMPUTE_PGM_RSRC2:TGID_Z_EN: 0
; COMPUTE_PGM_RSRC2:TIDIG_COMP_CNT: 0
; COMPUTE_PGM_RSRC3_GFX90A:ACCUM_OFFSET: 44
; COMPUTE_PGM_RSRC3_GFX90A:TG_SPLIT: 0
	.section	.text._ZN12_GLOBAL__N_139chunk_gated_delta_rule_fwd_h_hip_kernelILi64ELb0ELb1ELb1ELb1ELb1ELb0ELb1ELb0EEEvPK12hip_bfloat16S3_S3_PKfS5_PKvPS1_S8_PvPKiSB_iiiiilll,"axG",@progbits,_ZN12_GLOBAL__N_139chunk_gated_delta_rule_fwd_h_hip_kernelILi64ELb0ELb1ELb1ELb1ELb1ELb0ELb1ELb0EEEvPK12hip_bfloat16S3_S3_PKfS5_PKvPS1_S8_PvPKiSB_iiiiilll,comdat
	.globl	_ZN12_GLOBAL__N_139chunk_gated_delta_rule_fwd_h_hip_kernelILi64ELb0ELb1ELb1ELb1ELb1ELb0ELb1ELb0EEEvPK12hip_bfloat16S3_S3_PKfS5_PKvPS1_S8_PvPKiSB_iiiiilll ; -- Begin function _ZN12_GLOBAL__N_139chunk_gated_delta_rule_fwd_h_hip_kernelILi64ELb0ELb1ELb1ELb1ELb1ELb0ELb1ELb0EEEvPK12hip_bfloat16S3_S3_PKfS5_PKvPS1_S8_PvPKiSB_iiiiilll
	.p2align	8
	.type	_ZN12_GLOBAL__N_139chunk_gated_delta_rule_fwd_h_hip_kernelILi64ELb0ELb1ELb1ELb1ELb1ELb0ELb1ELb0EEEvPK12hip_bfloat16S3_S3_PKfS5_PKvPS1_S8_PvPKiSB_iiiiilll,@function
_ZN12_GLOBAL__N_139chunk_gated_delta_rule_fwd_h_hip_kernelILi64ELb0ELb1ELb1ELb1ELb1ELb0ELb1ELb0EEEvPK12hip_bfloat16S3_S3_PKfS5_PKvPS1_S8_PvPKiSB_iiiiilll: ; @_ZN12_GLOBAL__N_139chunk_gated_delta_rule_fwd_h_hip_kernelILi64ELb0ELb1ELb1ELb1ELb1ELb0ELb1ELb0EEEvPK12hip_bfloat16S3_S3_PKfS5_PKvPS1_S8_PvPKiSB_iiiiilll
; %bb.0:
	s_load_dwordx4 s[20:23], s[0:1], 0x5c
	s_abs_i32 s27, s3
	s_ashr_i32 s26, s3, 31
	s_load_dwordx2 s[24:25], s[0:1], 0x50
	s_load_dwordx8 s[4:11], s[0:1], 0x30
	s_load_dwordx8 s[12:19], s[0:1], 0x0
	s_waitcnt lgkmcnt(0)
	s_abs_i32 s30, s21
	v_cvt_f32_u32_e32 v1, s30
	s_sub_i32 s28, 0, s30
	s_ashr_i32 s33, s21, 31
	s_xor_b32 s26, s26, s33
	v_rcp_iflag_f32_e32 v1, v1
	v_lshrrev_b32_e32 v74, 6, v0
	v_bfe_u32 v77, v0, 4, 2
	v_lshlrev_b32_e32 v75, 4, v74
	v_mul_f32_e32 v1, 0x4f7ffffe, v1
	v_cvt_u32_f32_e32 v1, v1
	v_lshlrev_b32_e32 v34, 2, v77
	v_and_b32_e32 v76, 63, v0
	v_mov_b32_e32 v5, 0
	v_readfirstlane_b32 s29, v1
	s_mul_i32 s28, s28, s29
	s_mul_hi_u32 s28, s29, s28
	s_add_i32 s29, s29, s28
	s_mul_hi_u32 s28, s27, s29
	s_mul_i32 s29, s28, s30
	s_sub_i32 s27, s27, s29
	s_add_i32 s31, s28, 1
	s_sub_i32 s29, s27, s30
	s_cmp_ge_u32 s27, s30
	s_cselect_b32 s28, s31, s28
	s_cselect_b32 s27, s29, s27
	s_add_i32 s29, s28, 1
	s_cmp_ge_u32 s27, s30
	s_cselect_b32 s27, s29, s28
	s_xor_b32 s27, s27, s26
	s_sub_i32 s34, s27, s26
	s_mul_i32 s26, s34, s21
	s_ashr_i32 s35, s34, 31
	s_sub_i32 s46, s3, s26
	s_lshl_b64 s[26:27], s[34:35], 2
	s_add_u32 s10, s10, s26
	s_addc_u32 s11, s11, s27
	s_add_u32 s28, s24, s26
	s_addc_u32 s29, s25, s27
	s_abs_i32 s3, s22
	v_cvt_f32_u32_e32 v1, s3
	s_load_dwordx2 s[40:41], s[10:11], 0x0
	s_sub_i32 s11, 0, s3
	s_mov_b32 s47, s21
	v_rcp_iflag_f32_e32 v1, v1
	v_and_b32_e32 v78, 15, v0
	s_waitcnt lgkmcnt(0)
	s_sub_i32 s56, s41, s40
	s_ashr_i32 s10, s56, 31
	v_mul_f32_e32 v1, 0x4f7ffffe, v1
	v_cvt_u32_f32_e32 v1, v1
	s_lshr_b32 s10, s10, 26
	s_add_i32 s10, s56, s10
	s_ashr_i32 s51, s10, 6
	v_readfirstlane_b32 s24, v1
	s_mul_i32 s11, s11, s24
	s_mul_hi_u32 s11, s24, s11
	s_add_i32 s24, s24, s11
	s_mul_hi_u32 s11, s30, s24
	s_mul_i32 s24, s11, s3
	s_ashr_i32 s10, s22, 31
	s_sub_i32 s24, s30, s24
	s_xor_b32 s10, s33, s10
	s_add_i32 s25, s11, 1
	s_sub_i32 s26, s24, s3
	s_cmp_ge_u32 s24, s3
	s_cselect_b32 s11, s25, s11
	s_cselect_b32 s24, s26, s24
	s_add_i32 s25, s11, 1
	s_cmp_ge_u32 s24, s3
	s_cselect_b32 s3, s25, s11
	s_xor_b32 s3, s3, s10
	s_sub_i32 s3, s3, s10
	s_abs_i32 s30, s3
	v_cvt_f32_u32_e32 v1, s30
	s_load_dwordx2 s[10:11], s[0:1], 0x80
	s_load_dwordx4 s[24:27], s[0:1], 0x70
	s_load_dword s52, s[28:29], 0x0
	s_xor_b32 s0, s46, s3
	v_rcp_iflag_f32_e32 v1, v1
	s_sub_i32 s3, 0, s30
	s_abs_i32 s1, s46
	s_ashr_i32 s0, s0, 31
	v_mul_f32_e32 v1, 0x4f7ffffe, v1
	v_cvt_u32_f32_e32 v1, v1
	s_mul_hi_i32 s53, s46, s20
	s_mul_i32 s54, s46, s20
	v_lshrrev_b32_e32 v80, 3, v76
	v_readfirstlane_b32 s28, v1
	s_mul_i32 s3, s3, s28
	s_mul_hi_u32 s3, s28, s3
	s_add_i32 s28, s28, s3
	s_mul_hi_u32 s3, s1, s28
	s_mul_i32 s28, s3, s30
	s_sub_i32 s1, s1, s28
	s_add_i32 s28, s3, 1
	s_sub_i32 s29, s1, s30
	s_cmp_ge_u32 s1, s30
	s_cselect_b32 s3, s28, s3
	s_cselect_b32 s1, s29, s1
	s_add_i32 s28, s3, 1
	s_cmp_ge_u32 s1, s30
	s_cselect_b32 s1, s28, s3
	s_xor_b32 s1, s1, s0
	s_sub_i32 s55, s1, s0
	v_or_b32_e32 v1, v34, v75
	s_lshl_b32 s2, s2, 6
	v_or_b32_e32 v81, 64, v1
	s_cmp_lt_i32 s56, 64
	v_lshlrev_b32_e32 v79, 3, v0
	s_waitcnt lgkmcnt(0)
	s_mul_i32 s48, s34, s25
	s_mul_hi_u32 s49, s34, s24
	s_mul_i32 s50, s35, s24
	s_mul_i32 s24, s34, s24
	v_mov_b32_e32 v4, v5
	v_mov_b32_e32 v3, v5
	;; [unrolled: 1-line block ×31, first 2 shown]
	s_cbranch_scc1 .LBB165_18
; %bb.1:
	s_ashr_i32 s58, s46, 31
	s_ashr_i32 s1, s40, 31
	s_add_u32 s0, s54, s40
	s_addc_u32 s1, s53, s1
	s_lshl_b64 s[0:1], s[0:1], 8
	v_and_b32_e32 v83, 56, v79
	s_add_u32 s28, s14, s0
	v_lshl_or_b32 v82, v74, 3, v80
	v_lshlrev_b32_e32 v2, 1, v83
	s_addc_u32 s0, s15, s1
	v_lshl_or_b32 v84, v82, 8, v2
	s_and_b32 s29, s0, 0xffff
	s_mov_b32 s31, 0x20000
	s_movk_i32 s30, 0x4000
	s_movk_i32 s0, 0x80
	v_or_b32_e32 v85, 0x2000, v84
	buffer_load_dwordx4 v[4:7], v84, s[28:31], 0 offen
	buffer_load_dwordx4 v[8:11], v84, s[28:31], s0 offen
	;; [unrolled: 1-line block ×4, first 2 shown]
	v_lshlrev_b32_e32 v3, 3, v82
	v_and_or_b32 v21, v0, 7, v3
	v_and_b32_e32 v3, 0x78, v3
	v_lshlrev_b32_e32 v21, 4, v21
	v_xor_b32_e32 v86, v21, v3
	v_mul_lo_u32 v20, v82, s23
	v_or_b32_e32 v87, 0x1000, v86
	v_xor_b32_e32 v3, 8, v86
	s_cmpk_eq_i32 s23, 0x80
	s_mov_b32 s57, s40
	v_xor_b32_e32 v21, 8, v87
	s_cselect_b64 s[0:1], -1, 0
	s_cmpk_lg_i32 s23, 0x80
	s_waitcnt vmcnt(3)
	ds_write_b64 v86, v[4:5] offset:49152
	ds_write_b64 v3, v[6:7] offset:49152
	s_waitcnt vmcnt(2)
	ds_write_b64 v86, v[8:9] offset:57344
	ds_write_b64 v3, v[10:11] offset:57344
	;; [unrolled: 3-line block ×4, first 2 shown]
	v_lshl_add_u32 v3, v20, 1, v83
	s_cbranch_scc0 .LBB165_3
; %bb.2:
	v_lshlrev_b32_e32 v5, 1, v3
	v_add_lshl_u32 v4, v3, s23, 1
	s_lshl_b32 s30, s23, 7
	v_lshl_or_b32 v2, v82, 9, v2
	s_cbranch_execz .LBB165_4
	s_branch .LBB165_5
.LBB165_3:
                                        ; implicit-def: $vgpr4
                                        ; implicit-def: $vgpr5
                                        ; implicit-def: $sgpr30
	v_lshl_or_b32 v2, v82, 9, v2
.LBB165_4:
	v_or_b32_e32 v4, 0x100, v2
	s_movk_i32 s30, 0x4000
	v_mov_b32_e32 v5, v2
.LBB165_5:
	s_mul_i32 s25, s40, s22
	s_ashr_i32 s59, s55, 31
	s_mul_hi_i32 s3, s40, s22
	s_add_u32 s28, s25, s55
	s_addc_u32 s29, s3, s59
	s_lshl_b64 s[28:29], s[28:29], 8
	s_add_u32 s28, s12, s28
	s_addc_u32 s3, s13, s29
	s_and_b32 s29, s3, 0xffff
	s_movk_i32 s60, 0x80
	buffer_load_dwordx4 v[6:9], v5, s[28:31], 0 offen
	buffer_load_dwordx4 v[10:13], v5, s[28:31], s60 offen
	buffer_load_dwordx4 v[14:17], v4, s[28:31], 0 offen
	buffer_load_dwordx4 v[18:21], v4, s[28:31], s60 offen
	v_and_b32_e32 v5, 6, v0
	v_lshlrev_b32_e32 v4, 7, v1
	v_xor_b32_e32 v27, v82, v5
	v_and_b32_e32 v22, 1, v0
	v_lshl_or_b32 v30, v78, 3, v4
	v_lshlrev_b32_e32 v27, 2, v27
	v_lshlrev_b32_e32 v23, 2, v78
	v_or_b32_e32 v88, 0x4000, v30
	v_or_b32_e32 v89, 0x6000, v30
	v_xor_b32_e32 v30, 0x440, v27
	v_cmp_eq_u32_e32 vcc, 0, v22
	v_or_b32_e32 v25, 16, v78
	v_or_b32_e32 v26, 32, v78
	v_xor_b32_e32 v28, v1, v23
	v_xor_b32_e32 v29, v81, v23
	v_cndmask_b32_e32 v22, v30, v27, vcc
	s_add_i32 s3, s49, s48
	s_mov_b32 s61, 0x1000504
	v_lshl_or_b32 v31, v25, 3, v4
	v_lshlrev_b32_e32 v25, 8, v25
	v_lshl_or_b32 v32, v26, 3, v4
	v_lshlrev_b32_e32 v28, 1, v28
	v_lshlrev_b32_e32 v29, 1, v29
	v_lshl_or_b32 v5, v5, 10, v22
	s_add_i32 s25, s3, s50
	s_mul_i32 s3, s46, s27
	s_mul_hi_u32 s28, s46, s26
	s_mov_b32 s62, 0x3020706
	v_lshlrev_b32_e32 v24, 8, v78
	v_or_b32_e32 v92, 0x4000, v32
	v_or_b32_e32 v93, 0x6000, v32
	;; [unrolled: 1-line block ×4, first 2 shown]
	v_xor_b32_e32 v22, 8, v5
	v_xor_b32_e32 v25, 24, v5
	;; [unrolled: 1-line block ×4, first 2 shown]
	s_add_i32 s3, s28, s3
	s_mul_i32 s28, s58, s26
	v_or_b32_e32 v90, 0x4000, v31
	v_or_b32_e32 v91, 0x6000, v31
	;; [unrolled: 1-line block ×4, first 2 shown]
	v_xor_b32_e32 v24, 16, v5
	v_xor_b32_e32 v27, 32, v5
	;; [unrolled: 1-line block ×3, first 2 shown]
	v_add_u32_e32 v22, 0x80, v22
	v_add_u32_e32 v25, 0x80, v25
	;; [unrolled: 1-line block ×4, first 2 shown]
	s_add_i32 s29, s3, s28
	s_lshl_b64 s[36:37], s[24:25], 2
	s_mul_i32 s28, s46, s26
	s_add_u32 s3, s18, s36
	s_addc_u32 s25, s19, s37
	s_lshl_b64 s[28:29], s[28:29], 2
	s_add_u32 s42, s3, s28
	s_movk_i32 s3, 0xf8
	s_addc_u32 s43, s25, s29
	s_lshl_b32 s38, s23, 7
	s_movk_i32 s25, 0x100
	v_mov_b32_e32 v67, 0
	v_lshlrev_b32_e32 v66, 4, v78
	v_cmp_gt_u32_e32 vcc, s25, v0
	v_lshlrev_b32_e32 v26, 8, v26
	s_mov_b32 s63, 0
	s_movk_i32 s30, 0x4000
	v_or_b32_e32 v98, v26, v28
	v_or_b32_e32 v99, v26, v29
	v_add_u32_e32 v128, v75, v34
	s_movk_i32 s25, 0x2000
	s_movk_i32 s64, 0x3000
	v_mov_b32_e32 v26, v67
	s_waitcnt vmcnt(1)
	v_perm_b32 v33, v6, v14, s61
	s_waitcnt vmcnt(0)
	v_perm_b32 v35, v10, v18, s61
	v_perm_b32 v6, v6, v14, s62
	;; [unrolled: 1-line block ×15, first 2 shown]
	ds_write2st64_b32 v5, v33, v35 offset0:128 offset1:160
	ds_write2st64_b32 v22, v6, v10 offset0:128 offset1:160
	;; [unrolled: 1-line block ×8, first 2 shown]
	v_or_b32_e32 v5, 48, v78
	v_lshl_or_b32 v6, v5, 3, v4
	v_lshlrev_b32_e32 v5, 8, v5
	v_or_b32_e32 v102, v5, v28
	v_or_b32_e32 v103, v5, v29
	;; [unrolled: 1-line block ×3, first 2 shown]
	v_lshlrev_b32_e32 v5, 3, v5
	v_lshrrev_b32_e32 v7, 5, v76
	v_and_or_b32 v7, v5, s3, v7
	v_lshlrev_b32_e32 v7, 4, v7
	v_lshlrev_b32_e32 v10, 11, v74
	v_and_b32_e32 v5, 0x78, v5
	v_or_b32_e32 v13, 32, v7
	v_or_b32_e32 v100, 0x4000, v6
	;; [unrolled: 1-line block ×3, first 2 shown]
	v_and_b32_e32 v6, 0x1000, v10
	v_xor_b32_e32 v8, v7, v5
	v_lshrrev_b32_e32 v11, 1, v0
	v_xor_b32_e32 v13, v13, v5
	v_or_b32_e32 v8, v8, v6
	v_and_b32_e32 v9, 8, v11
	v_lshlrev_b32_e32 v12, 8, v77
	v_or_b32_e32 v13, v13, v6
	v_xor_b32_e32 v104, v8, v9
	v_or_b32_e32 v8, v12, v23
	v_xor_b32_e32 v106, v13, v9
	v_or_b32_e32 v13, 64, v7
	v_or_b32_e32 v7, 0x60, v7
	s_ashr_i32 s3, s2, 31
	v_lshlrev_b32_e32 v8, 1, v8
	v_xor_b32_e32 v13, v13, v5
	v_xor_b32_e32 v5, v7, v5
	s_lshl_b64 s[28:29], s[2:3], 8
	v_or_b32_e32 v105, 0x4000, v8
	v_or_b32_e32 v107, 0x4080, v8
	;; [unrolled: 1-line block ×10, first 2 shown]
	s_add_u32 s28, s4, s28
	v_lshlrev_b32_e32 v8, 1, v78
	v_xor_b32_e32 v110, v13, v9
	v_xor_b32_e32 v111, v5, v9
	v_lshrrev_b32_e32 v14, 4, v0
	s_addc_u32 s29, s5, s29
	v_or_b32_e32 v9, 1, v8
	v_mov_b32_e32 v18, 0xa000
	v_mov_b32_e32 v19, 0x8000
	v_xor_b32_e32 v15, v14, v8
	v_xor_b32_e32 v16, v9, v14
	v_lshl_add_u64 v[8:9], s[28:29], 0, v[66:67]
	v_lshlrev_b32_e32 v66, 8, v14
	v_cndmask_b32_e32 v18, v18, v19, vcc
	v_lshlrev_b32_e32 v19, 3, v74
	v_and_b32_e32 v11, 24, v11
	v_lshl_or_b32 v116, v15, 3, v66
	v_and_b32_e32 v15, 8, v0
	v_xor_b32_e32 v20, v19, v11
	v_or_b32_e32 v21, 0x440, v20
	v_cmp_eq_u32_e32 vcc, 0, v15
	v_and_b32_e32 v14, 7, v0
	v_lshl_or_b32 v117, v16, 3, v66
	v_cndmask_b32_e32 v15, v21, v20, vcc
	v_lshlrev_b32_e32 v16, 3, v14
	v_lshlrev_b32_e32 v14, 7, v14
	v_or_b32_e32 v15, v15, v10
	v_lshlrev_b32_e32 v17, 2, v0
	v_xad_u32 v118, v15, v16, v14
	v_or_b32_e32 v15, 32, v11
	v_and_or_b32 v12, v17, 60, v12
	v_xor_b32_e32 v15, v19, v15
	v_lshlrev_b32_e32 v12, 1, v12
	v_or_b32_e32 v17, 0x440, v15
	v_or_b32_e32 v119, 0x6000, v12
	v_cndmask_b32_e32 v15, v17, v15, vcc
	v_or_b32_e32 v121, 0x6080, v12
	v_or_b32_e32 v122, 0x6100, v12
	;; [unrolled: 1-line block ×5, first 2 shown]
	v_xor_b32_e32 v12, v19, v12
	v_xad_u32 v120, v15, v16, v14
	v_xor_b32_e32 v15, 0x440, v12
	v_cndmask_b32_e32 v12, v15, v12, vcc
	v_or_b32_e32 v11, 0x60, v11
	v_or_b32_e32 v12, v12, v10
	v_xor_b32_e32 v11, v19, v11
	v_xad_u32 v124, v12, v16, v14
	v_xor_b32_e32 v12, 0x440, v11
	v_or_b32_e32 v6, s2, v78
	v_cndmask_b32_e32 v11, v12, v11, vcc
	v_ashrrev_i32_e32 v7, 31, v6
	v_lshlrev_b32_e32 v5, 1, v3
	v_add_lshl_u32 v3, v3, s23, 1
	v_or_b32_e32 v13, 0x100, v2
	v_or_b32_e32 v10, v11, v10
	v_xad_u32 v125, v10, v16, v14
	v_cndmask_b32_e64 v126, v5, v2, s[0:1]
	v_cndmask_b32_e64 v127, v3, v13, s[0:1]
	v_lshlrev_b64 v[2:3], 1, v[6:7]
	v_lshl_add_u64 v[68:69], s[16:17], 0, v[2:3]
	v_lshl_add_u64 v[70:71], s[6:7], 0, v[2:3]
	;; [unrolled: 1-line block ×3, first 2 shown]
	s_mov_b32 s3, 0x7060302
	v_lshlrev_b32_e32 v66, 1, v4
	v_add_u32_e32 v129, v18, v118
	v_add_u32_e32 v130, v18, v120
	;; [unrolled: 1-line block ×4, first 2 shown]
	v_mov_b32_e32 v27, v67
	v_mov_b32_e32 v28, v67
	;; [unrolled: 1-line block ×31, first 2 shown]
	s_waitcnt lgkmcnt(0)
	s_barrier
.LBB165_6:                              ; =>This Inner Loop Header: Depth=1
	s_add_i32 s65, s63, 1
	s_cmp_lt_i32 s65, s51
	s_mov_b64 s[36:37], 0
	s_cselect_b64 s[44:45], -1, 0
	s_cmp_ge_i32 s65, s51
	s_mov_b64 s[28:29], 0
	s_cbranch_scc1 .LBB165_8
; %bb.7:                                ;   in Loop: Header=BB165_6 Depth=1
	s_add_i32 s0, s57, 64
	s_ashr_i32 s1, s0, 31
	s_add_u32 s0, s54, s0
	s_addc_u32 s1, s53, s1
	s_lshl_b64 s[0:1], s[0:1], 8
	s_add_u32 s28, s14, s0
	s_addc_u32 s29, s15, s1
.LBB165_8:                              ;   in Loop: Header=BB165_6 Depth=1
	v_cndmask_b32_e64 v34, 0, 1, s[44:45]
	v_cmp_ne_u32_e64 s[0:1], 1, v34
	s_andn2_b64 vcc, exec, s[44:45]
	s_cbranch_vccnz .LBB165_10
; %bb.9:                                ;   in Loop: Header=BB165_6 Depth=1
	s_add_i32 s36, s57, 64
	s_mul_hi_i32 s37, s36, s22
	s_mul_i32 s36, s36, s22
	s_add_u32 s36, s36, s55
	s_addc_u32 s37, s37, s59
	s_lshl_b64 s[36:37], s[36:37], 8
	s_add_u32 s36, s12, s36
	s_addc_u32 s37, s13, s37
.LBB165_10:                             ;   in Loop: Header=BB165_6 Depth=1
	v_perm_b32 v35, v33, v32, s3
	v_perm_b32 v34, v31, v30, s3
	v_perm_b32 v37, v29, v28, s3
	v_perm_b32 v36, v27, v26, s3
	ds_write_b64 v88, v[34:35]
	ds_write_b64 v89, v[36:37]
	ds_write_b64 v94, v[34:35]
	ds_write_b64 v95, v[36:37]
	v_perm_b32 v35, v25, v24, s3
	v_perm_b32 v34, v23, v22, s3
	v_perm_b32 v37, v21, v20, s3
	v_perm_b32 v36, v19, v18, s3
	ds_write_b64 v90, v[34:35]
	ds_write_b64 v91, v[36:37]
	ds_write_b64 v96, v[34:35]
	ds_write_b64 v97, v[36:37]
	;; [unrolled: 8-line block ×4, first 2 shown]
	s_waitcnt lgkmcnt(0)
	s_barrier
	ds_read_b64 v[38:39], v104 offset:49152
	ds_read2_b64 v[34:37], v105 offset1:16
	ds_read_b64 v[50:51], v107 offset:6144
	ds_read_b64 v[52:53], v105 offset:6144
	s_waitcnt lgkmcnt(2)
	v_mfma_f32_16x16x16_bf16 a[0:3], v[38:39], v[34:35], 0
	ds_read_b64 v[54:55], v106 offset:49152
	ds_read2st64_b64 v[42:45], v108 offset0:4 offset1:8
	ds_read2st64_b64 v[46:49], v109 offset0:4 offset1:8
	v_mfma_f32_16x16x16_bf16 a[4:7], v[38:39], v[36:37], 0
	ds_read2_b64 v[34:37], v105 offset0:32 offset1:48
	s_add_i32 s39, s57, 63
	s_ashr_i32 s44, s39, 31
	s_waitcnt lgkmcnt(0)
	v_mfma_f32_16x16x16_bf16 a[8:11], v[38:39], v[34:35], 0
	s_mul_i32 s45, s39, s11
	s_mul_hi_u32 s66, s39, s10
	s_add_i32 s45, s66, s45
	v_mfma_f32_16x16x16_bf16 a[12:15], v[38:39], v[36:37], 0
	ds_read2st64_b64 v[34:37], v105 offset0:4 offset1:8
	ds_read2st64_b64 v[38:41], v107 offset0:4 offset1:8
	s_mul_i32 s44, s44, s10
	s_waitcnt lgkmcnt(1)
	v_mfma_f32_16x16x16_bf16 a[0:3], v[54:55], v[34:35], a[0:3]
	s_add_i32 s45, s45, s44
	s_mul_i32 s44, s39, s10
	s_lshl_b64 s[44:45], s[44:45], 2
	s_waitcnt lgkmcnt(0)
	v_mfma_f32_16x16x16_bf16 a[4:7], v[54:55], v[38:39], a[4:7]
	s_add_u32 s44, s42, s44
	s_addc_u32 s45, s43, s45
	s_and_b64 vcc, exec, s[0:1]
	v_mfma_f32_16x16x16_bf16 a[8:11], v[54:55], v[42:43], a[8:11]
	ds_read_b64 v[34:35], v110 offset:49152
	ds_read_b64 v[38:39], v111 offset:49152
	;; [unrolled: 1-line block ×3, first 2 shown]
	v_mov_b32_e32 v135, 0
	v_mov_b32_e32 v134, 0
	v_mfma_f32_16x16x16_bf16 a[12:15], v[54:55], v[46:47], a[12:15]
	v_mov_b32_e32 v133, 0
	v_mov_b32_e32 v46, 0
	;; [unrolled: 1-line block ×3, first 2 shown]
	s_waitcnt lgkmcnt(2)
	v_mfma_f32_16x16x16_bf16 a[0:3], v[34:35], v[36:37], a[0:3]
	v_mov_b32_e32 v36, 0
	v_mov_b32_e32 v37, 0
	v_mfma_f32_16x16x16_bf16 a[16:19], v[34:35], v[40:41], a[4:7]
	v_mov_b32_e32 v40, 0
	v_mov_b32_e32 v41, 0
	;; [unrolled: 3-line block ×3, first 2 shown]
	v_mfma_f32_16x16x16_bf16 a[24:27], v[34:35], v[48:49], a[12:15]
	ds_read_b64 v[34:35], v108 offset:6144
	v_mov_b32_e32 v48, 0
	v_mov_b32_e32 v49, 0
	s_waitcnt lgkmcnt(2)
	v_mfma_f32_16x16x16_bf16 a[4:7], v[38:39], v[52:53], a[0:3]
	v_mfma_f32_16x16x16_bf16 a[8:11], v[38:39], v[50:51], a[16:19]
	s_waitcnt lgkmcnt(0)
	v_mfma_f32_16x16x16_bf16 a[12:15], v[38:39], v[34:35], a[20:23]
	v_mov_b32_e32 v34, 0
	v_mov_b32_e32 v35, 0
	v_mfma_f32_16x16x16_bf16 a[0:3], v[38:39], v[42:43], a[24:27]
	v_mov_b32_e32 v38, 0
	v_mov_b32_e32 v39, 0
	;; [unrolled: 1-line block ×4, first 2 shown]
	s_cbranch_vccnz .LBB165_12
; %bb.11:                               ;   in Loop: Header=BB165_6 Depth=1
	s_and_b32 s29, s29, 0xffff
	buffer_load_dwordx4 v[46:49], v84, s[28:31], 0 offen
	buffer_load_dwordx4 v[42:45], v84, s[28:31], s60 offen
	;; [unrolled: 1-line block ×4, first 2 shown]
	v_mov_b32_e32 v134, v86
	v_mov_b32_e32 v133, v87
.LBB165_12:                             ;   in Loop: Header=BB165_6 Depth=1
	ds_read_b64 v[62:63], v104 offset:57344
	ds_read2_b64 v[50:53], v112 offset1:16
	ds_read_b64 v[136:137], v106 offset:57344
	ds_read_b64 v[138:139], v110 offset:57344
	;; [unrolled: 1-line block ×3, first 2 shown]
	v_add_u32_e32 v64, s57, v128
	s_waitcnt lgkmcnt(3)
	v_mfma_f32_16x16x16_bf16 a[4:7], v[62:63], v[50:51], a[4:7]
	v_mfma_f32_16x16x16_bf16 a[8:11], v[62:63], v[52:53], a[8:11]
	ds_read2_b64 v[50:53], v112 offset0:32 offset1:48
	ds_read2st64_b64 v[54:57], v112 offset0:4 offset1:8
	ds_read2st64_b64 v[58:61], v113 offset0:4 offset1:8
	s_waitcnt lgkmcnt(2)
	v_mfma_f32_16x16x16_bf16 a[12:15], v[62:63], v[50:51], a[12:15]
	v_ashrrev_i32_e32 v50, 31, v64
	v_mul_lo_u32 v65, v50, s10
	v_mad_u64_u32 v[50:51], s[28:29], v64, s10, 0
	v_mfma_f32_16x16x16_bf16 a[0:3], v[62:63], v[52:53], a[0:3]
	v_mul_lo_u32 v52, v64, s11
	v_add3_u32 v51, v51, v52, v65
	v_add_u32_e32 v52, 1, v64
	v_ashrrev_i32_e32 v53, 31, v52
	s_waitcnt lgkmcnt(1)
	v_mfma_f32_16x16x16_bf16 a[4:7], v[136:137], v[54:55], a[4:7]
	v_mul_lo_u32 v54, v53, s10
	v_mul_lo_u32 v55, v52, s11
	v_mad_u64_u32 v[52:53], s[28:29], v52, s10, 0
	v_add3_u32 v53, v53, v55, v54
	v_add_u32_e32 v54, 2, v64
	v_ashrrev_i32_e32 v55, 31, v54
	v_mul_lo_u32 v62, v55, s10
	v_mul_lo_u32 v63, v54, s11
	v_mad_u64_u32 v[54:55], s[28:29], v54, s10, 0
	v_add3_u32 v55, v55, v63, v62
	v_add_u32_e32 v62, 3, v64
	v_ashrrev_i32_e32 v63, 31, v62
	v_mul_lo_u32 v64, v63, s10
	v_mul_lo_u32 v65, v62, s11
	v_mad_u64_u32 v[62:63], s[28:29], v62, s10, 0
	s_ashr_i32 s29, s57, 31
	s_add_u32 s28, s54, s57
	s_addc_u32 s29, s53, s29
	v_lshl_add_u64 v[50:51], v[50:51], 2, s[42:43]
	v_add3_u32 v63, v63, v65, v64
	s_lshl_b64 s[28:29], s[28:29], 8
	v_lshl_add_u64 v[52:53], v[52:53], 2, s[42:43]
	v_lshl_add_u64 v[54:55], v[54:55], 2, s[42:43]
	;; [unrolled: 1-line block ×3, first 2 shown]
	global_load_dword v142, v[50:51], off
	global_load_dword v143, v[52:53], off
	global_load_dword v144, v[54:55], off
	global_load_dword v145, v[62:63], off
	v_lshl_add_u64 v[50:51], v[68:69], 0, s[28:29]
	v_lshl_add_u64 v[54:55], v[50:51], 0, v[66:67]
	global_load_ushort v146, v[54:55], off offset:256
	global_load_ushort v147, v[54:55], off
	ds_read2st64_b64 v[50:53], v114 offset0:4 offset1:8
	global_load_ushort v148, v[54:55], off offset:768
	global_load_ushort v149, v[54:55], off offset:512
	ds_read2st64_b64 v[62:65], v115 offset0:4 offset1:8
	global_load_ushort v150, v[54:55], off offset:288
	global_load_ushort v151, v[54:55], off offset:32
	global_load_ushort v152, v[54:55], off offset:800
	global_load_ushort v153, v[54:55], off offset:544
	s_waitcnt lgkmcnt(2)
	v_mfma_f32_16x16x16_bf16 a[8:11], v[136:137], v[58:59], a[8:11]
	global_load_ushort v154, v[54:55], off offset:320
	global_load_ushort v155, v[54:55], off offset:64
	;; [unrolled: 1-line block ×4, first 2 shown]
	s_and_b64 vcc, exec, s[0:1]
	s_waitcnt lgkmcnt(1)
	v_mfma_f32_16x16x16_bf16 a[12:15], v[136:137], v[50:51], a[12:15]
	ds_read_b64 v[50:51], v112 offset:6144
	s_waitcnt lgkmcnt(1)
	v_mfma_f32_16x16x16_bf16 a[0:3], v[136:137], v[62:63], a[0:3]
	v_lshl_add_u64 v[62:63], v[70:71], 0, s[28:29]
	v_lshl_add_u64 v[62:63], v[62:63], 0, v[66:67]
	v_mfma_f32_16x16x16_bf16 a[4:7], v[138:139], v[56:57], a[4:7]
	v_mfma_f32_16x16x16_bf16 a[8:11], v[138:139], v[60:61], a[8:11]
	;; [unrolled: 1-line block ×4, first 2 shown]
	global_load_ushort v138, v[54:55], off offset:352
	global_load_ushort v139, v[54:55], off offset:96
	ds_read_b64 v[52:53], v113 offset:6144
	ds_read_b64 v[56:57], v114 offset:6144
	;; [unrolled: 1-line block ×3, first 2 shown]
	s_load_dword s44, s[44:45], 0x0
	global_load_ushort v158, v[54:55], off offset:864
	global_load_ushort v159, v[54:55], off offset:608
	s_waitcnt lgkmcnt(0)
	v_mfma_f32_16x16x16_bf16 a[4:7], v[140:141], v[50:51], a[4:7]
	s_waitcnt vmcnt(17)
	v_sub_f32_e32 v60, s44, v144
	v_mfma_f32_16x16x16_bf16 a[0:3], v[140:141], v[58:59], a[0:3]
	v_sub_f32_e32 v58, s44, v142
	v_sub_f32_e32 v59, s44, v143
	s_waitcnt vmcnt(16)
	v_sub_f32_e32 v61, s44, v145
	v_mfma_f32_16x16x16_bf16 a[8:11], v[140:141], v[52:53], a[8:11]
	v_exp_f32_e32 v58, v58
	v_exp_f32_e32 v59, v59
	;; [unrolled: 1-line block ×4, first 2 shown]
	v_accvgpr_read_b32 v137, a5
	s_waitcnt vmcnt(15)
	v_lshlrev_b32_e32 v65, 16, v146
	s_waitcnt vmcnt(14)
	v_lshlrev_b32_e32 v64, 16, v147
	v_accvgpr_read_b32 v136, a4
	v_accvgpr_read_b32 v51, a7
	v_accvgpr_read_b32 v50, a6
	v_pk_add_f32 v[64:65], v[64:65], v[136:137] neg_lo:[0,1] neg_hi:[0,1]
	s_waitcnt vmcnt(13)
	v_lshlrev_b32_e32 v137, 16, v148
	s_waitcnt vmcnt(12)
	v_lshlrev_b32_e32 v136, 16, v149
	v_pk_add_f32 v[50:51], v[136:137], v[50:51] neg_lo:[0,1] neg_hi:[0,1]
	global_store_short_d16_hi v[62:63], v64, off
	global_store_short_d16_hi v[62:63], v65, off offset:256
	global_store_short_d16_hi v[62:63], v50, off offset:512
	;; [unrolled: 1-line block ×3, first 2 shown]
	v_pk_mul_f32 v[64:65], v[58:59], v[64:65]
	v_pk_mul_f32 v[50:51], v[60:61], v[50:51]
	v_accvgpr_read_b32 v137, a9
	v_perm_b32 v64, v65, v64, s3
	v_perm_b32 v65, v51, v50, s3
	s_waitcnt vmcnt(15)
	v_lshlrev_b32_e32 v51, 16, v150
	s_waitcnt vmcnt(14)
	v_lshlrev_b32_e32 v50, 16, v151
	v_accvgpr_read_b32 v136, a8
	v_accvgpr_read_b32 v53, a11
	v_mfma_f32_16x16x16_bf16 a[12:15], v[140:141], v[56:57], a[12:15]
	v_accvgpr_read_b32 v52, a10
	v_pk_add_f32 v[50:51], v[50:51], v[136:137] neg_lo:[0,1] neg_hi:[0,1]
	s_waitcnt vmcnt(13)
	v_lshlrev_b32_e32 v137, 16, v152
	s_waitcnt vmcnt(12)
	v_lshlrev_b32_e32 v136, 16, v153
	v_pk_add_f32 v[52:53], v[136:137], v[52:53] neg_lo:[0,1] neg_hi:[0,1]
	global_store_short_d16_hi v[62:63], v50, off offset:32
	global_store_short_d16_hi v[62:63], v51, off offset:288
	;; [unrolled: 1-line block ×4, first 2 shown]
	v_pk_mul_f32 v[50:51], v[58:59], v[50:51]
	v_pk_mul_f32 v[52:53], v[60:61], v[52:53]
	v_accvgpr_read_b32 v55, a15
	v_perm_b32 v53, v53, v52, s3
	v_perm_b32 v52, v51, v50, s3
	ds_write2_b64 v89, v[64:65], v[52:53] offset1:16
	v_accvgpr_read_b32 v53, a13
	s_waitcnt vmcnt(15)
	v_lshlrev_b32_e32 v51, 16, v154
	s_waitcnt vmcnt(14)
	v_lshlrev_b32_e32 v50, 16, v155
	v_accvgpr_read_b32 v52, a12
	v_accvgpr_read_b32 v54, a14
	v_pk_add_f32 v[50:51], v[50:51], v[52:53] neg_lo:[0,1] neg_hi:[0,1]
	s_waitcnt vmcnt(13)
	v_lshlrev_b32_e32 v53, 16, v156
	s_waitcnt vmcnt(12)
	v_lshlrev_b32_e32 v52, 16, v157
	v_pk_add_f32 v[52:53], v[52:53], v[54:55] neg_lo:[0,1] neg_hi:[0,1]
	global_store_short_d16_hi v[62:63], v50, off offset:64
	global_store_short_d16_hi v[62:63], v51, off offset:320
	;; [unrolled: 1-line block ×4, first 2 shown]
	v_pk_mul_f32 v[50:51], v[58:59], v[50:51]
	v_pk_mul_f32 v[52:53], v[60:61], v[52:53]
	v_accvgpr_read_b32 v55, a1
	v_perm_b32 v50, v51, v50, s3
	v_perm_b32 v51, v53, v52, s3
	s_waitcnt vmcnt(15)
	v_lshlrev_b32_e32 v53, 16, v138
	s_waitcnt vmcnt(14)
	v_lshlrev_b32_e32 v52, 16, v139
	v_accvgpr_read_b32 v54, a0
	v_accvgpr_read_b32 v57, a3
	;; [unrolled: 1-line block ×3, first 2 shown]
	v_pk_add_f32 v[52:53], v[52:53], v[54:55] neg_lo:[0,1] neg_hi:[0,1]
	s_waitcnt vmcnt(13)
	v_lshlrev_b32_e32 v55, 16, v158
	s_waitcnt vmcnt(12)
	v_lshlrev_b32_e32 v54, 16, v159
	v_pk_add_f32 v[54:55], v[54:55], v[56:57] neg_lo:[0,1] neg_hi:[0,1]
	global_store_short_d16_hi v[62:63], v52, off offset:96
	global_store_short_d16_hi v[62:63], v53, off offset:352
	;; [unrolled: 1-line block ×4, first 2 shown]
	v_pk_mul_f32 v[52:53], v[58:59], v[52:53]
	v_pk_mul_f32 v[54:55], v[60:61], v[54:55]
	v_mov_b32_e32 v136, 0
	v_perm_b32 v55, v55, v54, s3
	v_perm_b32 v54, v53, v52, s3
	ds_write2_b64 v89, v[50:51], v[54:55] offset0:32 offset1:48
	v_mov_b32_e32 v50, 0
	v_mov_b32_e32 v51, 0
	;; [unrolled: 1-line block ×16, first 2 shown]
	s_cbranch_vccnz .LBB165_14
; %bb.13:                               ;   in Loop: Header=BB165_6 Depth=1
	s_and_b32 s37, s37, 0xffff
	s_mov_b32 s39, s31
	buffer_load_dwordx4 v[62:65], v126, s[36:39], 0 offen
	buffer_load_dwordx4 v[54:57], v126, s[36:39], s60 offen
	;; [unrolled: 1-line block ×4, first 2 shown]
	v_mov_b32_e32 v135, v83
	v_mov_b32_e32 v136, v82
.LBB165_14:                             ;   in Loop: Header=BB165_6 Depth=1
	s_waitcnt lgkmcnt(0)
	s_barrier
	ds_read_b64 v[146:147], v129
	ds_read2_b64 v[138:141], v119 offset1:16
	ds_read_b64 v[162:163], v130
	ds_read_b64 v[164:165], v131
	;; [unrolled: 1-line block ×3, first 2 shown]
	ds_read2_b64 v[142:145], v119 offset0:32 offset1:48
	s_waitcnt lgkmcnt(4)
	v_mfma_f32_16x16x16_bf16 a[0:3], v[146:147], v[138:139], 0
	ds_read2st64_b64 v[150:153], v121 offset0:4 offset1:8
	ds_read2st64_b64 v[154:157], v122 offset0:4 offset1:8
	;; [unrolled: 1-line block ×3, first 2 shown]
	v_mfma_f32_16x16x16_bf16 a[4:7], v[146:147], v[140:141], 0
	s_add_i32 s28, s52, s63
	s_mul_hi_i32 s29, s28, s47
	s_mul_i32 s28, s28, s47
	s_waitcnt lgkmcnt(3)
	v_mfma_f32_16x16x16_bf16 a[8:11], v[146:147], v[142:143], 0
	s_add_u32 s28, s28, s46
	s_addc_u32 s29, s29, s58
	s_lshl_b64 s[28:29], s[28:29], 15
	v_mfma_f32_16x16x16_bf16 a[12:15], v[146:147], v[144:145], 0
	ds_read2st64_b64 v[146:149], v119 offset0:4 offset1:8
	s_waitcnt lgkmcnt(0)
	v_mfma_f32_16x16x16_bf16 a[0:3], v[162:163], v[146:147], a[0:3]
	v_mfma_f32_16x16x16_bf16 a[4:7], v[162:163], v[150:151], a[4:7]
	;; [unrolled: 1-line block ×8, first 2 shown]
	ds_read_b64 v[162:163], v119 offset:6144
	ds_read_b64 v[164:165], v120 offset:40960
	;; [unrolled: 1-line block ×8, first 2 shown]
	s_waitcnt lgkmcnt(5)
	v_mfma_f32_16x16x16_bf16 a[16:19], v[168:169], v[138:139], 0
	v_mfma_f32_16x16x16_bf16 a[20:23], v[168:169], v[140:141], 0
	ds_read2st64_b64 v[138:141], v116 offset1:8
	v_mfma_f32_16x16x16_bf16 a[24:27], v[168:169], v[142:143], 0
	v_mfma_f32_16x16x16_bf16 a[28:31], v[168:169], v[144:145], 0
	ds_read2st64_b64 v[142:145], v117 offset1:8
	v_mfma_f32_16x16x16_bf16 a[16:19], v[164:165], v[146:147], a[16:19]
	s_waitcnt lgkmcnt(1)
	v_mov_b32_e32 v146, v138
	v_mov_b32_e32 v147, v139
	v_mfma_f32_16x16x16_bf16 a[20:23], v[164:165], v[150:151], a[20:23]
	v_lshl_add_u64 v[150:151], v[72:73], 0, s[28:29]
	v_mfma_f32_16x16x16_bf16 a[24:27], v[164:165], v[154:155], a[24:27]
	v_mfma_f32_16x16x16_bf16 a[28:31], v[164:165], v[158:159], a[28:31]
	v_mfma_f32_16x16x16_bf16 a[16:19], v[176:177], v[148:149], a[16:19]
	s_waitcnt lgkmcnt(0)
	v_mov_b32_e32 v148, v142
	v_mov_b32_e32 v149, v143
	;; [unrolled: 1-line block ×3, first 2 shown]
	v_mfma_f32_16x16x16_bf16 a[32:35], v[176:177], v[152:153], a[20:23]
	v_mov_b32_e32 v143, v141
	ds_read2st64_b64 v[138:141], v116 offset0:16 offset1:24
	global_store_dwordx4 v[150:151], v[146:149], off
	v_mfma_f32_16x16x16_bf16 a[24:27], v[176:177], v[156:157], a[24:27]
	ds_read2st64_b64 v[146:149], v117 offset0:16 offset1:24
	v_add_co_u32_e32 v152, vcc, s25, v150
	v_mfma_f32_16x16x16_bf16 a[28:31], v[176:177], v[160:161], a[28:31]
	s_nop 0
	v_addc_co_u32_e32 v153, vcc, 0, v151, vcc
	global_store_dwordx4 v[152:153], v[142:145], off offset:-4096
	v_mfma_f32_16x16x16_bf16 a[0:3], v[166:167], v[162:163], a[0:3]
	s_waitcnt lgkmcnt(1)
	v_mov_b32_e32 v142, v138
	v_add_co_u32_e32 v138, vcc, s64, v150
	v_mfma_f32_16x16x16_bf16 a[4:7], v[166:167], v[170:171], a[4:7]
	v_mov_b32_e32 v143, v139
	v_addc_co_u32_e32 v139, vcc, 0, v151, vcc
	v_mfma_f32_16x16x16_bf16 a[8:11], v[166:167], v[172:173], a[8:11]
	s_waitcnt lgkmcnt(0)
	v_mov_b32_e32 v144, v146
	v_mov_b32_e32 v145, v147
	;; [unrolled: 1-line block ×3, first 2 shown]
	v_mfma_f32_16x16x16_bf16 a[12:15], v[166:167], v[174:175], a[12:15]
	v_mov_b32_e32 v147, v141
	s_and_b64 vcc, exec, s[0:1]
	global_store_dwordx4 v[152:153], v[142:145], off
	v_mfma_f32_16x16x16_bf16 a[20:23], v[178:179], v[162:163], a[16:19]
	global_store_dwordx4 v[138:139], v[146:149], off
	v_mfma_f32_16x16x16_bf16 a[16:19], v[178:179], v[170:171], a[32:35]
	v_mfma_f32_16x16x16_bf16 a[24:27], v[178:179], v[172:173], a[24:27]
	;; [unrolled: 1-line block ×3, first 2 shown]
	s_cbranch_vccnz .LBB165_16
; %bb.15:                               ;   in Loop: Header=BB165_6 Depth=1
	v_lshrrev_b32_e32 v137, 3, v135
	v_and_b32_e32 v137, 6, v137
	v_xor_b32_e32 v136, v137, v136
	v_lshlrev_b32_e32 v136, 2, v136
	v_and_b32_e32 v135, 8, v135
	v_xor_b32_e32 v138, 0x440, v136
	v_cmp_eq_u32_e32 vcc, 0, v135
	s_barrier
	s_nop 0
	v_cndmask_b32_e32 v135, v138, v136, vcc
	v_lshl_or_b32 v135, v137, 10, v135
	s_waitcnt vmcnt(5)
	v_perm_b32 v136, v62, v58, s61
	s_waitcnt vmcnt(4)
	v_perm_b32 v137, v54, v50, s61
	ds_write2st64_b32 v135, v136, v137 offset0:128 offset1:160
	v_xor_b32_e32 v136, 8, v135
	v_perm_b32 v58, v62, v58, s62
	v_perm_b32 v50, v54, v50, s62
	v_add_u32_e32 v54, 0x80, v136
	ds_write2st64_b32 v54, v58, v50 offset0:128 offset1:160
	v_xor_b32_e32 v50, 16, v135
	v_perm_b32 v54, v63, v59, s61
	v_perm_b32 v58, v55, v51, s61
	ds_write2st64_b32 v50, v54, v58 offset0:129 offset1:161
	v_xor_b32_e32 v50, 24, v135
	v_perm_b32 v54, v63, v59, s62
	v_perm_b32 v51, v55, v51, s62
	v_add_u32_e32 v50, 0x80, v50
	ds_write2st64_b32 v50, v54, v51 offset0:129 offset1:161
	v_xor_b32_e32 v50, 32, v135
	v_perm_b32 v51, v64, v60, s61
	;; [unrolled: 9-line block ×3, first 2 shown]
	v_perm_b32 v52, v57, v53, s61
	ds_write2st64_b32 v50, v51, v52 offset0:131 offset1:163
	v_xor_b32_e32 v50, 56, v135
	v_perm_b32 v51, v65, v61, s62
	v_perm_b32 v52, v57, v53, s62
	v_add_u32_e32 v50, 0x80, v50
	ds_write2st64_b32 v50, v51, v52 offset0:131 offset1:163
	ds_write_b64 v134, v[46:47] offset:49152
	v_xor_b32_e32 v46, 8, v134
	ds_write_b64 v46, v[48:49] offset:49152
	ds_write_b64 v134, v[42:43] offset:57344
	;; [unrolled: 1-line block ×4, first 2 shown]
	v_xor_b32_e32 v38, 8, v133
	ds_write_b64 v38, v[40:41] offset:49152
	ds_write_b64 v133, v[34:35] offset:57344
	;; [unrolled: 1-line block ×3, first 2 shown]
.LBB165_16:                             ;   in Loop: Header=BB165_6 Depth=1
	v_exp_f32_e32 v134, s44
	v_accvgpr_read_b32 v37, a3
	v_accvgpr_read_b32 v41, a7
	;; [unrolled: 1-line block ×4, first 2 shown]
	s_waitcnt vmcnt(4)
	v_accvgpr_read_b32 v53, a23
	v_accvgpr_read_b32 v57, a19
	;; [unrolled: 1-line block ×28, first 2 shown]
	s_add_i32 s57, s57, 64
	v_pk_fma_f32 v[30:31], v[134:135], v[30:31], v[34:35] op_sel_hi:[0,1,1]
	v_pk_fma_f32 v[32:33], v[134:135], v[32:33], v[36:37] op_sel_hi:[0,1,1]
	;; [unrolled: 1-line block ×15, first 2 shown]
	s_cmp_eq_u32 s51, s65
	v_pk_fma_f32 v[8:9], v[134:135], v[8:9], v[64:65] op_sel_hi:[0,1,1]
	s_cbranch_scc1 .LBB165_18
; %bb.17:                               ;   in Loop: Header=BB165_6 Depth=1
	s_mov_b32 s63, s65
	s_branch .LBB165_6
.LBB165_18:
	s_lshl_b32 s3, s51, 6
	s_sub_i32 s56, s56, s3
	s_cmp_gt_i32 s56, 0
	v_or_b32_e32 v50, s2, v78
	s_cbranch_scc1 .LBB165_20
; %bb.19:
	s_ashr_i32 s37, s46, 31
	v_or_b32_e32 v34, s2, v78
	s_cbranch_execz .LBB165_21
	s_branch .LBB165_101
.LBB165_20:
                                        ; implicit-def: $vgpr34
                                        ; implicit-def: $sgpr36_sgpr37
.LBB165_21:
	s_add_i32 s36, s3, s40
	s_ashr_i32 s3, s36, 31
	s_cmpk_lg_i32 s23, 0x80
	s_cselect_b64 s[42:43], -1, 0
	s_and_b64 vcc, exec, s[42:43]
	s_cbranch_vccz .LBB165_23
; %bb.22:
	s_mul_hi_i32 s0, s36, s22
	s_mul_i32 s1, s36, s22
	s_ashr_i32 s22, s55, 31
	s_add_u32 s44, s1, s55
	s_addc_u32 s45, s0, s22
	s_cbranch_execz .LBB165_24
	s_branch .LBB165_25
.LBB165_23:
                                        ; implicit-def: $sgpr44_sgpr45
.LBB165_24:
	s_mul_i32 s1, s55, s20
	s_mul_hi_i32 s0, s55, s20
	s_add_u32 s44, s1, s36
	s_addc_u32 s45, s0, s3
.LBB165_25:
	s_add_i32 s20, s51, s52
	s_ashr_i32 s37, s46, 31
	s_add_u32 s0, s54, s36
	v_lshlrev_b32_e32 v38, 6, v1
	v_lshlrev_b32_e32 v58, 2, v78
	s_addc_u32 s1, s53, s3
	s_mov_b32 s3, 0x7060302
	v_or_b32_e32 v41, v38, v58
	v_xor_b32_e32 v39, v1, v58
	v_perm_b32 v35, v33, v32, s3
	v_perm_b32 v34, v31, v30, s3
	;; [unrolled: 1-line block ×4, first 2 shown]
	v_lshlrev_b32_e32 v41, 1, v41
	v_xor_b32_e32 v40, v81, v58
	ds_write2st64_b64 v41, v[34:35], v[36:37] offset0:32 offset1:48
	v_lshlrev_b32_e32 v39, 1, v39
	v_lshlrev_b32_e32 v41, 8, v78
	v_or_b32_e32 v42, v39, v41
	v_lshlrev_b32_e32 v40, 1, v40
	ds_write_b64 v42, v[34:35]
	v_or_b32_e32 v34, v40, v41
	v_or_b32_e32 v41, 16, v78
	v_lshlrev_b32_e32 v57, 2, v41
	v_or_b32_e32 v42, v38, v57
	ds_write_b64 v34, v[36:37]
	v_perm_b32 v35, v25, v24, s3
	v_perm_b32 v34, v23, v22, s3
	;; [unrolled: 1-line block ×4, first 2 shown]
	v_lshlrev_b32_e32 v42, 1, v42
	v_lshlrev_b32_e32 v41, 8, v41
	ds_write2st64_b64 v42, v[34:35], v[36:37] offset0:32 offset1:48
	v_or_b32_e32 v42, v39, v41
	ds_write_b64 v42, v[34:35]
	v_or_b32_e32 v34, v40, v41
	v_or_b32_e32 v41, 32, v78
	v_lshlrev_b32_e32 v56, 2, v41
	v_or_b32_e32 v42, v38, v56
	ds_write_b64 v34, v[36:37]
	v_perm_b32 v35, v17, v16, s3
	v_perm_b32 v34, v15, v14, s3
	;; [unrolled: 1-line block ×4, first 2 shown]
	v_lshlrev_b32_e32 v42, 1, v42
	v_lshlrev_b32_e32 v41, 8, v41
	s_lshl_b64 s[38:39], s[0:1], 8
	ds_write2st64_b64 v42, v[34:35], v[36:37] offset0:32 offset1:48
	v_or_b32_e32 v42, v39, v41
	s_add_u32 s0, s14, s38
	ds_write_b64 v42, v[34:35]
	v_or_b32_e32 v34, v40, v41
	s_addc_u32 s1, s15, s39
	ds_write_b64 v34, v[36:37]
	v_perm_b32 v35, v5, v4, s3
	v_perm_b32 v34, v3, v2, s3
	v_perm_b32 v37, v9, v8, s3
	v_perm_b32 v36, v7, v6, s3
	v_or_b32_e32 v41, 48, v78
	s_mul_hi_i32 s3, s20, s21
	s_mul_i32 s20, s20, s21
	v_lshlrev_b32_e32 v53, 2, v41
	s_add_u32 s14, s20, s46
	v_or_b32_e32 v38, v38, v53
	s_addc_u32 s15, s3, s37
	v_lshlrev_b32_e32 v38, 1, v38
	s_ashr_i32 s3, s2, 31
	s_lshl_b64 s[14:15], s[14:15], 15
	ds_write2st64_b64 v38, v[34:35], v[36:37] offset0:32 offset1:48
	v_lshlrev_b32_e32 v38, 8, v41
	s_add_u32 s4, s4, s14
	v_or_b32_e32 v39, v39, v38
	s_addc_u32 s5, s5, s15
	s_lshl_b64 s[2:3], s[2:3], 8
	ds_write_b64 v39, v[34:35]
	v_or_b32_e32 v34, v40, v38
	s_add_u32 s2, s4, s2
	v_lshlrev_b32_e32 v35, 1, v78
	ds_write_b64 v34, v[36:37]
	v_lshrrev_b32_e32 v34, 4, v0
	s_addc_u32 s3, s5, s3
	v_or_b32_e32 v36, 1, v35
	v_lshlrev_b32_e32 v42, 4, v78
	v_mov_b32_e32 v43, 0
	v_xor_b32_e32 v35, v34, v35
	v_xor_b32_e32 v38, v36, v34
	v_lshl_add_u64 v[44:45], s[2:3], 0, v[42:43]
	v_lshlrev_b32_e32 v42, 8, v34
	v_lshl_or_b32 v48, v35, 3, v42
	v_lshl_or_b32 v49, v38, 3, v42
	s_waitcnt lgkmcnt(0)
	s_barrier
	ds_read2st64_b64 v[34:37], v48 offset1:8
	ds_read2st64_b64 v[38:41], v49 offset1:8
	v_lshl_add_u64 v[46:47], v[44:45], 0, v[42:43]
	s_movk_i32 s2, 0x2000
	s_cmp_lg_u32 s56, 64
	s_waitcnt lgkmcnt(1)
	v_mov_b32_e32 v42, v34
	v_mov_b32_e32 v43, v35
	s_waitcnt lgkmcnt(0)
	v_mov_b32_e32 v44, v38
	v_mov_b32_e32 v45, v39
	global_store_dwordx4 v[46:47], v[42:45], off
	v_mov_b32_e32 v38, v36
	v_mov_b32_e32 v39, v37
	ds_read2st64_b64 v[34:37], v48 offset0:16 offset1:24
	ds_read2st64_b64 v[42:45], v49 offset0:16 offset1:24
	v_add_co_u32_e32 v48, vcc, s2, v46
	s_cselect_b64 s[4:5], -1, 0
	s_nop 0
	v_addc_co_u32_e32 v49, vcc, 0, v47, vcc
	global_store_dwordx4 v[48:49], v[38:41], off offset:-4096
	v_lshl_or_b32 v51, v74, 3, v80
	s_mov_b32 s28, 0
	s_waitcnt lgkmcnt(1)
	v_mov_b32_e32 v38, v34
	v_add_co_u32_e32 v34, vcc, 0x3000, v46
	v_mov_b32_e32 v39, v35
	s_nop 0
	v_addc_co_u32_e32 v35, vcc, 0, v47, vcc
	s_waitcnt lgkmcnt(0)
	v_mov_b32_e32 v40, v42
	v_mov_b32_e32 v41, v43
	;; [unrolled: 1-line block ×4, first 2 shown]
	v_or_b32_e32 v54, 32, v51
	v_and_b32_e32 v52, 56, v79
	s_and_b64 vcc, exec, s[4:5]
	global_store_dwordx4 v[48:49], v[38:41], off
	global_store_dwordx4 v[34:35], v[42:45], off
	s_cbranch_vccz .LBB165_31
; %bb.26:
	s_mov_b32 s30, s28
	s_mov_b32 s31, s28
	;; [unrolled: 1-line block ×3, first 2 shown]
	v_mov_b64_e32 v[40:41], s[30:31]
	v_mov_b64_e32 v[38:39], s[28:29]
	;; [unrolled: 1-line block ×3, first 2 shown]
	v_cmp_gt_i32_e32 vcc, s56, v51
	v_mov_b64_e32 v[36:37], v[40:41]
	s_and_saveexec_b64 s[2:3], vcc
	s_cbranch_execz .LBB165_28
; %bb.27:
	v_lshlrev_b32_e32 v34, 8, v51
	v_mov_b32_e32 v35, 0
	v_lshl_add_u64 v[36:37], s[0:1], 0, v[34:35]
	v_lshlrev_b32_e32 v34, 1, v52
	v_lshl_add_u64 v[42:43], v[36:37], 0, v[34:35]
	global_load_dwordx4 v[38:41], v[42:43], off
	global_load_dwordx4 v[34:37], v[42:43], off offset:128
.LBB165_28:
	s_or_b64 exec, exec, s[2:3]
	s_mov_b32 s30, s28
	s_mov_b32 s31, s28
	;; [unrolled: 1-line block ×3, first 2 shown]
	v_mov_b64_e32 v[48:49], s[30:31]
	v_mov_b64_e32 v[46:47], s[28:29]
	;; [unrolled: 1-line block ×3, first 2 shown]
	v_cmp_gt_i32_e32 vcc, s56, v54
	v_lshlrev_b32_e32 v55, 7, v54
	v_mov_b64_e32 v[44:45], v[48:49]
	s_and_saveexec_b64 s[2:3], vcc
	s_cbranch_execz .LBB165_30
; %bb.29:
	v_lshlrev_b32_e32 v42, 1, v55
	v_mov_b32_e32 v43, 0
	v_lshl_add_u64 v[44:45], s[0:1], 0, v[42:43]
	v_lshlrev_b32_e32 v42, 1, v52
	v_lshl_add_u64 v[60:61], v[44:45], 0, v[42:43]
	global_load_dwordx4 v[46:49], v[60:61], off
	global_load_dwordx4 v[42:45], v[60:61], off offset:128
.LBB165_30:
	s_or_b64 exec, exec, s[2:3]
	v_lshrrev_b32_e32 v59, 3, v52
	v_lshlrev_b32_e32 v60, 3, v51
	v_or_b32_e32 v59, v60, v59
	v_lshlrev_b32_e32 v59, 4, v59
	v_and_b32_e32 v60, 0x78, v60
	v_xor_b32_e32 v59, v59, v60
	s_branch .LBB165_33
.LBB165_31:
                                        ; implicit-def: $vgpr59
                                        ; implicit-def: $vgpr55
                                        ; implicit-def: $vgpr38_vgpr39_vgpr40_vgpr41
                                        ; implicit-def: $vgpr34_vgpr35_vgpr36_vgpr37
                                        ; implicit-def: $vgpr46_vgpr47_vgpr48_vgpr49
                                        ; implicit-def: $vgpr42_vgpr43_vgpr44_vgpr45
	s_cbranch_execz .LBB165_33
; %bb.32:
	s_waitcnt vmcnt(0)
	v_lshlrev_b32_e32 v34, 1, v52
	v_lshl_or_b32 v55, v51, 8, v34
	s_and_b32 s1, s1, 0xffff
	s_mov_b32 s3, 0x20000
	s_movk_i32 s2, 0x4000
	v_lshl_or_b32 v59, v54, 8, v34
	s_movk_i32 s14, 0x80
	buffer_load_dwordx4 v[38:41], v55, s[0:3], 0 offen
	buffer_load_dwordx4 v[34:37], v55, s[0:3], s14 offen
	;; [unrolled: 1-line block ×4, first 2 shown]
	v_lshrrev_b32_e32 v55, 3, v52
	v_lshlrev_b32_e32 v59, 3, v51
	v_or_b32_e32 v55, v59, v55
	v_lshlrev_b32_e32 v55, 4, v55
	v_and_b32_e32 v59, 0x78, v59
	v_xor_b32_e32 v59, v55, v59
	v_lshlrev_b32_e32 v55, 7, v54
.LBB165_33:
	s_movk_i32 s0, 0x1000
	v_and_or_b32 v54, v55, s0, v59
	s_waitcnt vmcnt(1)
	ds_write_b64 v59, v[38:39] offset:49152
	v_xor_b32_e32 v38, 8, v59
	ds_write_b64 v38, v[40:41] offset:49152
	s_waitcnt vmcnt(0)
	ds_write_b64 v59, v[34:35] offset:57344
	ds_write_b64 v38, v[36:37] offset:57344
	;; [unrolled: 1-line block ×3, first 2 shown]
	v_xor_b32_e32 v34, 8, v54
	ds_write_b64 v34, v[48:49] offset:49152
	ds_write_b64 v54, v[42:43] offset:57344
	;; [unrolled: 1-line block ×3, first 2 shown]
	v_or_b32_e32 v34, v75, v78
	v_lshlrev_b32_e32 v34, 3, v34
	v_lshrrev_b32_e32 v35, 5, v76
	s_movk_i32 s0, 0xf8
	v_and_or_b32 v35, v34, s0, v35
	v_lshlrev_b32_e32 v39, 4, v35
	v_lshlrev_b32_e32 v59, 11, v74
	v_and_b32_e32 v40, 0x78, v34
	v_or_b32_e32 v42, 32, v39
	v_and_b32_e32 v38, 0x1000, v59
	v_lshrrev_b32_e32 v35, 1, v76
	v_xor_b32_e32 v42, v42, v40
	v_xor_b32_e32 v34, v39, v40
	v_and_b32_e32 v41, 8, v35
	v_or_b32_e32 v42, v42, v38
	v_or_b32_e32 v34, v34, v38
	v_xor_b32_e32 v65, v42, v41
	v_or_b32_e32 v42, 64, v39
	v_xor_b32_e32 v64, v34, v41
	v_xor_b32_e32 v42, v42, v40
	s_waitcnt lgkmcnt(0)
	s_barrier
	v_or_b32_e32 v45, v42, v38
	ds_read_b64 v[42:43], v64 offset:49152
	v_lshl_or_b32 v46, v77, 8, v58
	v_lshlrev_b32_e32 v60, 1, v46
	v_add_u32_e32 v44, 0x4000, v60
	ds_read2_b64 v[34:37], v44 offset1:16
	v_or_b32_e32 v39, 0x60, v39
	v_xor_b32_e32 v39, v39, v40
	v_or_b32_e32 v38, v39, v38
	v_xor_b32_e32 v66, v45, v41
	v_xor_b32_e32 v67, v38, v41
	ds_read_b64 v[54:55], v65 offset:49152
	ds_read_b64 v[68:69], v66 offset:49152
	ds_read_b64 v[70:71], v67 offset:49152
	s_waitcnt lgkmcnt(3)
	v_mfma_f32_16x16x16_bf16 a[0:3], v[42:43], v[34:35], 0
	ds_read2_b64 v[38:41], v44 offset0:32 offset1:48
	s_lshl_b64 s[0:1], s[44:45], 8
	s_add_u32 s12, s12, s0
	v_mfma_f32_16x16x16_bf16 a[4:7], v[42:43], v[36:37], 0
	ds_read2st64_b64 v[34:37], v60 offset0:36 offset1:40
	s_addc_u32 s13, s13, s1
	s_add_i32 s2, s41, -1
	s_waitcnt lgkmcnt(1)
	v_mfma_f32_16x16x16_bf16 a[8:11], v[42:43], v[38:39], 0
	v_or_b32_e32 v38, 64, v46
	v_lshlrev_b32_e32 v61, 1, v38
	s_add_i32 s0, s49, s48
	s_waitcnt lgkmcnt(0)
	v_mfma_f32_16x16x16_bf16 a[0:3], v[54:55], v[34:35], a[0:3]
	v_or_b32_e32 v34, 0x80, v46
	v_lshlrev_b32_e32 v62, 1, v34
	v_or_b32_e32 v34, 0xc0, v46
	v_mfma_f32_16x16x16_bf16 a[12:15], v[42:43], v[40:41], 0
	ds_read2st64_b64 v[38:41], v61 offset0:36 offset1:40
	v_lshlrev_b32_e32 v63, 1, v34
	ds_read2st64_b64 v[42:45], v62 offset0:36 offset1:40
	ds_read2st64_b64 v[46:49], v63 offset0:36 offset1:40
	s_add_i32 s25, s0, s50
	s_mul_i32 s0, s46, s27
	s_mul_hi_u32 s1, s46, s26
	s_ashr_i32 s3, s2, 31
	s_mul_i32 s14, s2, s11
	s_mul_hi_u32 s15, s2, s10
	s_waitcnt lgkmcnt(2)
	v_mfma_f32_16x16x16_bf16 a[4:7], v[54:55], v[38:39], a[4:7]
	s_add_i32 s0, s1, s0
	s_mul_i32 s1, s37, s26
	s_add_i32 s14, s15, s14
	s_mul_i32 s3, s3, s10
	s_waitcnt lgkmcnt(1)
	v_mfma_f32_16x16x16_bf16 a[8:11], v[54:55], v[42:43], a[8:11]
	s_add_i32 s1, s0, s1
	s_add_i32 s3, s14, s3
	s_lshl_b64 s[14:15], s[24:25], 2
	s_waitcnt lgkmcnt(0)
	v_mfma_f32_16x16x16_bf16 a[12:15], v[54:55], v[46:47], a[12:15]
	s_mul_i32 s0, s46, s26
	s_add_u32 s14, s18, s14
	s_addc_u32 s15, s19, s15
	s_lshl_b64 s[0:1], s[0:1], 2
	v_mfma_f32_16x16x16_bf16 a[0:3], v[68:69], v[36:37], a[0:3]
	s_mul_i32 s2, s2, s10
	ds_read_b64 v[34:35], v60 offset:22528
	s_add_u32 s18, s14, s0
	v_mfma_f32_16x16x16_bf16 a[4:7], v[68:69], v[40:41], a[4:7]
	ds_read_b64 v[36:37], v61 offset:22528
	ds_read_b64 v[38:39], v62 offset:22528
	;; [unrolled: 1-line block ×3, first 2 shown]
	s_addc_u32 s19, s15, s1
	s_lshl_b64 s[0:1], s[2:3], 2
	v_mfma_f32_16x16x16_bf16 a[8:11], v[68:69], v[44:45], a[8:11]
	s_add_u32 s0, s18, s0
	s_addc_u32 s1, s19, s1
	s_load_dword s20, s[0:1], 0x0
	v_mfma_f32_16x16x16_bf16 a[12:15], v[68:69], v[48:49], a[12:15]
	s_and_b64 vcc, exec, s[42:43]
	s_waitcnt lgkmcnt(0)
	v_mfma_f32_16x16x16_bf16 a[0:3], v[70:71], v[34:35], a[0:3]
	v_mfma_f32_16x16x16_bf16 a[4:7], v[70:71], v[36:37], a[4:7]
	v_mfma_f32_16x16x16_bf16 a[8:11], v[70:71], v[38:39], a[8:11]
	v_mfma_f32_16x16x16_bf16 a[12:15], v[70:71], v[40:41], a[12:15]
	s_cbranch_vccz .LBB165_44
; %bb.34:
	v_lshlrev_b32_e32 v54, 1, v51
	s_and_b64 vcc, exec, s[4:5]
	s_cbranch_vccz .LBB165_45
; %bb.35:
	v_cmp_gt_i32_e32 vcc, s56, v54
	v_mov_b32_e32 v38, 0
	v_mov_b32_e32 v34, 0
	;; [unrolled: 1-line block ×5, first 2 shown]
	s_and_saveexec_b64 s[0:1], vcc
	s_cbranch_execz .LBB165_37
; %bb.36:
	v_mad_i64_i32 v[34:35], s[2:3], s23, v54, 0
	v_lshl_add_u64 v[34:35], v[34:35], 1, s[12:13]
	v_lshlrev_b32_e32 v36, 1, v52
	v_mov_b32_e32 v37, 0
	v_lshl_add_u64 v[34:35], v[34:35], 0, v[36:37]
	global_load_dwordx4 v[34:37], v[34:35], off
.LBB165_37:
	s_or_b64 exec, exec, s[0:1]
	v_or_b32_e32 v55, 1, v54
	v_cmp_gt_i32_e64 s[0:1], s56, v55
	v_mov_b32_e32 v39, 0
	v_mov_b32_e32 v40, 0
	;; [unrolled: 1-line block ×3, first 2 shown]
	s_and_saveexec_b64 s[2:3], s[0:1]
	s_cbranch_execz .LBB165_39
; %bb.38:
	v_mad_i64_i32 v[38:39], s[14:15], s23, v55, 0
	v_lshl_add_u64 v[38:39], v[38:39], 1, s[12:13]
	v_lshlrev_b32_e32 v40, 1, v52
	v_mov_b32_e32 v41, 0
	v_lshl_add_u64 v[38:39], v[38:39], 0, v[40:41]
	global_load_dwordx4 v[38:41], v[38:39], off
.LBB165_39:
	s_or_b64 exec, exec, s[2:3]
	v_mov_b32_e32 v49, 0
	v_mov_b32_e32 v42, 0
	;; [unrolled: 1-line block ×5, first 2 shown]
	s_and_saveexec_b64 s[2:3], vcc
	s_cbranch_execz .LBB165_41
; %bb.40:
	v_mad_i64_i32 v[42:43], s[14:15], s23, v54, 0
	v_lshl_add_u64 v[42:43], v[42:43], 1, s[12:13]
	v_lshlrev_b32_e32 v44, 1, v52
	v_mov_b32_e32 v45, 0
	v_lshl_add_u64 v[42:43], v[42:43], 0, v[44:45]
	global_load_dwordx4 v[42:45], v[42:43], off offset:128
.LBB165_41:
	s_or_b64 exec, exec, s[2:3]
	v_mov_b32_e32 v48, 0
	v_mov_b32_e32 v47, 0
	v_mov_b32_e32 v46, 0
	s_and_saveexec_b64 s[2:3], s[0:1]
	s_cbranch_execz .LBB165_43
; %bb.42:
	v_mad_i64_i32 v[46:47], s[0:1], s23, v55, 0
	v_lshl_add_u64 v[46:47], v[46:47], 1, s[12:13]
	v_lshlrev_b32_e32 v48, 1, v52
	v_mov_b32_e32 v49, 0
	v_lshl_add_u64 v[46:47], v[46:47], 0, v[48:49]
	global_load_dwordx4 v[46:49], v[46:47], off offset:128
.LBB165_43:
	s_or_b64 exec, exec, s[2:3]
	s_branch .LBB165_47
.LBB165_44:
                                        ; implicit-def: $vgpr37
                                        ; implicit-def: $vgpr41
                                        ; implicit-def: $vgpr45
                                        ; implicit-def: $vgpr49
	v_lshrrev_b32_e32 v68, 2, v76
	s_branch .LBB165_48
.LBB165_45:
                                        ; implicit-def: $vgpr37
                                        ; implicit-def: $vgpr41
                                        ; implicit-def: $vgpr45
                                        ; implicit-def: $vgpr49
	s_cbranch_execz .LBB165_47
; %bb.46:
	s_waitcnt vmcnt(0)
	v_mad_u64_u32 v[34:35], s[0:1], v54, s23, v[52:53]
	v_lshlrev_b32_e32 v54, 1, v34
	s_lshl_b32 s2, s23, 7
	s_and_b32 s1, s13, 0xffff
	s_mov_b32 s3, 0x20000
	s_mov_b32 s0, s12
	v_add_lshl_u32 v55, v34, s23, 1
	s_movk_i32 s14, 0x80
	buffer_load_dwordx4 v[34:37], v54, s[0:3], 0 offen
	buffer_load_dwordx4 v[42:45], v54, s[0:3], s14 offen
	;; [unrolled: 1-line block ×4, first 2 shown]
.LBB165_47:
	v_lshrrev_b32_e32 v68, 2, v76
	s_cbranch_execnz .LBB165_60
.LBB165_48:
	s_and_b64 vcc, exec, s[4:5]
	s_cbranch_vccz .LBB165_58
; %bb.49:
	s_waitcnt vmcnt(0)
	v_lshlrev_b32_e32 v39, 1, v51
	v_cmp_gt_i32_e32 vcc, s56, v39
	v_mov_b32_e32 v38, 0
	v_lshlrev_b32_e32 v46, 9, v51
	v_mov_b32_e32 v34, 0
	v_mov_b32_e32 v35, 0
	v_mov_b32_e32 v36, 0
	v_mov_b32_e32 v37, 0
	s_and_saveexec_b64 s[0:1], vcc
	s_cbranch_execz .LBB165_51
; %bb.50:
	v_mov_b32_e32 v47, 0
	v_lshl_add_u64 v[34:35], s[12:13], 0, v[46:47]
	v_lshlrev_b32_e32 v36, 1, v52
	v_mov_b32_e32 v37, v47
	v_lshl_add_u64 v[34:35], v[34:35], 0, v[36:37]
	global_load_dwordx4 v[34:37], v[34:35], off
.LBB165_51:
	s_or_b64 exec, exec, s[0:1]
	v_or_b32_e32 v39, 1, v39
	v_cmp_gt_i32_e64 s[0:1], s56, v39
	v_lshlrev_b32_e32 v54, 8, v39
	v_mov_b32_e32 v39, 0
	v_mov_b32_e32 v40, 0
	;; [unrolled: 1-line block ×3, first 2 shown]
	s_and_saveexec_b64 s[2:3], s[0:1]
	s_cbranch_execz .LBB165_53
; %bb.52:
	v_mov_b32_e32 v55, 0
	v_lshl_add_u64 v[38:39], s[12:13], 0, v[54:55]
	v_lshlrev_b32_e32 v40, 1, v52
	v_mov_b32_e32 v41, v55
	v_lshl_add_u64 v[38:39], v[38:39], 0, v[40:41]
	global_load_dwordx4 v[38:41], v[38:39], off
.LBB165_53:
	s_or_b64 exec, exec, s[2:3]
	v_mov_b32_e32 v49, 0
	v_mov_b32_e32 v42, 0
	;; [unrolled: 1-line block ×5, first 2 shown]
	s_and_saveexec_b64 s[2:3], vcc
	s_cbranch_execz .LBB165_55
; %bb.54:
	v_mov_b32_e32 v47, 0
	v_lshl_add_u64 v[42:43], s[12:13], 0, v[46:47]
	v_lshlrev_b32_e32 v46, 1, v52
	v_lshl_add_u64 v[42:43], v[42:43], 0, v[46:47]
	global_load_dwordx4 v[42:45], v[42:43], off offset:128
.LBB165_55:
	s_or_b64 exec, exec, s[2:3]
	v_mov_b32_e32 v48, 0
	v_mov_b32_e32 v47, 0
	;; [unrolled: 1-line block ×3, first 2 shown]
	s_and_saveexec_b64 s[2:3], s[0:1]
	s_cbranch_execz .LBB165_57
; %bb.56:
	v_mov_b32_e32 v55, 0
	v_lshl_add_u64 v[46:47], s[12:13], 0, v[54:55]
	v_lshlrev_b32_e32 v54, 1, v52
	v_lshl_add_u64 v[46:47], v[46:47], 0, v[54:55]
	global_load_dwordx4 v[46:49], v[46:47], off offset:128
.LBB165_57:
	s_or_b64 exec, exec, s[2:3]
	s_branch .LBB165_60
.LBB165_58:
                                        ; implicit-def: $vgpr37
                                        ; implicit-def: $vgpr41
                                        ; implicit-def: $vgpr45
                                        ; implicit-def: $vgpr49
	s_cbranch_execz .LBB165_60
; %bb.59:
	s_waitcnt vmcnt(0)
	v_lshlrev_b32_e32 v34, 1, v52
	v_lshl_or_b32 v52, v51, 9, v34
	s_and_b32 s13, s13, 0xffff
	s_mov_b32 s15, 0x20000
	s_movk_i32 s14, 0x4000
	s_movk_i32 s0, 0x80
	buffer_load_dwordx4 v[34:37], v52, s[12:15], 0 offen
	buffer_load_dwordx4 v[38:41], v52, s[12:15], 0 offen offset:256
	buffer_load_dwordx4 v[42:45], v52, s[12:15], s0 offen
	buffer_load_dwordx4 v[46:49], v52, s[12:15], s0 offen offset:256
.LBB165_60:
	ds_read_b64 v[54:55], v64 offset:57344
	v_add_u32_e32 v52, 0x6000, v60
	ds_read2_b64 v[70:73], v52 offset1:16
	ds_read_b64 v[84:85], v65 offset:57344
	ds_read_b64 v[86:87], v66 offset:57344
	;; [unrolled: 1-line block ×3, first 2 shown]
	ds_read2_b64 v[64:67], v52 offset0:32 offset1:48
	v_and_b32_e32 v52, 6, v0
	v_xor_b32_e32 v51, v51, v52
	v_lshlrev_b32_e32 v51, 2, v51
	s_mov_b32 s0, 0x1000504
	s_mov_b32 s1, 0x3020706
	s_waitcnt lgkmcnt(4)
	v_mfma_f32_16x16x16_bf16 a[4:7], v[54:55], v[72:73], a[4:7]
	v_mfma_f32_16x16x16_bf16 a[0:3], v[54:55], v[70:71], a[0:3]
	ds_read2st64_b64 v[70:73], v60 offset0:52 offset1:56
	s_waitcnt lgkmcnt(1)
	v_mfma_f32_16x16x16_bf16 a[8:11], v[54:55], v[64:65], a[8:11]
	v_mfma_f32_16x16x16_bf16 a[12:15], v[54:55], v[66:67], a[12:15]
	ds_read2st64_b64 v[64:67], v61 offset0:52 offset1:56
	ds_read2st64_b64 v[76:79], v62 offset0:52 offset1:56
	;; [unrolled: 1-line block ×3, first 2 shown]
	s_waitcnt lgkmcnt(2)
	v_mfma_f32_16x16x16_bf16 a[4:7], v[84:85], v[64:65], a[4:7]
	v_and_b32_e32 v64, 1, v0
	v_xor_b32_e32 v65, 0x440, v51
	v_cmp_eq_u32_e32 vcc, 0, v64
	v_mfma_f32_16x16x16_bf16 a[0:3], v[84:85], v[70:71], a[0:3]
	s_waitcnt vmcnt(0)
	v_perm_b32 v64, v42, v46, s0
	v_cndmask_b32_e32 v51, v65, v51, vcc
	v_lshl_or_b32 v51, v52, 10, v51
	s_waitcnt lgkmcnt(1)
	v_mfma_f32_16x16x16_bf16 a[8:11], v[84:85], v[76:77], a[8:11]
	v_perm_b32 v52, v34, v38, s0
	ds_read_b64 v[54:55], v60 offset:30720
	ds_read_b64 v[70:71], v61 offset:30720
	;; [unrolled: 1-line block ×4, first 2 shown]
	ds_write2st64_b32 v51, v52, v64 offset0:128 offset1:160
	s_waitcnt lgkmcnt(5)
	v_mfma_f32_16x16x16_bf16 a[12:15], v[84:85], v[80:81], a[12:15]
	v_xor_b32_e32 v52, 8, v51
	v_perm_b32 v34, v34, v38, s1
	v_perm_b32 v38, v42, v46, s1
	v_add_u32_e32 v42, 0x80, v52
	ds_write2st64_b32 v42, v34, v38 offset0:128 offset1:160
	v_xor_b32_e32 v34, 16, v51
	v_perm_b32 v38, v35, v39, s0
	v_perm_b32 v42, v43, v47, s0
	v_mfma_f32_16x16x16_bf16 a[0:3], v[86:87], v[72:73], a[0:3]
	ds_write2st64_b32 v34, v38, v42 offset0:129 offset1:161
	v_xor_b32_e32 v34, 24, v51
	v_perm_b32 v35, v35, v39, s1
	v_mfma_f32_16x16x16_bf16 a[4:7], v[86:87], v[66:67], a[4:7]
	v_perm_b32 v38, v43, v47, s1
	v_add_u32_e32 v34, 0x80, v34
	ds_write2st64_b32 v34, v35, v38 offset0:129 offset1:161
	v_mfma_f32_16x16x16_bf16 a[16:19], v[86:87], v[78:79], a[8:11]
	v_xor_b32_e32 v34, 32, v51
	v_perm_b32 v35, v36, v40, s0
	v_perm_b32 v38, v44, v48, s0
	v_mfma_f32_16x16x16_bf16 a[20:23], v[86:87], v[82:83], a[12:15]
	ds_write2st64_b32 v34, v35, v38 offset0:130 offset1:162
	v_xor_b32_e32 v34, 40, v51
	v_perm_b32 v35, v36, v40, s1
	s_waitcnt lgkmcnt(8)
	v_mfma_f32_16x16x16_bf16 a[12:15], v[88:89], v[54:55], a[0:3]
	v_perm_b32 v36, v44, v48, s1
	v_add_u32_e32 v34, 0x80, v34
	ds_write2st64_b32 v34, v35, v36 offset0:130 offset1:162
	s_waitcnt lgkmcnt(8)
	v_mfma_f32_16x16x16_bf16 a[8:11], v[88:89], v[70:71], a[4:7]
	v_xor_b32_e32 v34, 48, v51
	v_perm_b32 v35, v37, v41, s0
	v_perm_b32 v36, v45, v49, s0
	s_waitcnt lgkmcnt(7)
	v_mfma_f32_16x16x16_bf16 a[4:7], v[88:89], v[90:91], a[16:19]
	ds_write2st64_b32 v34, v35, v36 offset0:131 offset1:163
	v_xor_b32_e32 v34, 56, v51
	v_and_or_b32 v65, v68, 12, v75
	s_waitcnt lgkmcnt(7)
	v_mfma_f32_16x16x16_bf16 a[0:3], v[88:89], v[92:93], a[20:23]
	v_perm_b32 v35, v37, v41, s1
	v_perm_b32 v36, v45, v49, s1
	v_add_u32_e32 v34, 0x80, v34
	v_cmp_gt_i32_e64 s[0:1], s56, v65
	v_mov_b32_e32 v54, 0
	v_mov_b32_e32 v55, 0
	ds_write2st64_b32 v34, v35, v36 offset0:131 offset1:163
	s_and_saveexec_b64 s[2:3], s[0:1]
	s_cbranch_execz .LBB165_62
; %bb.61:
	v_add_u32_e32 v34, s36, v65
	v_ashrrev_i32_e32 v35, 31, v34
	v_mul_lo_u32 v36, v35, s10
	v_mul_lo_u32 v37, v34, s11
	v_mad_u64_u32 v[34:35], s[4:5], v34, s10, 0
	v_add3_u32 v35, v35, v37, v36
	v_lshl_add_u64 v[34:35], v[34:35], 2, s[18:19]
	global_load_dword v34, v[34:35], off
	s_waitcnt vmcnt(0)
	v_sub_f32_e32 v34, s20, v34
	v_exp_f32_e32 v55, v34
.LBB165_62:
	s_or_b64 exec, exec, s[2:3]
	v_or_b32_e32 v46, 1, v65
	v_cmp_gt_i32_e64 s[4:5], s56, v46
	s_and_saveexec_b64 s[2:3], s[4:5]
	s_cbranch_execz .LBB165_64
; %bb.63:
	v_add_u32_e32 v34, s36, v46
	v_ashrrev_i32_e32 v35, 31, v34
	v_mul_lo_u32 v36, v35, s10
	v_mul_lo_u32 v37, v34, s11
	v_mad_u64_u32 v[34:35], s[12:13], v34, s10, 0
	v_add3_u32 v35, v35, v37, v36
	v_lshl_add_u64 v[34:35], v[34:35], 2, s[18:19]
	global_load_dword v34, v[34:35], off
	s_waitcnt vmcnt(0)
	v_sub_f32_e32 v34, s20, v34
	v_exp_f32_e32 v54, v34
.LBB165_64:
	s_or_b64 exec, exec, s[2:3]
	v_or_b32_e32 v42, 2, v65
	v_cmp_gt_i32_e64 s[2:3], s56, v42
	v_mov_b32_e32 v52, 0
	v_mov_b32_e32 v64, 0
	s_and_saveexec_b64 s[12:13], s[2:3]
	s_cbranch_execz .LBB165_66
; %bb.65:
	v_add_u32_e32 v34, s36, v42
	v_ashrrev_i32_e32 v35, 31, v34
	v_mul_lo_u32 v36, v35, s10
	v_mul_lo_u32 v37, v34, s11
	v_mad_u64_u32 v[34:35], s[14:15], v34, s10, 0
	v_add3_u32 v35, v35, v37, v36
	v_lshl_add_u64 v[34:35], v[34:35], 2, s[18:19]
	global_load_dword v34, v[34:35], off
	s_waitcnt vmcnt(0)
	v_sub_f32_e32 v34, s20, v34
	v_exp_f32_e32 v64, v34
.LBB165_66:
	s_or_b64 exec, exec, s[12:13]
	v_or_b32_e32 v43, 3, v65
	v_cmp_gt_i32_e32 vcc, s56, v43
	s_and_saveexec_b64 s[12:13], vcc
	s_cbranch_execz .LBB165_68
; %bb.67:
	v_add_u32_e32 v34, s36, v43
	v_ashrrev_i32_e32 v35, 31, v34
	v_mul_lo_u32 v36, v35, s10
	v_mul_lo_u32 v37, v34, s11
	v_mad_u64_u32 v[34:35], s[10:11], v34, s10, 0
	v_add3_u32 v35, v35, v37, v36
	v_lshl_add_u64 v[34:35], v[34:35], 2, s[18:19]
	global_load_dword v34, v[34:35], off
	s_waitcnt vmcnt(0)
	v_sub_f32_e32 v34, s20, v34
	v_exp_f32_e32 v52, v34
.LBB165_68:
	s_or_b64 exec, exec, s[12:13]
	s_add_u32 s10, s16, s38
	s_addc_u32 s11, s17, s39
	s_add_u32 s6, s6, s38
	v_ashrrev_i32_e32 v51, 31, v50
	v_accvgpr_read_b32 v37, a15
	s_addc_u32 s7, s7, s39
	v_lshlrev_b64 v[38:39], 1, v[50:51]
	v_accvgpr_read_b32 v36, a14
	v_accvgpr_read_b32 v35, a13
	;; [unrolled: 1-line block ×3, first 2 shown]
	v_lshl_add_u64 v[40:41], s[10:11], 0, v[38:39]
	v_lshl_add_u64 v[38:39], s[6:7], 0, v[38:39]
	v_mov_b32_e32 v47, 0
	v_lshlrev_b32_e32 v44, 8, v65
	v_mov_b32_e32 v45, 0
	s_and_saveexec_b64 s[6:7], s[0:1]
	s_cbranch_execz .LBB165_70
; %bb.69:
	v_mov_b32_e32 v45, 0
	v_lshl_add_u64 v[48:49], v[40:41], 0, v[44:45]
	global_load_ushort v51, v[48:49], off
	v_lshl_add_u64 v[48:49], v[38:39], 0, v[44:45]
	s_waitcnt vmcnt(0)
	v_lshlrev_b32_e32 v45, 16, v51
	v_sub_f32_e32 v34, v45, v34
	global_store_short_d16_hi v[48:49], v34, off
	v_mul_f32_e32 v34, v55, v34
	v_lshrrev_b32_e32 v45, 16, v34
.LBB165_70:
	s_or_b64 exec, exec, s[6:7]
	v_lshlrev_b32_e32 v46, 8, v46
	s_and_saveexec_b64 s[6:7], s[4:5]
	s_cbranch_execz .LBB165_72
; %bb.71:
	v_mov_b32_e32 v47, 0
	v_lshl_add_u64 v[48:49], v[40:41], 0, v[46:47]
	global_load_ushort v34, v[48:49], off
	v_lshl_add_u64 v[48:49], v[38:39], 0, v[46:47]
	s_waitcnt vmcnt(0)
	v_lshlrev_b32_e32 v34, 16, v34
	v_sub_f32_e32 v34, v34, v35
	global_store_short_d16_hi v[48:49], v34, off
	v_mul_f32_e32 v34, v54, v34
	v_lshrrev_b32_e32 v47, 16, v34
.LBB165_72:
	s_or_b64 exec, exec, s[6:7]
	v_mov_b32_e32 v66, 0
	v_lshlrev_b32_e32 v48, 8, v42
	v_mov_b32_e32 v49, 0
	s_and_saveexec_b64 s[6:7], s[2:3]
	s_cbranch_execz .LBB165_74
; %bb.73:
	v_mov_b32_e32 v49, 0
	v_lshl_add_u64 v[34:35], v[40:41], 0, v[48:49]
	global_load_ushort v42, v[34:35], off
	v_lshl_add_u64 v[34:35], v[38:39], 0, v[48:49]
	s_waitcnt vmcnt(0)
	v_lshlrev_b32_e32 v42, 16, v42
	v_sub_f32_e32 v36, v42, v36
	global_store_short_d16_hi v[34:35], v36, off
	v_mul_f32_e32 v34, v64, v36
	v_lshrrev_b32_e32 v49, 16, v34
.LBB165_74:
	s_or_b64 exec, exec, s[6:7]
	v_lshlrev_b32_e32 v42, 8, v43
	s_and_saveexec_b64 s[6:7], vcc
	s_cbranch_execz .LBB165_76
; %bb.75:
	v_mov_b32_e32 v43, 0
	v_lshl_add_u64 v[34:35], v[40:41], 0, v[42:43]
	global_load_ushort v36, v[34:35], off
	v_lshl_add_u64 v[34:35], v[38:39], 0, v[42:43]
	s_waitcnt vmcnt(0)
	v_lshlrev_b32_e32 v36, 16, v36
	v_sub_f32_e32 v36, v36, v37
	global_store_short_d16_hi v[34:35], v36, off
	v_mul_f32_e32 v34, v52, v36
	v_lshrrev_b32_e32 v66, 16, v34
.LBB165_76:
	s_or_b64 exec, exec, s[6:7]
	v_lshlrev_b32_e32 v51, 6, v65
	v_accvgpr_read_b32 v37, a11
	s_mov_b32 s6, 0x5040100
	v_or_b32_e32 v43, v51, v58
	v_accvgpr_read_b32 v36, a10
	v_accvgpr_read_b32 v35, a9
	;; [unrolled: 1-line block ×3, first 2 shown]
	v_perm_b32 v67, v66, v49, s6
	v_perm_b32 v66, v47, v45, s6
	v_lshlrev_b32_e32 v43, 1, v43
	v_mov_b32_e32 v47, 0
	v_mov_b32_e32 v45, 0
	ds_write_b64 v43, v[66:67] offset:24576
	s_and_saveexec_b64 s[6:7], s[0:1]
	s_cbranch_execz .LBB165_78
; %bb.77:
	v_mov_b32_e32 v45, 0
	v_lshl_add_u64 v[66:67], v[40:41], 0, v[44:45]
	global_load_ushort v43, v[66:67], off offset:32
	v_lshl_add_u64 v[66:67], v[38:39], 0, v[44:45]
	s_waitcnt vmcnt(0)
	v_lshlrev_b32_e32 v43, 16, v43
	v_sub_f32_e32 v34, v43, v34
	global_store_short_d16_hi v[66:67], v34, off offset:32
	v_mul_f32_e32 v34, v55, v34
	v_lshrrev_b32_e32 v45, 16, v34
.LBB165_78:
	s_or_b64 exec, exec, s[6:7]
	s_and_saveexec_b64 s[6:7], s[4:5]
	s_cbranch_execz .LBB165_80
; %bb.79:
	v_mov_b32_e32 v47, 0
	v_lshl_add_u64 v[66:67], v[40:41], 0, v[46:47]
	global_load_ushort v34, v[66:67], off offset:32
	v_lshl_add_u64 v[66:67], v[38:39], 0, v[46:47]
	s_waitcnt vmcnt(0)
	v_lshlrev_b32_e32 v34, 16, v34
	v_sub_f32_e32 v34, v34, v35
	global_store_short_d16_hi v[66:67], v34, off offset:32
	v_mul_f32_e32 v34, v54, v34
	v_lshrrev_b32_e32 v47, 16, v34
.LBB165_80:
	s_or_b64 exec, exec, s[6:7]
	v_mov_b32_e32 v43, 0
	v_mov_b32_e32 v49, 0
	s_and_saveexec_b64 s[6:7], s[2:3]
	s_cbranch_execz .LBB165_82
; %bb.81:
	v_mov_b32_e32 v49, 0
	v_lshl_add_u64 v[34:35], v[40:41], 0, v[48:49]
	global_load_ushort v58, v[34:35], off offset:32
	v_lshl_add_u64 v[34:35], v[38:39], 0, v[48:49]
	s_waitcnt vmcnt(0)
	v_lshlrev_b32_e32 v49, 16, v58
	v_sub_f32_e32 v36, v49, v36
	global_store_short_d16_hi v[34:35], v36, off offset:32
	v_mul_f32_e32 v34, v64, v36
	v_lshrrev_b32_e32 v49, 16, v34
.LBB165_82:
	s_or_b64 exec, exec, s[6:7]
	s_and_saveexec_b64 s[6:7], vcc
	s_cbranch_execz .LBB165_84
; %bb.83:
	v_mov_b32_e32 v43, 0
	v_lshl_add_u64 v[34:35], v[40:41], 0, v[42:43]
	global_load_ushort v36, v[34:35], off offset:32
	v_lshl_add_u64 v[34:35], v[38:39], 0, v[42:43]
	s_waitcnt vmcnt(0)
	v_lshlrev_b32_e32 v36, 16, v36
	v_sub_f32_e32 v36, v36, v37
	global_store_short_d16_hi v[34:35], v36, off offset:32
	v_mul_f32_e32 v34, v52, v36
	v_lshrrev_b32_e32 v43, 16, v34
.LBB165_84:
	s_or_b64 exec, exec, s[6:7]
	s_mov_b32 s6, 0x5040100
	v_accvgpr_read_b32 v37, a7
	v_perm_b32 v67, v43, v49, s6
	v_or_b32_e32 v43, v51, v57
	v_accvgpr_read_b32 v36, a6
	v_accvgpr_read_b32 v35, a5
	;; [unrolled: 1-line block ×3, first 2 shown]
	v_perm_b32 v66, v47, v45, s6
	v_lshlrev_b32_e32 v43, 1, v43
	v_mov_b32_e32 v47, 0
	v_mov_b32_e32 v45, 0
	ds_write_b64 v43, v[66:67] offset:24576
	s_and_saveexec_b64 s[6:7], s[0:1]
	s_cbranch_execz .LBB165_86
; %bb.85:
	v_mov_b32_e32 v45, 0
	v_lshl_add_u64 v[66:67], v[40:41], 0, v[44:45]
	global_load_ushort v43, v[66:67], off offset:64
	v_lshl_add_u64 v[66:67], v[38:39], 0, v[44:45]
	s_waitcnt vmcnt(0)
	v_lshlrev_b32_e32 v43, 16, v43
	v_sub_f32_e32 v34, v43, v34
	global_store_short_d16_hi v[66:67], v34, off offset:64
	v_mul_f32_e32 v34, v55, v34
	v_lshrrev_b32_e32 v45, 16, v34
.LBB165_86:
	s_or_b64 exec, exec, s[6:7]
	s_and_saveexec_b64 s[6:7], s[4:5]
	s_cbranch_execz .LBB165_88
; %bb.87:
	v_mov_b32_e32 v47, 0
	v_lshl_add_u64 v[66:67], v[40:41], 0, v[46:47]
	global_load_ushort v34, v[66:67], off offset:64
	v_lshl_add_u64 v[66:67], v[38:39], 0, v[46:47]
	s_waitcnt vmcnt(0)
	v_lshlrev_b32_e32 v34, 16, v34
	v_sub_f32_e32 v34, v34, v35
	global_store_short_d16_hi v[66:67], v34, off offset:64
	v_mul_f32_e32 v34, v54, v34
	v_lshrrev_b32_e32 v47, 16, v34
.LBB165_88:
	s_or_b64 exec, exec, s[6:7]
	v_mov_b32_e32 v43, 0
	v_mov_b32_e32 v49, 0
	s_and_saveexec_b64 s[6:7], s[2:3]
	s_cbranch_execz .LBB165_90
; %bb.89:
	v_mov_b32_e32 v49, 0
	v_lshl_add_u64 v[34:35], v[40:41], 0, v[48:49]
	global_load_ushort v57, v[34:35], off offset:64
	v_lshl_add_u64 v[34:35], v[38:39], 0, v[48:49]
	s_waitcnt vmcnt(0)
	v_lshlrev_b32_e32 v49, 16, v57
	v_sub_f32_e32 v36, v49, v36
	global_store_short_d16_hi v[34:35], v36, off offset:64
	v_mul_f32_e32 v34, v64, v36
	v_lshrrev_b32_e32 v49, 16, v34
.LBB165_90:
	s_or_b64 exec, exec, s[6:7]
	s_and_saveexec_b64 s[6:7], vcc
	s_cbranch_execz .LBB165_92
; %bb.91:
	v_mov_b32_e32 v43, 0
	v_lshl_add_u64 v[34:35], v[40:41], 0, v[42:43]
	global_load_ushort v36, v[34:35], off offset:64
	v_lshl_add_u64 v[34:35], v[38:39], 0, v[42:43]
	s_waitcnt vmcnt(0)
	v_lshlrev_b32_e32 v36, 16, v36
	v_sub_f32_e32 v36, v36, v37
	global_store_short_d16_hi v[34:35], v36, off offset:64
	v_mul_f32_e32 v34, v52, v36
	v_lshrrev_b32_e32 v43, 16, v34
.LBB165_92:
	s_or_b64 exec, exec, s[6:7]
	s_mov_b32 s6, 0x5040100
	v_accvgpr_read_b32 v37, a3
	v_perm_b32 v67, v43, v49, s6
	v_or_b32_e32 v43, v51, v56
	v_accvgpr_read_b32 v36, a2
	v_accvgpr_read_b32 v35, a1
	;; [unrolled: 1-line block ×3, first 2 shown]
	v_perm_b32 v66, v47, v45, s6
	v_lshlrev_b32_e32 v43, 1, v43
	v_mov_b32_e32 v47, 0
	v_mov_b32_e32 v45, 0
	ds_write_b64 v43, v[66:67] offset:24576
	s_and_saveexec_b64 s[6:7], s[0:1]
	s_cbranch_execz .LBB165_94
; %bb.93:
	v_mov_b32_e32 v45, 0
	v_lshl_add_u64 v[56:57], v[40:41], 0, v[44:45]
	global_load_ushort v43, v[56:57], off offset:96
	v_lshl_add_u64 v[44:45], v[38:39], 0, v[44:45]
	s_waitcnt vmcnt(0)
	v_lshlrev_b32_e32 v43, 16, v43
	v_sub_f32_e32 v34, v43, v34
	global_store_short_d16_hi v[44:45], v34, off offset:96
	v_mul_f32_e32 v34, v55, v34
	v_lshrrev_b32_e32 v45, 16, v34
.LBB165_94:
	s_or_b64 exec, exec, s[6:7]
	s_and_saveexec_b64 s[0:1], s[4:5]
	s_cbranch_execz .LBB165_96
; %bb.95:
	v_mov_b32_e32 v47, 0
	v_lshl_add_u64 v[56:57], v[40:41], 0, v[46:47]
	global_load_ushort v34, v[56:57], off offset:96
	v_lshl_add_u64 v[46:47], v[38:39], 0, v[46:47]
	s_waitcnt vmcnt(0)
	v_lshlrev_b32_e32 v34, 16, v34
	v_sub_f32_e32 v34, v34, v35
	global_store_short_d16_hi v[46:47], v34, off offset:96
	v_mul_f32_e32 v34, v54, v34
	v_lshrrev_b32_e32 v47, 16, v34
.LBB165_96:
	s_or_b64 exec, exec, s[0:1]
	v_mov_b32_e32 v43, 0
	v_mov_b32_e32 v46, 0
	s_and_saveexec_b64 s[0:1], s[2:3]
	s_cbranch_execz .LBB165_98
; %bb.97:
	v_mov_b32_e32 v49, 0
	v_lshl_add_u64 v[34:35], v[40:41], 0, v[48:49]
	global_load_ushort v44, v[34:35], off offset:96
	v_lshl_add_u64 v[34:35], v[38:39], 0, v[48:49]
	s_waitcnt vmcnt(0)
	v_lshlrev_b32_e32 v44, 16, v44
	v_sub_f32_e32 v36, v44, v36
	global_store_short_d16_hi v[34:35], v36, off offset:96
	v_mul_f32_e32 v34, v64, v36
	v_lshrrev_b32_e32 v46, 16, v34
.LBB165_98:
	s_or_b64 exec, exec, s[0:1]
	v_or_b32_e32 v44, 0x6000, v60
	v_or_b32_e32 v36, 0x6000, v61
	;; [unrolled: 1-line block ×4, first 2 shown]
	s_and_saveexec_b64 s[0:1], vcc
	s_cbranch_execz .LBB165_100
; %bb.99:
	v_mov_b32_e32 v43, 0
	v_lshl_add_u64 v[40:41], v[40:41], 0, v[42:43]
	global_load_ushort v40, v[40:41], off offset:96
	v_lshl_add_u64 v[38:39], v[38:39], 0, v[42:43]
	s_waitcnt vmcnt(0)
	v_lshlrev_b32_e32 v40, 16, v40
	v_sub_f32_e32 v37, v40, v37
	global_store_short_d16_hi v[38:39], v37, off offset:96
	v_mul_f32_e32 v37, v52, v37
	v_lshrrev_b32_e32 v43, 16, v37
.LBB165_100:
	s_or_b64 exec, exec, s[0:1]
	s_mov_b32 s0, 0x5040100
	v_or_b32_e32 v37, v51, v53
	v_perm_b32 v39, v43, v46, s0
	v_perm_b32 v38, v47, v45, s0
	v_lshlrev_b32_e32 v37, 1, v37
	s_movk_i32 s0, 0x100
	ds_write_b64 v37, v[38:39] offset:24576
	v_and_b32_e32 v37, 7, v0
	v_and_b32_e32 v38, 8, v0
	v_cmp_gt_u32_e32 vcc, s0, v0
	v_lshrrev_b32_e32 v0, 1, v0
	v_mov_b32_e32 v39, 0xa000
	v_mov_b32_e32 v40, 0x8000
	v_lshlrev_b32_e32 v58, 3, v74
	v_and_b32_e32 v0, 24, v0
	v_cndmask_b32_e32 v51, v39, v40, vcc
	v_xor_b32_e32 v39, v58, v0
	v_or_b32_e32 v40, 0x440, v39
	v_cmp_eq_u32_e32 vcc, 0, v38
	v_lshlrev_b32_e32 v45, 3, v37
	v_lshlrev_b32_e32 v37, 7, v37
	v_cndmask_b32_e32 v38, v40, v39, vcc
	v_or_b32_e32 v38, v38, v59
	v_xad_u32 v72, v38, v45, v37
	v_add_u32_e32 v38, v51, v72
	s_waitcnt lgkmcnt(0)
	s_barrier
	ds_read_b64 v[42:43], v38
	ds_read2_b64 v[38:41], v44 offset1:16
	ds_read2_b64 v[46:49], v44 offset0:32 offset1:48
	v_or_b32_e32 v52, 32, v0
	v_xor_b32_e32 v52, v58, v52
	v_or_b32_e32 v53, 0x440, v52
	v_cndmask_b32_e32 v52, v53, v52, vcc
	s_waitcnt lgkmcnt(1)
	v_mfma_f32_16x16x16_bf16 a[0:3], v[42:43], v[38:39], 0
	v_or_b32_e32 v52, v52, v59
	v_xad_u32 v73, v52, v45, v37
	v_add_u32_e32 v52, v51, v73
	v_mfma_f32_16x16x16_bf16 a[4:7], v[42:43], v[40:41], 0
	ds_read_b64 v[56:57], v52
	ds_read2st64_b64 v[60:63], v36 offset0:4 offset1:8
	ds_read2st64_b64 v[64:67], v35 offset0:4 offset1:8
	s_waitcnt lgkmcnt(3)
	v_mfma_f32_16x16x16_bf16 a[8:11], v[42:43], v[46:47], 0
	ds_read2st64_b64 v[68:71], v34 offset0:4 offset1:8
	v_mfma_f32_16x16x16_bf16 a[12:15], v[42:43], v[48:49], 0
	v_or_b32_e32 v42, 64, v0
	v_xor_b32_e32 v42, v58, v42
	v_xor_b32_e32 v43, 0x440, v42
	v_cndmask_b32_e32 v42, v43, v42, vcc
	v_or_b32_e32 v42, v42, v59
	v_xad_u32 v74, v42, v45, v37
	v_add_u32_e32 v42, v51, v74
	ds_read_b64 v[42:43], v42
	ds_read2st64_b64 v[52:55], v44 offset0:4 offset1:8
	v_or_b32_e32 v0, 0x60, v0
	v_xor_b32_e32 v0, v58, v0
	s_waitcnt lgkmcnt(0)
	v_mfma_f32_16x16x16_bf16 a[0:3], v[56:57], v[52:53], a[0:3]
	v_mfma_f32_16x16x16_bf16 a[4:7], v[56:57], v[60:61], a[4:7]
	;; [unrolled: 1-line block ×4, first 2 shown]
	v_xor_b32_e32 v56, 0x440, v0
	v_cndmask_b32_e32 v0, v56, v0, vcc
	v_or_b32_e32 v0, v0, v59
	v_xad_u32 v0, v0, v45, v37
	v_add_u32_e32 v37, v51, v0
	v_mfma_f32_16x16x16_bf16 a[0:3], v[42:43], v[54:55], a[0:3]
	ds_read_b64 v[56:57], v37
	ds_read_b64 v[44:45], v44 offset:6144
	v_mfma_f32_16x16x16_bf16 a[4:7], v[42:43], v[62:63], a[4:7]
	v_mfma_f32_16x16x16_bf16 a[8:11], v[42:43], v[66:67], a[8:11]
	;; [unrolled: 1-line block ×3, first 2 shown]
	ds_read_b64 v[36:37], v36 offset:6144
	ds_read_b64 v[42:43], v35 offset:6144
	;; [unrolled: 1-line block ×3, first 2 shown]
	s_waitcnt lgkmcnt(3)
	v_mfma_f32_16x16x16_bf16 a[0:3], v[56:57], v[44:45], a[0:3]
	s_waitcnt lgkmcnt(2)
	v_mfma_f32_16x16x16_bf16 a[4:7], v[56:57], v[36:37], a[4:7]
	;; [unrolled: 2-line block ×4, first 2 shown]
	ds_read_b64 v[56:57], v72 offset:40960
	s_waitcnt lgkmcnt(0)
	v_mfma_f32_16x16x16_bf16 a[24:27], v[56:57], v[46:47], 0
	v_exp_f32_e32 v46, s20
	v_accvgpr_read_b32 v47, a3
	v_fmac_f32_e32 v47, v46, v33
	v_mfma_f32_16x16x16_bf16 a[16:19], v[56:57], v[38:39], 0
	ds_read_b64 v[38:39], v73 offset:40960
	v_accvgpr_read_b32 v33, a4
	v_fma_f32 v22, v46, v22, v33
	v_mfma_f32_16x16x16_bf16 a[20:23], v[56:57], v[40:41], 0
	v_accvgpr_read_b32 v40, a0
	v_fma_f32 v30, v46, v30, v40
	v_accvgpr_read_b32 v40, a1
	v_fma_f32 v31, v46, v31, v40
	v_accvgpr_read_b32 v40, a2
	v_mfma_f32_16x16x16_bf16 a[28:31], v[56:57], v[48:49], 0
	v_fma_f32 v32, v46, v32, v40
	ds_read_b64 v[40:41], v74 offset:40960
	v_accvgpr_read_b32 v33, a5
	s_waitcnt lgkmcnt(1)
	v_mfma_f32_16x16x16_bf16 a[16:19], v[38:39], v[52:53], a[16:19]
	v_fma_f32 v23, v46, v23, v33
	v_accvgpr_read_b32 v33, a6
	v_accvgpr_read_b32 v48, a7
	v_mfma_f32_16x16x16_bf16 a[20:23], v[38:39], v[60:61], a[20:23]
	v_fmac_f32_e32 v48, v46, v25
	v_accvgpr_read_b32 v25, a8
	v_fma_f32 v24, v46, v24, v33
	v_mfma_f32_16x16x16_bf16 a[24:27], v[38:39], v[64:65], a[24:27]
	v_fma_f32 v14, v46, v14, v25
	v_mov_b32_e32 v33, v47
	v_mov_b32_e32 v25, v48
	v_mfma_f32_16x16x16_bf16 a[0:3], v[38:39], v[68:69], a[28:31]
	ds_read_b64 v[38:39], v0 offset:40960
	v_accvgpr_read_b32 v0, a9
	v_fma_f32 v15, v46, v15, v0
	s_waitcnt lgkmcnt(1)
	v_mfma_f32_16x16x16_bf16 a[4:7], v[40:41], v[62:63], a[20:23]
	v_accvgpr_read_b32 v0, a10
	v_fma_f32 v16, v46, v16, v0
	v_accvgpr_read_b32 v0, a11
	v_mfma_f32_16x16x16_bf16 a[16:19], v[40:41], v[54:55], a[16:19]
	v_fmac_f32_e32 v0, v46, v17
	v_accvgpr_read_b32 v17, a12
	v_fma_f32 v2, v46, v2, v17
	v_mfma_f32_16x16x16_bf16 a[20:23], v[40:41], v[66:67], a[24:27]
	v_accvgpr_read_b32 v17, a13
	v_fma_f32 v3, v46, v3, v17
	v_accvgpr_read_b32 v17, a14
	v_mfma_f32_16x16x16_bf16 a[0:3], v[40:41], v[70:71], a[0:3]
	v_fma_f32 v4, v46, v4, v17
	s_waitcnt lgkmcnt(0)
	v_mfma_f32_16x16x16_bf16 a[4:7], v[38:39], v[36:37], a[4:7]
	v_accvgpr_read_b32 v36, a15
	v_fmac_f32_e32 v36, v46, v5
	v_mfma_f32_16x16x16_bf16 a[8:11], v[38:39], v[44:45], a[16:19]
	v_mfma_f32_16x16x16_bf16 a[16:19], v[38:39], v[42:43], a[20:23]
	s_nop 2
	v_accvgpr_read_b32 v17, a4
	v_fma_f32 v18, v46, v18, v17
	v_accvgpr_read_b32 v17, a5
	v_mfma_f32_16x16x16_bf16 a[0:3], v[38:39], v[34:35], a[0:3]
	v_accvgpr_read_b32 v5, a8
	v_fma_f32 v19, v46, v19, v17
	v_accvgpr_read_b32 v17, a6
	v_fma_f32 v26, v46, v26, v5
	v_accvgpr_read_b32 v5, a9
	v_fma_f32 v20, v46, v20, v17
	v_accvgpr_read_b32 v17, a7
	v_accvgpr_read_b32 v34, a19
	v_fma_f32 v27, v46, v27, v5
	v_accvgpr_read_b32 v5, a10
	v_fmac_f32_e32 v17, v46, v21
	v_accvgpr_read_b32 v21, a16
	v_fmac_f32_e32 v34, v46, v13
	v_accvgpr_read_b32 v13, a0
	v_fma_f32 v28, v46, v28, v5
	v_accvgpr_read_b32 v5, a11
	v_fma_f32 v10, v46, v10, v21
	;; [unrolled: 2-line block ×3, first 2 shown]
	v_accvgpr_read_b32 v13, a1
	v_accvgpr_read_b32 v35, a3
	v_fmac_f32_e32 v5, v46, v29
	v_fma_f32 v11, v46, v11, v21
	v_accvgpr_read_b32 v21, a18
	v_fma_f32 v7, v46, v7, v13
	v_accvgpr_read_b32 v13, a2
	v_fmac_f32_e32 v35, v46, v9
	v_fma_f32 v12, v46, v12, v21
	v_fma_f32 v8, v46, v8, v13
	v_mov_b32_e32 v29, v5
	v_mov_b32_e32 v21, v17
	;; [unrolled: 1-line block ×7, first 2 shown]
.LBB165_101:
	s_mul_i32 s0, s47, s35
	s_mul_hi_u32 s1, s47, s34
	s_add_i32 s0, s1, s0
	s_mul_i32 s1, s33, s34
	s_add_i32 s1, s0, s1
	s_mul_i32 s0, s47, s34
	s_add_u32 s0, s0, s46
	s_addc_u32 s1, s1, s37
	s_lshl_b64 s[0:1], s[0:1], 16
	s_add_u32 s0, s8, s0
	v_lshlrev_b32_e32 v34, 7, v34
	s_addc_u32 s1, s9, s1
	v_ashrrev_i32_e32 v35, 31, v34
	v_lshl_add_u64 v[36:37], v[34:35], 2, s[0:1]
	v_lshlrev_b32_e32 v0, 2, v1
	v_mov_b32_e32 v1, 0
	v_lshl_add_u64 v[36:37], v[36:37], 0, v[0:1]
	global_store_dwordx4 v[36:37], v[30:33], off
	global_store_dwordx4 v[36:37], v[26:29], off offset:256
	s_nop 1
	v_or_b32_e32 v26, 0x800, v34
	v_ashrrev_i32_e32 v27, 31, v26
	v_lshl_add_u64 v[26:27], v[26:27], 2, s[0:1]
	v_lshl_add_u64 v[26:27], v[26:27], 0, v[0:1]
	global_store_dwordx4 v[26:27], v[22:25], off
	global_store_dwordx4 v[26:27], v[18:21], off offset:256
	s_nop 1
	v_or_b32_e32 v18, 0x1000, v34
	v_ashrrev_i32_e32 v19, 31, v18
	v_lshl_add_u64 v[18:19], v[18:19], 2, s[0:1]
	;; [unrolled: 7-line block ×3, first 2 shown]
	v_lshl_add_u64 v[0:1], v[10:11], 0, v[0:1]
	global_store_dwordx4 v[0:1], v[2:5], off
	global_store_dwordx4 v[0:1], v[6:9], off offset:256
	s_endpgm
	.section	.rodata,"a",@progbits
	.p2align	6, 0x0
	.amdhsa_kernel _ZN12_GLOBAL__N_139chunk_gated_delta_rule_fwd_h_hip_kernelILi64ELb0ELb1ELb1ELb1ELb1ELb0ELb1ELb0EEEvPK12hip_bfloat16S3_S3_PKfS5_PKvPS1_S8_PvPKiSB_iiiiilll
		.amdhsa_group_segment_fixed_size 65536
		.amdhsa_private_segment_fixed_size 0
		.amdhsa_kernarg_size 136
		.amdhsa_user_sgpr_count 2
		.amdhsa_user_sgpr_dispatch_ptr 0
		.amdhsa_user_sgpr_queue_ptr 0
		.amdhsa_user_sgpr_kernarg_segment_ptr 1
		.amdhsa_user_sgpr_dispatch_id 0
		.amdhsa_user_sgpr_kernarg_preload_length 0
		.amdhsa_user_sgpr_kernarg_preload_offset 0
		.amdhsa_user_sgpr_private_segment_size 0
		.amdhsa_uses_dynamic_stack 0
		.amdhsa_enable_private_segment 0
		.amdhsa_system_sgpr_workgroup_id_x 1
		.amdhsa_system_sgpr_workgroup_id_y 1
		.amdhsa_system_sgpr_workgroup_id_z 0
		.amdhsa_system_sgpr_workgroup_info 0
		.amdhsa_system_vgpr_workitem_id 0
		.amdhsa_next_free_vgpr 216
		.amdhsa_next_free_sgpr 67
		.amdhsa_accum_offset 180
		.amdhsa_reserve_vcc 1
		.amdhsa_float_round_mode_32 0
		.amdhsa_float_round_mode_16_64 0
		.amdhsa_float_denorm_mode_32 3
		.amdhsa_float_denorm_mode_16_64 3
		.amdhsa_dx10_clamp 1
		.amdhsa_ieee_mode 1
		.amdhsa_fp16_overflow 0
		.amdhsa_tg_split 0
		.amdhsa_exception_fp_ieee_invalid_op 0
		.amdhsa_exception_fp_denorm_src 0
		.amdhsa_exception_fp_ieee_div_zero 0
		.amdhsa_exception_fp_ieee_overflow 0
		.amdhsa_exception_fp_ieee_underflow 0
		.amdhsa_exception_fp_ieee_inexact 0
		.amdhsa_exception_int_div_zero 0
	.end_amdhsa_kernel
	.section	.text._ZN12_GLOBAL__N_139chunk_gated_delta_rule_fwd_h_hip_kernelILi64ELb0ELb1ELb1ELb1ELb1ELb0ELb1ELb0EEEvPK12hip_bfloat16S3_S3_PKfS5_PKvPS1_S8_PvPKiSB_iiiiilll,"axG",@progbits,_ZN12_GLOBAL__N_139chunk_gated_delta_rule_fwd_h_hip_kernelILi64ELb0ELb1ELb1ELb1ELb1ELb0ELb1ELb0EEEvPK12hip_bfloat16S3_S3_PKfS5_PKvPS1_S8_PvPKiSB_iiiiilll,comdat
.Lfunc_end165:
	.size	_ZN12_GLOBAL__N_139chunk_gated_delta_rule_fwd_h_hip_kernelILi64ELb0ELb1ELb1ELb1ELb1ELb0ELb1ELb0EEEvPK12hip_bfloat16S3_S3_PKfS5_PKvPS1_S8_PvPKiSB_iiiiilll, .Lfunc_end165-_ZN12_GLOBAL__N_139chunk_gated_delta_rule_fwd_h_hip_kernelILi64ELb0ELb1ELb1ELb1ELb1ELb0ELb1ELb0EEEvPK12hip_bfloat16S3_S3_PKfS5_PKvPS1_S8_PvPKiSB_iiiiilll
                                        ; -- End function
	.section	.AMDGPU.csdata,"",@progbits
; Kernel info:
; codeLenInByte = 12564
; NumSgprs: 73
; NumVgprs: 180
; NumAgprs: 36
; TotalNumVgprs: 216
; ScratchSize: 0
; MemoryBound: 0
; FloatMode: 240
; IeeeMode: 1
; LDSByteSize: 65536 bytes/workgroup (compile time only)
; SGPRBlocks: 9
; VGPRBlocks: 26
; NumSGPRsForWavesPerEU: 73
; NumVGPRsForWavesPerEU: 216
; AccumOffset: 180
; Occupancy: 1
; WaveLimiterHint : 1
; COMPUTE_PGM_RSRC2:SCRATCH_EN: 0
; COMPUTE_PGM_RSRC2:USER_SGPR: 2
; COMPUTE_PGM_RSRC2:TRAP_HANDLER: 0
; COMPUTE_PGM_RSRC2:TGID_X_EN: 1
; COMPUTE_PGM_RSRC2:TGID_Y_EN: 1
; COMPUTE_PGM_RSRC2:TGID_Z_EN: 0
; COMPUTE_PGM_RSRC2:TIDIG_COMP_CNT: 0
; COMPUTE_PGM_RSRC3_GFX90A:ACCUM_OFFSET: 44
; COMPUTE_PGM_RSRC3_GFX90A:TG_SPLIT: 0
	.section	.text._ZN12_GLOBAL__N_139chunk_gated_delta_rule_fwd_h_hip_kernelILi64ELb0ELb1ELb0ELb1ELb1ELb0ELb1ELb0EEEvPK12hip_bfloat16S3_S3_PKfS5_PKvPS1_S8_PvPKiSB_iiiiilll,"axG",@progbits,_ZN12_GLOBAL__N_139chunk_gated_delta_rule_fwd_h_hip_kernelILi64ELb0ELb1ELb0ELb1ELb1ELb0ELb1ELb0EEEvPK12hip_bfloat16S3_S3_PKfS5_PKvPS1_S8_PvPKiSB_iiiiilll,comdat
	.globl	_ZN12_GLOBAL__N_139chunk_gated_delta_rule_fwd_h_hip_kernelILi64ELb0ELb1ELb0ELb1ELb1ELb0ELb1ELb0EEEvPK12hip_bfloat16S3_S3_PKfS5_PKvPS1_S8_PvPKiSB_iiiiilll ; -- Begin function _ZN12_GLOBAL__N_139chunk_gated_delta_rule_fwd_h_hip_kernelILi64ELb0ELb1ELb0ELb1ELb1ELb0ELb1ELb0EEEvPK12hip_bfloat16S3_S3_PKfS5_PKvPS1_S8_PvPKiSB_iiiiilll
	.p2align	8
	.type	_ZN12_GLOBAL__N_139chunk_gated_delta_rule_fwd_h_hip_kernelILi64ELb0ELb1ELb0ELb1ELb1ELb0ELb1ELb0EEEvPK12hip_bfloat16S3_S3_PKfS5_PKvPS1_S8_PvPKiSB_iiiiilll,@function
_ZN12_GLOBAL__N_139chunk_gated_delta_rule_fwd_h_hip_kernelILi64ELb0ELb1ELb0ELb1ELb1ELb0ELb1ELb0EEEvPK12hip_bfloat16S3_S3_PKfS5_PKvPS1_S8_PvPKiSB_iiiiilll: ; @_ZN12_GLOBAL__N_139chunk_gated_delta_rule_fwd_h_hip_kernelILi64ELb0ELb1ELb0ELb1ELb1ELb0ELb1ELb0EEEvPK12hip_bfloat16S3_S3_PKfS5_PKvPS1_S8_PvPKiSB_iiiiilll
; %bb.0:
	s_load_dwordx4 s[16:19], s[0:1], 0x5c
	s_abs_i32 s23, s3
	s_ashr_i32 s22, s3, 31
	s_load_dwordx2 s[20:21], s[0:1], 0x50
	s_load_dwordx8 s[4:11], s[0:1], 0x0
	s_load_dwordx4 s[12:15], s[0:1], 0x40
	s_load_dwordx2 s[38:39], s[0:1], 0x30
	s_waitcnt lgkmcnt(0)
	s_abs_i32 s26, s17
	v_cvt_f32_u32_e32 v1, s26
	s_sub_i32 s24, 0, s26
	s_ashr_i32 s33, s17, 31
	s_xor_b32 s22, s22, s33
	v_rcp_iflag_f32_e32 v1, v1
	v_lshrrev_b32_e32 v72, 6, v0
	v_bfe_u32 v75, v0, 4, 2
	v_lshlrev_b32_e32 v73, 4, v72
	v_mul_f32_e32 v1, 0x4f7ffffe, v1
	v_cvt_u32_f32_e32 v1, v1
	v_lshlrev_b32_e32 v34, 2, v75
	v_and_b32_e32 v74, 63, v0
	v_mov_b32_e32 v5, 0
	v_readfirstlane_b32 s25, v1
	s_mul_i32 s24, s24, s25
	s_mul_hi_u32 s24, s25, s24
	s_add_i32 s25, s25, s24
	s_mul_hi_u32 s24, s23, s25
	s_mul_i32 s25, s24, s26
	s_sub_i32 s23, s23, s25
	s_add_i32 s27, s24, 1
	s_sub_i32 s25, s23, s26
	s_cmp_ge_u32 s23, s26
	s_cselect_b32 s24, s27, s24
	s_cselect_b32 s23, s25, s23
	s_add_i32 s25, s24, 1
	s_cmp_ge_u32 s23, s26
	s_cselect_b32 s23, s25, s24
	s_xor_b32 s23, s23, s22
	s_sub_i32 s34, s23, s22
	s_mul_i32 s22, s34, s17
	s_ashr_i32 s35, s34, 31
	s_sub_i32 s44, s3, s22
	s_lshl_b64 s[22:23], s[34:35], 2
	s_add_u32 s14, s14, s22
	s_addc_u32 s15, s15, s23
	s_add_u32 s24, s20, s22
	s_addc_u32 s25, s21, s23
	s_abs_i32 s3, s18
	v_cvt_f32_u32_e32 v1, s3
	s_load_dwordx2 s[36:37], s[14:15], 0x0
	s_sub_i32 s15, 0, s3
	s_mov_b32 s45, s17
	v_rcp_iflag_f32_e32 v1, v1
	v_and_b32_e32 v76, 15, v0
	s_waitcnt lgkmcnt(0)
	s_sub_i32 s54, s37, s36
	s_ashr_i32 s14, s54, 31
	v_mul_f32_e32 v1, 0x4f7ffffe, v1
	v_cvt_u32_f32_e32 v1, v1
	s_lshr_b32 s14, s14, 26
	s_add_i32 s14, s54, s14
	s_ashr_i32 s49, s14, 6
	v_readfirstlane_b32 s20, v1
	s_mul_i32 s15, s15, s20
	s_mul_hi_u32 s15, s20, s15
	s_add_i32 s20, s20, s15
	s_mul_hi_u32 s15, s26, s20
	s_mul_i32 s20, s15, s3
	s_ashr_i32 s14, s18, 31
	s_sub_i32 s20, s26, s20
	s_xor_b32 s14, s33, s14
	s_add_i32 s21, s15, 1
	s_sub_i32 s22, s20, s3
	s_cmp_ge_u32 s20, s3
	s_cselect_b32 s15, s21, s15
	s_cselect_b32 s20, s22, s20
	s_add_i32 s21, s15, 1
	s_cmp_ge_u32 s20, s3
	s_cselect_b32 s3, s21, s15
	s_xor_b32 s3, s3, s14
	s_sub_i32 s3, s3, s14
	s_abs_i32 s26, s3
	v_cvt_f32_u32_e32 v1, s26
	s_load_dwordx2 s[14:15], s[0:1], 0x80
	s_load_dwordx4 s[20:23], s[0:1], 0x70
	s_load_dword s50, s[24:25], 0x0
	s_xor_b32 s0, s44, s3
	v_rcp_iflag_f32_e32 v1, v1
	s_sub_i32 s3, 0, s26
	s_abs_i32 s1, s44
	s_ashr_i32 s0, s0, 31
	v_mul_f32_e32 v1, 0x4f7ffffe, v1
	v_cvt_u32_f32_e32 v1, v1
	s_mul_hi_i32 s51, s44, s16
	s_mul_i32 s52, s44, s16
	v_lshrrev_b32_e32 v78, 3, v74
	v_readfirstlane_b32 s24, v1
	s_mul_i32 s3, s3, s24
	s_mul_hi_u32 s3, s24, s3
	s_add_i32 s24, s24, s3
	s_mul_hi_u32 s3, s1, s24
	s_mul_i32 s24, s3, s26
	s_sub_i32 s1, s1, s24
	s_add_i32 s24, s3, 1
	s_sub_i32 s25, s1, s26
	s_cmp_ge_u32 s1, s26
	s_cselect_b32 s3, s24, s3
	s_cselect_b32 s1, s25, s1
	s_add_i32 s24, s3, 1
	s_cmp_ge_u32 s1, s26
	s_cselect_b32 s1, s24, s3
	s_xor_b32 s1, s1, s0
	s_sub_i32 s53, s1, s0
	v_or_b32_e32 v1, v34, v73
	s_lshl_b32 s2, s2, 6
	v_or_b32_e32 v79, 64, v1
	s_cmp_lt_i32 s54, 64
	v_lshlrev_b32_e32 v77, 3, v0
	s_waitcnt lgkmcnt(0)
	s_mul_i32 s46, s34, s21
	s_mul_hi_u32 s47, s34, s20
	s_mul_i32 s48, s35, s20
	s_mul_i32 s20, s34, s20
	v_mov_b32_e32 v4, v5
	v_mov_b32_e32 v3, v5
	;; [unrolled: 1-line block ×31, first 2 shown]
	s_cbranch_scc1 .LBB166_18
; %bb.1:
	s_ashr_i32 s56, s44, 31
	s_ashr_i32 s1, s36, 31
	s_add_u32 s0, s52, s36
	s_addc_u32 s1, s51, s1
	s_lshl_b64 s[0:1], s[0:1], 8
	v_and_b32_e32 v81, 56, v77
	s_add_u32 s24, s6, s0
	v_lshl_or_b32 v80, v72, 3, v78
	v_lshlrev_b32_e32 v2, 1, v81
	s_addc_u32 s0, s7, s1
	v_lshl_or_b32 v82, v80, 8, v2
	s_and_b32 s25, s0, 0xffff
	s_mov_b32 s27, 0x20000
	s_movk_i32 s26, 0x4000
	s_movk_i32 s0, 0x80
	v_or_b32_e32 v83, 0x2000, v82
	buffer_load_dwordx4 v[4:7], v82, s[24:27], 0 offen
	buffer_load_dwordx4 v[8:11], v82, s[24:27], s0 offen
	;; [unrolled: 1-line block ×4, first 2 shown]
	v_lshlrev_b32_e32 v3, 3, v80
	v_and_or_b32 v21, v0, 7, v3
	v_and_b32_e32 v3, 0x78, v3
	v_lshlrev_b32_e32 v21, 4, v21
	v_xor_b32_e32 v84, v21, v3
	v_mul_lo_u32 v20, v80, s19
	v_or_b32_e32 v85, 0x1000, v84
	v_xor_b32_e32 v3, 8, v84
	s_cmpk_eq_i32 s19, 0x80
	s_mov_b32 s55, s36
	v_xor_b32_e32 v21, 8, v85
	s_cselect_b64 s[0:1], -1, 0
	s_cmpk_lg_i32 s19, 0x80
	s_waitcnt vmcnt(3)
	ds_write_b64 v84, v[4:5] offset:49152
	ds_write_b64 v3, v[6:7] offset:49152
	s_waitcnt vmcnt(2)
	ds_write_b64 v84, v[8:9] offset:57344
	ds_write_b64 v3, v[10:11] offset:57344
	;; [unrolled: 3-line block ×4, first 2 shown]
	v_lshl_add_u32 v3, v20, 1, v81
	s_cbranch_scc0 .LBB166_3
; %bb.2:
	v_lshlrev_b32_e32 v5, 1, v3
	v_add_lshl_u32 v4, v3, s19, 1
	s_lshl_b32 s26, s19, 7
	v_lshl_or_b32 v2, v80, 9, v2
	s_cbranch_execz .LBB166_4
	s_branch .LBB166_5
.LBB166_3:
                                        ; implicit-def: $vgpr4
                                        ; implicit-def: $vgpr5
                                        ; implicit-def: $sgpr26
	v_lshl_or_b32 v2, v80, 9, v2
.LBB166_4:
	v_or_b32_e32 v4, 0x100, v2
	s_movk_i32 s26, 0x4000
	v_mov_b32_e32 v5, v2
.LBB166_5:
	s_mul_i32 s21, s36, s18
	s_ashr_i32 s57, s53, 31
	s_mul_hi_i32 s3, s36, s18
	s_add_u32 s24, s21, s53
	s_addc_u32 s25, s3, s57
	s_lshl_b64 s[24:25], s[24:25], 8
	s_add_u32 s24, s4, s24
	s_addc_u32 s3, s5, s25
	s_and_b32 s25, s3, 0xffff
	s_movk_i32 s58, 0x80
	buffer_load_dwordx4 v[6:9], v5, s[24:27], 0 offen
	buffer_load_dwordx4 v[10:13], v5, s[24:27], s58 offen
	buffer_load_dwordx4 v[14:17], v4, s[24:27], 0 offen
	buffer_load_dwordx4 v[18:21], v4, s[24:27], s58 offen
	v_and_b32_e32 v5, 6, v0
	v_lshlrev_b32_e32 v4, 7, v1
	v_xor_b32_e32 v27, v80, v5
	v_and_b32_e32 v22, 1, v0
	v_lshl_or_b32 v30, v76, 3, v4
	v_lshlrev_b32_e32 v27, 2, v27
	v_lshlrev_b32_e32 v23, 2, v76
	v_or_b32_e32 v86, 0x4000, v30
	v_or_b32_e32 v87, 0x6000, v30
	v_xor_b32_e32 v30, 0x440, v27
	v_cmp_eq_u32_e32 vcc, 0, v22
	v_or_b32_e32 v25, 16, v76
	v_or_b32_e32 v26, 32, v76
	v_xor_b32_e32 v28, v1, v23
	v_xor_b32_e32 v29, v79, v23
	v_cndmask_b32_e32 v22, v30, v27, vcc
	s_add_i32 s3, s47, s46
	s_mov_b32 s59, 0x1000504
	v_lshl_or_b32 v31, v25, 3, v4
	v_lshlrev_b32_e32 v25, 8, v25
	v_lshl_or_b32 v32, v26, 3, v4
	v_lshlrev_b32_e32 v28, 1, v28
	v_lshlrev_b32_e32 v29, 1, v29
	v_lshl_or_b32 v5, v5, 10, v22
	s_add_i32 s21, s3, s48
	s_mul_i32 s3, s44, s23
	s_mul_hi_u32 s24, s44, s22
	s_mov_b32 s60, 0x3020706
	v_lshlrev_b32_e32 v24, 8, v76
	v_or_b32_e32 v90, 0x4000, v32
	v_or_b32_e32 v91, 0x6000, v32
	;; [unrolled: 1-line block ×4, first 2 shown]
	v_xor_b32_e32 v22, 8, v5
	v_xor_b32_e32 v25, 24, v5
	;; [unrolled: 1-line block ×4, first 2 shown]
	s_add_i32 s3, s24, s3
	s_mul_i32 s24, s56, s22
	v_or_b32_e32 v88, 0x4000, v31
	v_or_b32_e32 v89, 0x6000, v31
	;; [unrolled: 1-line block ×4, first 2 shown]
	v_xor_b32_e32 v24, 16, v5
	v_xor_b32_e32 v27, 32, v5
	;; [unrolled: 1-line block ×3, first 2 shown]
	v_add_u32_e32 v22, 0x80, v22
	v_add_u32_e32 v25, 0x80, v25
	;; [unrolled: 1-line block ×4, first 2 shown]
	s_add_i32 s25, s3, s24
	s_lshl_b64 s[28:29], s[20:21], 2
	s_mul_i32 s24, s44, s22
	s_add_u32 s3, s10, s28
	s_addc_u32 s21, s11, s29
	s_lshl_b64 s[24:25], s[24:25], 2
	s_add_u32 s40, s3, s24
	s_movk_i32 s3, 0xf8
	s_addc_u32 s41, s21, s25
	s_lshl_b32 s30, s19, 7
	s_movk_i32 s21, 0x100
	v_mov_b32_e32 v67, 0
	v_lshlrev_b32_e32 v66, 4, v76
	v_cmp_gt_u32_e32 vcc, s21, v0
	v_lshlrev_b32_e32 v26, 8, v26
	s_mov_b32 s61, 0
	s_movk_i32 s26, 0x4000
	v_or_b32_e32 v96, v26, v28
	v_or_b32_e32 v97, v26, v29
	v_add_u32_e32 v126, v73, v34
	s_movk_i32 s21, 0x2000
	s_movk_i32 s62, 0x3000
	v_mov_b32_e32 v26, v67
	s_waitcnt vmcnt(1)
	v_perm_b32 v33, v6, v14, s59
	s_waitcnt vmcnt(0)
	v_perm_b32 v35, v10, v18, s59
	v_perm_b32 v6, v6, v14, s60
	;; [unrolled: 1-line block ×15, first 2 shown]
	ds_write2st64_b32 v5, v33, v35 offset0:128 offset1:160
	ds_write2st64_b32 v22, v6, v10 offset0:128 offset1:160
	;; [unrolled: 1-line block ×8, first 2 shown]
	v_or_b32_e32 v5, 48, v76
	v_lshl_or_b32 v6, v5, 3, v4
	v_lshlrev_b32_e32 v5, 8, v5
	v_or_b32_e32 v100, v5, v28
	v_or_b32_e32 v101, v5, v29
	;; [unrolled: 1-line block ×3, first 2 shown]
	v_lshlrev_b32_e32 v5, 3, v5
	v_lshrrev_b32_e32 v7, 5, v74
	v_and_or_b32 v7, v5, s3, v7
	v_lshlrev_b32_e32 v7, 4, v7
	v_lshlrev_b32_e32 v10, 11, v72
	v_and_b32_e32 v5, 0x78, v5
	v_or_b32_e32 v13, 32, v7
	v_or_b32_e32 v98, 0x4000, v6
	;; [unrolled: 1-line block ×3, first 2 shown]
	v_and_b32_e32 v6, 0x1000, v10
	v_xor_b32_e32 v8, v7, v5
	v_lshrrev_b32_e32 v11, 1, v0
	v_xor_b32_e32 v13, v13, v5
	v_or_b32_e32 v8, v8, v6
	v_and_b32_e32 v9, 8, v11
	v_lshlrev_b32_e32 v12, 8, v75
	v_or_b32_e32 v13, v13, v6
	v_xor_b32_e32 v102, v8, v9
	v_or_b32_e32 v8, v12, v23
	v_xor_b32_e32 v104, v13, v9
	v_or_b32_e32 v13, 64, v7
	v_or_b32_e32 v7, 0x60, v7
	s_ashr_i32 s3, s2, 31
	v_lshlrev_b32_e32 v8, 1, v8
	v_xor_b32_e32 v13, v13, v5
	v_xor_b32_e32 v5, v7, v5
	s_lshl_b64 s[24:25], s[2:3], 8
	v_or_b32_e32 v103, 0x4000, v8
	v_or_b32_e32 v105, 0x4080, v8
	;; [unrolled: 1-line block ×10, first 2 shown]
	s_add_u32 s24, s38, s24
	v_lshlrev_b32_e32 v8, 1, v76
	v_xor_b32_e32 v108, v13, v9
	v_xor_b32_e32 v109, v5, v9
	v_lshrrev_b32_e32 v14, 4, v0
	s_addc_u32 s25, s39, s25
	v_or_b32_e32 v9, 1, v8
	v_mov_b32_e32 v18, 0xa000
	v_mov_b32_e32 v19, 0x8000
	v_xor_b32_e32 v15, v14, v8
	v_xor_b32_e32 v16, v9, v14
	v_lshl_add_u64 v[8:9], s[24:25], 0, v[66:67]
	v_lshlrev_b32_e32 v66, 8, v14
	v_cndmask_b32_e32 v18, v18, v19, vcc
	v_lshlrev_b32_e32 v19, 3, v72
	v_and_b32_e32 v11, 24, v11
	v_lshl_or_b32 v114, v15, 3, v66
	v_and_b32_e32 v15, 8, v0
	v_xor_b32_e32 v20, v19, v11
	v_or_b32_e32 v21, 0x440, v20
	v_cmp_eq_u32_e32 vcc, 0, v15
	v_and_b32_e32 v14, 7, v0
	v_lshl_or_b32 v115, v16, 3, v66
	v_cndmask_b32_e32 v15, v21, v20, vcc
	v_lshlrev_b32_e32 v16, 3, v14
	v_lshlrev_b32_e32 v14, 7, v14
	v_or_b32_e32 v15, v15, v10
	v_lshlrev_b32_e32 v17, 2, v0
	v_xad_u32 v116, v15, v16, v14
	v_or_b32_e32 v15, 32, v11
	v_and_or_b32 v12, v17, 60, v12
	v_xor_b32_e32 v15, v19, v15
	v_lshlrev_b32_e32 v12, 1, v12
	v_or_b32_e32 v17, 0x440, v15
	v_or_b32_e32 v117, 0x6000, v12
	v_cndmask_b32_e32 v15, v17, v15, vcc
	v_or_b32_e32 v119, 0x6080, v12
	v_or_b32_e32 v120, 0x6100, v12
	;; [unrolled: 1-line block ×5, first 2 shown]
	v_xor_b32_e32 v12, v19, v12
	v_xad_u32 v118, v15, v16, v14
	v_xor_b32_e32 v15, 0x440, v12
	v_cndmask_b32_e32 v12, v15, v12, vcc
	v_or_b32_e32 v11, 0x60, v11
	v_or_b32_e32 v12, v12, v10
	v_xor_b32_e32 v11, v19, v11
	v_xad_u32 v122, v12, v16, v14
	v_xor_b32_e32 v12, 0x440, v11
	v_cndmask_b32_e32 v11, v12, v11, vcc
	v_or_b32_e32 v6, s2, v76
	v_or_b32_e32 v10, v11, v10
	v_ashrrev_i32_e32 v7, 31, v6
	v_lshlrev_b32_e32 v5, 1, v3
	v_add_lshl_u32 v3, v3, s19, 1
	v_or_b32_e32 v13, 0x100, v2
	v_xad_u32 v123, v10, v16, v14
	v_cndmask_b32_e64 v124, v5, v2, s[0:1]
	v_cndmask_b32_e64 v125, v3, v13, s[0:1]
	v_lshl_add_u64 v[68:69], v[6:7], 1, s[8:9]
	v_lshl_add_u64 v[70:71], v[8:9], 0, v[66:67]
	s_mov_b32 s3, 0x7060302
	v_lshlrev_b32_e32 v66, 1, v4
	v_add_u32_e32 v127, v18, v116
	v_add_u32_e32 v128, v18, v118
	;; [unrolled: 1-line block ×4, first 2 shown]
	v_mov_b32_e32 v27, v67
	v_mov_b32_e32 v28, v67
	;; [unrolled: 1-line block ×31, first 2 shown]
	s_waitcnt lgkmcnt(0)
	s_barrier
.LBB166_6:                              ; =>This Inner Loop Header: Depth=1
	s_add_i32 s63, s61, 1
	s_cmp_lt_i32 s63, s49
	s_mov_b64 s[28:29], 0
	s_cselect_b64 s[42:43], -1, 0
	s_cmp_ge_i32 s63, s49
	s_mov_b64 s[24:25], 0
	s_cbranch_scc1 .LBB166_8
; %bb.7:                                ;   in Loop: Header=BB166_6 Depth=1
	s_add_i32 s0, s55, 64
	s_ashr_i32 s1, s0, 31
	s_add_u32 s0, s52, s0
	s_addc_u32 s1, s51, s1
	s_lshl_b64 s[0:1], s[0:1], 8
	s_add_u32 s24, s6, s0
	s_addc_u32 s25, s7, s1
.LBB166_8:                              ;   in Loop: Header=BB166_6 Depth=1
	v_cndmask_b32_e64 v34, 0, 1, s[42:43]
	v_cmp_ne_u32_e64 s[0:1], 1, v34
	s_andn2_b64 vcc, exec, s[42:43]
	s_cbranch_vccnz .LBB166_10
; %bb.9:                                ;   in Loop: Header=BB166_6 Depth=1
	s_add_i32 s28, s55, 64
	s_mul_hi_i32 s29, s28, s18
	s_mul_i32 s28, s28, s18
	s_add_u32 s28, s28, s53
	s_addc_u32 s29, s29, s57
	s_lshl_b64 s[28:29], s[28:29], 8
	s_add_u32 s28, s4, s28
	s_addc_u32 s29, s5, s29
.LBB166_10:                             ;   in Loop: Header=BB166_6 Depth=1
	v_perm_b32 v35, v33, v32, s3
	v_perm_b32 v34, v31, v30, s3
	v_perm_b32 v37, v29, v28, s3
	v_perm_b32 v36, v27, v26, s3
	ds_write_b64 v86, v[34:35]
	ds_write_b64 v87, v[36:37]
	ds_write_b64 v92, v[34:35]
	ds_write_b64 v93, v[36:37]
	v_perm_b32 v35, v25, v24, s3
	v_perm_b32 v34, v23, v22, s3
	v_perm_b32 v37, v21, v20, s3
	v_perm_b32 v36, v19, v18, s3
	ds_write_b64 v88, v[34:35]
	ds_write_b64 v89, v[36:37]
	ds_write_b64 v94, v[34:35]
	ds_write_b64 v95, v[36:37]
	;; [unrolled: 8-line block ×4, first 2 shown]
	s_waitcnt lgkmcnt(0)
	s_barrier
	ds_read_b64 v[38:39], v102 offset:49152
	ds_read2_b64 v[34:37], v103 offset1:16
	ds_read_b64 v[50:51], v105 offset:6144
	ds_read_b64 v[52:53], v103 offset:6144
	s_waitcnt lgkmcnt(2)
	v_mfma_f32_16x16x16_bf16 a[0:3], v[38:39], v[34:35], 0
	ds_read_b64 v[54:55], v104 offset:49152
	ds_read2st64_b64 v[42:45], v106 offset0:4 offset1:8
	ds_read2st64_b64 v[46:49], v107 offset0:4 offset1:8
	v_mfma_f32_16x16x16_bf16 a[4:7], v[38:39], v[36:37], 0
	ds_read2_b64 v[34:37], v103 offset0:32 offset1:48
	s_add_i32 s31, s55, 63
	s_ashr_i32 s42, s31, 31
	s_waitcnt lgkmcnt(0)
	v_mfma_f32_16x16x16_bf16 a[8:11], v[38:39], v[34:35], 0
	s_mul_i32 s43, s31, s15
	s_mul_hi_u32 s64, s31, s14
	s_add_i32 s43, s64, s43
	v_mfma_f32_16x16x16_bf16 a[12:15], v[38:39], v[36:37], 0
	ds_read2st64_b64 v[34:37], v103 offset0:4 offset1:8
	ds_read2st64_b64 v[38:41], v105 offset0:4 offset1:8
	s_mul_i32 s42, s42, s14
	s_waitcnt lgkmcnt(1)
	v_mfma_f32_16x16x16_bf16 a[0:3], v[54:55], v[34:35], a[0:3]
	s_add_i32 s43, s43, s42
	s_mul_i32 s42, s31, s14
	s_lshl_b64 s[42:43], s[42:43], 2
	s_waitcnt lgkmcnt(0)
	v_mfma_f32_16x16x16_bf16 a[4:7], v[54:55], v[38:39], a[4:7]
	s_add_u32 s42, s40, s42
	s_addc_u32 s43, s41, s43
	s_and_b64 vcc, exec, s[0:1]
	v_mfma_f32_16x16x16_bf16 a[8:11], v[54:55], v[42:43], a[8:11]
	ds_read_b64 v[34:35], v108 offset:49152
	ds_read_b64 v[38:39], v109 offset:49152
	;; [unrolled: 1-line block ×3, first 2 shown]
	v_mov_b32_e32 v133, 0
	v_mov_b32_e32 v132, 0
	v_mfma_f32_16x16x16_bf16 a[12:15], v[54:55], v[46:47], a[12:15]
	v_mov_b32_e32 v131, 0
	v_mov_b32_e32 v46, 0
	v_mov_b32_e32 v47, 0
	s_waitcnt lgkmcnt(2)
	v_mfma_f32_16x16x16_bf16 a[0:3], v[34:35], v[36:37], a[0:3]
	v_mov_b32_e32 v36, 0
	v_mov_b32_e32 v37, 0
	v_mfma_f32_16x16x16_bf16 a[16:19], v[34:35], v[40:41], a[4:7]
	v_mov_b32_e32 v40, 0
	v_mov_b32_e32 v41, 0
	;; [unrolled: 3-line block ×3, first 2 shown]
	v_mfma_f32_16x16x16_bf16 a[24:27], v[34:35], v[48:49], a[12:15]
	ds_read_b64 v[34:35], v106 offset:6144
	v_mov_b32_e32 v48, 0
	v_mov_b32_e32 v49, 0
	s_waitcnt lgkmcnt(2)
	v_mfma_f32_16x16x16_bf16 a[4:7], v[38:39], v[52:53], a[0:3]
	v_mfma_f32_16x16x16_bf16 a[8:11], v[38:39], v[50:51], a[16:19]
	s_waitcnt lgkmcnt(0)
	v_mfma_f32_16x16x16_bf16 a[12:15], v[38:39], v[34:35], a[20:23]
	v_mov_b32_e32 v34, 0
	v_mov_b32_e32 v35, 0
	v_mfma_f32_16x16x16_bf16 a[0:3], v[38:39], v[42:43], a[24:27]
	v_mov_b32_e32 v38, 0
	v_mov_b32_e32 v39, 0
	;; [unrolled: 1-line block ×4, first 2 shown]
	s_cbranch_vccnz .LBB166_12
; %bb.11:                               ;   in Loop: Header=BB166_6 Depth=1
	s_and_b32 s25, s25, 0xffff
	buffer_load_dwordx4 v[46:49], v82, s[24:27], 0 offen
	buffer_load_dwordx4 v[42:45], v82, s[24:27], s58 offen
	;; [unrolled: 1-line block ×4, first 2 shown]
	v_mov_b32_e32 v132, v84
	v_mov_b32_e32 v131, v85
.LBB166_12:                             ;   in Loop: Header=BB166_6 Depth=1
	ds_read_b64 v[134:135], v102 offset:57344
	ds_read2_b64 v[50:53], v110 offset1:16
	ds_read_b64 v[136:137], v104 offset:57344
	ds_read_b64 v[138:139], v108 offset:57344
	;; [unrolled: 1-line block ×3, first 2 shown]
	v_add_u32_e32 v142, s55, v126
	s_waitcnt lgkmcnt(3)
	v_mfma_f32_16x16x16_bf16 a[4:7], v[134:135], v[50:51], a[4:7]
	v_mfma_f32_16x16x16_bf16 a[8:11], v[134:135], v[52:53], a[8:11]
	ds_read2_b64 v[50:53], v110 offset0:32 offset1:48
	ds_read2st64_b64 v[54:57], v110 offset0:4 offset1:8
	ds_read2st64_b64 v[58:61], v111 offset0:4 offset1:8
	;; [unrolled: 1-line block ×3, first 2 shown]
	s_waitcnt lgkmcnt(3)
	v_mfma_f32_16x16x16_bf16 a[12:15], v[134:135], v[50:51], a[12:15]
	v_ashrrev_i32_e32 v50, 31, v142
	v_mfma_f32_16x16x16_bf16 a[0:3], v[134:135], v[52:53], a[0:3]
	v_mul_lo_u32 v52, v50, s14
	v_mul_lo_u32 v53, v142, s15
	v_mad_u64_u32 v[50:51], s[24:25], v142, s14, 0
	v_add3_u32 v51, v51, v53, v52
	v_add_u32_e32 v52, 1, v142
	v_ashrrev_i32_e32 v53, 31, v52
	s_waitcnt lgkmcnt(2)
	v_mfma_f32_16x16x16_bf16 a[4:7], v[136:137], v[54:55], a[4:7]
	v_mul_lo_u32 v54, v53, s14
	v_mul_lo_u32 v55, v52, s15
	v_mad_u64_u32 v[52:53], s[24:25], v52, s14, 0
	v_add3_u32 v53, v53, v55, v54
	v_add_u32_e32 v54, 2, v142
	v_ashrrev_i32_e32 v55, 31, v54
	s_waitcnt lgkmcnt(1)
	v_mfma_f32_16x16x16_bf16 a[8:11], v[136:137], v[58:59], a[8:11]
	v_mul_lo_u32 v58, v55, s14
	v_mul_lo_u32 v59, v54, s15
	v_mad_u64_u32 v[54:55], s[24:25], v54, s14, 0
	v_add3_u32 v55, v55, v59, v58
	v_add_u32_e32 v58, 3, v142
	v_ashrrev_i32_e32 v59, 31, v58
	v_mul_lo_u32 v134, v59, s14
	v_mul_lo_u32 v135, v58, s15
	v_mad_u64_u32 v[58:59], s[24:25], v58, s14, 0
	s_ashr_i32 s25, s55, 31
	s_add_u32 s24, s52, s55
	s_addc_u32 s25, s51, s25
	v_lshl_add_u64 v[50:51], v[50:51], 2, s[40:41]
	v_add3_u32 v59, v59, v135, v134
	s_lshl_b64 s[24:25], s[24:25], 8
	v_lshl_add_u64 v[52:53], v[52:53], 2, s[40:41]
	v_lshl_add_u64 v[54:55], v[54:55], 2, s[40:41]
	v_lshl_add_u64 v[58:59], v[58:59], 2, s[40:41]
	global_load_dword v134, v[50:51], off
	global_load_dword v135, v[52:53], off
	;; [unrolled: 1-line block ×4, first 2 shown]
	v_lshl_add_u64 v[50:51], v[68:69], 0, s[24:25]
	v_lshl_add_u64 v[54:55], v[50:51], 0, v[66:67]
	global_load_ushort v144, v[54:55], off offset:256
	global_load_ushort v145, v[54:55], off
	ds_read2st64_b64 v[50:53], v113 offset0:4 offset1:8
	global_load_ushort v146, v[54:55], off offset:768
	global_load_ushort v147, v[54:55], off offset:512
	s_waitcnt lgkmcnt(1)
	v_mfma_f32_16x16x16_bf16 a[12:15], v[136:137], v[62:63], a[12:15]
	s_and_b64 vcc, exec, s[0:1]
	s_waitcnt vmcnt(3)
	v_lshlrev_b32_e32 v63, 16, v144
	s_waitcnt lgkmcnt(0)
	v_mfma_f32_16x16x16_bf16 a[0:3], v[136:137], v[50:51], a[0:3]
	global_load_ushort v136, v[54:55], off offset:288
	global_load_ushort v137, v[54:55], off offset:32
	;; [unrolled: 1-line block ×8, first 2 shown]
	v_mfma_f32_16x16x16_bf16 a[4:7], v[138:139], v[56:57], a[4:7]
	ds_read_b64 v[50:51], v110 offset:6144
	s_waitcnt vmcnt(10)
	v_lshlrev_b32_e32 v62, 16, v145
	v_mfma_f32_16x16x16_bf16 a[8:11], v[138:139], v[60:61], a[8:11]
	v_mfma_f32_16x16x16_bf16 a[12:15], v[138:139], v[64:65], a[12:15]
	;; [unrolled: 1-line block ×3, first 2 shown]
	global_load_ushort v138, v[54:55], off offset:352
	global_load_ushort v139, v[54:55], off offset:96
	ds_read_b64 v[52:53], v111 offset:6144
	ds_read_b64 v[56:57], v112 offset:6144
	;; [unrolled: 1-line block ×3, first 2 shown]
	global_load_ushort v154, v[54:55], off offset:864
	global_load_ushort v155, v[54:55], off offset:608
	s_load_dword s24, s[42:43], 0x0
	s_waitcnt lgkmcnt(0)
	v_mfma_f32_16x16x16_bf16 a[4:7], v[140:141], v[50:51], a[4:7]
	v_sub_f32_e32 v60, s24, v142
	v_mfma_f32_16x16x16_bf16 a[0:3], v[140:141], v[58:59], a[0:3]
	v_sub_f32_e32 v58, s24, v134
	v_sub_f32_e32 v59, s24, v135
	;; [unrolled: 1-line block ×3, first 2 shown]
	v_mfma_f32_16x16x16_bf16 a[8:11], v[140:141], v[52:53], a[8:11]
	v_exp_f32_e32 v58, v58
	v_exp_f32_e32 v59, v59
	;; [unrolled: 1-line block ×4, first 2 shown]
	v_accvgpr_read_b32 v65, a5
	v_accvgpr_read_b32 v64, a4
	v_accvgpr_read_b32 v51, a7
	v_accvgpr_read_b32 v50, a6
	v_pk_add_f32 v[62:63], v[62:63], v[64:65] neg_lo:[0,1] neg_hi:[0,1]
	s_waitcnt vmcnt(13)
	v_lshlrev_b32_e32 v65, 16, v146
	s_waitcnt vmcnt(12)
	v_lshlrev_b32_e32 v64, 16, v147
	v_pk_add_f32 v[50:51], v[64:65], v[50:51] neg_lo:[0,1] neg_hi:[0,1]
	v_pk_mul_f32 v[62:63], v[58:59], v[62:63]
	v_pk_mul_f32 v[50:51], v[60:61], v[50:51]
	v_accvgpr_read_b32 v65, a9
	v_perm_b32 v51, v51, v50, s3
	v_perm_b32 v50, v63, v62, s3
	v_accvgpr_read_b32 v64, a8
	v_accvgpr_read_b32 v53, a11
	v_mfma_f32_16x16x16_bf16 a[12:15], v[140:141], v[56:57], a[12:15]
	v_accvgpr_read_b32 v52, a10
	v_accvgpr_read_b32 v57, a3
	;; [unrolled: 1-line block ×3, first 2 shown]
	v_mov_b32_e32 v134, 0
	s_waitcnt vmcnt(11)
	v_lshlrev_b32_e32 v63, 16, v136
	s_waitcnt vmcnt(10)
	v_lshlrev_b32_e32 v62, 16, v137
	v_pk_add_f32 v[62:63], v[62:63], v[64:65] neg_lo:[0,1] neg_hi:[0,1]
	s_waitcnt vmcnt(9)
	v_lshlrev_b32_e32 v65, 16, v148
	s_waitcnt vmcnt(8)
	v_lshlrev_b32_e32 v64, 16, v149
	v_pk_add_f32 v[52:53], v[64:65], v[52:53] neg_lo:[0,1] neg_hi:[0,1]
	v_pk_mul_f32 v[62:63], v[58:59], v[62:63]
	v_pk_mul_f32 v[52:53], v[60:61], v[52:53]
	v_accvgpr_read_b32 v55, a15
	v_perm_b32 v53, v53, v52, s3
	v_perm_b32 v52, v63, v62, s3
	ds_write2_b64 v87, v[50:51], v[52:53] offset1:16
	v_accvgpr_read_b32 v53, a13
	s_waitcnt vmcnt(7)
	v_lshlrev_b32_e32 v51, 16, v150
	s_waitcnt vmcnt(6)
	v_lshlrev_b32_e32 v50, 16, v151
	v_accvgpr_read_b32 v52, a12
	v_accvgpr_read_b32 v54, a14
	v_pk_add_f32 v[50:51], v[50:51], v[52:53] neg_lo:[0,1] neg_hi:[0,1]
	s_waitcnt vmcnt(5)
	v_lshlrev_b32_e32 v53, 16, v152
	s_waitcnt vmcnt(4)
	v_lshlrev_b32_e32 v52, 16, v153
	v_pk_add_f32 v[52:53], v[52:53], v[54:55] neg_lo:[0,1] neg_hi:[0,1]
	v_pk_mul_f32 v[50:51], v[58:59], v[50:51]
	v_pk_mul_f32 v[52:53], v[60:61], v[52:53]
	v_accvgpr_read_b32 v55, a1
	v_perm_b32 v53, v53, v52, s3
	v_perm_b32 v52, v51, v50, s3
	s_waitcnt vmcnt(3)
	v_lshlrev_b32_e32 v51, 16, v138
	s_waitcnt vmcnt(2)
	v_lshlrev_b32_e32 v50, 16, v139
	v_accvgpr_read_b32 v54, a0
	v_pk_add_f32 v[50:51], v[50:51], v[54:55] neg_lo:[0,1] neg_hi:[0,1]
	s_waitcnt vmcnt(1)
	v_lshlrev_b32_e32 v55, 16, v154
	s_waitcnt vmcnt(0)
	v_lshlrev_b32_e32 v54, 16, v155
	v_pk_add_f32 v[54:55], v[54:55], v[56:57] neg_lo:[0,1] neg_hi:[0,1]
	v_pk_mul_f32 v[50:51], v[58:59], v[50:51]
	v_pk_mul_f32 v[54:55], v[60:61], v[54:55]
	v_mov_b32_e32 v56, 0
	v_perm_b32 v55, v55, v54, s3
	v_perm_b32 v54, v51, v50, s3
	ds_write2_b64 v87, v[52:53], v[54:55] offset0:32 offset1:48
	v_mov_b32_e32 v50, 0
	v_mov_b32_e32 v51, 0
	;; [unrolled: 1-line block ×15, first 2 shown]
	s_cbranch_vccnz .LBB166_14
; %bb.13:                               ;   in Loop: Header=BB166_6 Depth=1
	s_and_b32 s29, s29, 0xffff
	s_mov_b32 s31, s27
	buffer_load_dwordx4 v[62:65], v124, s[28:31], 0 offen
	buffer_load_dwordx4 v[54:57], v124, s[28:31], s58 offen
	;; [unrolled: 1-line block ×4, first 2 shown]
	v_mov_b32_e32 v133, v81
	v_mov_b32_e32 v134, v80
.LBB166_14:                             ;   in Loop: Header=BB166_6 Depth=1
	s_waitcnt lgkmcnt(0)
	s_barrier
	ds_read_b64 v[144:145], v127
	ds_read2_b64 v[136:139], v117 offset1:16
	ds_read_b64 v[160:161], v128
	ds_read_b64 v[162:163], v129
	;; [unrolled: 1-line block ×3, first 2 shown]
	ds_read2_b64 v[140:143], v117 offset0:32 offset1:48
	s_waitcnt lgkmcnt(4)
	v_mfma_f32_16x16x16_bf16 a[0:3], v[144:145], v[136:137], 0
	ds_read2st64_b64 v[148:151], v119 offset0:4 offset1:8
	ds_read2st64_b64 v[152:155], v120 offset0:4 offset1:8
	;; [unrolled: 1-line block ×3, first 2 shown]
	v_mfma_f32_16x16x16_bf16 a[4:7], v[144:145], v[138:139], 0
	s_add_i32 s25, s50, s61
	s_mul_hi_i32 s29, s25, s45
	s_mul_i32 s25, s25, s45
	s_waitcnt lgkmcnt(3)
	v_mfma_f32_16x16x16_bf16 a[8:11], v[144:145], v[140:141], 0
	s_add_u32 s28, s25, s44
	s_addc_u32 s29, s29, s56
	s_lshl_b64 s[28:29], s[28:29], 15
	v_mfma_f32_16x16x16_bf16 a[12:15], v[144:145], v[142:143], 0
	ds_read2st64_b64 v[144:147], v117 offset0:4 offset1:8
	s_waitcnt lgkmcnt(0)
	v_mfma_f32_16x16x16_bf16 a[0:3], v[160:161], v[144:145], a[0:3]
	v_mfma_f32_16x16x16_bf16 a[4:7], v[160:161], v[148:149], a[4:7]
	;; [unrolled: 1-line block ×8, first 2 shown]
	ds_read_b64 v[160:161], v117 offset:6144
	ds_read_b64 v[162:163], v118 offset:40960
	;; [unrolled: 1-line block ×8, first 2 shown]
	s_waitcnt lgkmcnt(5)
	v_mfma_f32_16x16x16_bf16 a[16:19], v[166:167], v[136:137], 0
	v_mfma_f32_16x16x16_bf16 a[20:23], v[166:167], v[138:139], 0
	ds_read2st64_b64 v[136:139], v114 offset1:8
	v_mfma_f32_16x16x16_bf16 a[24:27], v[166:167], v[140:141], 0
	v_mfma_f32_16x16x16_bf16 a[28:31], v[166:167], v[142:143], 0
	ds_read2st64_b64 v[140:143], v115 offset1:8
	v_mfma_f32_16x16x16_bf16 a[16:19], v[162:163], v[144:145], a[16:19]
	s_waitcnt lgkmcnt(1)
	v_mov_b32_e32 v144, v136
	v_mov_b32_e32 v145, v137
	v_mfma_f32_16x16x16_bf16 a[20:23], v[162:163], v[148:149], a[20:23]
	v_lshl_add_u64 v[148:149], v[70:71], 0, s[28:29]
	v_mfma_f32_16x16x16_bf16 a[24:27], v[162:163], v[152:153], a[24:27]
	v_mfma_f32_16x16x16_bf16 a[28:31], v[162:163], v[156:157], a[28:31]
	;; [unrolled: 1-line block ×3, first 2 shown]
	s_waitcnt lgkmcnt(0)
	v_mov_b32_e32 v146, v140
	v_mov_b32_e32 v147, v141
	;; [unrolled: 1-line block ×3, first 2 shown]
	v_mfma_f32_16x16x16_bf16 a[32:35], v[174:175], v[150:151], a[20:23]
	v_mov_b32_e32 v141, v139
	ds_read2st64_b64 v[136:139], v114 offset0:16 offset1:24
	global_store_dwordx4 v[148:149], v[144:147], off
	v_mfma_f32_16x16x16_bf16 a[24:27], v[174:175], v[154:155], a[24:27]
	ds_read2st64_b64 v[144:147], v115 offset0:16 offset1:24
	v_add_co_u32_e32 v150, vcc, s21, v148
	v_mfma_f32_16x16x16_bf16 a[28:31], v[174:175], v[158:159], a[28:31]
	s_nop 0
	v_addc_co_u32_e32 v151, vcc, 0, v149, vcc
	global_store_dwordx4 v[150:151], v[140:143], off offset:-4096
	v_mfma_f32_16x16x16_bf16 a[0:3], v[164:165], v[160:161], a[0:3]
	s_waitcnt lgkmcnt(1)
	v_mov_b32_e32 v140, v136
	v_add_co_u32_e32 v136, vcc, s62, v148
	v_mfma_f32_16x16x16_bf16 a[4:7], v[164:165], v[168:169], a[4:7]
	v_mov_b32_e32 v141, v137
	v_addc_co_u32_e32 v137, vcc, 0, v149, vcc
	v_mfma_f32_16x16x16_bf16 a[8:11], v[164:165], v[170:171], a[8:11]
	s_waitcnt lgkmcnt(0)
	v_mov_b32_e32 v142, v144
	v_mov_b32_e32 v143, v145
	;; [unrolled: 1-line block ×3, first 2 shown]
	v_mfma_f32_16x16x16_bf16 a[12:15], v[164:165], v[172:173], a[12:15]
	v_mov_b32_e32 v145, v139
	s_and_b64 vcc, exec, s[0:1]
	global_store_dwordx4 v[150:151], v[140:143], off
	v_mfma_f32_16x16x16_bf16 a[20:23], v[176:177], v[160:161], a[16:19]
	global_store_dwordx4 v[136:137], v[144:147], off
	v_mfma_f32_16x16x16_bf16 a[16:19], v[176:177], v[168:169], a[32:35]
	v_mfma_f32_16x16x16_bf16 a[24:27], v[176:177], v[170:171], a[24:27]
	;; [unrolled: 1-line block ×3, first 2 shown]
	s_cbranch_vccnz .LBB166_16
; %bb.15:                               ;   in Loop: Header=BB166_6 Depth=1
	v_lshrrev_b32_e32 v135, 3, v133
	v_and_b32_e32 v135, 6, v135
	v_xor_b32_e32 v134, v135, v134
	v_lshlrev_b32_e32 v134, 2, v134
	v_and_b32_e32 v133, 8, v133
	v_xor_b32_e32 v136, 0x440, v134
	v_cmp_eq_u32_e32 vcc, 0, v133
	s_barrier
	s_nop 0
	v_cndmask_b32_e32 v133, v136, v134, vcc
	v_lshl_or_b32 v133, v135, 10, v133
	s_waitcnt vmcnt(5)
	v_perm_b32 v134, v62, v58, s59
	s_waitcnt vmcnt(4)
	v_perm_b32 v135, v54, v50, s59
	ds_write2st64_b32 v133, v134, v135 offset0:128 offset1:160
	v_xor_b32_e32 v134, 8, v133
	v_perm_b32 v58, v62, v58, s60
	v_perm_b32 v50, v54, v50, s60
	v_add_u32_e32 v54, 0x80, v134
	ds_write2st64_b32 v54, v58, v50 offset0:128 offset1:160
	v_xor_b32_e32 v50, 16, v133
	v_perm_b32 v54, v63, v59, s59
	v_perm_b32 v58, v55, v51, s59
	ds_write2st64_b32 v50, v54, v58 offset0:129 offset1:161
	v_xor_b32_e32 v50, 24, v133
	v_perm_b32 v54, v63, v59, s60
	v_perm_b32 v51, v55, v51, s60
	v_add_u32_e32 v50, 0x80, v50
	ds_write2st64_b32 v50, v54, v51 offset0:129 offset1:161
	v_xor_b32_e32 v50, 32, v133
	v_perm_b32 v51, v64, v60, s59
	;; [unrolled: 9-line block ×3, first 2 shown]
	v_perm_b32 v52, v57, v53, s59
	ds_write2st64_b32 v50, v51, v52 offset0:131 offset1:163
	v_xor_b32_e32 v50, 56, v133
	v_perm_b32 v51, v65, v61, s60
	v_perm_b32 v52, v57, v53, s60
	v_add_u32_e32 v50, 0x80, v50
	ds_write2st64_b32 v50, v51, v52 offset0:131 offset1:163
	ds_write_b64 v132, v[46:47] offset:49152
	v_xor_b32_e32 v46, 8, v132
	ds_write_b64 v46, v[48:49] offset:49152
	ds_write_b64 v132, v[42:43] offset:57344
	;; [unrolled: 1-line block ×4, first 2 shown]
	v_xor_b32_e32 v38, 8, v131
	ds_write_b64 v38, v[40:41] offset:49152
	ds_write_b64 v131, v[34:35] offset:57344
	;; [unrolled: 1-line block ×3, first 2 shown]
.LBB166_16:                             ;   in Loop: Header=BB166_6 Depth=1
	v_exp_f32_e32 v132, s24
	v_accvgpr_read_b32 v37, a3
	v_accvgpr_read_b32 v41, a7
	;; [unrolled: 1-line block ×4, first 2 shown]
	s_waitcnt vmcnt(4)
	v_accvgpr_read_b32 v53, a23
	v_accvgpr_read_b32 v57, a19
	;; [unrolled: 1-line block ×28, first 2 shown]
	s_add_i32 s55, s55, 64
	v_pk_fma_f32 v[30:31], v[132:133], v[30:31], v[34:35] op_sel_hi:[0,1,1]
	v_pk_fma_f32 v[32:33], v[132:133], v[32:33], v[36:37] op_sel_hi:[0,1,1]
	;; [unrolled: 1-line block ×15, first 2 shown]
	s_cmp_eq_u32 s49, s63
	v_pk_fma_f32 v[8:9], v[132:133], v[8:9], v[64:65] op_sel_hi:[0,1,1]
	s_cbranch_scc1 .LBB166_18
; %bb.17:                               ;   in Loop: Header=BB166_6 Depth=1
	s_mov_b32 s61, s63
	s_branch .LBB166_6
.LBB166_18:
	s_lshl_b32 s3, s49, 6
	s_sub_i32 s54, s54, s3
	s_cmp_gt_i32 s54, 0
	v_or_b32_e32 v50, s2, v76
	s_cbranch_scc1 .LBB166_20
; %bb.19:
	s_ashr_i32 s29, s44, 31
	v_or_b32_e32 v34, s2, v76
	s_cbranch_execz .LBB166_21
	s_branch .LBB166_101
.LBB166_20:
                                        ; implicit-def: $vgpr34
                                        ; implicit-def: $sgpr28_sgpr29
.LBB166_21:
	s_add_i32 s28, s3, s36
	s_ashr_i32 s3, s28, 31
	s_cmpk_lg_i32 s19, 0x80
	s_cselect_b64 s[40:41], -1, 0
	s_and_b64 vcc, exec, s[40:41]
	s_cbranch_vccz .LBB166_23
; %bb.22:
	s_mul_hi_i32 s0, s28, s18
	s_mul_i32 s1, s28, s18
	s_ashr_i32 s18, s53, 31
	s_add_u32 s42, s1, s53
	s_addc_u32 s43, s0, s18
	s_cbranch_execz .LBB166_24
	s_branch .LBB166_25
.LBB166_23:
                                        ; implicit-def: $sgpr42_sgpr43
.LBB166_24:
	s_mul_i32 s1, s53, s16
	s_mul_hi_i32 s0, s53, s16
	s_add_u32 s42, s1, s28
	s_addc_u32 s43, s0, s3
.LBB166_25:
	s_add_i32 s16, s49, s50
	s_ashr_i32 s29, s44, 31
	s_add_u32 s0, s52, s28
	v_lshlrev_b32_e32 v38, 6, v1
	v_lshlrev_b32_e32 v58, 2, v76
	s_addc_u32 s1, s51, s3
	s_mov_b32 s3, 0x7060302
	v_or_b32_e32 v41, v38, v58
	v_xor_b32_e32 v39, v1, v58
	v_perm_b32 v35, v33, v32, s3
	v_perm_b32 v34, v31, v30, s3
	;; [unrolled: 1-line block ×4, first 2 shown]
	v_lshlrev_b32_e32 v41, 1, v41
	v_xor_b32_e32 v40, v79, v58
	ds_write2st64_b64 v41, v[34:35], v[36:37] offset0:32 offset1:48
	v_lshlrev_b32_e32 v39, 1, v39
	v_lshlrev_b32_e32 v41, 8, v76
	v_or_b32_e32 v42, v39, v41
	v_lshlrev_b32_e32 v40, 1, v40
	ds_write_b64 v42, v[34:35]
	v_or_b32_e32 v34, v40, v41
	v_or_b32_e32 v41, 16, v76
	v_lshlrev_b32_e32 v57, 2, v41
	v_or_b32_e32 v42, v38, v57
	ds_write_b64 v34, v[36:37]
	v_perm_b32 v35, v25, v24, s3
	v_perm_b32 v34, v23, v22, s3
	;; [unrolled: 1-line block ×4, first 2 shown]
	v_lshlrev_b32_e32 v42, 1, v42
	v_lshlrev_b32_e32 v41, 8, v41
	ds_write2st64_b64 v42, v[34:35], v[36:37] offset0:32 offset1:48
	v_or_b32_e32 v42, v39, v41
	ds_write_b64 v42, v[34:35]
	v_or_b32_e32 v34, v40, v41
	v_or_b32_e32 v41, 32, v76
	v_lshlrev_b32_e32 v56, 2, v41
	v_or_b32_e32 v42, v38, v56
	ds_write_b64 v34, v[36:37]
	v_perm_b32 v35, v17, v16, s3
	v_perm_b32 v34, v15, v14, s3
	;; [unrolled: 1-line block ×4, first 2 shown]
	v_lshlrev_b32_e32 v42, 1, v42
	v_lshlrev_b32_e32 v41, 8, v41
	s_lshl_b64 s[30:31], s[0:1], 8
	ds_write2st64_b64 v42, v[34:35], v[36:37] offset0:32 offset1:48
	v_or_b32_e32 v42, v39, v41
	s_add_u32 s0, s6, s30
	ds_write_b64 v42, v[34:35]
	v_or_b32_e32 v34, v40, v41
	s_addc_u32 s1, s7, s31
	ds_write_b64 v34, v[36:37]
	v_perm_b32 v35, v5, v4, s3
	v_perm_b32 v34, v3, v2, s3
	;; [unrolled: 1-line block ×4, first 2 shown]
	v_or_b32_e32 v41, 48, v76
	s_mul_hi_i32 s3, s16, s17
	s_mul_i32 s16, s16, s17
	v_lshlrev_b32_e32 v53, 2, v41
	s_add_u32 s6, s16, s44
	v_or_b32_e32 v38, v38, v53
	s_addc_u32 s7, s3, s29
	v_lshlrev_b32_e32 v38, 1, v38
	s_ashr_i32 s3, s2, 31
	s_lshl_b64 s[6:7], s[6:7], 15
	ds_write2st64_b64 v38, v[34:35], v[36:37] offset0:32 offset1:48
	v_lshlrev_b32_e32 v38, 8, v41
	s_add_u32 s6, s38, s6
	v_or_b32_e32 v39, v39, v38
	s_addc_u32 s7, s39, s7
	s_lshl_b64 s[2:3], s[2:3], 8
	ds_write_b64 v39, v[34:35]
	v_or_b32_e32 v34, v40, v38
	s_add_u32 s2, s6, s2
	v_lshlrev_b32_e32 v35, 1, v76
	ds_write_b64 v34, v[36:37]
	v_lshrrev_b32_e32 v34, 4, v0
	s_addc_u32 s3, s7, s3
	v_or_b32_e32 v36, 1, v35
	v_lshlrev_b32_e32 v42, 4, v76
	v_mov_b32_e32 v43, 0
	v_xor_b32_e32 v35, v34, v35
	v_xor_b32_e32 v38, v36, v34
	v_lshl_add_u64 v[44:45], s[2:3], 0, v[42:43]
	v_lshlrev_b32_e32 v42, 8, v34
	v_lshl_or_b32 v48, v35, 3, v42
	v_lshl_or_b32 v49, v38, 3, v42
	s_waitcnt lgkmcnt(0)
	s_barrier
	ds_read2st64_b64 v[34:37], v48 offset1:8
	ds_read2st64_b64 v[38:41], v49 offset1:8
	v_lshl_add_u64 v[46:47], v[44:45], 0, v[42:43]
	s_movk_i32 s2, 0x2000
	s_cmp_lg_u32 s54, 64
	s_waitcnt lgkmcnt(1)
	v_mov_b32_e32 v42, v34
	v_mov_b32_e32 v43, v35
	s_waitcnt lgkmcnt(0)
	v_mov_b32_e32 v44, v38
	v_mov_b32_e32 v45, v39
	global_store_dwordx4 v[46:47], v[42:45], off
	v_mov_b32_e32 v38, v36
	v_mov_b32_e32 v39, v37
	ds_read2st64_b64 v[34:37], v48 offset0:16 offset1:24
	ds_read2st64_b64 v[42:45], v49 offset0:16 offset1:24
	v_add_co_u32_e32 v48, vcc, s2, v46
	s_cselect_b64 s[6:7], -1, 0
	s_nop 0
	v_addc_co_u32_e32 v49, vcc, 0, v47, vcc
	global_store_dwordx4 v[48:49], v[38:41], off offset:-4096
	v_lshl_or_b32 v51, v72, 3, v78
	s_mov_b32 s24, 0
	s_waitcnt lgkmcnt(1)
	v_mov_b32_e32 v38, v34
	v_add_co_u32_e32 v34, vcc, 0x3000, v46
	v_mov_b32_e32 v39, v35
	s_nop 0
	v_addc_co_u32_e32 v35, vcc, 0, v47, vcc
	s_waitcnt lgkmcnt(0)
	v_mov_b32_e32 v40, v42
	v_mov_b32_e32 v41, v43
	;; [unrolled: 1-line block ×4, first 2 shown]
	v_or_b32_e32 v54, 32, v51
	v_and_b32_e32 v52, 56, v77
	s_and_b64 vcc, exec, s[6:7]
	global_store_dwordx4 v[48:49], v[38:41], off
	global_store_dwordx4 v[34:35], v[42:45], off
	s_cbranch_vccz .LBB166_31
; %bb.26:
	s_mov_b32 s26, s24
	s_mov_b32 s27, s24
	;; [unrolled: 1-line block ×3, first 2 shown]
	v_mov_b64_e32 v[40:41], s[26:27]
	v_mov_b64_e32 v[38:39], s[24:25]
	;; [unrolled: 1-line block ×3, first 2 shown]
	v_cmp_gt_i32_e32 vcc, s54, v51
	v_mov_b64_e32 v[36:37], v[40:41]
	s_and_saveexec_b64 s[2:3], vcc
	s_cbranch_execz .LBB166_28
; %bb.27:
	v_lshlrev_b32_e32 v34, 8, v51
	v_mov_b32_e32 v35, 0
	v_lshl_add_u64 v[36:37], s[0:1], 0, v[34:35]
	v_lshlrev_b32_e32 v34, 1, v52
	v_lshl_add_u64 v[42:43], v[36:37], 0, v[34:35]
	global_load_dwordx4 v[38:41], v[42:43], off
	global_load_dwordx4 v[34:37], v[42:43], off offset:128
.LBB166_28:
	s_or_b64 exec, exec, s[2:3]
	s_mov_b32 s26, s24
	s_mov_b32 s27, s24
	;; [unrolled: 1-line block ×3, first 2 shown]
	v_mov_b64_e32 v[48:49], s[26:27]
	v_mov_b64_e32 v[46:47], s[24:25]
	;; [unrolled: 1-line block ×3, first 2 shown]
	v_cmp_gt_i32_e32 vcc, s54, v54
	v_lshlrev_b32_e32 v55, 7, v54
	v_mov_b64_e32 v[44:45], v[48:49]
	s_and_saveexec_b64 s[2:3], vcc
	s_cbranch_execz .LBB166_30
; %bb.29:
	v_lshlrev_b32_e32 v42, 1, v55
	v_mov_b32_e32 v43, 0
	v_lshl_add_u64 v[44:45], s[0:1], 0, v[42:43]
	v_lshlrev_b32_e32 v42, 1, v52
	v_lshl_add_u64 v[60:61], v[44:45], 0, v[42:43]
	global_load_dwordx4 v[46:49], v[60:61], off
	global_load_dwordx4 v[42:45], v[60:61], off offset:128
.LBB166_30:
	s_or_b64 exec, exec, s[2:3]
	v_lshrrev_b32_e32 v59, 3, v52
	v_lshlrev_b32_e32 v60, 3, v51
	v_or_b32_e32 v59, v60, v59
	v_lshlrev_b32_e32 v59, 4, v59
	v_and_b32_e32 v60, 0x78, v60
	v_xor_b32_e32 v59, v59, v60
	s_branch .LBB166_33
.LBB166_31:
                                        ; implicit-def: $vgpr59
                                        ; implicit-def: $vgpr55
                                        ; implicit-def: $vgpr38_vgpr39_vgpr40_vgpr41
                                        ; implicit-def: $vgpr34_vgpr35_vgpr36_vgpr37
                                        ; implicit-def: $vgpr46_vgpr47_vgpr48_vgpr49
                                        ; implicit-def: $vgpr42_vgpr43_vgpr44_vgpr45
	s_cbranch_execz .LBB166_33
; %bb.32:
	s_waitcnt vmcnt(0)
	v_lshlrev_b32_e32 v34, 1, v52
	v_lshl_or_b32 v55, v51, 8, v34
	s_and_b32 s1, s1, 0xffff
	s_mov_b32 s3, 0x20000
	s_movk_i32 s2, 0x4000
	v_lshl_or_b32 v59, v54, 8, v34
	s_movk_i32 s16, 0x80
	buffer_load_dwordx4 v[38:41], v55, s[0:3], 0 offen
	buffer_load_dwordx4 v[34:37], v55, s[0:3], s16 offen
	;; [unrolled: 1-line block ×4, first 2 shown]
	v_lshrrev_b32_e32 v55, 3, v52
	v_lshlrev_b32_e32 v59, 3, v51
	v_or_b32_e32 v55, v59, v55
	v_lshlrev_b32_e32 v55, 4, v55
	v_and_b32_e32 v59, 0x78, v59
	v_xor_b32_e32 v59, v55, v59
	v_lshlrev_b32_e32 v55, 7, v54
.LBB166_33:
	s_movk_i32 s0, 0x1000
	v_and_or_b32 v54, v55, s0, v59
	s_waitcnt vmcnt(1)
	ds_write_b64 v59, v[38:39] offset:49152
	v_xor_b32_e32 v38, 8, v59
	ds_write_b64 v38, v[40:41] offset:49152
	s_waitcnt vmcnt(0)
	ds_write_b64 v59, v[34:35] offset:57344
	ds_write_b64 v38, v[36:37] offset:57344
	;; [unrolled: 1-line block ×3, first 2 shown]
	v_xor_b32_e32 v34, 8, v54
	ds_write_b64 v34, v[48:49] offset:49152
	ds_write_b64 v54, v[42:43] offset:57344
	;; [unrolled: 1-line block ×3, first 2 shown]
	v_or_b32_e32 v34, v73, v76
	v_lshlrev_b32_e32 v34, 3, v34
	v_lshrrev_b32_e32 v35, 5, v74
	s_movk_i32 s0, 0xf8
	v_and_or_b32 v35, v34, s0, v35
	v_lshlrev_b32_e32 v39, 4, v35
	v_lshlrev_b32_e32 v59, 11, v72
	v_and_b32_e32 v40, 0x78, v34
	v_or_b32_e32 v42, 32, v39
	v_and_b32_e32 v38, 0x1000, v59
	v_lshrrev_b32_e32 v35, 1, v74
	v_xor_b32_e32 v42, v42, v40
	v_xor_b32_e32 v34, v39, v40
	v_and_b32_e32 v41, 8, v35
	v_or_b32_e32 v42, v42, v38
	v_or_b32_e32 v34, v34, v38
	v_xor_b32_e32 v65, v42, v41
	v_or_b32_e32 v42, 64, v39
	v_xor_b32_e32 v64, v34, v41
	v_xor_b32_e32 v42, v42, v40
	s_waitcnt lgkmcnt(0)
	s_barrier
	v_or_b32_e32 v45, v42, v38
	ds_read_b64 v[42:43], v64 offset:49152
	v_lshl_or_b32 v46, v75, 8, v58
	v_lshlrev_b32_e32 v60, 1, v46
	v_add_u32_e32 v44, 0x4000, v60
	ds_read2_b64 v[34:37], v44 offset1:16
	v_or_b32_e32 v39, 0x60, v39
	v_xor_b32_e32 v39, v39, v40
	v_or_b32_e32 v38, v39, v38
	v_xor_b32_e32 v66, v45, v41
	v_xor_b32_e32 v67, v38, v41
	ds_read_b64 v[54:55], v65 offset:49152
	ds_read_b64 v[68:69], v66 offset:49152
	;; [unrolled: 1-line block ×3, first 2 shown]
	s_waitcnt lgkmcnt(3)
	v_mfma_f32_16x16x16_bf16 a[0:3], v[42:43], v[34:35], 0
	ds_read2_b64 v[38:41], v44 offset0:32 offset1:48
	s_lshl_b64 s[0:1], s[42:43], 8
	s_add_u32 s4, s4, s0
	v_mfma_f32_16x16x16_bf16 a[4:7], v[42:43], v[36:37], 0
	ds_read2st64_b64 v[34:37], v60 offset0:36 offset1:40
	s_addc_u32 s5, s5, s1
	s_add_i32 s2, s37, -1
	s_waitcnt lgkmcnt(1)
	v_mfma_f32_16x16x16_bf16 a[8:11], v[42:43], v[38:39], 0
	v_or_b32_e32 v38, 64, v46
	v_lshlrev_b32_e32 v61, 1, v38
	s_add_i32 s0, s47, s46
	s_waitcnt lgkmcnt(0)
	v_mfma_f32_16x16x16_bf16 a[0:3], v[54:55], v[34:35], a[0:3]
	v_or_b32_e32 v34, 0x80, v46
	v_lshlrev_b32_e32 v62, 1, v34
	v_or_b32_e32 v34, 0xc0, v46
	v_mfma_f32_16x16x16_bf16 a[12:15], v[42:43], v[40:41], 0
	ds_read2st64_b64 v[38:41], v61 offset0:36 offset1:40
	v_lshlrev_b32_e32 v63, 1, v34
	ds_read2st64_b64 v[42:45], v62 offset0:36 offset1:40
	ds_read2st64_b64 v[46:49], v63 offset0:36 offset1:40
	s_add_i32 s21, s0, s48
	s_mul_i32 s0, s44, s23
	s_mul_hi_u32 s1, s44, s22
	s_ashr_i32 s3, s2, 31
	s_mul_i32 s16, s2, s15
	s_mul_hi_u32 s17, s2, s14
	s_waitcnt lgkmcnt(2)
	v_mfma_f32_16x16x16_bf16 a[4:7], v[54:55], v[38:39], a[4:7]
	s_add_i32 s0, s1, s0
	s_mul_i32 s1, s29, s22
	s_add_i32 s16, s17, s16
	s_mul_i32 s3, s3, s14
	s_waitcnt lgkmcnt(1)
	v_mfma_f32_16x16x16_bf16 a[8:11], v[54:55], v[42:43], a[8:11]
	s_add_i32 s1, s0, s1
	s_add_i32 s3, s16, s3
	s_lshl_b64 s[16:17], s[20:21], 2
	s_waitcnt lgkmcnt(0)
	v_mfma_f32_16x16x16_bf16 a[12:15], v[54:55], v[46:47], a[12:15]
	s_mul_i32 s0, s44, s22
	s_add_u32 s10, s10, s16
	s_addc_u32 s11, s11, s17
	s_lshl_b64 s[0:1], s[0:1], 2
	v_mfma_f32_16x16x16_bf16 a[0:3], v[68:69], v[36:37], a[0:3]
	s_mul_i32 s2, s2, s14
	ds_read_b64 v[34:35], v60 offset:22528
	s_add_u32 s10, s10, s0
	v_mfma_f32_16x16x16_bf16 a[4:7], v[68:69], v[40:41], a[4:7]
	ds_read_b64 v[36:37], v61 offset:22528
	ds_read_b64 v[38:39], v62 offset:22528
	;; [unrolled: 1-line block ×3, first 2 shown]
	s_addc_u32 s11, s11, s1
	s_lshl_b64 s[0:1], s[2:3], 2
	v_mfma_f32_16x16x16_bf16 a[8:11], v[68:69], v[44:45], a[8:11]
	s_add_u32 s0, s10, s0
	s_addc_u32 s1, s11, s1
	s_load_dword s16, s[0:1], 0x0
	v_mfma_f32_16x16x16_bf16 a[12:15], v[68:69], v[48:49], a[12:15]
	s_and_b64 vcc, exec, s[40:41]
	s_waitcnt lgkmcnt(0)
	v_mfma_f32_16x16x16_bf16 a[0:3], v[70:71], v[34:35], a[0:3]
	v_mfma_f32_16x16x16_bf16 a[4:7], v[70:71], v[36:37], a[4:7]
	;; [unrolled: 1-line block ×4, first 2 shown]
	s_cbranch_vccz .LBB166_44
; %bb.34:
	v_lshlrev_b32_e32 v54, 1, v51
	s_and_b64 vcc, exec, s[6:7]
	s_cbranch_vccz .LBB166_45
; %bb.35:
	v_cmp_gt_i32_e32 vcc, s54, v54
	v_mov_b32_e32 v38, 0
	v_mov_b32_e32 v34, 0
	;; [unrolled: 1-line block ×5, first 2 shown]
	s_and_saveexec_b64 s[0:1], vcc
	s_cbranch_execz .LBB166_37
; %bb.36:
	v_mad_i64_i32 v[34:35], s[2:3], s19, v54, 0
	v_lshl_add_u64 v[34:35], v[34:35], 1, s[4:5]
	v_lshlrev_b32_e32 v36, 1, v52
	v_mov_b32_e32 v37, 0
	v_lshl_add_u64 v[34:35], v[34:35], 0, v[36:37]
	global_load_dwordx4 v[34:37], v[34:35], off
.LBB166_37:
	s_or_b64 exec, exec, s[0:1]
	v_or_b32_e32 v55, 1, v54
	v_cmp_gt_i32_e64 s[0:1], s54, v55
	v_mov_b32_e32 v39, 0
	v_mov_b32_e32 v40, 0
	;; [unrolled: 1-line block ×3, first 2 shown]
	s_and_saveexec_b64 s[2:3], s[0:1]
	s_cbranch_execz .LBB166_39
; %bb.38:
	v_mad_i64_i32 v[38:39], s[20:21], s19, v55, 0
	v_lshl_add_u64 v[38:39], v[38:39], 1, s[4:5]
	v_lshlrev_b32_e32 v40, 1, v52
	v_mov_b32_e32 v41, 0
	v_lshl_add_u64 v[38:39], v[38:39], 0, v[40:41]
	global_load_dwordx4 v[38:41], v[38:39], off
.LBB166_39:
	s_or_b64 exec, exec, s[2:3]
	v_mov_b32_e32 v49, 0
	v_mov_b32_e32 v42, 0
	;; [unrolled: 1-line block ×5, first 2 shown]
	s_and_saveexec_b64 s[2:3], vcc
	s_cbranch_execz .LBB166_41
; %bb.40:
	v_mad_i64_i32 v[42:43], s[20:21], s19, v54, 0
	v_lshl_add_u64 v[42:43], v[42:43], 1, s[4:5]
	v_lshlrev_b32_e32 v44, 1, v52
	v_mov_b32_e32 v45, 0
	v_lshl_add_u64 v[42:43], v[42:43], 0, v[44:45]
	global_load_dwordx4 v[42:45], v[42:43], off offset:128
.LBB166_41:
	s_or_b64 exec, exec, s[2:3]
	v_mov_b32_e32 v48, 0
	v_mov_b32_e32 v47, 0
	;; [unrolled: 1-line block ×3, first 2 shown]
	s_and_saveexec_b64 s[2:3], s[0:1]
	s_cbranch_execz .LBB166_43
; %bb.42:
	v_mad_i64_i32 v[46:47], s[0:1], s19, v55, 0
	v_lshl_add_u64 v[46:47], v[46:47], 1, s[4:5]
	v_lshlrev_b32_e32 v48, 1, v52
	v_mov_b32_e32 v49, 0
	v_lshl_add_u64 v[46:47], v[46:47], 0, v[48:49]
	global_load_dwordx4 v[46:49], v[46:47], off offset:128
.LBB166_43:
	s_or_b64 exec, exec, s[2:3]
	s_branch .LBB166_47
.LBB166_44:
                                        ; implicit-def: $vgpr37
                                        ; implicit-def: $vgpr41
                                        ; implicit-def: $vgpr45
                                        ; implicit-def: $vgpr49
	v_lshrrev_b32_e32 v68, 2, v74
	s_branch .LBB166_48
.LBB166_45:
                                        ; implicit-def: $vgpr37
                                        ; implicit-def: $vgpr41
                                        ; implicit-def: $vgpr45
                                        ; implicit-def: $vgpr49
	s_cbranch_execz .LBB166_47
; %bb.46:
	s_waitcnt vmcnt(0)
	v_mad_u64_u32 v[34:35], s[0:1], v54, s19, v[52:53]
	v_lshlrev_b32_e32 v54, 1, v34
	s_lshl_b32 s2, s19, 7
	s_and_b32 s1, s5, 0xffff
	s_mov_b32 s3, 0x20000
	s_mov_b32 s0, s4
	v_add_lshl_u32 v55, v34, s19, 1
	s_movk_i32 s17, 0x80
	buffer_load_dwordx4 v[34:37], v54, s[0:3], 0 offen
	buffer_load_dwordx4 v[42:45], v54, s[0:3], s17 offen
	;; [unrolled: 1-line block ×4, first 2 shown]
.LBB166_47:
	v_lshrrev_b32_e32 v68, 2, v74
	s_cbranch_execnz .LBB166_60
.LBB166_48:
	s_and_b64 vcc, exec, s[6:7]
	s_cbranch_vccz .LBB166_58
; %bb.49:
	s_waitcnt vmcnt(0)
	v_lshlrev_b32_e32 v39, 1, v51
	v_cmp_gt_i32_e32 vcc, s54, v39
	v_mov_b32_e32 v38, 0
	v_lshlrev_b32_e32 v46, 9, v51
	v_mov_b32_e32 v34, 0
	v_mov_b32_e32 v35, 0
	;; [unrolled: 1-line block ×4, first 2 shown]
	s_and_saveexec_b64 s[0:1], vcc
	s_cbranch_execz .LBB166_51
; %bb.50:
	v_mov_b32_e32 v47, 0
	v_lshl_add_u64 v[34:35], s[4:5], 0, v[46:47]
	v_lshlrev_b32_e32 v36, 1, v52
	v_mov_b32_e32 v37, v47
	v_lshl_add_u64 v[34:35], v[34:35], 0, v[36:37]
	global_load_dwordx4 v[34:37], v[34:35], off
.LBB166_51:
	s_or_b64 exec, exec, s[0:1]
	v_or_b32_e32 v39, 1, v39
	v_cmp_gt_i32_e64 s[0:1], s54, v39
	v_lshlrev_b32_e32 v54, 8, v39
	v_mov_b32_e32 v39, 0
	v_mov_b32_e32 v40, 0
	;; [unrolled: 1-line block ×3, first 2 shown]
	s_and_saveexec_b64 s[2:3], s[0:1]
	s_cbranch_execz .LBB166_53
; %bb.52:
	v_mov_b32_e32 v55, 0
	v_lshl_add_u64 v[38:39], s[4:5], 0, v[54:55]
	v_lshlrev_b32_e32 v40, 1, v52
	v_mov_b32_e32 v41, v55
	v_lshl_add_u64 v[38:39], v[38:39], 0, v[40:41]
	global_load_dwordx4 v[38:41], v[38:39], off
.LBB166_53:
	s_or_b64 exec, exec, s[2:3]
	v_mov_b32_e32 v49, 0
	v_mov_b32_e32 v42, 0
	;; [unrolled: 1-line block ×5, first 2 shown]
	s_and_saveexec_b64 s[2:3], vcc
	s_cbranch_execz .LBB166_55
; %bb.54:
	v_mov_b32_e32 v47, 0
	v_lshl_add_u64 v[42:43], s[4:5], 0, v[46:47]
	v_lshlrev_b32_e32 v46, 1, v52
	v_lshl_add_u64 v[42:43], v[42:43], 0, v[46:47]
	global_load_dwordx4 v[42:45], v[42:43], off offset:128
.LBB166_55:
	s_or_b64 exec, exec, s[2:3]
	v_mov_b32_e32 v48, 0
	v_mov_b32_e32 v47, 0
	;; [unrolled: 1-line block ×3, first 2 shown]
	s_and_saveexec_b64 s[2:3], s[0:1]
	s_cbranch_execz .LBB166_57
; %bb.56:
	v_mov_b32_e32 v55, 0
	v_lshl_add_u64 v[46:47], s[4:5], 0, v[54:55]
	v_lshlrev_b32_e32 v54, 1, v52
	v_lshl_add_u64 v[46:47], v[46:47], 0, v[54:55]
	global_load_dwordx4 v[46:49], v[46:47], off offset:128
.LBB166_57:
	s_or_b64 exec, exec, s[2:3]
	s_branch .LBB166_60
.LBB166_58:
                                        ; implicit-def: $vgpr37
                                        ; implicit-def: $vgpr41
                                        ; implicit-def: $vgpr45
                                        ; implicit-def: $vgpr49
	s_cbranch_execz .LBB166_60
; %bb.59:
	s_waitcnt vmcnt(0)
	v_lshlrev_b32_e32 v34, 1, v52
	v_lshl_or_b32 v52, v51, 9, v34
	s_and_b32 s5, s5, 0xffff
	s_mov_b32 s7, 0x20000
	s_movk_i32 s6, 0x4000
	s_movk_i32 s0, 0x80
	buffer_load_dwordx4 v[34:37], v52, s[4:7], 0 offen
	buffer_load_dwordx4 v[38:41], v52, s[4:7], 0 offen offset:256
	buffer_load_dwordx4 v[42:45], v52, s[4:7], s0 offen
	buffer_load_dwordx4 v[46:49], v52, s[4:7], s0 offen offset:256
.LBB166_60:
	ds_read_b64 v[54:55], v64 offset:57344
	v_add_u32_e32 v52, 0x6000, v60
	ds_read2_b64 v[74:77], v52 offset1:16
	ds_read_b64 v[70:71], v65 offset:57344
	ds_read_b64 v[86:87], v66 offset:57344
	;; [unrolled: 1-line block ×3, first 2 shown]
	ds_read2_b64 v[64:67], v52 offset0:32 offset1:48
	v_and_b32_e32 v52, 6, v0
	v_xor_b32_e32 v51, v51, v52
	v_lshlrev_b32_e32 v51, 2, v51
	s_mov_b32 s0, 0x1000504
	s_mov_b32 s1, 0x3020706
	s_waitcnt lgkmcnt(4)
	v_mfma_f32_16x16x16_bf16 a[4:7], v[54:55], v[76:77], a[4:7]
	v_mfma_f32_16x16x16_bf16 a[0:3], v[54:55], v[74:75], a[0:3]
	ds_read2st64_b64 v[74:77], v60 offset0:52 offset1:56
	s_waitcnt lgkmcnt(1)
	v_mfma_f32_16x16x16_bf16 a[8:11], v[54:55], v[64:65], a[8:11]
	v_mfma_f32_16x16x16_bf16 a[12:15], v[54:55], v[66:67], a[12:15]
	ds_read2st64_b64 v[64:67], v61 offset0:52 offset1:56
	ds_read2st64_b64 v[78:81], v62 offset0:52 offset1:56
	;; [unrolled: 1-line block ×3, first 2 shown]
	s_waitcnt lgkmcnt(2)
	v_mfma_f32_16x16x16_bf16 a[4:7], v[70:71], v[64:65], a[4:7]
	v_and_b32_e32 v64, 1, v0
	v_xor_b32_e32 v65, 0x440, v51
	v_cmp_eq_u32_e32 vcc, 0, v64
	v_mfma_f32_16x16x16_bf16 a[0:3], v[70:71], v[74:75], a[0:3]
	s_waitcnt vmcnt(0)
	v_perm_b32 v64, v42, v46, s0
	v_cndmask_b32_e32 v51, v65, v51, vcc
	v_lshl_or_b32 v51, v52, 10, v51
	s_waitcnt lgkmcnt(1)
	v_mfma_f32_16x16x16_bf16 a[8:11], v[70:71], v[78:79], a[8:11]
	v_perm_b32 v52, v34, v38, s0
	ds_read_b64 v[54:55], v60 offset:30720
	ds_read_b64 v[74:75], v61 offset:30720
	;; [unrolled: 1-line block ×4, first 2 shown]
	ds_write2st64_b32 v51, v52, v64 offset0:128 offset1:160
	s_waitcnt lgkmcnt(5)
	v_mfma_f32_16x16x16_bf16 a[12:15], v[70:71], v[82:83], a[12:15]
	v_xor_b32_e32 v52, 8, v51
	v_perm_b32 v34, v34, v38, s1
	v_perm_b32 v38, v42, v46, s1
	v_add_u32_e32 v42, 0x80, v52
	ds_write2st64_b32 v42, v34, v38 offset0:128 offset1:160
	v_xor_b32_e32 v34, 16, v51
	v_perm_b32 v38, v35, v39, s0
	v_perm_b32 v42, v43, v47, s0
	v_mfma_f32_16x16x16_bf16 a[0:3], v[86:87], v[76:77], a[0:3]
	ds_write2st64_b32 v34, v38, v42 offset0:129 offset1:161
	v_xor_b32_e32 v34, 24, v51
	v_perm_b32 v35, v35, v39, s1
	v_mfma_f32_16x16x16_bf16 a[4:7], v[86:87], v[66:67], a[4:7]
	v_perm_b32 v38, v43, v47, s1
	v_add_u32_e32 v34, 0x80, v34
	ds_write2st64_b32 v34, v35, v38 offset0:129 offset1:161
	v_mfma_f32_16x16x16_bf16 a[16:19], v[86:87], v[80:81], a[8:11]
	v_xor_b32_e32 v34, 32, v51
	v_perm_b32 v35, v36, v40, s0
	v_perm_b32 v38, v44, v48, s0
	v_mfma_f32_16x16x16_bf16 a[20:23], v[86:87], v[84:85], a[12:15]
	ds_write2st64_b32 v34, v35, v38 offset0:130 offset1:162
	v_xor_b32_e32 v34, 40, v51
	v_perm_b32 v35, v36, v40, s1
	s_waitcnt lgkmcnt(8)
	v_mfma_f32_16x16x16_bf16 a[12:15], v[88:89], v[54:55], a[0:3]
	v_perm_b32 v36, v44, v48, s1
	v_add_u32_e32 v34, 0x80, v34
	ds_write2st64_b32 v34, v35, v36 offset0:130 offset1:162
	s_waitcnt lgkmcnt(8)
	v_mfma_f32_16x16x16_bf16 a[8:11], v[88:89], v[74:75], a[4:7]
	v_xor_b32_e32 v34, 48, v51
	v_perm_b32 v35, v37, v41, s0
	v_perm_b32 v36, v45, v49, s0
	s_waitcnt lgkmcnt(7)
	v_mfma_f32_16x16x16_bf16 a[4:7], v[88:89], v[90:91], a[16:19]
	ds_write2st64_b32 v34, v35, v36 offset0:131 offset1:163
	v_xor_b32_e32 v34, 56, v51
	v_and_or_b32 v55, v68, 12, v73
	s_waitcnt lgkmcnt(7)
	v_mfma_f32_16x16x16_bf16 a[0:3], v[88:89], v[92:93], a[20:23]
	v_perm_b32 v35, v37, v41, s1
	v_perm_b32 v36, v45, v49, s1
	v_add_u32_e32 v34, 0x80, v34
	v_cmp_gt_i32_e32 vcc, s54, v55
	v_mov_b32_e32 v48, 0
	v_mov_b32_e32 v52, 0
	ds_write2st64_b32 v34, v35, v36 offset0:131 offset1:163
	s_and_saveexec_b64 s[0:1], vcc
	s_cbranch_execz .LBB166_62
; %bb.61:
	v_add_u32_e32 v34, s28, v55
	v_ashrrev_i32_e32 v35, 31, v34
	v_mul_lo_u32 v36, v35, s14
	v_mul_lo_u32 v37, v34, s15
	v_mad_u64_u32 v[34:35], s[2:3], v34, s14, 0
	v_add3_u32 v35, v35, v37, v36
	v_lshl_add_u64 v[34:35], v[34:35], 2, s[10:11]
	global_load_dword v34, v[34:35], off
	s_waitcnt vmcnt(0)
	v_sub_f32_e32 v34, s16, v34
	v_exp_f32_e32 v52, v34
.LBB166_62:
	s_or_b64 exec, exec, s[0:1]
	v_or_b32_e32 v40, 1, v55
	v_cmp_gt_i32_e64 s[0:1], s54, v40
	s_and_saveexec_b64 s[2:3], s[0:1]
	s_cbranch_execz .LBB166_64
; %bb.63:
	v_add_u32_e32 v34, s28, v40
	v_ashrrev_i32_e32 v35, 31, v34
	v_mul_lo_u32 v36, v35, s14
	v_mul_lo_u32 v37, v34, s15
	v_mad_u64_u32 v[34:35], s[4:5], v34, s14, 0
	v_add3_u32 v35, v35, v37, v36
	v_lshl_add_u64 v[34:35], v[34:35], 2, s[10:11]
	global_load_dword v34, v[34:35], off
	s_waitcnt vmcnt(0)
	v_sub_f32_e32 v34, s16, v34
	v_exp_f32_e32 v48, v34
.LBB166_64:
	s_or_b64 exec, exec, s[2:3]
	v_or_b32_e32 v41, 2, v55
	v_cmp_gt_i32_e64 s[2:3], s54, v41
	v_mov_b32_e32 v49, 0
	v_mov_b32_e32 v54, 0
	s_and_saveexec_b64 s[4:5], s[2:3]
	s_cbranch_execz .LBB166_66
; %bb.65:
	v_add_u32_e32 v34, s28, v41
	v_ashrrev_i32_e32 v35, 31, v34
	v_mul_lo_u32 v36, v35, s14
	v_mul_lo_u32 v37, v34, s15
	v_mad_u64_u32 v[34:35], s[6:7], v34, s14, 0
	v_add3_u32 v35, v35, v37, v36
	v_lshl_add_u64 v[34:35], v[34:35], 2, s[10:11]
	global_load_dword v34, v[34:35], off
	s_waitcnt vmcnt(0)
	v_sub_f32_e32 v34, s16, v34
	v_exp_f32_e32 v54, v34
.LBB166_66:
	s_or_b64 exec, exec, s[4:5]
	v_or_b32_e32 v64, 3, v55
	v_cmp_gt_i32_e64 s[4:5], s54, v64
	s_and_saveexec_b64 s[6:7], s[4:5]
	s_cbranch_execz .LBB166_68
; %bb.67:
	v_add_u32_e32 v34, s28, v64
	v_ashrrev_i32_e32 v35, 31, v34
	v_mul_lo_u32 v36, v35, s14
	v_mul_lo_u32 v37, v34, s15
	v_mad_u64_u32 v[34:35], s[14:15], v34, s14, 0
	v_add3_u32 v35, v35, v37, v36
	v_lshl_add_u64 v[34:35], v[34:35], 2, s[10:11]
	global_load_dword v34, v[34:35], off
	s_waitcnt vmcnt(0)
	v_sub_f32_e32 v34, s16, v34
	v_exp_f32_e32 v49, v34
.LBB166_68:
	s_or_b64 exec, exec, s[6:7]
	s_add_u32 s6, s8, s30
	v_accvgpr_read_b32 v37, a15
	s_addc_u32 s7, s9, s31
	v_ashrrev_i32_e32 v51, 31, v50
	v_accvgpr_read_b32 v36, a14
	v_accvgpr_read_b32 v35, a13
	;; [unrolled: 1-line block ×3, first 2 shown]
	v_lshl_add_u64 v[38:39], v[50:51], 1, s[6:7]
	v_mov_b32_e32 v45, 0
	v_lshlrev_b32_e32 v42, 8, v55
	v_mov_b32_e32 v43, 0
	s_and_saveexec_b64 s[6:7], vcc
	s_cbranch_execz .LBB166_70
; %bb.69:
	v_mov_b32_e32 v43, 0
	v_lshl_add_u64 v[46:47], v[38:39], 0, v[42:43]
	global_load_ushort v43, v[46:47], off
	s_waitcnt vmcnt(0)
	v_lshlrev_b32_e32 v43, 16, v43
	v_sub_f32_e32 v34, v43, v34
	v_mul_f32_e32 v34, v52, v34
	v_lshrrev_b32_e32 v43, 16, v34
.LBB166_70:
	s_or_b64 exec, exec, s[6:7]
	v_lshlrev_b32_e32 v44, 8, v40
	s_and_saveexec_b64 s[6:7], s[0:1]
	s_cbranch_execz .LBB166_72
; %bb.71:
	v_mov_b32_e32 v45, 0
	v_lshl_add_u64 v[46:47], v[38:39], 0, v[44:45]
	global_load_ushort v34, v[46:47], off
	s_waitcnt vmcnt(0)
	v_lshlrev_b32_e32 v34, 16, v34
	v_sub_f32_e32 v34, v34, v35
	v_mul_f32_e32 v34, v48, v34
	v_lshrrev_b32_e32 v45, 16, v34
.LBB166_72:
	s_or_b64 exec, exec, s[6:7]
	v_mov_b32_e32 v65, 0
	v_lshlrev_b32_e32 v46, 8, v41
	v_mov_b32_e32 v47, 0
	s_and_saveexec_b64 s[6:7], s[2:3]
	s_cbranch_execz .LBB166_74
; %bb.73:
	v_mov_b32_e32 v47, 0
	v_lshl_add_u64 v[34:35], v[38:39], 0, v[46:47]
	global_load_ushort v34, v[34:35], off
	s_waitcnt vmcnt(0)
	v_lshlrev_b32_e32 v34, 16, v34
	v_sub_f32_e32 v34, v34, v36
	v_mul_f32_e32 v34, v54, v34
	v_lshrrev_b32_e32 v47, 16, v34
.LBB166_74:
	s_or_b64 exec, exec, s[6:7]
	v_lshlrev_b32_e32 v40, 8, v64
	s_and_saveexec_b64 s[6:7], s[4:5]
	s_cbranch_execz .LBB166_76
; %bb.75:
	v_mov_b32_e32 v41, 0
	v_lshl_add_u64 v[34:35], v[38:39], 0, v[40:41]
	global_load_ushort v34, v[34:35], off
	s_waitcnt vmcnt(0)
	v_lshlrev_b32_e32 v34, 16, v34
	v_sub_f32_e32 v34, v34, v37
	v_mul_f32_e32 v34, v49, v34
	v_lshrrev_b32_e32 v65, 16, v34
.LBB166_76:
	s_or_b64 exec, exec, s[6:7]
	v_lshlrev_b32_e32 v51, 6, v55
	v_accvgpr_read_b32 v37, a11
	s_mov_b32 s6, 0x5040100
	v_or_b32_e32 v41, v51, v58
	v_accvgpr_read_b32 v36, a10
	v_accvgpr_read_b32 v35, a9
	;; [unrolled: 1-line block ×3, first 2 shown]
	v_perm_b32 v65, v65, v47, s6
	v_perm_b32 v64, v45, v43, s6
	v_lshlrev_b32_e32 v41, 1, v41
	v_mov_b32_e32 v45, 0
	v_mov_b32_e32 v43, 0
	ds_write_b64 v41, v[64:65] offset:24576
	s_and_saveexec_b64 s[6:7], vcc
	s_cbranch_execz .LBB166_78
; %bb.77:
	v_mov_b32_e32 v43, 0
	v_lshl_add_u64 v[64:65], v[38:39], 0, v[42:43]
	global_load_ushort v41, v[64:65], off offset:32
	s_waitcnt vmcnt(0)
	v_lshlrev_b32_e32 v41, 16, v41
	v_sub_f32_e32 v34, v41, v34
	v_mul_f32_e32 v34, v52, v34
	v_lshrrev_b32_e32 v43, 16, v34
.LBB166_78:
	s_or_b64 exec, exec, s[6:7]
	s_and_saveexec_b64 s[6:7], s[0:1]
	s_cbranch_execz .LBB166_80
; %bb.79:
	v_mov_b32_e32 v45, 0
	v_lshl_add_u64 v[64:65], v[38:39], 0, v[44:45]
	global_load_ushort v34, v[64:65], off offset:32
	s_waitcnt vmcnt(0)
	v_lshlrev_b32_e32 v34, 16, v34
	v_sub_f32_e32 v34, v34, v35
	v_mul_f32_e32 v34, v48, v34
	v_lshrrev_b32_e32 v45, 16, v34
.LBB166_80:
	s_or_b64 exec, exec, s[6:7]
	v_mov_b32_e32 v41, 0
	v_mov_b32_e32 v47, 0
	s_and_saveexec_b64 s[6:7], s[2:3]
	s_cbranch_execz .LBB166_82
; %bb.81:
	v_mov_b32_e32 v47, 0
	v_lshl_add_u64 v[34:35], v[38:39], 0, v[46:47]
	global_load_ushort v34, v[34:35], off offset:32
	s_waitcnt vmcnt(0)
	v_lshlrev_b32_e32 v34, 16, v34
	v_sub_f32_e32 v34, v34, v36
	v_mul_f32_e32 v34, v54, v34
	v_lshrrev_b32_e32 v47, 16, v34
.LBB166_82:
	s_or_b64 exec, exec, s[6:7]
	s_and_saveexec_b64 s[6:7], s[4:5]
	s_cbranch_execz .LBB166_84
; %bb.83:
	v_mov_b32_e32 v41, 0
	v_lshl_add_u64 v[34:35], v[38:39], 0, v[40:41]
	global_load_ushort v34, v[34:35], off offset:32
	s_waitcnt vmcnt(0)
	v_lshlrev_b32_e32 v34, 16, v34
	v_sub_f32_e32 v34, v34, v37
	v_mul_f32_e32 v34, v49, v34
	v_lshrrev_b32_e32 v41, 16, v34
.LBB166_84:
	s_or_b64 exec, exec, s[6:7]
	s_mov_b32 s6, 0x5040100
	v_accvgpr_read_b32 v37, a7
	v_perm_b32 v65, v41, v47, s6
	v_or_b32_e32 v41, v51, v57
	v_accvgpr_read_b32 v36, a6
	v_accvgpr_read_b32 v35, a5
	;; [unrolled: 1-line block ×3, first 2 shown]
	v_perm_b32 v64, v45, v43, s6
	v_lshlrev_b32_e32 v41, 1, v41
	v_mov_b32_e32 v45, 0
	v_mov_b32_e32 v43, 0
	ds_write_b64 v41, v[64:65] offset:24576
	s_and_saveexec_b64 s[6:7], vcc
	s_cbranch_execz .LBB166_86
; %bb.85:
	v_mov_b32_e32 v43, 0
	v_lshl_add_u64 v[64:65], v[38:39], 0, v[42:43]
	global_load_ushort v41, v[64:65], off offset:64
	s_waitcnt vmcnt(0)
	v_lshlrev_b32_e32 v41, 16, v41
	v_sub_f32_e32 v34, v41, v34
	v_mul_f32_e32 v34, v52, v34
	v_lshrrev_b32_e32 v43, 16, v34
.LBB166_86:
	s_or_b64 exec, exec, s[6:7]
	s_and_saveexec_b64 s[6:7], s[0:1]
	s_cbranch_execz .LBB166_88
; %bb.87:
	v_mov_b32_e32 v45, 0
	v_lshl_add_u64 v[64:65], v[38:39], 0, v[44:45]
	global_load_ushort v34, v[64:65], off offset:64
	s_waitcnt vmcnt(0)
	v_lshlrev_b32_e32 v34, 16, v34
	v_sub_f32_e32 v34, v34, v35
	v_mul_f32_e32 v34, v48, v34
	v_lshrrev_b32_e32 v45, 16, v34
.LBB166_88:
	s_or_b64 exec, exec, s[6:7]
	v_mov_b32_e32 v41, 0
	v_mov_b32_e32 v47, 0
	s_and_saveexec_b64 s[6:7], s[2:3]
	s_cbranch_execz .LBB166_90
; %bb.89:
	v_mov_b32_e32 v47, 0
	v_lshl_add_u64 v[34:35], v[38:39], 0, v[46:47]
	global_load_ushort v34, v[34:35], off offset:64
	s_waitcnt vmcnt(0)
	v_lshlrev_b32_e32 v34, 16, v34
	v_sub_f32_e32 v34, v34, v36
	v_mul_f32_e32 v34, v54, v34
	v_lshrrev_b32_e32 v47, 16, v34
.LBB166_90:
	s_or_b64 exec, exec, s[6:7]
	s_and_saveexec_b64 s[6:7], s[4:5]
	s_cbranch_execz .LBB166_92
; %bb.91:
	v_mov_b32_e32 v41, 0
	v_lshl_add_u64 v[34:35], v[38:39], 0, v[40:41]
	global_load_ushort v34, v[34:35], off offset:64
	s_waitcnt vmcnt(0)
	v_lshlrev_b32_e32 v34, 16, v34
	v_sub_f32_e32 v34, v34, v37
	v_mul_f32_e32 v34, v49, v34
	v_lshrrev_b32_e32 v41, 16, v34
.LBB166_92:
	s_or_b64 exec, exec, s[6:7]
	s_mov_b32 s6, 0x5040100
	v_accvgpr_read_b32 v37, a3
	v_perm_b32 v65, v41, v47, s6
	v_or_b32_e32 v41, v51, v56
	v_accvgpr_read_b32 v36, a2
	v_accvgpr_read_b32 v35, a1
	;; [unrolled: 1-line block ×3, first 2 shown]
	v_perm_b32 v64, v45, v43, s6
	v_lshlrev_b32_e32 v41, 1, v41
	v_mov_b32_e32 v45, 0
	v_mov_b32_e32 v43, 0
	ds_write_b64 v41, v[64:65] offset:24576
	s_and_saveexec_b64 s[6:7], vcc
	s_cbranch_execz .LBB166_94
; %bb.93:
	v_mov_b32_e32 v43, 0
	v_lshl_add_u64 v[42:43], v[38:39], 0, v[42:43]
	global_load_ushort v41, v[42:43], off offset:96
	s_waitcnt vmcnt(0)
	v_lshlrev_b32_e32 v41, 16, v41
	v_sub_f32_e32 v34, v41, v34
	v_mul_f32_e32 v34, v52, v34
	v_lshrrev_b32_e32 v43, 16, v34
.LBB166_94:
	s_or_b64 exec, exec, s[6:7]
	s_and_saveexec_b64 s[6:7], s[0:1]
	s_cbranch_execz .LBB166_96
; %bb.95:
	v_mov_b32_e32 v45, 0
	v_lshl_add_u64 v[44:45], v[38:39], 0, v[44:45]
	global_load_ushort v34, v[44:45], off offset:96
	s_waitcnt vmcnt(0)
	v_lshlrev_b32_e32 v34, 16, v34
	v_sub_f32_e32 v34, v34, v35
	v_mul_f32_e32 v34, v48, v34
	v_lshrrev_b32_e32 v45, 16, v34
.LBB166_96:
	s_or_b64 exec, exec, s[6:7]
	v_mov_b32_e32 v41, 0
	v_mov_b32_e32 v44, 0
	s_and_saveexec_b64 s[0:1], s[2:3]
	s_cbranch_execz .LBB166_98
; %bb.97:
	v_mov_b32_e32 v47, 0
	v_lshl_add_u64 v[34:35], v[38:39], 0, v[46:47]
	global_load_ushort v34, v[34:35], off offset:96
	s_waitcnt vmcnt(0)
	v_lshlrev_b32_e32 v34, 16, v34
	v_sub_f32_e32 v34, v34, v36
	v_mul_f32_e32 v34, v54, v34
	v_lshrrev_b32_e32 v44, 16, v34
.LBB166_98:
	s_or_b64 exec, exec, s[0:1]
	v_or_b32_e32 v42, 0x6000, v60
	v_or_b32_e32 v36, 0x6000, v61
	v_or_b32_e32 v35, 0x6000, v62
	v_or_b32_e32 v34, 0x6000, v63
	s_and_saveexec_b64 s[0:1], s[4:5]
	s_cbranch_execz .LBB166_100
; %bb.99:
	v_mov_b32_e32 v41, 0
	v_lshl_add_u64 v[38:39], v[38:39], 0, v[40:41]
	global_load_ushort v38, v[38:39], off offset:96
	s_waitcnt vmcnt(0)
	v_lshlrev_b32_e32 v38, 16, v38
	v_sub_f32_e32 v37, v38, v37
	v_mul_f32_e32 v37, v49, v37
	v_lshrrev_b32_e32 v41, 16, v37
.LBB166_100:
	s_or_b64 exec, exec, s[0:1]
	s_mov_b32 s0, 0x5040100
	v_or_b32_e32 v37, v51, v53
	v_perm_b32 v39, v41, v44, s0
	v_perm_b32 v38, v45, v43, s0
	v_lshlrev_b32_e32 v37, 1, v37
	s_movk_i32 s0, 0x100
	ds_write_b64 v37, v[38:39] offset:24576
	v_and_b32_e32 v37, 7, v0
	v_and_b32_e32 v38, 8, v0
	v_cmp_gt_u32_e32 vcc, s0, v0
	v_lshrrev_b32_e32 v0, 1, v0
	v_mov_b32_e32 v39, 0xa000
	v_mov_b32_e32 v40, 0x8000
	v_lshlrev_b32_e32 v58, 3, v72
	v_and_b32_e32 v0, 24, v0
	v_cndmask_b32_e32 v51, v39, v40, vcc
	v_xor_b32_e32 v39, v58, v0
	v_or_b32_e32 v40, 0x440, v39
	v_cmp_eq_u32_e32 vcc, 0, v38
	v_lshlrev_b32_e32 v43, 3, v37
	v_lshlrev_b32_e32 v37, 7, v37
	v_cndmask_b32_e32 v38, v40, v39, vcc
	v_or_b32_e32 v38, v38, v59
	v_xad_u32 v72, v38, v43, v37
	v_add_u32_e32 v38, v51, v72
	s_waitcnt lgkmcnt(0)
	s_barrier
	ds_read_b64 v[48:49], v38
	ds_read2_b64 v[38:41], v42 offset1:16
	ds_read2_b64 v[44:47], v42 offset0:32 offset1:48
	v_or_b32_e32 v52, 32, v0
	v_xor_b32_e32 v52, v58, v52
	v_or_b32_e32 v53, 0x440, v52
	v_cndmask_b32_e32 v52, v53, v52, vcc
	s_waitcnt lgkmcnt(1)
	v_mfma_f32_16x16x16_bf16 a[0:3], v[48:49], v[38:39], 0
	v_or_b32_e32 v52, v52, v59
	v_xad_u32 v73, v52, v43, v37
	v_add_u32_e32 v52, v51, v73
	v_mfma_f32_16x16x16_bf16 a[4:7], v[48:49], v[40:41], 0
	ds_read_b64 v[56:57], v52
	ds_read2st64_b64 v[60:63], v36 offset0:4 offset1:8
	ds_read2st64_b64 v[64:67], v35 offset0:4 offset1:8
	s_waitcnt lgkmcnt(3)
	v_mfma_f32_16x16x16_bf16 a[8:11], v[48:49], v[44:45], 0
	ds_read2st64_b64 v[68:71], v34 offset0:4 offset1:8
	v_mfma_f32_16x16x16_bf16 a[12:15], v[48:49], v[46:47], 0
	v_or_b32_e32 v48, 64, v0
	v_xor_b32_e32 v48, v58, v48
	v_xor_b32_e32 v49, 0x440, v48
	v_cndmask_b32_e32 v48, v49, v48, vcc
	v_or_b32_e32 v48, v48, v59
	v_xad_u32 v74, v48, v43, v37
	v_add_u32_e32 v48, v51, v74
	ds_read_b64 v[48:49], v48
	ds_read2st64_b64 v[52:55], v42 offset0:4 offset1:8
	v_or_b32_e32 v0, 0x60, v0
	v_xor_b32_e32 v0, v58, v0
	s_waitcnt lgkmcnt(0)
	v_mfma_f32_16x16x16_bf16 a[0:3], v[56:57], v[52:53], a[0:3]
	v_mfma_f32_16x16x16_bf16 a[4:7], v[56:57], v[60:61], a[4:7]
	;; [unrolled: 1-line block ×4, first 2 shown]
	v_xor_b32_e32 v56, 0x440, v0
	v_cndmask_b32_e32 v0, v56, v0, vcc
	v_or_b32_e32 v0, v0, v59
	v_xad_u32 v0, v0, v43, v37
	v_add_u32_e32 v37, v51, v0
	v_mfma_f32_16x16x16_bf16 a[0:3], v[48:49], v[54:55], a[0:3]
	ds_read_b64 v[56:57], v37
	ds_read_b64 v[42:43], v42 offset:6144
	v_mfma_f32_16x16x16_bf16 a[4:7], v[48:49], v[62:63], a[4:7]
	v_mfma_f32_16x16x16_bf16 a[8:11], v[48:49], v[66:67], a[8:11]
	;; [unrolled: 1-line block ×3, first 2 shown]
	ds_read_b64 v[36:37], v36 offset:6144
	ds_read_b64 v[48:49], v35 offset:6144
	;; [unrolled: 1-line block ×3, first 2 shown]
	s_waitcnt lgkmcnt(3)
	v_mfma_f32_16x16x16_bf16 a[0:3], v[56:57], v[42:43], a[0:3]
	s_waitcnt lgkmcnt(2)
	v_mfma_f32_16x16x16_bf16 a[4:7], v[56:57], v[36:37], a[4:7]
	;; [unrolled: 2-line block ×4, first 2 shown]
	ds_read_b64 v[56:57], v72 offset:40960
	s_waitcnt lgkmcnt(0)
	v_mfma_f32_16x16x16_bf16 a[24:27], v[56:57], v[44:45], 0
	v_exp_f32_e32 v44, s16
	v_accvgpr_read_b32 v45, a3
	v_fmac_f32_e32 v45, v44, v33
	v_mfma_f32_16x16x16_bf16 a[16:19], v[56:57], v[38:39], 0
	ds_read_b64 v[38:39], v73 offset:40960
	v_accvgpr_read_b32 v33, a4
	v_fma_f32 v22, v44, v22, v33
	v_mfma_f32_16x16x16_bf16 a[20:23], v[56:57], v[40:41], 0
	v_accvgpr_read_b32 v40, a0
	v_fma_f32 v30, v44, v30, v40
	v_accvgpr_read_b32 v40, a1
	v_fma_f32 v31, v44, v31, v40
	v_accvgpr_read_b32 v40, a2
	v_mfma_f32_16x16x16_bf16 a[28:31], v[56:57], v[46:47], 0
	v_fma_f32 v32, v44, v32, v40
	ds_read_b64 v[40:41], v74 offset:40960
	v_accvgpr_read_b32 v33, a5
	s_waitcnt lgkmcnt(1)
	v_mfma_f32_16x16x16_bf16 a[16:19], v[38:39], v[52:53], a[16:19]
	v_fma_f32 v23, v44, v23, v33
	v_accvgpr_read_b32 v33, a6
	v_accvgpr_read_b32 v46, a7
	v_mfma_f32_16x16x16_bf16 a[20:23], v[38:39], v[60:61], a[20:23]
	v_fmac_f32_e32 v46, v44, v25
	v_accvgpr_read_b32 v25, a8
	v_fma_f32 v24, v44, v24, v33
	v_mfma_f32_16x16x16_bf16 a[24:27], v[38:39], v[64:65], a[24:27]
	v_fma_f32 v14, v44, v14, v25
	v_mov_b32_e32 v33, v45
	v_mov_b32_e32 v25, v46
	v_mfma_f32_16x16x16_bf16 a[0:3], v[38:39], v[68:69], a[28:31]
	ds_read_b64 v[38:39], v0 offset:40960
	v_accvgpr_read_b32 v0, a9
	v_fma_f32 v15, v44, v15, v0
	s_waitcnt lgkmcnt(1)
	v_mfma_f32_16x16x16_bf16 a[4:7], v[40:41], v[62:63], a[20:23]
	v_accvgpr_read_b32 v0, a10
	v_fma_f32 v16, v44, v16, v0
	v_accvgpr_read_b32 v0, a11
	v_mfma_f32_16x16x16_bf16 a[16:19], v[40:41], v[54:55], a[16:19]
	v_fmac_f32_e32 v0, v44, v17
	v_accvgpr_read_b32 v17, a12
	v_fma_f32 v2, v44, v2, v17
	v_mfma_f32_16x16x16_bf16 a[20:23], v[40:41], v[66:67], a[24:27]
	v_accvgpr_read_b32 v17, a13
	v_fma_f32 v3, v44, v3, v17
	v_accvgpr_read_b32 v17, a14
	v_mfma_f32_16x16x16_bf16 a[0:3], v[40:41], v[70:71], a[0:3]
	v_fma_f32 v4, v44, v4, v17
	s_waitcnt lgkmcnt(0)
	v_mfma_f32_16x16x16_bf16 a[4:7], v[38:39], v[36:37], a[4:7]
	v_accvgpr_read_b32 v36, a15
	v_fmac_f32_e32 v36, v44, v5
	v_mfma_f32_16x16x16_bf16 a[8:11], v[38:39], v[42:43], a[16:19]
	v_mfma_f32_16x16x16_bf16 a[16:19], v[38:39], v[48:49], a[20:23]
	s_nop 2
	v_accvgpr_read_b32 v17, a4
	v_fma_f32 v18, v44, v18, v17
	v_accvgpr_read_b32 v17, a5
	v_mfma_f32_16x16x16_bf16 a[0:3], v[38:39], v[34:35], a[0:3]
	v_accvgpr_read_b32 v5, a8
	v_fma_f32 v19, v44, v19, v17
	v_accvgpr_read_b32 v17, a6
	v_fma_f32 v26, v44, v26, v5
	;; [unrolled: 2-line block ×3, first 2 shown]
	v_accvgpr_read_b32 v17, a7
	v_accvgpr_read_b32 v34, a19
	v_fma_f32 v27, v44, v27, v5
	v_accvgpr_read_b32 v5, a10
	v_fmac_f32_e32 v17, v44, v21
	v_accvgpr_read_b32 v21, a16
	v_fmac_f32_e32 v34, v44, v13
	v_accvgpr_read_b32 v13, a0
	v_fma_f32 v28, v44, v28, v5
	v_accvgpr_read_b32 v5, a11
	v_fma_f32 v10, v44, v10, v21
	;; [unrolled: 2-line block ×3, first 2 shown]
	v_accvgpr_read_b32 v13, a1
	v_accvgpr_read_b32 v35, a3
	v_fmac_f32_e32 v5, v44, v29
	v_fma_f32 v11, v44, v11, v21
	v_accvgpr_read_b32 v21, a18
	v_fma_f32 v7, v44, v7, v13
	v_accvgpr_read_b32 v13, a2
	v_fmac_f32_e32 v35, v44, v9
	v_fma_f32 v12, v44, v12, v21
	v_fma_f32 v8, v44, v8, v13
	v_mov_b32_e32 v29, v5
	v_mov_b32_e32 v21, v17
	;; [unrolled: 1-line block ×7, first 2 shown]
.LBB166_101:
	s_mul_i32 s0, s45, s35
	s_mul_hi_u32 s1, s45, s34
	s_add_i32 s0, s1, s0
	s_mul_i32 s1, s33, s34
	s_add_i32 s1, s0, s1
	s_mul_i32 s0, s45, s34
	s_add_u32 s0, s0, s44
	s_addc_u32 s1, s1, s29
	s_lshl_b64 s[0:1], s[0:1], 16
	s_add_u32 s0, s12, s0
	v_lshlrev_b32_e32 v34, 7, v34
	s_addc_u32 s1, s13, s1
	v_ashrrev_i32_e32 v35, 31, v34
	v_lshl_add_u64 v[36:37], v[34:35], 2, s[0:1]
	v_lshlrev_b32_e32 v0, 2, v1
	v_mov_b32_e32 v1, 0
	v_lshl_add_u64 v[36:37], v[36:37], 0, v[0:1]
	global_store_dwordx4 v[36:37], v[30:33], off
	global_store_dwordx4 v[36:37], v[26:29], off offset:256
	s_nop 1
	v_or_b32_e32 v26, 0x800, v34
	v_ashrrev_i32_e32 v27, 31, v26
	v_lshl_add_u64 v[26:27], v[26:27], 2, s[0:1]
	v_lshl_add_u64 v[26:27], v[26:27], 0, v[0:1]
	global_store_dwordx4 v[26:27], v[22:25], off
	global_store_dwordx4 v[26:27], v[18:21], off offset:256
	s_nop 1
	v_or_b32_e32 v18, 0x1000, v34
	v_ashrrev_i32_e32 v19, 31, v18
	v_lshl_add_u64 v[18:19], v[18:19], 2, s[0:1]
	;; [unrolled: 7-line block ×3, first 2 shown]
	v_lshl_add_u64 v[0:1], v[10:11], 0, v[0:1]
	global_store_dwordx4 v[0:1], v[2:5], off
	global_store_dwordx4 v[0:1], v[6:9], off offset:256
	s_endpgm
	.section	.rodata,"a",@progbits
	.p2align	6, 0x0
	.amdhsa_kernel _ZN12_GLOBAL__N_139chunk_gated_delta_rule_fwd_h_hip_kernelILi64ELb0ELb1ELb0ELb1ELb1ELb0ELb1ELb0EEEvPK12hip_bfloat16S3_S3_PKfS5_PKvPS1_S8_PvPKiSB_iiiiilll
		.amdhsa_group_segment_fixed_size 65536
		.amdhsa_private_segment_fixed_size 0
		.amdhsa_kernarg_size 136
		.amdhsa_user_sgpr_count 2
		.amdhsa_user_sgpr_dispatch_ptr 0
		.amdhsa_user_sgpr_queue_ptr 0
		.amdhsa_user_sgpr_kernarg_segment_ptr 1
		.amdhsa_user_sgpr_dispatch_id 0
		.amdhsa_user_sgpr_kernarg_preload_length 0
		.amdhsa_user_sgpr_kernarg_preload_offset 0
		.amdhsa_user_sgpr_private_segment_size 0
		.amdhsa_uses_dynamic_stack 0
		.amdhsa_enable_private_segment 0
		.amdhsa_system_sgpr_workgroup_id_x 1
		.amdhsa_system_sgpr_workgroup_id_y 1
		.amdhsa_system_sgpr_workgroup_id_z 0
		.amdhsa_system_sgpr_workgroup_info 0
		.amdhsa_system_vgpr_workitem_id 0
		.amdhsa_next_free_vgpr 216
		.amdhsa_next_free_sgpr 65
		.amdhsa_accum_offset 180
		.amdhsa_reserve_vcc 1
		.amdhsa_float_round_mode_32 0
		.amdhsa_float_round_mode_16_64 0
		.amdhsa_float_denorm_mode_32 3
		.amdhsa_float_denorm_mode_16_64 3
		.amdhsa_dx10_clamp 1
		.amdhsa_ieee_mode 1
		.amdhsa_fp16_overflow 0
		.amdhsa_tg_split 0
		.amdhsa_exception_fp_ieee_invalid_op 0
		.amdhsa_exception_fp_denorm_src 0
		.amdhsa_exception_fp_ieee_div_zero 0
		.amdhsa_exception_fp_ieee_overflow 0
		.amdhsa_exception_fp_ieee_underflow 0
		.amdhsa_exception_fp_ieee_inexact 0
		.amdhsa_exception_int_div_zero 0
	.end_amdhsa_kernel
	.section	.text._ZN12_GLOBAL__N_139chunk_gated_delta_rule_fwd_h_hip_kernelILi64ELb0ELb1ELb0ELb1ELb1ELb0ELb1ELb0EEEvPK12hip_bfloat16S3_S3_PKfS5_PKvPS1_S8_PvPKiSB_iiiiilll,"axG",@progbits,_ZN12_GLOBAL__N_139chunk_gated_delta_rule_fwd_h_hip_kernelILi64ELb0ELb1ELb0ELb1ELb1ELb0ELb1ELb0EEEvPK12hip_bfloat16S3_S3_PKfS5_PKvPS1_S8_PvPKiSB_iiiiilll,comdat
.Lfunc_end166:
	.size	_ZN12_GLOBAL__N_139chunk_gated_delta_rule_fwd_h_hip_kernelILi64ELb0ELb1ELb0ELb1ELb1ELb0ELb1ELb0EEEvPK12hip_bfloat16S3_S3_PKfS5_PKvPS1_S8_PvPKiSB_iiiiilll, .Lfunc_end166-_ZN12_GLOBAL__N_139chunk_gated_delta_rule_fwd_h_hip_kernelILi64ELb0ELb1ELb0ELb1ELb1ELb0ELb1ELb0EEEvPK12hip_bfloat16S3_S3_PKfS5_PKvPS1_S8_PvPKiSB_iiiiilll
                                        ; -- End function
	.section	.AMDGPU.csdata,"",@progbits
; Kernel info:
; codeLenInByte = 12124
; NumSgprs: 71
; NumVgprs: 178
; NumAgprs: 36
; TotalNumVgprs: 216
; ScratchSize: 0
; MemoryBound: 0
; FloatMode: 240
; IeeeMode: 1
; LDSByteSize: 65536 bytes/workgroup (compile time only)
; SGPRBlocks: 8
; VGPRBlocks: 26
; NumSGPRsForWavesPerEU: 71
; NumVGPRsForWavesPerEU: 216
; AccumOffset: 180
; Occupancy: 1
; WaveLimiterHint : 1
; COMPUTE_PGM_RSRC2:SCRATCH_EN: 0
; COMPUTE_PGM_RSRC2:USER_SGPR: 2
; COMPUTE_PGM_RSRC2:TRAP_HANDLER: 0
; COMPUTE_PGM_RSRC2:TGID_X_EN: 1
; COMPUTE_PGM_RSRC2:TGID_Y_EN: 1
; COMPUTE_PGM_RSRC2:TGID_Z_EN: 0
; COMPUTE_PGM_RSRC2:TIDIG_COMP_CNT: 0
; COMPUTE_PGM_RSRC3_GFX90A:ACCUM_OFFSET: 44
; COMPUTE_PGM_RSRC3_GFX90A:TG_SPLIT: 0
	.section	.text._ZN12_GLOBAL__N_139chunk_gated_delta_rule_fwd_h_hip_kernelILi64ELb0ELb0ELb1ELb1ELb1ELb0ELb1ELb0EEEvPK12hip_bfloat16S3_S3_PKfS5_PKvPS1_S8_PvPKiSB_iiiiilll,"axG",@progbits,_ZN12_GLOBAL__N_139chunk_gated_delta_rule_fwd_h_hip_kernelILi64ELb0ELb0ELb1ELb1ELb1ELb0ELb1ELb0EEEvPK12hip_bfloat16S3_S3_PKfS5_PKvPS1_S8_PvPKiSB_iiiiilll,comdat
	.globl	_ZN12_GLOBAL__N_139chunk_gated_delta_rule_fwd_h_hip_kernelILi64ELb0ELb0ELb1ELb1ELb1ELb0ELb1ELb0EEEvPK12hip_bfloat16S3_S3_PKfS5_PKvPS1_S8_PvPKiSB_iiiiilll ; -- Begin function _ZN12_GLOBAL__N_139chunk_gated_delta_rule_fwd_h_hip_kernelILi64ELb0ELb0ELb1ELb1ELb1ELb0ELb1ELb0EEEvPK12hip_bfloat16S3_S3_PKfS5_PKvPS1_S8_PvPKiSB_iiiiilll
	.p2align	8
	.type	_ZN12_GLOBAL__N_139chunk_gated_delta_rule_fwd_h_hip_kernelILi64ELb0ELb0ELb1ELb1ELb1ELb0ELb1ELb0EEEvPK12hip_bfloat16S3_S3_PKfS5_PKvPS1_S8_PvPKiSB_iiiiilll,@function
_ZN12_GLOBAL__N_139chunk_gated_delta_rule_fwd_h_hip_kernelILi64ELb0ELb0ELb1ELb1ELb1ELb0ELb1ELb0EEEvPK12hip_bfloat16S3_S3_PKfS5_PKvPS1_S8_PvPKiSB_iiiiilll: ; @_ZN12_GLOBAL__N_139chunk_gated_delta_rule_fwd_h_hip_kernelILi64ELb0ELb0ELb1ELb1ELb1ELb0ELb1ELb0EEEvPK12hip_bfloat16S3_S3_PKfS5_PKvPS1_S8_PvPKiSB_iiiiilll
; %bb.0:
	s_load_dwordx4 s[16:19], s[0:1], 0x5c
	s_load_dwordx4 s[20:23], s[0:1], 0x70
	s_abs_i32 s25, s3
	s_ashr_i32 s24, s3, 31
	s_load_dwordx4 s[12:15], s[0:1], 0x30
	s_load_dwordx4 s[28:31], s[0:1], 0x48
	s_waitcnt lgkmcnt(0)
	s_abs_i32 s34, s17
	v_cvt_f32_u32_e32 v1, s34
	s_sub_i32 s26, 0, s34
	s_ashr_i32 s35, s17, 31
	s_xor_b32 s24, s24, s35
	v_rcp_iflag_f32_e32 v1, v1
	s_load_dwordx8 s[4:11], s[0:1], 0x0
	v_lshrrev_b32_e32 v76, 6, v0
	v_bfe_u32 v77, v0, 4, 2
	v_mul_f32_e32 v1, 0x4f7ffffe, v1
	v_cvt_u32_f32_e32 v1, v1
	v_lshlrev_b32_e32 v2, 2, v77
	v_and_b32_e32 v75, 63, v0
	v_mov_b32_e32 v35, 0
	v_readfirstlane_b32 s27, v1
	s_mul_i32 s26, s26, s27
	s_mul_hi_u32 s26, s27, s26
	s_add_i32 s27, s27, s26
	s_mul_hi_u32 s26, s25, s27
	s_mul_i32 s27, s26, s34
	s_sub_i32 s25, s25, s27
	s_add_i32 s33, s26, 1
	s_sub_i32 s27, s25, s34
	s_cmp_ge_u32 s25, s34
	s_cselect_b32 s26, s33, s26
	s_cselect_b32 s25, s27, s25
	s_add_i32 s27, s26, 1
	s_cmp_ge_u32 s25, s34
	s_cselect_b32 s25, s27, s26
	s_xor_b32 s25, s25, s24
	s_sub_i32 s24, s25, s24
	s_mul_i32 s25, s24, s17
	s_sub_i32 s33, s3, s25
	s_ashr_i32 s25, s24, 31
	s_lshl_b64 s[26:27], s[24:25], 2
	s_add_u32 s28, s28, s26
	s_addc_u32 s29, s29, s27
	s_add_u32 s26, s30, s26
	s_addc_u32 s27, s31, s27
	s_abs_i32 s3, s18
	v_cvt_f32_u32_e32 v1, s3
	s_load_dwordx2 s[38:39], s[28:29], 0x0
	s_sub_i32 s29, 0, s3
	s_load_dword s46, s[26:27], 0x0
	v_rcp_iflag_f32_e32 v1, v1
	v_and_b32_e32 v74, 15, v0
	s_waitcnt lgkmcnt(0)
	s_sub_i32 s47, s39, s38
	s_ashr_i32 s28, s47, 31
	v_mul_f32_e32 v1, 0x4f7ffffe, v1
	v_cvt_u32_f32_e32 v1, v1
	s_lshr_b32 s28, s28, 26
	s_add_i32 s28, s47, s28
	s_ashr_i32 s45, s28, 6
	v_readfirstlane_b32 s30, v1
	s_mul_i32 s29, s29, s30
	s_mul_hi_u32 s29, s30, s29
	s_add_i32 s30, s30, s29
	s_mul_hi_u32 s29, s34, s30
	s_mul_i32 s30, s29, s3
	s_ashr_i32 s28, s18, 31
	s_sub_i32 s30, s34, s30
	s_xor_b32 s28, s35, s28
	s_add_i32 s31, s29, 1
	s_sub_i32 s34, s30, s3
	s_cmp_ge_u32 s30, s3
	s_cselect_b32 s29, s31, s29
	s_cselect_b32 s30, s34, s30
	s_add_i32 s31, s29, 1
	s_cmp_ge_u32 s30, s3
	s_cselect_b32 s3, s31, s29
	s_xor_b32 s3, s3, s28
	s_sub_i32 s3, s3, s28
	s_abs_i32 s28, s3
	v_cvt_f32_u32_e32 v1, s28
	s_load_dwordx2 s[34:35], s[0:1], 0x80
	s_xor_b32 s0, s33, s3
	s_sub_i32 s3, 0, s28
	v_rcp_iflag_f32_e32 v1, v1
	s_abs_i32 s1, s33
	s_ashr_i32 s0, s0, 31
	s_mul_hi_i32 s48, s33, s16
	v_mul_f32_e32 v1, 0x4f7ffffe, v1
	v_cvt_u32_f32_e32 v1, v1
	s_mul_i32 s49, s33, s16
	v_lshrrev_b32_e32 v79, 3, v75
	v_lshlrev_b32_e32 v78, 3, v0
	v_readfirstlane_b32 s26, v1
	s_mul_i32 s3, s3, s26
	s_mul_hi_u32 s3, s26, s3
	s_add_i32 s26, s26, s3
	s_mul_hi_u32 s3, s1, s26
	s_mul_i32 s26, s3, s28
	s_sub_i32 s1, s1, s26
	s_add_i32 s26, s3, 1
	s_sub_i32 s27, s1, s28
	s_cmp_ge_u32 s1, s28
	s_cselect_b32 s3, s26, s3
	s_cselect_b32 s1, s27, s1
	s_add_i32 s26, s3, 1
	s_cmp_ge_u32 s1, s28
	s_cselect_b32 s1, s26, s3
	s_xor_b32 s1, s1, s0
	v_lshlrev_b32_e32 v1, 4, v76
	s_sub_i32 s50, s1, s0
	v_or_b32_e32 v80, v2, v1
	s_lshl_b32 s36, s2, 6
	v_or_b32_e32 v81, 64, v80
	s_cmp_lt_i32 s47, 64
	s_mul_i32 s42, s24, s21
	s_mul_hi_u32 s43, s24, s20
	s_mul_i32 s44, s25, s20
	s_mul_i32 s20, s24, s20
	v_mov_b32_e32 v34, v35
	v_mov_b32_e32 v41, v35
	;; [unrolled: 1-line block ×31, first 2 shown]
	s_cbranch_scc1 .LBB167_18
; %bb.1:
	s_ashr_i32 s53, s33, 31
	s_ashr_i32 s1, s38, 31
	s_add_u32 s0, s49, s38
	s_addc_u32 s1, s48, s1
	s_lshl_b64 s[0:1], s[0:1], 8
	v_and_b32_e32 v83, 56, v78
	s_add_u32 s0, s6, s0
	v_lshl_or_b32 v82, v76, 3, v79
	v_lshlrev_b32_e32 v3, 1, v83
	s_addc_u32 s1, s7, s1
	v_lshl_or_b32 v84, v82, 8, v3
	s_and_b32 s1, s1, 0xffff
	s_mov_b32 s3, 0x20000
	s_movk_i32 s2, 0x4000
	s_movk_i32 s21, 0x80
	v_or_b32_e32 v85, 0x2000, v84
	buffer_load_dwordx4 v[4:7], v84, s[0:3], 0 offen
	buffer_load_dwordx4 v[8:11], v84, s[0:3], s21 offen
	;; [unrolled: 1-line block ×4, first 2 shown]
	v_lshlrev_b32_e32 v20, 3, v82
	v_and_or_b32 v22, v0, 7, v20
	v_and_b32_e32 v20, 0x78, v20
	v_lshlrev_b32_e32 v22, 4, v22
	v_xor_b32_e32 v86, v22, v20
	v_mul_lo_u32 v21, v82, s19
	v_or_b32_e32 v87, 0x1000, v86
	s_cmpk_eq_i32 s19, 0x80
	s_mov_b32 s51, s17
	s_mov_b32 s52, s38
	v_xor_b32_e32 v20, 8, v86
	v_xor_b32_e32 v22, 8, v87
	s_cselect_b64 s[0:1], -1, 0
	s_cmpk_lg_i32 s19, 0x80
	s_waitcnt vmcnt(3)
	ds_write_b64 v86, v[4:5] offset:49152
	ds_write_b64 v20, v[6:7] offset:49152
	s_waitcnt vmcnt(2)
	ds_write_b64 v86, v[8:9] offset:57344
	ds_write_b64 v20, v[10:11] offset:57344
	;; [unrolled: 3-line block ×4, first 2 shown]
	v_lshl_add_u32 v4, v21, 1, v83
	s_cbranch_scc0 .LBB167_3
; %bb.2:
	v_lshlrev_b32_e32 v6, 1, v4
	v_add_lshl_u32 v5, v4, s19, 1
	s_lshl_b32 s26, s19, 7
	v_lshl_or_b32 v3, v82, 9, v3
	s_cbranch_execz .LBB167_4
	s_branch .LBB167_5
.LBB167_3:
                                        ; implicit-def: $vgpr5
                                        ; implicit-def: $vgpr6
                                        ; implicit-def: $sgpr26
	v_lshl_or_b32 v3, v82, 9, v3
.LBB167_4:
	v_or_b32_e32 v5, 0x100, v3
	s_movk_i32 s26, 0x4000
	v_mov_b32_e32 v6, v3
.LBB167_5:
	s_mul_i32 s2, s38, s18
	s_ashr_i32 s54, s50, 31
	s_mul_hi_i32 s3, s38, s18
	s_add_u32 s2, s2, s50
	s_addc_u32 s3, s3, s54
	s_lshl_b64 s[2:3], s[2:3], 8
	s_add_u32 s24, s4, s2
	s_addc_u32 s2, s5, s3
	s_and_b32 s25, s2, 0xffff
	s_mov_b32 s27, 0x20000
	s_movk_i32 s55, 0x80
	buffer_load_dwordx4 v[8:11], v6, s[24:27], 0 offen
	buffer_load_dwordx4 v[12:15], v6, s[24:27], s55 offen
	;; [unrolled: 1-line block ×4, first 2 shown]
	v_and_b32_e32 v5, 6, v0
	v_lshlrev_b32_e32 v6, 7, v80
	v_xor_b32_e32 v28, v82, v5
	v_and_b32_e32 v7, 1, v0
	v_lshl_or_b32 v31, v74, 3, v6
	v_lshlrev_b32_e32 v28, 2, v28
	v_lshlrev_b32_e32 v24, 2, v74
	v_or_b32_e32 v88, 0x4000, v31
	v_or_b32_e32 v89, 0x6000, v31
	v_xor_b32_e32 v31, 0x440, v28
	v_cmp_eq_u32_e32 vcc, 0, v7
	v_or_b32_e32 v26, 16, v74
	v_or_b32_e32 v27, 32, v74
	v_xor_b32_e32 v29, v80, v24
	v_xor_b32_e32 v30, v81, v24
	v_cndmask_b32_e32 v7, v31, v28, vcc
	s_add_i32 s2, s43, s42
	s_mov_b32 s56, 0x1000504
	v_lshl_or_b32 v32, v26, 3, v6
	v_lshlrev_b32_e32 v26, 8, v26
	v_lshl_or_b32 v33, v27, 3, v6
	v_lshlrev_b32_e32 v29, 1, v29
	v_lshlrev_b32_e32 v30, 1, v30
	v_lshl_or_b32 v5, v5, 10, v7
	s_add_i32 s21, s2, s44
	s_mul_i32 s2, s33, s23
	s_mul_hi_u32 s3, s33, s22
	s_mov_b32 s57, 0x3020706
	v_lshlrev_b32_e32 v25, 8, v74
	v_or_b32_e32 v92, 0x4000, v33
	v_or_b32_e32 v93, 0x6000, v33
	;; [unrolled: 1-line block ×4, first 2 shown]
	v_xor_b32_e32 v7, 8, v5
	v_xor_b32_e32 v26, 24, v5
	;; [unrolled: 1-line block ×4, first 2 shown]
	s_add_i32 s2, s3, s2
	s_mul_i32 s3, s53, s22
	v_or_b32_e32 v90, 0x4000, v32
	v_or_b32_e32 v91, 0x6000, v32
	;; [unrolled: 1-line block ×4, first 2 shown]
	v_xor_b32_e32 v25, 16, v5
	v_xor_b32_e32 v28, 32, v5
	;; [unrolled: 1-line block ×3, first 2 shown]
	v_add_u32_e32 v7, 0x80, v7
	v_add_u32_e32 v26, 0x80, v26
	;; [unrolled: 1-line block ×4, first 2 shown]
	s_add_i32 s3, s2, s3
	s_lshl_b64 s[24:25], s[20:21], 2
	s_mul_i32 s2, s33, s22
	s_add_u32 s21, s10, s24
	s_addc_u32 s24, s11, s25
	s_lshl_b64 s[2:3], s[2:3], 2
	s_add_u32 s2, s21, s2
	s_movk_i32 s21, 0xf8
	s_addc_u32 s3, s24, s3
	s_ashr_i32 s37, s36, 31
	s_lshl_b32 s30, s19, 7
	s_lshl_b64 s[24:25], s[36:37], 8
	s_add_u32 s24, s12, s24
	v_mov_b32_e32 v67, 0
	s_addc_u32 s25, s13, s25
	v_lshlrev_b32_e32 v66, 4, v74
	v_lshlrev_b32_e32 v27, 8, v27
	s_mov_b32 s58, 0
	s_movk_i32 s26, 0x4000
	v_or_b32_e32 v98, v27, v29
	v_or_b32_e32 v99, v27, v30
	v_add_u32_e32 v128, v1, v2
	s_movk_i32 s37, 0x2000
	s_movk_i32 s59, 0x3000
	v_mov_b32_e32 v58, v67
	v_mov_b32_e32 v59, v67
	;; [unrolled: 1-line block ×4, first 2 shown]
	s_waitcnt vmcnt(1)
	v_perm_b32 v34, v8, v16, s56
	s_waitcnt vmcnt(0)
	v_perm_b32 v35, v12, v20, s56
	v_perm_b32 v8, v8, v16, s57
	;; [unrolled: 1-line block ×15, first 2 shown]
	ds_write2st64_b32 v5, v34, v35 offset0:128 offset1:160
	ds_write2st64_b32 v7, v8, v12 offset0:128 offset1:160
	;; [unrolled: 1-line block ×8, first 2 shown]
	v_or_b32_e32 v5, 48, v74
	v_lshl_or_b32 v7, v5, 3, v6
	v_lshlrev_b32_e32 v5, 8, v5
	v_or_b32_e32 v102, v5, v29
	v_or_b32_e32 v103, v5, v30
	v_or_b32_e32 v5, v1, v74
	v_lshlrev_b32_e32 v5, 3, v5
	v_lshrrev_b32_e32 v9, 5, v75
	v_and_or_b32 v9, v5, s21, v9
	v_lshlrev_b32_e32 v9, 4, v9
	v_or_b32_e32 v100, 0x4000, v7
	v_or_b32_e32 v101, 0x6000, v7
	v_lshlrev_b32_e32 v7, 11, v76
	v_and_b32_e32 v5, 0x78, v5
	v_or_b32_e32 v14, 32, v9
	v_and_b32_e32 v8, 0x1000, v7
	v_xor_b32_e32 v10, v9, v5
	v_lshrrev_b32_e32 v11, 1, v0
	v_xor_b32_e32 v14, v14, v5
	v_or_b32_e32 v10, v10, v8
	v_and_b32_e32 v12, 8, v11
	v_or_b32_e32 v14, v14, v8
	v_xor_b32_e32 v104, v10, v12
	v_lshlrev_b32_e32 v10, 8, v77
	v_xor_b32_e32 v106, v14, v12
	v_or_b32_e32 v14, 64, v9
	v_or_b32_e32 v9, 0x60, v9
	v_or_b32_e32 v13, v10, v24
	v_xor_b32_e32 v14, v14, v5
	v_xor_b32_e32 v5, v9, v5
	v_lshlrev_b32_e32 v13, 1, v13
	v_or_b32_e32 v14, v14, v8
	v_or_b32_e32 v5, v5, v8
	;; [unrolled: 1-line block ×6, first 2 shown]
	v_xor_b32_e32 v110, v14, v12
	v_xor_b32_e32 v111, v5, v12
	v_or_b32_e32 v112, 0x6000, v13
	v_or_b32_e32 v113, 0x6080, v13
	;; [unrolled: 1-line block ×4, first 2 shown]
	v_lshlrev_b32_e32 v12, 1, v4
	v_add_lshl_u32 v13, v4, s19, 1
	s_movk_i32 s21, 0x100
	v_lshlrev_b32_e32 v4, 1, v74
	v_lshrrev_b32_e32 v15, 4, v0
	v_or_b32_e32 v5, 1, v4
	v_mov_b32_e32 v19, 0xa000
	v_mov_b32_e32 v20, 0x8000
	v_cmp_gt_u32_e32 vcc, s21, v0
	v_xor_b32_e32 v16, v15, v4
	v_xor_b32_e32 v17, v5, v15
	v_lshl_add_u64 v[4:5], s[24:25], 0, v[66:67]
	v_lshlrev_b32_e32 v66, 8, v15
	v_cndmask_b32_e32 v19, v19, v20, vcc
	v_lshlrev_b32_e32 v20, 3, v76
	v_and_b32_e32 v11, 24, v11
	v_lshl_or_b32 v116, v16, 3, v66
	v_and_b32_e32 v16, 8, v0
	v_xor_b32_e32 v21, v20, v11
	v_or_b32_e32 v22, 0x440, v21
	v_cmp_eq_u32_e32 vcc, 0, v16
	v_and_b32_e32 v15, 7, v0
	v_lshl_or_b32 v117, v17, 3, v66
	v_cndmask_b32_e32 v16, v22, v21, vcc
	v_lshlrev_b32_e32 v17, 3, v15
	v_lshlrev_b32_e32 v15, 7, v15
	v_or_b32_e32 v16, v16, v7
	v_lshlrev_b32_e32 v18, 2, v0
	v_xad_u32 v118, v16, v17, v15
	v_or_b32_e32 v16, 32, v11
	v_and_or_b32 v10, v18, 60, v10
	v_xor_b32_e32 v16, v20, v16
	v_lshlrev_b32_e32 v10, 1, v10
	v_or_b32_e32 v18, 0x440, v16
	v_or_b32_e32 v119, 0x6000, v10
	v_cndmask_b32_e32 v16, v18, v16, vcc
	v_or_b32_e32 v121, 0x6080, v10
	v_or_b32_e32 v122, 0x6100, v10
	;; [unrolled: 1-line block ×5, first 2 shown]
	v_xor_b32_e32 v10, v20, v10
	v_xad_u32 v120, v16, v17, v15
	v_xor_b32_e32 v16, 0x440, v10
	v_cndmask_b32_e32 v10, v16, v10, vcc
	v_or_b32_e32 v10, v10, v7
	v_xad_u32 v124, v10, v17, v15
	v_or_b32_e32 v10, 0x60, v11
	v_xor_b32_e32 v10, v20, v10
	v_xor_b32_e32 v11, 0x440, v10
	v_or_b32_e32 v8, s36, v74
	v_cndmask_b32_e32 v10, v11, v10, vcc
	v_ashrrev_i32_e32 v9, 31, v8
	v_or_b32_e32 v7, v10, v7
	v_or_b32_e32 v14, 0x100, v3
	v_xad_u32 v125, v7, v17, v15
	v_lshlrev_b64 v[8:9], 1, v[8:9]
	v_cndmask_b32_e64 v126, v12, v3, s[0:1]
	v_cndmask_b32_e64 v127, v13, v14, s[0:1]
	v_lshl_add_u64 v[68:69], s[8:9], 0, v[8:9]
	v_lshl_add_u64 v[70:71], s[14:15], 0, v[8:9]
	v_lshl_add_u64 v[72:73], v[4:5], 0, v[66:67]
	s_mov_b32 s21, 0x7060302
	v_lshlrev_b32_e32 v66, 1, v6
	v_add_u32_e32 v129, v19, v118
	v_add_u32_e32 v130, v19, v120
	;; [unrolled: 1-line block ×4, first 2 shown]
	v_mov_b32_e32 v62, v67
	v_mov_b32_e32 v63, v67
	;; [unrolled: 1-line block ×28, first 2 shown]
	s_waitcnt lgkmcnt(0)
	s_barrier
.LBB167_6:                              ; =>This Inner Loop Header: Depth=1
	s_add_i32 s60, s58, 1
	s_cmp_lt_i32 s60, s45
	s_mov_b64 s[28:29], 0
	s_cselect_b64 s[40:41], -1, 0
	s_cmp_ge_i32 s60, s45
	s_mov_b64 s[24:25], 0
	s_cbranch_scc1 .LBB167_8
; %bb.7:                                ;   in Loop: Header=BB167_6 Depth=1
	s_add_i32 s0, s52, 64
	s_ashr_i32 s1, s0, 31
	s_add_u32 s0, s49, s0
	s_addc_u32 s1, s48, s1
	s_lshl_b64 s[0:1], s[0:1], 8
	s_add_u32 s24, s6, s0
	s_addc_u32 s25, s7, s1
.LBB167_8:                              ;   in Loop: Header=BB167_6 Depth=1
	v_cndmask_b32_e64 v2, 0, 1, s[40:41]
	v_cmp_ne_u32_e64 s[0:1], 1, v2
	s_andn2_b64 vcc, exec, s[40:41]
	s_cbranch_vccnz .LBB167_10
; %bb.9:                                ;   in Loop: Header=BB167_6 Depth=1
	s_add_i32 s28, s52, 64
	s_mul_hi_i32 s29, s28, s18
	s_mul_i32 s28, s28, s18
	s_add_u32 s28, s28, s50
	s_addc_u32 s29, s29, s54
	s_lshl_b64 s[28:29], s[28:29], 8
	s_add_u32 s28, s4, s28
	s_addc_u32 s29, s5, s29
.LBB167_10:                             ;   in Loop: Header=BB167_6 Depth=1
	v_perm_b32 v3, v65, v64, s21
	v_perm_b32 v2, v63, v62, s21
	v_perm_b32 v5, v61, v60, s21
	v_perm_b32 v4, v59, v58, s21
	ds_write_b64 v88, v[2:3]
	ds_write_b64 v89, v[4:5]
	ds_write_b64 v94, v[2:3]
	ds_write_b64 v95, v[4:5]
	v_perm_b32 v3, v57, v56, s21
	v_perm_b32 v2, v55, v54, s21
	v_perm_b32 v5, v53, v52, s21
	v_perm_b32 v4, v51, v50, s21
	ds_write_b64 v90, v[2:3]
	ds_write_b64 v91, v[4:5]
	ds_write_b64 v96, v[2:3]
	ds_write_b64 v97, v[4:5]
	;; [unrolled: 8-line block ×4, first 2 shown]
	s_waitcnt lgkmcnt(0)
	s_barrier
	ds_read_b64 v[6:7], v104 offset:49152
	ds_read2_b64 v[2:5], v105 offset1:16
	ds_read_b64 v[18:19], v107 offset:6144
	ds_read_b64 v[20:21], v105 offset:6144
	s_waitcnt lgkmcnt(2)
	v_mfma_f32_16x16x16_bf16 a[0:3], v[6:7], v[2:3], 0
	ds_read_b64 v[22:23], v106 offset:49152
	ds_read2st64_b64 v[10:13], v108 offset0:4 offset1:8
	ds_read2st64_b64 v[14:17], v109 offset0:4 offset1:8
	v_mfma_f32_16x16x16_bf16 a[4:7], v[6:7], v[4:5], 0
	ds_read2_b64 v[2:5], v105 offset0:32 offset1:48
	s_add_i32 s31, s52, 63
	s_ashr_i32 s40, s31, 31
	s_waitcnt lgkmcnt(0)
	v_mfma_f32_16x16x16_bf16 a[8:11], v[6:7], v[2:3], 0
	s_mul_i32 s41, s31, s35
	s_mul_hi_u32 s61, s31, s34
	s_add_i32 s41, s61, s41
	v_mfma_f32_16x16x16_bf16 a[12:15], v[6:7], v[4:5], 0
	ds_read2st64_b64 v[2:5], v105 offset0:4 offset1:8
	ds_read2st64_b64 v[6:9], v107 offset0:4 offset1:8
	s_mul_i32 s40, s40, s34
	s_waitcnt lgkmcnt(1)
	v_mfma_f32_16x16x16_bf16 a[0:3], v[22:23], v[2:3], a[0:3]
	s_add_i32 s41, s41, s40
	s_mul_i32 s40, s31, s34
	s_lshl_b64 s[40:41], s[40:41], 2
	s_waitcnt lgkmcnt(0)
	v_mfma_f32_16x16x16_bf16 a[4:7], v[22:23], v[6:7], a[4:7]
	s_add_u32 s40, s2, s40
	s_addc_u32 s41, s3, s41
	s_and_b64 vcc, exec, s[0:1]
	v_mfma_f32_16x16x16_bf16 a[8:11], v[22:23], v[10:11], a[8:11]
	ds_read_b64 v[2:3], v110 offset:49152
	ds_read_b64 v[6:7], v111 offset:49152
	;; [unrolled: 1-line block ×3, first 2 shown]
	v_mov_b32_e32 v135, 0
	v_mov_b32_e32 v134, 0
	v_mfma_f32_16x16x16_bf16 a[12:15], v[22:23], v[14:15], a[12:15]
	v_mov_b32_e32 v133, 0
	v_mov_b32_e32 v14, 0
	;; [unrolled: 1-line block ×3, first 2 shown]
	s_waitcnt lgkmcnt(2)
	v_mfma_f32_16x16x16_bf16 a[0:3], v[2:3], v[4:5], a[0:3]
	v_mov_b32_e32 v4, 0
	v_mov_b32_e32 v5, 0
	v_mfma_f32_16x16x16_bf16 a[16:19], v[2:3], v[8:9], a[4:7]
	v_mov_b32_e32 v8, 0
	v_mov_b32_e32 v9, 0
	;; [unrolled: 3-line block ×3, first 2 shown]
	v_mfma_f32_16x16x16_bf16 a[24:27], v[2:3], v[16:17], a[12:15]
	ds_read_b64 v[2:3], v108 offset:6144
	v_mov_b32_e32 v16, 0
	v_mov_b32_e32 v17, 0
	s_waitcnt lgkmcnt(2)
	v_mfma_f32_16x16x16_bf16 a[4:7], v[6:7], v[20:21], a[0:3]
	v_mfma_f32_16x16x16_bf16 a[8:11], v[6:7], v[18:19], a[16:19]
	s_waitcnt lgkmcnt(0)
	v_mfma_f32_16x16x16_bf16 a[12:15], v[6:7], v[2:3], a[20:23]
	v_mov_b32_e32 v2, 0
	v_mov_b32_e32 v3, 0
	v_mfma_f32_16x16x16_bf16 a[0:3], v[6:7], v[10:11], a[24:27]
	v_mov_b32_e32 v6, 0
	v_mov_b32_e32 v7, 0
	v_mov_b32_e32 v10, 0
	v_mov_b32_e32 v11, 0
	s_cbranch_vccnz .LBB167_12
; %bb.11:                               ;   in Loop: Header=BB167_6 Depth=1
	s_and_b32 s25, s25, 0xffff
	buffer_load_dwordx4 v[14:17], v84, s[24:27], 0 offen
	buffer_load_dwordx4 v[10:13], v84, s[24:27], s55 offen
	;; [unrolled: 1-line block ×4, first 2 shown]
	v_mov_b32_e32 v134, v86
	v_mov_b32_e32 v133, v87
.LBB167_12:                             ;   in Loop: Header=BB167_6 Depth=1
	ds_read_b64 v[30:31], v104 offset:57344
	ds_read2_b64 v[18:21], v112 offset1:16
	ds_read_b64 v[136:137], v106 offset:57344
	ds_read_b64 v[138:139], v110 offset:57344
	;; [unrolled: 1-line block ×3, first 2 shown]
	v_add_u32_e32 v32, s52, v128
	s_waitcnt lgkmcnt(3)
	v_mfma_f32_16x16x16_bf16 a[4:7], v[30:31], v[18:19], a[4:7]
	v_mfma_f32_16x16x16_bf16 a[8:11], v[30:31], v[20:21], a[8:11]
	ds_read2_b64 v[18:21], v112 offset0:32 offset1:48
	ds_read2st64_b64 v[22:25], v112 offset0:4 offset1:8
	ds_read2st64_b64 v[26:29], v113 offset0:4 offset1:8
	s_waitcnt lgkmcnt(2)
	v_mfma_f32_16x16x16_bf16 a[12:15], v[30:31], v[18:19], a[12:15]
	v_ashrrev_i32_e32 v18, 31, v32
	v_mul_lo_u32 v33, v18, s34
	v_mad_u64_u32 v[18:19], s[24:25], v32, s34, 0
	v_mfma_f32_16x16x16_bf16 a[0:3], v[30:31], v[20:21], a[0:3]
	v_mul_lo_u32 v20, v32, s35
	v_add3_u32 v19, v19, v20, v33
	v_add_u32_e32 v20, 1, v32
	v_ashrrev_i32_e32 v21, 31, v20
	s_waitcnt lgkmcnt(1)
	v_mfma_f32_16x16x16_bf16 a[4:7], v[136:137], v[22:23], a[4:7]
	v_mul_lo_u32 v22, v21, s34
	v_mul_lo_u32 v23, v20, s35
	v_mad_u64_u32 v[20:21], s[24:25], v20, s34, 0
	v_add3_u32 v21, v21, v23, v22
	v_add_u32_e32 v22, 2, v32
	v_ashrrev_i32_e32 v23, 31, v22
	v_mul_lo_u32 v30, v23, s34
	v_mul_lo_u32 v31, v22, s35
	v_mad_u64_u32 v[22:23], s[24:25], v22, s34, 0
	v_add3_u32 v23, v23, v31, v30
	v_add_u32_e32 v30, 3, v32
	v_ashrrev_i32_e32 v31, 31, v30
	v_mul_lo_u32 v32, v31, s34
	v_mul_lo_u32 v33, v30, s35
	v_mad_u64_u32 v[30:31], s[24:25], v30, s34, 0
	s_ashr_i32 s25, s52, 31
	s_add_u32 s24, s49, s52
	s_addc_u32 s25, s48, s25
	v_lshl_add_u64 v[18:19], v[18:19], 2, s[2:3]
	v_add3_u32 v31, v31, v33, v32
	s_lshl_b64 s[24:25], s[24:25], 8
	v_lshl_add_u64 v[20:21], v[20:21], 2, s[2:3]
	v_lshl_add_u64 v[22:23], v[22:23], 2, s[2:3]
	;; [unrolled: 1-line block ×3, first 2 shown]
	global_load_dword v142, v[18:19], off
	global_load_dword v143, v[20:21], off
	;; [unrolled: 1-line block ×4, first 2 shown]
	v_lshl_add_u64 v[18:19], v[68:69], 0, s[24:25]
	v_lshl_add_u64 v[22:23], v[18:19], 0, v[66:67]
	global_load_ushort v146, v[22:23], off offset:256
	global_load_ushort v147, v[22:23], off
	ds_read2st64_b64 v[18:21], v114 offset0:4 offset1:8
	global_load_ushort v148, v[22:23], off offset:768
	global_load_ushort v149, v[22:23], off offset:512
	ds_read2st64_b64 v[30:33], v115 offset0:4 offset1:8
	global_load_ushort v150, v[22:23], off offset:288
	global_load_ushort v151, v[22:23], off offset:32
	;; [unrolled: 1-line block ×4, first 2 shown]
	s_waitcnt lgkmcnt(2)
	v_mfma_f32_16x16x16_bf16 a[8:11], v[136:137], v[26:27], a[8:11]
	global_load_ushort v154, v[22:23], off offset:320
	global_load_ushort v155, v[22:23], off offset:64
	;; [unrolled: 1-line block ×4, first 2 shown]
	s_and_b64 vcc, exec, s[0:1]
	s_waitcnt lgkmcnt(1)
	v_mfma_f32_16x16x16_bf16 a[12:15], v[136:137], v[18:19], a[12:15]
	ds_read_b64 v[18:19], v112 offset:6144
	s_waitcnt lgkmcnt(1)
	v_mfma_f32_16x16x16_bf16 a[0:3], v[136:137], v[30:31], a[0:3]
	v_lshl_add_u64 v[30:31], v[70:71], 0, s[24:25]
	v_lshl_add_u64 v[30:31], v[30:31], 0, v[66:67]
	v_mfma_f32_16x16x16_bf16 a[4:7], v[138:139], v[24:25], a[4:7]
	v_mfma_f32_16x16x16_bf16 a[8:11], v[138:139], v[28:29], a[8:11]
	;; [unrolled: 1-line block ×4, first 2 shown]
	global_load_ushort v138, v[22:23], off offset:352
	global_load_ushort v139, v[22:23], off offset:96
	ds_read_b64 v[20:21], v113 offset:6144
	ds_read_b64 v[24:25], v114 offset:6144
	;; [unrolled: 1-line block ×3, first 2 shown]
	s_load_dword s40, s[40:41], 0x0
	global_load_ushort v158, v[22:23], off offset:864
	global_load_ushort v159, v[22:23], off offset:608
	s_waitcnt lgkmcnt(0)
	v_mfma_f32_16x16x16_bf16 a[4:7], v[140:141], v[18:19], a[4:7]
	s_waitcnt vmcnt(17)
	v_sub_f32_e32 v28, s40, v144
	v_mfma_f32_16x16x16_bf16 a[0:3], v[140:141], v[26:27], a[0:3]
	v_sub_f32_e32 v26, s40, v142
	v_sub_f32_e32 v27, s40, v143
	s_waitcnt vmcnt(16)
	v_sub_f32_e32 v29, s40, v145
	v_mfma_f32_16x16x16_bf16 a[8:11], v[140:141], v[20:21], a[8:11]
	v_exp_f32_e32 v26, v26
	v_exp_f32_e32 v27, v27
	;; [unrolled: 1-line block ×4, first 2 shown]
	v_accvgpr_read_b32 v137, a5
	s_waitcnt vmcnt(15)
	v_lshlrev_b32_e32 v33, 16, v146
	s_waitcnt vmcnt(14)
	v_lshlrev_b32_e32 v32, 16, v147
	v_accvgpr_read_b32 v136, a4
	v_accvgpr_read_b32 v19, a7
	;; [unrolled: 1-line block ×3, first 2 shown]
	v_pk_add_f32 v[32:33], v[32:33], v[136:137] neg_lo:[0,1] neg_hi:[0,1]
	s_waitcnt vmcnt(13)
	v_lshlrev_b32_e32 v137, 16, v148
	s_waitcnt vmcnt(12)
	v_lshlrev_b32_e32 v136, 16, v149
	v_pk_add_f32 v[18:19], v[136:137], v[18:19] neg_lo:[0,1] neg_hi:[0,1]
	global_store_short_d16_hi v[30:31], v32, off
	global_store_short_d16_hi v[30:31], v33, off offset:256
	global_store_short_d16_hi v[30:31], v18, off offset:512
	;; [unrolled: 1-line block ×3, first 2 shown]
	v_pk_mul_f32 v[32:33], v[26:27], v[32:33]
	v_pk_mul_f32 v[18:19], v[28:29], v[18:19]
	v_accvgpr_read_b32 v137, a9
	v_perm_b32 v32, v33, v32, s21
	v_perm_b32 v33, v19, v18, s21
	s_waitcnt vmcnt(15)
	v_lshlrev_b32_e32 v19, 16, v150
	s_waitcnt vmcnt(14)
	v_lshlrev_b32_e32 v18, 16, v151
	v_accvgpr_read_b32 v136, a8
	v_accvgpr_read_b32 v21, a11
	v_mfma_f32_16x16x16_bf16 a[12:15], v[140:141], v[24:25], a[12:15]
	v_accvgpr_read_b32 v20, a10
	v_pk_add_f32 v[18:19], v[18:19], v[136:137] neg_lo:[0,1] neg_hi:[0,1]
	s_waitcnt vmcnt(13)
	v_lshlrev_b32_e32 v137, 16, v152
	s_waitcnt vmcnt(12)
	v_lshlrev_b32_e32 v136, 16, v153
	v_pk_add_f32 v[20:21], v[136:137], v[20:21] neg_lo:[0,1] neg_hi:[0,1]
	global_store_short_d16_hi v[30:31], v18, off offset:32
	global_store_short_d16_hi v[30:31], v19, off offset:288
	;; [unrolled: 1-line block ×4, first 2 shown]
	v_pk_mul_f32 v[18:19], v[26:27], v[18:19]
	v_pk_mul_f32 v[20:21], v[28:29], v[20:21]
	v_accvgpr_read_b32 v23, a15
	v_perm_b32 v21, v21, v20, s21
	v_perm_b32 v20, v19, v18, s21
	ds_write2_b64 v89, v[32:33], v[20:21] offset1:16
	v_accvgpr_read_b32 v21, a13
	s_waitcnt vmcnt(15)
	v_lshlrev_b32_e32 v19, 16, v154
	s_waitcnt vmcnt(14)
	v_lshlrev_b32_e32 v18, 16, v155
	v_accvgpr_read_b32 v20, a12
	v_accvgpr_read_b32 v22, a14
	v_pk_add_f32 v[18:19], v[18:19], v[20:21] neg_lo:[0,1] neg_hi:[0,1]
	s_waitcnt vmcnt(13)
	v_lshlrev_b32_e32 v21, 16, v156
	s_waitcnt vmcnt(12)
	v_lshlrev_b32_e32 v20, 16, v157
	v_pk_add_f32 v[20:21], v[20:21], v[22:23] neg_lo:[0,1] neg_hi:[0,1]
	global_store_short_d16_hi v[30:31], v18, off offset:64
	global_store_short_d16_hi v[30:31], v19, off offset:320
	;; [unrolled: 1-line block ×4, first 2 shown]
	v_pk_mul_f32 v[18:19], v[26:27], v[18:19]
	v_pk_mul_f32 v[20:21], v[28:29], v[20:21]
	v_accvgpr_read_b32 v23, a1
	v_perm_b32 v18, v19, v18, s21
	v_perm_b32 v19, v21, v20, s21
	s_waitcnt vmcnt(15)
	v_lshlrev_b32_e32 v21, 16, v138
	s_waitcnt vmcnt(14)
	v_lshlrev_b32_e32 v20, 16, v139
	v_accvgpr_read_b32 v22, a0
	v_accvgpr_read_b32 v25, a3
	;; [unrolled: 1-line block ×3, first 2 shown]
	v_pk_add_f32 v[20:21], v[20:21], v[22:23] neg_lo:[0,1] neg_hi:[0,1]
	s_waitcnt vmcnt(13)
	v_lshlrev_b32_e32 v23, 16, v158
	s_waitcnt vmcnt(12)
	v_lshlrev_b32_e32 v22, 16, v159
	v_pk_add_f32 v[22:23], v[22:23], v[24:25] neg_lo:[0,1] neg_hi:[0,1]
	global_store_short_d16_hi v[30:31], v20, off offset:96
	global_store_short_d16_hi v[30:31], v21, off offset:352
	global_store_short_d16_hi v[30:31], v22, off offset:608
	global_store_short_d16_hi v[30:31], v23, off offset:864
	v_pk_mul_f32 v[20:21], v[26:27], v[20:21]
	v_pk_mul_f32 v[22:23], v[28:29], v[22:23]
	v_mov_b32_e32 v136, 0
	v_perm_b32 v23, v23, v22, s21
	v_perm_b32 v22, v21, v20, s21
	ds_write2_b64 v89, v[18:19], v[22:23] offset0:32 offset1:48
	v_mov_b32_e32 v18, 0
	v_mov_b32_e32 v19, 0
	v_mov_b32_e32 v20, 0
	v_mov_b32_e32 v21, 0
	v_mov_b32_e32 v22, 0
	v_mov_b32_e32 v23, 0
	v_mov_b32_e32 v24, 0
	v_mov_b32_e32 v25, 0
	v_mov_b32_e32 v26, 0
	v_mov_b32_e32 v27, 0
	v_mov_b32_e32 v28, 0
	v_mov_b32_e32 v29, 0
	v_mov_b32_e32 v30, 0
	v_mov_b32_e32 v31, 0
	v_mov_b32_e32 v32, 0
	v_mov_b32_e32 v33, 0
	s_cbranch_vccnz .LBB167_14
; %bb.13:                               ;   in Loop: Header=BB167_6 Depth=1
	s_and_b32 s29, s29, 0xffff
	s_mov_b32 s31, s27
	buffer_load_dwordx4 v[30:33], v126, s[28:31], 0 offen
	buffer_load_dwordx4 v[22:25], v126, s[28:31], s55 offen
	buffer_load_dwordx4 v[26:29], v127, s[28:31], 0 offen
	buffer_load_dwordx4 v[18:21], v127, s[28:31], s55 offen
	v_mov_b32_e32 v135, v83
	v_mov_b32_e32 v136, v82
.LBB167_14:                             ;   in Loop: Header=BB167_6 Depth=1
	s_waitcnt lgkmcnt(0)
	s_barrier
	ds_read_b64 v[146:147], v129
	ds_read2_b64 v[138:141], v119 offset1:16
	ds_read_b64 v[162:163], v130
	ds_read_b64 v[164:165], v131
	ds_read_b64 v[166:167], v132
	ds_read2_b64 v[142:145], v119 offset0:32 offset1:48
	s_waitcnt lgkmcnt(4)
	v_mfma_f32_16x16x16_bf16 a[0:3], v[146:147], v[138:139], 0
	ds_read2st64_b64 v[150:153], v121 offset0:4 offset1:8
	ds_read2st64_b64 v[154:157], v122 offset0:4 offset1:8
	;; [unrolled: 1-line block ×3, first 2 shown]
	v_mfma_f32_16x16x16_bf16 a[4:7], v[146:147], v[140:141], 0
	s_add_i32 s24, s46, s58
	s_mul_hi_i32 s25, s24, s51
	s_mul_i32 s24, s24, s51
	s_waitcnt lgkmcnt(3)
	v_mfma_f32_16x16x16_bf16 a[8:11], v[146:147], v[142:143], 0
	s_add_u32 s24, s24, s33
	s_addc_u32 s25, s25, s53
	s_lshl_b64 s[24:25], s[24:25], 15
	v_mfma_f32_16x16x16_bf16 a[12:15], v[146:147], v[144:145], 0
	ds_read2st64_b64 v[146:149], v119 offset0:4 offset1:8
	s_waitcnt lgkmcnt(0)
	v_mfma_f32_16x16x16_bf16 a[0:3], v[162:163], v[146:147], a[0:3]
	v_mfma_f32_16x16x16_bf16 a[4:7], v[162:163], v[150:151], a[4:7]
	;; [unrolled: 1-line block ×8, first 2 shown]
	ds_read_b64 v[162:163], v119 offset:6144
	ds_read_b64 v[164:165], v120 offset:40960
	ds_read_b64 v[168:169], v118 offset:40960
	ds_read_b64 v[170:171], v121 offset:6144
	ds_read_b64 v[172:173], v122 offset:6144
	ds_read_b64 v[174:175], v123 offset:6144
	ds_read_b64 v[176:177], v124 offset:40960
	ds_read_b64 v[178:179], v125 offset:40960
	s_waitcnt lgkmcnt(5)
	v_mfma_f32_16x16x16_bf16 a[16:19], v[168:169], v[138:139], 0
	v_mfma_f32_16x16x16_bf16 a[20:23], v[168:169], v[140:141], 0
	ds_read2st64_b64 v[138:141], v116 offset1:8
	v_mfma_f32_16x16x16_bf16 a[24:27], v[168:169], v[142:143], 0
	v_mfma_f32_16x16x16_bf16 a[28:31], v[168:169], v[144:145], 0
	ds_read2st64_b64 v[142:145], v117 offset1:8
	v_mfma_f32_16x16x16_bf16 a[16:19], v[164:165], v[146:147], a[16:19]
	s_waitcnt lgkmcnt(1)
	v_mov_b32_e32 v146, v138
	v_mov_b32_e32 v147, v139
	v_mfma_f32_16x16x16_bf16 a[20:23], v[164:165], v[150:151], a[20:23]
	v_lshl_add_u64 v[150:151], v[72:73], 0, s[24:25]
	v_mfma_f32_16x16x16_bf16 a[24:27], v[164:165], v[154:155], a[24:27]
	v_mfma_f32_16x16x16_bf16 a[28:31], v[164:165], v[158:159], a[28:31]
	;; [unrolled: 1-line block ×3, first 2 shown]
	s_waitcnt lgkmcnt(0)
	v_mov_b32_e32 v148, v142
	v_mov_b32_e32 v149, v143
	;; [unrolled: 1-line block ×3, first 2 shown]
	v_mfma_f32_16x16x16_bf16 a[32:35], v[176:177], v[152:153], a[20:23]
	v_mov_b32_e32 v143, v141
	ds_read2st64_b64 v[138:141], v116 offset0:16 offset1:24
	global_store_dwordx4 v[150:151], v[146:149], off
	v_mfma_f32_16x16x16_bf16 a[24:27], v[176:177], v[156:157], a[24:27]
	ds_read2st64_b64 v[146:149], v117 offset0:16 offset1:24
	v_add_co_u32_e32 v152, vcc, s37, v150
	v_mfma_f32_16x16x16_bf16 a[28:31], v[176:177], v[160:161], a[28:31]
	s_nop 0
	v_addc_co_u32_e32 v153, vcc, 0, v151, vcc
	global_store_dwordx4 v[152:153], v[142:145], off offset:-4096
	v_mfma_f32_16x16x16_bf16 a[0:3], v[166:167], v[162:163], a[0:3]
	s_waitcnt lgkmcnt(1)
	v_mov_b32_e32 v142, v138
	v_add_co_u32_e32 v138, vcc, s59, v150
	v_mfma_f32_16x16x16_bf16 a[4:7], v[166:167], v[170:171], a[4:7]
	v_mov_b32_e32 v143, v139
	v_addc_co_u32_e32 v139, vcc, 0, v151, vcc
	v_mfma_f32_16x16x16_bf16 a[8:11], v[166:167], v[172:173], a[8:11]
	s_waitcnt lgkmcnt(0)
	v_mov_b32_e32 v144, v146
	v_mov_b32_e32 v145, v147
	;; [unrolled: 1-line block ×3, first 2 shown]
	v_mfma_f32_16x16x16_bf16 a[12:15], v[166:167], v[174:175], a[12:15]
	v_mov_b32_e32 v147, v141
	s_and_b64 vcc, exec, s[0:1]
	global_store_dwordx4 v[152:153], v[142:145], off
	v_mfma_f32_16x16x16_bf16 a[20:23], v[178:179], v[162:163], a[16:19]
	global_store_dwordx4 v[138:139], v[146:149], off
	v_mfma_f32_16x16x16_bf16 a[16:19], v[178:179], v[170:171], a[32:35]
	v_mfma_f32_16x16x16_bf16 a[24:27], v[178:179], v[172:173], a[24:27]
	;; [unrolled: 1-line block ×3, first 2 shown]
	s_cbranch_vccnz .LBB167_16
; %bb.15:                               ;   in Loop: Header=BB167_6 Depth=1
	v_lshrrev_b32_e32 v137, 3, v135
	v_and_b32_e32 v137, 6, v137
	v_xor_b32_e32 v136, v137, v136
	v_lshlrev_b32_e32 v136, 2, v136
	v_and_b32_e32 v135, 8, v135
	v_xor_b32_e32 v138, 0x440, v136
	v_cmp_eq_u32_e32 vcc, 0, v135
	s_barrier
	s_nop 0
	v_cndmask_b32_e32 v135, v138, v136, vcc
	v_lshl_or_b32 v135, v137, 10, v135
	s_waitcnt vmcnt(5)
	v_perm_b32 v136, v30, v26, s56
	s_waitcnt vmcnt(4)
	v_perm_b32 v137, v22, v18, s56
	ds_write2st64_b32 v135, v136, v137 offset0:128 offset1:160
	v_xor_b32_e32 v136, 8, v135
	v_perm_b32 v26, v30, v26, s57
	v_perm_b32 v18, v22, v18, s57
	v_add_u32_e32 v22, 0x80, v136
	ds_write2st64_b32 v22, v26, v18 offset0:128 offset1:160
	v_xor_b32_e32 v18, 16, v135
	v_perm_b32 v22, v31, v27, s56
	v_perm_b32 v26, v23, v19, s56
	ds_write2st64_b32 v18, v22, v26 offset0:129 offset1:161
	v_xor_b32_e32 v18, 24, v135
	v_perm_b32 v22, v31, v27, s57
	v_perm_b32 v19, v23, v19, s57
	v_add_u32_e32 v18, 0x80, v18
	ds_write2st64_b32 v18, v22, v19 offset0:129 offset1:161
	v_xor_b32_e32 v18, 32, v135
	v_perm_b32 v19, v32, v28, s56
	v_perm_b32 v22, v24, v20, s56
	ds_write2st64_b32 v18, v19, v22 offset0:130 offset1:162
	v_xor_b32_e32 v18, 40, v135
	v_perm_b32 v19, v32, v28, s57
	v_perm_b32 v20, v24, v20, s57
	v_add_u32_e32 v18, 0x80, v18
	ds_write2st64_b32 v18, v19, v20 offset0:130 offset1:162
	v_xor_b32_e32 v18, 48, v135
	v_perm_b32 v19, v33, v29, s56
	v_perm_b32 v20, v25, v21, s56
	ds_write2st64_b32 v18, v19, v20 offset0:131 offset1:163
	v_xor_b32_e32 v18, 56, v135
	v_perm_b32 v19, v33, v29, s57
	v_perm_b32 v20, v25, v21, s57
	v_add_u32_e32 v18, 0x80, v18
	ds_write2st64_b32 v18, v19, v20 offset0:131 offset1:163
	ds_write_b64 v134, v[14:15] offset:49152
	v_xor_b32_e32 v14, 8, v134
	ds_write_b64 v14, v[16:17] offset:49152
	ds_write_b64 v134, v[10:11] offset:57344
	;; [unrolled: 1-line block ×4, first 2 shown]
	v_xor_b32_e32 v6, 8, v133
	ds_write_b64 v6, v[8:9] offset:49152
	ds_write_b64 v133, v[2:3] offset:57344
	;; [unrolled: 1-line block ×3, first 2 shown]
.LBB167_16:                             ;   in Loop: Header=BB167_6 Depth=1
	v_exp_f32_e32 v134, s40
	v_accvgpr_read_b32 v5, a3
	v_accvgpr_read_b32 v9, a7
	;; [unrolled: 1-line block ×4, first 2 shown]
	s_waitcnt vmcnt(4)
	v_accvgpr_read_b32 v18, a20
	v_accvgpr_read_b32 v25, a19
	;; [unrolled: 1-line block ×28, first 2 shown]
	s_add_i32 s52, s52, 64
	v_pk_fma_f32 v[62:63], v[134:135], v[62:63], v[2:3] op_sel_hi:[0,1,1]
	v_pk_fma_f32 v[64:65], v[134:135], v[64:65], v[4:5] op_sel_hi:[0,1,1]
	;; [unrolled: 1-line block ×15, first 2 shown]
	s_cmp_eq_u32 s45, s60
	v_pk_fma_f32 v[38:39], v[134:135], v[38:39], v[32:33] op_sel_hi:[0,1,1]
	s_cbranch_scc1 .LBB167_18
; %bb.17:                               ;   in Loop: Header=BB167_6 Depth=1
	s_mov_b32 s58, s60
	s_branch .LBB167_6
.LBB167_18:
	s_lshl_b32 s0, s45, 6
	s_sub_i32 s47, s47, s0
	s_cmp_gt_i32 s47, 0
	s_cbranch_scc0 .LBB167_99
; %bb.19:
	s_add_i32 s38, s0, s38
	s_ashr_i32 s2, s38, 31
	s_cmpk_lg_i32 s19, 0x80
	s_cselect_b64 s[30:31], -1, 0
	s_and_b64 vcc, exec, s[30:31]
	s_cbranch_vccz .LBB167_21
; %bb.20:
	s_mul_i32 s1, s38, s18
	s_ashr_i32 s3, s50, 31
	s_mul_hi_i32 s0, s38, s18
	s_add_u32 s40, s1, s50
	s_addc_u32 s41, s0, s3
	s_cbranch_execz .LBB167_22
	s_branch .LBB167_23
.LBB167_21:
                                        ; implicit-def: $sgpr40_sgpr41
.LBB167_22:
	s_mul_i32 s1, s50, s16
	s_mul_hi_i32 s0, s50, s16
	s_add_u32 s40, s1, s38
	s_addc_u32 s41, s0, s2
.LBB167_23:
	s_add_i32 s3, s45, s46
	s_ashr_i32 s16, s33, 31
	s_add_u32 s0, s49, s38
	v_lshlrev_b32_e32 v6, 6, v80
	v_lshlrev_b32_e32 v24, 2, v74
	s_addc_u32 s1, s48, s2
	s_mov_b32 s2, 0x7060302
	v_or_b32_e32 v9, v6, v24
	v_xor_b32_e32 v7, v80, v24
	v_perm_b32 v3, v65, v64, s2
	v_perm_b32 v2, v63, v62, s2
	;; [unrolled: 1-line block ×4, first 2 shown]
	v_lshlrev_b32_e32 v9, 1, v9
	v_xor_b32_e32 v8, v81, v24
	ds_write2st64_b64 v9, v[2:3], v[4:5] offset0:32 offset1:48
	v_lshlrev_b32_e32 v7, 1, v7
	v_lshlrev_b32_e32 v9, 8, v74
	v_or_b32_e32 v10, v7, v9
	v_lshlrev_b32_e32 v8, 1, v8
	ds_write_b64 v10, v[2:3]
	v_or_b32_e32 v2, v8, v9
	v_or_b32_e32 v9, 16, v74
	v_lshlrev_b32_e32 v23, 2, v9
	v_or_b32_e32 v10, v6, v23
	ds_write_b64 v2, v[4:5]
	v_perm_b32 v3, v57, v56, s2
	v_perm_b32 v2, v55, v54, s2
	;; [unrolled: 1-line block ×4, first 2 shown]
	v_lshlrev_b32_e32 v10, 1, v10
	v_lshlrev_b32_e32 v9, 8, v9
	ds_write2st64_b64 v10, v[2:3], v[4:5] offset0:32 offset1:48
	v_or_b32_e32 v10, v7, v9
	ds_write_b64 v10, v[2:3]
	v_or_b32_e32 v2, v8, v9
	v_or_b32_e32 v9, 32, v74
	v_lshlrev_b32_e32 v22, 2, v9
	v_or_b32_e32 v10, v6, v22
	s_lshl_b64 s[28:29], s[0:1], 8
	ds_write_b64 v2, v[4:5]
	v_perm_b32 v3, v49, v48, s2
	v_perm_b32 v2, v47, v46, s2
	;; [unrolled: 1-line block ×4, first 2 shown]
	v_lshlrev_b32_e32 v10, 1, v10
	v_lshlrev_b32_e32 v9, 8, v9
	s_add_u32 s0, s6, s28
	ds_write2st64_b64 v10, v[2:3], v[4:5] offset0:32 offset1:48
	v_or_b32_e32 v10, v7, v9
	s_addc_u32 s1, s7, s29
	ds_write_b64 v10, v[2:3]
	v_or_b32_e32 v2, v8, v9
	v_or_b32_e32 v9, 48, v74
	s_mul_hi_i32 s6, s3, s17
	s_mul_i32 s3, s3, s17
	ds_write_b64 v2, v[4:5]
	v_perm_b32 v3, v35, v34, s2
	v_perm_b32 v2, v41, v40, s2
	;; [unrolled: 1-line block ×4, first 2 shown]
	v_lshlrev_b32_e32 v19, 2, v9
	s_add_u32 s2, s3, s33
	v_or_b32_e32 v6, v6, v19
	s_addc_u32 s3, s6, s16
	v_lshlrev_b32_e32 v6, 1, v6
	s_ashr_i32 s37, s36, 31
	s_lshl_b64 s[2:3], s[2:3], 15
	ds_write2st64_b64 v6, v[2:3], v[4:5] offset0:32 offset1:48
	v_lshlrev_b32_e32 v6, 8, v9
	s_add_u32 s6, s12, s2
	v_or_b32_e32 v7, v7, v6
	s_addc_u32 s7, s13, s3
	s_lshl_b64 s[2:3], s[36:37], 8
	ds_write_b64 v7, v[2:3]
	v_or_b32_e32 v2, v8, v6
	s_add_u32 s2, s6, s2
	v_lshlrev_b32_e32 v3, 1, v74
	ds_write_b64 v2, v[4:5]
	v_lshrrev_b32_e32 v2, 4, v0
	s_addc_u32 s3, s7, s3
	v_or_b32_e32 v4, 1, v3
	v_lshlrev_b32_e32 v10, 4, v74
	v_mov_b32_e32 v11, 0
	v_xor_b32_e32 v3, v2, v3
	v_xor_b32_e32 v6, v4, v2
	v_lshl_add_u64 v[12:13], s[2:3], 0, v[10:11]
	v_lshlrev_b32_e32 v10, 8, v2
	v_lshl_or_b32 v16, v3, 3, v10
	v_lshl_or_b32 v17, v6, 3, v10
	s_waitcnt lgkmcnt(0)
	s_barrier
	ds_read2st64_b64 v[2:5], v16 offset1:8
	ds_read2st64_b64 v[6:9], v17 offset1:8
	v_lshl_add_u64 v[14:15], v[12:13], 0, v[10:11]
	s_movk_i32 s2, 0x2000
	s_cmp_lg_u32 s47, 64
	s_waitcnt lgkmcnt(1)
	v_mov_b32_e32 v10, v2
	v_mov_b32_e32 v11, v3
	s_waitcnt lgkmcnt(0)
	v_mov_b32_e32 v12, v6
	v_mov_b32_e32 v13, v7
	global_store_dwordx4 v[14:15], v[10:13], off
	v_mov_b32_e32 v6, v4
	v_mov_b32_e32 v7, v5
	ds_read2st64_b64 v[2:5], v16 offset0:16 offset1:24
	ds_read2st64_b64 v[10:13], v17 offset0:16 offset1:24
	v_add_co_u32_e32 v16, vcc, s2, v14
	s_cselect_b64 s[6:7], -1, 0
	s_nop 0
	v_addc_co_u32_e32 v17, vcc, 0, v15, vcc
	global_store_dwordx4 v[16:17], v[6:9], off offset:-4096
	v_lshl_or_b32 v25, v76, 3, v79
	s_mov_b32 s24, 0
	s_waitcnt lgkmcnt(1)
	v_mov_b32_e32 v6, v2
	v_add_co_u32_e32 v2, vcc, 0x3000, v14
	v_mov_b32_e32 v7, v3
	s_nop 0
	v_addc_co_u32_e32 v3, vcc, 0, v15, vcc
	s_waitcnt lgkmcnt(0)
	v_mov_b32_e32 v8, v10
	v_mov_b32_e32 v9, v11
	;; [unrolled: 1-line block ×4, first 2 shown]
	v_or_b32_e32 v20, 32, v25
	v_and_b32_e32 v18, 56, v78
	s_and_b64 vcc, exec, s[6:7]
	global_store_dwordx4 v[16:17], v[6:9], off
	global_store_dwordx4 v[2:3], v[10:13], off
	s_cbranch_vccz .LBB167_29
; %bb.24:
	s_mov_b32 s25, s24
	s_mov_b32 s26, s24
	;; [unrolled: 1-line block ×3, first 2 shown]
	v_mov_b64_e32 v[6:7], s[24:25]
	v_mov_b64_e32 v[8:9], s[26:27]
	;; [unrolled: 1-line block ×3, first 2 shown]
	v_cmp_gt_i32_e32 vcc, s47, v25
	v_mov_b64_e32 v[4:5], v[8:9]
	s_and_saveexec_b64 s[2:3], vcc
	s_cbranch_execz .LBB167_26
; %bb.25:
	v_lshlrev_b32_e32 v2, 8, v25
	v_mov_b32_e32 v3, 0
	v_lshl_add_u64 v[4:5], s[0:1], 0, v[2:3]
	v_lshlrev_b32_e32 v2, 1, v18
	v_lshl_add_u64 v[10:11], v[4:5], 0, v[2:3]
	global_load_dwordx4 v[6:9], v[10:11], off
	global_load_dwordx4 v[2:5], v[10:11], off offset:128
.LBB167_26:
	s_or_b64 exec, exec, s[2:3]
	s_mov_b32 s25, s24
	s_mov_b32 s26, s24
	;; [unrolled: 1-line block ×3, first 2 shown]
	v_mov_b64_e32 v[14:15], s[24:25]
	v_mov_b64_e32 v[16:17], s[26:27]
	;; [unrolled: 1-line block ×3, first 2 shown]
	v_cmp_gt_i32_e32 vcc, s47, v20
	v_lshlrev_b32_e32 v21, 7, v20
	v_mov_b64_e32 v[12:13], v[16:17]
	s_and_saveexec_b64 s[2:3], vcc
	s_cbranch_execz .LBB167_28
; %bb.27:
	v_lshlrev_b32_e32 v10, 1, v21
	v_mov_b32_e32 v11, 0
	v_lshl_add_u64 v[12:13], s[0:1], 0, v[10:11]
	v_lshlrev_b32_e32 v10, 1, v18
	v_lshl_add_u64 v[26:27], v[12:13], 0, v[10:11]
	global_load_dwordx4 v[14:17], v[26:27], off
	global_load_dwordx4 v[10:13], v[26:27], off offset:128
.LBB167_28:
	s_or_b64 exec, exec, s[2:3]
	v_lshrrev_b32_e32 v26, 3, v18
	v_lshlrev_b32_e32 v27, 3, v25
	v_or_b32_e32 v26, v27, v26
	v_lshlrev_b32_e32 v26, 4, v26
	v_and_b32_e32 v27, 0x78, v27
	v_xor_b32_e32 v26, v26, v27
	s_branch .LBB167_31
.LBB167_29:
                                        ; implicit-def: $vgpr26
                                        ; implicit-def: $vgpr21
                                        ; implicit-def: $vgpr6_vgpr7_vgpr8_vgpr9
                                        ; implicit-def: $vgpr2_vgpr3_vgpr4_vgpr5
                                        ; implicit-def: $vgpr14_vgpr15_vgpr16_vgpr17
                                        ; implicit-def: $vgpr10_vgpr11_vgpr12_vgpr13
	s_cbranch_execz .LBB167_31
; %bb.30:
	s_waitcnt vmcnt(0)
	v_lshlrev_b32_e32 v2, 1, v18
	v_lshl_or_b32 v21, v25, 8, v2
	s_and_b32 s1, s1, 0xffff
	s_mov_b32 s3, 0x20000
	s_movk_i32 s2, 0x4000
	v_lshl_or_b32 v26, v20, 8, v2
	s_movk_i32 s12, 0x80
	buffer_load_dwordx4 v[6:9], v21, s[0:3], 0 offen
	buffer_load_dwordx4 v[2:5], v21, s[0:3], s12 offen
	;; [unrolled: 1-line block ×4, first 2 shown]
	v_lshrrev_b32_e32 v21, 3, v18
	v_lshlrev_b32_e32 v26, 3, v25
	v_or_b32_e32 v21, v26, v21
	v_lshlrev_b32_e32 v21, 4, v21
	v_and_b32_e32 v26, 0x78, v26
	v_xor_b32_e32 v26, v21, v26
	v_lshlrev_b32_e32 v21, 7, v20
.LBB167_31:
	s_movk_i32 s0, 0x1000
	v_and_or_b32 v20, v21, s0, v26
	s_waitcnt vmcnt(1)
	ds_write_b64 v26, v[6:7] offset:49152
	v_xor_b32_e32 v6, 8, v26
	ds_write_b64 v6, v[8:9] offset:49152
	s_waitcnt vmcnt(0)
	ds_write_b64 v26, v[2:3] offset:57344
	ds_write_b64 v6, v[4:5] offset:57344
	ds_write_b64 v20, v[14:15] offset:49152
	v_xor_b32_e32 v2, 8, v20
	ds_write_b64 v2, v[16:17] offset:49152
	ds_write_b64 v20, v[10:11] offset:57344
	;; [unrolled: 1-line block ×3, first 2 shown]
	v_or_b32_e32 v2, v1, v74
	v_lshlrev_b32_e32 v3, 11, v76
	v_lshlrev_b32_e32 v2, 3, v2
	v_and_b32_e32 v6, 0x1000, v3
	v_lshrrev_b32_e32 v3, 5, v75
	s_movk_i32 s0, 0xf8
	v_and_or_b32 v3, v2, s0, v3
	v_lshlrev_b32_e32 v7, 4, v3
	v_and_b32_e32 v8, 0x78, v2
	v_or_b32_e32 v10, 32, v7
	v_lshrrev_b32_e32 v3, 1, v75
	v_xor_b32_e32 v10, v10, v8
	v_xor_b32_e32 v2, v7, v8
	v_and_b32_e32 v9, 8, v3
	v_or_b32_e32 v10, v10, v6
	v_or_b32_e32 v2, v2, v6
	v_xor_b32_e32 v28, v10, v9
	v_or_b32_e32 v10, 64, v7
	v_xor_b32_e32 v27, v2, v9
	v_xor_b32_e32 v10, v10, v8
	s_waitcnt lgkmcnt(0)
	s_barrier
	v_or_b32_e32 v13, v10, v6
	ds_read_b64 v[10:11], v27 offset:49152
	v_lshl_or_b32 v14, v77, 8, v24
	v_lshlrev_b32_e32 v26, 1, v14
	v_add_u32_e32 v12, 0x4000, v26
	ds_read2_b64 v[2:5], v12 offset1:16
	v_or_b32_e32 v7, 0x60, v7
	v_xor_b32_e32 v7, v7, v8
	v_or_b32_e32 v6, v7, v6
	v_xor_b32_e32 v29, v13, v9
	v_xor_b32_e32 v30, v6, v9
	ds_read_b64 v[20:21], v28 offset:49152
	ds_read_b64 v[34:35], v29 offset:49152
	ds_read_b64 v[36:37], v30 offset:49152
	s_waitcnt lgkmcnt(3)
	v_mfma_f32_16x16x16_bf16 a[0:3], v[10:11], v[2:3], 0
	ds_read2_b64 v[6:9], v12 offset0:32 offset1:48
	s_lshl_b64 s[0:1], s[40:41], 8
	s_add_u32 s4, s4, s0
	v_mfma_f32_16x16x16_bf16 a[4:7], v[10:11], v[4:5], 0
	ds_read2st64_b64 v[2:5], v26 offset0:36 offset1:40
	s_addc_u32 s5, s5, s1
	s_add_i32 s2, s39, -1
	s_waitcnt lgkmcnt(1)
	v_mfma_f32_16x16x16_bf16 a[8:11], v[10:11], v[6:7], 0
	v_or_b32_e32 v6, 64, v14
	v_lshlrev_b32_e32 v31, 1, v6
	s_add_i32 s0, s43, s42
	s_waitcnt lgkmcnt(0)
	v_mfma_f32_16x16x16_bf16 a[0:3], v[20:21], v[2:3], a[0:3]
	v_or_b32_e32 v2, 0x80, v14
	v_lshlrev_b32_e32 v32, 1, v2
	v_or_b32_e32 v2, 0xc0, v14
	v_mfma_f32_16x16x16_bf16 a[12:15], v[10:11], v[8:9], 0
	ds_read2st64_b64 v[6:9], v31 offset0:36 offset1:40
	v_lshlrev_b32_e32 v33, 1, v2
	ds_read2st64_b64 v[10:13], v32 offset0:36 offset1:40
	ds_read2st64_b64 v[14:17], v33 offset0:36 offset1:40
	s_add_i32 s21, s0, s44
	s_mul_i32 s0, s33, s23
	s_mul_hi_u32 s1, s33, s22
	s_ashr_i32 s3, s2, 31
	s_mul_i32 s12, s2, s35
	s_mul_hi_u32 s13, s2, s34
	s_waitcnt lgkmcnt(2)
	v_mfma_f32_16x16x16_bf16 a[4:7], v[20:21], v[6:7], a[4:7]
	s_add_i32 s0, s1, s0
	s_mul_i32 s1, s16, s22
	s_add_i32 s12, s13, s12
	s_mul_i32 s3, s3, s34
	s_waitcnt lgkmcnt(1)
	v_mfma_f32_16x16x16_bf16 a[8:11], v[20:21], v[10:11], a[8:11]
	s_add_i32 s1, s0, s1
	s_add_i32 s3, s12, s3
	s_lshl_b64 s[12:13], s[20:21], 2
	s_waitcnt lgkmcnt(0)
	v_mfma_f32_16x16x16_bf16 a[12:15], v[20:21], v[14:15], a[12:15]
	s_mul_i32 s0, s33, s22
	s_add_u32 s10, s10, s12
	s_addc_u32 s11, s11, s13
	s_lshl_b64 s[0:1], s[0:1], 2
	v_mfma_f32_16x16x16_bf16 a[0:3], v[34:35], v[4:5], a[0:3]
	s_mul_i32 s2, s2, s34
	ds_read_b64 v[2:3], v26 offset:22528
	s_add_u32 s10, s10, s0
	v_mfma_f32_16x16x16_bf16 a[4:7], v[34:35], v[8:9], a[4:7]
	ds_read_b64 v[4:5], v31 offset:22528
	ds_read_b64 v[6:7], v32 offset:22528
	;; [unrolled: 1-line block ×3, first 2 shown]
	s_addc_u32 s11, s11, s1
	s_lshl_b64 s[0:1], s[2:3], 2
	v_mfma_f32_16x16x16_bf16 a[8:11], v[34:35], v[12:13], a[8:11]
	s_add_u32 s0, s10, s0
	s_addc_u32 s1, s11, s1
	s_load_dword s12, s[0:1], 0x0
	v_mfma_f32_16x16x16_bf16 a[12:15], v[34:35], v[16:17], a[12:15]
	s_and_b64 vcc, exec, s[30:31]
	s_waitcnt lgkmcnt(0)
	v_mfma_f32_16x16x16_bf16 a[0:3], v[36:37], v[2:3], a[0:3]
	v_mfma_f32_16x16x16_bf16 a[4:7], v[36:37], v[4:5], a[4:7]
	;; [unrolled: 1-line block ×4, first 2 shown]
	s_cbranch_vccz .LBB167_42
; %bb.32:
	v_lshlrev_b32_e32 v20, 1, v25
	s_and_b64 vcc, exec, s[6:7]
	s_cbranch_vccz .LBB167_43
; %bb.33:
	v_cmp_gt_i32_e32 vcc, s47, v20
	v_mov_b32_e32 v6, 0
	v_mov_b32_e32 v2, 0
	;; [unrolled: 1-line block ×5, first 2 shown]
	s_and_saveexec_b64 s[0:1], vcc
	s_cbranch_execz .LBB167_35
; %bb.34:
	v_mad_i64_i32 v[2:3], s[2:3], s19, v20, 0
	v_lshl_add_u64 v[2:3], v[2:3], 1, s[4:5]
	v_lshlrev_b32_e32 v4, 1, v18
	v_mov_b32_e32 v5, 0
	v_lshl_add_u64 v[2:3], v[2:3], 0, v[4:5]
	global_load_dwordx4 v[2:5], v[2:3], off
.LBB167_35:
	s_or_b64 exec, exec, s[0:1]
	v_or_b32_e32 v21, 1, v20
	v_cmp_gt_i32_e64 s[0:1], s47, v21
	v_mov_b32_e32 v7, 0
	v_mov_b32_e32 v8, 0
	;; [unrolled: 1-line block ×3, first 2 shown]
	s_and_saveexec_b64 s[2:3], s[0:1]
	s_cbranch_execz .LBB167_37
; %bb.36:
	v_mad_i64_i32 v[6:7], s[16:17], s19, v21, 0
	v_lshl_add_u64 v[6:7], v[6:7], 1, s[4:5]
	v_lshlrev_b32_e32 v8, 1, v18
	v_mov_b32_e32 v9, 0
	v_lshl_add_u64 v[6:7], v[6:7], 0, v[8:9]
	global_load_dwordx4 v[6:9], v[6:7], off
.LBB167_37:
	s_or_b64 exec, exec, s[2:3]
	v_mov_b32_e32 v17, 0
	v_mov_b32_e32 v10, 0
	;; [unrolled: 1-line block ×5, first 2 shown]
	s_and_saveexec_b64 s[2:3], vcc
	s_cbranch_execz .LBB167_39
; %bb.38:
	v_mad_i64_i32 v[10:11], s[16:17], s19, v20, 0
	v_lshl_add_u64 v[10:11], v[10:11], 1, s[4:5]
	v_lshlrev_b32_e32 v12, 1, v18
	v_mov_b32_e32 v13, 0
	v_lshl_add_u64 v[10:11], v[10:11], 0, v[12:13]
	global_load_dwordx4 v[10:13], v[10:11], off offset:128
.LBB167_39:
	s_or_b64 exec, exec, s[2:3]
	v_mov_b32_e32 v16, 0
	v_mov_b32_e32 v15, 0
	;; [unrolled: 1-line block ×3, first 2 shown]
	s_and_saveexec_b64 s[2:3], s[0:1]
	s_cbranch_execz .LBB167_41
; %bb.40:
	v_mad_i64_i32 v[14:15], s[0:1], s19, v21, 0
	v_lshl_add_u64 v[14:15], v[14:15], 1, s[4:5]
	v_lshlrev_b32_e32 v16, 1, v18
	v_mov_b32_e32 v17, 0
	v_lshl_add_u64 v[14:15], v[14:15], 0, v[16:17]
	global_load_dwordx4 v[14:17], v[14:15], off offset:128
.LBB167_41:
	s_or_b64 exec, exec, s[2:3]
	s_branch .LBB167_45
.LBB167_42:
                                        ; implicit-def: $vgpr5
                                        ; implicit-def: $vgpr9
                                        ; implicit-def: $vgpr13
                                        ; implicit-def: $vgpr17
	v_lshrrev_b32_e32 v34, 2, v75
	s_branch .LBB167_46
.LBB167_43:
                                        ; implicit-def: $vgpr5
                                        ; implicit-def: $vgpr9
                                        ; implicit-def: $vgpr13
                                        ; implicit-def: $vgpr17
	s_cbranch_execz .LBB167_45
; %bb.44:
	s_waitcnt vmcnt(0)
	v_mad_u64_u32 v[2:3], s[0:1], v20, s19, v[18:19]
	v_lshlrev_b32_e32 v20, 1, v2
	s_lshl_b32 s2, s19, 7
	s_and_b32 s1, s5, 0xffff
	s_mov_b32 s3, 0x20000
	s_mov_b32 s0, s4
	v_add_lshl_u32 v21, v2, s19, 1
	s_movk_i32 s13, 0x80
	buffer_load_dwordx4 v[2:5], v20, s[0:3], 0 offen
	buffer_load_dwordx4 v[10:13], v20, s[0:3], s13 offen
	;; [unrolled: 1-line block ×4, first 2 shown]
.LBB167_45:
	v_lshrrev_b32_e32 v34, 2, v75
	s_cbranch_execnz .LBB167_58
.LBB167_46:
	s_and_b64 vcc, exec, s[6:7]
	s_cbranch_vccz .LBB167_56
; %bb.47:
	s_waitcnt vmcnt(0)
	v_lshlrev_b32_e32 v7, 1, v25
	v_cmp_gt_i32_e32 vcc, s47, v7
	v_mov_b32_e32 v6, 0
	v_lshlrev_b32_e32 v14, 9, v25
	v_mov_b32_e32 v2, 0
	v_mov_b32_e32 v3, 0
	;; [unrolled: 1-line block ×4, first 2 shown]
	s_and_saveexec_b64 s[0:1], vcc
	s_cbranch_execz .LBB167_49
; %bb.48:
	v_mov_b32_e32 v15, 0
	v_lshl_add_u64 v[2:3], s[4:5], 0, v[14:15]
	v_lshlrev_b32_e32 v4, 1, v18
	v_mov_b32_e32 v5, v15
	v_lshl_add_u64 v[2:3], v[2:3], 0, v[4:5]
	global_load_dwordx4 v[2:5], v[2:3], off
.LBB167_49:
	s_or_b64 exec, exec, s[0:1]
	v_or_b32_e32 v7, 1, v7
	v_cmp_gt_i32_e64 s[0:1], s47, v7
	v_lshlrev_b32_e32 v20, 8, v7
	v_mov_b32_e32 v7, 0
	v_mov_b32_e32 v8, 0
	;; [unrolled: 1-line block ×3, first 2 shown]
	s_and_saveexec_b64 s[2:3], s[0:1]
	s_cbranch_execz .LBB167_51
; %bb.50:
	v_mov_b32_e32 v21, 0
	v_lshl_add_u64 v[6:7], s[4:5], 0, v[20:21]
	v_lshlrev_b32_e32 v8, 1, v18
	v_mov_b32_e32 v9, v21
	v_lshl_add_u64 v[6:7], v[6:7], 0, v[8:9]
	global_load_dwordx4 v[6:9], v[6:7], off
.LBB167_51:
	s_or_b64 exec, exec, s[2:3]
	v_mov_b32_e32 v17, 0
	v_mov_b32_e32 v10, 0
	v_mov_b32_e32 v11, 0
	v_mov_b32_e32 v12, 0
	v_mov_b32_e32 v13, 0
	s_and_saveexec_b64 s[2:3], vcc
	s_cbranch_execz .LBB167_53
; %bb.52:
	v_mov_b32_e32 v15, 0
	v_lshl_add_u64 v[10:11], s[4:5], 0, v[14:15]
	v_lshlrev_b32_e32 v14, 1, v18
	v_lshl_add_u64 v[10:11], v[10:11], 0, v[14:15]
	global_load_dwordx4 v[10:13], v[10:11], off offset:128
.LBB167_53:
	s_or_b64 exec, exec, s[2:3]
	v_mov_b32_e32 v16, 0
	v_mov_b32_e32 v15, 0
	;; [unrolled: 1-line block ×3, first 2 shown]
	s_and_saveexec_b64 s[2:3], s[0:1]
	s_cbranch_execz .LBB167_55
; %bb.54:
	v_mov_b32_e32 v21, 0
	v_lshl_add_u64 v[14:15], s[4:5], 0, v[20:21]
	v_lshlrev_b32_e32 v20, 1, v18
	v_lshl_add_u64 v[14:15], v[14:15], 0, v[20:21]
	global_load_dwordx4 v[14:17], v[14:15], off offset:128
.LBB167_55:
	s_or_b64 exec, exec, s[2:3]
	s_branch .LBB167_58
.LBB167_56:
                                        ; implicit-def: $vgpr5
                                        ; implicit-def: $vgpr9
                                        ; implicit-def: $vgpr13
                                        ; implicit-def: $vgpr17
	s_cbranch_execz .LBB167_58
; %bb.57:
	s_waitcnt vmcnt(0)
	v_lshlrev_b32_e32 v2, 1, v18
	v_lshl_or_b32 v18, v25, 9, v2
	s_and_b32 s5, s5, 0xffff
	s_mov_b32 s7, 0x20000
	s_movk_i32 s6, 0x4000
	s_movk_i32 s0, 0x80
	buffer_load_dwordx4 v[2:5], v18, s[4:7], 0 offen
	buffer_load_dwordx4 v[6:9], v18, s[4:7], 0 offen offset:256
	buffer_load_dwordx4 v[10:13], v18, s[4:7], s0 offen
	buffer_load_dwordx4 v[14:17], v18, s[4:7], s0 offen offset:256
.LBB167_58:
	ds_read_b64 v[20:21], v27 offset:57344
	v_add_u32_e32 v18, 0x6000, v26
	ds_read2_b64 v[36:39], v18 offset1:16
	ds_read_b64 v[52:53], v28 offset:57344
	ds_read_b64 v[28:29], v29 offset:57344
	;; [unrolled: 1-line block ×3, first 2 shown]
	ds_read2st64_b64 v[40:43], v26 offset0:52 offset1:56
	s_mov_b32 s0, 0x1000504
	s_mov_b32 s1, 0x3020706
	s_waitcnt lgkmcnt(4)
	v_mfma_f32_16x16x16_bf16 a[0:3], v[20:21], v[36:37], a[0:3]
	v_mfma_f32_16x16x16_bf16 a[4:7], v[20:21], v[38:39], a[4:7]
	ds_read2_b64 v[36:39], v18 offset0:32 offset1:48
	v_and_b32_e32 v18, 6, v0
	v_xor_b32_e32 v25, v25, v18
	s_waitcnt lgkmcnt(0)
	v_mfma_f32_16x16x16_bf16 a[8:11], v[20:21], v[36:37], a[8:11]
	v_lshlrev_b32_e32 v25, 2, v25
	v_and_b32_e32 v0, 1, v0
	v_xor_b32_e32 v35, 0x440, v25
	v_mfma_f32_16x16x16_bf16 a[12:15], v[20:21], v[38:39], a[12:15]
	ds_read2st64_b64 v[36:39], v31 offset0:52 offset1:56
	ds_read2st64_b64 v[44:47], v32 offset0:52 offset1:56
	;; [unrolled: 1-line block ×3, first 2 shown]
	v_cmp_eq_u32_e32 vcc, 0, v0
	ds_read_b64 v[20:21], v26 offset:30720
	ds_read_b64 v[26:27], v31 offset:30720
	;; [unrolled: 1-line block ×4, first 2 shown]
	v_mfma_f32_16x16x16_bf16 a[0:3], v[52:53], v[40:41], a[0:3]
	v_cndmask_b32_e32 v0, v35, v25, vcc
	v_lshl_or_b32 v0, v18, 10, v0
	s_waitcnt vmcnt(0)
	v_perm_b32 v18, v2, v6, s0
	s_waitcnt lgkmcnt(6)
	v_mfma_f32_16x16x16_bf16 a[4:7], v[52:53], v[36:37], a[4:7]
	v_perm_b32 v25, v10, v14, s0
	ds_write2st64_b32 v0, v18, v25 offset0:128 offset1:160
	v_xor_b32_e32 v18, 8, v0
	s_waitcnt lgkmcnt(6)
	v_mfma_f32_16x16x16_bf16 a[8:11], v[52:53], v[44:45], a[8:11]
	v_perm_b32 v2, v2, v6, s1
	v_perm_b32 v6, v10, v14, s1
	v_add_u32_e32 v10, 0x80, v18
	s_waitcnt lgkmcnt(5)
	v_mfma_f32_16x16x16_bf16 a[12:15], v[52:53], v[48:49], a[12:15]
	ds_write2st64_b32 v10, v2, v6 offset0:128 offset1:160
	v_xor_b32_e32 v2, 16, v0
	v_perm_b32 v6, v3, v7, s0
	v_mfma_f32_16x16x16_bf16 a[0:3], v[28:29], v[42:43], a[0:3]
	v_perm_b32 v10, v11, v15, s0
	ds_write2st64_b32 v2, v6, v10 offset0:129 offset1:161
	v_xor_b32_e32 v2, 24, v0
	v_mfma_f32_16x16x16_bf16 a[4:7], v[28:29], v[38:39], a[4:7]
	v_perm_b32 v3, v3, v7, s1
	v_perm_b32 v6, v11, v15, s1
	v_add_u32_e32 v2, 0x80, v2
	v_mfma_f32_16x16x16_bf16 a[16:19], v[28:29], v[46:47], a[8:11]
	ds_write2st64_b32 v2, v3, v6 offset0:129 offset1:161
	v_xor_b32_e32 v2, 32, v0
	v_perm_b32 v3, v4, v8, s0
	v_mfma_f32_16x16x16_bf16 a[20:23], v[28:29], v[50:51], a[12:15]
	v_perm_b32 v6, v12, v16, s0
	ds_write2st64_b32 v2, v3, v6 offset0:130 offset1:162
	v_xor_b32_e32 v2, 40, v0
	s_waitcnt lgkmcnt(8)
	v_mfma_f32_16x16x16_bf16 a[12:15], v[54:55], v[20:21], a[0:3]
	v_perm_b32 v3, v4, v8, s1
	v_perm_b32 v4, v12, v16, s1
	v_add_u32_e32 v2, 0x80, v2
	s_waitcnt lgkmcnt(7)
	v_mfma_f32_16x16x16_bf16 a[8:11], v[54:55], v[26:27], a[4:7]
	ds_write2st64_b32 v2, v3, v4 offset0:130 offset1:162
	v_xor_b32_e32 v2, 48, v0
	v_perm_b32 v3, v5, v9, s0
	s_waitcnt lgkmcnt(7)
	v_mfma_f32_16x16x16_bf16 a[4:7], v[54:55], v[30:31], a[16:19]
	v_perm_b32 v4, v13, v17, s0
	v_xor_b32_e32 v0, 56, v0
	v_and_or_b32 v21, v34, 12, v1
	s_waitcnt lgkmcnt(6)
	v_mfma_f32_16x16x16_bf16 a[0:3], v[54:55], v[32:33], a[20:23]
	ds_write2st64_b32 v2, v3, v4 offset0:131 offset1:163
	v_perm_b32 v2, v5, v9, s1
	v_perm_b32 v3, v13, v17, s1
	v_add_u32_e32 v0, 0x80, v0
	v_cmp_gt_i32_e32 vcc, s47, v21
	v_mov_b32_e32 v16, 0
	v_mov_b32_e32 v18, 0
	ds_write2st64_b32 v0, v2, v3 offset0:131 offset1:163
	s_and_saveexec_b64 s[0:1], vcc
	s_cbranch_execz .LBB167_60
; %bb.59:
	v_add_u32_e32 v0, s38, v21
	v_ashrrev_i32_e32 v1, 31, v0
	v_mul_lo_u32 v2, v1, s34
	v_mul_lo_u32 v3, v0, s35
	v_mad_u64_u32 v[0:1], s[2:3], v0, s34, 0
	v_add3_u32 v1, v1, v3, v2
	v_lshl_add_u64 v[0:1], v[0:1], 2, s[10:11]
	global_load_dword v0, v[0:1], off
	s_waitcnt vmcnt(0)
	v_sub_f32_e32 v0, s12, v0
	v_exp_f32_e32 v18, v0
.LBB167_60:
	s_or_b64 exec, exec, s[0:1]
	v_or_b32_e32 v10, 1, v21
	v_cmp_gt_i32_e64 s[2:3], s47, v10
	s_and_saveexec_b64 s[0:1], s[2:3]
	s_cbranch_execz .LBB167_62
; %bb.61:
	v_add_u32_e32 v0, s38, v10
	v_ashrrev_i32_e32 v1, 31, v0
	v_mul_lo_u32 v2, v1, s34
	v_mul_lo_u32 v3, v0, s35
	v_mad_u64_u32 v[0:1], s[4:5], v0, s34, 0
	v_add3_u32 v1, v1, v3, v2
	v_lshl_add_u64 v[0:1], v[0:1], 2, s[10:11]
	global_load_dword v0, v[0:1], off
	s_waitcnt vmcnt(0)
	v_sub_f32_e32 v0, s12, v0
	v_exp_f32_e32 v16, v0
.LBB167_62:
	s_or_b64 exec, exec, s[0:1]
	v_or_b32_e32 v12, 2, v21
	v_cmp_gt_i32_e64 s[0:1], s47, v12
	v_mov_b32_e32 v17, 0
	v_mov_b32_e32 v20, 0
	s_and_saveexec_b64 s[4:5], s[0:1]
	s_cbranch_execz .LBB167_64
; %bb.63:
	v_add_u32_e32 v0, s38, v12
	v_ashrrev_i32_e32 v1, 31, v0
	v_mul_lo_u32 v2, v1, s34
	v_mul_lo_u32 v3, v0, s35
	v_mad_u64_u32 v[0:1], s[6:7], v0, s34, 0
	v_add3_u32 v1, v1, v3, v2
	v_lshl_add_u64 v[0:1], v[0:1], 2, s[10:11]
	global_load_dword v0, v[0:1], off
	s_waitcnt vmcnt(0)
	v_sub_f32_e32 v0, s12, v0
	v_exp_f32_e32 v20, v0
.LBB167_64:
	s_or_b64 exec, exec, s[4:5]
	v_or_b32_e32 v14, 3, v21
	v_cmp_gt_i32_e64 s[4:5], s47, v14
	s_and_saveexec_b64 s[6:7], s[4:5]
	s_cbranch_execz .LBB167_66
; %bb.65:
	v_add_u32_e32 v0, s38, v14
	v_ashrrev_i32_e32 v1, 31, v0
	v_mul_lo_u32 v2, v1, s34
	v_mul_lo_u32 v3, v0, s35
	v_mad_u64_u32 v[0:1], s[16:17], v0, s34, 0
	v_add3_u32 v1, v1, v3, v2
	v_lshl_add_u64 v[0:1], v[0:1], 2, s[10:11]
	global_load_dword v0, v[0:1], off
	s_waitcnt vmcnt(0)
	v_sub_f32_e32 v0, s12, v0
	v_exp_f32_e32 v17, v0
.LBB167_66:
	s_or_b64 exec, exec, s[6:7]
	s_add_u32 s6, s8, s28
	v_or_b32_e32 v4, s36, v74
	s_addc_u32 s7, s9, s29
	s_add_u32 s8, s14, s28
	v_ashrrev_i32_e32 v5, 31, v4
	v_accvgpr_read_b32 v0, a12
	s_addc_u32 s9, s15, s29
	v_lshlrev_b64 v[4:5], 1, v[4:5]
	v_accvgpr_read_b32 v1, a13
	v_accvgpr_read_b32 v2, a14
	;; [unrolled: 1-line block ×3, first 2 shown]
	v_lshl_add_u64 v[6:7], s[6:7], 0, v[4:5]
	v_lshl_add_u64 v[4:5], s[8:9], 0, v[4:5]
	v_mov_b32_e32 v11, 0
	v_lshlrev_b32_e32 v8, 8, v21
	v_mov_b32_e32 v9, 0
	s_and_saveexec_b64 s[6:7], vcc
	s_cbranch_execz .LBB167_68
; %bb.67:
	v_mov_b32_e32 v9, 0
	v_lshl_add_u64 v[26:27], v[6:7], 0, v[8:9]
	global_load_ushort v13, v[26:27], off
	v_lshl_add_u64 v[26:27], v[4:5], 0, v[8:9]
	s_waitcnt vmcnt(0)
	v_lshlrev_b32_e32 v9, 16, v13
	v_sub_f32_e32 v0, v9, v0
	global_store_short_d16_hi v[26:27], v0, off
	v_mul_f32_e32 v0, v18, v0
	v_lshrrev_b32_e32 v9, 16, v0
.LBB167_68:
	s_or_b64 exec, exec, s[6:7]
	v_lshlrev_b32_e32 v10, 8, v10
	s_and_saveexec_b64 s[6:7], s[2:3]
	s_cbranch_execz .LBB167_70
; %bb.69:
	v_mov_b32_e32 v11, 0
	v_lshl_add_u64 v[26:27], v[6:7], 0, v[10:11]
	global_load_ushort v0, v[26:27], off
	v_lshl_add_u64 v[26:27], v[4:5], 0, v[10:11]
	s_waitcnt vmcnt(0)
	v_lshlrev_b32_e32 v0, 16, v0
	v_sub_f32_e32 v0, v0, v1
	global_store_short_d16_hi v[26:27], v0, off
	v_mul_f32_e32 v0, v16, v0
	v_lshrrev_b32_e32 v11, 16, v0
.LBB167_70:
	s_or_b64 exec, exec, s[6:7]
	v_mov_b32_e32 v15, 0
	v_lshlrev_b32_e32 v12, 8, v12
	v_mov_b32_e32 v13, 0
	s_and_saveexec_b64 s[6:7], s[0:1]
	s_cbranch_execz .LBB167_72
; %bb.71:
	v_mov_b32_e32 v13, 0
	v_lshl_add_u64 v[0:1], v[6:7], 0, v[12:13]
	global_load_ushort v25, v[0:1], off
	v_lshl_add_u64 v[0:1], v[4:5], 0, v[12:13]
	s_waitcnt vmcnt(0)
	v_lshlrev_b32_e32 v13, 16, v25
	v_sub_f32_e32 v2, v13, v2
	global_store_short_d16_hi v[0:1], v2, off
	v_mul_f32_e32 v0, v20, v2
	v_lshrrev_b32_e32 v13, 16, v0
.LBB167_72:
	s_or_b64 exec, exec, s[6:7]
	v_lshlrev_b32_e32 v14, 8, v14
	s_and_saveexec_b64 s[6:7], s[4:5]
	s_cbranch_execz .LBB167_74
; %bb.73:
	v_mov_b32_e32 v15, 0
	v_lshl_add_u64 v[0:1], v[6:7], 0, v[14:15]
	global_load_ushort v2, v[0:1], off
	v_lshl_add_u64 v[0:1], v[4:5], 0, v[14:15]
	s_waitcnt vmcnt(0)
	v_lshlrev_b32_e32 v2, 16, v2
	v_sub_f32_e32 v2, v2, v3
	global_store_short_d16_hi v[0:1], v2, off
	v_mul_f32_e32 v0, v17, v2
	v_lshrrev_b32_e32 v15, 16, v0
.LBB167_74:
	s_or_b64 exec, exec, s[6:7]
	v_lshlrev_b32_e32 v21, 6, v21
	s_mov_b32 s6, 0x5040100
	v_perm_b32 v26, v11, v9, s6
	v_or_b32_e32 v9, v21, v24
	v_accvgpr_read_b32 v0, a8
	v_perm_b32 v27, v15, v13, s6
	v_lshlrev_b32_e32 v9, 1, v9
	v_accvgpr_read_b32 v1, a9
	v_accvgpr_read_b32 v2, a10
	;; [unrolled: 1-line block ×3, first 2 shown]
	ds_write_b64 v9, v[26:27] offset:24576
	v_mov_b32_e32 v11, 0
	v_mov_b32_e32 v9, 0
	s_and_saveexec_b64 s[6:7], vcc
	s_cbranch_execz .LBB167_76
; %bb.75:
	v_mov_b32_e32 v9, 0
	v_lshl_add_u64 v[24:25], v[6:7], 0, v[8:9]
	global_load_ushort v13, v[24:25], off offset:32
	v_lshl_add_u64 v[24:25], v[4:5], 0, v[8:9]
	s_waitcnt vmcnt(0)
	v_lshlrev_b32_e32 v9, 16, v13
	v_sub_f32_e32 v0, v9, v0
	global_store_short_d16_hi v[24:25], v0, off offset:32
	v_mul_f32_e32 v0, v18, v0
	v_lshrrev_b32_e32 v9, 16, v0
.LBB167_76:
	s_or_b64 exec, exec, s[6:7]
	s_and_saveexec_b64 s[6:7], s[2:3]
	s_cbranch_execz .LBB167_78
; %bb.77:
	v_mov_b32_e32 v11, 0
	v_lshl_add_u64 v[24:25], v[6:7], 0, v[10:11]
	global_load_ushort v0, v[24:25], off offset:32
	v_lshl_add_u64 v[24:25], v[4:5], 0, v[10:11]
	s_waitcnt vmcnt(0)
	v_lshlrev_b32_e32 v0, 16, v0
	v_sub_f32_e32 v0, v0, v1
	global_store_short_d16_hi v[24:25], v0, off offset:32
	v_mul_f32_e32 v0, v16, v0
	v_lshrrev_b32_e32 v11, 16, v0
.LBB167_78:
	s_or_b64 exec, exec, s[6:7]
	v_mov_b32_e32 v15, 0
	v_mov_b32_e32 v13, 0
	s_and_saveexec_b64 s[6:7], s[0:1]
	s_cbranch_execz .LBB167_80
; %bb.79:
	v_mov_b32_e32 v13, 0
	v_lshl_add_u64 v[0:1], v[6:7], 0, v[12:13]
	global_load_ushort v24, v[0:1], off offset:32
	v_lshl_add_u64 v[0:1], v[4:5], 0, v[12:13]
	s_waitcnt vmcnt(0)
	v_lshlrev_b32_e32 v13, 16, v24
	v_sub_f32_e32 v2, v13, v2
	global_store_short_d16_hi v[0:1], v2, off offset:32
	v_mul_f32_e32 v0, v20, v2
	v_lshrrev_b32_e32 v13, 16, v0
.LBB167_80:
	s_or_b64 exec, exec, s[6:7]
	s_and_saveexec_b64 s[6:7], s[4:5]
	s_cbranch_execz .LBB167_82
; %bb.81:
	v_mov_b32_e32 v15, 0
	v_lshl_add_u64 v[0:1], v[6:7], 0, v[14:15]
	global_load_ushort v2, v[0:1], off offset:32
	v_lshl_add_u64 v[0:1], v[4:5], 0, v[14:15]
	s_waitcnt vmcnt(0)
	v_lshlrev_b32_e32 v2, 16, v2
	v_sub_f32_e32 v2, v2, v3
	global_store_short_d16_hi v[0:1], v2, off offset:32
	v_mul_f32_e32 v0, v17, v2
	v_lshrrev_b32_e32 v15, 16, v0
.LBB167_82:
	s_or_b64 exec, exec, s[6:7]
	s_mov_b32 s6, 0x5040100
	v_perm_b32 v24, v11, v9, s6
	v_or_b32_e32 v9, v21, v23
	v_accvgpr_read_b32 v0, a4
	v_perm_b32 v25, v15, v13, s6
	v_lshlrev_b32_e32 v9, 1, v9
	v_accvgpr_read_b32 v1, a5
	v_accvgpr_read_b32 v2, a6
	;; [unrolled: 1-line block ×3, first 2 shown]
	ds_write_b64 v9, v[24:25] offset:24576
	v_mov_b32_e32 v11, 0
	v_mov_b32_e32 v9, 0
	s_and_saveexec_b64 s[6:7], vcc
	s_cbranch_execz .LBB167_84
; %bb.83:
	v_mov_b32_e32 v9, 0
	v_lshl_add_u64 v[24:25], v[6:7], 0, v[8:9]
	global_load_ushort v13, v[24:25], off offset:64
	v_lshl_add_u64 v[24:25], v[4:5], 0, v[8:9]
	s_waitcnt vmcnt(0)
	v_lshlrev_b32_e32 v9, 16, v13
	v_sub_f32_e32 v0, v9, v0
	global_store_short_d16_hi v[24:25], v0, off offset:64
	v_mul_f32_e32 v0, v18, v0
	v_lshrrev_b32_e32 v9, 16, v0
.LBB167_84:
	s_or_b64 exec, exec, s[6:7]
	s_and_saveexec_b64 s[6:7], s[2:3]
	s_cbranch_execz .LBB167_86
; %bb.85:
	v_mov_b32_e32 v11, 0
	v_lshl_add_u64 v[24:25], v[6:7], 0, v[10:11]
	global_load_ushort v0, v[24:25], off offset:64
	v_lshl_add_u64 v[24:25], v[4:5], 0, v[10:11]
	s_waitcnt vmcnt(0)
	v_lshlrev_b32_e32 v0, 16, v0
	v_sub_f32_e32 v0, v0, v1
	global_store_short_d16_hi v[24:25], v0, off offset:64
	v_mul_f32_e32 v0, v16, v0
	v_lshrrev_b32_e32 v11, 16, v0
.LBB167_86:
	s_or_b64 exec, exec, s[6:7]
	v_mov_b32_e32 v15, 0
	v_mov_b32_e32 v13, 0
	s_and_saveexec_b64 s[6:7], s[0:1]
	s_cbranch_execz .LBB167_88
; %bb.87:
	v_mov_b32_e32 v13, 0
	v_lshl_add_u64 v[0:1], v[6:7], 0, v[12:13]
	global_load_ushort v23, v[0:1], off offset:64
	v_lshl_add_u64 v[0:1], v[4:5], 0, v[12:13]
	s_waitcnt vmcnt(0)
	v_lshlrev_b32_e32 v13, 16, v23
	v_sub_f32_e32 v2, v13, v2
	global_store_short_d16_hi v[0:1], v2, off offset:64
	v_mul_f32_e32 v0, v20, v2
	v_lshrrev_b32_e32 v13, 16, v0
.LBB167_88:
	s_or_b64 exec, exec, s[6:7]
	s_and_saveexec_b64 s[6:7], s[4:5]
	s_cbranch_execz .LBB167_90
; %bb.89:
	v_mov_b32_e32 v15, 0
	v_lshl_add_u64 v[0:1], v[6:7], 0, v[14:15]
	global_load_ushort v2, v[0:1], off offset:64
	v_lshl_add_u64 v[0:1], v[4:5], 0, v[14:15]
	s_waitcnt vmcnt(0)
	v_lshlrev_b32_e32 v2, 16, v2
	v_sub_f32_e32 v2, v2, v3
	global_store_short_d16_hi v[0:1], v2, off offset:64
	v_mul_f32_e32 v0, v17, v2
	v_lshrrev_b32_e32 v15, 16, v0
.LBB167_90:
	s_or_b64 exec, exec, s[6:7]
	s_mov_b32 s6, 0x5040100
	v_perm_b32 v24, v11, v9, s6
	v_or_b32_e32 v9, v21, v22
	v_accvgpr_read_b32 v0, a0
	v_perm_b32 v25, v15, v13, s6
	v_lshlrev_b32_e32 v9, 1, v9
	v_accvgpr_read_b32 v1, a1
	v_accvgpr_read_b32 v2, a2
	;; [unrolled: 1-line block ×3, first 2 shown]
	ds_write_b64 v9, v[24:25] offset:24576
	v_mov_b32_e32 v11, 0
	v_mov_b32_e32 v9, 0
	s_and_saveexec_b64 s[6:7], vcc
	s_cbranch_execz .LBB167_92
; %bb.91:
	v_mov_b32_e32 v9, 0
	v_lshl_add_u64 v[22:23], v[6:7], 0, v[8:9]
	global_load_ushort v13, v[22:23], off offset:96
	v_lshl_add_u64 v[8:9], v[4:5], 0, v[8:9]
	s_waitcnt vmcnt(0)
	v_lshlrev_b32_e32 v13, 16, v13
	v_sub_f32_e32 v0, v13, v0
	global_store_short_d16_hi v[8:9], v0, off offset:96
	v_mul_f32_e32 v0, v18, v0
	v_lshrrev_b32_e32 v9, 16, v0
.LBB167_92:
	s_or_b64 exec, exec, s[6:7]
	s_and_saveexec_b64 s[6:7], s[2:3]
	s_cbranch_execz .LBB167_94
; %bb.93:
	v_mov_b32_e32 v11, 0
	v_lshl_add_u64 v[22:23], v[6:7], 0, v[10:11]
	global_load_ushort v0, v[22:23], off offset:96
	v_lshl_add_u64 v[10:11], v[4:5], 0, v[10:11]
	s_waitcnt vmcnt(0)
	v_lshlrev_b32_e32 v0, 16, v0
	v_sub_f32_e32 v0, v0, v1
	global_store_short_d16_hi v[10:11], v0, off offset:96
	v_mul_f32_e32 v0, v16, v0
	v_lshrrev_b32_e32 v11, 16, v0
.LBB167_94:
	s_or_b64 exec, exec, s[6:7]
	v_mov_b32_e32 v0, 0
	v_mov_b32_e32 v1, 0
	s_and_saveexec_b64 s[2:3], s[0:1]
	s_cbranch_execz .LBB167_96
; %bb.95:
	v_mov_b32_e32 v13, 0
	v_lshl_add_u64 v[22:23], v[6:7], 0, v[12:13]
	global_load_ushort v1, v[22:23], off offset:96
	v_lshl_add_u64 v[12:13], v[4:5], 0, v[12:13]
	s_waitcnt vmcnt(0)
	v_lshlrev_b32_e32 v1, 16, v1
	v_sub_f32_e32 v1, v1, v2
	global_store_short_d16_hi v[12:13], v1, off offset:96
	v_mul_f32_e32 v1, v20, v1
	v_lshrrev_b32_e32 v1, 16, v1
.LBB167_96:
	s_or_b64 exec, exec, s[2:3]
	s_and_saveexec_b64 s[0:1], s[4:5]
	s_cbranch_execz .LBB167_98
; %bb.97:
	v_mov_b32_e32 v15, 0
	v_lshl_add_u64 v[6:7], v[6:7], 0, v[14:15]
	global_load_ushort v0, v[6:7], off offset:96
	v_lshl_add_u64 v[4:5], v[4:5], 0, v[14:15]
	s_waitcnt vmcnt(0)
	v_lshlrev_b32_e32 v0, 16, v0
	v_sub_f32_e32 v0, v0, v3
	global_store_short_d16_hi v[4:5], v0, off offset:96
	v_mul_f32_e32 v0, v17, v0
	v_lshrrev_b32_e32 v0, 16, v0
.LBB167_98:
	s_or_b64 exec, exec, s[0:1]
	s_mov_b32 s0, 0x5040100
	v_or_b32_e32 v2, v21, v19
	v_perm_b32 v1, v0, v1, s0
	v_perm_b32 v0, v11, v9, s0
	v_lshlrev_b32_e32 v2, 1, v2
	ds_write_b64 v2, v[0:1] offset:24576
	s_waitcnt lgkmcnt(0)
	s_barrier
.LBB167_99:
	s_endpgm
	.section	.rodata,"a",@progbits
	.p2align	6, 0x0
	.amdhsa_kernel _ZN12_GLOBAL__N_139chunk_gated_delta_rule_fwd_h_hip_kernelILi64ELb0ELb0ELb1ELb1ELb1ELb0ELb1ELb0EEEvPK12hip_bfloat16S3_S3_PKfS5_PKvPS1_S8_PvPKiSB_iiiiilll
		.amdhsa_group_segment_fixed_size 65536
		.amdhsa_private_segment_fixed_size 0
		.amdhsa_kernarg_size 136
		.amdhsa_user_sgpr_count 2
		.amdhsa_user_sgpr_dispatch_ptr 0
		.amdhsa_user_sgpr_queue_ptr 0
		.amdhsa_user_sgpr_kernarg_segment_ptr 1
		.amdhsa_user_sgpr_dispatch_id 0
		.amdhsa_user_sgpr_kernarg_preload_length 0
		.amdhsa_user_sgpr_kernarg_preload_offset 0
		.amdhsa_user_sgpr_private_segment_size 0
		.amdhsa_uses_dynamic_stack 0
		.amdhsa_enable_private_segment 0
		.amdhsa_system_sgpr_workgroup_id_x 1
		.amdhsa_system_sgpr_workgroup_id_y 1
		.amdhsa_system_sgpr_workgroup_id_z 0
		.amdhsa_system_sgpr_workgroup_info 0
		.amdhsa_system_vgpr_workitem_id 0
		.amdhsa_next_free_vgpr 216
		.amdhsa_next_free_sgpr 62
		.amdhsa_accum_offset 180
		.amdhsa_reserve_vcc 1
		.amdhsa_float_round_mode_32 0
		.amdhsa_float_round_mode_16_64 0
		.amdhsa_float_denorm_mode_32 3
		.amdhsa_float_denorm_mode_16_64 3
		.amdhsa_dx10_clamp 1
		.amdhsa_ieee_mode 1
		.amdhsa_fp16_overflow 0
		.amdhsa_tg_split 0
		.amdhsa_exception_fp_ieee_invalid_op 0
		.amdhsa_exception_fp_denorm_src 0
		.amdhsa_exception_fp_ieee_div_zero 0
		.amdhsa_exception_fp_ieee_overflow 0
		.amdhsa_exception_fp_ieee_underflow 0
		.amdhsa_exception_fp_ieee_inexact 0
		.amdhsa_exception_int_div_zero 0
	.end_amdhsa_kernel
	.section	.text._ZN12_GLOBAL__N_139chunk_gated_delta_rule_fwd_h_hip_kernelILi64ELb0ELb0ELb1ELb1ELb1ELb0ELb1ELb0EEEvPK12hip_bfloat16S3_S3_PKfS5_PKvPS1_S8_PvPKiSB_iiiiilll,"axG",@progbits,_ZN12_GLOBAL__N_139chunk_gated_delta_rule_fwd_h_hip_kernelILi64ELb0ELb0ELb1ELb1ELb1ELb0ELb1ELb0EEEvPK12hip_bfloat16S3_S3_PKfS5_PKvPS1_S8_PvPKiSB_iiiiilll,comdat
.Lfunc_end167:
	.size	_ZN12_GLOBAL__N_139chunk_gated_delta_rule_fwd_h_hip_kernelILi64ELb0ELb0ELb1ELb1ELb1ELb0ELb1ELb0EEEvPK12hip_bfloat16S3_S3_PKfS5_PKvPS1_S8_PvPKiSB_iiiiilll, .Lfunc_end167-_ZN12_GLOBAL__N_139chunk_gated_delta_rule_fwd_h_hip_kernelILi64ELb0ELb0ELb1ELb1ELb1ELb0ELb1ELb0EEEvPK12hip_bfloat16S3_S3_PKfS5_PKvPS1_S8_PvPKiSB_iiiiilll
                                        ; -- End function
	.section	.AMDGPU.csdata,"",@progbits
; Kernel info:
; codeLenInByte = 11112
; NumSgprs: 68
; NumVgprs: 180
; NumAgprs: 36
; TotalNumVgprs: 216
; ScratchSize: 0
; MemoryBound: 0
; FloatMode: 240
; IeeeMode: 1
; LDSByteSize: 65536 bytes/workgroup (compile time only)
; SGPRBlocks: 8
; VGPRBlocks: 26
; NumSGPRsForWavesPerEU: 68
; NumVGPRsForWavesPerEU: 216
; AccumOffset: 180
; Occupancy: 1
; WaveLimiterHint : 1
; COMPUTE_PGM_RSRC2:SCRATCH_EN: 0
; COMPUTE_PGM_RSRC2:USER_SGPR: 2
; COMPUTE_PGM_RSRC2:TRAP_HANDLER: 0
; COMPUTE_PGM_RSRC2:TGID_X_EN: 1
; COMPUTE_PGM_RSRC2:TGID_Y_EN: 1
; COMPUTE_PGM_RSRC2:TGID_Z_EN: 0
; COMPUTE_PGM_RSRC2:TIDIG_COMP_CNT: 0
; COMPUTE_PGM_RSRC3_GFX90A:ACCUM_OFFSET: 44
; COMPUTE_PGM_RSRC3_GFX90A:TG_SPLIT: 0
	.section	.text._ZN12_GLOBAL__N_139chunk_gated_delta_rule_fwd_h_hip_kernelILi64ELb0ELb0ELb0ELb1ELb1ELb0ELb1ELb0EEEvPK12hip_bfloat16S3_S3_PKfS5_PKvPS1_S8_PvPKiSB_iiiiilll,"axG",@progbits,_ZN12_GLOBAL__N_139chunk_gated_delta_rule_fwd_h_hip_kernelILi64ELb0ELb0ELb0ELb1ELb1ELb0ELb1ELb0EEEvPK12hip_bfloat16S3_S3_PKfS5_PKvPS1_S8_PvPKiSB_iiiiilll,comdat
	.globl	_ZN12_GLOBAL__N_139chunk_gated_delta_rule_fwd_h_hip_kernelILi64ELb0ELb0ELb0ELb1ELb1ELb0ELb1ELb0EEEvPK12hip_bfloat16S3_S3_PKfS5_PKvPS1_S8_PvPKiSB_iiiiilll ; -- Begin function _ZN12_GLOBAL__N_139chunk_gated_delta_rule_fwd_h_hip_kernelILi64ELb0ELb0ELb0ELb1ELb1ELb0ELb1ELb0EEEvPK12hip_bfloat16S3_S3_PKfS5_PKvPS1_S8_PvPKiSB_iiiiilll
	.p2align	8
	.type	_ZN12_GLOBAL__N_139chunk_gated_delta_rule_fwd_h_hip_kernelILi64ELb0ELb0ELb0ELb1ELb1ELb0ELb1ELb0EEEvPK12hip_bfloat16S3_S3_PKfS5_PKvPS1_S8_PvPKiSB_iiiiilll,@function
_ZN12_GLOBAL__N_139chunk_gated_delta_rule_fwd_h_hip_kernelILi64ELb0ELb0ELb0ELb1ELb1ELb0ELb1ELb0EEEvPK12hip_bfloat16S3_S3_PKfS5_PKvPS1_S8_PvPKiSB_iiiiilll: ; @_ZN12_GLOBAL__N_139chunk_gated_delta_rule_fwd_h_hip_kernelILi64ELb0ELb0ELb0ELb1ELb1ELb0ELb1ELb0EEEvPK12hip_bfloat16S3_S3_PKfS5_PKvPS1_S8_PvPKiSB_iiiiilll
; %bb.0:
	s_load_dwordx4 s[12:15], s[0:1], 0x5c
	s_load_dwordx4 s[16:19], s[0:1], 0x70
	s_abs_i32 s21, s3
	s_ashr_i32 s20, s3, 31
	s_load_dwordx2 s[36:37], s[0:1], 0x30
	s_load_dwordx4 s[24:27], s[0:1], 0x48
	s_waitcnt lgkmcnt(0)
	s_abs_i32 s28, s13
	v_cvt_f32_u32_e32 v1, s28
	s_sub_i32 s22, 0, s28
	s_ashr_i32 s29, s13, 31
	s_xor_b32 s20, s20, s29
	v_rcp_iflag_f32_e32 v1, v1
	s_load_dwordx8 s[4:11], s[0:1], 0x0
	v_lshrrev_b32_e32 v74, 6, v0
	v_bfe_u32 v75, v0, 4, 2
	v_mul_f32_e32 v1, 0x4f7ffffe, v1
	v_cvt_u32_f32_e32 v1, v1
	v_lshlrev_b32_e32 v2, 2, v75
	v_and_b32_e32 v73, 63, v0
	v_mov_b32_e32 v35, 0
	v_readfirstlane_b32 s23, v1
	s_mul_i32 s22, s22, s23
	s_mul_hi_u32 s22, s23, s22
	s_add_i32 s23, s23, s22
	s_mul_hi_u32 s22, s21, s23
	s_mul_i32 s23, s22, s28
	s_sub_i32 s21, s21, s23
	s_add_i32 s30, s22, 1
	s_sub_i32 s23, s21, s28
	s_cmp_ge_u32 s21, s28
	s_cselect_b32 s22, s30, s22
	s_cselect_b32 s21, s23, s21
	s_add_i32 s23, s22, 1
	s_cmp_ge_u32 s21, s28
	s_cselect_b32 s21, s23, s22
	s_xor_b32 s21, s21, s20
	s_sub_i32 s20, s21, s20
	s_mul_i32 s21, s20, s13
	s_sub_i32 s33, s3, s21
	s_ashr_i32 s21, s20, 31
	s_lshl_b64 s[22:23], s[20:21], 2
	s_add_u32 s24, s24, s22
	s_addc_u32 s25, s25, s23
	s_add_u32 s22, s26, s22
	s_addc_u32 s23, s27, s23
	s_abs_i32 s3, s14
	v_cvt_f32_u32_e32 v1, s3
	s_load_dwordx2 s[34:35], s[24:25], 0x0
	s_sub_i32 s25, 0, s3
	s_load_dword s44, s[22:23], 0x0
	v_rcp_iflag_f32_e32 v1, v1
	v_and_b32_e32 v72, 15, v0
	s_waitcnt lgkmcnt(0)
	s_sub_i32 s45, s35, s34
	s_ashr_i32 s24, s45, 31
	v_mul_f32_e32 v1, 0x4f7ffffe, v1
	v_cvt_u32_f32_e32 v1, v1
	s_lshr_b32 s24, s24, 26
	s_add_i32 s24, s45, s24
	s_ashr_i32 s43, s24, 6
	v_readfirstlane_b32 s26, v1
	s_mul_i32 s25, s25, s26
	s_mul_hi_u32 s25, s26, s25
	s_add_i32 s26, s26, s25
	s_mul_hi_u32 s25, s28, s26
	s_mul_i32 s26, s25, s3
	s_ashr_i32 s24, s14, 31
	s_sub_i32 s26, s28, s26
	s_xor_b32 s24, s29, s24
	s_add_i32 s27, s25, 1
	s_sub_i32 s28, s26, s3
	s_cmp_ge_u32 s26, s3
	s_cselect_b32 s25, s27, s25
	s_cselect_b32 s26, s28, s26
	s_add_i32 s27, s25, 1
	s_cmp_ge_u32 s26, s3
	s_cselect_b32 s3, s27, s25
	s_xor_b32 s3, s3, s24
	s_sub_i32 s3, s3, s24
	s_abs_i32 s24, s3
	v_cvt_f32_u32_e32 v1, s24
	s_load_dwordx2 s[28:29], s[0:1], 0x80
	s_xor_b32 s0, s33, s3
	s_sub_i32 s3, 0, s24
	v_rcp_iflag_f32_e32 v1, v1
	s_abs_i32 s1, s33
	s_ashr_i32 s0, s0, 31
	s_mul_hi_i32 s46, s33, s12
	v_mul_f32_e32 v1, 0x4f7ffffe, v1
	v_cvt_u32_f32_e32 v1, v1
	s_mul_i32 s47, s33, s12
	v_lshrrev_b32_e32 v77, 3, v73
	v_lshlrev_b32_e32 v76, 3, v0
	v_readfirstlane_b32 s22, v1
	s_mul_i32 s3, s3, s22
	s_mul_hi_u32 s3, s22, s3
	s_add_i32 s22, s22, s3
	s_mul_hi_u32 s3, s1, s22
	s_mul_i32 s22, s3, s24
	s_sub_i32 s1, s1, s22
	s_add_i32 s22, s3, 1
	s_sub_i32 s23, s1, s24
	s_cmp_ge_u32 s1, s24
	s_cselect_b32 s3, s22, s3
	s_cselect_b32 s1, s23, s1
	s_add_i32 s22, s3, 1
	s_cmp_ge_u32 s1, s24
	s_cselect_b32 s1, s22, s3
	s_xor_b32 s1, s1, s0
	v_lshlrev_b32_e32 v1, 4, v74
	s_sub_i32 s48, s1, s0
	v_or_b32_e32 v78, v2, v1
	s_lshl_b32 s30, s2, 6
	v_or_b32_e32 v79, 64, v78
	s_cmp_lt_i32 s45, 64
	s_mul_i32 s40, s20, s17
	s_mul_hi_u32 s41, s20, s16
	s_mul_i32 s42, s21, s16
	s_mul_i32 s16, s20, s16
	v_mov_b32_e32 v34, v35
	v_mov_b32_e32 v41, v35
	;; [unrolled: 1-line block ×31, first 2 shown]
	s_cbranch_scc1 .LBB168_18
; %bb.1:
	s_ashr_i32 s51, s33, 31
	s_ashr_i32 s1, s34, 31
	s_add_u32 s0, s47, s34
	s_addc_u32 s1, s46, s1
	s_lshl_b64 s[0:1], s[0:1], 8
	v_and_b32_e32 v81, 56, v76
	s_add_u32 s0, s6, s0
	v_lshl_or_b32 v80, v74, 3, v77
	v_lshlrev_b32_e32 v3, 1, v81
	s_addc_u32 s1, s7, s1
	v_lshl_or_b32 v82, v80, 8, v3
	s_and_b32 s1, s1, 0xffff
	s_mov_b32 s3, 0x20000
	s_movk_i32 s2, 0x4000
	s_movk_i32 s17, 0x80
	v_or_b32_e32 v83, 0x2000, v82
	buffer_load_dwordx4 v[4:7], v82, s[0:3], 0 offen
	buffer_load_dwordx4 v[8:11], v82, s[0:3], s17 offen
	;; [unrolled: 1-line block ×4, first 2 shown]
	v_lshlrev_b32_e32 v20, 3, v80
	v_and_or_b32 v22, v0, 7, v20
	v_and_b32_e32 v20, 0x78, v20
	v_lshlrev_b32_e32 v22, 4, v22
	v_xor_b32_e32 v84, v22, v20
	v_mul_lo_u32 v21, v80, s15
	v_or_b32_e32 v85, 0x1000, v84
	s_cmpk_eq_i32 s15, 0x80
	s_mov_b32 s49, s13
	s_mov_b32 s50, s34
	v_xor_b32_e32 v20, 8, v84
	v_xor_b32_e32 v22, 8, v85
	s_cselect_b64 s[0:1], -1, 0
	s_cmpk_lg_i32 s15, 0x80
	s_waitcnt vmcnt(3)
	ds_write_b64 v84, v[4:5] offset:49152
	ds_write_b64 v20, v[6:7] offset:49152
	s_waitcnt vmcnt(2)
	ds_write_b64 v84, v[8:9] offset:57344
	ds_write_b64 v20, v[10:11] offset:57344
	;; [unrolled: 3-line block ×4, first 2 shown]
	v_lshl_add_u32 v4, v21, 1, v81
	s_cbranch_scc0 .LBB168_3
; %bb.2:
	v_lshlrev_b32_e32 v6, 1, v4
	v_add_lshl_u32 v5, v4, s15, 1
	s_lshl_b32 s22, s15, 7
	v_lshl_or_b32 v3, v80, 9, v3
	s_cbranch_execz .LBB168_4
	s_branch .LBB168_5
.LBB168_3:
                                        ; implicit-def: $vgpr5
                                        ; implicit-def: $vgpr6
                                        ; implicit-def: $sgpr22
	v_lshl_or_b32 v3, v80, 9, v3
.LBB168_4:
	v_or_b32_e32 v5, 0x100, v3
	s_movk_i32 s22, 0x4000
	v_mov_b32_e32 v6, v3
.LBB168_5:
	s_mul_i32 s2, s34, s14
	s_ashr_i32 s52, s48, 31
	s_mul_hi_i32 s3, s34, s14
	s_add_u32 s2, s2, s48
	s_addc_u32 s3, s3, s52
	s_lshl_b64 s[2:3], s[2:3], 8
	s_add_u32 s20, s4, s2
	s_addc_u32 s2, s5, s3
	s_and_b32 s21, s2, 0xffff
	s_mov_b32 s23, 0x20000
	s_movk_i32 s53, 0x80
	buffer_load_dwordx4 v[8:11], v6, s[20:23], 0 offen
	buffer_load_dwordx4 v[12:15], v6, s[20:23], s53 offen
	;; [unrolled: 1-line block ×4, first 2 shown]
	v_and_b32_e32 v5, 6, v0
	v_lshlrev_b32_e32 v6, 7, v78
	v_xor_b32_e32 v28, v80, v5
	v_and_b32_e32 v7, 1, v0
	v_lshl_or_b32 v31, v72, 3, v6
	v_lshlrev_b32_e32 v28, 2, v28
	v_lshlrev_b32_e32 v24, 2, v72
	v_or_b32_e32 v86, 0x4000, v31
	v_or_b32_e32 v87, 0x6000, v31
	v_xor_b32_e32 v31, 0x440, v28
	v_cmp_eq_u32_e32 vcc, 0, v7
	v_or_b32_e32 v26, 16, v72
	v_or_b32_e32 v27, 32, v72
	v_xor_b32_e32 v29, v78, v24
	v_xor_b32_e32 v30, v79, v24
	v_cndmask_b32_e32 v7, v31, v28, vcc
	s_add_i32 s2, s41, s40
	s_mov_b32 s54, 0x1000504
	v_lshl_or_b32 v32, v26, 3, v6
	v_lshlrev_b32_e32 v26, 8, v26
	v_lshl_or_b32 v33, v27, 3, v6
	v_lshlrev_b32_e32 v29, 1, v29
	v_lshlrev_b32_e32 v30, 1, v30
	v_lshl_or_b32 v5, v5, 10, v7
	s_add_i32 s17, s2, s42
	s_mul_i32 s2, s33, s19
	s_mul_hi_u32 s3, s33, s18
	s_mov_b32 s55, 0x3020706
	v_lshlrev_b32_e32 v25, 8, v72
	v_or_b32_e32 v90, 0x4000, v33
	v_or_b32_e32 v91, 0x6000, v33
	;; [unrolled: 1-line block ×4, first 2 shown]
	v_xor_b32_e32 v7, 8, v5
	v_xor_b32_e32 v26, 24, v5
	;; [unrolled: 1-line block ×4, first 2 shown]
	s_add_i32 s2, s3, s2
	s_mul_i32 s3, s51, s18
	v_or_b32_e32 v88, 0x4000, v32
	v_or_b32_e32 v89, 0x6000, v32
	;; [unrolled: 1-line block ×4, first 2 shown]
	v_xor_b32_e32 v25, 16, v5
	v_xor_b32_e32 v28, 32, v5
	;; [unrolled: 1-line block ×3, first 2 shown]
	v_add_u32_e32 v7, 0x80, v7
	v_add_u32_e32 v26, 0x80, v26
	;; [unrolled: 1-line block ×4, first 2 shown]
	s_add_i32 s3, s2, s3
	s_lshl_b64 s[20:21], s[16:17], 2
	s_mul_i32 s2, s33, s18
	s_add_u32 s17, s10, s20
	s_addc_u32 s20, s11, s21
	s_lshl_b64 s[2:3], s[2:3], 2
	s_add_u32 s2, s17, s2
	s_movk_i32 s17, 0xf8
	s_addc_u32 s3, s20, s3
	s_ashr_i32 s31, s30, 31
	s_lshl_b32 s26, s15, 7
	s_lshl_b64 s[20:21], s[30:31], 8
	s_add_u32 s20, s36, s20
	v_mov_b32_e32 v67, 0
	s_addc_u32 s21, s37, s21
	v_lshlrev_b32_e32 v66, 4, v72
	v_lshlrev_b32_e32 v27, 8, v27
	s_mov_b32 s56, 0
	s_movk_i32 s22, 0x4000
	v_or_b32_e32 v96, v27, v29
	v_or_b32_e32 v97, v27, v30
	v_add_u32_e32 v126, v1, v2
	s_movk_i32 s31, 0x2000
	s_movk_i32 s57, 0x3000
	v_mov_b32_e32 v58, v67
	v_mov_b32_e32 v59, v67
	;; [unrolled: 1-line block ×4, first 2 shown]
	s_waitcnt vmcnt(1)
	v_perm_b32 v34, v8, v16, s54
	s_waitcnt vmcnt(0)
	v_perm_b32 v35, v12, v20, s54
	v_perm_b32 v8, v8, v16, s55
	v_perm_b32 v12, v12, v20, s55
	v_perm_b32 v16, v9, v17, s54
	v_perm_b32 v20, v13, v21, s54
	v_perm_b32 v9, v9, v17, s55
	v_perm_b32 v13, v13, v21, s55
	v_perm_b32 v17, v10, v18, s54
	v_perm_b32 v21, v14, v22, s54
	v_perm_b32 v10, v10, v18, s55
	v_perm_b32 v14, v14, v22, s55
	v_perm_b32 v18, v11, v19, s54
	v_perm_b32 v22, v15, v23, s54
	v_perm_b32 v11, v11, v19, s55
	v_perm_b32 v15, v15, v23, s55
	ds_write2st64_b32 v5, v34, v35 offset0:128 offset1:160
	ds_write2st64_b32 v7, v8, v12 offset0:128 offset1:160
	;; [unrolled: 1-line block ×8, first 2 shown]
	v_or_b32_e32 v5, 48, v72
	v_lshl_or_b32 v7, v5, 3, v6
	v_lshlrev_b32_e32 v5, 8, v5
	v_or_b32_e32 v100, v5, v29
	v_or_b32_e32 v101, v5, v30
	;; [unrolled: 1-line block ×3, first 2 shown]
	v_lshlrev_b32_e32 v5, 3, v5
	v_lshrrev_b32_e32 v9, 5, v73
	v_and_or_b32 v9, v5, s17, v9
	v_lshlrev_b32_e32 v9, 4, v9
	v_or_b32_e32 v98, 0x4000, v7
	v_or_b32_e32 v99, 0x6000, v7
	v_lshlrev_b32_e32 v7, 11, v74
	v_and_b32_e32 v5, 0x78, v5
	v_or_b32_e32 v14, 32, v9
	v_and_b32_e32 v8, 0x1000, v7
	v_xor_b32_e32 v10, v9, v5
	v_lshrrev_b32_e32 v11, 1, v0
	v_xor_b32_e32 v14, v14, v5
	v_or_b32_e32 v10, v10, v8
	v_and_b32_e32 v12, 8, v11
	v_or_b32_e32 v14, v14, v8
	v_xor_b32_e32 v102, v10, v12
	v_lshlrev_b32_e32 v10, 8, v75
	v_xor_b32_e32 v104, v14, v12
	v_or_b32_e32 v14, 64, v9
	v_or_b32_e32 v9, 0x60, v9
	v_or_b32_e32 v13, v10, v24
	v_xor_b32_e32 v14, v14, v5
	v_xor_b32_e32 v5, v9, v5
	v_lshlrev_b32_e32 v13, 1, v13
	v_or_b32_e32 v14, v14, v8
	v_or_b32_e32 v5, v5, v8
	;; [unrolled: 1-line block ×6, first 2 shown]
	v_xor_b32_e32 v108, v14, v12
	v_xor_b32_e32 v109, v5, v12
	v_or_b32_e32 v110, 0x6000, v13
	v_or_b32_e32 v111, 0x6080, v13
	;; [unrolled: 1-line block ×4, first 2 shown]
	v_lshlrev_b32_e32 v12, 1, v4
	v_add_lshl_u32 v13, v4, s15, 1
	s_movk_i32 s17, 0x100
	v_lshlrev_b32_e32 v4, 1, v72
	v_lshrrev_b32_e32 v15, 4, v0
	v_or_b32_e32 v5, 1, v4
	v_mov_b32_e32 v19, 0xa000
	v_mov_b32_e32 v20, 0x8000
	v_cmp_gt_u32_e32 vcc, s17, v0
	v_xor_b32_e32 v16, v15, v4
	v_xor_b32_e32 v17, v5, v15
	v_lshl_add_u64 v[4:5], s[20:21], 0, v[66:67]
	v_lshlrev_b32_e32 v66, 8, v15
	v_cndmask_b32_e32 v19, v19, v20, vcc
	v_lshlrev_b32_e32 v20, 3, v74
	v_and_b32_e32 v11, 24, v11
	v_lshl_or_b32 v114, v16, 3, v66
	v_and_b32_e32 v16, 8, v0
	v_xor_b32_e32 v21, v20, v11
	v_or_b32_e32 v22, 0x440, v21
	v_cmp_eq_u32_e32 vcc, 0, v16
	v_and_b32_e32 v15, 7, v0
	v_lshl_or_b32 v115, v17, 3, v66
	v_cndmask_b32_e32 v16, v22, v21, vcc
	v_lshlrev_b32_e32 v17, 3, v15
	v_lshlrev_b32_e32 v15, 7, v15
	v_or_b32_e32 v16, v16, v7
	v_lshlrev_b32_e32 v18, 2, v0
	v_xad_u32 v116, v16, v17, v15
	v_or_b32_e32 v16, 32, v11
	v_and_or_b32 v10, v18, 60, v10
	v_xor_b32_e32 v16, v20, v16
	v_lshlrev_b32_e32 v10, 1, v10
	v_or_b32_e32 v18, 0x440, v16
	v_or_b32_e32 v117, 0x6000, v10
	v_cndmask_b32_e32 v16, v18, v16, vcc
	v_or_b32_e32 v119, 0x6080, v10
	v_or_b32_e32 v120, 0x6100, v10
	;; [unrolled: 1-line block ×5, first 2 shown]
	v_xor_b32_e32 v10, v20, v10
	v_xad_u32 v118, v16, v17, v15
	v_xor_b32_e32 v16, 0x440, v10
	v_cndmask_b32_e32 v10, v16, v10, vcc
	v_or_b32_e32 v10, v10, v7
	v_xad_u32 v122, v10, v17, v15
	v_or_b32_e32 v10, 0x60, v11
	v_xor_b32_e32 v10, v20, v10
	v_xor_b32_e32 v11, 0x440, v10
	v_cndmask_b32_e32 v10, v11, v10, vcc
	v_or_b32_e32 v8, s30, v72
	v_or_b32_e32 v7, v10, v7
	v_ashrrev_i32_e32 v9, 31, v8
	v_or_b32_e32 v14, 0x100, v3
	v_xad_u32 v123, v7, v17, v15
	v_cndmask_b32_e64 v124, v12, v3, s[0:1]
	v_cndmask_b32_e64 v125, v13, v14, s[0:1]
	v_lshl_add_u64 v[68:69], v[8:9], 1, s[8:9]
	v_lshl_add_u64 v[70:71], v[4:5], 0, v[66:67]
	s_mov_b32 s17, 0x7060302
	v_lshlrev_b32_e32 v66, 1, v6
	v_add_u32_e32 v127, v19, v116
	v_add_u32_e32 v128, v19, v118
	;; [unrolled: 1-line block ×4, first 2 shown]
	v_mov_b32_e32 v62, v67
	v_mov_b32_e32 v63, v67
	;; [unrolled: 1-line block ×28, first 2 shown]
	s_waitcnt lgkmcnt(0)
	s_barrier
.LBB168_6:                              ; =>This Inner Loop Header: Depth=1
	s_add_i32 s58, s56, 1
	s_cmp_lt_i32 s58, s43
	s_mov_b64 s[24:25], 0
	s_cselect_b64 s[38:39], -1, 0
	s_cmp_ge_i32 s58, s43
	s_mov_b64 s[20:21], 0
	s_cbranch_scc1 .LBB168_8
; %bb.7:                                ;   in Loop: Header=BB168_6 Depth=1
	s_add_i32 s0, s50, 64
	s_ashr_i32 s1, s0, 31
	s_add_u32 s0, s47, s0
	s_addc_u32 s1, s46, s1
	s_lshl_b64 s[0:1], s[0:1], 8
	s_add_u32 s20, s6, s0
	s_addc_u32 s21, s7, s1
.LBB168_8:                              ;   in Loop: Header=BB168_6 Depth=1
	v_cndmask_b32_e64 v2, 0, 1, s[38:39]
	v_cmp_ne_u32_e64 s[0:1], 1, v2
	s_andn2_b64 vcc, exec, s[38:39]
	s_cbranch_vccnz .LBB168_10
; %bb.9:                                ;   in Loop: Header=BB168_6 Depth=1
	s_add_i32 s24, s50, 64
	s_mul_hi_i32 s25, s24, s14
	s_mul_i32 s24, s24, s14
	s_add_u32 s24, s24, s48
	s_addc_u32 s25, s25, s52
	s_lshl_b64 s[24:25], s[24:25], 8
	s_add_u32 s24, s4, s24
	s_addc_u32 s25, s5, s25
.LBB168_10:                             ;   in Loop: Header=BB168_6 Depth=1
	v_perm_b32 v3, v65, v64, s17
	v_perm_b32 v2, v63, v62, s17
	v_perm_b32 v5, v61, v60, s17
	v_perm_b32 v4, v59, v58, s17
	ds_write_b64 v86, v[2:3]
	ds_write_b64 v87, v[4:5]
	ds_write_b64 v92, v[2:3]
	ds_write_b64 v93, v[4:5]
	v_perm_b32 v3, v57, v56, s17
	v_perm_b32 v2, v55, v54, s17
	v_perm_b32 v5, v53, v52, s17
	v_perm_b32 v4, v51, v50, s17
	ds_write_b64 v88, v[2:3]
	ds_write_b64 v89, v[4:5]
	ds_write_b64 v94, v[2:3]
	ds_write_b64 v95, v[4:5]
	;; [unrolled: 8-line block ×4, first 2 shown]
	s_waitcnt lgkmcnt(0)
	s_barrier
	ds_read_b64 v[6:7], v102 offset:49152
	ds_read2_b64 v[2:5], v103 offset1:16
	ds_read_b64 v[18:19], v105 offset:6144
	ds_read_b64 v[20:21], v103 offset:6144
	s_waitcnt lgkmcnt(2)
	v_mfma_f32_16x16x16_bf16 a[0:3], v[6:7], v[2:3], 0
	ds_read_b64 v[22:23], v104 offset:49152
	ds_read2st64_b64 v[10:13], v106 offset0:4 offset1:8
	ds_read2st64_b64 v[14:17], v107 offset0:4 offset1:8
	v_mfma_f32_16x16x16_bf16 a[4:7], v[6:7], v[4:5], 0
	ds_read2_b64 v[2:5], v103 offset0:32 offset1:48
	s_add_i32 s27, s50, 63
	s_ashr_i32 s38, s27, 31
	s_waitcnt lgkmcnt(0)
	v_mfma_f32_16x16x16_bf16 a[8:11], v[6:7], v[2:3], 0
	s_mul_i32 s39, s27, s29
	s_mul_hi_u32 s59, s27, s28
	s_add_i32 s39, s59, s39
	v_mfma_f32_16x16x16_bf16 a[12:15], v[6:7], v[4:5], 0
	ds_read2st64_b64 v[2:5], v103 offset0:4 offset1:8
	ds_read2st64_b64 v[6:9], v105 offset0:4 offset1:8
	s_mul_i32 s38, s38, s28
	s_waitcnt lgkmcnt(1)
	v_mfma_f32_16x16x16_bf16 a[0:3], v[22:23], v[2:3], a[0:3]
	s_add_i32 s39, s39, s38
	s_mul_i32 s38, s27, s28
	s_lshl_b64 s[38:39], s[38:39], 2
	s_waitcnt lgkmcnt(0)
	v_mfma_f32_16x16x16_bf16 a[4:7], v[22:23], v[6:7], a[4:7]
	s_add_u32 s38, s2, s38
	s_addc_u32 s39, s3, s39
	s_and_b64 vcc, exec, s[0:1]
	v_mfma_f32_16x16x16_bf16 a[8:11], v[22:23], v[10:11], a[8:11]
	ds_read_b64 v[2:3], v108 offset:49152
	ds_read_b64 v[6:7], v109 offset:49152
	;; [unrolled: 1-line block ×3, first 2 shown]
	v_mov_b32_e32 v133, 0
	v_mov_b32_e32 v132, 0
	v_mfma_f32_16x16x16_bf16 a[12:15], v[22:23], v[14:15], a[12:15]
	v_mov_b32_e32 v131, 0
	v_mov_b32_e32 v14, 0
	;; [unrolled: 1-line block ×3, first 2 shown]
	s_waitcnt lgkmcnt(2)
	v_mfma_f32_16x16x16_bf16 a[0:3], v[2:3], v[4:5], a[0:3]
	v_mov_b32_e32 v4, 0
	v_mov_b32_e32 v5, 0
	v_mfma_f32_16x16x16_bf16 a[16:19], v[2:3], v[8:9], a[4:7]
	v_mov_b32_e32 v8, 0
	v_mov_b32_e32 v9, 0
	;; [unrolled: 3-line block ×3, first 2 shown]
	v_mfma_f32_16x16x16_bf16 a[24:27], v[2:3], v[16:17], a[12:15]
	ds_read_b64 v[2:3], v106 offset:6144
	v_mov_b32_e32 v16, 0
	v_mov_b32_e32 v17, 0
	s_waitcnt lgkmcnt(2)
	v_mfma_f32_16x16x16_bf16 a[4:7], v[6:7], v[20:21], a[0:3]
	v_mfma_f32_16x16x16_bf16 a[8:11], v[6:7], v[18:19], a[16:19]
	s_waitcnt lgkmcnt(0)
	v_mfma_f32_16x16x16_bf16 a[12:15], v[6:7], v[2:3], a[20:23]
	v_mov_b32_e32 v2, 0
	v_mov_b32_e32 v3, 0
	v_mfma_f32_16x16x16_bf16 a[0:3], v[6:7], v[10:11], a[24:27]
	v_mov_b32_e32 v6, 0
	v_mov_b32_e32 v7, 0
	v_mov_b32_e32 v10, 0
	v_mov_b32_e32 v11, 0
	s_cbranch_vccnz .LBB168_12
; %bb.11:                               ;   in Loop: Header=BB168_6 Depth=1
	s_and_b32 s21, s21, 0xffff
	buffer_load_dwordx4 v[14:17], v82, s[20:23], 0 offen
	buffer_load_dwordx4 v[10:13], v82, s[20:23], s53 offen
	;; [unrolled: 1-line block ×4, first 2 shown]
	v_mov_b32_e32 v132, v84
	v_mov_b32_e32 v131, v85
.LBB168_12:                             ;   in Loop: Header=BB168_6 Depth=1
	ds_read_b64 v[134:135], v102 offset:57344
	ds_read2_b64 v[18:21], v110 offset1:16
	ds_read_b64 v[136:137], v104 offset:57344
	ds_read_b64 v[138:139], v108 offset:57344
	;; [unrolled: 1-line block ×3, first 2 shown]
	v_add_u32_e32 v142, s50, v126
	s_waitcnt lgkmcnt(3)
	v_mfma_f32_16x16x16_bf16 a[4:7], v[134:135], v[18:19], a[4:7]
	v_mfma_f32_16x16x16_bf16 a[8:11], v[134:135], v[20:21], a[8:11]
	ds_read2_b64 v[18:21], v110 offset0:32 offset1:48
	ds_read2st64_b64 v[22:25], v110 offset0:4 offset1:8
	ds_read2st64_b64 v[26:29], v111 offset0:4 offset1:8
	;; [unrolled: 1-line block ×3, first 2 shown]
	s_waitcnt lgkmcnt(3)
	v_mfma_f32_16x16x16_bf16 a[12:15], v[134:135], v[18:19], a[12:15]
	v_ashrrev_i32_e32 v18, 31, v142
	v_mfma_f32_16x16x16_bf16 a[0:3], v[134:135], v[20:21], a[0:3]
	v_mul_lo_u32 v20, v18, s28
	v_mul_lo_u32 v21, v142, s29
	v_mad_u64_u32 v[18:19], s[20:21], v142, s28, 0
	v_add3_u32 v19, v19, v21, v20
	v_add_u32_e32 v20, 1, v142
	v_ashrrev_i32_e32 v21, 31, v20
	s_waitcnt lgkmcnt(2)
	v_mfma_f32_16x16x16_bf16 a[4:7], v[136:137], v[22:23], a[4:7]
	v_mul_lo_u32 v22, v21, s28
	v_mul_lo_u32 v23, v20, s29
	v_mad_u64_u32 v[20:21], s[20:21], v20, s28, 0
	v_add3_u32 v21, v21, v23, v22
	v_add_u32_e32 v22, 2, v142
	v_ashrrev_i32_e32 v23, 31, v22
	s_waitcnt lgkmcnt(1)
	v_mfma_f32_16x16x16_bf16 a[8:11], v[136:137], v[26:27], a[8:11]
	v_mul_lo_u32 v26, v23, s28
	v_mul_lo_u32 v27, v22, s29
	v_mad_u64_u32 v[22:23], s[20:21], v22, s28, 0
	v_add3_u32 v23, v23, v27, v26
	v_add_u32_e32 v26, 3, v142
	v_ashrrev_i32_e32 v27, 31, v26
	v_mul_lo_u32 v134, v27, s28
	v_mul_lo_u32 v135, v26, s29
	v_mad_u64_u32 v[26:27], s[20:21], v26, s28, 0
	s_ashr_i32 s21, s50, 31
	s_add_u32 s20, s47, s50
	s_addc_u32 s21, s46, s21
	v_lshl_add_u64 v[18:19], v[18:19], 2, s[2:3]
	v_add3_u32 v27, v27, v135, v134
	s_lshl_b64 s[20:21], s[20:21], 8
	v_lshl_add_u64 v[20:21], v[20:21], 2, s[2:3]
	v_lshl_add_u64 v[22:23], v[22:23], 2, s[2:3]
	;; [unrolled: 1-line block ×3, first 2 shown]
	global_load_dword v134, v[18:19], off
	global_load_dword v135, v[20:21], off
	;; [unrolled: 1-line block ×4, first 2 shown]
	v_lshl_add_u64 v[18:19], v[68:69], 0, s[20:21]
	v_lshl_add_u64 v[22:23], v[18:19], 0, v[66:67]
	global_load_ushort v144, v[22:23], off offset:256
	global_load_ushort v145, v[22:23], off
	ds_read2st64_b64 v[18:21], v113 offset0:4 offset1:8
	global_load_ushort v146, v[22:23], off offset:768
	global_load_ushort v147, v[22:23], off offset:512
	s_waitcnt lgkmcnt(1)
	v_mfma_f32_16x16x16_bf16 a[12:15], v[136:137], v[30:31], a[12:15]
	s_and_b64 vcc, exec, s[0:1]
	s_waitcnt vmcnt(3)
	v_lshlrev_b32_e32 v31, 16, v144
	s_waitcnt lgkmcnt(0)
	v_mfma_f32_16x16x16_bf16 a[0:3], v[136:137], v[18:19], a[0:3]
	global_load_ushort v136, v[22:23], off offset:288
	global_load_ushort v137, v[22:23], off offset:32
	;; [unrolled: 1-line block ×8, first 2 shown]
	v_mfma_f32_16x16x16_bf16 a[4:7], v[138:139], v[24:25], a[4:7]
	ds_read_b64 v[18:19], v110 offset:6144
	s_waitcnt vmcnt(10)
	v_lshlrev_b32_e32 v30, 16, v145
	v_mfma_f32_16x16x16_bf16 a[8:11], v[138:139], v[28:29], a[8:11]
	v_mfma_f32_16x16x16_bf16 a[12:15], v[138:139], v[32:33], a[12:15]
	v_mfma_f32_16x16x16_bf16 a[0:3], v[138:139], v[20:21], a[0:3]
	global_load_ushort v138, v[22:23], off offset:352
	global_load_ushort v139, v[22:23], off offset:96
	ds_read_b64 v[20:21], v111 offset:6144
	ds_read_b64 v[24:25], v112 offset:6144
	;; [unrolled: 1-line block ×3, first 2 shown]
	global_load_ushort v154, v[22:23], off offset:864
	global_load_ushort v155, v[22:23], off offset:608
	s_load_dword s20, s[38:39], 0x0
	s_waitcnt lgkmcnt(0)
	v_mfma_f32_16x16x16_bf16 a[4:7], v[140:141], v[18:19], a[4:7]
	v_sub_f32_e32 v28, s20, v142
	v_mfma_f32_16x16x16_bf16 a[0:3], v[140:141], v[26:27], a[0:3]
	v_sub_f32_e32 v26, s20, v134
	v_sub_f32_e32 v27, s20, v135
	v_sub_f32_e32 v29, s20, v143
	v_mfma_f32_16x16x16_bf16 a[8:11], v[140:141], v[20:21], a[8:11]
	v_exp_f32_e32 v26, v26
	v_exp_f32_e32 v27, v27
	;; [unrolled: 1-line block ×4, first 2 shown]
	v_accvgpr_read_b32 v33, a5
	v_accvgpr_read_b32 v32, a4
	;; [unrolled: 1-line block ×4, first 2 shown]
	v_pk_add_f32 v[30:31], v[30:31], v[32:33] neg_lo:[0,1] neg_hi:[0,1]
	s_waitcnt vmcnt(13)
	v_lshlrev_b32_e32 v33, 16, v146
	s_waitcnt vmcnt(12)
	v_lshlrev_b32_e32 v32, 16, v147
	v_pk_add_f32 v[18:19], v[32:33], v[18:19] neg_lo:[0,1] neg_hi:[0,1]
	v_pk_mul_f32 v[30:31], v[26:27], v[30:31]
	v_pk_mul_f32 v[18:19], v[28:29], v[18:19]
	v_accvgpr_read_b32 v33, a9
	v_perm_b32 v19, v19, v18, s17
	v_perm_b32 v18, v31, v30, s17
	v_accvgpr_read_b32 v32, a8
	v_accvgpr_read_b32 v21, a11
	v_mfma_f32_16x16x16_bf16 a[12:15], v[140:141], v[24:25], a[12:15]
	v_accvgpr_read_b32 v20, a10
	v_accvgpr_read_b32 v25, a3
	;; [unrolled: 1-line block ×3, first 2 shown]
	v_mov_b32_e32 v134, 0
	s_waitcnt vmcnt(11)
	v_lshlrev_b32_e32 v31, 16, v136
	s_waitcnt vmcnt(10)
	v_lshlrev_b32_e32 v30, 16, v137
	v_pk_add_f32 v[30:31], v[30:31], v[32:33] neg_lo:[0,1] neg_hi:[0,1]
	s_waitcnt vmcnt(9)
	v_lshlrev_b32_e32 v33, 16, v148
	s_waitcnt vmcnt(8)
	v_lshlrev_b32_e32 v32, 16, v149
	v_pk_add_f32 v[20:21], v[32:33], v[20:21] neg_lo:[0,1] neg_hi:[0,1]
	v_pk_mul_f32 v[30:31], v[26:27], v[30:31]
	v_pk_mul_f32 v[20:21], v[28:29], v[20:21]
	v_accvgpr_read_b32 v23, a15
	v_perm_b32 v21, v21, v20, s17
	v_perm_b32 v20, v31, v30, s17
	ds_write2_b64 v87, v[18:19], v[20:21] offset1:16
	v_accvgpr_read_b32 v21, a13
	s_waitcnt vmcnt(7)
	v_lshlrev_b32_e32 v19, 16, v150
	s_waitcnt vmcnt(6)
	v_lshlrev_b32_e32 v18, 16, v151
	v_accvgpr_read_b32 v20, a12
	v_accvgpr_read_b32 v22, a14
	v_pk_add_f32 v[18:19], v[18:19], v[20:21] neg_lo:[0,1] neg_hi:[0,1]
	s_waitcnt vmcnt(5)
	v_lshlrev_b32_e32 v21, 16, v152
	s_waitcnt vmcnt(4)
	v_lshlrev_b32_e32 v20, 16, v153
	v_pk_add_f32 v[20:21], v[20:21], v[22:23] neg_lo:[0,1] neg_hi:[0,1]
	v_pk_mul_f32 v[18:19], v[26:27], v[18:19]
	v_pk_mul_f32 v[20:21], v[28:29], v[20:21]
	v_accvgpr_read_b32 v23, a1
	v_perm_b32 v21, v21, v20, s17
	v_perm_b32 v20, v19, v18, s17
	s_waitcnt vmcnt(3)
	v_lshlrev_b32_e32 v19, 16, v138
	s_waitcnt vmcnt(2)
	v_lshlrev_b32_e32 v18, 16, v139
	v_accvgpr_read_b32 v22, a0
	v_pk_add_f32 v[18:19], v[18:19], v[22:23] neg_lo:[0,1] neg_hi:[0,1]
	s_waitcnt vmcnt(1)
	v_lshlrev_b32_e32 v23, 16, v154
	s_waitcnt vmcnt(0)
	v_lshlrev_b32_e32 v22, 16, v155
	v_pk_add_f32 v[22:23], v[22:23], v[24:25] neg_lo:[0,1] neg_hi:[0,1]
	v_pk_mul_f32 v[18:19], v[26:27], v[18:19]
	v_pk_mul_f32 v[22:23], v[28:29], v[22:23]
	v_mov_b32_e32 v24, 0
	v_perm_b32 v23, v23, v22, s17
	v_perm_b32 v22, v19, v18, s17
	ds_write2_b64 v87, v[20:21], v[22:23] offset0:32 offset1:48
	v_mov_b32_e32 v18, 0
	v_mov_b32_e32 v19, 0
	;; [unrolled: 1-line block ×15, first 2 shown]
	s_cbranch_vccnz .LBB168_14
; %bb.13:                               ;   in Loop: Header=BB168_6 Depth=1
	s_and_b32 s25, s25, 0xffff
	s_mov_b32 s27, s23
	buffer_load_dwordx4 v[30:33], v124, s[24:27], 0 offen
	buffer_load_dwordx4 v[22:25], v124, s[24:27], s53 offen
	;; [unrolled: 1-line block ×4, first 2 shown]
	v_mov_b32_e32 v133, v81
	v_mov_b32_e32 v134, v80
.LBB168_14:                             ;   in Loop: Header=BB168_6 Depth=1
	s_waitcnt lgkmcnt(0)
	s_barrier
	ds_read_b64 v[144:145], v127
	ds_read2_b64 v[136:139], v117 offset1:16
	ds_read_b64 v[160:161], v128
	ds_read_b64 v[162:163], v129
	;; [unrolled: 1-line block ×3, first 2 shown]
	ds_read2_b64 v[140:143], v117 offset0:32 offset1:48
	s_waitcnt lgkmcnt(4)
	v_mfma_f32_16x16x16_bf16 a[0:3], v[144:145], v[136:137], 0
	ds_read2st64_b64 v[148:151], v119 offset0:4 offset1:8
	ds_read2st64_b64 v[152:155], v120 offset0:4 offset1:8
	;; [unrolled: 1-line block ×3, first 2 shown]
	v_mfma_f32_16x16x16_bf16 a[4:7], v[144:145], v[138:139], 0
	s_add_i32 s21, s44, s56
	s_mul_hi_i32 s25, s21, s49
	s_mul_i32 s21, s21, s49
	s_waitcnt lgkmcnt(3)
	v_mfma_f32_16x16x16_bf16 a[8:11], v[144:145], v[140:141], 0
	s_add_u32 s24, s21, s33
	s_addc_u32 s25, s25, s51
	s_lshl_b64 s[24:25], s[24:25], 15
	v_mfma_f32_16x16x16_bf16 a[12:15], v[144:145], v[142:143], 0
	ds_read2st64_b64 v[144:147], v117 offset0:4 offset1:8
	s_waitcnt lgkmcnt(0)
	v_mfma_f32_16x16x16_bf16 a[0:3], v[160:161], v[144:145], a[0:3]
	v_mfma_f32_16x16x16_bf16 a[4:7], v[160:161], v[148:149], a[4:7]
	;; [unrolled: 1-line block ×8, first 2 shown]
	ds_read_b64 v[160:161], v117 offset:6144
	ds_read_b64 v[162:163], v118 offset:40960
	;; [unrolled: 1-line block ×8, first 2 shown]
	s_waitcnt lgkmcnt(5)
	v_mfma_f32_16x16x16_bf16 a[16:19], v[166:167], v[136:137], 0
	v_mfma_f32_16x16x16_bf16 a[20:23], v[166:167], v[138:139], 0
	ds_read2st64_b64 v[136:139], v114 offset1:8
	v_mfma_f32_16x16x16_bf16 a[24:27], v[166:167], v[140:141], 0
	v_mfma_f32_16x16x16_bf16 a[28:31], v[166:167], v[142:143], 0
	ds_read2st64_b64 v[140:143], v115 offset1:8
	v_mfma_f32_16x16x16_bf16 a[16:19], v[162:163], v[144:145], a[16:19]
	s_waitcnt lgkmcnt(1)
	v_mov_b32_e32 v144, v136
	v_mov_b32_e32 v145, v137
	v_mfma_f32_16x16x16_bf16 a[20:23], v[162:163], v[148:149], a[20:23]
	v_lshl_add_u64 v[148:149], v[70:71], 0, s[24:25]
	v_mfma_f32_16x16x16_bf16 a[24:27], v[162:163], v[152:153], a[24:27]
	v_mfma_f32_16x16x16_bf16 a[28:31], v[162:163], v[156:157], a[28:31]
	;; [unrolled: 1-line block ×3, first 2 shown]
	s_waitcnt lgkmcnt(0)
	v_mov_b32_e32 v146, v140
	v_mov_b32_e32 v147, v141
	;; [unrolled: 1-line block ×3, first 2 shown]
	v_mfma_f32_16x16x16_bf16 a[32:35], v[174:175], v[150:151], a[20:23]
	v_mov_b32_e32 v141, v139
	ds_read2st64_b64 v[136:139], v114 offset0:16 offset1:24
	global_store_dwordx4 v[148:149], v[144:147], off
	v_mfma_f32_16x16x16_bf16 a[24:27], v[174:175], v[154:155], a[24:27]
	ds_read2st64_b64 v[144:147], v115 offset0:16 offset1:24
	v_add_co_u32_e32 v150, vcc, s31, v148
	v_mfma_f32_16x16x16_bf16 a[28:31], v[174:175], v[158:159], a[28:31]
	s_nop 0
	v_addc_co_u32_e32 v151, vcc, 0, v149, vcc
	global_store_dwordx4 v[150:151], v[140:143], off offset:-4096
	v_mfma_f32_16x16x16_bf16 a[0:3], v[164:165], v[160:161], a[0:3]
	s_waitcnt lgkmcnt(1)
	v_mov_b32_e32 v140, v136
	v_add_co_u32_e32 v136, vcc, s57, v148
	v_mfma_f32_16x16x16_bf16 a[4:7], v[164:165], v[168:169], a[4:7]
	v_mov_b32_e32 v141, v137
	v_addc_co_u32_e32 v137, vcc, 0, v149, vcc
	v_mfma_f32_16x16x16_bf16 a[8:11], v[164:165], v[170:171], a[8:11]
	s_waitcnt lgkmcnt(0)
	v_mov_b32_e32 v142, v144
	v_mov_b32_e32 v143, v145
	v_mov_b32_e32 v144, v138
	v_mfma_f32_16x16x16_bf16 a[12:15], v[164:165], v[172:173], a[12:15]
	v_mov_b32_e32 v145, v139
	s_and_b64 vcc, exec, s[0:1]
	global_store_dwordx4 v[150:151], v[140:143], off
	v_mfma_f32_16x16x16_bf16 a[20:23], v[176:177], v[160:161], a[16:19]
	global_store_dwordx4 v[136:137], v[144:147], off
	v_mfma_f32_16x16x16_bf16 a[16:19], v[176:177], v[168:169], a[32:35]
	v_mfma_f32_16x16x16_bf16 a[24:27], v[176:177], v[170:171], a[24:27]
	;; [unrolled: 1-line block ×3, first 2 shown]
	s_cbranch_vccnz .LBB168_16
; %bb.15:                               ;   in Loop: Header=BB168_6 Depth=1
	v_lshrrev_b32_e32 v135, 3, v133
	v_and_b32_e32 v135, 6, v135
	v_xor_b32_e32 v134, v135, v134
	v_lshlrev_b32_e32 v134, 2, v134
	v_and_b32_e32 v133, 8, v133
	v_xor_b32_e32 v136, 0x440, v134
	v_cmp_eq_u32_e32 vcc, 0, v133
	s_barrier
	s_nop 0
	v_cndmask_b32_e32 v133, v136, v134, vcc
	v_lshl_or_b32 v133, v135, 10, v133
	s_waitcnt vmcnt(5)
	v_perm_b32 v134, v30, v26, s54
	s_waitcnt vmcnt(4)
	v_perm_b32 v135, v22, v18, s54
	ds_write2st64_b32 v133, v134, v135 offset0:128 offset1:160
	v_xor_b32_e32 v134, 8, v133
	v_perm_b32 v26, v30, v26, s55
	v_perm_b32 v18, v22, v18, s55
	v_add_u32_e32 v22, 0x80, v134
	ds_write2st64_b32 v22, v26, v18 offset0:128 offset1:160
	v_xor_b32_e32 v18, 16, v133
	v_perm_b32 v22, v31, v27, s54
	v_perm_b32 v26, v23, v19, s54
	ds_write2st64_b32 v18, v22, v26 offset0:129 offset1:161
	v_xor_b32_e32 v18, 24, v133
	v_perm_b32 v22, v31, v27, s55
	v_perm_b32 v19, v23, v19, s55
	v_add_u32_e32 v18, 0x80, v18
	ds_write2st64_b32 v18, v22, v19 offset0:129 offset1:161
	v_xor_b32_e32 v18, 32, v133
	v_perm_b32 v19, v32, v28, s54
	;; [unrolled: 9-line block ×3, first 2 shown]
	v_perm_b32 v20, v25, v21, s54
	ds_write2st64_b32 v18, v19, v20 offset0:131 offset1:163
	v_xor_b32_e32 v18, 56, v133
	v_perm_b32 v19, v33, v29, s55
	v_perm_b32 v20, v25, v21, s55
	v_add_u32_e32 v18, 0x80, v18
	ds_write2st64_b32 v18, v19, v20 offset0:131 offset1:163
	ds_write_b64 v132, v[14:15] offset:49152
	v_xor_b32_e32 v14, 8, v132
	ds_write_b64 v14, v[16:17] offset:49152
	ds_write_b64 v132, v[10:11] offset:57344
	;; [unrolled: 1-line block ×4, first 2 shown]
	v_xor_b32_e32 v6, 8, v131
	ds_write_b64 v6, v[8:9] offset:49152
	ds_write_b64 v131, v[2:3] offset:57344
	;; [unrolled: 1-line block ×3, first 2 shown]
.LBB168_16:                             ;   in Loop: Header=BB168_6 Depth=1
	v_exp_f32_e32 v132, s20
	v_accvgpr_read_b32 v5, a3
	v_accvgpr_read_b32 v9, a7
	;; [unrolled: 1-line block ×4, first 2 shown]
	s_waitcnt vmcnt(4)
	v_accvgpr_read_b32 v18, a20
	v_accvgpr_read_b32 v25, a19
	;; [unrolled: 1-line block ×28, first 2 shown]
	s_add_i32 s50, s50, 64
	v_pk_fma_f32 v[62:63], v[132:133], v[62:63], v[2:3] op_sel_hi:[0,1,1]
	v_pk_fma_f32 v[64:65], v[132:133], v[64:65], v[4:5] op_sel_hi:[0,1,1]
	;; [unrolled: 1-line block ×15, first 2 shown]
	s_cmp_eq_u32 s43, s58
	v_pk_fma_f32 v[38:39], v[132:133], v[38:39], v[32:33] op_sel_hi:[0,1,1]
	s_cbranch_scc1 .LBB168_18
; %bb.17:                               ;   in Loop: Header=BB168_6 Depth=1
	s_mov_b32 s56, s58
	s_branch .LBB168_6
.LBB168_18:
	s_lshl_b32 s0, s43, 6
	s_sub_i32 s45, s45, s0
	s_cmp_gt_i32 s45, 0
	s_cbranch_scc0 .LBB168_99
; %bb.19:
	s_add_i32 s34, s0, s34
	s_ashr_i32 s2, s34, 31
	s_cmpk_lg_i32 s15, 0x80
	s_cselect_b64 s[26:27], -1, 0
	s_and_b64 vcc, exec, s[26:27]
	s_cbranch_vccz .LBB168_21
; %bb.20:
	s_mul_i32 s1, s34, s14
	s_ashr_i32 s3, s48, 31
	s_mul_hi_i32 s0, s34, s14
	s_add_u32 s38, s1, s48
	s_addc_u32 s39, s0, s3
	s_cbranch_execz .LBB168_22
	s_branch .LBB168_23
.LBB168_21:
                                        ; implicit-def: $sgpr38_sgpr39
.LBB168_22:
	s_mul_i32 s1, s48, s12
	s_mul_hi_i32 s0, s48, s12
	s_add_u32 s38, s1, s34
	s_addc_u32 s39, s0, s2
.LBB168_23:
	s_add_i32 s3, s43, s44
	s_ashr_i32 s12, s33, 31
	s_add_u32 s0, s47, s34
	v_lshlrev_b32_e32 v6, 6, v78
	v_lshlrev_b32_e32 v24, 2, v72
	s_addc_u32 s1, s46, s2
	s_mov_b32 s2, 0x7060302
	v_or_b32_e32 v9, v6, v24
	v_xor_b32_e32 v7, v78, v24
	v_perm_b32 v3, v65, v64, s2
	v_perm_b32 v2, v63, v62, s2
	;; [unrolled: 1-line block ×4, first 2 shown]
	v_lshlrev_b32_e32 v9, 1, v9
	v_xor_b32_e32 v8, v79, v24
	ds_write2st64_b64 v9, v[2:3], v[4:5] offset0:32 offset1:48
	v_lshlrev_b32_e32 v7, 1, v7
	v_lshlrev_b32_e32 v9, 8, v72
	v_or_b32_e32 v10, v7, v9
	v_lshlrev_b32_e32 v8, 1, v8
	ds_write_b64 v10, v[2:3]
	v_or_b32_e32 v2, v8, v9
	v_or_b32_e32 v9, 16, v72
	v_lshlrev_b32_e32 v23, 2, v9
	v_or_b32_e32 v10, v6, v23
	ds_write_b64 v2, v[4:5]
	v_perm_b32 v3, v57, v56, s2
	v_perm_b32 v2, v55, v54, s2
	;; [unrolled: 1-line block ×4, first 2 shown]
	v_lshlrev_b32_e32 v10, 1, v10
	v_lshlrev_b32_e32 v9, 8, v9
	ds_write2st64_b64 v10, v[2:3], v[4:5] offset0:32 offset1:48
	v_or_b32_e32 v10, v7, v9
	ds_write_b64 v10, v[2:3]
	v_or_b32_e32 v2, v8, v9
	v_or_b32_e32 v9, 32, v72
	v_lshlrev_b32_e32 v22, 2, v9
	v_or_b32_e32 v10, v6, v22
	s_lshl_b64 s[24:25], s[0:1], 8
	ds_write_b64 v2, v[4:5]
	v_perm_b32 v3, v49, v48, s2
	v_perm_b32 v2, v47, v46, s2
	;; [unrolled: 1-line block ×4, first 2 shown]
	v_lshlrev_b32_e32 v10, 1, v10
	v_lshlrev_b32_e32 v9, 8, v9
	s_add_u32 s0, s6, s24
	ds_write2st64_b64 v10, v[2:3], v[4:5] offset0:32 offset1:48
	v_or_b32_e32 v10, v7, v9
	s_addc_u32 s1, s7, s25
	ds_write_b64 v10, v[2:3]
	v_or_b32_e32 v2, v8, v9
	v_or_b32_e32 v9, 48, v72
	s_mul_hi_i32 s6, s3, s13
	s_mul_i32 s3, s3, s13
	ds_write_b64 v2, v[4:5]
	v_perm_b32 v3, v35, v34, s2
	v_perm_b32 v2, v41, v40, s2
	;; [unrolled: 1-line block ×4, first 2 shown]
	v_lshlrev_b32_e32 v19, 2, v9
	s_add_u32 s2, s3, s33
	v_or_b32_e32 v6, v6, v19
	s_addc_u32 s3, s6, s12
	v_lshlrev_b32_e32 v6, 1, v6
	s_ashr_i32 s31, s30, 31
	s_lshl_b64 s[2:3], s[2:3], 15
	ds_write2st64_b64 v6, v[2:3], v[4:5] offset0:32 offset1:48
	v_lshlrev_b32_e32 v6, 8, v9
	s_add_u32 s6, s36, s2
	v_or_b32_e32 v7, v7, v6
	s_addc_u32 s7, s37, s3
	s_lshl_b64 s[2:3], s[30:31], 8
	ds_write_b64 v7, v[2:3]
	v_or_b32_e32 v2, v8, v6
	s_add_u32 s2, s6, s2
	v_lshlrev_b32_e32 v3, 1, v72
	ds_write_b64 v2, v[4:5]
	v_lshrrev_b32_e32 v2, 4, v0
	s_addc_u32 s3, s7, s3
	v_or_b32_e32 v4, 1, v3
	v_lshlrev_b32_e32 v10, 4, v72
	v_mov_b32_e32 v11, 0
	v_xor_b32_e32 v3, v2, v3
	v_xor_b32_e32 v6, v4, v2
	v_lshl_add_u64 v[12:13], s[2:3], 0, v[10:11]
	v_lshlrev_b32_e32 v10, 8, v2
	v_lshl_or_b32 v16, v3, 3, v10
	v_lshl_or_b32 v17, v6, 3, v10
	s_waitcnt lgkmcnt(0)
	s_barrier
	ds_read2st64_b64 v[2:5], v16 offset1:8
	ds_read2st64_b64 v[6:9], v17 offset1:8
	v_lshl_add_u64 v[14:15], v[12:13], 0, v[10:11]
	s_movk_i32 s2, 0x2000
	s_cmp_lg_u32 s45, 64
	s_waitcnt lgkmcnt(1)
	v_mov_b32_e32 v10, v2
	v_mov_b32_e32 v11, v3
	s_waitcnt lgkmcnt(0)
	v_mov_b32_e32 v12, v6
	v_mov_b32_e32 v13, v7
	global_store_dwordx4 v[14:15], v[10:13], off
	v_mov_b32_e32 v6, v4
	v_mov_b32_e32 v7, v5
	ds_read2st64_b64 v[2:5], v16 offset0:16 offset1:24
	ds_read2st64_b64 v[10:13], v17 offset0:16 offset1:24
	v_add_co_u32_e32 v16, vcc, s2, v14
	s_cselect_b64 s[6:7], -1, 0
	s_nop 0
	v_addc_co_u32_e32 v17, vcc, 0, v15, vcc
	global_store_dwordx4 v[16:17], v[6:9], off offset:-4096
	v_lshl_or_b32 v25, v74, 3, v77
	s_mov_b32 s20, 0
	s_waitcnt lgkmcnt(1)
	v_mov_b32_e32 v6, v2
	v_add_co_u32_e32 v2, vcc, 0x3000, v14
	v_mov_b32_e32 v7, v3
	s_nop 0
	v_addc_co_u32_e32 v3, vcc, 0, v15, vcc
	s_waitcnt lgkmcnt(0)
	v_mov_b32_e32 v8, v10
	v_mov_b32_e32 v9, v11
	;; [unrolled: 1-line block ×4, first 2 shown]
	v_or_b32_e32 v20, 32, v25
	v_and_b32_e32 v18, 56, v76
	s_and_b64 vcc, exec, s[6:7]
	global_store_dwordx4 v[16:17], v[6:9], off
	global_store_dwordx4 v[2:3], v[10:13], off
	s_cbranch_vccz .LBB168_29
; %bb.24:
	s_mov_b32 s21, s20
	s_mov_b32 s22, s20
	;; [unrolled: 1-line block ×3, first 2 shown]
	v_mov_b64_e32 v[6:7], s[20:21]
	v_mov_b64_e32 v[8:9], s[22:23]
	;; [unrolled: 1-line block ×3, first 2 shown]
	v_cmp_gt_i32_e32 vcc, s45, v25
	v_mov_b64_e32 v[4:5], v[8:9]
	s_and_saveexec_b64 s[2:3], vcc
	s_cbranch_execz .LBB168_26
; %bb.25:
	v_lshlrev_b32_e32 v2, 8, v25
	v_mov_b32_e32 v3, 0
	v_lshl_add_u64 v[4:5], s[0:1], 0, v[2:3]
	v_lshlrev_b32_e32 v2, 1, v18
	v_lshl_add_u64 v[10:11], v[4:5], 0, v[2:3]
	global_load_dwordx4 v[6:9], v[10:11], off
	global_load_dwordx4 v[2:5], v[10:11], off offset:128
.LBB168_26:
	s_or_b64 exec, exec, s[2:3]
	s_mov_b32 s21, s20
	s_mov_b32 s22, s20
	s_mov_b32 s23, s20
	v_mov_b64_e32 v[14:15], s[20:21]
	v_mov_b64_e32 v[16:17], s[22:23]
	;; [unrolled: 1-line block ×3, first 2 shown]
	v_cmp_gt_i32_e32 vcc, s45, v20
	v_lshlrev_b32_e32 v21, 7, v20
	v_mov_b64_e32 v[12:13], v[16:17]
	s_and_saveexec_b64 s[2:3], vcc
	s_cbranch_execz .LBB168_28
; %bb.27:
	v_lshlrev_b32_e32 v10, 1, v21
	v_mov_b32_e32 v11, 0
	v_lshl_add_u64 v[12:13], s[0:1], 0, v[10:11]
	v_lshlrev_b32_e32 v10, 1, v18
	v_lshl_add_u64 v[26:27], v[12:13], 0, v[10:11]
	global_load_dwordx4 v[14:17], v[26:27], off
	global_load_dwordx4 v[10:13], v[26:27], off offset:128
.LBB168_28:
	s_or_b64 exec, exec, s[2:3]
	v_lshrrev_b32_e32 v26, 3, v18
	v_lshlrev_b32_e32 v27, 3, v25
	v_or_b32_e32 v26, v27, v26
	v_lshlrev_b32_e32 v26, 4, v26
	v_and_b32_e32 v27, 0x78, v27
	v_xor_b32_e32 v26, v26, v27
	s_branch .LBB168_31
.LBB168_29:
                                        ; implicit-def: $vgpr26
                                        ; implicit-def: $vgpr21
                                        ; implicit-def: $vgpr6_vgpr7_vgpr8_vgpr9
                                        ; implicit-def: $vgpr2_vgpr3_vgpr4_vgpr5
                                        ; implicit-def: $vgpr14_vgpr15_vgpr16_vgpr17
                                        ; implicit-def: $vgpr10_vgpr11_vgpr12_vgpr13
	s_cbranch_execz .LBB168_31
; %bb.30:
	s_waitcnt vmcnt(0)
	v_lshlrev_b32_e32 v2, 1, v18
	v_lshl_or_b32 v21, v25, 8, v2
	s_and_b32 s1, s1, 0xffff
	s_mov_b32 s3, 0x20000
	s_movk_i32 s2, 0x4000
	v_lshl_or_b32 v26, v20, 8, v2
	s_movk_i32 s13, 0x80
	buffer_load_dwordx4 v[6:9], v21, s[0:3], 0 offen
	buffer_load_dwordx4 v[2:5], v21, s[0:3], s13 offen
	buffer_load_dwordx4 v[14:17], v26, s[0:3], 0 offen
	buffer_load_dwordx4 v[10:13], v26, s[0:3], s13 offen
	v_lshrrev_b32_e32 v21, 3, v18
	v_lshlrev_b32_e32 v26, 3, v25
	v_or_b32_e32 v21, v26, v21
	v_lshlrev_b32_e32 v21, 4, v21
	v_and_b32_e32 v26, 0x78, v26
	v_xor_b32_e32 v26, v21, v26
	v_lshlrev_b32_e32 v21, 7, v20
.LBB168_31:
	s_movk_i32 s0, 0x1000
	v_and_or_b32 v20, v21, s0, v26
	s_waitcnt vmcnt(1)
	ds_write_b64 v26, v[6:7] offset:49152
	v_xor_b32_e32 v6, 8, v26
	ds_write_b64 v6, v[8:9] offset:49152
	s_waitcnt vmcnt(0)
	ds_write_b64 v26, v[2:3] offset:57344
	ds_write_b64 v6, v[4:5] offset:57344
	;; [unrolled: 1-line block ×3, first 2 shown]
	v_xor_b32_e32 v2, 8, v20
	ds_write_b64 v2, v[16:17] offset:49152
	ds_write_b64 v20, v[10:11] offset:57344
	;; [unrolled: 1-line block ×3, first 2 shown]
	v_or_b32_e32 v2, v1, v72
	v_lshlrev_b32_e32 v3, 11, v74
	v_lshlrev_b32_e32 v2, 3, v2
	v_and_b32_e32 v6, 0x1000, v3
	v_lshrrev_b32_e32 v3, 5, v73
	s_movk_i32 s0, 0xf8
	v_and_or_b32 v3, v2, s0, v3
	v_lshlrev_b32_e32 v7, 4, v3
	v_and_b32_e32 v8, 0x78, v2
	v_or_b32_e32 v10, 32, v7
	v_lshrrev_b32_e32 v3, 1, v73
	v_xor_b32_e32 v10, v10, v8
	v_xor_b32_e32 v2, v7, v8
	v_and_b32_e32 v9, 8, v3
	v_or_b32_e32 v10, v10, v6
	v_or_b32_e32 v2, v2, v6
	v_xor_b32_e32 v28, v10, v9
	v_or_b32_e32 v10, 64, v7
	v_xor_b32_e32 v27, v2, v9
	v_xor_b32_e32 v10, v10, v8
	s_waitcnt lgkmcnt(0)
	s_barrier
	v_or_b32_e32 v13, v10, v6
	ds_read_b64 v[10:11], v27 offset:49152
	v_lshl_or_b32 v14, v75, 8, v24
	v_lshlrev_b32_e32 v26, 1, v14
	v_add_u32_e32 v12, 0x4000, v26
	ds_read2_b64 v[2:5], v12 offset1:16
	v_or_b32_e32 v7, 0x60, v7
	v_xor_b32_e32 v7, v7, v8
	v_or_b32_e32 v6, v7, v6
	v_xor_b32_e32 v29, v13, v9
	v_xor_b32_e32 v30, v6, v9
	ds_read_b64 v[20:21], v28 offset:49152
	ds_read_b64 v[34:35], v29 offset:49152
	;; [unrolled: 1-line block ×3, first 2 shown]
	s_waitcnt lgkmcnt(3)
	v_mfma_f32_16x16x16_bf16 a[0:3], v[10:11], v[2:3], 0
	ds_read2_b64 v[6:9], v12 offset0:32 offset1:48
	s_lshl_b64 s[0:1], s[38:39], 8
	s_add_u32 s4, s4, s0
	v_mfma_f32_16x16x16_bf16 a[4:7], v[10:11], v[4:5], 0
	ds_read2st64_b64 v[2:5], v26 offset0:36 offset1:40
	s_addc_u32 s5, s5, s1
	s_add_i32 s0, s41, s40
	s_waitcnt lgkmcnt(1)
	v_mfma_f32_16x16x16_bf16 a[8:11], v[10:11], v[6:7], 0
	v_or_b32_e32 v6, 64, v14
	v_lshlrev_b32_e32 v31, 1, v6
	s_add_i32 s2, s35, -1
	s_waitcnt lgkmcnt(0)
	v_mfma_f32_16x16x16_bf16 a[0:3], v[20:21], v[2:3], a[0:3]
	v_or_b32_e32 v2, 0x80, v14
	v_lshlrev_b32_e32 v32, 1, v2
	v_or_b32_e32 v2, 0xc0, v14
	v_mfma_f32_16x16x16_bf16 a[12:15], v[10:11], v[8:9], 0
	ds_read2st64_b64 v[6:9], v31 offset0:36 offset1:40
	v_lshlrev_b32_e32 v33, 1, v2
	ds_read2st64_b64 v[10:13], v32 offset0:36 offset1:40
	ds_read2st64_b64 v[14:17], v33 offset0:36 offset1:40
	s_add_i32 s17, s0, s42
	s_mul_i32 s0, s33, s19
	s_mul_hi_u32 s1, s33, s18
	s_add_i32 s0, s1, s0
	s_mul_i32 s1, s12, s18
	s_ashr_i32 s3, s2, 31
	s_mul_i32 s12, s2, s29
	s_mul_hi_u32 s13, s2, s28
	s_waitcnt lgkmcnt(2)
	v_mfma_f32_16x16x16_bf16 a[4:7], v[20:21], v[6:7], a[4:7]
	s_add_i32 s12, s13, s12
	s_mul_i32 s3, s3, s28
	s_add_i32 s1, s0, s1
	s_waitcnt lgkmcnt(1)
	v_mfma_f32_16x16x16_bf16 a[8:11], v[20:21], v[10:11], a[8:11]
	s_add_i32 s3, s12, s3
	s_lshl_b64 s[12:13], s[16:17], 2
	s_mul_i32 s0, s33, s18
	s_waitcnt lgkmcnt(0)
	v_mfma_f32_16x16x16_bf16 a[12:15], v[20:21], v[14:15], a[12:15]
	s_add_u32 s10, s10, s12
	s_addc_u32 s11, s11, s13
	s_lshl_b64 s[0:1], s[0:1], 2
	v_mfma_f32_16x16x16_bf16 a[0:3], v[34:35], v[4:5], a[0:3]
	s_mul_i32 s2, s2, s28
	ds_read_b64 v[2:3], v26 offset:22528
	s_add_u32 s10, s10, s0
	v_mfma_f32_16x16x16_bf16 a[4:7], v[34:35], v[8:9], a[4:7]
	ds_read_b64 v[4:5], v31 offset:22528
	ds_read_b64 v[6:7], v32 offset:22528
	;; [unrolled: 1-line block ×3, first 2 shown]
	s_addc_u32 s11, s11, s1
	s_lshl_b64 s[0:1], s[2:3], 2
	v_mfma_f32_16x16x16_bf16 a[8:11], v[34:35], v[12:13], a[8:11]
	s_add_u32 s0, s10, s0
	s_addc_u32 s1, s11, s1
	s_load_dword s12, s[0:1], 0x0
	v_mfma_f32_16x16x16_bf16 a[12:15], v[34:35], v[16:17], a[12:15]
	s_and_b64 vcc, exec, s[26:27]
	s_waitcnt lgkmcnt(0)
	v_mfma_f32_16x16x16_bf16 a[0:3], v[36:37], v[2:3], a[0:3]
	v_mfma_f32_16x16x16_bf16 a[4:7], v[36:37], v[4:5], a[4:7]
	;; [unrolled: 1-line block ×4, first 2 shown]
	s_cbranch_vccz .LBB168_42
; %bb.32:
	v_lshlrev_b32_e32 v20, 1, v25
	s_and_b64 vcc, exec, s[6:7]
	s_cbranch_vccz .LBB168_43
; %bb.33:
	v_cmp_gt_i32_e32 vcc, s45, v20
	v_mov_b32_e32 v6, 0
	v_mov_b32_e32 v2, 0
	v_mov_b32_e32 v3, 0
	v_mov_b32_e32 v4, 0
	v_mov_b32_e32 v5, 0
	s_and_saveexec_b64 s[0:1], vcc
	s_cbranch_execz .LBB168_35
; %bb.34:
	v_mad_i64_i32 v[2:3], s[2:3], s15, v20, 0
	v_lshl_add_u64 v[2:3], v[2:3], 1, s[4:5]
	v_lshlrev_b32_e32 v4, 1, v18
	v_mov_b32_e32 v5, 0
	v_lshl_add_u64 v[2:3], v[2:3], 0, v[4:5]
	global_load_dwordx4 v[2:5], v[2:3], off
.LBB168_35:
	s_or_b64 exec, exec, s[0:1]
	v_or_b32_e32 v21, 1, v20
	v_cmp_gt_i32_e64 s[0:1], s45, v21
	v_mov_b32_e32 v7, 0
	v_mov_b32_e32 v8, 0
	;; [unrolled: 1-line block ×3, first 2 shown]
	s_and_saveexec_b64 s[2:3], s[0:1]
	s_cbranch_execz .LBB168_37
; %bb.36:
	v_mad_i64_i32 v[6:7], s[16:17], s15, v21, 0
	v_lshl_add_u64 v[6:7], v[6:7], 1, s[4:5]
	v_lshlrev_b32_e32 v8, 1, v18
	v_mov_b32_e32 v9, 0
	v_lshl_add_u64 v[6:7], v[6:7], 0, v[8:9]
	global_load_dwordx4 v[6:9], v[6:7], off
.LBB168_37:
	s_or_b64 exec, exec, s[2:3]
	v_mov_b32_e32 v17, 0
	v_mov_b32_e32 v10, 0
	;; [unrolled: 1-line block ×5, first 2 shown]
	s_and_saveexec_b64 s[2:3], vcc
	s_cbranch_execz .LBB168_39
; %bb.38:
	v_mad_i64_i32 v[10:11], s[16:17], s15, v20, 0
	v_lshl_add_u64 v[10:11], v[10:11], 1, s[4:5]
	v_lshlrev_b32_e32 v12, 1, v18
	v_mov_b32_e32 v13, 0
	v_lshl_add_u64 v[10:11], v[10:11], 0, v[12:13]
	global_load_dwordx4 v[10:13], v[10:11], off offset:128
.LBB168_39:
	s_or_b64 exec, exec, s[2:3]
	v_mov_b32_e32 v16, 0
	v_mov_b32_e32 v15, 0
	;; [unrolled: 1-line block ×3, first 2 shown]
	s_and_saveexec_b64 s[2:3], s[0:1]
	s_cbranch_execz .LBB168_41
; %bb.40:
	v_mad_i64_i32 v[14:15], s[0:1], s15, v21, 0
	v_lshl_add_u64 v[14:15], v[14:15], 1, s[4:5]
	v_lshlrev_b32_e32 v16, 1, v18
	v_mov_b32_e32 v17, 0
	v_lshl_add_u64 v[14:15], v[14:15], 0, v[16:17]
	global_load_dwordx4 v[14:17], v[14:15], off offset:128
.LBB168_41:
	s_or_b64 exec, exec, s[2:3]
	s_branch .LBB168_45
.LBB168_42:
                                        ; implicit-def: $vgpr5
                                        ; implicit-def: $vgpr9
                                        ; implicit-def: $vgpr13
                                        ; implicit-def: $vgpr17
	v_lshrrev_b32_e32 v34, 2, v73
	s_branch .LBB168_46
.LBB168_43:
                                        ; implicit-def: $vgpr5
                                        ; implicit-def: $vgpr9
                                        ; implicit-def: $vgpr13
                                        ; implicit-def: $vgpr17
	s_cbranch_execz .LBB168_45
; %bb.44:
	s_waitcnt vmcnt(0)
	v_mad_u64_u32 v[2:3], s[0:1], v20, s15, v[18:19]
	v_lshlrev_b32_e32 v20, 1, v2
	s_lshl_b32 s2, s15, 7
	s_and_b32 s1, s5, 0xffff
	s_mov_b32 s3, 0x20000
	s_mov_b32 s0, s4
	v_add_lshl_u32 v21, v2, s15, 1
	s_movk_i32 s13, 0x80
	buffer_load_dwordx4 v[2:5], v20, s[0:3], 0 offen
	buffer_load_dwordx4 v[10:13], v20, s[0:3], s13 offen
	;; [unrolled: 1-line block ×4, first 2 shown]
.LBB168_45:
	v_lshrrev_b32_e32 v34, 2, v73
	s_cbranch_execnz .LBB168_58
.LBB168_46:
	s_and_b64 vcc, exec, s[6:7]
	s_cbranch_vccz .LBB168_56
; %bb.47:
	s_waitcnt vmcnt(0)
	v_lshlrev_b32_e32 v7, 1, v25
	v_cmp_gt_i32_e32 vcc, s45, v7
	v_mov_b32_e32 v6, 0
	v_lshlrev_b32_e32 v14, 9, v25
	v_mov_b32_e32 v2, 0
	v_mov_b32_e32 v3, 0
	;; [unrolled: 1-line block ×4, first 2 shown]
	s_and_saveexec_b64 s[0:1], vcc
	s_cbranch_execz .LBB168_49
; %bb.48:
	v_mov_b32_e32 v15, 0
	v_lshl_add_u64 v[2:3], s[4:5], 0, v[14:15]
	v_lshlrev_b32_e32 v4, 1, v18
	v_mov_b32_e32 v5, v15
	v_lshl_add_u64 v[2:3], v[2:3], 0, v[4:5]
	global_load_dwordx4 v[2:5], v[2:3], off
.LBB168_49:
	s_or_b64 exec, exec, s[0:1]
	v_or_b32_e32 v7, 1, v7
	v_cmp_gt_i32_e64 s[0:1], s45, v7
	v_lshlrev_b32_e32 v20, 8, v7
	v_mov_b32_e32 v7, 0
	v_mov_b32_e32 v8, 0
	;; [unrolled: 1-line block ×3, first 2 shown]
	s_and_saveexec_b64 s[2:3], s[0:1]
	s_cbranch_execz .LBB168_51
; %bb.50:
	v_mov_b32_e32 v21, 0
	v_lshl_add_u64 v[6:7], s[4:5], 0, v[20:21]
	v_lshlrev_b32_e32 v8, 1, v18
	v_mov_b32_e32 v9, v21
	v_lshl_add_u64 v[6:7], v[6:7], 0, v[8:9]
	global_load_dwordx4 v[6:9], v[6:7], off
.LBB168_51:
	s_or_b64 exec, exec, s[2:3]
	v_mov_b32_e32 v17, 0
	v_mov_b32_e32 v10, 0
	;; [unrolled: 1-line block ×5, first 2 shown]
	s_and_saveexec_b64 s[2:3], vcc
	s_cbranch_execz .LBB168_53
; %bb.52:
	v_mov_b32_e32 v15, 0
	v_lshl_add_u64 v[10:11], s[4:5], 0, v[14:15]
	v_lshlrev_b32_e32 v14, 1, v18
	v_lshl_add_u64 v[10:11], v[10:11], 0, v[14:15]
	global_load_dwordx4 v[10:13], v[10:11], off offset:128
.LBB168_53:
	s_or_b64 exec, exec, s[2:3]
	v_mov_b32_e32 v16, 0
	v_mov_b32_e32 v15, 0
	;; [unrolled: 1-line block ×3, first 2 shown]
	s_and_saveexec_b64 s[2:3], s[0:1]
	s_cbranch_execz .LBB168_55
; %bb.54:
	v_mov_b32_e32 v21, 0
	v_lshl_add_u64 v[14:15], s[4:5], 0, v[20:21]
	v_lshlrev_b32_e32 v20, 1, v18
	v_lshl_add_u64 v[14:15], v[14:15], 0, v[20:21]
	global_load_dwordx4 v[14:17], v[14:15], off offset:128
.LBB168_55:
	s_or_b64 exec, exec, s[2:3]
	s_branch .LBB168_58
.LBB168_56:
                                        ; implicit-def: $vgpr5
                                        ; implicit-def: $vgpr9
                                        ; implicit-def: $vgpr13
                                        ; implicit-def: $vgpr17
	s_cbranch_execz .LBB168_58
; %bb.57:
	s_waitcnt vmcnt(0)
	v_lshlrev_b32_e32 v2, 1, v18
	v_lshl_or_b32 v18, v25, 9, v2
	s_and_b32 s5, s5, 0xffff
	s_mov_b32 s7, 0x20000
	s_movk_i32 s6, 0x4000
	s_movk_i32 s0, 0x80
	buffer_load_dwordx4 v[2:5], v18, s[4:7], 0 offen
	buffer_load_dwordx4 v[6:9], v18, s[4:7], 0 offen offset:256
	buffer_load_dwordx4 v[10:13], v18, s[4:7], s0 offen
	buffer_load_dwordx4 v[14:17], v18, s[4:7], s0 offen offset:256
.LBB168_58:
	ds_read_b64 v[20:21], v27 offset:57344
	v_add_u32_e32 v18, 0x6000, v26
	ds_read2_b64 v[36:39], v18 offset1:16
	ds_read_b64 v[52:53], v28 offset:57344
	ds_read_b64 v[28:29], v29 offset:57344
	;; [unrolled: 1-line block ×3, first 2 shown]
	ds_read2st64_b64 v[40:43], v26 offset0:52 offset1:56
	s_mov_b32 s0, 0x1000504
	s_mov_b32 s1, 0x3020706
	s_waitcnt lgkmcnt(4)
	v_mfma_f32_16x16x16_bf16 a[0:3], v[20:21], v[36:37], a[0:3]
	v_mfma_f32_16x16x16_bf16 a[4:7], v[20:21], v[38:39], a[4:7]
	ds_read2_b64 v[36:39], v18 offset0:32 offset1:48
	v_and_b32_e32 v18, 6, v0
	v_xor_b32_e32 v25, v25, v18
	s_waitcnt lgkmcnt(0)
	v_mfma_f32_16x16x16_bf16 a[8:11], v[20:21], v[36:37], a[8:11]
	v_lshlrev_b32_e32 v25, 2, v25
	v_and_b32_e32 v0, 1, v0
	v_xor_b32_e32 v35, 0x440, v25
	v_mfma_f32_16x16x16_bf16 a[12:15], v[20:21], v[38:39], a[12:15]
	ds_read2st64_b64 v[36:39], v31 offset0:52 offset1:56
	ds_read2st64_b64 v[44:47], v32 offset0:52 offset1:56
	;; [unrolled: 1-line block ×3, first 2 shown]
	v_cmp_eq_u32_e32 vcc, 0, v0
	ds_read_b64 v[20:21], v26 offset:30720
	ds_read_b64 v[26:27], v31 offset:30720
	;; [unrolled: 1-line block ×4, first 2 shown]
	v_mfma_f32_16x16x16_bf16 a[0:3], v[52:53], v[40:41], a[0:3]
	v_cndmask_b32_e32 v0, v35, v25, vcc
	v_lshl_or_b32 v0, v18, 10, v0
	s_waitcnt vmcnt(0)
	v_perm_b32 v18, v2, v6, s0
	s_waitcnt lgkmcnt(6)
	v_mfma_f32_16x16x16_bf16 a[4:7], v[52:53], v[36:37], a[4:7]
	v_perm_b32 v25, v10, v14, s0
	ds_write2st64_b32 v0, v18, v25 offset0:128 offset1:160
	v_xor_b32_e32 v18, 8, v0
	s_waitcnt lgkmcnt(6)
	v_mfma_f32_16x16x16_bf16 a[8:11], v[52:53], v[44:45], a[8:11]
	v_perm_b32 v2, v2, v6, s1
	v_perm_b32 v6, v10, v14, s1
	v_add_u32_e32 v10, 0x80, v18
	s_waitcnt lgkmcnt(5)
	v_mfma_f32_16x16x16_bf16 a[12:15], v[52:53], v[48:49], a[12:15]
	ds_write2st64_b32 v10, v2, v6 offset0:128 offset1:160
	v_xor_b32_e32 v2, 16, v0
	v_perm_b32 v6, v3, v7, s0
	v_mfma_f32_16x16x16_bf16 a[0:3], v[28:29], v[42:43], a[0:3]
	v_perm_b32 v10, v11, v15, s0
	ds_write2st64_b32 v2, v6, v10 offset0:129 offset1:161
	v_xor_b32_e32 v2, 24, v0
	v_mfma_f32_16x16x16_bf16 a[4:7], v[28:29], v[38:39], a[4:7]
	v_perm_b32 v3, v3, v7, s1
	v_perm_b32 v6, v11, v15, s1
	v_add_u32_e32 v2, 0x80, v2
	v_mfma_f32_16x16x16_bf16 a[16:19], v[28:29], v[46:47], a[8:11]
	ds_write2st64_b32 v2, v3, v6 offset0:129 offset1:161
	v_xor_b32_e32 v2, 32, v0
	v_perm_b32 v3, v4, v8, s0
	v_mfma_f32_16x16x16_bf16 a[20:23], v[28:29], v[50:51], a[12:15]
	v_perm_b32 v6, v12, v16, s0
	ds_write2st64_b32 v2, v3, v6 offset0:130 offset1:162
	v_xor_b32_e32 v2, 40, v0
	s_waitcnt lgkmcnt(8)
	v_mfma_f32_16x16x16_bf16 a[12:15], v[54:55], v[20:21], a[0:3]
	v_perm_b32 v3, v4, v8, s1
	v_perm_b32 v4, v12, v16, s1
	v_add_u32_e32 v2, 0x80, v2
	s_waitcnt lgkmcnt(7)
	v_mfma_f32_16x16x16_bf16 a[8:11], v[54:55], v[26:27], a[4:7]
	ds_write2st64_b32 v2, v3, v4 offset0:130 offset1:162
	v_xor_b32_e32 v2, 48, v0
	v_perm_b32 v3, v5, v9, s0
	s_waitcnt lgkmcnt(7)
	v_mfma_f32_16x16x16_bf16 a[4:7], v[54:55], v[30:31], a[16:19]
	v_perm_b32 v4, v13, v17, s0
	v_xor_b32_e32 v0, 56, v0
	v_and_or_b32 v18, v34, 12, v1
	s_waitcnt lgkmcnt(6)
	v_mfma_f32_16x16x16_bf16 a[0:3], v[54:55], v[32:33], a[20:23]
	ds_write2st64_b32 v2, v3, v4 offset0:131 offset1:163
	v_perm_b32 v2, v5, v9, s1
	v_perm_b32 v3, v13, v17, s1
	v_add_u32_e32 v0, 0x80, v0
	v_cmp_gt_i32_e32 vcc, s45, v18
	v_mov_b32_e32 v14, 0
	v_mov_b32_e32 v16, 0
	ds_write2st64_b32 v0, v2, v3 offset0:131 offset1:163
	s_and_saveexec_b64 s[0:1], vcc
	s_cbranch_execz .LBB168_60
; %bb.59:
	v_add_u32_e32 v0, s34, v18
	v_ashrrev_i32_e32 v1, 31, v0
	v_mul_lo_u32 v2, v1, s28
	v_mul_lo_u32 v3, v0, s29
	v_mad_u64_u32 v[0:1], s[2:3], v0, s28, 0
	v_add3_u32 v1, v1, v3, v2
	v_lshl_add_u64 v[0:1], v[0:1], 2, s[10:11]
	global_load_dword v0, v[0:1], off
	s_waitcnt vmcnt(0)
	v_sub_f32_e32 v0, s12, v0
	v_exp_f32_e32 v16, v0
.LBB168_60:
	s_or_b64 exec, exec, s[0:1]
	v_or_b32_e32 v8, 1, v18
	v_cmp_gt_i32_e64 s[0:1], s45, v8
	s_and_saveexec_b64 s[2:3], s[0:1]
	s_cbranch_execz .LBB168_62
; %bb.61:
	v_add_u32_e32 v0, s34, v8
	v_ashrrev_i32_e32 v1, 31, v0
	v_mul_lo_u32 v2, v1, s28
	v_mul_lo_u32 v3, v0, s29
	v_mad_u64_u32 v[0:1], s[4:5], v0, s28, 0
	v_add3_u32 v1, v1, v3, v2
	v_lshl_add_u64 v[0:1], v[0:1], 2, s[10:11]
	global_load_dword v0, v[0:1], off
	s_waitcnt vmcnt(0)
	v_sub_f32_e32 v0, s12, v0
	v_exp_f32_e32 v14, v0
.LBB168_62:
	s_or_b64 exec, exec, s[2:3]
	v_or_b32_e32 v10, 2, v18
	v_cmp_gt_i32_e64 s[2:3], s45, v10
	v_mov_b32_e32 v15, 0
	v_mov_b32_e32 v17, 0
	s_and_saveexec_b64 s[4:5], s[2:3]
	s_cbranch_execz .LBB168_64
; %bb.63:
	v_add_u32_e32 v0, s34, v10
	v_ashrrev_i32_e32 v1, 31, v0
	v_mul_lo_u32 v2, v1, s28
	v_mul_lo_u32 v3, v0, s29
	v_mad_u64_u32 v[0:1], s[6:7], v0, s28, 0
	v_add3_u32 v1, v1, v3, v2
	v_lshl_add_u64 v[0:1], v[0:1], 2, s[10:11]
	global_load_dword v0, v[0:1], off
	s_waitcnt vmcnt(0)
	v_sub_f32_e32 v0, s12, v0
	v_exp_f32_e32 v17, v0
.LBB168_64:
	s_or_b64 exec, exec, s[4:5]
	v_or_b32_e32 v12, 3, v18
	v_cmp_gt_i32_e64 s[4:5], s45, v12
	s_and_saveexec_b64 s[6:7], s[4:5]
	s_cbranch_execz .LBB168_66
; %bb.65:
	v_add_u32_e32 v0, s34, v12
	v_ashrrev_i32_e32 v1, 31, v0
	v_mul_lo_u32 v2, v1, s28
	v_mul_lo_u32 v3, v0, s29
	v_mad_u64_u32 v[0:1], s[14:15], v0, s28, 0
	v_add3_u32 v1, v1, v3, v2
	v_lshl_add_u64 v[0:1], v[0:1], 2, s[10:11]
	global_load_dword v0, v[0:1], off
	s_waitcnt vmcnt(0)
	v_sub_f32_e32 v0, s12, v0
	v_exp_f32_e32 v15, v0
.LBB168_66:
	s_or_b64 exec, exec, s[6:7]
	v_or_b32_e32 v4, s30, v72
	s_add_u32 s6, s8, s24
	v_accvgpr_read_b32 v0, a12
	s_addc_u32 s7, s9, s25
	v_ashrrev_i32_e32 v5, 31, v4
	v_accvgpr_read_b32 v1, a13
	v_accvgpr_read_b32 v2, a14
	;; [unrolled: 1-line block ×3, first 2 shown]
	v_lshl_add_u64 v[4:5], v[4:5], 1, s[6:7]
	v_mov_b32_e32 v9, 0
	v_lshlrev_b32_e32 v6, 8, v18
	v_mov_b32_e32 v7, 0
	s_and_saveexec_b64 s[6:7], vcc
	s_cbranch_execz .LBB168_68
; %bb.67:
	v_mov_b32_e32 v7, 0
	v_lshl_add_u64 v[20:21], v[4:5], 0, v[6:7]
	global_load_ushort v7, v[20:21], off
	s_waitcnt vmcnt(0)
	v_lshlrev_b32_e32 v7, 16, v7
	v_sub_f32_e32 v0, v7, v0
	v_mul_f32_e32 v0, v16, v0
	v_lshrrev_b32_e32 v7, 16, v0
.LBB168_68:
	s_or_b64 exec, exec, s[6:7]
	v_lshlrev_b32_e32 v8, 8, v8
	s_and_saveexec_b64 s[6:7], s[0:1]
	s_cbranch_execz .LBB168_70
; %bb.69:
	v_mov_b32_e32 v9, 0
	v_lshl_add_u64 v[20:21], v[4:5], 0, v[8:9]
	global_load_ushort v0, v[20:21], off
	s_waitcnt vmcnt(0)
	v_lshlrev_b32_e32 v0, 16, v0
	v_sub_f32_e32 v0, v0, v1
	v_mul_f32_e32 v0, v14, v0
	v_lshrrev_b32_e32 v9, 16, v0
.LBB168_70:
	s_or_b64 exec, exec, s[6:7]
	v_mov_b32_e32 v13, 0
	v_lshlrev_b32_e32 v10, 8, v10
	v_mov_b32_e32 v11, 0
	s_and_saveexec_b64 s[6:7], s[2:3]
	s_cbranch_execz .LBB168_72
; %bb.71:
	v_mov_b32_e32 v11, 0
	v_lshl_add_u64 v[0:1], v[4:5], 0, v[10:11]
	global_load_ushort v0, v[0:1], off
	s_waitcnt vmcnt(0)
	v_lshlrev_b32_e32 v0, 16, v0
	v_sub_f32_e32 v0, v0, v2
	v_mul_f32_e32 v0, v17, v0
	v_lshrrev_b32_e32 v11, 16, v0
.LBB168_72:
	s_or_b64 exec, exec, s[6:7]
	v_lshlrev_b32_e32 v12, 8, v12
	s_and_saveexec_b64 s[6:7], s[4:5]
	s_cbranch_execz .LBB168_74
; %bb.73:
	v_mov_b32_e32 v13, 0
	v_lshl_add_u64 v[0:1], v[4:5], 0, v[12:13]
	global_load_ushort v0, v[0:1], off
	s_waitcnt vmcnt(0)
	v_lshlrev_b32_e32 v0, 16, v0
	v_sub_f32_e32 v0, v0, v3
	v_mul_f32_e32 v0, v15, v0
	v_lshrrev_b32_e32 v13, 16, v0
.LBB168_74:
	s_or_b64 exec, exec, s[6:7]
	v_lshlrev_b32_e32 v18, 6, v18
	s_mov_b32 s6, 0x5040100
	v_perm_b32 v20, v9, v7, s6
	v_or_b32_e32 v7, v18, v24
	v_accvgpr_read_b32 v0, a8
	v_perm_b32 v21, v13, v11, s6
	v_lshlrev_b32_e32 v7, 1, v7
	v_accvgpr_read_b32 v1, a9
	v_accvgpr_read_b32 v2, a10
	;; [unrolled: 1-line block ×3, first 2 shown]
	ds_write_b64 v7, v[20:21] offset:24576
	v_mov_b32_e32 v9, 0
	v_mov_b32_e32 v7, 0
	s_and_saveexec_b64 s[6:7], vcc
	s_cbranch_execz .LBB168_76
; %bb.75:
	v_mov_b32_e32 v7, 0
	v_lshl_add_u64 v[20:21], v[4:5], 0, v[6:7]
	global_load_ushort v7, v[20:21], off offset:32
	s_waitcnt vmcnt(0)
	v_lshlrev_b32_e32 v7, 16, v7
	v_sub_f32_e32 v0, v7, v0
	v_mul_f32_e32 v0, v16, v0
	v_lshrrev_b32_e32 v7, 16, v0
.LBB168_76:
	s_or_b64 exec, exec, s[6:7]
	s_and_saveexec_b64 s[6:7], s[0:1]
	s_cbranch_execz .LBB168_78
; %bb.77:
	v_mov_b32_e32 v9, 0
	v_lshl_add_u64 v[20:21], v[4:5], 0, v[8:9]
	global_load_ushort v0, v[20:21], off offset:32
	s_waitcnt vmcnt(0)
	v_lshlrev_b32_e32 v0, 16, v0
	v_sub_f32_e32 v0, v0, v1
	v_mul_f32_e32 v0, v14, v0
	v_lshrrev_b32_e32 v9, 16, v0
.LBB168_78:
	s_or_b64 exec, exec, s[6:7]
	v_mov_b32_e32 v13, 0
	v_mov_b32_e32 v11, 0
	s_and_saveexec_b64 s[6:7], s[2:3]
	s_cbranch_execz .LBB168_80
; %bb.79:
	v_mov_b32_e32 v11, 0
	v_lshl_add_u64 v[0:1], v[4:5], 0, v[10:11]
	global_load_ushort v0, v[0:1], off offset:32
	s_waitcnt vmcnt(0)
	v_lshlrev_b32_e32 v0, 16, v0
	v_sub_f32_e32 v0, v0, v2
	v_mul_f32_e32 v0, v17, v0
	v_lshrrev_b32_e32 v11, 16, v0
.LBB168_80:
	s_or_b64 exec, exec, s[6:7]
	s_and_saveexec_b64 s[6:7], s[4:5]
	s_cbranch_execz .LBB168_82
; %bb.81:
	v_mov_b32_e32 v13, 0
	v_lshl_add_u64 v[0:1], v[4:5], 0, v[12:13]
	global_load_ushort v0, v[0:1], off offset:32
	s_waitcnt vmcnt(0)
	v_lshlrev_b32_e32 v0, 16, v0
	v_sub_f32_e32 v0, v0, v3
	v_mul_f32_e32 v0, v15, v0
	v_lshrrev_b32_e32 v13, 16, v0
.LBB168_82:
	s_or_b64 exec, exec, s[6:7]
	s_mov_b32 s6, 0x5040100
	v_perm_b32 v20, v9, v7, s6
	v_or_b32_e32 v7, v18, v23
	v_accvgpr_read_b32 v0, a4
	v_perm_b32 v21, v13, v11, s6
	v_lshlrev_b32_e32 v7, 1, v7
	v_accvgpr_read_b32 v1, a5
	v_accvgpr_read_b32 v2, a6
	;; [unrolled: 1-line block ×3, first 2 shown]
	ds_write_b64 v7, v[20:21] offset:24576
	v_mov_b32_e32 v9, 0
	v_mov_b32_e32 v7, 0
	s_and_saveexec_b64 s[6:7], vcc
	s_cbranch_execz .LBB168_84
; %bb.83:
	v_mov_b32_e32 v7, 0
	v_lshl_add_u64 v[20:21], v[4:5], 0, v[6:7]
	global_load_ushort v7, v[20:21], off offset:64
	s_waitcnt vmcnt(0)
	v_lshlrev_b32_e32 v7, 16, v7
	v_sub_f32_e32 v0, v7, v0
	v_mul_f32_e32 v0, v16, v0
	v_lshrrev_b32_e32 v7, 16, v0
.LBB168_84:
	s_or_b64 exec, exec, s[6:7]
	s_and_saveexec_b64 s[6:7], s[0:1]
	s_cbranch_execz .LBB168_86
; %bb.85:
	v_mov_b32_e32 v9, 0
	v_lshl_add_u64 v[20:21], v[4:5], 0, v[8:9]
	global_load_ushort v0, v[20:21], off offset:64
	s_waitcnt vmcnt(0)
	v_lshlrev_b32_e32 v0, 16, v0
	v_sub_f32_e32 v0, v0, v1
	v_mul_f32_e32 v0, v14, v0
	v_lshrrev_b32_e32 v9, 16, v0
.LBB168_86:
	s_or_b64 exec, exec, s[6:7]
	v_mov_b32_e32 v13, 0
	v_mov_b32_e32 v11, 0
	s_and_saveexec_b64 s[6:7], s[2:3]
	s_cbranch_execz .LBB168_88
; %bb.87:
	v_mov_b32_e32 v11, 0
	v_lshl_add_u64 v[0:1], v[4:5], 0, v[10:11]
	global_load_ushort v0, v[0:1], off offset:64
	s_waitcnt vmcnt(0)
	v_lshlrev_b32_e32 v0, 16, v0
	v_sub_f32_e32 v0, v0, v2
	v_mul_f32_e32 v0, v17, v0
	v_lshrrev_b32_e32 v11, 16, v0
.LBB168_88:
	s_or_b64 exec, exec, s[6:7]
	s_and_saveexec_b64 s[6:7], s[4:5]
	s_cbranch_execz .LBB168_90
; %bb.89:
	v_mov_b32_e32 v13, 0
	v_lshl_add_u64 v[0:1], v[4:5], 0, v[12:13]
	global_load_ushort v0, v[0:1], off offset:64
	s_waitcnt vmcnt(0)
	v_lshlrev_b32_e32 v0, 16, v0
	v_sub_f32_e32 v0, v0, v3
	v_mul_f32_e32 v0, v15, v0
	v_lshrrev_b32_e32 v13, 16, v0
.LBB168_90:
	s_or_b64 exec, exec, s[6:7]
	s_mov_b32 s6, 0x5040100
	v_perm_b32 v20, v9, v7, s6
	v_or_b32_e32 v7, v18, v22
	v_accvgpr_read_b32 v0, a0
	v_perm_b32 v21, v13, v11, s6
	v_lshlrev_b32_e32 v7, 1, v7
	v_accvgpr_read_b32 v1, a1
	v_accvgpr_read_b32 v2, a2
	;; [unrolled: 1-line block ×3, first 2 shown]
	ds_write_b64 v7, v[20:21] offset:24576
	v_mov_b32_e32 v9, 0
	v_mov_b32_e32 v7, 0
	s_and_saveexec_b64 s[6:7], vcc
	s_cbranch_execz .LBB168_92
; %bb.91:
	v_mov_b32_e32 v7, 0
	v_lshl_add_u64 v[6:7], v[4:5], 0, v[6:7]
	global_load_ushort v6, v[6:7], off offset:96
	s_waitcnt vmcnt(0)
	v_lshlrev_b32_e32 v6, 16, v6
	v_sub_f32_e32 v0, v6, v0
	v_mul_f32_e32 v0, v16, v0
	v_lshrrev_b32_e32 v7, 16, v0
.LBB168_92:
	s_or_b64 exec, exec, s[6:7]
	s_and_saveexec_b64 s[6:7], s[0:1]
	s_cbranch_execz .LBB168_94
; %bb.93:
	v_mov_b32_e32 v9, 0
	v_lshl_add_u64 v[8:9], v[4:5], 0, v[8:9]
	global_load_ushort v0, v[8:9], off offset:96
	s_waitcnt vmcnt(0)
	v_lshlrev_b32_e32 v0, 16, v0
	v_sub_f32_e32 v0, v0, v1
	v_mul_f32_e32 v0, v14, v0
	v_lshrrev_b32_e32 v9, 16, v0
.LBB168_94:
	s_or_b64 exec, exec, s[6:7]
	v_mov_b32_e32 v0, 0
	v_mov_b32_e32 v1, 0
	s_and_saveexec_b64 s[0:1], s[2:3]
	s_cbranch_execz .LBB168_96
; %bb.95:
	v_mov_b32_e32 v11, 0
	v_lshl_add_u64 v[10:11], v[4:5], 0, v[10:11]
	global_load_ushort v1, v[10:11], off offset:96
	s_waitcnt vmcnt(0)
	v_lshlrev_b32_e32 v1, 16, v1
	v_sub_f32_e32 v1, v1, v2
	v_mul_f32_e32 v1, v17, v1
	v_lshrrev_b32_e32 v1, 16, v1
.LBB168_96:
	s_or_b64 exec, exec, s[0:1]
	s_and_saveexec_b64 s[0:1], s[4:5]
	s_cbranch_execz .LBB168_98
; %bb.97:
	v_mov_b32_e32 v13, 0
	v_lshl_add_u64 v[4:5], v[4:5], 0, v[12:13]
	global_load_ushort v0, v[4:5], off offset:96
	s_waitcnt vmcnt(0)
	v_lshlrev_b32_e32 v0, 16, v0
	v_sub_f32_e32 v0, v0, v3
	v_mul_f32_e32 v0, v15, v0
	v_lshrrev_b32_e32 v0, 16, v0
.LBB168_98:
	s_or_b64 exec, exec, s[0:1]
	s_mov_b32 s0, 0x5040100
	v_or_b32_e32 v2, v18, v19
	v_perm_b32 v1, v0, v1, s0
	v_perm_b32 v0, v9, v7, s0
	v_lshlrev_b32_e32 v2, 1, v2
	ds_write_b64 v2, v[0:1] offset:24576
	s_waitcnt lgkmcnt(0)
	s_barrier
.LBB168_99:
	s_endpgm
	.section	.rodata,"a",@progbits
	.p2align	6, 0x0
	.amdhsa_kernel _ZN12_GLOBAL__N_139chunk_gated_delta_rule_fwd_h_hip_kernelILi64ELb0ELb0ELb0ELb1ELb1ELb0ELb1ELb0EEEvPK12hip_bfloat16S3_S3_PKfS5_PKvPS1_S8_PvPKiSB_iiiiilll
		.amdhsa_group_segment_fixed_size 65536
		.amdhsa_private_segment_fixed_size 0
		.amdhsa_kernarg_size 136
		.amdhsa_user_sgpr_count 2
		.amdhsa_user_sgpr_dispatch_ptr 0
		.amdhsa_user_sgpr_queue_ptr 0
		.amdhsa_user_sgpr_kernarg_segment_ptr 1
		.amdhsa_user_sgpr_dispatch_id 0
		.amdhsa_user_sgpr_kernarg_preload_length 0
		.amdhsa_user_sgpr_kernarg_preload_offset 0
		.amdhsa_user_sgpr_private_segment_size 0
		.amdhsa_uses_dynamic_stack 0
		.amdhsa_enable_private_segment 0
		.amdhsa_system_sgpr_workgroup_id_x 1
		.amdhsa_system_sgpr_workgroup_id_y 1
		.amdhsa_system_sgpr_workgroup_id_z 0
		.amdhsa_system_sgpr_workgroup_info 0
		.amdhsa_system_vgpr_workitem_id 0
		.amdhsa_next_free_vgpr 216
		.amdhsa_next_free_sgpr 60
		.amdhsa_accum_offset 180
		.amdhsa_reserve_vcc 1
		.amdhsa_float_round_mode_32 0
		.amdhsa_float_round_mode_16_64 0
		.amdhsa_float_denorm_mode_32 3
		.amdhsa_float_denorm_mode_16_64 3
		.amdhsa_dx10_clamp 1
		.amdhsa_ieee_mode 1
		.amdhsa_fp16_overflow 0
		.amdhsa_tg_split 0
		.amdhsa_exception_fp_ieee_invalid_op 0
		.amdhsa_exception_fp_denorm_src 0
		.amdhsa_exception_fp_ieee_div_zero 0
		.amdhsa_exception_fp_ieee_overflow 0
		.amdhsa_exception_fp_ieee_underflow 0
		.amdhsa_exception_fp_ieee_inexact 0
		.amdhsa_exception_int_div_zero 0
	.end_amdhsa_kernel
	.section	.text._ZN12_GLOBAL__N_139chunk_gated_delta_rule_fwd_h_hip_kernelILi64ELb0ELb0ELb0ELb1ELb1ELb0ELb1ELb0EEEvPK12hip_bfloat16S3_S3_PKfS5_PKvPS1_S8_PvPKiSB_iiiiilll,"axG",@progbits,_ZN12_GLOBAL__N_139chunk_gated_delta_rule_fwd_h_hip_kernelILi64ELb0ELb0ELb0ELb1ELb1ELb0ELb1ELb0EEEvPK12hip_bfloat16S3_S3_PKfS5_PKvPS1_S8_PvPKiSB_iiiiilll,comdat
.Lfunc_end168:
	.size	_ZN12_GLOBAL__N_139chunk_gated_delta_rule_fwd_h_hip_kernelILi64ELb0ELb0ELb0ELb1ELb1ELb0ELb1ELb0EEEvPK12hip_bfloat16S3_S3_PKfS5_PKvPS1_S8_PvPKiSB_iiiiilll, .Lfunc_end168-_ZN12_GLOBAL__N_139chunk_gated_delta_rule_fwd_h_hip_kernelILi64ELb0ELb0ELb0ELb1ELb1ELb0ELb1ELb0EEEvPK12hip_bfloat16S3_S3_PKfS5_PKvPS1_S8_PvPKiSB_iiiiilll
                                        ; -- End function
	.section	.AMDGPU.csdata,"",@progbits
; Kernel info:
; codeLenInByte = 10664
; NumSgprs: 66
; NumVgprs: 178
; NumAgprs: 36
; TotalNumVgprs: 216
; ScratchSize: 0
; MemoryBound: 0
; FloatMode: 240
; IeeeMode: 1
; LDSByteSize: 65536 bytes/workgroup (compile time only)
; SGPRBlocks: 8
; VGPRBlocks: 26
; NumSGPRsForWavesPerEU: 66
; NumVGPRsForWavesPerEU: 216
; AccumOffset: 180
; Occupancy: 1
; WaveLimiterHint : 1
; COMPUTE_PGM_RSRC2:SCRATCH_EN: 0
; COMPUTE_PGM_RSRC2:USER_SGPR: 2
; COMPUTE_PGM_RSRC2:TRAP_HANDLER: 0
; COMPUTE_PGM_RSRC2:TGID_X_EN: 1
; COMPUTE_PGM_RSRC2:TGID_Y_EN: 1
; COMPUTE_PGM_RSRC2:TGID_Z_EN: 0
; COMPUTE_PGM_RSRC2:TIDIG_COMP_CNT: 0
; COMPUTE_PGM_RSRC3_GFX90A:ACCUM_OFFSET: 44
; COMPUTE_PGM_RSRC3_GFX90A:TG_SPLIT: 0
	.section	.text._ZN12_GLOBAL__N_139chunk_gated_delta_rule_fwd_h_hip_kernelILi64ELb1ELb1ELb1ELb0ELb1ELb0ELb1ELb0EEEvPK12hip_bfloat16S3_S3_PKfS5_PKvPS1_S8_PvPKiSB_iiiiilll,"axG",@progbits,_ZN12_GLOBAL__N_139chunk_gated_delta_rule_fwd_h_hip_kernelILi64ELb1ELb1ELb1ELb0ELb1ELb0ELb1ELb0EEEvPK12hip_bfloat16S3_S3_PKfS5_PKvPS1_S8_PvPKiSB_iiiiilll,comdat
	.globl	_ZN12_GLOBAL__N_139chunk_gated_delta_rule_fwd_h_hip_kernelILi64ELb1ELb1ELb1ELb0ELb1ELb0ELb1ELb0EEEvPK12hip_bfloat16S3_S3_PKfS5_PKvPS1_S8_PvPKiSB_iiiiilll ; -- Begin function _ZN12_GLOBAL__N_139chunk_gated_delta_rule_fwd_h_hip_kernelILi64ELb1ELb1ELb1ELb0ELb1ELb0ELb1ELb0EEEvPK12hip_bfloat16S3_S3_PKfS5_PKvPS1_S8_PvPKiSB_iiiiilll
	.p2align	8
	.type	_ZN12_GLOBAL__N_139chunk_gated_delta_rule_fwd_h_hip_kernelILi64ELb1ELb1ELb1ELb0ELb1ELb0ELb1ELb0EEEvPK12hip_bfloat16S3_S3_PKfS5_PKvPS1_S8_PvPKiSB_iiiiilll,@function
_ZN12_GLOBAL__N_139chunk_gated_delta_rule_fwd_h_hip_kernelILi64ELb1ELb1ELb1ELb0ELb1ELb0ELb1ELb0EEEvPK12hip_bfloat16S3_S3_PKfS5_PKvPS1_S8_PvPKiSB_iiiiilll: ; @_ZN12_GLOBAL__N_139chunk_gated_delta_rule_fwd_h_hip_kernelILi64ELb1ELb1ELb1ELb0ELb1ELb0ELb1ELb0EEEvPK12hip_bfloat16S3_S3_PKfS5_PKvPS1_S8_PvPKiSB_iiiiilll
; %bb.0:
	s_load_dwordx4 s[20:23], s[0:1], 0x5c
	s_load_dwordx4 s[24:27], s[0:1], 0x70
	s_abs_i32 s6, s3
	s_ashr_i32 s5, s3, 31
	v_and_b32_e32 v88, 15, v0
	s_waitcnt lgkmcnt(0)
	s_abs_i32 s4, s21
	v_cvt_f32_u32_e32 v1, s4
	s_sub_i32 s8, 0, s4
	s_ashr_i32 s7, s21, 31
	s_xor_b32 s5, s5, s7
	v_rcp_iflag_f32_e32 v1, v1
	v_bfe_u32 v87, v0, 4, 2
	v_mov_b32_e32 v67, 0
	v_lshlrev_b32_e32 v89, 3, v0
	v_mul_f32_e32 v1, 0x4f7ffffe, v1
	v_cvt_u32_f32_e32 v1, v1
	s_nop 0
	v_readfirstlane_b32 s9, v1
	s_mul_i32 s8, s8, s9
	s_mul_hi_u32 s8, s9, s8
	s_add_i32 s9, s9, s8
	s_mul_hi_u32 s8, s6, s9
	s_mul_i32 s9, s8, s4
	s_sub_i32 s6, s6, s9
	s_add_i32 s10, s8, 1
	s_sub_i32 s9, s6, s4
	s_cmp_ge_u32 s6, s4
	s_cselect_b32 s8, s10, s8
	s_cselect_b32 s6, s9, s6
	s_add_i32 s9, s8, 1
	s_cmp_ge_u32 s6, s4
	s_cselect_b32 s6, s9, s8
	s_xor_b32 s6, s6, s5
	s_add_i32 s8, s20, 63
	s_sub_i32 s55, s6, s5
	s_ashr_i32 s9, s8, 31
	s_mul_i32 s12, s55, s21
	s_sub_i32 s52, s3, s12
	s_lshr_b32 s3, s9, 26
	s_add_i32 s8, s8, s3
	s_abs_i32 s3, s22
	v_cvt_f32_u32_e32 v1, s3
	s_ashr_i32 s54, s20, 31
	s_lshr_b32 s5, s54, 26
	s_add_i32 s5, s20, s5
	v_rcp_iflag_f32_e32 v1, v1
	s_ashr_i32 s57, s22, 31
	s_ashr_i32 s56, s5, 6
	s_xor_b32 s5, s7, s57
	v_mul_f32_e32 v1, 0x4f7ffffe, v1
	v_cvt_u32_f32_e32 v1, v1
	s_sub_i32 s6, 0, s3
	s_ashr_i32 s28, s8, 6
	s_lshl_b32 s2, s2, 6
	v_readfirstlane_b32 s7, v1
	s_mul_i32 s6, s6, s7
	s_mul_hi_u32 s6, s7, s6
	s_add_i32 s7, s7, s6
	s_mul_hi_u32 s6, s4, s7
	s_mul_i32 s7, s6, s3
	s_sub_i32 s4, s4, s7
	s_add_i32 s7, s6, 1
	s_sub_i32 s8, s4, s3
	s_cmp_ge_u32 s4, s3
	s_cselect_b32 s6, s7, s6
	s_cselect_b32 s4, s8, s4
	s_add_i32 s7, s6, 1
	s_cmp_ge_u32 s4, s3
	s_cselect_b32 s3, s7, s6
	s_xor_b32 s3, s3, s5
	s_sub_i32 s3, s3, s5
	s_abs_i32 s13, s3
	v_cvt_f32_u32_e32 v1, s13
	s_sub_i32 s15, 0, s13
	s_abs_i32 s14, s52
	s_xor_b32 s3, s52, s3
	v_rcp_iflag_f32_e32 v2, v1
	s_ashr_i32 s3, s3, 31
	s_load_dwordx8 s[4:11], s[0:1], 0x28
	v_lshrrev_b32_e32 v1, 6, v0
	v_mul_f32_e32 v2, 0x4f7ffffe, v2
	v_cvt_u32_f32_e32 v2, v2
	v_or_b32_e32 v76, s2, v88
	v_lshlrev_b32_e32 v86, 4, v1
	v_lshlrev_b32_e32 v68, 7, v76
	v_readfirstlane_b32 s16, v2
	s_mul_i32 s15, s15, s16
	s_mul_hi_u32 s15, s16, s15
	s_add_i32 s16, s16, s15
	s_mul_hi_u32 s15, s14, s16
	s_mul_i32 s16, s15, s13
	s_sub_i32 s14, s14, s16
	s_add_i32 s16, s15, 1
	s_sub_i32 s17, s14, s13
	s_cmp_ge_u32 s14, s13
	s_cselect_b32 s15, s16, s15
	s_cselect_b32 s14, s17, s14
	s_add_i32 s16, s15, 1
	s_cmp_ge_u32 s14, s13
	s_cselect_b32 s13, s16, s15
	s_xor_b32 s13, s13, s3
	s_sub_i32 s58, s13, s3
	s_ashr_i32 s3, s55, 31
	s_ashr_i32 s53, s52, 31
	s_mul_hi_i32 s13, s55, s21
	s_add_u32 s42, s12, s52
	s_addc_u32 s43, s13, s53
	s_lshl_b64 s[34:35], s[42:43], 16
	s_waitcnt lgkmcnt(0)
	s_add_u32 s4, s4, s34
	v_lshl_or_b32 v91, v87, 2, v86
	s_addc_u32 s5, s5, s35
	v_ashrrev_i32_e32 v69, 31, v68
	v_lshl_add_u64 v[2:3], v[68:69], 2, s[4:5]
	v_lshlrev_b32_e32 v66, 2, v91
	v_or_b32_e32 v70, 0x800, v68
	v_lshl_add_u64 v[10:11], v[2:3], 0, v[66:67]
	v_ashrrev_i32_e32 v71, 31, v70
	global_load_dwordx4 v[6:9], v[10:11], off
	global_load_dwordx4 v[2:5], v[10:11], off offset:256
	v_lshl_add_u64 v[10:11], v[70:71], 2, s[4:5]
	v_or_b32_e32 v72, 0x1000, v68
	v_lshl_add_u64 v[18:19], v[10:11], 0, v[66:67]
	v_ashrrev_i32_e32 v73, 31, v72
	global_load_dwordx4 v[14:17], v[18:19], off
	global_load_dwordx4 v[10:13], v[18:19], off offset:256
	v_lshl_add_u64 v[18:19], v[72:73], 2, s[4:5]
	;; [unrolled: 6-line block ×3, first 2 shown]
	v_lshl_add_u64 v[34:35], v[26:27], 0, v[66:67]
	global_load_dwordx4 v[30:33], v[34:35], off
	global_load_dwordx4 v[26:29], v[34:35], off offset:256
	s_load_dwordx8 s[12:19], s[0:1], 0x0
	s_load_dwordx2 s[36:37], s[0:1], 0x80
	v_and_b32_e32 v67, 63, v0
	s_mul_i32 s59, s55, s28
	v_or_b32_e32 v92, 64, v91
	s_cmp_lt_i32 s20, 64
	v_lshrrev_b32_e32 v90, 3, v67
	s_mul_i32 s60, s43, s20
	s_mul_hi_u32 s61, s42, s20
	s_mul_i32 s4, s42, s20
	s_mul_i32 s33, s55, s25
	s_mul_hi_u32 s48, s55, s24
	s_mul_i32 s43, s3, s24
	s_mul_i32 s40, s55, s24
	s_mul_i32 s49, s52, s27
	s_mul_hi_u32 s50, s52, s26
	s_mul_i32 s51, s53, s26
	s_mul_i32 s38, s52, s26
	s_cbranch_scc1 .LBB169_18
; %bb.1:
	s_add_i32 s5, s61, s60
	s_lshl_b64 s[0:1], s[4:5], 8
	v_and_b32_e32 v94, 56, v89
	s_waitcnt lgkmcnt(0)
	s_add_u32 s24, s14, s0
	v_lshl_or_b32 v93, v1, 3, v90
	v_lshlrev_b32_e32 v34, 1, v94
	s_addc_u32 s0, s15, s1
	v_lshl_or_b32 v95, v93, 8, v34
	s_and_b32 s25, s0, 0xffff
	s_mov_b32 s27, 0x20000
	s_movk_i32 s26, 0x4000
	s_movk_i32 s0, 0x80
	v_or_b32_e32 v96, 0x2000, v95
	buffer_load_dwordx4 v[36:39], v95, s[24:27], 0 offen
	buffer_load_dwordx4 v[40:43], v95, s[24:27], s0 offen
	;; [unrolled: 1-line block ×4, first 2 shown]
	v_lshlrev_b32_e32 v35, 3, v93
	v_and_or_b32 v53, v0, 7, v35
	v_and_b32_e32 v35, 0x78, v35
	v_lshlrev_b32_e32 v53, 4, v53
	v_xor_b32_e32 v97, v53, v35
	v_mul_lo_u32 v52, v93, s23
	v_or_b32_e32 v98, 0x1000, v97
	v_xor_b32_e32 v35, 8, v97
	s_cmpk_eq_i32 s23, 0x80
	s_mov_b32 s62, s22
	v_xor_b32_e32 v53, 8, v98
	s_cselect_b64 s[0:1], -1, 0
	s_cmpk_lg_i32 s23, 0x80
	s_waitcnt vmcnt(3)
	ds_write_b64 v97, v[36:37] offset:49152
	ds_write_b64 v35, v[38:39] offset:49152
	s_waitcnt vmcnt(2)
	ds_write_b64 v97, v[40:41] offset:57344
	ds_write_b64 v35, v[42:43] offset:57344
	;; [unrolled: 3-line block ×4, first 2 shown]
	v_lshl_add_u32 v35, v52, 1, v94
	s_cbranch_scc0 .LBB169_3
; %bb.2:
	v_lshlrev_b32_e32 v37, 1, v35
	v_add_lshl_u32 v36, v35, s23, 1
	s_lshl_b32 s26, s23, 7
	v_lshl_or_b32 v34, v93, 9, v34
	s_cbranch_execz .LBB169_4
	s_branch .LBB169_5
.LBB169_3:
                                        ; implicit-def: $vgpr36
                                        ; implicit-def: $vgpr37
                                        ; implicit-def: $sgpr26
	v_lshl_or_b32 v34, v93, 9, v34
.LBB169_4:
	v_or_b32_e32 v36, 0x100, v34
	s_movk_i32 s26, 0x4000
	v_mov_b32_e32 v37, v34
.LBB169_5:
	s_mul_hi_u32 s24, s22, s20
	s_mul_i32 s25, s57, s20
	s_add_i32 s24, s24, s25
	s_mul_i32 s25, s22, s20
	s_mul_i32 s27, s25, s3
	s_mul_hi_u32 s28, s25, s55
	s_add_i32 s27, s28, s27
	s_mul_i32 s24, s24, s55
	s_add_i32 s27, s27, s24
	s_mul_i32 s25, s25, s55
	s_ashr_i32 s63, s58, 31
	s_add_u32 s24, s25, s58
	s_addc_u32 s25, s27, s63
	s_lshl_b64 s[24:25], s[24:25], 8
	s_add_u32 s24, s12, s24
	s_addc_u32 s25, s13, s25
	s_and_b32 s25, s25, 0xffff
	s_mov_b32 s27, 0x20000
	s_movk_i32 s64, 0x80
	buffer_load_dwordx4 v[38:41], v37, s[24:27], 0 offen
	buffer_load_dwordx4 v[42:45], v37, s[24:27], s64 offen
	;; [unrolled: 1-line block ×4, first 2 shown]
	v_and_b32_e32 v37, 6, v0
	v_lshlrev_b32_e32 v36, 7, v91
	v_xor_b32_e32 v58, v93, v37
	v_and_b32_e32 v54, 1, v0
	v_lshl_or_b32 v61, v88, 3, v36
	v_lshlrev_b32_e32 v58, 2, v58
	v_or_b32_e32 v99, 0x4000, v61
	v_or_b32_e32 v100, 0x6000, v61
	v_xor_b32_e32 v61, 0x440, v58
	v_cmp_eq_u32_e32 vcc, 0, v54
	v_lshlrev_b32_e32 v55, 2, v88
	s_mov_b32 s66, 0x1000504
	v_cndmask_b32_e32 v54, v61, v58, vcc
	v_xor_b32_e32 v59, v91, v55
	v_xor_b32_e32 v60, v92, v55
	v_lshl_or_b32 v37, v37, 10, v54
	s_mov_b32 s67, 0x3020706
	v_lshlrev_b32_e32 v56, 8, v88
	v_or_b32_e32 v57, 16, v88
	v_lshlrev_b32_e32 v59, 1, v59
	v_lshlrev_b32_e32 v60, 1, v60
	v_xor_b32_e32 v54, 8, v37
	v_xor_b32_e32 v58, 24, v37
	;; [unrolled: 1-line block ×4, first 2 shown]
	s_mul_i32 s3, s3, s20
	s_mul_hi_u32 s24, s55, s20
	v_or_b32_e32 v102, v56, v59
	v_or_b32_e32 v103, v56, v60
	v_xor_b32_e32 v56, 16, v37
	v_xor_b32_e32 v61, 32, v37
	;; [unrolled: 1-line block ×3, first 2 shown]
	v_add_u32_e32 v54, 0x80, v54
	v_add_u32_e32 v58, 0x80, v58
	;; [unrolled: 1-line block ×4, first 2 shown]
	s_add_i32 s69, s24, s3
	s_add_i32 s3, s48, s33
	;; [unrolled: 1-line block ×5, first 2 shown]
	s_lshl_b64 s[24:25], s[40:41], 2
	s_add_u32 s3, s18, s24
	s_addc_u32 s28, s19, s25
	s_lshl_b64 s[24:25], s[38:39], 2
	s_add_u32 s44, s3, s24
	s_movk_i32 s3, 0xf8
	s_addc_u32 s45, s28, s25
	s_lshl_b32 s30, s23, 7
	s_movk_i32 s28, 0x100
	v_mov_b32_e32 v79, 0
	v_cmp_gt_u32_e32 vcc, s28, v0
	v_lshl_or_b32 v62, v57, 3, v36
	s_mov_b32 s65, 0
	s_mul_i32 s68, s55, s20
	v_or_b32_e32 v101, 0x4000, v62
	s_movk_i32 s26, 0x4000
	v_or_b32_e32 v104, 0x6000, v62
	s_movk_i32 s39, 0x2000
	s_movk_i32 s41, 0x3000
	s_mov_b32 s71, 0
	s_waitcnt vmcnt(1)
	v_perm_b32 v77, v38, v46, s66
	s_waitcnt vmcnt(0)
	v_perm_b32 v78, v42, v50, s66
	v_perm_b32 v38, v38, v46, s67
	;; [unrolled: 1-line block ×15, first 2 shown]
	ds_write2st64_b32 v37, v77, v78 offset0:128 offset1:160
	ds_write2st64_b32 v54, v38, v42 offset0:128 offset1:160
	;; [unrolled: 1-line block ×8, first 2 shown]
	v_lshlrev_b32_e32 v37, 8, v57
	v_or_b32_e32 v105, v37, v59
	v_or_b32_e32 v106, v37, v60
	;; [unrolled: 1-line block ×3, first 2 shown]
	v_lshl_or_b32 v38, v37, 3, v36
	v_lshlrev_b32_e32 v37, 8, v37
	v_or_b32_e32 v109, v37, v59
	v_or_b32_e32 v110, v37, v60
	;; [unrolled: 1-line block ×5, first 2 shown]
	v_lshl_or_b32 v38, v37, 3, v36
	v_lshlrev_b32_e32 v37, 8, v37
	v_or_b32_e32 v113, v37, v59
	v_or_b32_e32 v114, v37, v60
	;; [unrolled: 1-line block ×3, first 2 shown]
	v_lshlrev_b32_e32 v37, 3, v37
	v_lshrrev_b32_e32 v39, 5, v67
	v_and_or_b32 v39, v37, s3, v39
	v_lshlrev_b32_e32 v39, 4, v39
	v_lshlrev_b32_e32 v40, 11, v1
	v_and_b32_e32 v37, 0x78, v37
	v_or_b32_e32 v45, 32, v39
	v_or_b32_e32 v111, 0x4000, v38
	;; [unrolled: 1-line block ×3, first 2 shown]
	v_and_b32_e32 v38, 0x1000, v40
	v_xor_b32_e32 v41, v39, v37
	v_lshrrev_b32_e32 v42, 1, v0
	v_xor_b32_e32 v45, v45, v37
	v_or_b32_e32 v41, v41, v38
	v_and_b32_e32 v43, 8, v42
	v_or_b32_e32 v45, v45, v38
	v_xor_b32_e32 v115, v41, v43
	v_lshlrev_b32_e32 v41, 8, v87
	v_xor_b32_e32 v117, v45, v43
	v_or_b32_e32 v45, 64, v39
	v_or_b32_e32 v39, 0x60, v39
	s_ashr_i32 s3, s2, 31
	v_or_b32_e32 v44, v41, v55
	v_xor_b32_e32 v45, v45, v37
	v_xor_b32_e32 v37, v39, v37
	s_lshl_b64 s[24:25], s[2:3], 8
	v_lshlrev_b32_e32 v44, 1, v44
	v_or_b32_e32 v45, v45, v38
	v_or_b32_e32 v37, v37, v38
	s_add_u32 s24, s6, s24
	v_lshlrev_b32_e32 v38, 1, v88
	v_or_b32_e32 v116, 0x4000, v44
	v_or_b32_e32 v118, 0x4080, v44
	;; [unrolled: 1-line block ×8, first 2 shown]
	v_lshrrev_b32_e32 v44, 4, v0
	s_addc_u32 s25, s7, s25
	v_or_b32_e32 v39, 1, v38
	v_lshlrev_b32_e32 v78, 4, v88
	v_mov_b32_e32 v48, 0xa000
	v_mov_b32_e32 v49, 0x8000
	v_xor_b32_e32 v121, v45, v43
	v_xor_b32_e32 v45, v44, v38
	;; [unrolled: 1-line block ×3, first 2 shown]
	v_lshl_add_u64 v[38:39], s[24:25], 0, v[78:79]
	v_lshlrev_b32_e32 v78, 8, v44
	v_cndmask_b32_e32 v48, v48, v49, vcc
	v_lshlrev_b32_e32 v49, 3, v1
	v_and_b32_e32 v42, 24, v42
	v_lshl_or_b32 v127, v45, 3, v78
	v_and_b32_e32 v45, 8, v0
	v_xor_b32_e32 v50, v49, v42
	v_or_b32_e32 v51, 0x440, v50
	v_cmp_eq_u32_e32 vcc, 0, v45
	v_and_b32_e32 v44, 7, v0
	v_lshl_or_b32 v128, v46, 3, v78
	v_cndmask_b32_e32 v45, v51, v50, vcc
	v_lshlrev_b32_e32 v46, 3, v44
	v_lshlrev_b32_e32 v44, 7, v44
	v_or_b32_e32 v45, v45, v40
	v_lshlrev_b32_e32 v47, 2, v0
	v_xad_u32 v129, v45, v46, v44
	v_or_b32_e32 v45, 32, v42
	v_and_or_b32 v41, v47, 60, v41
	v_xor_b32_e32 v45, v49, v45
	v_lshlrev_b32_e32 v41, 1, v41
	v_or_b32_e32 v47, 0x440, v45
	v_or_b32_e32 v130, 0x6000, v41
	v_cndmask_b32_e32 v45, v47, v45, vcc
	v_or_b32_e32 v132, 0x6080, v41
	v_or_b32_e32 v133, 0x6100, v41
	;; [unrolled: 1-line block ×5, first 2 shown]
	v_xor_b32_e32 v41, v49, v41
	v_xad_u32 v131, v45, v46, v44
	v_xor_b32_e32 v45, 0x440, v41
	v_cndmask_b32_e32 v41, v45, v41, vcc
	v_or_b32_e32 v41, v41, v40
	v_xad_u32 v135, v41, v46, v44
	v_or_b32_e32 v41, 0x60, v42
	v_xor_b32_e32 v41, v49, v41
	v_xor_b32_e32 v42, 0x440, v41
	v_cndmask_b32_e32 v41, v42, v41, vcc
	v_xor_b32_e32 v122, v37, v43
	v_ashrrev_i32_e32 v77, 31, v76
	v_lshlrev_b32_e32 v37, 1, v35
	v_add_lshl_u32 v35, v35, s23, 1
	v_or_b32_e32 v43, 0x100, v34
	v_or_b32_e32 v40, v41, v40
	v_xad_u32 v136, v40, v46, v44
	v_cndmask_b32_e64 v137, v37, v34, s[0:1]
	v_cndmask_b32_e64 v138, v35, v43, s[0:1]
	v_lshlrev_b64 v[34:35], 1, v[76:77]
	v_lshl_add_u64 v[80:81], s[16:17], 0, v[34:35]
	v_lshl_add_u64 v[82:83], s[8:9], 0, v[34:35]
	;; [unrolled: 1-line block ×3, first 2 shown]
	s_mov_b32 s3, 0x7060302
	v_lshlrev_b32_e32 v78, 1, v36
	v_add_u32_e32 v77, v48, v129
	v_add_u32_e32 v139, v48, v131
	v_add_u32_e32 v140, v48, v135
	v_add_u32_e32 v141, v48, v136
	s_waitcnt lgkmcnt(0)
	s_barrier
.LBB169_6:                              ; =>This Inner Loop Header: Depth=1
	s_add_i32 s70, s71, 1
	s_cmp_lt_i32 s70, s56
	s_mov_b64 s[28:29], 0
	s_cselect_b64 s[46:47], -1, 0
	s_cmp_ge_i32 s70, s56
	s_mov_b64 s[24:25], 0
	s_cbranch_scc1 .LBB169_8
; %bb.7:                                ;   in Loop: Header=BB169_6 Depth=1
	s_add_i32 s0, s65, 64
	s_add_u32 s0, s4, s0
	s_addc_u32 s1, s5, 0
	s_lshl_b64 s[0:1], s[0:1], 8
	s_add_u32 s24, s14, s0
	s_addc_u32 s25, s15, s1
.LBB169_8:                              ;   in Loop: Header=BB169_6 Depth=1
	v_cndmask_b32_e64 v34, 0, 1, s[46:47]
	v_cmp_ne_u32_e64 s[0:1], 1, v34
	s_andn2_b64 vcc, exec, s[46:47]
	s_cbranch_vccnz .LBB169_10
; %bb.9:                                ;   in Loop: Header=BB169_6 Depth=1
	s_add_i32 s28, s65, 64
	s_add_u32 s28, s68, s28
	s_addc_u32 s29, s69, 0
	s_mul_i32 s31, s28, s57
	s_mul_hi_u32 s46, s28, s62
	s_add_i32 s31, s46, s31
	s_mul_i32 s29, s29, s62
	s_add_i32 s31, s31, s29
	s_mul_i32 s28, s28, s62
	s_add_u32 s28, s28, s58
	s_addc_u32 s29, s31, s63
	s_lshl_b64 s[28:29], s[28:29], 8
	s_add_u32 s28, s12, s28
	s_addc_u32 s29, s13, s29
.LBB169_10:                             ;   in Loop: Header=BB169_6 Depth=1
	v_perm_b32 v35, v9, v8, s3
	v_perm_b32 v34, v7, v6, s3
	v_perm_b32 v37, v5, v4, s3
	v_perm_b32 v36, v3, v2, s3
	ds_write_b64 v99, v[34:35]
	ds_write_b64 v100, v[36:37]
	ds_write_b64 v102, v[34:35]
	ds_write_b64 v103, v[36:37]
	v_perm_b32 v35, v17, v16, s3
	v_perm_b32 v34, v15, v14, s3
	v_perm_b32 v37, v13, v12, s3
	v_perm_b32 v36, v11, v10, s3
	ds_write_b64 v101, v[34:35]
	ds_write_b64 v104, v[36:37]
	ds_write_b64 v105, v[34:35]
	ds_write_b64 v106, v[36:37]
	;; [unrolled: 8-line block ×4, first 2 shown]
	s_waitcnt lgkmcnt(0)
	s_barrier
	ds_read_b64 v[38:39], v115 offset:49152
	ds_read2_b64 v[34:37], v116 offset1:16
	ds_read_b64 v[50:51], v118 offset:6144
	ds_read_b64 v[52:53], v116 offset:6144
	s_waitcnt lgkmcnt(2)
	v_mfma_f32_16x16x16_bf16 a[0:3], v[38:39], v[34:35], 0
	ds_read_b64 v[54:55], v117 offset:49152
	ds_read2st64_b64 v[42:45], v119 offset0:4 offset1:8
	ds_read2st64_b64 v[46:49], v120 offset0:4 offset1:8
	v_mfma_f32_16x16x16_bf16 a[4:7], v[38:39], v[36:37], 0
	ds_read2_b64 v[34:37], v116 offset0:32 offset1:48
	s_add_i32 s31, s65, 63
	s_mul_i32 s46, s31, s37
	s_waitcnt lgkmcnt(0)
	v_mfma_f32_16x16x16_bf16 a[8:11], v[38:39], v[34:35], 0
	s_mul_hi_u32 s47, s31, s36
	s_add_i32 s47, s47, s46
	s_mul_i32 s46, s31, s36
	v_mfma_f32_16x16x16_bf16 a[12:15], v[38:39], v[36:37], 0
	ds_read2st64_b64 v[34:37], v116 offset0:4 offset1:8
	ds_read2st64_b64 v[38:41], v118 offset0:4 offset1:8
	s_lshl_b64 s[46:47], s[46:47], 2
	s_waitcnt lgkmcnt(1)
	v_mfma_f32_16x16x16_bf16 a[0:3], v[54:55], v[34:35], a[0:3]
	s_add_u32 s46, s44, s46
	s_addc_u32 s47, s45, s47
	s_and_b64 vcc, exec, s[0:1]
	s_waitcnt lgkmcnt(0)
	v_mfma_f32_16x16x16_bf16 a[4:7], v[54:55], v[38:39], a[4:7]
	v_mov_b32_e32 v144, 0
	v_mov_b32_e32 v143, 0
	;; [unrolled: 1-line block ×3, first 2 shown]
	v_mfma_f32_16x16x16_bf16 a[8:11], v[54:55], v[42:43], a[8:11]
	ds_read_b64 v[34:35], v121 offset:49152
	ds_read_b64 v[38:39], v122 offset:49152
	;; [unrolled: 1-line block ×3, first 2 shown]
	v_mfma_f32_16x16x16_bf16 a[12:15], v[54:55], v[46:47], a[12:15]
	v_mov_b32_e32 v46, 0
	v_mov_b32_e32 v47, 0
	s_waitcnt lgkmcnt(2)
	v_mfma_f32_16x16x16_bf16 a[0:3], v[34:35], v[36:37], a[0:3]
	v_mov_b32_e32 v36, 0
	v_mov_b32_e32 v37, 0
	v_mfma_f32_16x16x16_bf16 a[16:19], v[34:35], v[40:41], a[4:7]
	v_mov_b32_e32 v40, 0
	v_mov_b32_e32 v41, 0
	;; [unrolled: 3-line block ×3, first 2 shown]
	v_mfma_f32_16x16x16_bf16 a[24:27], v[34:35], v[48:49], a[12:15]
	ds_read_b64 v[34:35], v119 offset:6144
	v_mov_b32_e32 v48, 0
	v_mov_b32_e32 v49, 0
	s_waitcnt lgkmcnt(2)
	v_mfma_f32_16x16x16_bf16 a[4:7], v[38:39], v[52:53], a[0:3]
	v_mfma_f32_16x16x16_bf16 a[8:11], v[38:39], v[50:51], a[16:19]
	s_waitcnt lgkmcnt(0)
	v_mfma_f32_16x16x16_bf16 a[12:15], v[38:39], v[34:35], a[20:23]
	v_mov_b32_e32 v34, 0
	v_mov_b32_e32 v35, 0
	v_mfma_f32_16x16x16_bf16 a[0:3], v[38:39], v[42:43], a[24:27]
	v_mov_b32_e32 v38, 0
	v_mov_b32_e32 v39, 0
	;; [unrolled: 1-line block ×4, first 2 shown]
	s_cbranch_vccnz .LBB169_12
; %bb.11:                               ;   in Loop: Header=BB169_6 Depth=1
	s_and_b32 s25, s25, 0xffff
	buffer_load_dwordx4 v[46:49], v95, s[24:27], 0 offen
	buffer_load_dwordx4 v[42:45], v95, s[24:27], s64 offen
	;; [unrolled: 1-line block ×4, first 2 shown]
	v_mov_b32_e32 v143, v97
	v_mov_b32_e32 v142, v98
.LBB169_12:                             ;   in Loop: Header=BB169_6 Depth=1
	ds_read_b64 v[62:63], v115 offset:57344
	ds_read2_b64 v[50:53], v123 offset1:16
	ds_read_b64 v[146:147], v117 offset:57344
	ds_read_b64 v[148:149], v121 offset:57344
	;; [unrolled: 1-line block ×3, first 2 shown]
	v_add_u32_e32 v64, s65, v91
	s_waitcnt lgkmcnt(3)
	v_mfma_f32_16x16x16_bf16 a[4:7], v[62:63], v[50:51], a[4:7]
	v_mfma_f32_16x16x16_bf16 a[8:11], v[62:63], v[52:53], a[8:11]
	ds_read2_b64 v[50:53], v123 offset0:32 offset1:48
	ds_read2st64_b64 v[54:57], v123 offset0:4 offset1:8
	ds_read2st64_b64 v[58:61], v124 offset0:4 offset1:8
	s_waitcnt lgkmcnt(2)
	v_mfma_f32_16x16x16_bf16 a[12:15], v[62:63], v[50:51], a[12:15]
	v_ashrrev_i32_e32 v50, 31, v64
	v_mul_lo_u32 v65, v50, s36
	v_mad_u64_u32 v[50:51], s[24:25], v64, s36, 0
	v_mfma_f32_16x16x16_bf16 a[0:3], v[62:63], v[52:53], a[0:3]
	v_mul_lo_u32 v52, v64, s37
	v_add3_u32 v51, v51, v52, v65
	v_add_u32_e32 v52, 1, v64
	v_ashrrev_i32_e32 v53, 31, v52
	s_waitcnt lgkmcnt(1)
	v_mfma_f32_16x16x16_bf16 a[4:7], v[146:147], v[54:55], a[4:7]
	v_mul_lo_u32 v54, v53, s36
	v_mul_lo_u32 v55, v52, s37
	v_mad_u64_u32 v[52:53], s[24:25], v52, s36, 0
	v_add3_u32 v53, v53, v55, v54
	v_add_u32_e32 v54, 2, v64
	v_ashrrev_i32_e32 v55, 31, v54
	v_mul_lo_u32 v62, v55, s36
	v_mul_lo_u32 v63, v54, s37
	v_mad_u64_u32 v[54:55], s[24:25], v54, s36, 0
	v_add3_u32 v55, v55, v63, v62
	v_add_u32_e32 v62, 3, v64
	v_ashrrev_i32_e32 v63, 31, v62
	v_mul_lo_u32 v64, v63, s36
	v_mul_lo_u32 v65, v62, s37
	v_mad_u64_u32 v[62:63], s[24:25], v62, s36, 0
	s_add_u32 s24, s4, s65
	v_lshl_add_u64 v[50:51], v[50:51], 2, s[44:45]
	v_add3_u32 v63, v63, v65, v64
	s_addc_u32 s25, s5, 0
	v_lshl_add_u64 v[52:53], v[52:53], 2, s[44:45]
	global_load_dword v145, v[50:51], off
	v_lshl_add_u64 v[50:51], v[62:63], 2, s[44:45]
	s_lshl_b64 s[24:25], s[24:25], 8
	v_lshl_add_u64 v[54:55], v[54:55], 2, s[44:45]
	global_load_dword v152, v[52:53], off
	global_load_dword v153, v[54:55], off
	global_load_dword v154, v[50:51], off
	v_lshl_add_u64 v[50:51], v[80:81], 0, s[24:25]
	v_lshl_add_u64 v[54:55], v[50:51], 0, v[78:79]
	global_load_ushort v155, v[54:55], off offset:256
	global_load_ushort v156, v[54:55], off
	ds_read2st64_b64 v[50:53], v125 offset0:4 offset1:8
	global_load_ushort v157, v[54:55], off offset:768
	global_load_ushort v158, v[54:55], off offset:512
	ds_read2st64_b64 v[62:65], v126 offset0:4 offset1:8
	global_load_ushort v159, v[54:55], off offset:288
	global_load_ushort v160, v[54:55], off offset:32
	;; [unrolled: 1-line block ×4, first 2 shown]
	s_waitcnt lgkmcnt(2)
	v_mfma_f32_16x16x16_bf16 a[8:11], v[146:147], v[58:59], a[8:11]
	global_load_ushort v163, v[54:55], off offset:320
	global_load_ushort v164, v[54:55], off offset:64
	;; [unrolled: 1-line block ×4, first 2 shown]
	s_and_b64 vcc, exec, s[0:1]
	s_waitcnt lgkmcnt(1)
	v_mfma_f32_16x16x16_bf16 a[12:15], v[146:147], v[50:51], a[12:15]
	ds_read_b64 v[50:51], v123 offset:6144
	s_waitcnt lgkmcnt(1)
	v_mfma_f32_16x16x16_bf16 a[0:3], v[146:147], v[62:63], a[0:3]
	v_lshl_add_u64 v[62:63], v[82:83], 0, s[24:25]
	v_lshl_add_u64 v[62:63], v[62:63], 0, v[78:79]
	v_mfma_f32_16x16x16_bf16 a[4:7], v[148:149], v[56:57], a[4:7]
	v_mfma_f32_16x16x16_bf16 a[8:11], v[148:149], v[60:61], a[8:11]
	;; [unrolled: 1-line block ×4, first 2 shown]
	global_load_ushort v148, v[54:55], off offset:352
	global_load_ushort v149, v[54:55], off offset:96
	ds_read_b64 v[52:53], v124 offset:6144
	ds_read_b64 v[56:57], v125 offset:6144
	;; [unrolled: 1-line block ×3, first 2 shown]
	s_load_dword s46, s[46:47], 0x0
	global_load_ushort v167, v[54:55], off offset:864
	global_load_ushort v168, v[54:55], off offset:608
	s_waitcnt lgkmcnt(0)
	v_mfma_f32_16x16x16_bf16 a[4:7], v[150:151], v[50:51], a[4:7]
	s_waitcnt vmcnt(17)
	v_sub_f32_e32 v60, s46, v153
	v_mfma_f32_16x16x16_bf16 a[0:3], v[150:151], v[58:59], a[0:3]
	v_sub_f32_e32 v58, s46, v145
	v_sub_f32_e32 v59, s46, v152
	s_waitcnt vmcnt(16)
	v_sub_f32_e32 v61, s46, v154
	v_mfma_f32_16x16x16_bf16 a[8:11], v[150:151], v[52:53], a[8:11]
	v_exp_f32_e32 v58, v58
	v_exp_f32_e32 v59, v59
	;; [unrolled: 1-line block ×4, first 2 shown]
	v_accvgpr_read_b32 v147, a5
	s_waitcnt vmcnt(15)
	v_lshlrev_b32_e32 v65, 16, v155
	s_waitcnt vmcnt(14)
	v_lshlrev_b32_e32 v64, 16, v156
	v_accvgpr_read_b32 v146, a4
	v_accvgpr_read_b32 v51, a7
	;; [unrolled: 1-line block ×3, first 2 shown]
	v_pk_add_f32 v[64:65], v[64:65], v[146:147] neg_lo:[0,1] neg_hi:[0,1]
	s_waitcnt vmcnt(13)
	v_lshlrev_b32_e32 v147, 16, v157
	s_waitcnt vmcnt(12)
	v_lshlrev_b32_e32 v146, 16, v158
	v_pk_add_f32 v[50:51], v[146:147], v[50:51] neg_lo:[0,1] neg_hi:[0,1]
	global_store_short_d16_hi v[62:63], v64, off
	global_store_short_d16_hi v[62:63], v65, off offset:256
	global_store_short_d16_hi v[62:63], v50, off offset:512
	;; [unrolled: 1-line block ×3, first 2 shown]
	v_pk_mul_f32 v[64:65], v[58:59], v[64:65]
	v_pk_mul_f32 v[50:51], v[60:61], v[50:51]
	v_accvgpr_read_b32 v147, a9
	v_perm_b32 v64, v65, v64, s3
	v_perm_b32 v65, v51, v50, s3
	s_waitcnt vmcnt(15)
	v_lshlrev_b32_e32 v51, 16, v159
	s_waitcnt vmcnt(14)
	v_lshlrev_b32_e32 v50, 16, v160
	v_accvgpr_read_b32 v146, a8
	v_accvgpr_read_b32 v53, a11
	v_mfma_f32_16x16x16_bf16 a[12:15], v[150:151], v[56:57], a[12:15]
	v_accvgpr_read_b32 v52, a10
	v_pk_add_f32 v[50:51], v[50:51], v[146:147] neg_lo:[0,1] neg_hi:[0,1]
	s_waitcnt vmcnt(13)
	v_lshlrev_b32_e32 v147, 16, v161
	s_waitcnt vmcnt(12)
	v_lshlrev_b32_e32 v146, 16, v162
	v_pk_add_f32 v[52:53], v[146:147], v[52:53] neg_lo:[0,1] neg_hi:[0,1]
	global_store_short_d16_hi v[62:63], v50, off offset:32
	global_store_short_d16_hi v[62:63], v51, off offset:288
	;; [unrolled: 1-line block ×4, first 2 shown]
	v_pk_mul_f32 v[50:51], v[58:59], v[50:51]
	v_pk_mul_f32 v[52:53], v[60:61], v[52:53]
	v_accvgpr_read_b32 v55, a15
	v_perm_b32 v53, v53, v52, s3
	v_perm_b32 v52, v51, v50, s3
	ds_write2_b64 v100, v[64:65], v[52:53] offset1:16
	v_accvgpr_read_b32 v53, a13
	s_waitcnt vmcnt(15)
	v_lshlrev_b32_e32 v51, 16, v163
	s_waitcnt vmcnt(14)
	v_lshlrev_b32_e32 v50, 16, v164
	v_accvgpr_read_b32 v52, a12
	v_accvgpr_read_b32 v54, a14
	v_pk_add_f32 v[50:51], v[50:51], v[52:53] neg_lo:[0,1] neg_hi:[0,1]
	s_waitcnt vmcnt(13)
	v_lshlrev_b32_e32 v53, 16, v165
	s_waitcnt vmcnt(12)
	v_lshlrev_b32_e32 v52, 16, v166
	v_pk_add_f32 v[52:53], v[52:53], v[54:55] neg_lo:[0,1] neg_hi:[0,1]
	global_store_short_d16_hi v[62:63], v50, off offset:64
	global_store_short_d16_hi v[62:63], v51, off offset:320
	;; [unrolled: 1-line block ×4, first 2 shown]
	v_pk_mul_f32 v[50:51], v[58:59], v[50:51]
	v_pk_mul_f32 v[52:53], v[60:61], v[52:53]
	v_accvgpr_read_b32 v55, a1
	v_perm_b32 v50, v51, v50, s3
	v_perm_b32 v51, v53, v52, s3
	s_waitcnt vmcnt(15)
	v_lshlrev_b32_e32 v53, 16, v148
	s_waitcnt vmcnt(14)
	v_lshlrev_b32_e32 v52, 16, v149
	v_accvgpr_read_b32 v54, a0
	v_accvgpr_read_b32 v57, a3
	;; [unrolled: 1-line block ×3, first 2 shown]
	v_pk_add_f32 v[52:53], v[52:53], v[54:55] neg_lo:[0,1] neg_hi:[0,1]
	s_waitcnt vmcnt(13)
	v_lshlrev_b32_e32 v55, 16, v167
	s_waitcnt vmcnt(12)
	v_lshlrev_b32_e32 v54, 16, v168
	v_pk_add_f32 v[54:55], v[54:55], v[56:57] neg_lo:[0,1] neg_hi:[0,1]
	global_store_short_d16_hi v[62:63], v52, off offset:96
	global_store_short_d16_hi v[62:63], v53, off offset:352
	global_store_short_d16_hi v[62:63], v54, off offset:608
	global_store_short_d16_hi v[62:63], v55, off offset:864
	v_pk_mul_f32 v[52:53], v[58:59], v[52:53]
	v_pk_mul_f32 v[54:55], v[60:61], v[54:55]
	v_mov_b32_e32 v145, 0
	v_perm_b32 v55, v55, v54, s3
	v_perm_b32 v54, v53, v52, s3
	ds_write2_b64 v100, v[50:51], v[54:55] offset0:32 offset1:48
	v_mov_b32_e32 v50, 0
	v_mov_b32_e32 v51, 0
	v_mov_b32_e32 v52, 0
	v_mov_b32_e32 v53, 0
	v_mov_b32_e32 v54, 0
	v_mov_b32_e32 v55, 0
	v_mov_b32_e32 v56, 0
	v_mov_b32_e32 v57, 0
	v_mov_b32_e32 v58, 0
	v_mov_b32_e32 v59, 0
	v_mov_b32_e32 v60, 0
	v_mov_b32_e32 v61, 0
	v_mov_b32_e32 v62, 0
	v_mov_b32_e32 v63, 0
	v_mov_b32_e32 v64, 0
	v_mov_b32_e32 v65, 0
	s_cbranch_vccnz .LBB169_14
; %bb.13:                               ;   in Loop: Header=BB169_6 Depth=1
	s_and_b32 s29, s29, 0xffff
	s_mov_b32 s31, s27
	buffer_load_dwordx4 v[62:65], v137, s[28:31], 0 offen
	buffer_load_dwordx4 v[54:57], v137, s[28:31], s64 offen
	;; [unrolled: 1-line block ×4, first 2 shown]
	v_mov_b32_e32 v144, v94
	v_mov_b32_e32 v145, v93
.LBB169_14:                             ;   in Loop: Header=BB169_6 Depth=1
	s_waitcnt lgkmcnt(0)
	s_barrier
	ds_read_b64 v[154:155], v77
	ds_read2_b64 v[146:149], v130 offset1:16
	ds_read_b64 v[170:171], v139
	ds_read_b64 v[172:173], v140
	;; [unrolled: 1-line block ×3, first 2 shown]
	ds_read2_b64 v[150:153], v130 offset0:32 offset1:48
	s_waitcnt lgkmcnt(4)
	v_mfma_f32_16x16x16_bf16 a[0:3], v[154:155], v[146:147], 0
	ds_read2st64_b64 v[158:161], v132 offset0:4 offset1:8
	ds_read2st64_b64 v[162:165], v133 offset0:4 offset1:8
	;; [unrolled: 1-line block ×3, first 2 shown]
	v_mfma_f32_16x16x16_bf16 a[4:7], v[154:155], v[148:149], 0
	s_add_i32 s24, s59, s71
	s_mul_hi_i32 s25, s24, s21
	s_mul_i32 s24, s24, s21
	s_waitcnt lgkmcnt(3)
	v_mfma_f32_16x16x16_bf16 a[8:11], v[154:155], v[150:151], 0
	s_add_u32 s24, s24, s52
	s_addc_u32 s25, s25, s53
	s_lshl_b64 s[24:25], s[24:25], 15
	v_mfma_f32_16x16x16_bf16 a[12:15], v[154:155], v[152:153], 0
	ds_read2st64_b64 v[154:157], v130 offset0:4 offset1:8
	s_waitcnt lgkmcnt(0)
	v_mfma_f32_16x16x16_bf16 a[0:3], v[170:171], v[154:155], a[0:3]
	v_mfma_f32_16x16x16_bf16 a[4:7], v[170:171], v[158:159], a[4:7]
	;; [unrolled: 1-line block ×8, first 2 shown]
	ds_read_b64 v[170:171], v130 offset:6144
	ds_read_b64 v[172:173], v131 offset:40960
	;; [unrolled: 1-line block ×8, first 2 shown]
	s_waitcnt lgkmcnt(5)
	v_mfma_f32_16x16x16_bf16 a[16:19], v[176:177], v[146:147], 0
	v_mfma_f32_16x16x16_bf16 a[20:23], v[176:177], v[148:149], 0
	ds_read2st64_b64 v[146:149], v127 offset1:8
	v_mfma_f32_16x16x16_bf16 a[24:27], v[176:177], v[150:151], 0
	v_mfma_f32_16x16x16_bf16 a[28:31], v[176:177], v[152:153], 0
	ds_read2st64_b64 v[150:153], v128 offset1:8
	v_mfma_f32_16x16x16_bf16 a[16:19], v[172:173], v[154:155], a[16:19]
	s_waitcnt lgkmcnt(1)
	v_mov_b32_e32 v154, v146
	v_mov_b32_e32 v155, v147
	v_mfma_f32_16x16x16_bf16 a[20:23], v[172:173], v[158:159], a[20:23]
	v_lshl_add_u64 v[158:159], v[84:85], 0, s[24:25]
	v_mfma_f32_16x16x16_bf16 a[24:27], v[172:173], v[162:163], a[24:27]
	v_mfma_f32_16x16x16_bf16 a[28:31], v[172:173], v[166:167], a[28:31]
	;; [unrolled: 1-line block ×3, first 2 shown]
	s_waitcnt lgkmcnt(0)
	v_mov_b32_e32 v156, v150
	v_mov_b32_e32 v157, v151
	;; [unrolled: 1-line block ×3, first 2 shown]
	v_mfma_f32_16x16x16_bf16 a[32:35], v[184:185], v[160:161], a[20:23]
	v_mov_b32_e32 v151, v149
	ds_read2st64_b64 v[146:149], v127 offset0:16 offset1:24
	global_store_dwordx4 v[158:159], v[154:157], off
	v_mfma_f32_16x16x16_bf16 a[24:27], v[184:185], v[164:165], a[24:27]
	ds_read2st64_b64 v[154:157], v128 offset0:16 offset1:24
	v_add_co_u32_e32 v160, vcc, s39, v158
	v_mfma_f32_16x16x16_bf16 a[28:31], v[184:185], v[168:169], a[28:31]
	s_nop 0
	v_addc_co_u32_e32 v161, vcc, 0, v159, vcc
	global_store_dwordx4 v[160:161], v[150:153], off offset:-4096
	v_mfma_f32_16x16x16_bf16 a[0:3], v[174:175], v[170:171], a[0:3]
	s_waitcnt lgkmcnt(1)
	v_mov_b32_e32 v150, v146
	v_add_co_u32_e32 v146, vcc, s41, v158
	v_mfma_f32_16x16x16_bf16 a[4:7], v[174:175], v[178:179], a[4:7]
	v_mov_b32_e32 v151, v147
	v_addc_co_u32_e32 v147, vcc, 0, v159, vcc
	v_mfma_f32_16x16x16_bf16 a[8:11], v[174:175], v[180:181], a[8:11]
	s_waitcnt lgkmcnt(0)
	v_mov_b32_e32 v152, v154
	v_mov_b32_e32 v153, v155
	;; [unrolled: 1-line block ×3, first 2 shown]
	v_mfma_f32_16x16x16_bf16 a[12:15], v[174:175], v[182:183], a[12:15]
	v_mov_b32_e32 v155, v149
	s_and_b64 vcc, exec, s[0:1]
	global_store_dwordx4 v[160:161], v[150:153], off
	v_mfma_f32_16x16x16_bf16 a[20:23], v[186:187], v[170:171], a[16:19]
	global_store_dwordx4 v[146:147], v[154:157], off
	v_mfma_f32_16x16x16_bf16 a[16:19], v[186:187], v[178:179], a[32:35]
	v_mfma_f32_16x16x16_bf16 a[24:27], v[186:187], v[180:181], a[24:27]
	;; [unrolled: 1-line block ×3, first 2 shown]
	s_cbranch_vccnz .LBB169_16
; %bb.15:                               ;   in Loop: Header=BB169_6 Depth=1
	v_lshrrev_b32_e32 v146, 3, v144
	v_and_b32_e32 v146, 6, v146
	v_xor_b32_e32 v145, v146, v145
	v_lshlrev_b32_e32 v145, 2, v145
	v_and_b32_e32 v144, 8, v144
	v_xor_b32_e32 v147, 0x440, v145
	v_cmp_eq_u32_e32 vcc, 0, v144
	s_barrier
	s_nop 0
	v_cndmask_b32_e32 v144, v147, v145, vcc
	v_lshl_or_b32 v144, v146, 10, v144
	s_waitcnt vmcnt(5)
	v_perm_b32 v145, v62, v58, s66
	s_waitcnt vmcnt(4)
	v_perm_b32 v146, v54, v50, s66
	ds_write2st64_b32 v144, v145, v146 offset0:128 offset1:160
	v_xor_b32_e32 v145, 8, v144
	v_perm_b32 v58, v62, v58, s67
	v_perm_b32 v50, v54, v50, s67
	v_add_u32_e32 v54, 0x80, v145
	ds_write2st64_b32 v54, v58, v50 offset0:128 offset1:160
	v_xor_b32_e32 v50, 16, v144
	v_perm_b32 v54, v63, v59, s66
	v_perm_b32 v58, v55, v51, s66
	ds_write2st64_b32 v50, v54, v58 offset0:129 offset1:161
	v_xor_b32_e32 v50, 24, v144
	v_perm_b32 v54, v63, v59, s67
	v_perm_b32 v51, v55, v51, s67
	v_add_u32_e32 v50, 0x80, v50
	ds_write2st64_b32 v50, v54, v51 offset0:129 offset1:161
	v_xor_b32_e32 v50, 32, v144
	v_perm_b32 v51, v64, v60, s66
	;; [unrolled: 9-line block ×3, first 2 shown]
	v_perm_b32 v52, v57, v53, s66
	ds_write2st64_b32 v50, v51, v52 offset0:131 offset1:163
	v_xor_b32_e32 v50, 56, v144
	v_perm_b32 v51, v65, v61, s67
	v_perm_b32 v52, v57, v53, s67
	v_add_u32_e32 v50, 0x80, v50
	ds_write2st64_b32 v50, v51, v52 offset0:131 offset1:163
	ds_write_b64 v143, v[46:47] offset:49152
	v_xor_b32_e32 v46, 8, v143
	ds_write_b64 v46, v[48:49] offset:49152
	ds_write_b64 v143, v[42:43] offset:57344
	;; [unrolled: 1-line block ×4, first 2 shown]
	v_xor_b32_e32 v38, 8, v142
	ds_write_b64 v38, v[40:41] offset:49152
	ds_write_b64 v142, v[34:35] offset:57344
	;; [unrolled: 1-line block ×3, first 2 shown]
.LBB169_16:                             ;   in Loop: Header=BB169_6 Depth=1
	v_exp_f32_e32 v142, s46
	v_accvgpr_read_b32 v37, a3
	v_accvgpr_read_b32 v41, a7
	;; [unrolled: 1-line block ×4, first 2 shown]
	s_waitcnt vmcnt(4)
	v_accvgpr_read_b32 v53, a23
	v_accvgpr_read_b32 v57, a19
	;; [unrolled: 1-line block ×28, first 2 shown]
	s_add_i32 s65, s65, 64
	v_pk_fma_f32 v[6:7], v[6:7], v[142:143], v[34:35] op_sel_hi:[1,0,1]
	v_pk_fma_f32 v[8:9], v[8:9], v[142:143], v[36:37] op_sel_hi:[1,0,1]
	;; [unrolled: 1-line block ×15, first 2 shown]
	s_cmp_eq_u32 s56, s70
	v_pk_fma_f32 v[28:29], v[28:29], v[142:143], v[64:65] op_sel_hi:[1,0,1]
	s_cbranch_scc1 .LBB169_18
; %bb.17:                               ;   in Loop: Header=BB169_6 Depth=1
	s_mov_b32 s71, s70
	s_branch .LBB169_6
.LBB169_18:
	s_lshl_b32 s30, s56, 6
	s_sub_i32 s31, s20, s30
	s_cmp_gt_i32 s31, 0
	s_cbranch_scc0 .LBB169_99
; %bb.19:
	s_ashr_i32 s3, s30, 31
	s_cmpk_lg_i32 s23, 0x80
	s_cselect_b64 s[26:27], -1, 0
	s_and_b64 vcc, exec, s[26:27]
	s_cbranch_vccz .LBB169_21
; %bb.20:
	s_mul_i32 s1, s55, s20
	s_mul_hi_i32 s0, s55, s20
	s_add_u32 s1, s1, s30
	s_addc_u32 s0, s0, s3
	s_mul_i32 s5, s1, s57
	s_mul_hi_u32 s24, s1, s22
	s_add_i32 s5, s24, s5
	s_mul_i32 s0, s0, s22
	s_add_i32 s5, s5, s0
	s_mul_i32 s1, s1, s22
	s_ashr_i32 s0, s58, 31
	s_add_u32 s28, s1, s58
	s_addc_u32 s29, s5, s0
	s_cbranch_execz .LBB169_22
	s_branch .LBB169_23
.LBB169_21:
                                        ; implicit-def: $sgpr28_sgpr29
.LBB169_22:
	s_mul_hi_i32 s0, s55, s22
	s_mul_i32 s55, s55, s22
	s_ashr_i32 s1, s58, 31
	s_add_u32 s5, s55, s58
	s_addc_u32 s0, s0, s1
	s_mul_i32 s1, s5, s54
	s_mul_hi_u32 s22, s5, s20
	s_add_i32 s1, s22, s1
	s_mul_i32 s0, s0, s20
	s_add_i32 s1, s1, s0
	s_mul_i32 s5, s5, s20
	s_add_u32 s28, s5, s30
	s_addc_u32 s29, s1, s3
.LBB169_23:
	s_mul_i32 s0, s42, s54
	s_add_i32 s0, s61, s0
	s_add_i32 s5, s59, s56
	;; [unrolled: 1-line block ×3, first 2 shown]
	s_add_u32 s0, s4, s30
	v_lshlrev_b32_e32 v38, 6, v91
	v_lshlrev_b32_e32 v56, 2, v88
	s_addc_u32 s1, s1, s3
	s_mov_b32 s3, 0x7060302
	v_or_b32_e32 v41, v38, v56
	v_xor_b32_e32 v39, v91, v56
	s_waitcnt vmcnt(7)
	v_perm_b32 v35, v9, v8, s3
	v_perm_b32 v34, v7, v6, s3
	s_waitcnt vmcnt(6)
	v_perm_b32 v37, v5, v4, s3
	v_perm_b32 v36, v3, v2, s3
	v_lshlrev_b32_e32 v41, 1, v41
	v_xor_b32_e32 v40, v92, v56
	ds_write2st64_b64 v41, v[34:35], v[36:37] offset0:32 offset1:48
	v_lshlrev_b32_e32 v39, 1, v39
	v_lshlrev_b32_e32 v41, 8, v88
	v_or_b32_e32 v42, v39, v41
	v_lshlrev_b32_e32 v40, 1, v40
	ds_write_b64 v42, v[34:35]
	v_or_b32_e32 v34, v40, v41
	v_or_b32_e32 v41, 16, v88
	v_lshlrev_b32_e32 v55, 2, v41
	v_or_b32_e32 v42, v38, v55
	ds_write_b64 v34, v[36:37]
	s_waitcnt vmcnt(5)
	v_perm_b32 v35, v17, v16, s3
	v_perm_b32 v34, v15, v14, s3
	s_waitcnt vmcnt(4)
	v_perm_b32 v37, v13, v12, s3
	v_perm_b32 v36, v11, v10, s3
	v_lshlrev_b32_e32 v42, 1, v42
	v_lshlrev_b32_e32 v41, 8, v41
	ds_write2st64_b64 v42, v[34:35], v[36:37] offset0:32 offset1:48
	v_or_b32_e32 v42, v39, v41
	ds_write_b64 v42, v[34:35]
	v_or_b32_e32 v34, v40, v41
	v_or_b32_e32 v41, 32, v88
	v_lshlrev_b32_e32 v54, 2, v41
	v_or_b32_e32 v42, v38, v54
	ds_write_b64 v34, v[36:37]
	s_waitcnt vmcnt(3)
	v_perm_b32 v35, v25, v24, s3
	v_perm_b32 v34, v23, v22, s3
	s_waitcnt vmcnt(2)
	v_perm_b32 v37, v21, v20, s3
	v_perm_b32 v36, v19, v18, s3
	v_lshlrev_b32_e32 v42, 1, v42
	v_lshlrev_b32_e32 v41, 8, v41
	s_lshl_b64 s[24:25], s[0:1], 8
	ds_write2st64_b64 v42, v[34:35], v[36:37] offset0:32 offset1:48
	v_or_b32_e32 v42, v39, v41
	s_waitcnt lgkmcnt(0)
	s_add_u32 s0, s14, s24
	ds_write_b64 v42, v[34:35]
	v_or_b32_e32 v34, v40, v41
	s_addc_u32 s1, s15, s25
	ds_write_b64 v34, v[36:37]
	s_waitcnt vmcnt(1)
	v_perm_b32 v35, v33, v32, s3
	v_perm_b32 v34, v31, v30, s3
	s_waitcnt vmcnt(0)
	v_perm_b32 v37, v29, v28, s3
	v_perm_b32 v36, v27, v26, s3
	v_or_b32_e32 v41, 48, v88
	s_mul_hi_i32 s3, s5, s21
	s_mul_i32 s5, s5, s21
	v_lshlrev_b32_e32 v51, 2, v41
	s_add_u32 s4, s5, s52
	v_or_b32_e32 v38, v38, v51
	s_addc_u32 s5, s3, s53
	v_lshlrev_b32_e32 v38, 1, v38
	s_ashr_i32 s3, s2, 31
	s_lshl_b64 s[4:5], s[4:5], 15
	ds_write2st64_b64 v38, v[34:35], v[36:37] offset0:32 offset1:48
	v_lshlrev_b32_e32 v38, 8, v41
	s_add_u32 s4, s6, s4
	v_or_b32_e32 v39, v39, v38
	s_addc_u32 s5, s7, s5
	s_lshl_b64 s[2:3], s[2:3], 8
	ds_write_b64 v39, v[34:35]
	v_or_b32_e32 v34, v40, v38
	s_add_u32 s2, s4, s2
	v_lshlrev_b32_e32 v35, 1, v88
	ds_write_b64 v34, v[36:37]
	v_lshrrev_b32_e32 v34, 4, v0
	s_addc_u32 s3, s5, s3
	v_or_b32_e32 v36, 1, v35
	v_lshlrev_b32_e32 v42, 4, v88
	v_mov_b32_e32 v43, 0
	v_xor_b32_e32 v35, v34, v35
	v_xor_b32_e32 v38, v36, v34
	v_lshl_add_u64 v[44:45], s[2:3], 0, v[42:43]
	v_lshlrev_b32_e32 v42, 8, v34
	v_lshl_or_b32 v48, v35, 3, v42
	v_lshl_or_b32 v49, v38, 3, v42
	s_waitcnt lgkmcnt(0)
	s_barrier
	ds_read2st64_b64 v[34:37], v48 offset1:8
	ds_read2st64_b64 v[38:41], v49 offset1:8
	v_lshl_add_u64 v[46:47], v[44:45], 0, v[42:43]
	s_movk_i32 s2, 0x2000
	s_cmp_lg_u32 s31, 64
	s_waitcnt lgkmcnt(1)
	v_mov_b32_e32 v42, v34
	v_mov_b32_e32 v43, v35
	s_waitcnt lgkmcnt(0)
	v_mov_b32_e32 v44, v38
	v_mov_b32_e32 v45, v39
	global_store_dwordx4 v[46:47], v[42:45], off
	v_mov_b32_e32 v38, v36
	v_mov_b32_e32 v39, v37
	ds_read2st64_b64 v[34:37], v48 offset0:16 offset1:24
	ds_read2st64_b64 v[42:45], v49 offset0:16 offset1:24
	v_add_co_u32_e32 v48, vcc, s2, v46
	s_cselect_b64 s[14:15], -1, 0
	s_nop 0
	v_addc_co_u32_e32 v49, vcc, 0, v47, vcc
	global_store_dwordx4 v[48:49], v[38:41], off offset:-4096
	v_lshl_or_b32 v62, v1, 3, v90
	s_mov_b32 s4, 0
	s_waitcnt lgkmcnt(1)
	v_mov_b32_e32 v38, v34
	v_add_co_u32_e32 v34, vcc, 0x3000, v46
	v_mov_b32_e32 v39, v35
	s_nop 0
	v_addc_co_u32_e32 v35, vcc, 0, v47, vcc
	s_waitcnt lgkmcnt(0)
	v_mov_b32_e32 v40, v42
	v_mov_b32_e32 v41, v43
	;; [unrolled: 1-line block ×4, first 2 shown]
	v_or_b32_e32 v52, 32, v62
	v_and_b32_e32 v50, 56, v89
	s_and_b64 vcc, exec, s[14:15]
	global_store_dwordx4 v[48:49], v[38:41], off
	global_store_dwordx4 v[34:35], v[42:45], off
	s_cbranch_vccz .LBB169_29
; %bb.24:
	s_mov_b32 s6, s4
	s_mov_b32 s7, s4
	s_mov_b32 s5, s4
	v_mov_b64_e32 v[40:41], s[6:7]
	v_mov_b64_e32 v[38:39], s[4:5]
	;; [unrolled: 1-line block ×3, first 2 shown]
	v_cmp_gt_i32_e32 vcc, s31, v62
	v_mov_b64_e32 v[36:37], v[40:41]
	s_and_saveexec_b64 s[2:3], vcc
	s_cbranch_execz .LBB169_26
; %bb.25:
	v_lshlrev_b32_e32 v34, 8, v62
	v_mov_b32_e32 v35, 0
	v_lshl_add_u64 v[36:37], s[0:1], 0, v[34:35]
	v_lshlrev_b32_e32 v34, 1, v50
	v_lshl_add_u64 v[42:43], v[36:37], 0, v[34:35]
	global_load_dwordx4 v[38:41], v[42:43], off
	global_load_dwordx4 v[34:37], v[42:43], off offset:128
.LBB169_26:
	s_or_b64 exec, exec, s[2:3]
	s_mov_b32 s6, s4
	s_mov_b32 s7, s4
	;; [unrolled: 1-line block ×3, first 2 shown]
	v_mov_b64_e32 v[48:49], s[6:7]
	v_mov_b64_e32 v[46:47], s[4:5]
	;; [unrolled: 1-line block ×3, first 2 shown]
	v_cmp_gt_i32_e32 vcc, s31, v52
	v_lshlrev_b32_e32 v53, 7, v52
	v_mov_b64_e32 v[44:45], v[48:49]
	s_and_saveexec_b64 s[2:3], vcc
	s_cbranch_execz .LBB169_28
; %bb.27:
	v_lshlrev_b32_e32 v42, 1, v53
	v_mov_b32_e32 v43, 0
	v_lshl_add_u64 v[44:45], s[0:1], 0, v[42:43]
	v_lshlrev_b32_e32 v42, 1, v50
	v_lshl_add_u64 v[58:59], v[44:45], 0, v[42:43]
	global_load_dwordx4 v[46:49], v[58:59], off
	global_load_dwordx4 v[42:45], v[58:59], off offset:128
.LBB169_28:
	s_or_b64 exec, exec, s[2:3]
	v_lshrrev_b32_e32 v57, 3, v50
	v_lshlrev_b32_e32 v58, 3, v62
	v_or_b32_e32 v57, v58, v57
	v_lshlrev_b32_e32 v57, 4, v57
	v_and_b32_e32 v58, 0x78, v58
	v_xor_b32_e32 v57, v57, v58
	s_branch .LBB169_31
.LBB169_29:
                                        ; implicit-def: $vgpr57
                                        ; implicit-def: $vgpr53
                                        ; implicit-def: $vgpr38_vgpr39_vgpr40_vgpr41
                                        ; implicit-def: $vgpr34_vgpr35_vgpr36_vgpr37
                                        ; implicit-def: $vgpr46_vgpr47_vgpr48_vgpr49
                                        ; implicit-def: $vgpr42_vgpr43_vgpr44_vgpr45
	s_cbranch_execz .LBB169_31
; %bb.30:
	s_waitcnt vmcnt(0)
	v_lshlrev_b32_e32 v34, 1, v50
	v_lshl_or_b32 v53, v62, 8, v34
	s_and_b32 s1, s1, 0xffff
	s_mov_b32 s3, 0x20000
	s_movk_i32 s2, 0x4000
	v_lshl_or_b32 v57, v52, 8, v34
	s_movk_i32 s4, 0x80
	buffer_load_dwordx4 v[38:41], v53, s[0:3], 0 offen
	buffer_load_dwordx4 v[34:37], v53, s[0:3], s4 offen
	;; [unrolled: 1-line block ×4, first 2 shown]
	v_lshrrev_b32_e32 v53, 3, v50
	v_lshlrev_b32_e32 v57, 3, v62
	v_or_b32_e32 v53, v57, v53
	v_lshlrev_b32_e32 v53, 4, v53
	v_and_b32_e32 v57, 0x78, v57
	v_xor_b32_e32 v57, v53, v57
	v_lshlrev_b32_e32 v53, 7, v52
.LBB169_31:
	s_movk_i32 s0, 0x1000
	v_and_or_b32 v52, v53, s0, v57
	s_waitcnt vmcnt(1)
	ds_write_b64 v57, v[38:39] offset:49152
	v_xor_b32_e32 v38, 8, v57
	ds_write_b64 v38, v[40:41] offset:49152
	s_waitcnt vmcnt(0)
	ds_write_b64 v57, v[34:35] offset:57344
	ds_write_b64 v38, v[36:37] offset:57344
	;; [unrolled: 1-line block ×3, first 2 shown]
	v_xor_b32_e32 v34, 8, v52
	ds_write_b64 v34, v[48:49] offset:49152
	ds_write_b64 v52, v[42:43] offset:57344
	;; [unrolled: 1-line block ×3, first 2 shown]
	v_or_b32_e32 v34, v86, v88
	v_lshlrev_b32_e32 v34, 3, v34
	v_lshrrev_b32_e32 v35, 5, v67
	s_movk_i32 s0, 0xf8
	v_and_or_b32 v35, v34, s0, v35
	v_lshlrev_b32_e32 v39, 4, v35
	v_lshlrev_b32_e32 v57, 11, v1
	v_and_b32_e32 v40, 0x78, v34
	v_or_b32_e32 v42, 32, v39
	v_and_b32_e32 v38, 0x1000, v57
	v_lshrrev_b32_e32 v35, 1, v67
	v_xor_b32_e32 v42, v42, v40
	v_xor_b32_e32 v34, v39, v40
	v_and_b32_e32 v41, 8, v35
	v_or_b32_e32 v42, v42, v38
	v_or_b32_e32 v34, v34, v38
	v_xor_b32_e32 v64, v42, v41
	v_or_b32_e32 v42, 64, v39
	v_xor_b32_e32 v63, v34, v41
	v_xor_b32_e32 v42, v42, v40
	s_waitcnt lgkmcnt(0)
	s_barrier
	v_or_b32_e32 v45, v42, v38
	ds_read_b64 v[42:43], v63 offset:49152
	v_lshl_or_b32 v46, v87, 8, v56
	v_lshlrev_b32_e32 v58, 1, v46
	v_add_u32_e32 v44, 0x4000, v58
	ds_read2_b64 v[34:37], v44 offset1:16
	v_or_b32_e32 v39, 0x60, v39
	v_xor_b32_e32 v39, v39, v40
	v_or_b32_e32 v38, v39, v38
	v_xor_b32_e32 v65, v45, v41
	v_xor_b32_e32 v77, v38, v41
	ds_read_b64 v[52:53], v64 offset:49152
	ds_read_b64 v[78:79], v65 offset:49152
	;; [unrolled: 1-line block ×3, first 2 shown]
	s_waitcnt lgkmcnt(3)
	v_mfma_f32_16x16x16_bf16 a[0:3], v[42:43], v[34:35], 0
	ds_read2st64_b64 v[38:41], v58 offset0:36 offset1:40
	s_lshl_b64 s[0:1], s[28:29], 8
	s_add_u32 s4, s12, s0
	v_mfma_f32_16x16x16_bf16 a[4:7], v[42:43], v[36:37], 0
	ds_read2_b64 v[34:37], v44 offset0:32 offset1:48
	s_addc_u32 s5, s13, s1
	s_add_i32 s1, s48, s33
	s_waitcnt lgkmcnt(0)
	v_mfma_f32_16x16x16_bf16 a[8:11], v[42:43], v[34:35], 0
	v_or_b32_e32 v34, 64, v46
	v_lshlrev_b32_e32 v59, 1, v34
	s_add_i32 s0, s20, -1
	v_mfma_f32_16x16x16_bf16 a[12:15], v[42:43], v[36:37], 0
	ds_read2st64_b64 v[34:37], v59 offset0:36 offset1:40
	s_add_i32 s41, s1, s43
	s_add_i32 s1, s50, s49
	v_mfma_f32_16x16x16_bf16 a[0:3], v[52:53], v[38:39], a[0:3]
	v_or_b32_e32 v38, 0x80, v46
	v_lshlrev_b32_e32 v60, 1, v38
	ds_read2st64_b64 v[42:45], v60 offset0:36 offset1:40
	s_waitcnt lgkmcnt(1)
	v_mfma_f32_16x16x16_bf16 a[4:7], v[52:53], v[34:35], a[4:7]
	v_or_b32_e32 v34, 0xc0, v46
	v_lshlrev_b32_e32 v61, 1, v34
	ds_read2st64_b64 v[46:49], v61 offset0:36 offset1:40
	s_add_i32 s39, s1, s51
	s_ashr_i32 s1, s0, 31
	s_mul_i32 s2, s0, s37
	s_mul_hi_u32 s3, s0, s36
	s_add_i32 s2, s3, s2
	s_mul_i32 s1, s1, s36
	s_waitcnt lgkmcnt(1)
	v_mfma_f32_16x16x16_bf16 a[8:11], v[52:53], v[42:43], a[8:11]
	s_add_i32 s1, s2, s1
	s_lshl_b64 s[2:3], s[40:41], 2
	s_add_u32 s6, s18, s2
	s_waitcnt lgkmcnt(0)
	v_mfma_f32_16x16x16_bf16 a[12:15], v[52:53], v[46:47], a[12:15]
	s_addc_u32 s7, s19, s3
	s_lshl_b64 s[2:3], s[38:39], 2
	s_mul_i32 s0, s0, s36
	v_mfma_f32_16x16x16_bf16 a[0:3], v[78:79], v[40:41], a[0:3]
	ds_read_b64 v[34:35], v58 offset:22528
	s_add_u32 s12, s6, s2
	s_addc_u32 s13, s7, s3
	v_mfma_f32_16x16x16_bf16 a[4:7], v[78:79], v[36:37], a[4:7]
	ds_read_b64 v[36:37], v59 offset:22528
	ds_read_b64 v[38:39], v60 offset:22528
	;; [unrolled: 1-line block ×3, first 2 shown]
	s_lshl_b64 s[0:1], s[0:1], 2
	s_add_u32 s0, s12, s0
	v_mfma_f32_16x16x16_bf16 a[8:11], v[78:79], v[44:45], a[8:11]
	s_addc_u32 s1, s13, s1
	s_load_dword s18, s[0:1], 0x0
	s_and_b64 vcc, exec, s[26:27]
	v_mfma_f32_16x16x16_bf16 a[12:15], v[78:79], v[48:49], a[12:15]
	s_waitcnt lgkmcnt(0)
	v_mfma_f32_16x16x16_bf16 a[0:3], v[80:81], v[34:35], a[0:3]
	v_mfma_f32_16x16x16_bf16 a[4:7], v[80:81], v[36:37], a[4:7]
	;; [unrolled: 1-line block ×4, first 2 shown]
	s_cbranch_vccz .LBB169_42
; %bb.32:
	v_lshlrev_b32_e32 v52, 1, v62
	s_and_b64 vcc, exec, s[14:15]
	s_cbranch_vccz .LBB169_43
; %bb.33:
	v_cmp_gt_i32_e32 vcc, s31, v52
	v_mov_b32_e32 v38, 0
	v_mov_b32_e32 v34, 0
	;; [unrolled: 1-line block ×5, first 2 shown]
	s_and_saveexec_b64 s[0:1], vcc
	s_cbranch_execz .LBB169_35
; %bb.34:
	v_mad_i64_i32 v[34:35], s[2:3], s23, v52, 0
	v_lshl_add_u64 v[34:35], v[34:35], 1, s[4:5]
	v_lshlrev_b32_e32 v36, 1, v50
	v_mov_b32_e32 v37, 0
	v_lshl_add_u64 v[34:35], v[34:35], 0, v[36:37]
	global_load_dwordx4 v[34:37], v[34:35], off
.LBB169_35:
	s_or_b64 exec, exec, s[0:1]
	v_or_b32_e32 v53, 1, v52
	v_cmp_gt_i32_e64 s[0:1], s31, v53
	v_mov_b32_e32 v39, 0
	v_mov_b32_e32 v40, 0
	;; [unrolled: 1-line block ×3, first 2 shown]
	s_and_saveexec_b64 s[2:3], s[0:1]
	s_cbranch_execz .LBB169_37
; %bb.36:
	v_mad_i64_i32 v[38:39], s[6:7], s23, v53, 0
	v_lshl_add_u64 v[38:39], v[38:39], 1, s[4:5]
	v_lshlrev_b32_e32 v40, 1, v50
	v_mov_b32_e32 v41, 0
	v_lshl_add_u64 v[38:39], v[38:39], 0, v[40:41]
	global_load_dwordx4 v[38:41], v[38:39], off
.LBB169_37:
	s_or_b64 exec, exec, s[2:3]
	v_mov_b32_e32 v49, 0
	v_mov_b32_e32 v42, 0
	v_mov_b32_e32 v43, 0
	v_mov_b32_e32 v44, 0
	v_mov_b32_e32 v45, 0
	s_and_saveexec_b64 s[2:3], vcc
	s_cbranch_execz .LBB169_39
; %bb.38:
	v_mad_i64_i32 v[42:43], s[6:7], s23, v52, 0
	v_lshl_add_u64 v[42:43], v[42:43], 1, s[4:5]
	v_lshlrev_b32_e32 v44, 1, v50
	v_mov_b32_e32 v45, 0
	v_lshl_add_u64 v[42:43], v[42:43], 0, v[44:45]
	global_load_dwordx4 v[42:45], v[42:43], off offset:128
.LBB169_39:
	s_or_b64 exec, exec, s[2:3]
	v_mov_b32_e32 v48, 0
	v_mov_b32_e32 v47, 0
	;; [unrolled: 1-line block ×3, first 2 shown]
	s_and_saveexec_b64 s[2:3], s[0:1]
	s_cbranch_execz .LBB169_41
; %bb.40:
	v_mad_i64_i32 v[46:47], s[0:1], s23, v53, 0
	v_lshl_add_u64 v[46:47], v[46:47], 1, s[4:5]
	v_lshlrev_b32_e32 v48, 1, v50
	v_mov_b32_e32 v49, 0
	v_lshl_add_u64 v[46:47], v[46:47], 0, v[48:49]
	global_load_dwordx4 v[46:49], v[46:47], off offset:128
.LBB169_41:
	s_or_b64 exec, exec, s[2:3]
	s_branch .LBB169_45
.LBB169_42:
                                        ; implicit-def: $vgpr37
                                        ; implicit-def: $vgpr41
                                        ; implicit-def: $vgpr45
                                        ; implicit-def: $vgpr49
	v_lshrrev_b32_e32 v67, 2, v67
	s_branch .LBB169_46
.LBB169_43:
                                        ; implicit-def: $vgpr37
                                        ; implicit-def: $vgpr41
                                        ; implicit-def: $vgpr45
                                        ; implicit-def: $vgpr49
	s_cbranch_execz .LBB169_45
; %bb.44:
	s_waitcnt vmcnt(0)
	v_mad_u64_u32 v[34:35], s[0:1], v52, s23, v[50:51]
	v_lshlrev_b32_e32 v52, 1, v34
	s_lshl_b32 s2, s23, 7
	s_and_b32 s1, s5, 0xffff
	s_mov_b32 s3, 0x20000
	s_mov_b32 s0, s4
	v_add_lshl_u32 v53, v34, s23, 1
	s_movk_i32 s6, 0x80
	buffer_load_dwordx4 v[34:37], v52, s[0:3], 0 offen
	buffer_load_dwordx4 v[42:45], v52, s[0:3], s6 offen
	buffer_load_dwordx4 v[38:41], v53, s[0:3], 0 offen
	buffer_load_dwordx4 v[46:49], v53, s[0:3], s6 offen
.LBB169_45:
	v_lshrrev_b32_e32 v67, 2, v67
	s_cbranch_execnz .LBB169_58
.LBB169_46:
	s_and_b64 vcc, exec, s[14:15]
	s_cbranch_vccz .LBB169_56
; %bb.47:
	s_waitcnt vmcnt(0)
	v_lshlrev_b32_e32 v39, 1, v62
	v_cmp_gt_i32_e32 vcc, s31, v39
	v_mov_b32_e32 v38, 0
	v_lshlrev_b32_e32 v46, 9, v62
	v_mov_b32_e32 v34, 0
	v_mov_b32_e32 v35, 0
	;; [unrolled: 1-line block ×4, first 2 shown]
	s_and_saveexec_b64 s[0:1], vcc
	s_cbranch_execz .LBB169_49
; %bb.48:
	v_mov_b32_e32 v47, 0
	v_lshl_add_u64 v[34:35], s[4:5], 0, v[46:47]
	v_lshlrev_b32_e32 v36, 1, v50
	v_mov_b32_e32 v37, v47
	v_lshl_add_u64 v[34:35], v[34:35], 0, v[36:37]
	global_load_dwordx4 v[34:37], v[34:35], off
.LBB169_49:
	s_or_b64 exec, exec, s[0:1]
	v_or_b32_e32 v39, 1, v39
	v_cmp_gt_i32_e64 s[0:1], s31, v39
	v_lshlrev_b32_e32 v52, 8, v39
	v_mov_b32_e32 v39, 0
	v_mov_b32_e32 v40, 0
	;; [unrolled: 1-line block ×3, first 2 shown]
	s_and_saveexec_b64 s[2:3], s[0:1]
	s_cbranch_execz .LBB169_51
; %bb.50:
	v_mov_b32_e32 v53, 0
	v_lshl_add_u64 v[38:39], s[4:5], 0, v[52:53]
	v_lshlrev_b32_e32 v40, 1, v50
	v_mov_b32_e32 v41, v53
	v_lshl_add_u64 v[38:39], v[38:39], 0, v[40:41]
	global_load_dwordx4 v[38:41], v[38:39], off
.LBB169_51:
	s_or_b64 exec, exec, s[2:3]
	v_mov_b32_e32 v49, 0
	v_mov_b32_e32 v42, 0
	v_mov_b32_e32 v43, 0
	v_mov_b32_e32 v44, 0
	v_mov_b32_e32 v45, 0
	s_and_saveexec_b64 s[2:3], vcc
	s_cbranch_execz .LBB169_53
; %bb.52:
	v_mov_b32_e32 v47, 0
	v_lshl_add_u64 v[42:43], s[4:5], 0, v[46:47]
	v_lshlrev_b32_e32 v46, 1, v50
	v_lshl_add_u64 v[42:43], v[42:43], 0, v[46:47]
	global_load_dwordx4 v[42:45], v[42:43], off offset:128
.LBB169_53:
	s_or_b64 exec, exec, s[2:3]
	v_mov_b32_e32 v48, 0
	v_mov_b32_e32 v47, 0
	;; [unrolled: 1-line block ×3, first 2 shown]
	s_and_saveexec_b64 s[2:3], s[0:1]
	s_cbranch_execz .LBB169_55
; %bb.54:
	v_mov_b32_e32 v53, 0
	v_lshl_add_u64 v[46:47], s[4:5], 0, v[52:53]
	v_lshlrev_b32_e32 v52, 1, v50
	v_lshl_add_u64 v[46:47], v[46:47], 0, v[52:53]
	global_load_dwordx4 v[46:49], v[46:47], off offset:128
.LBB169_55:
	s_or_b64 exec, exec, s[2:3]
	s_branch .LBB169_58
.LBB169_56:
                                        ; implicit-def: $vgpr37
                                        ; implicit-def: $vgpr41
                                        ; implicit-def: $vgpr45
                                        ; implicit-def: $vgpr49
	s_cbranch_execz .LBB169_58
; %bb.57:
	s_waitcnt vmcnt(0)
	v_lshlrev_b32_e32 v34, 1, v50
	v_lshl_or_b32 v50, v62, 9, v34
	s_and_b32 s5, s5, 0xffff
	s_mov_b32 s7, 0x20000
	s_movk_i32 s6, 0x4000
	s_movk_i32 s0, 0x80
	buffer_load_dwordx4 v[34:37], v50, s[4:7], 0 offen
	buffer_load_dwordx4 v[38:41], v50, s[4:7], 0 offen offset:256
	buffer_load_dwordx4 v[42:45], v50, s[4:7], s0 offen
	buffer_load_dwordx4 v[46:49], v50, s[4:7], s0 offen offset:256
.LBB169_58:
	ds_read_b64 v[52:53], v63 offset:57344
	v_add_u32_e32 v50, 0x6000, v58
	ds_read2_b64 v[78:81], v50 offset1:16
	ds_read_b64 v[96:97], v64 offset:57344
	ds_read_b64 v[64:65], v65 offset:57344
	;; [unrolled: 1-line block ×3, first 2 shown]
	ds_read2st64_b64 v[82:85], v58 offset0:52 offset1:56
	v_and_b32_e32 v63, 1, v0
	v_cmp_eq_u32_e32 vcc, 0, v63
	s_mov_b32 s0, 0x1000504
	s_waitcnt vmcnt(0)
	v_perm_b32 v63, v42, v46, s0
	s_mov_b32 s1, 0x3020706
	s_waitcnt lgkmcnt(4)
	v_mfma_f32_16x16x16_bf16 a[0:3], v[52:53], v[78:79], a[0:3]
	v_mfma_f32_16x16x16_bf16 a[4:7], v[52:53], v[80:81], a[4:7]
	ds_read2_b64 v[78:81], v50 offset0:32 offset1:48
	v_and_b32_e32 v50, 6, v0
	v_xor_b32_e32 v62, v62, v50
	s_waitcnt lgkmcnt(0)
	v_mfma_f32_16x16x16_bf16 a[8:11], v[52:53], v[78:79], a[8:11]
	v_lshlrev_b32_e32 v62, 2, v62
	v_xor_b32_e32 v77, 0x440, v62
	v_cndmask_b32_e32 v62, v77, v62, vcc
	v_mfma_f32_16x16x16_bf16 a[12:15], v[52:53], v[80:81], a[12:15]
	ds_read2st64_b64 v[78:81], v59 offset0:52 offset1:56
	ds_read2st64_b64 v[88:91], v60 offset0:52 offset1:56
	;; [unrolled: 1-line block ×3, first 2 shown]
	v_lshl_or_b32 v50, v50, 10, v62
	v_perm_b32 v62, v34, v38, s0
	v_mfma_f32_16x16x16_bf16 a[0:3], v[96:97], v[82:83], a[0:3]
	ds_read_b64 v[52:53], v58 offset:30720
	ds_read_b64 v[82:83], v59 offset:30720
	ds_read_b64 v[100:101], v60 offset:30720
	ds_read_b64 v[102:103], v61 offset:30720
	ds_write2st64_b32 v50, v62, v63 offset0:128 offset1:160
	v_xor_b32_e32 v62, 8, v50
	s_waitcnt lgkmcnt(7)
	v_mfma_f32_16x16x16_bf16 a[4:7], v[96:97], v[78:79], a[4:7]
	v_perm_b32 v34, v34, v38, s1
	v_perm_b32 v38, v42, v46, s1
	v_add_u32_e32 v42, 0x80, v62
	s_waitcnt lgkmcnt(6)
	v_mfma_f32_16x16x16_bf16 a[8:11], v[96:97], v[88:89], a[8:11]
	ds_write2st64_b32 v42, v34, v38 offset0:128 offset1:160
	v_xor_b32_e32 v34, 16, v50
	v_perm_b32 v38, v35, v39, s0
	s_waitcnt lgkmcnt(6)
	v_mfma_f32_16x16x16_bf16 a[12:15], v[96:97], v[92:93], a[12:15]
	v_perm_b32 v42, v43, v47, s0
	ds_write2st64_b32 v34, v38, v42 offset0:129 offset1:161
	v_xor_b32_e32 v34, 24, v50
	v_mfma_f32_16x16x16_bf16 a[0:3], v[64:65], v[84:85], a[0:3]
	v_perm_b32 v35, v35, v39, s1
	v_perm_b32 v38, v43, v47, s1
	v_add_u32_e32 v34, 0x80, v34
	v_mfma_f32_16x16x16_bf16 a[4:7], v[64:65], v[80:81], a[4:7]
	ds_write2st64_b32 v34, v35, v38 offset0:129 offset1:161
	v_xor_b32_e32 v34, 32, v50
	v_perm_b32 v35, v36, v40, s0
	v_mfma_f32_16x16x16_bf16 a[16:19], v[64:65], v[90:91], a[8:11]
	v_perm_b32 v38, v44, v48, s0
	ds_write2st64_b32 v34, v35, v38 offset0:130 offset1:162
	v_xor_b32_e32 v34, 40, v50
	v_mfma_f32_16x16x16_bf16 a[20:23], v[64:65], v[94:95], a[12:15]
	v_perm_b32 v35, v36, v40, s1
	v_perm_b32 v36, v44, v48, s1
	v_add_u32_e32 v34, 0x80, v34
	s_waitcnt lgkmcnt(8)
	v_mfma_f32_16x16x16_bf16 a[12:15], v[98:99], v[52:53], a[0:3]
	ds_write2st64_b32 v34, v35, v36 offset0:130 offset1:162
	v_xor_b32_e32 v34, 48, v50
	v_perm_b32 v35, v37, v41, s0
	s_waitcnt lgkmcnt(8)
	v_mfma_f32_16x16x16_bf16 a[8:11], v[98:99], v[82:83], a[4:7]
	v_perm_b32 v36, v45, v49, s0
	ds_write2st64_b32 v34, v35, v36 offset0:131 offset1:163
	v_xor_b32_e32 v34, 56, v50
	s_waitcnt lgkmcnt(8)
	v_mfma_f32_16x16x16_bf16 a[4:7], v[98:99], v[100:101], a[16:19]
	v_and_or_b32 v63, v67, 12, v86
	v_perm_b32 v35, v37, v41, s1
	v_perm_b32 v36, v45, v49, s1
	s_waitcnt lgkmcnt(7)
	v_mfma_f32_16x16x16_bf16 a[0:3], v[98:99], v[102:103], a[20:23]
	v_add_u32_e32 v34, 0x80, v34
	v_cmp_gt_i32_e64 s[0:1], s31, v63
	v_mov_b32_e32 v52, 0
	v_mov_b32_e32 v53, 0
	ds_write2st64_b32 v34, v35, v36 offset0:131 offset1:163
	s_and_saveexec_b64 s[2:3], s[0:1]
	s_cbranch_execz .LBB169_60
; %bb.59:
	v_add_u32_e32 v34, s30, v63
	v_ashrrev_i32_e32 v35, 31, v34
	v_mul_lo_u32 v36, v35, s36
	v_mul_lo_u32 v37, v34, s37
	v_mad_u64_u32 v[34:35], s[4:5], v34, s36, 0
	v_add3_u32 v35, v35, v37, v36
	v_lshl_add_u64 v[34:35], v[34:35], 2, s[12:13]
	global_load_dword v34, v[34:35], off
	s_waitcnt vmcnt(0)
	v_sub_f32_e32 v34, s18, v34
	v_exp_f32_e32 v53, v34
.LBB169_60:
	s_or_b64 exec, exec, s[2:3]
	v_or_b32_e32 v46, 1, v63
	v_cmp_gt_i32_e64 s[4:5], s31, v46
	s_and_saveexec_b64 s[2:3], s[4:5]
	s_cbranch_execz .LBB169_62
; %bb.61:
	v_add_u32_e32 v34, s30, v46
	v_ashrrev_i32_e32 v35, 31, v34
	v_mul_lo_u32 v36, v35, s36
	v_mul_lo_u32 v37, v34, s37
	v_mad_u64_u32 v[34:35], s[6:7], v34, s36, 0
	v_add3_u32 v35, v35, v37, v36
	v_lshl_add_u64 v[34:35], v[34:35], 2, s[12:13]
	global_load_dword v34, v[34:35], off
	s_waitcnt vmcnt(0)
	v_sub_f32_e32 v34, s18, v34
	v_exp_f32_e32 v52, v34
.LBB169_62:
	s_or_b64 exec, exec, s[2:3]
	v_or_b32_e32 v42, 2, v63
	v_cmp_gt_i32_e64 s[2:3], s31, v42
	v_mov_b32_e32 v50, 0
	v_mov_b32_e32 v62, 0
	s_and_saveexec_b64 s[6:7], s[2:3]
	s_cbranch_execz .LBB169_64
; %bb.63:
	v_add_u32_e32 v34, s30, v42
	v_ashrrev_i32_e32 v35, 31, v34
	v_mul_lo_u32 v36, v35, s36
	v_mul_lo_u32 v37, v34, s37
	v_mad_u64_u32 v[34:35], s[14:15], v34, s36, 0
	v_add3_u32 v35, v35, v37, v36
	v_lshl_add_u64 v[34:35], v[34:35], 2, s[12:13]
	global_load_dword v34, v[34:35], off
	s_waitcnt vmcnt(0)
	v_sub_f32_e32 v34, s18, v34
	v_exp_f32_e32 v62, v34
.LBB169_64:
	s_or_b64 exec, exec, s[6:7]
	v_or_b32_e32 v43, 3, v63
	v_cmp_gt_i32_e32 vcc, s31, v43
	s_and_saveexec_b64 s[6:7], vcc
	s_cbranch_execz .LBB169_66
; %bb.65:
	v_add_u32_e32 v34, s30, v43
	v_ashrrev_i32_e32 v35, 31, v34
	v_mul_lo_u32 v36, v35, s36
	v_mul_lo_u32 v37, v34, s37
	v_mad_u64_u32 v[34:35], s[14:15], v34, s36, 0
	v_add3_u32 v35, v35, v37, v36
	v_lshl_add_u64 v[34:35], v[34:35], 2, s[12:13]
	global_load_dword v34, v[34:35], off
	s_waitcnt vmcnt(0)
	v_sub_f32_e32 v34, s18, v34
	v_exp_f32_e32 v50, v34
.LBB169_66:
	s_or_b64 exec, exec, s[6:7]
	s_add_u32 s6, s16, s24
	s_addc_u32 s7, s17, s25
	s_add_u32 s8, s8, s24
	v_ashrrev_i32_e32 v77, 31, v76
	v_accvgpr_read_b32 v37, a15
	s_addc_u32 s9, s9, s25
	v_lshlrev_b64 v[38:39], 1, v[76:77]
	v_accvgpr_read_b32 v36, a14
	v_accvgpr_read_b32 v35, a13
	;; [unrolled: 1-line block ×3, first 2 shown]
	v_lshl_add_u64 v[40:41], s[6:7], 0, v[38:39]
	v_lshl_add_u64 v[38:39], s[8:9], 0, v[38:39]
	v_mov_b32_e32 v47, 0
	v_lshlrev_b32_e32 v44, 8, v63
	v_mov_b32_e32 v45, 0
	s_and_saveexec_b64 s[6:7], s[0:1]
	s_cbranch_execz .LBB169_68
; %bb.67:
	v_mov_b32_e32 v45, 0
	v_lshl_add_u64 v[48:49], v[40:41], 0, v[44:45]
	global_load_ushort v64, v[48:49], off
	v_lshl_add_u64 v[48:49], v[38:39], 0, v[44:45]
	s_waitcnt vmcnt(0)
	v_lshlrev_b32_e32 v45, 16, v64
	v_sub_f32_e32 v34, v45, v34
	global_store_short_d16_hi v[48:49], v34, off
	v_mul_f32_e32 v34, v53, v34
	v_lshrrev_b32_e32 v45, 16, v34
.LBB169_68:
	s_or_b64 exec, exec, s[6:7]
	v_lshlrev_b32_e32 v46, 8, v46
	s_and_saveexec_b64 s[6:7], s[4:5]
	s_cbranch_execz .LBB169_70
; %bb.69:
	v_mov_b32_e32 v47, 0
	v_lshl_add_u64 v[48:49], v[40:41], 0, v[46:47]
	global_load_ushort v34, v[48:49], off
	v_lshl_add_u64 v[48:49], v[38:39], 0, v[46:47]
	s_waitcnt vmcnt(0)
	v_lshlrev_b32_e32 v34, 16, v34
	v_sub_f32_e32 v34, v34, v35
	global_store_short_d16_hi v[48:49], v34, off
	v_mul_f32_e32 v34, v52, v34
	v_lshrrev_b32_e32 v47, 16, v34
.LBB169_70:
	s_or_b64 exec, exec, s[6:7]
	v_mov_b32_e32 v64, 0
	v_lshlrev_b32_e32 v48, 8, v42
	v_mov_b32_e32 v49, 0
	s_and_saveexec_b64 s[6:7], s[2:3]
	s_cbranch_execz .LBB169_72
; %bb.71:
	v_mov_b32_e32 v49, 0
	v_lshl_add_u64 v[34:35], v[40:41], 0, v[48:49]
	global_load_ushort v42, v[34:35], off
	v_lshl_add_u64 v[34:35], v[38:39], 0, v[48:49]
	s_waitcnt vmcnt(0)
	v_lshlrev_b32_e32 v42, 16, v42
	v_sub_f32_e32 v36, v42, v36
	global_store_short_d16_hi v[34:35], v36, off
	v_mul_f32_e32 v34, v62, v36
	v_lshrrev_b32_e32 v49, 16, v34
.LBB169_72:
	s_or_b64 exec, exec, s[6:7]
	v_lshlrev_b32_e32 v42, 8, v43
	s_and_saveexec_b64 s[6:7], vcc
	s_cbranch_execz .LBB169_74
; %bb.73:
	v_mov_b32_e32 v43, 0
	v_lshl_add_u64 v[34:35], v[40:41], 0, v[42:43]
	global_load_ushort v36, v[34:35], off
	v_lshl_add_u64 v[34:35], v[38:39], 0, v[42:43]
	s_waitcnt vmcnt(0)
	v_lshlrev_b32_e32 v36, 16, v36
	v_sub_f32_e32 v36, v36, v37
	global_store_short_d16_hi v[34:35], v36, off
	v_mul_f32_e32 v34, v50, v36
	v_lshrrev_b32_e32 v64, 16, v34
.LBB169_74:
	s_or_b64 exec, exec, s[6:7]
	v_lshlrev_b32_e32 v63, 6, v63
	v_accvgpr_read_b32 v37, a11
	s_mov_b32 s6, 0x5040100
	v_or_b32_e32 v43, v63, v56
	v_accvgpr_read_b32 v36, a10
	v_accvgpr_read_b32 v35, a9
	;; [unrolled: 1-line block ×3, first 2 shown]
	v_perm_b32 v65, v64, v49, s6
	v_perm_b32 v64, v47, v45, s6
	v_lshlrev_b32_e32 v43, 1, v43
	v_mov_b32_e32 v47, 0
	v_mov_b32_e32 v45, 0
	ds_write_b64 v43, v[64:65] offset:24576
	s_and_saveexec_b64 s[6:7], s[0:1]
	s_cbranch_execz .LBB169_76
; %bb.75:
	v_mov_b32_e32 v45, 0
	v_lshl_add_u64 v[64:65], v[40:41], 0, v[44:45]
	global_load_ushort v43, v[64:65], off offset:32
	v_lshl_add_u64 v[64:65], v[38:39], 0, v[44:45]
	s_waitcnt vmcnt(0)
	v_lshlrev_b32_e32 v43, 16, v43
	v_sub_f32_e32 v34, v43, v34
	global_store_short_d16_hi v[64:65], v34, off offset:32
	v_mul_f32_e32 v34, v53, v34
	v_lshrrev_b32_e32 v45, 16, v34
.LBB169_76:
	s_or_b64 exec, exec, s[6:7]
	s_and_saveexec_b64 s[6:7], s[4:5]
	s_cbranch_execz .LBB169_78
; %bb.77:
	v_mov_b32_e32 v47, 0
	v_lshl_add_u64 v[64:65], v[40:41], 0, v[46:47]
	global_load_ushort v34, v[64:65], off offset:32
	v_lshl_add_u64 v[64:65], v[38:39], 0, v[46:47]
	s_waitcnt vmcnt(0)
	v_lshlrev_b32_e32 v34, 16, v34
	v_sub_f32_e32 v34, v34, v35
	global_store_short_d16_hi v[64:65], v34, off offset:32
	v_mul_f32_e32 v34, v52, v34
	v_lshrrev_b32_e32 v47, 16, v34
.LBB169_78:
	s_or_b64 exec, exec, s[6:7]
	v_mov_b32_e32 v43, 0
	v_mov_b32_e32 v49, 0
	s_and_saveexec_b64 s[6:7], s[2:3]
	s_cbranch_execz .LBB169_80
; %bb.79:
	v_mov_b32_e32 v49, 0
	v_lshl_add_u64 v[34:35], v[40:41], 0, v[48:49]
	global_load_ushort v56, v[34:35], off offset:32
	v_lshl_add_u64 v[34:35], v[38:39], 0, v[48:49]
	s_waitcnt vmcnt(0)
	v_lshlrev_b32_e32 v49, 16, v56
	v_sub_f32_e32 v36, v49, v36
	global_store_short_d16_hi v[34:35], v36, off offset:32
	v_mul_f32_e32 v34, v62, v36
	v_lshrrev_b32_e32 v49, 16, v34
.LBB169_80:
	s_or_b64 exec, exec, s[6:7]
	s_and_saveexec_b64 s[6:7], vcc
	s_cbranch_execz .LBB169_82
; %bb.81:
	v_mov_b32_e32 v43, 0
	v_lshl_add_u64 v[34:35], v[40:41], 0, v[42:43]
	global_load_ushort v36, v[34:35], off offset:32
	v_lshl_add_u64 v[34:35], v[38:39], 0, v[42:43]
	s_waitcnt vmcnt(0)
	v_lshlrev_b32_e32 v36, 16, v36
	v_sub_f32_e32 v36, v36, v37
	global_store_short_d16_hi v[34:35], v36, off offset:32
	v_mul_f32_e32 v34, v50, v36
	v_lshrrev_b32_e32 v43, 16, v34
.LBB169_82:
	s_or_b64 exec, exec, s[6:7]
	s_mov_b32 s6, 0x5040100
	v_accvgpr_read_b32 v37, a7
	v_perm_b32 v65, v43, v49, s6
	v_or_b32_e32 v43, v63, v55
	v_accvgpr_read_b32 v36, a6
	v_accvgpr_read_b32 v35, a5
	;; [unrolled: 1-line block ×3, first 2 shown]
	v_perm_b32 v64, v47, v45, s6
	v_lshlrev_b32_e32 v43, 1, v43
	v_mov_b32_e32 v47, 0
	v_mov_b32_e32 v45, 0
	ds_write_b64 v43, v[64:65] offset:24576
	s_and_saveexec_b64 s[6:7], s[0:1]
	s_cbranch_execz .LBB169_84
; %bb.83:
	v_mov_b32_e32 v45, 0
	v_lshl_add_u64 v[64:65], v[40:41], 0, v[44:45]
	global_load_ushort v43, v[64:65], off offset:64
	v_lshl_add_u64 v[64:65], v[38:39], 0, v[44:45]
	s_waitcnt vmcnt(0)
	v_lshlrev_b32_e32 v43, 16, v43
	v_sub_f32_e32 v34, v43, v34
	global_store_short_d16_hi v[64:65], v34, off offset:64
	v_mul_f32_e32 v34, v53, v34
	v_lshrrev_b32_e32 v45, 16, v34
.LBB169_84:
	s_or_b64 exec, exec, s[6:7]
	s_and_saveexec_b64 s[6:7], s[4:5]
	s_cbranch_execz .LBB169_86
; %bb.85:
	v_mov_b32_e32 v47, 0
	v_lshl_add_u64 v[64:65], v[40:41], 0, v[46:47]
	global_load_ushort v34, v[64:65], off offset:64
	v_lshl_add_u64 v[64:65], v[38:39], 0, v[46:47]
	s_waitcnt vmcnt(0)
	v_lshlrev_b32_e32 v34, 16, v34
	v_sub_f32_e32 v34, v34, v35
	global_store_short_d16_hi v[64:65], v34, off offset:64
	v_mul_f32_e32 v34, v52, v34
	v_lshrrev_b32_e32 v47, 16, v34
.LBB169_86:
	s_or_b64 exec, exec, s[6:7]
	v_mov_b32_e32 v43, 0
	v_mov_b32_e32 v49, 0
	s_and_saveexec_b64 s[6:7], s[2:3]
	s_cbranch_execz .LBB169_88
; %bb.87:
	v_mov_b32_e32 v49, 0
	v_lshl_add_u64 v[34:35], v[40:41], 0, v[48:49]
	global_load_ushort v55, v[34:35], off offset:64
	v_lshl_add_u64 v[34:35], v[38:39], 0, v[48:49]
	s_waitcnt vmcnt(0)
	v_lshlrev_b32_e32 v49, 16, v55
	v_sub_f32_e32 v36, v49, v36
	global_store_short_d16_hi v[34:35], v36, off offset:64
	v_mul_f32_e32 v34, v62, v36
	v_lshrrev_b32_e32 v49, 16, v34
.LBB169_88:
	s_or_b64 exec, exec, s[6:7]
	s_and_saveexec_b64 s[6:7], vcc
	s_cbranch_execz .LBB169_90
; %bb.89:
	v_mov_b32_e32 v43, 0
	v_lshl_add_u64 v[34:35], v[40:41], 0, v[42:43]
	global_load_ushort v36, v[34:35], off offset:64
	v_lshl_add_u64 v[34:35], v[38:39], 0, v[42:43]
	s_waitcnt vmcnt(0)
	v_lshlrev_b32_e32 v36, 16, v36
	v_sub_f32_e32 v36, v36, v37
	global_store_short_d16_hi v[34:35], v36, off offset:64
	v_mul_f32_e32 v34, v50, v36
	v_lshrrev_b32_e32 v43, 16, v34
.LBB169_90:
	s_or_b64 exec, exec, s[6:7]
	s_mov_b32 s6, 0x5040100
	v_accvgpr_read_b32 v37, a3
	v_perm_b32 v65, v43, v49, s6
	v_or_b32_e32 v43, v63, v54
	v_accvgpr_read_b32 v36, a2
	v_accvgpr_read_b32 v35, a1
	;; [unrolled: 1-line block ×3, first 2 shown]
	v_perm_b32 v64, v47, v45, s6
	v_lshlrev_b32_e32 v43, 1, v43
	v_mov_b32_e32 v47, 0
	v_mov_b32_e32 v45, 0
	ds_write_b64 v43, v[64:65] offset:24576
	s_and_saveexec_b64 s[6:7], s[0:1]
	s_cbranch_execz .LBB169_92
; %bb.91:
	v_mov_b32_e32 v45, 0
	v_lshl_add_u64 v[54:55], v[40:41], 0, v[44:45]
	global_load_ushort v43, v[54:55], off offset:96
	v_lshl_add_u64 v[44:45], v[38:39], 0, v[44:45]
	s_waitcnt vmcnt(0)
	v_lshlrev_b32_e32 v43, 16, v43
	v_sub_f32_e32 v34, v43, v34
	global_store_short_d16_hi v[44:45], v34, off offset:96
	v_mul_f32_e32 v34, v53, v34
	v_lshrrev_b32_e32 v45, 16, v34
.LBB169_92:
	s_or_b64 exec, exec, s[6:7]
	s_and_saveexec_b64 s[0:1], s[4:5]
	s_cbranch_execz .LBB169_94
; %bb.93:
	v_mov_b32_e32 v47, 0
	v_lshl_add_u64 v[54:55], v[40:41], 0, v[46:47]
	global_load_ushort v34, v[54:55], off offset:96
	v_lshl_add_u64 v[46:47], v[38:39], 0, v[46:47]
	s_waitcnt vmcnt(0)
	v_lshlrev_b32_e32 v34, 16, v34
	v_sub_f32_e32 v34, v34, v35
	global_store_short_d16_hi v[46:47], v34, off offset:96
	v_mul_f32_e32 v34, v52, v34
	v_lshrrev_b32_e32 v47, 16, v34
.LBB169_94:
	s_or_b64 exec, exec, s[0:1]
	v_mov_b32_e32 v43, 0
	v_mov_b32_e32 v46, 0
	s_and_saveexec_b64 s[0:1], s[2:3]
	s_cbranch_execz .LBB169_96
; %bb.95:
	v_mov_b32_e32 v49, 0
	v_lshl_add_u64 v[34:35], v[40:41], 0, v[48:49]
	global_load_ushort v44, v[34:35], off offset:96
	v_lshl_add_u64 v[34:35], v[38:39], 0, v[48:49]
	s_waitcnt vmcnt(0)
	v_lshlrev_b32_e32 v44, 16, v44
	v_sub_f32_e32 v36, v44, v36
	global_store_short_d16_hi v[34:35], v36, off offset:96
	v_mul_f32_e32 v34, v62, v36
	v_lshrrev_b32_e32 v46, 16, v34
.LBB169_96:
	s_or_b64 exec, exec, s[0:1]
	v_or_b32_e32 v44, 0x6000, v58
	v_or_b32_e32 v36, 0x6000, v59
	v_or_b32_e32 v35, 0x6000, v60
	v_or_b32_e32 v34, 0x6000, v61
	s_and_saveexec_b64 s[0:1], vcc
	s_cbranch_execz .LBB169_98
; %bb.97:
	v_mov_b32_e32 v43, 0
	v_lshl_add_u64 v[40:41], v[40:41], 0, v[42:43]
	global_load_ushort v40, v[40:41], off offset:96
	v_lshl_add_u64 v[38:39], v[38:39], 0, v[42:43]
	s_waitcnt vmcnt(0)
	v_lshlrev_b32_e32 v40, 16, v40
	v_sub_f32_e32 v37, v40, v37
	global_store_short_d16_hi v[38:39], v37, off offset:96
	v_mul_f32_e32 v37, v50, v37
	v_lshrrev_b32_e32 v43, 16, v37
.LBB169_98:
	s_or_b64 exec, exec, s[0:1]
	s_mov_b32 s0, 0x5040100
	v_or_b32_e32 v37, v63, v51
	v_perm_b32 v39, v43, v46, s0
	v_perm_b32 v38, v47, v45, s0
	v_lshlrev_b32_e32 v37, 1, v37
	s_movk_i32 s0, 0x100
	ds_write_b64 v37, v[38:39] offset:24576
	v_and_b32_e32 v37, 7, v0
	v_and_b32_e32 v38, 8, v0
	v_cmp_gt_u32_e32 vcc, s0, v0
	v_lshrrev_b32_e32 v0, 1, v0
	v_lshlrev_b32_e32 v55, 3, v1
	v_and_b32_e32 v56, 24, v0
	v_mov_b32_e32 v39, 0xa000
	v_mov_b32_e32 v40, 0x8000
	v_xor_b32_e32 v0, v55, v56
	v_cndmask_b32_e32 v54, v39, v40, vcc
	v_or_b32_e32 v1, 0x440, v0
	v_cmp_eq_u32_e32 vcc, 0, v38
	v_lshlrev_b32_e32 v45, 3, v37
	v_lshlrev_b32_e32 v37, 7, v37
	v_cndmask_b32_e32 v0, v1, v0, vcc
	v_or_b32_e32 v0, v0, v57
	v_xad_u32 v67, v0, v45, v37
	v_or_b32_e32 v42, 32, v56
	v_add_u32_e32 v0, v54, v67
	v_xor_b32_e32 v42, v55, v42
	s_waitcnt lgkmcnt(0)
	s_barrier
	ds_read_b64 v[0:1], v0
	ds_read2_b64 v[38:41], v44 offset1:16
	ds_read2_b64 v[46:49], v44 offset0:32 offset1:48
	v_or_b32_e32 v43, 0x440, v42
	v_cndmask_b32_e32 v42, v43, v42, vcc
	v_or_b32_e32 v42, v42, v57
	v_xad_u32 v80, v42, v45, v37
	v_add_u32_e32 v42, v54, v80
	s_waitcnt lgkmcnt(1)
	v_mfma_f32_16x16x16_bf16 a[0:3], v[0:1], v[38:39], 0
	ds_read_b64 v[42:43], v42
	ds_read2st64_b64 v[50:53], v44 offset0:4 offset1:8
	ds_read2st64_b64 v[58:61], v36 offset0:4 offset1:8
	v_mfma_f32_16x16x16_bf16 a[4:7], v[0:1], v[40:41], 0
	ds_read2st64_b64 v[62:65], v35 offset0:4 offset1:8
	ds_read2st64_b64 v[76:79], v34 offset0:4 offset1:8
	s_waitcnt lgkmcnt(5)
	v_mfma_f32_16x16x16_bf16 a[8:11], v[0:1], v[46:47], 0
	v_mfma_f32_16x16x16_bf16 a[12:15], v[0:1], v[48:49], 0
	v_or_b32_e32 v0, 64, v56
	v_xor_b32_e32 v0, v55, v0
	v_xor_b32_e32 v1, 0x440, v0
	v_cndmask_b32_e32 v0, v1, v0, vcc
	v_or_b32_e32 v0, v0, v57
	v_xad_u32 v81, v0, v45, v37
	v_add_u32_e32 v0, v54, v81
	ds_read_b64 v[0:1], v0
	s_waitcnt lgkmcnt(4)
	v_mfma_f32_16x16x16_bf16 a[0:3], v[42:43], v[50:51], a[0:3]
	s_waitcnt lgkmcnt(3)
	v_mfma_f32_16x16x16_bf16 a[4:7], v[42:43], v[58:59], a[4:7]
	;; [unrolled: 2-line block ×4, first 2 shown]
	v_or_b32_e32 v42, 0x60, v56
	v_xor_b32_e32 v42, v55, v42
	v_xor_b32_e32 v43, 0x440, v42
	v_cndmask_b32_e32 v42, v43, v42, vcc
	v_or_b32_e32 v42, v42, v57
	v_xad_u32 v55, v42, v45, v37
	v_add_u32_e32 v37, v54, v55
	s_waitcnt lgkmcnt(0)
	v_mfma_f32_16x16x16_bf16 a[0:3], v[0:1], v[52:53], a[0:3]
	ds_read_b64 v[42:43], v37
	ds_read_b64 v[44:45], v44 offset:6144
	v_mfma_f32_16x16x16_bf16 a[4:7], v[0:1], v[60:61], a[4:7]
	v_mfma_f32_16x16x16_bf16 a[8:11], v[0:1], v[64:65], a[8:11]
	;; [unrolled: 1-line block ×3, first 2 shown]
	ds_read_b64 v[0:1], v36 offset:6144
	ds_read_b64 v[36:37], v35 offset:6144
	;; [unrolled: 1-line block ×3, first 2 shown]
	s_waitcnt lgkmcnt(3)
	v_mfma_f32_16x16x16_bf16 a[0:3], v[42:43], v[44:45], a[0:3]
	s_waitcnt lgkmcnt(2)
	v_mfma_f32_16x16x16_bf16 a[4:7], v[42:43], v[0:1], a[4:7]
	;; [unrolled: 2-line block ×4, first 2 shown]
	ds_read_b64 v[42:43], v67 offset:40960
	s_waitcnt lgkmcnt(0)
	v_mfma_f32_16x16x16_bf16 a[16:19], v[42:43], v[38:39], 0
	ds_read_b64 v[38:39], v80 offset:40960
	v_mfma_f32_16x16x16_bf16 a[20:23], v[42:43], v[40:41], 0
	v_accvgpr_read_b32 v40, a0
	v_mfma_f32_16x16x16_bf16 a[24:27], v[42:43], v[46:47], 0
	v_accvgpr_read_b32 v46, a7
	v_mfma_f32_16x16x16_bf16 a[28:31], v[42:43], v[48:49], 0
	v_exp_f32_e32 v42, s18
	v_accvgpr_read_b32 v43, a3
	v_fma_f32 v6, v6, v42, v40
	v_accvgpr_read_b32 v40, a1
	v_fma_f32 v7, v7, v42, v40
	;; [unrolled: 2-line block ×3, first 2 shown]
	ds_read_b64 v[40:41], v81 offset:40960
	s_waitcnt lgkmcnt(1)
	v_mfma_f32_16x16x16_bf16 a[16:19], v[38:39], v[50:51], a[16:19]
	v_fmac_f32_e32 v43, v9, v42
	v_accvgpr_read_b32 v9, a4
	v_fma_f32 v14, v14, v42, v9
	v_mfma_f32_16x16x16_bf16 a[20:23], v[38:39], v[58:59], a[20:23]
	v_accvgpr_read_b32 v9, a5
	v_fma_f32 v15, v15, v42, v9
	v_accvgpr_read_b32 v9, a6
	v_mfma_f32_16x16x16_bf16 a[24:27], v[38:39], v[62:63], a[24:27]
	v_fma_f32 v16, v16, v42, v9
	v_accvgpr_read_b32 v9, a8
	v_fma_f32 v22, v22, v42, v9
	v_mfma_f32_16x16x16_bf16 a[0:3], v[38:39], v[76:77], a[28:31]
	ds_read_b64 v[38:39], v55 offset:40960
	v_accvgpr_read_b32 v9, a9
	v_fma_f32 v23, v23, v42, v9
	s_waitcnt lgkmcnt(1)
	v_mfma_f32_16x16x16_bf16 a[16:19], v[40:41], v[52:53], a[16:19]
	v_accvgpr_read_b32 v9, a10
	v_fma_f32 v24, v24, v42, v9
	v_accvgpr_read_b32 v9, a12
	v_mfma_f32_16x16x16_bf16 a[4:7], v[40:41], v[60:61], a[20:23]
	v_fma_f32 v30, v30, v42, v9
	v_fmac_f32_e32 v46, v17, v42
	v_mov_b32_e32 v17, v46
	v_mfma_f32_16x16x16_bf16 a[20:23], v[40:41], v[64:65], a[24:27]
	v_mfma_f32_16x16x16_bf16 a[0:3], v[40:41], v[78:79], a[0:3]
	v_accvgpr_read_b32 v40, a11
	v_fmac_f32_e32 v40, v25, v42
	s_waitcnt lgkmcnt(0)
	v_mfma_f32_16x16x16_bf16 a[8:11], v[38:39], v[44:45], a[16:19]
	v_mfma_f32_16x16x16_bf16 a[4:7], v[38:39], v[0:1], a[4:7]
	v_accvgpr_read_b32 v0, a13
	v_fma_f32 v31, v31, v42, v0
	v_accvgpr_read_b32 v0, a14
	s_nop 2
	v_accvgpr_read_b32 v1, a8
	v_fma_f32 v2, v2, v42, v1
	v_accvgpr_read_b32 v1, a9
	v_fma_f32 v3, v3, v42, v1
	v_accvgpr_read_b32 v1, a10
	v_mfma_f32_16x16x16_bf16 a[16:19], v[38:39], v[36:37], a[20:23]
	v_fma_f32 v4, v4, v42, v1
	v_accvgpr_read_b32 v1, a11
	v_fmac_f32_e32 v1, v5, v42
	v_mfma_f32_16x16x16_bf16 a[0:3], v[38:39], v[34:35], a[0:3]
	v_accvgpr_read_b32 v5, a4
	v_fma_f32 v10, v10, v42, v5
	v_accvgpr_read_b32 v5, a5
	v_fma_f32 v11, v11, v42, v5
	;; [unrolled: 2-line block ×3, first 2 shown]
	v_accvgpr_read_b32 v5, a16
	v_accvgpr_read_b32 v9, a0
	v_fma_f32 v18, v18, v42, v5
	v_accvgpr_read_b32 v5, a17
	v_fma_f32 v26, v26, v42, v9
	;; [unrolled: 2-line block ×5, first 2 shown]
	v_accvgpr_read_b32 v0, a15
	v_accvgpr_read_b32 v25, a7
	v_fma_f32 v20, v20, v42, v5
	v_accvgpr_read_b32 v5, a19
	v_fma_f32 v28, v28, v42, v9
	v_accvgpr_read_b32 v9, a3
	v_fmac_f32_e32 v0, v33, v42
	v_fmac_f32_e32 v25, v13, v42
	;; [unrolled: 1-line block ×4, first 2 shown]
	v_mov_b32_e32 v29, v9
	v_mov_b32_e32 v33, v0
	;; [unrolled: 1-line block ×7, first 2 shown]
.LBB169_99:
	s_add_u32 s0, s10, s34
	s_addc_u32 s1, s11, s35
	v_lshl_add_u64 v[0:1], v[68:69], 2, s[0:1]
	v_mov_b32_e32 v67, 0
	v_lshl_add_u64 v[0:1], v[0:1], 0, v[66:67]
	s_waitcnt vmcnt(7)
	global_store_dwordx4 v[0:1], v[6:9], off
	s_waitcnt vmcnt(7)
	global_store_dwordx4 v[0:1], v[2:5], off offset:256
	v_lshl_add_u64 v[0:1], v[70:71], 2, s[0:1]
	v_lshl_add_u64 v[0:1], v[0:1], 0, v[66:67]
	s_waitcnt vmcnt(7)
	global_store_dwordx4 v[0:1], v[14:17], off
	s_waitcnt vmcnt(7)
	global_store_dwordx4 v[0:1], v[10:13], off offset:256
	v_lshl_add_u64 v[0:1], v[72:73], 2, s[0:1]
	v_lshl_add_u64 v[0:1], v[0:1], 0, v[66:67]
	s_waitcnt vmcnt(7)
	global_store_dwordx4 v[0:1], v[22:25], off
	s_waitcnt vmcnt(7)
	global_store_dwordx4 v[0:1], v[18:21], off offset:256
	v_lshl_add_u64 v[0:1], v[74:75], 2, s[0:1]
	v_lshl_add_u64 v[0:1], v[0:1], 0, v[66:67]
	s_waitcnt vmcnt(7)
	global_store_dwordx4 v[0:1], v[30:33], off
	s_waitcnt vmcnt(7)
	global_store_dwordx4 v[0:1], v[26:29], off offset:256
	s_endpgm
	.section	.rodata,"a",@progbits
	.p2align	6, 0x0
	.amdhsa_kernel _ZN12_GLOBAL__N_139chunk_gated_delta_rule_fwd_h_hip_kernelILi64ELb1ELb1ELb1ELb0ELb1ELb0ELb1ELb0EEEvPK12hip_bfloat16S3_S3_PKfS5_PKvPS1_S8_PvPKiSB_iiiiilll
		.amdhsa_group_segment_fixed_size 65536
		.amdhsa_private_segment_fixed_size 0
		.amdhsa_kernarg_size 136
		.amdhsa_user_sgpr_count 2
		.amdhsa_user_sgpr_dispatch_ptr 0
		.amdhsa_user_sgpr_queue_ptr 0
		.amdhsa_user_sgpr_kernarg_segment_ptr 1
		.amdhsa_user_sgpr_dispatch_id 0
		.amdhsa_user_sgpr_kernarg_preload_length 0
		.amdhsa_user_sgpr_kernarg_preload_offset 0
		.amdhsa_user_sgpr_private_segment_size 0
		.amdhsa_uses_dynamic_stack 0
		.amdhsa_enable_private_segment 0
		.amdhsa_system_sgpr_workgroup_id_x 1
		.amdhsa_system_sgpr_workgroup_id_y 1
		.amdhsa_system_sgpr_workgroup_id_z 0
		.amdhsa_system_sgpr_workgroup_info 0
		.amdhsa_system_vgpr_workitem_id 0
		.amdhsa_next_free_vgpr 224
		.amdhsa_next_free_sgpr 72
		.amdhsa_accum_offset 188
		.amdhsa_reserve_vcc 1
		.amdhsa_float_round_mode_32 0
		.amdhsa_float_round_mode_16_64 0
		.amdhsa_float_denorm_mode_32 3
		.amdhsa_float_denorm_mode_16_64 3
		.amdhsa_dx10_clamp 1
		.amdhsa_ieee_mode 1
		.amdhsa_fp16_overflow 0
		.amdhsa_tg_split 0
		.amdhsa_exception_fp_ieee_invalid_op 0
		.amdhsa_exception_fp_denorm_src 0
		.amdhsa_exception_fp_ieee_div_zero 0
		.amdhsa_exception_fp_ieee_overflow 0
		.amdhsa_exception_fp_ieee_underflow 0
		.amdhsa_exception_fp_ieee_inexact 0
		.amdhsa_exception_int_div_zero 0
	.end_amdhsa_kernel
	.section	.text._ZN12_GLOBAL__N_139chunk_gated_delta_rule_fwd_h_hip_kernelILi64ELb1ELb1ELb1ELb0ELb1ELb0ELb1ELb0EEEvPK12hip_bfloat16S3_S3_PKfS5_PKvPS1_S8_PvPKiSB_iiiiilll,"axG",@progbits,_ZN12_GLOBAL__N_139chunk_gated_delta_rule_fwd_h_hip_kernelILi64ELb1ELb1ELb1ELb0ELb1ELb0ELb1ELb0EEEvPK12hip_bfloat16S3_S3_PKfS5_PKvPS1_S8_PvPKiSB_iiiiilll,comdat
.Lfunc_end169:
	.size	_ZN12_GLOBAL__N_139chunk_gated_delta_rule_fwd_h_hip_kernelILi64ELb1ELb1ELb1ELb0ELb1ELb0ELb1ELb0EEEvPK12hip_bfloat16S3_S3_PKfS5_PKvPS1_S8_PvPKiSB_iiiiilll, .Lfunc_end169-_ZN12_GLOBAL__N_139chunk_gated_delta_rule_fwd_h_hip_kernelILi64ELb1ELb1ELb1ELb0ELb1ELb0ELb1ELb0EEEvPK12hip_bfloat16S3_S3_PKfS5_PKvPS1_S8_PvPKiSB_iiiiilll
                                        ; -- End function
	.section	.AMDGPU.csdata,"",@progbits
; Kernel info:
; codeLenInByte = 12560
; NumSgprs: 78
; NumVgprs: 188
; NumAgprs: 36
; TotalNumVgprs: 224
; ScratchSize: 0
; MemoryBound: 0
; FloatMode: 240
; IeeeMode: 1
; LDSByteSize: 65536 bytes/workgroup (compile time only)
; SGPRBlocks: 9
; VGPRBlocks: 27
; NumSGPRsForWavesPerEU: 78
; NumVGPRsForWavesPerEU: 224
; AccumOffset: 188
; Occupancy: 1
; WaveLimiterHint : 1
; COMPUTE_PGM_RSRC2:SCRATCH_EN: 0
; COMPUTE_PGM_RSRC2:USER_SGPR: 2
; COMPUTE_PGM_RSRC2:TRAP_HANDLER: 0
; COMPUTE_PGM_RSRC2:TGID_X_EN: 1
; COMPUTE_PGM_RSRC2:TGID_Y_EN: 1
; COMPUTE_PGM_RSRC2:TGID_Z_EN: 0
; COMPUTE_PGM_RSRC2:TIDIG_COMP_CNT: 0
; COMPUTE_PGM_RSRC3_GFX90A:ACCUM_OFFSET: 46
; COMPUTE_PGM_RSRC3_GFX90A:TG_SPLIT: 0
	.section	.text._ZN12_GLOBAL__N_139chunk_gated_delta_rule_fwd_h_hip_kernelILi64ELb1ELb1ELb0ELb0ELb1ELb0ELb1ELb0EEEvPK12hip_bfloat16S3_S3_PKfS5_PKvPS1_S8_PvPKiSB_iiiiilll,"axG",@progbits,_ZN12_GLOBAL__N_139chunk_gated_delta_rule_fwd_h_hip_kernelILi64ELb1ELb1ELb0ELb0ELb1ELb0ELb1ELb0EEEvPK12hip_bfloat16S3_S3_PKfS5_PKvPS1_S8_PvPKiSB_iiiiilll,comdat
	.globl	_ZN12_GLOBAL__N_139chunk_gated_delta_rule_fwd_h_hip_kernelILi64ELb1ELb1ELb0ELb0ELb1ELb0ELb1ELb0EEEvPK12hip_bfloat16S3_S3_PKfS5_PKvPS1_S8_PvPKiSB_iiiiilll ; -- Begin function _ZN12_GLOBAL__N_139chunk_gated_delta_rule_fwd_h_hip_kernelILi64ELb1ELb1ELb0ELb0ELb1ELb0ELb1ELb0EEEvPK12hip_bfloat16S3_S3_PKfS5_PKvPS1_S8_PvPKiSB_iiiiilll
	.p2align	8
	.type	_ZN12_GLOBAL__N_139chunk_gated_delta_rule_fwd_h_hip_kernelILi64ELb1ELb1ELb0ELb0ELb1ELb0ELb1ELb0EEEvPK12hip_bfloat16S3_S3_PKfS5_PKvPS1_S8_PvPKiSB_iiiiilll,@function
_ZN12_GLOBAL__N_139chunk_gated_delta_rule_fwd_h_hip_kernelILi64ELb1ELb1ELb0ELb0ELb1ELb0ELb1ELb0EEEvPK12hip_bfloat16S3_S3_PKfS5_PKvPS1_S8_PvPKiSB_iiiiilll: ; @_ZN12_GLOBAL__N_139chunk_gated_delta_rule_fwd_h_hip_kernelILi64ELb1ELb1ELb0ELb0ELb1ELb0ELb1ELb0EEEvPK12hip_bfloat16S3_S3_PKfS5_PKvPS1_S8_PvPKiSB_iiiiilll
; %bb.0:
	s_load_dwordx4 s[12:15], s[0:1], 0x5c
	s_load_dwordx4 s[20:23], s[0:1], 0x70
	s_abs_i32 s6, s3
	s_ashr_i32 s5, s3, 31
	s_load_dwordx4 s[16:19], s[0:1], 0x28
	s_waitcnt lgkmcnt(0)
	s_abs_i32 s4, s13
	v_cvt_f32_u32_e32 v1, s4
	s_sub_i32 s8, 0, s4
	s_ashr_i32 s7, s13, 31
	s_xor_b32 s5, s5, s7
	v_rcp_iflag_f32_e32 v1, v1
	v_and_b32_e32 v86, 15, v0
	v_bfe_u32 v85, v0, 4, 2
	v_mov_b32_e32 v67, 0
	v_mul_f32_e32 v1, 0x4f7ffffe, v1
	v_cvt_u32_f32_e32 v1, v1
	v_lshlrev_b32_e32 v87, 3, v0
	v_readfirstlane_b32 s9, v1
	s_mul_i32 s8, s8, s9
	s_mul_hi_u32 s8, s9, s8
	s_add_i32 s9, s9, s8
	s_mul_hi_u32 s8, s6, s9
	s_mul_i32 s9, s8, s4
	s_sub_i32 s6, s6, s9
	s_add_i32 s10, s8, 1
	s_sub_i32 s9, s6, s4
	s_cmp_ge_u32 s6, s4
	s_cselect_b32 s8, s10, s8
	s_cselect_b32 s6, s9, s6
	s_add_i32 s9, s8, 1
	s_cmp_ge_u32 s6, s4
	s_cselect_b32 s6, s9, s8
	s_xor_b32 s6, s6, s5
	s_add_i32 s8, s12, 63
	s_sub_i32 s53, s6, s5
	s_ashr_i32 s9, s8, 31
	s_mul_i32 s5, s53, s13
	s_sub_i32 s50, s3, s5
	s_lshr_b32 s3, s9, 26
	s_add_i32 s8, s8, s3
	s_abs_i32 s3, s14
	v_cvt_f32_u32_e32 v1, s3
	s_ashr_i32 s52, s12, 31
	s_lshr_b32 s6, s52, 26
	s_add_i32 s6, s12, s6
	v_rcp_iflag_f32_e32 v1, v1
	s_ashr_i32 s55, s14, 31
	s_ashr_i32 s24, s8, 6
	;; [unrolled: 1-line block ×3, first 2 shown]
	v_mul_f32_e32 v1, 0x4f7ffffe, v1
	v_cvt_u32_f32_e32 v1, v1
	s_xor_b32 s6, s7, s55
	s_sub_i32 s7, 0, s3
	s_lshl_b32 s2, s2, 6
	v_readfirstlane_b32 s8, v1
	s_mul_i32 s7, s7, s8
	s_mul_hi_u32 s7, s8, s7
	s_add_i32 s8, s8, s7
	s_mul_hi_u32 s7, s4, s8
	s_mul_i32 s8, s7, s3
	s_sub_i32 s4, s4, s8
	s_add_i32 s8, s7, 1
	s_sub_i32 s9, s4, s3
	s_cmp_ge_u32 s4, s3
	s_cselect_b32 s7, s8, s7
	s_cselect_b32 s4, s9, s4
	s_add_i32 s8, s7, 1
	s_cmp_ge_u32 s4, s3
	s_cselect_b32 s3, s8, s7
	s_xor_b32 s3, s3, s6
	s_sub_i32 s3, s3, s6
	s_abs_i32 s4, s3
	v_cvt_f32_u32_e32 v1, s4
	s_sub_i32 s7, 0, s4
	s_abs_i32 s6, s50
	s_xor_b32 s3, s50, s3
	v_rcp_iflag_f32_e32 v2, v1
	s_ashr_i32 s3, s3, 31
	v_lshrrev_b32_e32 v1, 6, v0
	v_or_b32_e32 v76, s2, v86
	v_mul_f32_e32 v2, 0x4f7ffffe, v2
	v_cvt_u32_f32_e32 v2, v2
	v_lshlrev_b32_e32 v84, 4, v1
	v_lshlrev_b32_e32 v68, 7, v76
	v_lshl_or_b32 v89, v85, 2, v84
	v_readfirstlane_b32 s8, v2
	s_mul_i32 s7, s7, s8
	s_mul_hi_u32 s7, s8, s7
	s_add_i32 s8, s8, s7
	s_mul_hi_u32 s7, s6, s8
	s_mul_i32 s8, s7, s4
	s_sub_i32 s6, s6, s8
	s_add_i32 s8, s7, 1
	s_sub_i32 s9, s6, s4
	s_cmp_ge_u32 s6, s4
	s_cselect_b32 s7, s8, s7
	s_cselect_b32 s6, s9, s6
	s_add_i32 s8, s7, 1
	s_cmp_ge_u32 s6, s4
	s_cselect_b32 s4, s8, s7
	s_xor_b32 s4, s4, s3
	s_sub_i32 s56, s4, s3
	s_ashr_i32 s3, s53, 31
	s_ashr_i32 s51, s50, 31
	s_mul_hi_i32 s4, s53, s13
	s_add_u32 s40, s5, s50
	s_addc_u32 s41, s4, s51
	s_lshl_b64 s[28:29], s[40:41], 16
	s_add_u32 s4, s16, s28
	s_addc_u32 s5, s17, s29
	v_ashrrev_i32_e32 v69, 31, v68
	v_lshl_add_u64 v[2:3], v[68:69], 2, s[4:5]
	v_lshlrev_b32_e32 v66, 2, v89
	v_or_b32_e32 v70, 0x800, v68
	v_lshl_add_u64 v[10:11], v[2:3], 0, v[66:67]
	v_ashrrev_i32_e32 v71, 31, v70
	global_load_dwordx4 v[6:9], v[10:11], off
	global_load_dwordx4 v[2:5], v[10:11], off offset:256
	v_lshl_add_u64 v[10:11], v[70:71], 2, s[4:5]
	v_or_b32_e32 v72, 0x1000, v68
	v_lshl_add_u64 v[18:19], v[10:11], 0, v[66:67]
	v_ashrrev_i32_e32 v73, 31, v72
	global_load_dwordx4 v[14:17], v[18:19], off
	global_load_dwordx4 v[10:13], v[18:19], off offset:256
	v_lshl_add_u64 v[18:19], v[72:73], 2, s[4:5]
	v_or_b32_e32 v74, 0x1800, v68
	v_lshl_add_u64 v[26:27], v[18:19], 0, v[66:67]
	v_ashrrev_i32_e32 v75, 31, v74
	global_load_dwordx4 v[22:25], v[26:27], off
	global_load_dwordx4 v[18:21], v[26:27], off offset:256
	v_lshl_add_u64 v[26:27], v[74:75], 2, s[4:5]
	v_lshl_add_u64 v[34:35], v[26:27], 0, v[66:67]
	global_load_dwordx4 v[30:33], v[34:35], off
	global_load_dwordx4 v[26:29], v[34:35], off offset:256
	s_load_dwordx2 s[30:31], s[0:1], 0x40
	s_load_dwordx8 s[4:11], s[0:1], 0x0
	s_load_dwordx2 s[34:35], s[0:1], 0x80
	v_and_b32_e32 v67, 63, v0
	s_mul_i32 s57, s53, s24
	v_or_b32_e32 v90, 64, v89
	s_cmp_lt_i32 s12, 64
	v_lshrrev_b32_e32 v88, 3, v67
	s_mul_i32 s58, s41, s12
	s_mul_hi_u32 s59, s40, s12
	s_mul_i32 s16, s40, s12
	s_mul_i32 s33, s53, s21
	s_mul_hi_u32 s46, s53, s20
	s_mul_i32 s41, s3, s20
	s_mul_i32 s38, s53, s20
	;; [unrolled: 1-line block ×3, first 2 shown]
	s_mul_hi_u32 s48, s50, s22
	s_mul_i32 s49, s51, s22
	s_mul_i32 s36, s50, s22
	s_cbranch_scc1 .LBB170_18
; %bb.1:
	s_add_i32 s17, s59, s58
	s_lshl_b64 s[0:1], s[16:17], 8
	v_and_b32_e32 v92, 56, v87
	s_waitcnt lgkmcnt(0)
	s_add_u32 s20, s6, s0
	v_lshl_or_b32 v91, v1, 3, v88
	v_lshlrev_b32_e32 v34, 1, v92
	s_addc_u32 s0, s7, s1
	v_lshl_or_b32 v93, v91, 8, v34
	s_and_b32 s21, s0, 0xffff
	s_mov_b32 s23, 0x20000
	s_movk_i32 s22, 0x4000
	s_movk_i32 s0, 0x80
	v_or_b32_e32 v94, 0x2000, v93
	buffer_load_dwordx4 v[36:39], v93, s[20:23], 0 offen
	buffer_load_dwordx4 v[40:43], v93, s[20:23], s0 offen
	;; [unrolled: 1-line block ×4, first 2 shown]
	v_lshlrev_b32_e32 v35, 3, v91
	v_and_or_b32 v53, v0, 7, v35
	v_and_b32_e32 v35, 0x78, v35
	v_lshlrev_b32_e32 v53, 4, v53
	v_xor_b32_e32 v95, v53, v35
	v_mul_lo_u32 v52, v91, s15
	v_or_b32_e32 v96, 0x1000, v95
	v_xor_b32_e32 v35, 8, v95
	s_cmpk_eq_i32 s15, 0x80
	s_mov_b32 s60, s14
	v_xor_b32_e32 v53, 8, v96
	s_cselect_b64 s[0:1], -1, 0
	s_cmpk_lg_i32 s15, 0x80
	s_waitcnt vmcnt(3)
	ds_write_b64 v95, v[36:37] offset:49152
	ds_write_b64 v35, v[38:39] offset:49152
	s_waitcnt vmcnt(2)
	ds_write_b64 v95, v[40:41] offset:57344
	ds_write_b64 v35, v[42:43] offset:57344
	;; [unrolled: 3-line block ×4, first 2 shown]
	v_lshl_add_u32 v35, v52, 1, v92
	s_cbranch_scc0 .LBB170_3
; %bb.2:
	v_lshlrev_b32_e32 v37, 1, v35
	v_add_lshl_u32 v36, v35, s15, 1
	s_lshl_b32 s22, s15, 7
	v_lshl_or_b32 v34, v91, 9, v34
	s_cbranch_execz .LBB170_4
	s_branch .LBB170_5
.LBB170_3:
                                        ; implicit-def: $vgpr36
                                        ; implicit-def: $vgpr37
                                        ; implicit-def: $sgpr22
	v_lshl_or_b32 v34, v91, 9, v34
.LBB170_4:
	v_or_b32_e32 v36, 0x100, v34
	s_movk_i32 s22, 0x4000
	v_mov_b32_e32 v37, v34
.LBB170_5:
	s_mul_hi_u32 s20, s14, s12
	s_mul_i32 s21, s55, s12
	s_add_i32 s20, s20, s21
	s_mul_i32 s21, s14, s12
	s_mul_i32 s23, s21, s3
	s_mul_hi_u32 s24, s21, s53
	s_add_i32 s23, s24, s23
	s_mul_i32 s20, s20, s53
	s_add_i32 s23, s23, s20
	s_mul_i32 s21, s21, s53
	s_ashr_i32 s61, s56, 31
	s_add_u32 s20, s21, s56
	s_addc_u32 s21, s23, s61
	s_lshl_b64 s[20:21], s[20:21], 8
	s_add_u32 s20, s4, s20
	s_addc_u32 s21, s5, s21
	s_and_b32 s21, s21, 0xffff
	s_mov_b32 s23, 0x20000
	s_movk_i32 s62, 0x80
	buffer_load_dwordx4 v[38:41], v37, s[20:23], 0 offen
	buffer_load_dwordx4 v[42:45], v37, s[20:23], s62 offen
	;; [unrolled: 1-line block ×4, first 2 shown]
	v_and_b32_e32 v37, 6, v0
	v_lshlrev_b32_e32 v36, 7, v89
	v_xor_b32_e32 v58, v91, v37
	v_and_b32_e32 v54, 1, v0
	v_lshl_or_b32 v61, v86, 3, v36
	v_lshlrev_b32_e32 v58, 2, v58
	v_or_b32_e32 v97, 0x4000, v61
	v_or_b32_e32 v98, 0x6000, v61
	v_xor_b32_e32 v61, 0x440, v58
	v_cmp_eq_u32_e32 vcc, 0, v54
	v_lshlrev_b32_e32 v55, 2, v86
	s_mov_b32 s64, 0x1000504
	v_cndmask_b32_e32 v54, v61, v58, vcc
	v_xor_b32_e32 v59, v89, v55
	v_xor_b32_e32 v60, v90, v55
	v_lshl_or_b32 v37, v37, 10, v54
	s_mov_b32 s65, 0x3020706
	v_lshlrev_b32_e32 v56, 8, v86
	v_or_b32_e32 v57, 16, v86
	v_lshlrev_b32_e32 v59, 1, v59
	v_lshlrev_b32_e32 v60, 1, v60
	v_xor_b32_e32 v54, 8, v37
	v_xor_b32_e32 v58, 24, v37
	;; [unrolled: 1-line block ×4, first 2 shown]
	s_mul_i32 s3, s3, s12
	s_mul_hi_u32 s20, s53, s12
	v_or_b32_e32 v100, v56, v59
	v_or_b32_e32 v101, v56, v60
	v_xor_b32_e32 v56, 16, v37
	v_xor_b32_e32 v61, 32, v37
	v_xor_b32_e32 v64, 48, v37
	v_add_u32_e32 v54, 0x80, v54
	v_add_u32_e32 v58, 0x80, v58
	;; [unrolled: 1-line block ×4, first 2 shown]
	s_add_i32 s67, s20, s3
	s_add_i32 s3, s46, s33
	;; [unrolled: 1-line block ×5, first 2 shown]
	s_lshl_b64 s[20:21], s[38:39], 2
	s_add_u32 s3, s10, s20
	s_addc_u32 s24, s11, s21
	s_lshl_b64 s[20:21], s[36:37], 2
	s_add_u32 s42, s3, s20
	s_movk_i32 s3, 0xf8
	s_addc_u32 s43, s24, s21
	s_lshl_b32 s26, s15, 7
	s_movk_i32 s24, 0x100
	v_mov_b32_e32 v79, 0
	v_cmp_gt_u32_e32 vcc, s24, v0
	v_lshl_or_b32 v62, v57, 3, v36
	s_mov_b32 s63, 0
	s_mul_i32 s66, s53, s12
	v_or_b32_e32 v99, 0x4000, v62
	s_movk_i32 s22, 0x4000
	v_or_b32_e32 v102, 0x6000, v62
	s_movk_i32 s37, 0x2000
	s_movk_i32 s39, 0x3000
	s_mov_b32 s69, 0
	s_waitcnt vmcnt(1)
	v_perm_b32 v77, v38, v46, s64
	s_waitcnt vmcnt(0)
	v_perm_b32 v78, v42, v50, s64
	v_perm_b32 v38, v38, v46, s65
	;; [unrolled: 1-line block ×15, first 2 shown]
	ds_write2st64_b32 v37, v77, v78 offset0:128 offset1:160
	ds_write2st64_b32 v54, v38, v42 offset0:128 offset1:160
	;; [unrolled: 1-line block ×8, first 2 shown]
	v_lshlrev_b32_e32 v37, 8, v57
	v_or_b32_e32 v103, v37, v59
	v_or_b32_e32 v104, v37, v60
	;; [unrolled: 1-line block ×3, first 2 shown]
	v_lshl_or_b32 v38, v37, 3, v36
	v_lshlrev_b32_e32 v37, 8, v37
	v_or_b32_e32 v107, v37, v59
	v_or_b32_e32 v108, v37, v60
	;; [unrolled: 1-line block ×5, first 2 shown]
	v_lshl_or_b32 v38, v37, 3, v36
	v_lshlrev_b32_e32 v37, 8, v37
	v_or_b32_e32 v111, v37, v59
	v_or_b32_e32 v112, v37, v60
	v_or_b32_e32 v37, v84, v86
	v_lshlrev_b32_e32 v37, 3, v37
	v_lshrrev_b32_e32 v39, 5, v67
	v_and_or_b32 v39, v37, s3, v39
	v_lshlrev_b32_e32 v39, 4, v39
	v_lshlrev_b32_e32 v40, 11, v1
	v_and_b32_e32 v37, 0x78, v37
	v_or_b32_e32 v45, 32, v39
	v_or_b32_e32 v109, 0x4000, v38
	;; [unrolled: 1-line block ×3, first 2 shown]
	v_and_b32_e32 v38, 0x1000, v40
	v_xor_b32_e32 v41, v39, v37
	v_lshrrev_b32_e32 v42, 1, v0
	v_xor_b32_e32 v45, v45, v37
	v_or_b32_e32 v41, v41, v38
	v_and_b32_e32 v43, 8, v42
	v_or_b32_e32 v45, v45, v38
	v_xor_b32_e32 v113, v41, v43
	v_lshlrev_b32_e32 v41, 8, v85
	v_xor_b32_e32 v115, v45, v43
	v_or_b32_e32 v45, 64, v39
	v_or_b32_e32 v39, 0x60, v39
	s_ashr_i32 s3, s2, 31
	v_or_b32_e32 v44, v41, v55
	v_xor_b32_e32 v45, v45, v37
	v_xor_b32_e32 v37, v39, v37
	s_lshl_b64 s[20:21], s[2:3], 8
	v_lshlrev_b32_e32 v44, 1, v44
	v_or_b32_e32 v45, v45, v38
	v_or_b32_e32 v37, v37, v38
	s_add_u32 s20, s18, s20
	v_lshlrev_b32_e32 v38, 1, v86
	v_or_b32_e32 v114, 0x4000, v44
	v_or_b32_e32 v116, 0x4080, v44
	;; [unrolled: 1-line block ×8, first 2 shown]
	v_lshrrev_b32_e32 v44, 4, v0
	s_addc_u32 s21, s19, s21
	v_or_b32_e32 v39, 1, v38
	v_lshlrev_b32_e32 v78, 4, v86
	v_mov_b32_e32 v48, 0xa000
	v_mov_b32_e32 v49, 0x8000
	v_xor_b32_e32 v119, v45, v43
	v_xor_b32_e32 v45, v44, v38
	;; [unrolled: 1-line block ×3, first 2 shown]
	v_lshl_add_u64 v[38:39], s[20:21], 0, v[78:79]
	v_lshlrev_b32_e32 v78, 8, v44
	v_cndmask_b32_e32 v48, v48, v49, vcc
	v_lshlrev_b32_e32 v49, 3, v1
	v_and_b32_e32 v42, 24, v42
	v_lshl_or_b32 v125, v45, 3, v78
	v_and_b32_e32 v45, 8, v0
	v_xor_b32_e32 v50, v49, v42
	v_or_b32_e32 v51, 0x440, v50
	v_cmp_eq_u32_e32 vcc, 0, v45
	v_and_b32_e32 v44, 7, v0
	v_lshl_or_b32 v126, v46, 3, v78
	v_cndmask_b32_e32 v45, v51, v50, vcc
	v_lshlrev_b32_e32 v46, 3, v44
	v_lshlrev_b32_e32 v44, 7, v44
	v_or_b32_e32 v45, v45, v40
	v_lshlrev_b32_e32 v47, 2, v0
	v_xad_u32 v127, v45, v46, v44
	v_or_b32_e32 v45, 32, v42
	v_and_or_b32 v41, v47, 60, v41
	v_xor_b32_e32 v45, v49, v45
	v_lshlrev_b32_e32 v41, 1, v41
	v_or_b32_e32 v47, 0x440, v45
	v_or_b32_e32 v128, 0x6000, v41
	v_cndmask_b32_e32 v45, v47, v45, vcc
	v_or_b32_e32 v130, 0x6080, v41
	v_or_b32_e32 v131, 0x6100, v41
	;; [unrolled: 1-line block ×5, first 2 shown]
	v_xor_b32_e32 v41, v49, v41
	v_xad_u32 v129, v45, v46, v44
	v_xor_b32_e32 v45, 0x440, v41
	v_cndmask_b32_e32 v41, v45, v41, vcc
	v_or_b32_e32 v41, v41, v40
	v_xad_u32 v133, v41, v46, v44
	v_or_b32_e32 v41, 0x60, v42
	v_xor_b32_e32 v41, v49, v41
	v_xor_b32_e32 v42, 0x440, v41
	v_cndmask_b32_e32 v41, v42, v41, vcc
	v_or_b32_e32 v40, v41, v40
	v_xor_b32_e32 v120, v37, v43
	v_ashrrev_i32_e32 v77, 31, v76
	v_lshlrev_b32_e32 v37, 1, v35
	v_add_lshl_u32 v35, v35, s15, 1
	v_or_b32_e32 v43, 0x100, v34
	v_xad_u32 v134, v40, v46, v44
	v_cndmask_b32_e64 v135, v37, v34, s[0:1]
	v_cndmask_b32_e64 v136, v35, v43, s[0:1]
	v_lshl_add_u64 v[80:81], v[76:77], 1, s[8:9]
	v_lshl_add_u64 v[82:83], v[38:39], 0, v[78:79]
	s_mov_b32 s3, 0x7060302
	v_lshlrev_b32_e32 v78, 1, v36
	v_add_u32_e32 v77, v48, v127
	v_add_u32_e32 v137, v48, v129
	;; [unrolled: 1-line block ×4, first 2 shown]
	s_waitcnt lgkmcnt(0)
	s_barrier
.LBB170_6:                              ; =>This Inner Loop Header: Depth=1
	s_add_i32 s68, s69, 1
	s_cmp_lt_i32 s68, s54
	s_mov_b64 s[24:25], 0
	s_cselect_b64 s[44:45], -1, 0
	s_cmp_ge_i32 s68, s54
	s_mov_b64 s[20:21], 0
	s_cbranch_scc1 .LBB170_8
; %bb.7:                                ;   in Loop: Header=BB170_6 Depth=1
	s_add_i32 s0, s63, 64
	s_add_u32 s0, s16, s0
	s_addc_u32 s1, s17, 0
	s_lshl_b64 s[0:1], s[0:1], 8
	s_add_u32 s20, s6, s0
	s_addc_u32 s21, s7, s1
.LBB170_8:                              ;   in Loop: Header=BB170_6 Depth=1
	v_cndmask_b32_e64 v34, 0, 1, s[44:45]
	v_cmp_ne_u32_e64 s[0:1], 1, v34
	s_andn2_b64 vcc, exec, s[44:45]
	s_cbranch_vccnz .LBB170_10
; %bb.9:                                ;   in Loop: Header=BB170_6 Depth=1
	s_add_i32 s24, s63, 64
	s_add_u32 s24, s66, s24
	s_addc_u32 s25, s67, 0
	s_mul_i32 s27, s24, s55
	s_mul_hi_u32 s44, s24, s60
	s_add_i32 s27, s44, s27
	s_mul_i32 s25, s25, s60
	s_add_i32 s27, s27, s25
	s_mul_i32 s24, s24, s60
	s_add_u32 s24, s24, s56
	s_addc_u32 s25, s27, s61
	s_lshl_b64 s[24:25], s[24:25], 8
	s_add_u32 s24, s4, s24
	s_addc_u32 s25, s5, s25
.LBB170_10:                             ;   in Loop: Header=BB170_6 Depth=1
	v_perm_b32 v35, v9, v8, s3
	v_perm_b32 v34, v7, v6, s3
	v_perm_b32 v37, v5, v4, s3
	v_perm_b32 v36, v3, v2, s3
	ds_write_b64 v97, v[34:35]
	ds_write_b64 v98, v[36:37]
	ds_write_b64 v100, v[34:35]
	ds_write_b64 v101, v[36:37]
	v_perm_b32 v35, v17, v16, s3
	v_perm_b32 v34, v15, v14, s3
	v_perm_b32 v37, v13, v12, s3
	v_perm_b32 v36, v11, v10, s3
	ds_write_b64 v99, v[34:35]
	ds_write_b64 v102, v[36:37]
	ds_write_b64 v103, v[34:35]
	ds_write_b64 v104, v[36:37]
	;; [unrolled: 8-line block ×4, first 2 shown]
	s_waitcnt lgkmcnt(0)
	s_barrier
	ds_read_b64 v[38:39], v113 offset:49152
	ds_read2_b64 v[34:37], v114 offset1:16
	ds_read_b64 v[50:51], v116 offset:6144
	ds_read_b64 v[52:53], v114 offset:6144
	s_waitcnt lgkmcnt(2)
	v_mfma_f32_16x16x16_bf16 a[0:3], v[38:39], v[34:35], 0
	ds_read_b64 v[54:55], v115 offset:49152
	ds_read2st64_b64 v[42:45], v117 offset0:4 offset1:8
	ds_read2st64_b64 v[46:49], v118 offset0:4 offset1:8
	v_mfma_f32_16x16x16_bf16 a[4:7], v[38:39], v[36:37], 0
	ds_read2_b64 v[34:37], v114 offset0:32 offset1:48
	s_add_i32 s27, s63, 63
	s_mul_i32 s44, s27, s35
	s_waitcnt lgkmcnt(0)
	v_mfma_f32_16x16x16_bf16 a[8:11], v[38:39], v[34:35], 0
	s_mul_hi_u32 s45, s27, s34
	s_add_i32 s45, s45, s44
	s_mul_i32 s44, s27, s34
	v_mfma_f32_16x16x16_bf16 a[12:15], v[38:39], v[36:37], 0
	ds_read2st64_b64 v[34:37], v114 offset0:4 offset1:8
	ds_read2st64_b64 v[38:41], v116 offset0:4 offset1:8
	s_lshl_b64 s[44:45], s[44:45], 2
	s_waitcnt lgkmcnt(1)
	v_mfma_f32_16x16x16_bf16 a[0:3], v[54:55], v[34:35], a[0:3]
	s_add_u32 s44, s42, s44
	s_addc_u32 s45, s43, s45
	s_and_b64 vcc, exec, s[0:1]
	s_waitcnt lgkmcnt(0)
	v_mfma_f32_16x16x16_bf16 a[4:7], v[54:55], v[38:39], a[4:7]
	v_mov_b32_e32 v142, 0
	v_mov_b32_e32 v141, 0
	;; [unrolled: 1-line block ×3, first 2 shown]
	v_mfma_f32_16x16x16_bf16 a[8:11], v[54:55], v[42:43], a[8:11]
	ds_read_b64 v[34:35], v119 offset:49152
	ds_read_b64 v[38:39], v120 offset:49152
	;; [unrolled: 1-line block ×3, first 2 shown]
	v_mfma_f32_16x16x16_bf16 a[12:15], v[54:55], v[46:47], a[12:15]
	v_mov_b32_e32 v46, 0
	v_mov_b32_e32 v47, 0
	s_waitcnt lgkmcnt(2)
	v_mfma_f32_16x16x16_bf16 a[0:3], v[34:35], v[36:37], a[0:3]
	v_mov_b32_e32 v36, 0
	v_mov_b32_e32 v37, 0
	v_mfma_f32_16x16x16_bf16 a[16:19], v[34:35], v[40:41], a[4:7]
	v_mov_b32_e32 v40, 0
	v_mov_b32_e32 v41, 0
	;; [unrolled: 3-line block ×3, first 2 shown]
	v_mfma_f32_16x16x16_bf16 a[24:27], v[34:35], v[48:49], a[12:15]
	ds_read_b64 v[34:35], v117 offset:6144
	v_mov_b32_e32 v48, 0
	v_mov_b32_e32 v49, 0
	s_waitcnt lgkmcnt(2)
	v_mfma_f32_16x16x16_bf16 a[4:7], v[38:39], v[52:53], a[0:3]
	v_mfma_f32_16x16x16_bf16 a[8:11], v[38:39], v[50:51], a[16:19]
	s_waitcnt lgkmcnt(0)
	v_mfma_f32_16x16x16_bf16 a[12:15], v[38:39], v[34:35], a[20:23]
	v_mov_b32_e32 v34, 0
	v_mov_b32_e32 v35, 0
	v_mfma_f32_16x16x16_bf16 a[0:3], v[38:39], v[42:43], a[24:27]
	v_mov_b32_e32 v38, 0
	v_mov_b32_e32 v39, 0
	;; [unrolled: 1-line block ×4, first 2 shown]
	s_cbranch_vccnz .LBB170_12
; %bb.11:                               ;   in Loop: Header=BB170_6 Depth=1
	s_and_b32 s21, s21, 0xffff
	buffer_load_dwordx4 v[46:49], v93, s[20:23], 0 offen
	buffer_load_dwordx4 v[42:45], v93, s[20:23], s62 offen
	buffer_load_dwordx4 v[38:41], v94, s[20:23], 0 offen
	buffer_load_dwordx4 v[34:37], v94, s[20:23], s62 offen
	v_mov_b32_e32 v141, v95
	v_mov_b32_e32 v140, v96
.LBB170_12:                             ;   in Loop: Header=BB170_6 Depth=1
	ds_read_b64 v[144:145], v113 offset:57344
	ds_read2_b64 v[50:53], v121 offset1:16
	ds_read_b64 v[146:147], v115 offset:57344
	ds_read_b64 v[148:149], v119 offset:57344
	ds_read_b64 v[150:151], v120 offset:57344
	v_add_u32_e32 v143, s63, v89
	s_waitcnt lgkmcnt(3)
	v_mfma_f32_16x16x16_bf16 a[4:7], v[144:145], v[50:51], a[4:7]
	v_mfma_f32_16x16x16_bf16 a[8:11], v[144:145], v[52:53], a[8:11]
	ds_read2_b64 v[50:53], v121 offset0:32 offset1:48
	ds_read2st64_b64 v[54:57], v121 offset0:4 offset1:8
	ds_read2st64_b64 v[58:61], v122 offset0:4 offset1:8
	;; [unrolled: 1-line block ×3, first 2 shown]
	s_waitcnt lgkmcnt(3)
	v_mfma_f32_16x16x16_bf16 a[12:15], v[144:145], v[50:51], a[12:15]
	v_ashrrev_i32_e32 v50, 31, v143
	v_mfma_f32_16x16x16_bf16 a[0:3], v[144:145], v[52:53], a[0:3]
	v_mul_lo_u32 v52, v50, s34
	v_mul_lo_u32 v53, v143, s35
	v_mad_u64_u32 v[50:51], s[20:21], v143, s34, 0
	v_add3_u32 v51, v51, v53, v52
	v_add_u32_e32 v52, 1, v143
	v_ashrrev_i32_e32 v53, 31, v52
	s_waitcnt lgkmcnt(2)
	v_mfma_f32_16x16x16_bf16 a[4:7], v[146:147], v[54:55], a[4:7]
	v_mul_lo_u32 v54, v53, s34
	v_mul_lo_u32 v55, v52, s35
	v_mad_u64_u32 v[52:53], s[20:21], v52, s34, 0
	v_add3_u32 v53, v53, v55, v54
	v_add_u32_e32 v54, 2, v143
	v_ashrrev_i32_e32 v55, 31, v54
	s_waitcnt lgkmcnt(1)
	v_mfma_f32_16x16x16_bf16 a[8:11], v[146:147], v[58:59], a[8:11]
	v_mul_lo_u32 v58, v55, s34
	v_mul_lo_u32 v59, v54, s35
	v_mad_u64_u32 v[54:55], s[20:21], v54, s34, 0
	v_add3_u32 v55, v55, v59, v58
	v_add_u32_e32 v58, 3, v143
	v_ashrrev_i32_e32 v59, 31, v58
	v_mul_lo_u32 v143, v59, s34
	v_mul_lo_u32 v144, v58, s35
	v_mad_u64_u32 v[58:59], s[20:21], v58, s34, 0
	s_add_u32 s20, s16, s63
	s_addc_u32 s21, s17, 0
	v_lshl_add_u64 v[50:51], v[50:51], 2, s[42:43]
	v_add3_u32 v59, v59, v144, v143
	s_lshl_b64 s[20:21], s[20:21], 8
	v_lshl_add_u64 v[52:53], v[52:53], 2, s[42:43]
	v_lshl_add_u64 v[54:55], v[54:55], 2, s[42:43]
	;; [unrolled: 1-line block ×3, first 2 shown]
	global_load_dword v143, v[50:51], off
	global_load_dword v144, v[52:53], off
	;; [unrolled: 1-line block ×4, first 2 shown]
	v_lshl_add_u64 v[50:51], v[80:81], 0, s[20:21]
	v_lshl_add_u64 v[54:55], v[50:51], 0, v[78:79]
	global_load_ushort v153, v[54:55], off offset:256
	global_load_ushort v154, v[54:55], off
	ds_read2st64_b64 v[50:53], v124 offset0:4 offset1:8
	global_load_ushort v155, v[54:55], off offset:768
	global_load_ushort v156, v[54:55], off offset:512
	s_waitcnt lgkmcnt(1)
	v_mfma_f32_16x16x16_bf16 a[12:15], v[146:147], v[62:63], a[12:15]
	s_and_b64 vcc, exec, s[0:1]
	s_waitcnt vmcnt(3)
	v_lshlrev_b32_e32 v63, 16, v153
	s_waitcnt lgkmcnt(0)
	v_mfma_f32_16x16x16_bf16 a[0:3], v[146:147], v[50:51], a[0:3]
	global_load_ushort v146, v[54:55], off offset:288
	global_load_ushort v147, v[54:55], off offset:32
	;; [unrolled: 1-line block ×8, first 2 shown]
	v_mfma_f32_16x16x16_bf16 a[4:7], v[148:149], v[56:57], a[4:7]
	ds_read_b64 v[50:51], v121 offset:6144
	s_waitcnt vmcnt(10)
	v_lshlrev_b32_e32 v62, 16, v154
	v_mfma_f32_16x16x16_bf16 a[8:11], v[148:149], v[60:61], a[8:11]
	v_mfma_f32_16x16x16_bf16 a[12:15], v[148:149], v[64:65], a[12:15]
	;; [unrolled: 1-line block ×3, first 2 shown]
	global_load_ushort v148, v[54:55], off offset:352
	global_load_ushort v149, v[54:55], off offset:96
	ds_read_b64 v[52:53], v122 offset:6144
	ds_read_b64 v[56:57], v123 offset:6144
	ds_read_b64 v[58:59], v124 offset:6144
	global_load_ushort v163, v[54:55], off offset:864
	global_load_ushort v164, v[54:55], off offset:608
	s_load_dword s20, s[44:45], 0x0
	s_waitcnt lgkmcnt(0)
	v_mfma_f32_16x16x16_bf16 a[4:7], v[150:151], v[50:51], a[4:7]
	v_sub_f32_e32 v60, s20, v145
	v_mfma_f32_16x16x16_bf16 a[0:3], v[150:151], v[58:59], a[0:3]
	v_sub_f32_e32 v58, s20, v143
	v_sub_f32_e32 v59, s20, v144
	v_sub_f32_e32 v61, s20, v152
	v_mfma_f32_16x16x16_bf16 a[8:11], v[150:151], v[52:53], a[8:11]
	v_exp_f32_e32 v58, v58
	v_exp_f32_e32 v59, v59
	;; [unrolled: 1-line block ×4, first 2 shown]
	v_accvgpr_read_b32 v65, a5
	v_accvgpr_read_b32 v64, a4
	;; [unrolled: 1-line block ×4, first 2 shown]
	v_pk_add_f32 v[62:63], v[62:63], v[64:65] neg_lo:[0,1] neg_hi:[0,1]
	s_waitcnt vmcnt(13)
	v_lshlrev_b32_e32 v65, 16, v155
	s_waitcnt vmcnt(12)
	v_lshlrev_b32_e32 v64, 16, v156
	v_pk_add_f32 v[50:51], v[64:65], v[50:51] neg_lo:[0,1] neg_hi:[0,1]
	v_pk_mul_f32 v[62:63], v[58:59], v[62:63]
	v_pk_mul_f32 v[50:51], v[60:61], v[50:51]
	v_accvgpr_read_b32 v65, a9
	v_perm_b32 v51, v51, v50, s3
	v_perm_b32 v50, v63, v62, s3
	v_accvgpr_read_b32 v64, a8
	v_accvgpr_read_b32 v53, a11
	v_mfma_f32_16x16x16_bf16 a[12:15], v[150:151], v[56:57], a[12:15]
	v_accvgpr_read_b32 v52, a10
	v_accvgpr_read_b32 v57, a3
	;; [unrolled: 1-line block ×3, first 2 shown]
	v_mov_b32_e32 v143, 0
	s_waitcnt vmcnt(11)
	v_lshlrev_b32_e32 v63, 16, v146
	s_waitcnt vmcnt(10)
	v_lshlrev_b32_e32 v62, 16, v147
	v_pk_add_f32 v[62:63], v[62:63], v[64:65] neg_lo:[0,1] neg_hi:[0,1]
	s_waitcnt vmcnt(9)
	v_lshlrev_b32_e32 v65, 16, v157
	s_waitcnt vmcnt(8)
	v_lshlrev_b32_e32 v64, 16, v158
	v_pk_add_f32 v[52:53], v[64:65], v[52:53] neg_lo:[0,1] neg_hi:[0,1]
	v_pk_mul_f32 v[62:63], v[58:59], v[62:63]
	v_pk_mul_f32 v[52:53], v[60:61], v[52:53]
	v_accvgpr_read_b32 v55, a15
	v_perm_b32 v53, v53, v52, s3
	v_perm_b32 v52, v63, v62, s3
	ds_write2_b64 v98, v[50:51], v[52:53] offset1:16
	v_accvgpr_read_b32 v53, a13
	s_waitcnt vmcnt(7)
	v_lshlrev_b32_e32 v51, 16, v159
	s_waitcnt vmcnt(6)
	v_lshlrev_b32_e32 v50, 16, v160
	v_accvgpr_read_b32 v52, a12
	v_accvgpr_read_b32 v54, a14
	v_pk_add_f32 v[50:51], v[50:51], v[52:53] neg_lo:[0,1] neg_hi:[0,1]
	s_waitcnt vmcnt(5)
	v_lshlrev_b32_e32 v53, 16, v161
	s_waitcnt vmcnt(4)
	v_lshlrev_b32_e32 v52, 16, v162
	v_pk_add_f32 v[52:53], v[52:53], v[54:55] neg_lo:[0,1] neg_hi:[0,1]
	v_pk_mul_f32 v[50:51], v[58:59], v[50:51]
	v_pk_mul_f32 v[52:53], v[60:61], v[52:53]
	v_accvgpr_read_b32 v55, a1
	v_perm_b32 v53, v53, v52, s3
	v_perm_b32 v52, v51, v50, s3
	s_waitcnt vmcnt(3)
	v_lshlrev_b32_e32 v51, 16, v148
	s_waitcnt vmcnt(2)
	v_lshlrev_b32_e32 v50, 16, v149
	v_accvgpr_read_b32 v54, a0
	v_pk_add_f32 v[50:51], v[50:51], v[54:55] neg_lo:[0,1] neg_hi:[0,1]
	s_waitcnt vmcnt(1)
	v_lshlrev_b32_e32 v55, 16, v163
	s_waitcnt vmcnt(0)
	v_lshlrev_b32_e32 v54, 16, v164
	v_pk_add_f32 v[54:55], v[54:55], v[56:57] neg_lo:[0,1] neg_hi:[0,1]
	v_pk_mul_f32 v[50:51], v[58:59], v[50:51]
	v_pk_mul_f32 v[54:55], v[60:61], v[54:55]
	v_mov_b32_e32 v56, 0
	v_perm_b32 v55, v55, v54, s3
	v_perm_b32 v54, v51, v50, s3
	ds_write2_b64 v98, v[52:53], v[54:55] offset0:32 offset1:48
	v_mov_b32_e32 v50, 0
	v_mov_b32_e32 v51, 0
	;; [unrolled: 1-line block ×15, first 2 shown]
	s_cbranch_vccnz .LBB170_14
; %bb.13:                               ;   in Loop: Header=BB170_6 Depth=1
	s_and_b32 s25, s25, 0xffff
	s_mov_b32 s27, s23
	buffer_load_dwordx4 v[62:65], v135, s[24:27], 0 offen
	buffer_load_dwordx4 v[54:57], v135, s[24:27], s62 offen
	buffer_load_dwordx4 v[58:61], v136, s[24:27], 0 offen
	buffer_load_dwordx4 v[50:53], v136, s[24:27], s62 offen
	v_mov_b32_e32 v142, v92
	v_mov_b32_e32 v143, v91
.LBB170_14:                             ;   in Loop: Header=BB170_6 Depth=1
	s_waitcnt lgkmcnt(0)
	s_barrier
	ds_read_b64 v[152:153], v77
	ds_read2_b64 v[144:147], v128 offset1:16
	ds_read_b64 v[168:169], v137
	ds_read_b64 v[170:171], v138
	;; [unrolled: 1-line block ×3, first 2 shown]
	ds_read2_b64 v[148:151], v128 offset0:32 offset1:48
	s_waitcnt lgkmcnt(4)
	v_mfma_f32_16x16x16_bf16 a[0:3], v[152:153], v[144:145], 0
	ds_read2st64_b64 v[156:159], v130 offset0:4 offset1:8
	ds_read2st64_b64 v[160:163], v131 offset0:4 offset1:8
	;; [unrolled: 1-line block ×3, first 2 shown]
	v_mfma_f32_16x16x16_bf16 a[4:7], v[152:153], v[146:147], 0
	s_add_i32 s21, s57, s69
	s_mul_hi_i32 s25, s21, s13
	s_mul_i32 s21, s21, s13
	s_waitcnt lgkmcnt(3)
	v_mfma_f32_16x16x16_bf16 a[8:11], v[152:153], v[148:149], 0
	s_add_u32 s24, s21, s50
	s_addc_u32 s25, s25, s51
	s_lshl_b64 s[24:25], s[24:25], 15
	v_mfma_f32_16x16x16_bf16 a[12:15], v[152:153], v[150:151], 0
	ds_read2st64_b64 v[152:155], v128 offset0:4 offset1:8
	s_waitcnt lgkmcnt(0)
	v_mfma_f32_16x16x16_bf16 a[0:3], v[168:169], v[152:153], a[0:3]
	v_mfma_f32_16x16x16_bf16 a[4:7], v[168:169], v[156:157], a[4:7]
	;; [unrolled: 1-line block ×8, first 2 shown]
	ds_read_b64 v[168:169], v128 offset:6144
	ds_read_b64 v[170:171], v129 offset:40960
	;; [unrolled: 1-line block ×8, first 2 shown]
	s_waitcnt lgkmcnt(5)
	v_mfma_f32_16x16x16_bf16 a[16:19], v[174:175], v[144:145], 0
	v_mfma_f32_16x16x16_bf16 a[20:23], v[174:175], v[146:147], 0
	ds_read2st64_b64 v[144:147], v125 offset1:8
	v_mfma_f32_16x16x16_bf16 a[24:27], v[174:175], v[148:149], 0
	v_mfma_f32_16x16x16_bf16 a[28:31], v[174:175], v[150:151], 0
	ds_read2st64_b64 v[148:151], v126 offset1:8
	v_mfma_f32_16x16x16_bf16 a[16:19], v[170:171], v[152:153], a[16:19]
	s_waitcnt lgkmcnt(1)
	v_mov_b32_e32 v152, v144
	v_mov_b32_e32 v153, v145
	v_mfma_f32_16x16x16_bf16 a[20:23], v[170:171], v[156:157], a[20:23]
	v_lshl_add_u64 v[156:157], v[82:83], 0, s[24:25]
	v_mfma_f32_16x16x16_bf16 a[24:27], v[170:171], v[160:161], a[24:27]
	v_mfma_f32_16x16x16_bf16 a[28:31], v[170:171], v[164:165], a[28:31]
	;; [unrolled: 1-line block ×3, first 2 shown]
	s_waitcnt lgkmcnt(0)
	v_mov_b32_e32 v154, v148
	v_mov_b32_e32 v155, v149
	;; [unrolled: 1-line block ×3, first 2 shown]
	v_mfma_f32_16x16x16_bf16 a[32:35], v[182:183], v[158:159], a[20:23]
	v_mov_b32_e32 v149, v147
	ds_read2st64_b64 v[144:147], v125 offset0:16 offset1:24
	global_store_dwordx4 v[156:157], v[152:155], off
	v_mfma_f32_16x16x16_bf16 a[24:27], v[182:183], v[162:163], a[24:27]
	ds_read2st64_b64 v[152:155], v126 offset0:16 offset1:24
	v_add_co_u32_e32 v158, vcc, s37, v156
	v_mfma_f32_16x16x16_bf16 a[28:31], v[182:183], v[166:167], a[28:31]
	s_nop 0
	v_addc_co_u32_e32 v159, vcc, 0, v157, vcc
	global_store_dwordx4 v[158:159], v[148:151], off offset:-4096
	v_mfma_f32_16x16x16_bf16 a[0:3], v[172:173], v[168:169], a[0:3]
	s_waitcnt lgkmcnt(1)
	v_mov_b32_e32 v148, v144
	v_add_co_u32_e32 v144, vcc, s39, v156
	v_mfma_f32_16x16x16_bf16 a[4:7], v[172:173], v[176:177], a[4:7]
	v_mov_b32_e32 v149, v145
	v_addc_co_u32_e32 v145, vcc, 0, v157, vcc
	v_mfma_f32_16x16x16_bf16 a[8:11], v[172:173], v[178:179], a[8:11]
	s_waitcnt lgkmcnt(0)
	v_mov_b32_e32 v150, v152
	v_mov_b32_e32 v151, v153
	;; [unrolled: 1-line block ×3, first 2 shown]
	v_mfma_f32_16x16x16_bf16 a[12:15], v[172:173], v[180:181], a[12:15]
	v_mov_b32_e32 v153, v147
	s_and_b64 vcc, exec, s[0:1]
	global_store_dwordx4 v[158:159], v[148:151], off
	v_mfma_f32_16x16x16_bf16 a[20:23], v[184:185], v[168:169], a[16:19]
	global_store_dwordx4 v[144:145], v[152:155], off
	v_mfma_f32_16x16x16_bf16 a[16:19], v[184:185], v[176:177], a[32:35]
	v_mfma_f32_16x16x16_bf16 a[24:27], v[184:185], v[178:179], a[24:27]
	;; [unrolled: 1-line block ×3, first 2 shown]
	s_cbranch_vccnz .LBB170_16
; %bb.15:                               ;   in Loop: Header=BB170_6 Depth=1
	v_lshrrev_b32_e32 v144, 3, v142
	v_and_b32_e32 v144, 6, v144
	v_xor_b32_e32 v143, v144, v143
	v_lshlrev_b32_e32 v143, 2, v143
	v_and_b32_e32 v142, 8, v142
	v_xor_b32_e32 v145, 0x440, v143
	v_cmp_eq_u32_e32 vcc, 0, v142
	s_barrier
	s_nop 0
	v_cndmask_b32_e32 v142, v145, v143, vcc
	v_lshl_or_b32 v142, v144, 10, v142
	s_waitcnt vmcnt(5)
	v_perm_b32 v143, v62, v58, s64
	s_waitcnt vmcnt(4)
	v_perm_b32 v144, v54, v50, s64
	ds_write2st64_b32 v142, v143, v144 offset0:128 offset1:160
	v_xor_b32_e32 v143, 8, v142
	v_perm_b32 v58, v62, v58, s65
	v_perm_b32 v50, v54, v50, s65
	v_add_u32_e32 v54, 0x80, v143
	ds_write2st64_b32 v54, v58, v50 offset0:128 offset1:160
	v_xor_b32_e32 v50, 16, v142
	v_perm_b32 v54, v63, v59, s64
	v_perm_b32 v58, v55, v51, s64
	ds_write2st64_b32 v50, v54, v58 offset0:129 offset1:161
	v_xor_b32_e32 v50, 24, v142
	v_perm_b32 v54, v63, v59, s65
	v_perm_b32 v51, v55, v51, s65
	v_add_u32_e32 v50, 0x80, v50
	ds_write2st64_b32 v50, v54, v51 offset0:129 offset1:161
	v_xor_b32_e32 v50, 32, v142
	v_perm_b32 v51, v64, v60, s64
	;; [unrolled: 9-line block ×3, first 2 shown]
	v_perm_b32 v52, v57, v53, s64
	ds_write2st64_b32 v50, v51, v52 offset0:131 offset1:163
	v_xor_b32_e32 v50, 56, v142
	v_perm_b32 v51, v65, v61, s65
	v_perm_b32 v52, v57, v53, s65
	v_add_u32_e32 v50, 0x80, v50
	ds_write2st64_b32 v50, v51, v52 offset0:131 offset1:163
	ds_write_b64 v141, v[46:47] offset:49152
	v_xor_b32_e32 v46, 8, v141
	ds_write_b64 v46, v[48:49] offset:49152
	ds_write_b64 v141, v[42:43] offset:57344
	;; [unrolled: 1-line block ×4, first 2 shown]
	v_xor_b32_e32 v38, 8, v140
	ds_write_b64 v38, v[40:41] offset:49152
	ds_write_b64 v140, v[34:35] offset:57344
	;; [unrolled: 1-line block ×3, first 2 shown]
.LBB170_16:                             ;   in Loop: Header=BB170_6 Depth=1
	v_exp_f32_e32 v140, s20
	v_accvgpr_read_b32 v37, a3
	v_accvgpr_read_b32 v41, a7
	;; [unrolled: 1-line block ×4, first 2 shown]
	s_waitcnt vmcnt(4)
	v_accvgpr_read_b32 v53, a23
	v_accvgpr_read_b32 v57, a19
	;; [unrolled: 1-line block ×28, first 2 shown]
	s_add_i32 s63, s63, 64
	v_pk_fma_f32 v[6:7], v[6:7], v[140:141], v[34:35] op_sel_hi:[1,0,1]
	v_pk_fma_f32 v[8:9], v[8:9], v[140:141], v[36:37] op_sel_hi:[1,0,1]
	;; [unrolled: 1-line block ×15, first 2 shown]
	s_cmp_eq_u32 s54, s68
	v_pk_fma_f32 v[28:29], v[28:29], v[140:141], v[64:65] op_sel_hi:[1,0,1]
	s_cbranch_scc1 .LBB170_18
; %bb.17:                               ;   in Loop: Header=BB170_6 Depth=1
	s_mov_b32 s69, s68
	s_branch .LBB170_6
.LBB170_18:
	s_lshl_b32 s26, s54, 6
	s_sub_i32 s27, s12, s26
	s_cmp_gt_i32 s27, 0
	s_cbranch_scc0 .LBB170_99
; %bb.19:
	s_ashr_i32 s3, s26, 31
	s_cmpk_lg_i32 s15, 0x80
	s_cselect_b64 s[22:23], -1, 0
	s_and_b64 vcc, exec, s[22:23]
	s_cbranch_vccz .LBB170_21
; %bb.20:
	s_mul_i32 s1, s53, s12
	s_mul_hi_i32 s0, s53, s12
	s_add_u32 s1, s1, s26
	s_addc_u32 s0, s0, s3
	s_mul_i32 s17, s1, s55
	s_mul_hi_u32 s20, s1, s14
	s_add_i32 s17, s20, s17
	s_mul_i32 s0, s0, s14
	s_add_i32 s17, s17, s0
	s_mul_i32 s1, s1, s14
	s_ashr_i32 s0, s56, 31
	s_add_u32 s24, s1, s56
	s_addc_u32 s25, s17, s0
	s_cbranch_execz .LBB170_22
	s_branch .LBB170_23
.LBB170_21:
                                        ; implicit-def: $sgpr24_sgpr25
.LBB170_22:
	s_mul_hi_i32 s0, s53, s14
	s_mul_i32 s53, s53, s14
	s_ashr_i32 s1, s56, 31
	s_add_u32 s14, s53, s56
	s_addc_u32 s0, s0, s1
	s_mul_i32 s1, s14, s52
	s_mul_hi_u32 s17, s14, s12
	s_add_i32 s1, s17, s1
	s_mul_i32 s0, s0, s12
	s_add_i32 s1, s1, s0
	s_mul_i32 s14, s14, s12
	s_add_u32 s24, s14, s26
	s_addc_u32 s25, s1, s3
.LBB170_23:
	s_mul_i32 s0, s40, s52
	s_add_i32 s0, s59, s0
	s_add_i32 s14, s57, s54
	;; [unrolled: 1-line block ×3, first 2 shown]
	s_add_u32 s0, s16, s26
	v_lshlrev_b32_e32 v38, 6, v89
	v_lshlrev_b32_e32 v56, 2, v86
	s_addc_u32 s1, s1, s3
	s_mov_b32 s3, 0x7060302
	v_or_b32_e32 v41, v38, v56
	v_xor_b32_e32 v39, v89, v56
	s_waitcnt vmcnt(7)
	v_perm_b32 v35, v9, v8, s3
	v_perm_b32 v34, v7, v6, s3
	s_waitcnt vmcnt(6)
	v_perm_b32 v37, v5, v4, s3
	v_perm_b32 v36, v3, v2, s3
	v_lshlrev_b32_e32 v41, 1, v41
	v_xor_b32_e32 v40, v90, v56
	ds_write2st64_b64 v41, v[34:35], v[36:37] offset0:32 offset1:48
	v_lshlrev_b32_e32 v39, 1, v39
	v_lshlrev_b32_e32 v41, 8, v86
	v_or_b32_e32 v42, v39, v41
	v_lshlrev_b32_e32 v40, 1, v40
	ds_write_b64 v42, v[34:35]
	v_or_b32_e32 v34, v40, v41
	v_or_b32_e32 v41, 16, v86
	v_lshlrev_b32_e32 v55, 2, v41
	v_or_b32_e32 v42, v38, v55
	ds_write_b64 v34, v[36:37]
	s_waitcnt vmcnt(5)
	v_perm_b32 v35, v17, v16, s3
	v_perm_b32 v34, v15, v14, s3
	s_waitcnt vmcnt(4)
	v_perm_b32 v37, v13, v12, s3
	v_perm_b32 v36, v11, v10, s3
	v_lshlrev_b32_e32 v42, 1, v42
	v_lshlrev_b32_e32 v41, 8, v41
	ds_write2st64_b64 v42, v[34:35], v[36:37] offset0:32 offset1:48
	v_or_b32_e32 v42, v39, v41
	ds_write_b64 v42, v[34:35]
	v_or_b32_e32 v34, v40, v41
	v_or_b32_e32 v41, 32, v86
	v_lshlrev_b32_e32 v54, 2, v41
	v_or_b32_e32 v42, v38, v54
	ds_write_b64 v34, v[36:37]
	s_waitcnt vmcnt(3)
	v_perm_b32 v35, v25, v24, s3
	v_perm_b32 v34, v23, v22, s3
	s_waitcnt vmcnt(2)
	v_perm_b32 v37, v21, v20, s3
	v_perm_b32 v36, v19, v18, s3
	v_lshlrev_b32_e32 v42, 1, v42
	v_lshlrev_b32_e32 v41, 8, v41
	s_lshl_b64 s[20:21], s[0:1], 8
	ds_write2st64_b64 v42, v[34:35], v[36:37] offset0:32 offset1:48
	v_or_b32_e32 v42, v39, v41
	s_waitcnt lgkmcnt(0)
	s_add_u32 s0, s6, s20
	ds_write_b64 v42, v[34:35]
	v_or_b32_e32 v34, v40, v41
	s_addc_u32 s1, s7, s21
	ds_write_b64 v34, v[36:37]
	s_waitcnt vmcnt(1)
	v_perm_b32 v35, v33, v32, s3
	v_perm_b32 v34, v31, v30, s3
	s_waitcnt vmcnt(0)
	v_perm_b32 v37, v29, v28, s3
	v_perm_b32 v36, v27, v26, s3
	v_or_b32_e32 v41, 48, v86
	s_mul_hi_i32 s3, s14, s13
	s_mul_i32 s14, s14, s13
	v_lshlrev_b32_e32 v51, 2, v41
	s_add_u32 s6, s14, s50
	v_or_b32_e32 v38, v38, v51
	s_addc_u32 s7, s3, s51
	v_lshlrev_b32_e32 v38, 1, v38
	s_ashr_i32 s3, s2, 31
	s_lshl_b64 s[6:7], s[6:7], 15
	ds_write2st64_b64 v38, v[34:35], v[36:37] offset0:32 offset1:48
	v_lshlrev_b32_e32 v38, 8, v41
	s_add_u32 s6, s18, s6
	v_or_b32_e32 v39, v39, v38
	s_addc_u32 s7, s19, s7
	s_lshl_b64 s[2:3], s[2:3], 8
	ds_write_b64 v39, v[34:35]
	v_or_b32_e32 v34, v40, v38
	s_add_u32 s2, s6, s2
	v_lshlrev_b32_e32 v35, 1, v86
	ds_write_b64 v34, v[36:37]
	v_lshrrev_b32_e32 v34, 4, v0
	s_addc_u32 s3, s7, s3
	v_or_b32_e32 v36, 1, v35
	v_lshlrev_b32_e32 v42, 4, v86
	v_mov_b32_e32 v43, 0
	v_xor_b32_e32 v35, v34, v35
	v_xor_b32_e32 v38, v36, v34
	v_lshl_add_u64 v[44:45], s[2:3], 0, v[42:43]
	v_lshlrev_b32_e32 v42, 8, v34
	v_lshl_or_b32 v48, v35, 3, v42
	v_lshl_or_b32 v49, v38, 3, v42
	s_waitcnt lgkmcnt(0)
	s_barrier
	ds_read2st64_b64 v[34:37], v48 offset1:8
	ds_read2st64_b64 v[38:41], v49 offset1:8
	v_lshl_add_u64 v[46:47], v[44:45], 0, v[42:43]
	s_movk_i32 s2, 0x2000
	s_cmp_lg_u32 s27, 64
	s_waitcnt lgkmcnt(1)
	v_mov_b32_e32 v42, v34
	v_mov_b32_e32 v43, v35
	s_waitcnt lgkmcnt(0)
	v_mov_b32_e32 v44, v38
	v_mov_b32_e32 v45, v39
	global_store_dwordx4 v[46:47], v[42:45], off
	v_mov_b32_e32 v38, v36
	v_mov_b32_e32 v39, v37
	ds_read2st64_b64 v[34:37], v48 offset0:16 offset1:24
	ds_read2st64_b64 v[42:45], v49 offset0:16 offset1:24
	v_add_co_u32_e32 v48, vcc, s2, v46
	s_cselect_b64 s[6:7], -1, 0
	s_nop 0
	v_addc_co_u32_e32 v49, vcc, 0, v47, vcc
	global_store_dwordx4 v[48:49], v[38:41], off offset:-4096
	v_lshl_or_b32 v62, v1, 3, v88
	s_mov_b32 s16, 0
	s_waitcnt lgkmcnt(1)
	v_mov_b32_e32 v38, v34
	v_add_co_u32_e32 v34, vcc, 0x3000, v46
	v_mov_b32_e32 v39, v35
	s_nop 0
	v_addc_co_u32_e32 v35, vcc, 0, v47, vcc
	s_waitcnt lgkmcnt(0)
	v_mov_b32_e32 v40, v42
	v_mov_b32_e32 v41, v43
	;; [unrolled: 1-line block ×4, first 2 shown]
	v_or_b32_e32 v52, 32, v62
	v_and_b32_e32 v50, 56, v87
	s_and_b64 vcc, exec, s[6:7]
	global_store_dwordx4 v[48:49], v[38:41], off
	global_store_dwordx4 v[34:35], v[42:45], off
	s_cbranch_vccz .LBB170_29
; %bb.24:
	s_mov_b32 s18, s16
	s_mov_b32 s19, s16
	;; [unrolled: 1-line block ×3, first 2 shown]
	v_mov_b64_e32 v[40:41], s[18:19]
	v_mov_b64_e32 v[38:39], s[16:17]
	;; [unrolled: 1-line block ×3, first 2 shown]
	v_cmp_gt_i32_e32 vcc, s27, v62
	v_mov_b64_e32 v[36:37], v[40:41]
	s_and_saveexec_b64 s[2:3], vcc
	s_cbranch_execz .LBB170_26
; %bb.25:
	v_lshlrev_b32_e32 v34, 8, v62
	v_mov_b32_e32 v35, 0
	v_lshl_add_u64 v[36:37], s[0:1], 0, v[34:35]
	v_lshlrev_b32_e32 v34, 1, v50
	v_lshl_add_u64 v[42:43], v[36:37], 0, v[34:35]
	global_load_dwordx4 v[38:41], v[42:43], off
	global_load_dwordx4 v[34:37], v[42:43], off offset:128
.LBB170_26:
	s_or_b64 exec, exec, s[2:3]
	s_mov_b32 s18, s16
	s_mov_b32 s19, s16
	s_mov_b32 s17, s16
	v_mov_b64_e32 v[48:49], s[18:19]
	v_mov_b64_e32 v[46:47], s[16:17]
	;; [unrolled: 1-line block ×3, first 2 shown]
	v_cmp_gt_i32_e32 vcc, s27, v52
	v_lshlrev_b32_e32 v53, 7, v52
	v_mov_b64_e32 v[44:45], v[48:49]
	s_and_saveexec_b64 s[2:3], vcc
	s_cbranch_execz .LBB170_28
; %bb.27:
	v_lshlrev_b32_e32 v42, 1, v53
	v_mov_b32_e32 v43, 0
	v_lshl_add_u64 v[44:45], s[0:1], 0, v[42:43]
	v_lshlrev_b32_e32 v42, 1, v50
	v_lshl_add_u64 v[58:59], v[44:45], 0, v[42:43]
	global_load_dwordx4 v[46:49], v[58:59], off
	global_load_dwordx4 v[42:45], v[58:59], off offset:128
.LBB170_28:
	s_or_b64 exec, exec, s[2:3]
	v_lshrrev_b32_e32 v57, 3, v50
	v_lshlrev_b32_e32 v58, 3, v62
	v_or_b32_e32 v57, v58, v57
	v_lshlrev_b32_e32 v57, 4, v57
	v_and_b32_e32 v58, 0x78, v58
	v_xor_b32_e32 v57, v57, v58
	s_branch .LBB170_31
.LBB170_29:
                                        ; implicit-def: $vgpr57
                                        ; implicit-def: $vgpr53
                                        ; implicit-def: $vgpr38_vgpr39_vgpr40_vgpr41
                                        ; implicit-def: $vgpr34_vgpr35_vgpr36_vgpr37
                                        ; implicit-def: $vgpr46_vgpr47_vgpr48_vgpr49
                                        ; implicit-def: $vgpr42_vgpr43_vgpr44_vgpr45
	s_cbranch_execz .LBB170_31
; %bb.30:
	s_waitcnt vmcnt(0)
	v_lshlrev_b32_e32 v34, 1, v50
	v_lshl_or_b32 v53, v62, 8, v34
	s_and_b32 s1, s1, 0xffff
	s_mov_b32 s3, 0x20000
	s_movk_i32 s2, 0x4000
	v_lshl_or_b32 v57, v52, 8, v34
	s_movk_i32 s13, 0x80
	buffer_load_dwordx4 v[38:41], v53, s[0:3], 0 offen
	buffer_load_dwordx4 v[34:37], v53, s[0:3], s13 offen
	;; [unrolled: 1-line block ×4, first 2 shown]
	v_lshrrev_b32_e32 v53, 3, v50
	v_lshlrev_b32_e32 v57, 3, v62
	v_or_b32_e32 v53, v57, v53
	v_lshlrev_b32_e32 v53, 4, v53
	v_and_b32_e32 v57, 0x78, v57
	v_xor_b32_e32 v57, v53, v57
	v_lshlrev_b32_e32 v53, 7, v52
.LBB170_31:
	s_movk_i32 s0, 0x1000
	v_and_or_b32 v52, v53, s0, v57
	s_waitcnt vmcnt(1)
	ds_write_b64 v57, v[38:39] offset:49152
	v_xor_b32_e32 v38, 8, v57
	ds_write_b64 v38, v[40:41] offset:49152
	s_waitcnt vmcnt(0)
	ds_write_b64 v57, v[34:35] offset:57344
	ds_write_b64 v38, v[36:37] offset:57344
	;; [unrolled: 1-line block ×3, first 2 shown]
	v_xor_b32_e32 v34, 8, v52
	ds_write_b64 v34, v[48:49] offset:49152
	ds_write_b64 v52, v[42:43] offset:57344
	;; [unrolled: 1-line block ×3, first 2 shown]
	v_or_b32_e32 v34, v84, v86
	v_lshlrev_b32_e32 v34, 3, v34
	v_lshrrev_b32_e32 v35, 5, v67
	s_movk_i32 s0, 0xf8
	v_and_or_b32 v35, v34, s0, v35
	v_lshlrev_b32_e32 v39, 4, v35
	v_lshlrev_b32_e32 v57, 11, v1
	v_and_b32_e32 v40, 0x78, v34
	v_or_b32_e32 v42, 32, v39
	v_and_b32_e32 v38, 0x1000, v57
	v_lshrrev_b32_e32 v35, 1, v67
	v_xor_b32_e32 v42, v42, v40
	v_xor_b32_e32 v34, v39, v40
	v_and_b32_e32 v41, 8, v35
	v_or_b32_e32 v42, v42, v38
	v_or_b32_e32 v34, v34, v38
	v_xor_b32_e32 v64, v42, v41
	v_or_b32_e32 v42, 64, v39
	v_xor_b32_e32 v63, v34, v41
	v_xor_b32_e32 v42, v42, v40
	s_waitcnt lgkmcnt(0)
	s_barrier
	v_or_b32_e32 v45, v42, v38
	ds_read_b64 v[42:43], v63 offset:49152
	v_lshl_or_b32 v46, v85, 8, v56
	v_lshlrev_b32_e32 v58, 1, v46
	v_add_u32_e32 v44, 0x4000, v58
	ds_read2_b64 v[34:37], v44 offset1:16
	v_or_b32_e32 v39, 0x60, v39
	v_xor_b32_e32 v39, v39, v40
	v_or_b32_e32 v38, v39, v38
	v_xor_b32_e32 v65, v45, v41
	v_xor_b32_e32 v77, v38, v41
	ds_read_b64 v[52:53], v64 offset:49152
	ds_read_b64 v[78:79], v65 offset:49152
	ds_read_b64 v[80:81], v77 offset:49152
	s_waitcnt lgkmcnt(3)
	v_mfma_f32_16x16x16_bf16 a[0:3], v[42:43], v[34:35], 0
	ds_read2st64_b64 v[38:41], v58 offset0:36 offset1:40
	s_lshl_b64 s[0:1], s[24:25], 8
	s_add_u32 s4, s4, s0
	v_mfma_f32_16x16x16_bf16 a[4:7], v[42:43], v[36:37], 0
	ds_read2_b64 v[34:37], v44 offset0:32 offset1:48
	s_addc_u32 s5, s5, s1
	s_add_i32 s1, s46, s33
	s_waitcnt lgkmcnt(0)
	v_mfma_f32_16x16x16_bf16 a[8:11], v[42:43], v[34:35], 0
	v_or_b32_e32 v34, 64, v46
	v_lshlrev_b32_e32 v59, 1, v34
	s_add_i32 s0, s12, -1
	v_mfma_f32_16x16x16_bf16 a[12:15], v[42:43], v[36:37], 0
	ds_read2st64_b64 v[34:37], v59 offset0:36 offset1:40
	s_add_i32 s39, s1, s41
	s_add_i32 s1, s48, s47
	v_mfma_f32_16x16x16_bf16 a[0:3], v[52:53], v[38:39], a[0:3]
	v_or_b32_e32 v38, 0x80, v46
	v_lshlrev_b32_e32 v60, 1, v38
	ds_read2st64_b64 v[42:45], v60 offset0:36 offset1:40
	s_waitcnt lgkmcnt(1)
	v_mfma_f32_16x16x16_bf16 a[4:7], v[52:53], v[34:35], a[4:7]
	v_or_b32_e32 v34, 0xc0, v46
	v_lshlrev_b32_e32 v61, 1, v34
	ds_read2st64_b64 v[46:49], v61 offset0:36 offset1:40
	s_add_i32 s37, s1, s49
	s_ashr_i32 s1, s0, 31
	s_mul_i32 s2, s0, s35
	s_mul_hi_u32 s3, s0, s34
	s_add_i32 s2, s3, s2
	s_mul_i32 s1, s1, s34
	s_waitcnt lgkmcnt(1)
	v_mfma_f32_16x16x16_bf16 a[8:11], v[52:53], v[42:43], a[8:11]
	s_add_i32 s1, s2, s1
	s_lshl_b64 s[2:3], s[38:39], 2
	s_add_u32 s10, s10, s2
	s_waitcnt lgkmcnt(0)
	v_mfma_f32_16x16x16_bf16 a[12:15], v[52:53], v[46:47], a[12:15]
	s_addc_u32 s11, s11, s3
	s_lshl_b64 s[2:3], s[36:37], 2
	s_mul_i32 s0, s0, s34
	v_mfma_f32_16x16x16_bf16 a[0:3], v[78:79], v[40:41], a[0:3]
	ds_read_b64 v[34:35], v58 offset:22528
	s_add_u32 s10, s10, s2
	s_addc_u32 s11, s11, s3
	v_mfma_f32_16x16x16_bf16 a[4:7], v[78:79], v[36:37], a[4:7]
	ds_read_b64 v[36:37], v59 offset:22528
	ds_read_b64 v[38:39], v60 offset:22528
	;; [unrolled: 1-line block ×3, first 2 shown]
	s_lshl_b64 s[0:1], s[0:1], 2
	s_add_u32 s0, s10, s0
	v_mfma_f32_16x16x16_bf16 a[8:11], v[78:79], v[44:45], a[8:11]
	s_addc_u32 s1, s11, s1
	s_load_dword s12, s[0:1], 0x0
	s_and_b64 vcc, exec, s[22:23]
	v_mfma_f32_16x16x16_bf16 a[12:15], v[78:79], v[48:49], a[12:15]
	s_waitcnt lgkmcnt(0)
	v_mfma_f32_16x16x16_bf16 a[0:3], v[80:81], v[34:35], a[0:3]
	v_mfma_f32_16x16x16_bf16 a[4:7], v[80:81], v[36:37], a[4:7]
	;; [unrolled: 1-line block ×4, first 2 shown]
	s_cbranch_vccz .LBB170_42
; %bb.32:
	v_lshlrev_b32_e32 v52, 1, v62
	s_and_b64 vcc, exec, s[6:7]
	s_cbranch_vccz .LBB170_43
; %bb.33:
	v_cmp_gt_i32_e32 vcc, s27, v52
	v_mov_b32_e32 v38, 0
	v_mov_b32_e32 v34, 0
	v_mov_b32_e32 v35, 0
	v_mov_b32_e32 v36, 0
	v_mov_b32_e32 v37, 0
	s_and_saveexec_b64 s[0:1], vcc
	s_cbranch_execz .LBB170_35
; %bb.34:
	v_mad_i64_i32 v[34:35], s[2:3], s15, v52, 0
	v_lshl_add_u64 v[34:35], v[34:35], 1, s[4:5]
	v_lshlrev_b32_e32 v36, 1, v50
	v_mov_b32_e32 v37, 0
	v_lshl_add_u64 v[34:35], v[34:35], 0, v[36:37]
	global_load_dwordx4 v[34:37], v[34:35], off
.LBB170_35:
	s_or_b64 exec, exec, s[0:1]
	v_or_b32_e32 v53, 1, v52
	v_cmp_gt_i32_e64 s[0:1], s27, v53
	v_mov_b32_e32 v39, 0
	v_mov_b32_e32 v40, 0
	;; [unrolled: 1-line block ×3, first 2 shown]
	s_and_saveexec_b64 s[2:3], s[0:1]
	s_cbranch_execz .LBB170_37
; %bb.36:
	v_mad_i64_i32 v[38:39], s[16:17], s15, v53, 0
	v_lshl_add_u64 v[38:39], v[38:39], 1, s[4:5]
	v_lshlrev_b32_e32 v40, 1, v50
	v_mov_b32_e32 v41, 0
	v_lshl_add_u64 v[38:39], v[38:39], 0, v[40:41]
	global_load_dwordx4 v[38:41], v[38:39], off
.LBB170_37:
	s_or_b64 exec, exec, s[2:3]
	v_mov_b32_e32 v49, 0
	v_mov_b32_e32 v42, 0
	;; [unrolled: 1-line block ×5, first 2 shown]
	s_and_saveexec_b64 s[2:3], vcc
	s_cbranch_execz .LBB170_39
; %bb.38:
	v_mad_i64_i32 v[42:43], s[16:17], s15, v52, 0
	v_lshl_add_u64 v[42:43], v[42:43], 1, s[4:5]
	v_lshlrev_b32_e32 v44, 1, v50
	v_mov_b32_e32 v45, 0
	v_lshl_add_u64 v[42:43], v[42:43], 0, v[44:45]
	global_load_dwordx4 v[42:45], v[42:43], off offset:128
.LBB170_39:
	s_or_b64 exec, exec, s[2:3]
	v_mov_b32_e32 v48, 0
	v_mov_b32_e32 v47, 0
	;; [unrolled: 1-line block ×3, first 2 shown]
	s_and_saveexec_b64 s[2:3], s[0:1]
	s_cbranch_execz .LBB170_41
; %bb.40:
	v_mad_i64_i32 v[46:47], s[0:1], s15, v53, 0
	v_lshl_add_u64 v[46:47], v[46:47], 1, s[4:5]
	v_lshlrev_b32_e32 v48, 1, v50
	v_mov_b32_e32 v49, 0
	v_lshl_add_u64 v[46:47], v[46:47], 0, v[48:49]
	global_load_dwordx4 v[46:49], v[46:47], off offset:128
.LBB170_41:
	s_or_b64 exec, exec, s[2:3]
	s_branch .LBB170_45
.LBB170_42:
                                        ; implicit-def: $vgpr37
                                        ; implicit-def: $vgpr41
                                        ; implicit-def: $vgpr45
                                        ; implicit-def: $vgpr49
	v_lshrrev_b32_e32 v67, 2, v67
	s_branch .LBB170_46
.LBB170_43:
                                        ; implicit-def: $vgpr37
                                        ; implicit-def: $vgpr41
                                        ; implicit-def: $vgpr45
                                        ; implicit-def: $vgpr49
	s_cbranch_execz .LBB170_45
; %bb.44:
	s_waitcnt vmcnt(0)
	v_mad_u64_u32 v[34:35], s[0:1], v52, s15, v[50:51]
	v_lshlrev_b32_e32 v52, 1, v34
	s_lshl_b32 s2, s15, 7
	s_and_b32 s1, s5, 0xffff
	s_mov_b32 s3, 0x20000
	s_mov_b32 s0, s4
	v_add_lshl_u32 v53, v34, s15, 1
	s_movk_i32 s13, 0x80
	buffer_load_dwordx4 v[34:37], v52, s[0:3], 0 offen
	buffer_load_dwordx4 v[42:45], v52, s[0:3], s13 offen
	;; [unrolled: 1-line block ×4, first 2 shown]
.LBB170_45:
	v_lshrrev_b32_e32 v67, 2, v67
	s_cbranch_execnz .LBB170_58
.LBB170_46:
	s_and_b64 vcc, exec, s[6:7]
	s_cbranch_vccz .LBB170_56
; %bb.47:
	s_waitcnt vmcnt(0)
	v_lshlrev_b32_e32 v39, 1, v62
	v_cmp_gt_i32_e32 vcc, s27, v39
	v_mov_b32_e32 v38, 0
	v_lshlrev_b32_e32 v46, 9, v62
	v_mov_b32_e32 v34, 0
	v_mov_b32_e32 v35, 0
	;; [unrolled: 1-line block ×4, first 2 shown]
	s_and_saveexec_b64 s[0:1], vcc
	s_cbranch_execz .LBB170_49
; %bb.48:
	v_mov_b32_e32 v47, 0
	v_lshl_add_u64 v[34:35], s[4:5], 0, v[46:47]
	v_lshlrev_b32_e32 v36, 1, v50
	v_mov_b32_e32 v37, v47
	v_lshl_add_u64 v[34:35], v[34:35], 0, v[36:37]
	global_load_dwordx4 v[34:37], v[34:35], off
.LBB170_49:
	s_or_b64 exec, exec, s[0:1]
	v_or_b32_e32 v39, 1, v39
	v_cmp_gt_i32_e64 s[0:1], s27, v39
	v_lshlrev_b32_e32 v52, 8, v39
	v_mov_b32_e32 v39, 0
	v_mov_b32_e32 v40, 0
	;; [unrolled: 1-line block ×3, first 2 shown]
	s_and_saveexec_b64 s[2:3], s[0:1]
	s_cbranch_execz .LBB170_51
; %bb.50:
	v_mov_b32_e32 v53, 0
	v_lshl_add_u64 v[38:39], s[4:5], 0, v[52:53]
	v_lshlrev_b32_e32 v40, 1, v50
	v_mov_b32_e32 v41, v53
	v_lshl_add_u64 v[38:39], v[38:39], 0, v[40:41]
	global_load_dwordx4 v[38:41], v[38:39], off
.LBB170_51:
	s_or_b64 exec, exec, s[2:3]
	v_mov_b32_e32 v49, 0
	v_mov_b32_e32 v42, 0
	;; [unrolled: 1-line block ×5, first 2 shown]
	s_and_saveexec_b64 s[2:3], vcc
	s_cbranch_execz .LBB170_53
; %bb.52:
	v_mov_b32_e32 v47, 0
	v_lshl_add_u64 v[42:43], s[4:5], 0, v[46:47]
	v_lshlrev_b32_e32 v46, 1, v50
	v_lshl_add_u64 v[42:43], v[42:43], 0, v[46:47]
	global_load_dwordx4 v[42:45], v[42:43], off offset:128
.LBB170_53:
	s_or_b64 exec, exec, s[2:3]
	v_mov_b32_e32 v48, 0
	v_mov_b32_e32 v47, 0
	;; [unrolled: 1-line block ×3, first 2 shown]
	s_and_saveexec_b64 s[2:3], s[0:1]
	s_cbranch_execz .LBB170_55
; %bb.54:
	v_mov_b32_e32 v53, 0
	v_lshl_add_u64 v[46:47], s[4:5], 0, v[52:53]
	v_lshlrev_b32_e32 v52, 1, v50
	v_lshl_add_u64 v[46:47], v[46:47], 0, v[52:53]
	global_load_dwordx4 v[46:49], v[46:47], off offset:128
.LBB170_55:
	s_or_b64 exec, exec, s[2:3]
	s_branch .LBB170_58
.LBB170_56:
                                        ; implicit-def: $vgpr37
                                        ; implicit-def: $vgpr41
                                        ; implicit-def: $vgpr45
                                        ; implicit-def: $vgpr49
	s_cbranch_execz .LBB170_58
; %bb.57:
	s_waitcnt vmcnt(0)
	v_lshlrev_b32_e32 v34, 1, v50
	v_lshl_or_b32 v50, v62, 9, v34
	s_and_b32 s5, s5, 0xffff
	s_mov_b32 s7, 0x20000
	s_movk_i32 s6, 0x4000
	s_movk_i32 s0, 0x80
	buffer_load_dwordx4 v[34:37], v50, s[4:7], 0 offen
	buffer_load_dwordx4 v[38:41], v50, s[4:7], 0 offen offset:256
	buffer_load_dwordx4 v[42:45], v50, s[4:7], s0 offen
	buffer_load_dwordx4 v[46:49], v50, s[4:7], s0 offen offset:256
.LBB170_58:
	ds_read_b64 v[52:53], v63 offset:57344
	v_add_u32_e32 v50, 0x6000, v58
	ds_read2_b64 v[78:81], v50 offset1:16
	ds_read_b64 v[82:83], v64 offset:57344
	ds_read_b64 v[64:65], v65 offset:57344
	;; [unrolled: 1-line block ×3, first 2 shown]
	ds_read2st64_b64 v[86:89], v58 offset0:52 offset1:56
	v_and_b32_e32 v63, 1, v0
	v_cmp_eq_u32_e32 vcc, 0, v63
	s_mov_b32 s0, 0x1000504
	s_waitcnt vmcnt(0)
	v_perm_b32 v63, v42, v46, s0
	s_mov_b32 s1, 0x3020706
	s_waitcnt lgkmcnt(4)
	v_mfma_f32_16x16x16_bf16 a[0:3], v[52:53], v[78:79], a[0:3]
	v_mfma_f32_16x16x16_bf16 a[4:7], v[52:53], v[80:81], a[4:7]
	ds_read2_b64 v[78:81], v50 offset0:32 offset1:48
	v_and_b32_e32 v50, 6, v0
	v_xor_b32_e32 v62, v62, v50
	s_waitcnt lgkmcnt(0)
	v_mfma_f32_16x16x16_bf16 a[8:11], v[52:53], v[78:79], a[8:11]
	v_lshlrev_b32_e32 v62, 2, v62
	v_xor_b32_e32 v77, 0x440, v62
	v_cndmask_b32_e32 v62, v77, v62, vcc
	v_mfma_f32_16x16x16_bf16 a[12:15], v[52:53], v[80:81], a[12:15]
	ds_read2st64_b64 v[78:81], v59 offset0:52 offset1:56
	ds_read2st64_b64 v[90:93], v60 offset0:52 offset1:56
	ds_read2st64_b64 v[94:97], v61 offset0:52 offset1:56
	v_lshl_or_b32 v50, v50, 10, v62
	v_perm_b32 v62, v34, v38, s0
	v_mfma_f32_16x16x16_bf16 a[0:3], v[82:83], v[86:87], a[0:3]
	ds_read_b64 v[52:53], v58 offset:30720
	ds_read_b64 v[86:87], v59 offset:30720
	;; [unrolled: 1-line block ×4, first 2 shown]
	ds_write2st64_b32 v50, v62, v63 offset0:128 offset1:160
	v_xor_b32_e32 v62, 8, v50
	s_waitcnt lgkmcnt(7)
	v_mfma_f32_16x16x16_bf16 a[4:7], v[82:83], v[78:79], a[4:7]
	v_perm_b32 v34, v34, v38, s1
	v_perm_b32 v38, v42, v46, s1
	v_add_u32_e32 v42, 0x80, v62
	s_waitcnt lgkmcnt(6)
	v_mfma_f32_16x16x16_bf16 a[8:11], v[82:83], v[90:91], a[8:11]
	ds_write2st64_b32 v42, v34, v38 offset0:128 offset1:160
	v_xor_b32_e32 v34, 16, v50
	v_perm_b32 v38, v35, v39, s0
	s_waitcnt lgkmcnt(6)
	v_mfma_f32_16x16x16_bf16 a[12:15], v[82:83], v[94:95], a[12:15]
	v_perm_b32 v42, v43, v47, s0
	ds_write2st64_b32 v34, v38, v42 offset0:129 offset1:161
	v_xor_b32_e32 v34, 24, v50
	v_mfma_f32_16x16x16_bf16 a[0:3], v[64:65], v[88:89], a[0:3]
	v_perm_b32 v35, v35, v39, s1
	v_perm_b32 v38, v43, v47, s1
	v_add_u32_e32 v34, 0x80, v34
	v_mfma_f32_16x16x16_bf16 a[4:7], v[64:65], v[80:81], a[4:7]
	ds_write2st64_b32 v34, v35, v38 offset0:129 offset1:161
	v_xor_b32_e32 v34, 32, v50
	v_perm_b32 v35, v36, v40, s0
	v_mfma_f32_16x16x16_bf16 a[16:19], v[64:65], v[92:93], a[8:11]
	v_perm_b32 v38, v44, v48, s0
	ds_write2st64_b32 v34, v35, v38 offset0:130 offset1:162
	v_xor_b32_e32 v34, 40, v50
	v_mfma_f32_16x16x16_bf16 a[20:23], v[64:65], v[96:97], a[12:15]
	v_perm_b32 v35, v36, v40, s1
	v_perm_b32 v36, v44, v48, s1
	v_add_u32_e32 v34, 0x80, v34
	s_waitcnt lgkmcnt(8)
	v_mfma_f32_16x16x16_bf16 a[12:15], v[98:99], v[52:53], a[0:3]
	ds_write2st64_b32 v34, v35, v36 offset0:130 offset1:162
	v_xor_b32_e32 v34, 48, v50
	v_perm_b32 v35, v37, v41, s0
	s_waitcnt lgkmcnt(8)
	v_mfma_f32_16x16x16_bf16 a[8:11], v[98:99], v[86:87], a[4:7]
	v_perm_b32 v36, v45, v49, s0
	ds_write2st64_b32 v34, v35, v36 offset0:131 offset1:163
	v_xor_b32_e32 v34, 56, v50
	s_waitcnt lgkmcnt(8)
	v_mfma_f32_16x16x16_bf16 a[4:7], v[98:99], v[100:101], a[16:19]
	v_and_or_b32 v53, v67, 12, v84
	v_perm_b32 v35, v37, v41, s1
	v_perm_b32 v36, v45, v49, s1
	s_waitcnt lgkmcnt(7)
	v_mfma_f32_16x16x16_bf16 a[0:3], v[98:99], v[102:103], a[20:23]
	v_add_u32_e32 v34, 0x80, v34
	v_cmp_gt_i32_e32 vcc, s27, v53
	v_mov_b32_e32 v48, 0
	v_mov_b32_e32 v50, 0
	ds_write2st64_b32 v34, v35, v36 offset0:131 offset1:163
	s_and_saveexec_b64 s[0:1], vcc
	s_cbranch_execz .LBB170_60
; %bb.59:
	v_add_u32_e32 v34, s26, v53
	v_ashrrev_i32_e32 v35, 31, v34
	v_mul_lo_u32 v36, v35, s34
	v_mul_lo_u32 v37, v34, s35
	v_mad_u64_u32 v[34:35], s[2:3], v34, s34, 0
	v_add3_u32 v35, v35, v37, v36
	v_lshl_add_u64 v[34:35], v[34:35], 2, s[10:11]
	global_load_dword v34, v[34:35], off
	s_waitcnt vmcnt(0)
	v_sub_f32_e32 v34, s12, v34
	v_exp_f32_e32 v50, v34
.LBB170_60:
	s_or_b64 exec, exec, s[0:1]
	v_or_b32_e32 v40, 1, v53
	v_cmp_gt_i32_e64 s[0:1], s27, v40
	s_and_saveexec_b64 s[2:3], s[0:1]
	s_cbranch_execz .LBB170_62
; %bb.61:
	v_add_u32_e32 v34, s26, v40
	v_ashrrev_i32_e32 v35, 31, v34
	v_mul_lo_u32 v36, v35, s34
	v_mul_lo_u32 v37, v34, s35
	v_mad_u64_u32 v[34:35], s[4:5], v34, s34, 0
	v_add3_u32 v35, v35, v37, v36
	v_lshl_add_u64 v[34:35], v[34:35], 2, s[10:11]
	global_load_dword v34, v[34:35], off
	s_waitcnt vmcnt(0)
	v_sub_f32_e32 v34, s12, v34
	v_exp_f32_e32 v48, v34
.LBB170_62:
	s_or_b64 exec, exec, s[2:3]
	v_or_b32_e32 v41, 2, v53
	v_cmp_gt_i32_e64 s[2:3], s27, v41
	v_mov_b32_e32 v49, 0
	v_mov_b32_e32 v52, 0
	s_and_saveexec_b64 s[4:5], s[2:3]
	s_cbranch_execz .LBB170_64
; %bb.63:
	v_add_u32_e32 v34, s26, v41
	v_ashrrev_i32_e32 v35, 31, v34
	v_mul_lo_u32 v36, v35, s34
	v_mul_lo_u32 v37, v34, s35
	v_mad_u64_u32 v[34:35], s[6:7], v34, s34, 0
	v_add3_u32 v35, v35, v37, v36
	v_lshl_add_u64 v[34:35], v[34:35], 2, s[10:11]
	global_load_dword v34, v[34:35], off
	s_waitcnt vmcnt(0)
	v_sub_f32_e32 v34, s12, v34
	v_exp_f32_e32 v52, v34
.LBB170_64:
	s_or_b64 exec, exec, s[4:5]
	v_or_b32_e32 v62, 3, v53
	v_cmp_gt_i32_e64 s[4:5], s27, v62
	s_and_saveexec_b64 s[6:7], s[4:5]
	s_cbranch_execz .LBB170_66
; %bb.65:
	v_add_u32_e32 v34, s26, v62
	v_ashrrev_i32_e32 v35, 31, v34
	v_mul_lo_u32 v36, v35, s34
	v_mul_lo_u32 v37, v34, s35
	v_mad_u64_u32 v[34:35], s[14:15], v34, s34, 0
	v_add3_u32 v35, v35, v37, v36
	v_lshl_add_u64 v[34:35], v[34:35], 2, s[10:11]
	global_load_dword v34, v[34:35], off
	s_waitcnt vmcnt(0)
	v_sub_f32_e32 v34, s12, v34
	v_exp_f32_e32 v49, v34
.LBB170_66:
	s_or_b64 exec, exec, s[6:7]
	s_add_u32 s6, s8, s20
	v_accvgpr_read_b32 v37, a15
	s_addc_u32 s7, s9, s21
	v_ashrrev_i32_e32 v77, 31, v76
	v_accvgpr_read_b32 v36, a14
	v_accvgpr_read_b32 v35, a13
	;; [unrolled: 1-line block ×3, first 2 shown]
	v_lshl_add_u64 v[38:39], v[76:77], 1, s[6:7]
	v_mov_b32_e32 v45, 0
	v_lshlrev_b32_e32 v42, 8, v53
	v_mov_b32_e32 v43, 0
	s_and_saveexec_b64 s[6:7], vcc
	s_cbranch_execz .LBB170_68
; %bb.67:
	v_mov_b32_e32 v43, 0
	v_lshl_add_u64 v[46:47], v[38:39], 0, v[42:43]
	global_load_ushort v43, v[46:47], off
	s_waitcnt vmcnt(0)
	v_lshlrev_b32_e32 v43, 16, v43
	v_sub_f32_e32 v34, v43, v34
	v_mul_f32_e32 v34, v50, v34
	v_lshrrev_b32_e32 v43, 16, v34
.LBB170_68:
	s_or_b64 exec, exec, s[6:7]
	v_lshlrev_b32_e32 v44, 8, v40
	s_and_saveexec_b64 s[6:7], s[0:1]
	s_cbranch_execz .LBB170_70
; %bb.69:
	v_mov_b32_e32 v45, 0
	v_lshl_add_u64 v[46:47], v[38:39], 0, v[44:45]
	global_load_ushort v34, v[46:47], off
	s_waitcnt vmcnt(0)
	v_lshlrev_b32_e32 v34, 16, v34
	v_sub_f32_e32 v34, v34, v35
	v_mul_f32_e32 v34, v48, v34
	v_lshrrev_b32_e32 v45, 16, v34
.LBB170_70:
	s_or_b64 exec, exec, s[6:7]
	v_mov_b32_e32 v63, 0
	v_lshlrev_b32_e32 v46, 8, v41
	v_mov_b32_e32 v47, 0
	s_and_saveexec_b64 s[6:7], s[2:3]
	s_cbranch_execz .LBB170_72
; %bb.71:
	v_mov_b32_e32 v47, 0
	v_lshl_add_u64 v[34:35], v[38:39], 0, v[46:47]
	global_load_ushort v34, v[34:35], off
	s_waitcnt vmcnt(0)
	v_lshlrev_b32_e32 v34, 16, v34
	v_sub_f32_e32 v34, v34, v36
	v_mul_f32_e32 v34, v52, v34
	v_lshrrev_b32_e32 v47, 16, v34
.LBB170_72:
	s_or_b64 exec, exec, s[6:7]
	v_lshlrev_b32_e32 v40, 8, v62
	s_and_saveexec_b64 s[6:7], s[4:5]
	s_cbranch_execz .LBB170_74
; %bb.73:
	v_mov_b32_e32 v41, 0
	v_lshl_add_u64 v[34:35], v[38:39], 0, v[40:41]
	global_load_ushort v34, v[34:35], off
	s_waitcnt vmcnt(0)
	v_lshlrev_b32_e32 v34, 16, v34
	v_sub_f32_e32 v34, v34, v37
	v_mul_f32_e32 v34, v49, v34
	v_lshrrev_b32_e32 v63, 16, v34
.LBB170_74:
	s_or_b64 exec, exec, s[6:7]
	v_lshlrev_b32_e32 v53, 6, v53
	v_accvgpr_read_b32 v37, a11
	s_mov_b32 s6, 0x5040100
	v_or_b32_e32 v41, v53, v56
	v_accvgpr_read_b32 v36, a10
	v_accvgpr_read_b32 v35, a9
	v_accvgpr_read_b32 v34, a8
	v_perm_b32 v63, v63, v47, s6
	v_perm_b32 v62, v45, v43, s6
	v_lshlrev_b32_e32 v41, 1, v41
	v_mov_b32_e32 v45, 0
	v_mov_b32_e32 v43, 0
	ds_write_b64 v41, v[62:63] offset:24576
	s_and_saveexec_b64 s[6:7], vcc
	s_cbranch_execz .LBB170_76
; %bb.75:
	v_mov_b32_e32 v43, 0
	v_lshl_add_u64 v[62:63], v[38:39], 0, v[42:43]
	global_load_ushort v41, v[62:63], off offset:32
	s_waitcnt vmcnt(0)
	v_lshlrev_b32_e32 v41, 16, v41
	v_sub_f32_e32 v34, v41, v34
	v_mul_f32_e32 v34, v50, v34
	v_lshrrev_b32_e32 v43, 16, v34
.LBB170_76:
	s_or_b64 exec, exec, s[6:7]
	s_and_saveexec_b64 s[6:7], s[0:1]
	s_cbranch_execz .LBB170_78
; %bb.77:
	v_mov_b32_e32 v45, 0
	v_lshl_add_u64 v[62:63], v[38:39], 0, v[44:45]
	global_load_ushort v34, v[62:63], off offset:32
	s_waitcnt vmcnt(0)
	v_lshlrev_b32_e32 v34, 16, v34
	v_sub_f32_e32 v34, v34, v35
	v_mul_f32_e32 v34, v48, v34
	v_lshrrev_b32_e32 v45, 16, v34
.LBB170_78:
	s_or_b64 exec, exec, s[6:7]
	v_mov_b32_e32 v41, 0
	v_mov_b32_e32 v47, 0
	s_and_saveexec_b64 s[6:7], s[2:3]
	s_cbranch_execz .LBB170_80
; %bb.79:
	v_mov_b32_e32 v47, 0
	v_lshl_add_u64 v[34:35], v[38:39], 0, v[46:47]
	global_load_ushort v34, v[34:35], off offset:32
	s_waitcnt vmcnt(0)
	v_lshlrev_b32_e32 v34, 16, v34
	v_sub_f32_e32 v34, v34, v36
	v_mul_f32_e32 v34, v52, v34
	v_lshrrev_b32_e32 v47, 16, v34
.LBB170_80:
	s_or_b64 exec, exec, s[6:7]
	s_and_saveexec_b64 s[6:7], s[4:5]
	s_cbranch_execz .LBB170_82
; %bb.81:
	v_mov_b32_e32 v41, 0
	v_lshl_add_u64 v[34:35], v[38:39], 0, v[40:41]
	global_load_ushort v34, v[34:35], off offset:32
	s_waitcnt vmcnt(0)
	v_lshlrev_b32_e32 v34, 16, v34
	v_sub_f32_e32 v34, v34, v37
	v_mul_f32_e32 v34, v49, v34
	v_lshrrev_b32_e32 v41, 16, v34
.LBB170_82:
	s_or_b64 exec, exec, s[6:7]
	s_mov_b32 s6, 0x5040100
	v_accvgpr_read_b32 v37, a7
	v_perm_b32 v63, v41, v47, s6
	v_or_b32_e32 v41, v53, v55
	v_accvgpr_read_b32 v36, a6
	v_accvgpr_read_b32 v35, a5
	;; [unrolled: 1-line block ×3, first 2 shown]
	v_perm_b32 v62, v45, v43, s6
	v_lshlrev_b32_e32 v41, 1, v41
	v_mov_b32_e32 v45, 0
	v_mov_b32_e32 v43, 0
	ds_write_b64 v41, v[62:63] offset:24576
	s_and_saveexec_b64 s[6:7], vcc
	s_cbranch_execz .LBB170_84
; %bb.83:
	v_mov_b32_e32 v43, 0
	v_lshl_add_u64 v[62:63], v[38:39], 0, v[42:43]
	global_load_ushort v41, v[62:63], off offset:64
	s_waitcnt vmcnt(0)
	v_lshlrev_b32_e32 v41, 16, v41
	v_sub_f32_e32 v34, v41, v34
	v_mul_f32_e32 v34, v50, v34
	v_lshrrev_b32_e32 v43, 16, v34
.LBB170_84:
	s_or_b64 exec, exec, s[6:7]
	s_and_saveexec_b64 s[6:7], s[0:1]
	s_cbranch_execz .LBB170_86
; %bb.85:
	v_mov_b32_e32 v45, 0
	v_lshl_add_u64 v[62:63], v[38:39], 0, v[44:45]
	global_load_ushort v34, v[62:63], off offset:64
	s_waitcnt vmcnt(0)
	v_lshlrev_b32_e32 v34, 16, v34
	v_sub_f32_e32 v34, v34, v35
	v_mul_f32_e32 v34, v48, v34
	v_lshrrev_b32_e32 v45, 16, v34
.LBB170_86:
	s_or_b64 exec, exec, s[6:7]
	v_mov_b32_e32 v41, 0
	v_mov_b32_e32 v47, 0
	s_and_saveexec_b64 s[6:7], s[2:3]
	s_cbranch_execz .LBB170_88
; %bb.87:
	v_mov_b32_e32 v47, 0
	v_lshl_add_u64 v[34:35], v[38:39], 0, v[46:47]
	global_load_ushort v34, v[34:35], off offset:64
	s_waitcnt vmcnt(0)
	v_lshlrev_b32_e32 v34, 16, v34
	v_sub_f32_e32 v34, v34, v36
	v_mul_f32_e32 v34, v52, v34
	v_lshrrev_b32_e32 v47, 16, v34
.LBB170_88:
	s_or_b64 exec, exec, s[6:7]
	s_and_saveexec_b64 s[6:7], s[4:5]
	s_cbranch_execz .LBB170_90
; %bb.89:
	v_mov_b32_e32 v41, 0
	v_lshl_add_u64 v[34:35], v[38:39], 0, v[40:41]
	global_load_ushort v34, v[34:35], off offset:64
	s_waitcnt vmcnt(0)
	v_lshlrev_b32_e32 v34, 16, v34
	v_sub_f32_e32 v34, v34, v37
	v_mul_f32_e32 v34, v49, v34
	v_lshrrev_b32_e32 v41, 16, v34
.LBB170_90:
	s_or_b64 exec, exec, s[6:7]
	s_mov_b32 s6, 0x5040100
	v_accvgpr_read_b32 v37, a3
	v_perm_b32 v63, v41, v47, s6
	v_or_b32_e32 v41, v53, v54
	v_accvgpr_read_b32 v36, a2
	v_accvgpr_read_b32 v35, a1
	;; [unrolled: 1-line block ×3, first 2 shown]
	v_perm_b32 v62, v45, v43, s6
	v_lshlrev_b32_e32 v41, 1, v41
	v_mov_b32_e32 v45, 0
	v_mov_b32_e32 v43, 0
	ds_write_b64 v41, v[62:63] offset:24576
	s_and_saveexec_b64 s[6:7], vcc
	s_cbranch_execz .LBB170_92
; %bb.91:
	v_mov_b32_e32 v43, 0
	v_lshl_add_u64 v[42:43], v[38:39], 0, v[42:43]
	global_load_ushort v41, v[42:43], off offset:96
	s_waitcnt vmcnt(0)
	v_lshlrev_b32_e32 v41, 16, v41
	v_sub_f32_e32 v34, v41, v34
	v_mul_f32_e32 v34, v50, v34
	v_lshrrev_b32_e32 v43, 16, v34
.LBB170_92:
	s_or_b64 exec, exec, s[6:7]
	s_and_saveexec_b64 s[6:7], s[0:1]
	s_cbranch_execz .LBB170_94
; %bb.93:
	v_mov_b32_e32 v45, 0
	v_lshl_add_u64 v[44:45], v[38:39], 0, v[44:45]
	global_load_ushort v34, v[44:45], off offset:96
	s_waitcnt vmcnt(0)
	v_lshlrev_b32_e32 v34, 16, v34
	v_sub_f32_e32 v34, v34, v35
	v_mul_f32_e32 v34, v48, v34
	v_lshrrev_b32_e32 v45, 16, v34
.LBB170_94:
	s_or_b64 exec, exec, s[6:7]
	v_mov_b32_e32 v41, 0
	v_mov_b32_e32 v44, 0
	s_and_saveexec_b64 s[0:1], s[2:3]
	s_cbranch_execz .LBB170_96
; %bb.95:
	v_mov_b32_e32 v47, 0
	v_lshl_add_u64 v[34:35], v[38:39], 0, v[46:47]
	global_load_ushort v34, v[34:35], off offset:96
	s_waitcnt vmcnt(0)
	v_lshlrev_b32_e32 v34, 16, v34
	v_sub_f32_e32 v34, v34, v36
	v_mul_f32_e32 v34, v52, v34
	v_lshrrev_b32_e32 v44, 16, v34
.LBB170_96:
	s_or_b64 exec, exec, s[0:1]
	v_or_b32_e32 v42, 0x6000, v58
	v_or_b32_e32 v36, 0x6000, v59
	;; [unrolled: 1-line block ×4, first 2 shown]
	s_and_saveexec_b64 s[0:1], s[4:5]
	s_cbranch_execz .LBB170_98
; %bb.97:
	v_mov_b32_e32 v41, 0
	v_lshl_add_u64 v[38:39], v[38:39], 0, v[40:41]
	global_load_ushort v38, v[38:39], off offset:96
	s_waitcnt vmcnt(0)
	v_lshlrev_b32_e32 v38, 16, v38
	v_sub_f32_e32 v37, v38, v37
	v_mul_f32_e32 v37, v49, v37
	v_lshrrev_b32_e32 v41, 16, v37
.LBB170_98:
	s_or_b64 exec, exec, s[0:1]
	s_mov_b32 s0, 0x5040100
	v_or_b32_e32 v37, v53, v51
	v_perm_b32 v39, v41, v44, s0
	v_perm_b32 v38, v45, v43, s0
	v_lshlrev_b32_e32 v37, 1, v37
	s_movk_i32 s0, 0x100
	ds_write_b64 v37, v[38:39] offset:24576
	v_and_b32_e32 v37, 7, v0
	v_and_b32_e32 v38, 8, v0
	v_cmp_gt_u32_e32 vcc, s0, v0
	v_lshrrev_b32_e32 v0, 1, v0
	v_lshlrev_b32_e32 v67, 3, v1
	v_and_b32_e32 v78, 24, v0
	v_mov_b32_e32 v39, 0xa000
	v_mov_b32_e32 v40, 0x8000
	v_xor_b32_e32 v0, v67, v78
	v_or_b32_e32 v48, 32, v78
	v_cndmask_b32_e32 v56, v39, v40, vcc
	v_or_b32_e32 v1, 0x440, v0
	v_cmp_eq_u32_e32 vcc, 0, v38
	v_xor_b32_e32 v48, v67, v48
	v_or_b32_e32 v49, 0x440, v48
	v_cndmask_b32_e32 v0, v1, v0, vcc
	v_lshlrev_b32_e32 v43, 3, v37
	v_lshlrev_b32_e32 v37, 7, v37
	v_or_b32_e32 v0, v0, v57
	v_cndmask_b32_e32 v48, v49, v48, vcc
	v_xad_u32 v79, v0, v43, v37
	v_or_b32_e32 v48, v48, v57
	v_add_u32_e32 v0, v56, v79
	v_xad_u32 v80, v48, v43, v37
	s_waitcnt lgkmcnt(0)
	s_barrier
	ds_read_b64 v[0:1], v0
	ds_read2_b64 v[38:41], v42 offset1:16
	ds_read2_b64 v[44:47], v42 offset0:32 offset1:48
	v_add_u32_e32 v48, v56, v80
	ds_read_b64 v[76:77], v48
	s_waitcnt lgkmcnt(2)
	v_mfma_f32_16x16x16_bf16 a[0:3], v[0:1], v[38:39], 0
	ds_read2st64_b64 v[48:51], v42 offset0:4 offset1:8
	ds_read2st64_b64 v[52:55], v36 offset0:4 offset1:8
	;; [unrolled: 1-line block ×3, first 2 shown]
	v_mfma_f32_16x16x16_bf16 a[4:7], v[0:1], v[40:41], 0
	ds_read2st64_b64 v[62:65], v34 offset0:4 offset1:8
	s_waitcnt lgkmcnt(5)
	v_mfma_f32_16x16x16_bf16 a[8:11], v[0:1], v[44:45], 0
	v_mfma_f32_16x16x16_bf16 a[12:15], v[0:1], v[46:47], 0
	v_or_b32_e32 v0, 64, v78
	v_xor_b32_e32 v0, v67, v0
	v_xor_b32_e32 v1, 0x440, v0
	v_cndmask_b32_e32 v0, v1, v0, vcc
	v_or_b32_e32 v0, v0, v57
	s_waitcnt lgkmcnt(3)
	v_mfma_f32_16x16x16_bf16 a[0:3], v[76:77], v[48:49], a[0:3]
	s_waitcnt lgkmcnt(2)
	v_mfma_f32_16x16x16_bf16 a[4:7], v[76:77], v[52:53], a[4:7]
	;; [unrolled: 2-line block ×4, first 2 shown]
	v_xad_u32 v76, v0, v43, v37
	v_add_u32_e32 v0, v56, v76
	ds_read_b64 v[0:1], v0
	v_or_b32_e32 v77, 0x60, v78
	v_xor_b32_e32 v67, v67, v77
	v_xor_b32_e32 v77, 0x440, v67
	v_cndmask_b32_e32 v67, v77, v67, vcc
	v_or_b32_e32 v57, v67, v57
	v_xad_u32 v67, v57, v43, v37
	v_add_u32_e32 v37, v56, v67
	s_waitcnt lgkmcnt(0)
	v_mfma_f32_16x16x16_bf16 a[0:3], v[0:1], v[50:51], a[0:3]
	ds_read_b64 v[56:57], v37
	ds_read_b64 v[42:43], v42 offset:6144
	v_mfma_f32_16x16x16_bf16 a[4:7], v[0:1], v[54:55], a[4:7]
	v_mfma_f32_16x16x16_bf16 a[8:11], v[0:1], v[60:61], a[8:11]
	;; [unrolled: 1-line block ×3, first 2 shown]
	ds_read_b64 v[0:1], v36 offset:6144
	ds_read_b64 v[36:37], v35 offset:6144
	;; [unrolled: 1-line block ×3, first 2 shown]
	s_waitcnt lgkmcnt(3)
	v_mfma_f32_16x16x16_bf16 a[0:3], v[56:57], v[42:43], a[0:3]
	s_waitcnt lgkmcnt(2)
	v_mfma_f32_16x16x16_bf16 a[4:7], v[56:57], v[0:1], a[4:7]
	s_waitcnt lgkmcnt(1)
	v_mfma_f32_16x16x16_bf16 a[8:11], v[56:57], v[36:37], a[8:11]
	s_waitcnt lgkmcnt(0)
	v_mfma_f32_16x16x16_bf16 a[12:15], v[56:57], v[34:35], a[12:15]
	ds_read_b64 v[56:57], v79 offset:40960
	s_waitcnt lgkmcnt(0)
	v_mfma_f32_16x16x16_bf16 a[24:27], v[56:57], v[44:45], 0
	v_exp_f32_e32 v44, s12
	v_accvgpr_read_b32 v45, a3
	v_fmac_f32_e32 v45, v9, v44
	v_mfma_f32_16x16x16_bf16 a[16:19], v[56:57], v[38:39], 0
	ds_read_b64 v[38:39], v80 offset:40960
	v_accvgpr_read_b32 v9, a4
	v_fma_f32 v14, v14, v44, v9
	v_mfma_f32_16x16x16_bf16 a[20:23], v[56:57], v[40:41], 0
	v_accvgpr_read_b32 v40, a0
	v_fma_f32 v6, v6, v44, v40
	v_accvgpr_read_b32 v40, a1
	v_fma_f32 v7, v7, v44, v40
	v_accvgpr_read_b32 v40, a2
	v_mfma_f32_16x16x16_bf16 a[28:31], v[56:57], v[46:47], 0
	v_fma_f32 v8, v8, v44, v40
	ds_read_b64 v[40:41], v76 offset:40960
	v_accvgpr_read_b32 v9, a5
	s_waitcnt lgkmcnt(1)
	v_mfma_f32_16x16x16_bf16 a[16:19], v[38:39], v[48:49], a[16:19]
	v_fma_f32 v15, v15, v44, v9
	v_accvgpr_read_b32 v9, a6
	v_fma_f32 v16, v16, v44, v9
	v_mfma_f32_16x16x16_bf16 a[20:23], v[38:39], v[52:53], a[20:23]
	v_accvgpr_read_b32 v9, a8
	v_fma_f32 v22, v22, v44, v9
	v_accvgpr_read_b32 v9, a9
	v_mfma_f32_16x16x16_bf16 a[24:27], v[38:39], v[58:59], a[24:27]
	v_accvgpr_read_b32 v46, a7
	v_fma_f32 v23, v23, v44, v9
	v_accvgpr_read_b32 v9, a10
	v_mfma_f32_16x16x16_bf16 a[0:3], v[38:39], v[62:63], a[28:31]
	ds_read_b64 v[38:39], v67 offset:40960
	v_fma_f32 v24, v24, v44, v9
	v_accvgpr_read_b32 v9, a12
	s_waitcnt lgkmcnt(1)
	v_mfma_f32_16x16x16_bf16 a[16:19], v[40:41], v[50:51], a[16:19]
	v_fma_f32 v30, v30, v44, v9
	v_fmac_f32_e32 v46, v17, v44
	v_mov_b32_e32 v17, v46
	v_mfma_f32_16x16x16_bf16 a[4:7], v[40:41], v[54:55], a[20:23]
	v_mfma_f32_16x16x16_bf16 a[20:23], v[40:41], v[60:61], a[24:27]
	;; [unrolled: 1-line block ×3, first 2 shown]
	v_accvgpr_read_b32 v40, a11
	v_fmac_f32_e32 v40, v25, v44
	s_waitcnt lgkmcnt(0)
	v_mfma_f32_16x16x16_bf16 a[8:11], v[38:39], v[42:43], a[16:19]
	v_mfma_f32_16x16x16_bf16 a[4:7], v[38:39], v[0:1], a[4:7]
	v_accvgpr_read_b32 v0, a13
	v_fma_f32 v31, v31, v44, v0
	v_accvgpr_read_b32 v0, a14
	s_nop 2
	v_accvgpr_read_b32 v1, a8
	v_fma_f32 v2, v2, v44, v1
	v_accvgpr_read_b32 v1, a9
	v_fma_f32 v3, v3, v44, v1
	v_accvgpr_read_b32 v1, a10
	v_mfma_f32_16x16x16_bf16 a[16:19], v[38:39], v[36:37], a[20:23]
	v_fma_f32 v4, v4, v44, v1
	v_accvgpr_read_b32 v1, a11
	v_fmac_f32_e32 v1, v5, v44
	v_mfma_f32_16x16x16_bf16 a[0:3], v[38:39], v[34:35], a[0:3]
	v_accvgpr_read_b32 v5, a4
	v_fma_f32 v10, v10, v44, v5
	v_accvgpr_read_b32 v5, a5
	v_fma_f32 v11, v11, v44, v5
	;; [unrolled: 2-line block ×3, first 2 shown]
	v_accvgpr_read_b32 v5, a16
	v_accvgpr_read_b32 v9, a0
	v_fma_f32 v18, v18, v44, v5
	v_accvgpr_read_b32 v5, a17
	v_fma_f32 v26, v26, v44, v9
	;; [unrolled: 2-line block ×5, first 2 shown]
	v_accvgpr_read_b32 v0, a15
	v_accvgpr_read_b32 v25, a7
	v_fma_f32 v20, v20, v44, v5
	v_accvgpr_read_b32 v5, a19
	v_fma_f32 v28, v28, v44, v9
	v_accvgpr_read_b32 v9, a3
	v_fmac_f32_e32 v0, v33, v44
	v_fmac_f32_e32 v25, v13, v44
	;; [unrolled: 1-line block ×4, first 2 shown]
	v_mov_b32_e32 v29, v9
	v_mov_b32_e32 v33, v0
	;; [unrolled: 1-line block ×7, first 2 shown]
.LBB170_99:
	s_waitcnt lgkmcnt(0)
	s_add_u32 s0, s30, s28
	s_addc_u32 s1, s31, s29
	v_lshl_add_u64 v[0:1], v[68:69], 2, s[0:1]
	v_mov_b32_e32 v67, 0
	v_lshl_add_u64 v[0:1], v[0:1], 0, v[66:67]
	s_waitcnt vmcnt(7)
	global_store_dwordx4 v[0:1], v[6:9], off
	s_waitcnt vmcnt(7)
	global_store_dwordx4 v[0:1], v[2:5], off offset:256
	v_lshl_add_u64 v[0:1], v[70:71], 2, s[0:1]
	v_lshl_add_u64 v[0:1], v[0:1], 0, v[66:67]
	s_waitcnt vmcnt(7)
	global_store_dwordx4 v[0:1], v[14:17], off
	s_waitcnt vmcnt(7)
	global_store_dwordx4 v[0:1], v[10:13], off offset:256
	v_lshl_add_u64 v[0:1], v[72:73], 2, s[0:1]
	;; [unrolled: 6-line block ×3, first 2 shown]
	v_lshl_add_u64 v[0:1], v[0:1], 0, v[66:67]
	s_waitcnt vmcnt(7)
	global_store_dwordx4 v[0:1], v[30:33], off
	s_waitcnt vmcnt(7)
	global_store_dwordx4 v[0:1], v[26:29], off offset:256
	s_endpgm
	.section	.rodata,"a",@progbits
	.p2align	6, 0x0
	.amdhsa_kernel _ZN12_GLOBAL__N_139chunk_gated_delta_rule_fwd_h_hip_kernelILi64ELb1ELb1ELb0ELb0ELb1ELb0ELb1ELb0EEEvPK12hip_bfloat16S3_S3_PKfS5_PKvPS1_S8_PvPKiSB_iiiiilll
		.amdhsa_group_segment_fixed_size 65536
		.amdhsa_private_segment_fixed_size 0
		.amdhsa_kernarg_size 136
		.amdhsa_user_sgpr_count 2
		.amdhsa_user_sgpr_dispatch_ptr 0
		.amdhsa_user_sgpr_queue_ptr 0
		.amdhsa_user_sgpr_kernarg_segment_ptr 1
		.amdhsa_user_sgpr_dispatch_id 0
		.amdhsa_user_sgpr_kernarg_preload_length 0
		.amdhsa_user_sgpr_kernarg_preload_offset 0
		.amdhsa_user_sgpr_private_segment_size 0
		.amdhsa_uses_dynamic_stack 0
		.amdhsa_enable_private_segment 0
		.amdhsa_system_sgpr_workgroup_id_x 1
		.amdhsa_system_sgpr_workgroup_id_y 1
		.amdhsa_system_sgpr_workgroup_id_z 0
		.amdhsa_system_sgpr_workgroup_info 0
		.amdhsa_system_vgpr_workitem_id 0
		.amdhsa_next_free_vgpr 224
		.amdhsa_next_free_sgpr 70
		.amdhsa_accum_offset 188
		.amdhsa_reserve_vcc 1
		.amdhsa_float_round_mode_32 0
		.amdhsa_float_round_mode_16_64 0
		.amdhsa_float_denorm_mode_32 3
		.amdhsa_float_denorm_mode_16_64 3
		.amdhsa_dx10_clamp 1
		.amdhsa_ieee_mode 1
		.amdhsa_fp16_overflow 0
		.amdhsa_tg_split 0
		.amdhsa_exception_fp_ieee_invalid_op 0
		.amdhsa_exception_fp_denorm_src 0
		.amdhsa_exception_fp_ieee_div_zero 0
		.amdhsa_exception_fp_ieee_overflow 0
		.amdhsa_exception_fp_ieee_underflow 0
		.amdhsa_exception_fp_ieee_inexact 0
		.amdhsa_exception_int_div_zero 0
	.end_amdhsa_kernel
	.section	.text._ZN12_GLOBAL__N_139chunk_gated_delta_rule_fwd_h_hip_kernelILi64ELb1ELb1ELb0ELb0ELb1ELb0ELb1ELb0EEEvPK12hip_bfloat16S3_S3_PKfS5_PKvPS1_S8_PvPKiSB_iiiiilll,"axG",@progbits,_ZN12_GLOBAL__N_139chunk_gated_delta_rule_fwd_h_hip_kernelILi64ELb1ELb1ELb0ELb0ELb1ELb0ELb1ELb0EEEvPK12hip_bfloat16S3_S3_PKfS5_PKvPS1_S8_PvPKiSB_iiiiilll,comdat
.Lfunc_end170:
	.size	_ZN12_GLOBAL__N_139chunk_gated_delta_rule_fwd_h_hip_kernelILi64ELb1ELb1ELb0ELb0ELb1ELb0ELb1ELb0EEEvPK12hip_bfloat16S3_S3_PKfS5_PKvPS1_S8_PvPKiSB_iiiiilll, .Lfunc_end170-_ZN12_GLOBAL__N_139chunk_gated_delta_rule_fwd_h_hip_kernelILi64ELb1ELb1ELb0ELb0ELb1ELb0ELb1ELb0EEEvPK12hip_bfloat16S3_S3_PKfS5_PKvPS1_S8_PvPKiSB_iiiiilll
                                        ; -- End function
	.section	.AMDGPU.csdata,"",@progbits
; Kernel info:
; codeLenInByte = 12116
; NumSgprs: 76
; NumVgprs: 186
; NumAgprs: 36
; TotalNumVgprs: 224
; ScratchSize: 0
; MemoryBound: 0
; FloatMode: 240
; IeeeMode: 1
; LDSByteSize: 65536 bytes/workgroup (compile time only)
; SGPRBlocks: 9
; VGPRBlocks: 27
; NumSGPRsForWavesPerEU: 76
; NumVGPRsForWavesPerEU: 224
; AccumOffset: 188
; Occupancy: 1
; WaveLimiterHint : 1
; COMPUTE_PGM_RSRC2:SCRATCH_EN: 0
; COMPUTE_PGM_RSRC2:USER_SGPR: 2
; COMPUTE_PGM_RSRC2:TRAP_HANDLER: 0
; COMPUTE_PGM_RSRC2:TGID_X_EN: 1
; COMPUTE_PGM_RSRC2:TGID_Y_EN: 1
; COMPUTE_PGM_RSRC2:TGID_Z_EN: 0
; COMPUTE_PGM_RSRC2:TIDIG_COMP_CNT: 0
; COMPUTE_PGM_RSRC3_GFX90A:ACCUM_OFFSET: 46
; COMPUTE_PGM_RSRC3_GFX90A:TG_SPLIT: 0
	.section	.text._ZN12_GLOBAL__N_139chunk_gated_delta_rule_fwd_h_hip_kernelILi64ELb1ELb0ELb1ELb0ELb1ELb0ELb1ELb0EEEvPK12hip_bfloat16S3_S3_PKfS5_PKvPS1_S8_PvPKiSB_iiiiilll,"axG",@progbits,_ZN12_GLOBAL__N_139chunk_gated_delta_rule_fwd_h_hip_kernelILi64ELb1ELb0ELb1ELb0ELb1ELb0ELb1ELb0EEEvPK12hip_bfloat16S3_S3_PKfS5_PKvPS1_S8_PvPKiSB_iiiiilll,comdat
	.globl	_ZN12_GLOBAL__N_139chunk_gated_delta_rule_fwd_h_hip_kernelILi64ELb1ELb0ELb1ELb0ELb1ELb0ELb1ELb0EEEvPK12hip_bfloat16S3_S3_PKfS5_PKvPS1_S8_PvPKiSB_iiiiilll ; -- Begin function _ZN12_GLOBAL__N_139chunk_gated_delta_rule_fwd_h_hip_kernelILi64ELb1ELb0ELb1ELb0ELb1ELb0ELb1ELb0EEEvPK12hip_bfloat16S3_S3_PKfS5_PKvPS1_S8_PvPKiSB_iiiiilll
	.p2align	8
	.type	_ZN12_GLOBAL__N_139chunk_gated_delta_rule_fwd_h_hip_kernelILi64ELb1ELb0ELb1ELb0ELb1ELb0ELb1ELb0EEEvPK12hip_bfloat16S3_S3_PKfS5_PKvPS1_S8_PvPKiSB_iiiiilll,@function
_ZN12_GLOBAL__N_139chunk_gated_delta_rule_fwd_h_hip_kernelILi64ELb1ELb0ELb1ELb0ELb1ELb0ELb1ELb0EEEvPK12hip_bfloat16S3_S3_PKfS5_PKvPS1_S8_PvPKiSB_iiiiilll: ; @_ZN12_GLOBAL__N_139chunk_gated_delta_rule_fwd_h_hip_kernelILi64ELb1ELb0ELb1ELb0ELb1ELb0ELb1ELb0EEEvPK12hip_bfloat16S3_S3_PKfS5_PKvPS1_S8_PvPKiSB_iiiiilll
; %bb.0:
	s_load_dwordx4 s[12:15], s[0:1], 0x5c
	s_load_dwordx4 s[20:23], s[0:1], 0x70
	s_abs_i32 s6, s3
	s_ashr_i32 s5, s3, 31
	s_load_dwordx4 s[16:19], s[0:1], 0x28
	s_load_dwordx2 s[28:29], s[0:1], 0x38
	s_waitcnt lgkmcnt(0)
	s_abs_i32 s4, s13
	v_cvt_f32_u32_e32 v1, s4
	s_sub_i32 s8, 0, s4
	s_ashr_i32 s7, s13, 31
	s_xor_b32 s5, s5, s7
	v_rcp_iflag_f32_e32 v1, v1
	v_and_b32_e32 v79, 15, v0
	v_lshrrev_b32_e32 v77, 6, v0
	v_bfe_u32 v78, v0, 4, 2
	v_mul_f32_e32 v1, 0x4f7ffffe, v1
	v_cvt_u32_f32_e32 v1, v1
	v_mov_b32_e32 v11, 0
	v_and_b32_e32 v76, 63, v0
	v_lshrrev_b32_e32 v81, 3, v76
	v_readfirstlane_b32 s9, v1
	s_mul_i32 s8, s8, s9
	s_mul_hi_u32 s8, s9, s8
	s_add_i32 s9, s9, s8
	s_mul_hi_u32 s8, s6, s9
	s_mul_i32 s9, s8, s4
	s_sub_i32 s6, s6, s9
	s_add_i32 s10, s8, 1
	s_sub_i32 s9, s6, s4
	s_cmp_ge_u32 s6, s4
	s_cselect_b32 s8, s10, s8
	s_cselect_b32 s6, s9, s6
	s_add_i32 s9, s8, 1
	s_cmp_ge_u32 s6, s4
	s_cselect_b32 s6, s9, s8
	s_xor_b32 s6, s6, s5
	s_add_i32 s8, s12, 63
	s_sub_i32 s51, s6, s5
	s_ashr_i32 s9, s8, 31
	s_mul_i32 s5, s51, s13
	s_sub_i32 s48, s3, s5
	s_lshr_b32 s3, s9, 26
	s_add_i32 s8, s8, s3
	s_abs_i32 s3, s14
	v_cvt_f32_u32_e32 v1, s3
	s_ashr_i32 s50, s12, 31
	s_lshr_b32 s6, s50, 26
	s_add_i32 s6, s12, s6
	v_rcp_iflag_f32_e32 v1, v1
	s_ashr_i32 s53, s14, 31
	s_ashr_i32 s24, s8, 6
	;; [unrolled: 1-line block ×3, first 2 shown]
	v_mul_f32_e32 v1, 0x4f7ffffe, v1
	v_cvt_u32_f32_e32 v1, v1
	s_xor_b32 s6, s7, s53
	s_sub_i32 s7, 0, s3
	s_lshl_b32 s2, s2, 6
	v_readfirstlane_b32 s8, v1
	s_mul_i32 s7, s7, s8
	s_mul_hi_u32 s7, s8, s7
	s_add_i32 s8, s8, s7
	s_mul_hi_u32 s7, s4, s8
	s_mul_i32 s8, s7, s3
	s_sub_i32 s4, s4, s8
	s_add_i32 s8, s7, 1
	s_sub_i32 s9, s4, s3
	s_cmp_ge_u32 s4, s3
	s_cselect_b32 s7, s8, s7
	s_cselect_b32 s4, s9, s4
	s_add_i32 s8, s7, 1
	s_cmp_ge_u32 s4, s3
	s_cselect_b32 s3, s8, s7
	s_xor_b32 s3, s3, s6
	s_sub_i32 s3, s3, s6
	s_abs_i32 s4, s3
	v_cvt_f32_u32_e32 v1, s4
	s_sub_i32 s7, 0, s4
	s_abs_i32 s6, s48
	s_xor_b32 s3, s48, s3
	v_rcp_iflag_f32_e32 v1, v1
	s_ashr_i32 s3, s3, 31
	v_or_b32_e32 v66, s2, v79
	v_lshlrev_b32_e32 v2, 7, v66
	v_mul_f32_e32 v1, 0x4f7ffffe, v1
	v_cvt_u32_f32_e32 v1, v1
	v_ashrrev_i32_e32 v3, 31, v2
	s_mul_i32 s55, s51, s24
	v_lshlrev_b32_e32 v80, 3, v0
	v_readfirstlane_b32 s8, v1
	s_mul_i32 s7, s7, s8
	s_mul_hi_u32 s7, s8, s7
	s_add_i32 s8, s8, s7
	s_mul_hi_u32 s7, s6, s8
	s_mul_i32 s8, s7, s4
	s_sub_i32 s6, s6, s8
	s_add_i32 s8, s7, 1
	s_sub_i32 s9, s6, s4
	s_cmp_ge_u32 s6, s4
	s_cselect_b32 s7, s8, s7
	s_cselect_b32 s6, s9, s6
	s_add_i32 s8, s7, 1
	s_cmp_ge_u32 s6, s4
	s_cselect_b32 s4, s8, s7
	s_xor_b32 s4, s4, s3
	s_sub_i32 s54, s4, s3
	s_ashr_i32 s3, s51, 31
	s_ashr_i32 s49, s48, 31
	s_mul_hi_i32 s4, s51, s13
	s_add_u32 s38, s5, s48
	s_addc_u32 s39, s4, s49
	s_lshl_b64 s[4:5], s[38:39], 16
	v_lshlrev_b32_e32 v1, 4, v77
	s_add_u32 s4, s16, s4
	v_lshl_or_b32 v82, v78, 2, v1
	s_addc_u32 s5, s17, s5
	v_lshl_add_u64 v[4:5], v[2:3], 2, s[4:5]
	v_lshlrev_b32_e32 v10, 2, v82
	v_lshl_add_u64 v[4:5], v[4:5], 0, v[10:11]
	global_load_dwordx4 v[22:25], v[4:5], off
	global_load_dwordx4 v[30:33], v[4:5], off offset:256
	v_or_b32_e32 v4, 0x800, v2
	v_ashrrev_i32_e32 v5, 31, v4
	v_lshl_add_u64 v[4:5], v[4:5], 2, s[4:5]
	v_lshl_add_u64 v[4:5], v[4:5], 0, v[10:11]
	global_load_dwordx4 v[14:17], v[4:5], off
	global_load_dwordx4 v[26:29], v[4:5], off offset:256
	v_or_b32_e32 v4, 0x1000, v2
	v_or_b32_e32 v2, 0x1800, v2
	v_ashrrev_i32_e32 v5, 31, v4
	v_ashrrev_i32_e32 v3, 31, v2
	v_lshl_add_u64 v[4:5], v[4:5], 2, s[4:5]
	v_lshl_add_u64 v[2:3], v[2:3], 2, s[4:5]
	;; [unrolled: 1-line block ×4, first 2 shown]
	global_load_dwordx4 v[6:9], v[4:5], off
	global_load_dwordx4 v[18:21], v[4:5], off offset:256
	s_nop 0
	global_load_dwordx4 v[2:5], v[34:35], off
	global_load_dwordx4 v[10:13], v[34:35], off offset:256
	s_load_dwordx8 s[4:11], s[0:1], 0x0
	s_load_dwordx2 s[30:31], s[0:1], 0x80
	v_or_b32_e32 v83, 64, v82
	s_cmp_lt_i32 s12, 64
	s_mul_i32 s56, s39, s12
	s_mul_hi_u32 s57, s38, s12
	s_mul_i32 s16, s38, s12
	s_mul_i32 s33, s51, s21
	s_mul_hi_u32 s44, s51, s20
	s_mul_i32 s39, s3, s20
	s_mul_i32 s36, s51, s20
	;; [unrolled: 1-line block ×3, first 2 shown]
	s_mul_hi_u32 s46, s48, s22
	s_mul_i32 s47, s49, s22
	s_mul_i32 s34, s48, s22
	s_cbranch_scc1 .LBB171_18
; %bb.1:
	s_add_i32 s17, s57, s56
	s_lshl_b64 s[0:1], s[16:17], 8
	v_and_b32_e32 v85, 56, v80
	s_waitcnt lgkmcnt(0)
	s_add_u32 s20, s6, s0
	v_lshl_or_b32 v84, v77, 3, v81
	v_lshlrev_b32_e32 v34, 1, v85
	s_addc_u32 s0, s7, s1
	v_lshl_or_b32 v86, v84, 8, v34
	s_and_b32 s21, s0, 0xffff
	s_mov_b32 s23, 0x20000
	s_movk_i32 s22, 0x4000
	s_movk_i32 s0, 0x80
	v_or_b32_e32 v87, 0x2000, v86
	buffer_load_dwordx4 v[36:39], v86, s[20:23], 0 offen
	buffer_load_dwordx4 v[40:43], v86, s[20:23], s0 offen
	;; [unrolled: 1-line block ×4, first 2 shown]
	v_lshlrev_b32_e32 v35, 3, v84
	v_and_or_b32 v53, v0, 7, v35
	v_and_b32_e32 v35, 0x78, v35
	v_lshlrev_b32_e32 v53, 4, v53
	v_xor_b32_e32 v88, v53, v35
	v_mul_lo_u32 v52, v84, s15
	v_or_b32_e32 v89, 0x1000, v88
	v_xor_b32_e32 v35, 8, v88
	s_cmpk_eq_i32 s15, 0x80
	s_mov_b32 s58, s14
	v_xor_b32_e32 v53, 8, v89
	s_cselect_b64 s[0:1], -1, 0
	s_cmpk_lg_i32 s15, 0x80
	s_waitcnt vmcnt(3)
	ds_write_b64 v88, v[36:37] offset:49152
	ds_write_b64 v35, v[38:39] offset:49152
	s_waitcnt vmcnt(2)
	ds_write_b64 v88, v[40:41] offset:57344
	ds_write_b64 v35, v[42:43] offset:57344
	;; [unrolled: 3-line block ×4, first 2 shown]
	v_lshl_add_u32 v35, v52, 1, v85
	s_cbranch_scc0 .LBB171_3
; %bb.2:
	v_lshlrev_b32_e32 v37, 1, v35
	v_add_lshl_u32 v36, v35, s15, 1
	s_lshl_b32 s22, s15, 7
	v_lshl_or_b32 v34, v84, 9, v34
	s_cbranch_execz .LBB171_4
	s_branch .LBB171_5
.LBB171_3:
                                        ; implicit-def: $vgpr36
                                        ; implicit-def: $vgpr37
                                        ; implicit-def: $sgpr22
	v_lshl_or_b32 v34, v84, 9, v34
.LBB171_4:
	v_or_b32_e32 v36, 0x100, v34
	s_movk_i32 s22, 0x4000
	v_mov_b32_e32 v37, v34
.LBB171_5:
	s_mul_hi_u32 s20, s14, s12
	s_mul_i32 s21, s53, s12
	s_add_i32 s20, s20, s21
	s_mul_i32 s21, s14, s12
	s_mul_i32 s23, s21, s3
	s_mul_hi_u32 s24, s21, s51
	s_add_i32 s23, s24, s23
	s_mul_i32 s20, s20, s51
	s_add_i32 s23, s23, s20
	s_mul_i32 s21, s21, s51
	s_ashr_i32 s59, s54, 31
	s_add_u32 s20, s21, s54
	s_addc_u32 s21, s23, s59
	s_lshl_b64 s[20:21], s[20:21], 8
	s_add_u32 s20, s4, s20
	s_addc_u32 s21, s5, s21
	s_and_b32 s21, s21, 0xffff
	s_mov_b32 s23, 0x20000
	s_movk_i32 s60, 0x80
	buffer_load_dwordx4 v[38:41], v37, s[20:23], 0 offen
	buffer_load_dwordx4 v[42:45], v37, s[20:23], s60 offen
	;; [unrolled: 1-line block ×4, first 2 shown]
	v_and_b32_e32 v37, 6, v0
	v_lshlrev_b32_e32 v36, 7, v82
	v_xor_b32_e32 v58, v84, v37
	v_and_b32_e32 v54, 1, v0
	v_lshl_or_b32 v61, v79, 3, v36
	v_lshlrev_b32_e32 v58, 2, v58
	v_or_b32_e32 v90, 0x4000, v61
	v_or_b32_e32 v91, 0x6000, v61
	v_xor_b32_e32 v61, 0x440, v58
	v_cmp_eq_u32_e32 vcc, 0, v54
	v_lshlrev_b32_e32 v55, 2, v79
	s_mov_b32 s62, 0x1000504
	v_cndmask_b32_e32 v54, v61, v58, vcc
	v_xor_b32_e32 v59, v82, v55
	v_xor_b32_e32 v60, v83, v55
	v_lshl_or_b32 v37, v37, 10, v54
	s_mov_b32 s63, 0x3020706
	v_lshlrev_b32_e32 v56, 8, v79
	v_or_b32_e32 v57, 16, v79
	v_lshlrev_b32_e32 v59, 1, v59
	v_lshlrev_b32_e32 v60, 1, v60
	v_xor_b32_e32 v54, 8, v37
	v_xor_b32_e32 v58, 24, v37
	;; [unrolled: 1-line block ×4, first 2 shown]
	s_mul_i32 s3, s3, s12
	s_mul_hi_u32 s20, s51, s12
	v_or_b32_e32 v93, v56, v59
	v_or_b32_e32 v94, v56, v60
	v_xor_b32_e32 v56, 16, v37
	v_xor_b32_e32 v61, 32, v37
	;; [unrolled: 1-line block ×3, first 2 shown]
	v_add_u32_e32 v54, 0x80, v54
	v_add_u32_e32 v58, 0x80, v58
	;; [unrolled: 1-line block ×4, first 2 shown]
	s_add_i32 s65, s20, s3
	s_add_i32 s3, s44, s33
	;; [unrolled: 1-line block ×5, first 2 shown]
	s_lshl_b64 s[20:21], s[36:37], 2
	s_add_u32 s3, s10, s20
	s_addc_u32 s24, s11, s21
	s_lshl_b64 s[20:21], s[34:35], 2
	s_add_u32 s40, s3, s20
	s_movk_i32 s3, 0xf8
	s_addc_u32 s41, s24, s21
	s_lshl_b32 s26, s15, 7
	s_movk_i32 s24, 0x100
	v_mov_b32_e32 v69, 0
	v_cmp_gt_u32_e32 vcc, s24, v0
	v_lshl_or_b32 v62, v57, 3, v36
	s_mov_b32 s61, 0
	s_mul_i32 s64, s51, s12
	v_or_b32_e32 v92, 0x4000, v62
	s_movk_i32 s22, 0x4000
	v_or_b32_e32 v95, 0x6000, v62
	s_movk_i32 s35, 0x2000
	s_movk_i32 s37, 0x3000
	s_mov_b32 s67, 0
	s_waitcnt vmcnt(1)
	v_perm_b32 v67, v38, v46, s62
	s_waitcnt vmcnt(0)
	v_perm_b32 v68, v42, v50, s62
	v_perm_b32 v38, v38, v46, s63
	v_perm_b32 v42, v42, v50, s63
	v_perm_b32 v46, v39, v47, s62
	v_perm_b32 v50, v43, v51, s62
	v_perm_b32 v39, v39, v47, s63
	v_perm_b32 v43, v43, v51, s63
	v_perm_b32 v47, v40, v48, s62
	v_perm_b32 v51, v44, v52, s62
	v_perm_b32 v40, v40, v48, s63
	v_perm_b32 v44, v44, v52, s63
	v_perm_b32 v48, v41, v49, s62
	v_perm_b32 v52, v45, v53, s62
	v_perm_b32 v41, v41, v49, s63
	v_perm_b32 v45, v45, v53, s63
	ds_write2st64_b32 v37, v67, v68 offset0:128 offset1:160
	ds_write2st64_b32 v54, v38, v42 offset0:128 offset1:160
	;; [unrolled: 1-line block ×8, first 2 shown]
	v_lshlrev_b32_e32 v37, 8, v57
	v_or_b32_e32 v96, v37, v59
	v_or_b32_e32 v97, v37, v60
	v_or_b32_e32 v37, 32, v79
	v_lshl_or_b32 v38, v37, 3, v36
	v_lshlrev_b32_e32 v37, 8, v37
	v_or_b32_e32 v100, v37, v59
	v_or_b32_e32 v101, v37, v60
	;; [unrolled: 1-line block ×5, first 2 shown]
	v_lshl_or_b32 v38, v37, 3, v36
	v_lshlrev_b32_e32 v37, 8, v37
	v_or_b32_e32 v104, v37, v59
	v_or_b32_e32 v105, v37, v60
	v_or_b32_e32 v37, v1, v79
	v_lshlrev_b32_e32 v37, 3, v37
	v_lshrrev_b32_e32 v39, 5, v76
	v_and_or_b32 v39, v37, s3, v39
	v_lshlrev_b32_e32 v39, 4, v39
	v_lshlrev_b32_e32 v40, 11, v77
	v_and_b32_e32 v37, 0x78, v37
	v_or_b32_e32 v45, 32, v39
	v_or_b32_e32 v102, 0x4000, v38
	;; [unrolled: 1-line block ×3, first 2 shown]
	v_and_b32_e32 v38, 0x1000, v40
	v_xor_b32_e32 v41, v39, v37
	v_lshrrev_b32_e32 v42, 1, v0
	v_xor_b32_e32 v45, v45, v37
	v_or_b32_e32 v41, v41, v38
	v_and_b32_e32 v43, 8, v42
	v_or_b32_e32 v45, v45, v38
	v_xor_b32_e32 v106, v41, v43
	v_lshlrev_b32_e32 v41, 8, v78
	v_xor_b32_e32 v108, v45, v43
	v_or_b32_e32 v45, 64, v39
	v_or_b32_e32 v39, 0x60, v39
	s_ashr_i32 s3, s2, 31
	v_or_b32_e32 v44, v41, v55
	v_xor_b32_e32 v45, v45, v37
	v_xor_b32_e32 v37, v39, v37
	s_lshl_b64 s[20:21], s[2:3], 8
	v_lshlrev_b32_e32 v44, 1, v44
	v_or_b32_e32 v45, v45, v38
	v_or_b32_e32 v37, v37, v38
	s_add_u32 s20, s18, s20
	v_lshlrev_b32_e32 v38, 1, v79
	v_or_b32_e32 v107, 0x4000, v44
	v_or_b32_e32 v109, 0x4080, v44
	;; [unrolled: 1-line block ×8, first 2 shown]
	v_lshrrev_b32_e32 v44, 4, v0
	s_addc_u32 s21, s19, s21
	v_or_b32_e32 v39, 1, v38
	v_lshlrev_b32_e32 v68, 4, v79
	v_mov_b32_e32 v48, 0xa000
	v_mov_b32_e32 v49, 0x8000
	v_xor_b32_e32 v112, v45, v43
	v_xor_b32_e32 v45, v44, v38
	;; [unrolled: 1-line block ×3, first 2 shown]
	v_lshl_add_u64 v[38:39], s[20:21], 0, v[68:69]
	v_lshlrev_b32_e32 v68, 8, v44
	v_cndmask_b32_e32 v48, v48, v49, vcc
	v_lshlrev_b32_e32 v49, 3, v77
	v_and_b32_e32 v42, 24, v42
	v_lshl_or_b32 v118, v45, 3, v68
	v_and_b32_e32 v45, 8, v0
	v_xor_b32_e32 v50, v49, v42
	v_or_b32_e32 v51, 0x440, v50
	v_cmp_eq_u32_e32 vcc, 0, v45
	v_and_b32_e32 v44, 7, v0
	v_lshl_or_b32 v119, v46, 3, v68
	v_cndmask_b32_e32 v45, v51, v50, vcc
	v_lshlrev_b32_e32 v46, 3, v44
	v_lshlrev_b32_e32 v44, 7, v44
	v_or_b32_e32 v45, v45, v40
	v_lshlrev_b32_e32 v47, 2, v0
	v_xad_u32 v120, v45, v46, v44
	v_or_b32_e32 v45, 32, v42
	v_and_or_b32 v41, v47, 60, v41
	v_xor_b32_e32 v45, v49, v45
	v_lshlrev_b32_e32 v41, 1, v41
	v_or_b32_e32 v47, 0x440, v45
	v_or_b32_e32 v121, 0x6000, v41
	v_cndmask_b32_e32 v45, v47, v45, vcc
	v_or_b32_e32 v123, 0x6080, v41
	v_or_b32_e32 v124, 0x6100, v41
	;; [unrolled: 1-line block ×5, first 2 shown]
	v_xor_b32_e32 v41, v49, v41
	v_xad_u32 v122, v45, v46, v44
	v_xor_b32_e32 v45, 0x440, v41
	v_cndmask_b32_e32 v41, v45, v41, vcc
	v_or_b32_e32 v41, v41, v40
	v_xad_u32 v126, v41, v46, v44
	v_or_b32_e32 v41, 0x60, v42
	v_xor_b32_e32 v41, v49, v41
	v_xor_b32_e32 v42, 0x440, v41
	v_cndmask_b32_e32 v41, v42, v41, vcc
	v_xor_b32_e32 v113, v37, v43
	v_ashrrev_i32_e32 v67, 31, v66
	v_lshlrev_b32_e32 v37, 1, v35
	v_add_lshl_u32 v35, v35, s15, 1
	v_or_b32_e32 v43, 0x100, v34
	v_or_b32_e32 v40, v41, v40
	v_xad_u32 v127, v40, v46, v44
	v_cndmask_b32_e64 v128, v37, v34, s[0:1]
	v_cndmask_b32_e64 v129, v35, v43, s[0:1]
	v_lshlrev_b64 v[34:35], 1, v[66:67]
	v_lshl_add_u64 v[70:71], s[8:9], 0, v[34:35]
	v_lshl_add_u64 v[72:73], s[28:29], 0, v[34:35]
	;; [unrolled: 1-line block ×3, first 2 shown]
	s_mov_b32 s3, 0x7060302
	v_lshlrev_b32_e32 v68, 1, v36
	v_add_u32_e32 v67, v48, v120
	v_add_u32_e32 v130, v48, v122
	;; [unrolled: 1-line block ×4, first 2 shown]
	s_waitcnt lgkmcnt(0)
	s_barrier
.LBB171_6:                              ; =>This Inner Loop Header: Depth=1
	s_add_i32 s66, s67, 1
	s_cmp_lt_i32 s66, s52
	s_mov_b64 s[24:25], 0
	s_cselect_b64 s[42:43], -1, 0
	s_cmp_ge_i32 s66, s52
	s_mov_b64 s[20:21], 0
	s_cbranch_scc1 .LBB171_8
; %bb.7:                                ;   in Loop: Header=BB171_6 Depth=1
	s_add_i32 s0, s61, 64
	s_add_u32 s0, s16, s0
	s_addc_u32 s1, s17, 0
	s_lshl_b64 s[0:1], s[0:1], 8
	s_add_u32 s20, s6, s0
	s_addc_u32 s21, s7, s1
.LBB171_8:                              ;   in Loop: Header=BB171_6 Depth=1
	v_cndmask_b32_e64 v34, 0, 1, s[42:43]
	v_cmp_ne_u32_e64 s[0:1], 1, v34
	s_andn2_b64 vcc, exec, s[42:43]
	s_cbranch_vccnz .LBB171_10
; %bb.9:                                ;   in Loop: Header=BB171_6 Depth=1
	s_add_i32 s24, s61, 64
	s_add_u32 s24, s64, s24
	s_addc_u32 s25, s65, 0
	s_mul_i32 s27, s24, s53
	s_mul_hi_u32 s42, s24, s58
	s_add_i32 s27, s42, s27
	s_mul_i32 s25, s25, s58
	s_add_i32 s27, s27, s25
	s_mul_i32 s24, s24, s58
	s_add_u32 s24, s24, s54
	s_addc_u32 s25, s27, s59
	s_lshl_b64 s[24:25], s[24:25], 8
	s_add_u32 s24, s4, s24
	s_addc_u32 s25, s5, s25
.LBB171_10:                             ;   in Loop: Header=BB171_6 Depth=1
	v_perm_b32 v35, v25, v24, s3
	v_perm_b32 v34, v23, v22, s3
	v_perm_b32 v37, v33, v32, s3
	v_perm_b32 v36, v31, v30, s3
	ds_write_b64 v90, v[34:35]
	ds_write_b64 v91, v[36:37]
	ds_write_b64 v93, v[34:35]
	ds_write_b64 v94, v[36:37]
	v_perm_b32 v35, v17, v16, s3
	v_perm_b32 v34, v15, v14, s3
	v_perm_b32 v37, v29, v28, s3
	v_perm_b32 v36, v27, v26, s3
	ds_write_b64 v92, v[34:35]
	ds_write_b64 v95, v[36:37]
	ds_write_b64 v96, v[34:35]
	ds_write_b64 v97, v[36:37]
	;; [unrolled: 8-line block ×4, first 2 shown]
	s_waitcnt lgkmcnt(0)
	s_barrier
	ds_read_b64 v[38:39], v106 offset:49152
	ds_read2_b64 v[34:37], v107 offset1:16
	ds_read_b64 v[50:51], v109 offset:6144
	ds_read_b64 v[52:53], v107 offset:6144
	s_waitcnt lgkmcnt(2)
	v_mfma_f32_16x16x16_bf16 a[0:3], v[38:39], v[34:35], 0
	ds_read_b64 v[54:55], v108 offset:49152
	ds_read2st64_b64 v[42:45], v110 offset0:4 offset1:8
	ds_read2st64_b64 v[46:49], v111 offset0:4 offset1:8
	v_mfma_f32_16x16x16_bf16 a[4:7], v[38:39], v[36:37], 0
	ds_read2_b64 v[34:37], v107 offset0:32 offset1:48
	s_add_i32 s27, s61, 63
	s_mul_i32 s42, s27, s31
	s_waitcnt lgkmcnt(0)
	v_mfma_f32_16x16x16_bf16 a[8:11], v[38:39], v[34:35], 0
	s_mul_hi_u32 s43, s27, s30
	s_add_i32 s43, s43, s42
	s_mul_i32 s42, s27, s30
	v_mfma_f32_16x16x16_bf16 a[12:15], v[38:39], v[36:37], 0
	ds_read2st64_b64 v[34:37], v107 offset0:4 offset1:8
	ds_read2st64_b64 v[38:41], v109 offset0:4 offset1:8
	s_lshl_b64 s[42:43], s[42:43], 2
	s_waitcnt lgkmcnt(1)
	v_mfma_f32_16x16x16_bf16 a[0:3], v[54:55], v[34:35], a[0:3]
	s_add_u32 s42, s40, s42
	s_addc_u32 s43, s41, s43
	s_and_b64 vcc, exec, s[0:1]
	s_waitcnt lgkmcnt(0)
	v_mfma_f32_16x16x16_bf16 a[4:7], v[54:55], v[38:39], a[4:7]
	v_mov_b32_e32 v135, 0
	v_mov_b32_e32 v134, 0
	;; [unrolled: 1-line block ×3, first 2 shown]
	v_mfma_f32_16x16x16_bf16 a[8:11], v[54:55], v[42:43], a[8:11]
	ds_read_b64 v[34:35], v112 offset:49152
	ds_read_b64 v[38:39], v113 offset:49152
	;; [unrolled: 1-line block ×3, first 2 shown]
	v_mfma_f32_16x16x16_bf16 a[12:15], v[54:55], v[46:47], a[12:15]
	v_mov_b32_e32 v46, 0
	v_mov_b32_e32 v47, 0
	s_waitcnt lgkmcnt(2)
	v_mfma_f32_16x16x16_bf16 a[0:3], v[34:35], v[36:37], a[0:3]
	v_mov_b32_e32 v36, 0
	v_mov_b32_e32 v37, 0
	v_mfma_f32_16x16x16_bf16 a[16:19], v[34:35], v[40:41], a[4:7]
	v_mov_b32_e32 v40, 0
	v_mov_b32_e32 v41, 0
	v_mfma_f32_16x16x16_bf16 a[20:23], v[34:35], v[44:45], a[8:11]
	v_mov_b32_e32 v44, 0
	v_mov_b32_e32 v45, 0
	v_mfma_f32_16x16x16_bf16 a[24:27], v[34:35], v[48:49], a[12:15]
	ds_read_b64 v[34:35], v110 offset:6144
	v_mov_b32_e32 v48, 0
	v_mov_b32_e32 v49, 0
	s_waitcnt lgkmcnt(2)
	v_mfma_f32_16x16x16_bf16 a[4:7], v[38:39], v[52:53], a[0:3]
	v_mfma_f32_16x16x16_bf16 a[8:11], v[38:39], v[50:51], a[16:19]
	s_waitcnt lgkmcnt(0)
	v_mfma_f32_16x16x16_bf16 a[12:15], v[38:39], v[34:35], a[20:23]
	v_mov_b32_e32 v34, 0
	v_mov_b32_e32 v35, 0
	v_mfma_f32_16x16x16_bf16 a[0:3], v[38:39], v[42:43], a[24:27]
	v_mov_b32_e32 v38, 0
	v_mov_b32_e32 v39, 0
	;; [unrolled: 1-line block ×4, first 2 shown]
	s_cbranch_vccnz .LBB171_12
; %bb.11:                               ;   in Loop: Header=BB171_6 Depth=1
	s_and_b32 s21, s21, 0xffff
	buffer_load_dwordx4 v[46:49], v86, s[20:23], 0 offen
	buffer_load_dwordx4 v[42:45], v86, s[20:23], s60 offen
	;; [unrolled: 1-line block ×4, first 2 shown]
	v_mov_b32_e32 v134, v88
	v_mov_b32_e32 v133, v89
.LBB171_12:                             ;   in Loop: Header=BB171_6 Depth=1
	ds_read_b64 v[62:63], v106 offset:57344
	ds_read2_b64 v[50:53], v114 offset1:16
	ds_read_b64 v[136:137], v108 offset:57344
	ds_read_b64 v[138:139], v112 offset:57344
	;; [unrolled: 1-line block ×3, first 2 shown]
	v_add_u32_e32 v64, s61, v82
	s_waitcnt lgkmcnt(3)
	v_mfma_f32_16x16x16_bf16 a[4:7], v[62:63], v[50:51], a[4:7]
	v_mfma_f32_16x16x16_bf16 a[8:11], v[62:63], v[52:53], a[8:11]
	ds_read2_b64 v[50:53], v114 offset0:32 offset1:48
	ds_read2st64_b64 v[54:57], v114 offset0:4 offset1:8
	ds_read2st64_b64 v[58:61], v115 offset0:4 offset1:8
	s_waitcnt lgkmcnt(2)
	v_mfma_f32_16x16x16_bf16 a[12:15], v[62:63], v[50:51], a[12:15]
	v_ashrrev_i32_e32 v50, 31, v64
	v_mul_lo_u32 v65, v50, s30
	v_mad_u64_u32 v[50:51], s[20:21], v64, s30, 0
	v_mfma_f32_16x16x16_bf16 a[0:3], v[62:63], v[52:53], a[0:3]
	v_mul_lo_u32 v52, v64, s31
	v_add3_u32 v51, v51, v52, v65
	v_add_u32_e32 v52, 1, v64
	v_ashrrev_i32_e32 v53, 31, v52
	s_waitcnt lgkmcnt(1)
	v_mfma_f32_16x16x16_bf16 a[4:7], v[136:137], v[54:55], a[4:7]
	v_mul_lo_u32 v54, v53, s30
	v_mul_lo_u32 v55, v52, s31
	v_mad_u64_u32 v[52:53], s[20:21], v52, s30, 0
	v_add3_u32 v53, v53, v55, v54
	v_add_u32_e32 v54, 2, v64
	v_ashrrev_i32_e32 v55, 31, v54
	v_mul_lo_u32 v62, v55, s30
	v_mul_lo_u32 v63, v54, s31
	v_mad_u64_u32 v[54:55], s[20:21], v54, s30, 0
	v_add3_u32 v55, v55, v63, v62
	v_add_u32_e32 v62, 3, v64
	v_ashrrev_i32_e32 v63, 31, v62
	v_mul_lo_u32 v64, v63, s30
	v_mul_lo_u32 v65, v62, s31
	v_mad_u64_u32 v[62:63], s[20:21], v62, s30, 0
	s_add_u32 s20, s16, s61
	v_lshl_add_u64 v[50:51], v[50:51], 2, s[40:41]
	v_add3_u32 v63, v63, v65, v64
	s_addc_u32 s21, s17, 0
	v_lshl_add_u64 v[52:53], v[52:53], 2, s[40:41]
	global_load_dword v142, v[50:51], off
	v_lshl_add_u64 v[50:51], v[62:63], 2, s[40:41]
	s_lshl_b64 s[20:21], s[20:21], 8
	v_lshl_add_u64 v[54:55], v[54:55], 2, s[40:41]
	global_load_dword v143, v[52:53], off
	global_load_dword v144, v[54:55], off
	global_load_dword v145, v[50:51], off
	v_lshl_add_u64 v[50:51], v[70:71], 0, s[20:21]
	v_lshl_add_u64 v[54:55], v[50:51], 0, v[68:69]
	global_load_ushort v146, v[54:55], off offset:256
	global_load_ushort v147, v[54:55], off
	ds_read2st64_b64 v[50:53], v116 offset0:4 offset1:8
	global_load_ushort v148, v[54:55], off offset:768
	global_load_ushort v149, v[54:55], off offset:512
	ds_read2st64_b64 v[62:65], v117 offset0:4 offset1:8
	global_load_ushort v150, v[54:55], off offset:288
	global_load_ushort v151, v[54:55], off offset:32
	;; [unrolled: 1-line block ×4, first 2 shown]
	s_waitcnt lgkmcnt(2)
	v_mfma_f32_16x16x16_bf16 a[8:11], v[136:137], v[58:59], a[8:11]
	global_load_ushort v154, v[54:55], off offset:320
	global_load_ushort v155, v[54:55], off offset:64
	;; [unrolled: 1-line block ×4, first 2 shown]
	s_and_b64 vcc, exec, s[0:1]
	s_waitcnt lgkmcnt(1)
	v_mfma_f32_16x16x16_bf16 a[12:15], v[136:137], v[50:51], a[12:15]
	ds_read_b64 v[50:51], v114 offset:6144
	s_waitcnt lgkmcnt(1)
	v_mfma_f32_16x16x16_bf16 a[0:3], v[136:137], v[62:63], a[0:3]
	v_lshl_add_u64 v[62:63], v[72:73], 0, s[20:21]
	v_lshl_add_u64 v[62:63], v[62:63], 0, v[68:69]
	v_mfma_f32_16x16x16_bf16 a[4:7], v[138:139], v[56:57], a[4:7]
	v_mfma_f32_16x16x16_bf16 a[8:11], v[138:139], v[60:61], a[8:11]
	v_mfma_f32_16x16x16_bf16 a[12:15], v[138:139], v[52:53], a[12:15]
	v_mfma_f32_16x16x16_bf16 a[0:3], v[138:139], v[64:65], a[0:3]
	global_load_ushort v138, v[54:55], off offset:352
	global_load_ushort v139, v[54:55], off offset:96
	ds_read_b64 v[52:53], v115 offset:6144
	ds_read_b64 v[56:57], v116 offset:6144
	;; [unrolled: 1-line block ×3, first 2 shown]
	s_load_dword s42, s[42:43], 0x0
	global_load_ushort v158, v[54:55], off offset:864
	global_load_ushort v159, v[54:55], off offset:608
	s_waitcnt lgkmcnt(0)
	v_mfma_f32_16x16x16_bf16 a[4:7], v[140:141], v[50:51], a[4:7]
	s_waitcnt vmcnt(17)
	v_sub_f32_e32 v60, s42, v144
	v_mfma_f32_16x16x16_bf16 a[0:3], v[140:141], v[58:59], a[0:3]
	v_sub_f32_e32 v58, s42, v142
	v_sub_f32_e32 v59, s42, v143
	s_waitcnt vmcnt(16)
	v_sub_f32_e32 v61, s42, v145
	v_mfma_f32_16x16x16_bf16 a[8:11], v[140:141], v[52:53], a[8:11]
	v_exp_f32_e32 v58, v58
	v_exp_f32_e32 v59, v59
	;; [unrolled: 1-line block ×4, first 2 shown]
	v_accvgpr_read_b32 v137, a5
	s_waitcnt vmcnt(15)
	v_lshlrev_b32_e32 v65, 16, v146
	s_waitcnt vmcnt(14)
	v_lshlrev_b32_e32 v64, 16, v147
	v_accvgpr_read_b32 v136, a4
	v_accvgpr_read_b32 v51, a7
	;; [unrolled: 1-line block ×3, first 2 shown]
	v_pk_add_f32 v[64:65], v[64:65], v[136:137] neg_lo:[0,1] neg_hi:[0,1]
	s_waitcnt vmcnt(13)
	v_lshlrev_b32_e32 v137, 16, v148
	s_waitcnt vmcnt(12)
	v_lshlrev_b32_e32 v136, 16, v149
	v_pk_add_f32 v[50:51], v[136:137], v[50:51] neg_lo:[0,1] neg_hi:[0,1]
	global_store_short_d16_hi v[62:63], v64, off
	global_store_short_d16_hi v[62:63], v65, off offset:256
	global_store_short_d16_hi v[62:63], v50, off offset:512
	;; [unrolled: 1-line block ×3, first 2 shown]
	v_pk_mul_f32 v[64:65], v[58:59], v[64:65]
	v_pk_mul_f32 v[50:51], v[60:61], v[50:51]
	v_accvgpr_read_b32 v137, a9
	v_perm_b32 v64, v65, v64, s3
	v_perm_b32 v65, v51, v50, s3
	s_waitcnt vmcnt(15)
	v_lshlrev_b32_e32 v51, 16, v150
	s_waitcnt vmcnt(14)
	v_lshlrev_b32_e32 v50, 16, v151
	v_accvgpr_read_b32 v136, a8
	v_accvgpr_read_b32 v53, a11
	v_mfma_f32_16x16x16_bf16 a[12:15], v[140:141], v[56:57], a[12:15]
	v_accvgpr_read_b32 v52, a10
	v_pk_add_f32 v[50:51], v[50:51], v[136:137] neg_lo:[0,1] neg_hi:[0,1]
	s_waitcnt vmcnt(13)
	v_lshlrev_b32_e32 v137, 16, v152
	s_waitcnt vmcnt(12)
	v_lshlrev_b32_e32 v136, 16, v153
	v_pk_add_f32 v[52:53], v[136:137], v[52:53] neg_lo:[0,1] neg_hi:[0,1]
	global_store_short_d16_hi v[62:63], v50, off offset:32
	global_store_short_d16_hi v[62:63], v51, off offset:288
	;; [unrolled: 1-line block ×4, first 2 shown]
	v_pk_mul_f32 v[50:51], v[58:59], v[50:51]
	v_pk_mul_f32 v[52:53], v[60:61], v[52:53]
	v_accvgpr_read_b32 v55, a15
	v_perm_b32 v53, v53, v52, s3
	v_perm_b32 v52, v51, v50, s3
	ds_write2_b64 v91, v[64:65], v[52:53] offset1:16
	v_accvgpr_read_b32 v53, a13
	s_waitcnt vmcnt(15)
	v_lshlrev_b32_e32 v51, 16, v154
	s_waitcnt vmcnt(14)
	v_lshlrev_b32_e32 v50, 16, v155
	v_accvgpr_read_b32 v52, a12
	v_accvgpr_read_b32 v54, a14
	v_pk_add_f32 v[50:51], v[50:51], v[52:53] neg_lo:[0,1] neg_hi:[0,1]
	s_waitcnt vmcnt(13)
	v_lshlrev_b32_e32 v53, 16, v156
	s_waitcnt vmcnt(12)
	v_lshlrev_b32_e32 v52, 16, v157
	v_pk_add_f32 v[52:53], v[52:53], v[54:55] neg_lo:[0,1] neg_hi:[0,1]
	global_store_short_d16_hi v[62:63], v50, off offset:64
	global_store_short_d16_hi v[62:63], v51, off offset:320
	;; [unrolled: 1-line block ×4, first 2 shown]
	v_pk_mul_f32 v[50:51], v[58:59], v[50:51]
	v_pk_mul_f32 v[52:53], v[60:61], v[52:53]
	v_accvgpr_read_b32 v55, a1
	v_perm_b32 v50, v51, v50, s3
	v_perm_b32 v51, v53, v52, s3
	s_waitcnt vmcnt(15)
	v_lshlrev_b32_e32 v53, 16, v138
	s_waitcnt vmcnt(14)
	v_lshlrev_b32_e32 v52, 16, v139
	v_accvgpr_read_b32 v54, a0
	v_accvgpr_read_b32 v57, a3
	;; [unrolled: 1-line block ×3, first 2 shown]
	v_pk_add_f32 v[52:53], v[52:53], v[54:55] neg_lo:[0,1] neg_hi:[0,1]
	s_waitcnt vmcnt(13)
	v_lshlrev_b32_e32 v55, 16, v158
	s_waitcnt vmcnt(12)
	v_lshlrev_b32_e32 v54, 16, v159
	v_pk_add_f32 v[54:55], v[54:55], v[56:57] neg_lo:[0,1] neg_hi:[0,1]
	global_store_short_d16_hi v[62:63], v52, off offset:96
	global_store_short_d16_hi v[62:63], v53, off offset:352
	;; [unrolled: 1-line block ×4, first 2 shown]
	v_pk_mul_f32 v[52:53], v[58:59], v[52:53]
	v_pk_mul_f32 v[54:55], v[60:61], v[54:55]
	v_mov_b32_e32 v136, 0
	v_perm_b32 v55, v55, v54, s3
	v_perm_b32 v54, v53, v52, s3
	ds_write2_b64 v91, v[50:51], v[54:55] offset0:32 offset1:48
	v_mov_b32_e32 v50, 0
	v_mov_b32_e32 v51, 0
	;; [unrolled: 1-line block ×16, first 2 shown]
	s_cbranch_vccnz .LBB171_14
; %bb.13:                               ;   in Loop: Header=BB171_6 Depth=1
	s_and_b32 s25, s25, 0xffff
	s_mov_b32 s27, s23
	buffer_load_dwordx4 v[62:65], v128, s[24:27], 0 offen
	buffer_load_dwordx4 v[54:57], v128, s[24:27], s60 offen
	buffer_load_dwordx4 v[58:61], v129, s[24:27], 0 offen
	buffer_load_dwordx4 v[50:53], v129, s[24:27], s60 offen
	v_mov_b32_e32 v135, v85
	v_mov_b32_e32 v136, v84
.LBB171_14:                             ;   in Loop: Header=BB171_6 Depth=1
	s_waitcnt lgkmcnt(0)
	s_barrier
	ds_read_b64 v[146:147], v67
	ds_read2_b64 v[138:141], v121 offset1:16
	ds_read_b64 v[162:163], v130
	ds_read_b64 v[164:165], v131
	;; [unrolled: 1-line block ×3, first 2 shown]
	ds_read2_b64 v[142:145], v121 offset0:32 offset1:48
	s_waitcnt lgkmcnt(4)
	v_mfma_f32_16x16x16_bf16 a[0:3], v[146:147], v[138:139], 0
	ds_read2st64_b64 v[150:153], v123 offset0:4 offset1:8
	ds_read2st64_b64 v[154:157], v124 offset0:4 offset1:8
	ds_read2st64_b64 v[158:161], v125 offset0:4 offset1:8
	v_mfma_f32_16x16x16_bf16 a[4:7], v[146:147], v[140:141], 0
	s_add_i32 s20, s55, s67
	s_mul_hi_i32 s21, s20, s13
	s_mul_i32 s20, s20, s13
	s_waitcnt lgkmcnt(3)
	v_mfma_f32_16x16x16_bf16 a[8:11], v[146:147], v[142:143], 0
	s_add_u32 s20, s20, s48
	s_addc_u32 s21, s21, s49
	s_lshl_b64 s[20:21], s[20:21], 15
	v_mfma_f32_16x16x16_bf16 a[12:15], v[146:147], v[144:145], 0
	ds_read2st64_b64 v[146:149], v121 offset0:4 offset1:8
	s_waitcnt lgkmcnt(0)
	v_mfma_f32_16x16x16_bf16 a[0:3], v[162:163], v[146:147], a[0:3]
	v_mfma_f32_16x16x16_bf16 a[4:7], v[162:163], v[150:151], a[4:7]
	;; [unrolled: 1-line block ×8, first 2 shown]
	ds_read_b64 v[162:163], v121 offset:6144
	ds_read_b64 v[164:165], v122 offset:40960
	;; [unrolled: 1-line block ×8, first 2 shown]
	s_waitcnt lgkmcnt(5)
	v_mfma_f32_16x16x16_bf16 a[16:19], v[168:169], v[138:139], 0
	v_mfma_f32_16x16x16_bf16 a[20:23], v[168:169], v[140:141], 0
	ds_read2st64_b64 v[138:141], v118 offset1:8
	v_mfma_f32_16x16x16_bf16 a[24:27], v[168:169], v[142:143], 0
	v_mfma_f32_16x16x16_bf16 a[28:31], v[168:169], v[144:145], 0
	ds_read2st64_b64 v[142:145], v119 offset1:8
	v_mfma_f32_16x16x16_bf16 a[16:19], v[164:165], v[146:147], a[16:19]
	s_waitcnt lgkmcnt(1)
	v_mov_b32_e32 v146, v138
	v_mov_b32_e32 v147, v139
	v_mfma_f32_16x16x16_bf16 a[20:23], v[164:165], v[150:151], a[20:23]
	v_lshl_add_u64 v[150:151], v[74:75], 0, s[20:21]
	v_mfma_f32_16x16x16_bf16 a[24:27], v[164:165], v[154:155], a[24:27]
	v_mfma_f32_16x16x16_bf16 a[28:31], v[164:165], v[158:159], a[28:31]
	;; [unrolled: 1-line block ×3, first 2 shown]
	s_waitcnt lgkmcnt(0)
	v_mov_b32_e32 v148, v142
	v_mov_b32_e32 v149, v143
	;; [unrolled: 1-line block ×3, first 2 shown]
	v_mfma_f32_16x16x16_bf16 a[32:35], v[176:177], v[152:153], a[20:23]
	v_mov_b32_e32 v143, v141
	ds_read2st64_b64 v[138:141], v118 offset0:16 offset1:24
	global_store_dwordx4 v[150:151], v[146:149], off
	v_mfma_f32_16x16x16_bf16 a[24:27], v[176:177], v[156:157], a[24:27]
	ds_read2st64_b64 v[146:149], v119 offset0:16 offset1:24
	v_add_co_u32_e32 v152, vcc, s35, v150
	v_mfma_f32_16x16x16_bf16 a[28:31], v[176:177], v[160:161], a[28:31]
	s_nop 0
	v_addc_co_u32_e32 v153, vcc, 0, v151, vcc
	global_store_dwordx4 v[152:153], v[142:145], off offset:-4096
	v_mfma_f32_16x16x16_bf16 a[0:3], v[166:167], v[162:163], a[0:3]
	s_waitcnt lgkmcnt(1)
	v_mov_b32_e32 v142, v138
	v_add_co_u32_e32 v138, vcc, s37, v150
	v_mfma_f32_16x16x16_bf16 a[4:7], v[166:167], v[170:171], a[4:7]
	v_mov_b32_e32 v143, v139
	v_addc_co_u32_e32 v139, vcc, 0, v151, vcc
	v_mfma_f32_16x16x16_bf16 a[8:11], v[166:167], v[172:173], a[8:11]
	s_waitcnt lgkmcnt(0)
	v_mov_b32_e32 v144, v146
	v_mov_b32_e32 v145, v147
	;; [unrolled: 1-line block ×3, first 2 shown]
	v_mfma_f32_16x16x16_bf16 a[12:15], v[166:167], v[174:175], a[12:15]
	v_mov_b32_e32 v147, v141
	s_and_b64 vcc, exec, s[0:1]
	global_store_dwordx4 v[152:153], v[142:145], off
	v_mfma_f32_16x16x16_bf16 a[20:23], v[178:179], v[162:163], a[16:19]
	global_store_dwordx4 v[138:139], v[146:149], off
	v_mfma_f32_16x16x16_bf16 a[16:19], v[178:179], v[170:171], a[32:35]
	v_mfma_f32_16x16x16_bf16 a[24:27], v[178:179], v[172:173], a[24:27]
	v_mfma_f32_16x16x16_bf16 a[28:31], v[178:179], v[174:175], a[28:31]
	s_cbranch_vccnz .LBB171_16
; %bb.15:                               ;   in Loop: Header=BB171_6 Depth=1
	v_lshrrev_b32_e32 v137, 3, v135
	v_and_b32_e32 v137, 6, v137
	v_xor_b32_e32 v136, v137, v136
	v_lshlrev_b32_e32 v136, 2, v136
	v_and_b32_e32 v135, 8, v135
	v_xor_b32_e32 v138, 0x440, v136
	v_cmp_eq_u32_e32 vcc, 0, v135
	s_barrier
	s_nop 0
	v_cndmask_b32_e32 v135, v138, v136, vcc
	v_lshl_or_b32 v135, v137, 10, v135
	s_waitcnt vmcnt(5)
	v_perm_b32 v136, v62, v58, s62
	s_waitcnt vmcnt(4)
	v_perm_b32 v137, v54, v50, s62
	ds_write2st64_b32 v135, v136, v137 offset0:128 offset1:160
	v_xor_b32_e32 v136, 8, v135
	v_perm_b32 v58, v62, v58, s63
	v_perm_b32 v50, v54, v50, s63
	v_add_u32_e32 v54, 0x80, v136
	ds_write2st64_b32 v54, v58, v50 offset0:128 offset1:160
	v_xor_b32_e32 v50, 16, v135
	v_perm_b32 v54, v63, v59, s62
	v_perm_b32 v58, v55, v51, s62
	ds_write2st64_b32 v50, v54, v58 offset0:129 offset1:161
	v_xor_b32_e32 v50, 24, v135
	v_perm_b32 v54, v63, v59, s63
	v_perm_b32 v51, v55, v51, s63
	v_add_u32_e32 v50, 0x80, v50
	ds_write2st64_b32 v50, v54, v51 offset0:129 offset1:161
	v_xor_b32_e32 v50, 32, v135
	v_perm_b32 v51, v64, v60, s62
	;; [unrolled: 9-line block ×3, first 2 shown]
	v_perm_b32 v52, v57, v53, s62
	ds_write2st64_b32 v50, v51, v52 offset0:131 offset1:163
	v_xor_b32_e32 v50, 56, v135
	v_perm_b32 v51, v65, v61, s63
	v_perm_b32 v52, v57, v53, s63
	v_add_u32_e32 v50, 0x80, v50
	ds_write2st64_b32 v50, v51, v52 offset0:131 offset1:163
	ds_write_b64 v134, v[46:47] offset:49152
	v_xor_b32_e32 v46, 8, v134
	ds_write_b64 v46, v[48:49] offset:49152
	ds_write_b64 v134, v[42:43] offset:57344
	;; [unrolled: 1-line block ×4, first 2 shown]
	v_xor_b32_e32 v38, 8, v133
	ds_write_b64 v38, v[40:41] offset:49152
	ds_write_b64 v133, v[34:35] offset:57344
	;; [unrolled: 1-line block ×3, first 2 shown]
.LBB171_16:                             ;   in Loop: Header=BB171_6 Depth=1
	v_exp_f32_e32 v134, s42
	v_accvgpr_read_b32 v37, a3
	v_accvgpr_read_b32 v41, a7
	v_accvgpr_read_b32 v45, a11
	v_accvgpr_read_b32 v49, a15
	s_waitcnt vmcnt(4)
	v_accvgpr_read_b32 v53, a23
	v_accvgpr_read_b32 v57, a19
	;; [unrolled: 1-line block ×28, first 2 shown]
	s_add_i32 s61, s61, 64
	v_pk_fma_f32 v[22:23], v[22:23], v[134:135], v[34:35] op_sel_hi:[1,0,1]
	v_pk_fma_f32 v[24:25], v[24:25], v[134:135], v[36:37] op_sel_hi:[1,0,1]
	;; [unrolled: 1-line block ×15, first 2 shown]
	s_cmp_eq_u32 s52, s66
	v_pk_fma_f32 v[12:13], v[12:13], v[134:135], v[64:65] op_sel_hi:[1,0,1]
	s_cbranch_scc1 .LBB171_18
; %bb.17:                               ;   in Loop: Header=BB171_6 Depth=1
	s_mov_b32 s67, s66
	s_branch .LBB171_6
.LBB171_18:
	s_lshl_b32 s26, s52, 6
	s_sub_i32 s27, s12, s26
	s_cmp_gt_i32 s27, 0
	s_cbranch_scc0 .LBB171_99
; %bb.19:
	s_ashr_i32 s3, s26, 31
	s_cmpk_lg_i32 s15, 0x80
	s_cselect_b64 s[22:23], -1, 0
	s_and_b64 vcc, exec, s[22:23]
	s_cbranch_vccz .LBB171_21
; %bb.20:
	s_mul_i32 s1, s51, s12
	s_mul_hi_i32 s0, s51, s12
	s_add_u32 s1, s1, s26
	s_addc_u32 s0, s0, s3
	s_mul_i32 s17, s1, s53
	s_mul_hi_u32 s20, s1, s14
	s_add_i32 s17, s20, s17
	s_mul_i32 s0, s0, s14
	s_add_i32 s17, s17, s0
	s_mul_i32 s1, s1, s14
	s_ashr_i32 s0, s54, 31
	s_add_u32 s24, s1, s54
	s_addc_u32 s25, s17, s0
	s_cbranch_execz .LBB171_22
	s_branch .LBB171_23
.LBB171_21:
                                        ; implicit-def: $sgpr24_sgpr25
.LBB171_22:
	s_mul_hi_i32 s0, s51, s14
	s_mul_i32 s51, s51, s14
	s_ashr_i32 s1, s54, 31
	s_add_u32 s14, s51, s54
	s_addc_u32 s0, s0, s1
	s_mul_i32 s1, s14, s50
	s_mul_hi_u32 s17, s14, s12
	s_add_i32 s1, s17, s1
	s_mul_i32 s0, s0, s12
	s_add_i32 s1, s1, s0
	s_mul_i32 s14, s14, s12
	s_add_u32 s24, s14, s26
	s_addc_u32 s25, s1, s3
.LBB171_23:
	s_mul_i32 s0, s38, s50
	s_add_i32 s0, s57, s0
	s_add_i32 s14, s55, s52
	;; [unrolled: 1-line block ×3, first 2 shown]
	s_add_u32 s0, s16, s26
	s_addc_u32 s1, s1, s3
	v_lshlrev_b32_e32 v35, 6, v82
	v_lshlrev_b32_e32 v34, 2, v79
	s_mov_b32 s3, 0x7060302
	s_waitcnt vmcnt(7)
	v_perm_b32 v25, v25, v24, s3
	v_perm_b32 v24, v23, v22, s3
	s_waitcnt vmcnt(6)
	v_perm_b32 v22, v31, v30, s3
	v_or_b32_e32 v30, v35, v34
	v_xor_b32_e32 v36, v82, v34
	v_perm_b32 v23, v33, v32, s3
	v_lshlrev_b32_e32 v30, 1, v30
	ds_write2st64_b64 v30, v[24:25], v[22:23] offset0:32 offset1:48
	v_lshlrev_b32_e32 v30, 1, v36
	v_lshlrev_b32_e32 v31, 8, v79
	v_xor_b32_e32 v37, v83, v34
	v_or_b32_e32 v32, v30, v31
	ds_write_b64 v32, v[24:25]
	v_lshlrev_b32_e32 v24, 1, v37
	v_or_b32_e32 v25, v24, v31
	ds_write_b64 v25, v[22:23]
	v_or_b32_e32 v22, 16, v79
	v_lshlrev_b32_e32 v23, 2, v22
	v_or_b32_e32 v25, v35, v23
	s_waitcnt vmcnt(5)
	v_perm_b32 v17, v17, v16, s3
	v_perm_b32 v16, v15, v14, s3
	s_waitcnt vmcnt(4)
	v_perm_b32 v15, v29, v28, s3
	v_perm_b32 v14, v27, v26, s3
	v_lshlrev_b32_e32 v25, 1, v25
	v_lshlrev_b32_e32 v22, 8, v22
	ds_write2st64_b64 v25, v[16:17], v[14:15] offset0:32 offset1:48
	v_or_b32_e32 v25, v30, v22
	ds_write_b64 v25, v[16:17]
	v_or_b32_e32 v16, v24, v22
	ds_write_b64 v16, v[14:15]
	v_or_b32_e32 v14, 32, v79
	v_lshlrev_b32_e32 v22, 2, v14
	v_or_b32_e32 v15, v35, v22
	s_waitcnt vmcnt(3)
	v_perm_b32 v9, v9, v8, s3
	v_perm_b32 v8, v7, v6, s3
	s_waitcnt vmcnt(2)
	v_perm_b32 v7, v21, v20, s3
	v_perm_b32 v6, v19, v18, s3
	v_lshlrev_b32_e32 v15, 1, v15
	v_lshlrev_b32_e32 v14, 8, v14
	s_lshl_b64 s[20:21], s[0:1], 8
	ds_write2st64_b64 v15, v[8:9], v[6:7] offset0:32 offset1:48
	v_or_b32_e32 v15, v30, v14
	s_waitcnt lgkmcnt(0)
	s_add_u32 s0, s6, s20
	ds_write_b64 v15, v[8:9]
	v_or_b32_e32 v8, v24, v14
	s_addc_u32 s1, s7, s21
	ds_write_b64 v8, v[6:7]
	s_waitcnt vmcnt(1)
	v_perm_b32 v5, v5, v4, s3
	v_perm_b32 v4, v3, v2, s3
	s_waitcnt vmcnt(0)
	v_perm_b32 v3, v13, v12, s3
	v_perm_b32 v2, v11, v10, s3
	v_or_b32_e32 v6, 48, v79
	s_mul_hi_i32 s3, s14, s13
	s_mul_i32 s14, s14, s13
	v_lshlrev_b32_e32 v19, 2, v6
	s_add_u32 s6, s14, s48
	v_or_b32_e32 v7, v35, v19
	s_addc_u32 s7, s3, s49
	v_lshlrev_b32_e32 v7, 1, v7
	v_lshlrev_b32_e32 v6, 8, v6
	s_ashr_i32 s3, s2, 31
	s_lshl_b64 s[6:7], s[6:7], 15
	ds_write2st64_b64 v7, v[4:5], v[2:3] offset0:32 offset1:48
	v_or_b32_e32 v7, v30, v6
	s_add_u32 s6, s18, s6
	ds_write_b64 v7, v[4:5]
	v_or_b32_e32 v4, v24, v6
	s_addc_u32 s7, s19, s7
	s_lshl_b64 s[2:3], s[2:3], 8
	ds_write_b64 v4, v[2:3]
	s_add_u32 s2, s6, s2
	v_lshlrev_b32_e32 v3, 1, v79
	v_lshrrev_b32_e32 v2, 4, v0
	s_addc_u32 s3, s7, s3
	v_or_b32_e32 v4, 1, v3
	v_lshlrev_b32_e32 v10, 4, v79
	v_mov_b32_e32 v11, 0
	v_xor_b32_e32 v3, v2, v3
	v_xor_b32_e32 v6, v4, v2
	v_lshl_add_u64 v[12:13], s[2:3], 0, v[10:11]
	v_lshlrev_b32_e32 v10, 8, v2
	v_lshl_or_b32 v16, v3, 3, v10
	v_lshl_or_b32 v17, v6, 3, v10
	s_waitcnt lgkmcnt(0)
	s_barrier
	ds_read2st64_b64 v[2:5], v16 offset1:8
	ds_read2st64_b64 v[6:9], v17 offset1:8
	v_lshl_add_u64 v[14:15], v[12:13], 0, v[10:11]
	s_movk_i32 s2, 0x2000
	s_cmp_lg_u32 s27, 64
	s_waitcnt lgkmcnt(1)
	v_mov_b32_e32 v10, v2
	v_mov_b32_e32 v11, v3
	s_waitcnt lgkmcnt(0)
	v_mov_b32_e32 v12, v6
	v_mov_b32_e32 v13, v7
	global_store_dwordx4 v[14:15], v[10:13], off
	v_mov_b32_e32 v6, v4
	v_mov_b32_e32 v7, v5
	ds_read2st64_b64 v[2:5], v16 offset0:16 offset1:24
	ds_read2st64_b64 v[10:13], v17 offset0:16 offset1:24
	v_add_co_u32_e32 v16, vcc, s2, v14
	s_cselect_b64 s[6:7], -1, 0
	s_nop 0
	v_addc_co_u32_e32 v17, vcc, 0, v15, vcc
	global_store_dwordx4 v[16:17], v[6:9], off offset:-4096
	v_lshl_or_b32 v24, v77, 3, v81
	s_mov_b32 s16, 0
	s_waitcnt lgkmcnt(1)
	v_mov_b32_e32 v6, v2
	v_add_co_u32_e32 v2, vcc, 0x3000, v14
	v_mov_b32_e32 v7, v3
	s_nop 0
	v_addc_co_u32_e32 v3, vcc, 0, v15, vcc
	s_waitcnt lgkmcnt(0)
	v_mov_b32_e32 v8, v10
	v_mov_b32_e32 v9, v11
	;; [unrolled: 1-line block ×4, first 2 shown]
	v_or_b32_e32 v20, 32, v24
	v_and_b32_e32 v18, 56, v80
	s_and_b64 vcc, exec, s[6:7]
	global_store_dwordx4 v[16:17], v[6:9], off
	global_store_dwordx4 v[2:3], v[10:13], off
	s_cbranch_vccz .LBB171_29
; %bb.24:
	s_mov_b32 s17, s16
	s_mov_b32 s18, s16
	;; [unrolled: 1-line block ×3, first 2 shown]
	v_mov_b64_e32 v[6:7], s[16:17]
	v_mov_b64_e32 v[8:9], s[18:19]
	;; [unrolled: 1-line block ×3, first 2 shown]
	v_cmp_gt_i32_e32 vcc, s27, v24
	v_mov_b64_e32 v[4:5], v[8:9]
	s_and_saveexec_b64 s[2:3], vcc
	s_cbranch_execz .LBB171_26
; %bb.25:
	v_lshlrev_b32_e32 v2, 8, v24
	v_mov_b32_e32 v3, 0
	v_lshl_add_u64 v[4:5], s[0:1], 0, v[2:3]
	v_lshlrev_b32_e32 v2, 1, v18
	v_lshl_add_u64 v[10:11], v[4:5], 0, v[2:3]
	global_load_dwordx4 v[6:9], v[10:11], off
	global_load_dwordx4 v[2:5], v[10:11], off offset:128
.LBB171_26:
	s_or_b64 exec, exec, s[2:3]
	s_mov_b32 s17, s16
	s_mov_b32 s18, s16
	;; [unrolled: 1-line block ×3, first 2 shown]
	v_mov_b64_e32 v[14:15], s[16:17]
	v_mov_b64_e32 v[16:17], s[18:19]
	;; [unrolled: 1-line block ×3, first 2 shown]
	v_cmp_gt_i32_e32 vcc, s27, v20
	v_lshlrev_b32_e32 v21, 7, v20
	v_mov_b64_e32 v[12:13], v[16:17]
	s_and_saveexec_b64 s[2:3], vcc
	s_cbranch_execz .LBB171_28
; %bb.27:
	v_lshlrev_b32_e32 v10, 1, v21
	v_mov_b32_e32 v11, 0
	v_lshl_add_u64 v[12:13], s[0:1], 0, v[10:11]
	v_lshlrev_b32_e32 v10, 1, v18
	v_lshl_add_u64 v[26:27], v[12:13], 0, v[10:11]
	global_load_dwordx4 v[14:17], v[26:27], off
	global_load_dwordx4 v[10:13], v[26:27], off offset:128
.LBB171_28:
	s_or_b64 exec, exec, s[2:3]
	v_lshrrev_b32_e32 v25, 3, v18
	v_lshlrev_b32_e32 v26, 3, v24
	v_or_b32_e32 v25, v26, v25
	v_lshlrev_b32_e32 v25, 4, v25
	v_and_b32_e32 v26, 0x78, v26
	v_xor_b32_e32 v25, v25, v26
	s_branch .LBB171_31
.LBB171_29:
                                        ; implicit-def: $vgpr25
                                        ; implicit-def: $vgpr21
                                        ; implicit-def: $vgpr6_vgpr7_vgpr8_vgpr9
                                        ; implicit-def: $vgpr2_vgpr3_vgpr4_vgpr5
                                        ; implicit-def: $vgpr14_vgpr15_vgpr16_vgpr17
                                        ; implicit-def: $vgpr10_vgpr11_vgpr12_vgpr13
	s_cbranch_execz .LBB171_31
; %bb.30:
	s_waitcnt vmcnt(0)
	v_lshlrev_b32_e32 v2, 1, v18
	v_lshl_or_b32 v21, v24, 8, v2
	s_and_b32 s1, s1, 0xffff
	s_mov_b32 s3, 0x20000
	s_movk_i32 s2, 0x4000
	v_lshl_or_b32 v25, v20, 8, v2
	s_movk_i32 s13, 0x80
	buffer_load_dwordx4 v[6:9], v21, s[0:3], 0 offen
	buffer_load_dwordx4 v[2:5], v21, s[0:3], s13 offen
	;; [unrolled: 1-line block ×4, first 2 shown]
	v_lshrrev_b32_e32 v21, 3, v18
	v_lshlrev_b32_e32 v25, 3, v24
	v_or_b32_e32 v21, v25, v21
	v_lshlrev_b32_e32 v21, 4, v21
	v_and_b32_e32 v25, 0x78, v25
	v_xor_b32_e32 v25, v21, v25
	v_lshlrev_b32_e32 v21, 7, v20
.LBB171_31:
	s_movk_i32 s0, 0x1000
	v_and_or_b32 v20, v21, s0, v25
	s_waitcnt vmcnt(1)
	ds_write_b64 v25, v[6:7] offset:49152
	v_xor_b32_e32 v6, 8, v25
	ds_write_b64 v6, v[8:9] offset:49152
	s_waitcnt vmcnt(0)
	ds_write_b64 v25, v[2:3] offset:57344
	ds_write_b64 v6, v[4:5] offset:57344
	;; [unrolled: 1-line block ×3, first 2 shown]
	v_xor_b32_e32 v2, 8, v20
	ds_write_b64 v2, v[16:17] offset:49152
	ds_write_b64 v20, v[10:11] offset:57344
	;; [unrolled: 1-line block ×3, first 2 shown]
	v_or_b32_e32 v2, v1, v79
	v_lshlrev_b32_e32 v3, 11, v77
	v_lshlrev_b32_e32 v2, 3, v2
	v_and_b32_e32 v6, 0x1000, v3
	v_lshrrev_b32_e32 v3, 5, v76
	s_movk_i32 s0, 0xf8
	v_and_or_b32 v3, v2, s0, v3
	v_lshlrev_b32_e32 v7, 4, v3
	v_and_b32_e32 v8, 0x78, v2
	v_or_b32_e32 v10, 32, v7
	v_lshrrev_b32_e32 v3, 1, v76
	v_xor_b32_e32 v10, v10, v8
	v_xor_b32_e32 v2, v7, v8
	v_and_b32_e32 v9, 8, v3
	v_or_b32_e32 v10, v10, v6
	v_or_b32_e32 v2, v2, v6
	v_xor_b32_e32 v27, v10, v9
	v_or_b32_e32 v10, 64, v7
	v_xor_b32_e32 v26, v2, v9
	v_xor_b32_e32 v10, v10, v8
	s_waitcnt lgkmcnt(0)
	s_barrier
	v_or_b32_e32 v13, v10, v6
	ds_read_b64 v[10:11], v26 offset:49152
	v_lshl_or_b32 v14, v78, 8, v34
	v_lshlrev_b32_e32 v25, 1, v14
	v_add_u32_e32 v12, 0x4000, v25
	ds_read2_b64 v[2:5], v12 offset1:16
	v_or_b32_e32 v7, 0x60, v7
	v_xor_b32_e32 v7, v7, v8
	v_or_b32_e32 v6, v7, v6
	v_xor_b32_e32 v28, v13, v9
	v_xor_b32_e32 v29, v6, v9
	ds_read_b64 v[20:21], v27 offset:49152
	ds_read_b64 v[36:37], v28 offset:49152
	;; [unrolled: 1-line block ×3, first 2 shown]
	s_waitcnt lgkmcnt(3)
	v_mfma_f32_16x16x16_bf16 a[0:3], v[10:11], v[2:3], 0
	ds_read2st64_b64 v[6:9], v25 offset0:36 offset1:40
	s_lshl_b64 s[0:1], s[24:25], 8
	s_add_u32 s4, s4, s0
	v_mfma_f32_16x16x16_bf16 a[4:7], v[10:11], v[4:5], 0
	ds_read2_b64 v[2:5], v12 offset0:32 offset1:48
	s_addc_u32 s5, s5, s1
	s_add_i32 s1, s44, s33
	s_waitcnt lgkmcnt(0)
	v_mfma_f32_16x16x16_bf16 a[8:11], v[10:11], v[2:3], 0
	v_or_b32_e32 v2, 64, v14
	v_lshlrev_b32_e32 v30, 1, v2
	s_add_i32 s0, s12, -1
	v_mfma_f32_16x16x16_bf16 a[12:15], v[10:11], v[4:5], 0
	ds_read2st64_b64 v[2:5], v30 offset0:36 offset1:40
	s_add_i32 s37, s1, s39
	s_add_i32 s1, s46, s45
	v_mfma_f32_16x16x16_bf16 a[0:3], v[20:21], v[6:7], a[0:3]
	v_or_b32_e32 v6, 0x80, v14
	v_lshlrev_b32_e32 v31, 1, v6
	ds_read2st64_b64 v[10:13], v31 offset0:36 offset1:40
	s_waitcnt lgkmcnt(1)
	v_mfma_f32_16x16x16_bf16 a[4:7], v[20:21], v[2:3], a[4:7]
	v_or_b32_e32 v2, 0xc0, v14
	v_lshlrev_b32_e32 v32, 1, v2
	ds_read2st64_b64 v[14:17], v32 offset0:36 offset1:40
	s_add_i32 s35, s1, s47
	s_ashr_i32 s1, s0, 31
	s_mul_i32 s2, s0, s31
	s_mul_hi_u32 s3, s0, s30
	s_add_i32 s2, s3, s2
	s_mul_i32 s1, s1, s30
	s_waitcnt lgkmcnt(1)
	v_mfma_f32_16x16x16_bf16 a[8:11], v[20:21], v[10:11], a[8:11]
	s_add_i32 s1, s2, s1
	s_lshl_b64 s[2:3], s[36:37], 2
	s_add_u32 s10, s10, s2
	s_waitcnt lgkmcnt(0)
	v_mfma_f32_16x16x16_bf16 a[12:15], v[20:21], v[14:15], a[12:15]
	s_addc_u32 s11, s11, s3
	s_lshl_b64 s[2:3], s[34:35], 2
	s_mul_i32 s0, s0, s30
	v_mfma_f32_16x16x16_bf16 a[0:3], v[36:37], v[8:9], a[0:3]
	ds_read_b64 v[2:3], v25 offset:22528
	s_add_u32 s10, s10, s2
	s_addc_u32 s11, s11, s3
	v_mfma_f32_16x16x16_bf16 a[4:7], v[36:37], v[4:5], a[4:7]
	ds_read_b64 v[4:5], v30 offset:22528
	ds_read_b64 v[6:7], v31 offset:22528
	;; [unrolled: 1-line block ×3, first 2 shown]
	s_lshl_b64 s[0:1], s[0:1], 2
	s_add_u32 s0, s10, s0
	v_mfma_f32_16x16x16_bf16 a[8:11], v[36:37], v[12:13], a[8:11]
	s_addc_u32 s1, s11, s1
	s_load_dword s12, s[0:1], 0x0
	s_and_b64 vcc, exec, s[22:23]
	v_mfma_f32_16x16x16_bf16 a[12:15], v[36:37], v[16:17], a[12:15]
	s_waitcnt lgkmcnt(0)
	v_mfma_f32_16x16x16_bf16 a[0:3], v[38:39], v[2:3], a[0:3]
	v_mfma_f32_16x16x16_bf16 a[4:7], v[38:39], v[4:5], a[4:7]
	;; [unrolled: 1-line block ×4, first 2 shown]
	s_cbranch_vccz .LBB171_42
; %bb.32:
	v_lshlrev_b32_e32 v20, 1, v24
	s_and_b64 vcc, exec, s[6:7]
	s_cbranch_vccz .LBB171_43
; %bb.33:
	v_cmp_gt_i32_e32 vcc, s27, v20
	v_mov_b32_e32 v6, 0
	v_mov_b32_e32 v2, 0
	;; [unrolled: 1-line block ×5, first 2 shown]
	s_and_saveexec_b64 s[0:1], vcc
	s_cbranch_execz .LBB171_35
; %bb.34:
	v_mad_i64_i32 v[2:3], s[2:3], s15, v20, 0
	v_lshl_add_u64 v[2:3], v[2:3], 1, s[4:5]
	v_lshlrev_b32_e32 v4, 1, v18
	v_mov_b32_e32 v5, 0
	v_lshl_add_u64 v[2:3], v[2:3], 0, v[4:5]
	global_load_dwordx4 v[2:5], v[2:3], off
.LBB171_35:
	s_or_b64 exec, exec, s[0:1]
	v_or_b32_e32 v21, 1, v20
	v_cmp_gt_i32_e64 s[0:1], s27, v21
	v_mov_b32_e32 v7, 0
	v_mov_b32_e32 v8, 0
	;; [unrolled: 1-line block ×3, first 2 shown]
	s_and_saveexec_b64 s[2:3], s[0:1]
	s_cbranch_execz .LBB171_37
; %bb.36:
	v_mad_i64_i32 v[6:7], s[16:17], s15, v21, 0
	v_lshl_add_u64 v[6:7], v[6:7], 1, s[4:5]
	v_lshlrev_b32_e32 v8, 1, v18
	v_mov_b32_e32 v9, 0
	v_lshl_add_u64 v[6:7], v[6:7], 0, v[8:9]
	global_load_dwordx4 v[6:9], v[6:7], off
.LBB171_37:
	s_or_b64 exec, exec, s[2:3]
	v_mov_b32_e32 v17, 0
	v_mov_b32_e32 v10, 0
	;; [unrolled: 1-line block ×5, first 2 shown]
	s_and_saveexec_b64 s[2:3], vcc
	s_cbranch_execz .LBB171_39
; %bb.38:
	v_mad_i64_i32 v[10:11], s[16:17], s15, v20, 0
	v_lshl_add_u64 v[10:11], v[10:11], 1, s[4:5]
	v_lshlrev_b32_e32 v12, 1, v18
	v_mov_b32_e32 v13, 0
	v_lshl_add_u64 v[10:11], v[10:11], 0, v[12:13]
	global_load_dwordx4 v[10:13], v[10:11], off offset:128
.LBB171_39:
	s_or_b64 exec, exec, s[2:3]
	v_mov_b32_e32 v16, 0
	v_mov_b32_e32 v15, 0
	;; [unrolled: 1-line block ×3, first 2 shown]
	s_and_saveexec_b64 s[2:3], s[0:1]
	s_cbranch_execz .LBB171_41
; %bb.40:
	v_mad_i64_i32 v[14:15], s[0:1], s15, v21, 0
	v_lshl_add_u64 v[14:15], v[14:15], 1, s[4:5]
	v_lshlrev_b32_e32 v16, 1, v18
	v_mov_b32_e32 v17, 0
	v_lshl_add_u64 v[14:15], v[14:15], 0, v[16:17]
	global_load_dwordx4 v[14:17], v[14:15], off offset:128
.LBB171_41:
	s_or_b64 exec, exec, s[2:3]
	s_branch .LBB171_45
.LBB171_42:
                                        ; implicit-def: $vgpr5
                                        ; implicit-def: $vgpr9
                                        ; implicit-def: $vgpr13
                                        ; implicit-def: $vgpr17
	v_lshrrev_b32_e32 v33, 2, v76
	s_branch .LBB171_46
.LBB171_43:
                                        ; implicit-def: $vgpr5
                                        ; implicit-def: $vgpr9
                                        ; implicit-def: $vgpr13
                                        ; implicit-def: $vgpr17
	s_cbranch_execz .LBB171_45
; %bb.44:
	s_waitcnt vmcnt(0)
	v_mad_u64_u32 v[2:3], s[0:1], v20, s15, v[18:19]
	v_lshlrev_b32_e32 v20, 1, v2
	s_lshl_b32 s2, s15, 7
	s_and_b32 s1, s5, 0xffff
	s_mov_b32 s3, 0x20000
	s_mov_b32 s0, s4
	v_add_lshl_u32 v21, v2, s15, 1
	s_movk_i32 s13, 0x80
	buffer_load_dwordx4 v[2:5], v20, s[0:3], 0 offen
	buffer_load_dwordx4 v[10:13], v20, s[0:3], s13 offen
	;; [unrolled: 1-line block ×4, first 2 shown]
.LBB171_45:
	v_lshrrev_b32_e32 v33, 2, v76
	s_cbranch_execnz .LBB171_58
.LBB171_46:
	s_and_b64 vcc, exec, s[6:7]
	s_cbranch_vccz .LBB171_56
; %bb.47:
	s_waitcnt vmcnt(0)
	v_lshlrev_b32_e32 v7, 1, v24
	v_cmp_gt_i32_e32 vcc, s27, v7
	v_mov_b32_e32 v6, 0
	v_lshlrev_b32_e32 v14, 9, v24
	v_mov_b32_e32 v2, 0
	v_mov_b32_e32 v3, 0
	;; [unrolled: 1-line block ×4, first 2 shown]
	s_and_saveexec_b64 s[0:1], vcc
	s_cbranch_execz .LBB171_49
; %bb.48:
	v_mov_b32_e32 v15, 0
	v_lshl_add_u64 v[2:3], s[4:5], 0, v[14:15]
	v_lshlrev_b32_e32 v4, 1, v18
	v_mov_b32_e32 v5, v15
	v_lshl_add_u64 v[2:3], v[2:3], 0, v[4:5]
	global_load_dwordx4 v[2:5], v[2:3], off
.LBB171_49:
	s_or_b64 exec, exec, s[0:1]
	v_or_b32_e32 v7, 1, v7
	v_cmp_gt_i32_e64 s[0:1], s27, v7
	v_lshlrev_b32_e32 v20, 8, v7
	v_mov_b32_e32 v7, 0
	v_mov_b32_e32 v8, 0
	;; [unrolled: 1-line block ×3, first 2 shown]
	s_and_saveexec_b64 s[2:3], s[0:1]
	s_cbranch_execz .LBB171_51
; %bb.50:
	v_mov_b32_e32 v21, 0
	v_lshl_add_u64 v[6:7], s[4:5], 0, v[20:21]
	v_lshlrev_b32_e32 v8, 1, v18
	v_mov_b32_e32 v9, v21
	v_lshl_add_u64 v[6:7], v[6:7], 0, v[8:9]
	global_load_dwordx4 v[6:9], v[6:7], off
.LBB171_51:
	s_or_b64 exec, exec, s[2:3]
	v_mov_b32_e32 v17, 0
	v_mov_b32_e32 v10, 0
	;; [unrolled: 1-line block ×5, first 2 shown]
	s_and_saveexec_b64 s[2:3], vcc
	s_cbranch_execz .LBB171_53
; %bb.52:
	v_mov_b32_e32 v15, 0
	v_lshl_add_u64 v[10:11], s[4:5], 0, v[14:15]
	v_lshlrev_b32_e32 v14, 1, v18
	v_lshl_add_u64 v[10:11], v[10:11], 0, v[14:15]
	global_load_dwordx4 v[10:13], v[10:11], off offset:128
.LBB171_53:
	s_or_b64 exec, exec, s[2:3]
	v_mov_b32_e32 v16, 0
	v_mov_b32_e32 v15, 0
	;; [unrolled: 1-line block ×3, first 2 shown]
	s_and_saveexec_b64 s[2:3], s[0:1]
	s_cbranch_execz .LBB171_55
; %bb.54:
	v_mov_b32_e32 v21, 0
	v_lshl_add_u64 v[14:15], s[4:5], 0, v[20:21]
	v_lshlrev_b32_e32 v20, 1, v18
	v_lshl_add_u64 v[14:15], v[14:15], 0, v[20:21]
	global_load_dwordx4 v[14:17], v[14:15], off offset:128
.LBB171_55:
	s_or_b64 exec, exec, s[2:3]
	s_branch .LBB171_58
.LBB171_56:
                                        ; implicit-def: $vgpr5
                                        ; implicit-def: $vgpr9
                                        ; implicit-def: $vgpr13
                                        ; implicit-def: $vgpr17
	s_cbranch_execz .LBB171_58
; %bb.57:
	s_waitcnt vmcnt(0)
	v_lshlrev_b32_e32 v2, 1, v18
	v_lshl_or_b32 v18, v24, 9, v2
	s_and_b32 s5, s5, 0xffff
	s_mov_b32 s7, 0x20000
	s_movk_i32 s6, 0x4000
	s_movk_i32 s0, 0x80
	buffer_load_dwordx4 v[2:5], v18, s[4:7], 0 offen
	buffer_load_dwordx4 v[6:9], v18, s[4:7], 0 offen offset:256
	buffer_load_dwordx4 v[10:13], v18, s[4:7], s0 offen
	buffer_load_dwordx4 v[14:17], v18, s[4:7], s0 offen offset:256
.LBB171_58:
	ds_read_b64 v[20:21], v26 offset:57344
	v_add_u32_e32 v18, 0x6000, v25
	ds_read2_b64 v[36:39], v18 offset1:16
	ds_read_b64 v[48:49], v27 offset:57344
	ds_read_b64 v[50:51], v28 offset:57344
	;; [unrolled: 1-line block ×3, first 2 shown]
	ds_read2_b64 v[26:29], v18 offset0:32 offset1:48
	v_and_b32_e32 v18, 6, v0
	v_xor_b32_e32 v24, v24, v18
	v_lshlrev_b32_e32 v24, 2, v24
	v_and_b32_e32 v0, 1, v0
	v_cmp_eq_u32_e32 vcc, 0, v0
	s_waitcnt lgkmcnt(4)
	v_mfma_f32_16x16x16_bf16 a[0:3], v[20:21], v[36:37], a[0:3]
	s_mov_b32 s0, 0x1000504
	s_mov_b32 s1, 0x3020706
	v_mfma_f32_16x16x16_bf16 a[4:7], v[20:21], v[38:39], a[4:7]
	ds_read2st64_b64 v[36:39], v25 offset0:52 offset1:56
	s_waitcnt lgkmcnt(1)
	v_mfma_f32_16x16x16_bf16 a[8:11], v[20:21], v[26:27], a[8:11]
	v_mfma_f32_16x16x16_bf16 a[12:15], v[20:21], v[28:29], a[12:15]
	ds_read2st64_b64 v[26:29], v30 offset0:52 offset1:56
	ds_read2st64_b64 v[40:43], v31 offset0:52 offset1:56
	;; [unrolled: 1-line block ×3, first 2 shown]
	s_waitcnt lgkmcnt(3)
	v_mfma_f32_16x16x16_bf16 a[0:3], v[48:49], v[36:37], a[0:3]
	ds_read_b64 v[20:21], v25 offset:30720
	ds_read_b64 v[36:37], v30 offset:30720
	;; [unrolled: 1-line block ×4, first 2 shown]
	v_xor_b32_e32 v25, 0x440, v24
	v_cndmask_b32_e32 v0, v25, v24, vcc
	s_waitcnt lgkmcnt(6)
	v_mfma_f32_16x16x16_bf16 a[4:7], v[48:49], v[26:27], a[4:7]
	v_lshl_or_b32 v0, v18, 10, v0
	s_waitcnt vmcnt(0)
	v_perm_b32 v18, v2, v6, s0
	v_perm_b32 v24, v10, v14, s0
	s_waitcnt lgkmcnt(5)
	v_mfma_f32_16x16x16_bf16 a[8:11], v[48:49], v[40:41], a[8:11]
	ds_write2st64_b32 v0, v18, v24 offset0:128 offset1:160
	v_xor_b32_e32 v18, 8, v0
	v_perm_b32 v2, v2, v6, s1
	s_waitcnt lgkmcnt(5)
	v_mfma_f32_16x16x16_bf16 a[12:15], v[48:49], v[44:45], a[12:15]
	v_perm_b32 v6, v10, v14, s1
	v_add_u32_e32 v10, 0x80, v18
	ds_write2st64_b32 v10, v2, v6 offset0:128 offset1:160
	v_mfma_f32_16x16x16_bf16 a[0:3], v[50:51], v[38:39], a[0:3]
	v_xor_b32_e32 v2, 16, v0
	v_perm_b32 v6, v3, v7, s0
	v_perm_b32 v10, v11, v15, s0
	v_mfma_f32_16x16x16_bf16 a[4:7], v[50:51], v[28:29], a[4:7]
	ds_write2st64_b32 v2, v6, v10 offset0:129 offset1:161
	v_xor_b32_e32 v2, 24, v0
	v_perm_b32 v3, v3, v7, s1
	v_mfma_f32_16x16x16_bf16 a[16:19], v[50:51], v[42:43], a[8:11]
	v_perm_b32 v6, v11, v15, s1
	v_add_u32_e32 v2, 0x80, v2
	ds_write2st64_b32 v2, v3, v6 offset0:129 offset1:161
	v_mfma_f32_16x16x16_bf16 a[20:23], v[50:51], v[46:47], a[12:15]
	v_xor_b32_e32 v2, 32, v0
	v_perm_b32 v3, v4, v8, s0
	v_perm_b32 v6, v12, v16, s0
	s_waitcnt lgkmcnt(7)
	v_mfma_f32_16x16x16_bf16 a[12:15], v[52:53], v[20:21], a[0:3]
	ds_write2st64_b32 v2, v3, v6 offset0:130 offset1:162
	v_xor_b32_e32 v2, 40, v0
	v_perm_b32 v3, v4, v8, s1
	s_waitcnt lgkmcnt(7)
	v_mfma_f32_16x16x16_bf16 a[8:11], v[52:53], v[36:37], a[4:7]
	v_perm_b32 v4, v12, v16, s1
	v_add_u32_e32 v2, 0x80, v2
	ds_write2st64_b32 v2, v3, v4 offset0:130 offset1:162
	s_waitcnt lgkmcnt(7)
	v_mfma_f32_16x16x16_bf16 a[4:7], v[52:53], v[30:31], a[16:19]
	v_xor_b32_e32 v2, 48, v0
	v_perm_b32 v3, v5, v9, s0
	v_perm_b32 v4, v13, v17, s0
	s_waitcnt lgkmcnt(6)
	v_mfma_f32_16x16x16_bf16 a[0:3], v[52:53], v[54:55], a[20:23]
	v_xor_b32_e32 v0, 56, v0
	v_and_or_b32 v21, v33, 12, v1
	ds_write2st64_b32 v2, v3, v4 offset0:131 offset1:163
	v_perm_b32 v2, v5, v9, s1
	v_perm_b32 v3, v13, v17, s1
	v_add_u32_e32 v0, 0x80, v0
	v_cmp_gt_i32_e32 vcc, s27, v21
	v_mov_b32_e32 v16, 0
	v_mov_b32_e32 v18, 0
	ds_write2st64_b32 v0, v2, v3 offset0:131 offset1:163
	s_and_saveexec_b64 s[0:1], vcc
	s_cbranch_execz .LBB171_60
; %bb.59:
	v_add_u32_e32 v0, s26, v21
	v_ashrrev_i32_e32 v1, 31, v0
	v_mul_lo_u32 v2, v1, s30
	v_mul_lo_u32 v3, v0, s31
	v_mad_u64_u32 v[0:1], s[2:3], v0, s30, 0
	v_add3_u32 v1, v1, v3, v2
	v_lshl_add_u64 v[0:1], v[0:1], 2, s[10:11]
	global_load_dword v0, v[0:1], off
	s_waitcnt vmcnt(0)
	v_sub_f32_e32 v0, s12, v0
	v_exp_f32_e32 v18, v0
.LBB171_60:
	s_or_b64 exec, exec, s[0:1]
	v_or_b32_e32 v10, 1, v21
	v_cmp_gt_i32_e64 s[2:3], s27, v10
	s_and_saveexec_b64 s[0:1], s[2:3]
	s_cbranch_execz .LBB171_62
; %bb.61:
	v_add_u32_e32 v0, s26, v10
	v_ashrrev_i32_e32 v1, 31, v0
	v_mul_lo_u32 v2, v1, s30
	v_mul_lo_u32 v3, v0, s31
	v_mad_u64_u32 v[0:1], s[4:5], v0, s30, 0
	v_add3_u32 v1, v1, v3, v2
	v_lshl_add_u64 v[0:1], v[0:1], 2, s[10:11]
	global_load_dword v0, v[0:1], off
	s_waitcnt vmcnt(0)
	v_sub_f32_e32 v0, s12, v0
	v_exp_f32_e32 v16, v0
.LBB171_62:
	s_or_b64 exec, exec, s[0:1]
	v_or_b32_e32 v12, 2, v21
	v_cmp_gt_i32_e64 s[0:1], s27, v12
	v_mov_b32_e32 v17, 0
	v_mov_b32_e32 v20, 0
	s_and_saveexec_b64 s[4:5], s[0:1]
	s_cbranch_execz .LBB171_64
; %bb.63:
	v_add_u32_e32 v0, s26, v12
	v_ashrrev_i32_e32 v1, 31, v0
	v_mul_lo_u32 v2, v1, s30
	v_mul_lo_u32 v3, v0, s31
	v_mad_u64_u32 v[0:1], s[6:7], v0, s30, 0
	v_add3_u32 v1, v1, v3, v2
	v_lshl_add_u64 v[0:1], v[0:1], 2, s[10:11]
	global_load_dword v0, v[0:1], off
	s_waitcnt vmcnt(0)
	v_sub_f32_e32 v0, s12, v0
	v_exp_f32_e32 v20, v0
.LBB171_64:
	s_or_b64 exec, exec, s[4:5]
	v_or_b32_e32 v14, 3, v21
	v_cmp_gt_i32_e64 s[4:5], s27, v14
	s_and_saveexec_b64 s[6:7], s[4:5]
	s_cbranch_execz .LBB171_66
; %bb.65:
	v_add_u32_e32 v0, s26, v14
	v_ashrrev_i32_e32 v1, 31, v0
	v_mul_lo_u32 v2, v1, s30
	v_mul_lo_u32 v3, v0, s31
	v_mad_u64_u32 v[0:1], s[14:15], v0, s30, 0
	v_add3_u32 v1, v1, v3, v2
	v_lshl_add_u64 v[0:1], v[0:1], 2, s[10:11]
	global_load_dword v0, v[0:1], off
	s_waitcnt vmcnt(0)
	v_sub_f32_e32 v0, s12, v0
	v_exp_f32_e32 v17, v0
.LBB171_66:
	s_or_b64 exec, exec, s[6:7]
	s_add_u32 s6, s8, s20
	s_addc_u32 s7, s9, s21
	s_add_u32 s8, s28, s20
	v_ashrrev_i32_e32 v67, 31, v66
	v_accvgpr_read_b32 v0, a12
	s_addc_u32 s9, s29, s21
	v_lshlrev_b64 v[4:5], 1, v[66:67]
	v_accvgpr_read_b32 v1, a13
	v_accvgpr_read_b32 v2, a14
	;; [unrolled: 1-line block ×3, first 2 shown]
	v_lshl_add_u64 v[6:7], s[6:7], 0, v[4:5]
	v_lshl_add_u64 v[4:5], s[8:9], 0, v[4:5]
	v_mov_b32_e32 v11, 0
	v_lshlrev_b32_e32 v8, 8, v21
	v_mov_b32_e32 v9, 0
	s_and_saveexec_b64 s[6:7], vcc
	s_cbranch_execz .LBB171_68
; %bb.67:
	v_mov_b32_e32 v9, 0
	v_lshl_add_u64 v[24:25], v[6:7], 0, v[8:9]
	global_load_ushort v13, v[24:25], off
	v_lshl_add_u64 v[24:25], v[4:5], 0, v[8:9]
	s_waitcnt vmcnt(0)
	v_lshlrev_b32_e32 v9, 16, v13
	v_sub_f32_e32 v0, v9, v0
	global_store_short_d16_hi v[24:25], v0, off
	v_mul_f32_e32 v0, v18, v0
	v_lshrrev_b32_e32 v9, 16, v0
.LBB171_68:
	s_or_b64 exec, exec, s[6:7]
	v_lshlrev_b32_e32 v10, 8, v10
	s_and_saveexec_b64 s[6:7], s[2:3]
	s_cbranch_execz .LBB171_70
; %bb.69:
	v_mov_b32_e32 v11, 0
	v_lshl_add_u64 v[24:25], v[6:7], 0, v[10:11]
	global_load_ushort v0, v[24:25], off
	v_lshl_add_u64 v[24:25], v[4:5], 0, v[10:11]
	s_waitcnt vmcnt(0)
	v_lshlrev_b32_e32 v0, 16, v0
	v_sub_f32_e32 v0, v0, v1
	global_store_short_d16_hi v[24:25], v0, off
	v_mul_f32_e32 v0, v16, v0
	v_lshrrev_b32_e32 v11, 16, v0
.LBB171_70:
	s_or_b64 exec, exec, s[6:7]
	v_mov_b32_e32 v15, 0
	v_lshlrev_b32_e32 v12, 8, v12
	v_mov_b32_e32 v13, 0
	s_and_saveexec_b64 s[6:7], s[0:1]
	s_cbranch_execz .LBB171_72
; %bb.71:
	v_mov_b32_e32 v13, 0
	v_lshl_add_u64 v[0:1], v[6:7], 0, v[12:13]
	global_load_ushort v24, v[0:1], off
	v_lshl_add_u64 v[0:1], v[4:5], 0, v[12:13]
	s_waitcnt vmcnt(0)
	v_lshlrev_b32_e32 v13, 16, v24
	v_sub_f32_e32 v2, v13, v2
	global_store_short_d16_hi v[0:1], v2, off
	v_mul_f32_e32 v0, v20, v2
	v_lshrrev_b32_e32 v13, 16, v0
.LBB171_72:
	s_or_b64 exec, exec, s[6:7]
	v_lshlrev_b32_e32 v14, 8, v14
	s_and_saveexec_b64 s[6:7], s[4:5]
	s_cbranch_execz .LBB171_74
; %bb.73:
	v_mov_b32_e32 v15, 0
	v_lshl_add_u64 v[0:1], v[6:7], 0, v[14:15]
	global_load_ushort v2, v[0:1], off
	v_lshl_add_u64 v[0:1], v[4:5], 0, v[14:15]
	s_waitcnt vmcnt(0)
	v_lshlrev_b32_e32 v2, 16, v2
	v_sub_f32_e32 v2, v2, v3
	global_store_short_d16_hi v[0:1], v2, off
	v_mul_f32_e32 v0, v17, v2
	v_lshrrev_b32_e32 v15, 16, v0
.LBB171_74:
	s_or_b64 exec, exec, s[6:7]
	v_lshlrev_b32_e32 v21, 6, v21
	s_mov_b32 s6, 0x5040100
	v_perm_b32 v24, v11, v9, s6
	v_or_b32_e32 v9, v21, v34
	v_accvgpr_read_b32 v0, a8
	v_perm_b32 v25, v15, v13, s6
	v_lshlrev_b32_e32 v9, 1, v9
	v_accvgpr_read_b32 v1, a9
	v_accvgpr_read_b32 v2, a10
	;; [unrolled: 1-line block ×3, first 2 shown]
	ds_write_b64 v9, v[24:25] offset:24576
	v_mov_b32_e32 v11, 0
	v_mov_b32_e32 v9, 0
	s_and_saveexec_b64 s[6:7], vcc
	s_cbranch_execz .LBB171_76
; %bb.75:
	v_mov_b32_e32 v9, 0
	v_lshl_add_u64 v[24:25], v[6:7], 0, v[8:9]
	global_load_ushort v13, v[24:25], off offset:32
	v_lshl_add_u64 v[24:25], v[4:5], 0, v[8:9]
	s_waitcnt vmcnt(0)
	v_lshlrev_b32_e32 v9, 16, v13
	v_sub_f32_e32 v0, v9, v0
	global_store_short_d16_hi v[24:25], v0, off offset:32
	v_mul_f32_e32 v0, v18, v0
	v_lshrrev_b32_e32 v9, 16, v0
.LBB171_76:
	s_or_b64 exec, exec, s[6:7]
	s_and_saveexec_b64 s[6:7], s[2:3]
	s_cbranch_execz .LBB171_78
; %bb.77:
	v_mov_b32_e32 v11, 0
	v_lshl_add_u64 v[24:25], v[6:7], 0, v[10:11]
	global_load_ushort v0, v[24:25], off offset:32
	v_lshl_add_u64 v[24:25], v[4:5], 0, v[10:11]
	s_waitcnt vmcnt(0)
	v_lshlrev_b32_e32 v0, 16, v0
	v_sub_f32_e32 v0, v0, v1
	global_store_short_d16_hi v[24:25], v0, off offset:32
	v_mul_f32_e32 v0, v16, v0
	v_lshrrev_b32_e32 v11, 16, v0
.LBB171_78:
	s_or_b64 exec, exec, s[6:7]
	v_mov_b32_e32 v15, 0
	v_mov_b32_e32 v13, 0
	s_and_saveexec_b64 s[6:7], s[0:1]
	s_cbranch_execz .LBB171_80
; %bb.79:
	v_mov_b32_e32 v13, 0
	v_lshl_add_u64 v[0:1], v[6:7], 0, v[12:13]
	global_load_ushort v24, v[0:1], off offset:32
	v_lshl_add_u64 v[0:1], v[4:5], 0, v[12:13]
	s_waitcnt vmcnt(0)
	v_lshlrev_b32_e32 v13, 16, v24
	v_sub_f32_e32 v2, v13, v2
	global_store_short_d16_hi v[0:1], v2, off offset:32
	v_mul_f32_e32 v0, v20, v2
	v_lshrrev_b32_e32 v13, 16, v0
.LBB171_80:
	s_or_b64 exec, exec, s[6:7]
	s_and_saveexec_b64 s[6:7], s[4:5]
	s_cbranch_execz .LBB171_82
; %bb.81:
	v_mov_b32_e32 v15, 0
	v_lshl_add_u64 v[0:1], v[6:7], 0, v[14:15]
	global_load_ushort v2, v[0:1], off offset:32
	v_lshl_add_u64 v[0:1], v[4:5], 0, v[14:15]
	s_waitcnt vmcnt(0)
	v_lshlrev_b32_e32 v2, 16, v2
	v_sub_f32_e32 v2, v2, v3
	global_store_short_d16_hi v[0:1], v2, off offset:32
	v_mul_f32_e32 v0, v17, v2
	v_lshrrev_b32_e32 v15, 16, v0
.LBB171_82:
	s_or_b64 exec, exec, s[6:7]
	s_mov_b32 s6, 0x5040100
	v_perm_b32 v24, v11, v9, s6
	v_or_b32_e32 v9, v21, v23
	v_accvgpr_read_b32 v0, a4
	v_perm_b32 v25, v15, v13, s6
	v_lshlrev_b32_e32 v9, 1, v9
	v_accvgpr_read_b32 v1, a5
	v_accvgpr_read_b32 v2, a6
	;; [unrolled: 1-line block ×3, first 2 shown]
	ds_write_b64 v9, v[24:25] offset:24576
	v_mov_b32_e32 v11, 0
	v_mov_b32_e32 v9, 0
	s_and_saveexec_b64 s[6:7], vcc
	s_cbranch_execz .LBB171_84
; %bb.83:
	v_mov_b32_e32 v9, 0
	v_lshl_add_u64 v[24:25], v[6:7], 0, v[8:9]
	global_load_ushort v13, v[24:25], off offset:64
	v_lshl_add_u64 v[24:25], v[4:5], 0, v[8:9]
	s_waitcnt vmcnt(0)
	v_lshlrev_b32_e32 v9, 16, v13
	v_sub_f32_e32 v0, v9, v0
	global_store_short_d16_hi v[24:25], v0, off offset:64
	v_mul_f32_e32 v0, v18, v0
	v_lshrrev_b32_e32 v9, 16, v0
.LBB171_84:
	s_or_b64 exec, exec, s[6:7]
	s_and_saveexec_b64 s[6:7], s[2:3]
	s_cbranch_execz .LBB171_86
; %bb.85:
	v_mov_b32_e32 v11, 0
	v_lshl_add_u64 v[24:25], v[6:7], 0, v[10:11]
	global_load_ushort v0, v[24:25], off offset:64
	v_lshl_add_u64 v[24:25], v[4:5], 0, v[10:11]
	s_waitcnt vmcnt(0)
	v_lshlrev_b32_e32 v0, 16, v0
	v_sub_f32_e32 v0, v0, v1
	global_store_short_d16_hi v[24:25], v0, off offset:64
	v_mul_f32_e32 v0, v16, v0
	v_lshrrev_b32_e32 v11, 16, v0
.LBB171_86:
	s_or_b64 exec, exec, s[6:7]
	v_mov_b32_e32 v15, 0
	v_mov_b32_e32 v13, 0
	s_and_saveexec_b64 s[6:7], s[0:1]
	s_cbranch_execz .LBB171_88
; %bb.87:
	v_mov_b32_e32 v13, 0
	v_lshl_add_u64 v[0:1], v[6:7], 0, v[12:13]
	global_load_ushort v23, v[0:1], off offset:64
	v_lshl_add_u64 v[0:1], v[4:5], 0, v[12:13]
	s_waitcnt vmcnt(0)
	v_lshlrev_b32_e32 v13, 16, v23
	v_sub_f32_e32 v2, v13, v2
	global_store_short_d16_hi v[0:1], v2, off offset:64
	v_mul_f32_e32 v0, v20, v2
	v_lshrrev_b32_e32 v13, 16, v0
.LBB171_88:
	s_or_b64 exec, exec, s[6:7]
	s_and_saveexec_b64 s[6:7], s[4:5]
	s_cbranch_execz .LBB171_90
; %bb.89:
	v_mov_b32_e32 v15, 0
	v_lshl_add_u64 v[0:1], v[6:7], 0, v[14:15]
	global_load_ushort v2, v[0:1], off offset:64
	v_lshl_add_u64 v[0:1], v[4:5], 0, v[14:15]
	s_waitcnt vmcnt(0)
	v_lshlrev_b32_e32 v2, 16, v2
	v_sub_f32_e32 v2, v2, v3
	global_store_short_d16_hi v[0:1], v2, off offset:64
	v_mul_f32_e32 v0, v17, v2
	v_lshrrev_b32_e32 v15, 16, v0
.LBB171_90:
	s_or_b64 exec, exec, s[6:7]
	s_mov_b32 s6, 0x5040100
	v_perm_b32 v24, v11, v9, s6
	v_or_b32_e32 v9, v21, v22
	v_accvgpr_read_b32 v0, a0
	v_perm_b32 v25, v15, v13, s6
	v_lshlrev_b32_e32 v9, 1, v9
	v_accvgpr_read_b32 v1, a1
	v_accvgpr_read_b32 v2, a2
	;; [unrolled: 1-line block ×3, first 2 shown]
	ds_write_b64 v9, v[24:25] offset:24576
	v_mov_b32_e32 v11, 0
	v_mov_b32_e32 v9, 0
	s_and_saveexec_b64 s[6:7], vcc
	s_cbranch_execz .LBB171_92
; %bb.91:
	v_mov_b32_e32 v9, 0
	v_lshl_add_u64 v[22:23], v[6:7], 0, v[8:9]
	global_load_ushort v13, v[22:23], off offset:96
	v_lshl_add_u64 v[8:9], v[4:5], 0, v[8:9]
	s_waitcnt vmcnt(0)
	v_lshlrev_b32_e32 v13, 16, v13
	v_sub_f32_e32 v0, v13, v0
	global_store_short_d16_hi v[8:9], v0, off offset:96
	v_mul_f32_e32 v0, v18, v0
	v_lshrrev_b32_e32 v9, 16, v0
.LBB171_92:
	s_or_b64 exec, exec, s[6:7]
	s_and_saveexec_b64 s[6:7], s[2:3]
	s_cbranch_execz .LBB171_94
; %bb.93:
	v_mov_b32_e32 v11, 0
	v_lshl_add_u64 v[22:23], v[6:7], 0, v[10:11]
	global_load_ushort v0, v[22:23], off offset:96
	v_lshl_add_u64 v[10:11], v[4:5], 0, v[10:11]
	s_waitcnt vmcnt(0)
	v_lshlrev_b32_e32 v0, 16, v0
	v_sub_f32_e32 v0, v0, v1
	global_store_short_d16_hi v[10:11], v0, off offset:96
	v_mul_f32_e32 v0, v16, v0
	v_lshrrev_b32_e32 v11, 16, v0
.LBB171_94:
	s_or_b64 exec, exec, s[6:7]
	v_mov_b32_e32 v0, 0
	v_mov_b32_e32 v1, 0
	s_and_saveexec_b64 s[2:3], s[0:1]
	s_cbranch_execz .LBB171_96
; %bb.95:
	v_mov_b32_e32 v13, 0
	v_lshl_add_u64 v[22:23], v[6:7], 0, v[12:13]
	global_load_ushort v1, v[22:23], off offset:96
	v_lshl_add_u64 v[12:13], v[4:5], 0, v[12:13]
	s_waitcnt vmcnt(0)
	v_lshlrev_b32_e32 v1, 16, v1
	v_sub_f32_e32 v1, v1, v2
	global_store_short_d16_hi v[12:13], v1, off offset:96
	v_mul_f32_e32 v1, v20, v1
	v_lshrrev_b32_e32 v1, 16, v1
.LBB171_96:
	s_or_b64 exec, exec, s[2:3]
	s_and_saveexec_b64 s[0:1], s[4:5]
	s_cbranch_execz .LBB171_98
; %bb.97:
	v_mov_b32_e32 v15, 0
	v_lshl_add_u64 v[6:7], v[6:7], 0, v[14:15]
	global_load_ushort v0, v[6:7], off offset:96
	v_lshl_add_u64 v[4:5], v[4:5], 0, v[14:15]
	s_waitcnt vmcnt(0)
	v_lshlrev_b32_e32 v0, 16, v0
	v_sub_f32_e32 v0, v0, v3
	global_store_short_d16_hi v[4:5], v0, off offset:96
	v_mul_f32_e32 v0, v17, v0
	v_lshrrev_b32_e32 v0, 16, v0
.LBB171_98:
	s_or_b64 exec, exec, s[0:1]
	s_mov_b32 s0, 0x5040100
	v_or_b32_e32 v2, v21, v19
	v_perm_b32 v1, v0, v1, s0
	v_perm_b32 v0, v11, v9, s0
	v_lshlrev_b32_e32 v2, 1, v2
	ds_write_b64 v2, v[0:1] offset:24576
	s_waitcnt lgkmcnt(0)
	s_barrier
.LBB171_99:
	s_endpgm
	.section	.rodata,"a",@progbits
	.p2align	6, 0x0
	.amdhsa_kernel _ZN12_GLOBAL__N_139chunk_gated_delta_rule_fwd_h_hip_kernelILi64ELb1ELb0ELb1ELb0ELb1ELb0ELb1ELb0EEEvPK12hip_bfloat16S3_S3_PKfS5_PKvPS1_S8_PvPKiSB_iiiiilll
		.amdhsa_group_segment_fixed_size 65536
		.amdhsa_private_segment_fixed_size 0
		.amdhsa_kernarg_size 136
		.amdhsa_user_sgpr_count 2
		.amdhsa_user_sgpr_dispatch_ptr 0
		.amdhsa_user_sgpr_queue_ptr 0
		.amdhsa_user_sgpr_kernarg_segment_ptr 1
		.amdhsa_user_sgpr_dispatch_id 0
		.amdhsa_user_sgpr_kernarg_preload_length 0
		.amdhsa_user_sgpr_kernarg_preload_offset 0
		.amdhsa_user_sgpr_private_segment_size 0
		.amdhsa_uses_dynamic_stack 0
		.amdhsa_enable_private_segment 0
		.amdhsa_system_sgpr_workgroup_id_x 1
		.amdhsa_system_sgpr_workgroup_id_y 1
		.amdhsa_system_sgpr_workgroup_id_z 0
		.amdhsa_system_sgpr_workgroup_info 0
		.amdhsa_system_vgpr_workitem_id 0
		.amdhsa_next_free_vgpr 216
		.amdhsa_next_free_sgpr 68
		.amdhsa_accum_offset 180
		.amdhsa_reserve_vcc 1
		.amdhsa_float_round_mode_32 0
		.amdhsa_float_round_mode_16_64 0
		.amdhsa_float_denorm_mode_32 3
		.amdhsa_float_denorm_mode_16_64 3
		.amdhsa_dx10_clamp 1
		.amdhsa_ieee_mode 1
		.amdhsa_fp16_overflow 0
		.amdhsa_tg_split 0
		.amdhsa_exception_fp_ieee_invalid_op 0
		.amdhsa_exception_fp_denorm_src 0
		.amdhsa_exception_fp_ieee_div_zero 0
		.amdhsa_exception_fp_ieee_overflow 0
		.amdhsa_exception_fp_ieee_underflow 0
		.amdhsa_exception_fp_ieee_inexact 0
		.amdhsa_exception_int_div_zero 0
	.end_amdhsa_kernel
	.section	.text._ZN12_GLOBAL__N_139chunk_gated_delta_rule_fwd_h_hip_kernelILi64ELb1ELb0ELb1ELb0ELb1ELb0ELb1ELb0EEEvPK12hip_bfloat16S3_S3_PKfS5_PKvPS1_S8_PvPKiSB_iiiiilll,"axG",@progbits,_ZN12_GLOBAL__N_139chunk_gated_delta_rule_fwd_h_hip_kernelILi64ELb1ELb0ELb1ELb0ELb1ELb0ELb1ELb0EEEvPK12hip_bfloat16S3_S3_PKfS5_PKvPS1_S8_PvPKiSB_iiiiilll,comdat
.Lfunc_end171:
	.size	_ZN12_GLOBAL__N_139chunk_gated_delta_rule_fwd_h_hip_kernelILi64ELb1ELb0ELb1ELb0ELb1ELb0ELb1ELb0EEEvPK12hip_bfloat16S3_S3_PKfS5_PKvPS1_S8_PvPKiSB_iiiiilll, .Lfunc_end171-_ZN12_GLOBAL__N_139chunk_gated_delta_rule_fwd_h_hip_kernelILi64ELb1ELb0ELb1ELb0ELb1ELb0ELb1ELb0EEEvPK12hip_bfloat16S3_S3_PKfS5_PKvPS1_S8_PvPKiSB_iiiiilll
                                        ; -- End function
	.section	.AMDGPU.csdata,"",@progbits
; Kernel info:
; codeLenInByte = 11180
; NumSgprs: 74
; NumVgprs: 180
; NumAgprs: 36
; TotalNumVgprs: 216
; ScratchSize: 0
; MemoryBound: 0
; FloatMode: 240
; IeeeMode: 1
; LDSByteSize: 65536 bytes/workgroup (compile time only)
; SGPRBlocks: 9
; VGPRBlocks: 26
; NumSGPRsForWavesPerEU: 74
; NumVGPRsForWavesPerEU: 216
; AccumOffset: 180
; Occupancy: 1
; WaveLimiterHint : 1
; COMPUTE_PGM_RSRC2:SCRATCH_EN: 0
; COMPUTE_PGM_RSRC2:USER_SGPR: 2
; COMPUTE_PGM_RSRC2:TRAP_HANDLER: 0
; COMPUTE_PGM_RSRC2:TGID_X_EN: 1
; COMPUTE_PGM_RSRC2:TGID_Y_EN: 1
; COMPUTE_PGM_RSRC2:TGID_Z_EN: 0
; COMPUTE_PGM_RSRC2:TIDIG_COMP_CNT: 0
; COMPUTE_PGM_RSRC3_GFX90A:ACCUM_OFFSET: 44
; COMPUTE_PGM_RSRC3_GFX90A:TG_SPLIT: 0
	.section	.text._ZN12_GLOBAL__N_139chunk_gated_delta_rule_fwd_h_hip_kernelILi64ELb1ELb0ELb0ELb0ELb1ELb0ELb1ELb0EEEvPK12hip_bfloat16S3_S3_PKfS5_PKvPS1_S8_PvPKiSB_iiiiilll,"axG",@progbits,_ZN12_GLOBAL__N_139chunk_gated_delta_rule_fwd_h_hip_kernelILi64ELb1ELb0ELb0ELb0ELb1ELb0ELb1ELb0EEEvPK12hip_bfloat16S3_S3_PKfS5_PKvPS1_S8_PvPKiSB_iiiiilll,comdat
	.globl	_ZN12_GLOBAL__N_139chunk_gated_delta_rule_fwd_h_hip_kernelILi64ELb1ELb0ELb0ELb0ELb1ELb0ELb1ELb0EEEvPK12hip_bfloat16S3_S3_PKfS5_PKvPS1_S8_PvPKiSB_iiiiilll ; -- Begin function _ZN12_GLOBAL__N_139chunk_gated_delta_rule_fwd_h_hip_kernelILi64ELb1ELb0ELb0ELb0ELb1ELb0ELb1ELb0EEEvPK12hip_bfloat16S3_S3_PKfS5_PKvPS1_S8_PvPKiSB_iiiiilll
	.p2align	8
	.type	_ZN12_GLOBAL__N_139chunk_gated_delta_rule_fwd_h_hip_kernelILi64ELb1ELb0ELb0ELb0ELb1ELb0ELb1ELb0EEEvPK12hip_bfloat16S3_S3_PKfS5_PKvPS1_S8_PvPKiSB_iiiiilll,@function
_ZN12_GLOBAL__N_139chunk_gated_delta_rule_fwd_h_hip_kernelILi64ELb1ELb0ELb0ELb0ELb1ELb0ELb1ELb0EEEvPK12hip_bfloat16S3_S3_PKfS5_PKvPS1_S8_PvPKiSB_iiiiilll: ; @_ZN12_GLOBAL__N_139chunk_gated_delta_rule_fwd_h_hip_kernelILi64ELb1ELb0ELb0ELb0ELb1ELb0ELb1ELb0EEEvPK12hip_bfloat16S3_S3_PKfS5_PKvPS1_S8_PvPKiSB_iiiiilll
; %bb.0:
	s_load_dwordx4 s[12:15], s[0:1], 0x5c
	s_load_dwordx4 s[16:19], s[0:1], 0x28
	s_abs_i32 s6, s3
	s_ashr_i32 s5, s3, 31
	v_and_b32_e32 v77, 15, v0
	s_waitcnt lgkmcnt(0)
	s_abs_i32 s4, s13
	v_cvt_f32_u32_e32 v1, s4
	s_sub_i32 s8, 0, s4
	s_ashr_i32 s7, s13, 31
	s_xor_b32 s5, s5, s7
	v_rcp_iflag_f32_e32 v1, v1
	v_lshrrev_b32_e32 v75, 6, v0
	v_bfe_u32 v76, v0, 4, 2
	v_mov_b32_e32 v11, 0
	v_mul_f32_e32 v1, 0x4f7ffffe, v1
	v_cvt_u32_f32_e32 v1, v1
	v_and_b32_e32 v74, 63, v0
	v_lshrrev_b32_e32 v79, 3, v74
	v_lshlrev_b32_e32 v78, 3, v0
	v_readfirstlane_b32 s9, v1
	s_mul_i32 s8, s8, s9
	s_mul_hi_u32 s8, s9, s8
	s_add_i32 s9, s9, s8
	s_mul_hi_u32 s8, s6, s9
	s_mul_i32 s9, s8, s4
	s_sub_i32 s6, s6, s9
	s_add_i32 s10, s8, 1
	s_sub_i32 s9, s6, s4
	s_cmp_ge_u32 s6, s4
	s_cselect_b32 s8, s10, s8
	s_cselect_b32 s6, s9, s6
	s_add_i32 s9, s8, 1
	s_cmp_ge_u32 s6, s4
	s_cselect_b32 s6, s9, s8
	s_xor_b32 s6, s6, s5
	s_sub_i32 s49, s6, s5
	s_mul_i32 s6, s49, s13
	s_sub_i32 s46, s3, s6
	s_abs_i32 s3, s14
	v_cvt_f32_u32_e32 v1, s3
	s_add_i32 s8, s12, 63
	s_ashr_i32 s9, s8, 31
	s_lshr_b32 s5, s9, 26
	v_rcp_iflag_f32_e32 v1, v1
	s_ashr_i32 s48, s12, 31
	s_add_i32 s8, s8, s5
	s_lshr_b32 s5, s48, 26
	v_mul_f32_e32 v1, 0x4f7ffffe, v1
	v_cvt_u32_f32_e32 v1, v1
	s_add_i32 s5, s12, s5
	s_ashr_i32 s51, s14, 31
	s_ashr_i32 s24, s8, 6
	;; [unrolled: 1-line block ×3, first 2 shown]
	s_xor_b32 s5, s7, s51
	s_sub_i32 s7, 0, s3
	v_readfirstlane_b32 s8, v1
	s_mul_i32 s7, s7, s8
	s_mul_hi_u32 s7, s8, s7
	s_add_i32 s8, s8, s7
	s_mul_hi_u32 s7, s4, s8
	s_mul_i32 s8, s7, s3
	s_sub_i32 s4, s4, s8
	s_lshl_b32 s2, s2, 6
	s_add_i32 s8, s7, 1
	s_sub_i32 s9, s4, s3
	s_cmp_ge_u32 s4, s3
	s_cselect_b32 s7, s8, s7
	s_cselect_b32 s4, s9, s4
	s_add_i32 s8, s7, 1
	s_cmp_ge_u32 s4, s3
	s_cselect_b32 s3, s8, s7
	s_xor_b32 s3, s3, s5
	s_sub_i32 s3, s3, s5
	s_abs_i32 s4, s3
	v_cvt_f32_u32_e32 v1, s4
	s_sub_i32 s7, 0, s4
	s_abs_i32 s5, s46
	s_xor_b32 s3, s46, s3
	v_rcp_iflag_f32_e32 v1, v1
	s_ashr_i32 s3, s3, 31
	v_or_b32_e32 v66, s2, v77
	v_lshlrev_b32_e32 v2, 7, v66
	v_mul_f32_e32 v1, 0x4f7ffffe, v1
	v_cvt_u32_f32_e32 v1, v1
	v_ashrrev_i32_e32 v3, 31, v2
	s_mul_i32 s53, s49, s24
	v_readfirstlane_b32 s8, v1
	s_mul_i32 s7, s7, s8
	s_mul_hi_u32 s7, s8, s7
	s_add_i32 s8, s8, s7
	s_mul_hi_u32 s7, s5, s8
	s_mul_i32 s8, s7, s4
	s_sub_i32 s5, s5, s8
	s_add_i32 s8, s7, 1
	s_sub_i32 s9, s5, s4
	s_cmp_ge_u32 s5, s4
	s_cselect_b32 s7, s8, s7
	s_cselect_b32 s5, s9, s5
	s_add_i32 s8, s7, 1
	s_cmp_ge_u32 s5, s4
	s_cselect_b32 s4, s8, s7
	s_xor_b32 s4, s4, s3
	s_sub_i32 s52, s4, s3
	s_ashr_i32 s3, s49, 31
	s_ashr_i32 s47, s46, 31
	s_mul_hi_i32 s4, s49, s13
	s_add_u32 s36, s6, s46
	s_addc_u32 s37, s4, s47
	s_lshl_b64 s[4:5], s[36:37], 16
	v_lshlrev_b32_e32 v1, 4, v75
	s_add_u32 s4, s16, s4
	v_lshl_or_b32 v80, v76, 2, v1
	s_addc_u32 s5, s17, s5
	v_lshl_add_u64 v[4:5], v[2:3], 2, s[4:5]
	v_lshlrev_b32_e32 v10, 2, v80
	v_lshl_add_u64 v[4:5], v[4:5], 0, v[10:11]
	global_load_dwordx4 v[22:25], v[4:5], off
	global_load_dwordx4 v[30:33], v[4:5], off offset:256
	v_or_b32_e32 v4, 0x800, v2
	v_ashrrev_i32_e32 v5, 31, v4
	v_lshl_add_u64 v[4:5], v[4:5], 2, s[4:5]
	v_lshl_add_u64 v[4:5], v[4:5], 0, v[10:11]
	global_load_dwordx4 v[14:17], v[4:5], off
	global_load_dwordx4 v[26:29], v[4:5], off offset:256
	v_or_b32_e32 v4, 0x1000, v2
	v_or_b32_e32 v2, 0x1800, v2
	v_ashrrev_i32_e32 v5, 31, v4
	v_ashrrev_i32_e32 v3, 31, v2
	v_lshl_add_u64 v[4:5], v[4:5], 2, s[4:5]
	v_lshl_add_u64 v[2:3], v[2:3], 2, s[4:5]
	v_lshl_add_u64 v[4:5], v[4:5], 0, v[10:11]
	v_lshl_add_u64 v[34:35], v[2:3], 0, v[10:11]
	global_load_dwordx4 v[6:9], v[4:5], off
	global_load_dwordx4 v[18:21], v[4:5], off offset:256
	s_nop 0
	global_load_dwordx4 v[2:5], v[34:35], off
	global_load_dwordx4 v[10:13], v[34:35], off offset:256
	s_load_dwordx8 s[4:11], s[0:1], 0x0
	s_load_dwordx2 s[28:29], s[0:1], 0x80
	s_load_dwordx4 s[20:23], s[0:1], 0x70
	v_or_b32_e32 v81, 64, v80
	s_cmp_lt_i32 s12, 64
	s_mul_i32 s54, s37, s12
	s_mul_hi_u32 s55, s36, s12
	s_mul_i32 s16, s36, s12
	s_waitcnt lgkmcnt(0)
	s_mul_i32 s33, s49, s21
	s_mul_hi_u32 s42, s49, s20
	s_mul_i32 s37, s3, s20
	s_mul_i32 s34, s49, s20
	;; [unrolled: 1-line block ×3, first 2 shown]
	s_mul_hi_u32 s44, s46, s22
	s_mul_i32 s45, s47, s22
	s_mul_i32 s30, s46, s22
	s_cbranch_scc1 .LBB172_18
; %bb.1:
	s_add_i32 s17, s55, s54
	s_lshl_b64 s[0:1], s[16:17], 8
	v_and_b32_e32 v83, 56, v78
	s_add_u32 s20, s6, s0
	v_lshl_or_b32 v82, v75, 3, v79
	v_lshlrev_b32_e32 v34, 1, v83
	s_addc_u32 s0, s7, s1
	v_lshl_or_b32 v84, v82, 8, v34
	s_and_b32 s21, s0, 0xffff
	s_mov_b32 s23, 0x20000
	s_movk_i32 s22, 0x4000
	s_movk_i32 s0, 0x80
	v_or_b32_e32 v85, 0x2000, v84
	buffer_load_dwordx4 v[36:39], v84, s[20:23], 0 offen
	buffer_load_dwordx4 v[40:43], v84, s[20:23], s0 offen
	;; [unrolled: 1-line block ×4, first 2 shown]
	v_lshlrev_b32_e32 v35, 3, v82
	v_and_or_b32 v53, v0, 7, v35
	v_and_b32_e32 v35, 0x78, v35
	v_lshlrev_b32_e32 v53, 4, v53
	v_xor_b32_e32 v86, v53, v35
	v_mul_lo_u32 v52, v82, s15
	v_or_b32_e32 v87, 0x1000, v86
	v_xor_b32_e32 v35, 8, v86
	s_cmpk_eq_i32 s15, 0x80
	s_mov_b32 s56, s14
	v_xor_b32_e32 v53, 8, v87
	s_cselect_b64 s[0:1], -1, 0
	s_cmpk_lg_i32 s15, 0x80
	s_waitcnt vmcnt(3)
	ds_write_b64 v86, v[36:37] offset:49152
	ds_write_b64 v35, v[38:39] offset:49152
	s_waitcnt vmcnt(2)
	ds_write_b64 v86, v[40:41] offset:57344
	ds_write_b64 v35, v[42:43] offset:57344
	;; [unrolled: 3-line block ×4, first 2 shown]
	v_lshl_add_u32 v35, v52, 1, v83
	s_cbranch_scc0 .LBB172_3
; %bb.2:
	v_lshlrev_b32_e32 v37, 1, v35
	v_add_lshl_u32 v36, v35, s15, 1
	s_lshl_b32 s22, s15, 7
	v_lshl_or_b32 v34, v82, 9, v34
	s_cbranch_execz .LBB172_4
	s_branch .LBB172_5
.LBB172_3:
                                        ; implicit-def: $vgpr36
                                        ; implicit-def: $vgpr37
                                        ; implicit-def: $sgpr22
	v_lshl_or_b32 v34, v82, 9, v34
.LBB172_4:
	v_or_b32_e32 v36, 0x100, v34
	s_movk_i32 s22, 0x4000
	v_mov_b32_e32 v37, v34
.LBB172_5:
	s_mul_hi_u32 s20, s14, s12
	s_mul_i32 s21, s51, s12
	s_add_i32 s20, s20, s21
	s_mul_i32 s21, s14, s12
	s_mul_i32 s23, s21, s3
	s_mul_hi_u32 s24, s21, s49
	s_add_i32 s23, s24, s23
	s_mul_i32 s20, s20, s49
	s_add_i32 s23, s23, s20
	s_mul_i32 s21, s21, s49
	s_ashr_i32 s57, s52, 31
	s_add_u32 s20, s21, s52
	s_addc_u32 s21, s23, s57
	s_lshl_b64 s[20:21], s[20:21], 8
	s_add_u32 s20, s4, s20
	s_addc_u32 s21, s5, s21
	s_and_b32 s21, s21, 0xffff
	s_mov_b32 s23, 0x20000
	s_movk_i32 s58, 0x80
	buffer_load_dwordx4 v[38:41], v37, s[20:23], 0 offen
	buffer_load_dwordx4 v[42:45], v37, s[20:23], s58 offen
	;; [unrolled: 1-line block ×4, first 2 shown]
	v_and_b32_e32 v37, 6, v0
	v_lshlrev_b32_e32 v36, 7, v80
	v_xor_b32_e32 v58, v82, v37
	v_and_b32_e32 v54, 1, v0
	v_lshl_or_b32 v61, v77, 3, v36
	v_lshlrev_b32_e32 v58, 2, v58
	v_or_b32_e32 v88, 0x4000, v61
	v_or_b32_e32 v89, 0x6000, v61
	v_xor_b32_e32 v61, 0x440, v58
	v_cmp_eq_u32_e32 vcc, 0, v54
	v_lshlrev_b32_e32 v55, 2, v77
	s_mov_b32 s60, 0x1000504
	v_cndmask_b32_e32 v54, v61, v58, vcc
	v_xor_b32_e32 v59, v80, v55
	v_xor_b32_e32 v60, v81, v55
	v_lshl_or_b32 v37, v37, 10, v54
	s_mov_b32 s61, 0x3020706
	v_lshlrev_b32_e32 v56, 8, v77
	v_or_b32_e32 v57, 16, v77
	v_lshlrev_b32_e32 v59, 1, v59
	v_lshlrev_b32_e32 v60, 1, v60
	v_xor_b32_e32 v54, 8, v37
	v_xor_b32_e32 v58, 24, v37
	;; [unrolled: 1-line block ×4, first 2 shown]
	s_mul_i32 s3, s3, s12
	s_mul_hi_u32 s20, s49, s12
	v_or_b32_e32 v91, v56, v59
	v_or_b32_e32 v92, v56, v60
	v_xor_b32_e32 v56, 16, v37
	v_xor_b32_e32 v61, 32, v37
	;; [unrolled: 1-line block ×3, first 2 shown]
	v_add_u32_e32 v54, 0x80, v54
	v_add_u32_e32 v58, 0x80, v58
	;; [unrolled: 1-line block ×4, first 2 shown]
	s_add_i32 s63, s20, s3
	s_add_i32 s3, s42, s33
	;; [unrolled: 1-line block ×5, first 2 shown]
	s_lshl_b64 s[20:21], s[34:35], 2
	s_add_u32 s3, s10, s20
	s_addc_u32 s24, s11, s21
	s_lshl_b64 s[20:21], s[30:31], 2
	s_add_u32 s38, s3, s20
	s_movk_i32 s3, 0xf8
	s_addc_u32 s39, s24, s21
	s_lshl_b32 s26, s15, 7
	s_movk_i32 s24, 0x100
	v_mov_b32_e32 v69, 0
	v_cmp_gt_u32_e32 vcc, s24, v0
	v_lshl_or_b32 v62, v57, 3, v36
	s_mov_b32 s59, 0
	s_mul_i32 s62, s49, s12
	v_or_b32_e32 v90, 0x4000, v62
	s_movk_i32 s22, 0x4000
	v_or_b32_e32 v93, 0x6000, v62
	s_movk_i32 s31, 0x2000
	s_movk_i32 s35, 0x3000
	s_mov_b32 s65, 0
	s_waitcnt vmcnt(1)
	v_perm_b32 v67, v38, v46, s60
	s_waitcnt vmcnt(0)
	v_perm_b32 v68, v42, v50, s60
	v_perm_b32 v38, v38, v46, s61
	;; [unrolled: 1-line block ×15, first 2 shown]
	ds_write2st64_b32 v37, v67, v68 offset0:128 offset1:160
	ds_write2st64_b32 v54, v38, v42 offset0:128 offset1:160
	;; [unrolled: 1-line block ×8, first 2 shown]
	v_lshlrev_b32_e32 v37, 8, v57
	v_or_b32_e32 v94, v37, v59
	v_or_b32_e32 v95, v37, v60
	;; [unrolled: 1-line block ×3, first 2 shown]
	v_lshl_or_b32 v38, v37, 3, v36
	v_lshlrev_b32_e32 v37, 8, v37
	v_or_b32_e32 v98, v37, v59
	v_or_b32_e32 v99, v37, v60
	v_or_b32_e32 v37, 48, v77
	v_or_b32_e32 v96, 0x4000, v38
	v_or_b32_e32 v97, 0x6000, v38
	v_lshl_or_b32 v38, v37, 3, v36
	v_lshlrev_b32_e32 v37, 8, v37
	v_or_b32_e32 v102, v37, v59
	v_or_b32_e32 v103, v37, v60
	;; [unrolled: 1-line block ×3, first 2 shown]
	v_lshlrev_b32_e32 v37, 3, v37
	v_lshrrev_b32_e32 v39, 5, v74
	v_and_or_b32 v39, v37, s3, v39
	v_lshlrev_b32_e32 v39, 4, v39
	v_lshlrev_b32_e32 v40, 11, v75
	v_and_b32_e32 v37, 0x78, v37
	v_or_b32_e32 v45, 32, v39
	v_or_b32_e32 v100, 0x4000, v38
	;; [unrolled: 1-line block ×3, first 2 shown]
	v_and_b32_e32 v38, 0x1000, v40
	v_xor_b32_e32 v41, v39, v37
	v_lshrrev_b32_e32 v42, 1, v0
	v_xor_b32_e32 v45, v45, v37
	v_or_b32_e32 v41, v41, v38
	v_and_b32_e32 v43, 8, v42
	v_or_b32_e32 v45, v45, v38
	v_xor_b32_e32 v104, v41, v43
	v_lshlrev_b32_e32 v41, 8, v76
	v_xor_b32_e32 v106, v45, v43
	v_or_b32_e32 v45, 64, v39
	v_or_b32_e32 v39, 0x60, v39
	s_ashr_i32 s3, s2, 31
	v_or_b32_e32 v44, v41, v55
	v_xor_b32_e32 v45, v45, v37
	v_xor_b32_e32 v37, v39, v37
	s_lshl_b64 s[20:21], s[2:3], 8
	v_lshlrev_b32_e32 v44, 1, v44
	v_or_b32_e32 v45, v45, v38
	v_or_b32_e32 v37, v37, v38
	s_add_u32 s20, s18, s20
	v_lshlrev_b32_e32 v38, 1, v77
	v_or_b32_e32 v105, 0x4000, v44
	v_or_b32_e32 v107, 0x4080, v44
	;; [unrolled: 1-line block ×8, first 2 shown]
	v_lshrrev_b32_e32 v44, 4, v0
	s_addc_u32 s21, s19, s21
	v_or_b32_e32 v39, 1, v38
	v_lshlrev_b32_e32 v68, 4, v77
	v_mov_b32_e32 v48, 0xa000
	v_mov_b32_e32 v49, 0x8000
	v_xor_b32_e32 v110, v45, v43
	v_xor_b32_e32 v45, v44, v38
	;; [unrolled: 1-line block ×3, first 2 shown]
	v_lshl_add_u64 v[38:39], s[20:21], 0, v[68:69]
	v_lshlrev_b32_e32 v68, 8, v44
	v_cndmask_b32_e32 v48, v48, v49, vcc
	v_lshlrev_b32_e32 v49, 3, v75
	v_and_b32_e32 v42, 24, v42
	v_lshl_or_b32 v116, v45, 3, v68
	v_and_b32_e32 v45, 8, v0
	v_xor_b32_e32 v50, v49, v42
	v_or_b32_e32 v51, 0x440, v50
	v_cmp_eq_u32_e32 vcc, 0, v45
	v_and_b32_e32 v44, 7, v0
	v_lshl_or_b32 v117, v46, 3, v68
	v_cndmask_b32_e32 v45, v51, v50, vcc
	v_lshlrev_b32_e32 v46, 3, v44
	v_lshlrev_b32_e32 v44, 7, v44
	v_or_b32_e32 v45, v45, v40
	v_lshlrev_b32_e32 v47, 2, v0
	v_xad_u32 v118, v45, v46, v44
	v_or_b32_e32 v45, 32, v42
	v_and_or_b32 v41, v47, 60, v41
	v_xor_b32_e32 v45, v49, v45
	v_lshlrev_b32_e32 v41, 1, v41
	v_or_b32_e32 v47, 0x440, v45
	v_or_b32_e32 v119, 0x6000, v41
	v_cndmask_b32_e32 v45, v47, v45, vcc
	v_or_b32_e32 v121, 0x6080, v41
	v_or_b32_e32 v122, 0x6100, v41
	;; [unrolled: 1-line block ×5, first 2 shown]
	v_xor_b32_e32 v41, v49, v41
	v_xad_u32 v120, v45, v46, v44
	v_xor_b32_e32 v45, 0x440, v41
	v_cndmask_b32_e32 v41, v45, v41, vcc
	v_or_b32_e32 v41, v41, v40
	v_xad_u32 v124, v41, v46, v44
	v_or_b32_e32 v41, 0x60, v42
	v_xor_b32_e32 v41, v49, v41
	v_xor_b32_e32 v42, 0x440, v41
	v_cndmask_b32_e32 v41, v42, v41, vcc
	v_or_b32_e32 v40, v41, v40
	v_xor_b32_e32 v111, v37, v43
	v_ashrrev_i32_e32 v67, 31, v66
	v_lshlrev_b32_e32 v37, 1, v35
	v_add_lshl_u32 v35, v35, s15, 1
	v_or_b32_e32 v43, 0x100, v34
	v_xad_u32 v125, v40, v46, v44
	v_cndmask_b32_e64 v126, v37, v34, s[0:1]
	v_cndmask_b32_e64 v127, v35, v43, s[0:1]
	v_lshl_add_u64 v[70:71], v[66:67], 1, s[8:9]
	v_lshl_add_u64 v[72:73], v[38:39], 0, v[68:69]
	s_mov_b32 s3, 0x7060302
	v_lshlrev_b32_e32 v68, 1, v36
	v_add_u32_e32 v67, v48, v118
	v_add_u32_e32 v128, v48, v120
	;; [unrolled: 1-line block ×4, first 2 shown]
	s_waitcnt lgkmcnt(0)
	s_barrier
.LBB172_6:                              ; =>This Inner Loop Header: Depth=1
	s_add_i32 s64, s65, 1
	s_cmp_lt_i32 s64, s50
	s_mov_b64 s[24:25], 0
	s_cselect_b64 s[40:41], -1, 0
	s_cmp_ge_i32 s64, s50
	s_mov_b64 s[20:21], 0
	s_cbranch_scc1 .LBB172_8
; %bb.7:                                ;   in Loop: Header=BB172_6 Depth=1
	s_add_i32 s0, s59, 64
	s_add_u32 s0, s16, s0
	s_addc_u32 s1, s17, 0
	s_lshl_b64 s[0:1], s[0:1], 8
	s_add_u32 s20, s6, s0
	s_addc_u32 s21, s7, s1
.LBB172_8:                              ;   in Loop: Header=BB172_6 Depth=1
	v_cndmask_b32_e64 v34, 0, 1, s[40:41]
	v_cmp_ne_u32_e64 s[0:1], 1, v34
	s_andn2_b64 vcc, exec, s[40:41]
	s_cbranch_vccnz .LBB172_10
; %bb.9:                                ;   in Loop: Header=BB172_6 Depth=1
	s_add_i32 s24, s59, 64
	s_add_u32 s24, s62, s24
	s_addc_u32 s25, s63, 0
	s_mul_i32 s27, s24, s51
	s_mul_hi_u32 s40, s24, s56
	s_add_i32 s27, s40, s27
	s_mul_i32 s25, s25, s56
	s_add_i32 s27, s27, s25
	s_mul_i32 s24, s24, s56
	s_add_u32 s24, s24, s52
	s_addc_u32 s25, s27, s57
	s_lshl_b64 s[24:25], s[24:25], 8
	s_add_u32 s24, s4, s24
	s_addc_u32 s25, s5, s25
.LBB172_10:                             ;   in Loop: Header=BB172_6 Depth=1
	v_perm_b32 v35, v25, v24, s3
	v_perm_b32 v34, v23, v22, s3
	v_perm_b32 v37, v33, v32, s3
	v_perm_b32 v36, v31, v30, s3
	ds_write_b64 v88, v[34:35]
	ds_write_b64 v89, v[36:37]
	ds_write_b64 v91, v[34:35]
	ds_write_b64 v92, v[36:37]
	v_perm_b32 v35, v17, v16, s3
	v_perm_b32 v34, v15, v14, s3
	v_perm_b32 v37, v29, v28, s3
	v_perm_b32 v36, v27, v26, s3
	ds_write_b64 v90, v[34:35]
	ds_write_b64 v93, v[36:37]
	ds_write_b64 v94, v[34:35]
	ds_write_b64 v95, v[36:37]
	;; [unrolled: 8-line block ×4, first 2 shown]
	s_waitcnt lgkmcnt(0)
	s_barrier
	ds_read_b64 v[38:39], v104 offset:49152
	ds_read2_b64 v[34:37], v105 offset1:16
	ds_read_b64 v[50:51], v107 offset:6144
	ds_read_b64 v[52:53], v105 offset:6144
	s_waitcnt lgkmcnt(2)
	v_mfma_f32_16x16x16_bf16 a[0:3], v[38:39], v[34:35], 0
	ds_read_b64 v[54:55], v106 offset:49152
	ds_read2st64_b64 v[42:45], v108 offset0:4 offset1:8
	ds_read2st64_b64 v[46:49], v109 offset0:4 offset1:8
	v_mfma_f32_16x16x16_bf16 a[4:7], v[38:39], v[36:37], 0
	ds_read2_b64 v[34:37], v105 offset0:32 offset1:48
	s_add_i32 s27, s59, 63
	s_mul_i32 s40, s27, s29
	s_waitcnt lgkmcnt(0)
	v_mfma_f32_16x16x16_bf16 a[8:11], v[38:39], v[34:35], 0
	s_mul_hi_u32 s41, s27, s28
	s_add_i32 s41, s41, s40
	s_mul_i32 s40, s27, s28
	v_mfma_f32_16x16x16_bf16 a[12:15], v[38:39], v[36:37], 0
	ds_read2st64_b64 v[34:37], v105 offset0:4 offset1:8
	ds_read2st64_b64 v[38:41], v107 offset0:4 offset1:8
	s_lshl_b64 s[40:41], s[40:41], 2
	s_waitcnt lgkmcnt(1)
	v_mfma_f32_16x16x16_bf16 a[0:3], v[54:55], v[34:35], a[0:3]
	s_add_u32 s40, s38, s40
	s_addc_u32 s41, s39, s41
	s_and_b64 vcc, exec, s[0:1]
	s_waitcnt lgkmcnt(0)
	v_mfma_f32_16x16x16_bf16 a[4:7], v[54:55], v[38:39], a[4:7]
	v_mov_b32_e32 v133, 0
	v_mov_b32_e32 v132, 0
	;; [unrolled: 1-line block ×3, first 2 shown]
	v_mfma_f32_16x16x16_bf16 a[8:11], v[54:55], v[42:43], a[8:11]
	ds_read_b64 v[34:35], v110 offset:49152
	ds_read_b64 v[38:39], v111 offset:49152
	;; [unrolled: 1-line block ×3, first 2 shown]
	v_mfma_f32_16x16x16_bf16 a[12:15], v[54:55], v[46:47], a[12:15]
	v_mov_b32_e32 v46, 0
	v_mov_b32_e32 v47, 0
	s_waitcnt lgkmcnt(2)
	v_mfma_f32_16x16x16_bf16 a[0:3], v[34:35], v[36:37], a[0:3]
	v_mov_b32_e32 v36, 0
	v_mov_b32_e32 v37, 0
	v_mfma_f32_16x16x16_bf16 a[16:19], v[34:35], v[40:41], a[4:7]
	v_mov_b32_e32 v40, 0
	v_mov_b32_e32 v41, 0
	;; [unrolled: 3-line block ×3, first 2 shown]
	v_mfma_f32_16x16x16_bf16 a[24:27], v[34:35], v[48:49], a[12:15]
	ds_read_b64 v[34:35], v108 offset:6144
	v_mov_b32_e32 v48, 0
	v_mov_b32_e32 v49, 0
	s_waitcnt lgkmcnt(2)
	v_mfma_f32_16x16x16_bf16 a[4:7], v[38:39], v[52:53], a[0:3]
	v_mfma_f32_16x16x16_bf16 a[8:11], v[38:39], v[50:51], a[16:19]
	s_waitcnt lgkmcnt(0)
	v_mfma_f32_16x16x16_bf16 a[12:15], v[38:39], v[34:35], a[20:23]
	v_mov_b32_e32 v34, 0
	v_mov_b32_e32 v35, 0
	v_mfma_f32_16x16x16_bf16 a[0:3], v[38:39], v[42:43], a[24:27]
	v_mov_b32_e32 v38, 0
	v_mov_b32_e32 v39, 0
	;; [unrolled: 1-line block ×4, first 2 shown]
	s_cbranch_vccnz .LBB172_12
; %bb.11:                               ;   in Loop: Header=BB172_6 Depth=1
	s_and_b32 s21, s21, 0xffff
	buffer_load_dwordx4 v[46:49], v84, s[20:23], 0 offen
	buffer_load_dwordx4 v[42:45], v84, s[20:23], s58 offen
	;; [unrolled: 1-line block ×4, first 2 shown]
	v_mov_b32_e32 v132, v86
	v_mov_b32_e32 v131, v87
.LBB172_12:                             ;   in Loop: Header=BB172_6 Depth=1
	ds_read_b64 v[134:135], v104 offset:57344
	ds_read2_b64 v[50:53], v112 offset1:16
	ds_read_b64 v[136:137], v106 offset:57344
	ds_read_b64 v[138:139], v110 offset:57344
	ds_read_b64 v[140:141], v111 offset:57344
	v_add_u32_e32 v142, s59, v80
	s_waitcnt lgkmcnt(3)
	v_mfma_f32_16x16x16_bf16 a[4:7], v[134:135], v[50:51], a[4:7]
	v_mfma_f32_16x16x16_bf16 a[8:11], v[134:135], v[52:53], a[8:11]
	ds_read2_b64 v[50:53], v112 offset0:32 offset1:48
	ds_read2st64_b64 v[54:57], v112 offset0:4 offset1:8
	ds_read2st64_b64 v[58:61], v113 offset0:4 offset1:8
	ds_read2st64_b64 v[62:65], v114 offset0:4 offset1:8
	s_waitcnt lgkmcnt(3)
	v_mfma_f32_16x16x16_bf16 a[12:15], v[134:135], v[50:51], a[12:15]
	v_ashrrev_i32_e32 v50, 31, v142
	v_mfma_f32_16x16x16_bf16 a[0:3], v[134:135], v[52:53], a[0:3]
	v_mul_lo_u32 v52, v50, s28
	v_mul_lo_u32 v53, v142, s29
	v_mad_u64_u32 v[50:51], s[20:21], v142, s28, 0
	v_add3_u32 v51, v51, v53, v52
	v_add_u32_e32 v52, 1, v142
	v_ashrrev_i32_e32 v53, 31, v52
	s_waitcnt lgkmcnt(2)
	v_mfma_f32_16x16x16_bf16 a[4:7], v[136:137], v[54:55], a[4:7]
	v_mul_lo_u32 v54, v53, s28
	v_mul_lo_u32 v55, v52, s29
	v_mad_u64_u32 v[52:53], s[20:21], v52, s28, 0
	v_add3_u32 v53, v53, v55, v54
	v_add_u32_e32 v54, 2, v142
	v_ashrrev_i32_e32 v55, 31, v54
	s_waitcnt lgkmcnt(1)
	v_mfma_f32_16x16x16_bf16 a[8:11], v[136:137], v[58:59], a[8:11]
	v_mul_lo_u32 v58, v55, s28
	v_mul_lo_u32 v59, v54, s29
	v_mad_u64_u32 v[54:55], s[20:21], v54, s28, 0
	v_add3_u32 v55, v55, v59, v58
	v_add_u32_e32 v58, 3, v142
	v_ashrrev_i32_e32 v59, 31, v58
	v_mul_lo_u32 v134, v59, s28
	v_mul_lo_u32 v135, v58, s29
	v_mad_u64_u32 v[58:59], s[20:21], v58, s28, 0
	s_add_u32 s20, s16, s59
	s_addc_u32 s21, s17, 0
	v_lshl_add_u64 v[50:51], v[50:51], 2, s[38:39]
	v_add3_u32 v59, v59, v135, v134
	s_lshl_b64 s[20:21], s[20:21], 8
	v_lshl_add_u64 v[52:53], v[52:53], 2, s[38:39]
	v_lshl_add_u64 v[54:55], v[54:55], 2, s[38:39]
	;; [unrolled: 1-line block ×3, first 2 shown]
	global_load_dword v134, v[50:51], off
	global_load_dword v135, v[52:53], off
	global_load_dword v142, v[54:55], off
	global_load_dword v143, v[58:59], off
	v_lshl_add_u64 v[50:51], v[70:71], 0, s[20:21]
	v_lshl_add_u64 v[54:55], v[50:51], 0, v[68:69]
	global_load_ushort v144, v[54:55], off offset:256
	global_load_ushort v145, v[54:55], off
	ds_read2st64_b64 v[50:53], v115 offset0:4 offset1:8
	global_load_ushort v146, v[54:55], off offset:768
	global_load_ushort v147, v[54:55], off offset:512
	s_waitcnt lgkmcnt(1)
	v_mfma_f32_16x16x16_bf16 a[12:15], v[136:137], v[62:63], a[12:15]
	s_and_b64 vcc, exec, s[0:1]
	s_waitcnt vmcnt(3)
	v_lshlrev_b32_e32 v63, 16, v144
	s_waitcnt lgkmcnt(0)
	v_mfma_f32_16x16x16_bf16 a[0:3], v[136:137], v[50:51], a[0:3]
	global_load_ushort v136, v[54:55], off offset:288
	global_load_ushort v137, v[54:55], off offset:32
	;; [unrolled: 1-line block ×8, first 2 shown]
	v_mfma_f32_16x16x16_bf16 a[4:7], v[138:139], v[56:57], a[4:7]
	ds_read_b64 v[50:51], v112 offset:6144
	s_waitcnt vmcnt(10)
	v_lshlrev_b32_e32 v62, 16, v145
	v_mfma_f32_16x16x16_bf16 a[8:11], v[138:139], v[60:61], a[8:11]
	v_mfma_f32_16x16x16_bf16 a[12:15], v[138:139], v[64:65], a[12:15]
	;; [unrolled: 1-line block ×3, first 2 shown]
	global_load_ushort v138, v[54:55], off offset:352
	global_load_ushort v139, v[54:55], off offset:96
	ds_read_b64 v[52:53], v113 offset:6144
	ds_read_b64 v[56:57], v114 offset:6144
	;; [unrolled: 1-line block ×3, first 2 shown]
	global_load_ushort v154, v[54:55], off offset:864
	global_load_ushort v155, v[54:55], off offset:608
	s_load_dword s20, s[40:41], 0x0
	s_waitcnt lgkmcnt(0)
	v_mfma_f32_16x16x16_bf16 a[4:7], v[140:141], v[50:51], a[4:7]
	v_sub_f32_e32 v60, s20, v142
	v_mfma_f32_16x16x16_bf16 a[0:3], v[140:141], v[58:59], a[0:3]
	v_sub_f32_e32 v58, s20, v134
	v_sub_f32_e32 v59, s20, v135
	;; [unrolled: 1-line block ×3, first 2 shown]
	v_mfma_f32_16x16x16_bf16 a[8:11], v[140:141], v[52:53], a[8:11]
	v_exp_f32_e32 v58, v58
	v_exp_f32_e32 v59, v59
	;; [unrolled: 1-line block ×4, first 2 shown]
	v_accvgpr_read_b32 v65, a5
	v_accvgpr_read_b32 v64, a4
	;; [unrolled: 1-line block ×4, first 2 shown]
	v_pk_add_f32 v[62:63], v[62:63], v[64:65] neg_lo:[0,1] neg_hi:[0,1]
	s_waitcnt vmcnt(13)
	v_lshlrev_b32_e32 v65, 16, v146
	s_waitcnt vmcnt(12)
	v_lshlrev_b32_e32 v64, 16, v147
	v_pk_add_f32 v[50:51], v[64:65], v[50:51] neg_lo:[0,1] neg_hi:[0,1]
	v_pk_mul_f32 v[62:63], v[58:59], v[62:63]
	v_pk_mul_f32 v[50:51], v[60:61], v[50:51]
	v_accvgpr_read_b32 v65, a9
	v_perm_b32 v51, v51, v50, s3
	v_perm_b32 v50, v63, v62, s3
	v_accvgpr_read_b32 v64, a8
	v_accvgpr_read_b32 v53, a11
	v_mfma_f32_16x16x16_bf16 a[12:15], v[140:141], v[56:57], a[12:15]
	v_accvgpr_read_b32 v52, a10
	v_accvgpr_read_b32 v57, a3
	;; [unrolled: 1-line block ×3, first 2 shown]
	v_mov_b32_e32 v134, 0
	s_waitcnt vmcnt(11)
	v_lshlrev_b32_e32 v63, 16, v136
	s_waitcnt vmcnt(10)
	v_lshlrev_b32_e32 v62, 16, v137
	v_pk_add_f32 v[62:63], v[62:63], v[64:65] neg_lo:[0,1] neg_hi:[0,1]
	s_waitcnt vmcnt(9)
	v_lshlrev_b32_e32 v65, 16, v148
	s_waitcnt vmcnt(8)
	v_lshlrev_b32_e32 v64, 16, v149
	v_pk_add_f32 v[52:53], v[64:65], v[52:53] neg_lo:[0,1] neg_hi:[0,1]
	v_pk_mul_f32 v[62:63], v[58:59], v[62:63]
	v_pk_mul_f32 v[52:53], v[60:61], v[52:53]
	v_accvgpr_read_b32 v55, a15
	v_perm_b32 v53, v53, v52, s3
	v_perm_b32 v52, v63, v62, s3
	ds_write2_b64 v89, v[50:51], v[52:53] offset1:16
	v_accvgpr_read_b32 v53, a13
	s_waitcnt vmcnt(7)
	v_lshlrev_b32_e32 v51, 16, v150
	s_waitcnt vmcnt(6)
	v_lshlrev_b32_e32 v50, 16, v151
	v_accvgpr_read_b32 v52, a12
	v_accvgpr_read_b32 v54, a14
	v_pk_add_f32 v[50:51], v[50:51], v[52:53] neg_lo:[0,1] neg_hi:[0,1]
	s_waitcnt vmcnt(5)
	v_lshlrev_b32_e32 v53, 16, v152
	s_waitcnt vmcnt(4)
	v_lshlrev_b32_e32 v52, 16, v153
	v_pk_add_f32 v[52:53], v[52:53], v[54:55] neg_lo:[0,1] neg_hi:[0,1]
	v_pk_mul_f32 v[50:51], v[58:59], v[50:51]
	v_pk_mul_f32 v[52:53], v[60:61], v[52:53]
	v_accvgpr_read_b32 v55, a1
	v_perm_b32 v53, v53, v52, s3
	v_perm_b32 v52, v51, v50, s3
	s_waitcnt vmcnt(3)
	v_lshlrev_b32_e32 v51, 16, v138
	s_waitcnt vmcnt(2)
	v_lshlrev_b32_e32 v50, 16, v139
	v_accvgpr_read_b32 v54, a0
	v_pk_add_f32 v[50:51], v[50:51], v[54:55] neg_lo:[0,1] neg_hi:[0,1]
	s_waitcnt vmcnt(1)
	v_lshlrev_b32_e32 v55, 16, v154
	s_waitcnt vmcnt(0)
	v_lshlrev_b32_e32 v54, 16, v155
	v_pk_add_f32 v[54:55], v[54:55], v[56:57] neg_lo:[0,1] neg_hi:[0,1]
	v_pk_mul_f32 v[50:51], v[58:59], v[50:51]
	v_pk_mul_f32 v[54:55], v[60:61], v[54:55]
	v_mov_b32_e32 v56, 0
	v_perm_b32 v55, v55, v54, s3
	v_perm_b32 v54, v51, v50, s3
	ds_write2_b64 v89, v[52:53], v[54:55] offset0:32 offset1:48
	v_mov_b32_e32 v50, 0
	v_mov_b32_e32 v51, 0
	;; [unrolled: 1-line block ×15, first 2 shown]
	s_cbranch_vccnz .LBB172_14
; %bb.13:                               ;   in Loop: Header=BB172_6 Depth=1
	s_and_b32 s25, s25, 0xffff
	s_mov_b32 s27, s23
	buffer_load_dwordx4 v[62:65], v126, s[24:27], 0 offen
	buffer_load_dwordx4 v[54:57], v126, s[24:27], s58 offen
	;; [unrolled: 1-line block ×4, first 2 shown]
	v_mov_b32_e32 v133, v83
	v_mov_b32_e32 v134, v82
.LBB172_14:                             ;   in Loop: Header=BB172_6 Depth=1
	s_waitcnt lgkmcnt(0)
	s_barrier
	ds_read_b64 v[144:145], v67
	ds_read2_b64 v[136:139], v119 offset1:16
	ds_read_b64 v[160:161], v128
	ds_read_b64 v[162:163], v129
	;; [unrolled: 1-line block ×3, first 2 shown]
	ds_read2_b64 v[140:143], v119 offset0:32 offset1:48
	s_waitcnt lgkmcnt(4)
	v_mfma_f32_16x16x16_bf16 a[0:3], v[144:145], v[136:137], 0
	ds_read2st64_b64 v[148:151], v121 offset0:4 offset1:8
	ds_read2st64_b64 v[152:155], v122 offset0:4 offset1:8
	;; [unrolled: 1-line block ×3, first 2 shown]
	v_mfma_f32_16x16x16_bf16 a[4:7], v[144:145], v[138:139], 0
	s_add_i32 s21, s53, s65
	s_mul_hi_i32 s25, s21, s13
	s_mul_i32 s21, s21, s13
	s_waitcnt lgkmcnt(3)
	v_mfma_f32_16x16x16_bf16 a[8:11], v[144:145], v[140:141], 0
	s_add_u32 s24, s21, s46
	s_addc_u32 s25, s25, s47
	s_lshl_b64 s[24:25], s[24:25], 15
	v_mfma_f32_16x16x16_bf16 a[12:15], v[144:145], v[142:143], 0
	ds_read2st64_b64 v[144:147], v119 offset0:4 offset1:8
	s_waitcnt lgkmcnt(0)
	v_mfma_f32_16x16x16_bf16 a[0:3], v[160:161], v[144:145], a[0:3]
	v_mfma_f32_16x16x16_bf16 a[4:7], v[160:161], v[148:149], a[4:7]
	;; [unrolled: 1-line block ×8, first 2 shown]
	ds_read_b64 v[160:161], v119 offset:6144
	ds_read_b64 v[162:163], v120 offset:40960
	;; [unrolled: 1-line block ×8, first 2 shown]
	s_waitcnt lgkmcnt(5)
	v_mfma_f32_16x16x16_bf16 a[16:19], v[166:167], v[136:137], 0
	v_mfma_f32_16x16x16_bf16 a[20:23], v[166:167], v[138:139], 0
	ds_read2st64_b64 v[136:139], v116 offset1:8
	v_mfma_f32_16x16x16_bf16 a[24:27], v[166:167], v[140:141], 0
	v_mfma_f32_16x16x16_bf16 a[28:31], v[166:167], v[142:143], 0
	ds_read2st64_b64 v[140:143], v117 offset1:8
	v_mfma_f32_16x16x16_bf16 a[16:19], v[162:163], v[144:145], a[16:19]
	s_waitcnt lgkmcnt(1)
	v_mov_b32_e32 v144, v136
	v_mov_b32_e32 v145, v137
	v_mfma_f32_16x16x16_bf16 a[20:23], v[162:163], v[148:149], a[20:23]
	v_lshl_add_u64 v[148:149], v[72:73], 0, s[24:25]
	v_mfma_f32_16x16x16_bf16 a[24:27], v[162:163], v[152:153], a[24:27]
	v_mfma_f32_16x16x16_bf16 a[28:31], v[162:163], v[156:157], a[28:31]
	;; [unrolled: 1-line block ×3, first 2 shown]
	s_waitcnt lgkmcnt(0)
	v_mov_b32_e32 v146, v140
	v_mov_b32_e32 v147, v141
	;; [unrolled: 1-line block ×3, first 2 shown]
	v_mfma_f32_16x16x16_bf16 a[32:35], v[174:175], v[150:151], a[20:23]
	v_mov_b32_e32 v141, v139
	ds_read2st64_b64 v[136:139], v116 offset0:16 offset1:24
	global_store_dwordx4 v[148:149], v[144:147], off
	v_mfma_f32_16x16x16_bf16 a[24:27], v[174:175], v[154:155], a[24:27]
	ds_read2st64_b64 v[144:147], v117 offset0:16 offset1:24
	v_add_co_u32_e32 v150, vcc, s31, v148
	v_mfma_f32_16x16x16_bf16 a[28:31], v[174:175], v[158:159], a[28:31]
	s_nop 0
	v_addc_co_u32_e32 v151, vcc, 0, v149, vcc
	global_store_dwordx4 v[150:151], v[140:143], off offset:-4096
	v_mfma_f32_16x16x16_bf16 a[0:3], v[164:165], v[160:161], a[0:3]
	s_waitcnt lgkmcnt(1)
	v_mov_b32_e32 v140, v136
	v_add_co_u32_e32 v136, vcc, s35, v148
	v_mfma_f32_16x16x16_bf16 a[4:7], v[164:165], v[168:169], a[4:7]
	v_mov_b32_e32 v141, v137
	v_addc_co_u32_e32 v137, vcc, 0, v149, vcc
	v_mfma_f32_16x16x16_bf16 a[8:11], v[164:165], v[170:171], a[8:11]
	s_waitcnt lgkmcnt(0)
	v_mov_b32_e32 v142, v144
	v_mov_b32_e32 v143, v145
	;; [unrolled: 1-line block ×3, first 2 shown]
	v_mfma_f32_16x16x16_bf16 a[12:15], v[164:165], v[172:173], a[12:15]
	v_mov_b32_e32 v145, v139
	s_and_b64 vcc, exec, s[0:1]
	global_store_dwordx4 v[150:151], v[140:143], off
	v_mfma_f32_16x16x16_bf16 a[20:23], v[176:177], v[160:161], a[16:19]
	global_store_dwordx4 v[136:137], v[144:147], off
	v_mfma_f32_16x16x16_bf16 a[16:19], v[176:177], v[168:169], a[32:35]
	v_mfma_f32_16x16x16_bf16 a[24:27], v[176:177], v[170:171], a[24:27]
	;; [unrolled: 1-line block ×3, first 2 shown]
	s_cbranch_vccnz .LBB172_16
; %bb.15:                               ;   in Loop: Header=BB172_6 Depth=1
	v_lshrrev_b32_e32 v135, 3, v133
	v_and_b32_e32 v135, 6, v135
	v_xor_b32_e32 v134, v135, v134
	v_lshlrev_b32_e32 v134, 2, v134
	v_and_b32_e32 v133, 8, v133
	v_xor_b32_e32 v136, 0x440, v134
	v_cmp_eq_u32_e32 vcc, 0, v133
	s_barrier
	s_nop 0
	v_cndmask_b32_e32 v133, v136, v134, vcc
	v_lshl_or_b32 v133, v135, 10, v133
	s_waitcnt vmcnt(5)
	v_perm_b32 v134, v62, v58, s60
	s_waitcnt vmcnt(4)
	v_perm_b32 v135, v54, v50, s60
	ds_write2st64_b32 v133, v134, v135 offset0:128 offset1:160
	v_xor_b32_e32 v134, 8, v133
	v_perm_b32 v58, v62, v58, s61
	v_perm_b32 v50, v54, v50, s61
	v_add_u32_e32 v54, 0x80, v134
	ds_write2st64_b32 v54, v58, v50 offset0:128 offset1:160
	v_xor_b32_e32 v50, 16, v133
	v_perm_b32 v54, v63, v59, s60
	v_perm_b32 v58, v55, v51, s60
	ds_write2st64_b32 v50, v54, v58 offset0:129 offset1:161
	v_xor_b32_e32 v50, 24, v133
	v_perm_b32 v54, v63, v59, s61
	v_perm_b32 v51, v55, v51, s61
	v_add_u32_e32 v50, 0x80, v50
	ds_write2st64_b32 v50, v54, v51 offset0:129 offset1:161
	v_xor_b32_e32 v50, 32, v133
	v_perm_b32 v51, v64, v60, s60
	v_perm_b32 v54, v56, v52, s60
	ds_write2st64_b32 v50, v51, v54 offset0:130 offset1:162
	v_xor_b32_e32 v50, 40, v133
	v_perm_b32 v51, v64, v60, s61
	v_perm_b32 v52, v56, v52, s61
	v_add_u32_e32 v50, 0x80, v50
	ds_write2st64_b32 v50, v51, v52 offset0:130 offset1:162
	v_xor_b32_e32 v50, 48, v133
	v_perm_b32 v51, v65, v61, s60
	v_perm_b32 v52, v57, v53, s60
	ds_write2st64_b32 v50, v51, v52 offset0:131 offset1:163
	v_xor_b32_e32 v50, 56, v133
	v_perm_b32 v51, v65, v61, s61
	v_perm_b32 v52, v57, v53, s61
	v_add_u32_e32 v50, 0x80, v50
	ds_write2st64_b32 v50, v51, v52 offset0:131 offset1:163
	ds_write_b64 v132, v[46:47] offset:49152
	v_xor_b32_e32 v46, 8, v132
	ds_write_b64 v46, v[48:49] offset:49152
	ds_write_b64 v132, v[42:43] offset:57344
	;; [unrolled: 1-line block ×4, first 2 shown]
	v_xor_b32_e32 v38, 8, v131
	ds_write_b64 v38, v[40:41] offset:49152
	ds_write_b64 v131, v[34:35] offset:57344
	;; [unrolled: 1-line block ×3, first 2 shown]
.LBB172_16:                             ;   in Loop: Header=BB172_6 Depth=1
	v_exp_f32_e32 v132, s20
	v_accvgpr_read_b32 v37, a3
	v_accvgpr_read_b32 v41, a7
	;; [unrolled: 1-line block ×4, first 2 shown]
	s_waitcnt vmcnt(4)
	v_accvgpr_read_b32 v53, a23
	v_accvgpr_read_b32 v57, a19
	;; [unrolled: 1-line block ×28, first 2 shown]
	s_add_i32 s59, s59, 64
	v_pk_fma_f32 v[22:23], v[22:23], v[132:133], v[34:35] op_sel_hi:[1,0,1]
	v_pk_fma_f32 v[24:25], v[24:25], v[132:133], v[36:37] op_sel_hi:[1,0,1]
	;; [unrolled: 1-line block ×15, first 2 shown]
	s_cmp_eq_u32 s50, s64
	v_pk_fma_f32 v[12:13], v[12:13], v[132:133], v[64:65] op_sel_hi:[1,0,1]
	s_cbranch_scc1 .LBB172_18
; %bb.17:                               ;   in Loop: Header=BB172_6 Depth=1
	s_mov_b32 s65, s64
	s_branch .LBB172_6
.LBB172_18:
	s_lshl_b32 s26, s50, 6
	s_sub_i32 s27, s12, s26
	s_cmp_gt_i32 s27, 0
	s_cbranch_scc0 .LBB172_99
; %bb.19:
	s_ashr_i32 s3, s26, 31
	s_cmpk_lg_i32 s15, 0x80
	s_cselect_b64 s[22:23], -1, 0
	s_and_b64 vcc, exec, s[22:23]
	s_cbranch_vccz .LBB172_21
; %bb.20:
	s_mul_i32 s1, s49, s12
	s_mul_hi_i32 s0, s49, s12
	s_add_u32 s1, s1, s26
	s_addc_u32 s0, s0, s3
	s_mul_i32 s17, s1, s51
	s_mul_hi_u32 s20, s1, s14
	s_add_i32 s17, s20, s17
	s_mul_i32 s0, s0, s14
	s_add_i32 s17, s17, s0
	s_mul_i32 s1, s1, s14
	s_ashr_i32 s0, s52, 31
	s_add_u32 s24, s1, s52
	s_addc_u32 s25, s17, s0
	s_cbranch_execz .LBB172_22
	s_branch .LBB172_23
.LBB172_21:
                                        ; implicit-def: $sgpr24_sgpr25
.LBB172_22:
	s_mul_hi_i32 s0, s49, s14
	s_mul_i32 s49, s49, s14
	s_ashr_i32 s1, s52, 31
	s_add_u32 s14, s49, s52
	s_addc_u32 s0, s0, s1
	s_mul_i32 s1, s14, s48
	s_mul_hi_u32 s17, s14, s12
	s_add_i32 s1, s17, s1
	s_mul_i32 s0, s0, s12
	s_add_i32 s1, s1, s0
	s_mul_i32 s14, s14, s12
	s_add_u32 s24, s14, s26
	s_addc_u32 s25, s1, s3
.LBB172_23:
	s_mul_i32 s0, s36, s48
	s_add_i32 s0, s55, s0
	s_add_i32 s14, s53, s50
	;; [unrolled: 1-line block ×3, first 2 shown]
	s_add_u32 s0, s16, s26
	s_addc_u32 s1, s1, s3
	v_lshlrev_b32_e32 v35, 6, v80
	v_lshlrev_b32_e32 v34, 2, v77
	s_mov_b32 s3, 0x7060302
	s_waitcnt vmcnt(7)
	v_perm_b32 v25, v25, v24, s3
	v_perm_b32 v24, v23, v22, s3
	s_waitcnt vmcnt(6)
	v_perm_b32 v22, v31, v30, s3
	v_or_b32_e32 v30, v35, v34
	v_xor_b32_e32 v36, v80, v34
	v_perm_b32 v23, v33, v32, s3
	v_lshlrev_b32_e32 v30, 1, v30
	ds_write2st64_b64 v30, v[24:25], v[22:23] offset0:32 offset1:48
	v_lshlrev_b32_e32 v30, 1, v36
	v_lshlrev_b32_e32 v31, 8, v77
	v_xor_b32_e32 v37, v81, v34
	v_or_b32_e32 v32, v30, v31
	ds_write_b64 v32, v[24:25]
	v_lshlrev_b32_e32 v24, 1, v37
	v_or_b32_e32 v25, v24, v31
	ds_write_b64 v25, v[22:23]
	v_or_b32_e32 v22, 16, v77
	v_lshlrev_b32_e32 v23, 2, v22
	v_or_b32_e32 v25, v35, v23
	s_waitcnt vmcnt(5)
	v_perm_b32 v17, v17, v16, s3
	v_perm_b32 v16, v15, v14, s3
	s_waitcnt vmcnt(4)
	v_perm_b32 v15, v29, v28, s3
	v_perm_b32 v14, v27, v26, s3
	v_lshlrev_b32_e32 v25, 1, v25
	v_lshlrev_b32_e32 v22, 8, v22
	ds_write2st64_b64 v25, v[16:17], v[14:15] offset0:32 offset1:48
	v_or_b32_e32 v25, v30, v22
	ds_write_b64 v25, v[16:17]
	v_or_b32_e32 v16, v24, v22
	ds_write_b64 v16, v[14:15]
	v_or_b32_e32 v14, 32, v77
	v_lshlrev_b32_e32 v22, 2, v14
	v_or_b32_e32 v15, v35, v22
	s_waitcnt vmcnt(3)
	v_perm_b32 v9, v9, v8, s3
	v_perm_b32 v8, v7, v6, s3
	s_waitcnt vmcnt(2)
	v_perm_b32 v7, v21, v20, s3
	v_perm_b32 v6, v19, v18, s3
	v_lshlrev_b32_e32 v15, 1, v15
	v_lshlrev_b32_e32 v14, 8, v14
	s_lshl_b64 s[20:21], s[0:1], 8
	ds_write2st64_b64 v15, v[8:9], v[6:7] offset0:32 offset1:48
	v_or_b32_e32 v15, v30, v14
	s_add_u32 s0, s6, s20
	ds_write_b64 v15, v[8:9]
	v_or_b32_e32 v8, v24, v14
	s_addc_u32 s1, s7, s21
	ds_write_b64 v8, v[6:7]
	s_waitcnt vmcnt(1)
	v_perm_b32 v5, v5, v4, s3
	v_perm_b32 v4, v3, v2, s3
	s_waitcnt vmcnt(0)
	v_perm_b32 v3, v13, v12, s3
	v_perm_b32 v2, v11, v10, s3
	v_or_b32_e32 v6, 48, v77
	s_mul_hi_i32 s3, s14, s13
	s_mul_i32 s14, s14, s13
	v_lshlrev_b32_e32 v19, 2, v6
	s_add_u32 s6, s14, s46
	v_or_b32_e32 v7, v35, v19
	s_addc_u32 s7, s3, s47
	v_lshlrev_b32_e32 v7, 1, v7
	v_lshlrev_b32_e32 v6, 8, v6
	s_ashr_i32 s3, s2, 31
	s_lshl_b64 s[6:7], s[6:7], 15
	ds_write2st64_b64 v7, v[4:5], v[2:3] offset0:32 offset1:48
	v_or_b32_e32 v7, v30, v6
	s_add_u32 s6, s18, s6
	ds_write_b64 v7, v[4:5]
	v_or_b32_e32 v4, v24, v6
	s_addc_u32 s7, s19, s7
	s_lshl_b64 s[2:3], s[2:3], 8
	ds_write_b64 v4, v[2:3]
	s_add_u32 s2, s6, s2
	v_lshlrev_b32_e32 v3, 1, v77
	v_lshrrev_b32_e32 v2, 4, v0
	s_addc_u32 s3, s7, s3
	v_or_b32_e32 v4, 1, v3
	v_lshlrev_b32_e32 v10, 4, v77
	v_mov_b32_e32 v11, 0
	v_xor_b32_e32 v3, v2, v3
	v_xor_b32_e32 v6, v4, v2
	v_lshl_add_u64 v[12:13], s[2:3], 0, v[10:11]
	v_lshlrev_b32_e32 v10, 8, v2
	v_lshl_or_b32 v16, v3, 3, v10
	v_lshl_or_b32 v17, v6, 3, v10
	s_waitcnt lgkmcnt(0)
	s_barrier
	ds_read2st64_b64 v[2:5], v16 offset1:8
	ds_read2st64_b64 v[6:9], v17 offset1:8
	v_lshl_add_u64 v[14:15], v[12:13], 0, v[10:11]
	s_movk_i32 s2, 0x2000
	s_cmp_lg_u32 s27, 64
	s_waitcnt lgkmcnt(1)
	v_mov_b32_e32 v10, v2
	v_mov_b32_e32 v11, v3
	s_waitcnt lgkmcnt(0)
	v_mov_b32_e32 v12, v6
	v_mov_b32_e32 v13, v7
	global_store_dwordx4 v[14:15], v[10:13], off
	v_mov_b32_e32 v6, v4
	v_mov_b32_e32 v7, v5
	ds_read2st64_b64 v[2:5], v16 offset0:16 offset1:24
	ds_read2st64_b64 v[10:13], v17 offset0:16 offset1:24
	v_add_co_u32_e32 v16, vcc, s2, v14
	s_cselect_b64 s[6:7], -1, 0
	s_nop 0
	v_addc_co_u32_e32 v17, vcc, 0, v15, vcc
	global_store_dwordx4 v[16:17], v[6:9], off offset:-4096
	v_lshl_or_b32 v24, v75, 3, v79
	s_mov_b32 s16, 0
	s_waitcnt lgkmcnt(1)
	v_mov_b32_e32 v6, v2
	v_add_co_u32_e32 v2, vcc, 0x3000, v14
	v_mov_b32_e32 v7, v3
	s_nop 0
	v_addc_co_u32_e32 v3, vcc, 0, v15, vcc
	s_waitcnt lgkmcnt(0)
	v_mov_b32_e32 v8, v10
	v_mov_b32_e32 v9, v11
	v_mov_b32_e32 v10, v4
	v_mov_b32_e32 v11, v5
	v_or_b32_e32 v20, 32, v24
	v_and_b32_e32 v18, 56, v78
	s_and_b64 vcc, exec, s[6:7]
	global_store_dwordx4 v[16:17], v[6:9], off
	global_store_dwordx4 v[2:3], v[10:13], off
	s_cbranch_vccz .LBB172_29
; %bb.24:
	s_mov_b32 s17, s16
	s_mov_b32 s18, s16
	;; [unrolled: 1-line block ×3, first 2 shown]
	v_mov_b64_e32 v[6:7], s[16:17]
	v_mov_b64_e32 v[8:9], s[18:19]
	;; [unrolled: 1-line block ×3, first 2 shown]
	v_cmp_gt_i32_e32 vcc, s27, v24
	v_mov_b64_e32 v[4:5], v[8:9]
	s_and_saveexec_b64 s[2:3], vcc
	s_cbranch_execz .LBB172_26
; %bb.25:
	v_lshlrev_b32_e32 v2, 8, v24
	v_mov_b32_e32 v3, 0
	v_lshl_add_u64 v[4:5], s[0:1], 0, v[2:3]
	v_lshlrev_b32_e32 v2, 1, v18
	v_lshl_add_u64 v[10:11], v[4:5], 0, v[2:3]
	global_load_dwordx4 v[6:9], v[10:11], off
	global_load_dwordx4 v[2:5], v[10:11], off offset:128
.LBB172_26:
	s_or_b64 exec, exec, s[2:3]
	s_mov_b32 s17, s16
	s_mov_b32 s18, s16
	s_mov_b32 s19, s16
	v_mov_b64_e32 v[14:15], s[16:17]
	v_mov_b64_e32 v[16:17], s[18:19]
	;; [unrolled: 1-line block ×3, first 2 shown]
	v_cmp_gt_i32_e32 vcc, s27, v20
	v_lshlrev_b32_e32 v21, 7, v20
	v_mov_b64_e32 v[12:13], v[16:17]
	s_and_saveexec_b64 s[2:3], vcc
	s_cbranch_execz .LBB172_28
; %bb.27:
	v_lshlrev_b32_e32 v10, 1, v21
	v_mov_b32_e32 v11, 0
	v_lshl_add_u64 v[12:13], s[0:1], 0, v[10:11]
	v_lshlrev_b32_e32 v10, 1, v18
	v_lshl_add_u64 v[26:27], v[12:13], 0, v[10:11]
	global_load_dwordx4 v[14:17], v[26:27], off
	global_load_dwordx4 v[10:13], v[26:27], off offset:128
.LBB172_28:
	s_or_b64 exec, exec, s[2:3]
	v_lshrrev_b32_e32 v25, 3, v18
	v_lshlrev_b32_e32 v26, 3, v24
	v_or_b32_e32 v25, v26, v25
	v_lshlrev_b32_e32 v25, 4, v25
	v_and_b32_e32 v26, 0x78, v26
	v_xor_b32_e32 v25, v25, v26
	s_branch .LBB172_31
.LBB172_29:
                                        ; implicit-def: $vgpr25
                                        ; implicit-def: $vgpr21
                                        ; implicit-def: $vgpr6_vgpr7_vgpr8_vgpr9
                                        ; implicit-def: $vgpr2_vgpr3_vgpr4_vgpr5
                                        ; implicit-def: $vgpr14_vgpr15_vgpr16_vgpr17
                                        ; implicit-def: $vgpr10_vgpr11_vgpr12_vgpr13
	s_cbranch_execz .LBB172_31
; %bb.30:
	s_waitcnt vmcnt(0)
	v_lshlrev_b32_e32 v2, 1, v18
	v_lshl_or_b32 v21, v24, 8, v2
	s_and_b32 s1, s1, 0xffff
	s_mov_b32 s3, 0x20000
	s_movk_i32 s2, 0x4000
	v_lshl_or_b32 v25, v20, 8, v2
	s_movk_i32 s13, 0x80
	buffer_load_dwordx4 v[6:9], v21, s[0:3], 0 offen
	buffer_load_dwordx4 v[2:5], v21, s[0:3], s13 offen
	;; [unrolled: 1-line block ×4, first 2 shown]
	v_lshrrev_b32_e32 v21, 3, v18
	v_lshlrev_b32_e32 v25, 3, v24
	v_or_b32_e32 v21, v25, v21
	v_lshlrev_b32_e32 v21, 4, v21
	v_and_b32_e32 v25, 0x78, v25
	v_xor_b32_e32 v25, v21, v25
	v_lshlrev_b32_e32 v21, 7, v20
.LBB172_31:
	s_movk_i32 s0, 0x1000
	v_and_or_b32 v20, v21, s0, v25
	s_waitcnt vmcnt(1)
	ds_write_b64 v25, v[6:7] offset:49152
	v_xor_b32_e32 v6, 8, v25
	ds_write_b64 v6, v[8:9] offset:49152
	s_waitcnt vmcnt(0)
	ds_write_b64 v25, v[2:3] offset:57344
	ds_write_b64 v6, v[4:5] offset:57344
	;; [unrolled: 1-line block ×3, first 2 shown]
	v_xor_b32_e32 v2, 8, v20
	ds_write_b64 v2, v[16:17] offset:49152
	ds_write_b64 v20, v[10:11] offset:57344
	;; [unrolled: 1-line block ×3, first 2 shown]
	v_or_b32_e32 v2, v1, v77
	v_lshlrev_b32_e32 v3, 11, v75
	v_lshlrev_b32_e32 v2, 3, v2
	v_and_b32_e32 v6, 0x1000, v3
	v_lshrrev_b32_e32 v3, 5, v74
	s_movk_i32 s0, 0xf8
	v_and_or_b32 v3, v2, s0, v3
	v_lshlrev_b32_e32 v7, 4, v3
	v_and_b32_e32 v8, 0x78, v2
	v_or_b32_e32 v10, 32, v7
	v_lshrrev_b32_e32 v3, 1, v74
	v_xor_b32_e32 v10, v10, v8
	v_xor_b32_e32 v2, v7, v8
	v_and_b32_e32 v9, 8, v3
	v_or_b32_e32 v10, v10, v6
	v_or_b32_e32 v2, v2, v6
	v_xor_b32_e32 v27, v10, v9
	v_or_b32_e32 v10, 64, v7
	v_xor_b32_e32 v26, v2, v9
	v_xor_b32_e32 v10, v10, v8
	s_waitcnt lgkmcnt(0)
	s_barrier
	v_or_b32_e32 v13, v10, v6
	ds_read_b64 v[10:11], v26 offset:49152
	v_lshl_or_b32 v14, v76, 8, v34
	v_lshlrev_b32_e32 v25, 1, v14
	v_add_u32_e32 v12, 0x4000, v25
	ds_read2_b64 v[2:5], v12 offset1:16
	v_or_b32_e32 v7, 0x60, v7
	v_xor_b32_e32 v7, v7, v8
	v_or_b32_e32 v6, v7, v6
	v_xor_b32_e32 v28, v13, v9
	v_xor_b32_e32 v29, v6, v9
	ds_read_b64 v[20:21], v27 offset:49152
	ds_read_b64 v[36:37], v28 offset:49152
	;; [unrolled: 1-line block ×3, first 2 shown]
	s_waitcnt lgkmcnt(3)
	v_mfma_f32_16x16x16_bf16 a[0:3], v[10:11], v[2:3], 0
	ds_read2st64_b64 v[6:9], v25 offset0:36 offset1:40
	s_lshl_b64 s[0:1], s[24:25], 8
	s_add_u32 s4, s4, s0
	v_mfma_f32_16x16x16_bf16 a[4:7], v[10:11], v[4:5], 0
	ds_read2_b64 v[2:5], v12 offset0:32 offset1:48
	s_addc_u32 s5, s5, s1
	s_add_i32 s1, s42, s33
	s_waitcnt lgkmcnt(0)
	v_mfma_f32_16x16x16_bf16 a[8:11], v[10:11], v[2:3], 0
	v_or_b32_e32 v2, 64, v14
	v_lshlrev_b32_e32 v30, 1, v2
	s_add_i32 s0, s12, -1
	v_mfma_f32_16x16x16_bf16 a[12:15], v[10:11], v[4:5], 0
	ds_read2st64_b64 v[2:5], v30 offset0:36 offset1:40
	s_add_i32 s35, s1, s37
	s_add_i32 s1, s44, s43
	v_mfma_f32_16x16x16_bf16 a[0:3], v[20:21], v[6:7], a[0:3]
	v_or_b32_e32 v6, 0x80, v14
	v_lshlrev_b32_e32 v31, 1, v6
	ds_read2st64_b64 v[10:13], v31 offset0:36 offset1:40
	s_waitcnt lgkmcnt(1)
	v_mfma_f32_16x16x16_bf16 a[4:7], v[20:21], v[2:3], a[4:7]
	v_or_b32_e32 v2, 0xc0, v14
	v_lshlrev_b32_e32 v32, 1, v2
	ds_read2st64_b64 v[14:17], v32 offset0:36 offset1:40
	s_add_i32 s31, s1, s45
	s_ashr_i32 s1, s0, 31
	s_mul_i32 s2, s0, s29
	s_mul_hi_u32 s3, s0, s28
	s_add_i32 s2, s3, s2
	s_mul_i32 s1, s1, s28
	s_waitcnt lgkmcnt(1)
	v_mfma_f32_16x16x16_bf16 a[8:11], v[20:21], v[10:11], a[8:11]
	s_add_i32 s1, s2, s1
	s_lshl_b64 s[2:3], s[34:35], 2
	s_add_u32 s10, s10, s2
	s_waitcnt lgkmcnt(0)
	v_mfma_f32_16x16x16_bf16 a[12:15], v[20:21], v[14:15], a[12:15]
	s_addc_u32 s11, s11, s3
	s_lshl_b64 s[2:3], s[30:31], 2
	s_mul_i32 s0, s0, s28
	v_mfma_f32_16x16x16_bf16 a[0:3], v[36:37], v[8:9], a[0:3]
	ds_read_b64 v[2:3], v25 offset:22528
	s_add_u32 s10, s10, s2
	s_addc_u32 s11, s11, s3
	v_mfma_f32_16x16x16_bf16 a[4:7], v[36:37], v[4:5], a[4:7]
	ds_read_b64 v[4:5], v30 offset:22528
	ds_read_b64 v[6:7], v31 offset:22528
	;; [unrolled: 1-line block ×3, first 2 shown]
	s_lshl_b64 s[0:1], s[0:1], 2
	s_add_u32 s0, s10, s0
	v_mfma_f32_16x16x16_bf16 a[8:11], v[36:37], v[12:13], a[8:11]
	s_addc_u32 s1, s11, s1
	s_load_dword s12, s[0:1], 0x0
	s_and_b64 vcc, exec, s[22:23]
	v_mfma_f32_16x16x16_bf16 a[12:15], v[36:37], v[16:17], a[12:15]
	s_waitcnt lgkmcnt(0)
	v_mfma_f32_16x16x16_bf16 a[0:3], v[38:39], v[2:3], a[0:3]
	v_mfma_f32_16x16x16_bf16 a[4:7], v[38:39], v[4:5], a[4:7]
	;; [unrolled: 1-line block ×4, first 2 shown]
	s_cbranch_vccz .LBB172_42
; %bb.32:
	v_lshlrev_b32_e32 v20, 1, v24
	s_and_b64 vcc, exec, s[6:7]
	s_cbranch_vccz .LBB172_43
; %bb.33:
	v_cmp_gt_i32_e32 vcc, s27, v20
	v_mov_b32_e32 v6, 0
	v_mov_b32_e32 v2, 0
	;; [unrolled: 1-line block ×5, first 2 shown]
	s_and_saveexec_b64 s[0:1], vcc
	s_cbranch_execz .LBB172_35
; %bb.34:
	v_mad_i64_i32 v[2:3], s[2:3], s15, v20, 0
	v_lshl_add_u64 v[2:3], v[2:3], 1, s[4:5]
	v_lshlrev_b32_e32 v4, 1, v18
	v_mov_b32_e32 v5, 0
	v_lshl_add_u64 v[2:3], v[2:3], 0, v[4:5]
	global_load_dwordx4 v[2:5], v[2:3], off
.LBB172_35:
	s_or_b64 exec, exec, s[0:1]
	v_or_b32_e32 v21, 1, v20
	v_cmp_gt_i32_e64 s[0:1], s27, v21
	v_mov_b32_e32 v7, 0
	v_mov_b32_e32 v8, 0
	;; [unrolled: 1-line block ×3, first 2 shown]
	s_and_saveexec_b64 s[2:3], s[0:1]
	s_cbranch_execz .LBB172_37
; %bb.36:
	v_mad_i64_i32 v[6:7], s[16:17], s15, v21, 0
	v_lshl_add_u64 v[6:7], v[6:7], 1, s[4:5]
	v_lshlrev_b32_e32 v8, 1, v18
	v_mov_b32_e32 v9, 0
	v_lshl_add_u64 v[6:7], v[6:7], 0, v[8:9]
	global_load_dwordx4 v[6:9], v[6:7], off
.LBB172_37:
	s_or_b64 exec, exec, s[2:3]
	v_mov_b32_e32 v17, 0
	v_mov_b32_e32 v10, 0
	;; [unrolled: 1-line block ×5, first 2 shown]
	s_and_saveexec_b64 s[2:3], vcc
	s_cbranch_execz .LBB172_39
; %bb.38:
	v_mad_i64_i32 v[10:11], s[16:17], s15, v20, 0
	v_lshl_add_u64 v[10:11], v[10:11], 1, s[4:5]
	v_lshlrev_b32_e32 v12, 1, v18
	v_mov_b32_e32 v13, 0
	v_lshl_add_u64 v[10:11], v[10:11], 0, v[12:13]
	global_load_dwordx4 v[10:13], v[10:11], off offset:128
.LBB172_39:
	s_or_b64 exec, exec, s[2:3]
	v_mov_b32_e32 v16, 0
	v_mov_b32_e32 v15, 0
	;; [unrolled: 1-line block ×3, first 2 shown]
	s_and_saveexec_b64 s[2:3], s[0:1]
	s_cbranch_execz .LBB172_41
; %bb.40:
	v_mad_i64_i32 v[14:15], s[0:1], s15, v21, 0
	v_lshl_add_u64 v[14:15], v[14:15], 1, s[4:5]
	v_lshlrev_b32_e32 v16, 1, v18
	v_mov_b32_e32 v17, 0
	v_lshl_add_u64 v[14:15], v[14:15], 0, v[16:17]
	global_load_dwordx4 v[14:17], v[14:15], off offset:128
.LBB172_41:
	s_or_b64 exec, exec, s[2:3]
	s_branch .LBB172_45
.LBB172_42:
                                        ; implicit-def: $vgpr5
                                        ; implicit-def: $vgpr9
                                        ; implicit-def: $vgpr13
                                        ; implicit-def: $vgpr17
	v_lshrrev_b32_e32 v33, 2, v74
	s_branch .LBB172_46
.LBB172_43:
                                        ; implicit-def: $vgpr5
                                        ; implicit-def: $vgpr9
                                        ; implicit-def: $vgpr13
                                        ; implicit-def: $vgpr17
	s_cbranch_execz .LBB172_45
; %bb.44:
	s_waitcnt vmcnt(0)
	v_mad_u64_u32 v[2:3], s[0:1], v20, s15, v[18:19]
	v_lshlrev_b32_e32 v20, 1, v2
	s_lshl_b32 s2, s15, 7
	s_and_b32 s1, s5, 0xffff
	s_mov_b32 s3, 0x20000
	s_mov_b32 s0, s4
	v_add_lshl_u32 v21, v2, s15, 1
	s_movk_i32 s13, 0x80
	buffer_load_dwordx4 v[2:5], v20, s[0:3], 0 offen
	buffer_load_dwordx4 v[10:13], v20, s[0:3], s13 offen
	;; [unrolled: 1-line block ×4, first 2 shown]
.LBB172_45:
	v_lshrrev_b32_e32 v33, 2, v74
	s_cbranch_execnz .LBB172_58
.LBB172_46:
	s_and_b64 vcc, exec, s[6:7]
	s_cbranch_vccz .LBB172_56
; %bb.47:
	s_waitcnt vmcnt(0)
	v_lshlrev_b32_e32 v7, 1, v24
	v_cmp_gt_i32_e32 vcc, s27, v7
	v_mov_b32_e32 v6, 0
	v_lshlrev_b32_e32 v14, 9, v24
	v_mov_b32_e32 v2, 0
	v_mov_b32_e32 v3, 0
	;; [unrolled: 1-line block ×4, first 2 shown]
	s_and_saveexec_b64 s[0:1], vcc
	s_cbranch_execz .LBB172_49
; %bb.48:
	v_mov_b32_e32 v15, 0
	v_lshl_add_u64 v[2:3], s[4:5], 0, v[14:15]
	v_lshlrev_b32_e32 v4, 1, v18
	v_mov_b32_e32 v5, v15
	v_lshl_add_u64 v[2:3], v[2:3], 0, v[4:5]
	global_load_dwordx4 v[2:5], v[2:3], off
.LBB172_49:
	s_or_b64 exec, exec, s[0:1]
	v_or_b32_e32 v7, 1, v7
	v_cmp_gt_i32_e64 s[0:1], s27, v7
	v_lshlrev_b32_e32 v20, 8, v7
	v_mov_b32_e32 v7, 0
	v_mov_b32_e32 v8, 0
	v_mov_b32_e32 v9, 0
	s_and_saveexec_b64 s[2:3], s[0:1]
	s_cbranch_execz .LBB172_51
; %bb.50:
	v_mov_b32_e32 v21, 0
	v_lshl_add_u64 v[6:7], s[4:5], 0, v[20:21]
	v_lshlrev_b32_e32 v8, 1, v18
	v_mov_b32_e32 v9, v21
	v_lshl_add_u64 v[6:7], v[6:7], 0, v[8:9]
	global_load_dwordx4 v[6:9], v[6:7], off
.LBB172_51:
	s_or_b64 exec, exec, s[2:3]
	v_mov_b32_e32 v17, 0
	v_mov_b32_e32 v10, 0
	;; [unrolled: 1-line block ×5, first 2 shown]
	s_and_saveexec_b64 s[2:3], vcc
	s_cbranch_execz .LBB172_53
; %bb.52:
	v_mov_b32_e32 v15, 0
	v_lshl_add_u64 v[10:11], s[4:5], 0, v[14:15]
	v_lshlrev_b32_e32 v14, 1, v18
	v_lshl_add_u64 v[10:11], v[10:11], 0, v[14:15]
	global_load_dwordx4 v[10:13], v[10:11], off offset:128
.LBB172_53:
	s_or_b64 exec, exec, s[2:3]
	v_mov_b32_e32 v16, 0
	v_mov_b32_e32 v15, 0
	;; [unrolled: 1-line block ×3, first 2 shown]
	s_and_saveexec_b64 s[2:3], s[0:1]
	s_cbranch_execz .LBB172_55
; %bb.54:
	v_mov_b32_e32 v21, 0
	v_lshl_add_u64 v[14:15], s[4:5], 0, v[20:21]
	v_lshlrev_b32_e32 v20, 1, v18
	v_lshl_add_u64 v[14:15], v[14:15], 0, v[20:21]
	global_load_dwordx4 v[14:17], v[14:15], off offset:128
.LBB172_55:
	s_or_b64 exec, exec, s[2:3]
	s_branch .LBB172_58
.LBB172_56:
                                        ; implicit-def: $vgpr5
                                        ; implicit-def: $vgpr9
                                        ; implicit-def: $vgpr13
                                        ; implicit-def: $vgpr17
	s_cbranch_execz .LBB172_58
; %bb.57:
	s_waitcnt vmcnt(0)
	v_lshlrev_b32_e32 v2, 1, v18
	v_lshl_or_b32 v18, v24, 9, v2
	s_and_b32 s5, s5, 0xffff
	s_mov_b32 s7, 0x20000
	s_movk_i32 s6, 0x4000
	s_movk_i32 s0, 0x80
	buffer_load_dwordx4 v[2:5], v18, s[4:7], 0 offen
	buffer_load_dwordx4 v[6:9], v18, s[4:7], 0 offen offset:256
	buffer_load_dwordx4 v[10:13], v18, s[4:7], s0 offen
	buffer_load_dwordx4 v[14:17], v18, s[4:7], s0 offen offset:256
.LBB172_58:
	ds_read_b64 v[20:21], v26 offset:57344
	v_add_u32_e32 v18, 0x6000, v25
	ds_read2_b64 v[36:39], v18 offset1:16
	ds_read_b64 v[48:49], v27 offset:57344
	ds_read_b64 v[50:51], v28 offset:57344
	;; [unrolled: 1-line block ×3, first 2 shown]
	ds_read2_b64 v[26:29], v18 offset0:32 offset1:48
	v_and_b32_e32 v18, 6, v0
	v_xor_b32_e32 v24, v24, v18
	v_lshlrev_b32_e32 v24, 2, v24
	v_and_b32_e32 v0, 1, v0
	v_cmp_eq_u32_e32 vcc, 0, v0
	s_waitcnt lgkmcnt(4)
	v_mfma_f32_16x16x16_bf16 a[0:3], v[20:21], v[36:37], a[0:3]
	s_mov_b32 s0, 0x1000504
	s_mov_b32 s1, 0x3020706
	v_mfma_f32_16x16x16_bf16 a[4:7], v[20:21], v[38:39], a[4:7]
	ds_read2st64_b64 v[36:39], v25 offset0:52 offset1:56
	s_waitcnt lgkmcnt(1)
	v_mfma_f32_16x16x16_bf16 a[8:11], v[20:21], v[26:27], a[8:11]
	v_mfma_f32_16x16x16_bf16 a[12:15], v[20:21], v[28:29], a[12:15]
	ds_read2st64_b64 v[26:29], v30 offset0:52 offset1:56
	ds_read2st64_b64 v[40:43], v31 offset0:52 offset1:56
	;; [unrolled: 1-line block ×3, first 2 shown]
	s_waitcnt lgkmcnt(3)
	v_mfma_f32_16x16x16_bf16 a[0:3], v[48:49], v[36:37], a[0:3]
	ds_read_b64 v[20:21], v25 offset:30720
	ds_read_b64 v[36:37], v30 offset:30720
	;; [unrolled: 1-line block ×4, first 2 shown]
	v_xor_b32_e32 v25, 0x440, v24
	v_cndmask_b32_e32 v0, v25, v24, vcc
	s_waitcnt lgkmcnt(6)
	v_mfma_f32_16x16x16_bf16 a[4:7], v[48:49], v[26:27], a[4:7]
	v_lshl_or_b32 v0, v18, 10, v0
	s_waitcnt vmcnt(0)
	v_perm_b32 v18, v2, v6, s0
	v_perm_b32 v24, v10, v14, s0
	s_waitcnt lgkmcnt(5)
	v_mfma_f32_16x16x16_bf16 a[8:11], v[48:49], v[40:41], a[8:11]
	ds_write2st64_b32 v0, v18, v24 offset0:128 offset1:160
	v_xor_b32_e32 v18, 8, v0
	v_perm_b32 v2, v2, v6, s1
	s_waitcnt lgkmcnt(5)
	v_mfma_f32_16x16x16_bf16 a[12:15], v[48:49], v[44:45], a[12:15]
	v_perm_b32 v6, v10, v14, s1
	v_add_u32_e32 v10, 0x80, v18
	ds_write2st64_b32 v10, v2, v6 offset0:128 offset1:160
	v_mfma_f32_16x16x16_bf16 a[0:3], v[50:51], v[38:39], a[0:3]
	v_xor_b32_e32 v2, 16, v0
	v_perm_b32 v6, v3, v7, s0
	v_perm_b32 v10, v11, v15, s0
	v_mfma_f32_16x16x16_bf16 a[4:7], v[50:51], v[28:29], a[4:7]
	ds_write2st64_b32 v2, v6, v10 offset0:129 offset1:161
	v_xor_b32_e32 v2, 24, v0
	v_perm_b32 v3, v3, v7, s1
	v_mfma_f32_16x16x16_bf16 a[16:19], v[50:51], v[42:43], a[8:11]
	v_perm_b32 v6, v11, v15, s1
	v_add_u32_e32 v2, 0x80, v2
	ds_write2st64_b32 v2, v3, v6 offset0:129 offset1:161
	v_mfma_f32_16x16x16_bf16 a[20:23], v[50:51], v[46:47], a[12:15]
	v_xor_b32_e32 v2, 32, v0
	v_perm_b32 v3, v4, v8, s0
	v_perm_b32 v6, v12, v16, s0
	s_waitcnt lgkmcnt(7)
	v_mfma_f32_16x16x16_bf16 a[12:15], v[52:53], v[20:21], a[0:3]
	ds_write2st64_b32 v2, v3, v6 offset0:130 offset1:162
	v_xor_b32_e32 v2, 40, v0
	v_perm_b32 v3, v4, v8, s1
	s_waitcnt lgkmcnt(7)
	v_mfma_f32_16x16x16_bf16 a[8:11], v[52:53], v[36:37], a[4:7]
	v_perm_b32 v4, v12, v16, s1
	v_add_u32_e32 v2, 0x80, v2
	ds_write2st64_b32 v2, v3, v4 offset0:130 offset1:162
	s_waitcnt lgkmcnt(7)
	v_mfma_f32_16x16x16_bf16 a[4:7], v[52:53], v[30:31], a[16:19]
	v_xor_b32_e32 v2, 48, v0
	v_perm_b32 v3, v5, v9, s0
	v_perm_b32 v4, v13, v17, s0
	s_waitcnt lgkmcnt(6)
	v_mfma_f32_16x16x16_bf16 a[0:3], v[52:53], v[54:55], a[20:23]
	v_xor_b32_e32 v0, 56, v0
	v_and_or_b32 v18, v33, 12, v1
	ds_write2st64_b32 v2, v3, v4 offset0:131 offset1:163
	v_perm_b32 v2, v5, v9, s1
	v_perm_b32 v3, v13, v17, s1
	v_add_u32_e32 v0, 0x80, v0
	v_cmp_gt_i32_e32 vcc, s27, v18
	v_mov_b32_e32 v14, 0
	v_mov_b32_e32 v16, 0
	ds_write2st64_b32 v0, v2, v3 offset0:131 offset1:163
	s_and_saveexec_b64 s[0:1], vcc
	s_cbranch_execz .LBB172_60
; %bb.59:
	v_add_u32_e32 v0, s26, v18
	v_ashrrev_i32_e32 v1, 31, v0
	v_mul_lo_u32 v2, v1, s28
	v_mul_lo_u32 v3, v0, s29
	v_mad_u64_u32 v[0:1], s[2:3], v0, s28, 0
	v_add3_u32 v1, v1, v3, v2
	v_lshl_add_u64 v[0:1], v[0:1], 2, s[10:11]
	global_load_dword v0, v[0:1], off
	s_waitcnt vmcnt(0)
	v_sub_f32_e32 v0, s12, v0
	v_exp_f32_e32 v16, v0
.LBB172_60:
	s_or_b64 exec, exec, s[0:1]
	v_or_b32_e32 v8, 1, v18
	v_cmp_gt_i32_e64 s[0:1], s27, v8
	s_and_saveexec_b64 s[2:3], s[0:1]
	s_cbranch_execz .LBB172_62
; %bb.61:
	v_add_u32_e32 v0, s26, v8
	v_ashrrev_i32_e32 v1, 31, v0
	v_mul_lo_u32 v2, v1, s28
	v_mul_lo_u32 v3, v0, s29
	v_mad_u64_u32 v[0:1], s[4:5], v0, s28, 0
	v_add3_u32 v1, v1, v3, v2
	v_lshl_add_u64 v[0:1], v[0:1], 2, s[10:11]
	global_load_dword v0, v[0:1], off
	s_waitcnt vmcnt(0)
	v_sub_f32_e32 v0, s12, v0
	v_exp_f32_e32 v14, v0
.LBB172_62:
	s_or_b64 exec, exec, s[2:3]
	v_or_b32_e32 v10, 2, v18
	v_cmp_gt_i32_e64 s[2:3], s27, v10
	v_mov_b32_e32 v15, 0
	v_mov_b32_e32 v17, 0
	s_and_saveexec_b64 s[4:5], s[2:3]
	s_cbranch_execz .LBB172_64
; %bb.63:
	v_add_u32_e32 v0, s26, v10
	v_ashrrev_i32_e32 v1, 31, v0
	v_mul_lo_u32 v2, v1, s28
	v_mul_lo_u32 v3, v0, s29
	v_mad_u64_u32 v[0:1], s[6:7], v0, s28, 0
	v_add3_u32 v1, v1, v3, v2
	v_lshl_add_u64 v[0:1], v[0:1], 2, s[10:11]
	global_load_dword v0, v[0:1], off
	s_waitcnt vmcnt(0)
	v_sub_f32_e32 v0, s12, v0
	v_exp_f32_e32 v17, v0
.LBB172_64:
	s_or_b64 exec, exec, s[4:5]
	v_or_b32_e32 v12, 3, v18
	v_cmp_gt_i32_e64 s[4:5], s27, v12
	s_and_saveexec_b64 s[6:7], s[4:5]
	s_cbranch_execz .LBB172_66
; %bb.65:
	v_add_u32_e32 v0, s26, v12
	v_ashrrev_i32_e32 v1, 31, v0
	v_mul_lo_u32 v2, v1, s28
	v_mul_lo_u32 v3, v0, s29
	v_mad_u64_u32 v[0:1], s[14:15], v0, s28, 0
	v_add3_u32 v1, v1, v3, v2
	v_lshl_add_u64 v[0:1], v[0:1], 2, s[10:11]
	global_load_dword v0, v[0:1], off
	s_waitcnt vmcnt(0)
	v_sub_f32_e32 v0, s12, v0
	v_exp_f32_e32 v15, v0
.LBB172_66:
	s_or_b64 exec, exec, s[6:7]
	s_add_u32 s6, s8, s20
	v_accvgpr_read_b32 v0, a12
	s_addc_u32 s7, s9, s21
	v_ashrrev_i32_e32 v67, 31, v66
	v_accvgpr_read_b32 v1, a13
	v_accvgpr_read_b32 v2, a14
	;; [unrolled: 1-line block ×3, first 2 shown]
	v_lshl_add_u64 v[4:5], v[66:67], 1, s[6:7]
	v_mov_b32_e32 v9, 0
	v_lshlrev_b32_e32 v6, 8, v18
	v_mov_b32_e32 v7, 0
	s_and_saveexec_b64 s[6:7], vcc
	s_cbranch_execz .LBB172_68
; %bb.67:
	v_mov_b32_e32 v7, 0
	v_lshl_add_u64 v[20:21], v[4:5], 0, v[6:7]
	global_load_ushort v7, v[20:21], off
	s_waitcnt vmcnt(0)
	v_lshlrev_b32_e32 v7, 16, v7
	v_sub_f32_e32 v0, v7, v0
	v_mul_f32_e32 v0, v16, v0
	v_lshrrev_b32_e32 v7, 16, v0
.LBB172_68:
	s_or_b64 exec, exec, s[6:7]
	v_lshlrev_b32_e32 v8, 8, v8
	s_and_saveexec_b64 s[6:7], s[0:1]
	s_cbranch_execz .LBB172_70
; %bb.69:
	v_mov_b32_e32 v9, 0
	v_lshl_add_u64 v[20:21], v[4:5], 0, v[8:9]
	global_load_ushort v0, v[20:21], off
	s_waitcnt vmcnt(0)
	v_lshlrev_b32_e32 v0, 16, v0
	v_sub_f32_e32 v0, v0, v1
	v_mul_f32_e32 v0, v14, v0
	v_lshrrev_b32_e32 v9, 16, v0
.LBB172_70:
	s_or_b64 exec, exec, s[6:7]
	v_mov_b32_e32 v13, 0
	v_lshlrev_b32_e32 v10, 8, v10
	v_mov_b32_e32 v11, 0
	s_and_saveexec_b64 s[6:7], s[2:3]
	s_cbranch_execz .LBB172_72
; %bb.71:
	v_mov_b32_e32 v11, 0
	v_lshl_add_u64 v[0:1], v[4:5], 0, v[10:11]
	global_load_ushort v0, v[0:1], off
	s_waitcnt vmcnt(0)
	v_lshlrev_b32_e32 v0, 16, v0
	v_sub_f32_e32 v0, v0, v2
	v_mul_f32_e32 v0, v17, v0
	v_lshrrev_b32_e32 v11, 16, v0
.LBB172_72:
	s_or_b64 exec, exec, s[6:7]
	v_lshlrev_b32_e32 v12, 8, v12
	s_and_saveexec_b64 s[6:7], s[4:5]
	s_cbranch_execz .LBB172_74
; %bb.73:
	v_mov_b32_e32 v13, 0
	v_lshl_add_u64 v[0:1], v[4:5], 0, v[12:13]
	global_load_ushort v0, v[0:1], off
	s_waitcnt vmcnt(0)
	v_lshlrev_b32_e32 v0, 16, v0
	v_sub_f32_e32 v0, v0, v3
	v_mul_f32_e32 v0, v15, v0
	v_lshrrev_b32_e32 v13, 16, v0
.LBB172_74:
	s_or_b64 exec, exec, s[6:7]
	v_lshlrev_b32_e32 v18, 6, v18
	s_mov_b32 s6, 0x5040100
	v_perm_b32 v20, v9, v7, s6
	v_or_b32_e32 v7, v18, v34
	v_accvgpr_read_b32 v0, a8
	v_perm_b32 v21, v13, v11, s6
	v_lshlrev_b32_e32 v7, 1, v7
	v_accvgpr_read_b32 v1, a9
	v_accvgpr_read_b32 v2, a10
	;; [unrolled: 1-line block ×3, first 2 shown]
	ds_write_b64 v7, v[20:21] offset:24576
	v_mov_b32_e32 v9, 0
	v_mov_b32_e32 v7, 0
	s_and_saveexec_b64 s[6:7], vcc
	s_cbranch_execz .LBB172_76
; %bb.75:
	v_mov_b32_e32 v7, 0
	v_lshl_add_u64 v[20:21], v[4:5], 0, v[6:7]
	global_load_ushort v7, v[20:21], off offset:32
	s_waitcnt vmcnt(0)
	v_lshlrev_b32_e32 v7, 16, v7
	v_sub_f32_e32 v0, v7, v0
	v_mul_f32_e32 v0, v16, v0
	v_lshrrev_b32_e32 v7, 16, v0
.LBB172_76:
	s_or_b64 exec, exec, s[6:7]
	s_and_saveexec_b64 s[6:7], s[0:1]
	s_cbranch_execz .LBB172_78
; %bb.77:
	v_mov_b32_e32 v9, 0
	v_lshl_add_u64 v[20:21], v[4:5], 0, v[8:9]
	global_load_ushort v0, v[20:21], off offset:32
	s_waitcnt vmcnt(0)
	v_lshlrev_b32_e32 v0, 16, v0
	v_sub_f32_e32 v0, v0, v1
	v_mul_f32_e32 v0, v14, v0
	v_lshrrev_b32_e32 v9, 16, v0
.LBB172_78:
	s_or_b64 exec, exec, s[6:7]
	v_mov_b32_e32 v13, 0
	v_mov_b32_e32 v11, 0
	s_and_saveexec_b64 s[6:7], s[2:3]
	s_cbranch_execz .LBB172_80
; %bb.79:
	v_mov_b32_e32 v11, 0
	v_lshl_add_u64 v[0:1], v[4:5], 0, v[10:11]
	global_load_ushort v0, v[0:1], off offset:32
	s_waitcnt vmcnt(0)
	v_lshlrev_b32_e32 v0, 16, v0
	v_sub_f32_e32 v0, v0, v2
	v_mul_f32_e32 v0, v17, v0
	v_lshrrev_b32_e32 v11, 16, v0
.LBB172_80:
	s_or_b64 exec, exec, s[6:7]
	s_and_saveexec_b64 s[6:7], s[4:5]
	s_cbranch_execz .LBB172_82
; %bb.81:
	v_mov_b32_e32 v13, 0
	v_lshl_add_u64 v[0:1], v[4:5], 0, v[12:13]
	global_load_ushort v0, v[0:1], off offset:32
	s_waitcnt vmcnt(0)
	v_lshlrev_b32_e32 v0, 16, v0
	v_sub_f32_e32 v0, v0, v3
	v_mul_f32_e32 v0, v15, v0
	v_lshrrev_b32_e32 v13, 16, v0
.LBB172_82:
	s_or_b64 exec, exec, s[6:7]
	s_mov_b32 s6, 0x5040100
	v_perm_b32 v20, v9, v7, s6
	v_or_b32_e32 v7, v18, v23
	v_accvgpr_read_b32 v0, a4
	v_perm_b32 v21, v13, v11, s6
	v_lshlrev_b32_e32 v7, 1, v7
	v_accvgpr_read_b32 v1, a5
	v_accvgpr_read_b32 v2, a6
	;; [unrolled: 1-line block ×3, first 2 shown]
	ds_write_b64 v7, v[20:21] offset:24576
	v_mov_b32_e32 v9, 0
	v_mov_b32_e32 v7, 0
	s_and_saveexec_b64 s[6:7], vcc
	s_cbranch_execz .LBB172_84
; %bb.83:
	v_mov_b32_e32 v7, 0
	v_lshl_add_u64 v[20:21], v[4:5], 0, v[6:7]
	global_load_ushort v7, v[20:21], off offset:64
	s_waitcnt vmcnt(0)
	v_lshlrev_b32_e32 v7, 16, v7
	v_sub_f32_e32 v0, v7, v0
	v_mul_f32_e32 v0, v16, v0
	v_lshrrev_b32_e32 v7, 16, v0
.LBB172_84:
	s_or_b64 exec, exec, s[6:7]
	s_and_saveexec_b64 s[6:7], s[0:1]
	s_cbranch_execz .LBB172_86
; %bb.85:
	v_mov_b32_e32 v9, 0
	v_lshl_add_u64 v[20:21], v[4:5], 0, v[8:9]
	global_load_ushort v0, v[20:21], off offset:64
	s_waitcnt vmcnt(0)
	v_lshlrev_b32_e32 v0, 16, v0
	v_sub_f32_e32 v0, v0, v1
	v_mul_f32_e32 v0, v14, v0
	v_lshrrev_b32_e32 v9, 16, v0
.LBB172_86:
	s_or_b64 exec, exec, s[6:7]
	v_mov_b32_e32 v13, 0
	v_mov_b32_e32 v11, 0
	s_and_saveexec_b64 s[6:7], s[2:3]
	s_cbranch_execz .LBB172_88
; %bb.87:
	v_mov_b32_e32 v11, 0
	v_lshl_add_u64 v[0:1], v[4:5], 0, v[10:11]
	global_load_ushort v0, v[0:1], off offset:64
	s_waitcnt vmcnt(0)
	v_lshlrev_b32_e32 v0, 16, v0
	v_sub_f32_e32 v0, v0, v2
	v_mul_f32_e32 v0, v17, v0
	v_lshrrev_b32_e32 v11, 16, v0
.LBB172_88:
	s_or_b64 exec, exec, s[6:7]
	s_and_saveexec_b64 s[6:7], s[4:5]
	s_cbranch_execz .LBB172_90
; %bb.89:
	v_mov_b32_e32 v13, 0
	v_lshl_add_u64 v[0:1], v[4:5], 0, v[12:13]
	global_load_ushort v0, v[0:1], off offset:64
	s_waitcnt vmcnt(0)
	v_lshlrev_b32_e32 v0, 16, v0
	v_sub_f32_e32 v0, v0, v3
	v_mul_f32_e32 v0, v15, v0
	v_lshrrev_b32_e32 v13, 16, v0
.LBB172_90:
	s_or_b64 exec, exec, s[6:7]
	s_mov_b32 s6, 0x5040100
	v_perm_b32 v20, v9, v7, s6
	v_or_b32_e32 v7, v18, v22
	v_accvgpr_read_b32 v0, a0
	v_perm_b32 v21, v13, v11, s6
	v_lshlrev_b32_e32 v7, 1, v7
	v_accvgpr_read_b32 v1, a1
	v_accvgpr_read_b32 v2, a2
	;; [unrolled: 1-line block ×3, first 2 shown]
	ds_write_b64 v7, v[20:21] offset:24576
	v_mov_b32_e32 v9, 0
	v_mov_b32_e32 v7, 0
	s_and_saveexec_b64 s[6:7], vcc
	s_cbranch_execz .LBB172_92
; %bb.91:
	v_mov_b32_e32 v7, 0
	v_lshl_add_u64 v[6:7], v[4:5], 0, v[6:7]
	global_load_ushort v6, v[6:7], off offset:96
	s_waitcnt vmcnt(0)
	v_lshlrev_b32_e32 v6, 16, v6
	v_sub_f32_e32 v0, v6, v0
	v_mul_f32_e32 v0, v16, v0
	v_lshrrev_b32_e32 v7, 16, v0
.LBB172_92:
	s_or_b64 exec, exec, s[6:7]
	s_and_saveexec_b64 s[6:7], s[0:1]
	s_cbranch_execz .LBB172_94
; %bb.93:
	v_mov_b32_e32 v9, 0
	v_lshl_add_u64 v[8:9], v[4:5], 0, v[8:9]
	global_load_ushort v0, v[8:9], off offset:96
	s_waitcnt vmcnt(0)
	v_lshlrev_b32_e32 v0, 16, v0
	v_sub_f32_e32 v0, v0, v1
	v_mul_f32_e32 v0, v14, v0
	v_lshrrev_b32_e32 v9, 16, v0
.LBB172_94:
	s_or_b64 exec, exec, s[6:7]
	v_mov_b32_e32 v0, 0
	v_mov_b32_e32 v1, 0
	s_and_saveexec_b64 s[0:1], s[2:3]
	s_cbranch_execz .LBB172_96
; %bb.95:
	v_mov_b32_e32 v11, 0
	v_lshl_add_u64 v[10:11], v[4:5], 0, v[10:11]
	global_load_ushort v1, v[10:11], off offset:96
	s_waitcnt vmcnt(0)
	v_lshlrev_b32_e32 v1, 16, v1
	v_sub_f32_e32 v1, v1, v2
	v_mul_f32_e32 v1, v17, v1
	v_lshrrev_b32_e32 v1, 16, v1
.LBB172_96:
	s_or_b64 exec, exec, s[0:1]
	s_and_saveexec_b64 s[0:1], s[4:5]
	s_cbranch_execz .LBB172_98
; %bb.97:
	v_mov_b32_e32 v13, 0
	v_lshl_add_u64 v[4:5], v[4:5], 0, v[12:13]
	global_load_ushort v0, v[4:5], off offset:96
	s_waitcnt vmcnt(0)
	v_lshlrev_b32_e32 v0, 16, v0
	v_sub_f32_e32 v0, v0, v3
	v_mul_f32_e32 v0, v15, v0
	v_lshrrev_b32_e32 v0, 16, v0
.LBB172_98:
	s_or_b64 exec, exec, s[0:1]
	s_mov_b32 s0, 0x5040100
	v_or_b32_e32 v2, v18, v19
	v_perm_b32 v1, v0, v1, s0
	v_perm_b32 v0, v9, v7, s0
	v_lshlrev_b32_e32 v2, 1, v2
	ds_write_b64 v2, v[0:1] offset:24576
	s_waitcnt lgkmcnt(0)
	s_barrier
.LBB172_99:
	s_endpgm
	.section	.rodata,"a",@progbits
	.p2align	6, 0x0
	.amdhsa_kernel _ZN12_GLOBAL__N_139chunk_gated_delta_rule_fwd_h_hip_kernelILi64ELb1ELb0ELb0ELb0ELb1ELb0ELb1ELb0EEEvPK12hip_bfloat16S3_S3_PKfS5_PKvPS1_S8_PvPKiSB_iiiiilll
		.amdhsa_group_segment_fixed_size 65536
		.amdhsa_private_segment_fixed_size 0
		.amdhsa_kernarg_size 136
		.amdhsa_user_sgpr_count 2
		.amdhsa_user_sgpr_dispatch_ptr 0
		.amdhsa_user_sgpr_queue_ptr 0
		.amdhsa_user_sgpr_kernarg_segment_ptr 1
		.amdhsa_user_sgpr_dispatch_id 0
		.amdhsa_user_sgpr_kernarg_preload_length 0
		.amdhsa_user_sgpr_kernarg_preload_offset 0
		.amdhsa_user_sgpr_private_segment_size 0
		.amdhsa_uses_dynamic_stack 0
		.amdhsa_enable_private_segment 0
		.amdhsa_system_sgpr_workgroup_id_x 1
		.amdhsa_system_sgpr_workgroup_id_y 1
		.amdhsa_system_sgpr_workgroup_id_z 0
		.amdhsa_system_sgpr_workgroup_info 0
		.amdhsa_system_vgpr_workitem_id 0
		.amdhsa_next_free_vgpr 216
		.amdhsa_next_free_sgpr 66
		.amdhsa_accum_offset 180
		.amdhsa_reserve_vcc 1
		.amdhsa_float_round_mode_32 0
		.amdhsa_float_round_mode_16_64 0
		.amdhsa_float_denorm_mode_32 3
		.amdhsa_float_denorm_mode_16_64 3
		.amdhsa_dx10_clamp 1
		.amdhsa_ieee_mode 1
		.amdhsa_fp16_overflow 0
		.amdhsa_tg_split 0
		.amdhsa_exception_fp_ieee_invalid_op 0
		.amdhsa_exception_fp_denorm_src 0
		.amdhsa_exception_fp_ieee_div_zero 0
		.amdhsa_exception_fp_ieee_overflow 0
		.amdhsa_exception_fp_ieee_underflow 0
		.amdhsa_exception_fp_ieee_inexact 0
		.amdhsa_exception_int_div_zero 0
	.end_amdhsa_kernel
	.section	.text._ZN12_GLOBAL__N_139chunk_gated_delta_rule_fwd_h_hip_kernelILi64ELb1ELb0ELb0ELb0ELb1ELb0ELb1ELb0EEEvPK12hip_bfloat16S3_S3_PKfS5_PKvPS1_S8_PvPKiSB_iiiiilll,"axG",@progbits,_ZN12_GLOBAL__N_139chunk_gated_delta_rule_fwd_h_hip_kernelILi64ELb1ELb0ELb0ELb0ELb1ELb0ELb1ELb0EEEvPK12hip_bfloat16S3_S3_PKfS5_PKvPS1_S8_PvPKiSB_iiiiilll,comdat
.Lfunc_end172:
	.size	_ZN12_GLOBAL__N_139chunk_gated_delta_rule_fwd_h_hip_kernelILi64ELb1ELb0ELb0ELb0ELb1ELb0ELb1ELb0EEEvPK12hip_bfloat16S3_S3_PKfS5_PKvPS1_S8_PvPKiSB_iiiiilll, .Lfunc_end172-_ZN12_GLOBAL__N_139chunk_gated_delta_rule_fwd_h_hip_kernelILi64ELb1ELb0ELb0ELb0ELb1ELb0ELb1ELb0EEEvPK12hip_bfloat16S3_S3_PKfS5_PKvPS1_S8_PvPKiSB_iiiiilll
                                        ; -- End function
	.section	.AMDGPU.csdata,"",@progbits
; Kernel info:
; codeLenInByte = 10720
; NumSgprs: 72
; NumVgprs: 178
; NumAgprs: 36
; TotalNumVgprs: 216
; ScratchSize: 0
; MemoryBound: 0
; FloatMode: 240
; IeeeMode: 1
; LDSByteSize: 65536 bytes/workgroup (compile time only)
; SGPRBlocks: 8
; VGPRBlocks: 26
; NumSGPRsForWavesPerEU: 72
; NumVGPRsForWavesPerEU: 216
; AccumOffset: 180
; Occupancy: 1
; WaveLimiterHint : 1
; COMPUTE_PGM_RSRC2:SCRATCH_EN: 0
; COMPUTE_PGM_RSRC2:USER_SGPR: 2
; COMPUTE_PGM_RSRC2:TRAP_HANDLER: 0
; COMPUTE_PGM_RSRC2:TGID_X_EN: 1
; COMPUTE_PGM_RSRC2:TGID_Y_EN: 1
; COMPUTE_PGM_RSRC2:TGID_Z_EN: 0
; COMPUTE_PGM_RSRC2:TIDIG_COMP_CNT: 0
; COMPUTE_PGM_RSRC3_GFX90A:ACCUM_OFFSET: 44
; COMPUTE_PGM_RSRC3_GFX90A:TG_SPLIT: 0
	.section	.text._ZN12_GLOBAL__N_139chunk_gated_delta_rule_fwd_h_hip_kernelILi64ELb0ELb1ELb1ELb0ELb1ELb0ELb1ELb0EEEvPK12hip_bfloat16S3_S3_PKfS5_PKvPS1_S8_PvPKiSB_iiiiilll,"axG",@progbits,_ZN12_GLOBAL__N_139chunk_gated_delta_rule_fwd_h_hip_kernelILi64ELb0ELb1ELb1ELb0ELb1ELb0ELb1ELb0EEEvPK12hip_bfloat16S3_S3_PKfS5_PKvPS1_S8_PvPKiSB_iiiiilll,comdat
	.globl	_ZN12_GLOBAL__N_139chunk_gated_delta_rule_fwd_h_hip_kernelILi64ELb0ELb1ELb1ELb0ELb1ELb0ELb1ELb0EEEvPK12hip_bfloat16S3_S3_PKfS5_PKvPS1_S8_PvPKiSB_iiiiilll ; -- Begin function _ZN12_GLOBAL__N_139chunk_gated_delta_rule_fwd_h_hip_kernelILi64ELb0ELb1ELb1ELb0ELb1ELb0ELb1ELb0EEEvPK12hip_bfloat16S3_S3_PKfS5_PKvPS1_S8_PvPKiSB_iiiiilll
	.p2align	8
	.type	_ZN12_GLOBAL__N_139chunk_gated_delta_rule_fwd_h_hip_kernelILi64ELb0ELb1ELb1ELb0ELb1ELb0ELb1ELb0EEEvPK12hip_bfloat16S3_S3_PKfS5_PKvPS1_S8_PvPKiSB_iiiiilll,@function
_ZN12_GLOBAL__N_139chunk_gated_delta_rule_fwd_h_hip_kernelILi64ELb0ELb1ELb1ELb0ELb1ELb0ELb1ELb0EEEvPK12hip_bfloat16S3_S3_PKfS5_PKvPS1_S8_PvPKiSB_iiiiilll: ; @_ZN12_GLOBAL__N_139chunk_gated_delta_rule_fwd_h_hip_kernelILi64ELb0ELb1ELb1ELb0ELb1ELb0ELb1ELb0EEEvPK12hip_bfloat16S3_S3_PKfS5_PKvPS1_S8_PvPKiSB_iiiiilll
; %bb.0:
	s_load_dwordx4 s[16:19], s[0:1], 0x5c
	s_load_dwordx4 s[20:23], s[0:1], 0x70
	s_abs_i32 s14, s3
	s_ashr_i32 s13, s3, 31
	s_load_dwordx8 s[4:11], s[0:1], 0x0
	s_waitcnt lgkmcnt(0)
	s_abs_i32 s12, s17
	v_cvt_f32_u32_e32 v1, s12
	s_sub_i32 s24, 0, s12
	s_ashr_i32 s15, s17, 31
	s_xor_b32 s13, s13, s15
	v_rcp_iflag_f32_e32 v1, v1
	v_lshrrev_b32_e32 v74, 6, v0
	v_bfe_u32 v77, v0, 4, 2
	v_lshlrev_b32_e32 v75, 4, v74
	v_mul_f32_e32 v1, 0x4f7ffffe, v1
	v_cvt_u32_f32_e32 v1, v1
	v_lshlrev_b32_e32 v34, 2, v77
	v_and_b32_e32 v76, 63, v0
	v_mov_b32_e32 v5, 0
	v_readfirstlane_b32 s25, v1
	s_mul_i32 s24, s24, s25
	s_mul_hi_u32 s24, s25, s24
	s_add_i32 s25, s25, s24
	s_mul_hi_u32 s24, s14, s25
	s_mul_i32 s25, s24, s12
	s_sub_i32 s14, s14, s25
	s_add_i32 s26, s24, 1
	s_sub_i32 s25, s14, s12
	s_cmp_ge_u32 s14, s12
	s_cselect_b32 s24, s26, s24
	s_cselect_b32 s14, s25, s14
	s_add_i32 s25, s24, 1
	s_cmp_ge_u32 s14, s12
	s_cselect_b32 s14, s25, s24
	s_xor_b32 s14, s14, s13
	s_sub_i32 s49, s14, s13
	s_abs_i32 s13, s18
	v_cvt_f32_u32_e32 v1, s13
	s_add_i32 s24, s16, 63
	s_mul_i32 s47, s49, s17
	s_sub_i32 s33, s3, s47
	v_rcp_iflag_f32_e32 v1, v1
	s_ashr_i32 s3, s24, 31
	s_ashr_i32 s48, s16, 31
	s_lshr_b32 s3, s3, 26
	v_mul_f32_e32 v1, 0x4f7ffffe, v1
	v_cvt_u32_f32_e32 v1, v1
	s_lshr_b32 s14, s48, 26
	s_add_i32 s24, s24, s3
	s_add_i32 s14, s16, s14
	s_ashr_i32 s51, s18, 31
	s_ashr_i32 s3, s24, 6
	;; [unrolled: 1-line block ×3, first 2 shown]
	s_xor_b32 s14, s15, s51
	s_sub_i32 s15, 0, s13
	v_readfirstlane_b32 s24, v1
	s_mul_i32 s15, s15, s24
	s_mul_hi_u32 s15, s24, s15
	s_add_i32 s24, s24, s15
	s_mul_hi_u32 s15, s12, s24
	s_mul_i32 s24, s15, s13
	s_sub_i32 s12, s12, s24
	s_add_i32 s24, s15, 1
	s_sub_i32 s25, s12, s13
	s_cmp_ge_u32 s12, s13
	s_cselect_b32 s15, s24, s15
	s_cselect_b32 s12, s25, s12
	s_add_i32 s24, s15, 1
	s_cmp_ge_u32 s12, s13
	s_cselect_b32 s12, s24, s15
	s_xor_b32 s12, s12, s14
	s_sub_i32 s24, s12, s14
	s_abs_i32 s25, s24
	v_cvt_f32_u32_e32 v1, s25
	s_load_dwordx2 s[34:35], s[0:1], 0x40
	s_load_dwordx4 s[12:15], s[0:1], 0x30
	s_load_dwordx2 s[36:37], s[0:1], 0x80
	s_xor_b32 s0, s33, s24
	s_sub_i32 s24, 0, s25
	v_rcp_iflag_f32_e32 v1, v1
	s_abs_i32 s1, s33
	s_ashr_i32 s0, s0, 31
	s_mul_i32 s52, s49, s3
	v_mul_f32_e32 v1, 0x4f7ffffe, v1
	v_cvt_u32_f32_e32 v1, v1
	v_and_b32_e32 v78, 15, v0
	s_mul_hi_i32 s53, s49, s17
	v_lshrrev_b32_e32 v80, 3, v76
	v_readfirstlane_b32 s26, v1
	s_mul_i32 s24, s24, s26
	s_mul_hi_u32 s24, s26, s24
	s_add_i32 s26, s26, s24
	s_mul_hi_u32 s24, s1, s26
	s_mul_i32 s26, s24, s25
	s_sub_i32 s1, s1, s26
	s_add_i32 s26, s24, 1
	s_sub_i32 s27, s1, s25
	s_cmp_ge_u32 s1, s25
	s_cselect_b32 s24, s26, s24
	s_cselect_b32 s1, s27, s1
	s_add_i32 s26, s24, 1
	s_cmp_ge_u32 s1, s25
	s_cselect_b32 s1, s26, s24
	s_xor_b32 s1, s1, s0
	s_sub_i32 s54, s1, s0
	v_or_b32_e32 v1, v34, v75
	s_lshl_b32 s2, s2, 6
	v_or_b32_e32 v81, 64, v1
	s_cmp_lt_i32 s16, 64
	v_lshlrev_b32_e32 v79, 3, v0
	s_mul_i32 s21, s49, s21
	s_mul_hi_u32 s46, s49, s20
	s_mul_i32 s38, s49, s20
	v_mov_b32_e32 v4, v5
	v_mov_b32_e32 v3, v5
	;; [unrolled: 1-line block ×31, first 2 shown]
	s_cbranch_scc1 .LBB173_18
; %bb.1:
	s_ashr_i32 s3, s49, 31
	s_ashr_i32 s56, s33, 31
	s_add_u32 s0, s47, s33
	s_addc_u32 s1, s53, s56
	s_mul_i32 s1, s16, s1
	s_mul_hi_u32 s24, s16, s0
	s_add_i32 s41, s24, s1
	s_mul_i32 s40, s16, s0
	s_lshl_b64 s[0:1], s[40:41], 8
	v_and_b32_e32 v83, 56, v79
	s_add_u32 s24, s6, s0
	v_lshl_or_b32 v82, v74, 3, v80
	v_lshlrev_b32_e32 v2, 1, v83
	s_addc_u32 s0, s7, s1
	v_lshl_or_b32 v84, v82, 8, v2
	s_and_b32 s25, s0, 0xffff
	s_mov_b32 s27, 0x20000
	s_movk_i32 s26, 0x4000
	s_movk_i32 s0, 0x80
	v_or_b32_e32 v85, 0x2000, v84
	buffer_load_dwordx4 v[4:7], v84, s[24:27], 0 offen
	buffer_load_dwordx4 v[8:11], v84, s[24:27], s0 offen
	;; [unrolled: 1-line block ×4, first 2 shown]
	v_lshlrev_b32_e32 v3, 3, v82
	v_and_or_b32 v21, v0, 7, v3
	v_and_b32_e32 v3, 0x78, v3
	v_lshlrev_b32_e32 v21, 4, v21
	v_xor_b32_e32 v86, v21, v3
	v_mul_lo_u32 v20, v82, s19
	v_or_b32_e32 v87, 0x1000, v86
	v_xor_b32_e32 v3, 8, v86
	s_cmpk_eq_i32 s19, 0x80
	s_mov_b32 s55, s18
	v_xor_b32_e32 v21, 8, v87
	s_cselect_b64 s[0:1], -1, 0
	s_cmpk_lg_i32 s19, 0x80
	s_waitcnt vmcnt(3)
	ds_write_b64 v86, v[4:5] offset:49152
	ds_write_b64 v3, v[6:7] offset:49152
	s_waitcnt vmcnt(2)
	ds_write_b64 v86, v[8:9] offset:57344
	ds_write_b64 v3, v[10:11] offset:57344
	;; [unrolled: 3-line block ×4, first 2 shown]
	v_lshl_add_u32 v3, v20, 1, v83
	s_cbranch_scc0 .LBB173_3
; %bb.2:
	v_lshlrev_b32_e32 v5, 1, v3
	v_add_lshl_u32 v4, v3, s19, 1
	s_lshl_b32 s26, s19, 7
	v_lshl_or_b32 v2, v82, 9, v2
	s_cbranch_execz .LBB173_4
	s_branch .LBB173_5
.LBB173_3:
                                        ; implicit-def: $vgpr4
                                        ; implicit-def: $vgpr5
                                        ; implicit-def: $sgpr26
	v_lshl_or_b32 v2, v82, 9, v2
.LBB173_4:
	v_or_b32_e32 v4, 0x100, v2
	s_movk_i32 s26, 0x4000
	v_mov_b32_e32 v5, v2
.LBB173_5:
	s_mul_hi_u32 s24, s18, s16
	s_mul_i32 s25, s51, s16
	s_add_i32 s24, s24, s25
	s_mul_i32 s25, s18, s16
	s_mul_i32 s27, s25, s3
	s_mul_hi_u32 s28, s25, s49
	s_add_i32 s27, s28, s27
	s_mul_i32 s24, s24, s49
	s_add_i32 s27, s27, s24
	s_mul_i32 s25, s25, s49
	s_ashr_i32 s57, s54, 31
	s_add_u32 s24, s25, s54
	s_addc_u32 s25, s27, s57
	s_lshl_b64 s[24:25], s[24:25], 8
	s_add_u32 s24, s4, s24
	s_addc_u32 s25, s5, s25
	s_and_b32 s25, s25, 0xffff
	s_mov_b32 s27, 0x20000
	s_movk_i32 s58, 0x80
	buffer_load_dwordx4 v[6:9], v5, s[24:27], 0 offen
	buffer_load_dwordx4 v[10:13], v5, s[24:27], s58 offen
	;; [unrolled: 1-line block ×4, first 2 shown]
	v_and_b32_e32 v5, 6, v0
	v_lshlrev_b32_e32 v4, 7, v1
	v_xor_b32_e32 v26, v82, v5
	v_and_b32_e32 v22, 1, v0
	v_lshl_or_b32 v29, v78, 3, v4
	v_lshlrev_b32_e32 v26, 2, v26
	v_or_b32_e32 v88, 0x4000, v29
	v_or_b32_e32 v89, 0x6000, v29
	v_xor_b32_e32 v29, 0x440, v26
	v_cmp_eq_u32_e32 vcc, 0, v22
	v_lshlrev_b32_e32 v23, 2, v78
	s_mov_b32 s60, 0x1000504
	v_cndmask_b32_e32 v22, v29, v26, vcc
	v_xor_b32_e32 v27, v1, v23
	v_xor_b32_e32 v28, v81, v23
	v_lshl_or_b32 v5, v5, 10, v22
	s_mov_b32 s61, 0x3020706
	s_mul_i32 s24, s3, s16
	s_mul_hi_u32 s25, s49, s16
	v_lshlrev_b32_e32 v24, 8, v78
	v_or_b32_e32 v25, 16, v78
	v_lshlrev_b32_e32 v27, 1, v27
	v_lshlrev_b32_e32 v28, 1, v28
	v_xor_b32_e32 v22, 8, v5
	v_xor_b32_e32 v26, 24, v5
	;; [unrolled: 1-line block ×4, first 2 shown]
	v_or_b32_e32 v91, v24, v27
	v_or_b32_e32 v92, v24, v28
	v_xor_b32_e32 v24, 16, v5
	v_xor_b32_e32 v29, 32, v5
	;; [unrolled: 1-line block ×3, first 2 shown]
	v_add_u32_e32 v22, 0x80, v22
	v_add_u32_e32 v26, 0x80, v26
	;; [unrolled: 1-line block ×4, first 2 shown]
	s_add_i32 s63, s25, s24
	s_add_i32 s24, s46, s21
	s_mul_i32 s3, s3, s20
	s_add_i32 s39, s24, s3
	s_mul_i32 s3, s33, s23
	s_mul_hi_u32 s24, s33, s22
	s_add_i32 s3, s24, s3
	s_mul_i32 s24, s56, s22
	s_add_i32 s25, s3, s24
	s_lshl_b64 s[28:29], s[38:39], 2
	s_mul_i32 s24, s33, s22
	s_add_u32 s3, s10, s28
	s_addc_u32 s28, s11, s29
	s_lshl_b64 s[24:25], s[24:25], 2
	s_add_u32 s42, s3, s24
	s_movk_i32 s3, 0xf8
	s_addc_u32 s43, s28, s25
	s_lshl_b32 s30, s19, 7
	s_movk_i32 s28, 0x100
	v_mov_b32_e32 v67, 0
	v_lshlrev_b32_e32 v66, 4, v78
	v_cmp_gt_u32_e32 vcc, s28, v0
	v_lshl_or_b32 v30, v25, 3, v4
	s_mov_b32 s59, 0
	s_mul_i32 s62, s49, s16
	v_or_b32_e32 v90, 0x4000, v30
	s_movk_i32 s26, 0x4000
	v_or_b32_e32 v93, 0x6000, v30
	v_add_u32_e32 v128, v75, v34
	s_movk_i32 s39, 0x2000
	s_movk_i32 s64, 0x3000
	s_mov_b32 s66, 0
	v_mov_b32_e32 v30, v67
	s_waitcnt vmcnt(1)
	v_perm_b32 v35, v6, v14, s60
	s_waitcnt vmcnt(0)
	v_perm_b32 v36, v10, v18, s60
	v_perm_b32 v6, v6, v14, s61
	;; [unrolled: 1-line block ×15, first 2 shown]
	ds_write2st64_b32 v5, v35, v36 offset0:128 offset1:160
	ds_write2st64_b32 v22, v6, v10 offset0:128 offset1:160
	;; [unrolled: 1-line block ×8, first 2 shown]
	v_lshlrev_b32_e32 v5, 8, v25
	v_or_b32_e32 v94, v5, v27
	v_or_b32_e32 v95, v5, v28
	;; [unrolled: 1-line block ×3, first 2 shown]
	v_lshl_or_b32 v6, v5, 3, v4
	v_lshlrev_b32_e32 v5, 8, v5
	v_or_b32_e32 v98, v5, v27
	v_or_b32_e32 v99, v5, v28
	;; [unrolled: 1-line block ×5, first 2 shown]
	v_lshl_or_b32 v6, v5, 3, v4
	v_lshlrev_b32_e32 v5, 8, v5
	v_or_b32_e32 v102, v5, v27
	v_or_b32_e32 v103, v5, v28
	;; [unrolled: 1-line block ×3, first 2 shown]
	v_lshlrev_b32_e32 v5, 3, v5
	v_lshrrev_b32_e32 v7, 5, v76
	v_and_or_b32 v7, v5, s3, v7
	v_lshlrev_b32_e32 v7, 4, v7
	v_lshlrev_b32_e32 v10, 11, v74
	v_and_b32_e32 v5, 0x78, v5
	v_or_b32_e32 v13, 32, v7
	v_or_b32_e32 v100, 0x4000, v6
	;; [unrolled: 1-line block ×3, first 2 shown]
	v_and_b32_e32 v6, 0x1000, v10
	v_xor_b32_e32 v8, v7, v5
	v_lshrrev_b32_e32 v11, 1, v0
	v_xor_b32_e32 v13, v13, v5
	v_or_b32_e32 v8, v8, v6
	v_and_b32_e32 v9, 8, v11
	v_lshlrev_b32_e32 v12, 8, v77
	v_or_b32_e32 v13, v13, v6
	v_xor_b32_e32 v104, v8, v9
	v_or_b32_e32 v8, v12, v23
	v_xor_b32_e32 v106, v13, v9
	v_or_b32_e32 v13, 64, v7
	v_or_b32_e32 v7, 0x60, v7
	s_ashr_i32 s3, s2, 31
	v_lshlrev_b32_e32 v8, 1, v8
	v_xor_b32_e32 v13, v13, v5
	v_xor_b32_e32 v5, v7, v5
	s_lshl_b64 s[24:25], s[2:3], 8
	v_or_b32_e32 v105, 0x4000, v8
	v_or_b32_e32 v107, 0x4080, v8
	;; [unrolled: 1-line block ×10, first 2 shown]
	s_waitcnt lgkmcnt(0)
	s_add_u32 s24, s12, s24
	v_lshlrev_b32_e32 v8, 1, v78
	v_xor_b32_e32 v110, v13, v9
	v_xor_b32_e32 v111, v5, v9
	v_lshrrev_b32_e32 v14, 4, v0
	s_addc_u32 s25, s13, s25
	v_or_b32_e32 v9, 1, v8
	v_mov_b32_e32 v18, 0xa000
	v_mov_b32_e32 v19, 0x8000
	v_xor_b32_e32 v15, v14, v8
	v_xor_b32_e32 v16, v9, v14
	v_lshl_add_u64 v[8:9], s[24:25], 0, v[66:67]
	v_lshlrev_b32_e32 v66, 8, v14
	v_cndmask_b32_e32 v18, v18, v19, vcc
	v_lshlrev_b32_e32 v19, 3, v74
	v_and_b32_e32 v11, 24, v11
	v_lshl_or_b32 v116, v15, 3, v66
	v_and_b32_e32 v15, 8, v0
	v_xor_b32_e32 v20, v19, v11
	v_or_b32_e32 v21, 0x440, v20
	v_cmp_eq_u32_e32 vcc, 0, v15
	v_and_b32_e32 v14, 7, v0
	v_lshl_or_b32 v117, v16, 3, v66
	v_cndmask_b32_e32 v15, v21, v20, vcc
	v_lshlrev_b32_e32 v16, 3, v14
	v_lshlrev_b32_e32 v14, 7, v14
	v_or_b32_e32 v15, v15, v10
	v_lshlrev_b32_e32 v17, 2, v0
	v_xad_u32 v118, v15, v16, v14
	v_or_b32_e32 v15, 32, v11
	v_and_or_b32 v12, v17, 60, v12
	v_xor_b32_e32 v15, v19, v15
	v_lshlrev_b32_e32 v12, 1, v12
	v_or_b32_e32 v17, 0x440, v15
	v_or_b32_e32 v119, 0x6000, v12
	v_cndmask_b32_e32 v15, v17, v15, vcc
	v_or_b32_e32 v121, 0x6080, v12
	v_or_b32_e32 v122, 0x6100, v12
	;; [unrolled: 1-line block ×5, first 2 shown]
	v_xor_b32_e32 v12, v19, v12
	v_xad_u32 v120, v15, v16, v14
	v_xor_b32_e32 v15, 0x440, v12
	v_cndmask_b32_e32 v12, v15, v12, vcc
	v_or_b32_e32 v11, 0x60, v11
	v_or_b32_e32 v12, v12, v10
	v_xor_b32_e32 v11, v19, v11
	v_xad_u32 v124, v12, v16, v14
	v_xor_b32_e32 v12, 0x440, v11
	v_or_b32_e32 v6, s2, v78
	v_cndmask_b32_e32 v11, v12, v11, vcc
	v_ashrrev_i32_e32 v7, 31, v6
	v_lshlrev_b32_e32 v5, 1, v3
	v_add_lshl_u32 v3, v3, s19, 1
	v_or_b32_e32 v13, 0x100, v2
	v_or_b32_e32 v10, v11, v10
	v_xad_u32 v125, v10, v16, v14
	v_cndmask_b32_e64 v126, v5, v2, s[0:1]
	v_cndmask_b32_e64 v127, v3, v13, s[0:1]
	v_lshlrev_b64 v[2:3], 1, v[6:7]
	v_lshl_add_u64 v[68:69], s[8:9], 0, v[2:3]
	v_lshl_add_u64 v[70:71], s[14:15], 0, v[2:3]
	;; [unrolled: 1-line block ×3, first 2 shown]
	s_mov_b32 s3, 0x7060302
	v_lshlrev_b32_e32 v66, 1, v4
	v_add_u32_e32 v129, v18, v118
	v_add_u32_e32 v130, v18, v120
	;; [unrolled: 1-line block ×4, first 2 shown]
	v_mov_b32_e32 v26, v67
	v_mov_b32_e32 v27, v67
	;; [unrolled: 1-line block ×31, first 2 shown]
	s_barrier
.LBB173_6:                              ; =>This Inner Loop Header: Depth=1
	s_add_i32 s65, s66, 1
	s_cmp_lt_i32 s65, s50
	s_mov_b64 s[28:29], 0
	s_cselect_b64 s[44:45], -1, 0
	s_cmp_ge_i32 s65, s50
	s_mov_b64 s[24:25], 0
	s_cbranch_scc1 .LBB173_8
; %bb.7:                                ;   in Loop: Header=BB173_6 Depth=1
	s_add_i32 s0, s59, 64
	s_add_u32 s0, s40, s0
	s_addc_u32 s1, s41, 0
	s_lshl_b64 s[0:1], s[0:1], 8
	s_add_u32 s24, s6, s0
	s_addc_u32 s25, s7, s1
.LBB173_8:                              ;   in Loop: Header=BB173_6 Depth=1
	v_cndmask_b32_e64 v34, 0, 1, s[44:45]
	v_cmp_ne_u32_e64 s[0:1], 1, v34
	s_andn2_b64 vcc, exec, s[44:45]
	s_cbranch_vccnz .LBB173_10
; %bb.9:                                ;   in Loop: Header=BB173_6 Depth=1
	s_add_i32 s28, s59, 64
	s_add_u32 s28, s62, s28
	s_addc_u32 s29, s63, 0
	s_mul_i32 s31, s28, s51
	s_mul_hi_u32 s44, s28, s55
	s_add_i32 s31, s44, s31
	s_mul_i32 s29, s29, s55
	s_add_i32 s31, s31, s29
	s_mul_i32 s28, s28, s55
	s_add_u32 s28, s28, s54
	s_addc_u32 s29, s31, s57
	s_lshl_b64 s[28:29], s[28:29], 8
	s_add_u32 s28, s4, s28
	s_addc_u32 s29, s5, s29
.LBB173_10:                             ;   in Loop: Header=BB173_6 Depth=1
	v_perm_b32 v35, v33, v32, s3
	v_perm_b32 v34, v31, v30, s3
	v_perm_b32 v37, v29, v28, s3
	v_perm_b32 v36, v27, v26, s3
	ds_write_b64 v88, v[34:35]
	ds_write_b64 v89, v[36:37]
	ds_write_b64 v91, v[34:35]
	ds_write_b64 v92, v[36:37]
	v_perm_b32 v35, v25, v24, s3
	v_perm_b32 v34, v23, v22, s3
	v_perm_b32 v37, v21, v20, s3
	v_perm_b32 v36, v19, v18, s3
	ds_write_b64 v90, v[34:35]
	ds_write_b64 v93, v[36:37]
	ds_write_b64 v94, v[34:35]
	ds_write_b64 v95, v[36:37]
	;; [unrolled: 8-line block ×4, first 2 shown]
	s_waitcnt lgkmcnt(0)
	s_barrier
	ds_read_b64 v[38:39], v104 offset:49152
	ds_read2_b64 v[34:37], v105 offset1:16
	ds_read_b64 v[50:51], v107 offset:6144
	ds_read_b64 v[52:53], v105 offset:6144
	s_waitcnt lgkmcnt(2)
	v_mfma_f32_16x16x16_bf16 a[0:3], v[38:39], v[34:35], 0
	ds_read_b64 v[54:55], v106 offset:49152
	ds_read2st64_b64 v[42:45], v108 offset0:4 offset1:8
	ds_read2st64_b64 v[46:49], v109 offset0:4 offset1:8
	v_mfma_f32_16x16x16_bf16 a[4:7], v[38:39], v[36:37], 0
	ds_read2_b64 v[34:37], v105 offset0:32 offset1:48
	s_add_i32 s31, s59, 63
	s_mul_i32 s44, s31, s37
	s_waitcnt lgkmcnt(0)
	v_mfma_f32_16x16x16_bf16 a[8:11], v[38:39], v[34:35], 0
	s_mul_hi_u32 s45, s31, s36
	s_add_i32 s45, s45, s44
	s_mul_i32 s44, s31, s36
	v_mfma_f32_16x16x16_bf16 a[12:15], v[38:39], v[36:37], 0
	ds_read2st64_b64 v[34:37], v105 offset0:4 offset1:8
	ds_read2st64_b64 v[38:41], v107 offset0:4 offset1:8
	s_lshl_b64 s[44:45], s[44:45], 2
	s_waitcnt lgkmcnt(1)
	v_mfma_f32_16x16x16_bf16 a[0:3], v[54:55], v[34:35], a[0:3]
	s_add_u32 s44, s42, s44
	s_addc_u32 s45, s43, s45
	s_and_b64 vcc, exec, s[0:1]
	s_waitcnt lgkmcnt(0)
	v_mfma_f32_16x16x16_bf16 a[4:7], v[54:55], v[38:39], a[4:7]
	v_mov_b32_e32 v135, 0
	v_mov_b32_e32 v134, 0
	;; [unrolled: 1-line block ×3, first 2 shown]
	v_mfma_f32_16x16x16_bf16 a[8:11], v[54:55], v[42:43], a[8:11]
	ds_read_b64 v[34:35], v110 offset:49152
	ds_read_b64 v[38:39], v111 offset:49152
	;; [unrolled: 1-line block ×3, first 2 shown]
	v_mfma_f32_16x16x16_bf16 a[12:15], v[54:55], v[46:47], a[12:15]
	v_mov_b32_e32 v46, 0
	v_mov_b32_e32 v47, 0
	s_waitcnt lgkmcnt(2)
	v_mfma_f32_16x16x16_bf16 a[0:3], v[34:35], v[36:37], a[0:3]
	v_mov_b32_e32 v36, 0
	v_mov_b32_e32 v37, 0
	v_mfma_f32_16x16x16_bf16 a[16:19], v[34:35], v[40:41], a[4:7]
	v_mov_b32_e32 v40, 0
	v_mov_b32_e32 v41, 0
	;; [unrolled: 3-line block ×3, first 2 shown]
	v_mfma_f32_16x16x16_bf16 a[24:27], v[34:35], v[48:49], a[12:15]
	ds_read_b64 v[34:35], v108 offset:6144
	v_mov_b32_e32 v48, 0
	v_mov_b32_e32 v49, 0
	s_waitcnt lgkmcnt(2)
	v_mfma_f32_16x16x16_bf16 a[4:7], v[38:39], v[52:53], a[0:3]
	v_mfma_f32_16x16x16_bf16 a[8:11], v[38:39], v[50:51], a[16:19]
	s_waitcnt lgkmcnt(0)
	v_mfma_f32_16x16x16_bf16 a[12:15], v[38:39], v[34:35], a[20:23]
	v_mov_b32_e32 v34, 0
	v_mov_b32_e32 v35, 0
	v_mfma_f32_16x16x16_bf16 a[0:3], v[38:39], v[42:43], a[24:27]
	v_mov_b32_e32 v38, 0
	v_mov_b32_e32 v39, 0
	;; [unrolled: 1-line block ×4, first 2 shown]
	s_cbranch_vccnz .LBB173_12
; %bb.11:                               ;   in Loop: Header=BB173_6 Depth=1
	s_and_b32 s25, s25, 0xffff
	buffer_load_dwordx4 v[46:49], v84, s[24:27], 0 offen
	buffer_load_dwordx4 v[42:45], v84, s[24:27], s58 offen
	;; [unrolled: 1-line block ×4, first 2 shown]
	v_mov_b32_e32 v134, v86
	v_mov_b32_e32 v133, v87
.LBB173_12:                             ;   in Loop: Header=BB173_6 Depth=1
	ds_read_b64 v[62:63], v104 offset:57344
	ds_read2_b64 v[50:53], v112 offset1:16
	ds_read_b64 v[136:137], v106 offset:57344
	ds_read_b64 v[138:139], v110 offset:57344
	;; [unrolled: 1-line block ×3, first 2 shown]
	v_add_u32_e32 v64, s59, v128
	s_waitcnt lgkmcnt(3)
	v_mfma_f32_16x16x16_bf16 a[4:7], v[62:63], v[50:51], a[4:7]
	v_mfma_f32_16x16x16_bf16 a[8:11], v[62:63], v[52:53], a[8:11]
	ds_read2_b64 v[50:53], v112 offset0:32 offset1:48
	ds_read2st64_b64 v[54:57], v112 offset0:4 offset1:8
	ds_read2st64_b64 v[58:61], v113 offset0:4 offset1:8
	s_waitcnt lgkmcnt(2)
	v_mfma_f32_16x16x16_bf16 a[12:15], v[62:63], v[50:51], a[12:15]
	v_ashrrev_i32_e32 v50, 31, v64
	v_mul_lo_u32 v65, v50, s36
	v_mad_u64_u32 v[50:51], s[24:25], v64, s36, 0
	v_mfma_f32_16x16x16_bf16 a[0:3], v[62:63], v[52:53], a[0:3]
	v_mul_lo_u32 v52, v64, s37
	v_add3_u32 v51, v51, v52, v65
	v_add_u32_e32 v52, 1, v64
	v_ashrrev_i32_e32 v53, 31, v52
	s_waitcnt lgkmcnt(1)
	v_mfma_f32_16x16x16_bf16 a[4:7], v[136:137], v[54:55], a[4:7]
	v_mul_lo_u32 v54, v53, s36
	v_mul_lo_u32 v55, v52, s37
	v_mad_u64_u32 v[52:53], s[24:25], v52, s36, 0
	v_add3_u32 v53, v53, v55, v54
	v_add_u32_e32 v54, 2, v64
	v_ashrrev_i32_e32 v55, 31, v54
	v_mul_lo_u32 v62, v55, s36
	v_mul_lo_u32 v63, v54, s37
	v_mad_u64_u32 v[54:55], s[24:25], v54, s36, 0
	v_add3_u32 v55, v55, v63, v62
	v_add_u32_e32 v62, 3, v64
	v_ashrrev_i32_e32 v63, 31, v62
	v_mul_lo_u32 v64, v63, s36
	v_mul_lo_u32 v65, v62, s37
	v_mad_u64_u32 v[62:63], s[24:25], v62, s36, 0
	s_add_u32 s24, s40, s59
	v_lshl_add_u64 v[50:51], v[50:51], 2, s[42:43]
	v_add3_u32 v63, v63, v65, v64
	s_addc_u32 s25, s41, 0
	v_lshl_add_u64 v[52:53], v[52:53], 2, s[42:43]
	global_load_dword v142, v[50:51], off
	v_lshl_add_u64 v[50:51], v[62:63], 2, s[42:43]
	s_lshl_b64 s[24:25], s[24:25], 8
	v_lshl_add_u64 v[54:55], v[54:55], 2, s[42:43]
	global_load_dword v143, v[52:53], off
	global_load_dword v144, v[54:55], off
	;; [unrolled: 1-line block ×3, first 2 shown]
	v_lshl_add_u64 v[50:51], v[68:69], 0, s[24:25]
	v_lshl_add_u64 v[54:55], v[50:51], 0, v[66:67]
	global_load_ushort v146, v[54:55], off offset:256
	global_load_ushort v147, v[54:55], off
	ds_read2st64_b64 v[50:53], v114 offset0:4 offset1:8
	global_load_ushort v148, v[54:55], off offset:768
	global_load_ushort v149, v[54:55], off offset:512
	ds_read2st64_b64 v[62:65], v115 offset0:4 offset1:8
	global_load_ushort v150, v[54:55], off offset:288
	global_load_ushort v151, v[54:55], off offset:32
	;; [unrolled: 1-line block ×4, first 2 shown]
	s_waitcnt lgkmcnt(2)
	v_mfma_f32_16x16x16_bf16 a[8:11], v[136:137], v[58:59], a[8:11]
	global_load_ushort v154, v[54:55], off offset:320
	global_load_ushort v155, v[54:55], off offset:64
	;; [unrolled: 1-line block ×4, first 2 shown]
	s_and_b64 vcc, exec, s[0:1]
	s_waitcnt lgkmcnt(1)
	v_mfma_f32_16x16x16_bf16 a[12:15], v[136:137], v[50:51], a[12:15]
	ds_read_b64 v[50:51], v112 offset:6144
	s_waitcnt lgkmcnt(1)
	v_mfma_f32_16x16x16_bf16 a[0:3], v[136:137], v[62:63], a[0:3]
	v_lshl_add_u64 v[62:63], v[70:71], 0, s[24:25]
	v_lshl_add_u64 v[62:63], v[62:63], 0, v[66:67]
	v_mfma_f32_16x16x16_bf16 a[4:7], v[138:139], v[56:57], a[4:7]
	v_mfma_f32_16x16x16_bf16 a[8:11], v[138:139], v[60:61], a[8:11]
	;; [unrolled: 1-line block ×4, first 2 shown]
	global_load_ushort v138, v[54:55], off offset:352
	global_load_ushort v139, v[54:55], off offset:96
	ds_read_b64 v[52:53], v113 offset:6144
	ds_read_b64 v[56:57], v114 offset:6144
	;; [unrolled: 1-line block ×3, first 2 shown]
	s_load_dword s44, s[44:45], 0x0
	global_load_ushort v158, v[54:55], off offset:864
	global_load_ushort v159, v[54:55], off offset:608
	s_waitcnt lgkmcnt(0)
	v_mfma_f32_16x16x16_bf16 a[4:7], v[140:141], v[50:51], a[4:7]
	s_waitcnt vmcnt(17)
	v_sub_f32_e32 v60, s44, v144
	v_mfma_f32_16x16x16_bf16 a[0:3], v[140:141], v[58:59], a[0:3]
	v_sub_f32_e32 v58, s44, v142
	v_sub_f32_e32 v59, s44, v143
	s_waitcnt vmcnt(16)
	v_sub_f32_e32 v61, s44, v145
	v_mfma_f32_16x16x16_bf16 a[8:11], v[140:141], v[52:53], a[8:11]
	v_exp_f32_e32 v58, v58
	v_exp_f32_e32 v59, v59
	;; [unrolled: 1-line block ×4, first 2 shown]
	v_accvgpr_read_b32 v137, a5
	s_waitcnt vmcnt(15)
	v_lshlrev_b32_e32 v65, 16, v146
	s_waitcnt vmcnt(14)
	v_lshlrev_b32_e32 v64, 16, v147
	v_accvgpr_read_b32 v136, a4
	v_accvgpr_read_b32 v51, a7
	;; [unrolled: 1-line block ×3, first 2 shown]
	v_pk_add_f32 v[64:65], v[64:65], v[136:137] neg_lo:[0,1] neg_hi:[0,1]
	s_waitcnt vmcnt(13)
	v_lshlrev_b32_e32 v137, 16, v148
	s_waitcnt vmcnt(12)
	v_lshlrev_b32_e32 v136, 16, v149
	v_pk_add_f32 v[50:51], v[136:137], v[50:51] neg_lo:[0,1] neg_hi:[0,1]
	global_store_short_d16_hi v[62:63], v64, off
	global_store_short_d16_hi v[62:63], v65, off offset:256
	global_store_short_d16_hi v[62:63], v50, off offset:512
	;; [unrolled: 1-line block ×3, first 2 shown]
	v_pk_mul_f32 v[64:65], v[58:59], v[64:65]
	v_pk_mul_f32 v[50:51], v[60:61], v[50:51]
	v_accvgpr_read_b32 v137, a9
	v_perm_b32 v64, v65, v64, s3
	v_perm_b32 v65, v51, v50, s3
	s_waitcnt vmcnt(15)
	v_lshlrev_b32_e32 v51, 16, v150
	s_waitcnt vmcnt(14)
	v_lshlrev_b32_e32 v50, 16, v151
	v_accvgpr_read_b32 v136, a8
	v_accvgpr_read_b32 v53, a11
	v_mfma_f32_16x16x16_bf16 a[12:15], v[140:141], v[56:57], a[12:15]
	v_accvgpr_read_b32 v52, a10
	v_pk_add_f32 v[50:51], v[50:51], v[136:137] neg_lo:[0,1] neg_hi:[0,1]
	s_waitcnt vmcnt(13)
	v_lshlrev_b32_e32 v137, 16, v152
	s_waitcnt vmcnt(12)
	v_lshlrev_b32_e32 v136, 16, v153
	v_pk_add_f32 v[52:53], v[136:137], v[52:53] neg_lo:[0,1] neg_hi:[0,1]
	global_store_short_d16_hi v[62:63], v50, off offset:32
	global_store_short_d16_hi v[62:63], v51, off offset:288
	;; [unrolled: 1-line block ×4, first 2 shown]
	v_pk_mul_f32 v[50:51], v[58:59], v[50:51]
	v_pk_mul_f32 v[52:53], v[60:61], v[52:53]
	v_accvgpr_read_b32 v55, a15
	v_perm_b32 v53, v53, v52, s3
	v_perm_b32 v52, v51, v50, s3
	ds_write2_b64 v89, v[64:65], v[52:53] offset1:16
	v_accvgpr_read_b32 v53, a13
	s_waitcnt vmcnt(15)
	v_lshlrev_b32_e32 v51, 16, v154
	s_waitcnt vmcnt(14)
	v_lshlrev_b32_e32 v50, 16, v155
	v_accvgpr_read_b32 v52, a12
	v_accvgpr_read_b32 v54, a14
	v_pk_add_f32 v[50:51], v[50:51], v[52:53] neg_lo:[0,1] neg_hi:[0,1]
	s_waitcnt vmcnt(13)
	v_lshlrev_b32_e32 v53, 16, v156
	s_waitcnt vmcnt(12)
	v_lshlrev_b32_e32 v52, 16, v157
	v_pk_add_f32 v[52:53], v[52:53], v[54:55] neg_lo:[0,1] neg_hi:[0,1]
	global_store_short_d16_hi v[62:63], v50, off offset:64
	global_store_short_d16_hi v[62:63], v51, off offset:320
	;; [unrolled: 1-line block ×4, first 2 shown]
	v_pk_mul_f32 v[50:51], v[58:59], v[50:51]
	v_pk_mul_f32 v[52:53], v[60:61], v[52:53]
	v_accvgpr_read_b32 v55, a1
	v_perm_b32 v50, v51, v50, s3
	v_perm_b32 v51, v53, v52, s3
	s_waitcnt vmcnt(15)
	v_lshlrev_b32_e32 v53, 16, v138
	s_waitcnt vmcnt(14)
	v_lshlrev_b32_e32 v52, 16, v139
	v_accvgpr_read_b32 v54, a0
	v_accvgpr_read_b32 v57, a3
	v_accvgpr_read_b32 v56, a2
	v_pk_add_f32 v[52:53], v[52:53], v[54:55] neg_lo:[0,1] neg_hi:[0,1]
	s_waitcnt vmcnt(13)
	v_lshlrev_b32_e32 v55, 16, v158
	s_waitcnt vmcnt(12)
	v_lshlrev_b32_e32 v54, 16, v159
	v_pk_add_f32 v[54:55], v[54:55], v[56:57] neg_lo:[0,1] neg_hi:[0,1]
	global_store_short_d16_hi v[62:63], v52, off offset:96
	global_store_short_d16_hi v[62:63], v53, off offset:352
	;; [unrolled: 1-line block ×4, first 2 shown]
	v_pk_mul_f32 v[52:53], v[58:59], v[52:53]
	v_pk_mul_f32 v[54:55], v[60:61], v[54:55]
	v_mov_b32_e32 v136, 0
	v_perm_b32 v55, v55, v54, s3
	v_perm_b32 v54, v53, v52, s3
	ds_write2_b64 v89, v[50:51], v[54:55] offset0:32 offset1:48
	v_mov_b32_e32 v50, 0
	v_mov_b32_e32 v51, 0
	;; [unrolled: 1-line block ×16, first 2 shown]
	s_cbranch_vccnz .LBB173_14
; %bb.13:                               ;   in Loop: Header=BB173_6 Depth=1
	s_and_b32 s29, s29, 0xffff
	s_mov_b32 s31, s27
	buffer_load_dwordx4 v[62:65], v126, s[28:31], 0 offen
	buffer_load_dwordx4 v[54:57], v126, s[28:31], s58 offen
	;; [unrolled: 1-line block ×4, first 2 shown]
	v_mov_b32_e32 v135, v83
	v_mov_b32_e32 v136, v82
.LBB173_14:                             ;   in Loop: Header=BB173_6 Depth=1
	s_waitcnt lgkmcnt(0)
	s_barrier
	ds_read_b64 v[146:147], v129
	ds_read2_b64 v[138:141], v119 offset1:16
	ds_read_b64 v[162:163], v130
	ds_read_b64 v[164:165], v131
	ds_read_b64 v[166:167], v132
	ds_read2_b64 v[142:145], v119 offset0:32 offset1:48
	s_waitcnt lgkmcnt(4)
	v_mfma_f32_16x16x16_bf16 a[0:3], v[146:147], v[138:139], 0
	ds_read2st64_b64 v[150:153], v121 offset0:4 offset1:8
	ds_read2st64_b64 v[154:157], v122 offset0:4 offset1:8
	;; [unrolled: 1-line block ×3, first 2 shown]
	v_mfma_f32_16x16x16_bf16 a[4:7], v[146:147], v[140:141], 0
	s_add_i32 s24, s52, s66
	s_mul_hi_i32 s25, s24, s17
	s_mul_i32 s24, s24, s17
	s_waitcnt lgkmcnt(3)
	v_mfma_f32_16x16x16_bf16 a[8:11], v[146:147], v[142:143], 0
	s_add_u32 s24, s24, s33
	s_addc_u32 s25, s25, s56
	s_lshl_b64 s[24:25], s[24:25], 15
	v_mfma_f32_16x16x16_bf16 a[12:15], v[146:147], v[144:145], 0
	ds_read2st64_b64 v[146:149], v119 offset0:4 offset1:8
	s_waitcnt lgkmcnt(0)
	v_mfma_f32_16x16x16_bf16 a[0:3], v[162:163], v[146:147], a[0:3]
	v_mfma_f32_16x16x16_bf16 a[4:7], v[162:163], v[150:151], a[4:7]
	;; [unrolled: 1-line block ×8, first 2 shown]
	ds_read_b64 v[162:163], v119 offset:6144
	ds_read_b64 v[164:165], v120 offset:40960
	;; [unrolled: 1-line block ×8, first 2 shown]
	s_waitcnt lgkmcnt(5)
	v_mfma_f32_16x16x16_bf16 a[16:19], v[168:169], v[138:139], 0
	v_mfma_f32_16x16x16_bf16 a[20:23], v[168:169], v[140:141], 0
	ds_read2st64_b64 v[138:141], v116 offset1:8
	v_mfma_f32_16x16x16_bf16 a[24:27], v[168:169], v[142:143], 0
	v_mfma_f32_16x16x16_bf16 a[28:31], v[168:169], v[144:145], 0
	ds_read2st64_b64 v[142:145], v117 offset1:8
	v_mfma_f32_16x16x16_bf16 a[16:19], v[164:165], v[146:147], a[16:19]
	s_waitcnt lgkmcnt(1)
	v_mov_b32_e32 v146, v138
	v_mov_b32_e32 v147, v139
	v_mfma_f32_16x16x16_bf16 a[20:23], v[164:165], v[150:151], a[20:23]
	v_lshl_add_u64 v[150:151], v[72:73], 0, s[24:25]
	v_mfma_f32_16x16x16_bf16 a[24:27], v[164:165], v[154:155], a[24:27]
	v_mfma_f32_16x16x16_bf16 a[28:31], v[164:165], v[158:159], a[28:31]
	;; [unrolled: 1-line block ×3, first 2 shown]
	s_waitcnt lgkmcnt(0)
	v_mov_b32_e32 v148, v142
	v_mov_b32_e32 v149, v143
	;; [unrolled: 1-line block ×3, first 2 shown]
	v_mfma_f32_16x16x16_bf16 a[32:35], v[176:177], v[152:153], a[20:23]
	v_mov_b32_e32 v143, v141
	ds_read2st64_b64 v[138:141], v116 offset0:16 offset1:24
	global_store_dwordx4 v[150:151], v[146:149], off
	v_mfma_f32_16x16x16_bf16 a[24:27], v[176:177], v[156:157], a[24:27]
	ds_read2st64_b64 v[146:149], v117 offset0:16 offset1:24
	v_add_co_u32_e32 v152, vcc, s39, v150
	v_mfma_f32_16x16x16_bf16 a[28:31], v[176:177], v[160:161], a[28:31]
	s_nop 0
	v_addc_co_u32_e32 v153, vcc, 0, v151, vcc
	global_store_dwordx4 v[152:153], v[142:145], off offset:-4096
	v_mfma_f32_16x16x16_bf16 a[0:3], v[166:167], v[162:163], a[0:3]
	s_waitcnt lgkmcnt(1)
	v_mov_b32_e32 v142, v138
	v_add_co_u32_e32 v138, vcc, s64, v150
	v_mfma_f32_16x16x16_bf16 a[4:7], v[166:167], v[170:171], a[4:7]
	v_mov_b32_e32 v143, v139
	v_addc_co_u32_e32 v139, vcc, 0, v151, vcc
	v_mfma_f32_16x16x16_bf16 a[8:11], v[166:167], v[172:173], a[8:11]
	s_waitcnt lgkmcnt(0)
	v_mov_b32_e32 v144, v146
	v_mov_b32_e32 v145, v147
	;; [unrolled: 1-line block ×3, first 2 shown]
	v_mfma_f32_16x16x16_bf16 a[12:15], v[166:167], v[174:175], a[12:15]
	v_mov_b32_e32 v147, v141
	s_and_b64 vcc, exec, s[0:1]
	global_store_dwordx4 v[152:153], v[142:145], off
	v_mfma_f32_16x16x16_bf16 a[20:23], v[178:179], v[162:163], a[16:19]
	global_store_dwordx4 v[138:139], v[146:149], off
	v_mfma_f32_16x16x16_bf16 a[16:19], v[178:179], v[170:171], a[32:35]
	v_mfma_f32_16x16x16_bf16 a[24:27], v[178:179], v[172:173], a[24:27]
	;; [unrolled: 1-line block ×3, first 2 shown]
	s_cbranch_vccnz .LBB173_16
; %bb.15:                               ;   in Loop: Header=BB173_6 Depth=1
	v_lshrrev_b32_e32 v137, 3, v135
	v_and_b32_e32 v137, 6, v137
	v_xor_b32_e32 v136, v137, v136
	v_lshlrev_b32_e32 v136, 2, v136
	v_and_b32_e32 v135, 8, v135
	v_xor_b32_e32 v138, 0x440, v136
	v_cmp_eq_u32_e32 vcc, 0, v135
	s_barrier
	s_nop 0
	v_cndmask_b32_e32 v135, v138, v136, vcc
	v_lshl_or_b32 v135, v137, 10, v135
	s_waitcnt vmcnt(5)
	v_perm_b32 v136, v62, v58, s60
	s_waitcnt vmcnt(4)
	v_perm_b32 v137, v54, v50, s60
	ds_write2st64_b32 v135, v136, v137 offset0:128 offset1:160
	v_xor_b32_e32 v136, 8, v135
	v_perm_b32 v58, v62, v58, s61
	v_perm_b32 v50, v54, v50, s61
	v_add_u32_e32 v54, 0x80, v136
	ds_write2st64_b32 v54, v58, v50 offset0:128 offset1:160
	v_xor_b32_e32 v50, 16, v135
	v_perm_b32 v54, v63, v59, s60
	v_perm_b32 v58, v55, v51, s60
	ds_write2st64_b32 v50, v54, v58 offset0:129 offset1:161
	v_xor_b32_e32 v50, 24, v135
	v_perm_b32 v54, v63, v59, s61
	v_perm_b32 v51, v55, v51, s61
	v_add_u32_e32 v50, 0x80, v50
	ds_write2st64_b32 v50, v54, v51 offset0:129 offset1:161
	v_xor_b32_e32 v50, 32, v135
	v_perm_b32 v51, v64, v60, s60
	;; [unrolled: 9-line block ×3, first 2 shown]
	v_perm_b32 v52, v57, v53, s60
	ds_write2st64_b32 v50, v51, v52 offset0:131 offset1:163
	v_xor_b32_e32 v50, 56, v135
	v_perm_b32 v51, v65, v61, s61
	v_perm_b32 v52, v57, v53, s61
	v_add_u32_e32 v50, 0x80, v50
	ds_write2st64_b32 v50, v51, v52 offset0:131 offset1:163
	ds_write_b64 v134, v[46:47] offset:49152
	v_xor_b32_e32 v46, 8, v134
	ds_write_b64 v46, v[48:49] offset:49152
	ds_write_b64 v134, v[42:43] offset:57344
	;; [unrolled: 1-line block ×4, first 2 shown]
	v_xor_b32_e32 v38, 8, v133
	ds_write_b64 v38, v[40:41] offset:49152
	ds_write_b64 v133, v[34:35] offset:57344
	ds_write_b64 v38, v[36:37] offset:57344
.LBB173_16:                             ;   in Loop: Header=BB173_6 Depth=1
	v_exp_f32_e32 v134, s44
	v_accvgpr_read_b32 v37, a3
	v_accvgpr_read_b32 v41, a7
	;; [unrolled: 1-line block ×4, first 2 shown]
	s_waitcnt vmcnt(4)
	v_accvgpr_read_b32 v53, a23
	v_accvgpr_read_b32 v57, a19
	;; [unrolled: 1-line block ×28, first 2 shown]
	s_add_i32 s59, s59, 64
	v_pk_fma_f32 v[30:31], v[134:135], v[30:31], v[34:35] op_sel_hi:[0,1,1]
	v_pk_fma_f32 v[32:33], v[134:135], v[32:33], v[36:37] op_sel_hi:[0,1,1]
	;; [unrolled: 1-line block ×15, first 2 shown]
	s_cmp_eq_u32 s50, s65
	v_pk_fma_f32 v[8:9], v[134:135], v[8:9], v[64:65] op_sel_hi:[0,1,1]
	s_cbranch_scc1 .LBB173_18
; %bb.17:                               ;   in Loop: Header=BB173_6 Depth=1
	s_mov_b32 s66, s65
	s_branch .LBB173_6
.LBB173_18:
	s_lshl_b32 s44, s50, 6
	s_sub_i32 s45, s16, s44
	s_cmp_gt_i32 s45, 0
	v_or_b32_e32 v50, s2, v78
	s_cbranch_scc1 .LBB173_20
; %bb.19:
	s_ashr_i32 s0, s33, 31
	s_add_u32 s28, s47, s33
	s_addc_u32 s29, s53, s0
	v_or_b32_e32 v34, s2, v78
	s_cbranch_execz .LBB173_21
	s_branch .LBB173_101
.LBB173_20:
                                        ; implicit-def: $sgpr28_sgpr29
                                        ; implicit-def: $vgpr34
.LBB173_21:
	s_ashr_i32 s39, s49, 31
	s_ashr_i32 s3, s44, 31
	s_cmpk_lg_i32 s19, 0x80
	s_cselect_b64 s[40:41], -1, 0
	s_and_b64 vcc, exec, s[40:41]
	s_cbranch_vccz .LBB173_23
; %bb.22:
	s_mul_i32 s1, s49, s16
	s_mul_hi_i32 s0, s49, s16
	s_add_u32 s1, s1, s44
	s_addc_u32 s0, s0, s3
	s_mul_i32 s24, s1, s51
	s_mul_hi_u32 s25, s1, s18
	s_add_i32 s24, s25, s24
	s_mul_i32 s0, s0, s18
	s_add_i32 s24, s24, s0
	s_mul_i32 s1, s1, s18
	s_ashr_i32 s0, s54, 31
	s_add_u32 s42, s1, s54
	s_addc_u32 s43, s24, s0
	s_cbranch_execz .LBB173_24
	s_branch .LBB173_25
.LBB173_23:
                                        ; implicit-def: $sgpr42_sgpr43
.LBB173_24:
	s_mul_hi_i32 s0, s49, s18
	s_mul_i32 s49, s49, s18
	s_ashr_i32 s1, s54, 31
	s_add_u32 s18, s49, s54
	s_addc_u32 s0, s0, s1
	s_mul_i32 s1, s18, s48
	s_mul_hi_u32 s24, s18, s16
	s_add_i32 s1, s24, s1
	s_mul_i32 s0, s0, s16
	s_add_i32 s1, s1, s0
	s_mul_i32 s18, s18, s16
	s_add_u32 s42, s18, s44
	s_addc_u32 s43, s1, s3
.LBB173_25:
	s_add_i32 s24, s52, s50
	s_ashr_i32 s18, s33, 31
	s_add_u32 s28, s47, s33
	s_addc_u32 s29, s53, s18
	s_mul_i32 s0, s28, s48
	s_mul_hi_u32 s1, s28, s16
	s_add_i32 s0, s1, s0
	s_mul_i32 s1, s29, s16
	s_add_i32 s1, s0, s1
	s_mul_i32 s0, s28, s16
	s_add_u32 s0, s0, s44
	v_lshlrev_b32_e32 v38, 6, v1
	v_lshlrev_b32_e32 v58, 2, v78
	s_addc_u32 s1, s1, s3
	s_mov_b32 s3, 0x7060302
	v_or_b32_e32 v41, v38, v58
	v_xor_b32_e32 v39, v1, v58
	v_perm_b32 v35, v33, v32, s3
	v_perm_b32 v34, v31, v30, s3
	;; [unrolled: 1-line block ×4, first 2 shown]
	v_lshlrev_b32_e32 v41, 1, v41
	v_xor_b32_e32 v40, v81, v58
	ds_write2st64_b64 v41, v[34:35], v[36:37] offset0:32 offset1:48
	v_lshlrev_b32_e32 v39, 1, v39
	v_lshlrev_b32_e32 v41, 8, v78
	v_or_b32_e32 v42, v39, v41
	v_lshlrev_b32_e32 v40, 1, v40
	ds_write_b64 v42, v[34:35]
	v_or_b32_e32 v34, v40, v41
	v_or_b32_e32 v41, 16, v78
	v_lshlrev_b32_e32 v57, 2, v41
	v_or_b32_e32 v42, v38, v57
	ds_write_b64 v34, v[36:37]
	v_perm_b32 v35, v25, v24, s3
	v_perm_b32 v34, v23, v22, s3
	;; [unrolled: 1-line block ×4, first 2 shown]
	v_lshlrev_b32_e32 v42, 1, v42
	v_lshlrev_b32_e32 v41, 8, v41
	ds_write2st64_b64 v42, v[34:35], v[36:37] offset0:32 offset1:48
	v_or_b32_e32 v42, v39, v41
	ds_write_b64 v42, v[34:35]
	v_or_b32_e32 v34, v40, v41
	v_or_b32_e32 v41, 32, v78
	v_lshlrev_b32_e32 v56, 2, v41
	v_or_b32_e32 v42, v38, v56
	ds_write_b64 v34, v[36:37]
	v_perm_b32 v35, v17, v16, s3
	v_perm_b32 v34, v15, v14, s3
	v_perm_b32 v37, v13, v12, s3
	v_perm_b32 v36, v11, v10, s3
	v_lshlrev_b32_e32 v42, 1, v42
	v_lshlrev_b32_e32 v41, 8, v41
	s_lshl_b64 s[30:31], s[0:1], 8
	ds_write2st64_b64 v42, v[34:35], v[36:37] offset0:32 offset1:48
	v_or_b32_e32 v42, v39, v41
	s_add_u32 s0, s6, s30
	ds_write_b64 v42, v[34:35]
	v_or_b32_e32 v34, v40, v41
	s_addc_u32 s1, s7, s31
	ds_write_b64 v34, v[36:37]
	v_perm_b32 v35, v5, v4, s3
	v_perm_b32 v34, v3, v2, s3
	;; [unrolled: 1-line block ×4, first 2 shown]
	v_or_b32_e32 v41, 48, v78
	s_mul_hi_i32 s3, s24, s17
	s_mul_i32 s24, s24, s17
	v_lshlrev_b32_e32 v53, 2, v41
	s_add_u32 s6, s24, s33
	v_or_b32_e32 v38, v38, v53
	s_addc_u32 s7, s3, s18
	v_lshlrev_b32_e32 v38, 1, v38
	s_ashr_i32 s3, s2, 31
	s_lshl_b64 s[6:7], s[6:7], 15
	ds_write2st64_b64 v38, v[34:35], v[36:37] offset0:32 offset1:48
	v_lshlrev_b32_e32 v38, 8, v41
	s_waitcnt lgkmcnt(0)
	s_add_u32 s6, s12, s6
	v_or_b32_e32 v39, v39, v38
	s_addc_u32 s7, s13, s7
	s_lshl_b64 s[2:3], s[2:3], 8
	ds_write_b64 v39, v[34:35]
	v_or_b32_e32 v34, v40, v38
	s_add_u32 s2, s6, s2
	v_lshlrev_b32_e32 v35, 1, v78
	ds_write_b64 v34, v[36:37]
	v_lshrrev_b32_e32 v34, 4, v0
	s_addc_u32 s3, s7, s3
	v_or_b32_e32 v36, 1, v35
	v_lshlrev_b32_e32 v42, 4, v78
	v_mov_b32_e32 v43, 0
	v_xor_b32_e32 v35, v34, v35
	v_xor_b32_e32 v38, v36, v34
	v_lshl_add_u64 v[44:45], s[2:3], 0, v[42:43]
	v_lshlrev_b32_e32 v42, 8, v34
	v_lshl_or_b32 v48, v35, 3, v42
	v_lshl_or_b32 v49, v38, 3, v42
	s_waitcnt lgkmcnt(0)
	s_barrier
	ds_read2st64_b64 v[34:37], v48 offset1:8
	ds_read2st64_b64 v[38:41], v49 offset1:8
	v_lshl_add_u64 v[46:47], v[44:45], 0, v[42:43]
	s_movk_i32 s2, 0x2000
	s_cmp_lg_u32 s45, 64
	s_waitcnt lgkmcnt(1)
	v_mov_b32_e32 v42, v34
	v_mov_b32_e32 v43, v35
	s_waitcnt lgkmcnt(0)
	v_mov_b32_e32 v44, v38
	v_mov_b32_e32 v45, v39
	global_store_dwordx4 v[46:47], v[42:45], off
	v_mov_b32_e32 v38, v36
	v_mov_b32_e32 v39, v37
	ds_read2st64_b64 v[34:37], v48 offset0:16 offset1:24
	ds_read2st64_b64 v[42:45], v49 offset0:16 offset1:24
	v_add_co_u32_e32 v48, vcc, s2, v46
	s_cselect_b64 s[6:7], -1, 0
	s_nop 0
	v_addc_co_u32_e32 v49, vcc, 0, v47, vcc
	global_store_dwordx4 v[48:49], v[38:41], off offset:-4096
	v_lshl_or_b32 v51, v74, 3, v80
	s_mov_b32 s24, 0
	s_waitcnt lgkmcnt(1)
	v_mov_b32_e32 v38, v34
	v_add_co_u32_e32 v34, vcc, 0x3000, v46
	v_mov_b32_e32 v39, v35
	s_nop 0
	v_addc_co_u32_e32 v35, vcc, 0, v47, vcc
	s_waitcnt lgkmcnt(0)
	v_mov_b32_e32 v40, v42
	v_mov_b32_e32 v41, v43
	v_mov_b32_e32 v42, v36
	v_mov_b32_e32 v43, v37
	v_or_b32_e32 v54, 32, v51
	v_and_b32_e32 v52, 56, v79
	s_and_b64 vcc, exec, s[6:7]
	global_store_dwordx4 v[48:49], v[38:41], off
	global_store_dwordx4 v[34:35], v[42:45], off
	s_cbranch_vccz .LBB173_31
; %bb.26:
	s_mov_b32 s26, s24
	s_mov_b32 s27, s24
	;; [unrolled: 1-line block ×3, first 2 shown]
	v_mov_b64_e32 v[40:41], s[26:27]
	v_mov_b64_e32 v[38:39], s[24:25]
	;; [unrolled: 1-line block ×3, first 2 shown]
	v_cmp_gt_i32_e32 vcc, s45, v51
	v_mov_b64_e32 v[36:37], v[40:41]
	s_and_saveexec_b64 s[2:3], vcc
	s_cbranch_execz .LBB173_28
; %bb.27:
	v_lshlrev_b32_e32 v34, 8, v51
	v_mov_b32_e32 v35, 0
	v_lshl_add_u64 v[36:37], s[0:1], 0, v[34:35]
	v_lshlrev_b32_e32 v34, 1, v52
	v_lshl_add_u64 v[42:43], v[36:37], 0, v[34:35]
	global_load_dwordx4 v[38:41], v[42:43], off
	global_load_dwordx4 v[34:37], v[42:43], off offset:128
.LBB173_28:
	s_or_b64 exec, exec, s[2:3]
	s_mov_b32 s26, s24
	s_mov_b32 s27, s24
	;; [unrolled: 1-line block ×3, first 2 shown]
	v_mov_b64_e32 v[48:49], s[26:27]
	v_mov_b64_e32 v[46:47], s[24:25]
	;; [unrolled: 1-line block ×3, first 2 shown]
	v_cmp_gt_i32_e32 vcc, s45, v54
	v_lshlrev_b32_e32 v55, 7, v54
	v_mov_b64_e32 v[44:45], v[48:49]
	s_and_saveexec_b64 s[2:3], vcc
	s_cbranch_execz .LBB173_30
; %bb.29:
	v_lshlrev_b32_e32 v42, 1, v55
	v_mov_b32_e32 v43, 0
	v_lshl_add_u64 v[44:45], s[0:1], 0, v[42:43]
	v_lshlrev_b32_e32 v42, 1, v52
	v_lshl_add_u64 v[60:61], v[44:45], 0, v[42:43]
	global_load_dwordx4 v[46:49], v[60:61], off
	global_load_dwordx4 v[42:45], v[60:61], off offset:128
.LBB173_30:
	s_or_b64 exec, exec, s[2:3]
	v_lshrrev_b32_e32 v59, 3, v52
	v_lshlrev_b32_e32 v60, 3, v51
	v_or_b32_e32 v59, v60, v59
	v_lshlrev_b32_e32 v59, 4, v59
	v_and_b32_e32 v60, 0x78, v60
	v_xor_b32_e32 v59, v59, v60
	s_branch .LBB173_33
.LBB173_31:
                                        ; implicit-def: $vgpr59
                                        ; implicit-def: $vgpr55
                                        ; implicit-def: $vgpr38_vgpr39_vgpr40_vgpr41
                                        ; implicit-def: $vgpr34_vgpr35_vgpr36_vgpr37
                                        ; implicit-def: $vgpr46_vgpr47_vgpr48_vgpr49
                                        ; implicit-def: $vgpr42_vgpr43_vgpr44_vgpr45
	s_cbranch_execz .LBB173_33
; %bb.32:
	s_waitcnt vmcnt(0)
	v_lshlrev_b32_e32 v34, 1, v52
	v_lshl_or_b32 v55, v51, 8, v34
	s_and_b32 s1, s1, 0xffff
	s_mov_b32 s3, 0x20000
	s_movk_i32 s2, 0x4000
	v_lshl_or_b32 v59, v54, 8, v34
	s_movk_i32 s12, 0x80
	buffer_load_dwordx4 v[38:41], v55, s[0:3], 0 offen
	buffer_load_dwordx4 v[34:37], v55, s[0:3], s12 offen
	;; [unrolled: 1-line block ×4, first 2 shown]
	v_lshrrev_b32_e32 v55, 3, v52
	v_lshlrev_b32_e32 v59, 3, v51
	v_or_b32_e32 v55, v59, v55
	v_lshlrev_b32_e32 v55, 4, v55
	v_and_b32_e32 v59, 0x78, v59
	v_xor_b32_e32 v59, v55, v59
	v_lshlrev_b32_e32 v55, 7, v54
.LBB173_33:
	s_movk_i32 s0, 0x1000
	v_and_or_b32 v54, v55, s0, v59
	s_waitcnt vmcnt(1)
	ds_write_b64 v59, v[38:39] offset:49152
	v_xor_b32_e32 v38, 8, v59
	ds_write_b64 v38, v[40:41] offset:49152
	s_waitcnt vmcnt(0)
	ds_write_b64 v59, v[34:35] offset:57344
	ds_write_b64 v38, v[36:37] offset:57344
	;; [unrolled: 1-line block ×3, first 2 shown]
	v_xor_b32_e32 v34, 8, v54
	ds_write_b64 v34, v[48:49] offset:49152
	ds_write_b64 v54, v[42:43] offset:57344
	;; [unrolled: 1-line block ×3, first 2 shown]
	v_or_b32_e32 v34, v75, v78
	v_lshlrev_b32_e32 v34, 3, v34
	v_lshrrev_b32_e32 v35, 5, v76
	s_movk_i32 s0, 0xf8
	v_and_or_b32 v35, v34, s0, v35
	v_lshlrev_b32_e32 v39, 4, v35
	v_lshlrev_b32_e32 v59, 11, v74
	v_and_b32_e32 v40, 0x78, v34
	v_or_b32_e32 v42, 32, v39
	v_and_b32_e32 v38, 0x1000, v59
	v_lshrrev_b32_e32 v35, 1, v76
	v_xor_b32_e32 v42, v42, v40
	v_xor_b32_e32 v34, v39, v40
	v_and_b32_e32 v41, 8, v35
	v_or_b32_e32 v42, v42, v38
	v_or_b32_e32 v34, v34, v38
	v_xor_b32_e32 v65, v42, v41
	v_or_b32_e32 v42, 64, v39
	v_xor_b32_e32 v64, v34, v41
	v_xor_b32_e32 v42, v42, v40
	s_waitcnt lgkmcnt(0)
	s_barrier
	v_or_b32_e32 v45, v42, v38
	ds_read_b64 v[42:43], v64 offset:49152
	v_lshl_or_b32 v46, v77, 8, v58
	v_lshlrev_b32_e32 v60, 1, v46
	v_add_u32_e32 v44, 0x4000, v60
	ds_read2_b64 v[34:37], v44 offset1:16
	v_or_b32_e32 v39, 0x60, v39
	v_xor_b32_e32 v39, v39, v40
	v_or_b32_e32 v38, v39, v38
	v_xor_b32_e32 v66, v45, v41
	v_xor_b32_e32 v67, v38, v41
	ds_read_b64 v[54:55], v65 offset:49152
	ds_read_b64 v[68:69], v66 offset:49152
	;; [unrolled: 1-line block ×3, first 2 shown]
	s_waitcnt lgkmcnt(3)
	v_mfma_f32_16x16x16_bf16 a[0:3], v[42:43], v[34:35], 0
	ds_read2_b64 v[38:41], v44 offset0:32 offset1:48
	s_lshl_b64 s[0:1], s[42:43], 8
	s_add_u32 s4, s4, s0
	v_mfma_f32_16x16x16_bf16 a[4:7], v[42:43], v[36:37], 0
	ds_read2st64_b64 v[34:37], v60 offset0:36 offset1:40
	s_addc_u32 s5, s5, s1
	s_add_i32 s2, s16, -1
	s_waitcnt lgkmcnt(1)
	v_mfma_f32_16x16x16_bf16 a[8:11], v[42:43], v[38:39], 0
	v_or_b32_e32 v38, 64, v46
	v_lshlrev_b32_e32 v61, 1, v38
	s_add_i32 s0, s46, s21
	s_waitcnt lgkmcnt(0)
	v_mfma_f32_16x16x16_bf16 a[0:3], v[54:55], v[34:35], a[0:3]
	v_or_b32_e32 v34, 0x80, v46
	v_lshlrev_b32_e32 v62, 1, v34
	v_or_b32_e32 v34, 0xc0, v46
	v_mfma_f32_16x16x16_bf16 a[12:15], v[42:43], v[40:41], 0
	ds_read2st64_b64 v[38:41], v61 offset0:36 offset1:40
	v_lshlrev_b32_e32 v63, 1, v34
	ds_read2st64_b64 v[42:45], v62 offset0:36 offset1:40
	ds_read2st64_b64 v[46:49], v63 offset0:36 offset1:40
	s_mul_i32 s39, s39, s20
	s_add_i32 s39, s0, s39
	s_mul_i32 s0, s33, s23
	s_mul_hi_u32 s1, s33, s22
	s_ashr_i32 s3, s2, 31
	s_mul_i32 s12, s2, s37
	s_mul_hi_u32 s13, s2, s36
	s_waitcnt lgkmcnt(2)
	v_mfma_f32_16x16x16_bf16 a[4:7], v[54:55], v[38:39], a[4:7]
	s_add_i32 s0, s1, s0
	s_mul_i32 s1, s18, s22
	s_add_i32 s12, s13, s12
	s_mul_i32 s3, s3, s36
	s_waitcnt lgkmcnt(1)
	v_mfma_f32_16x16x16_bf16 a[8:11], v[54:55], v[42:43], a[8:11]
	s_add_i32 s1, s0, s1
	s_add_i32 s3, s12, s3
	s_lshl_b64 s[12:13], s[38:39], 2
	s_waitcnt lgkmcnt(0)
	v_mfma_f32_16x16x16_bf16 a[12:15], v[54:55], v[46:47], a[12:15]
	s_mul_i32 s0, s33, s22
	s_add_u32 s10, s10, s12
	s_addc_u32 s11, s11, s13
	s_lshl_b64 s[0:1], s[0:1], 2
	v_mfma_f32_16x16x16_bf16 a[0:3], v[68:69], v[36:37], a[0:3]
	s_mul_i32 s2, s2, s36
	ds_read_b64 v[34:35], v60 offset:22528
	s_add_u32 s10, s10, s0
	v_mfma_f32_16x16x16_bf16 a[4:7], v[68:69], v[40:41], a[4:7]
	ds_read_b64 v[36:37], v61 offset:22528
	ds_read_b64 v[38:39], v62 offset:22528
	ds_read_b64 v[40:41], v63 offset:22528
	s_addc_u32 s11, s11, s1
	s_lshl_b64 s[0:1], s[2:3], 2
	v_mfma_f32_16x16x16_bf16 a[8:11], v[68:69], v[44:45], a[8:11]
	s_add_u32 s0, s10, s0
	s_addc_u32 s1, s11, s1
	s_load_dword s12, s[0:1], 0x0
	v_mfma_f32_16x16x16_bf16 a[12:15], v[68:69], v[48:49], a[12:15]
	s_and_b64 vcc, exec, s[40:41]
	s_waitcnt lgkmcnt(0)
	v_mfma_f32_16x16x16_bf16 a[0:3], v[70:71], v[34:35], a[0:3]
	v_mfma_f32_16x16x16_bf16 a[4:7], v[70:71], v[36:37], a[4:7]
	;; [unrolled: 1-line block ×4, first 2 shown]
	s_cbranch_vccz .LBB173_44
; %bb.34:
	v_lshlrev_b32_e32 v54, 1, v51
	s_and_b64 vcc, exec, s[6:7]
	s_cbranch_vccz .LBB173_45
; %bb.35:
	v_cmp_gt_i32_e32 vcc, s45, v54
	v_mov_b32_e32 v38, 0
	v_mov_b32_e32 v34, 0
	v_mov_b32_e32 v35, 0
	v_mov_b32_e32 v36, 0
	v_mov_b32_e32 v37, 0
	s_and_saveexec_b64 s[0:1], vcc
	s_cbranch_execz .LBB173_37
; %bb.36:
	v_mad_i64_i32 v[34:35], s[2:3], s19, v54, 0
	v_lshl_add_u64 v[34:35], v[34:35], 1, s[4:5]
	v_lshlrev_b32_e32 v36, 1, v52
	v_mov_b32_e32 v37, 0
	v_lshl_add_u64 v[34:35], v[34:35], 0, v[36:37]
	global_load_dwordx4 v[34:37], v[34:35], off
.LBB173_37:
	s_or_b64 exec, exec, s[0:1]
	v_or_b32_e32 v55, 1, v54
	v_cmp_gt_i32_e64 s[0:1], s45, v55
	v_mov_b32_e32 v39, 0
	v_mov_b32_e32 v40, 0
	;; [unrolled: 1-line block ×3, first 2 shown]
	s_and_saveexec_b64 s[2:3], s[0:1]
	s_cbranch_execz .LBB173_39
; %bb.38:
	v_mad_i64_i32 v[38:39], s[16:17], s19, v55, 0
	v_lshl_add_u64 v[38:39], v[38:39], 1, s[4:5]
	v_lshlrev_b32_e32 v40, 1, v52
	v_mov_b32_e32 v41, 0
	v_lshl_add_u64 v[38:39], v[38:39], 0, v[40:41]
	global_load_dwordx4 v[38:41], v[38:39], off
.LBB173_39:
	s_or_b64 exec, exec, s[2:3]
	v_mov_b32_e32 v49, 0
	v_mov_b32_e32 v42, 0
	;; [unrolled: 1-line block ×5, first 2 shown]
	s_and_saveexec_b64 s[2:3], vcc
	s_cbranch_execz .LBB173_41
; %bb.40:
	v_mad_i64_i32 v[42:43], s[16:17], s19, v54, 0
	v_lshl_add_u64 v[42:43], v[42:43], 1, s[4:5]
	v_lshlrev_b32_e32 v44, 1, v52
	v_mov_b32_e32 v45, 0
	v_lshl_add_u64 v[42:43], v[42:43], 0, v[44:45]
	global_load_dwordx4 v[42:45], v[42:43], off offset:128
.LBB173_41:
	s_or_b64 exec, exec, s[2:3]
	v_mov_b32_e32 v48, 0
	v_mov_b32_e32 v47, 0
	;; [unrolled: 1-line block ×3, first 2 shown]
	s_and_saveexec_b64 s[2:3], s[0:1]
	s_cbranch_execz .LBB173_43
; %bb.42:
	v_mad_i64_i32 v[46:47], s[0:1], s19, v55, 0
	v_lshl_add_u64 v[46:47], v[46:47], 1, s[4:5]
	v_lshlrev_b32_e32 v48, 1, v52
	v_mov_b32_e32 v49, 0
	v_lshl_add_u64 v[46:47], v[46:47], 0, v[48:49]
	global_load_dwordx4 v[46:49], v[46:47], off offset:128
.LBB173_43:
	s_or_b64 exec, exec, s[2:3]
	s_branch .LBB173_47
.LBB173_44:
                                        ; implicit-def: $vgpr37
                                        ; implicit-def: $vgpr41
                                        ; implicit-def: $vgpr45
                                        ; implicit-def: $vgpr49
	v_lshrrev_b32_e32 v68, 2, v76
	s_branch .LBB173_48
.LBB173_45:
                                        ; implicit-def: $vgpr37
                                        ; implicit-def: $vgpr41
                                        ; implicit-def: $vgpr45
                                        ; implicit-def: $vgpr49
	s_cbranch_execz .LBB173_47
; %bb.46:
	s_waitcnt vmcnt(0)
	v_mad_u64_u32 v[34:35], s[0:1], v54, s19, v[52:53]
	v_lshlrev_b32_e32 v54, 1, v34
	s_lshl_b32 s2, s19, 7
	s_and_b32 s1, s5, 0xffff
	s_mov_b32 s3, 0x20000
	s_mov_b32 s0, s4
	v_add_lshl_u32 v55, v34, s19, 1
	s_movk_i32 s13, 0x80
	buffer_load_dwordx4 v[34:37], v54, s[0:3], 0 offen
	buffer_load_dwordx4 v[42:45], v54, s[0:3], s13 offen
	;; [unrolled: 1-line block ×4, first 2 shown]
.LBB173_47:
	v_lshrrev_b32_e32 v68, 2, v76
	s_cbranch_execnz .LBB173_60
.LBB173_48:
	s_and_b64 vcc, exec, s[6:7]
	s_cbranch_vccz .LBB173_58
; %bb.49:
	s_waitcnt vmcnt(0)
	v_lshlrev_b32_e32 v39, 1, v51
	v_cmp_gt_i32_e32 vcc, s45, v39
	v_mov_b32_e32 v38, 0
	v_lshlrev_b32_e32 v46, 9, v51
	v_mov_b32_e32 v34, 0
	v_mov_b32_e32 v35, 0
	;; [unrolled: 1-line block ×4, first 2 shown]
	s_and_saveexec_b64 s[0:1], vcc
	s_cbranch_execz .LBB173_51
; %bb.50:
	v_mov_b32_e32 v47, 0
	v_lshl_add_u64 v[34:35], s[4:5], 0, v[46:47]
	v_lshlrev_b32_e32 v36, 1, v52
	v_mov_b32_e32 v37, v47
	v_lshl_add_u64 v[34:35], v[34:35], 0, v[36:37]
	global_load_dwordx4 v[34:37], v[34:35], off
.LBB173_51:
	s_or_b64 exec, exec, s[0:1]
	v_or_b32_e32 v39, 1, v39
	v_cmp_gt_i32_e64 s[0:1], s45, v39
	v_lshlrev_b32_e32 v54, 8, v39
	v_mov_b32_e32 v39, 0
	v_mov_b32_e32 v40, 0
	;; [unrolled: 1-line block ×3, first 2 shown]
	s_and_saveexec_b64 s[2:3], s[0:1]
	s_cbranch_execz .LBB173_53
; %bb.52:
	v_mov_b32_e32 v55, 0
	v_lshl_add_u64 v[38:39], s[4:5], 0, v[54:55]
	v_lshlrev_b32_e32 v40, 1, v52
	v_mov_b32_e32 v41, v55
	v_lshl_add_u64 v[38:39], v[38:39], 0, v[40:41]
	global_load_dwordx4 v[38:41], v[38:39], off
.LBB173_53:
	s_or_b64 exec, exec, s[2:3]
	v_mov_b32_e32 v49, 0
	v_mov_b32_e32 v42, 0
	;; [unrolled: 1-line block ×5, first 2 shown]
	s_and_saveexec_b64 s[2:3], vcc
	s_cbranch_execz .LBB173_55
; %bb.54:
	v_mov_b32_e32 v47, 0
	v_lshl_add_u64 v[42:43], s[4:5], 0, v[46:47]
	v_lshlrev_b32_e32 v46, 1, v52
	v_lshl_add_u64 v[42:43], v[42:43], 0, v[46:47]
	global_load_dwordx4 v[42:45], v[42:43], off offset:128
.LBB173_55:
	s_or_b64 exec, exec, s[2:3]
	v_mov_b32_e32 v48, 0
	v_mov_b32_e32 v47, 0
	;; [unrolled: 1-line block ×3, first 2 shown]
	s_and_saveexec_b64 s[2:3], s[0:1]
	s_cbranch_execz .LBB173_57
; %bb.56:
	v_mov_b32_e32 v55, 0
	v_lshl_add_u64 v[46:47], s[4:5], 0, v[54:55]
	v_lshlrev_b32_e32 v54, 1, v52
	v_lshl_add_u64 v[46:47], v[46:47], 0, v[54:55]
	global_load_dwordx4 v[46:49], v[46:47], off offset:128
.LBB173_57:
	s_or_b64 exec, exec, s[2:3]
	s_branch .LBB173_60
.LBB173_58:
                                        ; implicit-def: $vgpr37
                                        ; implicit-def: $vgpr41
                                        ; implicit-def: $vgpr45
                                        ; implicit-def: $vgpr49
	s_cbranch_execz .LBB173_60
; %bb.59:
	s_waitcnt vmcnt(0)
	v_lshlrev_b32_e32 v34, 1, v52
	v_lshl_or_b32 v52, v51, 9, v34
	s_and_b32 s5, s5, 0xffff
	s_mov_b32 s7, 0x20000
	s_movk_i32 s6, 0x4000
	s_movk_i32 s0, 0x80
	buffer_load_dwordx4 v[34:37], v52, s[4:7], 0 offen
	buffer_load_dwordx4 v[38:41], v52, s[4:7], 0 offen offset:256
	buffer_load_dwordx4 v[42:45], v52, s[4:7], s0 offen
	buffer_load_dwordx4 v[46:49], v52, s[4:7], s0 offen offset:256
.LBB173_60:
	ds_read_b64 v[54:55], v64 offset:57344
	v_add_u32_e32 v52, 0x6000, v60
	ds_read2_b64 v[70:73], v52 offset1:16
	ds_read_b64 v[84:85], v65 offset:57344
	ds_read_b64 v[86:87], v66 offset:57344
	;; [unrolled: 1-line block ×3, first 2 shown]
	ds_read2_b64 v[64:67], v52 offset0:32 offset1:48
	v_and_b32_e32 v52, 6, v0
	v_xor_b32_e32 v51, v51, v52
	v_lshlrev_b32_e32 v51, 2, v51
	s_mov_b32 s0, 0x1000504
	s_mov_b32 s1, 0x3020706
	s_waitcnt lgkmcnt(4)
	v_mfma_f32_16x16x16_bf16 a[4:7], v[54:55], v[72:73], a[4:7]
	v_mfma_f32_16x16x16_bf16 a[0:3], v[54:55], v[70:71], a[0:3]
	ds_read2st64_b64 v[70:73], v60 offset0:52 offset1:56
	s_waitcnt lgkmcnt(1)
	v_mfma_f32_16x16x16_bf16 a[8:11], v[54:55], v[64:65], a[8:11]
	v_mfma_f32_16x16x16_bf16 a[12:15], v[54:55], v[66:67], a[12:15]
	ds_read2st64_b64 v[64:67], v61 offset0:52 offset1:56
	ds_read2st64_b64 v[76:79], v62 offset0:52 offset1:56
	;; [unrolled: 1-line block ×3, first 2 shown]
	s_waitcnt lgkmcnt(2)
	v_mfma_f32_16x16x16_bf16 a[4:7], v[84:85], v[64:65], a[4:7]
	v_and_b32_e32 v64, 1, v0
	v_xor_b32_e32 v65, 0x440, v51
	v_cmp_eq_u32_e32 vcc, 0, v64
	v_mfma_f32_16x16x16_bf16 a[0:3], v[84:85], v[70:71], a[0:3]
	s_waitcnt vmcnt(0)
	v_perm_b32 v64, v42, v46, s0
	v_cndmask_b32_e32 v51, v65, v51, vcc
	v_lshl_or_b32 v51, v52, 10, v51
	s_waitcnt lgkmcnt(1)
	v_mfma_f32_16x16x16_bf16 a[8:11], v[84:85], v[76:77], a[8:11]
	v_perm_b32 v52, v34, v38, s0
	ds_read_b64 v[54:55], v60 offset:30720
	ds_read_b64 v[70:71], v61 offset:30720
	;; [unrolled: 1-line block ×4, first 2 shown]
	ds_write2st64_b32 v51, v52, v64 offset0:128 offset1:160
	s_waitcnt lgkmcnt(5)
	v_mfma_f32_16x16x16_bf16 a[12:15], v[84:85], v[80:81], a[12:15]
	v_xor_b32_e32 v52, 8, v51
	v_perm_b32 v34, v34, v38, s1
	v_perm_b32 v38, v42, v46, s1
	v_add_u32_e32 v42, 0x80, v52
	ds_write2st64_b32 v42, v34, v38 offset0:128 offset1:160
	v_xor_b32_e32 v34, 16, v51
	v_perm_b32 v38, v35, v39, s0
	v_perm_b32 v42, v43, v47, s0
	v_mfma_f32_16x16x16_bf16 a[0:3], v[86:87], v[72:73], a[0:3]
	ds_write2st64_b32 v34, v38, v42 offset0:129 offset1:161
	v_xor_b32_e32 v34, 24, v51
	v_perm_b32 v35, v35, v39, s1
	v_mfma_f32_16x16x16_bf16 a[4:7], v[86:87], v[66:67], a[4:7]
	v_perm_b32 v38, v43, v47, s1
	v_add_u32_e32 v34, 0x80, v34
	ds_write2st64_b32 v34, v35, v38 offset0:129 offset1:161
	v_mfma_f32_16x16x16_bf16 a[16:19], v[86:87], v[78:79], a[8:11]
	v_xor_b32_e32 v34, 32, v51
	v_perm_b32 v35, v36, v40, s0
	v_perm_b32 v38, v44, v48, s0
	v_mfma_f32_16x16x16_bf16 a[20:23], v[86:87], v[82:83], a[12:15]
	ds_write2st64_b32 v34, v35, v38 offset0:130 offset1:162
	v_xor_b32_e32 v34, 40, v51
	v_perm_b32 v35, v36, v40, s1
	s_waitcnt lgkmcnt(8)
	v_mfma_f32_16x16x16_bf16 a[12:15], v[88:89], v[54:55], a[0:3]
	v_perm_b32 v36, v44, v48, s1
	v_add_u32_e32 v34, 0x80, v34
	ds_write2st64_b32 v34, v35, v36 offset0:130 offset1:162
	s_waitcnt lgkmcnt(8)
	v_mfma_f32_16x16x16_bf16 a[8:11], v[88:89], v[70:71], a[4:7]
	v_xor_b32_e32 v34, 48, v51
	v_perm_b32 v35, v37, v41, s0
	v_perm_b32 v36, v45, v49, s0
	s_waitcnt lgkmcnt(7)
	v_mfma_f32_16x16x16_bf16 a[4:7], v[88:89], v[90:91], a[16:19]
	ds_write2st64_b32 v34, v35, v36 offset0:131 offset1:163
	v_xor_b32_e32 v34, 56, v51
	v_and_or_b32 v65, v68, 12, v75
	s_waitcnt lgkmcnt(7)
	v_mfma_f32_16x16x16_bf16 a[0:3], v[88:89], v[92:93], a[20:23]
	v_perm_b32 v35, v37, v41, s1
	v_perm_b32 v36, v45, v49, s1
	v_add_u32_e32 v34, 0x80, v34
	v_cmp_gt_i32_e64 s[0:1], s45, v65
	v_mov_b32_e32 v54, 0
	v_mov_b32_e32 v55, 0
	ds_write2st64_b32 v34, v35, v36 offset0:131 offset1:163
	s_and_saveexec_b64 s[2:3], s[0:1]
	s_cbranch_execz .LBB173_62
; %bb.61:
	v_add_u32_e32 v34, s44, v65
	v_ashrrev_i32_e32 v35, 31, v34
	v_mul_lo_u32 v36, v35, s36
	v_mul_lo_u32 v37, v34, s37
	v_mad_u64_u32 v[34:35], s[4:5], v34, s36, 0
	v_add3_u32 v35, v35, v37, v36
	v_lshl_add_u64 v[34:35], v[34:35], 2, s[10:11]
	global_load_dword v34, v[34:35], off
	s_waitcnt vmcnt(0)
	v_sub_f32_e32 v34, s12, v34
	v_exp_f32_e32 v55, v34
.LBB173_62:
	s_or_b64 exec, exec, s[2:3]
	v_or_b32_e32 v46, 1, v65
	v_cmp_gt_i32_e64 s[4:5], s45, v46
	s_and_saveexec_b64 s[2:3], s[4:5]
	s_cbranch_execz .LBB173_64
; %bb.63:
	v_add_u32_e32 v34, s44, v46
	v_ashrrev_i32_e32 v35, 31, v34
	v_mul_lo_u32 v36, v35, s36
	v_mul_lo_u32 v37, v34, s37
	v_mad_u64_u32 v[34:35], s[6:7], v34, s36, 0
	v_add3_u32 v35, v35, v37, v36
	v_lshl_add_u64 v[34:35], v[34:35], 2, s[10:11]
	global_load_dword v34, v[34:35], off
	s_waitcnt vmcnt(0)
	v_sub_f32_e32 v34, s12, v34
	v_exp_f32_e32 v54, v34
.LBB173_64:
	s_or_b64 exec, exec, s[2:3]
	v_or_b32_e32 v42, 2, v65
	v_cmp_gt_i32_e64 s[2:3], s45, v42
	v_mov_b32_e32 v52, 0
	v_mov_b32_e32 v64, 0
	s_and_saveexec_b64 s[6:7], s[2:3]
	s_cbranch_execz .LBB173_66
; %bb.65:
	v_add_u32_e32 v34, s44, v42
	v_ashrrev_i32_e32 v35, 31, v34
	v_mul_lo_u32 v36, v35, s36
	v_mul_lo_u32 v37, v34, s37
	v_mad_u64_u32 v[34:35], s[16:17], v34, s36, 0
	v_add3_u32 v35, v35, v37, v36
	v_lshl_add_u64 v[34:35], v[34:35], 2, s[10:11]
	global_load_dword v34, v[34:35], off
	s_waitcnt vmcnt(0)
	v_sub_f32_e32 v34, s12, v34
	v_exp_f32_e32 v64, v34
.LBB173_66:
	s_or_b64 exec, exec, s[6:7]
	v_or_b32_e32 v43, 3, v65
	v_cmp_gt_i32_e32 vcc, s45, v43
	s_and_saveexec_b64 s[6:7], vcc
	s_cbranch_execz .LBB173_68
; %bb.67:
	v_add_u32_e32 v34, s44, v43
	v_ashrrev_i32_e32 v35, 31, v34
	v_mul_lo_u32 v36, v35, s36
	v_mul_lo_u32 v37, v34, s37
	v_mad_u64_u32 v[34:35], s[16:17], v34, s36, 0
	v_add3_u32 v35, v35, v37, v36
	v_lshl_add_u64 v[34:35], v[34:35], 2, s[10:11]
	global_load_dword v34, v[34:35], off
	s_waitcnt vmcnt(0)
	v_sub_f32_e32 v34, s12, v34
	v_exp_f32_e32 v52, v34
.LBB173_68:
	s_or_b64 exec, exec, s[6:7]
	s_add_u32 s6, s8, s30
	s_addc_u32 s7, s9, s31
	s_add_u32 s8, s14, s30
	v_ashrrev_i32_e32 v51, 31, v50
	v_accvgpr_read_b32 v37, a15
	s_addc_u32 s9, s15, s31
	v_lshlrev_b64 v[38:39], 1, v[50:51]
	v_accvgpr_read_b32 v36, a14
	v_accvgpr_read_b32 v35, a13
	;; [unrolled: 1-line block ×3, first 2 shown]
	v_lshl_add_u64 v[40:41], s[6:7], 0, v[38:39]
	v_lshl_add_u64 v[38:39], s[8:9], 0, v[38:39]
	v_mov_b32_e32 v47, 0
	v_lshlrev_b32_e32 v44, 8, v65
	v_mov_b32_e32 v45, 0
	s_and_saveexec_b64 s[6:7], s[0:1]
	s_cbranch_execz .LBB173_70
; %bb.69:
	v_mov_b32_e32 v45, 0
	v_lshl_add_u64 v[48:49], v[40:41], 0, v[44:45]
	global_load_ushort v51, v[48:49], off
	v_lshl_add_u64 v[48:49], v[38:39], 0, v[44:45]
	s_waitcnt vmcnt(0)
	v_lshlrev_b32_e32 v45, 16, v51
	v_sub_f32_e32 v34, v45, v34
	global_store_short_d16_hi v[48:49], v34, off
	v_mul_f32_e32 v34, v55, v34
	v_lshrrev_b32_e32 v45, 16, v34
.LBB173_70:
	s_or_b64 exec, exec, s[6:7]
	v_lshlrev_b32_e32 v46, 8, v46
	s_and_saveexec_b64 s[6:7], s[4:5]
	s_cbranch_execz .LBB173_72
; %bb.71:
	v_mov_b32_e32 v47, 0
	v_lshl_add_u64 v[48:49], v[40:41], 0, v[46:47]
	global_load_ushort v34, v[48:49], off
	v_lshl_add_u64 v[48:49], v[38:39], 0, v[46:47]
	s_waitcnt vmcnt(0)
	v_lshlrev_b32_e32 v34, 16, v34
	v_sub_f32_e32 v34, v34, v35
	global_store_short_d16_hi v[48:49], v34, off
	v_mul_f32_e32 v34, v54, v34
	v_lshrrev_b32_e32 v47, 16, v34
.LBB173_72:
	s_or_b64 exec, exec, s[6:7]
	v_mov_b32_e32 v66, 0
	v_lshlrev_b32_e32 v48, 8, v42
	v_mov_b32_e32 v49, 0
	s_and_saveexec_b64 s[6:7], s[2:3]
	s_cbranch_execz .LBB173_74
; %bb.73:
	v_mov_b32_e32 v49, 0
	v_lshl_add_u64 v[34:35], v[40:41], 0, v[48:49]
	global_load_ushort v42, v[34:35], off
	v_lshl_add_u64 v[34:35], v[38:39], 0, v[48:49]
	s_waitcnt vmcnt(0)
	v_lshlrev_b32_e32 v42, 16, v42
	v_sub_f32_e32 v36, v42, v36
	global_store_short_d16_hi v[34:35], v36, off
	v_mul_f32_e32 v34, v64, v36
	v_lshrrev_b32_e32 v49, 16, v34
.LBB173_74:
	s_or_b64 exec, exec, s[6:7]
	v_lshlrev_b32_e32 v42, 8, v43
	s_and_saveexec_b64 s[6:7], vcc
	s_cbranch_execz .LBB173_76
; %bb.75:
	v_mov_b32_e32 v43, 0
	v_lshl_add_u64 v[34:35], v[40:41], 0, v[42:43]
	global_load_ushort v36, v[34:35], off
	v_lshl_add_u64 v[34:35], v[38:39], 0, v[42:43]
	s_waitcnt vmcnt(0)
	v_lshlrev_b32_e32 v36, 16, v36
	v_sub_f32_e32 v36, v36, v37
	global_store_short_d16_hi v[34:35], v36, off
	v_mul_f32_e32 v34, v52, v36
	v_lshrrev_b32_e32 v66, 16, v34
.LBB173_76:
	s_or_b64 exec, exec, s[6:7]
	v_lshlrev_b32_e32 v51, 6, v65
	v_accvgpr_read_b32 v37, a11
	s_mov_b32 s6, 0x5040100
	v_or_b32_e32 v43, v51, v58
	v_accvgpr_read_b32 v36, a10
	v_accvgpr_read_b32 v35, a9
	;; [unrolled: 1-line block ×3, first 2 shown]
	v_perm_b32 v67, v66, v49, s6
	v_perm_b32 v66, v47, v45, s6
	v_lshlrev_b32_e32 v43, 1, v43
	v_mov_b32_e32 v47, 0
	v_mov_b32_e32 v45, 0
	ds_write_b64 v43, v[66:67] offset:24576
	s_and_saveexec_b64 s[6:7], s[0:1]
	s_cbranch_execz .LBB173_78
; %bb.77:
	v_mov_b32_e32 v45, 0
	v_lshl_add_u64 v[66:67], v[40:41], 0, v[44:45]
	global_load_ushort v43, v[66:67], off offset:32
	v_lshl_add_u64 v[66:67], v[38:39], 0, v[44:45]
	s_waitcnt vmcnt(0)
	v_lshlrev_b32_e32 v43, 16, v43
	v_sub_f32_e32 v34, v43, v34
	global_store_short_d16_hi v[66:67], v34, off offset:32
	v_mul_f32_e32 v34, v55, v34
	v_lshrrev_b32_e32 v45, 16, v34
.LBB173_78:
	s_or_b64 exec, exec, s[6:7]
	s_and_saveexec_b64 s[6:7], s[4:5]
	s_cbranch_execz .LBB173_80
; %bb.79:
	v_mov_b32_e32 v47, 0
	v_lshl_add_u64 v[66:67], v[40:41], 0, v[46:47]
	global_load_ushort v34, v[66:67], off offset:32
	v_lshl_add_u64 v[66:67], v[38:39], 0, v[46:47]
	s_waitcnt vmcnt(0)
	v_lshlrev_b32_e32 v34, 16, v34
	v_sub_f32_e32 v34, v34, v35
	global_store_short_d16_hi v[66:67], v34, off offset:32
	v_mul_f32_e32 v34, v54, v34
	v_lshrrev_b32_e32 v47, 16, v34
.LBB173_80:
	s_or_b64 exec, exec, s[6:7]
	v_mov_b32_e32 v43, 0
	v_mov_b32_e32 v49, 0
	s_and_saveexec_b64 s[6:7], s[2:3]
	s_cbranch_execz .LBB173_82
; %bb.81:
	v_mov_b32_e32 v49, 0
	v_lshl_add_u64 v[34:35], v[40:41], 0, v[48:49]
	global_load_ushort v58, v[34:35], off offset:32
	v_lshl_add_u64 v[34:35], v[38:39], 0, v[48:49]
	s_waitcnt vmcnt(0)
	v_lshlrev_b32_e32 v49, 16, v58
	v_sub_f32_e32 v36, v49, v36
	global_store_short_d16_hi v[34:35], v36, off offset:32
	v_mul_f32_e32 v34, v64, v36
	v_lshrrev_b32_e32 v49, 16, v34
.LBB173_82:
	s_or_b64 exec, exec, s[6:7]
	s_and_saveexec_b64 s[6:7], vcc
	s_cbranch_execz .LBB173_84
; %bb.83:
	v_mov_b32_e32 v43, 0
	v_lshl_add_u64 v[34:35], v[40:41], 0, v[42:43]
	global_load_ushort v36, v[34:35], off offset:32
	v_lshl_add_u64 v[34:35], v[38:39], 0, v[42:43]
	s_waitcnt vmcnt(0)
	v_lshlrev_b32_e32 v36, 16, v36
	v_sub_f32_e32 v36, v36, v37
	global_store_short_d16_hi v[34:35], v36, off offset:32
	v_mul_f32_e32 v34, v52, v36
	v_lshrrev_b32_e32 v43, 16, v34
.LBB173_84:
	s_or_b64 exec, exec, s[6:7]
	s_mov_b32 s6, 0x5040100
	v_accvgpr_read_b32 v37, a7
	v_perm_b32 v67, v43, v49, s6
	v_or_b32_e32 v43, v51, v57
	v_accvgpr_read_b32 v36, a6
	v_accvgpr_read_b32 v35, a5
	;; [unrolled: 1-line block ×3, first 2 shown]
	v_perm_b32 v66, v47, v45, s6
	v_lshlrev_b32_e32 v43, 1, v43
	v_mov_b32_e32 v47, 0
	v_mov_b32_e32 v45, 0
	ds_write_b64 v43, v[66:67] offset:24576
	s_and_saveexec_b64 s[6:7], s[0:1]
	s_cbranch_execz .LBB173_86
; %bb.85:
	v_mov_b32_e32 v45, 0
	v_lshl_add_u64 v[66:67], v[40:41], 0, v[44:45]
	global_load_ushort v43, v[66:67], off offset:64
	v_lshl_add_u64 v[66:67], v[38:39], 0, v[44:45]
	s_waitcnt vmcnt(0)
	v_lshlrev_b32_e32 v43, 16, v43
	v_sub_f32_e32 v34, v43, v34
	global_store_short_d16_hi v[66:67], v34, off offset:64
	v_mul_f32_e32 v34, v55, v34
	v_lshrrev_b32_e32 v45, 16, v34
.LBB173_86:
	s_or_b64 exec, exec, s[6:7]
	s_and_saveexec_b64 s[6:7], s[4:5]
	s_cbranch_execz .LBB173_88
; %bb.87:
	v_mov_b32_e32 v47, 0
	v_lshl_add_u64 v[66:67], v[40:41], 0, v[46:47]
	global_load_ushort v34, v[66:67], off offset:64
	v_lshl_add_u64 v[66:67], v[38:39], 0, v[46:47]
	s_waitcnt vmcnt(0)
	v_lshlrev_b32_e32 v34, 16, v34
	v_sub_f32_e32 v34, v34, v35
	global_store_short_d16_hi v[66:67], v34, off offset:64
	v_mul_f32_e32 v34, v54, v34
	v_lshrrev_b32_e32 v47, 16, v34
.LBB173_88:
	s_or_b64 exec, exec, s[6:7]
	v_mov_b32_e32 v43, 0
	v_mov_b32_e32 v49, 0
	s_and_saveexec_b64 s[6:7], s[2:3]
	s_cbranch_execz .LBB173_90
; %bb.89:
	v_mov_b32_e32 v49, 0
	v_lshl_add_u64 v[34:35], v[40:41], 0, v[48:49]
	global_load_ushort v57, v[34:35], off offset:64
	v_lshl_add_u64 v[34:35], v[38:39], 0, v[48:49]
	s_waitcnt vmcnt(0)
	v_lshlrev_b32_e32 v49, 16, v57
	v_sub_f32_e32 v36, v49, v36
	global_store_short_d16_hi v[34:35], v36, off offset:64
	v_mul_f32_e32 v34, v64, v36
	v_lshrrev_b32_e32 v49, 16, v34
.LBB173_90:
	s_or_b64 exec, exec, s[6:7]
	s_and_saveexec_b64 s[6:7], vcc
	s_cbranch_execz .LBB173_92
; %bb.91:
	v_mov_b32_e32 v43, 0
	v_lshl_add_u64 v[34:35], v[40:41], 0, v[42:43]
	global_load_ushort v36, v[34:35], off offset:64
	v_lshl_add_u64 v[34:35], v[38:39], 0, v[42:43]
	s_waitcnt vmcnt(0)
	v_lshlrev_b32_e32 v36, 16, v36
	v_sub_f32_e32 v36, v36, v37
	global_store_short_d16_hi v[34:35], v36, off offset:64
	v_mul_f32_e32 v34, v52, v36
	v_lshrrev_b32_e32 v43, 16, v34
.LBB173_92:
	s_or_b64 exec, exec, s[6:7]
	s_mov_b32 s6, 0x5040100
	v_accvgpr_read_b32 v37, a3
	v_perm_b32 v67, v43, v49, s6
	v_or_b32_e32 v43, v51, v56
	v_accvgpr_read_b32 v36, a2
	v_accvgpr_read_b32 v35, a1
	;; [unrolled: 1-line block ×3, first 2 shown]
	v_perm_b32 v66, v47, v45, s6
	v_lshlrev_b32_e32 v43, 1, v43
	v_mov_b32_e32 v47, 0
	v_mov_b32_e32 v45, 0
	ds_write_b64 v43, v[66:67] offset:24576
	s_and_saveexec_b64 s[6:7], s[0:1]
	s_cbranch_execz .LBB173_94
; %bb.93:
	v_mov_b32_e32 v45, 0
	v_lshl_add_u64 v[56:57], v[40:41], 0, v[44:45]
	global_load_ushort v43, v[56:57], off offset:96
	v_lshl_add_u64 v[44:45], v[38:39], 0, v[44:45]
	s_waitcnt vmcnt(0)
	v_lshlrev_b32_e32 v43, 16, v43
	v_sub_f32_e32 v34, v43, v34
	global_store_short_d16_hi v[44:45], v34, off offset:96
	v_mul_f32_e32 v34, v55, v34
	v_lshrrev_b32_e32 v45, 16, v34
.LBB173_94:
	s_or_b64 exec, exec, s[6:7]
	s_and_saveexec_b64 s[0:1], s[4:5]
	s_cbranch_execz .LBB173_96
; %bb.95:
	v_mov_b32_e32 v47, 0
	v_lshl_add_u64 v[56:57], v[40:41], 0, v[46:47]
	global_load_ushort v34, v[56:57], off offset:96
	v_lshl_add_u64 v[46:47], v[38:39], 0, v[46:47]
	s_waitcnt vmcnt(0)
	v_lshlrev_b32_e32 v34, 16, v34
	v_sub_f32_e32 v34, v34, v35
	global_store_short_d16_hi v[46:47], v34, off offset:96
	v_mul_f32_e32 v34, v54, v34
	v_lshrrev_b32_e32 v47, 16, v34
.LBB173_96:
	s_or_b64 exec, exec, s[0:1]
	v_mov_b32_e32 v43, 0
	v_mov_b32_e32 v46, 0
	s_and_saveexec_b64 s[0:1], s[2:3]
	s_cbranch_execz .LBB173_98
; %bb.97:
	v_mov_b32_e32 v49, 0
	v_lshl_add_u64 v[34:35], v[40:41], 0, v[48:49]
	global_load_ushort v44, v[34:35], off offset:96
	v_lshl_add_u64 v[34:35], v[38:39], 0, v[48:49]
	s_waitcnt vmcnt(0)
	v_lshlrev_b32_e32 v44, 16, v44
	v_sub_f32_e32 v36, v44, v36
	global_store_short_d16_hi v[34:35], v36, off offset:96
	v_mul_f32_e32 v34, v64, v36
	v_lshrrev_b32_e32 v46, 16, v34
.LBB173_98:
	s_or_b64 exec, exec, s[0:1]
	v_or_b32_e32 v44, 0x6000, v60
	v_or_b32_e32 v36, 0x6000, v61
	;; [unrolled: 1-line block ×4, first 2 shown]
	s_and_saveexec_b64 s[0:1], vcc
	s_cbranch_execz .LBB173_100
; %bb.99:
	v_mov_b32_e32 v43, 0
	v_lshl_add_u64 v[40:41], v[40:41], 0, v[42:43]
	global_load_ushort v40, v[40:41], off offset:96
	v_lshl_add_u64 v[38:39], v[38:39], 0, v[42:43]
	s_waitcnt vmcnt(0)
	v_lshlrev_b32_e32 v40, 16, v40
	v_sub_f32_e32 v37, v40, v37
	global_store_short_d16_hi v[38:39], v37, off offset:96
	v_mul_f32_e32 v37, v52, v37
	v_lshrrev_b32_e32 v43, 16, v37
.LBB173_100:
	s_or_b64 exec, exec, s[0:1]
	s_mov_b32 s0, 0x5040100
	v_or_b32_e32 v37, v51, v53
	v_perm_b32 v39, v43, v46, s0
	v_perm_b32 v38, v47, v45, s0
	v_lshlrev_b32_e32 v37, 1, v37
	s_movk_i32 s0, 0x100
	ds_write_b64 v37, v[38:39] offset:24576
	v_and_b32_e32 v37, 7, v0
	v_and_b32_e32 v38, 8, v0
	v_cmp_gt_u32_e32 vcc, s0, v0
	v_lshrrev_b32_e32 v0, 1, v0
	v_mov_b32_e32 v39, 0xa000
	v_mov_b32_e32 v40, 0x8000
	v_lshlrev_b32_e32 v58, 3, v74
	v_and_b32_e32 v0, 24, v0
	v_cndmask_b32_e32 v51, v39, v40, vcc
	v_xor_b32_e32 v39, v58, v0
	v_or_b32_e32 v40, 0x440, v39
	v_cmp_eq_u32_e32 vcc, 0, v38
	v_lshlrev_b32_e32 v45, 3, v37
	v_lshlrev_b32_e32 v37, 7, v37
	v_cndmask_b32_e32 v38, v40, v39, vcc
	v_or_b32_e32 v38, v38, v59
	v_xad_u32 v72, v38, v45, v37
	v_add_u32_e32 v38, v51, v72
	s_waitcnt lgkmcnt(0)
	s_barrier
	ds_read_b64 v[42:43], v38
	ds_read2_b64 v[38:41], v44 offset1:16
	ds_read2_b64 v[46:49], v44 offset0:32 offset1:48
	v_or_b32_e32 v52, 32, v0
	v_xor_b32_e32 v52, v58, v52
	v_or_b32_e32 v53, 0x440, v52
	v_cndmask_b32_e32 v52, v53, v52, vcc
	s_waitcnt lgkmcnt(1)
	v_mfma_f32_16x16x16_bf16 a[0:3], v[42:43], v[38:39], 0
	v_or_b32_e32 v52, v52, v59
	v_xad_u32 v73, v52, v45, v37
	v_add_u32_e32 v52, v51, v73
	v_mfma_f32_16x16x16_bf16 a[4:7], v[42:43], v[40:41], 0
	ds_read_b64 v[56:57], v52
	ds_read2st64_b64 v[60:63], v36 offset0:4 offset1:8
	ds_read2st64_b64 v[64:67], v35 offset0:4 offset1:8
	s_waitcnt lgkmcnt(3)
	v_mfma_f32_16x16x16_bf16 a[8:11], v[42:43], v[46:47], 0
	ds_read2st64_b64 v[68:71], v34 offset0:4 offset1:8
	v_mfma_f32_16x16x16_bf16 a[12:15], v[42:43], v[48:49], 0
	v_or_b32_e32 v42, 64, v0
	v_xor_b32_e32 v42, v58, v42
	v_xor_b32_e32 v43, 0x440, v42
	v_cndmask_b32_e32 v42, v43, v42, vcc
	v_or_b32_e32 v42, v42, v59
	v_xad_u32 v74, v42, v45, v37
	v_add_u32_e32 v42, v51, v74
	ds_read_b64 v[42:43], v42
	ds_read2st64_b64 v[52:55], v44 offset0:4 offset1:8
	v_or_b32_e32 v0, 0x60, v0
	v_xor_b32_e32 v0, v58, v0
	s_waitcnt lgkmcnt(0)
	v_mfma_f32_16x16x16_bf16 a[0:3], v[56:57], v[52:53], a[0:3]
	v_mfma_f32_16x16x16_bf16 a[4:7], v[56:57], v[60:61], a[4:7]
	v_mfma_f32_16x16x16_bf16 a[8:11], v[56:57], v[64:65], a[8:11]
	v_mfma_f32_16x16x16_bf16 a[12:15], v[56:57], v[68:69], a[12:15]
	v_xor_b32_e32 v56, 0x440, v0
	v_cndmask_b32_e32 v0, v56, v0, vcc
	v_or_b32_e32 v0, v0, v59
	v_xad_u32 v0, v0, v45, v37
	v_add_u32_e32 v37, v51, v0
	v_mfma_f32_16x16x16_bf16 a[0:3], v[42:43], v[54:55], a[0:3]
	ds_read_b64 v[56:57], v37
	ds_read_b64 v[44:45], v44 offset:6144
	v_mfma_f32_16x16x16_bf16 a[4:7], v[42:43], v[62:63], a[4:7]
	v_mfma_f32_16x16x16_bf16 a[8:11], v[42:43], v[66:67], a[8:11]
	;; [unrolled: 1-line block ×3, first 2 shown]
	ds_read_b64 v[36:37], v36 offset:6144
	ds_read_b64 v[42:43], v35 offset:6144
	;; [unrolled: 1-line block ×3, first 2 shown]
	s_waitcnt lgkmcnt(3)
	v_mfma_f32_16x16x16_bf16 a[0:3], v[56:57], v[44:45], a[0:3]
	s_waitcnt lgkmcnt(2)
	v_mfma_f32_16x16x16_bf16 a[4:7], v[56:57], v[36:37], a[4:7]
	s_waitcnt lgkmcnt(1)
	v_mfma_f32_16x16x16_bf16 a[8:11], v[56:57], v[42:43], a[8:11]
	s_waitcnt lgkmcnt(0)
	v_mfma_f32_16x16x16_bf16 a[12:15], v[56:57], v[34:35], a[12:15]
	ds_read_b64 v[56:57], v72 offset:40960
	s_waitcnt lgkmcnt(0)
	v_mfma_f32_16x16x16_bf16 a[24:27], v[56:57], v[46:47], 0
	v_exp_f32_e32 v46, s12
	v_accvgpr_read_b32 v47, a3
	v_fmac_f32_e32 v47, v46, v33
	v_mfma_f32_16x16x16_bf16 a[16:19], v[56:57], v[38:39], 0
	ds_read_b64 v[38:39], v73 offset:40960
	v_accvgpr_read_b32 v33, a4
	v_fma_f32 v22, v46, v22, v33
	v_mfma_f32_16x16x16_bf16 a[20:23], v[56:57], v[40:41], 0
	v_accvgpr_read_b32 v40, a0
	v_fma_f32 v30, v46, v30, v40
	v_accvgpr_read_b32 v40, a1
	v_fma_f32 v31, v46, v31, v40
	v_accvgpr_read_b32 v40, a2
	v_mfma_f32_16x16x16_bf16 a[28:31], v[56:57], v[48:49], 0
	v_fma_f32 v32, v46, v32, v40
	ds_read_b64 v[40:41], v74 offset:40960
	v_accvgpr_read_b32 v33, a5
	s_waitcnt lgkmcnt(1)
	v_mfma_f32_16x16x16_bf16 a[16:19], v[38:39], v[52:53], a[16:19]
	v_fma_f32 v23, v46, v23, v33
	v_accvgpr_read_b32 v33, a6
	v_accvgpr_read_b32 v48, a7
	v_mfma_f32_16x16x16_bf16 a[20:23], v[38:39], v[60:61], a[20:23]
	v_fmac_f32_e32 v48, v46, v25
	v_accvgpr_read_b32 v25, a8
	v_fma_f32 v24, v46, v24, v33
	v_mfma_f32_16x16x16_bf16 a[24:27], v[38:39], v[64:65], a[24:27]
	v_fma_f32 v14, v46, v14, v25
	v_mov_b32_e32 v33, v47
	v_mov_b32_e32 v25, v48
	v_mfma_f32_16x16x16_bf16 a[0:3], v[38:39], v[68:69], a[28:31]
	ds_read_b64 v[38:39], v0 offset:40960
	v_accvgpr_read_b32 v0, a9
	v_fma_f32 v15, v46, v15, v0
	s_waitcnt lgkmcnt(1)
	v_mfma_f32_16x16x16_bf16 a[4:7], v[40:41], v[62:63], a[20:23]
	v_accvgpr_read_b32 v0, a10
	v_fma_f32 v16, v46, v16, v0
	v_accvgpr_read_b32 v0, a11
	v_mfma_f32_16x16x16_bf16 a[16:19], v[40:41], v[54:55], a[16:19]
	v_fmac_f32_e32 v0, v46, v17
	v_accvgpr_read_b32 v17, a12
	v_fma_f32 v2, v46, v2, v17
	v_mfma_f32_16x16x16_bf16 a[20:23], v[40:41], v[66:67], a[24:27]
	v_accvgpr_read_b32 v17, a13
	v_fma_f32 v3, v46, v3, v17
	v_accvgpr_read_b32 v17, a14
	v_mfma_f32_16x16x16_bf16 a[0:3], v[40:41], v[70:71], a[0:3]
	v_fma_f32 v4, v46, v4, v17
	s_waitcnt lgkmcnt(0)
	v_mfma_f32_16x16x16_bf16 a[4:7], v[38:39], v[36:37], a[4:7]
	v_accvgpr_read_b32 v36, a15
	v_fmac_f32_e32 v36, v46, v5
	v_mfma_f32_16x16x16_bf16 a[8:11], v[38:39], v[44:45], a[16:19]
	v_mfma_f32_16x16x16_bf16 a[16:19], v[38:39], v[42:43], a[20:23]
	s_nop 2
	v_accvgpr_read_b32 v17, a4
	v_fma_f32 v18, v46, v18, v17
	v_accvgpr_read_b32 v17, a5
	v_mfma_f32_16x16x16_bf16 a[0:3], v[38:39], v[34:35], a[0:3]
	v_accvgpr_read_b32 v5, a8
	v_fma_f32 v19, v46, v19, v17
	v_accvgpr_read_b32 v17, a6
	v_fma_f32 v26, v46, v26, v5
	;; [unrolled: 2-line block ×3, first 2 shown]
	v_accvgpr_read_b32 v17, a7
	v_accvgpr_read_b32 v34, a19
	v_fma_f32 v27, v46, v27, v5
	v_accvgpr_read_b32 v5, a10
	v_fmac_f32_e32 v17, v46, v21
	v_accvgpr_read_b32 v21, a16
	v_fmac_f32_e32 v34, v46, v13
	v_accvgpr_read_b32 v13, a0
	v_fma_f32 v28, v46, v28, v5
	v_accvgpr_read_b32 v5, a11
	v_fma_f32 v10, v46, v10, v21
	;; [unrolled: 2-line block ×3, first 2 shown]
	v_accvgpr_read_b32 v13, a1
	v_accvgpr_read_b32 v35, a3
	v_fmac_f32_e32 v5, v46, v29
	v_fma_f32 v11, v46, v11, v21
	v_accvgpr_read_b32 v21, a18
	v_fma_f32 v7, v46, v7, v13
	v_accvgpr_read_b32 v13, a2
	v_fmac_f32_e32 v35, v46, v9
	v_fma_f32 v12, v46, v12, v21
	v_fma_f32 v8, v46, v8, v13
	v_mov_b32_e32 v29, v5
	v_mov_b32_e32 v21, v17
	;; [unrolled: 1-line block ×7, first 2 shown]
.LBB173_101:
	s_lshl_b64 s[0:1], s[28:29], 16
	s_waitcnt lgkmcnt(0)
	s_add_u32 s0, s34, s0
	v_lshlrev_b32_e32 v34, 7, v34
	s_addc_u32 s1, s35, s1
	v_ashrrev_i32_e32 v35, 31, v34
	v_lshl_add_u64 v[36:37], v[34:35], 2, s[0:1]
	v_lshlrev_b32_e32 v0, 2, v1
	v_mov_b32_e32 v1, 0
	v_lshl_add_u64 v[36:37], v[36:37], 0, v[0:1]
	global_store_dwordx4 v[36:37], v[30:33], off
	global_store_dwordx4 v[36:37], v[26:29], off offset:256
	s_nop 1
	v_or_b32_e32 v26, 0x800, v34
	v_ashrrev_i32_e32 v27, 31, v26
	v_lshl_add_u64 v[26:27], v[26:27], 2, s[0:1]
	v_lshl_add_u64 v[26:27], v[26:27], 0, v[0:1]
	global_store_dwordx4 v[26:27], v[22:25], off
	global_store_dwordx4 v[26:27], v[18:21], off offset:256
	s_nop 1
	v_or_b32_e32 v18, 0x1000, v34
	v_ashrrev_i32_e32 v19, 31, v18
	v_lshl_add_u64 v[18:19], v[18:19], 2, s[0:1]
	;; [unrolled: 7-line block ×3, first 2 shown]
	v_lshl_add_u64 v[0:1], v[10:11], 0, v[0:1]
	global_store_dwordx4 v[0:1], v[2:5], off
	global_store_dwordx4 v[0:1], v[6:9], off offset:256
	s_endpgm
	.section	.rodata,"a",@progbits
	.p2align	6, 0x0
	.amdhsa_kernel _ZN12_GLOBAL__N_139chunk_gated_delta_rule_fwd_h_hip_kernelILi64ELb0ELb1ELb1ELb0ELb1ELb0ELb1ELb0EEEvPK12hip_bfloat16S3_S3_PKfS5_PKvPS1_S8_PvPKiSB_iiiiilll
		.amdhsa_group_segment_fixed_size 65536
		.amdhsa_private_segment_fixed_size 0
		.amdhsa_kernarg_size 136
		.amdhsa_user_sgpr_count 2
		.amdhsa_user_sgpr_dispatch_ptr 0
		.amdhsa_user_sgpr_queue_ptr 0
		.amdhsa_user_sgpr_kernarg_segment_ptr 1
		.amdhsa_user_sgpr_dispatch_id 0
		.amdhsa_user_sgpr_kernarg_preload_length 0
		.amdhsa_user_sgpr_kernarg_preload_offset 0
		.amdhsa_user_sgpr_private_segment_size 0
		.amdhsa_uses_dynamic_stack 0
		.amdhsa_enable_private_segment 0
		.amdhsa_system_sgpr_workgroup_id_x 1
		.amdhsa_system_sgpr_workgroup_id_y 1
		.amdhsa_system_sgpr_workgroup_id_z 0
		.amdhsa_system_sgpr_workgroup_info 0
		.amdhsa_system_vgpr_workitem_id 0
		.amdhsa_next_free_vgpr 216
		.amdhsa_next_free_sgpr 67
		.amdhsa_accum_offset 180
		.amdhsa_reserve_vcc 1
		.amdhsa_float_round_mode_32 0
		.amdhsa_float_round_mode_16_64 0
		.amdhsa_float_denorm_mode_32 3
		.amdhsa_float_denorm_mode_16_64 3
		.amdhsa_dx10_clamp 1
		.amdhsa_ieee_mode 1
		.amdhsa_fp16_overflow 0
		.amdhsa_tg_split 0
		.amdhsa_exception_fp_ieee_invalid_op 0
		.amdhsa_exception_fp_denorm_src 0
		.amdhsa_exception_fp_ieee_div_zero 0
		.amdhsa_exception_fp_ieee_overflow 0
		.amdhsa_exception_fp_ieee_underflow 0
		.amdhsa_exception_fp_ieee_inexact 0
		.amdhsa_exception_int_div_zero 0
	.end_amdhsa_kernel
	.section	.text._ZN12_GLOBAL__N_139chunk_gated_delta_rule_fwd_h_hip_kernelILi64ELb0ELb1ELb1ELb0ELb1ELb0ELb1ELb0EEEvPK12hip_bfloat16S3_S3_PKfS5_PKvPS1_S8_PvPKiSB_iiiiilll,"axG",@progbits,_ZN12_GLOBAL__N_139chunk_gated_delta_rule_fwd_h_hip_kernelILi64ELb0ELb1ELb1ELb0ELb1ELb0ELb1ELb0EEEvPK12hip_bfloat16S3_S3_PKfS5_PKvPS1_S8_PvPKiSB_iiiiilll,comdat
.Lfunc_end173:
	.size	_ZN12_GLOBAL__N_139chunk_gated_delta_rule_fwd_h_hip_kernelILi64ELb0ELb1ELb1ELb0ELb1ELb0ELb1ELb0EEEvPK12hip_bfloat16S3_S3_PKfS5_PKvPS1_S8_PvPKiSB_iiiiilll, .Lfunc_end173-_ZN12_GLOBAL__N_139chunk_gated_delta_rule_fwd_h_hip_kernelILi64ELb0ELb1ELb1ELb0ELb1ELb0ELb1ELb0EEEvPK12hip_bfloat16S3_S3_PKfS5_PKvPS1_S8_PvPKiSB_iiiiilll
                                        ; -- End function
	.section	.AMDGPU.csdata,"",@progbits
; Kernel info:
; codeLenInByte = 12696
; NumSgprs: 73
; NumVgprs: 180
; NumAgprs: 36
; TotalNumVgprs: 216
; ScratchSize: 0
; MemoryBound: 0
; FloatMode: 240
; IeeeMode: 1
; LDSByteSize: 65536 bytes/workgroup (compile time only)
; SGPRBlocks: 9
; VGPRBlocks: 26
; NumSGPRsForWavesPerEU: 73
; NumVGPRsForWavesPerEU: 216
; AccumOffset: 180
; Occupancy: 1
; WaveLimiterHint : 1
; COMPUTE_PGM_RSRC2:SCRATCH_EN: 0
; COMPUTE_PGM_RSRC2:USER_SGPR: 2
; COMPUTE_PGM_RSRC2:TRAP_HANDLER: 0
; COMPUTE_PGM_RSRC2:TGID_X_EN: 1
; COMPUTE_PGM_RSRC2:TGID_Y_EN: 1
; COMPUTE_PGM_RSRC2:TGID_Z_EN: 0
; COMPUTE_PGM_RSRC2:TIDIG_COMP_CNT: 0
; COMPUTE_PGM_RSRC3_GFX90A:ACCUM_OFFSET: 44
; COMPUTE_PGM_RSRC3_GFX90A:TG_SPLIT: 0
	.section	.text._ZN12_GLOBAL__N_139chunk_gated_delta_rule_fwd_h_hip_kernelILi64ELb0ELb1ELb0ELb0ELb1ELb0ELb1ELb0EEEvPK12hip_bfloat16S3_S3_PKfS5_PKvPS1_S8_PvPKiSB_iiiiilll,"axG",@progbits,_ZN12_GLOBAL__N_139chunk_gated_delta_rule_fwd_h_hip_kernelILi64ELb0ELb1ELb0ELb0ELb1ELb0ELb1ELb0EEEvPK12hip_bfloat16S3_S3_PKfS5_PKvPS1_S8_PvPKiSB_iiiiilll,comdat
	.globl	_ZN12_GLOBAL__N_139chunk_gated_delta_rule_fwd_h_hip_kernelILi64ELb0ELb1ELb0ELb0ELb1ELb0ELb1ELb0EEEvPK12hip_bfloat16S3_S3_PKfS5_PKvPS1_S8_PvPKiSB_iiiiilll ; -- Begin function _ZN12_GLOBAL__N_139chunk_gated_delta_rule_fwd_h_hip_kernelILi64ELb0ELb1ELb0ELb0ELb1ELb0ELb1ELb0EEEvPK12hip_bfloat16S3_S3_PKfS5_PKvPS1_S8_PvPKiSB_iiiiilll
	.p2align	8
	.type	_ZN12_GLOBAL__N_139chunk_gated_delta_rule_fwd_h_hip_kernelILi64ELb0ELb1ELb0ELb0ELb1ELb0ELb1ELb0EEEvPK12hip_bfloat16S3_S3_PKfS5_PKvPS1_S8_PvPKiSB_iiiiilll,@function
_ZN12_GLOBAL__N_139chunk_gated_delta_rule_fwd_h_hip_kernelILi64ELb0ELb1ELb0ELb0ELb1ELb0ELb1ELb0EEEvPK12hip_bfloat16S3_S3_PKfS5_PKvPS1_S8_PvPKiSB_iiiiilll: ; @_ZN12_GLOBAL__N_139chunk_gated_delta_rule_fwd_h_hip_kernelILi64ELb0ELb1ELb0ELb0ELb1ELb0ELb1ELb0EEEvPK12hip_bfloat16S3_S3_PKfS5_PKvPS1_S8_PvPKiSB_iiiiilll
; %bb.0:
	s_load_dwordx4 s[12:15], s[0:1], 0x5c
	s_load_dwordx4 s[16:19], s[0:1], 0x70
	s_abs_i32 s22, s3
	s_ashr_i32 s21, s3, 31
	s_load_dwordx8 s[4:11], s[0:1], 0x0
	s_waitcnt lgkmcnt(0)
	s_abs_i32 s20, s13
	v_cvt_f32_u32_e32 v1, s20
	s_sub_i32 s24, 0, s20
	s_ashr_i32 s23, s13, 31
	s_xor_b32 s21, s21, s23
	v_rcp_iflag_f32_e32 v1, v1
	s_load_dwordx2 s[28:29], s[0:1], 0x40
	s_load_dwordx2 s[36:37], s[0:1], 0x30
	;; [unrolled: 1-line block ×3, first 2 shown]
	v_lshrrev_b32_e32 v72, 6, v0
	v_bfe_u32 v75, v0, 4, 2
	v_mul_f32_e32 v1, 0x4f7ffffe, v1
	v_cvt_u32_f32_e32 v1, v1
	v_lshlrev_b32_e32 v73, 4, v72
	v_lshlrev_b32_e32 v34, 2, v75
	v_and_b32_e32 v74, 63, v0
	v_readfirstlane_b32 s25, v1
	s_mul_i32 s24, s24, s25
	s_mul_hi_u32 s24, s25, s24
	s_add_i32 s25, s25, s24
	s_mul_hi_u32 s24, s22, s25
	s_mul_i32 s25, s24, s20
	s_sub_i32 s22, s22, s25
	s_add_i32 s26, s24, 1
	s_sub_i32 s25, s22, s20
	s_cmp_ge_u32 s22, s20
	s_cselect_b32 s24, s26, s24
	s_cselect_b32 s22, s25, s22
	s_add_i32 s25, s24, 1
	s_cmp_ge_u32 s22, s20
	s_cselect_b32 s22, s25, s24
	s_xor_b32 s22, s22, s21
	s_sub_i32 s47, s22, s21
	s_abs_i32 s21, s14
	v_cvt_f32_u32_e32 v1, s21
	s_add_i32 s24, s12, 63
	s_mul_i32 s45, s47, s13
	s_sub_i32 s33, s3, s45
	v_rcp_iflag_f32_e32 v1, v1
	s_ashr_i32 s3, s24, 31
	s_ashr_i32 s46, s12, 31
	s_lshr_b32 s3, s3, 26
	v_mul_f32_e32 v1, 0x4f7ffffe, v1
	v_cvt_u32_f32_e32 v1, v1
	s_lshr_b32 s22, s46, 26
	s_add_i32 s24, s24, s3
	s_add_i32 s22, s12, s22
	s_ashr_i32 s49, s14, 31
	s_ashr_i32 s3, s24, 6
	;; [unrolled: 1-line block ×3, first 2 shown]
	s_xor_b32 s22, s23, s49
	s_sub_i32 s23, 0, s21
	v_readfirstlane_b32 s24, v1
	s_mul_i32 s23, s23, s24
	s_mul_hi_u32 s23, s24, s23
	s_add_i32 s24, s24, s23
	s_mul_hi_u32 s23, s20, s24
	s_mul_i32 s24, s23, s21
	s_sub_i32 s20, s20, s24
	s_add_i32 s24, s23, 1
	s_sub_i32 s25, s20, s21
	s_cmp_ge_u32 s20, s21
	s_cselect_b32 s23, s24, s23
	s_cselect_b32 s20, s25, s20
	s_add_i32 s24, s23, 1
	s_cmp_ge_u32 s20, s21
	s_cselect_b32 s20, s24, s23
	s_xor_b32 s20, s20, s22
	s_sub_i32 s20, s20, s22
	s_abs_i32 s21, s20
	v_cvt_f32_u32_e32 v1, s21
	s_xor_b32 s0, s33, s20
	s_sub_i32 s20, 0, s21
	s_abs_i32 s1, s33
	v_rcp_iflag_f32_e32 v1, v1
	s_ashr_i32 s0, s0, 31
	v_mov_b32_e32 v5, 0
	s_mul_i32 s50, s47, s3
	v_mul_f32_e32 v1, 0x4f7ffffe, v1
	v_cvt_u32_f32_e32 v1, v1
	v_and_b32_e32 v76, 15, v0
	s_mul_hi_i32 s51, s47, s13
	v_lshrrev_b32_e32 v78, 3, v74
	v_readfirstlane_b32 s22, v1
	s_mul_i32 s20, s20, s22
	s_mul_hi_u32 s20, s22, s20
	s_add_i32 s22, s22, s20
	s_mul_hi_u32 s20, s1, s22
	s_mul_i32 s22, s20, s21
	s_sub_i32 s1, s1, s22
	s_add_i32 s22, s20, 1
	s_sub_i32 s23, s1, s21
	s_cmp_ge_u32 s1, s21
	s_cselect_b32 s20, s22, s20
	s_cselect_b32 s1, s23, s1
	s_add_i32 s22, s20, 1
	s_cmp_ge_u32 s1, s21
	s_cselect_b32 s1, s22, s20
	s_xor_b32 s1, s1, s0
	s_sub_i32 s52, s1, s0
	v_or_b32_e32 v1, v34, v73
	s_lshl_b32 s2, s2, 6
	v_or_b32_e32 v79, 64, v1
	s_cmp_lt_i32 s12, 64
	v_lshlrev_b32_e32 v77, 3, v0
	s_mul_i32 s17, s47, s17
	s_mul_hi_u32 s44, s47, s16
	s_mul_i32 s34, s47, s16
	v_mov_b32_e32 v4, v5
	v_mov_b32_e32 v3, v5
	;; [unrolled: 1-line block ×31, first 2 shown]
	s_cbranch_scc1 .LBB174_18
; %bb.1:
	s_ashr_i32 s3, s47, 31
	s_ashr_i32 s54, s33, 31
	s_add_u32 s0, s45, s33
	s_addc_u32 s1, s51, s54
	s_mul_i32 s1, s12, s1
	s_mul_hi_u32 s20, s12, s0
	s_add_i32 s39, s20, s1
	s_mul_i32 s38, s12, s0
	s_lshl_b64 s[0:1], s[38:39], 8
	v_and_b32_e32 v81, 56, v77
	s_add_u32 s20, s6, s0
	v_lshl_or_b32 v80, v72, 3, v78
	v_lshlrev_b32_e32 v2, 1, v81
	s_addc_u32 s0, s7, s1
	v_lshl_or_b32 v82, v80, 8, v2
	s_and_b32 s21, s0, 0xffff
	s_mov_b32 s23, 0x20000
	s_movk_i32 s22, 0x4000
	s_movk_i32 s0, 0x80
	v_or_b32_e32 v83, 0x2000, v82
	buffer_load_dwordx4 v[4:7], v82, s[20:23], 0 offen
	buffer_load_dwordx4 v[8:11], v82, s[20:23], s0 offen
	;; [unrolled: 1-line block ×4, first 2 shown]
	v_lshlrev_b32_e32 v3, 3, v80
	v_and_or_b32 v21, v0, 7, v3
	v_and_b32_e32 v3, 0x78, v3
	v_lshlrev_b32_e32 v21, 4, v21
	v_xor_b32_e32 v84, v21, v3
	v_mul_lo_u32 v20, v80, s15
	v_or_b32_e32 v85, 0x1000, v84
	v_xor_b32_e32 v3, 8, v84
	s_cmpk_eq_i32 s15, 0x80
	s_mov_b32 s53, s14
	v_xor_b32_e32 v21, 8, v85
	s_cselect_b64 s[0:1], -1, 0
	s_cmpk_lg_i32 s15, 0x80
	s_waitcnt vmcnt(3)
	ds_write_b64 v84, v[4:5] offset:49152
	ds_write_b64 v3, v[6:7] offset:49152
	s_waitcnt vmcnt(2)
	ds_write_b64 v84, v[8:9] offset:57344
	ds_write_b64 v3, v[10:11] offset:57344
	;; [unrolled: 3-line block ×4, first 2 shown]
	v_lshl_add_u32 v3, v20, 1, v81
	s_cbranch_scc0 .LBB174_3
; %bb.2:
	v_lshlrev_b32_e32 v5, 1, v3
	v_add_lshl_u32 v4, v3, s15, 1
	s_lshl_b32 s22, s15, 7
	v_lshl_or_b32 v2, v80, 9, v2
	s_cbranch_execz .LBB174_4
	s_branch .LBB174_5
.LBB174_3:
                                        ; implicit-def: $vgpr4
                                        ; implicit-def: $vgpr5
                                        ; implicit-def: $sgpr22
	v_lshl_or_b32 v2, v80, 9, v2
.LBB174_4:
	v_or_b32_e32 v4, 0x100, v2
	s_movk_i32 s22, 0x4000
	v_mov_b32_e32 v5, v2
.LBB174_5:
	s_mul_hi_u32 s20, s14, s12
	s_mul_i32 s21, s49, s12
	s_add_i32 s20, s20, s21
	s_mul_i32 s21, s14, s12
	s_mul_i32 s23, s21, s3
	s_mul_hi_u32 s24, s21, s47
	s_add_i32 s23, s24, s23
	s_mul_i32 s20, s20, s47
	s_add_i32 s23, s23, s20
	s_mul_i32 s21, s21, s47
	s_ashr_i32 s55, s52, 31
	s_add_u32 s20, s21, s52
	s_addc_u32 s21, s23, s55
	s_lshl_b64 s[20:21], s[20:21], 8
	s_add_u32 s20, s4, s20
	s_addc_u32 s21, s5, s21
	s_and_b32 s21, s21, 0xffff
	s_mov_b32 s23, 0x20000
	s_movk_i32 s56, 0x80
	buffer_load_dwordx4 v[6:9], v5, s[20:23], 0 offen
	buffer_load_dwordx4 v[10:13], v5, s[20:23], s56 offen
	;; [unrolled: 1-line block ×4, first 2 shown]
	v_and_b32_e32 v5, 6, v0
	v_lshlrev_b32_e32 v4, 7, v1
	v_xor_b32_e32 v26, v80, v5
	v_and_b32_e32 v22, 1, v0
	v_lshl_or_b32 v29, v76, 3, v4
	v_lshlrev_b32_e32 v26, 2, v26
	v_or_b32_e32 v86, 0x4000, v29
	v_or_b32_e32 v87, 0x6000, v29
	v_xor_b32_e32 v29, 0x440, v26
	v_cmp_eq_u32_e32 vcc, 0, v22
	v_lshlrev_b32_e32 v23, 2, v76
	s_mov_b32 s58, 0x1000504
	v_cndmask_b32_e32 v22, v29, v26, vcc
	v_xor_b32_e32 v27, v1, v23
	v_xor_b32_e32 v28, v79, v23
	v_lshl_or_b32 v5, v5, 10, v22
	s_mov_b32 s59, 0x3020706
	s_mul_i32 s20, s3, s12
	s_mul_hi_u32 s21, s47, s12
	v_lshlrev_b32_e32 v24, 8, v76
	v_or_b32_e32 v25, 16, v76
	v_lshlrev_b32_e32 v27, 1, v27
	v_lshlrev_b32_e32 v28, 1, v28
	v_xor_b32_e32 v22, 8, v5
	v_xor_b32_e32 v26, 24, v5
	v_xor_b32_e32 v31, 40, v5
	v_xor_b32_e32 v33, 56, v5
	v_or_b32_e32 v89, v24, v27
	v_or_b32_e32 v90, v24, v28
	v_xor_b32_e32 v24, 16, v5
	v_xor_b32_e32 v29, 32, v5
	;; [unrolled: 1-line block ×3, first 2 shown]
	v_add_u32_e32 v22, 0x80, v22
	v_add_u32_e32 v26, 0x80, v26
	v_add_u32_e32 v31, 0x80, v31
	v_add_u32_e32 v33, 0x80, v33
	s_add_i32 s61, s21, s20
	s_add_i32 s20, s44, s17
	s_mul_i32 s3, s3, s16
	s_add_i32 s35, s20, s3
	s_mul_i32 s3, s33, s19
	s_mul_hi_u32 s20, s33, s18
	s_add_i32 s3, s20, s3
	s_mul_i32 s20, s54, s18
	s_add_i32 s21, s3, s20
	s_lshl_b64 s[24:25], s[34:35], 2
	s_mul_i32 s20, s33, s18
	s_add_u32 s3, s10, s24
	s_addc_u32 s24, s11, s25
	s_lshl_b64 s[20:21], s[20:21], 2
	s_add_u32 s40, s3, s20
	s_movk_i32 s3, 0xf8
	s_addc_u32 s41, s24, s21
	s_lshl_b32 s26, s15, 7
	s_movk_i32 s24, 0x100
	v_mov_b32_e32 v67, 0
	v_lshlrev_b32_e32 v66, 4, v76
	v_cmp_gt_u32_e32 vcc, s24, v0
	v_lshl_or_b32 v30, v25, 3, v4
	s_mov_b32 s57, 0
	s_mul_i32 s60, s47, s12
	v_or_b32_e32 v88, 0x4000, v30
	s_movk_i32 s22, 0x4000
	v_or_b32_e32 v91, 0x6000, v30
	v_add_u32_e32 v126, v73, v34
	s_movk_i32 s35, 0x2000
	s_movk_i32 s62, 0x3000
	s_mov_b32 s64, 0
	v_mov_b32_e32 v30, v67
	s_waitcnt vmcnt(1)
	v_perm_b32 v35, v6, v14, s58
	s_waitcnt vmcnt(0)
	v_perm_b32 v36, v10, v18, s58
	v_perm_b32 v6, v6, v14, s59
	;; [unrolled: 1-line block ×15, first 2 shown]
	ds_write2st64_b32 v5, v35, v36 offset0:128 offset1:160
	ds_write2st64_b32 v22, v6, v10 offset0:128 offset1:160
	;; [unrolled: 1-line block ×8, first 2 shown]
	v_lshlrev_b32_e32 v5, 8, v25
	v_or_b32_e32 v92, v5, v27
	v_or_b32_e32 v93, v5, v28
	v_or_b32_e32 v5, 32, v76
	v_lshl_or_b32 v6, v5, 3, v4
	v_lshlrev_b32_e32 v5, 8, v5
	v_or_b32_e32 v96, v5, v27
	v_or_b32_e32 v97, v5, v28
	;; [unrolled: 1-line block ×5, first 2 shown]
	v_lshl_or_b32 v6, v5, 3, v4
	v_lshlrev_b32_e32 v5, 8, v5
	v_or_b32_e32 v100, v5, v27
	v_or_b32_e32 v101, v5, v28
	v_or_b32_e32 v5, v73, v76
	v_lshlrev_b32_e32 v5, 3, v5
	v_lshrrev_b32_e32 v7, 5, v74
	v_and_or_b32 v7, v5, s3, v7
	v_lshlrev_b32_e32 v7, 4, v7
	v_lshlrev_b32_e32 v10, 11, v72
	v_and_b32_e32 v5, 0x78, v5
	v_or_b32_e32 v13, 32, v7
	v_or_b32_e32 v98, 0x4000, v6
	;; [unrolled: 1-line block ×3, first 2 shown]
	v_and_b32_e32 v6, 0x1000, v10
	v_xor_b32_e32 v8, v7, v5
	v_lshrrev_b32_e32 v11, 1, v0
	v_xor_b32_e32 v13, v13, v5
	v_or_b32_e32 v8, v8, v6
	v_and_b32_e32 v9, 8, v11
	v_lshlrev_b32_e32 v12, 8, v75
	v_or_b32_e32 v13, v13, v6
	v_xor_b32_e32 v102, v8, v9
	v_or_b32_e32 v8, v12, v23
	v_xor_b32_e32 v104, v13, v9
	v_or_b32_e32 v13, 64, v7
	v_or_b32_e32 v7, 0x60, v7
	s_ashr_i32 s3, s2, 31
	v_lshlrev_b32_e32 v8, 1, v8
	v_xor_b32_e32 v13, v13, v5
	v_xor_b32_e32 v5, v7, v5
	s_lshl_b64 s[20:21], s[2:3], 8
	v_or_b32_e32 v103, 0x4000, v8
	v_or_b32_e32 v105, 0x4080, v8
	;; [unrolled: 1-line block ×10, first 2 shown]
	s_waitcnt lgkmcnt(0)
	s_add_u32 s20, s36, s20
	v_lshlrev_b32_e32 v8, 1, v76
	v_xor_b32_e32 v108, v13, v9
	v_xor_b32_e32 v109, v5, v9
	v_lshrrev_b32_e32 v14, 4, v0
	s_addc_u32 s21, s37, s21
	v_or_b32_e32 v9, 1, v8
	v_mov_b32_e32 v18, 0xa000
	v_mov_b32_e32 v19, 0x8000
	v_xor_b32_e32 v15, v14, v8
	v_xor_b32_e32 v16, v9, v14
	v_lshl_add_u64 v[8:9], s[20:21], 0, v[66:67]
	v_lshlrev_b32_e32 v66, 8, v14
	v_cndmask_b32_e32 v18, v18, v19, vcc
	v_lshlrev_b32_e32 v19, 3, v72
	v_and_b32_e32 v11, 24, v11
	v_lshl_or_b32 v114, v15, 3, v66
	v_and_b32_e32 v15, 8, v0
	v_xor_b32_e32 v20, v19, v11
	v_or_b32_e32 v21, 0x440, v20
	v_cmp_eq_u32_e32 vcc, 0, v15
	v_and_b32_e32 v14, 7, v0
	v_lshl_or_b32 v115, v16, 3, v66
	v_cndmask_b32_e32 v15, v21, v20, vcc
	v_lshlrev_b32_e32 v16, 3, v14
	v_lshlrev_b32_e32 v14, 7, v14
	v_or_b32_e32 v15, v15, v10
	v_lshlrev_b32_e32 v17, 2, v0
	v_xad_u32 v116, v15, v16, v14
	v_or_b32_e32 v15, 32, v11
	v_and_or_b32 v12, v17, 60, v12
	v_xor_b32_e32 v15, v19, v15
	v_lshlrev_b32_e32 v12, 1, v12
	v_or_b32_e32 v17, 0x440, v15
	v_or_b32_e32 v117, 0x6000, v12
	v_cndmask_b32_e32 v15, v17, v15, vcc
	v_or_b32_e32 v119, 0x6080, v12
	v_or_b32_e32 v120, 0x6100, v12
	;; [unrolled: 1-line block ×5, first 2 shown]
	v_xor_b32_e32 v12, v19, v12
	v_xad_u32 v118, v15, v16, v14
	v_xor_b32_e32 v15, 0x440, v12
	v_cndmask_b32_e32 v12, v15, v12, vcc
	v_or_b32_e32 v11, 0x60, v11
	v_or_b32_e32 v12, v12, v10
	v_xor_b32_e32 v11, v19, v11
	v_xad_u32 v122, v12, v16, v14
	v_xor_b32_e32 v12, 0x440, v11
	v_cndmask_b32_e32 v11, v12, v11, vcc
	v_or_b32_e32 v6, s2, v76
	v_or_b32_e32 v10, v11, v10
	v_ashrrev_i32_e32 v7, 31, v6
	v_lshlrev_b32_e32 v5, 1, v3
	v_add_lshl_u32 v3, v3, s15, 1
	v_or_b32_e32 v13, 0x100, v2
	v_xad_u32 v123, v10, v16, v14
	v_cndmask_b32_e64 v124, v5, v2, s[0:1]
	v_cndmask_b32_e64 v125, v3, v13, s[0:1]
	v_lshl_add_u64 v[68:69], v[6:7], 1, s[8:9]
	v_lshl_add_u64 v[70:71], v[8:9], 0, v[66:67]
	s_mov_b32 s3, 0x7060302
	v_lshlrev_b32_e32 v66, 1, v4
	v_add_u32_e32 v127, v18, v116
	v_add_u32_e32 v128, v18, v118
	;; [unrolled: 1-line block ×4, first 2 shown]
	v_mov_b32_e32 v26, v67
	v_mov_b32_e32 v27, v67
	v_mov_b32_e32 v28, v67
	v_mov_b32_e32 v29, v67
	v_mov_b32_e32 v31, v67
	v_mov_b32_e32 v32, v67
	v_mov_b32_e32 v33, v67
	v_mov_b32_e32 v18, v67
	v_mov_b32_e32 v19, v67
	v_mov_b32_e32 v20, v67
	v_mov_b32_e32 v21, v67
	v_mov_b32_e32 v22, v67
	v_mov_b32_e32 v23, v67
	v_mov_b32_e32 v24, v67
	v_mov_b32_e32 v25, v67
	v_mov_b32_e32 v10, v67
	v_mov_b32_e32 v11, v67
	v_mov_b32_e32 v12, v67
	v_mov_b32_e32 v13, v67
	v_mov_b32_e32 v14, v67
	v_mov_b32_e32 v15, v67
	v_mov_b32_e32 v16, v67
	v_mov_b32_e32 v17, v67
	v_mov_b32_e32 v6, v67
	v_mov_b32_e32 v7, v67
	v_mov_b32_e32 v8, v67
	v_mov_b32_e32 v9, v67
	v_mov_b32_e32 v2, v67
	v_mov_b32_e32 v3, v67
	v_mov_b32_e32 v4, v67
	v_mov_b32_e32 v5, v67
	s_barrier
.LBB174_6:                              ; =>This Inner Loop Header: Depth=1
	s_add_i32 s63, s64, 1
	s_cmp_lt_i32 s63, s48
	s_mov_b64 s[24:25], 0
	s_cselect_b64 s[42:43], -1, 0
	s_cmp_ge_i32 s63, s48
	s_mov_b64 s[20:21], 0
	s_cbranch_scc1 .LBB174_8
; %bb.7:                                ;   in Loop: Header=BB174_6 Depth=1
	s_add_i32 s0, s57, 64
	s_add_u32 s0, s38, s0
	s_addc_u32 s1, s39, 0
	s_lshl_b64 s[0:1], s[0:1], 8
	s_add_u32 s20, s6, s0
	s_addc_u32 s21, s7, s1
.LBB174_8:                              ;   in Loop: Header=BB174_6 Depth=1
	v_cndmask_b32_e64 v34, 0, 1, s[42:43]
	v_cmp_ne_u32_e64 s[0:1], 1, v34
	s_andn2_b64 vcc, exec, s[42:43]
	s_cbranch_vccnz .LBB174_10
; %bb.9:                                ;   in Loop: Header=BB174_6 Depth=1
	s_add_i32 s24, s57, 64
	s_add_u32 s24, s60, s24
	s_addc_u32 s25, s61, 0
	s_mul_i32 s27, s24, s49
	s_mul_hi_u32 s42, s24, s53
	s_add_i32 s27, s42, s27
	s_mul_i32 s25, s25, s53
	s_add_i32 s27, s27, s25
	s_mul_i32 s24, s24, s53
	s_add_u32 s24, s24, s52
	s_addc_u32 s25, s27, s55
	s_lshl_b64 s[24:25], s[24:25], 8
	s_add_u32 s24, s4, s24
	s_addc_u32 s25, s5, s25
.LBB174_10:                             ;   in Loop: Header=BB174_6 Depth=1
	v_perm_b32 v35, v33, v32, s3
	v_perm_b32 v34, v31, v30, s3
	v_perm_b32 v37, v29, v28, s3
	v_perm_b32 v36, v27, v26, s3
	ds_write_b64 v86, v[34:35]
	ds_write_b64 v87, v[36:37]
	ds_write_b64 v89, v[34:35]
	ds_write_b64 v90, v[36:37]
	v_perm_b32 v35, v25, v24, s3
	v_perm_b32 v34, v23, v22, s3
	v_perm_b32 v37, v21, v20, s3
	v_perm_b32 v36, v19, v18, s3
	ds_write_b64 v88, v[34:35]
	ds_write_b64 v91, v[36:37]
	ds_write_b64 v92, v[34:35]
	ds_write_b64 v93, v[36:37]
	;; [unrolled: 8-line block ×4, first 2 shown]
	s_waitcnt lgkmcnt(0)
	s_barrier
	ds_read_b64 v[38:39], v102 offset:49152
	ds_read2_b64 v[34:37], v103 offset1:16
	ds_read_b64 v[50:51], v105 offset:6144
	ds_read_b64 v[52:53], v103 offset:6144
	s_waitcnt lgkmcnt(2)
	v_mfma_f32_16x16x16_bf16 a[0:3], v[38:39], v[34:35], 0
	ds_read_b64 v[54:55], v104 offset:49152
	ds_read2st64_b64 v[42:45], v106 offset0:4 offset1:8
	ds_read2st64_b64 v[46:49], v107 offset0:4 offset1:8
	v_mfma_f32_16x16x16_bf16 a[4:7], v[38:39], v[36:37], 0
	ds_read2_b64 v[34:37], v103 offset0:32 offset1:48
	s_add_i32 s27, s57, 63
	s_mul_i32 s42, s27, s31
	s_waitcnt lgkmcnt(0)
	v_mfma_f32_16x16x16_bf16 a[8:11], v[38:39], v[34:35], 0
	s_mul_hi_u32 s43, s27, s30
	s_add_i32 s43, s43, s42
	s_mul_i32 s42, s27, s30
	v_mfma_f32_16x16x16_bf16 a[12:15], v[38:39], v[36:37], 0
	ds_read2st64_b64 v[34:37], v103 offset0:4 offset1:8
	ds_read2st64_b64 v[38:41], v105 offset0:4 offset1:8
	s_lshl_b64 s[42:43], s[42:43], 2
	s_waitcnt lgkmcnt(1)
	v_mfma_f32_16x16x16_bf16 a[0:3], v[54:55], v[34:35], a[0:3]
	s_add_u32 s42, s40, s42
	s_addc_u32 s43, s41, s43
	s_and_b64 vcc, exec, s[0:1]
	s_waitcnt lgkmcnt(0)
	v_mfma_f32_16x16x16_bf16 a[4:7], v[54:55], v[38:39], a[4:7]
	v_mov_b32_e32 v133, 0
	v_mov_b32_e32 v132, 0
	v_mov_b32_e32 v131, 0
	v_mfma_f32_16x16x16_bf16 a[8:11], v[54:55], v[42:43], a[8:11]
	ds_read_b64 v[34:35], v108 offset:49152
	ds_read_b64 v[38:39], v109 offset:49152
	;; [unrolled: 1-line block ×3, first 2 shown]
	v_mfma_f32_16x16x16_bf16 a[12:15], v[54:55], v[46:47], a[12:15]
	v_mov_b32_e32 v46, 0
	v_mov_b32_e32 v47, 0
	s_waitcnt lgkmcnt(2)
	v_mfma_f32_16x16x16_bf16 a[0:3], v[34:35], v[36:37], a[0:3]
	v_mov_b32_e32 v36, 0
	v_mov_b32_e32 v37, 0
	v_mfma_f32_16x16x16_bf16 a[16:19], v[34:35], v[40:41], a[4:7]
	v_mov_b32_e32 v40, 0
	v_mov_b32_e32 v41, 0
	;; [unrolled: 3-line block ×3, first 2 shown]
	v_mfma_f32_16x16x16_bf16 a[24:27], v[34:35], v[48:49], a[12:15]
	ds_read_b64 v[34:35], v106 offset:6144
	v_mov_b32_e32 v48, 0
	v_mov_b32_e32 v49, 0
	s_waitcnt lgkmcnt(2)
	v_mfma_f32_16x16x16_bf16 a[4:7], v[38:39], v[52:53], a[0:3]
	v_mfma_f32_16x16x16_bf16 a[8:11], v[38:39], v[50:51], a[16:19]
	s_waitcnt lgkmcnt(0)
	v_mfma_f32_16x16x16_bf16 a[12:15], v[38:39], v[34:35], a[20:23]
	v_mov_b32_e32 v34, 0
	v_mov_b32_e32 v35, 0
	v_mfma_f32_16x16x16_bf16 a[0:3], v[38:39], v[42:43], a[24:27]
	v_mov_b32_e32 v38, 0
	v_mov_b32_e32 v39, 0
	v_mov_b32_e32 v42, 0
	v_mov_b32_e32 v43, 0
	s_cbranch_vccnz .LBB174_12
; %bb.11:                               ;   in Loop: Header=BB174_6 Depth=1
	s_and_b32 s21, s21, 0xffff
	buffer_load_dwordx4 v[46:49], v82, s[20:23], 0 offen
	buffer_load_dwordx4 v[42:45], v82, s[20:23], s56 offen
	;; [unrolled: 1-line block ×4, first 2 shown]
	v_mov_b32_e32 v132, v84
	v_mov_b32_e32 v131, v85
.LBB174_12:                             ;   in Loop: Header=BB174_6 Depth=1
	ds_read_b64 v[134:135], v102 offset:57344
	ds_read2_b64 v[50:53], v110 offset1:16
	ds_read_b64 v[136:137], v104 offset:57344
	ds_read_b64 v[138:139], v108 offset:57344
	;; [unrolled: 1-line block ×3, first 2 shown]
	v_add_u32_e32 v142, s57, v126
	s_waitcnt lgkmcnt(3)
	v_mfma_f32_16x16x16_bf16 a[4:7], v[134:135], v[50:51], a[4:7]
	v_mfma_f32_16x16x16_bf16 a[8:11], v[134:135], v[52:53], a[8:11]
	ds_read2_b64 v[50:53], v110 offset0:32 offset1:48
	ds_read2st64_b64 v[54:57], v110 offset0:4 offset1:8
	ds_read2st64_b64 v[58:61], v111 offset0:4 offset1:8
	;; [unrolled: 1-line block ×3, first 2 shown]
	s_waitcnt lgkmcnt(3)
	v_mfma_f32_16x16x16_bf16 a[12:15], v[134:135], v[50:51], a[12:15]
	v_ashrrev_i32_e32 v50, 31, v142
	v_mfma_f32_16x16x16_bf16 a[0:3], v[134:135], v[52:53], a[0:3]
	v_mul_lo_u32 v52, v50, s30
	v_mul_lo_u32 v53, v142, s31
	v_mad_u64_u32 v[50:51], s[20:21], v142, s30, 0
	v_add3_u32 v51, v51, v53, v52
	v_add_u32_e32 v52, 1, v142
	v_ashrrev_i32_e32 v53, 31, v52
	s_waitcnt lgkmcnt(2)
	v_mfma_f32_16x16x16_bf16 a[4:7], v[136:137], v[54:55], a[4:7]
	v_mul_lo_u32 v54, v53, s30
	v_mul_lo_u32 v55, v52, s31
	v_mad_u64_u32 v[52:53], s[20:21], v52, s30, 0
	v_add3_u32 v53, v53, v55, v54
	v_add_u32_e32 v54, 2, v142
	v_ashrrev_i32_e32 v55, 31, v54
	s_waitcnt lgkmcnt(1)
	v_mfma_f32_16x16x16_bf16 a[8:11], v[136:137], v[58:59], a[8:11]
	v_mul_lo_u32 v58, v55, s30
	v_mul_lo_u32 v59, v54, s31
	v_mad_u64_u32 v[54:55], s[20:21], v54, s30, 0
	v_add3_u32 v55, v55, v59, v58
	v_add_u32_e32 v58, 3, v142
	v_ashrrev_i32_e32 v59, 31, v58
	v_mul_lo_u32 v134, v59, s30
	v_mul_lo_u32 v135, v58, s31
	v_mad_u64_u32 v[58:59], s[20:21], v58, s30, 0
	s_add_u32 s20, s38, s57
	s_addc_u32 s21, s39, 0
	v_lshl_add_u64 v[50:51], v[50:51], 2, s[40:41]
	v_add3_u32 v59, v59, v135, v134
	s_lshl_b64 s[20:21], s[20:21], 8
	v_lshl_add_u64 v[52:53], v[52:53], 2, s[40:41]
	v_lshl_add_u64 v[54:55], v[54:55], 2, s[40:41]
	;; [unrolled: 1-line block ×3, first 2 shown]
	global_load_dword v134, v[50:51], off
	global_load_dword v135, v[52:53], off
	;; [unrolled: 1-line block ×4, first 2 shown]
	v_lshl_add_u64 v[50:51], v[68:69], 0, s[20:21]
	v_lshl_add_u64 v[54:55], v[50:51], 0, v[66:67]
	global_load_ushort v144, v[54:55], off offset:256
	global_load_ushort v145, v[54:55], off
	ds_read2st64_b64 v[50:53], v113 offset0:4 offset1:8
	global_load_ushort v146, v[54:55], off offset:768
	global_load_ushort v147, v[54:55], off offset:512
	s_waitcnt lgkmcnt(1)
	v_mfma_f32_16x16x16_bf16 a[12:15], v[136:137], v[62:63], a[12:15]
	s_and_b64 vcc, exec, s[0:1]
	s_waitcnt vmcnt(3)
	v_lshlrev_b32_e32 v63, 16, v144
	s_waitcnt lgkmcnt(0)
	v_mfma_f32_16x16x16_bf16 a[0:3], v[136:137], v[50:51], a[0:3]
	global_load_ushort v136, v[54:55], off offset:288
	global_load_ushort v137, v[54:55], off offset:32
	;; [unrolled: 1-line block ×8, first 2 shown]
	v_mfma_f32_16x16x16_bf16 a[4:7], v[138:139], v[56:57], a[4:7]
	ds_read_b64 v[50:51], v110 offset:6144
	s_waitcnt vmcnt(10)
	v_lshlrev_b32_e32 v62, 16, v145
	v_mfma_f32_16x16x16_bf16 a[8:11], v[138:139], v[60:61], a[8:11]
	v_mfma_f32_16x16x16_bf16 a[12:15], v[138:139], v[64:65], a[12:15]
	;; [unrolled: 1-line block ×3, first 2 shown]
	global_load_ushort v138, v[54:55], off offset:352
	global_load_ushort v139, v[54:55], off offset:96
	ds_read_b64 v[52:53], v111 offset:6144
	ds_read_b64 v[56:57], v112 offset:6144
	;; [unrolled: 1-line block ×3, first 2 shown]
	global_load_ushort v154, v[54:55], off offset:864
	global_load_ushort v155, v[54:55], off offset:608
	s_load_dword s20, s[42:43], 0x0
	s_waitcnt lgkmcnt(0)
	v_mfma_f32_16x16x16_bf16 a[4:7], v[140:141], v[50:51], a[4:7]
	v_sub_f32_e32 v60, s20, v142
	v_mfma_f32_16x16x16_bf16 a[0:3], v[140:141], v[58:59], a[0:3]
	v_sub_f32_e32 v58, s20, v134
	v_sub_f32_e32 v59, s20, v135
	;; [unrolled: 1-line block ×3, first 2 shown]
	v_mfma_f32_16x16x16_bf16 a[8:11], v[140:141], v[52:53], a[8:11]
	v_exp_f32_e32 v58, v58
	v_exp_f32_e32 v59, v59
	;; [unrolled: 1-line block ×4, first 2 shown]
	v_accvgpr_read_b32 v65, a5
	v_accvgpr_read_b32 v64, a4
	;; [unrolled: 1-line block ×4, first 2 shown]
	v_pk_add_f32 v[62:63], v[62:63], v[64:65] neg_lo:[0,1] neg_hi:[0,1]
	s_waitcnt vmcnt(13)
	v_lshlrev_b32_e32 v65, 16, v146
	s_waitcnt vmcnt(12)
	v_lshlrev_b32_e32 v64, 16, v147
	v_pk_add_f32 v[50:51], v[64:65], v[50:51] neg_lo:[0,1] neg_hi:[0,1]
	v_pk_mul_f32 v[62:63], v[58:59], v[62:63]
	v_pk_mul_f32 v[50:51], v[60:61], v[50:51]
	v_accvgpr_read_b32 v65, a9
	v_perm_b32 v51, v51, v50, s3
	v_perm_b32 v50, v63, v62, s3
	v_accvgpr_read_b32 v64, a8
	v_accvgpr_read_b32 v53, a11
	v_mfma_f32_16x16x16_bf16 a[12:15], v[140:141], v[56:57], a[12:15]
	v_accvgpr_read_b32 v52, a10
	v_accvgpr_read_b32 v57, a3
	;; [unrolled: 1-line block ×3, first 2 shown]
	v_mov_b32_e32 v134, 0
	s_waitcnt vmcnt(11)
	v_lshlrev_b32_e32 v63, 16, v136
	s_waitcnt vmcnt(10)
	v_lshlrev_b32_e32 v62, 16, v137
	v_pk_add_f32 v[62:63], v[62:63], v[64:65] neg_lo:[0,1] neg_hi:[0,1]
	s_waitcnt vmcnt(9)
	v_lshlrev_b32_e32 v65, 16, v148
	s_waitcnt vmcnt(8)
	v_lshlrev_b32_e32 v64, 16, v149
	v_pk_add_f32 v[52:53], v[64:65], v[52:53] neg_lo:[0,1] neg_hi:[0,1]
	v_pk_mul_f32 v[62:63], v[58:59], v[62:63]
	v_pk_mul_f32 v[52:53], v[60:61], v[52:53]
	v_accvgpr_read_b32 v55, a15
	v_perm_b32 v53, v53, v52, s3
	v_perm_b32 v52, v63, v62, s3
	ds_write2_b64 v87, v[50:51], v[52:53] offset1:16
	v_accvgpr_read_b32 v53, a13
	s_waitcnt vmcnt(7)
	v_lshlrev_b32_e32 v51, 16, v150
	s_waitcnt vmcnt(6)
	v_lshlrev_b32_e32 v50, 16, v151
	v_accvgpr_read_b32 v52, a12
	v_accvgpr_read_b32 v54, a14
	v_pk_add_f32 v[50:51], v[50:51], v[52:53] neg_lo:[0,1] neg_hi:[0,1]
	s_waitcnt vmcnt(5)
	v_lshlrev_b32_e32 v53, 16, v152
	s_waitcnt vmcnt(4)
	v_lshlrev_b32_e32 v52, 16, v153
	v_pk_add_f32 v[52:53], v[52:53], v[54:55] neg_lo:[0,1] neg_hi:[0,1]
	v_pk_mul_f32 v[50:51], v[58:59], v[50:51]
	v_pk_mul_f32 v[52:53], v[60:61], v[52:53]
	v_accvgpr_read_b32 v55, a1
	v_perm_b32 v53, v53, v52, s3
	v_perm_b32 v52, v51, v50, s3
	s_waitcnt vmcnt(3)
	v_lshlrev_b32_e32 v51, 16, v138
	s_waitcnt vmcnt(2)
	v_lshlrev_b32_e32 v50, 16, v139
	v_accvgpr_read_b32 v54, a0
	v_pk_add_f32 v[50:51], v[50:51], v[54:55] neg_lo:[0,1] neg_hi:[0,1]
	s_waitcnt vmcnt(1)
	v_lshlrev_b32_e32 v55, 16, v154
	s_waitcnt vmcnt(0)
	v_lshlrev_b32_e32 v54, 16, v155
	v_pk_add_f32 v[54:55], v[54:55], v[56:57] neg_lo:[0,1] neg_hi:[0,1]
	v_pk_mul_f32 v[50:51], v[58:59], v[50:51]
	v_pk_mul_f32 v[54:55], v[60:61], v[54:55]
	v_mov_b32_e32 v56, 0
	v_perm_b32 v55, v55, v54, s3
	v_perm_b32 v54, v51, v50, s3
	ds_write2_b64 v87, v[52:53], v[54:55] offset0:32 offset1:48
	v_mov_b32_e32 v50, 0
	v_mov_b32_e32 v51, 0
	;; [unrolled: 1-line block ×15, first 2 shown]
	s_cbranch_vccnz .LBB174_14
; %bb.13:                               ;   in Loop: Header=BB174_6 Depth=1
	s_and_b32 s25, s25, 0xffff
	s_mov_b32 s27, s23
	buffer_load_dwordx4 v[62:65], v124, s[24:27], 0 offen
	buffer_load_dwordx4 v[54:57], v124, s[24:27], s56 offen
	;; [unrolled: 1-line block ×4, first 2 shown]
	v_mov_b32_e32 v133, v81
	v_mov_b32_e32 v134, v80
.LBB174_14:                             ;   in Loop: Header=BB174_6 Depth=1
	s_waitcnt lgkmcnt(0)
	s_barrier
	ds_read_b64 v[144:145], v127
	ds_read2_b64 v[136:139], v117 offset1:16
	ds_read_b64 v[160:161], v128
	ds_read_b64 v[162:163], v129
	;; [unrolled: 1-line block ×3, first 2 shown]
	ds_read2_b64 v[140:143], v117 offset0:32 offset1:48
	s_waitcnt lgkmcnt(4)
	v_mfma_f32_16x16x16_bf16 a[0:3], v[144:145], v[136:137], 0
	ds_read2st64_b64 v[148:151], v119 offset0:4 offset1:8
	ds_read2st64_b64 v[152:155], v120 offset0:4 offset1:8
	;; [unrolled: 1-line block ×3, first 2 shown]
	v_mfma_f32_16x16x16_bf16 a[4:7], v[144:145], v[138:139], 0
	s_add_i32 s21, s50, s64
	s_mul_hi_i32 s25, s21, s13
	s_mul_i32 s21, s21, s13
	s_waitcnt lgkmcnt(3)
	v_mfma_f32_16x16x16_bf16 a[8:11], v[144:145], v[140:141], 0
	s_add_u32 s24, s21, s33
	s_addc_u32 s25, s25, s54
	s_lshl_b64 s[24:25], s[24:25], 15
	v_mfma_f32_16x16x16_bf16 a[12:15], v[144:145], v[142:143], 0
	ds_read2st64_b64 v[144:147], v117 offset0:4 offset1:8
	s_waitcnt lgkmcnt(0)
	v_mfma_f32_16x16x16_bf16 a[0:3], v[160:161], v[144:145], a[0:3]
	v_mfma_f32_16x16x16_bf16 a[4:7], v[160:161], v[148:149], a[4:7]
	;; [unrolled: 1-line block ×8, first 2 shown]
	ds_read_b64 v[160:161], v117 offset:6144
	ds_read_b64 v[162:163], v118 offset:40960
	;; [unrolled: 1-line block ×8, first 2 shown]
	s_waitcnt lgkmcnt(5)
	v_mfma_f32_16x16x16_bf16 a[16:19], v[166:167], v[136:137], 0
	v_mfma_f32_16x16x16_bf16 a[20:23], v[166:167], v[138:139], 0
	ds_read2st64_b64 v[136:139], v114 offset1:8
	v_mfma_f32_16x16x16_bf16 a[24:27], v[166:167], v[140:141], 0
	v_mfma_f32_16x16x16_bf16 a[28:31], v[166:167], v[142:143], 0
	ds_read2st64_b64 v[140:143], v115 offset1:8
	v_mfma_f32_16x16x16_bf16 a[16:19], v[162:163], v[144:145], a[16:19]
	s_waitcnt lgkmcnt(1)
	v_mov_b32_e32 v144, v136
	v_mov_b32_e32 v145, v137
	v_mfma_f32_16x16x16_bf16 a[20:23], v[162:163], v[148:149], a[20:23]
	v_lshl_add_u64 v[148:149], v[70:71], 0, s[24:25]
	v_mfma_f32_16x16x16_bf16 a[24:27], v[162:163], v[152:153], a[24:27]
	v_mfma_f32_16x16x16_bf16 a[28:31], v[162:163], v[156:157], a[28:31]
	;; [unrolled: 1-line block ×3, first 2 shown]
	s_waitcnt lgkmcnt(0)
	v_mov_b32_e32 v146, v140
	v_mov_b32_e32 v147, v141
	;; [unrolled: 1-line block ×3, first 2 shown]
	v_mfma_f32_16x16x16_bf16 a[32:35], v[174:175], v[150:151], a[20:23]
	v_mov_b32_e32 v141, v139
	ds_read2st64_b64 v[136:139], v114 offset0:16 offset1:24
	global_store_dwordx4 v[148:149], v[144:147], off
	v_mfma_f32_16x16x16_bf16 a[24:27], v[174:175], v[154:155], a[24:27]
	ds_read2st64_b64 v[144:147], v115 offset0:16 offset1:24
	v_add_co_u32_e32 v150, vcc, s35, v148
	v_mfma_f32_16x16x16_bf16 a[28:31], v[174:175], v[158:159], a[28:31]
	s_nop 0
	v_addc_co_u32_e32 v151, vcc, 0, v149, vcc
	global_store_dwordx4 v[150:151], v[140:143], off offset:-4096
	v_mfma_f32_16x16x16_bf16 a[0:3], v[164:165], v[160:161], a[0:3]
	s_waitcnt lgkmcnt(1)
	v_mov_b32_e32 v140, v136
	v_add_co_u32_e32 v136, vcc, s62, v148
	v_mfma_f32_16x16x16_bf16 a[4:7], v[164:165], v[168:169], a[4:7]
	v_mov_b32_e32 v141, v137
	v_addc_co_u32_e32 v137, vcc, 0, v149, vcc
	v_mfma_f32_16x16x16_bf16 a[8:11], v[164:165], v[170:171], a[8:11]
	s_waitcnt lgkmcnt(0)
	v_mov_b32_e32 v142, v144
	v_mov_b32_e32 v143, v145
	;; [unrolled: 1-line block ×3, first 2 shown]
	v_mfma_f32_16x16x16_bf16 a[12:15], v[164:165], v[172:173], a[12:15]
	v_mov_b32_e32 v145, v139
	s_and_b64 vcc, exec, s[0:1]
	global_store_dwordx4 v[150:151], v[140:143], off
	v_mfma_f32_16x16x16_bf16 a[20:23], v[176:177], v[160:161], a[16:19]
	global_store_dwordx4 v[136:137], v[144:147], off
	v_mfma_f32_16x16x16_bf16 a[16:19], v[176:177], v[168:169], a[32:35]
	v_mfma_f32_16x16x16_bf16 a[24:27], v[176:177], v[170:171], a[24:27]
	;; [unrolled: 1-line block ×3, first 2 shown]
	s_cbranch_vccnz .LBB174_16
; %bb.15:                               ;   in Loop: Header=BB174_6 Depth=1
	v_lshrrev_b32_e32 v135, 3, v133
	v_and_b32_e32 v135, 6, v135
	v_xor_b32_e32 v134, v135, v134
	v_lshlrev_b32_e32 v134, 2, v134
	v_and_b32_e32 v133, 8, v133
	v_xor_b32_e32 v136, 0x440, v134
	v_cmp_eq_u32_e32 vcc, 0, v133
	s_barrier
	s_nop 0
	v_cndmask_b32_e32 v133, v136, v134, vcc
	v_lshl_or_b32 v133, v135, 10, v133
	s_waitcnt vmcnt(5)
	v_perm_b32 v134, v62, v58, s58
	s_waitcnt vmcnt(4)
	v_perm_b32 v135, v54, v50, s58
	ds_write2st64_b32 v133, v134, v135 offset0:128 offset1:160
	v_xor_b32_e32 v134, 8, v133
	v_perm_b32 v58, v62, v58, s59
	v_perm_b32 v50, v54, v50, s59
	v_add_u32_e32 v54, 0x80, v134
	ds_write2st64_b32 v54, v58, v50 offset0:128 offset1:160
	v_xor_b32_e32 v50, 16, v133
	v_perm_b32 v54, v63, v59, s58
	v_perm_b32 v58, v55, v51, s58
	ds_write2st64_b32 v50, v54, v58 offset0:129 offset1:161
	v_xor_b32_e32 v50, 24, v133
	v_perm_b32 v54, v63, v59, s59
	v_perm_b32 v51, v55, v51, s59
	v_add_u32_e32 v50, 0x80, v50
	ds_write2st64_b32 v50, v54, v51 offset0:129 offset1:161
	v_xor_b32_e32 v50, 32, v133
	v_perm_b32 v51, v64, v60, s58
	;; [unrolled: 9-line block ×3, first 2 shown]
	v_perm_b32 v52, v57, v53, s58
	ds_write2st64_b32 v50, v51, v52 offset0:131 offset1:163
	v_xor_b32_e32 v50, 56, v133
	v_perm_b32 v51, v65, v61, s59
	v_perm_b32 v52, v57, v53, s59
	v_add_u32_e32 v50, 0x80, v50
	ds_write2st64_b32 v50, v51, v52 offset0:131 offset1:163
	ds_write_b64 v132, v[46:47] offset:49152
	v_xor_b32_e32 v46, 8, v132
	ds_write_b64 v46, v[48:49] offset:49152
	ds_write_b64 v132, v[42:43] offset:57344
	;; [unrolled: 1-line block ×4, first 2 shown]
	v_xor_b32_e32 v38, 8, v131
	ds_write_b64 v38, v[40:41] offset:49152
	ds_write_b64 v131, v[34:35] offset:57344
	ds_write_b64 v38, v[36:37] offset:57344
.LBB174_16:                             ;   in Loop: Header=BB174_6 Depth=1
	v_exp_f32_e32 v132, s20
	v_accvgpr_read_b32 v37, a3
	v_accvgpr_read_b32 v41, a7
	v_accvgpr_read_b32 v45, a11
	v_accvgpr_read_b32 v49, a15
	s_waitcnt vmcnt(4)
	v_accvgpr_read_b32 v53, a23
	v_accvgpr_read_b32 v57, a19
	;; [unrolled: 1-line block ×28, first 2 shown]
	s_add_i32 s57, s57, 64
	v_pk_fma_f32 v[30:31], v[132:133], v[30:31], v[34:35] op_sel_hi:[0,1,1]
	v_pk_fma_f32 v[32:33], v[132:133], v[32:33], v[36:37] op_sel_hi:[0,1,1]
	;; [unrolled: 1-line block ×15, first 2 shown]
	s_cmp_eq_u32 s48, s63
	v_pk_fma_f32 v[8:9], v[132:133], v[8:9], v[64:65] op_sel_hi:[0,1,1]
	s_cbranch_scc1 .LBB174_18
; %bb.17:                               ;   in Loop: Header=BB174_6 Depth=1
	s_mov_b32 s64, s63
	s_branch .LBB174_6
.LBB174_18:
	s_lshl_b32 s42, s48, 6
	s_sub_i32 s43, s12, s42
	s_cmp_gt_i32 s43, 0
	v_or_b32_e32 v50, s2, v76
	s_cbranch_scc1 .LBB174_20
; %bb.19:
	s_ashr_i32 s0, s33, 31
	s_add_u32 s24, s45, s33
	s_addc_u32 s25, s51, s0
	v_or_b32_e32 v34, s2, v76
	s_cbranch_execz .LBB174_21
	s_branch .LBB174_101
.LBB174_20:
                                        ; implicit-def: $sgpr24_sgpr25
                                        ; implicit-def: $vgpr34
.LBB174_21:
	s_ashr_i32 s35, s47, 31
	s_ashr_i32 s3, s42, 31
	s_cmpk_lg_i32 s15, 0x80
	s_cselect_b64 s[38:39], -1, 0
	s_and_b64 vcc, exec, s[38:39]
	s_cbranch_vccz .LBB174_23
; %bb.22:
	s_mul_i32 s1, s47, s12
	s_mul_hi_i32 s0, s47, s12
	s_add_u32 s1, s1, s42
	s_addc_u32 s0, s0, s3
	s_mul_i32 s20, s1, s49
	s_mul_hi_u32 s21, s1, s14
	s_add_i32 s20, s21, s20
	s_mul_i32 s0, s0, s14
	s_add_i32 s20, s20, s0
	s_mul_i32 s1, s1, s14
	s_ashr_i32 s0, s52, 31
	s_add_u32 s40, s1, s52
	s_addc_u32 s41, s20, s0
	s_cbranch_execz .LBB174_24
	s_branch .LBB174_25
.LBB174_23:
                                        ; implicit-def: $sgpr40_sgpr41
.LBB174_24:
	s_mul_hi_i32 s0, s47, s14
	s_mul_i32 s47, s47, s14
	s_ashr_i32 s1, s52, 31
	s_add_u32 s14, s47, s52
	s_addc_u32 s0, s0, s1
	s_mul_i32 s1, s14, s46
	s_mul_hi_u32 s20, s14, s12
	s_add_i32 s1, s20, s1
	s_mul_i32 s0, s0, s12
	s_add_i32 s1, s1, s0
	s_mul_i32 s14, s14, s12
	s_add_u32 s40, s14, s42
	s_addc_u32 s41, s1, s3
.LBB174_25:
	s_add_i32 s20, s50, s48
	s_ashr_i32 s14, s33, 31
	s_add_u32 s24, s45, s33
	s_addc_u32 s25, s51, s14
	s_mul_i32 s0, s24, s46
	s_mul_hi_u32 s1, s24, s12
	s_add_i32 s0, s1, s0
	s_mul_i32 s1, s25, s12
	s_add_i32 s1, s0, s1
	s_mul_i32 s0, s24, s12
	s_add_u32 s0, s0, s42
	v_lshlrev_b32_e32 v38, 6, v1
	v_lshlrev_b32_e32 v58, 2, v76
	s_addc_u32 s1, s1, s3
	s_mov_b32 s3, 0x7060302
	v_or_b32_e32 v41, v38, v58
	v_xor_b32_e32 v39, v1, v58
	v_perm_b32 v35, v33, v32, s3
	v_perm_b32 v34, v31, v30, s3
	;; [unrolled: 1-line block ×4, first 2 shown]
	v_lshlrev_b32_e32 v41, 1, v41
	v_xor_b32_e32 v40, v79, v58
	ds_write2st64_b64 v41, v[34:35], v[36:37] offset0:32 offset1:48
	v_lshlrev_b32_e32 v39, 1, v39
	v_lshlrev_b32_e32 v41, 8, v76
	v_or_b32_e32 v42, v39, v41
	v_lshlrev_b32_e32 v40, 1, v40
	ds_write_b64 v42, v[34:35]
	v_or_b32_e32 v34, v40, v41
	v_or_b32_e32 v41, 16, v76
	v_lshlrev_b32_e32 v57, 2, v41
	v_or_b32_e32 v42, v38, v57
	ds_write_b64 v34, v[36:37]
	v_perm_b32 v35, v25, v24, s3
	v_perm_b32 v34, v23, v22, s3
	;; [unrolled: 1-line block ×4, first 2 shown]
	v_lshlrev_b32_e32 v42, 1, v42
	v_lshlrev_b32_e32 v41, 8, v41
	ds_write2st64_b64 v42, v[34:35], v[36:37] offset0:32 offset1:48
	v_or_b32_e32 v42, v39, v41
	ds_write_b64 v42, v[34:35]
	v_or_b32_e32 v34, v40, v41
	v_or_b32_e32 v41, 32, v76
	v_lshlrev_b32_e32 v56, 2, v41
	v_or_b32_e32 v42, v38, v56
	ds_write_b64 v34, v[36:37]
	v_perm_b32 v35, v17, v16, s3
	v_perm_b32 v34, v15, v14, s3
	;; [unrolled: 1-line block ×4, first 2 shown]
	v_lshlrev_b32_e32 v42, 1, v42
	v_lshlrev_b32_e32 v41, 8, v41
	s_lshl_b64 s[26:27], s[0:1], 8
	ds_write2st64_b64 v42, v[34:35], v[36:37] offset0:32 offset1:48
	v_or_b32_e32 v42, v39, v41
	s_add_u32 s0, s6, s26
	ds_write_b64 v42, v[34:35]
	v_or_b32_e32 v34, v40, v41
	s_addc_u32 s1, s7, s27
	ds_write_b64 v34, v[36:37]
	v_perm_b32 v35, v5, v4, s3
	v_perm_b32 v34, v3, v2, s3
	;; [unrolled: 1-line block ×4, first 2 shown]
	v_or_b32_e32 v41, 48, v76
	s_mul_hi_i32 s3, s20, s13
	s_mul_i32 s20, s20, s13
	v_lshlrev_b32_e32 v53, 2, v41
	s_add_u32 s6, s20, s33
	v_or_b32_e32 v38, v38, v53
	s_addc_u32 s7, s3, s14
	v_lshlrev_b32_e32 v38, 1, v38
	s_ashr_i32 s3, s2, 31
	s_lshl_b64 s[6:7], s[6:7], 15
	ds_write2st64_b64 v38, v[34:35], v[36:37] offset0:32 offset1:48
	v_lshlrev_b32_e32 v38, 8, v41
	s_waitcnt lgkmcnt(0)
	s_add_u32 s6, s36, s6
	v_or_b32_e32 v39, v39, v38
	s_addc_u32 s7, s37, s7
	s_lshl_b64 s[2:3], s[2:3], 8
	ds_write_b64 v39, v[34:35]
	v_or_b32_e32 v34, v40, v38
	s_add_u32 s2, s6, s2
	v_lshlrev_b32_e32 v35, 1, v76
	ds_write_b64 v34, v[36:37]
	v_lshrrev_b32_e32 v34, 4, v0
	s_addc_u32 s3, s7, s3
	v_or_b32_e32 v36, 1, v35
	v_lshlrev_b32_e32 v42, 4, v76
	v_mov_b32_e32 v43, 0
	v_xor_b32_e32 v35, v34, v35
	v_xor_b32_e32 v38, v36, v34
	v_lshl_add_u64 v[44:45], s[2:3], 0, v[42:43]
	v_lshlrev_b32_e32 v42, 8, v34
	v_lshl_or_b32 v48, v35, 3, v42
	v_lshl_or_b32 v49, v38, 3, v42
	s_waitcnt lgkmcnt(0)
	s_barrier
	ds_read2st64_b64 v[34:37], v48 offset1:8
	ds_read2st64_b64 v[38:41], v49 offset1:8
	v_lshl_add_u64 v[46:47], v[44:45], 0, v[42:43]
	s_movk_i32 s2, 0x2000
	s_cmp_lg_u32 s43, 64
	s_waitcnt lgkmcnt(1)
	v_mov_b32_e32 v42, v34
	v_mov_b32_e32 v43, v35
	s_waitcnt lgkmcnt(0)
	v_mov_b32_e32 v44, v38
	v_mov_b32_e32 v45, v39
	global_store_dwordx4 v[46:47], v[42:45], off
	v_mov_b32_e32 v38, v36
	v_mov_b32_e32 v39, v37
	ds_read2st64_b64 v[34:37], v48 offset0:16 offset1:24
	ds_read2st64_b64 v[42:45], v49 offset0:16 offset1:24
	v_add_co_u32_e32 v48, vcc, s2, v46
	s_cselect_b64 s[6:7], -1, 0
	s_nop 0
	v_addc_co_u32_e32 v49, vcc, 0, v47, vcc
	global_store_dwordx4 v[48:49], v[38:41], off offset:-4096
	v_lshl_or_b32 v51, v72, 3, v78
	s_mov_b32 s20, 0
	s_waitcnt lgkmcnt(1)
	v_mov_b32_e32 v38, v34
	v_add_co_u32_e32 v34, vcc, 0x3000, v46
	v_mov_b32_e32 v39, v35
	s_nop 0
	v_addc_co_u32_e32 v35, vcc, 0, v47, vcc
	s_waitcnt lgkmcnt(0)
	v_mov_b32_e32 v40, v42
	v_mov_b32_e32 v41, v43
	;; [unrolled: 1-line block ×4, first 2 shown]
	v_or_b32_e32 v54, 32, v51
	v_and_b32_e32 v52, 56, v77
	s_and_b64 vcc, exec, s[6:7]
	global_store_dwordx4 v[48:49], v[38:41], off
	global_store_dwordx4 v[34:35], v[42:45], off
	s_cbranch_vccz .LBB174_31
; %bb.26:
	s_mov_b32 s22, s20
	s_mov_b32 s23, s20
	;; [unrolled: 1-line block ×3, first 2 shown]
	v_mov_b64_e32 v[40:41], s[22:23]
	v_mov_b64_e32 v[38:39], s[20:21]
	;; [unrolled: 1-line block ×3, first 2 shown]
	v_cmp_gt_i32_e32 vcc, s43, v51
	v_mov_b64_e32 v[36:37], v[40:41]
	s_and_saveexec_b64 s[2:3], vcc
	s_cbranch_execz .LBB174_28
; %bb.27:
	v_lshlrev_b32_e32 v34, 8, v51
	v_mov_b32_e32 v35, 0
	v_lshl_add_u64 v[36:37], s[0:1], 0, v[34:35]
	v_lshlrev_b32_e32 v34, 1, v52
	v_lshl_add_u64 v[42:43], v[36:37], 0, v[34:35]
	global_load_dwordx4 v[38:41], v[42:43], off
	global_load_dwordx4 v[34:37], v[42:43], off offset:128
.LBB174_28:
	s_or_b64 exec, exec, s[2:3]
	s_mov_b32 s22, s20
	s_mov_b32 s23, s20
	;; [unrolled: 1-line block ×3, first 2 shown]
	v_mov_b64_e32 v[48:49], s[22:23]
	v_mov_b64_e32 v[46:47], s[20:21]
	;; [unrolled: 1-line block ×3, first 2 shown]
	v_cmp_gt_i32_e32 vcc, s43, v54
	v_lshlrev_b32_e32 v55, 7, v54
	v_mov_b64_e32 v[44:45], v[48:49]
	s_and_saveexec_b64 s[2:3], vcc
	s_cbranch_execz .LBB174_30
; %bb.29:
	v_lshlrev_b32_e32 v42, 1, v55
	v_mov_b32_e32 v43, 0
	v_lshl_add_u64 v[44:45], s[0:1], 0, v[42:43]
	v_lshlrev_b32_e32 v42, 1, v52
	v_lshl_add_u64 v[60:61], v[44:45], 0, v[42:43]
	global_load_dwordx4 v[46:49], v[60:61], off
	global_load_dwordx4 v[42:45], v[60:61], off offset:128
.LBB174_30:
	s_or_b64 exec, exec, s[2:3]
	v_lshrrev_b32_e32 v59, 3, v52
	v_lshlrev_b32_e32 v60, 3, v51
	v_or_b32_e32 v59, v60, v59
	v_lshlrev_b32_e32 v59, 4, v59
	v_and_b32_e32 v60, 0x78, v60
	v_xor_b32_e32 v59, v59, v60
	s_branch .LBB174_33
.LBB174_31:
                                        ; implicit-def: $vgpr59
                                        ; implicit-def: $vgpr55
                                        ; implicit-def: $vgpr38_vgpr39_vgpr40_vgpr41
                                        ; implicit-def: $vgpr34_vgpr35_vgpr36_vgpr37
                                        ; implicit-def: $vgpr46_vgpr47_vgpr48_vgpr49
                                        ; implicit-def: $vgpr42_vgpr43_vgpr44_vgpr45
	s_cbranch_execz .LBB174_33
; %bb.32:
	s_waitcnt vmcnt(0)
	v_lshlrev_b32_e32 v34, 1, v52
	v_lshl_or_b32 v55, v51, 8, v34
	s_and_b32 s1, s1, 0xffff
	s_mov_b32 s3, 0x20000
	s_movk_i32 s2, 0x4000
	v_lshl_or_b32 v59, v54, 8, v34
	s_movk_i32 s13, 0x80
	buffer_load_dwordx4 v[38:41], v55, s[0:3], 0 offen
	buffer_load_dwordx4 v[34:37], v55, s[0:3], s13 offen
	;; [unrolled: 1-line block ×4, first 2 shown]
	v_lshrrev_b32_e32 v55, 3, v52
	v_lshlrev_b32_e32 v59, 3, v51
	v_or_b32_e32 v55, v59, v55
	v_lshlrev_b32_e32 v55, 4, v55
	v_and_b32_e32 v59, 0x78, v59
	v_xor_b32_e32 v59, v55, v59
	v_lshlrev_b32_e32 v55, 7, v54
.LBB174_33:
	s_movk_i32 s0, 0x1000
	v_and_or_b32 v54, v55, s0, v59
	s_waitcnt vmcnt(1)
	ds_write_b64 v59, v[38:39] offset:49152
	v_xor_b32_e32 v38, 8, v59
	ds_write_b64 v38, v[40:41] offset:49152
	s_waitcnt vmcnt(0)
	ds_write_b64 v59, v[34:35] offset:57344
	ds_write_b64 v38, v[36:37] offset:57344
	;; [unrolled: 1-line block ×3, first 2 shown]
	v_xor_b32_e32 v34, 8, v54
	ds_write_b64 v34, v[48:49] offset:49152
	ds_write_b64 v54, v[42:43] offset:57344
	;; [unrolled: 1-line block ×3, first 2 shown]
	v_or_b32_e32 v34, v73, v76
	v_lshlrev_b32_e32 v34, 3, v34
	v_lshrrev_b32_e32 v35, 5, v74
	s_movk_i32 s0, 0xf8
	v_and_or_b32 v35, v34, s0, v35
	v_lshlrev_b32_e32 v39, 4, v35
	v_lshlrev_b32_e32 v59, 11, v72
	v_and_b32_e32 v40, 0x78, v34
	v_or_b32_e32 v42, 32, v39
	v_and_b32_e32 v38, 0x1000, v59
	v_lshrrev_b32_e32 v35, 1, v74
	v_xor_b32_e32 v42, v42, v40
	v_xor_b32_e32 v34, v39, v40
	v_and_b32_e32 v41, 8, v35
	v_or_b32_e32 v42, v42, v38
	v_or_b32_e32 v34, v34, v38
	v_xor_b32_e32 v65, v42, v41
	v_or_b32_e32 v42, 64, v39
	v_xor_b32_e32 v64, v34, v41
	v_xor_b32_e32 v42, v42, v40
	s_waitcnt lgkmcnt(0)
	s_barrier
	v_or_b32_e32 v45, v42, v38
	ds_read_b64 v[42:43], v64 offset:49152
	v_lshl_or_b32 v46, v75, 8, v58
	v_lshlrev_b32_e32 v60, 1, v46
	v_add_u32_e32 v44, 0x4000, v60
	ds_read2_b64 v[34:37], v44 offset1:16
	v_or_b32_e32 v39, 0x60, v39
	v_xor_b32_e32 v39, v39, v40
	v_or_b32_e32 v38, v39, v38
	v_xor_b32_e32 v66, v45, v41
	v_xor_b32_e32 v67, v38, v41
	ds_read_b64 v[54:55], v65 offset:49152
	ds_read_b64 v[68:69], v66 offset:49152
	;; [unrolled: 1-line block ×3, first 2 shown]
	s_waitcnt lgkmcnt(3)
	v_mfma_f32_16x16x16_bf16 a[0:3], v[42:43], v[34:35], 0
	ds_read2_b64 v[38:41], v44 offset0:32 offset1:48
	s_lshl_b64 s[0:1], s[40:41], 8
	s_add_u32 s4, s4, s0
	v_mfma_f32_16x16x16_bf16 a[4:7], v[42:43], v[36:37], 0
	ds_read2st64_b64 v[34:37], v60 offset0:36 offset1:40
	s_addc_u32 s5, s5, s1
	s_add_i32 s2, s12, -1
	s_waitcnt lgkmcnt(1)
	v_mfma_f32_16x16x16_bf16 a[8:11], v[42:43], v[38:39], 0
	v_or_b32_e32 v38, 64, v46
	v_lshlrev_b32_e32 v61, 1, v38
	s_add_i32 s0, s44, s17
	s_waitcnt lgkmcnt(0)
	v_mfma_f32_16x16x16_bf16 a[0:3], v[54:55], v[34:35], a[0:3]
	v_or_b32_e32 v34, 0x80, v46
	v_lshlrev_b32_e32 v62, 1, v34
	v_or_b32_e32 v34, 0xc0, v46
	v_mfma_f32_16x16x16_bf16 a[12:15], v[42:43], v[40:41], 0
	ds_read2st64_b64 v[38:41], v61 offset0:36 offset1:40
	v_lshlrev_b32_e32 v63, 1, v34
	ds_read2st64_b64 v[42:45], v62 offset0:36 offset1:40
	ds_read2st64_b64 v[46:49], v63 offset0:36 offset1:40
	s_mul_i32 s35, s35, s16
	s_add_i32 s35, s0, s35
	s_mul_i32 s0, s33, s19
	s_mul_hi_u32 s1, s33, s18
	s_ashr_i32 s3, s2, 31
	s_mul_i32 s12, s2, s31
	s_mul_hi_u32 s13, s2, s30
	s_waitcnt lgkmcnt(2)
	v_mfma_f32_16x16x16_bf16 a[4:7], v[54:55], v[38:39], a[4:7]
	s_add_i32 s0, s1, s0
	s_mul_i32 s1, s14, s18
	s_add_i32 s12, s13, s12
	s_mul_i32 s3, s3, s30
	s_waitcnt lgkmcnt(1)
	v_mfma_f32_16x16x16_bf16 a[8:11], v[54:55], v[42:43], a[8:11]
	s_add_i32 s1, s0, s1
	s_add_i32 s3, s12, s3
	s_lshl_b64 s[12:13], s[34:35], 2
	s_waitcnt lgkmcnt(0)
	v_mfma_f32_16x16x16_bf16 a[12:15], v[54:55], v[46:47], a[12:15]
	s_mul_i32 s0, s33, s18
	s_add_u32 s10, s10, s12
	s_addc_u32 s11, s11, s13
	s_lshl_b64 s[0:1], s[0:1], 2
	v_mfma_f32_16x16x16_bf16 a[0:3], v[68:69], v[36:37], a[0:3]
	s_mul_i32 s2, s2, s30
	ds_read_b64 v[34:35], v60 offset:22528
	s_add_u32 s10, s10, s0
	v_mfma_f32_16x16x16_bf16 a[4:7], v[68:69], v[40:41], a[4:7]
	ds_read_b64 v[36:37], v61 offset:22528
	ds_read_b64 v[38:39], v62 offset:22528
	;; [unrolled: 1-line block ×3, first 2 shown]
	s_addc_u32 s11, s11, s1
	s_lshl_b64 s[0:1], s[2:3], 2
	v_mfma_f32_16x16x16_bf16 a[8:11], v[68:69], v[44:45], a[8:11]
	s_add_u32 s0, s10, s0
	s_addc_u32 s1, s11, s1
	s_load_dword s12, s[0:1], 0x0
	v_mfma_f32_16x16x16_bf16 a[12:15], v[68:69], v[48:49], a[12:15]
	s_and_b64 vcc, exec, s[38:39]
	s_waitcnt lgkmcnt(0)
	v_mfma_f32_16x16x16_bf16 a[0:3], v[70:71], v[34:35], a[0:3]
	v_mfma_f32_16x16x16_bf16 a[4:7], v[70:71], v[36:37], a[4:7]
	;; [unrolled: 1-line block ×4, first 2 shown]
	s_cbranch_vccz .LBB174_44
; %bb.34:
	v_lshlrev_b32_e32 v54, 1, v51
	s_and_b64 vcc, exec, s[6:7]
	s_cbranch_vccz .LBB174_45
; %bb.35:
	v_cmp_gt_i32_e32 vcc, s43, v54
	v_mov_b32_e32 v38, 0
	v_mov_b32_e32 v34, 0
	;; [unrolled: 1-line block ×5, first 2 shown]
	s_and_saveexec_b64 s[0:1], vcc
	s_cbranch_execz .LBB174_37
; %bb.36:
	v_mad_i64_i32 v[34:35], s[2:3], s15, v54, 0
	v_lshl_add_u64 v[34:35], v[34:35], 1, s[4:5]
	v_lshlrev_b32_e32 v36, 1, v52
	v_mov_b32_e32 v37, 0
	v_lshl_add_u64 v[34:35], v[34:35], 0, v[36:37]
	global_load_dwordx4 v[34:37], v[34:35], off
.LBB174_37:
	s_or_b64 exec, exec, s[0:1]
	v_or_b32_e32 v55, 1, v54
	v_cmp_gt_i32_e64 s[0:1], s43, v55
	v_mov_b32_e32 v39, 0
	v_mov_b32_e32 v40, 0
	;; [unrolled: 1-line block ×3, first 2 shown]
	s_and_saveexec_b64 s[2:3], s[0:1]
	s_cbranch_execz .LBB174_39
; %bb.38:
	v_mad_i64_i32 v[38:39], s[16:17], s15, v55, 0
	v_lshl_add_u64 v[38:39], v[38:39], 1, s[4:5]
	v_lshlrev_b32_e32 v40, 1, v52
	v_mov_b32_e32 v41, 0
	v_lshl_add_u64 v[38:39], v[38:39], 0, v[40:41]
	global_load_dwordx4 v[38:41], v[38:39], off
.LBB174_39:
	s_or_b64 exec, exec, s[2:3]
	v_mov_b32_e32 v49, 0
	v_mov_b32_e32 v42, 0
	;; [unrolled: 1-line block ×5, first 2 shown]
	s_and_saveexec_b64 s[2:3], vcc
	s_cbranch_execz .LBB174_41
; %bb.40:
	v_mad_i64_i32 v[42:43], s[16:17], s15, v54, 0
	v_lshl_add_u64 v[42:43], v[42:43], 1, s[4:5]
	v_lshlrev_b32_e32 v44, 1, v52
	v_mov_b32_e32 v45, 0
	v_lshl_add_u64 v[42:43], v[42:43], 0, v[44:45]
	global_load_dwordx4 v[42:45], v[42:43], off offset:128
.LBB174_41:
	s_or_b64 exec, exec, s[2:3]
	v_mov_b32_e32 v48, 0
	v_mov_b32_e32 v47, 0
	;; [unrolled: 1-line block ×3, first 2 shown]
	s_and_saveexec_b64 s[2:3], s[0:1]
	s_cbranch_execz .LBB174_43
; %bb.42:
	v_mad_i64_i32 v[46:47], s[0:1], s15, v55, 0
	v_lshl_add_u64 v[46:47], v[46:47], 1, s[4:5]
	v_lshlrev_b32_e32 v48, 1, v52
	v_mov_b32_e32 v49, 0
	v_lshl_add_u64 v[46:47], v[46:47], 0, v[48:49]
	global_load_dwordx4 v[46:49], v[46:47], off offset:128
.LBB174_43:
	s_or_b64 exec, exec, s[2:3]
	s_branch .LBB174_47
.LBB174_44:
                                        ; implicit-def: $vgpr37
                                        ; implicit-def: $vgpr41
                                        ; implicit-def: $vgpr45
                                        ; implicit-def: $vgpr49
	v_lshrrev_b32_e32 v68, 2, v74
	s_branch .LBB174_48
.LBB174_45:
                                        ; implicit-def: $vgpr37
                                        ; implicit-def: $vgpr41
                                        ; implicit-def: $vgpr45
                                        ; implicit-def: $vgpr49
	s_cbranch_execz .LBB174_47
; %bb.46:
	s_waitcnt vmcnt(0)
	v_mad_u64_u32 v[34:35], s[0:1], v54, s15, v[52:53]
	v_lshlrev_b32_e32 v54, 1, v34
	s_lshl_b32 s2, s15, 7
	s_and_b32 s1, s5, 0xffff
	s_mov_b32 s3, 0x20000
	s_mov_b32 s0, s4
	v_add_lshl_u32 v55, v34, s15, 1
	s_movk_i32 s13, 0x80
	buffer_load_dwordx4 v[34:37], v54, s[0:3], 0 offen
	buffer_load_dwordx4 v[42:45], v54, s[0:3], s13 offen
	;; [unrolled: 1-line block ×4, first 2 shown]
.LBB174_47:
	v_lshrrev_b32_e32 v68, 2, v74
	s_cbranch_execnz .LBB174_60
.LBB174_48:
	s_and_b64 vcc, exec, s[6:7]
	s_cbranch_vccz .LBB174_58
; %bb.49:
	s_waitcnt vmcnt(0)
	v_lshlrev_b32_e32 v39, 1, v51
	v_cmp_gt_i32_e32 vcc, s43, v39
	v_mov_b32_e32 v38, 0
	v_lshlrev_b32_e32 v46, 9, v51
	v_mov_b32_e32 v34, 0
	v_mov_b32_e32 v35, 0
	v_mov_b32_e32 v36, 0
	v_mov_b32_e32 v37, 0
	s_and_saveexec_b64 s[0:1], vcc
	s_cbranch_execz .LBB174_51
; %bb.50:
	v_mov_b32_e32 v47, 0
	v_lshl_add_u64 v[34:35], s[4:5], 0, v[46:47]
	v_lshlrev_b32_e32 v36, 1, v52
	v_mov_b32_e32 v37, v47
	v_lshl_add_u64 v[34:35], v[34:35], 0, v[36:37]
	global_load_dwordx4 v[34:37], v[34:35], off
.LBB174_51:
	s_or_b64 exec, exec, s[0:1]
	v_or_b32_e32 v39, 1, v39
	v_cmp_gt_i32_e64 s[0:1], s43, v39
	v_lshlrev_b32_e32 v54, 8, v39
	v_mov_b32_e32 v39, 0
	v_mov_b32_e32 v40, 0
	;; [unrolled: 1-line block ×3, first 2 shown]
	s_and_saveexec_b64 s[2:3], s[0:1]
	s_cbranch_execz .LBB174_53
; %bb.52:
	v_mov_b32_e32 v55, 0
	v_lshl_add_u64 v[38:39], s[4:5], 0, v[54:55]
	v_lshlrev_b32_e32 v40, 1, v52
	v_mov_b32_e32 v41, v55
	v_lshl_add_u64 v[38:39], v[38:39], 0, v[40:41]
	global_load_dwordx4 v[38:41], v[38:39], off
.LBB174_53:
	s_or_b64 exec, exec, s[2:3]
	v_mov_b32_e32 v49, 0
	v_mov_b32_e32 v42, 0
	;; [unrolled: 1-line block ×5, first 2 shown]
	s_and_saveexec_b64 s[2:3], vcc
	s_cbranch_execz .LBB174_55
; %bb.54:
	v_mov_b32_e32 v47, 0
	v_lshl_add_u64 v[42:43], s[4:5], 0, v[46:47]
	v_lshlrev_b32_e32 v46, 1, v52
	v_lshl_add_u64 v[42:43], v[42:43], 0, v[46:47]
	global_load_dwordx4 v[42:45], v[42:43], off offset:128
.LBB174_55:
	s_or_b64 exec, exec, s[2:3]
	v_mov_b32_e32 v48, 0
	v_mov_b32_e32 v47, 0
	;; [unrolled: 1-line block ×3, first 2 shown]
	s_and_saveexec_b64 s[2:3], s[0:1]
	s_cbranch_execz .LBB174_57
; %bb.56:
	v_mov_b32_e32 v55, 0
	v_lshl_add_u64 v[46:47], s[4:5], 0, v[54:55]
	v_lshlrev_b32_e32 v54, 1, v52
	v_lshl_add_u64 v[46:47], v[46:47], 0, v[54:55]
	global_load_dwordx4 v[46:49], v[46:47], off offset:128
.LBB174_57:
	s_or_b64 exec, exec, s[2:3]
	s_branch .LBB174_60
.LBB174_58:
                                        ; implicit-def: $vgpr37
                                        ; implicit-def: $vgpr41
                                        ; implicit-def: $vgpr45
                                        ; implicit-def: $vgpr49
	s_cbranch_execz .LBB174_60
; %bb.59:
	s_waitcnt vmcnt(0)
	v_lshlrev_b32_e32 v34, 1, v52
	v_lshl_or_b32 v52, v51, 9, v34
	s_and_b32 s5, s5, 0xffff
	s_mov_b32 s7, 0x20000
	s_movk_i32 s6, 0x4000
	s_movk_i32 s0, 0x80
	buffer_load_dwordx4 v[34:37], v52, s[4:7], 0 offen
	buffer_load_dwordx4 v[38:41], v52, s[4:7], 0 offen offset:256
	buffer_load_dwordx4 v[42:45], v52, s[4:7], s0 offen
	buffer_load_dwordx4 v[46:49], v52, s[4:7], s0 offen offset:256
.LBB174_60:
	ds_read_b64 v[54:55], v64 offset:57344
	v_add_u32_e32 v52, 0x6000, v60
	ds_read2_b64 v[74:77], v52 offset1:16
	ds_read_b64 v[70:71], v65 offset:57344
	ds_read_b64 v[86:87], v66 offset:57344
	;; [unrolled: 1-line block ×3, first 2 shown]
	ds_read2_b64 v[64:67], v52 offset0:32 offset1:48
	v_and_b32_e32 v52, 6, v0
	v_xor_b32_e32 v51, v51, v52
	v_lshlrev_b32_e32 v51, 2, v51
	s_mov_b32 s0, 0x1000504
	s_mov_b32 s1, 0x3020706
	s_waitcnt lgkmcnt(4)
	v_mfma_f32_16x16x16_bf16 a[4:7], v[54:55], v[76:77], a[4:7]
	v_mfma_f32_16x16x16_bf16 a[0:3], v[54:55], v[74:75], a[0:3]
	ds_read2st64_b64 v[74:77], v60 offset0:52 offset1:56
	s_waitcnt lgkmcnt(1)
	v_mfma_f32_16x16x16_bf16 a[8:11], v[54:55], v[64:65], a[8:11]
	v_mfma_f32_16x16x16_bf16 a[12:15], v[54:55], v[66:67], a[12:15]
	ds_read2st64_b64 v[64:67], v61 offset0:52 offset1:56
	ds_read2st64_b64 v[78:81], v62 offset0:52 offset1:56
	;; [unrolled: 1-line block ×3, first 2 shown]
	s_waitcnt lgkmcnt(2)
	v_mfma_f32_16x16x16_bf16 a[4:7], v[70:71], v[64:65], a[4:7]
	v_and_b32_e32 v64, 1, v0
	v_xor_b32_e32 v65, 0x440, v51
	v_cmp_eq_u32_e32 vcc, 0, v64
	v_mfma_f32_16x16x16_bf16 a[0:3], v[70:71], v[74:75], a[0:3]
	s_waitcnt vmcnt(0)
	v_perm_b32 v64, v42, v46, s0
	v_cndmask_b32_e32 v51, v65, v51, vcc
	v_lshl_or_b32 v51, v52, 10, v51
	s_waitcnt lgkmcnt(1)
	v_mfma_f32_16x16x16_bf16 a[8:11], v[70:71], v[78:79], a[8:11]
	v_perm_b32 v52, v34, v38, s0
	ds_read_b64 v[54:55], v60 offset:30720
	ds_read_b64 v[74:75], v61 offset:30720
	;; [unrolled: 1-line block ×4, first 2 shown]
	ds_write2st64_b32 v51, v52, v64 offset0:128 offset1:160
	s_waitcnt lgkmcnt(5)
	v_mfma_f32_16x16x16_bf16 a[12:15], v[70:71], v[82:83], a[12:15]
	v_xor_b32_e32 v52, 8, v51
	v_perm_b32 v34, v34, v38, s1
	v_perm_b32 v38, v42, v46, s1
	v_add_u32_e32 v42, 0x80, v52
	ds_write2st64_b32 v42, v34, v38 offset0:128 offset1:160
	v_xor_b32_e32 v34, 16, v51
	v_perm_b32 v38, v35, v39, s0
	v_perm_b32 v42, v43, v47, s0
	v_mfma_f32_16x16x16_bf16 a[0:3], v[86:87], v[76:77], a[0:3]
	ds_write2st64_b32 v34, v38, v42 offset0:129 offset1:161
	v_xor_b32_e32 v34, 24, v51
	v_perm_b32 v35, v35, v39, s1
	v_mfma_f32_16x16x16_bf16 a[4:7], v[86:87], v[66:67], a[4:7]
	v_perm_b32 v38, v43, v47, s1
	v_add_u32_e32 v34, 0x80, v34
	ds_write2st64_b32 v34, v35, v38 offset0:129 offset1:161
	v_mfma_f32_16x16x16_bf16 a[16:19], v[86:87], v[80:81], a[8:11]
	v_xor_b32_e32 v34, 32, v51
	v_perm_b32 v35, v36, v40, s0
	v_perm_b32 v38, v44, v48, s0
	v_mfma_f32_16x16x16_bf16 a[20:23], v[86:87], v[84:85], a[12:15]
	ds_write2st64_b32 v34, v35, v38 offset0:130 offset1:162
	v_xor_b32_e32 v34, 40, v51
	v_perm_b32 v35, v36, v40, s1
	s_waitcnt lgkmcnt(8)
	v_mfma_f32_16x16x16_bf16 a[12:15], v[88:89], v[54:55], a[0:3]
	v_perm_b32 v36, v44, v48, s1
	v_add_u32_e32 v34, 0x80, v34
	ds_write2st64_b32 v34, v35, v36 offset0:130 offset1:162
	s_waitcnt lgkmcnt(8)
	v_mfma_f32_16x16x16_bf16 a[8:11], v[88:89], v[74:75], a[4:7]
	v_xor_b32_e32 v34, 48, v51
	v_perm_b32 v35, v37, v41, s0
	v_perm_b32 v36, v45, v49, s0
	s_waitcnt lgkmcnt(7)
	v_mfma_f32_16x16x16_bf16 a[4:7], v[88:89], v[90:91], a[16:19]
	ds_write2st64_b32 v34, v35, v36 offset0:131 offset1:163
	v_xor_b32_e32 v34, 56, v51
	v_and_or_b32 v55, v68, 12, v73
	s_waitcnt lgkmcnt(7)
	v_mfma_f32_16x16x16_bf16 a[0:3], v[88:89], v[92:93], a[20:23]
	v_perm_b32 v35, v37, v41, s1
	v_perm_b32 v36, v45, v49, s1
	v_add_u32_e32 v34, 0x80, v34
	v_cmp_gt_i32_e32 vcc, s43, v55
	v_mov_b32_e32 v48, 0
	v_mov_b32_e32 v52, 0
	ds_write2st64_b32 v34, v35, v36 offset0:131 offset1:163
	s_and_saveexec_b64 s[0:1], vcc
	s_cbranch_execz .LBB174_62
; %bb.61:
	v_add_u32_e32 v34, s42, v55
	v_ashrrev_i32_e32 v35, 31, v34
	v_mul_lo_u32 v36, v35, s30
	v_mul_lo_u32 v37, v34, s31
	v_mad_u64_u32 v[34:35], s[2:3], v34, s30, 0
	v_add3_u32 v35, v35, v37, v36
	v_lshl_add_u64 v[34:35], v[34:35], 2, s[10:11]
	global_load_dword v34, v[34:35], off
	s_waitcnt vmcnt(0)
	v_sub_f32_e32 v34, s12, v34
	v_exp_f32_e32 v52, v34
.LBB174_62:
	s_or_b64 exec, exec, s[0:1]
	v_or_b32_e32 v40, 1, v55
	v_cmp_gt_i32_e64 s[0:1], s43, v40
	s_and_saveexec_b64 s[2:3], s[0:1]
	s_cbranch_execz .LBB174_64
; %bb.63:
	v_add_u32_e32 v34, s42, v40
	v_ashrrev_i32_e32 v35, 31, v34
	v_mul_lo_u32 v36, v35, s30
	v_mul_lo_u32 v37, v34, s31
	v_mad_u64_u32 v[34:35], s[4:5], v34, s30, 0
	v_add3_u32 v35, v35, v37, v36
	v_lshl_add_u64 v[34:35], v[34:35], 2, s[10:11]
	global_load_dword v34, v[34:35], off
	s_waitcnt vmcnt(0)
	v_sub_f32_e32 v34, s12, v34
	v_exp_f32_e32 v48, v34
.LBB174_64:
	s_or_b64 exec, exec, s[2:3]
	v_or_b32_e32 v41, 2, v55
	v_cmp_gt_i32_e64 s[2:3], s43, v41
	v_mov_b32_e32 v49, 0
	v_mov_b32_e32 v54, 0
	s_and_saveexec_b64 s[4:5], s[2:3]
	s_cbranch_execz .LBB174_66
; %bb.65:
	v_add_u32_e32 v34, s42, v41
	v_ashrrev_i32_e32 v35, 31, v34
	v_mul_lo_u32 v36, v35, s30
	v_mul_lo_u32 v37, v34, s31
	v_mad_u64_u32 v[34:35], s[6:7], v34, s30, 0
	v_add3_u32 v35, v35, v37, v36
	v_lshl_add_u64 v[34:35], v[34:35], 2, s[10:11]
	global_load_dword v34, v[34:35], off
	s_waitcnt vmcnt(0)
	v_sub_f32_e32 v34, s12, v34
	v_exp_f32_e32 v54, v34
.LBB174_66:
	s_or_b64 exec, exec, s[4:5]
	v_or_b32_e32 v64, 3, v55
	v_cmp_gt_i32_e64 s[4:5], s43, v64
	s_and_saveexec_b64 s[6:7], s[4:5]
	s_cbranch_execz .LBB174_68
; %bb.67:
	v_add_u32_e32 v34, s42, v64
	v_ashrrev_i32_e32 v35, 31, v34
	v_mul_lo_u32 v36, v35, s30
	v_mul_lo_u32 v37, v34, s31
	v_mad_u64_u32 v[34:35], s[14:15], v34, s30, 0
	v_add3_u32 v35, v35, v37, v36
	v_lshl_add_u64 v[34:35], v[34:35], 2, s[10:11]
	global_load_dword v34, v[34:35], off
	s_waitcnt vmcnt(0)
	v_sub_f32_e32 v34, s12, v34
	v_exp_f32_e32 v49, v34
.LBB174_68:
	s_or_b64 exec, exec, s[6:7]
	s_add_u32 s6, s8, s26
	v_accvgpr_read_b32 v37, a15
	s_addc_u32 s7, s9, s27
	v_ashrrev_i32_e32 v51, 31, v50
	v_accvgpr_read_b32 v36, a14
	v_accvgpr_read_b32 v35, a13
	;; [unrolled: 1-line block ×3, first 2 shown]
	v_lshl_add_u64 v[38:39], v[50:51], 1, s[6:7]
	v_mov_b32_e32 v45, 0
	v_lshlrev_b32_e32 v42, 8, v55
	v_mov_b32_e32 v43, 0
	s_and_saveexec_b64 s[6:7], vcc
	s_cbranch_execz .LBB174_70
; %bb.69:
	v_mov_b32_e32 v43, 0
	v_lshl_add_u64 v[46:47], v[38:39], 0, v[42:43]
	global_load_ushort v43, v[46:47], off
	s_waitcnt vmcnt(0)
	v_lshlrev_b32_e32 v43, 16, v43
	v_sub_f32_e32 v34, v43, v34
	v_mul_f32_e32 v34, v52, v34
	v_lshrrev_b32_e32 v43, 16, v34
.LBB174_70:
	s_or_b64 exec, exec, s[6:7]
	v_lshlrev_b32_e32 v44, 8, v40
	s_and_saveexec_b64 s[6:7], s[0:1]
	s_cbranch_execz .LBB174_72
; %bb.71:
	v_mov_b32_e32 v45, 0
	v_lshl_add_u64 v[46:47], v[38:39], 0, v[44:45]
	global_load_ushort v34, v[46:47], off
	s_waitcnt vmcnt(0)
	v_lshlrev_b32_e32 v34, 16, v34
	v_sub_f32_e32 v34, v34, v35
	v_mul_f32_e32 v34, v48, v34
	v_lshrrev_b32_e32 v45, 16, v34
.LBB174_72:
	s_or_b64 exec, exec, s[6:7]
	v_mov_b32_e32 v65, 0
	v_lshlrev_b32_e32 v46, 8, v41
	v_mov_b32_e32 v47, 0
	s_and_saveexec_b64 s[6:7], s[2:3]
	s_cbranch_execz .LBB174_74
; %bb.73:
	v_mov_b32_e32 v47, 0
	v_lshl_add_u64 v[34:35], v[38:39], 0, v[46:47]
	global_load_ushort v34, v[34:35], off
	s_waitcnt vmcnt(0)
	v_lshlrev_b32_e32 v34, 16, v34
	v_sub_f32_e32 v34, v34, v36
	v_mul_f32_e32 v34, v54, v34
	v_lshrrev_b32_e32 v47, 16, v34
.LBB174_74:
	s_or_b64 exec, exec, s[6:7]
	v_lshlrev_b32_e32 v40, 8, v64
	s_and_saveexec_b64 s[6:7], s[4:5]
	s_cbranch_execz .LBB174_76
; %bb.75:
	v_mov_b32_e32 v41, 0
	v_lshl_add_u64 v[34:35], v[38:39], 0, v[40:41]
	global_load_ushort v34, v[34:35], off
	s_waitcnt vmcnt(0)
	v_lshlrev_b32_e32 v34, 16, v34
	v_sub_f32_e32 v34, v34, v37
	v_mul_f32_e32 v34, v49, v34
	v_lshrrev_b32_e32 v65, 16, v34
.LBB174_76:
	s_or_b64 exec, exec, s[6:7]
	v_lshlrev_b32_e32 v51, 6, v55
	v_accvgpr_read_b32 v37, a11
	s_mov_b32 s6, 0x5040100
	v_or_b32_e32 v41, v51, v58
	v_accvgpr_read_b32 v36, a10
	v_accvgpr_read_b32 v35, a9
	;; [unrolled: 1-line block ×3, first 2 shown]
	v_perm_b32 v65, v65, v47, s6
	v_perm_b32 v64, v45, v43, s6
	v_lshlrev_b32_e32 v41, 1, v41
	v_mov_b32_e32 v45, 0
	v_mov_b32_e32 v43, 0
	ds_write_b64 v41, v[64:65] offset:24576
	s_and_saveexec_b64 s[6:7], vcc
	s_cbranch_execz .LBB174_78
; %bb.77:
	v_mov_b32_e32 v43, 0
	v_lshl_add_u64 v[64:65], v[38:39], 0, v[42:43]
	global_load_ushort v41, v[64:65], off offset:32
	s_waitcnt vmcnt(0)
	v_lshlrev_b32_e32 v41, 16, v41
	v_sub_f32_e32 v34, v41, v34
	v_mul_f32_e32 v34, v52, v34
	v_lshrrev_b32_e32 v43, 16, v34
.LBB174_78:
	s_or_b64 exec, exec, s[6:7]
	s_and_saveexec_b64 s[6:7], s[0:1]
	s_cbranch_execz .LBB174_80
; %bb.79:
	v_mov_b32_e32 v45, 0
	v_lshl_add_u64 v[64:65], v[38:39], 0, v[44:45]
	global_load_ushort v34, v[64:65], off offset:32
	s_waitcnt vmcnt(0)
	v_lshlrev_b32_e32 v34, 16, v34
	v_sub_f32_e32 v34, v34, v35
	v_mul_f32_e32 v34, v48, v34
	v_lshrrev_b32_e32 v45, 16, v34
.LBB174_80:
	s_or_b64 exec, exec, s[6:7]
	v_mov_b32_e32 v41, 0
	v_mov_b32_e32 v47, 0
	s_and_saveexec_b64 s[6:7], s[2:3]
	s_cbranch_execz .LBB174_82
; %bb.81:
	v_mov_b32_e32 v47, 0
	v_lshl_add_u64 v[34:35], v[38:39], 0, v[46:47]
	global_load_ushort v34, v[34:35], off offset:32
	s_waitcnt vmcnt(0)
	v_lshlrev_b32_e32 v34, 16, v34
	v_sub_f32_e32 v34, v34, v36
	v_mul_f32_e32 v34, v54, v34
	v_lshrrev_b32_e32 v47, 16, v34
.LBB174_82:
	s_or_b64 exec, exec, s[6:7]
	s_and_saveexec_b64 s[6:7], s[4:5]
	s_cbranch_execz .LBB174_84
; %bb.83:
	v_mov_b32_e32 v41, 0
	v_lshl_add_u64 v[34:35], v[38:39], 0, v[40:41]
	global_load_ushort v34, v[34:35], off offset:32
	s_waitcnt vmcnt(0)
	v_lshlrev_b32_e32 v34, 16, v34
	v_sub_f32_e32 v34, v34, v37
	v_mul_f32_e32 v34, v49, v34
	v_lshrrev_b32_e32 v41, 16, v34
.LBB174_84:
	s_or_b64 exec, exec, s[6:7]
	s_mov_b32 s6, 0x5040100
	v_accvgpr_read_b32 v37, a7
	v_perm_b32 v65, v41, v47, s6
	v_or_b32_e32 v41, v51, v57
	v_accvgpr_read_b32 v36, a6
	v_accvgpr_read_b32 v35, a5
	;; [unrolled: 1-line block ×3, first 2 shown]
	v_perm_b32 v64, v45, v43, s6
	v_lshlrev_b32_e32 v41, 1, v41
	v_mov_b32_e32 v45, 0
	v_mov_b32_e32 v43, 0
	ds_write_b64 v41, v[64:65] offset:24576
	s_and_saveexec_b64 s[6:7], vcc
	s_cbranch_execz .LBB174_86
; %bb.85:
	v_mov_b32_e32 v43, 0
	v_lshl_add_u64 v[64:65], v[38:39], 0, v[42:43]
	global_load_ushort v41, v[64:65], off offset:64
	s_waitcnt vmcnt(0)
	v_lshlrev_b32_e32 v41, 16, v41
	v_sub_f32_e32 v34, v41, v34
	v_mul_f32_e32 v34, v52, v34
	v_lshrrev_b32_e32 v43, 16, v34
.LBB174_86:
	s_or_b64 exec, exec, s[6:7]
	s_and_saveexec_b64 s[6:7], s[0:1]
	s_cbranch_execz .LBB174_88
; %bb.87:
	v_mov_b32_e32 v45, 0
	v_lshl_add_u64 v[64:65], v[38:39], 0, v[44:45]
	global_load_ushort v34, v[64:65], off offset:64
	s_waitcnt vmcnt(0)
	v_lshlrev_b32_e32 v34, 16, v34
	v_sub_f32_e32 v34, v34, v35
	v_mul_f32_e32 v34, v48, v34
	v_lshrrev_b32_e32 v45, 16, v34
.LBB174_88:
	s_or_b64 exec, exec, s[6:7]
	v_mov_b32_e32 v41, 0
	v_mov_b32_e32 v47, 0
	s_and_saveexec_b64 s[6:7], s[2:3]
	s_cbranch_execz .LBB174_90
; %bb.89:
	v_mov_b32_e32 v47, 0
	v_lshl_add_u64 v[34:35], v[38:39], 0, v[46:47]
	global_load_ushort v34, v[34:35], off offset:64
	s_waitcnt vmcnt(0)
	v_lshlrev_b32_e32 v34, 16, v34
	v_sub_f32_e32 v34, v34, v36
	v_mul_f32_e32 v34, v54, v34
	v_lshrrev_b32_e32 v47, 16, v34
.LBB174_90:
	s_or_b64 exec, exec, s[6:7]
	s_and_saveexec_b64 s[6:7], s[4:5]
	s_cbranch_execz .LBB174_92
; %bb.91:
	v_mov_b32_e32 v41, 0
	v_lshl_add_u64 v[34:35], v[38:39], 0, v[40:41]
	global_load_ushort v34, v[34:35], off offset:64
	s_waitcnt vmcnt(0)
	v_lshlrev_b32_e32 v34, 16, v34
	v_sub_f32_e32 v34, v34, v37
	v_mul_f32_e32 v34, v49, v34
	v_lshrrev_b32_e32 v41, 16, v34
.LBB174_92:
	s_or_b64 exec, exec, s[6:7]
	s_mov_b32 s6, 0x5040100
	v_accvgpr_read_b32 v37, a3
	v_perm_b32 v65, v41, v47, s6
	v_or_b32_e32 v41, v51, v56
	v_accvgpr_read_b32 v36, a2
	v_accvgpr_read_b32 v35, a1
	v_accvgpr_read_b32 v34, a0
	v_perm_b32 v64, v45, v43, s6
	v_lshlrev_b32_e32 v41, 1, v41
	v_mov_b32_e32 v45, 0
	v_mov_b32_e32 v43, 0
	ds_write_b64 v41, v[64:65] offset:24576
	s_and_saveexec_b64 s[6:7], vcc
	s_cbranch_execz .LBB174_94
; %bb.93:
	v_mov_b32_e32 v43, 0
	v_lshl_add_u64 v[42:43], v[38:39], 0, v[42:43]
	global_load_ushort v41, v[42:43], off offset:96
	s_waitcnt vmcnt(0)
	v_lshlrev_b32_e32 v41, 16, v41
	v_sub_f32_e32 v34, v41, v34
	v_mul_f32_e32 v34, v52, v34
	v_lshrrev_b32_e32 v43, 16, v34
.LBB174_94:
	s_or_b64 exec, exec, s[6:7]
	s_and_saveexec_b64 s[6:7], s[0:1]
	s_cbranch_execz .LBB174_96
; %bb.95:
	v_mov_b32_e32 v45, 0
	v_lshl_add_u64 v[44:45], v[38:39], 0, v[44:45]
	global_load_ushort v34, v[44:45], off offset:96
	s_waitcnt vmcnt(0)
	v_lshlrev_b32_e32 v34, 16, v34
	v_sub_f32_e32 v34, v34, v35
	v_mul_f32_e32 v34, v48, v34
	v_lshrrev_b32_e32 v45, 16, v34
.LBB174_96:
	s_or_b64 exec, exec, s[6:7]
	v_mov_b32_e32 v41, 0
	v_mov_b32_e32 v44, 0
	s_and_saveexec_b64 s[0:1], s[2:3]
	s_cbranch_execz .LBB174_98
; %bb.97:
	v_mov_b32_e32 v47, 0
	v_lshl_add_u64 v[34:35], v[38:39], 0, v[46:47]
	global_load_ushort v34, v[34:35], off offset:96
	s_waitcnt vmcnt(0)
	v_lshlrev_b32_e32 v34, 16, v34
	v_sub_f32_e32 v34, v34, v36
	v_mul_f32_e32 v34, v54, v34
	v_lshrrev_b32_e32 v44, 16, v34
.LBB174_98:
	s_or_b64 exec, exec, s[0:1]
	v_or_b32_e32 v42, 0x6000, v60
	v_or_b32_e32 v36, 0x6000, v61
	v_or_b32_e32 v35, 0x6000, v62
	v_or_b32_e32 v34, 0x6000, v63
	s_and_saveexec_b64 s[0:1], s[4:5]
	s_cbranch_execz .LBB174_100
; %bb.99:
	v_mov_b32_e32 v41, 0
	v_lshl_add_u64 v[38:39], v[38:39], 0, v[40:41]
	global_load_ushort v38, v[38:39], off offset:96
	s_waitcnt vmcnt(0)
	v_lshlrev_b32_e32 v38, 16, v38
	v_sub_f32_e32 v37, v38, v37
	v_mul_f32_e32 v37, v49, v37
	v_lshrrev_b32_e32 v41, 16, v37
.LBB174_100:
	s_or_b64 exec, exec, s[0:1]
	s_mov_b32 s0, 0x5040100
	v_or_b32_e32 v37, v51, v53
	v_perm_b32 v39, v41, v44, s0
	v_perm_b32 v38, v45, v43, s0
	v_lshlrev_b32_e32 v37, 1, v37
	s_movk_i32 s0, 0x100
	ds_write_b64 v37, v[38:39] offset:24576
	v_and_b32_e32 v37, 7, v0
	v_and_b32_e32 v38, 8, v0
	v_cmp_gt_u32_e32 vcc, s0, v0
	v_lshrrev_b32_e32 v0, 1, v0
	v_mov_b32_e32 v39, 0xa000
	v_mov_b32_e32 v40, 0x8000
	v_lshlrev_b32_e32 v58, 3, v72
	v_and_b32_e32 v0, 24, v0
	v_cndmask_b32_e32 v51, v39, v40, vcc
	v_xor_b32_e32 v39, v58, v0
	v_or_b32_e32 v40, 0x440, v39
	v_cmp_eq_u32_e32 vcc, 0, v38
	v_lshlrev_b32_e32 v43, 3, v37
	v_lshlrev_b32_e32 v37, 7, v37
	v_cndmask_b32_e32 v38, v40, v39, vcc
	v_or_b32_e32 v38, v38, v59
	v_xad_u32 v72, v38, v43, v37
	v_add_u32_e32 v38, v51, v72
	s_waitcnt lgkmcnt(0)
	s_barrier
	ds_read_b64 v[48:49], v38
	ds_read2_b64 v[38:41], v42 offset1:16
	ds_read2_b64 v[44:47], v42 offset0:32 offset1:48
	v_or_b32_e32 v52, 32, v0
	v_xor_b32_e32 v52, v58, v52
	v_or_b32_e32 v53, 0x440, v52
	v_cndmask_b32_e32 v52, v53, v52, vcc
	s_waitcnt lgkmcnt(1)
	v_mfma_f32_16x16x16_bf16 a[0:3], v[48:49], v[38:39], 0
	v_or_b32_e32 v52, v52, v59
	v_xad_u32 v73, v52, v43, v37
	v_add_u32_e32 v52, v51, v73
	v_mfma_f32_16x16x16_bf16 a[4:7], v[48:49], v[40:41], 0
	ds_read_b64 v[56:57], v52
	ds_read2st64_b64 v[60:63], v36 offset0:4 offset1:8
	ds_read2st64_b64 v[64:67], v35 offset0:4 offset1:8
	s_waitcnt lgkmcnt(3)
	v_mfma_f32_16x16x16_bf16 a[8:11], v[48:49], v[44:45], 0
	ds_read2st64_b64 v[68:71], v34 offset0:4 offset1:8
	v_mfma_f32_16x16x16_bf16 a[12:15], v[48:49], v[46:47], 0
	v_or_b32_e32 v48, 64, v0
	v_xor_b32_e32 v48, v58, v48
	v_xor_b32_e32 v49, 0x440, v48
	v_cndmask_b32_e32 v48, v49, v48, vcc
	v_or_b32_e32 v48, v48, v59
	v_xad_u32 v74, v48, v43, v37
	v_add_u32_e32 v48, v51, v74
	ds_read_b64 v[48:49], v48
	ds_read2st64_b64 v[52:55], v42 offset0:4 offset1:8
	v_or_b32_e32 v0, 0x60, v0
	v_xor_b32_e32 v0, v58, v0
	s_waitcnt lgkmcnt(0)
	v_mfma_f32_16x16x16_bf16 a[0:3], v[56:57], v[52:53], a[0:3]
	v_mfma_f32_16x16x16_bf16 a[4:7], v[56:57], v[60:61], a[4:7]
	;; [unrolled: 1-line block ×4, first 2 shown]
	v_xor_b32_e32 v56, 0x440, v0
	v_cndmask_b32_e32 v0, v56, v0, vcc
	v_or_b32_e32 v0, v0, v59
	v_xad_u32 v0, v0, v43, v37
	v_add_u32_e32 v37, v51, v0
	v_mfma_f32_16x16x16_bf16 a[0:3], v[48:49], v[54:55], a[0:3]
	ds_read_b64 v[56:57], v37
	ds_read_b64 v[42:43], v42 offset:6144
	v_mfma_f32_16x16x16_bf16 a[4:7], v[48:49], v[62:63], a[4:7]
	v_mfma_f32_16x16x16_bf16 a[8:11], v[48:49], v[66:67], a[8:11]
	;; [unrolled: 1-line block ×3, first 2 shown]
	ds_read_b64 v[36:37], v36 offset:6144
	ds_read_b64 v[48:49], v35 offset:6144
	;; [unrolled: 1-line block ×3, first 2 shown]
	s_waitcnt lgkmcnt(3)
	v_mfma_f32_16x16x16_bf16 a[0:3], v[56:57], v[42:43], a[0:3]
	s_waitcnt lgkmcnt(2)
	v_mfma_f32_16x16x16_bf16 a[4:7], v[56:57], v[36:37], a[4:7]
	;; [unrolled: 2-line block ×4, first 2 shown]
	ds_read_b64 v[56:57], v72 offset:40960
	s_waitcnt lgkmcnt(0)
	v_mfma_f32_16x16x16_bf16 a[24:27], v[56:57], v[44:45], 0
	v_exp_f32_e32 v44, s12
	v_accvgpr_read_b32 v45, a3
	v_fmac_f32_e32 v45, v44, v33
	v_mfma_f32_16x16x16_bf16 a[16:19], v[56:57], v[38:39], 0
	ds_read_b64 v[38:39], v73 offset:40960
	v_accvgpr_read_b32 v33, a4
	v_fma_f32 v22, v44, v22, v33
	v_mfma_f32_16x16x16_bf16 a[20:23], v[56:57], v[40:41], 0
	v_accvgpr_read_b32 v40, a0
	v_fma_f32 v30, v44, v30, v40
	v_accvgpr_read_b32 v40, a1
	v_fma_f32 v31, v44, v31, v40
	v_accvgpr_read_b32 v40, a2
	v_mfma_f32_16x16x16_bf16 a[28:31], v[56:57], v[46:47], 0
	v_fma_f32 v32, v44, v32, v40
	ds_read_b64 v[40:41], v74 offset:40960
	v_accvgpr_read_b32 v33, a5
	s_waitcnt lgkmcnt(1)
	v_mfma_f32_16x16x16_bf16 a[16:19], v[38:39], v[52:53], a[16:19]
	v_fma_f32 v23, v44, v23, v33
	v_accvgpr_read_b32 v33, a6
	v_accvgpr_read_b32 v46, a7
	v_mfma_f32_16x16x16_bf16 a[20:23], v[38:39], v[60:61], a[20:23]
	v_fmac_f32_e32 v46, v44, v25
	v_accvgpr_read_b32 v25, a8
	v_fma_f32 v24, v44, v24, v33
	v_mfma_f32_16x16x16_bf16 a[24:27], v[38:39], v[64:65], a[24:27]
	v_fma_f32 v14, v44, v14, v25
	v_mov_b32_e32 v33, v45
	v_mov_b32_e32 v25, v46
	v_mfma_f32_16x16x16_bf16 a[0:3], v[38:39], v[68:69], a[28:31]
	ds_read_b64 v[38:39], v0 offset:40960
	v_accvgpr_read_b32 v0, a9
	v_fma_f32 v15, v44, v15, v0
	s_waitcnt lgkmcnt(1)
	v_mfma_f32_16x16x16_bf16 a[4:7], v[40:41], v[62:63], a[20:23]
	v_accvgpr_read_b32 v0, a10
	v_fma_f32 v16, v44, v16, v0
	v_accvgpr_read_b32 v0, a11
	v_mfma_f32_16x16x16_bf16 a[16:19], v[40:41], v[54:55], a[16:19]
	v_fmac_f32_e32 v0, v44, v17
	v_accvgpr_read_b32 v17, a12
	v_fma_f32 v2, v44, v2, v17
	v_mfma_f32_16x16x16_bf16 a[20:23], v[40:41], v[66:67], a[24:27]
	v_accvgpr_read_b32 v17, a13
	v_fma_f32 v3, v44, v3, v17
	v_accvgpr_read_b32 v17, a14
	v_mfma_f32_16x16x16_bf16 a[0:3], v[40:41], v[70:71], a[0:3]
	v_fma_f32 v4, v44, v4, v17
	s_waitcnt lgkmcnt(0)
	v_mfma_f32_16x16x16_bf16 a[4:7], v[38:39], v[36:37], a[4:7]
	v_accvgpr_read_b32 v36, a15
	v_fmac_f32_e32 v36, v44, v5
	v_mfma_f32_16x16x16_bf16 a[8:11], v[38:39], v[42:43], a[16:19]
	v_mfma_f32_16x16x16_bf16 a[16:19], v[38:39], v[48:49], a[20:23]
	s_nop 2
	v_accvgpr_read_b32 v17, a4
	v_fma_f32 v18, v44, v18, v17
	v_accvgpr_read_b32 v17, a5
	v_mfma_f32_16x16x16_bf16 a[0:3], v[38:39], v[34:35], a[0:3]
	v_accvgpr_read_b32 v5, a8
	v_fma_f32 v19, v44, v19, v17
	v_accvgpr_read_b32 v17, a6
	v_fma_f32 v26, v44, v26, v5
	;; [unrolled: 2-line block ×3, first 2 shown]
	v_accvgpr_read_b32 v17, a7
	v_accvgpr_read_b32 v34, a19
	v_fma_f32 v27, v44, v27, v5
	v_accvgpr_read_b32 v5, a10
	v_fmac_f32_e32 v17, v44, v21
	v_accvgpr_read_b32 v21, a16
	v_fmac_f32_e32 v34, v44, v13
	v_accvgpr_read_b32 v13, a0
	v_fma_f32 v28, v44, v28, v5
	v_accvgpr_read_b32 v5, a11
	v_fma_f32 v10, v44, v10, v21
	;; [unrolled: 2-line block ×3, first 2 shown]
	v_accvgpr_read_b32 v13, a1
	v_accvgpr_read_b32 v35, a3
	v_fmac_f32_e32 v5, v44, v29
	v_fma_f32 v11, v44, v11, v21
	v_accvgpr_read_b32 v21, a18
	v_fma_f32 v7, v44, v7, v13
	v_accvgpr_read_b32 v13, a2
	v_fmac_f32_e32 v35, v44, v9
	v_fma_f32 v12, v44, v12, v21
	v_fma_f32 v8, v44, v8, v13
	v_mov_b32_e32 v29, v5
	v_mov_b32_e32 v21, v17
	;; [unrolled: 1-line block ×7, first 2 shown]
.LBB174_101:
	s_lshl_b64 s[0:1], s[24:25], 16
	s_waitcnt lgkmcnt(0)
	s_add_u32 s0, s28, s0
	v_lshlrev_b32_e32 v34, 7, v34
	s_addc_u32 s1, s29, s1
	v_ashrrev_i32_e32 v35, 31, v34
	v_lshl_add_u64 v[36:37], v[34:35], 2, s[0:1]
	v_lshlrev_b32_e32 v0, 2, v1
	v_mov_b32_e32 v1, 0
	v_lshl_add_u64 v[36:37], v[36:37], 0, v[0:1]
	global_store_dwordx4 v[36:37], v[30:33], off
	global_store_dwordx4 v[36:37], v[26:29], off offset:256
	s_nop 1
	v_or_b32_e32 v26, 0x800, v34
	v_ashrrev_i32_e32 v27, 31, v26
	v_lshl_add_u64 v[26:27], v[26:27], 2, s[0:1]
	v_lshl_add_u64 v[26:27], v[26:27], 0, v[0:1]
	global_store_dwordx4 v[26:27], v[22:25], off
	global_store_dwordx4 v[26:27], v[18:21], off offset:256
	s_nop 1
	v_or_b32_e32 v18, 0x1000, v34
	v_ashrrev_i32_e32 v19, 31, v18
	v_lshl_add_u64 v[18:19], v[18:19], 2, s[0:1]
	;; [unrolled: 7-line block ×3, first 2 shown]
	v_lshl_add_u64 v[0:1], v[10:11], 0, v[0:1]
	global_store_dwordx4 v[0:1], v[2:5], off
	global_store_dwordx4 v[0:1], v[6:9], off offset:256
	s_endpgm
	.section	.rodata,"a",@progbits
	.p2align	6, 0x0
	.amdhsa_kernel _ZN12_GLOBAL__N_139chunk_gated_delta_rule_fwd_h_hip_kernelILi64ELb0ELb1ELb0ELb0ELb1ELb0ELb1ELb0EEEvPK12hip_bfloat16S3_S3_PKfS5_PKvPS1_S8_PvPKiSB_iiiiilll
		.amdhsa_group_segment_fixed_size 65536
		.amdhsa_private_segment_fixed_size 0
		.amdhsa_kernarg_size 136
		.amdhsa_user_sgpr_count 2
		.amdhsa_user_sgpr_dispatch_ptr 0
		.amdhsa_user_sgpr_queue_ptr 0
		.amdhsa_user_sgpr_kernarg_segment_ptr 1
		.amdhsa_user_sgpr_dispatch_id 0
		.amdhsa_user_sgpr_kernarg_preload_length 0
		.amdhsa_user_sgpr_kernarg_preload_offset 0
		.amdhsa_user_sgpr_private_segment_size 0
		.amdhsa_uses_dynamic_stack 0
		.amdhsa_enable_private_segment 0
		.amdhsa_system_sgpr_workgroup_id_x 1
		.amdhsa_system_sgpr_workgroup_id_y 1
		.amdhsa_system_sgpr_workgroup_id_z 0
		.amdhsa_system_sgpr_workgroup_info 0
		.amdhsa_system_vgpr_workitem_id 0
		.amdhsa_next_free_vgpr 216
		.amdhsa_next_free_sgpr 65
		.amdhsa_accum_offset 180
		.amdhsa_reserve_vcc 1
		.amdhsa_float_round_mode_32 0
		.amdhsa_float_round_mode_16_64 0
		.amdhsa_float_denorm_mode_32 3
		.amdhsa_float_denorm_mode_16_64 3
		.amdhsa_dx10_clamp 1
		.amdhsa_ieee_mode 1
		.amdhsa_fp16_overflow 0
		.amdhsa_tg_split 0
		.amdhsa_exception_fp_ieee_invalid_op 0
		.amdhsa_exception_fp_denorm_src 0
		.amdhsa_exception_fp_ieee_div_zero 0
		.amdhsa_exception_fp_ieee_overflow 0
		.amdhsa_exception_fp_ieee_underflow 0
		.amdhsa_exception_fp_ieee_inexact 0
		.amdhsa_exception_int_div_zero 0
	.end_amdhsa_kernel
	.section	.text._ZN12_GLOBAL__N_139chunk_gated_delta_rule_fwd_h_hip_kernelILi64ELb0ELb1ELb0ELb0ELb1ELb0ELb1ELb0EEEvPK12hip_bfloat16S3_S3_PKfS5_PKvPS1_S8_PvPKiSB_iiiiilll,"axG",@progbits,_ZN12_GLOBAL__N_139chunk_gated_delta_rule_fwd_h_hip_kernelILi64ELb0ELb1ELb0ELb0ELb1ELb0ELb1ELb0EEEvPK12hip_bfloat16S3_S3_PKfS5_PKvPS1_S8_PvPKiSB_iiiiilll,comdat
.Lfunc_end174:
	.size	_ZN12_GLOBAL__N_139chunk_gated_delta_rule_fwd_h_hip_kernelILi64ELb0ELb1ELb0ELb0ELb1ELb0ELb1ELb0EEEvPK12hip_bfloat16S3_S3_PKfS5_PKvPS1_S8_PvPKiSB_iiiiilll, .Lfunc_end174-_ZN12_GLOBAL__N_139chunk_gated_delta_rule_fwd_h_hip_kernelILi64ELb0ELb1ELb0ELb0ELb1ELb0ELb1ELb0EEEvPK12hip_bfloat16S3_S3_PKfS5_PKvPS1_S8_PvPKiSB_iiiiilll
                                        ; -- End function
	.section	.AMDGPU.csdata,"",@progbits
; Kernel info:
; codeLenInByte = 12248
; NumSgprs: 71
; NumVgprs: 178
; NumAgprs: 36
; TotalNumVgprs: 216
; ScratchSize: 0
; MemoryBound: 0
; FloatMode: 240
; IeeeMode: 1
; LDSByteSize: 65536 bytes/workgroup (compile time only)
; SGPRBlocks: 8
; VGPRBlocks: 26
; NumSGPRsForWavesPerEU: 71
; NumVGPRsForWavesPerEU: 216
; AccumOffset: 180
; Occupancy: 1
; WaveLimiterHint : 1
; COMPUTE_PGM_RSRC2:SCRATCH_EN: 0
; COMPUTE_PGM_RSRC2:USER_SGPR: 2
; COMPUTE_PGM_RSRC2:TRAP_HANDLER: 0
; COMPUTE_PGM_RSRC2:TGID_X_EN: 1
; COMPUTE_PGM_RSRC2:TGID_Y_EN: 1
; COMPUTE_PGM_RSRC2:TGID_Z_EN: 0
; COMPUTE_PGM_RSRC2:TIDIG_COMP_CNT: 0
; COMPUTE_PGM_RSRC3_GFX90A:ACCUM_OFFSET: 44
; COMPUTE_PGM_RSRC3_GFX90A:TG_SPLIT: 0
	.section	.text._ZN12_GLOBAL__N_139chunk_gated_delta_rule_fwd_h_hip_kernelILi64ELb0ELb0ELb1ELb0ELb1ELb0ELb1ELb0EEEvPK12hip_bfloat16S3_S3_PKfS5_PKvPS1_S8_PvPKiSB_iiiiilll,"axG",@progbits,_ZN12_GLOBAL__N_139chunk_gated_delta_rule_fwd_h_hip_kernelILi64ELb0ELb0ELb1ELb0ELb1ELb0ELb1ELb0EEEvPK12hip_bfloat16S3_S3_PKfS5_PKvPS1_S8_PvPKiSB_iiiiilll,comdat
	.globl	_ZN12_GLOBAL__N_139chunk_gated_delta_rule_fwd_h_hip_kernelILi64ELb0ELb0ELb1ELb0ELb1ELb0ELb1ELb0EEEvPK12hip_bfloat16S3_S3_PKfS5_PKvPS1_S8_PvPKiSB_iiiiilll ; -- Begin function _ZN12_GLOBAL__N_139chunk_gated_delta_rule_fwd_h_hip_kernelILi64ELb0ELb0ELb1ELb0ELb1ELb0ELb1ELb0EEEvPK12hip_bfloat16S3_S3_PKfS5_PKvPS1_S8_PvPKiSB_iiiiilll
	.p2align	8
	.type	_ZN12_GLOBAL__N_139chunk_gated_delta_rule_fwd_h_hip_kernelILi64ELb0ELb0ELb1ELb0ELb1ELb0ELb1ELb0EEEvPK12hip_bfloat16S3_S3_PKfS5_PKvPS1_S8_PvPKiSB_iiiiilll,@function
_ZN12_GLOBAL__N_139chunk_gated_delta_rule_fwd_h_hip_kernelILi64ELb0ELb0ELb1ELb0ELb1ELb0ELb1ELb0EEEvPK12hip_bfloat16S3_S3_PKfS5_PKvPS1_S8_PvPKiSB_iiiiilll: ; @_ZN12_GLOBAL__N_139chunk_gated_delta_rule_fwd_h_hip_kernelILi64ELb0ELb0ELb1ELb0ELb1ELb0ELb1ELb0EEEvPK12hip_bfloat16S3_S3_PKfS5_PKvPS1_S8_PvPKiSB_iiiiilll
; %bb.0:
	s_load_dwordx4 s[16:19], s[0:1], 0x5c
	s_load_dwordx4 s[12:15], s[0:1], 0x30
	s_abs_i32 s22, s3
	s_ashr_i32 s21, s3, 31
	s_load_dwordx8 s[4:11], s[0:1], 0x0
	s_waitcnt lgkmcnt(0)
	s_abs_i32 s20, s17
	v_cvt_f32_u32_e32 v1, s20
	s_sub_i32 s24, 0, s20
	s_ashr_i32 s23, s17, 31
	s_xor_b32 s21, s21, s23
	v_rcp_iflag_f32_e32 v1, v1
	v_lshrrev_b32_e32 v76, 6, v0
	v_bfe_u32 v77, v0, 4, 2
	v_lshlrev_b32_e32 v2, 2, v77
	v_mul_f32_e32 v1, 0x4f7ffffe, v1
	v_cvt_u32_f32_e32 v1, v1
	v_and_b32_e32 v75, 63, v0
	v_mov_b32_e32 v35, 0
	v_and_b32_e32 v74, 15, v0
	v_readfirstlane_b32 s25, v1
	s_mul_i32 s24, s24, s25
	s_mul_hi_u32 s24, s25, s24
	s_add_i32 s25, s25, s24
	s_mul_hi_u32 s24, s22, s25
	s_mul_i32 s25, s24, s20
	s_sub_i32 s22, s22, s25
	s_add_i32 s26, s24, 1
	s_sub_i32 s25, s22, s20
	s_cmp_ge_u32 s22, s20
	s_cselect_b32 s24, s26, s24
	s_cselect_b32 s22, s25, s22
	s_add_i32 s25, s24, 1
	s_cmp_ge_u32 s22, s20
	s_cselect_b32 s22, s25, s24
	s_xor_b32 s22, s22, s21
	s_sub_i32 s47, s22, s21
	s_abs_i32 s21, s18
	v_cvt_f32_u32_e32 v1, s21
	s_add_i32 s24, s16, 63
	s_mul_i32 s45, s47, s17
	s_sub_i32 s33, s3, s45
	v_rcp_iflag_f32_e32 v1, v1
	s_ashr_i32 s3, s24, 31
	s_ashr_i32 s46, s16, 31
	s_lshr_b32 s3, s3, 26
	v_mul_f32_e32 v1, 0x4f7ffffe, v1
	v_cvt_u32_f32_e32 v1, v1
	s_lshr_b32 s22, s46, 26
	s_add_i32 s24, s24, s3
	s_add_i32 s22, s16, s22
	s_ashr_i32 s49, s18, 31
	s_ashr_i32 s3, s24, 6
	s_ashr_i32 s48, s22, 6
	s_xor_b32 s22, s23, s49
	s_sub_i32 s23, 0, s21
	v_readfirstlane_b32 s24, v1
	s_mul_i32 s23, s23, s24
	s_mul_hi_u32 s23, s24, s23
	s_add_i32 s24, s24, s23
	s_mul_hi_u32 s23, s20, s24
	s_mul_i32 s24, s23, s21
	s_sub_i32 s20, s20, s24
	s_add_i32 s24, s23, 1
	s_sub_i32 s25, s20, s21
	s_cmp_ge_u32 s20, s21
	s_cselect_b32 s23, s24, s23
	s_cselect_b32 s20, s25, s20
	s_add_i32 s24, s23, 1
	s_cmp_ge_u32 s20, s21
	s_cselect_b32 s20, s24, s23
	s_xor_b32 s20, s20, s22
	s_sub_i32 s24, s20, s22
	s_abs_i32 s25, s24
	v_cvt_f32_u32_e32 v1, s25
	s_load_dwordx2 s[34:35], s[0:1], 0x80
	s_load_dwordx4 s[20:23], s[0:1], 0x70
	s_xor_b32 s0, s33, s24
	s_sub_i32 s24, 0, s25
	v_rcp_iflag_f32_e32 v1, v1
	s_abs_i32 s1, s33
	s_ashr_i32 s0, s0, 31
	s_mul_i32 s50, s47, s3
	v_mul_f32_e32 v1, 0x4f7ffffe, v1
	v_cvt_u32_f32_e32 v1, v1
	s_mul_hi_i32 s51, s47, s17
	v_lshrrev_b32_e32 v79, 3, v75
	v_lshlrev_b32_e32 v78, 3, v0
	v_readfirstlane_b32 s26, v1
	s_mul_i32 s24, s24, s26
	s_mul_hi_u32 s24, s26, s24
	s_add_i32 s26, s26, s24
	s_mul_hi_u32 s24, s1, s26
	s_mul_i32 s26, s24, s25
	s_sub_i32 s1, s1, s26
	s_add_i32 s26, s24, 1
	s_sub_i32 s27, s1, s25
	s_cmp_ge_u32 s1, s25
	s_cselect_b32 s24, s26, s24
	s_cselect_b32 s1, s27, s1
	s_add_i32 s26, s24, 1
	s_cmp_ge_u32 s1, s25
	s_cselect_b32 s1, s26, s24
	s_xor_b32 s1, s1, s0
	v_lshlrev_b32_e32 v1, 4, v76
	s_sub_i32 s52, s1, s0
	v_or_b32_e32 v80, v2, v1
	s_lshl_b32 s36, s2, 6
	v_or_b32_e32 v81, 64, v80
	s_cmp_lt_i32 s16, 64
	s_waitcnt lgkmcnt(0)
	s_mul_i32 s21, s47, s21
	s_mul_hi_u32 s44, s47, s20
	s_mul_i32 s38, s47, s20
	v_mov_b32_e32 v34, v35
	v_mov_b32_e32 v41, v35
	;; [unrolled: 1-line block ×31, first 2 shown]
	s_cbranch_scc1 .LBB175_18
; %bb.1:
	s_ashr_i32 s28, s47, 31
	s_ashr_i32 s54, s33, 31
	s_add_u32 s0, s45, s33
	s_addc_u32 s1, s51, s54
	s_mul_i32 s1, s16, s1
	s_mul_hi_u32 s2, s16, s0
	s_add_i32 s3, s2, s1
	s_mul_i32 s2, s16, s0
	s_lshl_b64 s[0:1], s[2:3], 8
	v_and_b32_e32 v83, 56, v78
	s_add_u32 s24, s6, s0
	v_lshl_or_b32 v82, v76, 3, v79
	v_lshlrev_b32_e32 v3, 1, v83
	s_addc_u32 s0, s7, s1
	v_lshl_or_b32 v84, v82, 8, v3
	s_and_b32 s25, s0, 0xffff
	s_mov_b32 s27, 0x20000
	s_movk_i32 s26, 0x4000
	s_movk_i32 s0, 0x80
	v_or_b32_e32 v85, 0x2000, v84
	buffer_load_dwordx4 v[4:7], v84, s[24:27], 0 offen
	buffer_load_dwordx4 v[8:11], v84, s[24:27], s0 offen
	;; [unrolled: 1-line block ×4, first 2 shown]
	v_lshlrev_b32_e32 v20, 3, v82
	v_and_or_b32 v22, v0, 7, v20
	v_and_b32_e32 v20, 0x78, v20
	v_lshlrev_b32_e32 v22, 4, v22
	v_xor_b32_e32 v86, v22, v20
	v_mul_lo_u32 v21, v82, s19
	v_or_b32_e32 v87, 0x1000, v86
	s_cmpk_eq_i32 s19, 0x80
	s_mov_b32 s53, s18
	v_xor_b32_e32 v20, 8, v86
	v_xor_b32_e32 v22, 8, v87
	s_cselect_b64 s[0:1], -1, 0
	s_cmpk_lg_i32 s19, 0x80
	s_waitcnt vmcnt(3)
	ds_write_b64 v86, v[4:5] offset:49152
	ds_write_b64 v20, v[6:7] offset:49152
	s_waitcnt vmcnt(2)
	ds_write_b64 v86, v[8:9] offset:57344
	ds_write_b64 v20, v[10:11] offset:57344
	;; [unrolled: 3-line block ×4, first 2 shown]
	v_lshl_add_u32 v4, v21, 1, v83
	s_cbranch_scc0 .LBB175_3
; %bb.2:
	v_lshlrev_b32_e32 v6, 1, v4
	v_add_lshl_u32 v5, v4, s19, 1
	s_lshl_b32 s26, s19, 7
	v_lshl_or_b32 v3, v82, 9, v3
	s_cbranch_execz .LBB175_4
	s_branch .LBB175_5
.LBB175_3:
                                        ; implicit-def: $vgpr5
                                        ; implicit-def: $vgpr6
                                        ; implicit-def: $sgpr26
	v_lshl_or_b32 v3, v82, 9, v3
.LBB175_4:
	v_or_b32_e32 v5, 0x100, v3
	s_movk_i32 s26, 0x4000
	v_mov_b32_e32 v6, v3
.LBB175_5:
	s_mul_hi_u32 s24, s18, s16
	s_mul_i32 s25, s49, s16
	s_add_i32 s24, s24, s25
	s_mul_i32 s25, s18, s16
	s_mul_i32 s27, s25, s28
	s_mul_hi_u32 s29, s25, s47
	s_add_i32 s27, s29, s27
	s_mul_i32 s24, s24, s47
	s_add_i32 s27, s27, s24
	s_mul_i32 s25, s25, s47
	s_ashr_i32 s55, s52, 31
	s_add_u32 s24, s25, s52
	s_addc_u32 s25, s27, s55
	s_lshl_b64 s[24:25], s[24:25], 8
	s_add_u32 s24, s4, s24
	s_addc_u32 s25, s5, s25
	s_and_b32 s25, s25, 0xffff
	s_mov_b32 s27, 0x20000
	s_movk_i32 s56, 0x80
	buffer_load_dwordx4 v[8:11], v6, s[24:27], 0 offen
	buffer_load_dwordx4 v[12:15], v6, s[24:27], s56 offen
	;; [unrolled: 1-line block ×4, first 2 shown]
	v_and_b32_e32 v5, 6, v0
	v_lshlrev_b32_e32 v6, 7, v80
	v_xor_b32_e32 v27, v82, v5
	v_and_b32_e32 v7, 1, v0
	v_lshl_or_b32 v30, v74, 3, v6
	v_lshlrev_b32_e32 v27, 2, v27
	v_or_b32_e32 v88, 0x4000, v30
	v_or_b32_e32 v89, 0x6000, v30
	v_xor_b32_e32 v30, 0x440, v27
	v_cmp_eq_u32_e32 vcc, 0, v7
	v_lshlrev_b32_e32 v24, 2, v74
	s_mov_b32 s58, 0x1000504
	v_cndmask_b32_e32 v7, v30, v27, vcc
	v_xor_b32_e32 v28, v80, v24
	v_xor_b32_e32 v29, v81, v24
	v_lshl_or_b32 v5, v5, 10, v7
	s_mov_b32 s59, 0x3020706
	s_mul_i32 s24, s28, s16
	s_mul_hi_u32 s25, s47, s16
	v_lshlrev_b32_e32 v25, 8, v74
	v_or_b32_e32 v26, 16, v74
	v_lshlrev_b32_e32 v28, 1, v28
	v_lshlrev_b32_e32 v29, 1, v29
	v_xor_b32_e32 v7, 8, v5
	v_xor_b32_e32 v27, 24, v5
	;; [unrolled: 1-line block ×4, first 2 shown]
	v_or_b32_e32 v91, v25, v28
	v_or_b32_e32 v92, v25, v29
	v_xor_b32_e32 v25, 16, v5
	v_xor_b32_e32 v30, 32, v5
	v_xor_b32_e32 v33, 48, v5
	v_add_u32_e32 v7, 0x80, v7
	v_add_u32_e32 v27, 0x80, v27
	;; [unrolled: 1-line block ×4, first 2 shown]
	s_add_i32 s61, s25, s24
	s_add_i32 s24, s44, s21
	s_mul_i32 s28, s28, s20
	s_add_i32 s39, s24, s28
	s_mul_i32 s24, s33, s23
	s_mul_hi_u32 s25, s33, s22
	s_add_i32 s24, s25, s24
	s_mul_i32 s25, s54, s22
	s_add_i32 s25, s24, s25
	s_lshl_b64 s[28:29], s[38:39], 2
	s_mul_i32 s24, s33, s22
	s_add_u32 s28, s10, s28
	s_addc_u32 s29, s11, s29
	s_lshl_b64 s[24:25], s[24:25], 2
	s_add_u32 s40, s28, s24
	s_movk_i32 s24, 0xf8
	s_addc_u32 s41, s29, s25
	s_ashr_i32 s37, s36, 31
	s_lshl_b32 s30, s19, 7
	s_movk_i32 s28, 0x100
	v_mov_b32_e32 v67, 0
	v_lshlrev_b32_e32 v66, 4, v74
	v_cmp_gt_u32_e32 vcc, s28, v0
	v_lshl_or_b32 v31, v26, 3, v6
	s_mov_b32 s57, 0
	s_mul_i32 s60, s47, s16
	v_or_b32_e32 v90, 0x4000, v31
	s_movk_i32 s26, 0x4000
	v_or_b32_e32 v93, 0x6000, v31
	v_add_u32_e32 v128, v1, v2
	s_movk_i32 s39, 0x2000
	s_movk_i32 s62, 0x3000
	s_mov_b32 s64, 0
	v_mov_b32_e32 v58, v67
	v_mov_b32_e32 v59, v67
	;; [unrolled: 1-line block ×9, first 2 shown]
	s_waitcnt vmcnt(1)
	v_perm_b32 v35, v8, v16, s58
	s_waitcnt vmcnt(0)
	v_perm_b32 v36, v12, v20, s58
	v_perm_b32 v8, v8, v16, s59
	;; [unrolled: 1-line block ×15, first 2 shown]
	ds_write2st64_b32 v5, v35, v36 offset0:128 offset1:160
	ds_write2st64_b32 v7, v8, v12 offset0:128 offset1:160
	ds_write2st64_b32 v25, v16, v20 offset0:129 offset1:161
	ds_write2st64_b32 v27, v9, v13 offset0:129 offset1:161
	ds_write2st64_b32 v30, v17, v21 offset0:130 offset1:162
	ds_write2st64_b32 v32, v10, v14 offset0:130 offset1:162
	ds_write2st64_b32 v33, v18, v22 offset0:131 offset1:163
	ds_write2st64_b32 v34, v11, v15 offset0:131 offset1:163
	v_lshlrev_b32_e32 v5, 8, v26
	v_or_b32_e32 v94, v5, v28
	v_or_b32_e32 v95, v5, v29
	;; [unrolled: 1-line block ×3, first 2 shown]
	v_lshl_or_b32 v7, v5, 3, v6
	v_lshlrev_b32_e32 v5, 8, v5
	v_or_b32_e32 v98, v5, v28
	v_or_b32_e32 v99, v5, v29
	;; [unrolled: 1-line block ×5, first 2 shown]
	v_lshl_or_b32 v7, v5, 3, v6
	v_lshlrev_b32_e32 v5, 8, v5
	v_or_b32_e32 v102, v5, v28
	v_or_b32_e32 v103, v5, v29
	;; [unrolled: 1-line block ×3, first 2 shown]
	v_lshlrev_b32_e32 v5, 3, v5
	v_lshrrev_b32_e32 v9, 5, v75
	v_and_or_b32 v9, v5, s24, v9
	v_lshlrev_b32_e32 v9, 4, v9
	v_or_b32_e32 v100, 0x4000, v7
	v_or_b32_e32 v101, 0x6000, v7
	v_lshlrev_b32_e32 v7, 11, v76
	v_and_b32_e32 v5, 0x78, v5
	v_or_b32_e32 v14, 32, v9
	v_and_b32_e32 v8, 0x1000, v7
	v_xor_b32_e32 v10, v9, v5
	v_lshrrev_b32_e32 v11, 1, v0
	v_xor_b32_e32 v14, v14, v5
	v_or_b32_e32 v10, v10, v8
	v_and_b32_e32 v12, 8, v11
	v_or_b32_e32 v14, v14, v8
	v_xor_b32_e32 v104, v10, v12
	v_lshlrev_b32_e32 v10, 8, v77
	v_xor_b32_e32 v106, v14, v12
	v_or_b32_e32 v14, 64, v9
	v_or_b32_e32 v9, 0x60, v9
	;; [unrolled: 1-line block ×3, first 2 shown]
	v_xor_b32_e32 v14, v14, v5
	v_xor_b32_e32 v5, v9, v5
	v_lshlrev_b32_e32 v13, 1, v13
	v_or_b32_e32 v14, v14, v8
	v_or_b32_e32 v5, v5, v8
	s_lshl_b64 s[24:25], s[36:37], 8
	v_or_b32_e32 v105, 0x4000, v13
	v_or_b32_e32 v107, 0x4080, v13
	;; [unrolled: 1-line block ×4, first 2 shown]
	v_xor_b32_e32 v110, v14, v12
	v_xor_b32_e32 v111, v5, v12
	v_or_b32_e32 v112, 0x6000, v13
	v_or_b32_e32 v113, 0x6080, v13
	;; [unrolled: 1-line block ×4, first 2 shown]
	v_lshlrev_b32_e32 v12, 1, v4
	v_add_lshl_u32 v13, v4, s19, 1
	s_add_u32 s24, s12, s24
	v_lshlrev_b32_e32 v4, 1, v74
	v_lshrrev_b32_e32 v15, 4, v0
	s_addc_u32 s25, s13, s25
	v_or_b32_e32 v5, 1, v4
	v_mov_b32_e32 v19, 0xa000
	v_mov_b32_e32 v20, 0x8000
	v_xor_b32_e32 v16, v15, v4
	v_xor_b32_e32 v17, v5, v15
	v_lshl_add_u64 v[4:5], s[24:25], 0, v[66:67]
	v_lshlrev_b32_e32 v66, 8, v15
	v_cndmask_b32_e32 v19, v19, v20, vcc
	v_lshlrev_b32_e32 v20, 3, v76
	v_and_b32_e32 v11, 24, v11
	v_lshl_or_b32 v116, v16, 3, v66
	v_and_b32_e32 v16, 8, v0
	v_xor_b32_e32 v21, v20, v11
	v_or_b32_e32 v22, 0x440, v21
	v_cmp_eq_u32_e32 vcc, 0, v16
	v_and_b32_e32 v15, 7, v0
	v_lshl_or_b32 v117, v17, 3, v66
	v_cndmask_b32_e32 v16, v22, v21, vcc
	v_lshlrev_b32_e32 v17, 3, v15
	v_lshlrev_b32_e32 v15, 7, v15
	v_or_b32_e32 v16, v16, v7
	v_lshlrev_b32_e32 v18, 2, v0
	v_xad_u32 v118, v16, v17, v15
	v_or_b32_e32 v16, 32, v11
	v_and_or_b32 v10, v18, 60, v10
	v_xor_b32_e32 v16, v20, v16
	v_lshlrev_b32_e32 v10, 1, v10
	v_or_b32_e32 v18, 0x440, v16
	v_or_b32_e32 v119, 0x6000, v10
	v_cndmask_b32_e32 v16, v18, v16, vcc
	v_or_b32_e32 v121, 0x6080, v10
	v_or_b32_e32 v122, 0x6100, v10
	;; [unrolled: 1-line block ×5, first 2 shown]
	v_xor_b32_e32 v10, v20, v10
	v_xad_u32 v120, v16, v17, v15
	v_xor_b32_e32 v16, 0x440, v10
	v_cndmask_b32_e32 v10, v16, v10, vcc
	v_or_b32_e32 v10, v10, v7
	v_xad_u32 v124, v10, v17, v15
	v_or_b32_e32 v10, 0x60, v11
	v_xor_b32_e32 v10, v20, v10
	v_xor_b32_e32 v11, 0x440, v10
	v_or_b32_e32 v8, s36, v74
	v_cndmask_b32_e32 v10, v11, v10, vcc
	v_ashrrev_i32_e32 v9, 31, v8
	v_or_b32_e32 v7, v10, v7
	v_or_b32_e32 v14, 0x100, v3
	v_xad_u32 v125, v7, v17, v15
	v_lshlrev_b64 v[8:9], 1, v[8:9]
	v_cndmask_b32_e64 v126, v12, v3, s[0:1]
	v_cndmask_b32_e64 v127, v13, v14, s[0:1]
	v_lshl_add_u64 v[68:69], s[8:9], 0, v[8:9]
	v_lshl_add_u64 v[70:71], s[14:15], 0, v[8:9]
	;; [unrolled: 1-line block ×3, first 2 shown]
	s_mov_b32 s37, 0x7060302
	v_lshlrev_b32_e32 v66, 1, v6
	v_add_u32_e32 v129, v19, v118
	v_add_u32_e32 v130, v19, v120
	;; [unrolled: 1-line block ×4, first 2 shown]
	v_mov_b32_e32 v51, v67
	v_mov_b32_e32 v52, v67
	;; [unrolled: 1-line block ×23, first 2 shown]
	s_waitcnt lgkmcnt(0)
	s_barrier
.LBB175_6:                              ; =>This Inner Loop Header: Depth=1
	s_add_i32 s63, s64, 1
	s_cmp_lt_i32 s63, s48
	s_mov_b64 s[28:29], 0
	s_cselect_b64 s[42:43], -1, 0
	s_cmp_ge_i32 s63, s48
	s_mov_b64 s[24:25], 0
	s_cbranch_scc1 .LBB175_8
; %bb.7:                                ;   in Loop: Header=BB175_6 Depth=1
	s_add_i32 s0, s57, 64
	s_add_u32 s0, s2, s0
	s_addc_u32 s1, s3, 0
	s_lshl_b64 s[0:1], s[0:1], 8
	s_add_u32 s24, s6, s0
	s_addc_u32 s25, s7, s1
.LBB175_8:                              ;   in Loop: Header=BB175_6 Depth=1
	v_cndmask_b32_e64 v2, 0, 1, s[42:43]
	v_cmp_ne_u32_e64 s[0:1], 1, v2
	s_andn2_b64 vcc, exec, s[42:43]
	s_cbranch_vccnz .LBB175_10
; %bb.9:                                ;   in Loop: Header=BB175_6 Depth=1
	s_add_i32 s28, s57, 64
	s_add_u32 s28, s60, s28
	s_addc_u32 s29, s61, 0
	s_mul_i32 s31, s28, s49
	s_mul_hi_u32 s42, s28, s53
	s_add_i32 s31, s42, s31
	s_mul_i32 s29, s29, s53
	s_add_i32 s31, s31, s29
	s_mul_i32 s28, s28, s53
	s_add_u32 s28, s28, s52
	s_addc_u32 s29, s31, s55
	s_lshl_b64 s[28:29], s[28:29], 8
	s_add_u32 s28, s4, s28
	s_addc_u32 s29, s5, s29
.LBB175_10:                             ;   in Loop: Header=BB175_6 Depth=1
	v_perm_b32 v3, v65, v64, s37
	v_perm_b32 v2, v63, v62, s37
	v_perm_b32 v5, v61, v60, s37
	v_perm_b32 v4, v59, v58, s37
	ds_write_b64 v88, v[2:3]
	ds_write_b64 v89, v[4:5]
	ds_write_b64 v91, v[2:3]
	ds_write_b64 v92, v[4:5]
	v_perm_b32 v3, v57, v56, s37
	v_perm_b32 v2, v55, v54, s37
	v_perm_b32 v5, v53, v52, s37
	v_perm_b32 v4, v51, v50, s37
	ds_write_b64 v90, v[2:3]
	ds_write_b64 v93, v[4:5]
	ds_write_b64 v94, v[2:3]
	ds_write_b64 v95, v[4:5]
	;; [unrolled: 8-line block ×4, first 2 shown]
	s_waitcnt lgkmcnt(0)
	s_barrier
	ds_read_b64 v[6:7], v104 offset:49152
	ds_read2_b64 v[2:5], v105 offset1:16
	ds_read_b64 v[18:19], v107 offset:6144
	ds_read_b64 v[20:21], v105 offset:6144
	s_waitcnt lgkmcnt(2)
	v_mfma_f32_16x16x16_bf16 a[0:3], v[6:7], v[2:3], 0
	ds_read_b64 v[22:23], v106 offset:49152
	ds_read2st64_b64 v[10:13], v108 offset0:4 offset1:8
	ds_read2st64_b64 v[14:17], v109 offset0:4 offset1:8
	v_mfma_f32_16x16x16_bf16 a[4:7], v[6:7], v[4:5], 0
	ds_read2_b64 v[2:5], v105 offset0:32 offset1:48
	s_add_i32 s31, s57, 63
	s_mul_i32 s42, s31, s35
	s_waitcnt lgkmcnt(0)
	v_mfma_f32_16x16x16_bf16 a[8:11], v[6:7], v[2:3], 0
	s_mul_hi_u32 s43, s31, s34
	s_add_i32 s43, s43, s42
	s_mul_i32 s42, s31, s34
	v_mfma_f32_16x16x16_bf16 a[12:15], v[6:7], v[4:5], 0
	ds_read2st64_b64 v[2:5], v105 offset0:4 offset1:8
	ds_read2st64_b64 v[6:9], v107 offset0:4 offset1:8
	s_lshl_b64 s[42:43], s[42:43], 2
	s_waitcnt lgkmcnt(1)
	v_mfma_f32_16x16x16_bf16 a[0:3], v[22:23], v[2:3], a[0:3]
	s_add_u32 s42, s40, s42
	s_addc_u32 s43, s41, s43
	s_and_b64 vcc, exec, s[0:1]
	s_waitcnt lgkmcnt(0)
	v_mfma_f32_16x16x16_bf16 a[4:7], v[22:23], v[6:7], a[4:7]
	v_mov_b32_e32 v135, 0
	v_mov_b32_e32 v134, 0
	;; [unrolled: 1-line block ×3, first 2 shown]
	v_mfma_f32_16x16x16_bf16 a[8:11], v[22:23], v[10:11], a[8:11]
	ds_read_b64 v[2:3], v110 offset:49152
	ds_read_b64 v[6:7], v111 offset:49152
	ds_read_b64 v[10:11], v109 offset:6144
	v_mfma_f32_16x16x16_bf16 a[12:15], v[22:23], v[14:15], a[12:15]
	v_mov_b32_e32 v14, 0
	v_mov_b32_e32 v15, 0
	s_waitcnt lgkmcnt(2)
	v_mfma_f32_16x16x16_bf16 a[0:3], v[2:3], v[4:5], a[0:3]
	v_mov_b32_e32 v4, 0
	v_mov_b32_e32 v5, 0
	v_mfma_f32_16x16x16_bf16 a[16:19], v[2:3], v[8:9], a[4:7]
	v_mov_b32_e32 v8, 0
	v_mov_b32_e32 v9, 0
	;; [unrolled: 3-line block ×3, first 2 shown]
	v_mfma_f32_16x16x16_bf16 a[24:27], v[2:3], v[16:17], a[12:15]
	ds_read_b64 v[2:3], v108 offset:6144
	v_mov_b32_e32 v16, 0
	v_mov_b32_e32 v17, 0
	s_waitcnt lgkmcnt(2)
	v_mfma_f32_16x16x16_bf16 a[4:7], v[6:7], v[20:21], a[0:3]
	v_mfma_f32_16x16x16_bf16 a[8:11], v[6:7], v[18:19], a[16:19]
	s_waitcnt lgkmcnt(0)
	v_mfma_f32_16x16x16_bf16 a[12:15], v[6:7], v[2:3], a[20:23]
	v_mov_b32_e32 v2, 0
	v_mov_b32_e32 v3, 0
	v_mfma_f32_16x16x16_bf16 a[0:3], v[6:7], v[10:11], a[24:27]
	v_mov_b32_e32 v6, 0
	v_mov_b32_e32 v7, 0
	;; [unrolled: 1-line block ×4, first 2 shown]
	s_cbranch_vccnz .LBB175_12
; %bb.11:                               ;   in Loop: Header=BB175_6 Depth=1
	s_and_b32 s25, s25, 0xffff
	buffer_load_dwordx4 v[14:17], v84, s[24:27], 0 offen
	buffer_load_dwordx4 v[10:13], v84, s[24:27], s56 offen
	;; [unrolled: 1-line block ×4, first 2 shown]
	v_mov_b32_e32 v134, v86
	v_mov_b32_e32 v133, v87
.LBB175_12:                             ;   in Loop: Header=BB175_6 Depth=1
	ds_read_b64 v[30:31], v104 offset:57344
	ds_read2_b64 v[18:21], v112 offset1:16
	ds_read_b64 v[136:137], v106 offset:57344
	ds_read_b64 v[138:139], v110 offset:57344
	;; [unrolled: 1-line block ×3, first 2 shown]
	v_add_u32_e32 v32, s57, v128
	s_waitcnt lgkmcnt(3)
	v_mfma_f32_16x16x16_bf16 a[4:7], v[30:31], v[18:19], a[4:7]
	v_mfma_f32_16x16x16_bf16 a[8:11], v[30:31], v[20:21], a[8:11]
	ds_read2_b64 v[18:21], v112 offset0:32 offset1:48
	ds_read2st64_b64 v[22:25], v112 offset0:4 offset1:8
	ds_read2st64_b64 v[26:29], v113 offset0:4 offset1:8
	s_waitcnt lgkmcnt(2)
	v_mfma_f32_16x16x16_bf16 a[12:15], v[30:31], v[18:19], a[12:15]
	v_ashrrev_i32_e32 v18, 31, v32
	v_mul_lo_u32 v33, v18, s34
	v_mad_u64_u32 v[18:19], s[24:25], v32, s34, 0
	v_mfma_f32_16x16x16_bf16 a[0:3], v[30:31], v[20:21], a[0:3]
	v_mul_lo_u32 v20, v32, s35
	v_add3_u32 v19, v19, v20, v33
	v_add_u32_e32 v20, 1, v32
	v_ashrrev_i32_e32 v21, 31, v20
	s_waitcnt lgkmcnt(1)
	v_mfma_f32_16x16x16_bf16 a[4:7], v[136:137], v[22:23], a[4:7]
	v_mul_lo_u32 v22, v21, s34
	v_mul_lo_u32 v23, v20, s35
	v_mad_u64_u32 v[20:21], s[24:25], v20, s34, 0
	v_add3_u32 v21, v21, v23, v22
	v_add_u32_e32 v22, 2, v32
	v_ashrrev_i32_e32 v23, 31, v22
	v_mul_lo_u32 v30, v23, s34
	v_mul_lo_u32 v31, v22, s35
	v_mad_u64_u32 v[22:23], s[24:25], v22, s34, 0
	v_add3_u32 v23, v23, v31, v30
	v_add_u32_e32 v30, 3, v32
	v_ashrrev_i32_e32 v31, 31, v30
	v_mul_lo_u32 v32, v31, s34
	v_mul_lo_u32 v33, v30, s35
	v_mad_u64_u32 v[30:31], s[24:25], v30, s34, 0
	s_add_u32 s24, s2, s57
	v_lshl_add_u64 v[18:19], v[18:19], 2, s[40:41]
	v_add3_u32 v31, v31, v33, v32
	s_addc_u32 s25, s3, 0
	v_lshl_add_u64 v[20:21], v[20:21], 2, s[40:41]
	global_load_dword v142, v[18:19], off
	v_lshl_add_u64 v[18:19], v[30:31], 2, s[40:41]
	s_lshl_b64 s[24:25], s[24:25], 8
	v_lshl_add_u64 v[22:23], v[22:23], 2, s[40:41]
	global_load_dword v143, v[20:21], off
	global_load_dword v144, v[22:23], off
	;; [unrolled: 1-line block ×3, first 2 shown]
	v_lshl_add_u64 v[18:19], v[68:69], 0, s[24:25]
	v_lshl_add_u64 v[22:23], v[18:19], 0, v[66:67]
	global_load_ushort v146, v[22:23], off offset:256
	global_load_ushort v147, v[22:23], off
	ds_read2st64_b64 v[18:21], v114 offset0:4 offset1:8
	global_load_ushort v148, v[22:23], off offset:768
	global_load_ushort v149, v[22:23], off offset:512
	ds_read2st64_b64 v[30:33], v115 offset0:4 offset1:8
	global_load_ushort v150, v[22:23], off offset:288
	global_load_ushort v151, v[22:23], off offset:32
	;; [unrolled: 1-line block ×4, first 2 shown]
	s_waitcnt lgkmcnt(2)
	v_mfma_f32_16x16x16_bf16 a[8:11], v[136:137], v[26:27], a[8:11]
	global_load_ushort v154, v[22:23], off offset:320
	global_load_ushort v155, v[22:23], off offset:64
	;; [unrolled: 1-line block ×4, first 2 shown]
	s_and_b64 vcc, exec, s[0:1]
	s_waitcnt lgkmcnt(1)
	v_mfma_f32_16x16x16_bf16 a[12:15], v[136:137], v[18:19], a[12:15]
	ds_read_b64 v[18:19], v112 offset:6144
	s_waitcnt lgkmcnt(1)
	v_mfma_f32_16x16x16_bf16 a[0:3], v[136:137], v[30:31], a[0:3]
	v_lshl_add_u64 v[30:31], v[70:71], 0, s[24:25]
	v_lshl_add_u64 v[30:31], v[30:31], 0, v[66:67]
	v_mfma_f32_16x16x16_bf16 a[4:7], v[138:139], v[24:25], a[4:7]
	v_mfma_f32_16x16x16_bf16 a[8:11], v[138:139], v[28:29], a[8:11]
	;; [unrolled: 1-line block ×4, first 2 shown]
	global_load_ushort v138, v[22:23], off offset:352
	global_load_ushort v139, v[22:23], off offset:96
	ds_read_b64 v[20:21], v113 offset:6144
	ds_read_b64 v[24:25], v114 offset:6144
	;; [unrolled: 1-line block ×3, first 2 shown]
	s_load_dword s42, s[42:43], 0x0
	global_load_ushort v158, v[22:23], off offset:864
	global_load_ushort v159, v[22:23], off offset:608
	s_waitcnt lgkmcnt(0)
	v_mfma_f32_16x16x16_bf16 a[4:7], v[140:141], v[18:19], a[4:7]
	s_waitcnt vmcnt(17)
	v_sub_f32_e32 v28, s42, v144
	v_mfma_f32_16x16x16_bf16 a[0:3], v[140:141], v[26:27], a[0:3]
	v_sub_f32_e32 v26, s42, v142
	v_sub_f32_e32 v27, s42, v143
	s_waitcnt vmcnt(16)
	v_sub_f32_e32 v29, s42, v145
	v_mfma_f32_16x16x16_bf16 a[8:11], v[140:141], v[20:21], a[8:11]
	v_exp_f32_e32 v26, v26
	v_exp_f32_e32 v27, v27
	;; [unrolled: 1-line block ×4, first 2 shown]
	v_accvgpr_read_b32 v137, a5
	s_waitcnt vmcnt(15)
	v_lshlrev_b32_e32 v33, 16, v146
	s_waitcnt vmcnt(14)
	v_lshlrev_b32_e32 v32, 16, v147
	v_accvgpr_read_b32 v136, a4
	v_accvgpr_read_b32 v19, a7
	;; [unrolled: 1-line block ×3, first 2 shown]
	v_pk_add_f32 v[32:33], v[32:33], v[136:137] neg_lo:[0,1] neg_hi:[0,1]
	s_waitcnt vmcnt(13)
	v_lshlrev_b32_e32 v137, 16, v148
	s_waitcnt vmcnt(12)
	v_lshlrev_b32_e32 v136, 16, v149
	v_pk_add_f32 v[18:19], v[136:137], v[18:19] neg_lo:[0,1] neg_hi:[0,1]
	global_store_short_d16_hi v[30:31], v32, off
	global_store_short_d16_hi v[30:31], v33, off offset:256
	global_store_short_d16_hi v[30:31], v18, off offset:512
	;; [unrolled: 1-line block ×3, first 2 shown]
	v_pk_mul_f32 v[32:33], v[26:27], v[32:33]
	v_pk_mul_f32 v[18:19], v[28:29], v[18:19]
	v_accvgpr_read_b32 v137, a9
	v_perm_b32 v32, v33, v32, s37
	v_perm_b32 v33, v19, v18, s37
	s_waitcnt vmcnt(15)
	v_lshlrev_b32_e32 v19, 16, v150
	s_waitcnt vmcnt(14)
	v_lshlrev_b32_e32 v18, 16, v151
	v_accvgpr_read_b32 v136, a8
	v_accvgpr_read_b32 v21, a11
	v_mfma_f32_16x16x16_bf16 a[12:15], v[140:141], v[24:25], a[12:15]
	v_accvgpr_read_b32 v20, a10
	v_pk_add_f32 v[18:19], v[18:19], v[136:137] neg_lo:[0,1] neg_hi:[0,1]
	s_waitcnt vmcnt(13)
	v_lshlrev_b32_e32 v137, 16, v152
	s_waitcnt vmcnt(12)
	v_lshlrev_b32_e32 v136, 16, v153
	v_pk_add_f32 v[20:21], v[136:137], v[20:21] neg_lo:[0,1] neg_hi:[0,1]
	global_store_short_d16_hi v[30:31], v18, off offset:32
	global_store_short_d16_hi v[30:31], v19, off offset:288
	;; [unrolled: 1-line block ×4, first 2 shown]
	v_pk_mul_f32 v[18:19], v[26:27], v[18:19]
	v_pk_mul_f32 v[20:21], v[28:29], v[20:21]
	v_accvgpr_read_b32 v23, a15
	v_perm_b32 v21, v21, v20, s37
	v_perm_b32 v20, v19, v18, s37
	ds_write2_b64 v89, v[32:33], v[20:21] offset1:16
	v_accvgpr_read_b32 v21, a13
	s_waitcnt vmcnt(15)
	v_lshlrev_b32_e32 v19, 16, v154
	s_waitcnt vmcnt(14)
	v_lshlrev_b32_e32 v18, 16, v155
	v_accvgpr_read_b32 v20, a12
	v_accvgpr_read_b32 v22, a14
	v_pk_add_f32 v[18:19], v[18:19], v[20:21] neg_lo:[0,1] neg_hi:[0,1]
	s_waitcnt vmcnt(13)
	v_lshlrev_b32_e32 v21, 16, v156
	s_waitcnt vmcnt(12)
	v_lshlrev_b32_e32 v20, 16, v157
	v_pk_add_f32 v[20:21], v[20:21], v[22:23] neg_lo:[0,1] neg_hi:[0,1]
	global_store_short_d16_hi v[30:31], v18, off offset:64
	global_store_short_d16_hi v[30:31], v19, off offset:320
	;; [unrolled: 1-line block ×4, first 2 shown]
	v_pk_mul_f32 v[18:19], v[26:27], v[18:19]
	v_pk_mul_f32 v[20:21], v[28:29], v[20:21]
	v_accvgpr_read_b32 v23, a1
	v_perm_b32 v18, v19, v18, s37
	v_perm_b32 v19, v21, v20, s37
	s_waitcnt vmcnt(15)
	v_lshlrev_b32_e32 v21, 16, v138
	s_waitcnt vmcnt(14)
	v_lshlrev_b32_e32 v20, 16, v139
	v_accvgpr_read_b32 v22, a0
	v_accvgpr_read_b32 v25, a3
	;; [unrolled: 1-line block ×3, first 2 shown]
	v_pk_add_f32 v[20:21], v[20:21], v[22:23] neg_lo:[0,1] neg_hi:[0,1]
	s_waitcnt vmcnt(13)
	v_lshlrev_b32_e32 v23, 16, v158
	s_waitcnt vmcnt(12)
	v_lshlrev_b32_e32 v22, 16, v159
	v_pk_add_f32 v[22:23], v[22:23], v[24:25] neg_lo:[0,1] neg_hi:[0,1]
	global_store_short_d16_hi v[30:31], v20, off offset:96
	global_store_short_d16_hi v[30:31], v21, off offset:352
	global_store_short_d16_hi v[30:31], v22, off offset:608
	global_store_short_d16_hi v[30:31], v23, off offset:864
	v_pk_mul_f32 v[20:21], v[26:27], v[20:21]
	v_pk_mul_f32 v[22:23], v[28:29], v[22:23]
	v_mov_b32_e32 v136, 0
	v_perm_b32 v23, v23, v22, s37
	v_perm_b32 v22, v21, v20, s37
	ds_write2_b64 v89, v[18:19], v[22:23] offset0:32 offset1:48
	v_mov_b32_e32 v18, 0
	v_mov_b32_e32 v19, 0
	;; [unrolled: 1-line block ×16, first 2 shown]
	s_cbranch_vccnz .LBB175_14
; %bb.13:                               ;   in Loop: Header=BB175_6 Depth=1
	s_and_b32 s29, s29, 0xffff
	s_mov_b32 s31, s27
	buffer_load_dwordx4 v[30:33], v126, s[28:31], 0 offen
	buffer_load_dwordx4 v[22:25], v126, s[28:31], s56 offen
	;; [unrolled: 1-line block ×4, first 2 shown]
	v_mov_b32_e32 v135, v83
	v_mov_b32_e32 v136, v82
.LBB175_14:                             ;   in Loop: Header=BB175_6 Depth=1
	s_waitcnt lgkmcnt(0)
	s_barrier
	ds_read_b64 v[146:147], v129
	ds_read2_b64 v[138:141], v119 offset1:16
	ds_read_b64 v[162:163], v130
	ds_read_b64 v[164:165], v131
	;; [unrolled: 1-line block ×3, first 2 shown]
	ds_read2_b64 v[142:145], v119 offset0:32 offset1:48
	s_waitcnt lgkmcnt(4)
	v_mfma_f32_16x16x16_bf16 a[0:3], v[146:147], v[138:139], 0
	ds_read2st64_b64 v[150:153], v121 offset0:4 offset1:8
	ds_read2st64_b64 v[154:157], v122 offset0:4 offset1:8
	;; [unrolled: 1-line block ×3, first 2 shown]
	v_mfma_f32_16x16x16_bf16 a[4:7], v[146:147], v[140:141], 0
	s_add_i32 s24, s50, s64
	s_mul_hi_i32 s25, s24, s17
	s_mul_i32 s24, s24, s17
	s_waitcnt lgkmcnt(3)
	v_mfma_f32_16x16x16_bf16 a[8:11], v[146:147], v[142:143], 0
	s_add_u32 s24, s24, s33
	s_addc_u32 s25, s25, s54
	s_lshl_b64 s[24:25], s[24:25], 15
	v_mfma_f32_16x16x16_bf16 a[12:15], v[146:147], v[144:145], 0
	ds_read2st64_b64 v[146:149], v119 offset0:4 offset1:8
	s_waitcnt lgkmcnt(0)
	v_mfma_f32_16x16x16_bf16 a[0:3], v[162:163], v[146:147], a[0:3]
	v_mfma_f32_16x16x16_bf16 a[4:7], v[162:163], v[150:151], a[4:7]
	;; [unrolled: 1-line block ×8, first 2 shown]
	ds_read_b64 v[162:163], v119 offset:6144
	ds_read_b64 v[164:165], v120 offset:40960
	;; [unrolled: 1-line block ×8, first 2 shown]
	s_waitcnt lgkmcnt(5)
	v_mfma_f32_16x16x16_bf16 a[16:19], v[168:169], v[138:139], 0
	v_mfma_f32_16x16x16_bf16 a[20:23], v[168:169], v[140:141], 0
	ds_read2st64_b64 v[138:141], v116 offset1:8
	v_mfma_f32_16x16x16_bf16 a[24:27], v[168:169], v[142:143], 0
	v_mfma_f32_16x16x16_bf16 a[28:31], v[168:169], v[144:145], 0
	ds_read2st64_b64 v[142:145], v117 offset1:8
	v_mfma_f32_16x16x16_bf16 a[16:19], v[164:165], v[146:147], a[16:19]
	s_waitcnt lgkmcnt(1)
	v_mov_b32_e32 v146, v138
	v_mov_b32_e32 v147, v139
	v_mfma_f32_16x16x16_bf16 a[20:23], v[164:165], v[150:151], a[20:23]
	v_lshl_add_u64 v[150:151], v[72:73], 0, s[24:25]
	v_mfma_f32_16x16x16_bf16 a[24:27], v[164:165], v[154:155], a[24:27]
	v_mfma_f32_16x16x16_bf16 a[28:31], v[164:165], v[158:159], a[28:31]
	;; [unrolled: 1-line block ×3, first 2 shown]
	s_waitcnt lgkmcnt(0)
	v_mov_b32_e32 v148, v142
	v_mov_b32_e32 v149, v143
	;; [unrolled: 1-line block ×3, first 2 shown]
	v_mfma_f32_16x16x16_bf16 a[32:35], v[176:177], v[152:153], a[20:23]
	v_mov_b32_e32 v143, v141
	ds_read2st64_b64 v[138:141], v116 offset0:16 offset1:24
	global_store_dwordx4 v[150:151], v[146:149], off
	v_mfma_f32_16x16x16_bf16 a[24:27], v[176:177], v[156:157], a[24:27]
	ds_read2st64_b64 v[146:149], v117 offset0:16 offset1:24
	v_add_co_u32_e32 v152, vcc, s39, v150
	v_mfma_f32_16x16x16_bf16 a[28:31], v[176:177], v[160:161], a[28:31]
	s_nop 0
	v_addc_co_u32_e32 v153, vcc, 0, v151, vcc
	global_store_dwordx4 v[152:153], v[142:145], off offset:-4096
	v_mfma_f32_16x16x16_bf16 a[0:3], v[166:167], v[162:163], a[0:3]
	s_waitcnt lgkmcnt(1)
	v_mov_b32_e32 v142, v138
	v_add_co_u32_e32 v138, vcc, s62, v150
	v_mfma_f32_16x16x16_bf16 a[4:7], v[166:167], v[170:171], a[4:7]
	v_mov_b32_e32 v143, v139
	v_addc_co_u32_e32 v139, vcc, 0, v151, vcc
	v_mfma_f32_16x16x16_bf16 a[8:11], v[166:167], v[172:173], a[8:11]
	s_waitcnt lgkmcnt(0)
	v_mov_b32_e32 v144, v146
	v_mov_b32_e32 v145, v147
	;; [unrolled: 1-line block ×3, first 2 shown]
	v_mfma_f32_16x16x16_bf16 a[12:15], v[166:167], v[174:175], a[12:15]
	v_mov_b32_e32 v147, v141
	s_and_b64 vcc, exec, s[0:1]
	global_store_dwordx4 v[152:153], v[142:145], off
	v_mfma_f32_16x16x16_bf16 a[20:23], v[178:179], v[162:163], a[16:19]
	global_store_dwordx4 v[138:139], v[146:149], off
	v_mfma_f32_16x16x16_bf16 a[16:19], v[178:179], v[170:171], a[32:35]
	v_mfma_f32_16x16x16_bf16 a[24:27], v[178:179], v[172:173], a[24:27]
	;; [unrolled: 1-line block ×3, first 2 shown]
	s_cbranch_vccnz .LBB175_16
; %bb.15:                               ;   in Loop: Header=BB175_6 Depth=1
	v_lshrrev_b32_e32 v137, 3, v135
	v_and_b32_e32 v137, 6, v137
	v_xor_b32_e32 v136, v137, v136
	v_lshlrev_b32_e32 v136, 2, v136
	v_and_b32_e32 v135, 8, v135
	v_xor_b32_e32 v138, 0x440, v136
	v_cmp_eq_u32_e32 vcc, 0, v135
	s_barrier
	s_nop 0
	v_cndmask_b32_e32 v135, v138, v136, vcc
	v_lshl_or_b32 v135, v137, 10, v135
	s_waitcnt vmcnt(5)
	v_perm_b32 v136, v30, v26, s58
	s_waitcnt vmcnt(4)
	v_perm_b32 v137, v22, v18, s58
	ds_write2st64_b32 v135, v136, v137 offset0:128 offset1:160
	v_xor_b32_e32 v136, 8, v135
	v_perm_b32 v26, v30, v26, s59
	v_perm_b32 v18, v22, v18, s59
	v_add_u32_e32 v22, 0x80, v136
	ds_write2st64_b32 v22, v26, v18 offset0:128 offset1:160
	v_xor_b32_e32 v18, 16, v135
	v_perm_b32 v22, v31, v27, s58
	v_perm_b32 v26, v23, v19, s58
	ds_write2st64_b32 v18, v22, v26 offset0:129 offset1:161
	v_xor_b32_e32 v18, 24, v135
	v_perm_b32 v22, v31, v27, s59
	v_perm_b32 v19, v23, v19, s59
	v_add_u32_e32 v18, 0x80, v18
	ds_write2st64_b32 v18, v22, v19 offset0:129 offset1:161
	v_xor_b32_e32 v18, 32, v135
	v_perm_b32 v19, v32, v28, s58
	;; [unrolled: 9-line block ×3, first 2 shown]
	v_perm_b32 v20, v25, v21, s58
	ds_write2st64_b32 v18, v19, v20 offset0:131 offset1:163
	v_xor_b32_e32 v18, 56, v135
	v_perm_b32 v19, v33, v29, s59
	v_perm_b32 v20, v25, v21, s59
	v_add_u32_e32 v18, 0x80, v18
	ds_write2st64_b32 v18, v19, v20 offset0:131 offset1:163
	ds_write_b64 v134, v[14:15] offset:49152
	v_xor_b32_e32 v14, 8, v134
	ds_write_b64 v14, v[16:17] offset:49152
	ds_write_b64 v134, v[10:11] offset:57344
	;; [unrolled: 1-line block ×4, first 2 shown]
	v_xor_b32_e32 v6, 8, v133
	ds_write_b64 v6, v[8:9] offset:49152
	ds_write_b64 v133, v[2:3] offset:57344
	;; [unrolled: 1-line block ×3, first 2 shown]
.LBB175_16:                             ;   in Loop: Header=BB175_6 Depth=1
	v_exp_f32_e32 v134, s42
	v_accvgpr_read_b32 v5, a3
	v_accvgpr_read_b32 v9, a7
	v_accvgpr_read_b32 v13, a11
	v_accvgpr_read_b32 v17, a15
	s_waitcnt vmcnt(4)
	v_accvgpr_read_b32 v18, a20
	v_accvgpr_read_b32 v25, a19
	;; [unrolled: 1-line block ×28, first 2 shown]
	s_add_i32 s57, s57, 64
	v_pk_fma_f32 v[62:63], v[134:135], v[62:63], v[2:3] op_sel_hi:[0,1,1]
	v_pk_fma_f32 v[64:65], v[134:135], v[64:65], v[4:5] op_sel_hi:[0,1,1]
	;; [unrolled: 1-line block ×15, first 2 shown]
	s_cmp_eq_u32 s48, s63
	v_pk_fma_f32 v[38:39], v[134:135], v[38:39], v[32:33] op_sel_hi:[0,1,1]
	s_cbranch_scc1 .LBB175_18
; %bb.17:                               ;   in Loop: Header=BB175_6 Depth=1
	s_mov_b32 s64, s63
	s_branch .LBB175_6
.LBB175_18:
	s_lshl_b32 s42, s48, 6
	s_sub_i32 s43, s16, s42
	s_cmp_gt_i32 s43, 0
	s_cbranch_scc0 .LBB175_99
; %bb.19:
	s_ashr_i32 s39, s47, 31
	s_ashr_i32 s2, s42, 31
	s_cmpk_lg_i32 s19, 0x80
	s_cselect_b64 s[30:31], -1, 0
	s_and_b64 vcc, exec, s[30:31]
	s_cbranch_vccz .LBB175_21
; %bb.20:
	s_mul_i32 s1, s47, s16
	s_mul_hi_i32 s0, s47, s16
	s_add_u32 s1, s1, s42
	s_addc_u32 s0, s0, s2
	s_mul_i32 s3, s1, s49
	s_mul_hi_u32 s24, s1, s18
	s_add_i32 s3, s24, s3
	s_mul_i32 s0, s0, s18
	s_add_i32 s3, s3, s0
	s_mul_i32 s1, s1, s18
	s_ashr_i32 s0, s52, 31
	s_add_u32 s40, s1, s52
	s_addc_u32 s41, s3, s0
	s_cbranch_execz .LBB175_22
	s_branch .LBB175_23
.LBB175_21:
                                        ; implicit-def: $sgpr40_sgpr41
.LBB175_22:
	s_mul_hi_i32 s0, s47, s18
	s_mul_i32 s47, s47, s18
	s_ashr_i32 s1, s52, 31
	s_add_u32 s3, s47, s52
	s_addc_u32 s0, s0, s1
	s_mul_i32 s1, s3, s46
	s_mul_hi_u32 s18, s3, s16
	s_add_i32 s1, s18, s1
	s_mul_i32 s0, s0, s16
	s_add_i32 s1, s1, s0
	s_mul_i32 s3, s3, s16
	s_add_u32 s40, s3, s42
	s_addc_u32 s41, s1, s2
.LBB175_23:
	s_add_i32 s3, s50, s48
	s_ashr_i32 s18, s33, 31
	s_add_u32 s0, s45, s33
	s_addc_u32 s1, s51, s18
	s_mul_i32 s24, s0, s46
	s_mul_hi_u32 s25, s0, s16
	s_add_i32 s24, s25, s24
	s_mul_i32 s1, s1, s16
	s_add_i32 s24, s24, s1
	s_mul_i32 s0, s0, s16
	s_add_u32 s0, s0, s42
	v_lshlrev_b32_e32 v6, 6, v80
	v_lshlrev_b32_e32 v24, 2, v74
	s_addc_u32 s1, s24, s2
	s_mov_b32 s2, 0x7060302
	v_or_b32_e32 v9, v6, v24
	v_xor_b32_e32 v7, v80, v24
	v_perm_b32 v3, v65, v64, s2
	v_perm_b32 v2, v63, v62, s2
	;; [unrolled: 1-line block ×4, first 2 shown]
	v_lshlrev_b32_e32 v9, 1, v9
	v_xor_b32_e32 v8, v81, v24
	ds_write2st64_b64 v9, v[2:3], v[4:5] offset0:32 offset1:48
	v_lshlrev_b32_e32 v7, 1, v7
	v_lshlrev_b32_e32 v9, 8, v74
	v_or_b32_e32 v10, v7, v9
	v_lshlrev_b32_e32 v8, 1, v8
	ds_write_b64 v10, v[2:3]
	v_or_b32_e32 v2, v8, v9
	v_or_b32_e32 v9, 16, v74
	v_lshlrev_b32_e32 v23, 2, v9
	v_or_b32_e32 v10, v6, v23
	ds_write_b64 v2, v[4:5]
	v_perm_b32 v3, v57, v56, s2
	v_perm_b32 v2, v55, v54, s2
	;; [unrolled: 1-line block ×4, first 2 shown]
	v_lshlrev_b32_e32 v10, 1, v10
	v_lshlrev_b32_e32 v9, 8, v9
	ds_write2st64_b64 v10, v[2:3], v[4:5] offset0:32 offset1:48
	v_or_b32_e32 v10, v7, v9
	ds_write_b64 v10, v[2:3]
	v_or_b32_e32 v2, v8, v9
	v_or_b32_e32 v9, 32, v74
	v_lshlrev_b32_e32 v22, 2, v9
	v_or_b32_e32 v10, v6, v22
	s_lshl_b64 s[28:29], s[0:1], 8
	ds_write_b64 v2, v[4:5]
	v_perm_b32 v3, v49, v48, s2
	v_perm_b32 v2, v47, v46, s2
	;; [unrolled: 1-line block ×4, first 2 shown]
	v_lshlrev_b32_e32 v10, 1, v10
	v_lshlrev_b32_e32 v9, 8, v9
	s_add_u32 s0, s6, s28
	ds_write2st64_b64 v10, v[2:3], v[4:5] offset0:32 offset1:48
	v_or_b32_e32 v10, v7, v9
	s_addc_u32 s1, s7, s29
	ds_write_b64 v10, v[2:3]
	v_or_b32_e32 v2, v8, v9
	v_or_b32_e32 v9, 48, v74
	s_mul_hi_i32 s6, s3, s17
	s_mul_i32 s3, s3, s17
	ds_write_b64 v2, v[4:5]
	v_perm_b32 v3, v35, v34, s2
	v_perm_b32 v2, v41, v40, s2
	;; [unrolled: 1-line block ×4, first 2 shown]
	v_lshlrev_b32_e32 v19, 2, v9
	s_add_u32 s2, s3, s33
	v_or_b32_e32 v6, v6, v19
	s_addc_u32 s3, s6, s18
	v_lshlrev_b32_e32 v6, 1, v6
	s_ashr_i32 s37, s36, 31
	s_lshl_b64 s[2:3], s[2:3], 15
	ds_write2st64_b64 v6, v[2:3], v[4:5] offset0:32 offset1:48
	v_lshlrev_b32_e32 v6, 8, v9
	s_add_u32 s6, s12, s2
	v_or_b32_e32 v7, v7, v6
	s_addc_u32 s7, s13, s3
	s_lshl_b64 s[2:3], s[36:37], 8
	ds_write_b64 v7, v[2:3]
	v_or_b32_e32 v2, v8, v6
	s_add_u32 s2, s6, s2
	v_lshlrev_b32_e32 v3, 1, v74
	ds_write_b64 v2, v[4:5]
	v_lshrrev_b32_e32 v2, 4, v0
	s_addc_u32 s3, s7, s3
	v_or_b32_e32 v4, 1, v3
	v_lshlrev_b32_e32 v10, 4, v74
	v_mov_b32_e32 v11, 0
	v_xor_b32_e32 v3, v2, v3
	v_xor_b32_e32 v6, v4, v2
	v_lshl_add_u64 v[12:13], s[2:3], 0, v[10:11]
	v_lshlrev_b32_e32 v10, 8, v2
	v_lshl_or_b32 v16, v3, 3, v10
	v_lshl_or_b32 v17, v6, 3, v10
	s_waitcnt lgkmcnt(0)
	s_barrier
	ds_read2st64_b64 v[2:5], v16 offset1:8
	ds_read2st64_b64 v[6:9], v17 offset1:8
	v_lshl_add_u64 v[14:15], v[12:13], 0, v[10:11]
	s_movk_i32 s2, 0x2000
	s_cmp_lg_u32 s43, 64
	s_waitcnt lgkmcnt(1)
	v_mov_b32_e32 v10, v2
	v_mov_b32_e32 v11, v3
	s_waitcnt lgkmcnt(0)
	v_mov_b32_e32 v12, v6
	v_mov_b32_e32 v13, v7
	global_store_dwordx4 v[14:15], v[10:13], off
	v_mov_b32_e32 v6, v4
	v_mov_b32_e32 v7, v5
	ds_read2st64_b64 v[2:5], v16 offset0:16 offset1:24
	ds_read2st64_b64 v[10:13], v17 offset0:16 offset1:24
	v_add_co_u32_e32 v16, vcc, s2, v14
	s_cselect_b64 s[6:7], -1, 0
	s_nop 0
	v_addc_co_u32_e32 v17, vcc, 0, v15, vcc
	global_store_dwordx4 v[16:17], v[6:9], off offset:-4096
	v_lshl_or_b32 v25, v76, 3, v79
	s_mov_b32 s24, 0
	s_waitcnt lgkmcnt(1)
	v_mov_b32_e32 v6, v2
	v_add_co_u32_e32 v2, vcc, 0x3000, v14
	v_mov_b32_e32 v7, v3
	s_nop 0
	v_addc_co_u32_e32 v3, vcc, 0, v15, vcc
	s_waitcnt lgkmcnt(0)
	v_mov_b32_e32 v8, v10
	v_mov_b32_e32 v9, v11
	;; [unrolled: 1-line block ×4, first 2 shown]
	v_or_b32_e32 v20, 32, v25
	v_and_b32_e32 v18, 56, v78
	s_and_b64 vcc, exec, s[6:7]
	global_store_dwordx4 v[16:17], v[6:9], off
	global_store_dwordx4 v[2:3], v[10:13], off
	s_cbranch_vccz .LBB175_29
; %bb.24:
	s_mov_b32 s25, s24
	s_mov_b32 s26, s24
	;; [unrolled: 1-line block ×3, first 2 shown]
	v_mov_b64_e32 v[6:7], s[24:25]
	v_mov_b64_e32 v[8:9], s[26:27]
	;; [unrolled: 1-line block ×3, first 2 shown]
	v_cmp_gt_i32_e32 vcc, s43, v25
	v_mov_b64_e32 v[4:5], v[8:9]
	s_and_saveexec_b64 s[2:3], vcc
	s_cbranch_execz .LBB175_26
; %bb.25:
	v_lshlrev_b32_e32 v2, 8, v25
	v_mov_b32_e32 v3, 0
	v_lshl_add_u64 v[4:5], s[0:1], 0, v[2:3]
	v_lshlrev_b32_e32 v2, 1, v18
	v_lshl_add_u64 v[10:11], v[4:5], 0, v[2:3]
	global_load_dwordx4 v[6:9], v[10:11], off
	global_load_dwordx4 v[2:5], v[10:11], off offset:128
.LBB175_26:
	s_or_b64 exec, exec, s[2:3]
	s_mov_b32 s25, s24
	s_mov_b32 s26, s24
	;; [unrolled: 1-line block ×3, first 2 shown]
	v_mov_b64_e32 v[14:15], s[24:25]
	v_mov_b64_e32 v[16:17], s[26:27]
	;; [unrolled: 1-line block ×3, first 2 shown]
	v_cmp_gt_i32_e32 vcc, s43, v20
	v_lshlrev_b32_e32 v21, 7, v20
	v_mov_b64_e32 v[12:13], v[16:17]
	s_and_saveexec_b64 s[2:3], vcc
	s_cbranch_execz .LBB175_28
; %bb.27:
	v_lshlrev_b32_e32 v10, 1, v21
	v_mov_b32_e32 v11, 0
	v_lshl_add_u64 v[12:13], s[0:1], 0, v[10:11]
	v_lshlrev_b32_e32 v10, 1, v18
	v_lshl_add_u64 v[26:27], v[12:13], 0, v[10:11]
	global_load_dwordx4 v[14:17], v[26:27], off
	global_load_dwordx4 v[10:13], v[26:27], off offset:128
.LBB175_28:
	s_or_b64 exec, exec, s[2:3]
	v_lshrrev_b32_e32 v26, 3, v18
	v_lshlrev_b32_e32 v27, 3, v25
	v_or_b32_e32 v26, v27, v26
	v_lshlrev_b32_e32 v26, 4, v26
	v_and_b32_e32 v27, 0x78, v27
	v_xor_b32_e32 v26, v26, v27
	s_branch .LBB175_31
.LBB175_29:
                                        ; implicit-def: $vgpr26
                                        ; implicit-def: $vgpr21
                                        ; implicit-def: $vgpr6_vgpr7_vgpr8_vgpr9
                                        ; implicit-def: $vgpr2_vgpr3_vgpr4_vgpr5
                                        ; implicit-def: $vgpr14_vgpr15_vgpr16_vgpr17
                                        ; implicit-def: $vgpr10_vgpr11_vgpr12_vgpr13
	s_cbranch_execz .LBB175_31
; %bb.30:
	s_waitcnt vmcnt(0)
	v_lshlrev_b32_e32 v2, 1, v18
	v_lshl_or_b32 v21, v25, 8, v2
	s_and_b32 s1, s1, 0xffff
	s_mov_b32 s3, 0x20000
	s_movk_i32 s2, 0x4000
	v_lshl_or_b32 v26, v20, 8, v2
	s_movk_i32 s12, 0x80
	buffer_load_dwordx4 v[6:9], v21, s[0:3], 0 offen
	buffer_load_dwordx4 v[2:5], v21, s[0:3], s12 offen
	buffer_load_dwordx4 v[14:17], v26, s[0:3], 0 offen
	buffer_load_dwordx4 v[10:13], v26, s[0:3], s12 offen
	v_lshrrev_b32_e32 v21, 3, v18
	v_lshlrev_b32_e32 v26, 3, v25
	v_or_b32_e32 v21, v26, v21
	v_lshlrev_b32_e32 v21, 4, v21
	v_and_b32_e32 v26, 0x78, v26
	v_xor_b32_e32 v26, v21, v26
	v_lshlrev_b32_e32 v21, 7, v20
.LBB175_31:
	s_movk_i32 s0, 0x1000
	v_and_or_b32 v20, v21, s0, v26
	s_waitcnt vmcnt(1)
	ds_write_b64 v26, v[6:7] offset:49152
	v_xor_b32_e32 v6, 8, v26
	ds_write_b64 v6, v[8:9] offset:49152
	s_waitcnt vmcnt(0)
	ds_write_b64 v26, v[2:3] offset:57344
	ds_write_b64 v6, v[4:5] offset:57344
	ds_write_b64 v20, v[14:15] offset:49152
	v_xor_b32_e32 v2, 8, v20
	ds_write_b64 v2, v[16:17] offset:49152
	ds_write_b64 v20, v[10:11] offset:57344
	;; [unrolled: 1-line block ×3, first 2 shown]
	v_or_b32_e32 v2, v1, v74
	v_lshlrev_b32_e32 v3, 11, v76
	v_lshlrev_b32_e32 v2, 3, v2
	v_and_b32_e32 v6, 0x1000, v3
	v_lshrrev_b32_e32 v3, 5, v75
	s_movk_i32 s0, 0xf8
	v_and_or_b32 v3, v2, s0, v3
	v_lshlrev_b32_e32 v7, 4, v3
	v_and_b32_e32 v8, 0x78, v2
	v_or_b32_e32 v10, 32, v7
	v_lshrrev_b32_e32 v3, 1, v75
	v_xor_b32_e32 v10, v10, v8
	v_xor_b32_e32 v2, v7, v8
	v_and_b32_e32 v9, 8, v3
	v_or_b32_e32 v10, v10, v6
	v_or_b32_e32 v2, v2, v6
	v_xor_b32_e32 v28, v10, v9
	v_or_b32_e32 v10, 64, v7
	v_xor_b32_e32 v27, v2, v9
	v_xor_b32_e32 v10, v10, v8
	s_waitcnt lgkmcnt(0)
	s_barrier
	v_or_b32_e32 v13, v10, v6
	ds_read_b64 v[10:11], v27 offset:49152
	v_lshl_or_b32 v14, v77, 8, v24
	v_lshlrev_b32_e32 v26, 1, v14
	v_add_u32_e32 v12, 0x4000, v26
	ds_read2_b64 v[2:5], v12 offset1:16
	v_or_b32_e32 v7, 0x60, v7
	v_xor_b32_e32 v7, v7, v8
	v_or_b32_e32 v6, v7, v6
	v_xor_b32_e32 v29, v13, v9
	v_xor_b32_e32 v30, v6, v9
	ds_read_b64 v[20:21], v28 offset:49152
	ds_read_b64 v[34:35], v29 offset:49152
	;; [unrolled: 1-line block ×3, first 2 shown]
	s_waitcnt lgkmcnt(3)
	v_mfma_f32_16x16x16_bf16 a[0:3], v[10:11], v[2:3], 0
	ds_read2_b64 v[6:9], v12 offset0:32 offset1:48
	s_lshl_b64 s[0:1], s[40:41], 8
	s_add_u32 s4, s4, s0
	v_mfma_f32_16x16x16_bf16 a[4:7], v[10:11], v[4:5], 0
	ds_read2st64_b64 v[2:5], v26 offset0:36 offset1:40
	s_addc_u32 s5, s5, s1
	s_add_i32 s2, s16, -1
	s_waitcnt lgkmcnt(1)
	v_mfma_f32_16x16x16_bf16 a[8:11], v[10:11], v[6:7], 0
	v_or_b32_e32 v6, 64, v14
	v_lshlrev_b32_e32 v31, 1, v6
	s_add_i32 s0, s44, s21
	s_waitcnt lgkmcnt(0)
	v_mfma_f32_16x16x16_bf16 a[0:3], v[20:21], v[2:3], a[0:3]
	v_or_b32_e32 v2, 0x80, v14
	v_lshlrev_b32_e32 v32, 1, v2
	v_or_b32_e32 v2, 0xc0, v14
	v_mfma_f32_16x16x16_bf16 a[12:15], v[10:11], v[8:9], 0
	ds_read2st64_b64 v[6:9], v31 offset0:36 offset1:40
	v_lshlrev_b32_e32 v33, 1, v2
	ds_read2st64_b64 v[10:13], v32 offset0:36 offset1:40
	ds_read2st64_b64 v[14:17], v33 offset0:36 offset1:40
	s_mul_i32 s39, s39, s20
	s_add_i32 s39, s0, s39
	s_mul_i32 s0, s33, s23
	s_mul_hi_u32 s1, s33, s22
	s_ashr_i32 s3, s2, 31
	s_mul_i32 s12, s2, s35
	s_mul_hi_u32 s13, s2, s34
	s_waitcnt lgkmcnt(2)
	v_mfma_f32_16x16x16_bf16 a[4:7], v[20:21], v[6:7], a[4:7]
	s_add_i32 s0, s1, s0
	s_mul_i32 s1, s18, s22
	s_add_i32 s12, s13, s12
	s_mul_i32 s3, s3, s34
	s_waitcnt lgkmcnt(1)
	v_mfma_f32_16x16x16_bf16 a[8:11], v[20:21], v[10:11], a[8:11]
	s_add_i32 s1, s0, s1
	s_add_i32 s3, s12, s3
	s_lshl_b64 s[12:13], s[38:39], 2
	s_waitcnt lgkmcnt(0)
	v_mfma_f32_16x16x16_bf16 a[12:15], v[20:21], v[14:15], a[12:15]
	s_mul_i32 s0, s33, s22
	s_add_u32 s10, s10, s12
	s_addc_u32 s11, s11, s13
	s_lshl_b64 s[0:1], s[0:1], 2
	v_mfma_f32_16x16x16_bf16 a[0:3], v[34:35], v[4:5], a[0:3]
	s_mul_i32 s2, s2, s34
	ds_read_b64 v[2:3], v26 offset:22528
	s_add_u32 s10, s10, s0
	v_mfma_f32_16x16x16_bf16 a[4:7], v[34:35], v[8:9], a[4:7]
	ds_read_b64 v[4:5], v31 offset:22528
	ds_read_b64 v[6:7], v32 offset:22528
	;; [unrolled: 1-line block ×3, first 2 shown]
	s_addc_u32 s11, s11, s1
	s_lshl_b64 s[0:1], s[2:3], 2
	v_mfma_f32_16x16x16_bf16 a[8:11], v[34:35], v[12:13], a[8:11]
	s_add_u32 s0, s10, s0
	s_addc_u32 s1, s11, s1
	s_load_dword s12, s[0:1], 0x0
	v_mfma_f32_16x16x16_bf16 a[12:15], v[34:35], v[16:17], a[12:15]
	s_and_b64 vcc, exec, s[30:31]
	s_waitcnt lgkmcnt(0)
	v_mfma_f32_16x16x16_bf16 a[0:3], v[36:37], v[2:3], a[0:3]
	v_mfma_f32_16x16x16_bf16 a[4:7], v[36:37], v[4:5], a[4:7]
	;; [unrolled: 1-line block ×4, first 2 shown]
	s_cbranch_vccz .LBB175_42
; %bb.32:
	v_lshlrev_b32_e32 v20, 1, v25
	s_and_b64 vcc, exec, s[6:7]
	s_cbranch_vccz .LBB175_43
; %bb.33:
	v_cmp_gt_i32_e32 vcc, s43, v20
	v_mov_b32_e32 v6, 0
	v_mov_b32_e32 v2, 0
	v_mov_b32_e32 v3, 0
	v_mov_b32_e32 v4, 0
	v_mov_b32_e32 v5, 0
	s_and_saveexec_b64 s[0:1], vcc
	s_cbranch_execz .LBB175_35
; %bb.34:
	v_mad_i64_i32 v[2:3], s[2:3], s19, v20, 0
	v_lshl_add_u64 v[2:3], v[2:3], 1, s[4:5]
	v_lshlrev_b32_e32 v4, 1, v18
	v_mov_b32_e32 v5, 0
	v_lshl_add_u64 v[2:3], v[2:3], 0, v[4:5]
	global_load_dwordx4 v[2:5], v[2:3], off
.LBB175_35:
	s_or_b64 exec, exec, s[0:1]
	v_or_b32_e32 v21, 1, v20
	v_cmp_gt_i32_e64 s[0:1], s43, v21
	v_mov_b32_e32 v7, 0
	v_mov_b32_e32 v8, 0
	v_mov_b32_e32 v9, 0
	s_and_saveexec_b64 s[2:3], s[0:1]
	s_cbranch_execz .LBB175_37
; %bb.36:
	v_mad_i64_i32 v[6:7], s[16:17], s19, v21, 0
	v_lshl_add_u64 v[6:7], v[6:7], 1, s[4:5]
	v_lshlrev_b32_e32 v8, 1, v18
	v_mov_b32_e32 v9, 0
	v_lshl_add_u64 v[6:7], v[6:7], 0, v[8:9]
	global_load_dwordx4 v[6:9], v[6:7], off
.LBB175_37:
	s_or_b64 exec, exec, s[2:3]
	v_mov_b32_e32 v17, 0
	v_mov_b32_e32 v10, 0
	;; [unrolled: 1-line block ×5, first 2 shown]
	s_and_saveexec_b64 s[2:3], vcc
	s_cbranch_execz .LBB175_39
; %bb.38:
	v_mad_i64_i32 v[10:11], s[16:17], s19, v20, 0
	v_lshl_add_u64 v[10:11], v[10:11], 1, s[4:5]
	v_lshlrev_b32_e32 v12, 1, v18
	v_mov_b32_e32 v13, 0
	v_lshl_add_u64 v[10:11], v[10:11], 0, v[12:13]
	global_load_dwordx4 v[10:13], v[10:11], off offset:128
.LBB175_39:
	s_or_b64 exec, exec, s[2:3]
	v_mov_b32_e32 v16, 0
	v_mov_b32_e32 v15, 0
	;; [unrolled: 1-line block ×3, first 2 shown]
	s_and_saveexec_b64 s[2:3], s[0:1]
	s_cbranch_execz .LBB175_41
; %bb.40:
	v_mad_i64_i32 v[14:15], s[0:1], s19, v21, 0
	v_lshl_add_u64 v[14:15], v[14:15], 1, s[4:5]
	v_lshlrev_b32_e32 v16, 1, v18
	v_mov_b32_e32 v17, 0
	v_lshl_add_u64 v[14:15], v[14:15], 0, v[16:17]
	global_load_dwordx4 v[14:17], v[14:15], off offset:128
.LBB175_41:
	s_or_b64 exec, exec, s[2:3]
	s_branch .LBB175_45
.LBB175_42:
                                        ; implicit-def: $vgpr5
                                        ; implicit-def: $vgpr9
                                        ; implicit-def: $vgpr13
                                        ; implicit-def: $vgpr17
	v_lshrrev_b32_e32 v34, 2, v75
	s_branch .LBB175_46
.LBB175_43:
                                        ; implicit-def: $vgpr5
                                        ; implicit-def: $vgpr9
                                        ; implicit-def: $vgpr13
                                        ; implicit-def: $vgpr17
	s_cbranch_execz .LBB175_45
; %bb.44:
	s_waitcnt vmcnt(0)
	v_mad_u64_u32 v[2:3], s[0:1], v20, s19, v[18:19]
	v_lshlrev_b32_e32 v20, 1, v2
	s_lshl_b32 s2, s19, 7
	s_and_b32 s1, s5, 0xffff
	s_mov_b32 s3, 0x20000
	s_mov_b32 s0, s4
	v_add_lshl_u32 v21, v2, s19, 1
	s_movk_i32 s13, 0x80
	buffer_load_dwordx4 v[2:5], v20, s[0:3], 0 offen
	buffer_load_dwordx4 v[10:13], v20, s[0:3], s13 offen
	;; [unrolled: 1-line block ×4, first 2 shown]
.LBB175_45:
	v_lshrrev_b32_e32 v34, 2, v75
	s_cbranch_execnz .LBB175_58
.LBB175_46:
	s_and_b64 vcc, exec, s[6:7]
	s_cbranch_vccz .LBB175_56
; %bb.47:
	s_waitcnt vmcnt(0)
	v_lshlrev_b32_e32 v7, 1, v25
	v_cmp_gt_i32_e32 vcc, s43, v7
	v_mov_b32_e32 v6, 0
	v_lshlrev_b32_e32 v14, 9, v25
	v_mov_b32_e32 v2, 0
	v_mov_b32_e32 v3, 0
	;; [unrolled: 1-line block ×4, first 2 shown]
	s_and_saveexec_b64 s[0:1], vcc
	s_cbranch_execz .LBB175_49
; %bb.48:
	v_mov_b32_e32 v15, 0
	v_lshl_add_u64 v[2:3], s[4:5], 0, v[14:15]
	v_lshlrev_b32_e32 v4, 1, v18
	v_mov_b32_e32 v5, v15
	v_lshl_add_u64 v[2:3], v[2:3], 0, v[4:5]
	global_load_dwordx4 v[2:5], v[2:3], off
.LBB175_49:
	s_or_b64 exec, exec, s[0:1]
	v_or_b32_e32 v7, 1, v7
	v_cmp_gt_i32_e64 s[0:1], s43, v7
	v_lshlrev_b32_e32 v20, 8, v7
	v_mov_b32_e32 v7, 0
	v_mov_b32_e32 v8, 0
	;; [unrolled: 1-line block ×3, first 2 shown]
	s_and_saveexec_b64 s[2:3], s[0:1]
	s_cbranch_execz .LBB175_51
; %bb.50:
	v_mov_b32_e32 v21, 0
	v_lshl_add_u64 v[6:7], s[4:5], 0, v[20:21]
	v_lshlrev_b32_e32 v8, 1, v18
	v_mov_b32_e32 v9, v21
	v_lshl_add_u64 v[6:7], v[6:7], 0, v[8:9]
	global_load_dwordx4 v[6:9], v[6:7], off
.LBB175_51:
	s_or_b64 exec, exec, s[2:3]
	v_mov_b32_e32 v17, 0
	v_mov_b32_e32 v10, 0
	;; [unrolled: 1-line block ×5, first 2 shown]
	s_and_saveexec_b64 s[2:3], vcc
	s_cbranch_execz .LBB175_53
; %bb.52:
	v_mov_b32_e32 v15, 0
	v_lshl_add_u64 v[10:11], s[4:5], 0, v[14:15]
	v_lshlrev_b32_e32 v14, 1, v18
	v_lshl_add_u64 v[10:11], v[10:11], 0, v[14:15]
	global_load_dwordx4 v[10:13], v[10:11], off offset:128
.LBB175_53:
	s_or_b64 exec, exec, s[2:3]
	v_mov_b32_e32 v16, 0
	v_mov_b32_e32 v15, 0
	;; [unrolled: 1-line block ×3, first 2 shown]
	s_and_saveexec_b64 s[2:3], s[0:1]
	s_cbranch_execz .LBB175_55
; %bb.54:
	v_mov_b32_e32 v21, 0
	v_lshl_add_u64 v[14:15], s[4:5], 0, v[20:21]
	v_lshlrev_b32_e32 v20, 1, v18
	v_lshl_add_u64 v[14:15], v[14:15], 0, v[20:21]
	global_load_dwordx4 v[14:17], v[14:15], off offset:128
.LBB175_55:
	s_or_b64 exec, exec, s[2:3]
	s_branch .LBB175_58
.LBB175_56:
                                        ; implicit-def: $vgpr5
                                        ; implicit-def: $vgpr9
                                        ; implicit-def: $vgpr13
                                        ; implicit-def: $vgpr17
	s_cbranch_execz .LBB175_58
; %bb.57:
	s_waitcnt vmcnt(0)
	v_lshlrev_b32_e32 v2, 1, v18
	v_lshl_or_b32 v18, v25, 9, v2
	s_and_b32 s5, s5, 0xffff
	s_mov_b32 s7, 0x20000
	s_movk_i32 s6, 0x4000
	s_movk_i32 s0, 0x80
	buffer_load_dwordx4 v[2:5], v18, s[4:7], 0 offen
	buffer_load_dwordx4 v[6:9], v18, s[4:7], 0 offen offset:256
	buffer_load_dwordx4 v[10:13], v18, s[4:7], s0 offen
	buffer_load_dwordx4 v[14:17], v18, s[4:7], s0 offen offset:256
.LBB175_58:
	ds_read_b64 v[20:21], v27 offset:57344
	v_add_u32_e32 v18, 0x6000, v26
	ds_read2_b64 v[36:39], v18 offset1:16
	ds_read_b64 v[52:53], v28 offset:57344
	ds_read_b64 v[28:29], v29 offset:57344
	;; [unrolled: 1-line block ×3, first 2 shown]
	ds_read2st64_b64 v[40:43], v26 offset0:52 offset1:56
	s_mov_b32 s0, 0x1000504
	s_mov_b32 s1, 0x3020706
	s_waitcnt lgkmcnt(4)
	v_mfma_f32_16x16x16_bf16 a[0:3], v[20:21], v[36:37], a[0:3]
	v_mfma_f32_16x16x16_bf16 a[4:7], v[20:21], v[38:39], a[4:7]
	ds_read2_b64 v[36:39], v18 offset0:32 offset1:48
	v_and_b32_e32 v18, 6, v0
	v_xor_b32_e32 v25, v25, v18
	s_waitcnt lgkmcnt(0)
	v_mfma_f32_16x16x16_bf16 a[8:11], v[20:21], v[36:37], a[8:11]
	v_lshlrev_b32_e32 v25, 2, v25
	v_and_b32_e32 v0, 1, v0
	v_xor_b32_e32 v35, 0x440, v25
	v_mfma_f32_16x16x16_bf16 a[12:15], v[20:21], v[38:39], a[12:15]
	ds_read2st64_b64 v[36:39], v31 offset0:52 offset1:56
	ds_read2st64_b64 v[44:47], v32 offset0:52 offset1:56
	;; [unrolled: 1-line block ×3, first 2 shown]
	v_cmp_eq_u32_e32 vcc, 0, v0
	ds_read_b64 v[20:21], v26 offset:30720
	ds_read_b64 v[26:27], v31 offset:30720
	;; [unrolled: 1-line block ×4, first 2 shown]
	v_mfma_f32_16x16x16_bf16 a[0:3], v[52:53], v[40:41], a[0:3]
	v_cndmask_b32_e32 v0, v35, v25, vcc
	v_lshl_or_b32 v0, v18, 10, v0
	s_waitcnt vmcnt(0)
	v_perm_b32 v18, v2, v6, s0
	s_waitcnt lgkmcnt(6)
	v_mfma_f32_16x16x16_bf16 a[4:7], v[52:53], v[36:37], a[4:7]
	v_perm_b32 v25, v10, v14, s0
	ds_write2st64_b32 v0, v18, v25 offset0:128 offset1:160
	v_xor_b32_e32 v18, 8, v0
	s_waitcnt lgkmcnt(6)
	v_mfma_f32_16x16x16_bf16 a[8:11], v[52:53], v[44:45], a[8:11]
	v_perm_b32 v2, v2, v6, s1
	v_perm_b32 v6, v10, v14, s1
	v_add_u32_e32 v10, 0x80, v18
	s_waitcnt lgkmcnt(5)
	v_mfma_f32_16x16x16_bf16 a[12:15], v[52:53], v[48:49], a[12:15]
	ds_write2st64_b32 v10, v2, v6 offset0:128 offset1:160
	v_xor_b32_e32 v2, 16, v0
	v_perm_b32 v6, v3, v7, s0
	v_mfma_f32_16x16x16_bf16 a[0:3], v[28:29], v[42:43], a[0:3]
	v_perm_b32 v10, v11, v15, s0
	ds_write2st64_b32 v2, v6, v10 offset0:129 offset1:161
	v_xor_b32_e32 v2, 24, v0
	v_mfma_f32_16x16x16_bf16 a[4:7], v[28:29], v[38:39], a[4:7]
	v_perm_b32 v3, v3, v7, s1
	v_perm_b32 v6, v11, v15, s1
	v_add_u32_e32 v2, 0x80, v2
	v_mfma_f32_16x16x16_bf16 a[16:19], v[28:29], v[46:47], a[8:11]
	ds_write2st64_b32 v2, v3, v6 offset0:129 offset1:161
	v_xor_b32_e32 v2, 32, v0
	v_perm_b32 v3, v4, v8, s0
	v_mfma_f32_16x16x16_bf16 a[20:23], v[28:29], v[50:51], a[12:15]
	v_perm_b32 v6, v12, v16, s0
	ds_write2st64_b32 v2, v3, v6 offset0:130 offset1:162
	v_xor_b32_e32 v2, 40, v0
	s_waitcnt lgkmcnt(8)
	v_mfma_f32_16x16x16_bf16 a[12:15], v[54:55], v[20:21], a[0:3]
	v_perm_b32 v3, v4, v8, s1
	v_perm_b32 v4, v12, v16, s1
	v_add_u32_e32 v2, 0x80, v2
	s_waitcnt lgkmcnt(7)
	v_mfma_f32_16x16x16_bf16 a[8:11], v[54:55], v[26:27], a[4:7]
	ds_write2st64_b32 v2, v3, v4 offset0:130 offset1:162
	v_xor_b32_e32 v2, 48, v0
	v_perm_b32 v3, v5, v9, s0
	s_waitcnt lgkmcnt(7)
	v_mfma_f32_16x16x16_bf16 a[4:7], v[54:55], v[30:31], a[16:19]
	v_perm_b32 v4, v13, v17, s0
	v_xor_b32_e32 v0, 56, v0
	v_and_or_b32 v21, v34, 12, v1
	s_waitcnt lgkmcnt(6)
	v_mfma_f32_16x16x16_bf16 a[0:3], v[54:55], v[32:33], a[20:23]
	ds_write2st64_b32 v2, v3, v4 offset0:131 offset1:163
	v_perm_b32 v2, v5, v9, s1
	v_perm_b32 v3, v13, v17, s1
	v_add_u32_e32 v0, 0x80, v0
	v_cmp_gt_i32_e32 vcc, s43, v21
	v_mov_b32_e32 v16, 0
	v_mov_b32_e32 v18, 0
	ds_write2st64_b32 v0, v2, v3 offset0:131 offset1:163
	s_and_saveexec_b64 s[0:1], vcc
	s_cbranch_execz .LBB175_60
; %bb.59:
	v_add_u32_e32 v0, s42, v21
	v_ashrrev_i32_e32 v1, 31, v0
	v_mul_lo_u32 v2, v1, s34
	v_mul_lo_u32 v3, v0, s35
	v_mad_u64_u32 v[0:1], s[2:3], v0, s34, 0
	v_add3_u32 v1, v1, v3, v2
	v_lshl_add_u64 v[0:1], v[0:1], 2, s[10:11]
	global_load_dword v0, v[0:1], off
	s_waitcnt vmcnt(0)
	v_sub_f32_e32 v0, s12, v0
	v_exp_f32_e32 v18, v0
.LBB175_60:
	s_or_b64 exec, exec, s[0:1]
	v_or_b32_e32 v10, 1, v21
	v_cmp_gt_i32_e64 s[2:3], s43, v10
	s_and_saveexec_b64 s[0:1], s[2:3]
	s_cbranch_execz .LBB175_62
; %bb.61:
	v_add_u32_e32 v0, s42, v10
	v_ashrrev_i32_e32 v1, 31, v0
	v_mul_lo_u32 v2, v1, s34
	v_mul_lo_u32 v3, v0, s35
	v_mad_u64_u32 v[0:1], s[4:5], v0, s34, 0
	v_add3_u32 v1, v1, v3, v2
	v_lshl_add_u64 v[0:1], v[0:1], 2, s[10:11]
	global_load_dword v0, v[0:1], off
	s_waitcnt vmcnt(0)
	v_sub_f32_e32 v0, s12, v0
	v_exp_f32_e32 v16, v0
.LBB175_62:
	s_or_b64 exec, exec, s[0:1]
	v_or_b32_e32 v12, 2, v21
	v_cmp_gt_i32_e64 s[0:1], s43, v12
	v_mov_b32_e32 v17, 0
	v_mov_b32_e32 v20, 0
	s_and_saveexec_b64 s[4:5], s[0:1]
	s_cbranch_execz .LBB175_64
; %bb.63:
	v_add_u32_e32 v0, s42, v12
	v_ashrrev_i32_e32 v1, 31, v0
	v_mul_lo_u32 v2, v1, s34
	v_mul_lo_u32 v3, v0, s35
	v_mad_u64_u32 v[0:1], s[6:7], v0, s34, 0
	v_add3_u32 v1, v1, v3, v2
	v_lshl_add_u64 v[0:1], v[0:1], 2, s[10:11]
	global_load_dword v0, v[0:1], off
	s_waitcnt vmcnt(0)
	v_sub_f32_e32 v0, s12, v0
	v_exp_f32_e32 v20, v0
.LBB175_64:
	s_or_b64 exec, exec, s[4:5]
	v_or_b32_e32 v14, 3, v21
	v_cmp_gt_i32_e64 s[4:5], s43, v14
	s_and_saveexec_b64 s[6:7], s[4:5]
	s_cbranch_execz .LBB175_66
; %bb.65:
	v_add_u32_e32 v0, s42, v14
	v_ashrrev_i32_e32 v1, 31, v0
	v_mul_lo_u32 v2, v1, s34
	v_mul_lo_u32 v3, v0, s35
	v_mad_u64_u32 v[0:1], s[16:17], v0, s34, 0
	v_add3_u32 v1, v1, v3, v2
	v_lshl_add_u64 v[0:1], v[0:1], 2, s[10:11]
	global_load_dword v0, v[0:1], off
	s_waitcnt vmcnt(0)
	v_sub_f32_e32 v0, s12, v0
	v_exp_f32_e32 v17, v0
.LBB175_66:
	s_or_b64 exec, exec, s[6:7]
	s_add_u32 s6, s8, s28
	v_or_b32_e32 v4, s36, v74
	s_addc_u32 s7, s9, s29
	s_add_u32 s8, s14, s28
	v_ashrrev_i32_e32 v5, 31, v4
	v_accvgpr_read_b32 v0, a12
	s_addc_u32 s9, s15, s29
	v_lshlrev_b64 v[4:5], 1, v[4:5]
	v_accvgpr_read_b32 v1, a13
	v_accvgpr_read_b32 v2, a14
	;; [unrolled: 1-line block ×3, first 2 shown]
	v_lshl_add_u64 v[6:7], s[6:7], 0, v[4:5]
	v_lshl_add_u64 v[4:5], s[8:9], 0, v[4:5]
	v_mov_b32_e32 v11, 0
	v_lshlrev_b32_e32 v8, 8, v21
	v_mov_b32_e32 v9, 0
	s_and_saveexec_b64 s[6:7], vcc
	s_cbranch_execz .LBB175_68
; %bb.67:
	v_mov_b32_e32 v9, 0
	v_lshl_add_u64 v[26:27], v[6:7], 0, v[8:9]
	global_load_ushort v13, v[26:27], off
	v_lshl_add_u64 v[26:27], v[4:5], 0, v[8:9]
	s_waitcnt vmcnt(0)
	v_lshlrev_b32_e32 v9, 16, v13
	v_sub_f32_e32 v0, v9, v0
	global_store_short_d16_hi v[26:27], v0, off
	v_mul_f32_e32 v0, v18, v0
	v_lshrrev_b32_e32 v9, 16, v0
.LBB175_68:
	s_or_b64 exec, exec, s[6:7]
	v_lshlrev_b32_e32 v10, 8, v10
	s_and_saveexec_b64 s[6:7], s[2:3]
	s_cbranch_execz .LBB175_70
; %bb.69:
	v_mov_b32_e32 v11, 0
	v_lshl_add_u64 v[26:27], v[6:7], 0, v[10:11]
	global_load_ushort v0, v[26:27], off
	v_lshl_add_u64 v[26:27], v[4:5], 0, v[10:11]
	s_waitcnt vmcnt(0)
	v_lshlrev_b32_e32 v0, 16, v0
	v_sub_f32_e32 v0, v0, v1
	global_store_short_d16_hi v[26:27], v0, off
	v_mul_f32_e32 v0, v16, v0
	v_lshrrev_b32_e32 v11, 16, v0
.LBB175_70:
	s_or_b64 exec, exec, s[6:7]
	v_mov_b32_e32 v15, 0
	v_lshlrev_b32_e32 v12, 8, v12
	v_mov_b32_e32 v13, 0
	s_and_saveexec_b64 s[6:7], s[0:1]
	s_cbranch_execz .LBB175_72
; %bb.71:
	v_mov_b32_e32 v13, 0
	v_lshl_add_u64 v[0:1], v[6:7], 0, v[12:13]
	global_load_ushort v25, v[0:1], off
	v_lshl_add_u64 v[0:1], v[4:5], 0, v[12:13]
	s_waitcnt vmcnt(0)
	v_lshlrev_b32_e32 v13, 16, v25
	v_sub_f32_e32 v2, v13, v2
	global_store_short_d16_hi v[0:1], v2, off
	v_mul_f32_e32 v0, v20, v2
	v_lshrrev_b32_e32 v13, 16, v0
.LBB175_72:
	s_or_b64 exec, exec, s[6:7]
	v_lshlrev_b32_e32 v14, 8, v14
	s_and_saveexec_b64 s[6:7], s[4:5]
	s_cbranch_execz .LBB175_74
; %bb.73:
	v_mov_b32_e32 v15, 0
	v_lshl_add_u64 v[0:1], v[6:7], 0, v[14:15]
	global_load_ushort v2, v[0:1], off
	v_lshl_add_u64 v[0:1], v[4:5], 0, v[14:15]
	s_waitcnt vmcnt(0)
	v_lshlrev_b32_e32 v2, 16, v2
	v_sub_f32_e32 v2, v2, v3
	global_store_short_d16_hi v[0:1], v2, off
	v_mul_f32_e32 v0, v17, v2
	v_lshrrev_b32_e32 v15, 16, v0
.LBB175_74:
	s_or_b64 exec, exec, s[6:7]
	v_lshlrev_b32_e32 v21, 6, v21
	s_mov_b32 s6, 0x5040100
	v_perm_b32 v26, v11, v9, s6
	v_or_b32_e32 v9, v21, v24
	v_accvgpr_read_b32 v0, a8
	v_perm_b32 v27, v15, v13, s6
	v_lshlrev_b32_e32 v9, 1, v9
	v_accvgpr_read_b32 v1, a9
	v_accvgpr_read_b32 v2, a10
	;; [unrolled: 1-line block ×3, first 2 shown]
	ds_write_b64 v9, v[26:27] offset:24576
	v_mov_b32_e32 v11, 0
	v_mov_b32_e32 v9, 0
	s_and_saveexec_b64 s[6:7], vcc
	s_cbranch_execz .LBB175_76
; %bb.75:
	v_mov_b32_e32 v9, 0
	v_lshl_add_u64 v[24:25], v[6:7], 0, v[8:9]
	global_load_ushort v13, v[24:25], off offset:32
	v_lshl_add_u64 v[24:25], v[4:5], 0, v[8:9]
	s_waitcnt vmcnt(0)
	v_lshlrev_b32_e32 v9, 16, v13
	v_sub_f32_e32 v0, v9, v0
	global_store_short_d16_hi v[24:25], v0, off offset:32
	v_mul_f32_e32 v0, v18, v0
	v_lshrrev_b32_e32 v9, 16, v0
.LBB175_76:
	s_or_b64 exec, exec, s[6:7]
	s_and_saveexec_b64 s[6:7], s[2:3]
	s_cbranch_execz .LBB175_78
; %bb.77:
	v_mov_b32_e32 v11, 0
	v_lshl_add_u64 v[24:25], v[6:7], 0, v[10:11]
	global_load_ushort v0, v[24:25], off offset:32
	v_lshl_add_u64 v[24:25], v[4:5], 0, v[10:11]
	s_waitcnt vmcnt(0)
	v_lshlrev_b32_e32 v0, 16, v0
	v_sub_f32_e32 v0, v0, v1
	global_store_short_d16_hi v[24:25], v0, off offset:32
	v_mul_f32_e32 v0, v16, v0
	v_lshrrev_b32_e32 v11, 16, v0
.LBB175_78:
	s_or_b64 exec, exec, s[6:7]
	v_mov_b32_e32 v15, 0
	v_mov_b32_e32 v13, 0
	s_and_saveexec_b64 s[6:7], s[0:1]
	s_cbranch_execz .LBB175_80
; %bb.79:
	v_mov_b32_e32 v13, 0
	v_lshl_add_u64 v[0:1], v[6:7], 0, v[12:13]
	global_load_ushort v24, v[0:1], off offset:32
	v_lshl_add_u64 v[0:1], v[4:5], 0, v[12:13]
	s_waitcnt vmcnt(0)
	v_lshlrev_b32_e32 v13, 16, v24
	v_sub_f32_e32 v2, v13, v2
	global_store_short_d16_hi v[0:1], v2, off offset:32
	v_mul_f32_e32 v0, v20, v2
	v_lshrrev_b32_e32 v13, 16, v0
.LBB175_80:
	s_or_b64 exec, exec, s[6:7]
	s_and_saveexec_b64 s[6:7], s[4:5]
	s_cbranch_execz .LBB175_82
; %bb.81:
	v_mov_b32_e32 v15, 0
	v_lshl_add_u64 v[0:1], v[6:7], 0, v[14:15]
	global_load_ushort v2, v[0:1], off offset:32
	v_lshl_add_u64 v[0:1], v[4:5], 0, v[14:15]
	s_waitcnt vmcnt(0)
	v_lshlrev_b32_e32 v2, 16, v2
	v_sub_f32_e32 v2, v2, v3
	global_store_short_d16_hi v[0:1], v2, off offset:32
	v_mul_f32_e32 v0, v17, v2
	v_lshrrev_b32_e32 v15, 16, v0
.LBB175_82:
	s_or_b64 exec, exec, s[6:7]
	s_mov_b32 s6, 0x5040100
	v_perm_b32 v24, v11, v9, s6
	v_or_b32_e32 v9, v21, v23
	v_accvgpr_read_b32 v0, a4
	v_perm_b32 v25, v15, v13, s6
	v_lshlrev_b32_e32 v9, 1, v9
	v_accvgpr_read_b32 v1, a5
	v_accvgpr_read_b32 v2, a6
	;; [unrolled: 1-line block ×3, first 2 shown]
	ds_write_b64 v9, v[24:25] offset:24576
	v_mov_b32_e32 v11, 0
	v_mov_b32_e32 v9, 0
	s_and_saveexec_b64 s[6:7], vcc
	s_cbranch_execz .LBB175_84
; %bb.83:
	v_mov_b32_e32 v9, 0
	v_lshl_add_u64 v[24:25], v[6:7], 0, v[8:9]
	global_load_ushort v13, v[24:25], off offset:64
	v_lshl_add_u64 v[24:25], v[4:5], 0, v[8:9]
	s_waitcnt vmcnt(0)
	v_lshlrev_b32_e32 v9, 16, v13
	v_sub_f32_e32 v0, v9, v0
	global_store_short_d16_hi v[24:25], v0, off offset:64
	v_mul_f32_e32 v0, v18, v0
	v_lshrrev_b32_e32 v9, 16, v0
.LBB175_84:
	s_or_b64 exec, exec, s[6:7]
	s_and_saveexec_b64 s[6:7], s[2:3]
	s_cbranch_execz .LBB175_86
; %bb.85:
	v_mov_b32_e32 v11, 0
	v_lshl_add_u64 v[24:25], v[6:7], 0, v[10:11]
	global_load_ushort v0, v[24:25], off offset:64
	v_lshl_add_u64 v[24:25], v[4:5], 0, v[10:11]
	s_waitcnt vmcnt(0)
	v_lshlrev_b32_e32 v0, 16, v0
	v_sub_f32_e32 v0, v0, v1
	global_store_short_d16_hi v[24:25], v0, off offset:64
	v_mul_f32_e32 v0, v16, v0
	v_lshrrev_b32_e32 v11, 16, v0
.LBB175_86:
	s_or_b64 exec, exec, s[6:7]
	v_mov_b32_e32 v15, 0
	v_mov_b32_e32 v13, 0
	s_and_saveexec_b64 s[6:7], s[0:1]
	s_cbranch_execz .LBB175_88
; %bb.87:
	v_mov_b32_e32 v13, 0
	v_lshl_add_u64 v[0:1], v[6:7], 0, v[12:13]
	global_load_ushort v23, v[0:1], off offset:64
	v_lshl_add_u64 v[0:1], v[4:5], 0, v[12:13]
	s_waitcnt vmcnt(0)
	v_lshlrev_b32_e32 v13, 16, v23
	v_sub_f32_e32 v2, v13, v2
	global_store_short_d16_hi v[0:1], v2, off offset:64
	v_mul_f32_e32 v0, v20, v2
	v_lshrrev_b32_e32 v13, 16, v0
.LBB175_88:
	s_or_b64 exec, exec, s[6:7]
	s_and_saveexec_b64 s[6:7], s[4:5]
	s_cbranch_execz .LBB175_90
; %bb.89:
	v_mov_b32_e32 v15, 0
	v_lshl_add_u64 v[0:1], v[6:7], 0, v[14:15]
	global_load_ushort v2, v[0:1], off offset:64
	v_lshl_add_u64 v[0:1], v[4:5], 0, v[14:15]
	s_waitcnt vmcnt(0)
	v_lshlrev_b32_e32 v2, 16, v2
	v_sub_f32_e32 v2, v2, v3
	global_store_short_d16_hi v[0:1], v2, off offset:64
	v_mul_f32_e32 v0, v17, v2
	v_lshrrev_b32_e32 v15, 16, v0
.LBB175_90:
	s_or_b64 exec, exec, s[6:7]
	s_mov_b32 s6, 0x5040100
	v_perm_b32 v24, v11, v9, s6
	v_or_b32_e32 v9, v21, v22
	v_accvgpr_read_b32 v0, a0
	v_perm_b32 v25, v15, v13, s6
	v_lshlrev_b32_e32 v9, 1, v9
	v_accvgpr_read_b32 v1, a1
	v_accvgpr_read_b32 v2, a2
	v_accvgpr_read_b32 v3, a3
	ds_write_b64 v9, v[24:25] offset:24576
	v_mov_b32_e32 v11, 0
	v_mov_b32_e32 v9, 0
	s_and_saveexec_b64 s[6:7], vcc
	s_cbranch_execz .LBB175_92
; %bb.91:
	v_mov_b32_e32 v9, 0
	v_lshl_add_u64 v[22:23], v[6:7], 0, v[8:9]
	global_load_ushort v13, v[22:23], off offset:96
	v_lshl_add_u64 v[8:9], v[4:5], 0, v[8:9]
	s_waitcnt vmcnt(0)
	v_lshlrev_b32_e32 v13, 16, v13
	v_sub_f32_e32 v0, v13, v0
	global_store_short_d16_hi v[8:9], v0, off offset:96
	v_mul_f32_e32 v0, v18, v0
	v_lshrrev_b32_e32 v9, 16, v0
.LBB175_92:
	s_or_b64 exec, exec, s[6:7]
	s_and_saveexec_b64 s[6:7], s[2:3]
	s_cbranch_execz .LBB175_94
; %bb.93:
	v_mov_b32_e32 v11, 0
	v_lshl_add_u64 v[22:23], v[6:7], 0, v[10:11]
	global_load_ushort v0, v[22:23], off offset:96
	v_lshl_add_u64 v[10:11], v[4:5], 0, v[10:11]
	s_waitcnt vmcnt(0)
	v_lshlrev_b32_e32 v0, 16, v0
	v_sub_f32_e32 v0, v0, v1
	global_store_short_d16_hi v[10:11], v0, off offset:96
	v_mul_f32_e32 v0, v16, v0
	v_lshrrev_b32_e32 v11, 16, v0
.LBB175_94:
	s_or_b64 exec, exec, s[6:7]
	v_mov_b32_e32 v0, 0
	v_mov_b32_e32 v1, 0
	s_and_saveexec_b64 s[2:3], s[0:1]
	s_cbranch_execz .LBB175_96
; %bb.95:
	v_mov_b32_e32 v13, 0
	v_lshl_add_u64 v[22:23], v[6:7], 0, v[12:13]
	global_load_ushort v1, v[22:23], off offset:96
	v_lshl_add_u64 v[12:13], v[4:5], 0, v[12:13]
	s_waitcnt vmcnt(0)
	v_lshlrev_b32_e32 v1, 16, v1
	v_sub_f32_e32 v1, v1, v2
	global_store_short_d16_hi v[12:13], v1, off offset:96
	v_mul_f32_e32 v1, v20, v1
	v_lshrrev_b32_e32 v1, 16, v1
.LBB175_96:
	s_or_b64 exec, exec, s[2:3]
	s_and_saveexec_b64 s[0:1], s[4:5]
	s_cbranch_execz .LBB175_98
; %bb.97:
	v_mov_b32_e32 v15, 0
	v_lshl_add_u64 v[6:7], v[6:7], 0, v[14:15]
	global_load_ushort v0, v[6:7], off offset:96
	v_lshl_add_u64 v[4:5], v[4:5], 0, v[14:15]
	s_waitcnt vmcnt(0)
	v_lshlrev_b32_e32 v0, 16, v0
	v_sub_f32_e32 v0, v0, v3
	global_store_short_d16_hi v[4:5], v0, off offset:96
	v_mul_f32_e32 v0, v17, v0
	v_lshrrev_b32_e32 v0, 16, v0
.LBB175_98:
	s_or_b64 exec, exec, s[0:1]
	s_mov_b32 s0, 0x5040100
	v_or_b32_e32 v2, v21, v19
	v_perm_b32 v1, v0, v1, s0
	v_perm_b32 v0, v11, v9, s0
	v_lshlrev_b32_e32 v2, 1, v2
	ds_write_b64 v2, v[0:1] offset:24576
	s_waitcnt lgkmcnt(0)
	s_barrier
.LBB175_99:
	s_endpgm
	.section	.rodata,"a",@progbits
	.p2align	6, 0x0
	.amdhsa_kernel _ZN12_GLOBAL__N_139chunk_gated_delta_rule_fwd_h_hip_kernelILi64ELb0ELb0ELb1ELb0ELb1ELb0ELb1ELb0EEEvPK12hip_bfloat16S3_S3_PKfS5_PKvPS1_S8_PvPKiSB_iiiiilll
		.amdhsa_group_segment_fixed_size 65536
		.amdhsa_private_segment_fixed_size 0
		.amdhsa_kernarg_size 136
		.amdhsa_user_sgpr_count 2
		.amdhsa_user_sgpr_dispatch_ptr 0
		.amdhsa_user_sgpr_queue_ptr 0
		.amdhsa_user_sgpr_kernarg_segment_ptr 1
		.amdhsa_user_sgpr_dispatch_id 0
		.amdhsa_user_sgpr_kernarg_preload_length 0
		.amdhsa_user_sgpr_kernarg_preload_offset 0
		.amdhsa_user_sgpr_private_segment_size 0
		.amdhsa_uses_dynamic_stack 0
		.amdhsa_enable_private_segment 0
		.amdhsa_system_sgpr_workgroup_id_x 1
		.amdhsa_system_sgpr_workgroup_id_y 1
		.amdhsa_system_sgpr_workgroup_id_z 0
		.amdhsa_system_sgpr_workgroup_info 0
		.amdhsa_system_vgpr_workitem_id 0
		.amdhsa_next_free_vgpr 216
		.amdhsa_next_free_sgpr 65
		.amdhsa_accum_offset 180
		.amdhsa_reserve_vcc 1
		.amdhsa_float_round_mode_32 0
		.amdhsa_float_round_mode_16_64 0
		.amdhsa_float_denorm_mode_32 3
		.amdhsa_float_denorm_mode_16_64 3
		.amdhsa_dx10_clamp 1
		.amdhsa_ieee_mode 1
		.amdhsa_fp16_overflow 0
		.amdhsa_tg_split 0
		.amdhsa_exception_fp_ieee_invalid_op 0
		.amdhsa_exception_fp_denorm_src 0
		.amdhsa_exception_fp_ieee_div_zero 0
		.amdhsa_exception_fp_ieee_overflow 0
		.amdhsa_exception_fp_ieee_underflow 0
		.amdhsa_exception_fp_ieee_inexact 0
		.amdhsa_exception_int_div_zero 0
	.end_amdhsa_kernel
	.section	.text._ZN12_GLOBAL__N_139chunk_gated_delta_rule_fwd_h_hip_kernelILi64ELb0ELb0ELb1ELb0ELb1ELb0ELb1ELb0EEEvPK12hip_bfloat16S3_S3_PKfS5_PKvPS1_S8_PvPKiSB_iiiiilll,"axG",@progbits,_ZN12_GLOBAL__N_139chunk_gated_delta_rule_fwd_h_hip_kernelILi64ELb0ELb0ELb1ELb0ELb1ELb0ELb1ELb0EEEvPK12hip_bfloat16S3_S3_PKfS5_PKvPS1_S8_PvPKiSB_iiiiilll,comdat
.Lfunc_end175:
	.size	_ZN12_GLOBAL__N_139chunk_gated_delta_rule_fwd_h_hip_kernelILi64ELb0ELb0ELb1ELb0ELb1ELb0ELb1ELb0EEEvPK12hip_bfloat16S3_S3_PKfS5_PKvPS1_S8_PvPKiSB_iiiiilll, .Lfunc_end175-_ZN12_GLOBAL__N_139chunk_gated_delta_rule_fwd_h_hip_kernelILi64ELb0ELb0ELb1ELb0ELb1ELb0ELb1ELb0EEEvPK12hip_bfloat16S3_S3_PKfS5_PKvPS1_S8_PvPKiSB_iiiiilll
                                        ; -- End function
	.section	.AMDGPU.csdata,"",@progbits
; Kernel info:
; codeLenInByte = 11252
; NumSgprs: 71
; NumVgprs: 180
; NumAgprs: 36
; TotalNumVgprs: 216
; ScratchSize: 0
; MemoryBound: 0
; FloatMode: 240
; IeeeMode: 1
; LDSByteSize: 65536 bytes/workgroup (compile time only)
; SGPRBlocks: 8
; VGPRBlocks: 26
; NumSGPRsForWavesPerEU: 71
; NumVGPRsForWavesPerEU: 216
; AccumOffset: 180
; Occupancy: 1
; WaveLimiterHint : 1
; COMPUTE_PGM_RSRC2:SCRATCH_EN: 0
; COMPUTE_PGM_RSRC2:USER_SGPR: 2
; COMPUTE_PGM_RSRC2:TRAP_HANDLER: 0
; COMPUTE_PGM_RSRC2:TGID_X_EN: 1
; COMPUTE_PGM_RSRC2:TGID_Y_EN: 1
; COMPUTE_PGM_RSRC2:TGID_Z_EN: 0
; COMPUTE_PGM_RSRC2:TIDIG_COMP_CNT: 0
; COMPUTE_PGM_RSRC3_GFX90A:ACCUM_OFFSET: 44
; COMPUTE_PGM_RSRC3_GFX90A:TG_SPLIT: 0
	.section	.text._ZN12_GLOBAL__N_139chunk_gated_delta_rule_fwd_h_hip_kernelILi64ELb0ELb0ELb0ELb0ELb1ELb0ELb1ELb0EEEvPK12hip_bfloat16S3_S3_PKfS5_PKvPS1_S8_PvPKiSB_iiiiilll,"axG",@progbits,_ZN12_GLOBAL__N_139chunk_gated_delta_rule_fwd_h_hip_kernelILi64ELb0ELb0ELb0ELb0ELb1ELb0ELb1ELb0EEEvPK12hip_bfloat16S3_S3_PKfS5_PKvPS1_S8_PvPKiSB_iiiiilll,comdat
	.globl	_ZN12_GLOBAL__N_139chunk_gated_delta_rule_fwd_h_hip_kernelILi64ELb0ELb0ELb0ELb0ELb1ELb0ELb1ELb0EEEvPK12hip_bfloat16S3_S3_PKfS5_PKvPS1_S8_PvPKiSB_iiiiilll ; -- Begin function _ZN12_GLOBAL__N_139chunk_gated_delta_rule_fwd_h_hip_kernelILi64ELb0ELb0ELb0ELb0ELb1ELb0ELb1ELb0EEEvPK12hip_bfloat16S3_S3_PKfS5_PKvPS1_S8_PvPKiSB_iiiiilll
	.p2align	8
	.type	_ZN12_GLOBAL__N_139chunk_gated_delta_rule_fwd_h_hip_kernelILi64ELb0ELb0ELb0ELb0ELb1ELb0ELb1ELb0EEEvPK12hip_bfloat16S3_S3_PKfS5_PKvPS1_S8_PvPKiSB_iiiiilll,@function
_ZN12_GLOBAL__N_139chunk_gated_delta_rule_fwd_h_hip_kernelILi64ELb0ELb0ELb0ELb0ELb1ELb0ELb1ELb0EEEvPK12hip_bfloat16S3_S3_PKfS5_PKvPS1_S8_PvPKiSB_iiiiilll: ; @_ZN12_GLOBAL__N_139chunk_gated_delta_rule_fwd_h_hip_kernelILi64ELb0ELb0ELb0ELb0ELb1ELb0ELb1ELb0EEEvPK12hip_bfloat16S3_S3_PKfS5_PKvPS1_S8_PvPKiSB_iiiiilll
; %bb.0:
	s_load_dwordx4 s[12:15], s[0:1], 0x5c
	s_load_dwordx2 s[36:37], s[0:1], 0x30
	s_abs_i32 s18, s3
	s_ashr_i32 s17, s3, 31
	s_load_dwordx8 s[4:11], s[0:1], 0x0
	s_waitcnt lgkmcnt(0)
	s_abs_i32 s16, s13
	v_cvt_f32_u32_e32 v1, s16
	s_sub_i32 s20, 0, s16
	s_ashr_i32 s19, s13, 31
	s_xor_b32 s17, s17, s19
	v_rcp_iflag_f32_e32 v1, v1
	v_lshrrev_b32_e32 v74, 6, v0
	v_bfe_u32 v75, v0, 4, 2
	v_lshlrev_b32_e32 v2, 2, v75
	v_mul_f32_e32 v1, 0x4f7ffffe, v1
	v_cvt_u32_f32_e32 v1, v1
	v_and_b32_e32 v73, 63, v0
	v_mov_b32_e32 v35, 0
	v_and_b32_e32 v72, 15, v0
	v_readfirstlane_b32 s21, v1
	s_mul_i32 s20, s20, s21
	s_mul_hi_u32 s20, s21, s20
	s_add_i32 s21, s21, s20
	s_mul_hi_u32 s20, s18, s21
	s_mul_i32 s21, s20, s16
	s_sub_i32 s18, s18, s21
	s_add_i32 s22, s20, 1
	s_sub_i32 s21, s18, s16
	s_cmp_ge_u32 s18, s16
	s_cselect_b32 s20, s22, s20
	s_cselect_b32 s18, s21, s18
	s_add_i32 s21, s20, 1
	s_cmp_ge_u32 s18, s16
	s_cselect_b32 s18, s21, s20
	s_xor_b32 s18, s18, s17
	s_sub_i32 s45, s18, s17
	s_abs_i32 s17, s14
	v_cvt_f32_u32_e32 v1, s17
	s_add_i32 s20, s12, 63
	s_mul_i32 s43, s45, s13
	s_sub_i32 s33, s3, s43
	v_rcp_iflag_f32_e32 v1, v1
	s_ashr_i32 s3, s20, 31
	s_ashr_i32 s44, s12, 31
	s_lshr_b32 s3, s3, 26
	v_mul_f32_e32 v1, 0x4f7ffffe, v1
	v_cvt_u32_f32_e32 v1, v1
	s_lshr_b32 s18, s44, 26
	s_add_i32 s20, s20, s3
	s_add_i32 s18, s12, s18
	s_ashr_i32 s47, s14, 31
	s_ashr_i32 s3, s20, 6
	;; [unrolled: 1-line block ×3, first 2 shown]
	s_xor_b32 s18, s19, s47
	s_sub_i32 s19, 0, s17
	v_readfirstlane_b32 s20, v1
	s_mul_i32 s19, s19, s20
	s_mul_hi_u32 s19, s20, s19
	s_add_i32 s20, s20, s19
	s_mul_hi_u32 s19, s16, s20
	s_mul_i32 s20, s19, s17
	s_sub_i32 s16, s16, s20
	s_add_i32 s20, s19, 1
	s_sub_i32 s21, s16, s17
	s_cmp_ge_u32 s16, s17
	s_cselect_b32 s19, s20, s19
	s_cselect_b32 s16, s21, s16
	s_add_i32 s20, s19, 1
	s_cmp_ge_u32 s16, s17
	s_cselect_b32 s16, s20, s19
	s_xor_b32 s16, s16, s18
	s_sub_i32 s20, s16, s18
	s_abs_i32 s21, s20
	v_cvt_f32_u32_e32 v1, s21
	s_load_dwordx2 s[28:29], s[0:1], 0x80
	s_load_dwordx4 s[16:19], s[0:1], 0x70
	s_xor_b32 s0, s33, s20
	s_sub_i32 s20, 0, s21
	v_rcp_iflag_f32_e32 v1, v1
	s_abs_i32 s1, s33
	s_ashr_i32 s0, s0, 31
	s_mul_i32 s48, s45, s3
	v_mul_f32_e32 v1, 0x4f7ffffe, v1
	v_cvt_u32_f32_e32 v1, v1
	s_mul_hi_i32 s49, s45, s13
	v_lshrrev_b32_e32 v77, 3, v73
	v_lshlrev_b32_e32 v76, 3, v0
	v_readfirstlane_b32 s22, v1
	s_mul_i32 s20, s20, s22
	s_mul_hi_u32 s20, s22, s20
	s_add_i32 s22, s22, s20
	s_mul_hi_u32 s20, s1, s22
	s_mul_i32 s22, s20, s21
	s_sub_i32 s1, s1, s22
	s_add_i32 s22, s20, 1
	s_sub_i32 s23, s1, s21
	s_cmp_ge_u32 s1, s21
	s_cselect_b32 s20, s22, s20
	s_cselect_b32 s1, s23, s1
	s_add_i32 s22, s20, 1
	s_cmp_ge_u32 s1, s21
	s_cselect_b32 s1, s22, s20
	s_xor_b32 s1, s1, s0
	v_lshlrev_b32_e32 v1, 4, v74
	s_sub_i32 s50, s1, s0
	v_or_b32_e32 v78, v2, v1
	s_lshl_b32 s30, s2, 6
	v_or_b32_e32 v79, 64, v78
	s_cmp_lt_i32 s12, 64
	s_waitcnt lgkmcnt(0)
	s_mul_i32 s17, s45, s17
	s_mul_hi_u32 s42, s45, s16
	s_mul_i32 s34, s45, s16
	v_mov_b32_e32 v34, v35
	v_mov_b32_e32 v41, v35
	;; [unrolled: 1-line block ×31, first 2 shown]
	s_cbranch_scc1 .LBB176_18
; %bb.1:
	s_ashr_i32 s24, s45, 31
	s_ashr_i32 s52, s33, 31
	s_add_u32 s0, s43, s33
	s_addc_u32 s1, s49, s52
	s_mul_i32 s1, s12, s1
	s_mul_hi_u32 s2, s12, s0
	s_add_i32 s3, s2, s1
	s_mul_i32 s2, s12, s0
	s_lshl_b64 s[0:1], s[2:3], 8
	v_and_b32_e32 v81, 56, v76
	s_add_u32 s20, s6, s0
	v_lshl_or_b32 v80, v74, 3, v77
	v_lshlrev_b32_e32 v3, 1, v81
	s_addc_u32 s0, s7, s1
	v_lshl_or_b32 v82, v80, 8, v3
	s_and_b32 s21, s0, 0xffff
	s_mov_b32 s23, 0x20000
	s_movk_i32 s22, 0x4000
	s_movk_i32 s0, 0x80
	v_or_b32_e32 v83, 0x2000, v82
	buffer_load_dwordx4 v[4:7], v82, s[20:23], 0 offen
	buffer_load_dwordx4 v[8:11], v82, s[20:23], s0 offen
	;; [unrolled: 1-line block ×4, first 2 shown]
	v_lshlrev_b32_e32 v20, 3, v80
	v_and_or_b32 v22, v0, 7, v20
	v_and_b32_e32 v20, 0x78, v20
	v_lshlrev_b32_e32 v22, 4, v22
	v_xor_b32_e32 v84, v22, v20
	v_mul_lo_u32 v21, v80, s15
	v_or_b32_e32 v85, 0x1000, v84
	s_cmpk_eq_i32 s15, 0x80
	s_mov_b32 s51, s14
	v_xor_b32_e32 v20, 8, v84
	v_xor_b32_e32 v22, 8, v85
	s_cselect_b64 s[0:1], -1, 0
	s_cmpk_lg_i32 s15, 0x80
	s_waitcnt vmcnt(3)
	ds_write_b64 v84, v[4:5] offset:49152
	ds_write_b64 v20, v[6:7] offset:49152
	s_waitcnt vmcnt(2)
	ds_write_b64 v84, v[8:9] offset:57344
	ds_write_b64 v20, v[10:11] offset:57344
	;; [unrolled: 3-line block ×4, first 2 shown]
	v_lshl_add_u32 v4, v21, 1, v81
	s_cbranch_scc0 .LBB176_3
; %bb.2:
	v_lshlrev_b32_e32 v6, 1, v4
	v_add_lshl_u32 v5, v4, s15, 1
	s_lshl_b32 s22, s15, 7
	v_lshl_or_b32 v3, v80, 9, v3
	s_cbranch_execz .LBB176_4
	s_branch .LBB176_5
.LBB176_3:
                                        ; implicit-def: $vgpr5
                                        ; implicit-def: $vgpr6
                                        ; implicit-def: $sgpr22
	v_lshl_or_b32 v3, v80, 9, v3
.LBB176_4:
	v_or_b32_e32 v5, 0x100, v3
	s_movk_i32 s22, 0x4000
	v_mov_b32_e32 v6, v3
.LBB176_5:
	s_mul_hi_u32 s20, s14, s12
	s_mul_i32 s21, s47, s12
	s_add_i32 s20, s20, s21
	s_mul_i32 s21, s14, s12
	s_mul_i32 s23, s21, s24
	s_mul_hi_u32 s25, s21, s45
	s_add_i32 s23, s25, s23
	s_mul_i32 s20, s20, s45
	s_add_i32 s23, s23, s20
	s_mul_i32 s21, s21, s45
	s_ashr_i32 s53, s50, 31
	s_add_u32 s20, s21, s50
	s_addc_u32 s21, s23, s53
	s_lshl_b64 s[20:21], s[20:21], 8
	s_add_u32 s20, s4, s20
	s_addc_u32 s21, s5, s21
	s_and_b32 s21, s21, 0xffff
	s_mov_b32 s23, 0x20000
	s_movk_i32 s54, 0x80
	buffer_load_dwordx4 v[8:11], v6, s[20:23], 0 offen
	buffer_load_dwordx4 v[12:15], v6, s[20:23], s54 offen
	;; [unrolled: 1-line block ×4, first 2 shown]
	v_and_b32_e32 v5, 6, v0
	v_lshlrev_b32_e32 v6, 7, v78
	v_xor_b32_e32 v27, v80, v5
	v_and_b32_e32 v7, 1, v0
	v_lshl_or_b32 v30, v72, 3, v6
	v_lshlrev_b32_e32 v27, 2, v27
	v_or_b32_e32 v86, 0x4000, v30
	v_or_b32_e32 v87, 0x6000, v30
	v_xor_b32_e32 v30, 0x440, v27
	v_cmp_eq_u32_e32 vcc, 0, v7
	v_lshlrev_b32_e32 v24, 2, v72
	s_mov_b32 s56, 0x1000504
	v_cndmask_b32_e32 v7, v30, v27, vcc
	v_xor_b32_e32 v28, v78, v24
	v_xor_b32_e32 v29, v79, v24
	v_lshl_or_b32 v5, v5, 10, v7
	s_mov_b32 s57, 0x3020706
	s_mul_i32 s20, s24, s12
	s_mul_hi_u32 s21, s45, s12
	v_lshlrev_b32_e32 v25, 8, v72
	v_or_b32_e32 v26, 16, v72
	v_lshlrev_b32_e32 v28, 1, v28
	v_lshlrev_b32_e32 v29, 1, v29
	v_xor_b32_e32 v7, 8, v5
	v_xor_b32_e32 v27, 24, v5
	v_xor_b32_e32 v32, 40, v5
	v_xor_b32_e32 v34, 56, v5
	v_or_b32_e32 v89, v25, v28
	v_or_b32_e32 v90, v25, v29
	v_xor_b32_e32 v25, 16, v5
	v_xor_b32_e32 v30, 32, v5
	;; [unrolled: 1-line block ×3, first 2 shown]
	v_add_u32_e32 v7, 0x80, v7
	v_add_u32_e32 v27, 0x80, v27
	;; [unrolled: 1-line block ×4, first 2 shown]
	s_add_i32 s59, s21, s20
	s_add_i32 s20, s42, s17
	s_mul_i32 s24, s24, s16
	s_add_i32 s35, s20, s24
	s_mul_i32 s20, s33, s19
	s_mul_hi_u32 s21, s33, s18
	s_add_i32 s20, s21, s20
	s_mul_i32 s21, s52, s18
	s_add_i32 s21, s20, s21
	s_lshl_b64 s[24:25], s[34:35], 2
	s_mul_i32 s20, s33, s18
	s_add_u32 s24, s10, s24
	s_addc_u32 s25, s11, s25
	s_lshl_b64 s[20:21], s[20:21], 2
	s_add_u32 s38, s24, s20
	s_movk_i32 s20, 0xf8
	s_addc_u32 s39, s25, s21
	s_ashr_i32 s31, s30, 31
	s_lshl_b32 s26, s15, 7
	s_movk_i32 s24, 0x100
	v_mov_b32_e32 v67, 0
	v_lshlrev_b32_e32 v66, 4, v72
	v_cmp_gt_u32_e32 vcc, s24, v0
	v_lshl_or_b32 v31, v26, 3, v6
	s_mov_b32 s55, 0
	s_mul_i32 s58, s45, s12
	v_or_b32_e32 v88, 0x4000, v31
	s_movk_i32 s22, 0x4000
	v_or_b32_e32 v91, 0x6000, v31
	v_add_u32_e32 v126, v1, v2
	s_movk_i32 s35, 0x2000
	s_movk_i32 s60, 0x3000
	s_mov_b32 s62, 0
	v_mov_b32_e32 v58, v67
	v_mov_b32_e32 v59, v67
	;; [unrolled: 1-line block ×9, first 2 shown]
	s_waitcnt vmcnt(1)
	v_perm_b32 v35, v8, v16, s56
	s_waitcnt vmcnt(0)
	v_perm_b32 v36, v12, v20, s56
	v_perm_b32 v8, v8, v16, s57
	;; [unrolled: 1-line block ×15, first 2 shown]
	ds_write2st64_b32 v5, v35, v36 offset0:128 offset1:160
	ds_write2st64_b32 v7, v8, v12 offset0:128 offset1:160
	;; [unrolled: 1-line block ×8, first 2 shown]
	v_lshlrev_b32_e32 v5, 8, v26
	v_or_b32_e32 v92, v5, v28
	v_or_b32_e32 v93, v5, v29
	;; [unrolled: 1-line block ×3, first 2 shown]
	v_lshl_or_b32 v7, v5, 3, v6
	v_lshlrev_b32_e32 v5, 8, v5
	v_or_b32_e32 v96, v5, v28
	v_or_b32_e32 v97, v5, v29
	;; [unrolled: 1-line block ×5, first 2 shown]
	v_lshl_or_b32 v7, v5, 3, v6
	v_lshlrev_b32_e32 v5, 8, v5
	v_or_b32_e32 v100, v5, v28
	v_or_b32_e32 v101, v5, v29
	;; [unrolled: 1-line block ×3, first 2 shown]
	v_lshlrev_b32_e32 v5, 3, v5
	v_lshrrev_b32_e32 v9, 5, v73
	v_and_or_b32 v9, v5, s20, v9
	v_lshlrev_b32_e32 v9, 4, v9
	v_or_b32_e32 v98, 0x4000, v7
	v_or_b32_e32 v99, 0x6000, v7
	v_lshlrev_b32_e32 v7, 11, v74
	v_and_b32_e32 v5, 0x78, v5
	v_or_b32_e32 v14, 32, v9
	v_and_b32_e32 v8, 0x1000, v7
	v_xor_b32_e32 v10, v9, v5
	v_lshrrev_b32_e32 v11, 1, v0
	v_xor_b32_e32 v14, v14, v5
	v_or_b32_e32 v10, v10, v8
	v_and_b32_e32 v12, 8, v11
	v_or_b32_e32 v14, v14, v8
	v_xor_b32_e32 v102, v10, v12
	v_lshlrev_b32_e32 v10, 8, v75
	v_xor_b32_e32 v104, v14, v12
	v_or_b32_e32 v14, 64, v9
	v_or_b32_e32 v9, 0x60, v9
	;; [unrolled: 1-line block ×3, first 2 shown]
	v_xor_b32_e32 v14, v14, v5
	v_xor_b32_e32 v5, v9, v5
	v_lshlrev_b32_e32 v13, 1, v13
	v_or_b32_e32 v14, v14, v8
	v_or_b32_e32 v5, v5, v8
	s_lshl_b64 s[20:21], s[30:31], 8
	v_or_b32_e32 v103, 0x4000, v13
	v_or_b32_e32 v105, 0x4080, v13
	;; [unrolled: 1-line block ×4, first 2 shown]
	v_xor_b32_e32 v108, v14, v12
	v_xor_b32_e32 v109, v5, v12
	v_or_b32_e32 v110, 0x6000, v13
	v_or_b32_e32 v111, 0x6080, v13
	;; [unrolled: 1-line block ×4, first 2 shown]
	v_lshlrev_b32_e32 v12, 1, v4
	v_add_lshl_u32 v13, v4, s15, 1
	s_add_u32 s20, s36, s20
	v_lshlrev_b32_e32 v4, 1, v72
	v_lshrrev_b32_e32 v15, 4, v0
	s_addc_u32 s21, s37, s21
	v_or_b32_e32 v5, 1, v4
	v_mov_b32_e32 v19, 0xa000
	v_mov_b32_e32 v20, 0x8000
	v_xor_b32_e32 v16, v15, v4
	v_xor_b32_e32 v17, v5, v15
	v_lshl_add_u64 v[4:5], s[20:21], 0, v[66:67]
	v_lshlrev_b32_e32 v66, 8, v15
	v_cndmask_b32_e32 v19, v19, v20, vcc
	v_lshlrev_b32_e32 v20, 3, v74
	v_and_b32_e32 v11, 24, v11
	v_lshl_or_b32 v114, v16, 3, v66
	v_and_b32_e32 v16, 8, v0
	v_xor_b32_e32 v21, v20, v11
	v_or_b32_e32 v22, 0x440, v21
	v_cmp_eq_u32_e32 vcc, 0, v16
	v_and_b32_e32 v15, 7, v0
	v_lshl_or_b32 v115, v17, 3, v66
	v_cndmask_b32_e32 v16, v22, v21, vcc
	v_lshlrev_b32_e32 v17, 3, v15
	v_lshlrev_b32_e32 v15, 7, v15
	v_or_b32_e32 v16, v16, v7
	v_lshlrev_b32_e32 v18, 2, v0
	v_xad_u32 v116, v16, v17, v15
	v_or_b32_e32 v16, 32, v11
	v_and_or_b32 v10, v18, 60, v10
	v_xor_b32_e32 v16, v20, v16
	v_lshlrev_b32_e32 v10, 1, v10
	v_or_b32_e32 v18, 0x440, v16
	v_or_b32_e32 v117, 0x6000, v10
	v_cndmask_b32_e32 v16, v18, v16, vcc
	v_or_b32_e32 v119, 0x6080, v10
	v_or_b32_e32 v120, 0x6100, v10
	;; [unrolled: 1-line block ×5, first 2 shown]
	v_xor_b32_e32 v10, v20, v10
	v_xad_u32 v118, v16, v17, v15
	v_xor_b32_e32 v16, 0x440, v10
	v_cndmask_b32_e32 v10, v16, v10, vcc
	v_or_b32_e32 v10, v10, v7
	v_xad_u32 v122, v10, v17, v15
	v_or_b32_e32 v10, 0x60, v11
	v_xor_b32_e32 v10, v20, v10
	v_xor_b32_e32 v11, 0x440, v10
	v_cndmask_b32_e32 v10, v11, v10, vcc
	v_or_b32_e32 v8, s30, v72
	v_or_b32_e32 v7, v10, v7
	v_ashrrev_i32_e32 v9, 31, v8
	v_or_b32_e32 v14, 0x100, v3
	v_xad_u32 v123, v7, v17, v15
	v_cndmask_b32_e64 v124, v12, v3, s[0:1]
	v_cndmask_b32_e64 v125, v13, v14, s[0:1]
	v_lshl_add_u64 v[68:69], v[8:9], 1, s[8:9]
	v_lshl_add_u64 v[70:71], v[4:5], 0, v[66:67]
	s_mov_b32 s31, 0x7060302
	v_lshlrev_b32_e32 v66, 1, v6
	v_add_u32_e32 v127, v19, v116
	v_add_u32_e32 v128, v19, v118
	;; [unrolled: 1-line block ×4, first 2 shown]
	v_mov_b32_e32 v51, v67
	v_mov_b32_e32 v52, v67
	;; [unrolled: 1-line block ×23, first 2 shown]
	s_waitcnt lgkmcnt(0)
	s_barrier
.LBB176_6:                              ; =>This Inner Loop Header: Depth=1
	s_add_i32 s61, s62, 1
	s_cmp_lt_i32 s61, s46
	s_mov_b64 s[24:25], 0
	s_cselect_b64 s[40:41], -1, 0
	s_cmp_ge_i32 s61, s46
	s_mov_b64 s[20:21], 0
	s_cbranch_scc1 .LBB176_8
; %bb.7:                                ;   in Loop: Header=BB176_6 Depth=1
	s_add_i32 s0, s55, 64
	s_add_u32 s0, s2, s0
	s_addc_u32 s1, s3, 0
	s_lshl_b64 s[0:1], s[0:1], 8
	s_add_u32 s20, s6, s0
	s_addc_u32 s21, s7, s1
.LBB176_8:                              ;   in Loop: Header=BB176_6 Depth=1
	v_cndmask_b32_e64 v2, 0, 1, s[40:41]
	v_cmp_ne_u32_e64 s[0:1], 1, v2
	s_andn2_b64 vcc, exec, s[40:41]
	s_cbranch_vccnz .LBB176_10
; %bb.9:                                ;   in Loop: Header=BB176_6 Depth=1
	s_add_i32 s24, s55, 64
	s_add_u32 s24, s58, s24
	s_addc_u32 s25, s59, 0
	s_mul_i32 s27, s24, s47
	s_mul_hi_u32 s40, s24, s51
	s_add_i32 s27, s40, s27
	s_mul_i32 s25, s25, s51
	s_add_i32 s27, s27, s25
	s_mul_i32 s24, s24, s51
	s_add_u32 s24, s24, s50
	s_addc_u32 s25, s27, s53
	s_lshl_b64 s[24:25], s[24:25], 8
	s_add_u32 s24, s4, s24
	s_addc_u32 s25, s5, s25
.LBB176_10:                             ;   in Loop: Header=BB176_6 Depth=1
	v_perm_b32 v3, v65, v64, s31
	v_perm_b32 v2, v63, v62, s31
	v_perm_b32 v5, v61, v60, s31
	v_perm_b32 v4, v59, v58, s31
	ds_write_b64 v86, v[2:3]
	ds_write_b64 v87, v[4:5]
	ds_write_b64 v89, v[2:3]
	ds_write_b64 v90, v[4:5]
	v_perm_b32 v3, v57, v56, s31
	v_perm_b32 v2, v55, v54, s31
	v_perm_b32 v5, v53, v52, s31
	v_perm_b32 v4, v51, v50, s31
	ds_write_b64 v88, v[2:3]
	ds_write_b64 v91, v[4:5]
	ds_write_b64 v92, v[2:3]
	ds_write_b64 v93, v[4:5]
	;; [unrolled: 8-line block ×4, first 2 shown]
	s_waitcnt lgkmcnt(0)
	s_barrier
	ds_read_b64 v[6:7], v102 offset:49152
	ds_read2_b64 v[2:5], v103 offset1:16
	ds_read_b64 v[18:19], v105 offset:6144
	ds_read_b64 v[20:21], v103 offset:6144
	s_waitcnt lgkmcnt(2)
	v_mfma_f32_16x16x16_bf16 a[0:3], v[6:7], v[2:3], 0
	ds_read_b64 v[22:23], v104 offset:49152
	ds_read2st64_b64 v[10:13], v106 offset0:4 offset1:8
	ds_read2st64_b64 v[14:17], v107 offset0:4 offset1:8
	v_mfma_f32_16x16x16_bf16 a[4:7], v[6:7], v[4:5], 0
	ds_read2_b64 v[2:5], v103 offset0:32 offset1:48
	s_add_i32 s27, s55, 63
	s_mul_i32 s40, s27, s29
	s_waitcnt lgkmcnt(0)
	v_mfma_f32_16x16x16_bf16 a[8:11], v[6:7], v[2:3], 0
	s_mul_hi_u32 s41, s27, s28
	s_add_i32 s41, s41, s40
	s_mul_i32 s40, s27, s28
	v_mfma_f32_16x16x16_bf16 a[12:15], v[6:7], v[4:5], 0
	ds_read2st64_b64 v[2:5], v103 offset0:4 offset1:8
	ds_read2st64_b64 v[6:9], v105 offset0:4 offset1:8
	s_lshl_b64 s[40:41], s[40:41], 2
	s_waitcnt lgkmcnt(1)
	v_mfma_f32_16x16x16_bf16 a[0:3], v[22:23], v[2:3], a[0:3]
	s_add_u32 s40, s38, s40
	s_addc_u32 s41, s39, s41
	s_and_b64 vcc, exec, s[0:1]
	s_waitcnt lgkmcnt(0)
	v_mfma_f32_16x16x16_bf16 a[4:7], v[22:23], v[6:7], a[4:7]
	v_mov_b32_e32 v133, 0
	v_mov_b32_e32 v132, 0
	;; [unrolled: 1-line block ×3, first 2 shown]
	v_mfma_f32_16x16x16_bf16 a[8:11], v[22:23], v[10:11], a[8:11]
	ds_read_b64 v[2:3], v108 offset:49152
	ds_read_b64 v[6:7], v109 offset:49152
	;; [unrolled: 1-line block ×3, first 2 shown]
	v_mfma_f32_16x16x16_bf16 a[12:15], v[22:23], v[14:15], a[12:15]
	v_mov_b32_e32 v14, 0
	v_mov_b32_e32 v15, 0
	s_waitcnt lgkmcnt(2)
	v_mfma_f32_16x16x16_bf16 a[0:3], v[2:3], v[4:5], a[0:3]
	v_mov_b32_e32 v4, 0
	v_mov_b32_e32 v5, 0
	v_mfma_f32_16x16x16_bf16 a[16:19], v[2:3], v[8:9], a[4:7]
	v_mov_b32_e32 v8, 0
	v_mov_b32_e32 v9, 0
	;; [unrolled: 3-line block ×3, first 2 shown]
	v_mfma_f32_16x16x16_bf16 a[24:27], v[2:3], v[16:17], a[12:15]
	ds_read_b64 v[2:3], v106 offset:6144
	v_mov_b32_e32 v16, 0
	v_mov_b32_e32 v17, 0
	s_waitcnt lgkmcnt(2)
	v_mfma_f32_16x16x16_bf16 a[4:7], v[6:7], v[20:21], a[0:3]
	v_mfma_f32_16x16x16_bf16 a[8:11], v[6:7], v[18:19], a[16:19]
	s_waitcnt lgkmcnt(0)
	v_mfma_f32_16x16x16_bf16 a[12:15], v[6:7], v[2:3], a[20:23]
	v_mov_b32_e32 v2, 0
	v_mov_b32_e32 v3, 0
	v_mfma_f32_16x16x16_bf16 a[0:3], v[6:7], v[10:11], a[24:27]
	v_mov_b32_e32 v6, 0
	v_mov_b32_e32 v7, 0
	;; [unrolled: 1-line block ×4, first 2 shown]
	s_cbranch_vccnz .LBB176_12
; %bb.11:                               ;   in Loop: Header=BB176_6 Depth=1
	s_and_b32 s21, s21, 0xffff
	buffer_load_dwordx4 v[14:17], v82, s[20:23], 0 offen
	buffer_load_dwordx4 v[10:13], v82, s[20:23], s54 offen
	;; [unrolled: 1-line block ×4, first 2 shown]
	v_mov_b32_e32 v132, v84
	v_mov_b32_e32 v131, v85
.LBB176_12:                             ;   in Loop: Header=BB176_6 Depth=1
	ds_read_b64 v[134:135], v102 offset:57344
	ds_read2_b64 v[18:21], v110 offset1:16
	ds_read_b64 v[136:137], v104 offset:57344
	ds_read_b64 v[138:139], v108 offset:57344
	;; [unrolled: 1-line block ×3, first 2 shown]
	v_add_u32_e32 v142, s55, v126
	s_waitcnt lgkmcnt(3)
	v_mfma_f32_16x16x16_bf16 a[4:7], v[134:135], v[18:19], a[4:7]
	v_mfma_f32_16x16x16_bf16 a[8:11], v[134:135], v[20:21], a[8:11]
	ds_read2_b64 v[18:21], v110 offset0:32 offset1:48
	ds_read2st64_b64 v[22:25], v110 offset0:4 offset1:8
	ds_read2st64_b64 v[26:29], v111 offset0:4 offset1:8
	;; [unrolled: 1-line block ×3, first 2 shown]
	s_waitcnt lgkmcnt(3)
	v_mfma_f32_16x16x16_bf16 a[12:15], v[134:135], v[18:19], a[12:15]
	v_ashrrev_i32_e32 v18, 31, v142
	v_mfma_f32_16x16x16_bf16 a[0:3], v[134:135], v[20:21], a[0:3]
	v_mul_lo_u32 v20, v18, s28
	v_mul_lo_u32 v21, v142, s29
	v_mad_u64_u32 v[18:19], s[20:21], v142, s28, 0
	v_add3_u32 v19, v19, v21, v20
	v_add_u32_e32 v20, 1, v142
	v_ashrrev_i32_e32 v21, 31, v20
	s_waitcnt lgkmcnt(2)
	v_mfma_f32_16x16x16_bf16 a[4:7], v[136:137], v[22:23], a[4:7]
	v_mul_lo_u32 v22, v21, s28
	v_mul_lo_u32 v23, v20, s29
	v_mad_u64_u32 v[20:21], s[20:21], v20, s28, 0
	v_add3_u32 v21, v21, v23, v22
	v_add_u32_e32 v22, 2, v142
	v_ashrrev_i32_e32 v23, 31, v22
	s_waitcnt lgkmcnt(1)
	v_mfma_f32_16x16x16_bf16 a[8:11], v[136:137], v[26:27], a[8:11]
	v_mul_lo_u32 v26, v23, s28
	v_mul_lo_u32 v27, v22, s29
	v_mad_u64_u32 v[22:23], s[20:21], v22, s28, 0
	v_add3_u32 v23, v23, v27, v26
	v_add_u32_e32 v26, 3, v142
	v_ashrrev_i32_e32 v27, 31, v26
	v_mul_lo_u32 v134, v27, s28
	v_mul_lo_u32 v135, v26, s29
	v_mad_u64_u32 v[26:27], s[20:21], v26, s28, 0
	s_add_u32 s20, s2, s55
	s_addc_u32 s21, s3, 0
	v_lshl_add_u64 v[18:19], v[18:19], 2, s[38:39]
	v_add3_u32 v27, v27, v135, v134
	s_lshl_b64 s[20:21], s[20:21], 8
	v_lshl_add_u64 v[20:21], v[20:21], 2, s[38:39]
	v_lshl_add_u64 v[22:23], v[22:23], 2, s[38:39]
	;; [unrolled: 1-line block ×3, first 2 shown]
	global_load_dword v134, v[18:19], off
	global_load_dword v135, v[20:21], off
	;; [unrolled: 1-line block ×4, first 2 shown]
	v_lshl_add_u64 v[18:19], v[68:69], 0, s[20:21]
	v_lshl_add_u64 v[22:23], v[18:19], 0, v[66:67]
	global_load_ushort v144, v[22:23], off offset:256
	global_load_ushort v145, v[22:23], off
	ds_read2st64_b64 v[18:21], v113 offset0:4 offset1:8
	global_load_ushort v146, v[22:23], off offset:768
	global_load_ushort v147, v[22:23], off offset:512
	s_waitcnt lgkmcnt(1)
	v_mfma_f32_16x16x16_bf16 a[12:15], v[136:137], v[30:31], a[12:15]
	s_and_b64 vcc, exec, s[0:1]
	s_waitcnt vmcnt(3)
	v_lshlrev_b32_e32 v31, 16, v144
	s_waitcnt lgkmcnt(0)
	v_mfma_f32_16x16x16_bf16 a[0:3], v[136:137], v[18:19], a[0:3]
	global_load_ushort v136, v[22:23], off offset:288
	global_load_ushort v137, v[22:23], off offset:32
	;; [unrolled: 1-line block ×8, first 2 shown]
	v_mfma_f32_16x16x16_bf16 a[4:7], v[138:139], v[24:25], a[4:7]
	ds_read_b64 v[18:19], v110 offset:6144
	s_waitcnt vmcnt(10)
	v_lshlrev_b32_e32 v30, 16, v145
	v_mfma_f32_16x16x16_bf16 a[8:11], v[138:139], v[28:29], a[8:11]
	v_mfma_f32_16x16x16_bf16 a[12:15], v[138:139], v[32:33], a[12:15]
	;; [unrolled: 1-line block ×3, first 2 shown]
	global_load_ushort v138, v[22:23], off offset:352
	global_load_ushort v139, v[22:23], off offset:96
	ds_read_b64 v[20:21], v111 offset:6144
	ds_read_b64 v[24:25], v112 offset:6144
	;; [unrolled: 1-line block ×3, first 2 shown]
	global_load_ushort v154, v[22:23], off offset:864
	global_load_ushort v155, v[22:23], off offset:608
	s_load_dword s20, s[40:41], 0x0
	s_waitcnt lgkmcnt(0)
	v_mfma_f32_16x16x16_bf16 a[4:7], v[140:141], v[18:19], a[4:7]
	v_sub_f32_e32 v28, s20, v142
	v_mfma_f32_16x16x16_bf16 a[0:3], v[140:141], v[26:27], a[0:3]
	v_sub_f32_e32 v26, s20, v134
	v_sub_f32_e32 v27, s20, v135
	;; [unrolled: 1-line block ×3, first 2 shown]
	v_mfma_f32_16x16x16_bf16 a[8:11], v[140:141], v[20:21], a[8:11]
	v_exp_f32_e32 v26, v26
	v_exp_f32_e32 v27, v27
	;; [unrolled: 1-line block ×4, first 2 shown]
	v_accvgpr_read_b32 v33, a5
	v_accvgpr_read_b32 v32, a4
	;; [unrolled: 1-line block ×4, first 2 shown]
	v_pk_add_f32 v[30:31], v[30:31], v[32:33] neg_lo:[0,1] neg_hi:[0,1]
	s_waitcnt vmcnt(13)
	v_lshlrev_b32_e32 v33, 16, v146
	s_waitcnt vmcnt(12)
	v_lshlrev_b32_e32 v32, 16, v147
	v_pk_add_f32 v[18:19], v[32:33], v[18:19] neg_lo:[0,1] neg_hi:[0,1]
	v_pk_mul_f32 v[30:31], v[26:27], v[30:31]
	v_pk_mul_f32 v[18:19], v[28:29], v[18:19]
	v_accvgpr_read_b32 v33, a9
	v_perm_b32 v19, v19, v18, s31
	v_perm_b32 v18, v31, v30, s31
	v_accvgpr_read_b32 v32, a8
	v_accvgpr_read_b32 v21, a11
	v_mfma_f32_16x16x16_bf16 a[12:15], v[140:141], v[24:25], a[12:15]
	v_accvgpr_read_b32 v20, a10
	v_accvgpr_read_b32 v25, a3
	;; [unrolled: 1-line block ×3, first 2 shown]
	v_mov_b32_e32 v134, 0
	s_waitcnt vmcnt(11)
	v_lshlrev_b32_e32 v31, 16, v136
	s_waitcnt vmcnt(10)
	v_lshlrev_b32_e32 v30, 16, v137
	v_pk_add_f32 v[30:31], v[30:31], v[32:33] neg_lo:[0,1] neg_hi:[0,1]
	s_waitcnt vmcnt(9)
	v_lshlrev_b32_e32 v33, 16, v148
	s_waitcnt vmcnt(8)
	v_lshlrev_b32_e32 v32, 16, v149
	v_pk_add_f32 v[20:21], v[32:33], v[20:21] neg_lo:[0,1] neg_hi:[0,1]
	v_pk_mul_f32 v[30:31], v[26:27], v[30:31]
	v_pk_mul_f32 v[20:21], v[28:29], v[20:21]
	v_accvgpr_read_b32 v23, a15
	v_perm_b32 v21, v21, v20, s31
	v_perm_b32 v20, v31, v30, s31
	ds_write2_b64 v87, v[18:19], v[20:21] offset1:16
	v_accvgpr_read_b32 v21, a13
	s_waitcnt vmcnt(7)
	v_lshlrev_b32_e32 v19, 16, v150
	s_waitcnt vmcnt(6)
	v_lshlrev_b32_e32 v18, 16, v151
	v_accvgpr_read_b32 v20, a12
	v_accvgpr_read_b32 v22, a14
	v_pk_add_f32 v[18:19], v[18:19], v[20:21] neg_lo:[0,1] neg_hi:[0,1]
	s_waitcnt vmcnt(5)
	v_lshlrev_b32_e32 v21, 16, v152
	s_waitcnt vmcnt(4)
	v_lshlrev_b32_e32 v20, 16, v153
	v_pk_add_f32 v[20:21], v[20:21], v[22:23] neg_lo:[0,1] neg_hi:[0,1]
	v_pk_mul_f32 v[18:19], v[26:27], v[18:19]
	v_pk_mul_f32 v[20:21], v[28:29], v[20:21]
	v_accvgpr_read_b32 v23, a1
	v_perm_b32 v21, v21, v20, s31
	v_perm_b32 v20, v19, v18, s31
	s_waitcnt vmcnt(3)
	v_lshlrev_b32_e32 v19, 16, v138
	s_waitcnt vmcnt(2)
	v_lshlrev_b32_e32 v18, 16, v139
	v_accvgpr_read_b32 v22, a0
	v_pk_add_f32 v[18:19], v[18:19], v[22:23] neg_lo:[0,1] neg_hi:[0,1]
	s_waitcnt vmcnt(1)
	v_lshlrev_b32_e32 v23, 16, v154
	s_waitcnt vmcnt(0)
	v_lshlrev_b32_e32 v22, 16, v155
	v_pk_add_f32 v[22:23], v[22:23], v[24:25] neg_lo:[0,1] neg_hi:[0,1]
	v_pk_mul_f32 v[18:19], v[26:27], v[18:19]
	v_pk_mul_f32 v[22:23], v[28:29], v[22:23]
	v_mov_b32_e32 v24, 0
	v_perm_b32 v23, v23, v22, s31
	v_perm_b32 v22, v19, v18, s31
	ds_write2_b64 v87, v[20:21], v[22:23] offset0:32 offset1:48
	v_mov_b32_e32 v18, 0
	v_mov_b32_e32 v19, 0
	;; [unrolled: 1-line block ×15, first 2 shown]
	s_cbranch_vccnz .LBB176_14
; %bb.13:                               ;   in Loop: Header=BB176_6 Depth=1
	s_and_b32 s25, s25, 0xffff
	s_mov_b32 s27, s23
	buffer_load_dwordx4 v[30:33], v124, s[24:27], 0 offen
	buffer_load_dwordx4 v[22:25], v124, s[24:27], s54 offen
	;; [unrolled: 1-line block ×4, first 2 shown]
	v_mov_b32_e32 v133, v81
	v_mov_b32_e32 v134, v80
.LBB176_14:                             ;   in Loop: Header=BB176_6 Depth=1
	s_waitcnt lgkmcnt(0)
	s_barrier
	ds_read_b64 v[144:145], v127
	ds_read2_b64 v[136:139], v117 offset1:16
	ds_read_b64 v[160:161], v128
	ds_read_b64 v[162:163], v129
	;; [unrolled: 1-line block ×3, first 2 shown]
	ds_read2_b64 v[140:143], v117 offset0:32 offset1:48
	s_waitcnt lgkmcnt(4)
	v_mfma_f32_16x16x16_bf16 a[0:3], v[144:145], v[136:137], 0
	ds_read2st64_b64 v[148:151], v119 offset0:4 offset1:8
	ds_read2st64_b64 v[152:155], v120 offset0:4 offset1:8
	;; [unrolled: 1-line block ×3, first 2 shown]
	v_mfma_f32_16x16x16_bf16 a[4:7], v[144:145], v[138:139], 0
	s_add_i32 s21, s48, s62
	s_mul_hi_i32 s25, s21, s13
	s_mul_i32 s21, s21, s13
	s_waitcnt lgkmcnt(3)
	v_mfma_f32_16x16x16_bf16 a[8:11], v[144:145], v[140:141], 0
	s_add_u32 s24, s21, s33
	s_addc_u32 s25, s25, s52
	s_lshl_b64 s[24:25], s[24:25], 15
	v_mfma_f32_16x16x16_bf16 a[12:15], v[144:145], v[142:143], 0
	ds_read2st64_b64 v[144:147], v117 offset0:4 offset1:8
	s_waitcnt lgkmcnt(0)
	v_mfma_f32_16x16x16_bf16 a[0:3], v[160:161], v[144:145], a[0:3]
	v_mfma_f32_16x16x16_bf16 a[4:7], v[160:161], v[148:149], a[4:7]
	;; [unrolled: 1-line block ×8, first 2 shown]
	ds_read_b64 v[160:161], v117 offset:6144
	ds_read_b64 v[162:163], v118 offset:40960
	;; [unrolled: 1-line block ×8, first 2 shown]
	s_waitcnt lgkmcnt(5)
	v_mfma_f32_16x16x16_bf16 a[16:19], v[166:167], v[136:137], 0
	v_mfma_f32_16x16x16_bf16 a[20:23], v[166:167], v[138:139], 0
	ds_read2st64_b64 v[136:139], v114 offset1:8
	v_mfma_f32_16x16x16_bf16 a[24:27], v[166:167], v[140:141], 0
	v_mfma_f32_16x16x16_bf16 a[28:31], v[166:167], v[142:143], 0
	ds_read2st64_b64 v[140:143], v115 offset1:8
	v_mfma_f32_16x16x16_bf16 a[16:19], v[162:163], v[144:145], a[16:19]
	s_waitcnt lgkmcnt(1)
	v_mov_b32_e32 v144, v136
	v_mov_b32_e32 v145, v137
	v_mfma_f32_16x16x16_bf16 a[20:23], v[162:163], v[148:149], a[20:23]
	v_lshl_add_u64 v[148:149], v[70:71], 0, s[24:25]
	v_mfma_f32_16x16x16_bf16 a[24:27], v[162:163], v[152:153], a[24:27]
	v_mfma_f32_16x16x16_bf16 a[28:31], v[162:163], v[156:157], a[28:31]
	;; [unrolled: 1-line block ×3, first 2 shown]
	s_waitcnt lgkmcnt(0)
	v_mov_b32_e32 v146, v140
	v_mov_b32_e32 v147, v141
	;; [unrolled: 1-line block ×3, first 2 shown]
	v_mfma_f32_16x16x16_bf16 a[32:35], v[174:175], v[150:151], a[20:23]
	v_mov_b32_e32 v141, v139
	ds_read2st64_b64 v[136:139], v114 offset0:16 offset1:24
	global_store_dwordx4 v[148:149], v[144:147], off
	v_mfma_f32_16x16x16_bf16 a[24:27], v[174:175], v[154:155], a[24:27]
	ds_read2st64_b64 v[144:147], v115 offset0:16 offset1:24
	v_add_co_u32_e32 v150, vcc, s35, v148
	v_mfma_f32_16x16x16_bf16 a[28:31], v[174:175], v[158:159], a[28:31]
	s_nop 0
	v_addc_co_u32_e32 v151, vcc, 0, v149, vcc
	global_store_dwordx4 v[150:151], v[140:143], off offset:-4096
	v_mfma_f32_16x16x16_bf16 a[0:3], v[164:165], v[160:161], a[0:3]
	s_waitcnt lgkmcnt(1)
	v_mov_b32_e32 v140, v136
	v_add_co_u32_e32 v136, vcc, s60, v148
	v_mfma_f32_16x16x16_bf16 a[4:7], v[164:165], v[168:169], a[4:7]
	v_mov_b32_e32 v141, v137
	v_addc_co_u32_e32 v137, vcc, 0, v149, vcc
	v_mfma_f32_16x16x16_bf16 a[8:11], v[164:165], v[170:171], a[8:11]
	s_waitcnt lgkmcnt(0)
	v_mov_b32_e32 v142, v144
	v_mov_b32_e32 v143, v145
	v_mov_b32_e32 v144, v138
	v_mfma_f32_16x16x16_bf16 a[12:15], v[164:165], v[172:173], a[12:15]
	v_mov_b32_e32 v145, v139
	s_and_b64 vcc, exec, s[0:1]
	global_store_dwordx4 v[150:151], v[140:143], off
	v_mfma_f32_16x16x16_bf16 a[20:23], v[176:177], v[160:161], a[16:19]
	global_store_dwordx4 v[136:137], v[144:147], off
	v_mfma_f32_16x16x16_bf16 a[16:19], v[176:177], v[168:169], a[32:35]
	v_mfma_f32_16x16x16_bf16 a[24:27], v[176:177], v[170:171], a[24:27]
	;; [unrolled: 1-line block ×3, first 2 shown]
	s_cbranch_vccnz .LBB176_16
; %bb.15:                               ;   in Loop: Header=BB176_6 Depth=1
	v_lshrrev_b32_e32 v135, 3, v133
	v_and_b32_e32 v135, 6, v135
	v_xor_b32_e32 v134, v135, v134
	v_lshlrev_b32_e32 v134, 2, v134
	v_and_b32_e32 v133, 8, v133
	v_xor_b32_e32 v136, 0x440, v134
	v_cmp_eq_u32_e32 vcc, 0, v133
	s_barrier
	s_nop 0
	v_cndmask_b32_e32 v133, v136, v134, vcc
	v_lshl_or_b32 v133, v135, 10, v133
	s_waitcnt vmcnt(5)
	v_perm_b32 v134, v30, v26, s56
	s_waitcnt vmcnt(4)
	v_perm_b32 v135, v22, v18, s56
	ds_write2st64_b32 v133, v134, v135 offset0:128 offset1:160
	v_xor_b32_e32 v134, 8, v133
	v_perm_b32 v26, v30, v26, s57
	v_perm_b32 v18, v22, v18, s57
	v_add_u32_e32 v22, 0x80, v134
	ds_write2st64_b32 v22, v26, v18 offset0:128 offset1:160
	v_xor_b32_e32 v18, 16, v133
	v_perm_b32 v22, v31, v27, s56
	v_perm_b32 v26, v23, v19, s56
	ds_write2st64_b32 v18, v22, v26 offset0:129 offset1:161
	v_xor_b32_e32 v18, 24, v133
	v_perm_b32 v22, v31, v27, s57
	v_perm_b32 v19, v23, v19, s57
	v_add_u32_e32 v18, 0x80, v18
	ds_write2st64_b32 v18, v22, v19 offset0:129 offset1:161
	v_xor_b32_e32 v18, 32, v133
	v_perm_b32 v19, v32, v28, s56
	;; [unrolled: 9-line block ×3, first 2 shown]
	v_perm_b32 v20, v25, v21, s56
	ds_write2st64_b32 v18, v19, v20 offset0:131 offset1:163
	v_xor_b32_e32 v18, 56, v133
	v_perm_b32 v19, v33, v29, s57
	v_perm_b32 v20, v25, v21, s57
	v_add_u32_e32 v18, 0x80, v18
	ds_write2st64_b32 v18, v19, v20 offset0:131 offset1:163
	ds_write_b64 v132, v[14:15] offset:49152
	v_xor_b32_e32 v14, 8, v132
	ds_write_b64 v14, v[16:17] offset:49152
	ds_write_b64 v132, v[10:11] offset:57344
	;; [unrolled: 1-line block ×4, first 2 shown]
	v_xor_b32_e32 v6, 8, v131
	ds_write_b64 v6, v[8:9] offset:49152
	ds_write_b64 v131, v[2:3] offset:57344
	ds_write_b64 v6, v[4:5] offset:57344
.LBB176_16:                             ;   in Loop: Header=BB176_6 Depth=1
	v_exp_f32_e32 v132, s20
	v_accvgpr_read_b32 v5, a3
	v_accvgpr_read_b32 v9, a7
	;; [unrolled: 1-line block ×4, first 2 shown]
	s_waitcnt vmcnt(4)
	v_accvgpr_read_b32 v18, a20
	v_accvgpr_read_b32 v25, a19
	;; [unrolled: 1-line block ×28, first 2 shown]
	s_add_i32 s55, s55, 64
	v_pk_fma_f32 v[62:63], v[132:133], v[62:63], v[2:3] op_sel_hi:[0,1,1]
	v_pk_fma_f32 v[64:65], v[132:133], v[64:65], v[4:5] op_sel_hi:[0,1,1]
	;; [unrolled: 1-line block ×15, first 2 shown]
	s_cmp_eq_u32 s46, s61
	v_pk_fma_f32 v[38:39], v[132:133], v[38:39], v[32:33] op_sel_hi:[0,1,1]
	s_cbranch_scc1 .LBB176_18
; %bb.17:                               ;   in Loop: Header=BB176_6 Depth=1
	s_mov_b32 s62, s61
	s_branch .LBB176_6
.LBB176_18:
	s_lshl_b32 s40, s46, 6
	s_sub_i32 s41, s12, s40
	s_cmp_gt_i32 s41, 0
	s_cbranch_scc0 .LBB176_99
; %bb.19:
	s_ashr_i32 s35, s45, 31
	s_ashr_i32 s2, s40, 31
	s_cmpk_lg_i32 s15, 0x80
	s_cselect_b64 s[26:27], -1, 0
	s_and_b64 vcc, exec, s[26:27]
	s_cbranch_vccz .LBB176_21
; %bb.20:
	s_mul_i32 s1, s45, s12
	s_mul_hi_i32 s0, s45, s12
	s_add_u32 s1, s1, s40
	s_addc_u32 s0, s0, s2
	s_mul_i32 s3, s1, s47
	s_mul_hi_u32 s20, s1, s14
	s_add_i32 s3, s20, s3
	s_mul_i32 s0, s0, s14
	s_add_i32 s3, s3, s0
	s_mul_i32 s1, s1, s14
	s_ashr_i32 s0, s50, 31
	s_add_u32 s38, s1, s50
	s_addc_u32 s39, s3, s0
	s_cbranch_execz .LBB176_22
	s_branch .LBB176_23
.LBB176_21:
                                        ; implicit-def: $sgpr38_sgpr39
.LBB176_22:
	s_mul_hi_i32 s0, s45, s14
	s_mul_i32 s45, s45, s14
	s_ashr_i32 s1, s50, 31
	s_add_u32 s3, s45, s50
	s_addc_u32 s0, s0, s1
	s_mul_i32 s1, s3, s44
	s_mul_hi_u32 s14, s3, s12
	s_add_i32 s1, s14, s1
	s_mul_i32 s0, s0, s12
	s_add_i32 s1, s1, s0
	s_mul_i32 s3, s3, s12
	s_add_u32 s38, s3, s40
	s_addc_u32 s39, s1, s2
.LBB176_23:
	s_add_i32 s3, s48, s46
	s_ashr_i32 s14, s33, 31
	s_add_u32 s0, s43, s33
	s_addc_u32 s1, s49, s14
	s_mul_i32 s20, s0, s44
	s_mul_hi_u32 s21, s0, s12
	s_add_i32 s20, s21, s20
	s_mul_i32 s1, s1, s12
	s_add_i32 s20, s20, s1
	s_mul_i32 s0, s0, s12
	s_add_u32 s0, s0, s40
	v_lshlrev_b32_e32 v6, 6, v78
	v_lshlrev_b32_e32 v24, 2, v72
	s_addc_u32 s1, s20, s2
	s_mov_b32 s2, 0x7060302
	v_or_b32_e32 v9, v6, v24
	v_xor_b32_e32 v7, v78, v24
	v_perm_b32 v3, v65, v64, s2
	v_perm_b32 v2, v63, v62, s2
	;; [unrolled: 1-line block ×4, first 2 shown]
	v_lshlrev_b32_e32 v9, 1, v9
	v_xor_b32_e32 v8, v79, v24
	ds_write2st64_b64 v9, v[2:3], v[4:5] offset0:32 offset1:48
	v_lshlrev_b32_e32 v7, 1, v7
	v_lshlrev_b32_e32 v9, 8, v72
	v_or_b32_e32 v10, v7, v9
	v_lshlrev_b32_e32 v8, 1, v8
	ds_write_b64 v10, v[2:3]
	v_or_b32_e32 v2, v8, v9
	v_or_b32_e32 v9, 16, v72
	v_lshlrev_b32_e32 v23, 2, v9
	v_or_b32_e32 v10, v6, v23
	ds_write_b64 v2, v[4:5]
	v_perm_b32 v3, v57, v56, s2
	v_perm_b32 v2, v55, v54, s2
	;; [unrolled: 1-line block ×4, first 2 shown]
	v_lshlrev_b32_e32 v10, 1, v10
	v_lshlrev_b32_e32 v9, 8, v9
	ds_write2st64_b64 v10, v[2:3], v[4:5] offset0:32 offset1:48
	v_or_b32_e32 v10, v7, v9
	ds_write_b64 v10, v[2:3]
	v_or_b32_e32 v2, v8, v9
	v_or_b32_e32 v9, 32, v72
	v_lshlrev_b32_e32 v22, 2, v9
	v_or_b32_e32 v10, v6, v22
	s_lshl_b64 s[24:25], s[0:1], 8
	ds_write_b64 v2, v[4:5]
	v_perm_b32 v3, v49, v48, s2
	v_perm_b32 v2, v47, v46, s2
	;; [unrolled: 1-line block ×4, first 2 shown]
	v_lshlrev_b32_e32 v10, 1, v10
	v_lshlrev_b32_e32 v9, 8, v9
	s_add_u32 s0, s6, s24
	ds_write2st64_b64 v10, v[2:3], v[4:5] offset0:32 offset1:48
	v_or_b32_e32 v10, v7, v9
	s_addc_u32 s1, s7, s25
	ds_write_b64 v10, v[2:3]
	v_or_b32_e32 v2, v8, v9
	v_or_b32_e32 v9, 48, v72
	s_mul_hi_i32 s6, s3, s13
	s_mul_i32 s3, s3, s13
	ds_write_b64 v2, v[4:5]
	v_perm_b32 v3, v35, v34, s2
	v_perm_b32 v2, v41, v40, s2
	;; [unrolled: 1-line block ×4, first 2 shown]
	v_lshlrev_b32_e32 v19, 2, v9
	s_add_u32 s2, s3, s33
	v_or_b32_e32 v6, v6, v19
	s_addc_u32 s3, s6, s14
	v_lshlrev_b32_e32 v6, 1, v6
	s_ashr_i32 s31, s30, 31
	s_lshl_b64 s[2:3], s[2:3], 15
	ds_write2st64_b64 v6, v[2:3], v[4:5] offset0:32 offset1:48
	v_lshlrev_b32_e32 v6, 8, v9
	s_add_u32 s6, s36, s2
	v_or_b32_e32 v7, v7, v6
	s_addc_u32 s7, s37, s3
	s_lshl_b64 s[2:3], s[30:31], 8
	ds_write_b64 v7, v[2:3]
	v_or_b32_e32 v2, v8, v6
	s_add_u32 s2, s6, s2
	v_lshlrev_b32_e32 v3, 1, v72
	ds_write_b64 v2, v[4:5]
	v_lshrrev_b32_e32 v2, 4, v0
	s_addc_u32 s3, s7, s3
	v_or_b32_e32 v4, 1, v3
	v_lshlrev_b32_e32 v10, 4, v72
	v_mov_b32_e32 v11, 0
	v_xor_b32_e32 v3, v2, v3
	v_xor_b32_e32 v6, v4, v2
	v_lshl_add_u64 v[12:13], s[2:3], 0, v[10:11]
	v_lshlrev_b32_e32 v10, 8, v2
	v_lshl_or_b32 v16, v3, 3, v10
	v_lshl_or_b32 v17, v6, 3, v10
	s_waitcnt lgkmcnt(0)
	s_barrier
	ds_read2st64_b64 v[2:5], v16 offset1:8
	ds_read2st64_b64 v[6:9], v17 offset1:8
	v_lshl_add_u64 v[14:15], v[12:13], 0, v[10:11]
	s_movk_i32 s2, 0x2000
	s_cmp_lg_u32 s41, 64
	s_waitcnt lgkmcnt(1)
	v_mov_b32_e32 v10, v2
	v_mov_b32_e32 v11, v3
	s_waitcnt lgkmcnt(0)
	v_mov_b32_e32 v12, v6
	v_mov_b32_e32 v13, v7
	global_store_dwordx4 v[14:15], v[10:13], off
	v_mov_b32_e32 v6, v4
	v_mov_b32_e32 v7, v5
	ds_read2st64_b64 v[2:5], v16 offset0:16 offset1:24
	ds_read2st64_b64 v[10:13], v17 offset0:16 offset1:24
	v_add_co_u32_e32 v16, vcc, s2, v14
	s_cselect_b64 s[6:7], -1, 0
	s_nop 0
	v_addc_co_u32_e32 v17, vcc, 0, v15, vcc
	global_store_dwordx4 v[16:17], v[6:9], off offset:-4096
	v_lshl_or_b32 v25, v74, 3, v77
	s_mov_b32 s20, 0
	s_waitcnt lgkmcnt(1)
	v_mov_b32_e32 v6, v2
	v_add_co_u32_e32 v2, vcc, 0x3000, v14
	v_mov_b32_e32 v7, v3
	s_nop 0
	v_addc_co_u32_e32 v3, vcc, 0, v15, vcc
	s_waitcnt lgkmcnt(0)
	v_mov_b32_e32 v8, v10
	v_mov_b32_e32 v9, v11
	;; [unrolled: 1-line block ×4, first 2 shown]
	v_or_b32_e32 v20, 32, v25
	v_and_b32_e32 v18, 56, v76
	s_and_b64 vcc, exec, s[6:7]
	global_store_dwordx4 v[16:17], v[6:9], off
	global_store_dwordx4 v[2:3], v[10:13], off
	s_cbranch_vccz .LBB176_29
; %bb.24:
	s_mov_b32 s21, s20
	s_mov_b32 s22, s20
	s_mov_b32 s23, s20
	v_mov_b64_e32 v[6:7], s[20:21]
	v_mov_b64_e32 v[8:9], s[22:23]
	;; [unrolled: 1-line block ×3, first 2 shown]
	v_cmp_gt_i32_e32 vcc, s41, v25
	v_mov_b64_e32 v[4:5], v[8:9]
	s_and_saveexec_b64 s[2:3], vcc
	s_cbranch_execz .LBB176_26
; %bb.25:
	v_lshlrev_b32_e32 v2, 8, v25
	v_mov_b32_e32 v3, 0
	v_lshl_add_u64 v[4:5], s[0:1], 0, v[2:3]
	v_lshlrev_b32_e32 v2, 1, v18
	v_lshl_add_u64 v[10:11], v[4:5], 0, v[2:3]
	global_load_dwordx4 v[6:9], v[10:11], off
	global_load_dwordx4 v[2:5], v[10:11], off offset:128
.LBB176_26:
	s_or_b64 exec, exec, s[2:3]
	s_mov_b32 s21, s20
	s_mov_b32 s22, s20
	;; [unrolled: 1-line block ×3, first 2 shown]
	v_mov_b64_e32 v[14:15], s[20:21]
	v_mov_b64_e32 v[16:17], s[22:23]
	;; [unrolled: 1-line block ×3, first 2 shown]
	v_cmp_gt_i32_e32 vcc, s41, v20
	v_lshlrev_b32_e32 v21, 7, v20
	v_mov_b64_e32 v[12:13], v[16:17]
	s_and_saveexec_b64 s[2:3], vcc
	s_cbranch_execz .LBB176_28
; %bb.27:
	v_lshlrev_b32_e32 v10, 1, v21
	v_mov_b32_e32 v11, 0
	v_lshl_add_u64 v[12:13], s[0:1], 0, v[10:11]
	v_lshlrev_b32_e32 v10, 1, v18
	v_lshl_add_u64 v[26:27], v[12:13], 0, v[10:11]
	global_load_dwordx4 v[14:17], v[26:27], off
	global_load_dwordx4 v[10:13], v[26:27], off offset:128
.LBB176_28:
	s_or_b64 exec, exec, s[2:3]
	v_lshrrev_b32_e32 v26, 3, v18
	v_lshlrev_b32_e32 v27, 3, v25
	v_or_b32_e32 v26, v27, v26
	v_lshlrev_b32_e32 v26, 4, v26
	v_and_b32_e32 v27, 0x78, v27
	v_xor_b32_e32 v26, v26, v27
	s_branch .LBB176_31
.LBB176_29:
                                        ; implicit-def: $vgpr26
                                        ; implicit-def: $vgpr21
                                        ; implicit-def: $vgpr6_vgpr7_vgpr8_vgpr9
                                        ; implicit-def: $vgpr2_vgpr3_vgpr4_vgpr5
                                        ; implicit-def: $vgpr14_vgpr15_vgpr16_vgpr17
                                        ; implicit-def: $vgpr10_vgpr11_vgpr12_vgpr13
	s_cbranch_execz .LBB176_31
; %bb.30:
	s_waitcnt vmcnt(0)
	v_lshlrev_b32_e32 v2, 1, v18
	v_lshl_or_b32 v21, v25, 8, v2
	s_and_b32 s1, s1, 0xffff
	s_mov_b32 s3, 0x20000
	s_movk_i32 s2, 0x4000
	v_lshl_or_b32 v26, v20, 8, v2
	s_movk_i32 s13, 0x80
	buffer_load_dwordx4 v[6:9], v21, s[0:3], 0 offen
	buffer_load_dwordx4 v[2:5], v21, s[0:3], s13 offen
	;; [unrolled: 1-line block ×4, first 2 shown]
	v_lshrrev_b32_e32 v21, 3, v18
	v_lshlrev_b32_e32 v26, 3, v25
	v_or_b32_e32 v21, v26, v21
	v_lshlrev_b32_e32 v21, 4, v21
	v_and_b32_e32 v26, 0x78, v26
	v_xor_b32_e32 v26, v21, v26
	v_lshlrev_b32_e32 v21, 7, v20
.LBB176_31:
	s_movk_i32 s0, 0x1000
	v_and_or_b32 v20, v21, s0, v26
	s_waitcnt vmcnt(1)
	ds_write_b64 v26, v[6:7] offset:49152
	v_xor_b32_e32 v6, 8, v26
	ds_write_b64 v6, v[8:9] offset:49152
	s_waitcnt vmcnt(0)
	ds_write_b64 v26, v[2:3] offset:57344
	ds_write_b64 v6, v[4:5] offset:57344
	;; [unrolled: 1-line block ×3, first 2 shown]
	v_xor_b32_e32 v2, 8, v20
	ds_write_b64 v2, v[16:17] offset:49152
	ds_write_b64 v20, v[10:11] offset:57344
	;; [unrolled: 1-line block ×3, first 2 shown]
	v_or_b32_e32 v2, v1, v72
	v_lshlrev_b32_e32 v3, 11, v74
	v_lshlrev_b32_e32 v2, 3, v2
	v_and_b32_e32 v6, 0x1000, v3
	v_lshrrev_b32_e32 v3, 5, v73
	s_movk_i32 s0, 0xf8
	v_and_or_b32 v3, v2, s0, v3
	v_lshlrev_b32_e32 v7, 4, v3
	v_and_b32_e32 v8, 0x78, v2
	v_or_b32_e32 v10, 32, v7
	v_lshrrev_b32_e32 v3, 1, v73
	v_xor_b32_e32 v10, v10, v8
	v_xor_b32_e32 v2, v7, v8
	v_and_b32_e32 v9, 8, v3
	v_or_b32_e32 v10, v10, v6
	v_or_b32_e32 v2, v2, v6
	v_xor_b32_e32 v28, v10, v9
	v_or_b32_e32 v10, 64, v7
	v_xor_b32_e32 v27, v2, v9
	v_xor_b32_e32 v10, v10, v8
	s_waitcnt lgkmcnt(0)
	s_barrier
	v_or_b32_e32 v13, v10, v6
	ds_read_b64 v[10:11], v27 offset:49152
	v_lshl_or_b32 v14, v75, 8, v24
	v_lshlrev_b32_e32 v26, 1, v14
	v_add_u32_e32 v12, 0x4000, v26
	ds_read2_b64 v[2:5], v12 offset1:16
	v_or_b32_e32 v7, 0x60, v7
	v_xor_b32_e32 v7, v7, v8
	v_or_b32_e32 v6, v7, v6
	v_xor_b32_e32 v29, v13, v9
	v_xor_b32_e32 v30, v6, v9
	ds_read_b64 v[20:21], v28 offset:49152
	ds_read_b64 v[34:35], v29 offset:49152
	;; [unrolled: 1-line block ×3, first 2 shown]
	s_waitcnt lgkmcnt(3)
	v_mfma_f32_16x16x16_bf16 a[0:3], v[10:11], v[2:3], 0
	ds_read2_b64 v[6:9], v12 offset0:32 offset1:48
	s_lshl_b64 s[0:1], s[38:39], 8
	s_add_u32 s4, s4, s0
	v_mfma_f32_16x16x16_bf16 a[4:7], v[10:11], v[4:5], 0
	ds_read2st64_b64 v[2:5], v26 offset0:36 offset1:40
	s_addc_u32 s5, s5, s1
	s_add_i32 s2, s12, -1
	s_waitcnt lgkmcnt(1)
	v_mfma_f32_16x16x16_bf16 a[8:11], v[10:11], v[6:7], 0
	v_or_b32_e32 v6, 64, v14
	v_lshlrev_b32_e32 v31, 1, v6
	s_add_i32 s0, s42, s17
	s_waitcnt lgkmcnt(0)
	v_mfma_f32_16x16x16_bf16 a[0:3], v[20:21], v[2:3], a[0:3]
	v_or_b32_e32 v2, 0x80, v14
	v_lshlrev_b32_e32 v32, 1, v2
	v_or_b32_e32 v2, 0xc0, v14
	v_mfma_f32_16x16x16_bf16 a[12:15], v[10:11], v[8:9], 0
	ds_read2st64_b64 v[6:9], v31 offset0:36 offset1:40
	v_lshlrev_b32_e32 v33, 1, v2
	ds_read2st64_b64 v[10:13], v32 offset0:36 offset1:40
	ds_read2st64_b64 v[14:17], v33 offset0:36 offset1:40
	s_mul_i32 s35, s35, s16
	s_add_i32 s35, s0, s35
	s_mul_i32 s0, s33, s19
	s_mul_hi_u32 s1, s33, s18
	s_ashr_i32 s3, s2, 31
	s_mul_i32 s12, s2, s29
	s_mul_hi_u32 s13, s2, s28
	s_waitcnt lgkmcnt(2)
	v_mfma_f32_16x16x16_bf16 a[4:7], v[20:21], v[6:7], a[4:7]
	s_add_i32 s0, s1, s0
	s_mul_i32 s1, s14, s18
	s_add_i32 s12, s13, s12
	s_mul_i32 s3, s3, s28
	s_waitcnt lgkmcnt(1)
	v_mfma_f32_16x16x16_bf16 a[8:11], v[20:21], v[10:11], a[8:11]
	s_add_i32 s1, s0, s1
	s_add_i32 s3, s12, s3
	s_lshl_b64 s[12:13], s[34:35], 2
	s_waitcnt lgkmcnt(0)
	v_mfma_f32_16x16x16_bf16 a[12:15], v[20:21], v[14:15], a[12:15]
	s_mul_i32 s0, s33, s18
	s_add_u32 s10, s10, s12
	s_addc_u32 s11, s11, s13
	s_lshl_b64 s[0:1], s[0:1], 2
	v_mfma_f32_16x16x16_bf16 a[0:3], v[34:35], v[4:5], a[0:3]
	s_mul_i32 s2, s2, s28
	ds_read_b64 v[2:3], v26 offset:22528
	s_add_u32 s10, s10, s0
	v_mfma_f32_16x16x16_bf16 a[4:7], v[34:35], v[8:9], a[4:7]
	ds_read_b64 v[4:5], v31 offset:22528
	ds_read_b64 v[6:7], v32 offset:22528
	;; [unrolled: 1-line block ×3, first 2 shown]
	s_addc_u32 s11, s11, s1
	s_lshl_b64 s[0:1], s[2:3], 2
	v_mfma_f32_16x16x16_bf16 a[8:11], v[34:35], v[12:13], a[8:11]
	s_add_u32 s0, s10, s0
	s_addc_u32 s1, s11, s1
	s_load_dword s12, s[0:1], 0x0
	v_mfma_f32_16x16x16_bf16 a[12:15], v[34:35], v[16:17], a[12:15]
	s_and_b64 vcc, exec, s[26:27]
	s_waitcnt lgkmcnt(0)
	v_mfma_f32_16x16x16_bf16 a[0:3], v[36:37], v[2:3], a[0:3]
	v_mfma_f32_16x16x16_bf16 a[4:7], v[36:37], v[4:5], a[4:7]
	;; [unrolled: 1-line block ×4, first 2 shown]
	s_cbranch_vccz .LBB176_42
; %bb.32:
	v_lshlrev_b32_e32 v20, 1, v25
	s_and_b64 vcc, exec, s[6:7]
	s_cbranch_vccz .LBB176_43
; %bb.33:
	v_cmp_gt_i32_e32 vcc, s41, v20
	v_mov_b32_e32 v6, 0
	v_mov_b32_e32 v2, 0
	;; [unrolled: 1-line block ×5, first 2 shown]
	s_and_saveexec_b64 s[0:1], vcc
	s_cbranch_execz .LBB176_35
; %bb.34:
	v_mad_i64_i32 v[2:3], s[2:3], s15, v20, 0
	v_lshl_add_u64 v[2:3], v[2:3], 1, s[4:5]
	v_lshlrev_b32_e32 v4, 1, v18
	v_mov_b32_e32 v5, 0
	v_lshl_add_u64 v[2:3], v[2:3], 0, v[4:5]
	global_load_dwordx4 v[2:5], v[2:3], off
.LBB176_35:
	s_or_b64 exec, exec, s[0:1]
	v_or_b32_e32 v21, 1, v20
	v_cmp_gt_i32_e64 s[0:1], s41, v21
	v_mov_b32_e32 v7, 0
	v_mov_b32_e32 v8, 0
	;; [unrolled: 1-line block ×3, first 2 shown]
	s_and_saveexec_b64 s[2:3], s[0:1]
	s_cbranch_execz .LBB176_37
; %bb.36:
	v_mad_i64_i32 v[6:7], s[16:17], s15, v21, 0
	v_lshl_add_u64 v[6:7], v[6:7], 1, s[4:5]
	v_lshlrev_b32_e32 v8, 1, v18
	v_mov_b32_e32 v9, 0
	v_lshl_add_u64 v[6:7], v[6:7], 0, v[8:9]
	global_load_dwordx4 v[6:9], v[6:7], off
.LBB176_37:
	s_or_b64 exec, exec, s[2:3]
	v_mov_b32_e32 v17, 0
	v_mov_b32_e32 v10, 0
	;; [unrolled: 1-line block ×5, first 2 shown]
	s_and_saveexec_b64 s[2:3], vcc
	s_cbranch_execz .LBB176_39
; %bb.38:
	v_mad_i64_i32 v[10:11], s[16:17], s15, v20, 0
	v_lshl_add_u64 v[10:11], v[10:11], 1, s[4:5]
	v_lshlrev_b32_e32 v12, 1, v18
	v_mov_b32_e32 v13, 0
	v_lshl_add_u64 v[10:11], v[10:11], 0, v[12:13]
	global_load_dwordx4 v[10:13], v[10:11], off offset:128
.LBB176_39:
	s_or_b64 exec, exec, s[2:3]
	v_mov_b32_e32 v16, 0
	v_mov_b32_e32 v15, 0
	;; [unrolled: 1-line block ×3, first 2 shown]
	s_and_saveexec_b64 s[2:3], s[0:1]
	s_cbranch_execz .LBB176_41
; %bb.40:
	v_mad_i64_i32 v[14:15], s[0:1], s15, v21, 0
	v_lshl_add_u64 v[14:15], v[14:15], 1, s[4:5]
	v_lshlrev_b32_e32 v16, 1, v18
	v_mov_b32_e32 v17, 0
	v_lshl_add_u64 v[14:15], v[14:15], 0, v[16:17]
	global_load_dwordx4 v[14:17], v[14:15], off offset:128
.LBB176_41:
	s_or_b64 exec, exec, s[2:3]
	s_branch .LBB176_45
.LBB176_42:
                                        ; implicit-def: $vgpr5
                                        ; implicit-def: $vgpr9
                                        ; implicit-def: $vgpr13
                                        ; implicit-def: $vgpr17
	v_lshrrev_b32_e32 v34, 2, v73
	s_branch .LBB176_46
.LBB176_43:
                                        ; implicit-def: $vgpr5
                                        ; implicit-def: $vgpr9
                                        ; implicit-def: $vgpr13
                                        ; implicit-def: $vgpr17
	s_cbranch_execz .LBB176_45
; %bb.44:
	s_waitcnt vmcnt(0)
	v_mad_u64_u32 v[2:3], s[0:1], v20, s15, v[18:19]
	v_lshlrev_b32_e32 v20, 1, v2
	s_lshl_b32 s2, s15, 7
	s_and_b32 s1, s5, 0xffff
	s_mov_b32 s3, 0x20000
	s_mov_b32 s0, s4
	v_add_lshl_u32 v21, v2, s15, 1
	s_movk_i32 s13, 0x80
	buffer_load_dwordx4 v[2:5], v20, s[0:3], 0 offen
	buffer_load_dwordx4 v[10:13], v20, s[0:3], s13 offen
	;; [unrolled: 1-line block ×4, first 2 shown]
.LBB176_45:
	v_lshrrev_b32_e32 v34, 2, v73
	s_cbranch_execnz .LBB176_58
.LBB176_46:
	s_and_b64 vcc, exec, s[6:7]
	s_cbranch_vccz .LBB176_56
; %bb.47:
	s_waitcnt vmcnt(0)
	v_lshlrev_b32_e32 v7, 1, v25
	v_cmp_gt_i32_e32 vcc, s41, v7
	v_mov_b32_e32 v6, 0
	v_lshlrev_b32_e32 v14, 9, v25
	v_mov_b32_e32 v2, 0
	v_mov_b32_e32 v3, 0
	;; [unrolled: 1-line block ×4, first 2 shown]
	s_and_saveexec_b64 s[0:1], vcc
	s_cbranch_execz .LBB176_49
; %bb.48:
	v_mov_b32_e32 v15, 0
	v_lshl_add_u64 v[2:3], s[4:5], 0, v[14:15]
	v_lshlrev_b32_e32 v4, 1, v18
	v_mov_b32_e32 v5, v15
	v_lshl_add_u64 v[2:3], v[2:3], 0, v[4:5]
	global_load_dwordx4 v[2:5], v[2:3], off
.LBB176_49:
	s_or_b64 exec, exec, s[0:1]
	v_or_b32_e32 v7, 1, v7
	v_cmp_gt_i32_e64 s[0:1], s41, v7
	v_lshlrev_b32_e32 v20, 8, v7
	v_mov_b32_e32 v7, 0
	v_mov_b32_e32 v8, 0
	;; [unrolled: 1-line block ×3, first 2 shown]
	s_and_saveexec_b64 s[2:3], s[0:1]
	s_cbranch_execz .LBB176_51
; %bb.50:
	v_mov_b32_e32 v21, 0
	v_lshl_add_u64 v[6:7], s[4:5], 0, v[20:21]
	v_lshlrev_b32_e32 v8, 1, v18
	v_mov_b32_e32 v9, v21
	v_lshl_add_u64 v[6:7], v[6:7], 0, v[8:9]
	global_load_dwordx4 v[6:9], v[6:7], off
.LBB176_51:
	s_or_b64 exec, exec, s[2:3]
	v_mov_b32_e32 v17, 0
	v_mov_b32_e32 v10, 0
	;; [unrolled: 1-line block ×5, first 2 shown]
	s_and_saveexec_b64 s[2:3], vcc
	s_cbranch_execz .LBB176_53
; %bb.52:
	v_mov_b32_e32 v15, 0
	v_lshl_add_u64 v[10:11], s[4:5], 0, v[14:15]
	v_lshlrev_b32_e32 v14, 1, v18
	v_lshl_add_u64 v[10:11], v[10:11], 0, v[14:15]
	global_load_dwordx4 v[10:13], v[10:11], off offset:128
.LBB176_53:
	s_or_b64 exec, exec, s[2:3]
	v_mov_b32_e32 v16, 0
	v_mov_b32_e32 v15, 0
	;; [unrolled: 1-line block ×3, first 2 shown]
	s_and_saveexec_b64 s[2:3], s[0:1]
	s_cbranch_execz .LBB176_55
; %bb.54:
	v_mov_b32_e32 v21, 0
	v_lshl_add_u64 v[14:15], s[4:5], 0, v[20:21]
	v_lshlrev_b32_e32 v20, 1, v18
	v_lshl_add_u64 v[14:15], v[14:15], 0, v[20:21]
	global_load_dwordx4 v[14:17], v[14:15], off offset:128
.LBB176_55:
	s_or_b64 exec, exec, s[2:3]
	s_branch .LBB176_58
.LBB176_56:
                                        ; implicit-def: $vgpr5
                                        ; implicit-def: $vgpr9
                                        ; implicit-def: $vgpr13
                                        ; implicit-def: $vgpr17
	s_cbranch_execz .LBB176_58
; %bb.57:
	s_waitcnt vmcnt(0)
	v_lshlrev_b32_e32 v2, 1, v18
	v_lshl_or_b32 v18, v25, 9, v2
	s_and_b32 s5, s5, 0xffff
	s_mov_b32 s7, 0x20000
	s_movk_i32 s6, 0x4000
	s_movk_i32 s0, 0x80
	buffer_load_dwordx4 v[2:5], v18, s[4:7], 0 offen
	buffer_load_dwordx4 v[6:9], v18, s[4:7], 0 offen offset:256
	buffer_load_dwordx4 v[10:13], v18, s[4:7], s0 offen
	buffer_load_dwordx4 v[14:17], v18, s[4:7], s0 offen offset:256
.LBB176_58:
	ds_read_b64 v[20:21], v27 offset:57344
	v_add_u32_e32 v18, 0x6000, v26
	ds_read2_b64 v[36:39], v18 offset1:16
	ds_read_b64 v[52:53], v28 offset:57344
	ds_read_b64 v[28:29], v29 offset:57344
	;; [unrolled: 1-line block ×3, first 2 shown]
	ds_read2st64_b64 v[40:43], v26 offset0:52 offset1:56
	s_mov_b32 s0, 0x1000504
	s_mov_b32 s1, 0x3020706
	s_waitcnt lgkmcnt(4)
	v_mfma_f32_16x16x16_bf16 a[0:3], v[20:21], v[36:37], a[0:3]
	v_mfma_f32_16x16x16_bf16 a[4:7], v[20:21], v[38:39], a[4:7]
	ds_read2_b64 v[36:39], v18 offset0:32 offset1:48
	v_and_b32_e32 v18, 6, v0
	v_xor_b32_e32 v25, v25, v18
	s_waitcnt lgkmcnt(0)
	v_mfma_f32_16x16x16_bf16 a[8:11], v[20:21], v[36:37], a[8:11]
	v_lshlrev_b32_e32 v25, 2, v25
	v_and_b32_e32 v0, 1, v0
	v_xor_b32_e32 v35, 0x440, v25
	v_mfma_f32_16x16x16_bf16 a[12:15], v[20:21], v[38:39], a[12:15]
	ds_read2st64_b64 v[36:39], v31 offset0:52 offset1:56
	ds_read2st64_b64 v[44:47], v32 offset0:52 offset1:56
	;; [unrolled: 1-line block ×3, first 2 shown]
	v_cmp_eq_u32_e32 vcc, 0, v0
	ds_read_b64 v[20:21], v26 offset:30720
	ds_read_b64 v[26:27], v31 offset:30720
	;; [unrolled: 1-line block ×4, first 2 shown]
	v_mfma_f32_16x16x16_bf16 a[0:3], v[52:53], v[40:41], a[0:3]
	v_cndmask_b32_e32 v0, v35, v25, vcc
	v_lshl_or_b32 v0, v18, 10, v0
	s_waitcnt vmcnt(0)
	v_perm_b32 v18, v2, v6, s0
	s_waitcnt lgkmcnt(6)
	v_mfma_f32_16x16x16_bf16 a[4:7], v[52:53], v[36:37], a[4:7]
	v_perm_b32 v25, v10, v14, s0
	ds_write2st64_b32 v0, v18, v25 offset0:128 offset1:160
	v_xor_b32_e32 v18, 8, v0
	s_waitcnt lgkmcnt(6)
	v_mfma_f32_16x16x16_bf16 a[8:11], v[52:53], v[44:45], a[8:11]
	v_perm_b32 v2, v2, v6, s1
	v_perm_b32 v6, v10, v14, s1
	v_add_u32_e32 v10, 0x80, v18
	s_waitcnt lgkmcnt(5)
	v_mfma_f32_16x16x16_bf16 a[12:15], v[52:53], v[48:49], a[12:15]
	ds_write2st64_b32 v10, v2, v6 offset0:128 offset1:160
	v_xor_b32_e32 v2, 16, v0
	v_perm_b32 v6, v3, v7, s0
	v_mfma_f32_16x16x16_bf16 a[0:3], v[28:29], v[42:43], a[0:3]
	v_perm_b32 v10, v11, v15, s0
	ds_write2st64_b32 v2, v6, v10 offset0:129 offset1:161
	v_xor_b32_e32 v2, 24, v0
	v_mfma_f32_16x16x16_bf16 a[4:7], v[28:29], v[38:39], a[4:7]
	v_perm_b32 v3, v3, v7, s1
	v_perm_b32 v6, v11, v15, s1
	v_add_u32_e32 v2, 0x80, v2
	v_mfma_f32_16x16x16_bf16 a[16:19], v[28:29], v[46:47], a[8:11]
	ds_write2st64_b32 v2, v3, v6 offset0:129 offset1:161
	v_xor_b32_e32 v2, 32, v0
	v_perm_b32 v3, v4, v8, s0
	v_mfma_f32_16x16x16_bf16 a[20:23], v[28:29], v[50:51], a[12:15]
	v_perm_b32 v6, v12, v16, s0
	ds_write2st64_b32 v2, v3, v6 offset0:130 offset1:162
	v_xor_b32_e32 v2, 40, v0
	s_waitcnt lgkmcnt(8)
	v_mfma_f32_16x16x16_bf16 a[12:15], v[54:55], v[20:21], a[0:3]
	v_perm_b32 v3, v4, v8, s1
	v_perm_b32 v4, v12, v16, s1
	v_add_u32_e32 v2, 0x80, v2
	s_waitcnt lgkmcnt(7)
	v_mfma_f32_16x16x16_bf16 a[8:11], v[54:55], v[26:27], a[4:7]
	ds_write2st64_b32 v2, v3, v4 offset0:130 offset1:162
	v_xor_b32_e32 v2, 48, v0
	v_perm_b32 v3, v5, v9, s0
	s_waitcnt lgkmcnt(7)
	v_mfma_f32_16x16x16_bf16 a[4:7], v[54:55], v[30:31], a[16:19]
	v_perm_b32 v4, v13, v17, s0
	v_xor_b32_e32 v0, 56, v0
	v_and_or_b32 v18, v34, 12, v1
	s_waitcnt lgkmcnt(6)
	v_mfma_f32_16x16x16_bf16 a[0:3], v[54:55], v[32:33], a[20:23]
	ds_write2st64_b32 v2, v3, v4 offset0:131 offset1:163
	v_perm_b32 v2, v5, v9, s1
	v_perm_b32 v3, v13, v17, s1
	v_add_u32_e32 v0, 0x80, v0
	v_cmp_gt_i32_e32 vcc, s41, v18
	v_mov_b32_e32 v14, 0
	v_mov_b32_e32 v16, 0
	ds_write2st64_b32 v0, v2, v3 offset0:131 offset1:163
	s_and_saveexec_b64 s[0:1], vcc
	s_cbranch_execz .LBB176_60
; %bb.59:
	v_add_u32_e32 v0, s40, v18
	v_ashrrev_i32_e32 v1, 31, v0
	v_mul_lo_u32 v2, v1, s28
	v_mul_lo_u32 v3, v0, s29
	v_mad_u64_u32 v[0:1], s[2:3], v0, s28, 0
	v_add3_u32 v1, v1, v3, v2
	v_lshl_add_u64 v[0:1], v[0:1], 2, s[10:11]
	global_load_dword v0, v[0:1], off
	s_waitcnt vmcnt(0)
	v_sub_f32_e32 v0, s12, v0
	v_exp_f32_e32 v16, v0
.LBB176_60:
	s_or_b64 exec, exec, s[0:1]
	v_or_b32_e32 v8, 1, v18
	v_cmp_gt_i32_e64 s[0:1], s41, v8
	s_and_saveexec_b64 s[2:3], s[0:1]
	s_cbranch_execz .LBB176_62
; %bb.61:
	v_add_u32_e32 v0, s40, v8
	v_ashrrev_i32_e32 v1, 31, v0
	v_mul_lo_u32 v2, v1, s28
	v_mul_lo_u32 v3, v0, s29
	v_mad_u64_u32 v[0:1], s[4:5], v0, s28, 0
	v_add3_u32 v1, v1, v3, v2
	v_lshl_add_u64 v[0:1], v[0:1], 2, s[10:11]
	global_load_dword v0, v[0:1], off
	s_waitcnt vmcnt(0)
	v_sub_f32_e32 v0, s12, v0
	v_exp_f32_e32 v14, v0
.LBB176_62:
	s_or_b64 exec, exec, s[2:3]
	v_or_b32_e32 v10, 2, v18
	v_cmp_gt_i32_e64 s[2:3], s41, v10
	v_mov_b32_e32 v15, 0
	v_mov_b32_e32 v17, 0
	s_and_saveexec_b64 s[4:5], s[2:3]
	s_cbranch_execz .LBB176_64
; %bb.63:
	v_add_u32_e32 v0, s40, v10
	v_ashrrev_i32_e32 v1, 31, v0
	v_mul_lo_u32 v2, v1, s28
	v_mul_lo_u32 v3, v0, s29
	v_mad_u64_u32 v[0:1], s[6:7], v0, s28, 0
	v_add3_u32 v1, v1, v3, v2
	v_lshl_add_u64 v[0:1], v[0:1], 2, s[10:11]
	global_load_dword v0, v[0:1], off
	s_waitcnt vmcnt(0)
	v_sub_f32_e32 v0, s12, v0
	v_exp_f32_e32 v17, v0
.LBB176_64:
	s_or_b64 exec, exec, s[4:5]
	v_or_b32_e32 v12, 3, v18
	v_cmp_gt_i32_e64 s[4:5], s41, v12
	s_and_saveexec_b64 s[6:7], s[4:5]
	s_cbranch_execz .LBB176_66
; %bb.65:
	v_add_u32_e32 v0, s40, v12
	v_ashrrev_i32_e32 v1, 31, v0
	v_mul_lo_u32 v2, v1, s28
	v_mul_lo_u32 v3, v0, s29
	v_mad_u64_u32 v[0:1], s[14:15], v0, s28, 0
	v_add3_u32 v1, v1, v3, v2
	v_lshl_add_u64 v[0:1], v[0:1], 2, s[10:11]
	global_load_dword v0, v[0:1], off
	s_waitcnt vmcnt(0)
	v_sub_f32_e32 v0, s12, v0
	v_exp_f32_e32 v15, v0
.LBB176_66:
	s_or_b64 exec, exec, s[6:7]
	v_or_b32_e32 v4, s30, v72
	s_add_u32 s6, s8, s24
	v_accvgpr_read_b32 v0, a12
	s_addc_u32 s7, s9, s25
	v_ashrrev_i32_e32 v5, 31, v4
	v_accvgpr_read_b32 v1, a13
	v_accvgpr_read_b32 v2, a14
	;; [unrolled: 1-line block ×3, first 2 shown]
	v_lshl_add_u64 v[4:5], v[4:5], 1, s[6:7]
	v_mov_b32_e32 v9, 0
	v_lshlrev_b32_e32 v6, 8, v18
	v_mov_b32_e32 v7, 0
	s_and_saveexec_b64 s[6:7], vcc
	s_cbranch_execz .LBB176_68
; %bb.67:
	v_mov_b32_e32 v7, 0
	v_lshl_add_u64 v[20:21], v[4:5], 0, v[6:7]
	global_load_ushort v7, v[20:21], off
	s_waitcnt vmcnt(0)
	v_lshlrev_b32_e32 v7, 16, v7
	v_sub_f32_e32 v0, v7, v0
	v_mul_f32_e32 v0, v16, v0
	v_lshrrev_b32_e32 v7, 16, v0
.LBB176_68:
	s_or_b64 exec, exec, s[6:7]
	v_lshlrev_b32_e32 v8, 8, v8
	s_and_saveexec_b64 s[6:7], s[0:1]
	s_cbranch_execz .LBB176_70
; %bb.69:
	v_mov_b32_e32 v9, 0
	v_lshl_add_u64 v[20:21], v[4:5], 0, v[8:9]
	global_load_ushort v0, v[20:21], off
	s_waitcnt vmcnt(0)
	v_lshlrev_b32_e32 v0, 16, v0
	v_sub_f32_e32 v0, v0, v1
	v_mul_f32_e32 v0, v14, v0
	v_lshrrev_b32_e32 v9, 16, v0
.LBB176_70:
	s_or_b64 exec, exec, s[6:7]
	v_mov_b32_e32 v13, 0
	v_lshlrev_b32_e32 v10, 8, v10
	v_mov_b32_e32 v11, 0
	s_and_saveexec_b64 s[6:7], s[2:3]
	s_cbranch_execz .LBB176_72
; %bb.71:
	v_mov_b32_e32 v11, 0
	v_lshl_add_u64 v[0:1], v[4:5], 0, v[10:11]
	global_load_ushort v0, v[0:1], off
	s_waitcnt vmcnt(0)
	v_lshlrev_b32_e32 v0, 16, v0
	v_sub_f32_e32 v0, v0, v2
	v_mul_f32_e32 v0, v17, v0
	v_lshrrev_b32_e32 v11, 16, v0
.LBB176_72:
	s_or_b64 exec, exec, s[6:7]
	v_lshlrev_b32_e32 v12, 8, v12
	s_and_saveexec_b64 s[6:7], s[4:5]
	s_cbranch_execz .LBB176_74
; %bb.73:
	v_mov_b32_e32 v13, 0
	v_lshl_add_u64 v[0:1], v[4:5], 0, v[12:13]
	global_load_ushort v0, v[0:1], off
	s_waitcnt vmcnt(0)
	v_lshlrev_b32_e32 v0, 16, v0
	v_sub_f32_e32 v0, v0, v3
	v_mul_f32_e32 v0, v15, v0
	v_lshrrev_b32_e32 v13, 16, v0
.LBB176_74:
	s_or_b64 exec, exec, s[6:7]
	v_lshlrev_b32_e32 v18, 6, v18
	s_mov_b32 s6, 0x5040100
	v_perm_b32 v20, v9, v7, s6
	v_or_b32_e32 v7, v18, v24
	v_accvgpr_read_b32 v0, a8
	v_perm_b32 v21, v13, v11, s6
	v_lshlrev_b32_e32 v7, 1, v7
	v_accvgpr_read_b32 v1, a9
	v_accvgpr_read_b32 v2, a10
	;; [unrolled: 1-line block ×3, first 2 shown]
	ds_write_b64 v7, v[20:21] offset:24576
	v_mov_b32_e32 v9, 0
	v_mov_b32_e32 v7, 0
	s_and_saveexec_b64 s[6:7], vcc
	s_cbranch_execz .LBB176_76
; %bb.75:
	v_mov_b32_e32 v7, 0
	v_lshl_add_u64 v[20:21], v[4:5], 0, v[6:7]
	global_load_ushort v7, v[20:21], off offset:32
	s_waitcnt vmcnt(0)
	v_lshlrev_b32_e32 v7, 16, v7
	v_sub_f32_e32 v0, v7, v0
	v_mul_f32_e32 v0, v16, v0
	v_lshrrev_b32_e32 v7, 16, v0
.LBB176_76:
	s_or_b64 exec, exec, s[6:7]
	s_and_saveexec_b64 s[6:7], s[0:1]
	s_cbranch_execz .LBB176_78
; %bb.77:
	v_mov_b32_e32 v9, 0
	v_lshl_add_u64 v[20:21], v[4:5], 0, v[8:9]
	global_load_ushort v0, v[20:21], off offset:32
	s_waitcnt vmcnt(0)
	v_lshlrev_b32_e32 v0, 16, v0
	v_sub_f32_e32 v0, v0, v1
	v_mul_f32_e32 v0, v14, v0
	v_lshrrev_b32_e32 v9, 16, v0
.LBB176_78:
	s_or_b64 exec, exec, s[6:7]
	v_mov_b32_e32 v13, 0
	v_mov_b32_e32 v11, 0
	s_and_saveexec_b64 s[6:7], s[2:3]
	s_cbranch_execz .LBB176_80
; %bb.79:
	v_mov_b32_e32 v11, 0
	v_lshl_add_u64 v[0:1], v[4:5], 0, v[10:11]
	global_load_ushort v0, v[0:1], off offset:32
	s_waitcnt vmcnt(0)
	v_lshlrev_b32_e32 v0, 16, v0
	v_sub_f32_e32 v0, v0, v2
	v_mul_f32_e32 v0, v17, v0
	v_lshrrev_b32_e32 v11, 16, v0
.LBB176_80:
	s_or_b64 exec, exec, s[6:7]
	s_and_saveexec_b64 s[6:7], s[4:5]
	s_cbranch_execz .LBB176_82
; %bb.81:
	v_mov_b32_e32 v13, 0
	v_lshl_add_u64 v[0:1], v[4:5], 0, v[12:13]
	global_load_ushort v0, v[0:1], off offset:32
	s_waitcnt vmcnt(0)
	v_lshlrev_b32_e32 v0, 16, v0
	v_sub_f32_e32 v0, v0, v3
	v_mul_f32_e32 v0, v15, v0
	v_lshrrev_b32_e32 v13, 16, v0
.LBB176_82:
	s_or_b64 exec, exec, s[6:7]
	s_mov_b32 s6, 0x5040100
	v_perm_b32 v20, v9, v7, s6
	v_or_b32_e32 v7, v18, v23
	v_accvgpr_read_b32 v0, a4
	v_perm_b32 v21, v13, v11, s6
	v_lshlrev_b32_e32 v7, 1, v7
	v_accvgpr_read_b32 v1, a5
	v_accvgpr_read_b32 v2, a6
	;; [unrolled: 1-line block ×3, first 2 shown]
	ds_write_b64 v7, v[20:21] offset:24576
	v_mov_b32_e32 v9, 0
	v_mov_b32_e32 v7, 0
	s_and_saveexec_b64 s[6:7], vcc
	s_cbranch_execz .LBB176_84
; %bb.83:
	v_mov_b32_e32 v7, 0
	v_lshl_add_u64 v[20:21], v[4:5], 0, v[6:7]
	global_load_ushort v7, v[20:21], off offset:64
	s_waitcnt vmcnt(0)
	v_lshlrev_b32_e32 v7, 16, v7
	v_sub_f32_e32 v0, v7, v0
	v_mul_f32_e32 v0, v16, v0
	v_lshrrev_b32_e32 v7, 16, v0
.LBB176_84:
	s_or_b64 exec, exec, s[6:7]
	s_and_saveexec_b64 s[6:7], s[0:1]
	s_cbranch_execz .LBB176_86
; %bb.85:
	v_mov_b32_e32 v9, 0
	v_lshl_add_u64 v[20:21], v[4:5], 0, v[8:9]
	global_load_ushort v0, v[20:21], off offset:64
	s_waitcnt vmcnt(0)
	v_lshlrev_b32_e32 v0, 16, v0
	v_sub_f32_e32 v0, v0, v1
	v_mul_f32_e32 v0, v14, v0
	v_lshrrev_b32_e32 v9, 16, v0
.LBB176_86:
	s_or_b64 exec, exec, s[6:7]
	v_mov_b32_e32 v13, 0
	v_mov_b32_e32 v11, 0
	s_and_saveexec_b64 s[6:7], s[2:3]
	s_cbranch_execz .LBB176_88
; %bb.87:
	v_mov_b32_e32 v11, 0
	v_lshl_add_u64 v[0:1], v[4:5], 0, v[10:11]
	global_load_ushort v0, v[0:1], off offset:64
	s_waitcnt vmcnt(0)
	v_lshlrev_b32_e32 v0, 16, v0
	v_sub_f32_e32 v0, v0, v2
	v_mul_f32_e32 v0, v17, v0
	v_lshrrev_b32_e32 v11, 16, v0
.LBB176_88:
	s_or_b64 exec, exec, s[6:7]
	s_and_saveexec_b64 s[6:7], s[4:5]
	s_cbranch_execz .LBB176_90
; %bb.89:
	v_mov_b32_e32 v13, 0
	v_lshl_add_u64 v[0:1], v[4:5], 0, v[12:13]
	global_load_ushort v0, v[0:1], off offset:64
	s_waitcnt vmcnt(0)
	v_lshlrev_b32_e32 v0, 16, v0
	v_sub_f32_e32 v0, v0, v3
	v_mul_f32_e32 v0, v15, v0
	v_lshrrev_b32_e32 v13, 16, v0
.LBB176_90:
	s_or_b64 exec, exec, s[6:7]
	s_mov_b32 s6, 0x5040100
	v_perm_b32 v20, v9, v7, s6
	v_or_b32_e32 v7, v18, v22
	v_accvgpr_read_b32 v0, a0
	v_perm_b32 v21, v13, v11, s6
	v_lshlrev_b32_e32 v7, 1, v7
	v_accvgpr_read_b32 v1, a1
	v_accvgpr_read_b32 v2, a2
	;; [unrolled: 1-line block ×3, first 2 shown]
	ds_write_b64 v7, v[20:21] offset:24576
	v_mov_b32_e32 v9, 0
	v_mov_b32_e32 v7, 0
	s_and_saveexec_b64 s[6:7], vcc
	s_cbranch_execz .LBB176_92
; %bb.91:
	v_mov_b32_e32 v7, 0
	v_lshl_add_u64 v[6:7], v[4:5], 0, v[6:7]
	global_load_ushort v6, v[6:7], off offset:96
	s_waitcnt vmcnt(0)
	v_lshlrev_b32_e32 v6, 16, v6
	v_sub_f32_e32 v0, v6, v0
	v_mul_f32_e32 v0, v16, v0
	v_lshrrev_b32_e32 v7, 16, v0
.LBB176_92:
	s_or_b64 exec, exec, s[6:7]
	s_and_saveexec_b64 s[6:7], s[0:1]
	s_cbranch_execz .LBB176_94
; %bb.93:
	v_mov_b32_e32 v9, 0
	v_lshl_add_u64 v[8:9], v[4:5], 0, v[8:9]
	global_load_ushort v0, v[8:9], off offset:96
	s_waitcnt vmcnt(0)
	v_lshlrev_b32_e32 v0, 16, v0
	v_sub_f32_e32 v0, v0, v1
	v_mul_f32_e32 v0, v14, v0
	v_lshrrev_b32_e32 v9, 16, v0
.LBB176_94:
	s_or_b64 exec, exec, s[6:7]
	v_mov_b32_e32 v0, 0
	v_mov_b32_e32 v1, 0
	s_and_saveexec_b64 s[0:1], s[2:3]
	s_cbranch_execz .LBB176_96
; %bb.95:
	v_mov_b32_e32 v11, 0
	v_lshl_add_u64 v[10:11], v[4:5], 0, v[10:11]
	global_load_ushort v1, v[10:11], off offset:96
	s_waitcnt vmcnt(0)
	v_lshlrev_b32_e32 v1, 16, v1
	v_sub_f32_e32 v1, v1, v2
	v_mul_f32_e32 v1, v17, v1
	v_lshrrev_b32_e32 v1, 16, v1
.LBB176_96:
	s_or_b64 exec, exec, s[0:1]
	s_and_saveexec_b64 s[0:1], s[4:5]
	s_cbranch_execz .LBB176_98
; %bb.97:
	v_mov_b32_e32 v13, 0
	v_lshl_add_u64 v[4:5], v[4:5], 0, v[12:13]
	global_load_ushort v0, v[4:5], off offset:96
	s_waitcnt vmcnt(0)
	v_lshlrev_b32_e32 v0, 16, v0
	v_sub_f32_e32 v0, v0, v3
	v_mul_f32_e32 v0, v15, v0
	v_lshrrev_b32_e32 v0, 16, v0
.LBB176_98:
	s_or_b64 exec, exec, s[0:1]
	s_mov_b32 s0, 0x5040100
	v_or_b32_e32 v2, v18, v19
	v_perm_b32 v1, v0, v1, s0
	v_perm_b32 v0, v9, v7, s0
	v_lshlrev_b32_e32 v2, 1, v2
	ds_write_b64 v2, v[0:1] offset:24576
	s_waitcnt lgkmcnt(0)
	s_barrier
.LBB176_99:
	s_endpgm
	.section	.rodata,"a",@progbits
	.p2align	6, 0x0
	.amdhsa_kernel _ZN12_GLOBAL__N_139chunk_gated_delta_rule_fwd_h_hip_kernelILi64ELb0ELb0ELb0ELb0ELb1ELb0ELb1ELb0EEEvPK12hip_bfloat16S3_S3_PKfS5_PKvPS1_S8_PvPKiSB_iiiiilll
		.amdhsa_group_segment_fixed_size 65536
		.amdhsa_private_segment_fixed_size 0
		.amdhsa_kernarg_size 136
		.amdhsa_user_sgpr_count 2
		.amdhsa_user_sgpr_dispatch_ptr 0
		.amdhsa_user_sgpr_queue_ptr 0
		.amdhsa_user_sgpr_kernarg_segment_ptr 1
		.amdhsa_user_sgpr_dispatch_id 0
		.amdhsa_user_sgpr_kernarg_preload_length 0
		.amdhsa_user_sgpr_kernarg_preload_offset 0
		.amdhsa_user_sgpr_private_segment_size 0
		.amdhsa_uses_dynamic_stack 0
		.amdhsa_enable_private_segment 0
		.amdhsa_system_sgpr_workgroup_id_x 1
		.amdhsa_system_sgpr_workgroup_id_y 1
		.amdhsa_system_sgpr_workgroup_id_z 0
		.amdhsa_system_sgpr_workgroup_info 0
		.amdhsa_system_vgpr_workitem_id 0
		.amdhsa_next_free_vgpr 216
		.amdhsa_next_free_sgpr 63
		.amdhsa_accum_offset 180
		.amdhsa_reserve_vcc 1
		.amdhsa_float_round_mode_32 0
		.amdhsa_float_round_mode_16_64 0
		.amdhsa_float_denorm_mode_32 3
		.amdhsa_float_denorm_mode_16_64 3
		.amdhsa_dx10_clamp 1
		.amdhsa_ieee_mode 1
		.amdhsa_fp16_overflow 0
		.amdhsa_tg_split 0
		.amdhsa_exception_fp_ieee_invalid_op 0
		.amdhsa_exception_fp_denorm_src 0
		.amdhsa_exception_fp_ieee_div_zero 0
		.amdhsa_exception_fp_ieee_overflow 0
		.amdhsa_exception_fp_ieee_underflow 0
		.amdhsa_exception_fp_ieee_inexact 0
		.amdhsa_exception_int_div_zero 0
	.end_amdhsa_kernel
	.section	.text._ZN12_GLOBAL__N_139chunk_gated_delta_rule_fwd_h_hip_kernelILi64ELb0ELb0ELb0ELb0ELb1ELb0ELb1ELb0EEEvPK12hip_bfloat16S3_S3_PKfS5_PKvPS1_S8_PvPKiSB_iiiiilll,"axG",@progbits,_ZN12_GLOBAL__N_139chunk_gated_delta_rule_fwd_h_hip_kernelILi64ELb0ELb0ELb0ELb0ELb1ELb0ELb1ELb0EEEvPK12hip_bfloat16S3_S3_PKfS5_PKvPS1_S8_PvPKiSB_iiiiilll,comdat
.Lfunc_end176:
	.size	_ZN12_GLOBAL__N_139chunk_gated_delta_rule_fwd_h_hip_kernelILi64ELb0ELb0ELb0ELb0ELb1ELb0ELb1ELb0EEEvPK12hip_bfloat16S3_S3_PKfS5_PKvPS1_S8_PvPKiSB_iiiiilll, .Lfunc_end176-_ZN12_GLOBAL__N_139chunk_gated_delta_rule_fwd_h_hip_kernelILi64ELb0ELb0ELb0ELb0ELb1ELb0ELb1ELb0EEEvPK12hip_bfloat16S3_S3_PKfS5_PKvPS1_S8_PvPKiSB_iiiiilll
                                        ; -- End function
	.section	.AMDGPU.csdata,"",@progbits
; Kernel info:
; codeLenInByte = 10804
; NumSgprs: 69
; NumVgprs: 178
; NumAgprs: 36
; TotalNumVgprs: 216
; ScratchSize: 0
; MemoryBound: 0
; FloatMode: 240
; IeeeMode: 1
; LDSByteSize: 65536 bytes/workgroup (compile time only)
; SGPRBlocks: 8
; VGPRBlocks: 26
; NumSGPRsForWavesPerEU: 69
; NumVGPRsForWavesPerEU: 216
; AccumOffset: 180
; Occupancy: 1
; WaveLimiterHint : 1
; COMPUTE_PGM_RSRC2:SCRATCH_EN: 0
; COMPUTE_PGM_RSRC2:USER_SGPR: 2
; COMPUTE_PGM_RSRC2:TRAP_HANDLER: 0
; COMPUTE_PGM_RSRC2:TGID_X_EN: 1
; COMPUTE_PGM_RSRC2:TGID_Y_EN: 1
; COMPUTE_PGM_RSRC2:TGID_Z_EN: 0
; COMPUTE_PGM_RSRC2:TIDIG_COMP_CNT: 0
; COMPUTE_PGM_RSRC3_GFX90A:ACCUM_OFFSET: 44
; COMPUTE_PGM_RSRC3_GFX90A:TG_SPLIT: 0
	.section	.text._ZN12_GLOBAL__N_139chunk_gated_delta_rule_fwd_h_hip_kernelILi64ELb1ELb1ELb1ELb1ELb1ELb0ELb0ELb0EEEvPK12hip_bfloat16S3_S3_PKfS5_PKvPS1_S8_PvPKiSB_iiiiilll,"axG",@progbits,_ZN12_GLOBAL__N_139chunk_gated_delta_rule_fwd_h_hip_kernelILi64ELb1ELb1ELb1ELb1ELb1ELb0ELb0ELb0EEEvPK12hip_bfloat16S3_S3_PKfS5_PKvPS1_S8_PvPKiSB_iiiiilll,comdat
	.globl	_ZN12_GLOBAL__N_139chunk_gated_delta_rule_fwd_h_hip_kernelILi64ELb1ELb1ELb1ELb1ELb1ELb0ELb0ELb0EEEvPK12hip_bfloat16S3_S3_PKfS5_PKvPS1_S8_PvPKiSB_iiiiilll ; -- Begin function _ZN12_GLOBAL__N_139chunk_gated_delta_rule_fwd_h_hip_kernelILi64ELb1ELb1ELb1ELb1ELb1ELb0ELb0ELb0EEEvPK12hip_bfloat16S3_S3_PKfS5_PKvPS1_S8_PvPKiSB_iiiiilll
	.p2align	8
	.type	_ZN12_GLOBAL__N_139chunk_gated_delta_rule_fwd_h_hip_kernelILi64ELb1ELb1ELb1ELb1ELb1ELb0ELb0ELb0EEEvPK12hip_bfloat16S3_S3_PKfS5_PKvPS1_S8_PvPKiSB_iiiiilll,@function
_ZN12_GLOBAL__N_139chunk_gated_delta_rule_fwd_h_hip_kernelILi64ELb1ELb1ELb1ELb1ELb1ELb0ELb0ELb0EEEvPK12hip_bfloat16S3_S3_PKfS5_PKvPS1_S8_PvPKiSB_iiiiilll: ; @_ZN12_GLOBAL__N_139chunk_gated_delta_rule_fwd_h_hip_kernelILi64ELb1ELb1ELb1ELb1ELb1ELb0ELb0ELb0EEEvPK12hip_bfloat16S3_S3_PKfS5_PKvPS1_S8_PvPKiSB_iiiiilll
; %bb.0:
	s_load_dwordx4 s[20:23], s[0:1], 0x5c
	s_load_dwordx4 s[4:7], s[0:1], 0x48
	s_abs_i32 s9, s3
	s_ashr_i32 s8, s3, 31
	v_and_b32_e32 v88, 15, v0
	s_waitcnt lgkmcnt(0)
	s_abs_i32 s10, s21
	v_cvt_f32_u32_e32 v1, s10
	s_sub_i32 s12, 0, s10
	s_ashr_i32 s11, s21, 31
	s_xor_b32 s8, s8, s11
	v_rcp_iflag_f32_e32 v1, v1
	v_bfe_u32 v87, v0, 4, 2
	v_mov_b32_e32 v67, 0
	v_lshlrev_b32_e32 v89, 3, v0
	v_mul_f32_e32 v1, 0x4f7ffffe, v1
	v_cvt_u32_f32_e32 v1, v1
	s_nop 0
	v_readfirstlane_b32 s13, v1
	s_mul_i32 s12, s12, s13
	s_mul_hi_u32 s12, s13, s12
	s_add_i32 s13, s13, s12
	s_mul_hi_u32 s12, s9, s13
	s_mul_i32 s13, s12, s10
	s_sub_i32 s9, s9, s13
	s_add_i32 s14, s12, 1
	s_sub_i32 s13, s9, s10
	s_cmp_ge_u32 s9, s10
	s_cselect_b32 s12, s14, s12
	s_cselect_b32 s9, s13, s9
	s_add_i32 s13, s12, 1
	s_cmp_ge_u32 s9, s10
	s_cselect_b32 s9, s13, s12
	s_xor_b32 s9, s9, s8
	s_sub_i32 s24, s9, s8
	s_mul_i32 s12, s24, s21
	s_ashr_i32 s25, s24, 31
	s_sub_i32 s51, s3, s12
	s_lshl_b64 s[8:9], s[24:25], 2
	s_add_u32 s4, s4, s8
	s_addc_u32 s5, s5, s9
	s_add_u32 s26, s6, s8
	s_addc_u32 s27, s7, s9
	s_abs_i32 s3, s22
	v_cvt_f32_u32_e32 v1, s3
	s_load_dwordx2 s[38:39], s[4:5], 0x0
	s_sub_i32 s5, 0, s3
	s_lshl_b32 s2, s2, 6
	v_rcp_iflag_f32_e32 v1, v1
	v_or_b32_e32 v76, s2, v88
	s_waitcnt lgkmcnt(0)
	s_sub_i32 s54, s39, s38
	s_ashr_i32 s4, s54, 31
	v_mul_f32_e32 v1, 0x4f7ffffe, v1
	v_cvt_u32_f32_e32 v1, v1
	s_lshr_b32 s4, s4, 26
	s_add_i32 s4, s54, s4
	s_ashr_i32 s53, s4, 6
	v_readfirstlane_b32 s6, v1
	s_mul_i32 s5, s5, s6
	s_mul_hi_u32 s5, s6, s5
	s_add_i32 s6, s6, s5
	s_mul_hi_u32 s5, s10, s6
	s_mul_i32 s6, s5, s3
	s_ashr_i32 s4, s22, 31
	s_sub_i32 s6, s10, s6
	s_xor_b32 s4, s11, s4
	s_add_i32 s7, s5, 1
	s_sub_i32 s8, s6, s3
	s_cmp_ge_u32 s6, s3
	s_cselect_b32 s5, s7, s5
	s_cselect_b32 s6, s8, s6
	s_add_i32 s7, s5, 1
	s_cmp_ge_u32 s6, s3
	s_cselect_b32 s3, s7, s5
	s_xor_b32 s3, s3, s4
	s_sub_i32 s3, s3, s4
	s_abs_i32 s13, s3
	v_cvt_f32_u32_e32 v1, s13
	s_sub_i32 s15, 0, s13
	s_abs_i32 s14, s51
	s_xor_b32 s3, s51, s3
	v_rcp_iflag_f32_e32 v2, v1
	s_ashr_i32 s3, s3, 31
	s_load_dwordx8 s[4:11], s[0:1], 0x28
	v_lshrrev_b32_e32 v1, 6, v0
	v_mul_f32_e32 v2, 0x4f7ffffe, v2
	v_cvt_u32_f32_e32 v2, v2
	v_lshlrev_b32_e32 v86, 4, v1
	v_lshlrev_b32_e32 v68, 7, v76
	v_lshl_or_b32 v91, v87, 2, v86
	v_readfirstlane_b32 s16, v2
	s_mul_i32 s15, s15, s16
	s_mul_hi_u32 s15, s16, s15
	s_add_i32 s16, s16, s15
	s_mul_hi_u32 s15, s14, s16
	s_mul_i32 s16, s15, s13
	s_sub_i32 s14, s14, s16
	s_add_i32 s16, s15, 1
	s_sub_i32 s17, s14, s13
	s_cmp_ge_u32 s14, s13
	s_cselect_b32 s15, s16, s15
	s_cselect_b32 s14, s17, s14
	s_add_i32 s16, s15, 1
	s_cmp_ge_u32 s14, s13
	s_cselect_b32 s13, s16, s15
	s_xor_b32 s13, s13, s3
	s_sub_i32 s55, s13, s3
	s_ashr_i32 s52, s51, 31
	s_mul_hi_i32 s3, s24, s21
	s_add_u32 s12, s12, s51
	s_addc_u32 s13, s3, s52
	s_lshl_b64 s[34:35], s[12:13], 16
	s_waitcnt lgkmcnt(0)
	s_add_u32 s4, s4, s34
	s_addc_u32 s5, s5, s35
	v_ashrrev_i32_e32 v69, 31, v68
	v_lshl_add_u64 v[2:3], v[68:69], 2, s[4:5]
	v_lshlrev_b32_e32 v66, 2, v91
	v_or_b32_e32 v70, 0x800, v68
	v_lshl_add_u64 v[10:11], v[2:3], 0, v[66:67]
	v_ashrrev_i32_e32 v71, 31, v70
	global_load_dwordx4 v[6:9], v[10:11], off
	global_load_dwordx4 v[2:5], v[10:11], off offset:256
	v_lshl_add_u64 v[10:11], v[70:71], 2, s[4:5]
	v_or_b32_e32 v72, 0x1000, v68
	v_lshl_add_u64 v[18:19], v[10:11], 0, v[66:67]
	v_ashrrev_i32_e32 v73, 31, v72
	global_load_dwordx4 v[14:17], v[18:19], off
	global_load_dwordx4 v[10:13], v[18:19], off offset:256
	v_lshl_add_u64 v[18:19], v[72:73], 2, s[4:5]
	;; [unrolled: 6-line block ×3, first 2 shown]
	v_lshl_add_u64 v[34:35], v[26:27], 0, v[66:67]
	global_load_dwordx4 v[30:33], v[34:35], off
	global_load_dwordx4 v[26:29], v[34:35], off offset:256
	s_load_dwordx8 s[12:19], s[0:1], 0x0
	s_load_dwordx2 s[36:37], s[0:1], 0x80
	s_load_dwordx4 s[28:31], s[0:1], 0x70
	s_load_dword s56, s[26:27], 0x0
	v_and_b32_e32 v67, 63, v0
	v_or_b32_e32 v92, 64, v91
	s_cmp_lt_i32 s54, 64
	s_mul_hi_i32 s57, s51, s20
	s_mul_i32 s58, s51, s20
	v_lshrrev_b32_e32 v90, 3, v67
	s_waitcnt lgkmcnt(0)
	s_mul_i32 s33, s24, s29
	s_mul_hi_u32 s47, s24, s28
	s_mul_i32 s46, s25, s28
	s_mul_i32 s42, s24, s28
	;; [unrolled: 1-line block ×3, first 2 shown]
	s_mul_hi_u32 s49, s51, s30
	s_mul_i32 s50, s52, s30
	s_mul_i32 s40, s51, s30
	s_cbranch_scc1 .LBB177_18
; %bb.1:
	s_ashr_i32 s1, s38, 31
	s_add_u32 s0, s58, s38
	s_addc_u32 s1, s57, s1
	s_lshl_b64 s[0:1], s[0:1], 8
	v_and_b32_e32 v94, 56, v89
	s_add_u32 s24, s14, s0
	v_lshl_or_b32 v93, v1, 3, v90
	v_lshlrev_b32_e32 v34, 1, v94
	s_addc_u32 s0, s15, s1
	v_lshl_or_b32 v95, v93, 8, v34
	s_and_b32 s25, s0, 0xffff
	s_mov_b32 s27, 0x20000
	s_movk_i32 s26, 0x4000
	s_movk_i32 s0, 0x80
	v_or_b32_e32 v96, 0x2000, v95
	buffer_load_dwordx4 v[36:39], v95, s[24:27], 0 offen
	buffer_load_dwordx4 v[40:43], v95, s[24:27], s0 offen
	;; [unrolled: 1-line block ×4, first 2 shown]
	v_lshlrev_b32_e32 v35, 3, v93
	v_and_or_b32 v53, v0, 7, v35
	v_and_b32_e32 v35, 0x78, v35
	v_lshlrev_b32_e32 v53, 4, v53
	v_xor_b32_e32 v97, v53, v35
	v_mul_lo_u32 v52, v93, s23
	v_or_b32_e32 v98, 0x1000, v97
	v_xor_b32_e32 v35, 8, v97
	s_cmpk_eq_i32 s23, 0x80
	s_mov_b32 s59, s38
	v_xor_b32_e32 v53, 8, v98
	s_cselect_b64 s[0:1], -1, 0
	s_cmpk_lg_i32 s23, 0x80
	s_waitcnt vmcnt(3)
	ds_write_b64 v97, v[36:37] offset:49152
	ds_write_b64 v35, v[38:39] offset:49152
	s_waitcnt vmcnt(2)
	ds_write_b64 v97, v[40:41] offset:57344
	ds_write_b64 v35, v[42:43] offset:57344
	;; [unrolled: 3-line block ×4, first 2 shown]
	v_lshl_add_u32 v35, v52, 1, v94
	s_cbranch_scc0 .LBB177_3
; %bb.2:
	v_lshlrev_b32_e32 v37, 1, v35
	v_add_lshl_u32 v36, v35, s23, 1
	s_lshl_b32 s26, s23, 7
	v_lshl_or_b32 v34, v93, 9, v34
	s_cbranch_execz .LBB177_4
	s_branch .LBB177_5
.LBB177_3:
                                        ; implicit-def: $vgpr36
                                        ; implicit-def: $vgpr37
                                        ; implicit-def: $sgpr26
	v_lshl_or_b32 v34, v93, 9, v34
.LBB177_4:
	v_or_b32_e32 v36, 0x100, v34
	s_movk_i32 s26, 0x4000
	v_mov_b32_e32 v37, v34
.LBB177_5:
	s_mul_i32 s4, s38, s22
	s_ashr_i32 s60, s55, 31
	s_mul_hi_i32 s3, s38, s22
	s_add_u32 s4, s4, s55
	s_addc_u32 s5, s3, s60
	s_lshl_b64 s[4:5], s[4:5], 8
	s_add_u32 s24, s12, s4
	s_addc_u32 s3, s13, s5
	s_and_b32 s25, s3, 0xffff
	s_movk_i32 s61, 0x80
	buffer_load_dwordx4 v[38:41], v37, s[24:27], 0 offen
	buffer_load_dwordx4 v[42:45], v37, s[24:27], s61 offen
	buffer_load_dwordx4 v[46:49], v36, s[24:27], 0 offen
	buffer_load_dwordx4 v[50:53], v36, s[24:27], s61 offen
	v_and_b32_e32 v37, 6, v0
	v_lshlrev_b32_e32 v36, 7, v91
	v_xor_b32_e32 v59, v93, v37
	v_and_b32_e32 v54, 1, v0
	v_lshl_or_b32 v62, v88, 3, v36
	v_lshlrev_b32_e32 v59, 2, v59
	v_lshlrev_b32_e32 v55, 2, v88
	v_or_b32_e32 v99, 0x4000, v62
	v_or_b32_e32 v100, 0x6000, v62
	v_xor_b32_e32 v62, 0x440, v59
	v_cmp_eq_u32_e32 vcc, 0, v54
	v_or_b32_e32 v57, 16, v88
	v_or_b32_e32 v58, 32, v88
	v_xor_b32_e32 v60, v91, v55
	v_xor_b32_e32 v61, v92, v55
	v_cndmask_b32_e32 v54, v62, v59, vcc
	s_mov_b32 s62, 0x1000504
	v_lshl_or_b32 v63, v57, 3, v36
	v_lshlrev_b32_e32 v57, 8, v57
	v_lshl_or_b32 v64, v58, 3, v36
	v_lshlrev_b32_e32 v60, 1, v60
	v_lshlrev_b32_e32 v61, 1, v61
	v_lshl_or_b32 v37, v37, 10, v54
	s_add_i32 s3, s47, s33
	s_mov_b32 s63, 0x3020706
	v_lshlrev_b32_e32 v56, 8, v88
	v_or_b32_e32 v103, 0x4000, v64
	v_or_b32_e32 v104, 0x6000, v64
	v_or_b32_e32 v107, v57, v60
	v_or_b32_e32 v108, v57, v61
	v_xor_b32_e32 v54, 8, v37
	v_xor_b32_e32 v57, 24, v37
	;; [unrolled: 1-line block ×4, first 2 shown]
	s_add_i32 s43, s3, s46
	s_add_i32 s3, s49, s48
	v_or_b32_e32 v101, 0x4000, v63
	v_or_b32_e32 v102, 0x6000, v63
	;; [unrolled: 1-line block ×4, first 2 shown]
	v_xor_b32_e32 v56, 16, v37
	v_xor_b32_e32 v59, 32, v37
	;; [unrolled: 1-line block ×3, first 2 shown]
	v_add_u32_e32 v54, 0x80, v54
	v_add_u32_e32 v57, 0x80, v57
	;; [unrolled: 1-line block ×4, first 2 shown]
	s_add_i32 s41, s3, s50
	s_lshl_b64 s[4:5], s[42:43], 2
	s_add_u32 s3, s18, s4
	s_addc_u32 s24, s19, s5
	s_lshl_b64 s[4:5], s[40:41], 2
	s_add_u32 s4, s3, s4
	s_movk_i32 s3, 0xf8
	s_addc_u32 s5, s24, s5
	s_lshl_b32 s30, s23, 7
	s_movk_i32 s28, 0x100
	v_mov_b32_e32 v79, 0
	v_lshlrev_b32_e32 v78, 4, v88
	v_cmp_gt_u32_e32 vcc, s28, v0
	v_lshlrev_b32_e32 v58, 8, v58
	s_mov_b32 s64, 0
	s_movk_i32 s26, 0x4000
	v_or_b32_e32 v109, v58, v60
	v_or_b32_e32 v110, v58, v61
	s_movk_i32 s41, 0x2000
	s_movk_i32 s43, 0x3000
	s_waitcnt vmcnt(1)
	v_perm_b32 v65, v38, v46, s62
	s_waitcnt vmcnt(0)
	v_perm_b32 v77, v42, v50, s62
	v_perm_b32 v38, v38, v46, s63
	;; [unrolled: 1-line block ×15, first 2 shown]
	ds_write2st64_b32 v37, v65, v77 offset0:128 offset1:160
	ds_write2st64_b32 v54, v38, v42 offset0:128 offset1:160
	;; [unrolled: 1-line block ×8, first 2 shown]
	v_or_b32_e32 v37, 48, v88
	v_lshl_or_b32 v38, v37, 3, v36
	v_lshlrev_b32_e32 v37, 8, v37
	v_or_b32_e32 v113, v37, v60
	v_or_b32_e32 v114, v37, v61
	;; [unrolled: 1-line block ×3, first 2 shown]
	v_lshlrev_b32_e32 v37, 3, v37
	v_lshrrev_b32_e32 v39, 5, v67
	v_and_or_b32 v39, v37, s3, v39
	v_lshlrev_b32_e32 v39, 4, v39
	v_lshlrev_b32_e32 v40, 11, v1
	v_and_b32_e32 v37, 0x78, v37
	v_or_b32_e32 v45, 32, v39
	v_or_b32_e32 v111, 0x4000, v38
	;; [unrolled: 1-line block ×3, first 2 shown]
	v_and_b32_e32 v38, 0x1000, v40
	v_xor_b32_e32 v41, v39, v37
	v_lshrrev_b32_e32 v42, 1, v0
	v_xor_b32_e32 v45, v45, v37
	v_or_b32_e32 v41, v41, v38
	v_and_b32_e32 v43, 8, v42
	v_or_b32_e32 v45, v45, v38
	v_xor_b32_e32 v115, v41, v43
	v_lshlrev_b32_e32 v41, 8, v87
	v_xor_b32_e32 v117, v45, v43
	v_or_b32_e32 v45, 64, v39
	v_or_b32_e32 v39, 0x60, v39
	s_ashr_i32 s3, s2, 31
	v_or_b32_e32 v44, v41, v55
	v_xor_b32_e32 v45, v45, v37
	v_xor_b32_e32 v37, v39, v37
	s_lshl_b64 s[24:25], s[2:3], 8
	v_lshlrev_b32_e32 v44, 1, v44
	v_or_b32_e32 v45, v45, v38
	v_or_b32_e32 v37, v37, v38
	s_add_u32 s24, s6, s24
	v_lshlrev_b32_e32 v38, 1, v88
	v_or_b32_e32 v116, 0x4000, v44
	v_or_b32_e32 v118, 0x4080, v44
	;; [unrolled: 1-line block ×8, first 2 shown]
	v_lshrrev_b32_e32 v44, 4, v0
	s_addc_u32 s25, s7, s25
	v_or_b32_e32 v39, 1, v38
	v_mov_b32_e32 v48, 0xa000
	v_mov_b32_e32 v49, 0x8000
	v_xor_b32_e32 v121, v45, v43
	v_xor_b32_e32 v45, v44, v38
	;; [unrolled: 1-line block ×3, first 2 shown]
	v_lshl_add_u64 v[38:39], s[24:25], 0, v[78:79]
	v_lshlrev_b32_e32 v78, 8, v44
	v_cndmask_b32_e32 v48, v48, v49, vcc
	v_lshlrev_b32_e32 v49, 3, v1
	v_and_b32_e32 v42, 24, v42
	v_lshl_or_b32 v127, v45, 3, v78
	v_and_b32_e32 v45, 8, v0
	v_xor_b32_e32 v50, v49, v42
	v_or_b32_e32 v51, 0x440, v50
	v_cmp_eq_u32_e32 vcc, 0, v45
	v_and_b32_e32 v44, 7, v0
	v_lshl_or_b32 v128, v46, 3, v78
	v_cndmask_b32_e32 v45, v51, v50, vcc
	v_lshlrev_b32_e32 v46, 3, v44
	v_lshlrev_b32_e32 v44, 7, v44
	v_or_b32_e32 v45, v45, v40
	v_lshlrev_b32_e32 v47, 2, v0
	v_xad_u32 v129, v45, v46, v44
	v_or_b32_e32 v45, 32, v42
	v_and_or_b32 v41, v47, 60, v41
	v_xor_b32_e32 v45, v49, v45
	v_lshlrev_b32_e32 v41, 1, v41
	v_or_b32_e32 v47, 0x440, v45
	v_or_b32_e32 v130, 0x6000, v41
	v_cndmask_b32_e32 v45, v47, v45, vcc
	v_or_b32_e32 v132, 0x6080, v41
	v_or_b32_e32 v133, 0x6100, v41
	;; [unrolled: 1-line block ×5, first 2 shown]
	v_xor_b32_e32 v41, v49, v41
	v_xad_u32 v131, v45, v46, v44
	v_xor_b32_e32 v45, 0x440, v41
	v_cndmask_b32_e32 v41, v45, v41, vcc
	v_or_b32_e32 v41, v41, v40
	v_xad_u32 v135, v41, v46, v44
	v_or_b32_e32 v41, 0x60, v42
	v_xor_b32_e32 v41, v49, v41
	v_xor_b32_e32 v42, 0x440, v41
	v_cndmask_b32_e32 v41, v42, v41, vcc
	v_xor_b32_e32 v122, v37, v43
	v_ashrrev_i32_e32 v77, 31, v76
	v_lshlrev_b32_e32 v37, 1, v35
	v_add_lshl_u32 v35, v35, s23, 1
	v_or_b32_e32 v43, 0x100, v34
	v_or_b32_e32 v40, v41, v40
	v_xad_u32 v136, v40, v46, v44
	v_cndmask_b32_e64 v137, v37, v34, s[0:1]
	v_cndmask_b32_e64 v138, v35, v43, s[0:1]
	v_lshlrev_b64 v[34:35], 1, v[76:77]
	v_lshl_add_u64 v[80:81], s[16:17], 0, v[34:35]
	v_lshl_add_u64 v[82:83], s[8:9], 0, v[34:35]
	;; [unrolled: 1-line block ×3, first 2 shown]
	s_mov_b32 s3, 0x7060302
	v_lshlrev_b32_e32 v78, 1, v36
	v_add_u32_e32 v77, v48, v129
	v_add_u32_e32 v139, v48, v131
	;; [unrolled: 1-line block ×4, first 2 shown]
	s_waitcnt lgkmcnt(0)
	s_barrier
.LBB177_6:                              ; =>This Inner Loop Header: Depth=1
	s_add_i32 s65, s64, 1
	s_cmp_lt_i32 s65, s53
	s_mov_b64 s[28:29], 0
	s_cselect_b64 s[44:45], -1, 0
	s_cmp_ge_i32 s65, s53
	s_mov_b64 s[24:25], 0
	s_cbranch_scc1 .LBB177_8
; %bb.7:                                ;   in Loop: Header=BB177_6 Depth=1
	s_add_i32 s0, s59, 64
	s_ashr_i32 s1, s0, 31
	s_add_u32 s0, s58, s0
	s_addc_u32 s1, s57, s1
	s_lshl_b64 s[0:1], s[0:1], 8
	s_add_u32 s24, s14, s0
	s_addc_u32 s25, s15, s1
.LBB177_8:                              ;   in Loop: Header=BB177_6 Depth=1
	v_cndmask_b32_e64 v34, 0, 1, s[44:45]
	v_cmp_ne_u32_e64 s[0:1], 1, v34
	s_andn2_b64 vcc, exec, s[44:45]
	s_cbranch_vccnz .LBB177_10
; %bb.9:                                ;   in Loop: Header=BB177_6 Depth=1
	s_add_i32 s28, s59, 64
	s_mul_hi_i32 s29, s28, s22
	s_mul_i32 s28, s28, s22
	s_add_u32 s28, s28, s55
	s_addc_u32 s29, s29, s60
	s_lshl_b64 s[28:29], s[28:29], 8
	s_add_u32 s28, s12, s28
	s_addc_u32 s29, s13, s29
.LBB177_10:                             ;   in Loop: Header=BB177_6 Depth=1
	v_perm_b32 v35, v9, v8, s3
	v_perm_b32 v34, v7, v6, s3
	v_perm_b32 v37, v5, v4, s3
	v_perm_b32 v36, v3, v2, s3
	ds_write_b64 v99, v[34:35]
	ds_write_b64 v100, v[36:37]
	ds_write_b64 v105, v[34:35]
	ds_write_b64 v106, v[36:37]
	v_perm_b32 v35, v17, v16, s3
	v_perm_b32 v34, v15, v14, s3
	v_perm_b32 v37, v13, v12, s3
	v_perm_b32 v36, v11, v10, s3
	ds_write_b64 v101, v[34:35]
	ds_write_b64 v102, v[36:37]
	ds_write_b64 v107, v[34:35]
	ds_write_b64 v108, v[36:37]
	;; [unrolled: 8-line block ×4, first 2 shown]
	s_waitcnt lgkmcnt(0)
	s_barrier
	ds_read_b64 v[38:39], v115 offset:49152
	ds_read2_b64 v[34:37], v116 offset1:16
	ds_read_b64 v[50:51], v118 offset:6144
	ds_read_b64 v[52:53], v116 offset:6144
	s_waitcnt lgkmcnt(2)
	v_mfma_f32_16x16x16_bf16 a[0:3], v[38:39], v[34:35], 0
	ds_read_b64 v[54:55], v117 offset:49152
	ds_read2st64_b64 v[42:45], v119 offset0:4 offset1:8
	ds_read2st64_b64 v[46:49], v120 offset0:4 offset1:8
	v_mfma_f32_16x16x16_bf16 a[4:7], v[38:39], v[36:37], 0
	ds_read2_b64 v[34:37], v116 offset0:32 offset1:48
	s_add_i32 s31, s59, 63
	s_ashr_i32 s44, s31, 31
	s_waitcnt lgkmcnt(0)
	v_mfma_f32_16x16x16_bf16 a[8:11], v[38:39], v[34:35], 0
	s_mul_i32 s45, s31, s37
	s_mul_hi_u32 s66, s31, s36
	s_add_i32 s45, s66, s45
	v_mfma_f32_16x16x16_bf16 a[12:15], v[38:39], v[36:37], 0
	ds_read2st64_b64 v[34:37], v116 offset0:4 offset1:8
	ds_read2st64_b64 v[38:41], v118 offset0:4 offset1:8
	s_mul_i32 s44, s44, s36
	s_waitcnt lgkmcnt(1)
	v_mfma_f32_16x16x16_bf16 a[0:3], v[54:55], v[34:35], a[0:3]
	s_add_i32 s45, s45, s44
	s_mul_i32 s44, s31, s36
	s_lshl_b64 s[44:45], s[44:45], 2
	s_waitcnt lgkmcnt(0)
	v_mfma_f32_16x16x16_bf16 a[4:7], v[54:55], v[38:39], a[4:7]
	s_add_u32 s44, s4, s44
	s_addc_u32 s45, s5, s45
	s_and_b64 vcc, exec, s[0:1]
	v_mfma_f32_16x16x16_bf16 a[8:11], v[54:55], v[42:43], a[8:11]
	ds_read_b64 v[34:35], v121 offset:49152
	ds_read_b64 v[38:39], v122 offset:49152
	;; [unrolled: 1-line block ×3, first 2 shown]
	v_mov_b32_e32 v144, 0
	v_mov_b32_e32 v143, 0
	v_mfma_f32_16x16x16_bf16 a[12:15], v[54:55], v[46:47], a[12:15]
	v_mov_b32_e32 v142, 0
	v_mov_b32_e32 v46, 0
	;; [unrolled: 1-line block ×3, first 2 shown]
	s_waitcnt lgkmcnt(2)
	v_mfma_f32_16x16x16_bf16 a[0:3], v[34:35], v[36:37], a[0:3]
	v_mov_b32_e32 v36, 0
	v_mov_b32_e32 v37, 0
	v_mfma_f32_16x16x16_bf16 a[16:19], v[34:35], v[40:41], a[4:7]
	v_mov_b32_e32 v40, 0
	v_mov_b32_e32 v41, 0
	v_mfma_f32_16x16x16_bf16 a[20:23], v[34:35], v[44:45], a[8:11]
	v_mov_b32_e32 v44, 0
	v_mov_b32_e32 v45, 0
	v_mfma_f32_16x16x16_bf16 a[24:27], v[34:35], v[48:49], a[12:15]
	ds_read_b64 v[34:35], v119 offset:6144
	v_mov_b32_e32 v48, 0
	v_mov_b32_e32 v49, 0
	s_waitcnt lgkmcnt(2)
	v_mfma_f32_16x16x16_bf16 a[4:7], v[38:39], v[52:53], a[0:3]
	v_mfma_f32_16x16x16_bf16 a[8:11], v[38:39], v[50:51], a[16:19]
	s_waitcnt lgkmcnt(0)
	v_mfma_f32_16x16x16_bf16 a[12:15], v[38:39], v[34:35], a[20:23]
	v_mov_b32_e32 v34, 0
	v_mov_b32_e32 v35, 0
	v_mfma_f32_16x16x16_bf16 a[0:3], v[38:39], v[42:43], a[24:27]
	v_mov_b32_e32 v38, 0
	v_mov_b32_e32 v39, 0
	v_mov_b32_e32 v42, 0
	v_mov_b32_e32 v43, 0
	s_cbranch_vccnz .LBB177_12
; %bb.11:                               ;   in Loop: Header=BB177_6 Depth=1
	s_and_b32 s25, s25, 0xffff
	buffer_load_dwordx4 v[46:49], v95, s[24:27], 0 offen
	buffer_load_dwordx4 v[42:45], v95, s[24:27], s61 offen
	;; [unrolled: 1-line block ×4, first 2 shown]
	v_mov_b32_e32 v143, v97
	v_mov_b32_e32 v142, v98
.LBB177_12:                             ;   in Loop: Header=BB177_6 Depth=1
	ds_read_b64 v[62:63], v115 offset:57344
	ds_read2_b64 v[50:53], v123 offset1:16
	ds_read_b64 v[146:147], v117 offset:57344
	ds_read_b64 v[148:149], v121 offset:57344
	;; [unrolled: 1-line block ×3, first 2 shown]
	v_add_u32_e32 v64, s59, v91
	s_waitcnt lgkmcnt(3)
	v_mfma_f32_16x16x16_bf16 a[4:7], v[62:63], v[50:51], a[4:7]
	v_mfma_f32_16x16x16_bf16 a[8:11], v[62:63], v[52:53], a[8:11]
	ds_read2_b64 v[50:53], v123 offset0:32 offset1:48
	ds_read2st64_b64 v[54:57], v123 offset0:4 offset1:8
	ds_read2st64_b64 v[58:61], v124 offset0:4 offset1:8
	s_waitcnt lgkmcnt(2)
	v_mfma_f32_16x16x16_bf16 a[12:15], v[62:63], v[50:51], a[12:15]
	v_ashrrev_i32_e32 v50, 31, v64
	v_mul_lo_u32 v65, v50, s36
	v_mad_u64_u32 v[50:51], s[24:25], v64, s36, 0
	v_mfma_f32_16x16x16_bf16 a[0:3], v[62:63], v[52:53], a[0:3]
	v_mul_lo_u32 v52, v64, s37
	v_add3_u32 v51, v51, v52, v65
	v_add_u32_e32 v52, 1, v64
	v_ashrrev_i32_e32 v53, 31, v52
	s_waitcnt lgkmcnt(1)
	v_mfma_f32_16x16x16_bf16 a[4:7], v[146:147], v[54:55], a[4:7]
	v_mul_lo_u32 v54, v53, s36
	v_mul_lo_u32 v55, v52, s37
	v_mad_u64_u32 v[52:53], s[24:25], v52, s36, 0
	v_add3_u32 v53, v53, v55, v54
	v_add_u32_e32 v54, 2, v64
	v_ashrrev_i32_e32 v55, 31, v54
	v_mul_lo_u32 v62, v55, s36
	v_mul_lo_u32 v63, v54, s37
	v_mad_u64_u32 v[54:55], s[24:25], v54, s36, 0
	v_add3_u32 v55, v55, v63, v62
	v_add_u32_e32 v62, 3, v64
	v_ashrrev_i32_e32 v63, 31, v62
	v_mul_lo_u32 v64, v63, s36
	v_mul_lo_u32 v65, v62, s37
	v_mad_u64_u32 v[62:63], s[24:25], v62, s36, 0
	s_ashr_i32 s25, s59, 31
	s_add_u32 s24, s58, s59
	s_addc_u32 s25, s57, s25
	v_lshl_add_u64 v[50:51], v[50:51], 2, s[4:5]
	v_add3_u32 v63, v63, v65, v64
	s_lshl_b64 s[24:25], s[24:25], 8
	v_lshl_add_u64 v[52:53], v[52:53], 2, s[4:5]
	v_lshl_add_u64 v[54:55], v[54:55], 2, s[4:5]
	;; [unrolled: 1-line block ×3, first 2 shown]
	global_load_dword v145, v[50:51], off
	global_load_dword v152, v[52:53], off
	;; [unrolled: 1-line block ×4, first 2 shown]
	v_lshl_add_u64 v[50:51], v[80:81], 0, s[24:25]
	v_lshl_add_u64 v[54:55], v[50:51], 0, v[78:79]
	global_load_ushort v155, v[54:55], off offset:256
	global_load_ushort v156, v[54:55], off
	ds_read2st64_b64 v[50:53], v125 offset0:4 offset1:8
	global_load_ushort v157, v[54:55], off offset:768
	global_load_ushort v158, v[54:55], off offset:512
	ds_read2st64_b64 v[62:65], v126 offset0:4 offset1:8
	global_load_ushort v159, v[54:55], off offset:288
	global_load_ushort v160, v[54:55], off offset:32
	;; [unrolled: 1-line block ×4, first 2 shown]
	s_waitcnt lgkmcnt(2)
	v_mfma_f32_16x16x16_bf16 a[8:11], v[146:147], v[58:59], a[8:11]
	global_load_ushort v163, v[54:55], off offset:320
	global_load_ushort v164, v[54:55], off offset:64
	;; [unrolled: 1-line block ×4, first 2 shown]
	s_and_b64 vcc, exec, s[0:1]
	s_waitcnt lgkmcnt(1)
	v_mfma_f32_16x16x16_bf16 a[12:15], v[146:147], v[50:51], a[12:15]
	ds_read_b64 v[50:51], v123 offset:6144
	s_waitcnt lgkmcnt(1)
	v_mfma_f32_16x16x16_bf16 a[0:3], v[146:147], v[62:63], a[0:3]
	v_lshl_add_u64 v[62:63], v[82:83], 0, s[24:25]
	v_lshl_add_u64 v[62:63], v[62:63], 0, v[78:79]
	v_mfma_f32_16x16x16_bf16 a[4:7], v[148:149], v[56:57], a[4:7]
	v_mfma_f32_16x16x16_bf16 a[8:11], v[148:149], v[60:61], a[8:11]
	;; [unrolled: 1-line block ×4, first 2 shown]
	global_load_ushort v148, v[54:55], off offset:352
	global_load_ushort v149, v[54:55], off offset:96
	ds_read_b64 v[52:53], v124 offset:6144
	ds_read_b64 v[56:57], v125 offset:6144
	;; [unrolled: 1-line block ×3, first 2 shown]
	s_load_dword s44, s[44:45], 0x0
	global_load_ushort v167, v[54:55], off offset:864
	global_load_ushort v168, v[54:55], off offset:608
	s_waitcnt lgkmcnt(0)
	v_mfma_f32_16x16x16_bf16 a[4:7], v[150:151], v[50:51], a[4:7]
	s_waitcnt vmcnt(17)
	v_sub_f32_e32 v60, s44, v153
	v_mfma_f32_16x16x16_bf16 a[0:3], v[150:151], v[58:59], a[0:3]
	v_sub_f32_e32 v58, s44, v145
	v_sub_f32_e32 v59, s44, v152
	s_waitcnt vmcnt(16)
	v_sub_f32_e32 v61, s44, v154
	v_mfma_f32_16x16x16_bf16 a[8:11], v[150:151], v[52:53], a[8:11]
	v_exp_f32_e32 v58, v58
	v_exp_f32_e32 v59, v59
	;; [unrolled: 1-line block ×4, first 2 shown]
	v_accvgpr_read_b32 v147, a5
	s_waitcnt vmcnt(15)
	v_lshlrev_b32_e32 v65, 16, v155
	s_waitcnt vmcnt(14)
	v_lshlrev_b32_e32 v64, 16, v156
	v_accvgpr_read_b32 v146, a4
	v_accvgpr_read_b32 v51, a7
	;; [unrolled: 1-line block ×3, first 2 shown]
	v_pk_add_f32 v[64:65], v[64:65], v[146:147] neg_lo:[0,1] neg_hi:[0,1]
	s_waitcnt vmcnt(13)
	v_lshlrev_b32_e32 v147, 16, v157
	s_waitcnt vmcnt(12)
	v_lshlrev_b32_e32 v146, 16, v158
	v_pk_add_f32 v[50:51], v[146:147], v[50:51] neg_lo:[0,1] neg_hi:[0,1]
	global_store_short_d16_hi v[62:63], v64, off
	global_store_short_d16_hi v[62:63], v65, off offset:256
	global_store_short_d16_hi v[62:63], v50, off offset:512
	global_store_short_d16_hi v[62:63], v51, off offset:768
	v_pk_mul_f32 v[64:65], v[58:59], v[64:65]
	v_pk_mul_f32 v[50:51], v[60:61], v[50:51]
	v_accvgpr_read_b32 v147, a9
	v_perm_b32 v64, v65, v64, s3
	v_perm_b32 v65, v51, v50, s3
	s_waitcnt vmcnt(15)
	v_lshlrev_b32_e32 v51, 16, v159
	s_waitcnt vmcnt(14)
	v_lshlrev_b32_e32 v50, 16, v160
	v_accvgpr_read_b32 v146, a8
	v_accvgpr_read_b32 v53, a11
	v_mfma_f32_16x16x16_bf16 a[12:15], v[150:151], v[56:57], a[12:15]
	v_accvgpr_read_b32 v52, a10
	v_pk_add_f32 v[50:51], v[50:51], v[146:147] neg_lo:[0,1] neg_hi:[0,1]
	s_waitcnt vmcnt(13)
	v_lshlrev_b32_e32 v147, 16, v161
	s_waitcnt vmcnt(12)
	v_lshlrev_b32_e32 v146, 16, v162
	v_pk_add_f32 v[52:53], v[146:147], v[52:53] neg_lo:[0,1] neg_hi:[0,1]
	global_store_short_d16_hi v[62:63], v50, off offset:32
	global_store_short_d16_hi v[62:63], v51, off offset:288
	;; [unrolled: 1-line block ×4, first 2 shown]
	v_pk_mul_f32 v[50:51], v[58:59], v[50:51]
	v_pk_mul_f32 v[52:53], v[60:61], v[52:53]
	v_accvgpr_read_b32 v55, a15
	v_perm_b32 v53, v53, v52, s3
	v_perm_b32 v52, v51, v50, s3
	ds_write2_b64 v100, v[64:65], v[52:53] offset1:16
	v_accvgpr_read_b32 v53, a13
	s_waitcnt vmcnt(15)
	v_lshlrev_b32_e32 v51, 16, v163
	s_waitcnt vmcnt(14)
	v_lshlrev_b32_e32 v50, 16, v164
	v_accvgpr_read_b32 v52, a12
	v_accvgpr_read_b32 v54, a14
	v_pk_add_f32 v[50:51], v[50:51], v[52:53] neg_lo:[0,1] neg_hi:[0,1]
	s_waitcnt vmcnt(13)
	v_lshlrev_b32_e32 v53, 16, v165
	s_waitcnt vmcnt(12)
	v_lshlrev_b32_e32 v52, 16, v166
	v_pk_add_f32 v[52:53], v[52:53], v[54:55] neg_lo:[0,1] neg_hi:[0,1]
	global_store_short_d16_hi v[62:63], v50, off offset:64
	global_store_short_d16_hi v[62:63], v51, off offset:320
	;; [unrolled: 1-line block ×4, first 2 shown]
	v_pk_mul_f32 v[50:51], v[58:59], v[50:51]
	v_pk_mul_f32 v[52:53], v[60:61], v[52:53]
	v_accvgpr_read_b32 v55, a1
	v_perm_b32 v50, v51, v50, s3
	v_perm_b32 v51, v53, v52, s3
	s_waitcnt vmcnt(15)
	v_lshlrev_b32_e32 v53, 16, v148
	s_waitcnt vmcnt(14)
	v_lshlrev_b32_e32 v52, 16, v149
	v_accvgpr_read_b32 v54, a0
	v_accvgpr_read_b32 v57, a3
	;; [unrolled: 1-line block ×3, first 2 shown]
	v_pk_add_f32 v[52:53], v[52:53], v[54:55] neg_lo:[0,1] neg_hi:[0,1]
	s_waitcnt vmcnt(13)
	v_lshlrev_b32_e32 v55, 16, v167
	s_waitcnt vmcnt(12)
	v_lshlrev_b32_e32 v54, 16, v168
	v_pk_add_f32 v[54:55], v[54:55], v[56:57] neg_lo:[0,1] neg_hi:[0,1]
	global_store_short_d16_hi v[62:63], v52, off offset:96
	global_store_short_d16_hi v[62:63], v53, off offset:352
	;; [unrolled: 1-line block ×4, first 2 shown]
	v_pk_mul_f32 v[52:53], v[58:59], v[52:53]
	v_pk_mul_f32 v[54:55], v[60:61], v[54:55]
	v_mov_b32_e32 v145, 0
	v_perm_b32 v55, v55, v54, s3
	v_perm_b32 v54, v53, v52, s3
	ds_write2_b64 v100, v[50:51], v[54:55] offset0:32 offset1:48
	v_mov_b32_e32 v50, 0
	v_mov_b32_e32 v51, 0
	;; [unrolled: 1-line block ×16, first 2 shown]
	s_cbranch_vccnz .LBB177_14
; %bb.13:                               ;   in Loop: Header=BB177_6 Depth=1
	s_and_b32 s29, s29, 0xffff
	s_mov_b32 s31, s27
	buffer_load_dwordx4 v[62:65], v137, s[28:31], 0 offen
	buffer_load_dwordx4 v[54:57], v137, s[28:31], s61 offen
	;; [unrolled: 1-line block ×4, first 2 shown]
	v_mov_b32_e32 v144, v94
	v_mov_b32_e32 v145, v93
.LBB177_14:                             ;   in Loop: Header=BB177_6 Depth=1
	s_waitcnt lgkmcnt(0)
	s_barrier
	ds_read_b64 v[154:155], v77
	ds_read2_b64 v[146:149], v130 offset1:16
	ds_read_b64 v[170:171], v139
	ds_read_b64 v[172:173], v140
	;; [unrolled: 1-line block ×3, first 2 shown]
	ds_read2_b64 v[150:153], v130 offset0:32 offset1:48
	s_waitcnt lgkmcnt(4)
	v_mfma_f32_16x16x16_bf16 a[0:3], v[154:155], v[146:147], 0
	ds_read2st64_b64 v[158:161], v132 offset0:4 offset1:8
	ds_read2st64_b64 v[162:165], v133 offset0:4 offset1:8
	;; [unrolled: 1-line block ×3, first 2 shown]
	v_mfma_f32_16x16x16_bf16 a[4:7], v[154:155], v[148:149], 0
	s_add_i32 s24, s56, s64
	s_mul_hi_i32 s25, s24, s21
	s_mul_i32 s24, s24, s21
	s_waitcnt lgkmcnt(3)
	v_mfma_f32_16x16x16_bf16 a[8:11], v[154:155], v[150:151], 0
	s_add_u32 s24, s24, s51
	s_addc_u32 s25, s25, s52
	s_lshl_b64 s[24:25], s[24:25], 15
	v_mfma_f32_16x16x16_bf16 a[12:15], v[154:155], v[152:153], 0
	ds_read2st64_b64 v[154:157], v130 offset0:4 offset1:8
	s_waitcnt lgkmcnt(0)
	v_mfma_f32_16x16x16_bf16 a[0:3], v[170:171], v[154:155], a[0:3]
	v_mfma_f32_16x16x16_bf16 a[4:7], v[170:171], v[158:159], a[4:7]
	;; [unrolled: 1-line block ×8, first 2 shown]
	ds_read_b64 v[170:171], v130 offset:6144
	ds_read_b64 v[172:173], v131 offset:40960
	;; [unrolled: 1-line block ×8, first 2 shown]
	s_waitcnt lgkmcnt(5)
	v_mfma_f32_16x16x16_bf16 a[16:19], v[176:177], v[146:147], 0
	v_mfma_f32_16x16x16_bf16 a[20:23], v[176:177], v[148:149], 0
	ds_read2st64_b64 v[146:149], v127 offset1:8
	v_mfma_f32_16x16x16_bf16 a[24:27], v[176:177], v[150:151], 0
	v_mfma_f32_16x16x16_bf16 a[28:31], v[176:177], v[152:153], 0
	ds_read2st64_b64 v[150:153], v128 offset1:8
	v_mfma_f32_16x16x16_bf16 a[16:19], v[172:173], v[154:155], a[16:19]
	s_waitcnt lgkmcnt(1)
	v_mov_b32_e32 v154, v146
	v_mov_b32_e32 v155, v147
	v_mfma_f32_16x16x16_bf16 a[20:23], v[172:173], v[158:159], a[20:23]
	v_lshl_add_u64 v[158:159], v[84:85], 0, s[24:25]
	v_mfma_f32_16x16x16_bf16 a[24:27], v[172:173], v[162:163], a[24:27]
	v_mfma_f32_16x16x16_bf16 a[28:31], v[172:173], v[166:167], a[28:31]
	;; [unrolled: 1-line block ×3, first 2 shown]
	s_waitcnt lgkmcnt(0)
	v_mov_b32_e32 v156, v150
	v_mov_b32_e32 v157, v151
	;; [unrolled: 1-line block ×3, first 2 shown]
	v_mfma_f32_16x16x16_bf16 a[32:35], v[184:185], v[160:161], a[20:23]
	v_mov_b32_e32 v151, v149
	ds_read2st64_b64 v[146:149], v127 offset0:16 offset1:24
	global_store_dwordx4 v[158:159], v[154:157], off
	v_mfma_f32_16x16x16_bf16 a[24:27], v[184:185], v[164:165], a[24:27]
	ds_read2st64_b64 v[154:157], v128 offset0:16 offset1:24
	v_add_co_u32_e32 v160, vcc, s41, v158
	v_mfma_f32_16x16x16_bf16 a[28:31], v[184:185], v[168:169], a[28:31]
	s_nop 0
	v_addc_co_u32_e32 v161, vcc, 0, v159, vcc
	global_store_dwordx4 v[160:161], v[150:153], off offset:-4096
	v_mfma_f32_16x16x16_bf16 a[0:3], v[174:175], v[170:171], a[0:3]
	s_waitcnt lgkmcnt(1)
	v_mov_b32_e32 v150, v146
	v_add_co_u32_e32 v146, vcc, s43, v158
	v_mfma_f32_16x16x16_bf16 a[4:7], v[174:175], v[178:179], a[4:7]
	v_mov_b32_e32 v151, v147
	v_addc_co_u32_e32 v147, vcc, 0, v159, vcc
	v_mfma_f32_16x16x16_bf16 a[8:11], v[174:175], v[180:181], a[8:11]
	s_waitcnt lgkmcnt(0)
	v_mov_b32_e32 v152, v154
	v_mov_b32_e32 v153, v155
	v_mov_b32_e32 v154, v148
	v_mfma_f32_16x16x16_bf16 a[12:15], v[174:175], v[182:183], a[12:15]
	v_mov_b32_e32 v155, v149
	s_and_b64 vcc, exec, s[0:1]
	global_store_dwordx4 v[160:161], v[150:153], off
	v_mfma_f32_16x16x16_bf16 a[20:23], v[186:187], v[170:171], a[16:19]
	global_store_dwordx4 v[146:147], v[154:157], off
	v_mfma_f32_16x16x16_bf16 a[16:19], v[186:187], v[178:179], a[32:35]
	v_mfma_f32_16x16x16_bf16 a[24:27], v[186:187], v[180:181], a[24:27]
	;; [unrolled: 1-line block ×3, first 2 shown]
	s_cbranch_vccnz .LBB177_16
; %bb.15:                               ;   in Loop: Header=BB177_6 Depth=1
	v_lshrrev_b32_e32 v146, 3, v144
	v_and_b32_e32 v146, 6, v146
	v_xor_b32_e32 v145, v146, v145
	v_lshlrev_b32_e32 v145, 2, v145
	v_and_b32_e32 v144, 8, v144
	v_xor_b32_e32 v147, 0x440, v145
	v_cmp_eq_u32_e32 vcc, 0, v144
	s_barrier
	s_nop 0
	v_cndmask_b32_e32 v144, v147, v145, vcc
	v_lshl_or_b32 v144, v146, 10, v144
	s_waitcnt vmcnt(5)
	v_perm_b32 v145, v62, v58, s62
	s_waitcnt vmcnt(4)
	v_perm_b32 v146, v54, v50, s62
	ds_write2st64_b32 v144, v145, v146 offset0:128 offset1:160
	v_xor_b32_e32 v145, 8, v144
	v_perm_b32 v58, v62, v58, s63
	v_perm_b32 v50, v54, v50, s63
	v_add_u32_e32 v54, 0x80, v145
	ds_write2st64_b32 v54, v58, v50 offset0:128 offset1:160
	v_xor_b32_e32 v50, 16, v144
	v_perm_b32 v54, v63, v59, s62
	v_perm_b32 v58, v55, v51, s62
	ds_write2st64_b32 v50, v54, v58 offset0:129 offset1:161
	v_xor_b32_e32 v50, 24, v144
	v_perm_b32 v54, v63, v59, s63
	v_perm_b32 v51, v55, v51, s63
	v_add_u32_e32 v50, 0x80, v50
	ds_write2st64_b32 v50, v54, v51 offset0:129 offset1:161
	v_xor_b32_e32 v50, 32, v144
	v_perm_b32 v51, v64, v60, s62
	;; [unrolled: 9-line block ×3, first 2 shown]
	v_perm_b32 v52, v57, v53, s62
	ds_write2st64_b32 v50, v51, v52 offset0:131 offset1:163
	v_xor_b32_e32 v50, 56, v144
	v_perm_b32 v51, v65, v61, s63
	v_perm_b32 v52, v57, v53, s63
	v_add_u32_e32 v50, 0x80, v50
	ds_write2st64_b32 v50, v51, v52 offset0:131 offset1:163
	ds_write_b64 v143, v[46:47] offset:49152
	v_xor_b32_e32 v46, 8, v143
	ds_write_b64 v46, v[48:49] offset:49152
	ds_write_b64 v143, v[42:43] offset:57344
	;; [unrolled: 1-line block ×4, first 2 shown]
	v_xor_b32_e32 v38, 8, v142
	ds_write_b64 v38, v[40:41] offset:49152
	ds_write_b64 v142, v[34:35] offset:57344
	ds_write_b64 v38, v[36:37] offset:57344
.LBB177_16:                             ;   in Loop: Header=BB177_6 Depth=1
	v_exp_f32_e32 v142, s44
	v_accvgpr_read_b32 v37, a3
	v_accvgpr_read_b32 v41, a7
	;; [unrolled: 1-line block ×4, first 2 shown]
	s_waitcnt vmcnt(4)
	v_accvgpr_read_b32 v53, a23
	v_accvgpr_read_b32 v57, a19
	;; [unrolled: 1-line block ×28, first 2 shown]
	s_add_i32 s59, s59, 64
	v_pk_fma_f32 v[6:7], v[6:7], v[142:143], v[34:35] op_sel_hi:[1,0,1]
	v_pk_fma_f32 v[8:9], v[8:9], v[142:143], v[36:37] op_sel_hi:[1,0,1]
	;; [unrolled: 1-line block ×15, first 2 shown]
	s_cmp_eq_u32 s53, s65
	v_pk_fma_f32 v[28:29], v[28:29], v[142:143], v[64:65] op_sel_hi:[1,0,1]
	s_cbranch_scc1 .LBB177_18
; %bb.17:                               ;   in Loop: Header=BB177_6 Depth=1
	s_mov_b32 s64, s65
	s_branch .LBB177_6
.LBB177_18:
	s_lshl_b32 s30, s53, 6
	s_sub_i32 s31, s54, s30
	s_cmp_gt_i32 s31, 0
	s_cbranch_scc0 .LBB177_99
; %bb.19:
	s_add_i32 s30, s30, s38
	s_ashr_i32 s3, s30, 31
	s_cmpk_lg_i32 s23, 0x80
	s_cselect_b64 s[26:27], -1, 0
	s_and_b64 vcc, exec, s[26:27]
	s_cbranch_vccz .LBB177_21
; %bb.20:
	s_mul_i32 s1, s30, s22
	s_ashr_i32 s4, s55, 31
	s_mul_hi_i32 s0, s30, s22
	s_add_u32 s28, s1, s55
	s_addc_u32 s29, s0, s4
	s_cbranch_execz .LBB177_22
	s_branch .LBB177_23
.LBB177_21:
                                        ; implicit-def: $sgpr28_sgpr29
.LBB177_22:
	s_mul_i32 s1, s55, s20
	s_mul_hi_i32 s0, s55, s20
	s_add_u32 s28, s1, s30
	s_addc_u32 s29, s0, s3
.LBB177_23:
	s_add_i32 s4, s53, s56
	s_add_u32 s0, s58, s30
	v_lshlrev_b32_e32 v38, 6, v91
	v_lshlrev_b32_e32 v56, 2, v88
	s_addc_u32 s1, s57, s3
	s_mov_b32 s3, 0x7060302
	v_or_b32_e32 v41, v38, v56
	v_xor_b32_e32 v39, v91, v56
	s_waitcnt vmcnt(7)
	v_perm_b32 v35, v9, v8, s3
	v_perm_b32 v34, v7, v6, s3
	s_waitcnt vmcnt(6)
	v_perm_b32 v37, v5, v4, s3
	v_perm_b32 v36, v3, v2, s3
	v_lshlrev_b32_e32 v41, 1, v41
	v_xor_b32_e32 v40, v92, v56
	ds_write2st64_b64 v41, v[34:35], v[36:37] offset0:32 offset1:48
	v_lshlrev_b32_e32 v39, 1, v39
	v_lshlrev_b32_e32 v41, 8, v88
	v_or_b32_e32 v42, v39, v41
	v_lshlrev_b32_e32 v40, 1, v40
	ds_write_b64 v42, v[34:35]
	v_or_b32_e32 v34, v40, v41
	v_or_b32_e32 v41, 16, v88
	v_lshlrev_b32_e32 v55, 2, v41
	v_or_b32_e32 v42, v38, v55
	ds_write_b64 v34, v[36:37]
	s_waitcnt vmcnt(5)
	v_perm_b32 v35, v17, v16, s3
	v_perm_b32 v34, v15, v14, s3
	s_waitcnt vmcnt(4)
	v_perm_b32 v37, v13, v12, s3
	v_perm_b32 v36, v11, v10, s3
	v_lshlrev_b32_e32 v42, 1, v42
	v_lshlrev_b32_e32 v41, 8, v41
	ds_write2st64_b64 v42, v[34:35], v[36:37] offset0:32 offset1:48
	v_or_b32_e32 v42, v39, v41
	ds_write_b64 v42, v[34:35]
	v_or_b32_e32 v34, v40, v41
	v_or_b32_e32 v41, 32, v88
	v_lshlrev_b32_e32 v54, 2, v41
	v_or_b32_e32 v42, v38, v54
	ds_write_b64 v34, v[36:37]
	s_waitcnt vmcnt(3)
	v_perm_b32 v35, v25, v24, s3
	v_perm_b32 v34, v23, v22, s3
	s_waitcnt vmcnt(2)
	v_perm_b32 v37, v21, v20, s3
	v_perm_b32 v36, v19, v18, s3
	v_lshlrev_b32_e32 v42, 1, v42
	v_lshlrev_b32_e32 v41, 8, v41
	s_lshl_b64 s[24:25], s[0:1], 8
	ds_write2st64_b64 v42, v[34:35], v[36:37] offset0:32 offset1:48
	v_or_b32_e32 v42, v39, v41
	s_add_u32 s0, s14, s24
	ds_write_b64 v42, v[34:35]
	v_or_b32_e32 v34, v40, v41
	s_addc_u32 s1, s15, s25
	ds_write_b64 v34, v[36:37]
	s_waitcnt vmcnt(1)
	v_perm_b32 v35, v33, v32, s3
	v_perm_b32 v34, v31, v30, s3
	s_waitcnt vmcnt(0)
	v_perm_b32 v37, v29, v28, s3
	v_perm_b32 v36, v27, v26, s3
	v_or_b32_e32 v41, 48, v88
	s_mul_hi_i32 s3, s4, s21
	s_mul_i32 s4, s4, s21
	v_lshlrev_b32_e32 v51, 2, v41
	s_add_u32 s4, s4, s51
	v_or_b32_e32 v38, v38, v51
	s_addc_u32 s5, s3, s52
	v_lshlrev_b32_e32 v38, 1, v38
	s_ashr_i32 s3, s2, 31
	s_lshl_b64 s[4:5], s[4:5], 15
	ds_write2st64_b64 v38, v[34:35], v[36:37] offset0:32 offset1:48
	v_lshlrev_b32_e32 v38, 8, v41
	s_add_u32 s4, s6, s4
	v_or_b32_e32 v39, v39, v38
	s_addc_u32 s5, s7, s5
	s_lshl_b64 s[2:3], s[2:3], 8
	ds_write_b64 v39, v[34:35]
	v_or_b32_e32 v34, v40, v38
	s_add_u32 s2, s4, s2
	v_lshlrev_b32_e32 v35, 1, v88
	ds_write_b64 v34, v[36:37]
	v_lshrrev_b32_e32 v34, 4, v0
	s_addc_u32 s3, s5, s3
	v_or_b32_e32 v36, 1, v35
	v_lshlrev_b32_e32 v42, 4, v88
	v_mov_b32_e32 v43, 0
	v_xor_b32_e32 v35, v34, v35
	v_xor_b32_e32 v38, v36, v34
	v_lshl_add_u64 v[44:45], s[2:3], 0, v[42:43]
	v_lshlrev_b32_e32 v42, 8, v34
	v_lshl_or_b32 v48, v35, 3, v42
	v_lshl_or_b32 v49, v38, 3, v42
	s_waitcnt lgkmcnt(0)
	s_barrier
	ds_read2st64_b64 v[34:37], v48 offset1:8
	ds_read2st64_b64 v[38:41], v49 offset1:8
	v_lshl_add_u64 v[46:47], v[44:45], 0, v[42:43]
	s_movk_i32 s2, 0x2000
	s_cmp_lg_u32 s31, 64
	s_waitcnt lgkmcnt(1)
	v_mov_b32_e32 v42, v34
	v_mov_b32_e32 v43, v35
	s_waitcnt lgkmcnt(0)
	v_mov_b32_e32 v44, v38
	v_mov_b32_e32 v45, v39
	global_store_dwordx4 v[46:47], v[42:45], off
	v_mov_b32_e32 v38, v36
	v_mov_b32_e32 v39, v37
	ds_read2st64_b64 v[34:37], v48 offset0:16 offset1:24
	ds_read2st64_b64 v[42:45], v49 offset0:16 offset1:24
	v_add_co_u32_e32 v48, vcc, s2, v46
	s_cselect_b64 s[14:15], -1, 0
	s_nop 0
	v_addc_co_u32_e32 v49, vcc, 0, v47, vcc
	global_store_dwordx4 v[48:49], v[38:41], off offset:-4096
	v_lshl_or_b32 v62, v1, 3, v90
	s_mov_b32 s4, 0
	s_waitcnt lgkmcnt(1)
	v_mov_b32_e32 v38, v34
	v_add_co_u32_e32 v34, vcc, 0x3000, v46
	v_mov_b32_e32 v39, v35
	s_nop 0
	v_addc_co_u32_e32 v35, vcc, 0, v47, vcc
	s_waitcnt lgkmcnt(0)
	v_mov_b32_e32 v40, v42
	v_mov_b32_e32 v41, v43
	;; [unrolled: 1-line block ×4, first 2 shown]
	v_or_b32_e32 v52, 32, v62
	v_and_b32_e32 v50, 56, v89
	s_and_b64 vcc, exec, s[14:15]
	global_store_dwordx4 v[48:49], v[38:41], off
	global_store_dwordx4 v[34:35], v[42:45], off
	s_cbranch_vccz .LBB177_29
; %bb.24:
	s_mov_b32 s6, s4
	s_mov_b32 s7, s4
	;; [unrolled: 1-line block ×3, first 2 shown]
	v_mov_b64_e32 v[40:41], s[6:7]
	v_mov_b64_e32 v[38:39], s[4:5]
	;; [unrolled: 1-line block ×3, first 2 shown]
	v_cmp_gt_i32_e32 vcc, s31, v62
	v_mov_b64_e32 v[36:37], v[40:41]
	s_and_saveexec_b64 s[2:3], vcc
	s_cbranch_execz .LBB177_26
; %bb.25:
	v_lshlrev_b32_e32 v34, 8, v62
	v_mov_b32_e32 v35, 0
	v_lshl_add_u64 v[36:37], s[0:1], 0, v[34:35]
	v_lshlrev_b32_e32 v34, 1, v50
	v_lshl_add_u64 v[42:43], v[36:37], 0, v[34:35]
	global_load_dwordx4 v[38:41], v[42:43], off
	global_load_dwordx4 v[34:37], v[42:43], off offset:128
.LBB177_26:
	s_or_b64 exec, exec, s[2:3]
	s_mov_b32 s6, s4
	s_mov_b32 s7, s4
	;; [unrolled: 1-line block ×3, first 2 shown]
	v_mov_b64_e32 v[48:49], s[6:7]
	v_mov_b64_e32 v[46:47], s[4:5]
	;; [unrolled: 1-line block ×3, first 2 shown]
	v_cmp_gt_i32_e32 vcc, s31, v52
	v_lshlrev_b32_e32 v53, 7, v52
	v_mov_b64_e32 v[44:45], v[48:49]
	s_and_saveexec_b64 s[2:3], vcc
	s_cbranch_execz .LBB177_28
; %bb.27:
	v_lshlrev_b32_e32 v42, 1, v53
	v_mov_b32_e32 v43, 0
	v_lshl_add_u64 v[44:45], s[0:1], 0, v[42:43]
	v_lshlrev_b32_e32 v42, 1, v50
	v_lshl_add_u64 v[58:59], v[44:45], 0, v[42:43]
	global_load_dwordx4 v[46:49], v[58:59], off
	global_load_dwordx4 v[42:45], v[58:59], off offset:128
.LBB177_28:
	s_or_b64 exec, exec, s[2:3]
	v_lshrrev_b32_e32 v57, 3, v50
	v_lshlrev_b32_e32 v58, 3, v62
	v_or_b32_e32 v57, v58, v57
	v_lshlrev_b32_e32 v57, 4, v57
	v_and_b32_e32 v58, 0x78, v58
	v_xor_b32_e32 v57, v57, v58
	s_branch .LBB177_31
.LBB177_29:
                                        ; implicit-def: $vgpr57
                                        ; implicit-def: $vgpr53
                                        ; implicit-def: $vgpr38_vgpr39_vgpr40_vgpr41
                                        ; implicit-def: $vgpr34_vgpr35_vgpr36_vgpr37
                                        ; implicit-def: $vgpr46_vgpr47_vgpr48_vgpr49
                                        ; implicit-def: $vgpr42_vgpr43_vgpr44_vgpr45
	s_cbranch_execz .LBB177_31
; %bb.30:
	s_waitcnt vmcnt(0)
	v_lshlrev_b32_e32 v34, 1, v50
	v_lshl_or_b32 v53, v62, 8, v34
	s_and_b32 s1, s1, 0xffff
	s_mov_b32 s3, 0x20000
	s_movk_i32 s2, 0x4000
	v_lshl_or_b32 v57, v52, 8, v34
	s_movk_i32 s4, 0x80
	buffer_load_dwordx4 v[38:41], v53, s[0:3], 0 offen
	buffer_load_dwordx4 v[34:37], v53, s[0:3], s4 offen
	;; [unrolled: 1-line block ×4, first 2 shown]
	v_lshrrev_b32_e32 v53, 3, v50
	v_lshlrev_b32_e32 v57, 3, v62
	v_or_b32_e32 v53, v57, v53
	v_lshlrev_b32_e32 v53, 4, v53
	v_and_b32_e32 v57, 0x78, v57
	v_xor_b32_e32 v57, v53, v57
	v_lshlrev_b32_e32 v53, 7, v52
.LBB177_31:
	s_movk_i32 s0, 0x1000
	v_and_or_b32 v52, v53, s0, v57
	s_waitcnt vmcnt(1)
	ds_write_b64 v57, v[38:39] offset:49152
	v_xor_b32_e32 v38, 8, v57
	ds_write_b64 v38, v[40:41] offset:49152
	s_waitcnt vmcnt(0)
	ds_write_b64 v57, v[34:35] offset:57344
	ds_write_b64 v38, v[36:37] offset:57344
	ds_write_b64 v52, v[46:47] offset:49152
	v_xor_b32_e32 v34, 8, v52
	ds_write_b64 v34, v[48:49] offset:49152
	ds_write_b64 v52, v[42:43] offset:57344
	ds_write_b64 v34, v[44:45] offset:57344
	v_or_b32_e32 v34, v86, v88
	v_lshlrev_b32_e32 v34, 3, v34
	v_lshrrev_b32_e32 v35, 5, v67
	s_movk_i32 s0, 0xf8
	v_and_or_b32 v35, v34, s0, v35
	v_lshlrev_b32_e32 v39, 4, v35
	v_lshlrev_b32_e32 v57, 11, v1
	v_and_b32_e32 v40, 0x78, v34
	v_or_b32_e32 v42, 32, v39
	v_and_b32_e32 v38, 0x1000, v57
	v_lshrrev_b32_e32 v35, 1, v67
	v_xor_b32_e32 v42, v42, v40
	v_xor_b32_e32 v34, v39, v40
	v_and_b32_e32 v41, 8, v35
	v_or_b32_e32 v42, v42, v38
	v_or_b32_e32 v34, v34, v38
	v_xor_b32_e32 v64, v42, v41
	v_or_b32_e32 v42, 64, v39
	v_xor_b32_e32 v63, v34, v41
	v_xor_b32_e32 v42, v42, v40
	s_waitcnt lgkmcnt(0)
	s_barrier
	v_or_b32_e32 v45, v42, v38
	ds_read_b64 v[42:43], v63 offset:49152
	v_lshl_or_b32 v46, v87, 8, v56
	v_lshlrev_b32_e32 v58, 1, v46
	v_add_u32_e32 v44, 0x4000, v58
	ds_read2_b64 v[34:37], v44 offset1:16
	v_or_b32_e32 v39, 0x60, v39
	v_xor_b32_e32 v39, v39, v40
	v_or_b32_e32 v38, v39, v38
	v_xor_b32_e32 v65, v45, v41
	v_xor_b32_e32 v77, v38, v41
	ds_read_b64 v[52:53], v64 offset:49152
	ds_read_b64 v[78:79], v65 offset:49152
	;; [unrolled: 1-line block ×3, first 2 shown]
	s_waitcnt lgkmcnt(3)
	v_mfma_f32_16x16x16_bf16 a[0:3], v[42:43], v[34:35], 0
	ds_read2st64_b64 v[38:41], v58 offset0:36 offset1:40
	s_lshl_b64 s[0:1], s[28:29], 8
	s_add_u32 s4, s12, s0
	v_mfma_f32_16x16x16_bf16 a[4:7], v[42:43], v[36:37], 0
	ds_read2_b64 v[34:37], v44 offset0:32 offset1:48
	s_addc_u32 s5, s13, s1
	s_add_i32 s1, s47, s33
	s_waitcnt lgkmcnt(0)
	v_mfma_f32_16x16x16_bf16 a[8:11], v[42:43], v[34:35], 0
	v_or_b32_e32 v34, 64, v46
	v_lshlrev_b32_e32 v59, 1, v34
	s_add_i32 s0, s39, -1
	v_mfma_f32_16x16x16_bf16 a[12:15], v[42:43], v[36:37], 0
	ds_read2st64_b64 v[34:37], v59 offset0:36 offset1:40
	s_add_i32 s43, s1, s46
	s_add_i32 s1, s49, s48
	v_mfma_f32_16x16x16_bf16 a[0:3], v[52:53], v[38:39], a[0:3]
	v_or_b32_e32 v38, 0x80, v46
	v_lshlrev_b32_e32 v60, 1, v38
	ds_read2st64_b64 v[42:45], v60 offset0:36 offset1:40
	s_waitcnt lgkmcnt(1)
	v_mfma_f32_16x16x16_bf16 a[4:7], v[52:53], v[34:35], a[4:7]
	v_or_b32_e32 v34, 0xc0, v46
	v_lshlrev_b32_e32 v61, 1, v34
	ds_read2st64_b64 v[46:49], v61 offset0:36 offset1:40
	s_add_i32 s41, s1, s50
	s_ashr_i32 s1, s0, 31
	s_mul_i32 s2, s0, s37
	s_mul_hi_u32 s3, s0, s36
	s_add_i32 s2, s3, s2
	s_mul_i32 s1, s1, s36
	s_waitcnt lgkmcnt(1)
	v_mfma_f32_16x16x16_bf16 a[8:11], v[52:53], v[42:43], a[8:11]
	s_add_i32 s1, s2, s1
	s_lshl_b64 s[2:3], s[42:43], 2
	s_add_u32 s6, s18, s2
	s_waitcnt lgkmcnt(0)
	v_mfma_f32_16x16x16_bf16 a[12:15], v[52:53], v[46:47], a[12:15]
	s_addc_u32 s7, s19, s3
	s_lshl_b64 s[2:3], s[40:41], 2
	s_mul_i32 s0, s0, s36
	v_mfma_f32_16x16x16_bf16 a[0:3], v[78:79], v[40:41], a[0:3]
	ds_read_b64 v[34:35], v58 offset:22528
	s_add_u32 s12, s6, s2
	s_addc_u32 s13, s7, s3
	v_mfma_f32_16x16x16_bf16 a[4:7], v[78:79], v[36:37], a[4:7]
	ds_read_b64 v[36:37], v59 offset:22528
	ds_read_b64 v[38:39], v60 offset:22528
	;; [unrolled: 1-line block ×3, first 2 shown]
	s_lshl_b64 s[0:1], s[0:1], 2
	s_add_u32 s0, s12, s0
	v_mfma_f32_16x16x16_bf16 a[8:11], v[78:79], v[44:45], a[8:11]
	s_addc_u32 s1, s13, s1
	s_load_dword s18, s[0:1], 0x0
	s_and_b64 vcc, exec, s[26:27]
	v_mfma_f32_16x16x16_bf16 a[12:15], v[78:79], v[48:49], a[12:15]
	s_waitcnt lgkmcnt(0)
	v_mfma_f32_16x16x16_bf16 a[0:3], v[80:81], v[34:35], a[0:3]
	v_mfma_f32_16x16x16_bf16 a[4:7], v[80:81], v[36:37], a[4:7]
	;; [unrolled: 1-line block ×4, first 2 shown]
	s_cbranch_vccz .LBB177_42
; %bb.32:
	v_lshlrev_b32_e32 v52, 1, v62
	s_and_b64 vcc, exec, s[14:15]
	s_cbranch_vccz .LBB177_43
; %bb.33:
	v_cmp_gt_i32_e32 vcc, s31, v52
	v_mov_b32_e32 v38, 0
	v_mov_b32_e32 v34, 0
	;; [unrolled: 1-line block ×5, first 2 shown]
	s_and_saveexec_b64 s[0:1], vcc
	s_cbranch_execz .LBB177_35
; %bb.34:
	v_mad_i64_i32 v[34:35], s[2:3], s23, v52, 0
	v_lshl_add_u64 v[34:35], v[34:35], 1, s[4:5]
	v_lshlrev_b32_e32 v36, 1, v50
	v_mov_b32_e32 v37, 0
	v_lshl_add_u64 v[34:35], v[34:35], 0, v[36:37]
	global_load_dwordx4 v[34:37], v[34:35], off
.LBB177_35:
	s_or_b64 exec, exec, s[0:1]
	v_or_b32_e32 v53, 1, v52
	v_cmp_gt_i32_e64 s[0:1], s31, v53
	v_mov_b32_e32 v39, 0
	v_mov_b32_e32 v40, 0
	;; [unrolled: 1-line block ×3, first 2 shown]
	s_and_saveexec_b64 s[2:3], s[0:1]
	s_cbranch_execz .LBB177_37
; %bb.36:
	v_mad_i64_i32 v[38:39], s[6:7], s23, v53, 0
	v_lshl_add_u64 v[38:39], v[38:39], 1, s[4:5]
	v_lshlrev_b32_e32 v40, 1, v50
	v_mov_b32_e32 v41, 0
	v_lshl_add_u64 v[38:39], v[38:39], 0, v[40:41]
	global_load_dwordx4 v[38:41], v[38:39], off
.LBB177_37:
	s_or_b64 exec, exec, s[2:3]
	v_mov_b32_e32 v49, 0
	v_mov_b32_e32 v42, 0
	;; [unrolled: 1-line block ×5, first 2 shown]
	s_and_saveexec_b64 s[2:3], vcc
	s_cbranch_execz .LBB177_39
; %bb.38:
	v_mad_i64_i32 v[42:43], s[6:7], s23, v52, 0
	v_lshl_add_u64 v[42:43], v[42:43], 1, s[4:5]
	v_lshlrev_b32_e32 v44, 1, v50
	v_mov_b32_e32 v45, 0
	v_lshl_add_u64 v[42:43], v[42:43], 0, v[44:45]
	global_load_dwordx4 v[42:45], v[42:43], off offset:128
.LBB177_39:
	s_or_b64 exec, exec, s[2:3]
	v_mov_b32_e32 v48, 0
	v_mov_b32_e32 v47, 0
	;; [unrolled: 1-line block ×3, first 2 shown]
	s_and_saveexec_b64 s[2:3], s[0:1]
	s_cbranch_execz .LBB177_41
; %bb.40:
	v_mad_i64_i32 v[46:47], s[0:1], s23, v53, 0
	v_lshl_add_u64 v[46:47], v[46:47], 1, s[4:5]
	v_lshlrev_b32_e32 v48, 1, v50
	v_mov_b32_e32 v49, 0
	v_lshl_add_u64 v[46:47], v[46:47], 0, v[48:49]
	global_load_dwordx4 v[46:49], v[46:47], off offset:128
.LBB177_41:
	s_or_b64 exec, exec, s[2:3]
	s_branch .LBB177_45
.LBB177_42:
                                        ; implicit-def: $vgpr37
                                        ; implicit-def: $vgpr41
                                        ; implicit-def: $vgpr45
                                        ; implicit-def: $vgpr49
	v_lshrrev_b32_e32 v67, 2, v67
	s_branch .LBB177_46
.LBB177_43:
                                        ; implicit-def: $vgpr37
                                        ; implicit-def: $vgpr41
                                        ; implicit-def: $vgpr45
                                        ; implicit-def: $vgpr49
	s_cbranch_execz .LBB177_45
; %bb.44:
	s_waitcnt vmcnt(0)
	v_mad_u64_u32 v[34:35], s[0:1], v52, s23, v[50:51]
	v_lshlrev_b32_e32 v52, 1, v34
	s_lshl_b32 s2, s23, 7
	s_and_b32 s1, s5, 0xffff
	s_mov_b32 s3, 0x20000
	s_mov_b32 s0, s4
	v_add_lshl_u32 v53, v34, s23, 1
	s_movk_i32 s6, 0x80
	buffer_load_dwordx4 v[34:37], v52, s[0:3], 0 offen
	buffer_load_dwordx4 v[42:45], v52, s[0:3], s6 offen
	;; [unrolled: 1-line block ×4, first 2 shown]
.LBB177_45:
	v_lshrrev_b32_e32 v67, 2, v67
	s_cbranch_execnz .LBB177_58
.LBB177_46:
	s_and_b64 vcc, exec, s[14:15]
	s_cbranch_vccz .LBB177_56
; %bb.47:
	s_waitcnt vmcnt(0)
	v_lshlrev_b32_e32 v39, 1, v62
	v_cmp_gt_i32_e32 vcc, s31, v39
	v_mov_b32_e32 v38, 0
	v_lshlrev_b32_e32 v46, 9, v62
	v_mov_b32_e32 v34, 0
	v_mov_b32_e32 v35, 0
	;; [unrolled: 1-line block ×4, first 2 shown]
	s_and_saveexec_b64 s[0:1], vcc
	s_cbranch_execz .LBB177_49
; %bb.48:
	v_mov_b32_e32 v47, 0
	v_lshl_add_u64 v[34:35], s[4:5], 0, v[46:47]
	v_lshlrev_b32_e32 v36, 1, v50
	v_mov_b32_e32 v37, v47
	v_lshl_add_u64 v[34:35], v[34:35], 0, v[36:37]
	global_load_dwordx4 v[34:37], v[34:35], off
.LBB177_49:
	s_or_b64 exec, exec, s[0:1]
	v_or_b32_e32 v39, 1, v39
	v_cmp_gt_i32_e64 s[0:1], s31, v39
	v_lshlrev_b32_e32 v52, 8, v39
	v_mov_b32_e32 v39, 0
	v_mov_b32_e32 v40, 0
	;; [unrolled: 1-line block ×3, first 2 shown]
	s_and_saveexec_b64 s[2:3], s[0:1]
	s_cbranch_execz .LBB177_51
; %bb.50:
	v_mov_b32_e32 v53, 0
	v_lshl_add_u64 v[38:39], s[4:5], 0, v[52:53]
	v_lshlrev_b32_e32 v40, 1, v50
	v_mov_b32_e32 v41, v53
	v_lshl_add_u64 v[38:39], v[38:39], 0, v[40:41]
	global_load_dwordx4 v[38:41], v[38:39], off
.LBB177_51:
	s_or_b64 exec, exec, s[2:3]
	v_mov_b32_e32 v49, 0
	v_mov_b32_e32 v42, 0
	;; [unrolled: 1-line block ×5, first 2 shown]
	s_and_saveexec_b64 s[2:3], vcc
	s_cbranch_execz .LBB177_53
; %bb.52:
	v_mov_b32_e32 v47, 0
	v_lshl_add_u64 v[42:43], s[4:5], 0, v[46:47]
	v_lshlrev_b32_e32 v46, 1, v50
	v_lshl_add_u64 v[42:43], v[42:43], 0, v[46:47]
	global_load_dwordx4 v[42:45], v[42:43], off offset:128
.LBB177_53:
	s_or_b64 exec, exec, s[2:3]
	v_mov_b32_e32 v48, 0
	v_mov_b32_e32 v47, 0
	;; [unrolled: 1-line block ×3, first 2 shown]
	s_and_saveexec_b64 s[2:3], s[0:1]
	s_cbranch_execz .LBB177_55
; %bb.54:
	v_mov_b32_e32 v53, 0
	v_lshl_add_u64 v[46:47], s[4:5], 0, v[52:53]
	v_lshlrev_b32_e32 v52, 1, v50
	v_lshl_add_u64 v[46:47], v[46:47], 0, v[52:53]
	global_load_dwordx4 v[46:49], v[46:47], off offset:128
.LBB177_55:
	s_or_b64 exec, exec, s[2:3]
	s_branch .LBB177_58
.LBB177_56:
                                        ; implicit-def: $vgpr37
                                        ; implicit-def: $vgpr41
                                        ; implicit-def: $vgpr45
                                        ; implicit-def: $vgpr49
	s_cbranch_execz .LBB177_58
; %bb.57:
	s_waitcnt vmcnt(0)
	v_lshlrev_b32_e32 v34, 1, v50
	v_lshl_or_b32 v50, v62, 9, v34
	s_and_b32 s5, s5, 0xffff
	s_mov_b32 s7, 0x20000
	s_movk_i32 s6, 0x4000
	s_movk_i32 s0, 0x80
	buffer_load_dwordx4 v[34:37], v50, s[4:7], 0 offen
	buffer_load_dwordx4 v[38:41], v50, s[4:7], 0 offen offset:256
	buffer_load_dwordx4 v[42:45], v50, s[4:7], s0 offen
	buffer_load_dwordx4 v[46:49], v50, s[4:7], s0 offen offset:256
.LBB177_58:
	ds_read_b64 v[52:53], v63 offset:57344
	v_add_u32_e32 v50, 0x6000, v58
	ds_read2_b64 v[78:81], v50 offset1:16
	ds_read_b64 v[96:97], v64 offset:57344
	ds_read_b64 v[64:65], v65 offset:57344
	;; [unrolled: 1-line block ×3, first 2 shown]
	ds_read2st64_b64 v[82:85], v58 offset0:52 offset1:56
	v_and_b32_e32 v63, 1, v0
	v_cmp_eq_u32_e32 vcc, 0, v63
	s_mov_b32 s0, 0x1000504
	s_waitcnt vmcnt(0)
	v_perm_b32 v63, v42, v46, s0
	s_mov_b32 s1, 0x3020706
	s_waitcnt lgkmcnt(4)
	v_mfma_f32_16x16x16_bf16 a[0:3], v[52:53], v[78:79], a[0:3]
	v_mfma_f32_16x16x16_bf16 a[4:7], v[52:53], v[80:81], a[4:7]
	ds_read2_b64 v[78:81], v50 offset0:32 offset1:48
	v_and_b32_e32 v50, 6, v0
	v_xor_b32_e32 v62, v62, v50
	s_waitcnt lgkmcnt(0)
	v_mfma_f32_16x16x16_bf16 a[8:11], v[52:53], v[78:79], a[8:11]
	v_lshlrev_b32_e32 v62, 2, v62
	v_xor_b32_e32 v77, 0x440, v62
	v_cndmask_b32_e32 v62, v77, v62, vcc
	v_mfma_f32_16x16x16_bf16 a[12:15], v[52:53], v[80:81], a[12:15]
	ds_read2st64_b64 v[78:81], v59 offset0:52 offset1:56
	ds_read2st64_b64 v[88:91], v60 offset0:52 offset1:56
	;; [unrolled: 1-line block ×3, first 2 shown]
	v_lshl_or_b32 v50, v50, 10, v62
	v_perm_b32 v62, v34, v38, s0
	v_mfma_f32_16x16x16_bf16 a[0:3], v[96:97], v[82:83], a[0:3]
	ds_read_b64 v[52:53], v58 offset:30720
	ds_read_b64 v[82:83], v59 offset:30720
	;; [unrolled: 1-line block ×4, first 2 shown]
	ds_write2st64_b32 v50, v62, v63 offset0:128 offset1:160
	v_xor_b32_e32 v62, 8, v50
	s_waitcnt lgkmcnt(7)
	v_mfma_f32_16x16x16_bf16 a[4:7], v[96:97], v[78:79], a[4:7]
	v_perm_b32 v34, v34, v38, s1
	v_perm_b32 v38, v42, v46, s1
	v_add_u32_e32 v42, 0x80, v62
	s_waitcnt lgkmcnt(6)
	v_mfma_f32_16x16x16_bf16 a[8:11], v[96:97], v[88:89], a[8:11]
	ds_write2st64_b32 v42, v34, v38 offset0:128 offset1:160
	v_xor_b32_e32 v34, 16, v50
	v_perm_b32 v38, v35, v39, s0
	s_waitcnt lgkmcnt(6)
	v_mfma_f32_16x16x16_bf16 a[12:15], v[96:97], v[92:93], a[12:15]
	v_perm_b32 v42, v43, v47, s0
	ds_write2st64_b32 v34, v38, v42 offset0:129 offset1:161
	v_xor_b32_e32 v34, 24, v50
	v_mfma_f32_16x16x16_bf16 a[0:3], v[64:65], v[84:85], a[0:3]
	v_perm_b32 v35, v35, v39, s1
	v_perm_b32 v38, v43, v47, s1
	v_add_u32_e32 v34, 0x80, v34
	v_mfma_f32_16x16x16_bf16 a[4:7], v[64:65], v[80:81], a[4:7]
	ds_write2st64_b32 v34, v35, v38 offset0:129 offset1:161
	v_xor_b32_e32 v34, 32, v50
	v_perm_b32 v35, v36, v40, s0
	v_mfma_f32_16x16x16_bf16 a[16:19], v[64:65], v[90:91], a[8:11]
	v_perm_b32 v38, v44, v48, s0
	ds_write2st64_b32 v34, v35, v38 offset0:130 offset1:162
	v_xor_b32_e32 v34, 40, v50
	v_mfma_f32_16x16x16_bf16 a[20:23], v[64:65], v[94:95], a[12:15]
	v_perm_b32 v35, v36, v40, s1
	v_perm_b32 v36, v44, v48, s1
	v_add_u32_e32 v34, 0x80, v34
	s_waitcnt lgkmcnt(8)
	v_mfma_f32_16x16x16_bf16 a[12:15], v[98:99], v[52:53], a[0:3]
	ds_write2st64_b32 v34, v35, v36 offset0:130 offset1:162
	v_xor_b32_e32 v34, 48, v50
	v_perm_b32 v35, v37, v41, s0
	s_waitcnt lgkmcnt(8)
	v_mfma_f32_16x16x16_bf16 a[8:11], v[98:99], v[82:83], a[4:7]
	v_perm_b32 v36, v45, v49, s0
	ds_write2st64_b32 v34, v35, v36 offset0:131 offset1:163
	v_xor_b32_e32 v34, 56, v50
	s_waitcnt lgkmcnt(8)
	v_mfma_f32_16x16x16_bf16 a[4:7], v[98:99], v[100:101], a[16:19]
	v_and_or_b32 v63, v67, 12, v86
	v_perm_b32 v35, v37, v41, s1
	v_perm_b32 v36, v45, v49, s1
	s_waitcnt lgkmcnt(7)
	v_mfma_f32_16x16x16_bf16 a[0:3], v[98:99], v[102:103], a[20:23]
	v_add_u32_e32 v34, 0x80, v34
	v_cmp_gt_i32_e64 s[0:1], s31, v63
	v_mov_b32_e32 v52, 0
	v_mov_b32_e32 v53, 0
	ds_write2st64_b32 v34, v35, v36 offset0:131 offset1:163
	s_and_saveexec_b64 s[2:3], s[0:1]
	s_cbranch_execz .LBB177_60
; %bb.59:
	v_add_u32_e32 v34, s30, v63
	v_ashrrev_i32_e32 v35, 31, v34
	v_mul_lo_u32 v36, v35, s36
	v_mul_lo_u32 v37, v34, s37
	v_mad_u64_u32 v[34:35], s[4:5], v34, s36, 0
	v_add3_u32 v35, v35, v37, v36
	v_lshl_add_u64 v[34:35], v[34:35], 2, s[12:13]
	global_load_dword v34, v[34:35], off
	s_waitcnt vmcnt(0)
	v_sub_f32_e32 v34, s18, v34
	v_exp_f32_e32 v53, v34
.LBB177_60:
	s_or_b64 exec, exec, s[2:3]
	v_or_b32_e32 v46, 1, v63
	v_cmp_gt_i32_e64 s[4:5], s31, v46
	s_and_saveexec_b64 s[2:3], s[4:5]
	s_cbranch_execz .LBB177_62
; %bb.61:
	v_add_u32_e32 v34, s30, v46
	v_ashrrev_i32_e32 v35, 31, v34
	v_mul_lo_u32 v36, v35, s36
	v_mul_lo_u32 v37, v34, s37
	v_mad_u64_u32 v[34:35], s[6:7], v34, s36, 0
	v_add3_u32 v35, v35, v37, v36
	v_lshl_add_u64 v[34:35], v[34:35], 2, s[12:13]
	global_load_dword v34, v[34:35], off
	s_waitcnt vmcnt(0)
	v_sub_f32_e32 v34, s18, v34
	v_exp_f32_e32 v52, v34
.LBB177_62:
	s_or_b64 exec, exec, s[2:3]
	v_or_b32_e32 v42, 2, v63
	v_cmp_gt_i32_e64 s[2:3], s31, v42
	v_mov_b32_e32 v50, 0
	v_mov_b32_e32 v62, 0
	s_and_saveexec_b64 s[6:7], s[2:3]
	s_cbranch_execz .LBB177_64
; %bb.63:
	v_add_u32_e32 v34, s30, v42
	v_ashrrev_i32_e32 v35, 31, v34
	v_mul_lo_u32 v36, v35, s36
	v_mul_lo_u32 v37, v34, s37
	v_mad_u64_u32 v[34:35], s[14:15], v34, s36, 0
	v_add3_u32 v35, v35, v37, v36
	v_lshl_add_u64 v[34:35], v[34:35], 2, s[12:13]
	global_load_dword v34, v[34:35], off
	s_waitcnt vmcnt(0)
	v_sub_f32_e32 v34, s18, v34
	v_exp_f32_e32 v62, v34
.LBB177_64:
	s_or_b64 exec, exec, s[6:7]
	v_or_b32_e32 v43, 3, v63
	v_cmp_gt_i32_e32 vcc, s31, v43
	s_and_saveexec_b64 s[6:7], vcc
	s_cbranch_execz .LBB177_66
; %bb.65:
	v_add_u32_e32 v34, s30, v43
	v_ashrrev_i32_e32 v35, 31, v34
	v_mul_lo_u32 v36, v35, s36
	v_mul_lo_u32 v37, v34, s37
	v_mad_u64_u32 v[34:35], s[14:15], v34, s36, 0
	v_add3_u32 v35, v35, v37, v36
	v_lshl_add_u64 v[34:35], v[34:35], 2, s[12:13]
	global_load_dword v34, v[34:35], off
	s_waitcnt vmcnt(0)
	v_sub_f32_e32 v34, s18, v34
	v_exp_f32_e32 v50, v34
.LBB177_66:
	s_or_b64 exec, exec, s[6:7]
	s_add_u32 s6, s16, s24
	s_addc_u32 s7, s17, s25
	s_add_u32 s8, s8, s24
	v_ashrrev_i32_e32 v77, 31, v76
	v_accvgpr_read_b32 v37, a15
	s_addc_u32 s9, s9, s25
	v_lshlrev_b64 v[38:39], 1, v[76:77]
	v_accvgpr_read_b32 v36, a14
	v_accvgpr_read_b32 v35, a13
	;; [unrolled: 1-line block ×3, first 2 shown]
	v_lshl_add_u64 v[40:41], s[6:7], 0, v[38:39]
	v_lshl_add_u64 v[38:39], s[8:9], 0, v[38:39]
	v_mov_b32_e32 v47, 0
	v_lshlrev_b32_e32 v44, 8, v63
	v_mov_b32_e32 v45, 0
	s_and_saveexec_b64 s[6:7], s[0:1]
	s_cbranch_execz .LBB177_68
; %bb.67:
	v_mov_b32_e32 v45, 0
	v_lshl_add_u64 v[48:49], v[40:41], 0, v[44:45]
	global_load_ushort v64, v[48:49], off
	v_lshl_add_u64 v[48:49], v[38:39], 0, v[44:45]
	s_waitcnt vmcnt(0)
	v_lshlrev_b32_e32 v45, 16, v64
	v_sub_f32_e32 v34, v45, v34
	global_store_short_d16_hi v[48:49], v34, off
	v_mul_f32_e32 v34, v53, v34
	v_lshrrev_b32_e32 v45, 16, v34
.LBB177_68:
	s_or_b64 exec, exec, s[6:7]
	v_lshlrev_b32_e32 v46, 8, v46
	s_and_saveexec_b64 s[6:7], s[4:5]
	s_cbranch_execz .LBB177_70
; %bb.69:
	v_mov_b32_e32 v47, 0
	v_lshl_add_u64 v[48:49], v[40:41], 0, v[46:47]
	global_load_ushort v34, v[48:49], off
	v_lshl_add_u64 v[48:49], v[38:39], 0, v[46:47]
	s_waitcnt vmcnt(0)
	v_lshlrev_b32_e32 v34, 16, v34
	v_sub_f32_e32 v34, v34, v35
	global_store_short_d16_hi v[48:49], v34, off
	v_mul_f32_e32 v34, v52, v34
	v_lshrrev_b32_e32 v47, 16, v34
.LBB177_70:
	s_or_b64 exec, exec, s[6:7]
	v_mov_b32_e32 v64, 0
	v_lshlrev_b32_e32 v48, 8, v42
	v_mov_b32_e32 v49, 0
	s_and_saveexec_b64 s[6:7], s[2:3]
	s_cbranch_execz .LBB177_72
; %bb.71:
	v_mov_b32_e32 v49, 0
	v_lshl_add_u64 v[34:35], v[40:41], 0, v[48:49]
	global_load_ushort v42, v[34:35], off
	v_lshl_add_u64 v[34:35], v[38:39], 0, v[48:49]
	s_waitcnt vmcnt(0)
	v_lshlrev_b32_e32 v42, 16, v42
	v_sub_f32_e32 v36, v42, v36
	global_store_short_d16_hi v[34:35], v36, off
	v_mul_f32_e32 v34, v62, v36
	v_lshrrev_b32_e32 v49, 16, v34
.LBB177_72:
	s_or_b64 exec, exec, s[6:7]
	v_lshlrev_b32_e32 v42, 8, v43
	s_and_saveexec_b64 s[6:7], vcc
	s_cbranch_execz .LBB177_74
; %bb.73:
	v_mov_b32_e32 v43, 0
	v_lshl_add_u64 v[34:35], v[40:41], 0, v[42:43]
	global_load_ushort v36, v[34:35], off
	v_lshl_add_u64 v[34:35], v[38:39], 0, v[42:43]
	s_waitcnt vmcnt(0)
	v_lshlrev_b32_e32 v36, 16, v36
	v_sub_f32_e32 v36, v36, v37
	global_store_short_d16_hi v[34:35], v36, off
	v_mul_f32_e32 v34, v50, v36
	v_lshrrev_b32_e32 v64, 16, v34
.LBB177_74:
	s_or_b64 exec, exec, s[6:7]
	v_lshlrev_b32_e32 v63, 6, v63
	v_accvgpr_read_b32 v37, a11
	s_mov_b32 s6, 0x5040100
	v_or_b32_e32 v43, v63, v56
	v_accvgpr_read_b32 v36, a10
	v_accvgpr_read_b32 v35, a9
	;; [unrolled: 1-line block ×3, first 2 shown]
	v_perm_b32 v65, v64, v49, s6
	v_perm_b32 v64, v47, v45, s6
	v_lshlrev_b32_e32 v43, 1, v43
	v_mov_b32_e32 v47, 0
	v_mov_b32_e32 v45, 0
	ds_write_b64 v43, v[64:65] offset:24576
	s_and_saveexec_b64 s[6:7], s[0:1]
	s_cbranch_execz .LBB177_76
; %bb.75:
	v_mov_b32_e32 v45, 0
	v_lshl_add_u64 v[64:65], v[40:41], 0, v[44:45]
	global_load_ushort v43, v[64:65], off offset:32
	v_lshl_add_u64 v[64:65], v[38:39], 0, v[44:45]
	s_waitcnt vmcnt(0)
	v_lshlrev_b32_e32 v43, 16, v43
	v_sub_f32_e32 v34, v43, v34
	global_store_short_d16_hi v[64:65], v34, off offset:32
	v_mul_f32_e32 v34, v53, v34
	v_lshrrev_b32_e32 v45, 16, v34
.LBB177_76:
	s_or_b64 exec, exec, s[6:7]
	s_and_saveexec_b64 s[6:7], s[4:5]
	s_cbranch_execz .LBB177_78
; %bb.77:
	v_mov_b32_e32 v47, 0
	v_lshl_add_u64 v[64:65], v[40:41], 0, v[46:47]
	global_load_ushort v34, v[64:65], off offset:32
	v_lshl_add_u64 v[64:65], v[38:39], 0, v[46:47]
	s_waitcnt vmcnt(0)
	v_lshlrev_b32_e32 v34, 16, v34
	v_sub_f32_e32 v34, v34, v35
	global_store_short_d16_hi v[64:65], v34, off offset:32
	v_mul_f32_e32 v34, v52, v34
	v_lshrrev_b32_e32 v47, 16, v34
.LBB177_78:
	s_or_b64 exec, exec, s[6:7]
	v_mov_b32_e32 v43, 0
	v_mov_b32_e32 v49, 0
	s_and_saveexec_b64 s[6:7], s[2:3]
	s_cbranch_execz .LBB177_80
; %bb.79:
	v_mov_b32_e32 v49, 0
	v_lshl_add_u64 v[34:35], v[40:41], 0, v[48:49]
	global_load_ushort v56, v[34:35], off offset:32
	v_lshl_add_u64 v[34:35], v[38:39], 0, v[48:49]
	s_waitcnt vmcnt(0)
	v_lshlrev_b32_e32 v49, 16, v56
	v_sub_f32_e32 v36, v49, v36
	global_store_short_d16_hi v[34:35], v36, off offset:32
	v_mul_f32_e32 v34, v62, v36
	v_lshrrev_b32_e32 v49, 16, v34
.LBB177_80:
	s_or_b64 exec, exec, s[6:7]
	s_and_saveexec_b64 s[6:7], vcc
	s_cbranch_execz .LBB177_82
; %bb.81:
	v_mov_b32_e32 v43, 0
	v_lshl_add_u64 v[34:35], v[40:41], 0, v[42:43]
	global_load_ushort v36, v[34:35], off offset:32
	v_lshl_add_u64 v[34:35], v[38:39], 0, v[42:43]
	s_waitcnt vmcnt(0)
	v_lshlrev_b32_e32 v36, 16, v36
	v_sub_f32_e32 v36, v36, v37
	global_store_short_d16_hi v[34:35], v36, off offset:32
	v_mul_f32_e32 v34, v50, v36
	v_lshrrev_b32_e32 v43, 16, v34
.LBB177_82:
	s_or_b64 exec, exec, s[6:7]
	s_mov_b32 s6, 0x5040100
	v_accvgpr_read_b32 v37, a7
	v_perm_b32 v65, v43, v49, s6
	v_or_b32_e32 v43, v63, v55
	v_accvgpr_read_b32 v36, a6
	v_accvgpr_read_b32 v35, a5
	;; [unrolled: 1-line block ×3, first 2 shown]
	v_perm_b32 v64, v47, v45, s6
	v_lshlrev_b32_e32 v43, 1, v43
	v_mov_b32_e32 v47, 0
	v_mov_b32_e32 v45, 0
	ds_write_b64 v43, v[64:65] offset:24576
	s_and_saveexec_b64 s[6:7], s[0:1]
	s_cbranch_execz .LBB177_84
; %bb.83:
	v_mov_b32_e32 v45, 0
	v_lshl_add_u64 v[64:65], v[40:41], 0, v[44:45]
	global_load_ushort v43, v[64:65], off offset:64
	v_lshl_add_u64 v[64:65], v[38:39], 0, v[44:45]
	s_waitcnt vmcnt(0)
	v_lshlrev_b32_e32 v43, 16, v43
	v_sub_f32_e32 v34, v43, v34
	global_store_short_d16_hi v[64:65], v34, off offset:64
	v_mul_f32_e32 v34, v53, v34
	v_lshrrev_b32_e32 v45, 16, v34
.LBB177_84:
	s_or_b64 exec, exec, s[6:7]
	s_and_saveexec_b64 s[6:7], s[4:5]
	s_cbranch_execz .LBB177_86
; %bb.85:
	v_mov_b32_e32 v47, 0
	v_lshl_add_u64 v[64:65], v[40:41], 0, v[46:47]
	global_load_ushort v34, v[64:65], off offset:64
	v_lshl_add_u64 v[64:65], v[38:39], 0, v[46:47]
	s_waitcnt vmcnt(0)
	v_lshlrev_b32_e32 v34, 16, v34
	v_sub_f32_e32 v34, v34, v35
	global_store_short_d16_hi v[64:65], v34, off offset:64
	v_mul_f32_e32 v34, v52, v34
	v_lshrrev_b32_e32 v47, 16, v34
.LBB177_86:
	s_or_b64 exec, exec, s[6:7]
	v_mov_b32_e32 v43, 0
	v_mov_b32_e32 v49, 0
	s_and_saveexec_b64 s[6:7], s[2:3]
	s_cbranch_execz .LBB177_88
; %bb.87:
	v_mov_b32_e32 v49, 0
	v_lshl_add_u64 v[34:35], v[40:41], 0, v[48:49]
	global_load_ushort v55, v[34:35], off offset:64
	v_lshl_add_u64 v[34:35], v[38:39], 0, v[48:49]
	s_waitcnt vmcnt(0)
	v_lshlrev_b32_e32 v49, 16, v55
	v_sub_f32_e32 v36, v49, v36
	global_store_short_d16_hi v[34:35], v36, off offset:64
	v_mul_f32_e32 v34, v62, v36
	v_lshrrev_b32_e32 v49, 16, v34
.LBB177_88:
	s_or_b64 exec, exec, s[6:7]
	s_and_saveexec_b64 s[6:7], vcc
	s_cbranch_execz .LBB177_90
; %bb.89:
	v_mov_b32_e32 v43, 0
	v_lshl_add_u64 v[34:35], v[40:41], 0, v[42:43]
	global_load_ushort v36, v[34:35], off offset:64
	v_lshl_add_u64 v[34:35], v[38:39], 0, v[42:43]
	s_waitcnt vmcnt(0)
	v_lshlrev_b32_e32 v36, 16, v36
	v_sub_f32_e32 v36, v36, v37
	global_store_short_d16_hi v[34:35], v36, off offset:64
	v_mul_f32_e32 v34, v50, v36
	v_lshrrev_b32_e32 v43, 16, v34
.LBB177_90:
	s_or_b64 exec, exec, s[6:7]
	s_mov_b32 s6, 0x5040100
	v_accvgpr_read_b32 v37, a3
	v_perm_b32 v65, v43, v49, s6
	v_or_b32_e32 v43, v63, v54
	v_accvgpr_read_b32 v36, a2
	v_accvgpr_read_b32 v35, a1
	;; [unrolled: 1-line block ×3, first 2 shown]
	v_perm_b32 v64, v47, v45, s6
	v_lshlrev_b32_e32 v43, 1, v43
	v_mov_b32_e32 v47, 0
	v_mov_b32_e32 v45, 0
	ds_write_b64 v43, v[64:65] offset:24576
	s_and_saveexec_b64 s[6:7], s[0:1]
	s_cbranch_execz .LBB177_92
; %bb.91:
	v_mov_b32_e32 v45, 0
	v_lshl_add_u64 v[54:55], v[40:41], 0, v[44:45]
	global_load_ushort v43, v[54:55], off offset:96
	v_lshl_add_u64 v[44:45], v[38:39], 0, v[44:45]
	s_waitcnt vmcnt(0)
	v_lshlrev_b32_e32 v43, 16, v43
	v_sub_f32_e32 v34, v43, v34
	global_store_short_d16_hi v[44:45], v34, off offset:96
	v_mul_f32_e32 v34, v53, v34
	v_lshrrev_b32_e32 v45, 16, v34
.LBB177_92:
	s_or_b64 exec, exec, s[6:7]
	s_and_saveexec_b64 s[0:1], s[4:5]
	s_cbranch_execz .LBB177_94
; %bb.93:
	v_mov_b32_e32 v47, 0
	v_lshl_add_u64 v[54:55], v[40:41], 0, v[46:47]
	global_load_ushort v34, v[54:55], off offset:96
	v_lshl_add_u64 v[46:47], v[38:39], 0, v[46:47]
	s_waitcnt vmcnt(0)
	v_lshlrev_b32_e32 v34, 16, v34
	v_sub_f32_e32 v34, v34, v35
	global_store_short_d16_hi v[46:47], v34, off offset:96
	v_mul_f32_e32 v34, v52, v34
	v_lshrrev_b32_e32 v47, 16, v34
.LBB177_94:
	s_or_b64 exec, exec, s[0:1]
	v_mov_b32_e32 v43, 0
	v_mov_b32_e32 v46, 0
	s_and_saveexec_b64 s[0:1], s[2:3]
	s_cbranch_execz .LBB177_96
; %bb.95:
	v_mov_b32_e32 v49, 0
	v_lshl_add_u64 v[34:35], v[40:41], 0, v[48:49]
	global_load_ushort v44, v[34:35], off offset:96
	v_lshl_add_u64 v[34:35], v[38:39], 0, v[48:49]
	s_waitcnt vmcnt(0)
	v_lshlrev_b32_e32 v44, 16, v44
	v_sub_f32_e32 v36, v44, v36
	global_store_short_d16_hi v[34:35], v36, off offset:96
	v_mul_f32_e32 v34, v62, v36
	v_lshrrev_b32_e32 v46, 16, v34
.LBB177_96:
	s_or_b64 exec, exec, s[0:1]
	v_or_b32_e32 v44, 0x6000, v58
	v_or_b32_e32 v36, 0x6000, v59
	;; [unrolled: 1-line block ×4, first 2 shown]
	s_and_saveexec_b64 s[0:1], vcc
	s_cbranch_execz .LBB177_98
; %bb.97:
	v_mov_b32_e32 v43, 0
	v_lshl_add_u64 v[40:41], v[40:41], 0, v[42:43]
	global_load_ushort v40, v[40:41], off offset:96
	v_lshl_add_u64 v[38:39], v[38:39], 0, v[42:43]
	s_waitcnt vmcnt(0)
	v_lshlrev_b32_e32 v40, 16, v40
	v_sub_f32_e32 v37, v40, v37
	global_store_short_d16_hi v[38:39], v37, off offset:96
	v_mul_f32_e32 v37, v50, v37
	v_lshrrev_b32_e32 v43, 16, v37
.LBB177_98:
	s_or_b64 exec, exec, s[0:1]
	s_mov_b32 s0, 0x5040100
	v_or_b32_e32 v37, v63, v51
	v_perm_b32 v39, v43, v46, s0
	v_perm_b32 v38, v47, v45, s0
	v_lshlrev_b32_e32 v37, 1, v37
	s_movk_i32 s0, 0x100
	ds_write_b64 v37, v[38:39] offset:24576
	v_and_b32_e32 v37, 7, v0
	v_and_b32_e32 v38, 8, v0
	v_cmp_gt_u32_e32 vcc, s0, v0
	v_lshrrev_b32_e32 v0, 1, v0
	v_lshlrev_b32_e32 v55, 3, v1
	v_and_b32_e32 v56, 24, v0
	v_mov_b32_e32 v39, 0xa000
	v_mov_b32_e32 v40, 0x8000
	v_xor_b32_e32 v0, v55, v56
	v_cndmask_b32_e32 v54, v39, v40, vcc
	v_or_b32_e32 v1, 0x440, v0
	v_cmp_eq_u32_e32 vcc, 0, v38
	v_lshlrev_b32_e32 v45, 3, v37
	v_lshlrev_b32_e32 v37, 7, v37
	v_cndmask_b32_e32 v0, v1, v0, vcc
	v_or_b32_e32 v0, v0, v57
	v_xad_u32 v67, v0, v45, v37
	v_or_b32_e32 v42, 32, v56
	v_add_u32_e32 v0, v54, v67
	v_xor_b32_e32 v42, v55, v42
	s_waitcnt lgkmcnt(0)
	s_barrier
	ds_read_b64 v[0:1], v0
	ds_read2_b64 v[38:41], v44 offset1:16
	ds_read2_b64 v[46:49], v44 offset0:32 offset1:48
	v_or_b32_e32 v43, 0x440, v42
	v_cndmask_b32_e32 v42, v43, v42, vcc
	v_or_b32_e32 v42, v42, v57
	v_xad_u32 v80, v42, v45, v37
	v_add_u32_e32 v42, v54, v80
	s_waitcnt lgkmcnt(1)
	v_mfma_f32_16x16x16_bf16 a[0:3], v[0:1], v[38:39], 0
	ds_read_b64 v[42:43], v42
	ds_read2st64_b64 v[50:53], v44 offset0:4 offset1:8
	ds_read2st64_b64 v[58:61], v36 offset0:4 offset1:8
	v_mfma_f32_16x16x16_bf16 a[4:7], v[0:1], v[40:41], 0
	ds_read2st64_b64 v[62:65], v35 offset0:4 offset1:8
	ds_read2st64_b64 v[76:79], v34 offset0:4 offset1:8
	s_waitcnt lgkmcnt(5)
	v_mfma_f32_16x16x16_bf16 a[8:11], v[0:1], v[46:47], 0
	v_mfma_f32_16x16x16_bf16 a[12:15], v[0:1], v[48:49], 0
	v_or_b32_e32 v0, 64, v56
	v_xor_b32_e32 v0, v55, v0
	v_xor_b32_e32 v1, 0x440, v0
	v_cndmask_b32_e32 v0, v1, v0, vcc
	v_or_b32_e32 v0, v0, v57
	v_xad_u32 v81, v0, v45, v37
	v_add_u32_e32 v0, v54, v81
	ds_read_b64 v[0:1], v0
	s_waitcnt lgkmcnt(4)
	v_mfma_f32_16x16x16_bf16 a[0:3], v[42:43], v[50:51], a[0:3]
	s_waitcnt lgkmcnt(3)
	v_mfma_f32_16x16x16_bf16 a[4:7], v[42:43], v[58:59], a[4:7]
	;; [unrolled: 2-line block ×4, first 2 shown]
	v_or_b32_e32 v42, 0x60, v56
	v_xor_b32_e32 v42, v55, v42
	v_xor_b32_e32 v43, 0x440, v42
	v_cndmask_b32_e32 v42, v43, v42, vcc
	v_or_b32_e32 v42, v42, v57
	v_xad_u32 v55, v42, v45, v37
	v_add_u32_e32 v37, v54, v55
	s_waitcnt lgkmcnt(0)
	v_mfma_f32_16x16x16_bf16 a[0:3], v[0:1], v[52:53], a[0:3]
	ds_read_b64 v[42:43], v37
	ds_read_b64 v[44:45], v44 offset:6144
	v_mfma_f32_16x16x16_bf16 a[4:7], v[0:1], v[60:61], a[4:7]
	v_mfma_f32_16x16x16_bf16 a[8:11], v[0:1], v[64:65], a[8:11]
	;; [unrolled: 1-line block ×3, first 2 shown]
	ds_read_b64 v[0:1], v36 offset:6144
	ds_read_b64 v[36:37], v35 offset:6144
	;; [unrolled: 1-line block ×3, first 2 shown]
	s_waitcnt lgkmcnt(3)
	v_mfma_f32_16x16x16_bf16 a[0:3], v[42:43], v[44:45], a[0:3]
	s_waitcnt lgkmcnt(2)
	v_mfma_f32_16x16x16_bf16 a[4:7], v[42:43], v[0:1], a[4:7]
	s_waitcnt lgkmcnt(1)
	v_mfma_f32_16x16x16_bf16 a[8:11], v[42:43], v[36:37], a[8:11]
	s_waitcnt lgkmcnt(0)
	v_mfma_f32_16x16x16_bf16 a[12:15], v[42:43], v[34:35], a[12:15]
	ds_read_b64 v[42:43], v67 offset:40960
	s_waitcnt lgkmcnt(0)
	v_mfma_f32_16x16x16_bf16 a[16:19], v[42:43], v[38:39], 0
	ds_read_b64 v[38:39], v80 offset:40960
	v_mfma_f32_16x16x16_bf16 a[20:23], v[42:43], v[40:41], 0
	v_accvgpr_read_b32 v40, a0
	v_mfma_f32_16x16x16_bf16 a[24:27], v[42:43], v[46:47], 0
	v_accvgpr_read_b32 v46, a7
	v_mfma_f32_16x16x16_bf16 a[28:31], v[42:43], v[48:49], 0
	v_exp_f32_e32 v42, s18
	v_accvgpr_read_b32 v43, a3
	v_fma_f32 v6, v6, v42, v40
	v_accvgpr_read_b32 v40, a1
	v_fma_f32 v7, v7, v42, v40
	v_accvgpr_read_b32 v40, a2
	v_fma_f32 v8, v8, v42, v40
	ds_read_b64 v[40:41], v81 offset:40960
	s_waitcnt lgkmcnt(1)
	v_mfma_f32_16x16x16_bf16 a[16:19], v[38:39], v[50:51], a[16:19]
	v_fmac_f32_e32 v43, v9, v42
	v_accvgpr_read_b32 v9, a4
	v_fma_f32 v14, v14, v42, v9
	v_mfma_f32_16x16x16_bf16 a[20:23], v[38:39], v[58:59], a[20:23]
	v_accvgpr_read_b32 v9, a5
	v_fma_f32 v15, v15, v42, v9
	v_accvgpr_read_b32 v9, a6
	v_mfma_f32_16x16x16_bf16 a[24:27], v[38:39], v[62:63], a[24:27]
	v_fma_f32 v16, v16, v42, v9
	v_accvgpr_read_b32 v9, a8
	v_fma_f32 v22, v22, v42, v9
	v_mfma_f32_16x16x16_bf16 a[0:3], v[38:39], v[76:77], a[28:31]
	ds_read_b64 v[38:39], v55 offset:40960
	v_accvgpr_read_b32 v9, a9
	v_fma_f32 v23, v23, v42, v9
	s_waitcnt lgkmcnt(1)
	v_mfma_f32_16x16x16_bf16 a[16:19], v[40:41], v[52:53], a[16:19]
	v_accvgpr_read_b32 v9, a10
	v_fma_f32 v24, v24, v42, v9
	v_accvgpr_read_b32 v9, a12
	v_mfma_f32_16x16x16_bf16 a[4:7], v[40:41], v[60:61], a[20:23]
	v_fma_f32 v30, v30, v42, v9
	v_fmac_f32_e32 v46, v17, v42
	v_mov_b32_e32 v17, v46
	v_mfma_f32_16x16x16_bf16 a[20:23], v[40:41], v[64:65], a[24:27]
	v_mfma_f32_16x16x16_bf16 a[0:3], v[40:41], v[78:79], a[0:3]
	v_accvgpr_read_b32 v40, a11
	v_fmac_f32_e32 v40, v25, v42
	s_waitcnt lgkmcnt(0)
	v_mfma_f32_16x16x16_bf16 a[8:11], v[38:39], v[44:45], a[16:19]
	v_mfma_f32_16x16x16_bf16 a[4:7], v[38:39], v[0:1], a[4:7]
	v_accvgpr_read_b32 v0, a13
	v_fma_f32 v31, v31, v42, v0
	v_accvgpr_read_b32 v0, a14
	s_nop 2
	v_accvgpr_read_b32 v1, a8
	v_fma_f32 v2, v2, v42, v1
	v_accvgpr_read_b32 v1, a9
	v_fma_f32 v3, v3, v42, v1
	v_accvgpr_read_b32 v1, a10
	v_mfma_f32_16x16x16_bf16 a[16:19], v[38:39], v[36:37], a[20:23]
	v_fma_f32 v4, v4, v42, v1
	v_accvgpr_read_b32 v1, a11
	v_fmac_f32_e32 v1, v5, v42
	v_mfma_f32_16x16x16_bf16 a[0:3], v[38:39], v[34:35], a[0:3]
	v_accvgpr_read_b32 v5, a4
	v_fma_f32 v10, v10, v42, v5
	v_accvgpr_read_b32 v5, a5
	v_fma_f32 v11, v11, v42, v5
	;; [unrolled: 2-line block ×3, first 2 shown]
	v_accvgpr_read_b32 v5, a16
	v_accvgpr_read_b32 v9, a0
	v_fma_f32 v18, v18, v42, v5
	v_accvgpr_read_b32 v5, a17
	v_fma_f32 v26, v26, v42, v9
	;; [unrolled: 2-line block ×5, first 2 shown]
	v_accvgpr_read_b32 v0, a15
	v_accvgpr_read_b32 v25, a7
	v_fma_f32 v20, v20, v42, v5
	v_accvgpr_read_b32 v5, a19
	v_fma_f32 v28, v28, v42, v9
	v_accvgpr_read_b32 v9, a3
	v_fmac_f32_e32 v0, v33, v42
	v_fmac_f32_e32 v25, v13, v42
	;; [unrolled: 1-line block ×4, first 2 shown]
	v_mov_b32_e32 v29, v9
	v_mov_b32_e32 v33, v0
	;; [unrolled: 1-line block ×7, first 2 shown]
.LBB177_99:
	s_add_u32 s0, s10, s34
	s_addc_u32 s1, s11, s35
	v_lshl_add_u64 v[0:1], v[68:69], 2, s[0:1]
	v_mov_b32_e32 v67, 0
	v_lshl_add_u64 v[0:1], v[0:1], 0, v[66:67]
	s_waitcnt vmcnt(7)
	global_store_dwordx4 v[0:1], v[6:9], off
	s_waitcnt vmcnt(7)
	global_store_dwordx4 v[0:1], v[2:5], off offset:256
	v_lshl_add_u64 v[0:1], v[70:71], 2, s[0:1]
	v_lshl_add_u64 v[0:1], v[0:1], 0, v[66:67]
	s_waitcnt vmcnt(7)
	global_store_dwordx4 v[0:1], v[14:17], off
	s_waitcnt vmcnt(7)
	global_store_dwordx4 v[0:1], v[10:13], off offset:256
	v_lshl_add_u64 v[0:1], v[72:73], 2, s[0:1]
	;; [unrolled: 6-line block ×3, first 2 shown]
	v_lshl_add_u64 v[0:1], v[0:1], 0, v[66:67]
	s_waitcnt vmcnt(7)
	global_store_dwordx4 v[0:1], v[30:33], off
	s_waitcnt vmcnt(7)
	global_store_dwordx4 v[0:1], v[26:29], off offset:256
	s_endpgm
	.section	.rodata,"a",@progbits
	.p2align	6, 0x0
	.amdhsa_kernel _ZN12_GLOBAL__N_139chunk_gated_delta_rule_fwd_h_hip_kernelILi64ELb1ELb1ELb1ELb1ELb1ELb0ELb0ELb0EEEvPK12hip_bfloat16S3_S3_PKfS5_PKvPS1_S8_PvPKiSB_iiiiilll
		.amdhsa_group_segment_fixed_size 65536
		.amdhsa_private_segment_fixed_size 0
		.amdhsa_kernarg_size 136
		.amdhsa_user_sgpr_count 2
		.amdhsa_user_sgpr_dispatch_ptr 0
		.amdhsa_user_sgpr_queue_ptr 0
		.amdhsa_user_sgpr_kernarg_segment_ptr 1
		.amdhsa_user_sgpr_dispatch_id 0
		.amdhsa_user_sgpr_kernarg_preload_length 0
		.amdhsa_user_sgpr_kernarg_preload_offset 0
		.amdhsa_user_sgpr_private_segment_size 0
		.amdhsa_uses_dynamic_stack 0
		.amdhsa_enable_private_segment 0
		.amdhsa_system_sgpr_workgroup_id_x 1
		.amdhsa_system_sgpr_workgroup_id_y 1
		.amdhsa_system_sgpr_workgroup_id_z 0
		.amdhsa_system_sgpr_workgroup_info 0
		.amdhsa_system_vgpr_workitem_id 0
		.amdhsa_next_free_vgpr 224
		.amdhsa_next_free_sgpr 67
		.amdhsa_accum_offset 188
		.amdhsa_reserve_vcc 1
		.amdhsa_float_round_mode_32 0
		.amdhsa_float_round_mode_16_64 0
		.amdhsa_float_denorm_mode_32 3
		.amdhsa_float_denorm_mode_16_64 3
		.amdhsa_dx10_clamp 1
		.amdhsa_ieee_mode 1
		.amdhsa_fp16_overflow 0
		.amdhsa_tg_split 0
		.amdhsa_exception_fp_ieee_invalid_op 0
		.amdhsa_exception_fp_denorm_src 0
		.amdhsa_exception_fp_ieee_div_zero 0
		.amdhsa_exception_fp_ieee_overflow 0
		.amdhsa_exception_fp_ieee_underflow 0
		.amdhsa_exception_fp_ieee_inexact 0
		.amdhsa_exception_int_div_zero 0
	.end_amdhsa_kernel
	.section	.text._ZN12_GLOBAL__N_139chunk_gated_delta_rule_fwd_h_hip_kernelILi64ELb1ELb1ELb1ELb1ELb1ELb0ELb0ELb0EEEvPK12hip_bfloat16S3_S3_PKfS5_PKvPS1_S8_PvPKiSB_iiiiilll,"axG",@progbits,_ZN12_GLOBAL__N_139chunk_gated_delta_rule_fwd_h_hip_kernelILi64ELb1ELb1ELb1ELb1ELb1ELb0ELb0ELb0EEEvPK12hip_bfloat16S3_S3_PKfS5_PKvPS1_S8_PvPKiSB_iiiiilll,comdat
.Lfunc_end177:
	.size	_ZN12_GLOBAL__N_139chunk_gated_delta_rule_fwd_h_hip_kernelILi64ELb1ELb1ELb1ELb1ELb1ELb0ELb0ELb0EEEvPK12hip_bfloat16S3_S3_PKfS5_PKvPS1_S8_PvPKiSB_iiiiilll, .Lfunc_end177-_ZN12_GLOBAL__N_139chunk_gated_delta_rule_fwd_h_hip_kernelILi64ELb1ELb1ELb1ELb1ELb1ELb0ELb0ELb0EEEvPK12hip_bfloat16S3_S3_PKfS5_PKvPS1_S8_PvPKiSB_iiiiilll
                                        ; -- End function
	.section	.AMDGPU.csdata,"",@progbits
; Kernel info:
; codeLenInByte = 12448
; NumSgprs: 73
; NumVgprs: 188
; NumAgprs: 36
; TotalNumVgprs: 224
; ScratchSize: 0
; MemoryBound: 0
; FloatMode: 240
; IeeeMode: 1
; LDSByteSize: 65536 bytes/workgroup (compile time only)
; SGPRBlocks: 9
; VGPRBlocks: 27
; NumSGPRsForWavesPerEU: 73
; NumVGPRsForWavesPerEU: 224
; AccumOffset: 188
; Occupancy: 1
; WaveLimiterHint : 1
; COMPUTE_PGM_RSRC2:SCRATCH_EN: 0
; COMPUTE_PGM_RSRC2:USER_SGPR: 2
; COMPUTE_PGM_RSRC2:TRAP_HANDLER: 0
; COMPUTE_PGM_RSRC2:TGID_X_EN: 1
; COMPUTE_PGM_RSRC2:TGID_Y_EN: 1
; COMPUTE_PGM_RSRC2:TGID_Z_EN: 0
; COMPUTE_PGM_RSRC2:TIDIG_COMP_CNT: 0
; COMPUTE_PGM_RSRC3_GFX90A:ACCUM_OFFSET: 46
; COMPUTE_PGM_RSRC3_GFX90A:TG_SPLIT: 0
	.section	.text._ZN12_GLOBAL__N_139chunk_gated_delta_rule_fwd_h_hip_kernelILi64ELb1ELb1ELb0ELb1ELb1ELb0ELb0ELb0EEEvPK12hip_bfloat16S3_S3_PKfS5_PKvPS1_S8_PvPKiSB_iiiiilll,"axG",@progbits,_ZN12_GLOBAL__N_139chunk_gated_delta_rule_fwd_h_hip_kernelILi64ELb1ELb1ELb0ELb1ELb1ELb0ELb0ELb0EEEvPK12hip_bfloat16S3_S3_PKfS5_PKvPS1_S8_PvPKiSB_iiiiilll,comdat
	.globl	_ZN12_GLOBAL__N_139chunk_gated_delta_rule_fwd_h_hip_kernelILi64ELb1ELb1ELb0ELb1ELb1ELb0ELb0ELb0EEEvPK12hip_bfloat16S3_S3_PKfS5_PKvPS1_S8_PvPKiSB_iiiiilll ; -- Begin function _ZN12_GLOBAL__N_139chunk_gated_delta_rule_fwd_h_hip_kernelILi64ELb1ELb1ELb0ELb1ELb1ELb0ELb0ELb0EEEvPK12hip_bfloat16S3_S3_PKfS5_PKvPS1_S8_PvPKiSB_iiiiilll
	.p2align	8
	.type	_ZN12_GLOBAL__N_139chunk_gated_delta_rule_fwd_h_hip_kernelILi64ELb1ELb1ELb0ELb1ELb1ELb0ELb0ELb0EEEvPK12hip_bfloat16S3_S3_PKfS5_PKvPS1_S8_PvPKiSB_iiiiilll,@function
_ZN12_GLOBAL__N_139chunk_gated_delta_rule_fwd_h_hip_kernelILi64ELb1ELb1ELb0ELb1ELb1ELb0ELb0ELb0EEEvPK12hip_bfloat16S3_S3_PKfS5_PKvPS1_S8_PvPKiSB_iiiiilll: ; @_ZN12_GLOBAL__N_139chunk_gated_delta_rule_fwd_h_hip_kernelILi64ELb1ELb1ELb0ELb1ELb1ELb0ELb0ELb0EEEvPK12hip_bfloat16S3_S3_PKfS5_PKvPS1_S8_PvPKiSB_iiiiilll
; %bb.0:
	s_load_dwordx4 s[16:19], s[0:1], 0x5c
	s_load_dwordx2 s[4:5], s[0:1], 0x50
	s_abs_i32 s7, s3
	s_ashr_i32 s6, s3, 31
	s_load_dwordx4 s[12:15], s[0:1], 0x40
	s_load_dwordx4 s[20:23], s[0:1], 0x28
	s_waitcnt lgkmcnt(0)
	s_abs_i32 s10, s17
	v_cvt_f32_u32_e32 v1, s10
	s_sub_i32 s8, 0, s10
	s_ashr_i32 s11, s17, 31
	s_xor_b32 s6, s6, s11
	v_rcp_iflag_f32_e32 v1, v1
	v_and_b32_e32 v86, 15, v0
	v_bfe_u32 v85, v0, 4, 2
	v_mov_b32_e32 v67, 0
	v_mul_f32_e32 v1, 0x4f7ffffe, v1
	v_cvt_u32_f32_e32 v1, v1
	v_lshlrev_b32_e32 v87, 3, v0
	v_readfirstlane_b32 s9, v1
	s_mul_i32 s8, s8, s9
	s_mul_hi_u32 s8, s9, s8
	s_add_i32 s9, s9, s8
	s_mul_hi_u32 s8, s7, s9
	s_mul_i32 s9, s8, s10
	s_sub_i32 s7, s7, s9
	s_add_i32 s24, s8, 1
	s_sub_i32 s9, s7, s10
	s_cmp_ge_u32 s7, s10
	s_cselect_b32 s8, s24, s8
	s_cselect_b32 s7, s9, s7
	s_add_i32 s9, s8, 1
	s_cmp_ge_u32 s7, s10
	s_cselect_b32 s7, s9, s8
	s_xor_b32 s7, s7, s6
	s_sub_i32 s24, s7, s6
	s_mul_i32 s28, s24, s17
	s_ashr_i32 s25, s24, 31
	s_sub_i32 s49, s3, s28
	s_lshl_b64 s[6:7], s[24:25], 2
	s_add_u32 s8, s14, s6
	s_addc_u32 s9, s15, s7
	s_add_u32 s26, s4, s6
	s_addc_u32 s27, s5, s7
	s_abs_i32 s3, s18
	v_cvt_f32_u32_e32 v1, s3
	s_load_dwordx2 s[36:37], s[8:9], 0x0
	s_sub_i32 s5, 0, s3
	s_lshl_b32 s2, s2, 6
	v_rcp_iflag_f32_e32 v1, v1
	v_or_b32_e32 v76, s2, v86
	s_waitcnt lgkmcnt(0)
	s_sub_i32 s52, s37, s36
	s_ashr_i32 s4, s52, 31
	v_mul_f32_e32 v1, 0x4f7ffffe, v1
	v_cvt_u32_f32_e32 v1, v1
	s_lshr_b32 s4, s4, 26
	s_add_i32 s4, s52, s4
	s_ashr_i32 s51, s4, 6
	v_readfirstlane_b32 s6, v1
	s_mul_i32 s5, s5, s6
	s_mul_hi_u32 s5, s6, s5
	s_add_i32 s6, s6, s5
	s_mul_hi_u32 s5, s10, s6
	s_mul_i32 s6, s5, s3
	s_ashr_i32 s4, s18, 31
	s_sub_i32 s6, s10, s6
	s_xor_b32 s4, s11, s4
	s_add_i32 s7, s5, 1
	s_sub_i32 s8, s6, s3
	s_cmp_ge_u32 s6, s3
	s_cselect_b32 s5, s7, s5
	s_cselect_b32 s6, s8, s6
	s_add_i32 s7, s5, 1
	s_cmp_ge_u32 s6, s3
	s_cselect_b32 s3, s7, s5
	s_xor_b32 s3, s3, s4
	s_sub_i32 s3, s3, s4
	s_abs_i32 s4, s3
	v_cvt_f32_u32_e32 v1, s4
	s_sub_i32 s6, 0, s4
	s_abs_i32 s5, s49
	s_xor_b32 s3, s49, s3
	v_rcp_iflag_f32_e32 v2, v1
	s_ashr_i32 s3, s3, 31
	v_lshrrev_b32_e32 v1, 6, v0
	v_lshlrev_b32_e32 v84, 4, v1
	v_mul_f32_e32 v2, 0x4f7ffffe, v2
	v_cvt_u32_f32_e32 v2, v2
	v_lshlrev_b32_e32 v68, 7, v76
	v_lshl_or_b32 v89, v85, 2, v84
	v_ashrrev_i32_e32 v69, 31, v68
	v_readfirstlane_b32 s7, v2
	s_mul_i32 s6, s6, s7
	s_mul_hi_u32 s6, s7, s6
	s_add_i32 s7, s7, s6
	s_mul_hi_u32 s6, s5, s7
	s_mul_i32 s7, s6, s4
	s_sub_i32 s5, s5, s7
	s_add_i32 s7, s6, 1
	s_sub_i32 s8, s5, s4
	s_cmp_ge_u32 s5, s4
	s_cselect_b32 s6, s7, s6
	s_cselect_b32 s5, s8, s5
	s_add_i32 s7, s6, 1
	s_cmp_ge_u32 s5, s4
	s_cselect_b32 s4, s7, s6
	s_xor_b32 s4, s4, s3
	s_sub_i32 s53, s4, s3
	s_ashr_i32 s50, s49, 31
	s_mul_hi_i32 s3, s24, s17
	s_add_u32 s4, s28, s49
	s_addc_u32 s5, s3, s50
	s_lshl_b64 s[14:15], s[4:5], 16
	s_add_u32 s4, s20, s14
	s_addc_u32 s5, s21, s15
	v_lshl_add_u64 v[2:3], v[68:69], 2, s[4:5]
	v_lshlrev_b32_e32 v66, 2, v89
	v_or_b32_e32 v70, 0x800, v68
	v_lshl_add_u64 v[10:11], v[2:3], 0, v[66:67]
	v_ashrrev_i32_e32 v71, 31, v70
	global_load_dwordx4 v[6:9], v[10:11], off
	global_load_dwordx4 v[2:5], v[10:11], off offset:256
	v_lshl_add_u64 v[10:11], v[70:71], 2, s[4:5]
	v_or_b32_e32 v72, 0x1000, v68
	v_lshl_add_u64 v[18:19], v[10:11], 0, v[66:67]
	v_ashrrev_i32_e32 v73, 31, v72
	global_load_dwordx4 v[14:17], v[18:19], off
	global_load_dwordx4 v[10:13], v[18:19], off offset:256
	v_lshl_add_u64 v[18:19], v[72:73], 2, s[4:5]
	;; [unrolled: 6-line block ×3, first 2 shown]
	v_lshl_add_u64 v[34:35], v[26:27], 0, v[66:67]
	global_load_dwordx4 v[30:33], v[34:35], off
	global_load_dwordx4 v[26:29], v[34:35], off offset:256
	s_load_dwordx8 s[4:11], s[0:1], 0x0
	s_load_dwordx2 s[34:35], s[0:1], 0x80
	s_load_dwordx4 s[28:31], s[0:1], 0x70
	s_load_dword s54, s[26:27], 0x0
	v_and_b32_e32 v67, 63, v0
	v_or_b32_e32 v90, 64, v89
	s_cmp_lt_i32 s52, 64
	s_mul_hi_i32 s55, s49, s16
	s_mul_i32 s56, s49, s16
	v_lshrrev_b32_e32 v88, 3, v67
	s_waitcnt lgkmcnt(0)
	s_mul_i32 s33, s24, s29
	s_mul_hi_u32 s45, s24, s28
	s_mul_i32 s44, s25, s28
	s_mul_i32 s40, s24, s28
	;; [unrolled: 1-line block ×3, first 2 shown]
	s_mul_hi_u32 s47, s49, s30
	s_mul_i32 s48, s50, s30
	s_mul_i32 s38, s49, s30
	s_cbranch_scc1 .LBB178_18
; %bb.1:
	s_ashr_i32 s1, s36, 31
	s_add_u32 s0, s56, s36
	s_addc_u32 s1, s55, s1
	s_lshl_b64 s[0:1], s[0:1], 8
	v_and_b32_e32 v92, 56, v87
	s_add_u32 s24, s6, s0
	v_lshl_or_b32 v91, v1, 3, v88
	v_lshlrev_b32_e32 v34, 1, v92
	s_addc_u32 s0, s7, s1
	v_lshl_or_b32 v93, v91, 8, v34
	s_and_b32 s25, s0, 0xffff
	s_mov_b32 s27, 0x20000
	s_movk_i32 s26, 0x4000
	s_movk_i32 s0, 0x80
	v_or_b32_e32 v94, 0x2000, v93
	buffer_load_dwordx4 v[36:39], v93, s[24:27], 0 offen
	buffer_load_dwordx4 v[40:43], v93, s[24:27], s0 offen
	;; [unrolled: 1-line block ×4, first 2 shown]
	v_lshlrev_b32_e32 v35, 3, v91
	v_and_or_b32 v53, v0, 7, v35
	v_and_b32_e32 v35, 0x78, v35
	v_lshlrev_b32_e32 v53, 4, v53
	v_xor_b32_e32 v95, v53, v35
	v_mul_lo_u32 v52, v91, s19
	v_or_b32_e32 v96, 0x1000, v95
	v_xor_b32_e32 v35, 8, v95
	s_cmpk_eq_i32 s19, 0x80
	s_mov_b32 s57, s36
	v_xor_b32_e32 v53, 8, v96
	s_cselect_b64 s[0:1], -1, 0
	s_cmpk_lg_i32 s19, 0x80
	s_waitcnt vmcnt(3)
	ds_write_b64 v95, v[36:37] offset:49152
	ds_write_b64 v35, v[38:39] offset:49152
	s_waitcnt vmcnt(2)
	ds_write_b64 v95, v[40:41] offset:57344
	ds_write_b64 v35, v[42:43] offset:57344
	s_waitcnt vmcnt(1)
	ds_write_b64 v95, v[44:45] offset:53248
	ds_write_b64 v53, v[46:47] offset:49152
	s_waitcnt vmcnt(0)
	ds_write_b64 v95, v[48:49] offset:61440
	ds_write_b64 v53, v[50:51] offset:57344
	v_lshl_add_u32 v35, v52, 1, v92
	s_cbranch_scc0 .LBB178_3
; %bb.2:
	v_lshlrev_b32_e32 v37, 1, v35
	v_add_lshl_u32 v36, v35, s19, 1
	s_lshl_b32 s26, s19, 7
	v_lshl_or_b32 v34, v91, 9, v34
	s_cbranch_execz .LBB178_4
	s_branch .LBB178_5
.LBB178_3:
                                        ; implicit-def: $vgpr36
                                        ; implicit-def: $vgpr37
                                        ; implicit-def: $sgpr26
	v_lshl_or_b32 v34, v91, 9, v34
.LBB178_4:
	v_or_b32_e32 v36, 0x100, v34
	s_movk_i32 s26, 0x4000
	v_mov_b32_e32 v37, v34
.LBB178_5:
	s_mul_i32 s20, s36, s18
	s_ashr_i32 s58, s53, 31
	s_mul_hi_i32 s3, s36, s18
	s_add_u32 s20, s20, s53
	s_addc_u32 s21, s3, s58
	s_lshl_b64 s[20:21], s[20:21], 8
	s_add_u32 s24, s4, s20
	s_addc_u32 s3, s5, s21
	s_and_b32 s25, s3, 0xffff
	s_movk_i32 s59, 0x80
	buffer_load_dwordx4 v[38:41], v37, s[24:27], 0 offen
	buffer_load_dwordx4 v[42:45], v37, s[24:27], s59 offen
	;; [unrolled: 1-line block ×4, first 2 shown]
	v_and_b32_e32 v37, 6, v0
	v_lshlrev_b32_e32 v36, 7, v89
	v_xor_b32_e32 v59, v91, v37
	v_and_b32_e32 v54, 1, v0
	v_lshl_or_b32 v62, v86, 3, v36
	v_lshlrev_b32_e32 v59, 2, v59
	v_lshlrev_b32_e32 v55, 2, v86
	v_or_b32_e32 v97, 0x4000, v62
	v_or_b32_e32 v98, 0x6000, v62
	v_xor_b32_e32 v62, 0x440, v59
	v_cmp_eq_u32_e32 vcc, 0, v54
	v_or_b32_e32 v57, 16, v86
	v_or_b32_e32 v58, 32, v86
	v_xor_b32_e32 v60, v89, v55
	v_xor_b32_e32 v61, v90, v55
	v_cndmask_b32_e32 v54, v62, v59, vcc
	s_mov_b32 s60, 0x1000504
	v_lshl_or_b32 v63, v57, 3, v36
	v_lshlrev_b32_e32 v57, 8, v57
	v_lshl_or_b32 v64, v58, 3, v36
	v_lshlrev_b32_e32 v60, 1, v60
	v_lshlrev_b32_e32 v61, 1, v61
	v_lshl_or_b32 v37, v37, 10, v54
	s_add_i32 s3, s45, s33
	s_mov_b32 s61, 0x3020706
	v_lshlrev_b32_e32 v56, 8, v86
	v_or_b32_e32 v101, 0x4000, v64
	v_or_b32_e32 v102, 0x6000, v64
	;; [unrolled: 1-line block ×4, first 2 shown]
	v_xor_b32_e32 v54, 8, v37
	v_xor_b32_e32 v57, 24, v37
	;; [unrolled: 1-line block ×4, first 2 shown]
	s_add_i32 s41, s3, s44
	s_add_i32 s3, s47, s46
	v_or_b32_e32 v99, 0x4000, v63
	v_or_b32_e32 v100, 0x6000, v63
	;; [unrolled: 1-line block ×4, first 2 shown]
	v_xor_b32_e32 v56, 16, v37
	v_xor_b32_e32 v59, 32, v37
	;; [unrolled: 1-line block ×3, first 2 shown]
	v_add_u32_e32 v54, 0x80, v54
	v_add_u32_e32 v57, 0x80, v57
	;; [unrolled: 1-line block ×4, first 2 shown]
	s_add_i32 s39, s3, s48
	s_lshl_b64 s[20:21], s[40:41], 2
	s_add_u32 s3, s10, s20
	s_addc_u32 s24, s11, s21
	s_lshl_b64 s[20:21], s[38:39], 2
	s_add_u32 s20, s3, s20
	s_movk_i32 s3, 0xf8
	s_addc_u32 s21, s24, s21
	s_lshl_b32 s30, s19, 7
	s_movk_i32 s28, 0x100
	v_mov_b32_e32 v79, 0
	v_lshlrev_b32_e32 v78, 4, v86
	v_cmp_gt_u32_e32 vcc, s28, v0
	v_lshlrev_b32_e32 v58, 8, v58
	s_mov_b32 s62, 0
	s_movk_i32 s26, 0x4000
	v_or_b32_e32 v107, v58, v60
	v_or_b32_e32 v108, v58, v61
	s_movk_i32 s39, 0x2000
	s_movk_i32 s41, 0x3000
	s_waitcnt vmcnt(1)
	v_perm_b32 v65, v38, v46, s60
	s_waitcnt vmcnt(0)
	v_perm_b32 v77, v42, v50, s60
	v_perm_b32 v38, v38, v46, s61
	;; [unrolled: 1-line block ×15, first 2 shown]
	ds_write2st64_b32 v37, v65, v77 offset0:128 offset1:160
	ds_write2st64_b32 v54, v38, v42 offset0:128 offset1:160
	;; [unrolled: 1-line block ×8, first 2 shown]
	v_or_b32_e32 v37, 48, v86
	v_lshl_or_b32 v38, v37, 3, v36
	v_lshlrev_b32_e32 v37, 8, v37
	v_or_b32_e32 v111, v37, v60
	v_or_b32_e32 v112, v37, v61
	;; [unrolled: 1-line block ×3, first 2 shown]
	v_lshlrev_b32_e32 v37, 3, v37
	v_lshrrev_b32_e32 v39, 5, v67
	v_and_or_b32 v39, v37, s3, v39
	v_lshlrev_b32_e32 v39, 4, v39
	v_lshlrev_b32_e32 v40, 11, v1
	v_and_b32_e32 v37, 0x78, v37
	v_or_b32_e32 v45, 32, v39
	v_or_b32_e32 v109, 0x4000, v38
	v_or_b32_e32 v110, 0x6000, v38
	v_and_b32_e32 v38, 0x1000, v40
	v_xor_b32_e32 v41, v39, v37
	v_lshrrev_b32_e32 v42, 1, v0
	v_xor_b32_e32 v45, v45, v37
	v_or_b32_e32 v41, v41, v38
	v_and_b32_e32 v43, 8, v42
	v_or_b32_e32 v45, v45, v38
	v_xor_b32_e32 v113, v41, v43
	v_lshlrev_b32_e32 v41, 8, v85
	v_xor_b32_e32 v115, v45, v43
	v_or_b32_e32 v45, 64, v39
	v_or_b32_e32 v39, 0x60, v39
	s_ashr_i32 s3, s2, 31
	v_or_b32_e32 v44, v41, v55
	v_xor_b32_e32 v45, v45, v37
	v_xor_b32_e32 v37, v39, v37
	s_lshl_b64 s[24:25], s[2:3], 8
	v_lshlrev_b32_e32 v44, 1, v44
	v_or_b32_e32 v45, v45, v38
	v_or_b32_e32 v37, v37, v38
	s_add_u32 s24, s22, s24
	v_lshlrev_b32_e32 v38, 1, v86
	v_or_b32_e32 v114, 0x4000, v44
	v_or_b32_e32 v116, 0x4080, v44
	;; [unrolled: 1-line block ×8, first 2 shown]
	v_lshrrev_b32_e32 v44, 4, v0
	s_addc_u32 s25, s23, s25
	v_or_b32_e32 v39, 1, v38
	v_mov_b32_e32 v48, 0xa000
	v_mov_b32_e32 v49, 0x8000
	v_xor_b32_e32 v119, v45, v43
	v_xor_b32_e32 v45, v44, v38
	;; [unrolled: 1-line block ×3, first 2 shown]
	v_lshl_add_u64 v[38:39], s[24:25], 0, v[78:79]
	v_lshlrev_b32_e32 v78, 8, v44
	v_cndmask_b32_e32 v48, v48, v49, vcc
	v_lshlrev_b32_e32 v49, 3, v1
	v_and_b32_e32 v42, 24, v42
	v_lshl_or_b32 v125, v45, 3, v78
	v_and_b32_e32 v45, 8, v0
	v_xor_b32_e32 v50, v49, v42
	v_or_b32_e32 v51, 0x440, v50
	v_cmp_eq_u32_e32 vcc, 0, v45
	v_and_b32_e32 v44, 7, v0
	v_lshl_or_b32 v126, v46, 3, v78
	v_cndmask_b32_e32 v45, v51, v50, vcc
	v_lshlrev_b32_e32 v46, 3, v44
	v_lshlrev_b32_e32 v44, 7, v44
	v_or_b32_e32 v45, v45, v40
	v_lshlrev_b32_e32 v47, 2, v0
	v_xad_u32 v127, v45, v46, v44
	v_or_b32_e32 v45, 32, v42
	v_and_or_b32 v41, v47, 60, v41
	v_xor_b32_e32 v45, v49, v45
	v_lshlrev_b32_e32 v41, 1, v41
	v_or_b32_e32 v47, 0x440, v45
	v_or_b32_e32 v128, 0x6000, v41
	v_cndmask_b32_e32 v45, v47, v45, vcc
	v_or_b32_e32 v130, 0x6080, v41
	v_or_b32_e32 v131, 0x6100, v41
	;; [unrolled: 1-line block ×5, first 2 shown]
	v_xor_b32_e32 v41, v49, v41
	v_xad_u32 v129, v45, v46, v44
	v_xor_b32_e32 v45, 0x440, v41
	v_cndmask_b32_e32 v41, v45, v41, vcc
	v_or_b32_e32 v41, v41, v40
	v_xad_u32 v133, v41, v46, v44
	v_or_b32_e32 v41, 0x60, v42
	v_xor_b32_e32 v41, v49, v41
	v_xor_b32_e32 v42, 0x440, v41
	v_cndmask_b32_e32 v41, v42, v41, vcc
	v_or_b32_e32 v40, v41, v40
	v_xor_b32_e32 v120, v37, v43
	v_ashrrev_i32_e32 v77, 31, v76
	v_lshlrev_b32_e32 v37, 1, v35
	v_add_lshl_u32 v35, v35, s19, 1
	v_or_b32_e32 v43, 0x100, v34
	v_xad_u32 v134, v40, v46, v44
	v_cndmask_b32_e64 v135, v37, v34, s[0:1]
	v_cndmask_b32_e64 v136, v35, v43, s[0:1]
	v_lshl_add_u64 v[80:81], v[76:77], 1, s[8:9]
	v_lshl_add_u64 v[82:83], v[38:39], 0, v[78:79]
	s_mov_b32 s3, 0x7060302
	v_lshlrev_b32_e32 v78, 1, v36
	v_add_u32_e32 v77, v48, v127
	v_add_u32_e32 v137, v48, v129
	;; [unrolled: 1-line block ×4, first 2 shown]
	s_waitcnt lgkmcnt(0)
	s_barrier
.LBB178_6:                              ; =>This Inner Loop Header: Depth=1
	s_add_i32 s63, s62, 1
	s_cmp_lt_i32 s63, s51
	s_mov_b64 s[28:29], 0
	s_cselect_b64 s[42:43], -1, 0
	s_cmp_ge_i32 s63, s51
	s_mov_b64 s[24:25], 0
	s_cbranch_scc1 .LBB178_8
; %bb.7:                                ;   in Loop: Header=BB178_6 Depth=1
	s_add_i32 s0, s57, 64
	s_ashr_i32 s1, s0, 31
	s_add_u32 s0, s56, s0
	s_addc_u32 s1, s55, s1
	s_lshl_b64 s[0:1], s[0:1], 8
	s_add_u32 s24, s6, s0
	s_addc_u32 s25, s7, s1
.LBB178_8:                              ;   in Loop: Header=BB178_6 Depth=1
	v_cndmask_b32_e64 v34, 0, 1, s[42:43]
	v_cmp_ne_u32_e64 s[0:1], 1, v34
	s_andn2_b64 vcc, exec, s[42:43]
	s_cbranch_vccnz .LBB178_10
; %bb.9:                                ;   in Loop: Header=BB178_6 Depth=1
	s_add_i32 s28, s57, 64
	s_mul_hi_i32 s29, s28, s18
	s_mul_i32 s28, s28, s18
	s_add_u32 s28, s28, s53
	s_addc_u32 s29, s29, s58
	s_lshl_b64 s[28:29], s[28:29], 8
	s_add_u32 s28, s4, s28
	s_addc_u32 s29, s5, s29
.LBB178_10:                             ;   in Loop: Header=BB178_6 Depth=1
	v_perm_b32 v35, v9, v8, s3
	v_perm_b32 v34, v7, v6, s3
	v_perm_b32 v37, v5, v4, s3
	v_perm_b32 v36, v3, v2, s3
	ds_write_b64 v97, v[34:35]
	ds_write_b64 v98, v[36:37]
	ds_write_b64 v103, v[34:35]
	ds_write_b64 v104, v[36:37]
	v_perm_b32 v35, v17, v16, s3
	v_perm_b32 v34, v15, v14, s3
	v_perm_b32 v37, v13, v12, s3
	v_perm_b32 v36, v11, v10, s3
	ds_write_b64 v99, v[34:35]
	ds_write_b64 v100, v[36:37]
	ds_write_b64 v105, v[34:35]
	ds_write_b64 v106, v[36:37]
	;; [unrolled: 8-line block ×4, first 2 shown]
	s_waitcnt lgkmcnt(0)
	s_barrier
	ds_read_b64 v[38:39], v113 offset:49152
	ds_read2_b64 v[34:37], v114 offset1:16
	ds_read_b64 v[50:51], v116 offset:6144
	ds_read_b64 v[52:53], v114 offset:6144
	s_waitcnt lgkmcnt(2)
	v_mfma_f32_16x16x16_bf16 a[0:3], v[38:39], v[34:35], 0
	ds_read_b64 v[54:55], v115 offset:49152
	ds_read2st64_b64 v[42:45], v117 offset0:4 offset1:8
	ds_read2st64_b64 v[46:49], v118 offset0:4 offset1:8
	v_mfma_f32_16x16x16_bf16 a[4:7], v[38:39], v[36:37], 0
	ds_read2_b64 v[34:37], v114 offset0:32 offset1:48
	s_add_i32 s31, s57, 63
	s_ashr_i32 s42, s31, 31
	s_waitcnt lgkmcnt(0)
	v_mfma_f32_16x16x16_bf16 a[8:11], v[38:39], v[34:35], 0
	s_mul_i32 s43, s31, s35
	s_mul_hi_u32 s64, s31, s34
	s_add_i32 s43, s64, s43
	v_mfma_f32_16x16x16_bf16 a[12:15], v[38:39], v[36:37], 0
	ds_read2st64_b64 v[34:37], v114 offset0:4 offset1:8
	ds_read2st64_b64 v[38:41], v116 offset0:4 offset1:8
	s_mul_i32 s42, s42, s34
	s_waitcnt lgkmcnt(1)
	v_mfma_f32_16x16x16_bf16 a[0:3], v[54:55], v[34:35], a[0:3]
	s_add_i32 s43, s43, s42
	s_mul_i32 s42, s31, s34
	s_lshl_b64 s[42:43], s[42:43], 2
	s_waitcnt lgkmcnt(0)
	v_mfma_f32_16x16x16_bf16 a[4:7], v[54:55], v[38:39], a[4:7]
	s_add_u32 s42, s20, s42
	s_addc_u32 s43, s21, s43
	s_and_b64 vcc, exec, s[0:1]
	v_mfma_f32_16x16x16_bf16 a[8:11], v[54:55], v[42:43], a[8:11]
	ds_read_b64 v[34:35], v119 offset:49152
	ds_read_b64 v[38:39], v120 offset:49152
	;; [unrolled: 1-line block ×3, first 2 shown]
	v_mov_b32_e32 v142, 0
	v_mov_b32_e32 v141, 0
	v_mfma_f32_16x16x16_bf16 a[12:15], v[54:55], v[46:47], a[12:15]
	v_mov_b32_e32 v140, 0
	v_mov_b32_e32 v46, 0
	;; [unrolled: 1-line block ×3, first 2 shown]
	s_waitcnt lgkmcnt(2)
	v_mfma_f32_16x16x16_bf16 a[0:3], v[34:35], v[36:37], a[0:3]
	v_mov_b32_e32 v36, 0
	v_mov_b32_e32 v37, 0
	v_mfma_f32_16x16x16_bf16 a[16:19], v[34:35], v[40:41], a[4:7]
	v_mov_b32_e32 v40, 0
	v_mov_b32_e32 v41, 0
	;; [unrolled: 3-line block ×3, first 2 shown]
	v_mfma_f32_16x16x16_bf16 a[24:27], v[34:35], v[48:49], a[12:15]
	ds_read_b64 v[34:35], v117 offset:6144
	v_mov_b32_e32 v48, 0
	v_mov_b32_e32 v49, 0
	s_waitcnt lgkmcnt(2)
	v_mfma_f32_16x16x16_bf16 a[4:7], v[38:39], v[52:53], a[0:3]
	v_mfma_f32_16x16x16_bf16 a[8:11], v[38:39], v[50:51], a[16:19]
	s_waitcnt lgkmcnt(0)
	v_mfma_f32_16x16x16_bf16 a[12:15], v[38:39], v[34:35], a[20:23]
	v_mov_b32_e32 v34, 0
	v_mov_b32_e32 v35, 0
	v_mfma_f32_16x16x16_bf16 a[0:3], v[38:39], v[42:43], a[24:27]
	v_mov_b32_e32 v38, 0
	v_mov_b32_e32 v39, 0
	;; [unrolled: 1-line block ×4, first 2 shown]
	s_cbranch_vccnz .LBB178_12
; %bb.11:                               ;   in Loop: Header=BB178_6 Depth=1
	s_and_b32 s25, s25, 0xffff
	buffer_load_dwordx4 v[46:49], v93, s[24:27], 0 offen
	buffer_load_dwordx4 v[42:45], v93, s[24:27], s59 offen
	;; [unrolled: 1-line block ×4, first 2 shown]
	v_mov_b32_e32 v141, v95
	v_mov_b32_e32 v140, v96
.LBB178_12:                             ;   in Loop: Header=BB178_6 Depth=1
	ds_read_b64 v[144:145], v113 offset:57344
	ds_read2_b64 v[50:53], v121 offset1:16
	ds_read_b64 v[146:147], v115 offset:57344
	ds_read_b64 v[148:149], v119 offset:57344
	;; [unrolled: 1-line block ×3, first 2 shown]
	v_add_u32_e32 v143, s57, v89
	s_waitcnt lgkmcnt(3)
	v_mfma_f32_16x16x16_bf16 a[4:7], v[144:145], v[50:51], a[4:7]
	v_mfma_f32_16x16x16_bf16 a[8:11], v[144:145], v[52:53], a[8:11]
	ds_read2_b64 v[50:53], v121 offset0:32 offset1:48
	ds_read2st64_b64 v[54:57], v121 offset0:4 offset1:8
	ds_read2st64_b64 v[58:61], v122 offset0:4 offset1:8
	;; [unrolled: 1-line block ×3, first 2 shown]
	s_waitcnt lgkmcnt(3)
	v_mfma_f32_16x16x16_bf16 a[12:15], v[144:145], v[50:51], a[12:15]
	v_ashrrev_i32_e32 v50, 31, v143
	v_mfma_f32_16x16x16_bf16 a[0:3], v[144:145], v[52:53], a[0:3]
	v_mul_lo_u32 v52, v50, s34
	v_mul_lo_u32 v53, v143, s35
	v_mad_u64_u32 v[50:51], s[24:25], v143, s34, 0
	v_add3_u32 v51, v51, v53, v52
	v_add_u32_e32 v52, 1, v143
	v_ashrrev_i32_e32 v53, 31, v52
	s_waitcnt lgkmcnt(2)
	v_mfma_f32_16x16x16_bf16 a[4:7], v[146:147], v[54:55], a[4:7]
	v_mul_lo_u32 v54, v53, s34
	v_mul_lo_u32 v55, v52, s35
	v_mad_u64_u32 v[52:53], s[24:25], v52, s34, 0
	v_add3_u32 v53, v53, v55, v54
	v_add_u32_e32 v54, 2, v143
	v_ashrrev_i32_e32 v55, 31, v54
	s_waitcnt lgkmcnt(1)
	v_mfma_f32_16x16x16_bf16 a[8:11], v[146:147], v[58:59], a[8:11]
	v_mul_lo_u32 v58, v55, s34
	v_mul_lo_u32 v59, v54, s35
	v_mad_u64_u32 v[54:55], s[24:25], v54, s34, 0
	v_add3_u32 v55, v55, v59, v58
	v_add_u32_e32 v58, 3, v143
	v_ashrrev_i32_e32 v59, 31, v58
	v_mul_lo_u32 v143, v59, s34
	v_mul_lo_u32 v144, v58, s35
	v_mad_u64_u32 v[58:59], s[24:25], v58, s34, 0
	s_ashr_i32 s25, s57, 31
	s_add_u32 s24, s56, s57
	s_addc_u32 s25, s55, s25
	v_lshl_add_u64 v[50:51], v[50:51], 2, s[20:21]
	v_add3_u32 v59, v59, v144, v143
	s_lshl_b64 s[24:25], s[24:25], 8
	v_lshl_add_u64 v[52:53], v[52:53], 2, s[20:21]
	v_lshl_add_u64 v[54:55], v[54:55], 2, s[20:21]
	;; [unrolled: 1-line block ×3, first 2 shown]
	global_load_dword v143, v[50:51], off
	global_load_dword v144, v[52:53], off
	;; [unrolled: 1-line block ×4, first 2 shown]
	v_lshl_add_u64 v[50:51], v[80:81], 0, s[24:25]
	v_lshl_add_u64 v[54:55], v[50:51], 0, v[78:79]
	global_load_ushort v153, v[54:55], off offset:256
	global_load_ushort v154, v[54:55], off
	ds_read2st64_b64 v[50:53], v124 offset0:4 offset1:8
	global_load_ushort v155, v[54:55], off offset:768
	global_load_ushort v156, v[54:55], off offset:512
	s_waitcnt lgkmcnt(1)
	v_mfma_f32_16x16x16_bf16 a[12:15], v[146:147], v[62:63], a[12:15]
	s_and_b64 vcc, exec, s[0:1]
	s_waitcnt vmcnt(3)
	v_lshlrev_b32_e32 v63, 16, v153
	s_waitcnt lgkmcnt(0)
	v_mfma_f32_16x16x16_bf16 a[0:3], v[146:147], v[50:51], a[0:3]
	global_load_ushort v146, v[54:55], off offset:288
	global_load_ushort v147, v[54:55], off offset:32
	global_load_ushort v157, v[54:55], off offset:800
	global_load_ushort v158, v[54:55], off offset:544
	global_load_ushort v159, v[54:55], off offset:320
	global_load_ushort v160, v[54:55], off offset:64
	global_load_ushort v161, v[54:55], off offset:832
	global_load_ushort v162, v[54:55], off offset:576
	v_mfma_f32_16x16x16_bf16 a[4:7], v[148:149], v[56:57], a[4:7]
	ds_read_b64 v[50:51], v121 offset:6144
	s_waitcnt vmcnt(10)
	v_lshlrev_b32_e32 v62, 16, v154
	v_mfma_f32_16x16x16_bf16 a[8:11], v[148:149], v[60:61], a[8:11]
	v_mfma_f32_16x16x16_bf16 a[12:15], v[148:149], v[64:65], a[12:15]
	;; [unrolled: 1-line block ×3, first 2 shown]
	global_load_ushort v148, v[54:55], off offset:352
	global_load_ushort v149, v[54:55], off offset:96
	ds_read_b64 v[52:53], v122 offset:6144
	ds_read_b64 v[56:57], v123 offset:6144
	;; [unrolled: 1-line block ×3, first 2 shown]
	global_load_ushort v163, v[54:55], off offset:864
	global_load_ushort v164, v[54:55], off offset:608
	s_load_dword s24, s[42:43], 0x0
	s_waitcnt lgkmcnt(0)
	v_mfma_f32_16x16x16_bf16 a[4:7], v[150:151], v[50:51], a[4:7]
	v_sub_f32_e32 v60, s24, v145
	v_mfma_f32_16x16x16_bf16 a[0:3], v[150:151], v[58:59], a[0:3]
	v_sub_f32_e32 v58, s24, v143
	v_sub_f32_e32 v59, s24, v144
	;; [unrolled: 1-line block ×3, first 2 shown]
	v_mfma_f32_16x16x16_bf16 a[8:11], v[150:151], v[52:53], a[8:11]
	v_exp_f32_e32 v58, v58
	v_exp_f32_e32 v59, v59
	;; [unrolled: 1-line block ×4, first 2 shown]
	v_accvgpr_read_b32 v65, a5
	v_accvgpr_read_b32 v64, a4
	v_accvgpr_read_b32 v51, a7
	v_accvgpr_read_b32 v50, a6
	v_pk_add_f32 v[62:63], v[62:63], v[64:65] neg_lo:[0,1] neg_hi:[0,1]
	s_waitcnt vmcnt(13)
	v_lshlrev_b32_e32 v65, 16, v155
	s_waitcnt vmcnt(12)
	v_lshlrev_b32_e32 v64, 16, v156
	v_pk_add_f32 v[50:51], v[64:65], v[50:51] neg_lo:[0,1] neg_hi:[0,1]
	v_pk_mul_f32 v[62:63], v[58:59], v[62:63]
	v_pk_mul_f32 v[50:51], v[60:61], v[50:51]
	v_accvgpr_read_b32 v65, a9
	v_perm_b32 v51, v51, v50, s3
	v_perm_b32 v50, v63, v62, s3
	v_accvgpr_read_b32 v64, a8
	v_accvgpr_read_b32 v53, a11
	v_mfma_f32_16x16x16_bf16 a[12:15], v[150:151], v[56:57], a[12:15]
	v_accvgpr_read_b32 v52, a10
	v_accvgpr_read_b32 v57, a3
	v_accvgpr_read_b32 v56, a2
	v_mov_b32_e32 v143, 0
	s_waitcnt vmcnt(11)
	v_lshlrev_b32_e32 v63, 16, v146
	s_waitcnt vmcnt(10)
	v_lshlrev_b32_e32 v62, 16, v147
	v_pk_add_f32 v[62:63], v[62:63], v[64:65] neg_lo:[0,1] neg_hi:[0,1]
	s_waitcnt vmcnt(9)
	v_lshlrev_b32_e32 v65, 16, v157
	s_waitcnt vmcnt(8)
	v_lshlrev_b32_e32 v64, 16, v158
	v_pk_add_f32 v[52:53], v[64:65], v[52:53] neg_lo:[0,1] neg_hi:[0,1]
	v_pk_mul_f32 v[62:63], v[58:59], v[62:63]
	v_pk_mul_f32 v[52:53], v[60:61], v[52:53]
	v_accvgpr_read_b32 v55, a15
	v_perm_b32 v53, v53, v52, s3
	v_perm_b32 v52, v63, v62, s3
	ds_write2_b64 v98, v[50:51], v[52:53] offset1:16
	v_accvgpr_read_b32 v53, a13
	s_waitcnt vmcnt(7)
	v_lshlrev_b32_e32 v51, 16, v159
	s_waitcnt vmcnt(6)
	v_lshlrev_b32_e32 v50, 16, v160
	v_accvgpr_read_b32 v52, a12
	v_accvgpr_read_b32 v54, a14
	v_pk_add_f32 v[50:51], v[50:51], v[52:53] neg_lo:[0,1] neg_hi:[0,1]
	s_waitcnt vmcnt(5)
	v_lshlrev_b32_e32 v53, 16, v161
	s_waitcnt vmcnt(4)
	v_lshlrev_b32_e32 v52, 16, v162
	v_pk_add_f32 v[52:53], v[52:53], v[54:55] neg_lo:[0,1] neg_hi:[0,1]
	v_pk_mul_f32 v[50:51], v[58:59], v[50:51]
	v_pk_mul_f32 v[52:53], v[60:61], v[52:53]
	v_accvgpr_read_b32 v55, a1
	v_perm_b32 v53, v53, v52, s3
	v_perm_b32 v52, v51, v50, s3
	s_waitcnt vmcnt(3)
	v_lshlrev_b32_e32 v51, 16, v148
	s_waitcnt vmcnt(2)
	v_lshlrev_b32_e32 v50, 16, v149
	v_accvgpr_read_b32 v54, a0
	v_pk_add_f32 v[50:51], v[50:51], v[54:55] neg_lo:[0,1] neg_hi:[0,1]
	s_waitcnt vmcnt(1)
	v_lshlrev_b32_e32 v55, 16, v163
	s_waitcnt vmcnt(0)
	v_lshlrev_b32_e32 v54, 16, v164
	v_pk_add_f32 v[54:55], v[54:55], v[56:57] neg_lo:[0,1] neg_hi:[0,1]
	v_pk_mul_f32 v[50:51], v[58:59], v[50:51]
	v_pk_mul_f32 v[54:55], v[60:61], v[54:55]
	v_mov_b32_e32 v56, 0
	v_perm_b32 v55, v55, v54, s3
	v_perm_b32 v54, v51, v50, s3
	ds_write2_b64 v98, v[52:53], v[54:55] offset0:32 offset1:48
	v_mov_b32_e32 v50, 0
	v_mov_b32_e32 v51, 0
	;; [unrolled: 1-line block ×15, first 2 shown]
	s_cbranch_vccnz .LBB178_14
; %bb.13:                               ;   in Loop: Header=BB178_6 Depth=1
	s_and_b32 s29, s29, 0xffff
	s_mov_b32 s31, s27
	buffer_load_dwordx4 v[62:65], v135, s[28:31], 0 offen
	buffer_load_dwordx4 v[54:57], v135, s[28:31], s59 offen
	;; [unrolled: 1-line block ×4, first 2 shown]
	v_mov_b32_e32 v142, v92
	v_mov_b32_e32 v143, v91
.LBB178_14:                             ;   in Loop: Header=BB178_6 Depth=1
	s_waitcnt lgkmcnt(0)
	s_barrier
	ds_read_b64 v[152:153], v77
	ds_read2_b64 v[144:147], v128 offset1:16
	ds_read_b64 v[168:169], v137
	ds_read_b64 v[170:171], v138
	;; [unrolled: 1-line block ×3, first 2 shown]
	ds_read2_b64 v[148:151], v128 offset0:32 offset1:48
	s_waitcnt lgkmcnt(4)
	v_mfma_f32_16x16x16_bf16 a[0:3], v[152:153], v[144:145], 0
	ds_read2st64_b64 v[156:159], v130 offset0:4 offset1:8
	ds_read2st64_b64 v[160:163], v131 offset0:4 offset1:8
	;; [unrolled: 1-line block ×3, first 2 shown]
	v_mfma_f32_16x16x16_bf16 a[4:7], v[152:153], v[146:147], 0
	s_add_i32 s25, s54, s62
	s_mul_hi_i32 s29, s25, s17
	s_mul_i32 s25, s25, s17
	s_waitcnt lgkmcnt(3)
	v_mfma_f32_16x16x16_bf16 a[8:11], v[152:153], v[148:149], 0
	s_add_u32 s28, s25, s49
	s_addc_u32 s29, s29, s50
	s_lshl_b64 s[28:29], s[28:29], 15
	v_mfma_f32_16x16x16_bf16 a[12:15], v[152:153], v[150:151], 0
	ds_read2st64_b64 v[152:155], v128 offset0:4 offset1:8
	s_waitcnt lgkmcnt(0)
	v_mfma_f32_16x16x16_bf16 a[0:3], v[168:169], v[152:153], a[0:3]
	v_mfma_f32_16x16x16_bf16 a[4:7], v[168:169], v[156:157], a[4:7]
	v_mfma_f32_16x16x16_bf16 a[8:11], v[168:169], v[160:161], a[8:11]
	v_mfma_f32_16x16x16_bf16 a[12:15], v[168:169], v[164:165], a[12:15]
	v_mfma_f32_16x16x16_bf16 a[0:3], v[170:171], v[154:155], a[0:3]
	v_mfma_f32_16x16x16_bf16 a[4:7], v[170:171], v[158:159], a[4:7]
	v_mfma_f32_16x16x16_bf16 a[8:11], v[170:171], v[162:163], a[8:11]
	v_mfma_f32_16x16x16_bf16 a[12:15], v[170:171], v[166:167], a[12:15]
	ds_read_b64 v[168:169], v128 offset:6144
	ds_read_b64 v[170:171], v129 offset:40960
	;; [unrolled: 1-line block ×8, first 2 shown]
	s_waitcnt lgkmcnt(5)
	v_mfma_f32_16x16x16_bf16 a[16:19], v[174:175], v[144:145], 0
	v_mfma_f32_16x16x16_bf16 a[20:23], v[174:175], v[146:147], 0
	ds_read2st64_b64 v[144:147], v125 offset1:8
	v_mfma_f32_16x16x16_bf16 a[24:27], v[174:175], v[148:149], 0
	v_mfma_f32_16x16x16_bf16 a[28:31], v[174:175], v[150:151], 0
	ds_read2st64_b64 v[148:151], v126 offset1:8
	v_mfma_f32_16x16x16_bf16 a[16:19], v[170:171], v[152:153], a[16:19]
	s_waitcnt lgkmcnt(1)
	v_mov_b32_e32 v152, v144
	v_mov_b32_e32 v153, v145
	v_mfma_f32_16x16x16_bf16 a[20:23], v[170:171], v[156:157], a[20:23]
	v_lshl_add_u64 v[156:157], v[82:83], 0, s[28:29]
	v_mfma_f32_16x16x16_bf16 a[24:27], v[170:171], v[160:161], a[24:27]
	v_mfma_f32_16x16x16_bf16 a[28:31], v[170:171], v[164:165], a[28:31]
	;; [unrolled: 1-line block ×3, first 2 shown]
	s_waitcnt lgkmcnt(0)
	v_mov_b32_e32 v154, v148
	v_mov_b32_e32 v155, v149
	;; [unrolled: 1-line block ×3, first 2 shown]
	v_mfma_f32_16x16x16_bf16 a[32:35], v[182:183], v[158:159], a[20:23]
	v_mov_b32_e32 v149, v147
	ds_read2st64_b64 v[144:147], v125 offset0:16 offset1:24
	global_store_dwordx4 v[156:157], v[152:155], off
	v_mfma_f32_16x16x16_bf16 a[24:27], v[182:183], v[162:163], a[24:27]
	ds_read2st64_b64 v[152:155], v126 offset0:16 offset1:24
	v_add_co_u32_e32 v158, vcc, s39, v156
	v_mfma_f32_16x16x16_bf16 a[28:31], v[182:183], v[166:167], a[28:31]
	s_nop 0
	v_addc_co_u32_e32 v159, vcc, 0, v157, vcc
	global_store_dwordx4 v[158:159], v[148:151], off offset:-4096
	v_mfma_f32_16x16x16_bf16 a[0:3], v[172:173], v[168:169], a[0:3]
	s_waitcnt lgkmcnt(1)
	v_mov_b32_e32 v148, v144
	v_add_co_u32_e32 v144, vcc, s41, v156
	v_mfma_f32_16x16x16_bf16 a[4:7], v[172:173], v[176:177], a[4:7]
	v_mov_b32_e32 v149, v145
	v_addc_co_u32_e32 v145, vcc, 0, v157, vcc
	v_mfma_f32_16x16x16_bf16 a[8:11], v[172:173], v[178:179], a[8:11]
	s_waitcnt lgkmcnt(0)
	v_mov_b32_e32 v150, v152
	v_mov_b32_e32 v151, v153
	;; [unrolled: 1-line block ×3, first 2 shown]
	v_mfma_f32_16x16x16_bf16 a[12:15], v[172:173], v[180:181], a[12:15]
	v_mov_b32_e32 v153, v147
	s_and_b64 vcc, exec, s[0:1]
	global_store_dwordx4 v[158:159], v[148:151], off
	v_mfma_f32_16x16x16_bf16 a[20:23], v[184:185], v[168:169], a[16:19]
	global_store_dwordx4 v[144:145], v[152:155], off
	v_mfma_f32_16x16x16_bf16 a[16:19], v[184:185], v[176:177], a[32:35]
	v_mfma_f32_16x16x16_bf16 a[24:27], v[184:185], v[178:179], a[24:27]
	;; [unrolled: 1-line block ×3, first 2 shown]
	s_cbranch_vccnz .LBB178_16
; %bb.15:                               ;   in Loop: Header=BB178_6 Depth=1
	v_lshrrev_b32_e32 v144, 3, v142
	v_and_b32_e32 v144, 6, v144
	v_xor_b32_e32 v143, v144, v143
	v_lshlrev_b32_e32 v143, 2, v143
	v_and_b32_e32 v142, 8, v142
	v_xor_b32_e32 v145, 0x440, v143
	v_cmp_eq_u32_e32 vcc, 0, v142
	s_barrier
	s_nop 0
	v_cndmask_b32_e32 v142, v145, v143, vcc
	v_lshl_or_b32 v142, v144, 10, v142
	s_waitcnt vmcnt(5)
	v_perm_b32 v143, v62, v58, s60
	s_waitcnt vmcnt(4)
	v_perm_b32 v144, v54, v50, s60
	ds_write2st64_b32 v142, v143, v144 offset0:128 offset1:160
	v_xor_b32_e32 v143, 8, v142
	v_perm_b32 v58, v62, v58, s61
	v_perm_b32 v50, v54, v50, s61
	v_add_u32_e32 v54, 0x80, v143
	ds_write2st64_b32 v54, v58, v50 offset0:128 offset1:160
	v_xor_b32_e32 v50, 16, v142
	v_perm_b32 v54, v63, v59, s60
	v_perm_b32 v58, v55, v51, s60
	ds_write2st64_b32 v50, v54, v58 offset0:129 offset1:161
	v_xor_b32_e32 v50, 24, v142
	v_perm_b32 v54, v63, v59, s61
	v_perm_b32 v51, v55, v51, s61
	v_add_u32_e32 v50, 0x80, v50
	ds_write2st64_b32 v50, v54, v51 offset0:129 offset1:161
	v_xor_b32_e32 v50, 32, v142
	v_perm_b32 v51, v64, v60, s60
	;; [unrolled: 9-line block ×3, first 2 shown]
	v_perm_b32 v52, v57, v53, s60
	ds_write2st64_b32 v50, v51, v52 offset0:131 offset1:163
	v_xor_b32_e32 v50, 56, v142
	v_perm_b32 v51, v65, v61, s61
	v_perm_b32 v52, v57, v53, s61
	v_add_u32_e32 v50, 0x80, v50
	ds_write2st64_b32 v50, v51, v52 offset0:131 offset1:163
	ds_write_b64 v141, v[46:47] offset:49152
	v_xor_b32_e32 v46, 8, v141
	ds_write_b64 v46, v[48:49] offset:49152
	ds_write_b64 v141, v[42:43] offset:57344
	;; [unrolled: 1-line block ×4, first 2 shown]
	v_xor_b32_e32 v38, 8, v140
	ds_write_b64 v38, v[40:41] offset:49152
	ds_write_b64 v140, v[34:35] offset:57344
	;; [unrolled: 1-line block ×3, first 2 shown]
.LBB178_16:                             ;   in Loop: Header=BB178_6 Depth=1
	v_exp_f32_e32 v140, s24
	v_accvgpr_read_b32 v37, a3
	v_accvgpr_read_b32 v41, a7
	;; [unrolled: 1-line block ×4, first 2 shown]
	s_waitcnt vmcnt(4)
	v_accvgpr_read_b32 v53, a23
	v_accvgpr_read_b32 v57, a19
	;; [unrolled: 1-line block ×28, first 2 shown]
	s_add_i32 s57, s57, 64
	v_pk_fma_f32 v[6:7], v[6:7], v[140:141], v[34:35] op_sel_hi:[1,0,1]
	v_pk_fma_f32 v[8:9], v[8:9], v[140:141], v[36:37] op_sel_hi:[1,0,1]
	;; [unrolled: 1-line block ×15, first 2 shown]
	s_cmp_eq_u32 s51, s63
	v_pk_fma_f32 v[28:29], v[28:29], v[140:141], v[64:65] op_sel_hi:[1,0,1]
	s_cbranch_scc1 .LBB178_18
; %bb.17:                               ;   in Loop: Header=BB178_6 Depth=1
	s_mov_b32 s62, s63
	s_branch .LBB178_6
.LBB178_18:
	s_lshl_b32 s30, s51, 6
	s_sub_i32 s31, s52, s30
	s_cmp_gt_i32 s31, 0
	s_cbranch_scc0 .LBB178_99
; %bb.19:
	s_add_i32 s30, s30, s36
	s_ashr_i32 s3, s30, 31
	s_cmpk_lg_i32 s19, 0x80
	s_cselect_b64 s[26:27], -1, 0
	s_and_b64 vcc, exec, s[26:27]
	s_cbranch_vccz .LBB178_21
; %bb.20:
	s_mul_hi_i32 s0, s30, s18
	s_mul_i32 s1, s30, s18
	s_ashr_i32 s18, s53, 31
	s_add_u32 s28, s1, s53
	s_addc_u32 s29, s0, s18
	s_cbranch_execz .LBB178_22
	s_branch .LBB178_23
.LBB178_21:
                                        ; implicit-def: $sgpr28_sgpr29
.LBB178_22:
	s_mul_i32 s1, s53, s16
	s_mul_hi_i32 s0, s53, s16
	s_add_u32 s28, s1, s30
	s_addc_u32 s29, s0, s3
.LBB178_23:
	s_add_i32 s16, s51, s54
	s_add_u32 s0, s56, s30
	v_lshlrev_b32_e32 v38, 6, v89
	v_lshlrev_b32_e32 v56, 2, v86
	s_addc_u32 s1, s55, s3
	s_mov_b32 s3, 0x7060302
	v_or_b32_e32 v41, v38, v56
	v_xor_b32_e32 v39, v89, v56
	s_waitcnt vmcnt(7)
	v_perm_b32 v35, v9, v8, s3
	v_perm_b32 v34, v7, v6, s3
	s_waitcnt vmcnt(6)
	v_perm_b32 v37, v5, v4, s3
	v_perm_b32 v36, v3, v2, s3
	v_lshlrev_b32_e32 v41, 1, v41
	v_xor_b32_e32 v40, v90, v56
	ds_write2st64_b64 v41, v[34:35], v[36:37] offset0:32 offset1:48
	v_lshlrev_b32_e32 v39, 1, v39
	v_lshlrev_b32_e32 v41, 8, v86
	v_or_b32_e32 v42, v39, v41
	v_lshlrev_b32_e32 v40, 1, v40
	ds_write_b64 v42, v[34:35]
	v_or_b32_e32 v34, v40, v41
	v_or_b32_e32 v41, 16, v86
	v_lshlrev_b32_e32 v55, 2, v41
	v_or_b32_e32 v42, v38, v55
	ds_write_b64 v34, v[36:37]
	s_waitcnt vmcnt(5)
	v_perm_b32 v35, v17, v16, s3
	v_perm_b32 v34, v15, v14, s3
	s_waitcnt vmcnt(4)
	v_perm_b32 v37, v13, v12, s3
	v_perm_b32 v36, v11, v10, s3
	v_lshlrev_b32_e32 v42, 1, v42
	v_lshlrev_b32_e32 v41, 8, v41
	ds_write2st64_b64 v42, v[34:35], v[36:37] offset0:32 offset1:48
	v_or_b32_e32 v42, v39, v41
	ds_write_b64 v42, v[34:35]
	v_or_b32_e32 v34, v40, v41
	v_or_b32_e32 v41, 32, v86
	v_lshlrev_b32_e32 v54, 2, v41
	v_or_b32_e32 v42, v38, v54
	ds_write_b64 v34, v[36:37]
	s_waitcnt vmcnt(3)
	v_perm_b32 v35, v25, v24, s3
	v_perm_b32 v34, v23, v22, s3
	s_waitcnt vmcnt(2)
	v_perm_b32 v37, v21, v20, s3
	v_perm_b32 v36, v19, v18, s3
	v_lshlrev_b32_e32 v42, 1, v42
	v_lshlrev_b32_e32 v41, 8, v41
	s_lshl_b64 s[24:25], s[0:1], 8
	ds_write2st64_b64 v42, v[34:35], v[36:37] offset0:32 offset1:48
	v_or_b32_e32 v42, v39, v41
	s_add_u32 s0, s6, s24
	ds_write_b64 v42, v[34:35]
	v_or_b32_e32 v34, v40, v41
	s_addc_u32 s1, s7, s25
	ds_write_b64 v34, v[36:37]
	s_waitcnt vmcnt(1)
	v_perm_b32 v35, v33, v32, s3
	v_perm_b32 v34, v31, v30, s3
	s_waitcnt vmcnt(0)
	v_perm_b32 v37, v29, v28, s3
	v_perm_b32 v36, v27, v26, s3
	v_or_b32_e32 v41, 48, v86
	s_mul_hi_i32 s3, s16, s17
	s_mul_i32 s16, s16, s17
	v_lshlrev_b32_e32 v51, 2, v41
	s_add_u32 s6, s16, s49
	v_or_b32_e32 v38, v38, v51
	s_addc_u32 s7, s3, s50
	v_lshlrev_b32_e32 v38, 1, v38
	s_ashr_i32 s3, s2, 31
	s_lshl_b64 s[6:7], s[6:7], 15
	ds_write2st64_b64 v38, v[34:35], v[36:37] offset0:32 offset1:48
	v_lshlrev_b32_e32 v38, 8, v41
	s_add_u32 s6, s22, s6
	v_or_b32_e32 v39, v39, v38
	s_addc_u32 s7, s23, s7
	s_lshl_b64 s[2:3], s[2:3], 8
	ds_write_b64 v39, v[34:35]
	v_or_b32_e32 v34, v40, v38
	s_add_u32 s2, s6, s2
	v_lshlrev_b32_e32 v35, 1, v86
	ds_write_b64 v34, v[36:37]
	v_lshrrev_b32_e32 v34, 4, v0
	s_addc_u32 s3, s7, s3
	v_or_b32_e32 v36, 1, v35
	v_lshlrev_b32_e32 v42, 4, v86
	v_mov_b32_e32 v43, 0
	v_xor_b32_e32 v35, v34, v35
	v_xor_b32_e32 v38, v36, v34
	v_lshl_add_u64 v[44:45], s[2:3], 0, v[42:43]
	v_lshlrev_b32_e32 v42, 8, v34
	v_lshl_or_b32 v48, v35, 3, v42
	v_lshl_or_b32 v49, v38, 3, v42
	s_waitcnt lgkmcnt(0)
	s_barrier
	ds_read2st64_b64 v[34:37], v48 offset1:8
	ds_read2st64_b64 v[38:41], v49 offset1:8
	v_lshl_add_u64 v[46:47], v[44:45], 0, v[42:43]
	s_movk_i32 s2, 0x2000
	s_cmp_lg_u32 s31, 64
	s_waitcnt lgkmcnt(1)
	v_mov_b32_e32 v42, v34
	v_mov_b32_e32 v43, v35
	s_waitcnt lgkmcnt(0)
	v_mov_b32_e32 v44, v38
	v_mov_b32_e32 v45, v39
	global_store_dwordx4 v[46:47], v[42:45], off
	v_mov_b32_e32 v38, v36
	v_mov_b32_e32 v39, v37
	ds_read2st64_b64 v[34:37], v48 offset0:16 offset1:24
	ds_read2st64_b64 v[42:45], v49 offset0:16 offset1:24
	v_add_co_u32_e32 v48, vcc, s2, v46
	s_cselect_b64 s[6:7], -1, 0
	s_nop 0
	v_addc_co_u32_e32 v49, vcc, 0, v47, vcc
	global_store_dwordx4 v[48:49], v[38:41], off offset:-4096
	v_lshl_or_b32 v62, v1, 3, v88
	s_mov_b32 s20, 0
	s_waitcnt lgkmcnt(1)
	v_mov_b32_e32 v38, v34
	v_add_co_u32_e32 v34, vcc, 0x3000, v46
	v_mov_b32_e32 v39, v35
	s_nop 0
	v_addc_co_u32_e32 v35, vcc, 0, v47, vcc
	s_waitcnt lgkmcnt(0)
	v_mov_b32_e32 v40, v42
	v_mov_b32_e32 v41, v43
	;; [unrolled: 1-line block ×4, first 2 shown]
	v_or_b32_e32 v52, 32, v62
	v_and_b32_e32 v50, 56, v87
	s_and_b64 vcc, exec, s[6:7]
	global_store_dwordx4 v[48:49], v[38:41], off
	global_store_dwordx4 v[34:35], v[42:45], off
	s_cbranch_vccz .LBB178_29
; %bb.24:
	s_mov_b32 s22, s20
	s_mov_b32 s23, s20
	;; [unrolled: 1-line block ×3, first 2 shown]
	v_mov_b64_e32 v[40:41], s[22:23]
	v_mov_b64_e32 v[38:39], s[20:21]
	;; [unrolled: 1-line block ×3, first 2 shown]
	v_cmp_gt_i32_e32 vcc, s31, v62
	v_mov_b64_e32 v[36:37], v[40:41]
	s_and_saveexec_b64 s[2:3], vcc
	s_cbranch_execz .LBB178_26
; %bb.25:
	v_lshlrev_b32_e32 v34, 8, v62
	v_mov_b32_e32 v35, 0
	v_lshl_add_u64 v[36:37], s[0:1], 0, v[34:35]
	v_lshlrev_b32_e32 v34, 1, v50
	v_lshl_add_u64 v[42:43], v[36:37], 0, v[34:35]
	global_load_dwordx4 v[38:41], v[42:43], off
	global_load_dwordx4 v[34:37], v[42:43], off offset:128
.LBB178_26:
	s_or_b64 exec, exec, s[2:3]
	s_mov_b32 s22, s20
	s_mov_b32 s23, s20
	s_mov_b32 s21, s20
	v_mov_b64_e32 v[48:49], s[22:23]
	v_mov_b64_e32 v[46:47], s[20:21]
	;; [unrolled: 1-line block ×3, first 2 shown]
	v_cmp_gt_i32_e32 vcc, s31, v52
	v_lshlrev_b32_e32 v53, 7, v52
	v_mov_b64_e32 v[44:45], v[48:49]
	s_and_saveexec_b64 s[2:3], vcc
	s_cbranch_execz .LBB178_28
; %bb.27:
	v_lshlrev_b32_e32 v42, 1, v53
	v_mov_b32_e32 v43, 0
	v_lshl_add_u64 v[44:45], s[0:1], 0, v[42:43]
	v_lshlrev_b32_e32 v42, 1, v50
	v_lshl_add_u64 v[58:59], v[44:45], 0, v[42:43]
	global_load_dwordx4 v[46:49], v[58:59], off
	global_load_dwordx4 v[42:45], v[58:59], off offset:128
.LBB178_28:
	s_or_b64 exec, exec, s[2:3]
	v_lshrrev_b32_e32 v57, 3, v50
	v_lshlrev_b32_e32 v58, 3, v62
	v_or_b32_e32 v57, v58, v57
	v_lshlrev_b32_e32 v57, 4, v57
	v_and_b32_e32 v58, 0x78, v58
	v_xor_b32_e32 v57, v57, v58
	s_branch .LBB178_31
.LBB178_29:
                                        ; implicit-def: $vgpr57
                                        ; implicit-def: $vgpr53
                                        ; implicit-def: $vgpr38_vgpr39_vgpr40_vgpr41
                                        ; implicit-def: $vgpr34_vgpr35_vgpr36_vgpr37
                                        ; implicit-def: $vgpr46_vgpr47_vgpr48_vgpr49
                                        ; implicit-def: $vgpr42_vgpr43_vgpr44_vgpr45
	s_cbranch_execz .LBB178_31
; %bb.30:
	s_waitcnt vmcnt(0)
	v_lshlrev_b32_e32 v34, 1, v50
	v_lshl_or_b32 v53, v62, 8, v34
	s_and_b32 s1, s1, 0xffff
	s_mov_b32 s3, 0x20000
	s_movk_i32 s2, 0x4000
	v_lshl_or_b32 v57, v52, 8, v34
	s_movk_i32 s16, 0x80
	buffer_load_dwordx4 v[38:41], v53, s[0:3], 0 offen
	buffer_load_dwordx4 v[34:37], v53, s[0:3], s16 offen
	buffer_load_dwordx4 v[46:49], v57, s[0:3], 0 offen
	buffer_load_dwordx4 v[42:45], v57, s[0:3], s16 offen
	v_lshrrev_b32_e32 v53, 3, v50
	v_lshlrev_b32_e32 v57, 3, v62
	v_or_b32_e32 v53, v57, v53
	v_lshlrev_b32_e32 v53, 4, v53
	v_and_b32_e32 v57, 0x78, v57
	v_xor_b32_e32 v57, v53, v57
	v_lshlrev_b32_e32 v53, 7, v52
.LBB178_31:
	s_movk_i32 s0, 0x1000
	v_and_or_b32 v52, v53, s0, v57
	s_waitcnt vmcnt(1)
	ds_write_b64 v57, v[38:39] offset:49152
	v_xor_b32_e32 v38, 8, v57
	ds_write_b64 v38, v[40:41] offset:49152
	s_waitcnt vmcnt(0)
	ds_write_b64 v57, v[34:35] offset:57344
	ds_write_b64 v38, v[36:37] offset:57344
	;; [unrolled: 1-line block ×3, first 2 shown]
	v_xor_b32_e32 v34, 8, v52
	ds_write_b64 v34, v[48:49] offset:49152
	ds_write_b64 v52, v[42:43] offset:57344
	;; [unrolled: 1-line block ×3, first 2 shown]
	v_or_b32_e32 v34, v84, v86
	v_lshlrev_b32_e32 v34, 3, v34
	v_lshrrev_b32_e32 v35, 5, v67
	s_movk_i32 s0, 0xf8
	v_and_or_b32 v35, v34, s0, v35
	v_lshlrev_b32_e32 v39, 4, v35
	v_lshlrev_b32_e32 v57, 11, v1
	v_and_b32_e32 v40, 0x78, v34
	v_or_b32_e32 v42, 32, v39
	v_and_b32_e32 v38, 0x1000, v57
	v_lshrrev_b32_e32 v35, 1, v67
	v_xor_b32_e32 v42, v42, v40
	v_xor_b32_e32 v34, v39, v40
	v_and_b32_e32 v41, 8, v35
	v_or_b32_e32 v42, v42, v38
	v_or_b32_e32 v34, v34, v38
	v_xor_b32_e32 v64, v42, v41
	v_or_b32_e32 v42, 64, v39
	v_xor_b32_e32 v63, v34, v41
	v_xor_b32_e32 v42, v42, v40
	s_waitcnt lgkmcnt(0)
	s_barrier
	v_or_b32_e32 v45, v42, v38
	ds_read_b64 v[42:43], v63 offset:49152
	v_lshl_or_b32 v46, v85, 8, v56
	v_lshlrev_b32_e32 v58, 1, v46
	v_add_u32_e32 v44, 0x4000, v58
	ds_read2_b64 v[34:37], v44 offset1:16
	v_or_b32_e32 v39, 0x60, v39
	v_xor_b32_e32 v39, v39, v40
	v_or_b32_e32 v38, v39, v38
	v_xor_b32_e32 v65, v45, v41
	v_xor_b32_e32 v77, v38, v41
	ds_read_b64 v[52:53], v64 offset:49152
	ds_read_b64 v[78:79], v65 offset:49152
	ds_read_b64 v[80:81], v77 offset:49152
	s_waitcnt lgkmcnt(3)
	v_mfma_f32_16x16x16_bf16 a[0:3], v[42:43], v[34:35], 0
	ds_read2st64_b64 v[38:41], v58 offset0:36 offset1:40
	s_lshl_b64 s[0:1], s[28:29], 8
	s_add_u32 s4, s4, s0
	v_mfma_f32_16x16x16_bf16 a[4:7], v[42:43], v[36:37], 0
	ds_read2_b64 v[34:37], v44 offset0:32 offset1:48
	s_addc_u32 s5, s5, s1
	s_add_i32 s1, s45, s33
	s_waitcnt lgkmcnt(0)
	v_mfma_f32_16x16x16_bf16 a[8:11], v[42:43], v[34:35], 0
	v_or_b32_e32 v34, 64, v46
	v_lshlrev_b32_e32 v59, 1, v34
	s_add_i32 s0, s37, -1
	v_mfma_f32_16x16x16_bf16 a[12:15], v[42:43], v[36:37], 0
	ds_read2st64_b64 v[34:37], v59 offset0:36 offset1:40
	s_add_i32 s41, s1, s44
	s_add_i32 s1, s47, s46
	v_mfma_f32_16x16x16_bf16 a[0:3], v[52:53], v[38:39], a[0:3]
	v_or_b32_e32 v38, 0x80, v46
	v_lshlrev_b32_e32 v60, 1, v38
	ds_read2st64_b64 v[42:45], v60 offset0:36 offset1:40
	s_waitcnt lgkmcnt(1)
	v_mfma_f32_16x16x16_bf16 a[4:7], v[52:53], v[34:35], a[4:7]
	v_or_b32_e32 v34, 0xc0, v46
	v_lshlrev_b32_e32 v61, 1, v34
	ds_read2st64_b64 v[46:49], v61 offset0:36 offset1:40
	s_add_i32 s39, s1, s48
	s_ashr_i32 s1, s0, 31
	s_mul_i32 s2, s0, s35
	s_mul_hi_u32 s3, s0, s34
	s_add_i32 s2, s3, s2
	s_mul_i32 s1, s1, s34
	s_waitcnt lgkmcnt(1)
	v_mfma_f32_16x16x16_bf16 a[8:11], v[52:53], v[42:43], a[8:11]
	s_add_i32 s1, s2, s1
	s_lshl_b64 s[2:3], s[40:41], 2
	s_add_u32 s10, s10, s2
	s_waitcnt lgkmcnt(0)
	v_mfma_f32_16x16x16_bf16 a[12:15], v[52:53], v[46:47], a[12:15]
	s_addc_u32 s11, s11, s3
	s_lshl_b64 s[2:3], s[38:39], 2
	s_mul_i32 s0, s0, s34
	v_mfma_f32_16x16x16_bf16 a[0:3], v[78:79], v[40:41], a[0:3]
	ds_read_b64 v[34:35], v58 offset:22528
	s_add_u32 s10, s10, s2
	s_addc_u32 s11, s11, s3
	v_mfma_f32_16x16x16_bf16 a[4:7], v[78:79], v[36:37], a[4:7]
	ds_read_b64 v[36:37], v59 offset:22528
	ds_read_b64 v[38:39], v60 offset:22528
	;; [unrolled: 1-line block ×3, first 2 shown]
	s_lshl_b64 s[0:1], s[0:1], 2
	s_add_u32 s0, s10, s0
	v_mfma_f32_16x16x16_bf16 a[8:11], v[78:79], v[44:45], a[8:11]
	s_addc_u32 s1, s11, s1
	s_load_dword s16, s[0:1], 0x0
	s_and_b64 vcc, exec, s[26:27]
	v_mfma_f32_16x16x16_bf16 a[12:15], v[78:79], v[48:49], a[12:15]
	s_waitcnt lgkmcnt(0)
	v_mfma_f32_16x16x16_bf16 a[0:3], v[80:81], v[34:35], a[0:3]
	v_mfma_f32_16x16x16_bf16 a[4:7], v[80:81], v[36:37], a[4:7]
	;; [unrolled: 1-line block ×4, first 2 shown]
	s_cbranch_vccz .LBB178_42
; %bb.32:
	v_lshlrev_b32_e32 v52, 1, v62
	s_and_b64 vcc, exec, s[6:7]
	s_cbranch_vccz .LBB178_43
; %bb.33:
	v_cmp_gt_i32_e32 vcc, s31, v52
	v_mov_b32_e32 v38, 0
	v_mov_b32_e32 v34, 0
	v_mov_b32_e32 v35, 0
	v_mov_b32_e32 v36, 0
	v_mov_b32_e32 v37, 0
	s_and_saveexec_b64 s[0:1], vcc
	s_cbranch_execz .LBB178_35
; %bb.34:
	v_mad_i64_i32 v[34:35], s[2:3], s19, v52, 0
	v_lshl_add_u64 v[34:35], v[34:35], 1, s[4:5]
	v_lshlrev_b32_e32 v36, 1, v50
	v_mov_b32_e32 v37, 0
	v_lshl_add_u64 v[34:35], v[34:35], 0, v[36:37]
	global_load_dwordx4 v[34:37], v[34:35], off
.LBB178_35:
	s_or_b64 exec, exec, s[0:1]
	v_or_b32_e32 v53, 1, v52
	v_cmp_gt_i32_e64 s[0:1], s31, v53
	v_mov_b32_e32 v39, 0
	v_mov_b32_e32 v40, 0
	;; [unrolled: 1-line block ×3, first 2 shown]
	s_and_saveexec_b64 s[2:3], s[0:1]
	s_cbranch_execz .LBB178_37
; %bb.36:
	v_mad_i64_i32 v[38:39], s[20:21], s19, v53, 0
	v_lshl_add_u64 v[38:39], v[38:39], 1, s[4:5]
	v_lshlrev_b32_e32 v40, 1, v50
	v_mov_b32_e32 v41, 0
	v_lshl_add_u64 v[38:39], v[38:39], 0, v[40:41]
	global_load_dwordx4 v[38:41], v[38:39], off
.LBB178_37:
	s_or_b64 exec, exec, s[2:3]
	v_mov_b32_e32 v49, 0
	v_mov_b32_e32 v42, 0
	;; [unrolled: 1-line block ×5, first 2 shown]
	s_and_saveexec_b64 s[2:3], vcc
	s_cbranch_execz .LBB178_39
; %bb.38:
	v_mad_i64_i32 v[42:43], s[20:21], s19, v52, 0
	v_lshl_add_u64 v[42:43], v[42:43], 1, s[4:5]
	v_lshlrev_b32_e32 v44, 1, v50
	v_mov_b32_e32 v45, 0
	v_lshl_add_u64 v[42:43], v[42:43], 0, v[44:45]
	global_load_dwordx4 v[42:45], v[42:43], off offset:128
.LBB178_39:
	s_or_b64 exec, exec, s[2:3]
	v_mov_b32_e32 v48, 0
	v_mov_b32_e32 v47, 0
	;; [unrolled: 1-line block ×3, first 2 shown]
	s_and_saveexec_b64 s[2:3], s[0:1]
	s_cbranch_execz .LBB178_41
; %bb.40:
	v_mad_i64_i32 v[46:47], s[0:1], s19, v53, 0
	v_lshl_add_u64 v[46:47], v[46:47], 1, s[4:5]
	v_lshlrev_b32_e32 v48, 1, v50
	v_mov_b32_e32 v49, 0
	v_lshl_add_u64 v[46:47], v[46:47], 0, v[48:49]
	global_load_dwordx4 v[46:49], v[46:47], off offset:128
.LBB178_41:
	s_or_b64 exec, exec, s[2:3]
	s_branch .LBB178_45
.LBB178_42:
                                        ; implicit-def: $vgpr37
                                        ; implicit-def: $vgpr41
                                        ; implicit-def: $vgpr45
                                        ; implicit-def: $vgpr49
	v_lshrrev_b32_e32 v67, 2, v67
	s_branch .LBB178_46
.LBB178_43:
                                        ; implicit-def: $vgpr37
                                        ; implicit-def: $vgpr41
                                        ; implicit-def: $vgpr45
                                        ; implicit-def: $vgpr49
	s_cbranch_execz .LBB178_45
; %bb.44:
	s_waitcnt vmcnt(0)
	v_mad_u64_u32 v[34:35], s[0:1], v52, s19, v[50:51]
	v_lshlrev_b32_e32 v52, 1, v34
	s_lshl_b32 s2, s19, 7
	s_and_b32 s1, s5, 0xffff
	s_mov_b32 s3, 0x20000
	s_mov_b32 s0, s4
	v_add_lshl_u32 v53, v34, s19, 1
	s_movk_i32 s17, 0x80
	buffer_load_dwordx4 v[34:37], v52, s[0:3], 0 offen
	buffer_load_dwordx4 v[42:45], v52, s[0:3], s17 offen
	;; [unrolled: 1-line block ×4, first 2 shown]
.LBB178_45:
	v_lshrrev_b32_e32 v67, 2, v67
	s_cbranch_execnz .LBB178_58
.LBB178_46:
	s_and_b64 vcc, exec, s[6:7]
	s_cbranch_vccz .LBB178_56
; %bb.47:
	s_waitcnt vmcnt(0)
	v_lshlrev_b32_e32 v39, 1, v62
	v_cmp_gt_i32_e32 vcc, s31, v39
	v_mov_b32_e32 v38, 0
	v_lshlrev_b32_e32 v46, 9, v62
	v_mov_b32_e32 v34, 0
	v_mov_b32_e32 v35, 0
	;; [unrolled: 1-line block ×4, first 2 shown]
	s_and_saveexec_b64 s[0:1], vcc
	s_cbranch_execz .LBB178_49
; %bb.48:
	v_mov_b32_e32 v47, 0
	v_lshl_add_u64 v[34:35], s[4:5], 0, v[46:47]
	v_lshlrev_b32_e32 v36, 1, v50
	v_mov_b32_e32 v37, v47
	v_lshl_add_u64 v[34:35], v[34:35], 0, v[36:37]
	global_load_dwordx4 v[34:37], v[34:35], off
.LBB178_49:
	s_or_b64 exec, exec, s[0:1]
	v_or_b32_e32 v39, 1, v39
	v_cmp_gt_i32_e64 s[0:1], s31, v39
	v_lshlrev_b32_e32 v52, 8, v39
	v_mov_b32_e32 v39, 0
	v_mov_b32_e32 v40, 0
	;; [unrolled: 1-line block ×3, first 2 shown]
	s_and_saveexec_b64 s[2:3], s[0:1]
	s_cbranch_execz .LBB178_51
; %bb.50:
	v_mov_b32_e32 v53, 0
	v_lshl_add_u64 v[38:39], s[4:5], 0, v[52:53]
	v_lshlrev_b32_e32 v40, 1, v50
	v_mov_b32_e32 v41, v53
	v_lshl_add_u64 v[38:39], v[38:39], 0, v[40:41]
	global_load_dwordx4 v[38:41], v[38:39], off
.LBB178_51:
	s_or_b64 exec, exec, s[2:3]
	v_mov_b32_e32 v49, 0
	v_mov_b32_e32 v42, 0
	;; [unrolled: 1-line block ×5, first 2 shown]
	s_and_saveexec_b64 s[2:3], vcc
	s_cbranch_execz .LBB178_53
; %bb.52:
	v_mov_b32_e32 v47, 0
	v_lshl_add_u64 v[42:43], s[4:5], 0, v[46:47]
	v_lshlrev_b32_e32 v46, 1, v50
	v_lshl_add_u64 v[42:43], v[42:43], 0, v[46:47]
	global_load_dwordx4 v[42:45], v[42:43], off offset:128
.LBB178_53:
	s_or_b64 exec, exec, s[2:3]
	v_mov_b32_e32 v48, 0
	v_mov_b32_e32 v47, 0
	v_mov_b32_e32 v46, 0
	s_and_saveexec_b64 s[2:3], s[0:1]
	s_cbranch_execz .LBB178_55
; %bb.54:
	v_mov_b32_e32 v53, 0
	v_lshl_add_u64 v[46:47], s[4:5], 0, v[52:53]
	v_lshlrev_b32_e32 v52, 1, v50
	v_lshl_add_u64 v[46:47], v[46:47], 0, v[52:53]
	global_load_dwordx4 v[46:49], v[46:47], off offset:128
.LBB178_55:
	s_or_b64 exec, exec, s[2:3]
	s_branch .LBB178_58
.LBB178_56:
                                        ; implicit-def: $vgpr37
                                        ; implicit-def: $vgpr41
                                        ; implicit-def: $vgpr45
                                        ; implicit-def: $vgpr49
	s_cbranch_execz .LBB178_58
; %bb.57:
	s_waitcnt vmcnt(0)
	v_lshlrev_b32_e32 v34, 1, v50
	v_lshl_or_b32 v50, v62, 9, v34
	s_and_b32 s5, s5, 0xffff
	s_mov_b32 s7, 0x20000
	s_movk_i32 s6, 0x4000
	s_movk_i32 s0, 0x80
	buffer_load_dwordx4 v[34:37], v50, s[4:7], 0 offen
	buffer_load_dwordx4 v[38:41], v50, s[4:7], 0 offen offset:256
	buffer_load_dwordx4 v[42:45], v50, s[4:7], s0 offen
	buffer_load_dwordx4 v[46:49], v50, s[4:7], s0 offen offset:256
.LBB178_58:
	ds_read_b64 v[52:53], v63 offset:57344
	v_add_u32_e32 v50, 0x6000, v58
	ds_read2_b64 v[78:81], v50 offset1:16
	ds_read_b64 v[82:83], v64 offset:57344
	ds_read_b64 v[64:65], v65 offset:57344
	;; [unrolled: 1-line block ×3, first 2 shown]
	ds_read2st64_b64 v[86:89], v58 offset0:52 offset1:56
	v_and_b32_e32 v63, 1, v0
	v_cmp_eq_u32_e32 vcc, 0, v63
	s_mov_b32 s0, 0x1000504
	s_waitcnt vmcnt(0)
	v_perm_b32 v63, v42, v46, s0
	s_mov_b32 s1, 0x3020706
	s_waitcnt lgkmcnt(4)
	v_mfma_f32_16x16x16_bf16 a[0:3], v[52:53], v[78:79], a[0:3]
	v_mfma_f32_16x16x16_bf16 a[4:7], v[52:53], v[80:81], a[4:7]
	ds_read2_b64 v[78:81], v50 offset0:32 offset1:48
	v_and_b32_e32 v50, 6, v0
	v_xor_b32_e32 v62, v62, v50
	s_waitcnt lgkmcnt(0)
	v_mfma_f32_16x16x16_bf16 a[8:11], v[52:53], v[78:79], a[8:11]
	v_lshlrev_b32_e32 v62, 2, v62
	v_xor_b32_e32 v77, 0x440, v62
	v_cndmask_b32_e32 v62, v77, v62, vcc
	v_mfma_f32_16x16x16_bf16 a[12:15], v[52:53], v[80:81], a[12:15]
	ds_read2st64_b64 v[78:81], v59 offset0:52 offset1:56
	ds_read2st64_b64 v[90:93], v60 offset0:52 offset1:56
	;; [unrolled: 1-line block ×3, first 2 shown]
	v_lshl_or_b32 v50, v50, 10, v62
	v_perm_b32 v62, v34, v38, s0
	v_mfma_f32_16x16x16_bf16 a[0:3], v[82:83], v[86:87], a[0:3]
	ds_read_b64 v[52:53], v58 offset:30720
	ds_read_b64 v[86:87], v59 offset:30720
	;; [unrolled: 1-line block ×4, first 2 shown]
	ds_write2st64_b32 v50, v62, v63 offset0:128 offset1:160
	v_xor_b32_e32 v62, 8, v50
	s_waitcnt lgkmcnt(7)
	v_mfma_f32_16x16x16_bf16 a[4:7], v[82:83], v[78:79], a[4:7]
	v_perm_b32 v34, v34, v38, s1
	v_perm_b32 v38, v42, v46, s1
	v_add_u32_e32 v42, 0x80, v62
	s_waitcnt lgkmcnt(6)
	v_mfma_f32_16x16x16_bf16 a[8:11], v[82:83], v[90:91], a[8:11]
	ds_write2st64_b32 v42, v34, v38 offset0:128 offset1:160
	v_xor_b32_e32 v34, 16, v50
	v_perm_b32 v38, v35, v39, s0
	s_waitcnt lgkmcnt(6)
	v_mfma_f32_16x16x16_bf16 a[12:15], v[82:83], v[94:95], a[12:15]
	v_perm_b32 v42, v43, v47, s0
	ds_write2st64_b32 v34, v38, v42 offset0:129 offset1:161
	v_xor_b32_e32 v34, 24, v50
	v_mfma_f32_16x16x16_bf16 a[0:3], v[64:65], v[88:89], a[0:3]
	v_perm_b32 v35, v35, v39, s1
	v_perm_b32 v38, v43, v47, s1
	v_add_u32_e32 v34, 0x80, v34
	v_mfma_f32_16x16x16_bf16 a[4:7], v[64:65], v[80:81], a[4:7]
	ds_write2st64_b32 v34, v35, v38 offset0:129 offset1:161
	v_xor_b32_e32 v34, 32, v50
	v_perm_b32 v35, v36, v40, s0
	v_mfma_f32_16x16x16_bf16 a[16:19], v[64:65], v[92:93], a[8:11]
	v_perm_b32 v38, v44, v48, s0
	ds_write2st64_b32 v34, v35, v38 offset0:130 offset1:162
	v_xor_b32_e32 v34, 40, v50
	v_mfma_f32_16x16x16_bf16 a[20:23], v[64:65], v[96:97], a[12:15]
	v_perm_b32 v35, v36, v40, s1
	v_perm_b32 v36, v44, v48, s1
	v_add_u32_e32 v34, 0x80, v34
	s_waitcnt lgkmcnt(8)
	v_mfma_f32_16x16x16_bf16 a[12:15], v[98:99], v[52:53], a[0:3]
	ds_write2st64_b32 v34, v35, v36 offset0:130 offset1:162
	v_xor_b32_e32 v34, 48, v50
	v_perm_b32 v35, v37, v41, s0
	s_waitcnt lgkmcnt(8)
	v_mfma_f32_16x16x16_bf16 a[8:11], v[98:99], v[86:87], a[4:7]
	v_perm_b32 v36, v45, v49, s0
	ds_write2st64_b32 v34, v35, v36 offset0:131 offset1:163
	v_xor_b32_e32 v34, 56, v50
	s_waitcnt lgkmcnt(8)
	v_mfma_f32_16x16x16_bf16 a[4:7], v[98:99], v[100:101], a[16:19]
	v_and_or_b32 v53, v67, 12, v84
	v_perm_b32 v35, v37, v41, s1
	v_perm_b32 v36, v45, v49, s1
	s_waitcnt lgkmcnt(7)
	v_mfma_f32_16x16x16_bf16 a[0:3], v[98:99], v[102:103], a[20:23]
	v_add_u32_e32 v34, 0x80, v34
	v_cmp_gt_i32_e32 vcc, s31, v53
	v_mov_b32_e32 v48, 0
	v_mov_b32_e32 v50, 0
	ds_write2st64_b32 v34, v35, v36 offset0:131 offset1:163
	s_and_saveexec_b64 s[0:1], vcc
	s_cbranch_execz .LBB178_60
; %bb.59:
	v_add_u32_e32 v34, s30, v53
	v_ashrrev_i32_e32 v35, 31, v34
	v_mul_lo_u32 v36, v35, s34
	v_mul_lo_u32 v37, v34, s35
	v_mad_u64_u32 v[34:35], s[2:3], v34, s34, 0
	v_add3_u32 v35, v35, v37, v36
	v_lshl_add_u64 v[34:35], v[34:35], 2, s[10:11]
	global_load_dword v34, v[34:35], off
	s_waitcnt vmcnt(0)
	v_sub_f32_e32 v34, s16, v34
	v_exp_f32_e32 v50, v34
.LBB178_60:
	s_or_b64 exec, exec, s[0:1]
	v_or_b32_e32 v40, 1, v53
	v_cmp_gt_i32_e64 s[0:1], s31, v40
	s_and_saveexec_b64 s[2:3], s[0:1]
	s_cbranch_execz .LBB178_62
; %bb.61:
	v_add_u32_e32 v34, s30, v40
	v_ashrrev_i32_e32 v35, 31, v34
	v_mul_lo_u32 v36, v35, s34
	v_mul_lo_u32 v37, v34, s35
	v_mad_u64_u32 v[34:35], s[4:5], v34, s34, 0
	v_add3_u32 v35, v35, v37, v36
	v_lshl_add_u64 v[34:35], v[34:35], 2, s[10:11]
	global_load_dword v34, v[34:35], off
	s_waitcnt vmcnt(0)
	v_sub_f32_e32 v34, s16, v34
	v_exp_f32_e32 v48, v34
.LBB178_62:
	s_or_b64 exec, exec, s[2:3]
	v_or_b32_e32 v41, 2, v53
	v_cmp_gt_i32_e64 s[2:3], s31, v41
	v_mov_b32_e32 v49, 0
	v_mov_b32_e32 v52, 0
	s_and_saveexec_b64 s[4:5], s[2:3]
	s_cbranch_execz .LBB178_64
; %bb.63:
	v_add_u32_e32 v34, s30, v41
	v_ashrrev_i32_e32 v35, 31, v34
	v_mul_lo_u32 v36, v35, s34
	v_mul_lo_u32 v37, v34, s35
	v_mad_u64_u32 v[34:35], s[6:7], v34, s34, 0
	v_add3_u32 v35, v35, v37, v36
	v_lshl_add_u64 v[34:35], v[34:35], 2, s[10:11]
	global_load_dword v34, v[34:35], off
	s_waitcnt vmcnt(0)
	v_sub_f32_e32 v34, s16, v34
	v_exp_f32_e32 v52, v34
.LBB178_64:
	s_or_b64 exec, exec, s[4:5]
	v_or_b32_e32 v62, 3, v53
	v_cmp_gt_i32_e64 s[4:5], s31, v62
	s_and_saveexec_b64 s[6:7], s[4:5]
	s_cbranch_execz .LBB178_66
; %bb.65:
	v_add_u32_e32 v34, s30, v62
	v_ashrrev_i32_e32 v35, 31, v34
	v_mul_lo_u32 v36, v35, s34
	v_mul_lo_u32 v37, v34, s35
	v_mad_u64_u32 v[34:35], s[18:19], v34, s34, 0
	v_add3_u32 v35, v35, v37, v36
	v_lshl_add_u64 v[34:35], v[34:35], 2, s[10:11]
	global_load_dword v34, v[34:35], off
	s_waitcnt vmcnt(0)
	v_sub_f32_e32 v34, s16, v34
	v_exp_f32_e32 v49, v34
.LBB178_66:
	s_or_b64 exec, exec, s[6:7]
	s_add_u32 s6, s8, s24
	v_accvgpr_read_b32 v37, a15
	s_addc_u32 s7, s9, s25
	v_ashrrev_i32_e32 v77, 31, v76
	v_accvgpr_read_b32 v36, a14
	v_accvgpr_read_b32 v35, a13
	;; [unrolled: 1-line block ×3, first 2 shown]
	v_lshl_add_u64 v[38:39], v[76:77], 1, s[6:7]
	v_mov_b32_e32 v45, 0
	v_lshlrev_b32_e32 v42, 8, v53
	v_mov_b32_e32 v43, 0
	s_and_saveexec_b64 s[6:7], vcc
	s_cbranch_execz .LBB178_68
; %bb.67:
	v_mov_b32_e32 v43, 0
	v_lshl_add_u64 v[46:47], v[38:39], 0, v[42:43]
	global_load_ushort v43, v[46:47], off
	s_waitcnt vmcnt(0)
	v_lshlrev_b32_e32 v43, 16, v43
	v_sub_f32_e32 v34, v43, v34
	v_mul_f32_e32 v34, v50, v34
	v_lshrrev_b32_e32 v43, 16, v34
.LBB178_68:
	s_or_b64 exec, exec, s[6:7]
	v_lshlrev_b32_e32 v44, 8, v40
	s_and_saveexec_b64 s[6:7], s[0:1]
	s_cbranch_execz .LBB178_70
; %bb.69:
	v_mov_b32_e32 v45, 0
	v_lshl_add_u64 v[46:47], v[38:39], 0, v[44:45]
	global_load_ushort v34, v[46:47], off
	s_waitcnt vmcnt(0)
	v_lshlrev_b32_e32 v34, 16, v34
	v_sub_f32_e32 v34, v34, v35
	v_mul_f32_e32 v34, v48, v34
	v_lshrrev_b32_e32 v45, 16, v34
.LBB178_70:
	s_or_b64 exec, exec, s[6:7]
	v_mov_b32_e32 v63, 0
	v_lshlrev_b32_e32 v46, 8, v41
	v_mov_b32_e32 v47, 0
	s_and_saveexec_b64 s[6:7], s[2:3]
	s_cbranch_execz .LBB178_72
; %bb.71:
	v_mov_b32_e32 v47, 0
	v_lshl_add_u64 v[34:35], v[38:39], 0, v[46:47]
	global_load_ushort v34, v[34:35], off
	s_waitcnt vmcnt(0)
	v_lshlrev_b32_e32 v34, 16, v34
	v_sub_f32_e32 v34, v34, v36
	v_mul_f32_e32 v34, v52, v34
	v_lshrrev_b32_e32 v47, 16, v34
.LBB178_72:
	s_or_b64 exec, exec, s[6:7]
	v_lshlrev_b32_e32 v40, 8, v62
	s_and_saveexec_b64 s[6:7], s[4:5]
	s_cbranch_execz .LBB178_74
; %bb.73:
	v_mov_b32_e32 v41, 0
	v_lshl_add_u64 v[34:35], v[38:39], 0, v[40:41]
	global_load_ushort v34, v[34:35], off
	s_waitcnt vmcnt(0)
	v_lshlrev_b32_e32 v34, 16, v34
	v_sub_f32_e32 v34, v34, v37
	v_mul_f32_e32 v34, v49, v34
	v_lshrrev_b32_e32 v63, 16, v34
.LBB178_74:
	s_or_b64 exec, exec, s[6:7]
	v_lshlrev_b32_e32 v53, 6, v53
	v_accvgpr_read_b32 v37, a11
	s_mov_b32 s6, 0x5040100
	v_or_b32_e32 v41, v53, v56
	v_accvgpr_read_b32 v36, a10
	v_accvgpr_read_b32 v35, a9
	;; [unrolled: 1-line block ×3, first 2 shown]
	v_perm_b32 v63, v63, v47, s6
	v_perm_b32 v62, v45, v43, s6
	v_lshlrev_b32_e32 v41, 1, v41
	v_mov_b32_e32 v45, 0
	v_mov_b32_e32 v43, 0
	ds_write_b64 v41, v[62:63] offset:24576
	s_and_saveexec_b64 s[6:7], vcc
	s_cbranch_execz .LBB178_76
; %bb.75:
	v_mov_b32_e32 v43, 0
	v_lshl_add_u64 v[62:63], v[38:39], 0, v[42:43]
	global_load_ushort v41, v[62:63], off offset:32
	s_waitcnt vmcnt(0)
	v_lshlrev_b32_e32 v41, 16, v41
	v_sub_f32_e32 v34, v41, v34
	v_mul_f32_e32 v34, v50, v34
	v_lshrrev_b32_e32 v43, 16, v34
.LBB178_76:
	s_or_b64 exec, exec, s[6:7]
	s_and_saveexec_b64 s[6:7], s[0:1]
	s_cbranch_execz .LBB178_78
; %bb.77:
	v_mov_b32_e32 v45, 0
	v_lshl_add_u64 v[62:63], v[38:39], 0, v[44:45]
	global_load_ushort v34, v[62:63], off offset:32
	s_waitcnt vmcnt(0)
	v_lshlrev_b32_e32 v34, 16, v34
	v_sub_f32_e32 v34, v34, v35
	v_mul_f32_e32 v34, v48, v34
	v_lshrrev_b32_e32 v45, 16, v34
.LBB178_78:
	s_or_b64 exec, exec, s[6:7]
	v_mov_b32_e32 v41, 0
	v_mov_b32_e32 v47, 0
	s_and_saveexec_b64 s[6:7], s[2:3]
	s_cbranch_execz .LBB178_80
; %bb.79:
	v_mov_b32_e32 v47, 0
	v_lshl_add_u64 v[34:35], v[38:39], 0, v[46:47]
	global_load_ushort v34, v[34:35], off offset:32
	s_waitcnt vmcnt(0)
	v_lshlrev_b32_e32 v34, 16, v34
	v_sub_f32_e32 v34, v34, v36
	v_mul_f32_e32 v34, v52, v34
	v_lshrrev_b32_e32 v47, 16, v34
.LBB178_80:
	s_or_b64 exec, exec, s[6:7]
	s_and_saveexec_b64 s[6:7], s[4:5]
	s_cbranch_execz .LBB178_82
; %bb.81:
	v_mov_b32_e32 v41, 0
	v_lshl_add_u64 v[34:35], v[38:39], 0, v[40:41]
	global_load_ushort v34, v[34:35], off offset:32
	s_waitcnt vmcnt(0)
	v_lshlrev_b32_e32 v34, 16, v34
	v_sub_f32_e32 v34, v34, v37
	v_mul_f32_e32 v34, v49, v34
	v_lshrrev_b32_e32 v41, 16, v34
.LBB178_82:
	s_or_b64 exec, exec, s[6:7]
	s_mov_b32 s6, 0x5040100
	v_accvgpr_read_b32 v37, a7
	v_perm_b32 v63, v41, v47, s6
	v_or_b32_e32 v41, v53, v55
	v_accvgpr_read_b32 v36, a6
	v_accvgpr_read_b32 v35, a5
	;; [unrolled: 1-line block ×3, first 2 shown]
	v_perm_b32 v62, v45, v43, s6
	v_lshlrev_b32_e32 v41, 1, v41
	v_mov_b32_e32 v45, 0
	v_mov_b32_e32 v43, 0
	ds_write_b64 v41, v[62:63] offset:24576
	s_and_saveexec_b64 s[6:7], vcc
	s_cbranch_execz .LBB178_84
; %bb.83:
	v_mov_b32_e32 v43, 0
	v_lshl_add_u64 v[62:63], v[38:39], 0, v[42:43]
	global_load_ushort v41, v[62:63], off offset:64
	s_waitcnt vmcnt(0)
	v_lshlrev_b32_e32 v41, 16, v41
	v_sub_f32_e32 v34, v41, v34
	v_mul_f32_e32 v34, v50, v34
	v_lshrrev_b32_e32 v43, 16, v34
.LBB178_84:
	s_or_b64 exec, exec, s[6:7]
	s_and_saveexec_b64 s[6:7], s[0:1]
	s_cbranch_execz .LBB178_86
; %bb.85:
	v_mov_b32_e32 v45, 0
	v_lshl_add_u64 v[62:63], v[38:39], 0, v[44:45]
	global_load_ushort v34, v[62:63], off offset:64
	s_waitcnt vmcnt(0)
	v_lshlrev_b32_e32 v34, 16, v34
	v_sub_f32_e32 v34, v34, v35
	v_mul_f32_e32 v34, v48, v34
	v_lshrrev_b32_e32 v45, 16, v34
.LBB178_86:
	s_or_b64 exec, exec, s[6:7]
	v_mov_b32_e32 v41, 0
	v_mov_b32_e32 v47, 0
	s_and_saveexec_b64 s[6:7], s[2:3]
	s_cbranch_execz .LBB178_88
; %bb.87:
	v_mov_b32_e32 v47, 0
	v_lshl_add_u64 v[34:35], v[38:39], 0, v[46:47]
	global_load_ushort v34, v[34:35], off offset:64
	s_waitcnt vmcnt(0)
	v_lshlrev_b32_e32 v34, 16, v34
	v_sub_f32_e32 v34, v34, v36
	v_mul_f32_e32 v34, v52, v34
	v_lshrrev_b32_e32 v47, 16, v34
.LBB178_88:
	s_or_b64 exec, exec, s[6:7]
	s_and_saveexec_b64 s[6:7], s[4:5]
	s_cbranch_execz .LBB178_90
; %bb.89:
	v_mov_b32_e32 v41, 0
	v_lshl_add_u64 v[34:35], v[38:39], 0, v[40:41]
	global_load_ushort v34, v[34:35], off offset:64
	s_waitcnt vmcnt(0)
	v_lshlrev_b32_e32 v34, 16, v34
	v_sub_f32_e32 v34, v34, v37
	v_mul_f32_e32 v34, v49, v34
	v_lshrrev_b32_e32 v41, 16, v34
.LBB178_90:
	s_or_b64 exec, exec, s[6:7]
	s_mov_b32 s6, 0x5040100
	v_accvgpr_read_b32 v37, a3
	v_perm_b32 v63, v41, v47, s6
	v_or_b32_e32 v41, v53, v54
	v_accvgpr_read_b32 v36, a2
	v_accvgpr_read_b32 v35, a1
	;; [unrolled: 1-line block ×3, first 2 shown]
	v_perm_b32 v62, v45, v43, s6
	v_lshlrev_b32_e32 v41, 1, v41
	v_mov_b32_e32 v45, 0
	v_mov_b32_e32 v43, 0
	ds_write_b64 v41, v[62:63] offset:24576
	s_and_saveexec_b64 s[6:7], vcc
	s_cbranch_execz .LBB178_92
; %bb.91:
	v_mov_b32_e32 v43, 0
	v_lshl_add_u64 v[42:43], v[38:39], 0, v[42:43]
	global_load_ushort v41, v[42:43], off offset:96
	s_waitcnt vmcnt(0)
	v_lshlrev_b32_e32 v41, 16, v41
	v_sub_f32_e32 v34, v41, v34
	v_mul_f32_e32 v34, v50, v34
	v_lshrrev_b32_e32 v43, 16, v34
.LBB178_92:
	s_or_b64 exec, exec, s[6:7]
	s_and_saveexec_b64 s[6:7], s[0:1]
	s_cbranch_execz .LBB178_94
; %bb.93:
	v_mov_b32_e32 v45, 0
	v_lshl_add_u64 v[44:45], v[38:39], 0, v[44:45]
	global_load_ushort v34, v[44:45], off offset:96
	s_waitcnt vmcnt(0)
	v_lshlrev_b32_e32 v34, 16, v34
	v_sub_f32_e32 v34, v34, v35
	v_mul_f32_e32 v34, v48, v34
	v_lshrrev_b32_e32 v45, 16, v34
.LBB178_94:
	s_or_b64 exec, exec, s[6:7]
	v_mov_b32_e32 v41, 0
	v_mov_b32_e32 v44, 0
	s_and_saveexec_b64 s[0:1], s[2:3]
	s_cbranch_execz .LBB178_96
; %bb.95:
	v_mov_b32_e32 v47, 0
	v_lshl_add_u64 v[34:35], v[38:39], 0, v[46:47]
	global_load_ushort v34, v[34:35], off offset:96
	s_waitcnt vmcnt(0)
	v_lshlrev_b32_e32 v34, 16, v34
	v_sub_f32_e32 v34, v34, v36
	v_mul_f32_e32 v34, v52, v34
	v_lshrrev_b32_e32 v44, 16, v34
.LBB178_96:
	s_or_b64 exec, exec, s[0:1]
	v_or_b32_e32 v42, 0x6000, v58
	v_or_b32_e32 v36, 0x6000, v59
	;; [unrolled: 1-line block ×4, first 2 shown]
	s_and_saveexec_b64 s[0:1], s[4:5]
	s_cbranch_execz .LBB178_98
; %bb.97:
	v_mov_b32_e32 v41, 0
	v_lshl_add_u64 v[38:39], v[38:39], 0, v[40:41]
	global_load_ushort v38, v[38:39], off offset:96
	s_waitcnt vmcnt(0)
	v_lshlrev_b32_e32 v38, 16, v38
	v_sub_f32_e32 v37, v38, v37
	v_mul_f32_e32 v37, v49, v37
	v_lshrrev_b32_e32 v41, 16, v37
.LBB178_98:
	s_or_b64 exec, exec, s[0:1]
	s_mov_b32 s0, 0x5040100
	v_or_b32_e32 v37, v53, v51
	v_perm_b32 v39, v41, v44, s0
	v_perm_b32 v38, v45, v43, s0
	v_lshlrev_b32_e32 v37, 1, v37
	s_movk_i32 s0, 0x100
	ds_write_b64 v37, v[38:39] offset:24576
	v_and_b32_e32 v37, 7, v0
	v_and_b32_e32 v38, 8, v0
	v_cmp_gt_u32_e32 vcc, s0, v0
	v_lshrrev_b32_e32 v0, 1, v0
	v_lshlrev_b32_e32 v67, 3, v1
	v_and_b32_e32 v78, 24, v0
	v_mov_b32_e32 v39, 0xa000
	v_mov_b32_e32 v40, 0x8000
	v_xor_b32_e32 v0, v67, v78
	v_or_b32_e32 v48, 32, v78
	v_cndmask_b32_e32 v56, v39, v40, vcc
	v_or_b32_e32 v1, 0x440, v0
	v_cmp_eq_u32_e32 vcc, 0, v38
	v_xor_b32_e32 v48, v67, v48
	v_or_b32_e32 v49, 0x440, v48
	v_cndmask_b32_e32 v0, v1, v0, vcc
	v_lshlrev_b32_e32 v43, 3, v37
	v_lshlrev_b32_e32 v37, 7, v37
	v_or_b32_e32 v0, v0, v57
	v_cndmask_b32_e32 v48, v49, v48, vcc
	v_xad_u32 v79, v0, v43, v37
	v_or_b32_e32 v48, v48, v57
	v_add_u32_e32 v0, v56, v79
	v_xad_u32 v80, v48, v43, v37
	s_waitcnt lgkmcnt(0)
	s_barrier
	ds_read_b64 v[0:1], v0
	ds_read2_b64 v[38:41], v42 offset1:16
	ds_read2_b64 v[44:47], v42 offset0:32 offset1:48
	v_add_u32_e32 v48, v56, v80
	ds_read_b64 v[76:77], v48
	s_waitcnt lgkmcnt(2)
	v_mfma_f32_16x16x16_bf16 a[0:3], v[0:1], v[38:39], 0
	ds_read2st64_b64 v[48:51], v42 offset0:4 offset1:8
	ds_read2st64_b64 v[52:55], v36 offset0:4 offset1:8
	;; [unrolled: 1-line block ×3, first 2 shown]
	v_mfma_f32_16x16x16_bf16 a[4:7], v[0:1], v[40:41], 0
	ds_read2st64_b64 v[62:65], v34 offset0:4 offset1:8
	s_waitcnt lgkmcnt(5)
	v_mfma_f32_16x16x16_bf16 a[8:11], v[0:1], v[44:45], 0
	v_mfma_f32_16x16x16_bf16 a[12:15], v[0:1], v[46:47], 0
	v_or_b32_e32 v0, 64, v78
	v_xor_b32_e32 v0, v67, v0
	v_xor_b32_e32 v1, 0x440, v0
	v_cndmask_b32_e32 v0, v1, v0, vcc
	v_or_b32_e32 v0, v0, v57
	s_waitcnt lgkmcnt(3)
	v_mfma_f32_16x16x16_bf16 a[0:3], v[76:77], v[48:49], a[0:3]
	s_waitcnt lgkmcnt(2)
	v_mfma_f32_16x16x16_bf16 a[4:7], v[76:77], v[52:53], a[4:7]
	;; [unrolled: 2-line block ×4, first 2 shown]
	v_xad_u32 v76, v0, v43, v37
	v_add_u32_e32 v0, v56, v76
	ds_read_b64 v[0:1], v0
	v_or_b32_e32 v77, 0x60, v78
	v_xor_b32_e32 v67, v67, v77
	v_xor_b32_e32 v77, 0x440, v67
	v_cndmask_b32_e32 v67, v77, v67, vcc
	v_or_b32_e32 v57, v67, v57
	v_xad_u32 v67, v57, v43, v37
	v_add_u32_e32 v37, v56, v67
	s_waitcnt lgkmcnt(0)
	v_mfma_f32_16x16x16_bf16 a[0:3], v[0:1], v[50:51], a[0:3]
	ds_read_b64 v[56:57], v37
	ds_read_b64 v[42:43], v42 offset:6144
	v_mfma_f32_16x16x16_bf16 a[4:7], v[0:1], v[54:55], a[4:7]
	v_mfma_f32_16x16x16_bf16 a[8:11], v[0:1], v[60:61], a[8:11]
	;; [unrolled: 1-line block ×3, first 2 shown]
	ds_read_b64 v[0:1], v36 offset:6144
	ds_read_b64 v[36:37], v35 offset:6144
	;; [unrolled: 1-line block ×3, first 2 shown]
	s_waitcnt lgkmcnt(3)
	v_mfma_f32_16x16x16_bf16 a[0:3], v[56:57], v[42:43], a[0:3]
	s_waitcnt lgkmcnt(2)
	v_mfma_f32_16x16x16_bf16 a[4:7], v[56:57], v[0:1], a[4:7]
	;; [unrolled: 2-line block ×4, first 2 shown]
	ds_read_b64 v[56:57], v79 offset:40960
	s_waitcnt lgkmcnt(0)
	v_mfma_f32_16x16x16_bf16 a[24:27], v[56:57], v[44:45], 0
	v_exp_f32_e32 v44, s16
	v_accvgpr_read_b32 v45, a3
	v_fmac_f32_e32 v45, v9, v44
	v_mfma_f32_16x16x16_bf16 a[16:19], v[56:57], v[38:39], 0
	ds_read_b64 v[38:39], v80 offset:40960
	v_accvgpr_read_b32 v9, a4
	v_fma_f32 v14, v14, v44, v9
	v_mfma_f32_16x16x16_bf16 a[20:23], v[56:57], v[40:41], 0
	v_accvgpr_read_b32 v40, a0
	v_fma_f32 v6, v6, v44, v40
	v_accvgpr_read_b32 v40, a1
	v_fma_f32 v7, v7, v44, v40
	v_accvgpr_read_b32 v40, a2
	v_mfma_f32_16x16x16_bf16 a[28:31], v[56:57], v[46:47], 0
	v_fma_f32 v8, v8, v44, v40
	ds_read_b64 v[40:41], v76 offset:40960
	v_accvgpr_read_b32 v9, a5
	s_waitcnt lgkmcnt(1)
	v_mfma_f32_16x16x16_bf16 a[16:19], v[38:39], v[48:49], a[16:19]
	v_fma_f32 v15, v15, v44, v9
	v_accvgpr_read_b32 v9, a6
	v_fma_f32 v16, v16, v44, v9
	v_mfma_f32_16x16x16_bf16 a[20:23], v[38:39], v[52:53], a[20:23]
	v_accvgpr_read_b32 v9, a8
	v_fma_f32 v22, v22, v44, v9
	v_accvgpr_read_b32 v9, a9
	v_mfma_f32_16x16x16_bf16 a[24:27], v[38:39], v[58:59], a[24:27]
	v_accvgpr_read_b32 v46, a7
	v_fma_f32 v23, v23, v44, v9
	v_accvgpr_read_b32 v9, a10
	v_mfma_f32_16x16x16_bf16 a[0:3], v[38:39], v[62:63], a[28:31]
	ds_read_b64 v[38:39], v67 offset:40960
	v_fma_f32 v24, v24, v44, v9
	v_accvgpr_read_b32 v9, a12
	s_waitcnt lgkmcnt(1)
	v_mfma_f32_16x16x16_bf16 a[16:19], v[40:41], v[50:51], a[16:19]
	v_fma_f32 v30, v30, v44, v9
	v_fmac_f32_e32 v46, v17, v44
	v_mov_b32_e32 v17, v46
	v_mfma_f32_16x16x16_bf16 a[4:7], v[40:41], v[54:55], a[20:23]
	v_mfma_f32_16x16x16_bf16 a[20:23], v[40:41], v[60:61], a[24:27]
	;; [unrolled: 1-line block ×3, first 2 shown]
	v_accvgpr_read_b32 v40, a11
	v_fmac_f32_e32 v40, v25, v44
	s_waitcnt lgkmcnt(0)
	v_mfma_f32_16x16x16_bf16 a[8:11], v[38:39], v[42:43], a[16:19]
	v_mfma_f32_16x16x16_bf16 a[4:7], v[38:39], v[0:1], a[4:7]
	v_accvgpr_read_b32 v0, a13
	v_fma_f32 v31, v31, v44, v0
	v_accvgpr_read_b32 v0, a14
	s_nop 2
	v_accvgpr_read_b32 v1, a8
	v_fma_f32 v2, v2, v44, v1
	v_accvgpr_read_b32 v1, a9
	v_fma_f32 v3, v3, v44, v1
	v_accvgpr_read_b32 v1, a10
	v_mfma_f32_16x16x16_bf16 a[16:19], v[38:39], v[36:37], a[20:23]
	v_fma_f32 v4, v4, v44, v1
	v_accvgpr_read_b32 v1, a11
	v_fmac_f32_e32 v1, v5, v44
	v_mfma_f32_16x16x16_bf16 a[0:3], v[38:39], v[34:35], a[0:3]
	v_accvgpr_read_b32 v5, a4
	v_fma_f32 v10, v10, v44, v5
	v_accvgpr_read_b32 v5, a5
	v_fma_f32 v11, v11, v44, v5
	;; [unrolled: 2-line block ×3, first 2 shown]
	v_accvgpr_read_b32 v5, a16
	v_accvgpr_read_b32 v9, a0
	v_fma_f32 v18, v18, v44, v5
	v_accvgpr_read_b32 v5, a17
	v_fma_f32 v26, v26, v44, v9
	;; [unrolled: 2-line block ×5, first 2 shown]
	v_accvgpr_read_b32 v0, a15
	v_accvgpr_read_b32 v25, a7
	v_fma_f32 v20, v20, v44, v5
	v_accvgpr_read_b32 v5, a19
	v_fma_f32 v28, v28, v44, v9
	v_accvgpr_read_b32 v9, a3
	v_fmac_f32_e32 v0, v33, v44
	v_fmac_f32_e32 v25, v13, v44
	;; [unrolled: 1-line block ×4, first 2 shown]
	v_mov_b32_e32 v29, v9
	v_mov_b32_e32 v33, v0
	;; [unrolled: 1-line block ×7, first 2 shown]
.LBB178_99:
	s_add_u32 s0, s12, s14
	s_addc_u32 s1, s13, s15
	v_lshl_add_u64 v[0:1], v[68:69], 2, s[0:1]
	v_mov_b32_e32 v67, 0
	v_lshl_add_u64 v[0:1], v[0:1], 0, v[66:67]
	s_waitcnt vmcnt(7)
	global_store_dwordx4 v[0:1], v[6:9], off
	s_waitcnt vmcnt(7)
	global_store_dwordx4 v[0:1], v[2:5], off offset:256
	v_lshl_add_u64 v[0:1], v[70:71], 2, s[0:1]
	v_lshl_add_u64 v[0:1], v[0:1], 0, v[66:67]
	s_waitcnt vmcnt(7)
	global_store_dwordx4 v[0:1], v[14:17], off
	s_waitcnt vmcnt(7)
	global_store_dwordx4 v[0:1], v[10:13], off offset:256
	v_lshl_add_u64 v[0:1], v[72:73], 2, s[0:1]
	;; [unrolled: 6-line block ×3, first 2 shown]
	v_lshl_add_u64 v[0:1], v[0:1], 0, v[66:67]
	s_waitcnt vmcnt(7)
	global_store_dwordx4 v[0:1], v[30:33], off
	s_waitcnt vmcnt(7)
	global_store_dwordx4 v[0:1], v[26:29], off offset:256
	s_endpgm
	.section	.rodata,"a",@progbits
	.p2align	6, 0x0
	.amdhsa_kernel _ZN12_GLOBAL__N_139chunk_gated_delta_rule_fwd_h_hip_kernelILi64ELb1ELb1ELb0ELb1ELb1ELb0ELb0ELb0EEEvPK12hip_bfloat16S3_S3_PKfS5_PKvPS1_S8_PvPKiSB_iiiiilll
		.amdhsa_group_segment_fixed_size 65536
		.amdhsa_private_segment_fixed_size 0
		.amdhsa_kernarg_size 136
		.amdhsa_user_sgpr_count 2
		.amdhsa_user_sgpr_dispatch_ptr 0
		.amdhsa_user_sgpr_queue_ptr 0
		.amdhsa_user_sgpr_kernarg_segment_ptr 1
		.amdhsa_user_sgpr_dispatch_id 0
		.amdhsa_user_sgpr_kernarg_preload_length 0
		.amdhsa_user_sgpr_kernarg_preload_offset 0
		.amdhsa_user_sgpr_private_segment_size 0
		.amdhsa_uses_dynamic_stack 0
		.amdhsa_enable_private_segment 0
		.amdhsa_system_sgpr_workgroup_id_x 1
		.amdhsa_system_sgpr_workgroup_id_y 1
		.amdhsa_system_sgpr_workgroup_id_z 0
		.amdhsa_system_sgpr_workgroup_info 0
		.amdhsa_system_vgpr_workitem_id 0
		.amdhsa_next_free_vgpr 224
		.amdhsa_next_free_sgpr 65
		.amdhsa_accum_offset 188
		.amdhsa_reserve_vcc 1
		.amdhsa_float_round_mode_32 0
		.amdhsa_float_round_mode_16_64 0
		.amdhsa_float_denorm_mode_32 3
		.amdhsa_float_denorm_mode_16_64 3
		.amdhsa_dx10_clamp 1
		.amdhsa_ieee_mode 1
		.amdhsa_fp16_overflow 0
		.amdhsa_tg_split 0
		.amdhsa_exception_fp_ieee_invalid_op 0
		.amdhsa_exception_fp_denorm_src 0
		.amdhsa_exception_fp_ieee_div_zero 0
		.amdhsa_exception_fp_ieee_overflow 0
		.amdhsa_exception_fp_ieee_underflow 0
		.amdhsa_exception_fp_ieee_inexact 0
		.amdhsa_exception_int_div_zero 0
	.end_amdhsa_kernel
	.section	.text._ZN12_GLOBAL__N_139chunk_gated_delta_rule_fwd_h_hip_kernelILi64ELb1ELb1ELb0ELb1ELb1ELb0ELb0ELb0EEEvPK12hip_bfloat16S3_S3_PKfS5_PKvPS1_S8_PvPKiSB_iiiiilll,"axG",@progbits,_ZN12_GLOBAL__N_139chunk_gated_delta_rule_fwd_h_hip_kernelILi64ELb1ELb1ELb0ELb1ELb1ELb0ELb0ELb0EEEvPK12hip_bfloat16S3_S3_PKfS5_PKvPS1_S8_PvPKiSB_iiiiilll,comdat
.Lfunc_end178:
	.size	_ZN12_GLOBAL__N_139chunk_gated_delta_rule_fwd_h_hip_kernelILi64ELb1ELb1ELb0ELb1ELb1ELb0ELb0ELb0EEEvPK12hip_bfloat16S3_S3_PKfS5_PKvPS1_S8_PvPKiSB_iiiiilll, .Lfunc_end178-_ZN12_GLOBAL__N_139chunk_gated_delta_rule_fwd_h_hip_kernelILi64ELb1ELb1ELb0ELb1ELb1ELb0ELb0ELb0EEEvPK12hip_bfloat16S3_S3_PKfS5_PKvPS1_S8_PvPKiSB_iiiiilll
                                        ; -- End function
	.section	.AMDGPU.csdata,"",@progbits
; Kernel info:
; codeLenInByte = 12000
; NumSgprs: 71
; NumVgprs: 186
; NumAgprs: 36
; TotalNumVgprs: 224
; ScratchSize: 0
; MemoryBound: 0
; FloatMode: 240
; IeeeMode: 1
; LDSByteSize: 65536 bytes/workgroup (compile time only)
; SGPRBlocks: 8
; VGPRBlocks: 27
; NumSGPRsForWavesPerEU: 71
; NumVGPRsForWavesPerEU: 224
; AccumOffset: 188
; Occupancy: 1
; WaveLimiterHint : 1
; COMPUTE_PGM_RSRC2:SCRATCH_EN: 0
; COMPUTE_PGM_RSRC2:USER_SGPR: 2
; COMPUTE_PGM_RSRC2:TRAP_HANDLER: 0
; COMPUTE_PGM_RSRC2:TGID_X_EN: 1
; COMPUTE_PGM_RSRC2:TGID_Y_EN: 1
; COMPUTE_PGM_RSRC2:TGID_Z_EN: 0
; COMPUTE_PGM_RSRC2:TIDIG_COMP_CNT: 0
; COMPUTE_PGM_RSRC3_GFX90A:ACCUM_OFFSET: 46
; COMPUTE_PGM_RSRC3_GFX90A:TG_SPLIT: 0
	.section	.text._ZN12_GLOBAL__N_139chunk_gated_delta_rule_fwd_h_hip_kernelILi64ELb1ELb0ELb1ELb1ELb1ELb0ELb0ELb0EEEvPK12hip_bfloat16S3_S3_PKfS5_PKvPS1_S8_PvPKiSB_iiiiilll,"axG",@progbits,_ZN12_GLOBAL__N_139chunk_gated_delta_rule_fwd_h_hip_kernelILi64ELb1ELb0ELb1ELb1ELb1ELb0ELb0ELb0EEEvPK12hip_bfloat16S3_S3_PKfS5_PKvPS1_S8_PvPKiSB_iiiiilll,comdat
	.globl	_ZN12_GLOBAL__N_139chunk_gated_delta_rule_fwd_h_hip_kernelILi64ELb1ELb0ELb1ELb1ELb1ELb0ELb0ELb0EEEvPK12hip_bfloat16S3_S3_PKfS5_PKvPS1_S8_PvPKiSB_iiiiilll ; -- Begin function _ZN12_GLOBAL__N_139chunk_gated_delta_rule_fwd_h_hip_kernelILi64ELb1ELb0ELb1ELb1ELb1ELb0ELb0ELb0EEEvPK12hip_bfloat16S3_S3_PKfS5_PKvPS1_S8_PvPKiSB_iiiiilll
	.p2align	8
	.type	_ZN12_GLOBAL__N_139chunk_gated_delta_rule_fwd_h_hip_kernelILi64ELb1ELb0ELb1ELb1ELb1ELb0ELb0ELb0EEEvPK12hip_bfloat16S3_S3_PKfS5_PKvPS1_S8_PvPKiSB_iiiiilll,@function
_ZN12_GLOBAL__N_139chunk_gated_delta_rule_fwd_h_hip_kernelILi64ELb1ELb0ELb1ELb1ELb1ELb0ELb0ELb0EEEvPK12hip_bfloat16S3_S3_PKfS5_PKvPS1_S8_PvPKiSB_iiiiilll: ; @_ZN12_GLOBAL__N_139chunk_gated_delta_rule_fwd_h_hip_kernelILi64ELb1ELb0ELb1ELb1ELb1ELb0ELb0ELb0EEEvPK12hip_bfloat16S3_S3_PKfS5_PKvPS1_S8_PvPKiSB_iiiiilll
; %bb.0:
	s_load_dwordx4 s[12:15], s[0:1], 0x5c
	s_load_dwordx4 s[4:7], s[0:1], 0x48
	s_abs_i32 s9, s3
	s_ashr_i32 s8, s3, 31
	v_and_b32_e32 v79, 15, v0
	s_waitcnt lgkmcnt(0)
	s_abs_i32 s10, s13
	v_cvt_f32_u32_e32 v1, s10
	s_sub_i32 s16, 0, s10
	s_ashr_i32 s11, s13, 31
	s_xor_b32 s8, s8, s11
	v_rcp_iflag_f32_e32 v1, v1
	v_lshrrev_b32_e32 v77, 6, v0
	v_bfe_u32 v78, v0, 4, 2
	v_mov_b32_e32 v11, 0
	v_mul_f32_e32 v1, 0x4f7ffffe, v1
	v_cvt_u32_f32_e32 v1, v1
	v_and_b32_e32 v76, 63, v0
	v_lshrrev_b32_e32 v81, 3, v76
	v_lshlrev_b32_e32 v80, 3, v0
	v_readfirstlane_b32 s17, v1
	s_mul_i32 s16, s16, s17
	s_mul_hi_u32 s16, s17, s16
	s_add_i32 s17, s17, s16
	s_mul_hi_u32 s16, s9, s17
	s_mul_i32 s17, s16, s10
	s_sub_i32 s9, s9, s17
	s_add_i32 s18, s16, 1
	s_sub_i32 s17, s9, s10
	s_cmp_ge_u32 s9, s10
	s_cselect_b32 s16, s18, s16
	s_cselect_b32 s9, s17, s9
	s_add_i32 s17, s16, 1
	s_cmp_ge_u32 s9, s10
	s_cselect_b32 s9, s17, s16
	s_xor_b32 s9, s9, s8
	s_sub_i32 s20, s9, s8
	s_mul_i32 s24, s20, s13
	s_ashr_i32 s21, s20, 31
	s_sub_i32 s47, s3, s24
	s_lshl_b64 s[8:9], s[20:21], 2
	s_add_u32 s4, s4, s8
	s_addc_u32 s5, s5, s9
	s_add_u32 s22, s6, s8
	s_addc_u32 s23, s7, s9
	s_abs_i32 s3, s14
	v_cvt_f32_u32_e32 v1, s3
	s_load_dwordx2 s[34:35], s[4:5], 0x0
	s_sub_i32 s5, 0, s3
	s_lshl_b32 s2, s2, 6
	v_rcp_iflag_f32_e32 v1, v1
	s_load_dwordx4 s[16:19], s[0:1], 0x28
	s_load_dwordx2 s[28:29], s[0:1], 0x38
	s_waitcnt lgkmcnt(0)
	s_sub_i32 s50, s35, s34
	s_ashr_i32 s4, s50, 31
	v_mul_f32_e32 v1, 0x4f7ffffe, v1
	v_cvt_u32_f32_e32 v1, v1
	s_lshr_b32 s4, s4, 26
	s_add_i32 s4, s50, s4
	s_ashr_i32 s49, s4, 6
	v_readfirstlane_b32 s6, v1
	s_mul_i32 s5, s5, s6
	s_mul_hi_u32 s5, s6, s5
	s_add_i32 s6, s6, s5
	s_mul_hi_u32 s5, s10, s6
	s_mul_i32 s6, s5, s3
	s_ashr_i32 s4, s14, 31
	s_sub_i32 s6, s10, s6
	s_xor_b32 s4, s11, s4
	s_add_i32 s7, s5, 1
	s_sub_i32 s8, s6, s3
	s_cmp_ge_u32 s6, s3
	s_cselect_b32 s5, s7, s5
	s_cselect_b32 s6, s8, s6
	s_add_i32 s7, s5, 1
	s_cmp_ge_u32 s6, s3
	s_cselect_b32 s3, s7, s5
	s_xor_b32 s3, s3, s4
	s_sub_i32 s3, s3, s4
	s_abs_i32 s4, s3
	v_cvt_f32_u32_e32 v1, s4
	s_sub_i32 s6, 0, s4
	s_abs_i32 s5, s47
	s_xor_b32 s3, s47, s3
	v_rcp_iflag_f32_e32 v1, v1
	s_ashr_i32 s3, s3, 31
	v_or_b32_e32 v66, s2, v79
	v_lshlrev_b32_e32 v2, 7, v66
	v_mul_f32_e32 v1, 0x4f7ffffe, v1
	v_cvt_u32_f32_e32 v1, v1
	v_ashrrev_i32_e32 v3, 31, v2
	s_mul_hi_i32 s53, s47, s12
	s_mul_i32 s54, s47, s12
	v_readfirstlane_b32 s7, v1
	s_mul_i32 s6, s6, s7
	s_mul_hi_u32 s6, s7, s6
	s_add_i32 s7, s7, s6
	s_mul_hi_u32 s6, s5, s7
	s_mul_i32 s7, s6, s4
	s_sub_i32 s5, s5, s7
	s_add_i32 s7, s6, 1
	s_sub_i32 s8, s5, s4
	s_cmp_ge_u32 s5, s4
	s_cselect_b32 s6, s7, s6
	s_cselect_b32 s5, s8, s5
	s_add_i32 s7, s6, 1
	s_cmp_ge_u32 s5, s4
	s_cselect_b32 s4, s7, s6
	s_xor_b32 s4, s4, s3
	s_sub_i32 s51, s4, s3
	s_ashr_i32 s48, s47, 31
	s_mul_hi_i32 s3, s20, s13
	s_add_u32 s4, s24, s47
	s_addc_u32 s5, s3, s48
	s_lshl_b64 s[4:5], s[4:5], 16
	v_lshlrev_b32_e32 v1, 4, v77
	s_add_u32 s4, s16, s4
	v_lshl_or_b32 v82, v78, 2, v1
	s_addc_u32 s5, s17, s5
	v_lshl_add_u64 v[4:5], v[2:3], 2, s[4:5]
	v_lshlrev_b32_e32 v10, 2, v82
	v_lshl_add_u64 v[4:5], v[4:5], 0, v[10:11]
	global_load_dwordx4 v[22:25], v[4:5], off
	global_load_dwordx4 v[30:33], v[4:5], off offset:256
	v_or_b32_e32 v4, 0x800, v2
	v_ashrrev_i32_e32 v5, 31, v4
	v_lshl_add_u64 v[4:5], v[4:5], 2, s[4:5]
	v_lshl_add_u64 v[4:5], v[4:5], 0, v[10:11]
	global_load_dwordx4 v[14:17], v[4:5], off
	global_load_dwordx4 v[26:29], v[4:5], off offset:256
	v_or_b32_e32 v4, 0x1000, v2
	v_or_b32_e32 v2, 0x1800, v2
	v_ashrrev_i32_e32 v5, 31, v4
	v_ashrrev_i32_e32 v3, 31, v2
	v_lshl_add_u64 v[4:5], v[4:5], 2, s[4:5]
	v_lshl_add_u64 v[2:3], v[2:3], 2, s[4:5]
	;; [unrolled: 1-line block ×4, first 2 shown]
	global_load_dwordx4 v[6:9], v[4:5], off
	global_load_dwordx4 v[18:21], v[4:5], off offset:256
	s_nop 0
	global_load_dwordx4 v[2:5], v[34:35], off
	global_load_dwordx4 v[10:13], v[34:35], off offset:256
	s_load_dwordx8 s[4:11], s[0:1], 0x0
	s_load_dwordx2 s[30:31], s[0:1], 0x80
	s_load_dwordx4 s[24:27], s[0:1], 0x70
	s_load_dword s52, s[22:23], 0x0
	v_or_b32_e32 v83, 64, v82
	s_cmp_lt_i32 s50, 64
	s_waitcnt lgkmcnt(0)
	s_mul_i32 s33, s20, s25
	s_mul_hi_u32 s43, s20, s24
	s_mul_i32 s42, s21, s24
	s_mul_i32 s38, s20, s24
	;; [unrolled: 1-line block ×3, first 2 shown]
	s_mul_hi_u32 s45, s47, s26
	s_mul_i32 s46, s48, s26
	s_mul_i32 s36, s47, s26
	s_cbranch_scc1 .LBB179_18
; %bb.1:
	s_ashr_i32 s1, s34, 31
	s_add_u32 s0, s54, s34
	s_addc_u32 s1, s53, s1
	s_lshl_b64 s[0:1], s[0:1], 8
	v_and_b32_e32 v85, 56, v80
	s_add_u32 s20, s6, s0
	v_lshl_or_b32 v84, v77, 3, v81
	v_lshlrev_b32_e32 v34, 1, v85
	s_addc_u32 s0, s7, s1
	v_lshl_or_b32 v86, v84, 8, v34
	s_and_b32 s21, s0, 0xffff
	s_mov_b32 s23, 0x20000
	s_movk_i32 s22, 0x4000
	s_movk_i32 s0, 0x80
	v_or_b32_e32 v87, 0x2000, v86
	buffer_load_dwordx4 v[36:39], v86, s[20:23], 0 offen
	buffer_load_dwordx4 v[40:43], v86, s[20:23], s0 offen
	;; [unrolled: 1-line block ×4, first 2 shown]
	v_lshlrev_b32_e32 v35, 3, v84
	v_and_or_b32 v53, v0, 7, v35
	v_and_b32_e32 v35, 0x78, v35
	v_lshlrev_b32_e32 v53, 4, v53
	v_xor_b32_e32 v88, v53, v35
	v_mul_lo_u32 v52, v84, s15
	v_or_b32_e32 v89, 0x1000, v88
	v_xor_b32_e32 v35, 8, v88
	s_cmpk_eq_i32 s15, 0x80
	s_mov_b32 s55, s34
	v_xor_b32_e32 v53, 8, v89
	s_cselect_b64 s[0:1], -1, 0
	s_cmpk_lg_i32 s15, 0x80
	s_waitcnt vmcnt(3)
	ds_write_b64 v88, v[36:37] offset:49152
	ds_write_b64 v35, v[38:39] offset:49152
	s_waitcnt vmcnt(2)
	ds_write_b64 v88, v[40:41] offset:57344
	ds_write_b64 v35, v[42:43] offset:57344
	;; [unrolled: 3-line block ×4, first 2 shown]
	v_lshl_add_u32 v35, v52, 1, v85
	s_cbranch_scc0 .LBB179_3
; %bb.2:
	v_lshlrev_b32_e32 v37, 1, v35
	v_add_lshl_u32 v36, v35, s15, 1
	s_lshl_b32 s22, s15, 7
	v_lshl_or_b32 v34, v84, 9, v34
	s_cbranch_execz .LBB179_4
	s_branch .LBB179_5
.LBB179_3:
                                        ; implicit-def: $vgpr36
                                        ; implicit-def: $vgpr37
                                        ; implicit-def: $sgpr22
	v_lshl_or_b32 v34, v84, 9, v34
.LBB179_4:
	v_or_b32_e32 v36, 0x100, v34
	s_movk_i32 s22, 0x4000
	v_mov_b32_e32 v37, v34
.LBB179_5:
	s_mul_i32 s16, s34, s14
	s_ashr_i32 s56, s51, 31
	s_mul_hi_i32 s3, s34, s14
	s_add_u32 s16, s16, s51
	s_addc_u32 s17, s3, s56
	s_lshl_b64 s[16:17], s[16:17], 8
	s_add_u32 s20, s4, s16
	s_addc_u32 s3, s5, s17
	s_and_b32 s21, s3, 0xffff
	s_movk_i32 s57, 0x80
	buffer_load_dwordx4 v[38:41], v37, s[20:23], 0 offen
	buffer_load_dwordx4 v[42:45], v37, s[20:23], s57 offen
	;; [unrolled: 1-line block ×4, first 2 shown]
	v_and_b32_e32 v37, 6, v0
	v_lshlrev_b32_e32 v36, 7, v82
	v_xor_b32_e32 v59, v84, v37
	v_and_b32_e32 v54, 1, v0
	v_lshl_or_b32 v62, v79, 3, v36
	v_lshlrev_b32_e32 v59, 2, v59
	v_lshlrev_b32_e32 v55, 2, v79
	v_or_b32_e32 v90, 0x4000, v62
	v_or_b32_e32 v91, 0x6000, v62
	v_xor_b32_e32 v62, 0x440, v59
	v_cmp_eq_u32_e32 vcc, 0, v54
	v_or_b32_e32 v57, 16, v79
	v_or_b32_e32 v58, 32, v79
	v_xor_b32_e32 v60, v82, v55
	v_xor_b32_e32 v61, v83, v55
	v_cndmask_b32_e32 v54, v62, v59, vcc
	s_mov_b32 s58, 0x1000504
	v_lshl_or_b32 v63, v57, 3, v36
	v_lshlrev_b32_e32 v57, 8, v57
	v_lshl_or_b32 v64, v58, 3, v36
	v_lshlrev_b32_e32 v60, 1, v60
	v_lshlrev_b32_e32 v61, 1, v61
	v_lshl_or_b32 v37, v37, 10, v54
	s_add_i32 s3, s43, s33
	s_mov_b32 s59, 0x3020706
	v_lshlrev_b32_e32 v56, 8, v79
	v_or_b32_e32 v94, 0x4000, v64
	v_or_b32_e32 v95, 0x6000, v64
	;; [unrolled: 1-line block ×4, first 2 shown]
	v_xor_b32_e32 v54, 8, v37
	v_xor_b32_e32 v57, 24, v37
	;; [unrolled: 1-line block ×4, first 2 shown]
	s_add_i32 s39, s3, s42
	s_add_i32 s3, s45, s44
	v_or_b32_e32 v92, 0x4000, v63
	v_or_b32_e32 v93, 0x6000, v63
	;; [unrolled: 1-line block ×4, first 2 shown]
	v_xor_b32_e32 v56, 16, v37
	v_xor_b32_e32 v59, 32, v37
	;; [unrolled: 1-line block ×3, first 2 shown]
	v_add_u32_e32 v54, 0x80, v54
	v_add_u32_e32 v57, 0x80, v57
	;; [unrolled: 1-line block ×4, first 2 shown]
	s_add_i32 s37, s3, s46
	s_lshl_b64 s[16:17], s[38:39], 2
	s_add_u32 s3, s10, s16
	s_addc_u32 s20, s11, s17
	s_lshl_b64 s[16:17], s[36:37], 2
	s_add_u32 s16, s3, s16
	s_movk_i32 s3, 0xf8
	s_addc_u32 s17, s20, s17
	s_lshl_b32 s26, s15, 7
	s_movk_i32 s24, 0x100
	v_mov_b32_e32 v69, 0
	v_lshlrev_b32_e32 v68, 4, v79
	v_cmp_gt_u32_e32 vcc, s24, v0
	v_lshlrev_b32_e32 v58, 8, v58
	s_mov_b32 s60, 0
	s_movk_i32 s22, 0x4000
	v_or_b32_e32 v100, v58, v60
	v_or_b32_e32 v101, v58, v61
	s_movk_i32 s37, 0x2000
	s_movk_i32 s39, 0x3000
	s_waitcnt vmcnt(1)
	v_perm_b32 v65, v38, v46, s58
	s_waitcnt vmcnt(0)
	v_perm_b32 v67, v42, v50, s58
	v_perm_b32 v38, v38, v46, s59
	;; [unrolled: 1-line block ×15, first 2 shown]
	ds_write2st64_b32 v37, v65, v67 offset0:128 offset1:160
	ds_write2st64_b32 v54, v38, v42 offset0:128 offset1:160
	;; [unrolled: 1-line block ×8, first 2 shown]
	v_or_b32_e32 v37, 48, v79
	v_lshl_or_b32 v38, v37, 3, v36
	v_lshlrev_b32_e32 v37, 8, v37
	v_or_b32_e32 v104, v37, v60
	v_or_b32_e32 v105, v37, v61
	;; [unrolled: 1-line block ×3, first 2 shown]
	v_lshlrev_b32_e32 v37, 3, v37
	v_lshrrev_b32_e32 v39, 5, v76
	v_and_or_b32 v39, v37, s3, v39
	v_lshlrev_b32_e32 v39, 4, v39
	v_lshlrev_b32_e32 v40, 11, v77
	v_and_b32_e32 v37, 0x78, v37
	v_or_b32_e32 v45, 32, v39
	v_or_b32_e32 v102, 0x4000, v38
	;; [unrolled: 1-line block ×3, first 2 shown]
	v_and_b32_e32 v38, 0x1000, v40
	v_xor_b32_e32 v41, v39, v37
	v_lshrrev_b32_e32 v42, 1, v0
	v_xor_b32_e32 v45, v45, v37
	v_or_b32_e32 v41, v41, v38
	v_and_b32_e32 v43, 8, v42
	v_or_b32_e32 v45, v45, v38
	v_xor_b32_e32 v106, v41, v43
	v_lshlrev_b32_e32 v41, 8, v78
	v_xor_b32_e32 v108, v45, v43
	v_or_b32_e32 v45, 64, v39
	v_or_b32_e32 v39, 0x60, v39
	s_ashr_i32 s3, s2, 31
	v_or_b32_e32 v44, v41, v55
	v_xor_b32_e32 v45, v45, v37
	v_xor_b32_e32 v37, v39, v37
	s_lshl_b64 s[20:21], s[2:3], 8
	v_lshlrev_b32_e32 v44, 1, v44
	v_or_b32_e32 v45, v45, v38
	v_or_b32_e32 v37, v37, v38
	s_add_u32 s20, s18, s20
	v_lshlrev_b32_e32 v38, 1, v79
	v_or_b32_e32 v107, 0x4000, v44
	v_or_b32_e32 v109, 0x4080, v44
	;; [unrolled: 1-line block ×8, first 2 shown]
	v_lshrrev_b32_e32 v44, 4, v0
	s_addc_u32 s21, s19, s21
	v_or_b32_e32 v39, 1, v38
	v_mov_b32_e32 v48, 0xa000
	v_mov_b32_e32 v49, 0x8000
	v_xor_b32_e32 v112, v45, v43
	v_xor_b32_e32 v45, v44, v38
	;; [unrolled: 1-line block ×3, first 2 shown]
	v_lshl_add_u64 v[38:39], s[20:21], 0, v[68:69]
	v_lshlrev_b32_e32 v68, 8, v44
	v_cndmask_b32_e32 v48, v48, v49, vcc
	v_lshlrev_b32_e32 v49, 3, v77
	v_and_b32_e32 v42, 24, v42
	v_lshl_or_b32 v118, v45, 3, v68
	v_and_b32_e32 v45, 8, v0
	v_xor_b32_e32 v50, v49, v42
	v_or_b32_e32 v51, 0x440, v50
	v_cmp_eq_u32_e32 vcc, 0, v45
	v_and_b32_e32 v44, 7, v0
	v_lshl_or_b32 v119, v46, 3, v68
	v_cndmask_b32_e32 v45, v51, v50, vcc
	v_lshlrev_b32_e32 v46, 3, v44
	v_lshlrev_b32_e32 v44, 7, v44
	v_or_b32_e32 v45, v45, v40
	v_lshlrev_b32_e32 v47, 2, v0
	v_xad_u32 v120, v45, v46, v44
	v_or_b32_e32 v45, 32, v42
	v_and_or_b32 v41, v47, 60, v41
	v_xor_b32_e32 v45, v49, v45
	v_lshlrev_b32_e32 v41, 1, v41
	v_or_b32_e32 v47, 0x440, v45
	v_or_b32_e32 v121, 0x6000, v41
	v_cndmask_b32_e32 v45, v47, v45, vcc
	v_or_b32_e32 v123, 0x6080, v41
	v_or_b32_e32 v124, 0x6100, v41
	;; [unrolled: 1-line block ×5, first 2 shown]
	v_xor_b32_e32 v41, v49, v41
	v_xad_u32 v122, v45, v46, v44
	v_xor_b32_e32 v45, 0x440, v41
	v_cndmask_b32_e32 v41, v45, v41, vcc
	v_or_b32_e32 v41, v41, v40
	v_xad_u32 v126, v41, v46, v44
	v_or_b32_e32 v41, 0x60, v42
	v_xor_b32_e32 v41, v49, v41
	v_xor_b32_e32 v42, 0x440, v41
	v_cndmask_b32_e32 v41, v42, v41, vcc
	v_xor_b32_e32 v113, v37, v43
	v_ashrrev_i32_e32 v67, 31, v66
	v_lshlrev_b32_e32 v37, 1, v35
	v_add_lshl_u32 v35, v35, s15, 1
	v_or_b32_e32 v43, 0x100, v34
	v_or_b32_e32 v40, v41, v40
	v_xad_u32 v127, v40, v46, v44
	v_cndmask_b32_e64 v128, v37, v34, s[0:1]
	v_cndmask_b32_e64 v129, v35, v43, s[0:1]
	v_lshlrev_b64 v[34:35], 1, v[66:67]
	v_lshl_add_u64 v[70:71], s[8:9], 0, v[34:35]
	v_lshl_add_u64 v[72:73], s[28:29], 0, v[34:35]
	;; [unrolled: 1-line block ×3, first 2 shown]
	s_mov_b32 s3, 0x7060302
	v_lshlrev_b32_e32 v68, 1, v36
	v_add_u32_e32 v67, v48, v120
	v_add_u32_e32 v130, v48, v122
	;; [unrolled: 1-line block ×4, first 2 shown]
	s_waitcnt lgkmcnt(0)
	s_barrier
.LBB179_6:                              ; =>This Inner Loop Header: Depth=1
	s_add_i32 s61, s60, 1
	s_cmp_lt_i32 s61, s49
	s_mov_b64 s[24:25], 0
	s_cselect_b64 s[40:41], -1, 0
	s_cmp_ge_i32 s61, s49
	s_mov_b64 s[20:21], 0
	s_cbranch_scc1 .LBB179_8
; %bb.7:                                ;   in Loop: Header=BB179_6 Depth=1
	s_add_i32 s0, s55, 64
	s_ashr_i32 s1, s0, 31
	s_add_u32 s0, s54, s0
	s_addc_u32 s1, s53, s1
	s_lshl_b64 s[0:1], s[0:1], 8
	s_add_u32 s20, s6, s0
	s_addc_u32 s21, s7, s1
.LBB179_8:                              ;   in Loop: Header=BB179_6 Depth=1
	v_cndmask_b32_e64 v34, 0, 1, s[40:41]
	v_cmp_ne_u32_e64 s[0:1], 1, v34
	s_andn2_b64 vcc, exec, s[40:41]
	s_cbranch_vccnz .LBB179_10
; %bb.9:                                ;   in Loop: Header=BB179_6 Depth=1
	s_add_i32 s24, s55, 64
	s_mul_hi_i32 s25, s24, s14
	s_mul_i32 s24, s24, s14
	s_add_u32 s24, s24, s51
	s_addc_u32 s25, s25, s56
	s_lshl_b64 s[24:25], s[24:25], 8
	s_add_u32 s24, s4, s24
	s_addc_u32 s25, s5, s25
.LBB179_10:                             ;   in Loop: Header=BB179_6 Depth=1
	v_perm_b32 v35, v25, v24, s3
	v_perm_b32 v34, v23, v22, s3
	v_perm_b32 v37, v33, v32, s3
	v_perm_b32 v36, v31, v30, s3
	ds_write_b64 v90, v[34:35]
	ds_write_b64 v91, v[36:37]
	ds_write_b64 v96, v[34:35]
	ds_write_b64 v97, v[36:37]
	v_perm_b32 v35, v17, v16, s3
	v_perm_b32 v34, v15, v14, s3
	v_perm_b32 v37, v29, v28, s3
	v_perm_b32 v36, v27, v26, s3
	ds_write_b64 v92, v[34:35]
	ds_write_b64 v93, v[36:37]
	ds_write_b64 v98, v[34:35]
	ds_write_b64 v99, v[36:37]
	;; [unrolled: 8-line block ×4, first 2 shown]
	s_waitcnt lgkmcnt(0)
	s_barrier
	ds_read_b64 v[38:39], v106 offset:49152
	ds_read2_b64 v[34:37], v107 offset1:16
	ds_read_b64 v[50:51], v109 offset:6144
	ds_read_b64 v[52:53], v107 offset:6144
	s_waitcnt lgkmcnt(2)
	v_mfma_f32_16x16x16_bf16 a[0:3], v[38:39], v[34:35], 0
	ds_read_b64 v[54:55], v108 offset:49152
	ds_read2st64_b64 v[42:45], v110 offset0:4 offset1:8
	ds_read2st64_b64 v[46:49], v111 offset0:4 offset1:8
	v_mfma_f32_16x16x16_bf16 a[4:7], v[38:39], v[36:37], 0
	ds_read2_b64 v[34:37], v107 offset0:32 offset1:48
	s_add_i32 s27, s55, 63
	s_ashr_i32 s40, s27, 31
	s_waitcnt lgkmcnt(0)
	v_mfma_f32_16x16x16_bf16 a[8:11], v[38:39], v[34:35], 0
	s_mul_i32 s41, s27, s31
	s_mul_hi_u32 s62, s27, s30
	s_add_i32 s41, s62, s41
	v_mfma_f32_16x16x16_bf16 a[12:15], v[38:39], v[36:37], 0
	ds_read2st64_b64 v[34:37], v107 offset0:4 offset1:8
	ds_read2st64_b64 v[38:41], v109 offset0:4 offset1:8
	s_mul_i32 s40, s40, s30
	s_waitcnt lgkmcnt(1)
	v_mfma_f32_16x16x16_bf16 a[0:3], v[54:55], v[34:35], a[0:3]
	s_add_i32 s41, s41, s40
	s_mul_i32 s40, s27, s30
	s_lshl_b64 s[40:41], s[40:41], 2
	s_waitcnt lgkmcnt(0)
	v_mfma_f32_16x16x16_bf16 a[4:7], v[54:55], v[38:39], a[4:7]
	s_add_u32 s40, s16, s40
	s_addc_u32 s41, s17, s41
	s_and_b64 vcc, exec, s[0:1]
	v_mfma_f32_16x16x16_bf16 a[8:11], v[54:55], v[42:43], a[8:11]
	ds_read_b64 v[34:35], v112 offset:49152
	ds_read_b64 v[38:39], v113 offset:49152
	;; [unrolled: 1-line block ×3, first 2 shown]
	v_mov_b32_e32 v135, 0
	v_mov_b32_e32 v134, 0
	v_mfma_f32_16x16x16_bf16 a[12:15], v[54:55], v[46:47], a[12:15]
	v_mov_b32_e32 v133, 0
	v_mov_b32_e32 v46, 0
	;; [unrolled: 1-line block ×3, first 2 shown]
	s_waitcnt lgkmcnt(2)
	v_mfma_f32_16x16x16_bf16 a[0:3], v[34:35], v[36:37], a[0:3]
	v_mov_b32_e32 v36, 0
	v_mov_b32_e32 v37, 0
	v_mfma_f32_16x16x16_bf16 a[16:19], v[34:35], v[40:41], a[4:7]
	v_mov_b32_e32 v40, 0
	v_mov_b32_e32 v41, 0
	;; [unrolled: 3-line block ×3, first 2 shown]
	v_mfma_f32_16x16x16_bf16 a[24:27], v[34:35], v[48:49], a[12:15]
	ds_read_b64 v[34:35], v110 offset:6144
	v_mov_b32_e32 v48, 0
	v_mov_b32_e32 v49, 0
	s_waitcnt lgkmcnt(2)
	v_mfma_f32_16x16x16_bf16 a[4:7], v[38:39], v[52:53], a[0:3]
	v_mfma_f32_16x16x16_bf16 a[8:11], v[38:39], v[50:51], a[16:19]
	s_waitcnt lgkmcnt(0)
	v_mfma_f32_16x16x16_bf16 a[12:15], v[38:39], v[34:35], a[20:23]
	v_mov_b32_e32 v34, 0
	v_mov_b32_e32 v35, 0
	v_mfma_f32_16x16x16_bf16 a[0:3], v[38:39], v[42:43], a[24:27]
	v_mov_b32_e32 v38, 0
	v_mov_b32_e32 v39, 0
	;; [unrolled: 1-line block ×4, first 2 shown]
	s_cbranch_vccnz .LBB179_12
; %bb.11:                               ;   in Loop: Header=BB179_6 Depth=1
	s_and_b32 s21, s21, 0xffff
	buffer_load_dwordx4 v[46:49], v86, s[20:23], 0 offen
	buffer_load_dwordx4 v[42:45], v86, s[20:23], s57 offen
	;; [unrolled: 1-line block ×4, first 2 shown]
	v_mov_b32_e32 v134, v88
	v_mov_b32_e32 v133, v89
.LBB179_12:                             ;   in Loop: Header=BB179_6 Depth=1
	ds_read_b64 v[62:63], v106 offset:57344
	ds_read2_b64 v[50:53], v114 offset1:16
	ds_read_b64 v[136:137], v108 offset:57344
	ds_read_b64 v[138:139], v112 offset:57344
	;; [unrolled: 1-line block ×3, first 2 shown]
	v_add_u32_e32 v64, s55, v82
	s_waitcnt lgkmcnt(3)
	v_mfma_f32_16x16x16_bf16 a[4:7], v[62:63], v[50:51], a[4:7]
	v_mfma_f32_16x16x16_bf16 a[8:11], v[62:63], v[52:53], a[8:11]
	ds_read2_b64 v[50:53], v114 offset0:32 offset1:48
	ds_read2st64_b64 v[54:57], v114 offset0:4 offset1:8
	ds_read2st64_b64 v[58:61], v115 offset0:4 offset1:8
	s_waitcnt lgkmcnt(2)
	v_mfma_f32_16x16x16_bf16 a[12:15], v[62:63], v[50:51], a[12:15]
	v_ashrrev_i32_e32 v50, 31, v64
	v_mul_lo_u32 v65, v50, s30
	v_mad_u64_u32 v[50:51], s[20:21], v64, s30, 0
	v_mfma_f32_16x16x16_bf16 a[0:3], v[62:63], v[52:53], a[0:3]
	v_mul_lo_u32 v52, v64, s31
	v_add3_u32 v51, v51, v52, v65
	v_add_u32_e32 v52, 1, v64
	v_ashrrev_i32_e32 v53, 31, v52
	s_waitcnt lgkmcnt(1)
	v_mfma_f32_16x16x16_bf16 a[4:7], v[136:137], v[54:55], a[4:7]
	v_mul_lo_u32 v54, v53, s30
	v_mul_lo_u32 v55, v52, s31
	v_mad_u64_u32 v[52:53], s[20:21], v52, s30, 0
	v_add3_u32 v53, v53, v55, v54
	v_add_u32_e32 v54, 2, v64
	v_ashrrev_i32_e32 v55, 31, v54
	v_mul_lo_u32 v62, v55, s30
	v_mul_lo_u32 v63, v54, s31
	v_mad_u64_u32 v[54:55], s[20:21], v54, s30, 0
	v_add3_u32 v55, v55, v63, v62
	v_add_u32_e32 v62, 3, v64
	v_ashrrev_i32_e32 v63, 31, v62
	v_mul_lo_u32 v64, v63, s30
	v_mul_lo_u32 v65, v62, s31
	v_mad_u64_u32 v[62:63], s[20:21], v62, s30, 0
	s_ashr_i32 s21, s55, 31
	s_add_u32 s20, s54, s55
	s_addc_u32 s21, s53, s21
	v_lshl_add_u64 v[50:51], v[50:51], 2, s[16:17]
	v_add3_u32 v63, v63, v65, v64
	s_lshl_b64 s[20:21], s[20:21], 8
	v_lshl_add_u64 v[52:53], v[52:53], 2, s[16:17]
	v_lshl_add_u64 v[54:55], v[54:55], 2, s[16:17]
	;; [unrolled: 1-line block ×3, first 2 shown]
	global_load_dword v142, v[50:51], off
	global_load_dword v143, v[52:53], off
	;; [unrolled: 1-line block ×4, first 2 shown]
	v_lshl_add_u64 v[50:51], v[70:71], 0, s[20:21]
	v_lshl_add_u64 v[54:55], v[50:51], 0, v[68:69]
	global_load_ushort v146, v[54:55], off offset:256
	global_load_ushort v147, v[54:55], off
	ds_read2st64_b64 v[50:53], v116 offset0:4 offset1:8
	global_load_ushort v148, v[54:55], off offset:768
	global_load_ushort v149, v[54:55], off offset:512
	ds_read2st64_b64 v[62:65], v117 offset0:4 offset1:8
	global_load_ushort v150, v[54:55], off offset:288
	global_load_ushort v151, v[54:55], off offset:32
	;; [unrolled: 1-line block ×4, first 2 shown]
	s_waitcnt lgkmcnt(2)
	v_mfma_f32_16x16x16_bf16 a[8:11], v[136:137], v[58:59], a[8:11]
	global_load_ushort v154, v[54:55], off offset:320
	global_load_ushort v155, v[54:55], off offset:64
	;; [unrolled: 1-line block ×4, first 2 shown]
	s_and_b64 vcc, exec, s[0:1]
	s_waitcnt lgkmcnt(1)
	v_mfma_f32_16x16x16_bf16 a[12:15], v[136:137], v[50:51], a[12:15]
	ds_read_b64 v[50:51], v114 offset:6144
	s_waitcnt lgkmcnt(1)
	v_mfma_f32_16x16x16_bf16 a[0:3], v[136:137], v[62:63], a[0:3]
	v_lshl_add_u64 v[62:63], v[72:73], 0, s[20:21]
	v_lshl_add_u64 v[62:63], v[62:63], 0, v[68:69]
	v_mfma_f32_16x16x16_bf16 a[4:7], v[138:139], v[56:57], a[4:7]
	v_mfma_f32_16x16x16_bf16 a[8:11], v[138:139], v[60:61], a[8:11]
	;; [unrolled: 1-line block ×4, first 2 shown]
	global_load_ushort v138, v[54:55], off offset:352
	global_load_ushort v139, v[54:55], off offset:96
	ds_read_b64 v[52:53], v115 offset:6144
	ds_read_b64 v[56:57], v116 offset:6144
	;; [unrolled: 1-line block ×3, first 2 shown]
	s_load_dword s40, s[40:41], 0x0
	global_load_ushort v158, v[54:55], off offset:864
	global_load_ushort v159, v[54:55], off offset:608
	s_waitcnt lgkmcnt(0)
	v_mfma_f32_16x16x16_bf16 a[4:7], v[140:141], v[50:51], a[4:7]
	s_waitcnt vmcnt(17)
	v_sub_f32_e32 v60, s40, v144
	v_mfma_f32_16x16x16_bf16 a[0:3], v[140:141], v[58:59], a[0:3]
	v_sub_f32_e32 v58, s40, v142
	v_sub_f32_e32 v59, s40, v143
	s_waitcnt vmcnt(16)
	v_sub_f32_e32 v61, s40, v145
	v_mfma_f32_16x16x16_bf16 a[8:11], v[140:141], v[52:53], a[8:11]
	v_exp_f32_e32 v58, v58
	v_exp_f32_e32 v59, v59
	;; [unrolled: 1-line block ×4, first 2 shown]
	v_accvgpr_read_b32 v137, a5
	s_waitcnt vmcnt(15)
	v_lshlrev_b32_e32 v65, 16, v146
	s_waitcnt vmcnt(14)
	v_lshlrev_b32_e32 v64, 16, v147
	v_accvgpr_read_b32 v136, a4
	v_accvgpr_read_b32 v51, a7
	;; [unrolled: 1-line block ×3, first 2 shown]
	v_pk_add_f32 v[64:65], v[64:65], v[136:137] neg_lo:[0,1] neg_hi:[0,1]
	s_waitcnt vmcnt(13)
	v_lshlrev_b32_e32 v137, 16, v148
	s_waitcnt vmcnt(12)
	v_lshlrev_b32_e32 v136, 16, v149
	v_pk_add_f32 v[50:51], v[136:137], v[50:51] neg_lo:[0,1] neg_hi:[0,1]
	global_store_short_d16_hi v[62:63], v64, off
	global_store_short_d16_hi v[62:63], v65, off offset:256
	global_store_short_d16_hi v[62:63], v50, off offset:512
	global_store_short_d16_hi v[62:63], v51, off offset:768
	v_pk_mul_f32 v[64:65], v[58:59], v[64:65]
	v_pk_mul_f32 v[50:51], v[60:61], v[50:51]
	v_accvgpr_read_b32 v137, a9
	v_perm_b32 v64, v65, v64, s3
	v_perm_b32 v65, v51, v50, s3
	s_waitcnt vmcnt(15)
	v_lshlrev_b32_e32 v51, 16, v150
	s_waitcnt vmcnt(14)
	v_lshlrev_b32_e32 v50, 16, v151
	v_accvgpr_read_b32 v136, a8
	v_accvgpr_read_b32 v53, a11
	v_mfma_f32_16x16x16_bf16 a[12:15], v[140:141], v[56:57], a[12:15]
	v_accvgpr_read_b32 v52, a10
	v_pk_add_f32 v[50:51], v[50:51], v[136:137] neg_lo:[0,1] neg_hi:[0,1]
	s_waitcnt vmcnt(13)
	v_lshlrev_b32_e32 v137, 16, v152
	s_waitcnt vmcnt(12)
	v_lshlrev_b32_e32 v136, 16, v153
	v_pk_add_f32 v[52:53], v[136:137], v[52:53] neg_lo:[0,1] neg_hi:[0,1]
	global_store_short_d16_hi v[62:63], v50, off offset:32
	global_store_short_d16_hi v[62:63], v51, off offset:288
	;; [unrolled: 1-line block ×4, first 2 shown]
	v_pk_mul_f32 v[50:51], v[58:59], v[50:51]
	v_pk_mul_f32 v[52:53], v[60:61], v[52:53]
	v_accvgpr_read_b32 v55, a15
	v_perm_b32 v53, v53, v52, s3
	v_perm_b32 v52, v51, v50, s3
	ds_write2_b64 v91, v[64:65], v[52:53] offset1:16
	v_accvgpr_read_b32 v53, a13
	s_waitcnt vmcnt(15)
	v_lshlrev_b32_e32 v51, 16, v154
	s_waitcnt vmcnt(14)
	v_lshlrev_b32_e32 v50, 16, v155
	v_accvgpr_read_b32 v52, a12
	v_accvgpr_read_b32 v54, a14
	v_pk_add_f32 v[50:51], v[50:51], v[52:53] neg_lo:[0,1] neg_hi:[0,1]
	s_waitcnt vmcnt(13)
	v_lshlrev_b32_e32 v53, 16, v156
	s_waitcnt vmcnt(12)
	v_lshlrev_b32_e32 v52, 16, v157
	v_pk_add_f32 v[52:53], v[52:53], v[54:55] neg_lo:[0,1] neg_hi:[0,1]
	global_store_short_d16_hi v[62:63], v50, off offset:64
	global_store_short_d16_hi v[62:63], v51, off offset:320
	;; [unrolled: 1-line block ×4, first 2 shown]
	v_pk_mul_f32 v[50:51], v[58:59], v[50:51]
	v_pk_mul_f32 v[52:53], v[60:61], v[52:53]
	v_accvgpr_read_b32 v55, a1
	v_perm_b32 v50, v51, v50, s3
	v_perm_b32 v51, v53, v52, s3
	s_waitcnt vmcnt(15)
	v_lshlrev_b32_e32 v53, 16, v138
	s_waitcnt vmcnt(14)
	v_lshlrev_b32_e32 v52, 16, v139
	v_accvgpr_read_b32 v54, a0
	v_accvgpr_read_b32 v57, a3
	;; [unrolled: 1-line block ×3, first 2 shown]
	v_pk_add_f32 v[52:53], v[52:53], v[54:55] neg_lo:[0,1] neg_hi:[0,1]
	s_waitcnt vmcnt(13)
	v_lshlrev_b32_e32 v55, 16, v158
	s_waitcnt vmcnt(12)
	v_lshlrev_b32_e32 v54, 16, v159
	v_pk_add_f32 v[54:55], v[54:55], v[56:57] neg_lo:[0,1] neg_hi:[0,1]
	global_store_short_d16_hi v[62:63], v52, off offset:96
	global_store_short_d16_hi v[62:63], v53, off offset:352
	;; [unrolled: 1-line block ×4, first 2 shown]
	v_pk_mul_f32 v[52:53], v[58:59], v[52:53]
	v_pk_mul_f32 v[54:55], v[60:61], v[54:55]
	v_mov_b32_e32 v136, 0
	v_perm_b32 v55, v55, v54, s3
	v_perm_b32 v54, v53, v52, s3
	ds_write2_b64 v91, v[50:51], v[54:55] offset0:32 offset1:48
	v_mov_b32_e32 v50, 0
	v_mov_b32_e32 v51, 0
	v_mov_b32_e32 v52, 0
	v_mov_b32_e32 v53, 0
	v_mov_b32_e32 v54, 0
	v_mov_b32_e32 v55, 0
	v_mov_b32_e32 v56, 0
	v_mov_b32_e32 v57, 0
	v_mov_b32_e32 v58, 0
	v_mov_b32_e32 v59, 0
	v_mov_b32_e32 v60, 0
	v_mov_b32_e32 v61, 0
	v_mov_b32_e32 v62, 0
	v_mov_b32_e32 v63, 0
	v_mov_b32_e32 v64, 0
	v_mov_b32_e32 v65, 0
	s_cbranch_vccnz .LBB179_14
; %bb.13:                               ;   in Loop: Header=BB179_6 Depth=1
	s_and_b32 s25, s25, 0xffff
	s_mov_b32 s27, s23
	buffer_load_dwordx4 v[62:65], v128, s[24:27], 0 offen
	buffer_load_dwordx4 v[54:57], v128, s[24:27], s57 offen
	;; [unrolled: 1-line block ×4, first 2 shown]
	v_mov_b32_e32 v135, v85
	v_mov_b32_e32 v136, v84
.LBB179_14:                             ;   in Loop: Header=BB179_6 Depth=1
	s_waitcnt lgkmcnt(0)
	s_barrier
	ds_read_b64 v[146:147], v67
	ds_read2_b64 v[138:141], v121 offset1:16
	ds_read_b64 v[162:163], v130
	ds_read_b64 v[164:165], v131
	;; [unrolled: 1-line block ×3, first 2 shown]
	ds_read2_b64 v[142:145], v121 offset0:32 offset1:48
	s_waitcnt lgkmcnt(4)
	v_mfma_f32_16x16x16_bf16 a[0:3], v[146:147], v[138:139], 0
	ds_read2st64_b64 v[150:153], v123 offset0:4 offset1:8
	ds_read2st64_b64 v[154:157], v124 offset0:4 offset1:8
	;; [unrolled: 1-line block ×3, first 2 shown]
	v_mfma_f32_16x16x16_bf16 a[4:7], v[146:147], v[140:141], 0
	s_add_i32 s20, s52, s60
	s_mul_hi_i32 s21, s20, s13
	s_mul_i32 s20, s20, s13
	s_waitcnt lgkmcnt(3)
	v_mfma_f32_16x16x16_bf16 a[8:11], v[146:147], v[142:143], 0
	s_add_u32 s20, s20, s47
	s_addc_u32 s21, s21, s48
	s_lshl_b64 s[20:21], s[20:21], 15
	v_mfma_f32_16x16x16_bf16 a[12:15], v[146:147], v[144:145], 0
	ds_read2st64_b64 v[146:149], v121 offset0:4 offset1:8
	s_waitcnt lgkmcnt(0)
	v_mfma_f32_16x16x16_bf16 a[0:3], v[162:163], v[146:147], a[0:3]
	v_mfma_f32_16x16x16_bf16 a[4:7], v[162:163], v[150:151], a[4:7]
	;; [unrolled: 1-line block ×8, first 2 shown]
	ds_read_b64 v[162:163], v121 offset:6144
	ds_read_b64 v[164:165], v122 offset:40960
	ds_read_b64 v[168:169], v120 offset:40960
	ds_read_b64 v[170:171], v123 offset:6144
	ds_read_b64 v[172:173], v124 offset:6144
	ds_read_b64 v[174:175], v125 offset:6144
	ds_read_b64 v[176:177], v126 offset:40960
	ds_read_b64 v[178:179], v127 offset:40960
	s_waitcnt lgkmcnt(5)
	v_mfma_f32_16x16x16_bf16 a[16:19], v[168:169], v[138:139], 0
	v_mfma_f32_16x16x16_bf16 a[20:23], v[168:169], v[140:141], 0
	ds_read2st64_b64 v[138:141], v118 offset1:8
	v_mfma_f32_16x16x16_bf16 a[24:27], v[168:169], v[142:143], 0
	v_mfma_f32_16x16x16_bf16 a[28:31], v[168:169], v[144:145], 0
	ds_read2st64_b64 v[142:145], v119 offset1:8
	v_mfma_f32_16x16x16_bf16 a[16:19], v[164:165], v[146:147], a[16:19]
	s_waitcnt lgkmcnt(1)
	v_mov_b32_e32 v146, v138
	v_mov_b32_e32 v147, v139
	v_mfma_f32_16x16x16_bf16 a[20:23], v[164:165], v[150:151], a[20:23]
	v_lshl_add_u64 v[150:151], v[74:75], 0, s[20:21]
	v_mfma_f32_16x16x16_bf16 a[24:27], v[164:165], v[154:155], a[24:27]
	v_mfma_f32_16x16x16_bf16 a[28:31], v[164:165], v[158:159], a[28:31]
	;; [unrolled: 1-line block ×3, first 2 shown]
	s_waitcnt lgkmcnt(0)
	v_mov_b32_e32 v148, v142
	v_mov_b32_e32 v149, v143
	;; [unrolled: 1-line block ×3, first 2 shown]
	v_mfma_f32_16x16x16_bf16 a[32:35], v[176:177], v[152:153], a[20:23]
	v_mov_b32_e32 v143, v141
	ds_read2st64_b64 v[138:141], v118 offset0:16 offset1:24
	global_store_dwordx4 v[150:151], v[146:149], off
	v_mfma_f32_16x16x16_bf16 a[24:27], v[176:177], v[156:157], a[24:27]
	ds_read2st64_b64 v[146:149], v119 offset0:16 offset1:24
	v_add_co_u32_e32 v152, vcc, s37, v150
	v_mfma_f32_16x16x16_bf16 a[28:31], v[176:177], v[160:161], a[28:31]
	s_nop 0
	v_addc_co_u32_e32 v153, vcc, 0, v151, vcc
	global_store_dwordx4 v[152:153], v[142:145], off offset:-4096
	v_mfma_f32_16x16x16_bf16 a[0:3], v[166:167], v[162:163], a[0:3]
	s_waitcnt lgkmcnt(1)
	v_mov_b32_e32 v142, v138
	v_add_co_u32_e32 v138, vcc, s39, v150
	v_mfma_f32_16x16x16_bf16 a[4:7], v[166:167], v[170:171], a[4:7]
	v_mov_b32_e32 v143, v139
	v_addc_co_u32_e32 v139, vcc, 0, v151, vcc
	v_mfma_f32_16x16x16_bf16 a[8:11], v[166:167], v[172:173], a[8:11]
	s_waitcnt lgkmcnt(0)
	v_mov_b32_e32 v144, v146
	v_mov_b32_e32 v145, v147
	;; [unrolled: 1-line block ×3, first 2 shown]
	v_mfma_f32_16x16x16_bf16 a[12:15], v[166:167], v[174:175], a[12:15]
	v_mov_b32_e32 v147, v141
	s_and_b64 vcc, exec, s[0:1]
	global_store_dwordx4 v[152:153], v[142:145], off
	v_mfma_f32_16x16x16_bf16 a[20:23], v[178:179], v[162:163], a[16:19]
	global_store_dwordx4 v[138:139], v[146:149], off
	v_mfma_f32_16x16x16_bf16 a[16:19], v[178:179], v[170:171], a[32:35]
	v_mfma_f32_16x16x16_bf16 a[24:27], v[178:179], v[172:173], a[24:27]
	;; [unrolled: 1-line block ×3, first 2 shown]
	s_cbranch_vccnz .LBB179_16
; %bb.15:                               ;   in Loop: Header=BB179_6 Depth=1
	v_lshrrev_b32_e32 v137, 3, v135
	v_and_b32_e32 v137, 6, v137
	v_xor_b32_e32 v136, v137, v136
	v_lshlrev_b32_e32 v136, 2, v136
	v_and_b32_e32 v135, 8, v135
	v_xor_b32_e32 v138, 0x440, v136
	v_cmp_eq_u32_e32 vcc, 0, v135
	s_barrier
	s_nop 0
	v_cndmask_b32_e32 v135, v138, v136, vcc
	v_lshl_or_b32 v135, v137, 10, v135
	s_waitcnt vmcnt(5)
	v_perm_b32 v136, v62, v58, s58
	s_waitcnt vmcnt(4)
	v_perm_b32 v137, v54, v50, s58
	ds_write2st64_b32 v135, v136, v137 offset0:128 offset1:160
	v_xor_b32_e32 v136, 8, v135
	v_perm_b32 v58, v62, v58, s59
	v_perm_b32 v50, v54, v50, s59
	v_add_u32_e32 v54, 0x80, v136
	ds_write2st64_b32 v54, v58, v50 offset0:128 offset1:160
	v_xor_b32_e32 v50, 16, v135
	v_perm_b32 v54, v63, v59, s58
	v_perm_b32 v58, v55, v51, s58
	ds_write2st64_b32 v50, v54, v58 offset0:129 offset1:161
	v_xor_b32_e32 v50, 24, v135
	v_perm_b32 v54, v63, v59, s59
	v_perm_b32 v51, v55, v51, s59
	v_add_u32_e32 v50, 0x80, v50
	ds_write2st64_b32 v50, v54, v51 offset0:129 offset1:161
	v_xor_b32_e32 v50, 32, v135
	v_perm_b32 v51, v64, v60, s58
	;; [unrolled: 9-line block ×3, first 2 shown]
	v_perm_b32 v52, v57, v53, s58
	ds_write2st64_b32 v50, v51, v52 offset0:131 offset1:163
	v_xor_b32_e32 v50, 56, v135
	v_perm_b32 v51, v65, v61, s59
	v_perm_b32 v52, v57, v53, s59
	v_add_u32_e32 v50, 0x80, v50
	ds_write2st64_b32 v50, v51, v52 offset0:131 offset1:163
	ds_write_b64 v134, v[46:47] offset:49152
	v_xor_b32_e32 v46, 8, v134
	ds_write_b64 v46, v[48:49] offset:49152
	ds_write_b64 v134, v[42:43] offset:57344
	;; [unrolled: 1-line block ×4, first 2 shown]
	v_xor_b32_e32 v38, 8, v133
	ds_write_b64 v38, v[40:41] offset:49152
	ds_write_b64 v133, v[34:35] offset:57344
	;; [unrolled: 1-line block ×3, first 2 shown]
.LBB179_16:                             ;   in Loop: Header=BB179_6 Depth=1
	v_exp_f32_e32 v134, s40
	v_accvgpr_read_b32 v37, a3
	v_accvgpr_read_b32 v41, a7
	;; [unrolled: 1-line block ×4, first 2 shown]
	s_waitcnt vmcnt(4)
	v_accvgpr_read_b32 v53, a23
	v_accvgpr_read_b32 v57, a19
	;; [unrolled: 1-line block ×28, first 2 shown]
	s_add_i32 s55, s55, 64
	v_pk_fma_f32 v[22:23], v[22:23], v[134:135], v[34:35] op_sel_hi:[1,0,1]
	v_pk_fma_f32 v[24:25], v[24:25], v[134:135], v[36:37] op_sel_hi:[1,0,1]
	;; [unrolled: 1-line block ×15, first 2 shown]
	s_cmp_eq_u32 s49, s61
	v_pk_fma_f32 v[12:13], v[12:13], v[134:135], v[64:65] op_sel_hi:[1,0,1]
	s_cbranch_scc1 .LBB179_18
; %bb.17:                               ;   in Loop: Header=BB179_6 Depth=1
	s_mov_b32 s60, s61
	s_branch .LBB179_6
.LBB179_18:
	s_lshl_b32 s26, s49, 6
	s_sub_i32 s27, s50, s26
	s_cmp_gt_i32 s27, 0
	s_cbranch_scc0 .LBB179_99
; %bb.19:
	s_add_i32 s26, s26, s34
	s_ashr_i32 s3, s26, 31
	s_cmpk_lg_i32 s15, 0x80
	s_cselect_b64 s[22:23], -1, 0
	s_and_b64 vcc, exec, s[22:23]
	s_cbranch_vccz .LBB179_21
; %bb.20:
	s_mul_hi_i32 s0, s26, s14
	s_mul_i32 s1, s26, s14
	s_ashr_i32 s14, s51, 31
	s_add_u32 s24, s1, s51
	s_addc_u32 s25, s0, s14
	s_cbranch_execz .LBB179_22
	s_branch .LBB179_23
.LBB179_21:
                                        ; implicit-def: $sgpr24_sgpr25
.LBB179_22:
	s_mul_i32 s1, s51, s12
	s_mul_hi_i32 s0, s51, s12
	s_add_u32 s24, s1, s26
	s_addc_u32 s25, s0, s3
.LBB179_23:
	s_add_i32 s12, s49, s52
	s_add_u32 s0, s54, s26
	s_addc_u32 s1, s53, s3
	v_lshlrev_b32_e32 v35, 6, v82
	v_lshlrev_b32_e32 v34, 2, v79
	s_mov_b32 s3, 0x7060302
	s_waitcnt vmcnt(7)
	v_perm_b32 v25, v25, v24, s3
	v_perm_b32 v24, v23, v22, s3
	s_waitcnt vmcnt(6)
	v_perm_b32 v22, v31, v30, s3
	v_or_b32_e32 v30, v35, v34
	v_xor_b32_e32 v36, v82, v34
	v_perm_b32 v23, v33, v32, s3
	v_lshlrev_b32_e32 v30, 1, v30
	ds_write2st64_b64 v30, v[24:25], v[22:23] offset0:32 offset1:48
	v_lshlrev_b32_e32 v30, 1, v36
	v_lshlrev_b32_e32 v31, 8, v79
	v_xor_b32_e32 v37, v83, v34
	v_or_b32_e32 v32, v30, v31
	ds_write_b64 v32, v[24:25]
	v_lshlrev_b32_e32 v24, 1, v37
	v_or_b32_e32 v25, v24, v31
	ds_write_b64 v25, v[22:23]
	v_or_b32_e32 v22, 16, v79
	v_lshlrev_b32_e32 v23, 2, v22
	v_or_b32_e32 v25, v35, v23
	s_waitcnt vmcnt(5)
	v_perm_b32 v17, v17, v16, s3
	v_perm_b32 v16, v15, v14, s3
	s_waitcnt vmcnt(4)
	v_perm_b32 v15, v29, v28, s3
	v_perm_b32 v14, v27, v26, s3
	v_lshlrev_b32_e32 v25, 1, v25
	v_lshlrev_b32_e32 v22, 8, v22
	ds_write2st64_b64 v25, v[16:17], v[14:15] offset0:32 offset1:48
	v_or_b32_e32 v25, v30, v22
	ds_write_b64 v25, v[16:17]
	v_or_b32_e32 v16, v24, v22
	ds_write_b64 v16, v[14:15]
	v_or_b32_e32 v14, 32, v79
	v_lshlrev_b32_e32 v22, 2, v14
	v_or_b32_e32 v15, v35, v22
	s_waitcnt vmcnt(3)
	v_perm_b32 v9, v9, v8, s3
	v_perm_b32 v8, v7, v6, s3
	s_waitcnt vmcnt(2)
	v_perm_b32 v7, v21, v20, s3
	v_perm_b32 v6, v19, v18, s3
	v_lshlrev_b32_e32 v15, 1, v15
	v_lshlrev_b32_e32 v14, 8, v14
	s_lshl_b64 s[20:21], s[0:1], 8
	ds_write2st64_b64 v15, v[8:9], v[6:7] offset0:32 offset1:48
	v_or_b32_e32 v15, v30, v14
	s_add_u32 s0, s6, s20
	ds_write_b64 v15, v[8:9]
	v_or_b32_e32 v8, v24, v14
	s_addc_u32 s1, s7, s21
	ds_write_b64 v8, v[6:7]
	s_waitcnt vmcnt(1)
	v_perm_b32 v5, v5, v4, s3
	v_perm_b32 v4, v3, v2, s3
	s_waitcnt vmcnt(0)
	v_perm_b32 v3, v13, v12, s3
	v_perm_b32 v2, v11, v10, s3
	v_or_b32_e32 v6, 48, v79
	s_mul_hi_i32 s3, s12, s13
	s_mul_i32 s12, s12, s13
	v_lshlrev_b32_e32 v19, 2, v6
	s_add_u32 s6, s12, s47
	v_or_b32_e32 v7, v35, v19
	s_addc_u32 s7, s3, s48
	v_lshlrev_b32_e32 v7, 1, v7
	v_lshlrev_b32_e32 v6, 8, v6
	s_ashr_i32 s3, s2, 31
	s_lshl_b64 s[6:7], s[6:7], 15
	ds_write2st64_b64 v7, v[4:5], v[2:3] offset0:32 offset1:48
	v_or_b32_e32 v7, v30, v6
	s_add_u32 s6, s18, s6
	ds_write_b64 v7, v[4:5]
	v_or_b32_e32 v4, v24, v6
	s_addc_u32 s7, s19, s7
	s_lshl_b64 s[2:3], s[2:3], 8
	ds_write_b64 v4, v[2:3]
	s_add_u32 s2, s6, s2
	v_lshlrev_b32_e32 v3, 1, v79
	v_lshrrev_b32_e32 v2, 4, v0
	s_addc_u32 s3, s7, s3
	v_or_b32_e32 v4, 1, v3
	v_lshlrev_b32_e32 v10, 4, v79
	v_mov_b32_e32 v11, 0
	v_xor_b32_e32 v3, v2, v3
	v_xor_b32_e32 v6, v4, v2
	v_lshl_add_u64 v[12:13], s[2:3], 0, v[10:11]
	v_lshlrev_b32_e32 v10, 8, v2
	v_lshl_or_b32 v16, v3, 3, v10
	v_lshl_or_b32 v17, v6, 3, v10
	s_waitcnt lgkmcnt(0)
	s_barrier
	ds_read2st64_b64 v[2:5], v16 offset1:8
	ds_read2st64_b64 v[6:9], v17 offset1:8
	v_lshl_add_u64 v[14:15], v[12:13], 0, v[10:11]
	s_movk_i32 s2, 0x2000
	s_cmp_lg_u32 s27, 64
	s_waitcnt lgkmcnt(1)
	v_mov_b32_e32 v10, v2
	v_mov_b32_e32 v11, v3
	s_waitcnt lgkmcnt(0)
	v_mov_b32_e32 v12, v6
	v_mov_b32_e32 v13, v7
	global_store_dwordx4 v[14:15], v[10:13], off
	v_mov_b32_e32 v6, v4
	v_mov_b32_e32 v7, v5
	ds_read2st64_b64 v[2:5], v16 offset0:16 offset1:24
	ds_read2st64_b64 v[10:13], v17 offset0:16 offset1:24
	v_add_co_u32_e32 v16, vcc, s2, v14
	s_cselect_b64 s[6:7], -1, 0
	s_nop 0
	v_addc_co_u32_e32 v17, vcc, 0, v15, vcc
	global_store_dwordx4 v[16:17], v[6:9], off offset:-4096
	v_lshl_or_b32 v24, v77, 3, v81
	s_mov_b32 s16, 0
	s_waitcnt lgkmcnt(1)
	v_mov_b32_e32 v6, v2
	v_add_co_u32_e32 v2, vcc, 0x3000, v14
	v_mov_b32_e32 v7, v3
	s_nop 0
	v_addc_co_u32_e32 v3, vcc, 0, v15, vcc
	s_waitcnt lgkmcnt(0)
	v_mov_b32_e32 v8, v10
	v_mov_b32_e32 v9, v11
	;; [unrolled: 1-line block ×4, first 2 shown]
	v_or_b32_e32 v20, 32, v24
	v_and_b32_e32 v18, 56, v80
	s_and_b64 vcc, exec, s[6:7]
	global_store_dwordx4 v[16:17], v[6:9], off
	global_store_dwordx4 v[2:3], v[10:13], off
	s_cbranch_vccz .LBB179_29
; %bb.24:
	s_mov_b32 s17, s16
	s_mov_b32 s18, s16
	;; [unrolled: 1-line block ×3, first 2 shown]
	v_mov_b64_e32 v[6:7], s[16:17]
	v_mov_b64_e32 v[8:9], s[18:19]
	v_mov_b64_e32 v[2:3], v[6:7]
	v_cmp_gt_i32_e32 vcc, s27, v24
	v_mov_b64_e32 v[4:5], v[8:9]
	s_and_saveexec_b64 s[2:3], vcc
	s_cbranch_execz .LBB179_26
; %bb.25:
	v_lshlrev_b32_e32 v2, 8, v24
	v_mov_b32_e32 v3, 0
	v_lshl_add_u64 v[4:5], s[0:1], 0, v[2:3]
	v_lshlrev_b32_e32 v2, 1, v18
	v_lshl_add_u64 v[10:11], v[4:5], 0, v[2:3]
	global_load_dwordx4 v[6:9], v[10:11], off
	global_load_dwordx4 v[2:5], v[10:11], off offset:128
.LBB179_26:
	s_or_b64 exec, exec, s[2:3]
	s_mov_b32 s17, s16
	s_mov_b32 s18, s16
	;; [unrolled: 1-line block ×3, first 2 shown]
	v_mov_b64_e32 v[14:15], s[16:17]
	v_mov_b64_e32 v[16:17], s[18:19]
	;; [unrolled: 1-line block ×3, first 2 shown]
	v_cmp_gt_i32_e32 vcc, s27, v20
	v_lshlrev_b32_e32 v21, 7, v20
	v_mov_b64_e32 v[12:13], v[16:17]
	s_and_saveexec_b64 s[2:3], vcc
	s_cbranch_execz .LBB179_28
; %bb.27:
	v_lshlrev_b32_e32 v10, 1, v21
	v_mov_b32_e32 v11, 0
	v_lshl_add_u64 v[12:13], s[0:1], 0, v[10:11]
	v_lshlrev_b32_e32 v10, 1, v18
	v_lshl_add_u64 v[26:27], v[12:13], 0, v[10:11]
	global_load_dwordx4 v[14:17], v[26:27], off
	global_load_dwordx4 v[10:13], v[26:27], off offset:128
.LBB179_28:
	s_or_b64 exec, exec, s[2:3]
	v_lshrrev_b32_e32 v25, 3, v18
	v_lshlrev_b32_e32 v26, 3, v24
	v_or_b32_e32 v25, v26, v25
	v_lshlrev_b32_e32 v25, 4, v25
	v_and_b32_e32 v26, 0x78, v26
	v_xor_b32_e32 v25, v25, v26
	s_branch .LBB179_31
.LBB179_29:
                                        ; implicit-def: $vgpr25
                                        ; implicit-def: $vgpr21
                                        ; implicit-def: $vgpr6_vgpr7_vgpr8_vgpr9
                                        ; implicit-def: $vgpr2_vgpr3_vgpr4_vgpr5
                                        ; implicit-def: $vgpr14_vgpr15_vgpr16_vgpr17
                                        ; implicit-def: $vgpr10_vgpr11_vgpr12_vgpr13
	s_cbranch_execz .LBB179_31
; %bb.30:
	s_waitcnt vmcnt(0)
	v_lshlrev_b32_e32 v2, 1, v18
	v_lshl_or_b32 v21, v24, 8, v2
	s_and_b32 s1, s1, 0xffff
	s_mov_b32 s3, 0x20000
	s_movk_i32 s2, 0x4000
	v_lshl_or_b32 v25, v20, 8, v2
	s_movk_i32 s12, 0x80
	buffer_load_dwordx4 v[6:9], v21, s[0:3], 0 offen
	buffer_load_dwordx4 v[2:5], v21, s[0:3], s12 offen
	;; [unrolled: 1-line block ×4, first 2 shown]
	v_lshrrev_b32_e32 v21, 3, v18
	v_lshlrev_b32_e32 v25, 3, v24
	v_or_b32_e32 v21, v25, v21
	v_lshlrev_b32_e32 v21, 4, v21
	v_and_b32_e32 v25, 0x78, v25
	v_xor_b32_e32 v25, v21, v25
	v_lshlrev_b32_e32 v21, 7, v20
.LBB179_31:
	s_movk_i32 s0, 0x1000
	v_and_or_b32 v20, v21, s0, v25
	s_waitcnt vmcnt(1)
	ds_write_b64 v25, v[6:7] offset:49152
	v_xor_b32_e32 v6, 8, v25
	ds_write_b64 v6, v[8:9] offset:49152
	s_waitcnt vmcnt(0)
	ds_write_b64 v25, v[2:3] offset:57344
	ds_write_b64 v6, v[4:5] offset:57344
	;; [unrolled: 1-line block ×3, first 2 shown]
	v_xor_b32_e32 v2, 8, v20
	ds_write_b64 v2, v[16:17] offset:49152
	ds_write_b64 v20, v[10:11] offset:57344
	;; [unrolled: 1-line block ×3, first 2 shown]
	v_or_b32_e32 v2, v1, v79
	v_lshlrev_b32_e32 v3, 11, v77
	v_lshlrev_b32_e32 v2, 3, v2
	v_and_b32_e32 v6, 0x1000, v3
	v_lshrrev_b32_e32 v3, 5, v76
	s_movk_i32 s0, 0xf8
	v_and_or_b32 v3, v2, s0, v3
	v_lshlrev_b32_e32 v7, 4, v3
	v_and_b32_e32 v8, 0x78, v2
	v_or_b32_e32 v10, 32, v7
	v_lshrrev_b32_e32 v3, 1, v76
	v_xor_b32_e32 v10, v10, v8
	v_xor_b32_e32 v2, v7, v8
	v_and_b32_e32 v9, 8, v3
	v_or_b32_e32 v10, v10, v6
	v_or_b32_e32 v2, v2, v6
	v_xor_b32_e32 v27, v10, v9
	v_or_b32_e32 v10, 64, v7
	v_xor_b32_e32 v26, v2, v9
	v_xor_b32_e32 v10, v10, v8
	s_waitcnt lgkmcnt(0)
	s_barrier
	v_or_b32_e32 v13, v10, v6
	ds_read_b64 v[10:11], v26 offset:49152
	v_lshl_or_b32 v14, v78, 8, v34
	v_lshlrev_b32_e32 v25, 1, v14
	v_add_u32_e32 v12, 0x4000, v25
	ds_read2_b64 v[2:5], v12 offset1:16
	v_or_b32_e32 v7, 0x60, v7
	v_xor_b32_e32 v7, v7, v8
	v_or_b32_e32 v6, v7, v6
	v_xor_b32_e32 v28, v13, v9
	v_xor_b32_e32 v29, v6, v9
	ds_read_b64 v[20:21], v27 offset:49152
	ds_read_b64 v[36:37], v28 offset:49152
	;; [unrolled: 1-line block ×3, first 2 shown]
	s_waitcnt lgkmcnt(3)
	v_mfma_f32_16x16x16_bf16 a[0:3], v[10:11], v[2:3], 0
	ds_read2st64_b64 v[6:9], v25 offset0:36 offset1:40
	s_lshl_b64 s[0:1], s[24:25], 8
	s_add_u32 s4, s4, s0
	v_mfma_f32_16x16x16_bf16 a[4:7], v[10:11], v[4:5], 0
	ds_read2_b64 v[2:5], v12 offset0:32 offset1:48
	s_addc_u32 s5, s5, s1
	s_add_i32 s1, s43, s33
	s_waitcnt lgkmcnt(0)
	v_mfma_f32_16x16x16_bf16 a[8:11], v[10:11], v[2:3], 0
	v_or_b32_e32 v2, 64, v14
	v_lshlrev_b32_e32 v30, 1, v2
	s_add_i32 s0, s35, -1
	v_mfma_f32_16x16x16_bf16 a[12:15], v[10:11], v[4:5], 0
	ds_read2st64_b64 v[2:5], v30 offset0:36 offset1:40
	s_add_i32 s39, s1, s42
	s_add_i32 s1, s45, s44
	v_mfma_f32_16x16x16_bf16 a[0:3], v[20:21], v[6:7], a[0:3]
	v_or_b32_e32 v6, 0x80, v14
	v_lshlrev_b32_e32 v31, 1, v6
	ds_read2st64_b64 v[10:13], v31 offset0:36 offset1:40
	s_waitcnt lgkmcnt(1)
	v_mfma_f32_16x16x16_bf16 a[4:7], v[20:21], v[2:3], a[4:7]
	v_or_b32_e32 v2, 0xc0, v14
	v_lshlrev_b32_e32 v32, 1, v2
	ds_read2st64_b64 v[14:17], v32 offset0:36 offset1:40
	s_add_i32 s37, s1, s46
	s_ashr_i32 s1, s0, 31
	s_mul_i32 s2, s0, s31
	s_mul_hi_u32 s3, s0, s30
	s_add_i32 s2, s3, s2
	s_mul_i32 s1, s1, s30
	s_waitcnt lgkmcnt(1)
	v_mfma_f32_16x16x16_bf16 a[8:11], v[20:21], v[10:11], a[8:11]
	s_add_i32 s1, s2, s1
	s_lshl_b64 s[2:3], s[38:39], 2
	s_add_u32 s10, s10, s2
	s_waitcnt lgkmcnt(0)
	v_mfma_f32_16x16x16_bf16 a[12:15], v[20:21], v[14:15], a[12:15]
	s_addc_u32 s11, s11, s3
	s_lshl_b64 s[2:3], s[36:37], 2
	s_mul_i32 s0, s0, s30
	v_mfma_f32_16x16x16_bf16 a[0:3], v[36:37], v[8:9], a[0:3]
	ds_read_b64 v[2:3], v25 offset:22528
	s_add_u32 s10, s10, s2
	s_addc_u32 s11, s11, s3
	v_mfma_f32_16x16x16_bf16 a[4:7], v[36:37], v[4:5], a[4:7]
	ds_read_b64 v[4:5], v30 offset:22528
	ds_read_b64 v[6:7], v31 offset:22528
	;; [unrolled: 1-line block ×3, first 2 shown]
	s_lshl_b64 s[0:1], s[0:1], 2
	s_add_u32 s0, s10, s0
	v_mfma_f32_16x16x16_bf16 a[8:11], v[36:37], v[12:13], a[8:11]
	s_addc_u32 s1, s11, s1
	s_load_dword s12, s[0:1], 0x0
	s_and_b64 vcc, exec, s[22:23]
	v_mfma_f32_16x16x16_bf16 a[12:15], v[36:37], v[16:17], a[12:15]
	s_waitcnt lgkmcnt(0)
	v_mfma_f32_16x16x16_bf16 a[0:3], v[38:39], v[2:3], a[0:3]
	v_mfma_f32_16x16x16_bf16 a[4:7], v[38:39], v[4:5], a[4:7]
	;; [unrolled: 1-line block ×4, first 2 shown]
	s_cbranch_vccz .LBB179_42
; %bb.32:
	v_lshlrev_b32_e32 v20, 1, v24
	s_and_b64 vcc, exec, s[6:7]
	s_cbranch_vccz .LBB179_43
; %bb.33:
	v_cmp_gt_i32_e32 vcc, s27, v20
	v_mov_b32_e32 v6, 0
	v_mov_b32_e32 v2, 0
	;; [unrolled: 1-line block ×5, first 2 shown]
	s_and_saveexec_b64 s[0:1], vcc
	s_cbranch_execz .LBB179_35
; %bb.34:
	v_mad_i64_i32 v[2:3], s[2:3], s15, v20, 0
	v_lshl_add_u64 v[2:3], v[2:3], 1, s[4:5]
	v_lshlrev_b32_e32 v4, 1, v18
	v_mov_b32_e32 v5, 0
	v_lshl_add_u64 v[2:3], v[2:3], 0, v[4:5]
	global_load_dwordx4 v[2:5], v[2:3], off
.LBB179_35:
	s_or_b64 exec, exec, s[0:1]
	v_or_b32_e32 v21, 1, v20
	v_cmp_gt_i32_e64 s[0:1], s27, v21
	v_mov_b32_e32 v7, 0
	v_mov_b32_e32 v8, 0
	;; [unrolled: 1-line block ×3, first 2 shown]
	s_and_saveexec_b64 s[2:3], s[0:1]
	s_cbranch_execz .LBB179_37
; %bb.36:
	v_mad_i64_i32 v[6:7], s[16:17], s15, v21, 0
	v_lshl_add_u64 v[6:7], v[6:7], 1, s[4:5]
	v_lshlrev_b32_e32 v8, 1, v18
	v_mov_b32_e32 v9, 0
	v_lshl_add_u64 v[6:7], v[6:7], 0, v[8:9]
	global_load_dwordx4 v[6:9], v[6:7], off
.LBB179_37:
	s_or_b64 exec, exec, s[2:3]
	v_mov_b32_e32 v17, 0
	v_mov_b32_e32 v10, 0
	;; [unrolled: 1-line block ×5, first 2 shown]
	s_and_saveexec_b64 s[2:3], vcc
	s_cbranch_execz .LBB179_39
; %bb.38:
	v_mad_i64_i32 v[10:11], s[16:17], s15, v20, 0
	v_lshl_add_u64 v[10:11], v[10:11], 1, s[4:5]
	v_lshlrev_b32_e32 v12, 1, v18
	v_mov_b32_e32 v13, 0
	v_lshl_add_u64 v[10:11], v[10:11], 0, v[12:13]
	global_load_dwordx4 v[10:13], v[10:11], off offset:128
.LBB179_39:
	s_or_b64 exec, exec, s[2:3]
	v_mov_b32_e32 v16, 0
	v_mov_b32_e32 v15, 0
	;; [unrolled: 1-line block ×3, first 2 shown]
	s_and_saveexec_b64 s[2:3], s[0:1]
	s_cbranch_execz .LBB179_41
; %bb.40:
	v_mad_i64_i32 v[14:15], s[0:1], s15, v21, 0
	v_lshl_add_u64 v[14:15], v[14:15], 1, s[4:5]
	v_lshlrev_b32_e32 v16, 1, v18
	v_mov_b32_e32 v17, 0
	v_lshl_add_u64 v[14:15], v[14:15], 0, v[16:17]
	global_load_dwordx4 v[14:17], v[14:15], off offset:128
.LBB179_41:
	s_or_b64 exec, exec, s[2:3]
	s_branch .LBB179_45
.LBB179_42:
                                        ; implicit-def: $vgpr5
                                        ; implicit-def: $vgpr9
                                        ; implicit-def: $vgpr13
                                        ; implicit-def: $vgpr17
	v_lshrrev_b32_e32 v33, 2, v76
	s_branch .LBB179_46
.LBB179_43:
                                        ; implicit-def: $vgpr5
                                        ; implicit-def: $vgpr9
                                        ; implicit-def: $vgpr13
                                        ; implicit-def: $vgpr17
	s_cbranch_execz .LBB179_45
; %bb.44:
	s_waitcnt vmcnt(0)
	v_mad_u64_u32 v[2:3], s[0:1], v20, s15, v[18:19]
	v_lshlrev_b32_e32 v20, 1, v2
	s_lshl_b32 s2, s15, 7
	s_and_b32 s1, s5, 0xffff
	s_mov_b32 s3, 0x20000
	s_mov_b32 s0, s4
	v_add_lshl_u32 v21, v2, s15, 1
	s_movk_i32 s13, 0x80
	buffer_load_dwordx4 v[2:5], v20, s[0:3], 0 offen
	buffer_load_dwordx4 v[10:13], v20, s[0:3], s13 offen
	;; [unrolled: 1-line block ×4, first 2 shown]
.LBB179_45:
	v_lshrrev_b32_e32 v33, 2, v76
	s_cbranch_execnz .LBB179_58
.LBB179_46:
	s_and_b64 vcc, exec, s[6:7]
	s_cbranch_vccz .LBB179_56
; %bb.47:
	s_waitcnt vmcnt(0)
	v_lshlrev_b32_e32 v7, 1, v24
	v_cmp_gt_i32_e32 vcc, s27, v7
	v_mov_b32_e32 v6, 0
	v_lshlrev_b32_e32 v14, 9, v24
	v_mov_b32_e32 v2, 0
	v_mov_b32_e32 v3, 0
	;; [unrolled: 1-line block ×4, first 2 shown]
	s_and_saveexec_b64 s[0:1], vcc
	s_cbranch_execz .LBB179_49
; %bb.48:
	v_mov_b32_e32 v15, 0
	v_lshl_add_u64 v[2:3], s[4:5], 0, v[14:15]
	v_lshlrev_b32_e32 v4, 1, v18
	v_mov_b32_e32 v5, v15
	v_lshl_add_u64 v[2:3], v[2:3], 0, v[4:5]
	global_load_dwordx4 v[2:5], v[2:3], off
.LBB179_49:
	s_or_b64 exec, exec, s[0:1]
	v_or_b32_e32 v7, 1, v7
	v_cmp_gt_i32_e64 s[0:1], s27, v7
	v_lshlrev_b32_e32 v20, 8, v7
	v_mov_b32_e32 v7, 0
	v_mov_b32_e32 v8, 0
	;; [unrolled: 1-line block ×3, first 2 shown]
	s_and_saveexec_b64 s[2:3], s[0:1]
	s_cbranch_execz .LBB179_51
; %bb.50:
	v_mov_b32_e32 v21, 0
	v_lshl_add_u64 v[6:7], s[4:5], 0, v[20:21]
	v_lshlrev_b32_e32 v8, 1, v18
	v_mov_b32_e32 v9, v21
	v_lshl_add_u64 v[6:7], v[6:7], 0, v[8:9]
	global_load_dwordx4 v[6:9], v[6:7], off
.LBB179_51:
	s_or_b64 exec, exec, s[2:3]
	v_mov_b32_e32 v17, 0
	v_mov_b32_e32 v10, 0
	;; [unrolled: 1-line block ×5, first 2 shown]
	s_and_saveexec_b64 s[2:3], vcc
	s_cbranch_execz .LBB179_53
; %bb.52:
	v_mov_b32_e32 v15, 0
	v_lshl_add_u64 v[10:11], s[4:5], 0, v[14:15]
	v_lshlrev_b32_e32 v14, 1, v18
	v_lshl_add_u64 v[10:11], v[10:11], 0, v[14:15]
	global_load_dwordx4 v[10:13], v[10:11], off offset:128
.LBB179_53:
	s_or_b64 exec, exec, s[2:3]
	v_mov_b32_e32 v16, 0
	v_mov_b32_e32 v15, 0
	;; [unrolled: 1-line block ×3, first 2 shown]
	s_and_saveexec_b64 s[2:3], s[0:1]
	s_cbranch_execz .LBB179_55
; %bb.54:
	v_mov_b32_e32 v21, 0
	v_lshl_add_u64 v[14:15], s[4:5], 0, v[20:21]
	v_lshlrev_b32_e32 v20, 1, v18
	v_lshl_add_u64 v[14:15], v[14:15], 0, v[20:21]
	global_load_dwordx4 v[14:17], v[14:15], off offset:128
.LBB179_55:
	s_or_b64 exec, exec, s[2:3]
	s_branch .LBB179_58
.LBB179_56:
                                        ; implicit-def: $vgpr5
                                        ; implicit-def: $vgpr9
                                        ; implicit-def: $vgpr13
                                        ; implicit-def: $vgpr17
	s_cbranch_execz .LBB179_58
; %bb.57:
	s_waitcnt vmcnt(0)
	v_lshlrev_b32_e32 v2, 1, v18
	v_lshl_or_b32 v18, v24, 9, v2
	s_and_b32 s5, s5, 0xffff
	s_mov_b32 s7, 0x20000
	s_movk_i32 s6, 0x4000
	s_movk_i32 s0, 0x80
	buffer_load_dwordx4 v[2:5], v18, s[4:7], 0 offen
	buffer_load_dwordx4 v[6:9], v18, s[4:7], 0 offen offset:256
	buffer_load_dwordx4 v[10:13], v18, s[4:7], s0 offen
	buffer_load_dwordx4 v[14:17], v18, s[4:7], s0 offen offset:256
.LBB179_58:
	ds_read_b64 v[20:21], v26 offset:57344
	v_add_u32_e32 v18, 0x6000, v25
	ds_read2_b64 v[36:39], v18 offset1:16
	ds_read_b64 v[48:49], v27 offset:57344
	ds_read_b64 v[50:51], v28 offset:57344
	;; [unrolled: 1-line block ×3, first 2 shown]
	ds_read2_b64 v[26:29], v18 offset0:32 offset1:48
	v_and_b32_e32 v18, 6, v0
	v_xor_b32_e32 v24, v24, v18
	v_lshlrev_b32_e32 v24, 2, v24
	v_and_b32_e32 v0, 1, v0
	v_cmp_eq_u32_e32 vcc, 0, v0
	s_waitcnt lgkmcnt(4)
	v_mfma_f32_16x16x16_bf16 a[0:3], v[20:21], v[36:37], a[0:3]
	s_mov_b32 s0, 0x1000504
	s_mov_b32 s1, 0x3020706
	v_mfma_f32_16x16x16_bf16 a[4:7], v[20:21], v[38:39], a[4:7]
	ds_read2st64_b64 v[36:39], v25 offset0:52 offset1:56
	s_waitcnt lgkmcnt(1)
	v_mfma_f32_16x16x16_bf16 a[8:11], v[20:21], v[26:27], a[8:11]
	v_mfma_f32_16x16x16_bf16 a[12:15], v[20:21], v[28:29], a[12:15]
	ds_read2st64_b64 v[26:29], v30 offset0:52 offset1:56
	ds_read2st64_b64 v[40:43], v31 offset0:52 offset1:56
	;; [unrolled: 1-line block ×3, first 2 shown]
	s_waitcnt lgkmcnt(3)
	v_mfma_f32_16x16x16_bf16 a[0:3], v[48:49], v[36:37], a[0:3]
	ds_read_b64 v[20:21], v25 offset:30720
	ds_read_b64 v[36:37], v30 offset:30720
	;; [unrolled: 1-line block ×4, first 2 shown]
	v_xor_b32_e32 v25, 0x440, v24
	v_cndmask_b32_e32 v0, v25, v24, vcc
	s_waitcnt lgkmcnt(6)
	v_mfma_f32_16x16x16_bf16 a[4:7], v[48:49], v[26:27], a[4:7]
	v_lshl_or_b32 v0, v18, 10, v0
	s_waitcnt vmcnt(0)
	v_perm_b32 v18, v2, v6, s0
	v_perm_b32 v24, v10, v14, s0
	s_waitcnt lgkmcnt(5)
	v_mfma_f32_16x16x16_bf16 a[8:11], v[48:49], v[40:41], a[8:11]
	ds_write2st64_b32 v0, v18, v24 offset0:128 offset1:160
	v_xor_b32_e32 v18, 8, v0
	v_perm_b32 v2, v2, v6, s1
	s_waitcnt lgkmcnt(5)
	v_mfma_f32_16x16x16_bf16 a[12:15], v[48:49], v[44:45], a[12:15]
	v_perm_b32 v6, v10, v14, s1
	v_add_u32_e32 v10, 0x80, v18
	ds_write2st64_b32 v10, v2, v6 offset0:128 offset1:160
	v_mfma_f32_16x16x16_bf16 a[0:3], v[50:51], v[38:39], a[0:3]
	v_xor_b32_e32 v2, 16, v0
	v_perm_b32 v6, v3, v7, s0
	v_perm_b32 v10, v11, v15, s0
	v_mfma_f32_16x16x16_bf16 a[4:7], v[50:51], v[28:29], a[4:7]
	ds_write2st64_b32 v2, v6, v10 offset0:129 offset1:161
	v_xor_b32_e32 v2, 24, v0
	v_perm_b32 v3, v3, v7, s1
	v_mfma_f32_16x16x16_bf16 a[16:19], v[50:51], v[42:43], a[8:11]
	v_perm_b32 v6, v11, v15, s1
	v_add_u32_e32 v2, 0x80, v2
	ds_write2st64_b32 v2, v3, v6 offset0:129 offset1:161
	v_mfma_f32_16x16x16_bf16 a[20:23], v[50:51], v[46:47], a[12:15]
	v_xor_b32_e32 v2, 32, v0
	v_perm_b32 v3, v4, v8, s0
	v_perm_b32 v6, v12, v16, s0
	s_waitcnt lgkmcnt(7)
	v_mfma_f32_16x16x16_bf16 a[12:15], v[52:53], v[20:21], a[0:3]
	ds_write2st64_b32 v2, v3, v6 offset0:130 offset1:162
	v_xor_b32_e32 v2, 40, v0
	v_perm_b32 v3, v4, v8, s1
	s_waitcnt lgkmcnt(7)
	v_mfma_f32_16x16x16_bf16 a[8:11], v[52:53], v[36:37], a[4:7]
	v_perm_b32 v4, v12, v16, s1
	v_add_u32_e32 v2, 0x80, v2
	ds_write2st64_b32 v2, v3, v4 offset0:130 offset1:162
	s_waitcnt lgkmcnt(7)
	v_mfma_f32_16x16x16_bf16 a[4:7], v[52:53], v[30:31], a[16:19]
	v_xor_b32_e32 v2, 48, v0
	v_perm_b32 v3, v5, v9, s0
	v_perm_b32 v4, v13, v17, s0
	s_waitcnt lgkmcnt(6)
	v_mfma_f32_16x16x16_bf16 a[0:3], v[52:53], v[54:55], a[20:23]
	v_xor_b32_e32 v0, 56, v0
	v_and_or_b32 v21, v33, 12, v1
	ds_write2st64_b32 v2, v3, v4 offset0:131 offset1:163
	v_perm_b32 v2, v5, v9, s1
	v_perm_b32 v3, v13, v17, s1
	v_add_u32_e32 v0, 0x80, v0
	v_cmp_gt_i32_e32 vcc, s27, v21
	v_mov_b32_e32 v16, 0
	v_mov_b32_e32 v18, 0
	ds_write2st64_b32 v0, v2, v3 offset0:131 offset1:163
	s_and_saveexec_b64 s[0:1], vcc
	s_cbranch_execz .LBB179_60
; %bb.59:
	v_add_u32_e32 v0, s26, v21
	v_ashrrev_i32_e32 v1, 31, v0
	v_mul_lo_u32 v2, v1, s30
	v_mul_lo_u32 v3, v0, s31
	v_mad_u64_u32 v[0:1], s[2:3], v0, s30, 0
	v_add3_u32 v1, v1, v3, v2
	v_lshl_add_u64 v[0:1], v[0:1], 2, s[10:11]
	global_load_dword v0, v[0:1], off
	s_waitcnt vmcnt(0)
	v_sub_f32_e32 v0, s12, v0
	v_exp_f32_e32 v18, v0
.LBB179_60:
	s_or_b64 exec, exec, s[0:1]
	v_or_b32_e32 v10, 1, v21
	v_cmp_gt_i32_e64 s[2:3], s27, v10
	s_and_saveexec_b64 s[0:1], s[2:3]
	s_cbranch_execz .LBB179_62
; %bb.61:
	v_add_u32_e32 v0, s26, v10
	v_ashrrev_i32_e32 v1, 31, v0
	v_mul_lo_u32 v2, v1, s30
	v_mul_lo_u32 v3, v0, s31
	v_mad_u64_u32 v[0:1], s[4:5], v0, s30, 0
	v_add3_u32 v1, v1, v3, v2
	v_lshl_add_u64 v[0:1], v[0:1], 2, s[10:11]
	global_load_dword v0, v[0:1], off
	s_waitcnt vmcnt(0)
	v_sub_f32_e32 v0, s12, v0
	v_exp_f32_e32 v16, v0
.LBB179_62:
	s_or_b64 exec, exec, s[0:1]
	v_or_b32_e32 v12, 2, v21
	v_cmp_gt_i32_e64 s[0:1], s27, v12
	v_mov_b32_e32 v17, 0
	v_mov_b32_e32 v20, 0
	s_and_saveexec_b64 s[4:5], s[0:1]
	s_cbranch_execz .LBB179_64
; %bb.63:
	v_add_u32_e32 v0, s26, v12
	v_ashrrev_i32_e32 v1, 31, v0
	v_mul_lo_u32 v2, v1, s30
	v_mul_lo_u32 v3, v0, s31
	v_mad_u64_u32 v[0:1], s[6:7], v0, s30, 0
	v_add3_u32 v1, v1, v3, v2
	v_lshl_add_u64 v[0:1], v[0:1], 2, s[10:11]
	global_load_dword v0, v[0:1], off
	s_waitcnt vmcnt(0)
	v_sub_f32_e32 v0, s12, v0
	v_exp_f32_e32 v20, v0
.LBB179_64:
	s_or_b64 exec, exec, s[4:5]
	v_or_b32_e32 v14, 3, v21
	v_cmp_gt_i32_e64 s[4:5], s27, v14
	s_and_saveexec_b64 s[6:7], s[4:5]
	s_cbranch_execz .LBB179_66
; %bb.65:
	v_add_u32_e32 v0, s26, v14
	v_ashrrev_i32_e32 v1, 31, v0
	v_mul_lo_u32 v2, v1, s30
	v_mul_lo_u32 v3, v0, s31
	v_mad_u64_u32 v[0:1], s[14:15], v0, s30, 0
	v_add3_u32 v1, v1, v3, v2
	v_lshl_add_u64 v[0:1], v[0:1], 2, s[10:11]
	global_load_dword v0, v[0:1], off
	s_waitcnt vmcnt(0)
	v_sub_f32_e32 v0, s12, v0
	v_exp_f32_e32 v17, v0
.LBB179_66:
	s_or_b64 exec, exec, s[6:7]
	s_add_u32 s6, s8, s20
	s_addc_u32 s7, s9, s21
	s_add_u32 s8, s28, s20
	v_ashrrev_i32_e32 v67, 31, v66
	v_accvgpr_read_b32 v0, a12
	s_addc_u32 s9, s29, s21
	v_lshlrev_b64 v[4:5], 1, v[66:67]
	v_accvgpr_read_b32 v1, a13
	v_accvgpr_read_b32 v2, a14
	;; [unrolled: 1-line block ×3, first 2 shown]
	v_lshl_add_u64 v[6:7], s[6:7], 0, v[4:5]
	v_lshl_add_u64 v[4:5], s[8:9], 0, v[4:5]
	v_mov_b32_e32 v11, 0
	v_lshlrev_b32_e32 v8, 8, v21
	v_mov_b32_e32 v9, 0
	s_and_saveexec_b64 s[6:7], vcc
	s_cbranch_execz .LBB179_68
; %bb.67:
	v_mov_b32_e32 v9, 0
	v_lshl_add_u64 v[24:25], v[6:7], 0, v[8:9]
	global_load_ushort v13, v[24:25], off
	v_lshl_add_u64 v[24:25], v[4:5], 0, v[8:9]
	s_waitcnt vmcnt(0)
	v_lshlrev_b32_e32 v9, 16, v13
	v_sub_f32_e32 v0, v9, v0
	global_store_short_d16_hi v[24:25], v0, off
	v_mul_f32_e32 v0, v18, v0
	v_lshrrev_b32_e32 v9, 16, v0
.LBB179_68:
	s_or_b64 exec, exec, s[6:7]
	v_lshlrev_b32_e32 v10, 8, v10
	s_and_saveexec_b64 s[6:7], s[2:3]
	s_cbranch_execz .LBB179_70
; %bb.69:
	v_mov_b32_e32 v11, 0
	v_lshl_add_u64 v[24:25], v[6:7], 0, v[10:11]
	global_load_ushort v0, v[24:25], off
	v_lshl_add_u64 v[24:25], v[4:5], 0, v[10:11]
	s_waitcnt vmcnt(0)
	v_lshlrev_b32_e32 v0, 16, v0
	v_sub_f32_e32 v0, v0, v1
	global_store_short_d16_hi v[24:25], v0, off
	v_mul_f32_e32 v0, v16, v0
	v_lshrrev_b32_e32 v11, 16, v0
.LBB179_70:
	s_or_b64 exec, exec, s[6:7]
	v_mov_b32_e32 v15, 0
	v_lshlrev_b32_e32 v12, 8, v12
	v_mov_b32_e32 v13, 0
	s_and_saveexec_b64 s[6:7], s[0:1]
	s_cbranch_execz .LBB179_72
; %bb.71:
	v_mov_b32_e32 v13, 0
	v_lshl_add_u64 v[0:1], v[6:7], 0, v[12:13]
	global_load_ushort v24, v[0:1], off
	v_lshl_add_u64 v[0:1], v[4:5], 0, v[12:13]
	s_waitcnt vmcnt(0)
	v_lshlrev_b32_e32 v13, 16, v24
	v_sub_f32_e32 v2, v13, v2
	global_store_short_d16_hi v[0:1], v2, off
	v_mul_f32_e32 v0, v20, v2
	v_lshrrev_b32_e32 v13, 16, v0
.LBB179_72:
	s_or_b64 exec, exec, s[6:7]
	v_lshlrev_b32_e32 v14, 8, v14
	s_and_saveexec_b64 s[6:7], s[4:5]
	s_cbranch_execz .LBB179_74
; %bb.73:
	v_mov_b32_e32 v15, 0
	v_lshl_add_u64 v[0:1], v[6:7], 0, v[14:15]
	global_load_ushort v2, v[0:1], off
	v_lshl_add_u64 v[0:1], v[4:5], 0, v[14:15]
	s_waitcnt vmcnt(0)
	v_lshlrev_b32_e32 v2, 16, v2
	v_sub_f32_e32 v2, v2, v3
	global_store_short_d16_hi v[0:1], v2, off
	v_mul_f32_e32 v0, v17, v2
	v_lshrrev_b32_e32 v15, 16, v0
.LBB179_74:
	s_or_b64 exec, exec, s[6:7]
	v_lshlrev_b32_e32 v21, 6, v21
	s_mov_b32 s6, 0x5040100
	v_perm_b32 v24, v11, v9, s6
	v_or_b32_e32 v9, v21, v34
	v_accvgpr_read_b32 v0, a8
	v_perm_b32 v25, v15, v13, s6
	v_lshlrev_b32_e32 v9, 1, v9
	v_accvgpr_read_b32 v1, a9
	v_accvgpr_read_b32 v2, a10
	;; [unrolled: 1-line block ×3, first 2 shown]
	ds_write_b64 v9, v[24:25] offset:24576
	v_mov_b32_e32 v11, 0
	v_mov_b32_e32 v9, 0
	s_and_saveexec_b64 s[6:7], vcc
	s_cbranch_execz .LBB179_76
; %bb.75:
	v_mov_b32_e32 v9, 0
	v_lshl_add_u64 v[24:25], v[6:7], 0, v[8:9]
	global_load_ushort v13, v[24:25], off offset:32
	v_lshl_add_u64 v[24:25], v[4:5], 0, v[8:9]
	s_waitcnt vmcnt(0)
	v_lshlrev_b32_e32 v9, 16, v13
	v_sub_f32_e32 v0, v9, v0
	global_store_short_d16_hi v[24:25], v0, off offset:32
	v_mul_f32_e32 v0, v18, v0
	v_lshrrev_b32_e32 v9, 16, v0
.LBB179_76:
	s_or_b64 exec, exec, s[6:7]
	s_and_saveexec_b64 s[6:7], s[2:3]
	s_cbranch_execz .LBB179_78
; %bb.77:
	v_mov_b32_e32 v11, 0
	v_lshl_add_u64 v[24:25], v[6:7], 0, v[10:11]
	global_load_ushort v0, v[24:25], off offset:32
	v_lshl_add_u64 v[24:25], v[4:5], 0, v[10:11]
	s_waitcnt vmcnt(0)
	v_lshlrev_b32_e32 v0, 16, v0
	v_sub_f32_e32 v0, v0, v1
	global_store_short_d16_hi v[24:25], v0, off offset:32
	v_mul_f32_e32 v0, v16, v0
	v_lshrrev_b32_e32 v11, 16, v0
.LBB179_78:
	s_or_b64 exec, exec, s[6:7]
	v_mov_b32_e32 v15, 0
	v_mov_b32_e32 v13, 0
	s_and_saveexec_b64 s[6:7], s[0:1]
	s_cbranch_execz .LBB179_80
; %bb.79:
	v_mov_b32_e32 v13, 0
	v_lshl_add_u64 v[0:1], v[6:7], 0, v[12:13]
	global_load_ushort v24, v[0:1], off offset:32
	v_lshl_add_u64 v[0:1], v[4:5], 0, v[12:13]
	s_waitcnt vmcnt(0)
	v_lshlrev_b32_e32 v13, 16, v24
	v_sub_f32_e32 v2, v13, v2
	global_store_short_d16_hi v[0:1], v2, off offset:32
	v_mul_f32_e32 v0, v20, v2
	v_lshrrev_b32_e32 v13, 16, v0
.LBB179_80:
	s_or_b64 exec, exec, s[6:7]
	s_and_saveexec_b64 s[6:7], s[4:5]
	s_cbranch_execz .LBB179_82
; %bb.81:
	v_mov_b32_e32 v15, 0
	v_lshl_add_u64 v[0:1], v[6:7], 0, v[14:15]
	global_load_ushort v2, v[0:1], off offset:32
	v_lshl_add_u64 v[0:1], v[4:5], 0, v[14:15]
	s_waitcnt vmcnt(0)
	v_lshlrev_b32_e32 v2, 16, v2
	v_sub_f32_e32 v2, v2, v3
	global_store_short_d16_hi v[0:1], v2, off offset:32
	v_mul_f32_e32 v0, v17, v2
	v_lshrrev_b32_e32 v15, 16, v0
.LBB179_82:
	s_or_b64 exec, exec, s[6:7]
	s_mov_b32 s6, 0x5040100
	v_perm_b32 v24, v11, v9, s6
	v_or_b32_e32 v9, v21, v23
	v_accvgpr_read_b32 v0, a4
	v_perm_b32 v25, v15, v13, s6
	v_lshlrev_b32_e32 v9, 1, v9
	v_accvgpr_read_b32 v1, a5
	v_accvgpr_read_b32 v2, a6
	;; [unrolled: 1-line block ×3, first 2 shown]
	ds_write_b64 v9, v[24:25] offset:24576
	v_mov_b32_e32 v11, 0
	v_mov_b32_e32 v9, 0
	s_and_saveexec_b64 s[6:7], vcc
	s_cbranch_execz .LBB179_84
; %bb.83:
	v_mov_b32_e32 v9, 0
	v_lshl_add_u64 v[24:25], v[6:7], 0, v[8:9]
	global_load_ushort v13, v[24:25], off offset:64
	v_lshl_add_u64 v[24:25], v[4:5], 0, v[8:9]
	s_waitcnt vmcnt(0)
	v_lshlrev_b32_e32 v9, 16, v13
	v_sub_f32_e32 v0, v9, v0
	global_store_short_d16_hi v[24:25], v0, off offset:64
	v_mul_f32_e32 v0, v18, v0
	v_lshrrev_b32_e32 v9, 16, v0
.LBB179_84:
	s_or_b64 exec, exec, s[6:7]
	s_and_saveexec_b64 s[6:7], s[2:3]
	s_cbranch_execz .LBB179_86
; %bb.85:
	v_mov_b32_e32 v11, 0
	v_lshl_add_u64 v[24:25], v[6:7], 0, v[10:11]
	global_load_ushort v0, v[24:25], off offset:64
	v_lshl_add_u64 v[24:25], v[4:5], 0, v[10:11]
	s_waitcnt vmcnt(0)
	v_lshlrev_b32_e32 v0, 16, v0
	v_sub_f32_e32 v0, v0, v1
	global_store_short_d16_hi v[24:25], v0, off offset:64
	v_mul_f32_e32 v0, v16, v0
	v_lshrrev_b32_e32 v11, 16, v0
.LBB179_86:
	s_or_b64 exec, exec, s[6:7]
	v_mov_b32_e32 v15, 0
	v_mov_b32_e32 v13, 0
	s_and_saveexec_b64 s[6:7], s[0:1]
	s_cbranch_execz .LBB179_88
; %bb.87:
	v_mov_b32_e32 v13, 0
	v_lshl_add_u64 v[0:1], v[6:7], 0, v[12:13]
	global_load_ushort v23, v[0:1], off offset:64
	v_lshl_add_u64 v[0:1], v[4:5], 0, v[12:13]
	s_waitcnt vmcnt(0)
	v_lshlrev_b32_e32 v13, 16, v23
	v_sub_f32_e32 v2, v13, v2
	global_store_short_d16_hi v[0:1], v2, off offset:64
	v_mul_f32_e32 v0, v20, v2
	v_lshrrev_b32_e32 v13, 16, v0
.LBB179_88:
	s_or_b64 exec, exec, s[6:7]
	s_and_saveexec_b64 s[6:7], s[4:5]
	s_cbranch_execz .LBB179_90
; %bb.89:
	v_mov_b32_e32 v15, 0
	v_lshl_add_u64 v[0:1], v[6:7], 0, v[14:15]
	global_load_ushort v2, v[0:1], off offset:64
	v_lshl_add_u64 v[0:1], v[4:5], 0, v[14:15]
	s_waitcnt vmcnt(0)
	v_lshlrev_b32_e32 v2, 16, v2
	v_sub_f32_e32 v2, v2, v3
	global_store_short_d16_hi v[0:1], v2, off offset:64
	v_mul_f32_e32 v0, v17, v2
	v_lshrrev_b32_e32 v15, 16, v0
.LBB179_90:
	s_or_b64 exec, exec, s[6:7]
	s_mov_b32 s6, 0x5040100
	v_perm_b32 v24, v11, v9, s6
	v_or_b32_e32 v9, v21, v22
	v_accvgpr_read_b32 v0, a0
	v_perm_b32 v25, v15, v13, s6
	v_lshlrev_b32_e32 v9, 1, v9
	v_accvgpr_read_b32 v1, a1
	v_accvgpr_read_b32 v2, a2
	;; [unrolled: 1-line block ×3, first 2 shown]
	ds_write_b64 v9, v[24:25] offset:24576
	v_mov_b32_e32 v11, 0
	v_mov_b32_e32 v9, 0
	s_and_saveexec_b64 s[6:7], vcc
	s_cbranch_execz .LBB179_92
; %bb.91:
	v_mov_b32_e32 v9, 0
	v_lshl_add_u64 v[22:23], v[6:7], 0, v[8:9]
	global_load_ushort v13, v[22:23], off offset:96
	v_lshl_add_u64 v[8:9], v[4:5], 0, v[8:9]
	s_waitcnt vmcnt(0)
	v_lshlrev_b32_e32 v13, 16, v13
	v_sub_f32_e32 v0, v13, v0
	global_store_short_d16_hi v[8:9], v0, off offset:96
	v_mul_f32_e32 v0, v18, v0
	v_lshrrev_b32_e32 v9, 16, v0
.LBB179_92:
	s_or_b64 exec, exec, s[6:7]
	s_and_saveexec_b64 s[6:7], s[2:3]
	s_cbranch_execz .LBB179_94
; %bb.93:
	v_mov_b32_e32 v11, 0
	v_lshl_add_u64 v[22:23], v[6:7], 0, v[10:11]
	global_load_ushort v0, v[22:23], off offset:96
	v_lshl_add_u64 v[10:11], v[4:5], 0, v[10:11]
	s_waitcnt vmcnt(0)
	v_lshlrev_b32_e32 v0, 16, v0
	v_sub_f32_e32 v0, v0, v1
	global_store_short_d16_hi v[10:11], v0, off offset:96
	v_mul_f32_e32 v0, v16, v0
	v_lshrrev_b32_e32 v11, 16, v0
.LBB179_94:
	s_or_b64 exec, exec, s[6:7]
	v_mov_b32_e32 v0, 0
	v_mov_b32_e32 v1, 0
	s_and_saveexec_b64 s[2:3], s[0:1]
	s_cbranch_execz .LBB179_96
; %bb.95:
	v_mov_b32_e32 v13, 0
	v_lshl_add_u64 v[22:23], v[6:7], 0, v[12:13]
	global_load_ushort v1, v[22:23], off offset:96
	v_lshl_add_u64 v[12:13], v[4:5], 0, v[12:13]
	s_waitcnt vmcnt(0)
	v_lshlrev_b32_e32 v1, 16, v1
	v_sub_f32_e32 v1, v1, v2
	global_store_short_d16_hi v[12:13], v1, off offset:96
	v_mul_f32_e32 v1, v20, v1
	v_lshrrev_b32_e32 v1, 16, v1
.LBB179_96:
	s_or_b64 exec, exec, s[2:3]
	s_and_saveexec_b64 s[0:1], s[4:5]
	s_cbranch_execz .LBB179_98
; %bb.97:
	v_mov_b32_e32 v15, 0
	v_lshl_add_u64 v[6:7], v[6:7], 0, v[14:15]
	global_load_ushort v0, v[6:7], off offset:96
	v_lshl_add_u64 v[4:5], v[4:5], 0, v[14:15]
	s_waitcnt vmcnt(0)
	v_lshlrev_b32_e32 v0, 16, v0
	v_sub_f32_e32 v0, v0, v3
	global_store_short_d16_hi v[4:5], v0, off offset:96
	v_mul_f32_e32 v0, v17, v0
	v_lshrrev_b32_e32 v0, 16, v0
.LBB179_98:
	s_or_b64 exec, exec, s[0:1]
	s_mov_b32 s0, 0x5040100
	v_or_b32_e32 v2, v21, v19
	v_perm_b32 v1, v0, v1, s0
	v_perm_b32 v0, v11, v9, s0
	v_lshlrev_b32_e32 v2, 1, v2
	ds_write_b64 v2, v[0:1] offset:24576
	s_waitcnt lgkmcnt(0)
	s_barrier
.LBB179_99:
	s_endpgm
	.section	.rodata,"a",@progbits
	.p2align	6, 0x0
	.amdhsa_kernel _ZN12_GLOBAL__N_139chunk_gated_delta_rule_fwd_h_hip_kernelILi64ELb1ELb0ELb1ELb1ELb1ELb0ELb0ELb0EEEvPK12hip_bfloat16S3_S3_PKfS5_PKvPS1_S8_PvPKiSB_iiiiilll
		.amdhsa_group_segment_fixed_size 65536
		.amdhsa_private_segment_fixed_size 0
		.amdhsa_kernarg_size 136
		.amdhsa_user_sgpr_count 2
		.amdhsa_user_sgpr_dispatch_ptr 0
		.amdhsa_user_sgpr_queue_ptr 0
		.amdhsa_user_sgpr_kernarg_segment_ptr 1
		.amdhsa_user_sgpr_dispatch_id 0
		.amdhsa_user_sgpr_kernarg_preload_length 0
		.amdhsa_user_sgpr_kernarg_preload_offset 0
		.amdhsa_user_sgpr_private_segment_size 0
		.amdhsa_uses_dynamic_stack 0
		.amdhsa_enable_private_segment 0
		.amdhsa_system_sgpr_workgroup_id_x 1
		.amdhsa_system_sgpr_workgroup_id_y 1
		.amdhsa_system_sgpr_workgroup_id_z 0
		.amdhsa_system_sgpr_workgroup_info 0
		.amdhsa_system_vgpr_workitem_id 0
		.amdhsa_next_free_vgpr 216
		.amdhsa_next_free_sgpr 63
		.amdhsa_accum_offset 180
		.amdhsa_reserve_vcc 1
		.amdhsa_float_round_mode_32 0
		.amdhsa_float_round_mode_16_64 0
		.amdhsa_float_denorm_mode_32 3
		.amdhsa_float_denorm_mode_16_64 3
		.amdhsa_dx10_clamp 1
		.amdhsa_ieee_mode 1
		.amdhsa_fp16_overflow 0
		.amdhsa_tg_split 0
		.amdhsa_exception_fp_ieee_invalid_op 0
		.amdhsa_exception_fp_denorm_src 0
		.amdhsa_exception_fp_ieee_div_zero 0
		.amdhsa_exception_fp_ieee_overflow 0
		.amdhsa_exception_fp_ieee_underflow 0
		.amdhsa_exception_fp_ieee_inexact 0
		.amdhsa_exception_int_div_zero 0
	.end_amdhsa_kernel
	.section	.text._ZN12_GLOBAL__N_139chunk_gated_delta_rule_fwd_h_hip_kernelILi64ELb1ELb0ELb1ELb1ELb1ELb0ELb0ELb0EEEvPK12hip_bfloat16S3_S3_PKfS5_PKvPS1_S8_PvPKiSB_iiiiilll,"axG",@progbits,_ZN12_GLOBAL__N_139chunk_gated_delta_rule_fwd_h_hip_kernelILi64ELb1ELb0ELb1ELb1ELb1ELb0ELb0ELb0EEEvPK12hip_bfloat16S3_S3_PKfS5_PKvPS1_S8_PvPKiSB_iiiiilll,comdat
.Lfunc_end179:
	.size	_ZN12_GLOBAL__N_139chunk_gated_delta_rule_fwd_h_hip_kernelILi64ELb1ELb0ELb1ELb1ELb1ELb0ELb0ELb0EEEvPK12hip_bfloat16S3_S3_PKfS5_PKvPS1_S8_PvPKiSB_iiiiilll, .Lfunc_end179-_ZN12_GLOBAL__N_139chunk_gated_delta_rule_fwd_h_hip_kernelILi64ELb1ELb0ELb1ELb1ELb1ELb0ELb0ELb0EEEvPK12hip_bfloat16S3_S3_PKfS5_PKvPS1_S8_PvPKiSB_iiiiilll
                                        ; -- End function
	.section	.AMDGPU.csdata,"",@progbits
; Kernel info:
; codeLenInByte = 11068
; NumSgprs: 69
; NumVgprs: 180
; NumAgprs: 36
; TotalNumVgprs: 216
; ScratchSize: 0
; MemoryBound: 0
; FloatMode: 240
; IeeeMode: 1
; LDSByteSize: 65536 bytes/workgroup (compile time only)
; SGPRBlocks: 8
; VGPRBlocks: 26
; NumSGPRsForWavesPerEU: 69
; NumVGPRsForWavesPerEU: 216
; AccumOffset: 180
; Occupancy: 1
; WaveLimiterHint : 1
; COMPUTE_PGM_RSRC2:SCRATCH_EN: 0
; COMPUTE_PGM_RSRC2:USER_SGPR: 2
; COMPUTE_PGM_RSRC2:TRAP_HANDLER: 0
; COMPUTE_PGM_RSRC2:TGID_X_EN: 1
; COMPUTE_PGM_RSRC2:TGID_Y_EN: 1
; COMPUTE_PGM_RSRC2:TGID_Z_EN: 0
; COMPUTE_PGM_RSRC2:TIDIG_COMP_CNT: 0
; COMPUTE_PGM_RSRC3_GFX90A:ACCUM_OFFSET: 44
; COMPUTE_PGM_RSRC3_GFX90A:TG_SPLIT: 0
	.section	.text._ZN12_GLOBAL__N_139chunk_gated_delta_rule_fwd_h_hip_kernelILi64ELb1ELb0ELb0ELb1ELb1ELb0ELb0ELb0EEEvPK12hip_bfloat16S3_S3_PKfS5_PKvPS1_S8_PvPKiSB_iiiiilll,"axG",@progbits,_ZN12_GLOBAL__N_139chunk_gated_delta_rule_fwd_h_hip_kernelILi64ELb1ELb0ELb0ELb1ELb1ELb0ELb0ELb0EEEvPK12hip_bfloat16S3_S3_PKfS5_PKvPS1_S8_PvPKiSB_iiiiilll,comdat
	.globl	_ZN12_GLOBAL__N_139chunk_gated_delta_rule_fwd_h_hip_kernelILi64ELb1ELb0ELb0ELb1ELb1ELb0ELb0ELb0EEEvPK12hip_bfloat16S3_S3_PKfS5_PKvPS1_S8_PvPKiSB_iiiiilll ; -- Begin function _ZN12_GLOBAL__N_139chunk_gated_delta_rule_fwd_h_hip_kernelILi64ELb1ELb0ELb0ELb1ELb1ELb0ELb0ELb0EEEvPK12hip_bfloat16S3_S3_PKfS5_PKvPS1_S8_PvPKiSB_iiiiilll
	.p2align	8
	.type	_ZN12_GLOBAL__N_139chunk_gated_delta_rule_fwd_h_hip_kernelILi64ELb1ELb0ELb0ELb1ELb1ELb0ELb0ELb0EEEvPK12hip_bfloat16S3_S3_PKfS5_PKvPS1_S8_PvPKiSB_iiiiilll,@function
_ZN12_GLOBAL__N_139chunk_gated_delta_rule_fwd_h_hip_kernelILi64ELb1ELb0ELb0ELb1ELb1ELb0ELb0ELb0EEEvPK12hip_bfloat16S3_S3_PKfS5_PKvPS1_S8_PvPKiSB_iiiiilll: ; @_ZN12_GLOBAL__N_139chunk_gated_delta_rule_fwd_h_hip_kernelILi64ELb1ELb0ELb0ELb1ELb1ELb0ELb0ELb0EEEvPK12hip_bfloat16S3_S3_PKfS5_PKvPS1_S8_PvPKiSB_iiiiilll
; %bb.0:
	s_load_dwordx4 s[12:15], s[0:1], 0x5c
	s_load_dwordx4 s[20:23], s[0:1], 0x70
	s_abs_i32 s9, s3
	s_ashr_i32 s8, s3, 31
	s_load_dwordx4 s[4:7], s[0:1], 0x48
	s_waitcnt lgkmcnt(0)
	s_abs_i32 s10, s13
	v_cvt_f32_u32_e32 v1, s10
	s_sub_i32 s16, 0, s10
	s_ashr_i32 s11, s13, 31
	s_xor_b32 s8, s8, s11
	v_rcp_iflag_f32_e32 v1, v1
	v_and_b32_e32 v77, 15, v0
	v_lshrrev_b32_e32 v75, 6, v0
	v_bfe_u32 v76, v0, 4, 2
	v_mul_f32_e32 v1, 0x4f7ffffe, v1
	v_cvt_u32_f32_e32 v1, v1
	v_mov_b32_e32 v11, 0
	v_and_b32_e32 v74, 63, v0
	v_lshrrev_b32_e32 v79, 3, v74
	v_readfirstlane_b32 s17, v1
	s_mul_i32 s16, s16, s17
	s_mul_hi_u32 s16, s17, s16
	s_add_i32 s17, s17, s16
	s_mul_hi_u32 s16, s9, s17
	s_mul_i32 s17, s16, s10
	s_sub_i32 s9, s9, s17
	s_add_i32 s18, s16, 1
	s_sub_i32 s17, s9, s10
	s_cmp_ge_u32 s9, s10
	s_cselect_b32 s16, s18, s16
	s_cselect_b32 s9, s17, s9
	s_add_i32 s17, s16, 1
	s_cmp_ge_u32 s9, s10
	s_cselect_b32 s9, s17, s16
	s_load_dwordx4 s[16:19], s[0:1], 0x28
	s_xor_b32 s9, s9, s8
	s_sub_i32 s24, s9, s8
	s_mul_i32 s28, s24, s13
	s_ashr_i32 s25, s24, 31
	s_sub_i32 s45, s3, s28
	s_lshl_b64 s[8:9], s[24:25], 2
	s_add_u32 s4, s4, s8
	s_addc_u32 s5, s5, s9
	s_add_u32 s26, s6, s8
	s_addc_u32 s27, s7, s9
	s_abs_i32 s3, s14
	v_cvt_f32_u32_e32 v1, s3
	s_load_dwordx2 s[30:31], s[4:5], 0x0
	s_sub_i32 s5, 0, s3
	s_lshl_b32 s2, s2, 6
	v_rcp_iflag_f32_e32 v1, v1
	v_or_b32_e32 v66, s2, v77
	s_waitcnt lgkmcnt(0)
	s_sub_i32 s48, s31, s30
	s_ashr_i32 s4, s48, 31
	v_mul_f32_e32 v1, 0x4f7ffffe, v1
	v_cvt_u32_f32_e32 v1, v1
	s_lshr_b32 s4, s4, 26
	s_add_i32 s4, s48, s4
	s_ashr_i32 s47, s4, 6
	v_readfirstlane_b32 s6, v1
	s_mul_i32 s5, s5, s6
	s_mul_hi_u32 s5, s6, s5
	s_add_i32 s6, s6, s5
	s_mul_hi_u32 s5, s10, s6
	s_mul_i32 s6, s5, s3
	s_ashr_i32 s4, s14, 31
	s_sub_i32 s6, s10, s6
	s_xor_b32 s4, s11, s4
	s_add_i32 s7, s5, 1
	s_sub_i32 s8, s6, s3
	s_cmp_ge_u32 s6, s3
	s_cselect_b32 s5, s7, s5
	s_cselect_b32 s6, s8, s6
	s_add_i32 s7, s5, 1
	s_cmp_ge_u32 s6, s3
	s_cselect_b32 s3, s7, s5
	s_xor_b32 s3, s3, s4
	s_sub_i32 s3, s3, s4
	s_abs_i32 s4, s3
	v_cvt_f32_u32_e32 v1, s4
	s_sub_i32 s6, 0, s4
	s_abs_i32 s5, s45
	s_xor_b32 s3, s45, s3
	v_rcp_iflag_f32_e32 v1, v1
	s_ashr_i32 s3, s3, 31
	v_lshlrev_b32_e32 v2, 7, v66
	v_ashrrev_i32_e32 v3, 31, v2
	v_mul_f32_e32 v1, 0x4f7ffffe, v1
	v_cvt_u32_f32_e32 v1, v1
	s_mul_hi_i32 s51, s45, s12
	s_mul_i32 s52, s45, s12
	v_lshlrev_b32_e32 v78, 3, v0
	v_readfirstlane_b32 s7, v1
	s_mul_i32 s6, s6, s7
	s_mul_hi_u32 s6, s7, s6
	s_add_i32 s7, s7, s6
	s_mul_hi_u32 s6, s5, s7
	s_mul_i32 s7, s6, s4
	s_sub_i32 s5, s5, s7
	s_add_i32 s7, s6, 1
	s_sub_i32 s8, s5, s4
	s_cmp_ge_u32 s5, s4
	s_cselect_b32 s6, s7, s6
	s_cselect_b32 s5, s8, s5
	s_add_i32 s7, s6, 1
	s_cmp_ge_u32 s5, s4
	s_cselect_b32 s4, s7, s6
	s_xor_b32 s4, s4, s3
	s_sub_i32 s49, s4, s3
	s_ashr_i32 s46, s45, 31
	s_mul_hi_i32 s3, s24, s13
	s_add_u32 s4, s28, s45
	s_addc_u32 s5, s3, s46
	s_lshl_b64 s[4:5], s[4:5], 16
	v_lshlrev_b32_e32 v1, 4, v75
	s_add_u32 s4, s16, s4
	v_lshl_or_b32 v80, v76, 2, v1
	s_addc_u32 s5, s17, s5
	v_lshl_add_u64 v[4:5], v[2:3], 2, s[4:5]
	v_lshlrev_b32_e32 v10, 2, v80
	v_lshl_add_u64 v[4:5], v[4:5], 0, v[10:11]
	global_load_dwordx4 v[22:25], v[4:5], off
	global_load_dwordx4 v[30:33], v[4:5], off offset:256
	v_or_b32_e32 v4, 0x800, v2
	v_ashrrev_i32_e32 v5, 31, v4
	v_lshl_add_u64 v[4:5], v[4:5], 2, s[4:5]
	v_lshl_add_u64 v[4:5], v[4:5], 0, v[10:11]
	global_load_dwordx4 v[14:17], v[4:5], off
	global_load_dwordx4 v[26:29], v[4:5], off offset:256
	v_or_b32_e32 v4, 0x1000, v2
	v_or_b32_e32 v2, 0x1800, v2
	v_ashrrev_i32_e32 v5, 31, v4
	v_ashrrev_i32_e32 v3, 31, v2
	v_lshl_add_u64 v[4:5], v[4:5], 2, s[4:5]
	v_lshl_add_u64 v[2:3], v[2:3], 2, s[4:5]
	v_lshl_add_u64 v[4:5], v[4:5], 0, v[10:11]
	v_lshl_add_u64 v[34:35], v[2:3], 0, v[10:11]
	global_load_dwordx4 v[6:9], v[4:5], off
	global_load_dwordx4 v[18:21], v[4:5], off offset:256
	s_nop 0
	global_load_dwordx4 v[2:5], v[34:35], off
	global_load_dwordx4 v[10:13], v[34:35], off offset:256
	s_load_dwordx8 s[4:11], s[0:1], 0x0
	s_load_dwordx2 s[28:29], s[0:1], 0x80
	s_load_dword s50, s[26:27], 0x0
	v_or_b32_e32 v81, 64, v80
	s_cmp_lt_i32 s48, 64
	s_mul_i32 s33, s24, s21
	s_mul_hi_u32 s41, s24, s20
	s_mul_i32 s40, s25, s20
	s_mul_i32 s36, s24, s20
	;; [unrolled: 1-line block ×3, first 2 shown]
	s_mul_hi_u32 s43, s45, s22
	s_mul_i32 s44, s46, s22
	s_mul_i32 s34, s45, s22
	s_cbranch_scc1 .LBB180_18
; %bb.1:
	s_ashr_i32 s1, s30, 31
	s_add_u32 s0, s52, s30
	s_addc_u32 s1, s51, s1
	s_lshl_b64 s[0:1], s[0:1], 8
	v_and_b32_e32 v83, 56, v78
	s_waitcnt lgkmcnt(0)
	s_add_u32 s20, s6, s0
	v_lshl_or_b32 v82, v75, 3, v79
	v_lshlrev_b32_e32 v34, 1, v83
	s_addc_u32 s0, s7, s1
	v_lshl_or_b32 v84, v82, 8, v34
	s_and_b32 s21, s0, 0xffff
	s_mov_b32 s23, 0x20000
	s_movk_i32 s22, 0x4000
	s_movk_i32 s0, 0x80
	v_or_b32_e32 v85, 0x2000, v84
	buffer_load_dwordx4 v[36:39], v84, s[20:23], 0 offen
	buffer_load_dwordx4 v[40:43], v84, s[20:23], s0 offen
	;; [unrolled: 1-line block ×4, first 2 shown]
	v_lshlrev_b32_e32 v35, 3, v82
	v_and_or_b32 v53, v0, 7, v35
	v_and_b32_e32 v35, 0x78, v35
	v_lshlrev_b32_e32 v53, 4, v53
	v_xor_b32_e32 v86, v53, v35
	v_mul_lo_u32 v52, v82, s15
	v_or_b32_e32 v87, 0x1000, v86
	v_xor_b32_e32 v35, 8, v86
	s_cmpk_eq_i32 s15, 0x80
	s_mov_b32 s53, s30
	v_xor_b32_e32 v53, 8, v87
	s_cselect_b64 s[0:1], -1, 0
	s_cmpk_lg_i32 s15, 0x80
	s_waitcnt vmcnt(3)
	ds_write_b64 v86, v[36:37] offset:49152
	ds_write_b64 v35, v[38:39] offset:49152
	s_waitcnt vmcnt(2)
	ds_write_b64 v86, v[40:41] offset:57344
	ds_write_b64 v35, v[42:43] offset:57344
	;; [unrolled: 3-line block ×4, first 2 shown]
	v_lshl_add_u32 v35, v52, 1, v83
	s_cbranch_scc0 .LBB180_3
; %bb.2:
	v_lshlrev_b32_e32 v37, 1, v35
	v_add_lshl_u32 v36, v35, s15, 1
	s_lshl_b32 s22, s15, 7
	v_lshl_or_b32 v34, v82, 9, v34
	s_cbranch_execz .LBB180_4
	s_branch .LBB180_5
.LBB180_3:
                                        ; implicit-def: $vgpr36
                                        ; implicit-def: $vgpr37
                                        ; implicit-def: $sgpr22
	v_lshl_or_b32 v34, v82, 9, v34
.LBB180_4:
	v_or_b32_e32 v36, 0x100, v34
	s_movk_i32 s22, 0x4000
	v_mov_b32_e32 v37, v34
.LBB180_5:
	s_mul_i32 s16, s30, s14
	s_ashr_i32 s54, s49, 31
	s_mul_hi_i32 s3, s30, s14
	s_add_u32 s16, s16, s49
	s_addc_u32 s17, s3, s54
	s_lshl_b64 s[16:17], s[16:17], 8
	s_add_u32 s20, s4, s16
	s_addc_u32 s3, s5, s17
	s_and_b32 s21, s3, 0xffff
	s_movk_i32 s55, 0x80
	buffer_load_dwordx4 v[38:41], v37, s[20:23], 0 offen
	buffer_load_dwordx4 v[42:45], v37, s[20:23], s55 offen
	;; [unrolled: 1-line block ×4, first 2 shown]
	v_and_b32_e32 v37, 6, v0
	v_lshlrev_b32_e32 v36, 7, v80
	v_xor_b32_e32 v59, v82, v37
	v_and_b32_e32 v54, 1, v0
	v_lshl_or_b32 v62, v77, 3, v36
	v_lshlrev_b32_e32 v59, 2, v59
	v_lshlrev_b32_e32 v55, 2, v77
	v_or_b32_e32 v88, 0x4000, v62
	v_or_b32_e32 v89, 0x6000, v62
	v_xor_b32_e32 v62, 0x440, v59
	v_cmp_eq_u32_e32 vcc, 0, v54
	v_or_b32_e32 v57, 16, v77
	v_or_b32_e32 v58, 32, v77
	v_xor_b32_e32 v60, v80, v55
	v_xor_b32_e32 v61, v81, v55
	v_cndmask_b32_e32 v54, v62, v59, vcc
	s_mov_b32 s56, 0x1000504
	v_lshl_or_b32 v63, v57, 3, v36
	v_lshlrev_b32_e32 v57, 8, v57
	v_lshl_or_b32 v64, v58, 3, v36
	v_lshlrev_b32_e32 v60, 1, v60
	v_lshlrev_b32_e32 v61, 1, v61
	v_lshl_or_b32 v37, v37, 10, v54
	s_add_i32 s3, s41, s33
	s_mov_b32 s57, 0x3020706
	v_lshlrev_b32_e32 v56, 8, v77
	v_or_b32_e32 v92, 0x4000, v64
	v_or_b32_e32 v93, 0x6000, v64
	v_or_b32_e32 v96, v57, v60
	v_or_b32_e32 v97, v57, v61
	v_xor_b32_e32 v54, 8, v37
	v_xor_b32_e32 v57, 24, v37
	v_xor_b32_e32 v62, 40, v37
	v_xor_b32_e32 v64, 56, v37
	s_add_i32 s37, s3, s40
	s_add_i32 s3, s43, s42
	v_or_b32_e32 v90, 0x4000, v63
	v_or_b32_e32 v91, 0x6000, v63
	;; [unrolled: 1-line block ×4, first 2 shown]
	v_xor_b32_e32 v56, 16, v37
	v_xor_b32_e32 v59, 32, v37
	;; [unrolled: 1-line block ×3, first 2 shown]
	v_add_u32_e32 v54, 0x80, v54
	v_add_u32_e32 v57, 0x80, v57
	;; [unrolled: 1-line block ×4, first 2 shown]
	s_add_i32 s35, s3, s44
	s_lshl_b64 s[16:17], s[36:37], 2
	s_add_u32 s3, s10, s16
	s_addc_u32 s20, s11, s17
	s_lshl_b64 s[16:17], s[34:35], 2
	s_add_u32 s16, s3, s16
	s_movk_i32 s3, 0xf8
	s_addc_u32 s17, s20, s17
	s_lshl_b32 s26, s15, 7
	s_movk_i32 s24, 0x100
	v_mov_b32_e32 v69, 0
	v_lshlrev_b32_e32 v68, 4, v77
	v_cmp_gt_u32_e32 vcc, s24, v0
	v_lshlrev_b32_e32 v58, 8, v58
	s_mov_b32 s58, 0
	s_movk_i32 s22, 0x4000
	v_or_b32_e32 v98, v58, v60
	v_or_b32_e32 v99, v58, v61
	s_movk_i32 s35, 0x2000
	s_movk_i32 s37, 0x3000
	s_waitcnt vmcnt(1)
	v_perm_b32 v65, v38, v46, s56
	s_waitcnt vmcnt(0)
	v_perm_b32 v67, v42, v50, s56
	v_perm_b32 v38, v38, v46, s57
	;; [unrolled: 1-line block ×15, first 2 shown]
	ds_write2st64_b32 v37, v65, v67 offset0:128 offset1:160
	ds_write2st64_b32 v54, v38, v42 offset0:128 offset1:160
	;; [unrolled: 1-line block ×8, first 2 shown]
	v_or_b32_e32 v37, 48, v77
	v_lshl_or_b32 v38, v37, 3, v36
	v_lshlrev_b32_e32 v37, 8, v37
	v_or_b32_e32 v102, v37, v60
	v_or_b32_e32 v103, v37, v61
	;; [unrolled: 1-line block ×3, first 2 shown]
	v_lshlrev_b32_e32 v37, 3, v37
	v_lshrrev_b32_e32 v39, 5, v74
	v_and_or_b32 v39, v37, s3, v39
	v_lshlrev_b32_e32 v39, 4, v39
	v_lshlrev_b32_e32 v40, 11, v75
	v_and_b32_e32 v37, 0x78, v37
	v_or_b32_e32 v45, 32, v39
	v_or_b32_e32 v100, 0x4000, v38
	;; [unrolled: 1-line block ×3, first 2 shown]
	v_and_b32_e32 v38, 0x1000, v40
	v_xor_b32_e32 v41, v39, v37
	v_lshrrev_b32_e32 v42, 1, v0
	v_xor_b32_e32 v45, v45, v37
	v_or_b32_e32 v41, v41, v38
	v_and_b32_e32 v43, 8, v42
	v_or_b32_e32 v45, v45, v38
	v_xor_b32_e32 v104, v41, v43
	v_lshlrev_b32_e32 v41, 8, v76
	v_xor_b32_e32 v106, v45, v43
	v_or_b32_e32 v45, 64, v39
	v_or_b32_e32 v39, 0x60, v39
	s_ashr_i32 s3, s2, 31
	v_or_b32_e32 v44, v41, v55
	v_xor_b32_e32 v45, v45, v37
	v_xor_b32_e32 v37, v39, v37
	s_lshl_b64 s[20:21], s[2:3], 8
	v_lshlrev_b32_e32 v44, 1, v44
	v_or_b32_e32 v45, v45, v38
	v_or_b32_e32 v37, v37, v38
	s_add_u32 s20, s18, s20
	v_lshlrev_b32_e32 v38, 1, v77
	v_or_b32_e32 v105, 0x4000, v44
	v_or_b32_e32 v107, 0x4080, v44
	;; [unrolled: 1-line block ×8, first 2 shown]
	v_lshrrev_b32_e32 v44, 4, v0
	s_addc_u32 s21, s19, s21
	v_or_b32_e32 v39, 1, v38
	v_mov_b32_e32 v48, 0xa000
	v_mov_b32_e32 v49, 0x8000
	v_xor_b32_e32 v110, v45, v43
	v_xor_b32_e32 v45, v44, v38
	;; [unrolled: 1-line block ×3, first 2 shown]
	v_lshl_add_u64 v[38:39], s[20:21], 0, v[68:69]
	v_lshlrev_b32_e32 v68, 8, v44
	v_cndmask_b32_e32 v48, v48, v49, vcc
	v_lshlrev_b32_e32 v49, 3, v75
	v_and_b32_e32 v42, 24, v42
	v_lshl_or_b32 v116, v45, 3, v68
	v_and_b32_e32 v45, 8, v0
	v_xor_b32_e32 v50, v49, v42
	v_or_b32_e32 v51, 0x440, v50
	v_cmp_eq_u32_e32 vcc, 0, v45
	v_and_b32_e32 v44, 7, v0
	v_lshl_or_b32 v117, v46, 3, v68
	v_cndmask_b32_e32 v45, v51, v50, vcc
	v_lshlrev_b32_e32 v46, 3, v44
	v_lshlrev_b32_e32 v44, 7, v44
	v_or_b32_e32 v45, v45, v40
	v_lshlrev_b32_e32 v47, 2, v0
	v_xad_u32 v118, v45, v46, v44
	v_or_b32_e32 v45, 32, v42
	v_and_or_b32 v41, v47, 60, v41
	v_xor_b32_e32 v45, v49, v45
	v_lshlrev_b32_e32 v41, 1, v41
	v_or_b32_e32 v47, 0x440, v45
	v_or_b32_e32 v119, 0x6000, v41
	v_cndmask_b32_e32 v45, v47, v45, vcc
	v_or_b32_e32 v121, 0x6080, v41
	v_or_b32_e32 v122, 0x6100, v41
	;; [unrolled: 1-line block ×5, first 2 shown]
	v_xor_b32_e32 v41, v49, v41
	v_xad_u32 v120, v45, v46, v44
	v_xor_b32_e32 v45, 0x440, v41
	v_cndmask_b32_e32 v41, v45, v41, vcc
	v_or_b32_e32 v41, v41, v40
	v_xad_u32 v124, v41, v46, v44
	v_or_b32_e32 v41, 0x60, v42
	v_xor_b32_e32 v41, v49, v41
	v_xor_b32_e32 v42, 0x440, v41
	v_cndmask_b32_e32 v41, v42, v41, vcc
	v_or_b32_e32 v40, v41, v40
	v_xor_b32_e32 v111, v37, v43
	v_ashrrev_i32_e32 v67, 31, v66
	v_lshlrev_b32_e32 v37, 1, v35
	v_add_lshl_u32 v35, v35, s15, 1
	v_or_b32_e32 v43, 0x100, v34
	v_xad_u32 v125, v40, v46, v44
	v_cndmask_b32_e64 v126, v37, v34, s[0:1]
	v_cndmask_b32_e64 v127, v35, v43, s[0:1]
	v_lshl_add_u64 v[70:71], v[66:67], 1, s[8:9]
	v_lshl_add_u64 v[72:73], v[38:39], 0, v[68:69]
	s_mov_b32 s3, 0x7060302
	v_lshlrev_b32_e32 v68, 1, v36
	v_add_u32_e32 v67, v48, v118
	v_add_u32_e32 v128, v48, v120
	;; [unrolled: 1-line block ×4, first 2 shown]
	s_waitcnt lgkmcnt(0)
	s_barrier
.LBB180_6:                              ; =>This Inner Loop Header: Depth=1
	s_add_i32 s59, s58, 1
	s_cmp_lt_i32 s59, s47
	s_mov_b64 s[24:25], 0
	s_cselect_b64 s[38:39], -1, 0
	s_cmp_ge_i32 s59, s47
	s_mov_b64 s[20:21], 0
	s_cbranch_scc1 .LBB180_8
; %bb.7:                                ;   in Loop: Header=BB180_6 Depth=1
	s_add_i32 s0, s53, 64
	s_ashr_i32 s1, s0, 31
	s_add_u32 s0, s52, s0
	s_addc_u32 s1, s51, s1
	s_lshl_b64 s[0:1], s[0:1], 8
	s_add_u32 s20, s6, s0
	s_addc_u32 s21, s7, s1
.LBB180_8:                              ;   in Loop: Header=BB180_6 Depth=1
	v_cndmask_b32_e64 v34, 0, 1, s[38:39]
	v_cmp_ne_u32_e64 s[0:1], 1, v34
	s_andn2_b64 vcc, exec, s[38:39]
	s_cbranch_vccnz .LBB180_10
; %bb.9:                                ;   in Loop: Header=BB180_6 Depth=1
	s_add_i32 s24, s53, 64
	s_mul_hi_i32 s25, s24, s14
	s_mul_i32 s24, s24, s14
	s_add_u32 s24, s24, s49
	s_addc_u32 s25, s25, s54
	s_lshl_b64 s[24:25], s[24:25], 8
	s_add_u32 s24, s4, s24
	s_addc_u32 s25, s5, s25
.LBB180_10:                             ;   in Loop: Header=BB180_6 Depth=1
	v_perm_b32 v35, v25, v24, s3
	v_perm_b32 v34, v23, v22, s3
	v_perm_b32 v37, v33, v32, s3
	v_perm_b32 v36, v31, v30, s3
	ds_write_b64 v88, v[34:35]
	ds_write_b64 v89, v[36:37]
	ds_write_b64 v94, v[34:35]
	ds_write_b64 v95, v[36:37]
	v_perm_b32 v35, v17, v16, s3
	v_perm_b32 v34, v15, v14, s3
	v_perm_b32 v37, v29, v28, s3
	v_perm_b32 v36, v27, v26, s3
	ds_write_b64 v90, v[34:35]
	ds_write_b64 v91, v[36:37]
	ds_write_b64 v96, v[34:35]
	ds_write_b64 v97, v[36:37]
	;; [unrolled: 8-line block ×4, first 2 shown]
	s_waitcnt lgkmcnt(0)
	s_barrier
	ds_read_b64 v[38:39], v104 offset:49152
	ds_read2_b64 v[34:37], v105 offset1:16
	ds_read_b64 v[50:51], v107 offset:6144
	ds_read_b64 v[52:53], v105 offset:6144
	s_waitcnt lgkmcnt(2)
	v_mfma_f32_16x16x16_bf16 a[0:3], v[38:39], v[34:35], 0
	ds_read_b64 v[54:55], v106 offset:49152
	ds_read2st64_b64 v[42:45], v108 offset0:4 offset1:8
	ds_read2st64_b64 v[46:49], v109 offset0:4 offset1:8
	v_mfma_f32_16x16x16_bf16 a[4:7], v[38:39], v[36:37], 0
	ds_read2_b64 v[34:37], v105 offset0:32 offset1:48
	s_add_i32 s27, s53, 63
	s_ashr_i32 s38, s27, 31
	s_waitcnt lgkmcnt(0)
	v_mfma_f32_16x16x16_bf16 a[8:11], v[38:39], v[34:35], 0
	s_mul_i32 s39, s27, s29
	s_mul_hi_u32 s60, s27, s28
	s_add_i32 s39, s60, s39
	v_mfma_f32_16x16x16_bf16 a[12:15], v[38:39], v[36:37], 0
	ds_read2st64_b64 v[34:37], v105 offset0:4 offset1:8
	ds_read2st64_b64 v[38:41], v107 offset0:4 offset1:8
	s_mul_i32 s38, s38, s28
	s_waitcnt lgkmcnt(1)
	v_mfma_f32_16x16x16_bf16 a[0:3], v[54:55], v[34:35], a[0:3]
	s_add_i32 s39, s39, s38
	s_mul_i32 s38, s27, s28
	s_lshl_b64 s[38:39], s[38:39], 2
	s_waitcnt lgkmcnt(0)
	v_mfma_f32_16x16x16_bf16 a[4:7], v[54:55], v[38:39], a[4:7]
	s_add_u32 s38, s16, s38
	s_addc_u32 s39, s17, s39
	s_and_b64 vcc, exec, s[0:1]
	v_mfma_f32_16x16x16_bf16 a[8:11], v[54:55], v[42:43], a[8:11]
	ds_read_b64 v[34:35], v110 offset:49152
	ds_read_b64 v[38:39], v111 offset:49152
	;; [unrolled: 1-line block ×3, first 2 shown]
	v_mov_b32_e32 v133, 0
	v_mov_b32_e32 v132, 0
	v_mfma_f32_16x16x16_bf16 a[12:15], v[54:55], v[46:47], a[12:15]
	v_mov_b32_e32 v131, 0
	v_mov_b32_e32 v46, 0
	;; [unrolled: 1-line block ×3, first 2 shown]
	s_waitcnt lgkmcnt(2)
	v_mfma_f32_16x16x16_bf16 a[0:3], v[34:35], v[36:37], a[0:3]
	v_mov_b32_e32 v36, 0
	v_mov_b32_e32 v37, 0
	v_mfma_f32_16x16x16_bf16 a[16:19], v[34:35], v[40:41], a[4:7]
	v_mov_b32_e32 v40, 0
	v_mov_b32_e32 v41, 0
	;; [unrolled: 3-line block ×3, first 2 shown]
	v_mfma_f32_16x16x16_bf16 a[24:27], v[34:35], v[48:49], a[12:15]
	ds_read_b64 v[34:35], v108 offset:6144
	v_mov_b32_e32 v48, 0
	v_mov_b32_e32 v49, 0
	s_waitcnt lgkmcnt(2)
	v_mfma_f32_16x16x16_bf16 a[4:7], v[38:39], v[52:53], a[0:3]
	v_mfma_f32_16x16x16_bf16 a[8:11], v[38:39], v[50:51], a[16:19]
	s_waitcnt lgkmcnt(0)
	v_mfma_f32_16x16x16_bf16 a[12:15], v[38:39], v[34:35], a[20:23]
	v_mov_b32_e32 v34, 0
	v_mov_b32_e32 v35, 0
	v_mfma_f32_16x16x16_bf16 a[0:3], v[38:39], v[42:43], a[24:27]
	v_mov_b32_e32 v38, 0
	v_mov_b32_e32 v39, 0
	;; [unrolled: 1-line block ×4, first 2 shown]
	s_cbranch_vccnz .LBB180_12
; %bb.11:                               ;   in Loop: Header=BB180_6 Depth=1
	s_and_b32 s21, s21, 0xffff
	buffer_load_dwordx4 v[46:49], v84, s[20:23], 0 offen
	buffer_load_dwordx4 v[42:45], v84, s[20:23], s55 offen
	;; [unrolled: 1-line block ×4, first 2 shown]
	v_mov_b32_e32 v132, v86
	v_mov_b32_e32 v131, v87
.LBB180_12:                             ;   in Loop: Header=BB180_6 Depth=1
	ds_read_b64 v[134:135], v104 offset:57344
	ds_read2_b64 v[50:53], v112 offset1:16
	ds_read_b64 v[136:137], v106 offset:57344
	ds_read_b64 v[138:139], v110 offset:57344
	;; [unrolled: 1-line block ×3, first 2 shown]
	v_add_u32_e32 v142, s53, v80
	s_waitcnt lgkmcnt(3)
	v_mfma_f32_16x16x16_bf16 a[4:7], v[134:135], v[50:51], a[4:7]
	v_mfma_f32_16x16x16_bf16 a[8:11], v[134:135], v[52:53], a[8:11]
	ds_read2_b64 v[50:53], v112 offset0:32 offset1:48
	ds_read2st64_b64 v[54:57], v112 offset0:4 offset1:8
	ds_read2st64_b64 v[58:61], v113 offset0:4 offset1:8
	;; [unrolled: 1-line block ×3, first 2 shown]
	s_waitcnt lgkmcnt(3)
	v_mfma_f32_16x16x16_bf16 a[12:15], v[134:135], v[50:51], a[12:15]
	v_ashrrev_i32_e32 v50, 31, v142
	v_mfma_f32_16x16x16_bf16 a[0:3], v[134:135], v[52:53], a[0:3]
	v_mul_lo_u32 v52, v50, s28
	v_mul_lo_u32 v53, v142, s29
	v_mad_u64_u32 v[50:51], s[20:21], v142, s28, 0
	v_add3_u32 v51, v51, v53, v52
	v_add_u32_e32 v52, 1, v142
	v_ashrrev_i32_e32 v53, 31, v52
	s_waitcnt lgkmcnt(2)
	v_mfma_f32_16x16x16_bf16 a[4:7], v[136:137], v[54:55], a[4:7]
	v_mul_lo_u32 v54, v53, s28
	v_mul_lo_u32 v55, v52, s29
	v_mad_u64_u32 v[52:53], s[20:21], v52, s28, 0
	v_add3_u32 v53, v53, v55, v54
	v_add_u32_e32 v54, 2, v142
	v_ashrrev_i32_e32 v55, 31, v54
	s_waitcnt lgkmcnt(1)
	v_mfma_f32_16x16x16_bf16 a[8:11], v[136:137], v[58:59], a[8:11]
	v_mul_lo_u32 v58, v55, s28
	v_mul_lo_u32 v59, v54, s29
	v_mad_u64_u32 v[54:55], s[20:21], v54, s28, 0
	v_add3_u32 v55, v55, v59, v58
	v_add_u32_e32 v58, 3, v142
	v_ashrrev_i32_e32 v59, 31, v58
	v_mul_lo_u32 v134, v59, s28
	v_mul_lo_u32 v135, v58, s29
	v_mad_u64_u32 v[58:59], s[20:21], v58, s28, 0
	s_ashr_i32 s21, s53, 31
	s_add_u32 s20, s52, s53
	s_addc_u32 s21, s51, s21
	v_lshl_add_u64 v[50:51], v[50:51], 2, s[16:17]
	v_add3_u32 v59, v59, v135, v134
	s_lshl_b64 s[20:21], s[20:21], 8
	v_lshl_add_u64 v[52:53], v[52:53], 2, s[16:17]
	v_lshl_add_u64 v[54:55], v[54:55], 2, s[16:17]
	;; [unrolled: 1-line block ×3, first 2 shown]
	global_load_dword v134, v[50:51], off
	global_load_dword v135, v[52:53], off
	;; [unrolled: 1-line block ×4, first 2 shown]
	v_lshl_add_u64 v[50:51], v[70:71], 0, s[20:21]
	v_lshl_add_u64 v[54:55], v[50:51], 0, v[68:69]
	global_load_ushort v144, v[54:55], off offset:256
	global_load_ushort v145, v[54:55], off
	ds_read2st64_b64 v[50:53], v115 offset0:4 offset1:8
	global_load_ushort v146, v[54:55], off offset:768
	global_load_ushort v147, v[54:55], off offset:512
	s_waitcnt lgkmcnt(1)
	v_mfma_f32_16x16x16_bf16 a[12:15], v[136:137], v[62:63], a[12:15]
	s_and_b64 vcc, exec, s[0:1]
	s_waitcnt vmcnt(3)
	v_lshlrev_b32_e32 v63, 16, v144
	s_waitcnt lgkmcnt(0)
	v_mfma_f32_16x16x16_bf16 a[0:3], v[136:137], v[50:51], a[0:3]
	global_load_ushort v136, v[54:55], off offset:288
	global_load_ushort v137, v[54:55], off offset:32
	global_load_ushort v148, v[54:55], off offset:800
	global_load_ushort v149, v[54:55], off offset:544
	global_load_ushort v150, v[54:55], off offset:320
	global_load_ushort v151, v[54:55], off offset:64
	global_load_ushort v152, v[54:55], off offset:832
	global_load_ushort v153, v[54:55], off offset:576
	v_mfma_f32_16x16x16_bf16 a[4:7], v[138:139], v[56:57], a[4:7]
	ds_read_b64 v[50:51], v112 offset:6144
	s_waitcnt vmcnt(10)
	v_lshlrev_b32_e32 v62, 16, v145
	v_mfma_f32_16x16x16_bf16 a[8:11], v[138:139], v[60:61], a[8:11]
	v_mfma_f32_16x16x16_bf16 a[12:15], v[138:139], v[64:65], a[12:15]
	;; [unrolled: 1-line block ×3, first 2 shown]
	global_load_ushort v138, v[54:55], off offset:352
	global_load_ushort v139, v[54:55], off offset:96
	ds_read_b64 v[52:53], v113 offset:6144
	ds_read_b64 v[56:57], v114 offset:6144
	;; [unrolled: 1-line block ×3, first 2 shown]
	global_load_ushort v154, v[54:55], off offset:864
	global_load_ushort v155, v[54:55], off offset:608
	s_load_dword s20, s[38:39], 0x0
	s_waitcnt lgkmcnt(0)
	v_mfma_f32_16x16x16_bf16 a[4:7], v[140:141], v[50:51], a[4:7]
	v_sub_f32_e32 v60, s20, v142
	v_mfma_f32_16x16x16_bf16 a[0:3], v[140:141], v[58:59], a[0:3]
	v_sub_f32_e32 v58, s20, v134
	v_sub_f32_e32 v59, s20, v135
	;; [unrolled: 1-line block ×3, first 2 shown]
	v_mfma_f32_16x16x16_bf16 a[8:11], v[140:141], v[52:53], a[8:11]
	v_exp_f32_e32 v58, v58
	v_exp_f32_e32 v59, v59
	;; [unrolled: 1-line block ×4, first 2 shown]
	v_accvgpr_read_b32 v65, a5
	v_accvgpr_read_b32 v64, a4
	;; [unrolled: 1-line block ×4, first 2 shown]
	v_pk_add_f32 v[62:63], v[62:63], v[64:65] neg_lo:[0,1] neg_hi:[0,1]
	s_waitcnt vmcnt(13)
	v_lshlrev_b32_e32 v65, 16, v146
	s_waitcnt vmcnt(12)
	v_lshlrev_b32_e32 v64, 16, v147
	v_pk_add_f32 v[50:51], v[64:65], v[50:51] neg_lo:[0,1] neg_hi:[0,1]
	v_pk_mul_f32 v[62:63], v[58:59], v[62:63]
	v_pk_mul_f32 v[50:51], v[60:61], v[50:51]
	v_accvgpr_read_b32 v65, a9
	v_perm_b32 v51, v51, v50, s3
	v_perm_b32 v50, v63, v62, s3
	v_accvgpr_read_b32 v64, a8
	v_accvgpr_read_b32 v53, a11
	v_mfma_f32_16x16x16_bf16 a[12:15], v[140:141], v[56:57], a[12:15]
	v_accvgpr_read_b32 v52, a10
	v_accvgpr_read_b32 v57, a3
	;; [unrolled: 1-line block ×3, first 2 shown]
	v_mov_b32_e32 v134, 0
	s_waitcnt vmcnt(11)
	v_lshlrev_b32_e32 v63, 16, v136
	s_waitcnt vmcnt(10)
	v_lshlrev_b32_e32 v62, 16, v137
	v_pk_add_f32 v[62:63], v[62:63], v[64:65] neg_lo:[0,1] neg_hi:[0,1]
	s_waitcnt vmcnt(9)
	v_lshlrev_b32_e32 v65, 16, v148
	s_waitcnt vmcnt(8)
	v_lshlrev_b32_e32 v64, 16, v149
	v_pk_add_f32 v[52:53], v[64:65], v[52:53] neg_lo:[0,1] neg_hi:[0,1]
	v_pk_mul_f32 v[62:63], v[58:59], v[62:63]
	v_pk_mul_f32 v[52:53], v[60:61], v[52:53]
	v_accvgpr_read_b32 v55, a15
	v_perm_b32 v53, v53, v52, s3
	v_perm_b32 v52, v63, v62, s3
	ds_write2_b64 v89, v[50:51], v[52:53] offset1:16
	v_accvgpr_read_b32 v53, a13
	s_waitcnt vmcnt(7)
	v_lshlrev_b32_e32 v51, 16, v150
	s_waitcnt vmcnt(6)
	v_lshlrev_b32_e32 v50, 16, v151
	v_accvgpr_read_b32 v52, a12
	v_accvgpr_read_b32 v54, a14
	v_pk_add_f32 v[50:51], v[50:51], v[52:53] neg_lo:[0,1] neg_hi:[0,1]
	s_waitcnt vmcnt(5)
	v_lshlrev_b32_e32 v53, 16, v152
	s_waitcnt vmcnt(4)
	v_lshlrev_b32_e32 v52, 16, v153
	v_pk_add_f32 v[52:53], v[52:53], v[54:55] neg_lo:[0,1] neg_hi:[0,1]
	v_pk_mul_f32 v[50:51], v[58:59], v[50:51]
	v_pk_mul_f32 v[52:53], v[60:61], v[52:53]
	v_accvgpr_read_b32 v55, a1
	v_perm_b32 v53, v53, v52, s3
	v_perm_b32 v52, v51, v50, s3
	s_waitcnt vmcnt(3)
	v_lshlrev_b32_e32 v51, 16, v138
	s_waitcnt vmcnt(2)
	v_lshlrev_b32_e32 v50, 16, v139
	v_accvgpr_read_b32 v54, a0
	v_pk_add_f32 v[50:51], v[50:51], v[54:55] neg_lo:[0,1] neg_hi:[0,1]
	s_waitcnt vmcnt(1)
	v_lshlrev_b32_e32 v55, 16, v154
	s_waitcnt vmcnt(0)
	v_lshlrev_b32_e32 v54, 16, v155
	v_pk_add_f32 v[54:55], v[54:55], v[56:57] neg_lo:[0,1] neg_hi:[0,1]
	v_pk_mul_f32 v[50:51], v[58:59], v[50:51]
	v_pk_mul_f32 v[54:55], v[60:61], v[54:55]
	v_mov_b32_e32 v56, 0
	v_perm_b32 v55, v55, v54, s3
	v_perm_b32 v54, v51, v50, s3
	ds_write2_b64 v89, v[52:53], v[54:55] offset0:32 offset1:48
	v_mov_b32_e32 v50, 0
	v_mov_b32_e32 v51, 0
	;; [unrolled: 1-line block ×15, first 2 shown]
	s_cbranch_vccnz .LBB180_14
; %bb.13:                               ;   in Loop: Header=BB180_6 Depth=1
	s_and_b32 s25, s25, 0xffff
	s_mov_b32 s27, s23
	buffer_load_dwordx4 v[62:65], v126, s[24:27], 0 offen
	buffer_load_dwordx4 v[54:57], v126, s[24:27], s55 offen
	;; [unrolled: 1-line block ×4, first 2 shown]
	v_mov_b32_e32 v133, v83
	v_mov_b32_e32 v134, v82
.LBB180_14:                             ;   in Loop: Header=BB180_6 Depth=1
	s_waitcnt lgkmcnt(0)
	s_barrier
	ds_read_b64 v[144:145], v67
	ds_read2_b64 v[136:139], v119 offset1:16
	ds_read_b64 v[160:161], v128
	ds_read_b64 v[162:163], v129
	;; [unrolled: 1-line block ×3, first 2 shown]
	ds_read2_b64 v[140:143], v119 offset0:32 offset1:48
	s_waitcnt lgkmcnt(4)
	v_mfma_f32_16x16x16_bf16 a[0:3], v[144:145], v[136:137], 0
	ds_read2st64_b64 v[148:151], v121 offset0:4 offset1:8
	ds_read2st64_b64 v[152:155], v122 offset0:4 offset1:8
	;; [unrolled: 1-line block ×3, first 2 shown]
	v_mfma_f32_16x16x16_bf16 a[4:7], v[144:145], v[138:139], 0
	s_add_i32 s21, s50, s58
	s_mul_hi_i32 s25, s21, s13
	s_mul_i32 s21, s21, s13
	s_waitcnt lgkmcnt(3)
	v_mfma_f32_16x16x16_bf16 a[8:11], v[144:145], v[140:141], 0
	s_add_u32 s24, s21, s45
	s_addc_u32 s25, s25, s46
	s_lshl_b64 s[24:25], s[24:25], 15
	v_mfma_f32_16x16x16_bf16 a[12:15], v[144:145], v[142:143], 0
	ds_read2st64_b64 v[144:147], v119 offset0:4 offset1:8
	s_waitcnt lgkmcnt(0)
	v_mfma_f32_16x16x16_bf16 a[0:3], v[160:161], v[144:145], a[0:3]
	v_mfma_f32_16x16x16_bf16 a[4:7], v[160:161], v[148:149], a[4:7]
	;; [unrolled: 1-line block ×8, first 2 shown]
	ds_read_b64 v[160:161], v119 offset:6144
	ds_read_b64 v[162:163], v120 offset:40960
	;; [unrolled: 1-line block ×8, first 2 shown]
	s_waitcnt lgkmcnt(5)
	v_mfma_f32_16x16x16_bf16 a[16:19], v[166:167], v[136:137], 0
	v_mfma_f32_16x16x16_bf16 a[20:23], v[166:167], v[138:139], 0
	ds_read2st64_b64 v[136:139], v116 offset1:8
	v_mfma_f32_16x16x16_bf16 a[24:27], v[166:167], v[140:141], 0
	v_mfma_f32_16x16x16_bf16 a[28:31], v[166:167], v[142:143], 0
	ds_read2st64_b64 v[140:143], v117 offset1:8
	v_mfma_f32_16x16x16_bf16 a[16:19], v[162:163], v[144:145], a[16:19]
	s_waitcnt lgkmcnt(1)
	v_mov_b32_e32 v144, v136
	v_mov_b32_e32 v145, v137
	v_mfma_f32_16x16x16_bf16 a[20:23], v[162:163], v[148:149], a[20:23]
	v_lshl_add_u64 v[148:149], v[72:73], 0, s[24:25]
	v_mfma_f32_16x16x16_bf16 a[24:27], v[162:163], v[152:153], a[24:27]
	v_mfma_f32_16x16x16_bf16 a[28:31], v[162:163], v[156:157], a[28:31]
	;; [unrolled: 1-line block ×3, first 2 shown]
	s_waitcnt lgkmcnt(0)
	v_mov_b32_e32 v146, v140
	v_mov_b32_e32 v147, v141
	;; [unrolled: 1-line block ×3, first 2 shown]
	v_mfma_f32_16x16x16_bf16 a[32:35], v[174:175], v[150:151], a[20:23]
	v_mov_b32_e32 v141, v139
	ds_read2st64_b64 v[136:139], v116 offset0:16 offset1:24
	global_store_dwordx4 v[148:149], v[144:147], off
	v_mfma_f32_16x16x16_bf16 a[24:27], v[174:175], v[154:155], a[24:27]
	ds_read2st64_b64 v[144:147], v117 offset0:16 offset1:24
	v_add_co_u32_e32 v150, vcc, s35, v148
	v_mfma_f32_16x16x16_bf16 a[28:31], v[174:175], v[158:159], a[28:31]
	s_nop 0
	v_addc_co_u32_e32 v151, vcc, 0, v149, vcc
	global_store_dwordx4 v[150:151], v[140:143], off offset:-4096
	v_mfma_f32_16x16x16_bf16 a[0:3], v[164:165], v[160:161], a[0:3]
	s_waitcnt lgkmcnt(1)
	v_mov_b32_e32 v140, v136
	v_add_co_u32_e32 v136, vcc, s37, v148
	v_mfma_f32_16x16x16_bf16 a[4:7], v[164:165], v[168:169], a[4:7]
	v_mov_b32_e32 v141, v137
	v_addc_co_u32_e32 v137, vcc, 0, v149, vcc
	v_mfma_f32_16x16x16_bf16 a[8:11], v[164:165], v[170:171], a[8:11]
	s_waitcnt lgkmcnt(0)
	v_mov_b32_e32 v142, v144
	v_mov_b32_e32 v143, v145
	;; [unrolled: 1-line block ×3, first 2 shown]
	v_mfma_f32_16x16x16_bf16 a[12:15], v[164:165], v[172:173], a[12:15]
	v_mov_b32_e32 v145, v139
	s_and_b64 vcc, exec, s[0:1]
	global_store_dwordx4 v[150:151], v[140:143], off
	v_mfma_f32_16x16x16_bf16 a[20:23], v[176:177], v[160:161], a[16:19]
	global_store_dwordx4 v[136:137], v[144:147], off
	v_mfma_f32_16x16x16_bf16 a[16:19], v[176:177], v[168:169], a[32:35]
	v_mfma_f32_16x16x16_bf16 a[24:27], v[176:177], v[170:171], a[24:27]
	v_mfma_f32_16x16x16_bf16 a[28:31], v[176:177], v[172:173], a[28:31]
	s_cbranch_vccnz .LBB180_16
; %bb.15:                               ;   in Loop: Header=BB180_6 Depth=1
	v_lshrrev_b32_e32 v135, 3, v133
	v_and_b32_e32 v135, 6, v135
	v_xor_b32_e32 v134, v135, v134
	v_lshlrev_b32_e32 v134, 2, v134
	v_and_b32_e32 v133, 8, v133
	v_xor_b32_e32 v136, 0x440, v134
	v_cmp_eq_u32_e32 vcc, 0, v133
	s_barrier
	s_nop 0
	v_cndmask_b32_e32 v133, v136, v134, vcc
	v_lshl_or_b32 v133, v135, 10, v133
	s_waitcnt vmcnt(5)
	v_perm_b32 v134, v62, v58, s56
	s_waitcnt vmcnt(4)
	v_perm_b32 v135, v54, v50, s56
	ds_write2st64_b32 v133, v134, v135 offset0:128 offset1:160
	v_xor_b32_e32 v134, 8, v133
	v_perm_b32 v58, v62, v58, s57
	v_perm_b32 v50, v54, v50, s57
	v_add_u32_e32 v54, 0x80, v134
	ds_write2st64_b32 v54, v58, v50 offset0:128 offset1:160
	v_xor_b32_e32 v50, 16, v133
	v_perm_b32 v54, v63, v59, s56
	v_perm_b32 v58, v55, v51, s56
	ds_write2st64_b32 v50, v54, v58 offset0:129 offset1:161
	v_xor_b32_e32 v50, 24, v133
	v_perm_b32 v54, v63, v59, s57
	v_perm_b32 v51, v55, v51, s57
	v_add_u32_e32 v50, 0x80, v50
	ds_write2st64_b32 v50, v54, v51 offset0:129 offset1:161
	v_xor_b32_e32 v50, 32, v133
	v_perm_b32 v51, v64, v60, s56
	;; [unrolled: 9-line block ×3, first 2 shown]
	v_perm_b32 v52, v57, v53, s56
	ds_write2st64_b32 v50, v51, v52 offset0:131 offset1:163
	v_xor_b32_e32 v50, 56, v133
	v_perm_b32 v51, v65, v61, s57
	v_perm_b32 v52, v57, v53, s57
	v_add_u32_e32 v50, 0x80, v50
	ds_write2st64_b32 v50, v51, v52 offset0:131 offset1:163
	ds_write_b64 v132, v[46:47] offset:49152
	v_xor_b32_e32 v46, 8, v132
	ds_write_b64 v46, v[48:49] offset:49152
	ds_write_b64 v132, v[42:43] offset:57344
	;; [unrolled: 1-line block ×4, first 2 shown]
	v_xor_b32_e32 v38, 8, v131
	ds_write_b64 v38, v[40:41] offset:49152
	ds_write_b64 v131, v[34:35] offset:57344
	;; [unrolled: 1-line block ×3, first 2 shown]
.LBB180_16:                             ;   in Loop: Header=BB180_6 Depth=1
	v_exp_f32_e32 v132, s20
	v_accvgpr_read_b32 v37, a3
	v_accvgpr_read_b32 v41, a7
	;; [unrolled: 1-line block ×4, first 2 shown]
	s_waitcnt vmcnt(4)
	v_accvgpr_read_b32 v53, a23
	v_accvgpr_read_b32 v57, a19
	;; [unrolled: 1-line block ×28, first 2 shown]
	s_add_i32 s53, s53, 64
	v_pk_fma_f32 v[22:23], v[22:23], v[132:133], v[34:35] op_sel_hi:[1,0,1]
	v_pk_fma_f32 v[24:25], v[24:25], v[132:133], v[36:37] op_sel_hi:[1,0,1]
	;; [unrolled: 1-line block ×15, first 2 shown]
	s_cmp_eq_u32 s47, s59
	v_pk_fma_f32 v[12:13], v[12:13], v[132:133], v[64:65] op_sel_hi:[1,0,1]
	s_cbranch_scc1 .LBB180_18
; %bb.17:                               ;   in Loop: Header=BB180_6 Depth=1
	s_mov_b32 s58, s59
	s_branch .LBB180_6
.LBB180_18:
	s_lshl_b32 s26, s47, 6
	s_sub_i32 s27, s48, s26
	s_cmp_gt_i32 s27, 0
	s_cbranch_scc0 .LBB180_99
; %bb.19:
	s_add_i32 s26, s26, s30
	s_ashr_i32 s3, s26, 31
	s_cmpk_lg_i32 s15, 0x80
	s_cselect_b64 s[22:23], -1, 0
	s_and_b64 vcc, exec, s[22:23]
	s_cbranch_vccz .LBB180_21
; %bb.20:
	s_mul_hi_i32 s0, s26, s14
	s_mul_i32 s1, s26, s14
	s_ashr_i32 s14, s49, 31
	s_add_u32 s24, s1, s49
	s_addc_u32 s25, s0, s14
	s_cbranch_execz .LBB180_22
	s_branch .LBB180_23
.LBB180_21:
                                        ; implicit-def: $sgpr24_sgpr25
.LBB180_22:
	s_mul_i32 s1, s49, s12
	s_mul_hi_i32 s0, s49, s12
	s_add_u32 s24, s1, s26
	s_addc_u32 s25, s0, s3
.LBB180_23:
	s_waitcnt lgkmcnt(0)
	s_add_i32 s12, s47, s50
	s_add_u32 s0, s52, s26
	s_addc_u32 s1, s51, s3
	v_lshlrev_b32_e32 v35, 6, v80
	v_lshlrev_b32_e32 v34, 2, v77
	s_mov_b32 s3, 0x7060302
	s_waitcnt vmcnt(7)
	v_perm_b32 v25, v25, v24, s3
	v_perm_b32 v24, v23, v22, s3
	s_waitcnt vmcnt(6)
	v_perm_b32 v22, v31, v30, s3
	v_or_b32_e32 v30, v35, v34
	v_xor_b32_e32 v36, v80, v34
	v_perm_b32 v23, v33, v32, s3
	v_lshlrev_b32_e32 v30, 1, v30
	ds_write2st64_b64 v30, v[24:25], v[22:23] offset0:32 offset1:48
	v_lshlrev_b32_e32 v30, 1, v36
	v_lshlrev_b32_e32 v31, 8, v77
	v_xor_b32_e32 v37, v81, v34
	v_or_b32_e32 v32, v30, v31
	ds_write_b64 v32, v[24:25]
	v_lshlrev_b32_e32 v24, 1, v37
	v_or_b32_e32 v25, v24, v31
	ds_write_b64 v25, v[22:23]
	v_or_b32_e32 v22, 16, v77
	v_lshlrev_b32_e32 v23, 2, v22
	v_or_b32_e32 v25, v35, v23
	s_waitcnt vmcnt(5)
	v_perm_b32 v17, v17, v16, s3
	v_perm_b32 v16, v15, v14, s3
	s_waitcnt vmcnt(4)
	v_perm_b32 v15, v29, v28, s3
	v_perm_b32 v14, v27, v26, s3
	v_lshlrev_b32_e32 v25, 1, v25
	v_lshlrev_b32_e32 v22, 8, v22
	ds_write2st64_b64 v25, v[16:17], v[14:15] offset0:32 offset1:48
	v_or_b32_e32 v25, v30, v22
	ds_write_b64 v25, v[16:17]
	v_or_b32_e32 v16, v24, v22
	ds_write_b64 v16, v[14:15]
	v_or_b32_e32 v14, 32, v77
	v_lshlrev_b32_e32 v22, 2, v14
	v_or_b32_e32 v15, v35, v22
	s_waitcnt vmcnt(3)
	v_perm_b32 v9, v9, v8, s3
	v_perm_b32 v8, v7, v6, s3
	s_waitcnt vmcnt(2)
	v_perm_b32 v7, v21, v20, s3
	v_perm_b32 v6, v19, v18, s3
	v_lshlrev_b32_e32 v15, 1, v15
	v_lshlrev_b32_e32 v14, 8, v14
	s_lshl_b64 s[20:21], s[0:1], 8
	ds_write2st64_b64 v15, v[8:9], v[6:7] offset0:32 offset1:48
	v_or_b32_e32 v15, v30, v14
	s_add_u32 s0, s6, s20
	ds_write_b64 v15, v[8:9]
	v_or_b32_e32 v8, v24, v14
	s_addc_u32 s1, s7, s21
	ds_write_b64 v8, v[6:7]
	s_waitcnt vmcnt(1)
	v_perm_b32 v5, v5, v4, s3
	v_perm_b32 v4, v3, v2, s3
	s_waitcnt vmcnt(0)
	v_perm_b32 v3, v13, v12, s3
	v_perm_b32 v2, v11, v10, s3
	v_or_b32_e32 v6, 48, v77
	s_mul_hi_i32 s3, s12, s13
	s_mul_i32 s12, s12, s13
	v_lshlrev_b32_e32 v19, 2, v6
	s_add_u32 s6, s12, s45
	v_or_b32_e32 v7, v35, v19
	s_addc_u32 s7, s3, s46
	v_lshlrev_b32_e32 v7, 1, v7
	v_lshlrev_b32_e32 v6, 8, v6
	s_ashr_i32 s3, s2, 31
	s_lshl_b64 s[6:7], s[6:7], 15
	ds_write2st64_b64 v7, v[4:5], v[2:3] offset0:32 offset1:48
	v_or_b32_e32 v7, v30, v6
	s_add_u32 s6, s18, s6
	ds_write_b64 v7, v[4:5]
	v_or_b32_e32 v4, v24, v6
	s_addc_u32 s7, s19, s7
	s_lshl_b64 s[2:3], s[2:3], 8
	ds_write_b64 v4, v[2:3]
	s_add_u32 s2, s6, s2
	v_lshlrev_b32_e32 v3, 1, v77
	v_lshrrev_b32_e32 v2, 4, v0
	s_addc_u32 s3, s7, s3
	v_or_b32_e32 v4, 1, v3
	v_lshlrev_b32_e32 v10, 4, v77
	v_mov_b32_e32 v11, 0
	v_xor_b32_e32 v3, v2, v3
	v_xor_b32_e32 v6, v4, v2
	v_lshl_add_u64 v[12:13], s[2:3], 0, v[10:11]
	v_lshlrev_b32_e32 v10, 8, v2
	v_lshl_or_b32 v16, v3, 3, v10
	v_lshl_or_b32 v17, v6, 3, v10
	s_waitcnt lgkmcnt(0)
	s_barrier
	ds_read2st64_b64 v[2:5], v16 offset1:8
	ds_read2st64_b64 v[6:9], v17 offset1:8
	v_lshl_add_u64 v[14:15], v[12:13], 0, v[10:11]
	s_movk_i32 s2, 0x2000
	s_cmp_lg_u32 s27, 64
	s_waitcnt lgkmcnt(1)
	v_mov_b32_e32 v10, v2
	v_mov_b32_e32 v11, v3
	s_waitcnt lgkmcnt(0)
	v_mov_b32_e32 v12, v6
	v_mov_b32_e32 v13, v7
	global_store_dwordx4 v[14:15], v[10:13], off
	v_mov_b32_e32 v6, v4
	v_mov_b32_e32 v7, v5
	ds_read2st64_b64 v[2:5], v16 offset0:16 offset1:24
	ds_read2st64_b64 v[10:13], v17 offset0:16 offset1:24
	v_add_co_u32_e32 v16, vcc, s2, v14
	s_cselect_b64 s[6:7], -1, 0
	s_nop 0
	v_addc_co_u32_e32 v17, vcc, 0, v15, vcc
	global_store_dwordx4 v[16:17], v[6:9], off offset:-4096
	v_lshl_or_b32 v24, v75, 3, v79
	s_mov_b32 s16, 0
	s_waitcnt lgkmcnt(1)
	v_mov_b32_e32 v6, v2
	v_add_co_u32_e32 v2, vcc, 0x3000, v14
	v_mov_b32_e32 v7, v3
	s_nop 0
	v_addc_co_u32_e32 v3, vcc, 0, v15, vcc
	s_waitcnt lgkmcnt(0)
	v_mov_b32_e32 v8, v10
	v_mov_b32_e32 v9, v11
	;; [unrolled: 1-line block ×4, first 2 shown]
	v_or_b32_e32 v20, 32, v24
	v_and_b32_e32 v18, 56, v78
	s_and_b64 vcc, exec, s[6:7]
	global_store_dwordx4 v[16:17], v[6:9], off
	global_store_dwordx4 v[2:3], v[10:13], off
	s_cbranch_vccz .LBB180_29
; %bb.24:
	s_mov_b32 s17, s16
	s_mov_b32 s18, s16
	;; [unrolled: 1-line block ×3, first 2 shown]
	v_mov_b64_e32 v[6:7], s[16:17]
	v_mov_b64_e32 v[8:9], s[18:19]
	;; [unrolled: 1-line block ×3, first 2 shown]
	v_cmp_gt_i32_e32 vcc, s27, v24
	v_mov_b64_e32 v[4:5], v[8:9]
	s_and_saveexec_b64 s[2:3], vcc
	s_cbranch_execz .LBB180_26
; %bb.25:
	v_lshlrev_b32_e32 v2, 8, v24
	v_mov_b32_e32 v3, 0
	v_lshl_add_u64 v[4:5], s[0:1], 0, v[2:3]
	v_lshlrev_b32_e32 v2, 1, v18
	v_lshl_add_u64 v[10:11], v[4:5], 0, v[2:3]
	global_load_dwordx4 v[6:9], v[10:11], off
	global_load_dwordx4 v[2:5], v[10:11], off offset:128
.LBB180_26:
	s_or_b64 exec, exec, s[2:3]
	s_mov_b32 s17, s16
	s_mov_b32 s18, s16
	;; [unrolled: 1-line block ×3, first 2 shown]
	v_mov_b64_e32 v[14:15], s[16:17]
	v_mov_b64_e32 v[16:17], s[18:19]
	;; [unrolled: 1-line block ×3, first 2 shown]
	v_cmp_gt_i32_e32 vcc, s27, v20
	v_lshlrev_b32_e32 v21, 7, v20
	v_mov_b64_e32 v[12:13], v[16:17]
	s_and_saveexec_b64 s[2:3], vcc
	s_cbranch_execz .LBB180_28
; %bb.27:
	v_lshlrev_b32_e32 v10, 1, v21
	v_mov_b32_e32 v11, 0
	v_lshl_add_u64 v[12:13], s[0:1], 0, v[10:11]
	v_lshlrev_b32_e32 v10, 1, v18
	v_lshl_add_u64 v[26:27], v[12:13], 0, v[10:11]
	global_load_dwordx4 v[14:17], v[26:27], off
	global_load_dwordx4 v[10:13], v[26:27], off offset:128
.LBB180_28:
	s_or_b64 exec, exec, s[2:3]
	v_lshrrev_b32_e32 v25, 3, v18
	v_lshlrev_b32_e32 v26, 3, v24
	v_or_b32_e32 v25, v26, v25
	v_lshlrev_b32_e32 v25, 4, v25
	v_and_b32_e32 v26, 0x78, v26
	v_xor_b32_e32 v25, v25, v26
	s_branch .LBB180_31
.LBB180_29:
                                        ; implicit-def: $vgpr25
                                        ; implicit-def: $vgpr21
                                        ; implicit-def: $vgpr6_vgpr7_vgpr8_vgpr9
                                        ; implicit-def: $vgpr2_vgpr3_vgpr4_vgpr5
                                        ; implicit-def: $vgpr14_vgpr15_vgpr16_vgpr17
                                        ; implicit-def: $vgpr10_vgpr11_vgpr12_vgpr13
	s_cbranch_execz .LBB180_31
; %bb.30:
	s_waitcnt vmcnt(0)
	v_lshlrev_b32_e32 v2, 1, v18
	v_lshl_or_b32 v21, v24, 8, v2
	s_and_b32 s1, s1, 0xffff
	s_mov_b32 s3, 0x20000
	s_movk_i32 s2, 0x4000
	v_lshl_or_b32 v25, v20, 8, v2
	s_movk_i32 s12, 0x80
	buffer_load_dwordx4 v[6:9], v21, s[0:3], 0 offen
	buffer_load_dwordx4 v[2:5], v21, s[0:3], s12 offen
	;; [unrolled: 1-line block ×4, first 2 shown]
	v_lshrrev_b32_e32 v21, 3, v18
	v_lshlrev_b32_e32 v25, 3, v24
	v_or_b32_e32 v21, v25, v21
	v_lshlrev_b32_e32 v21, 4, v21
	v_and_b32_e32 v25, 0x78, v25
	v_xor_b32_e32 v25, v21, v25
	v_lshlrev_b32_e32 v21, 7, v20
.LBB180_31:
	s_movk_i32 s0, 0x1000
	v_and_or_b32 v20, v21, s0, v25
	s_waitcnt vmcnt(1)
	ds_write_b64 v25, v[6:7] offset:49152
	v_xor_b32_e32 v6, 8, v25
	ds_write_b64 v6, v[8:9] offset:49152
	s_waitcnt vmcnt(0)
	ds_write_b64 v25, v[2:3] offset:57344
	ds_write_b64 v6, v[4:5] offset:57344
	;; [unrolled: 1-line block ×3, first 2 shown]
	v_xor_b32_e32 v2, 8, v20
	ds_write_b64 v2, v[16:17] offset:49152
	ds_write_b64 v20, v[10:11] offset:57344
	;; [unrolled: 1-line block ×3, first 2 shown]
	v_or_b32_e32 v2, v1, v77
	v_lshlrev_b32_e32 v3, 11, v75
	v_lshlrev_b32_e32 v2, 3, v2
	v_and_b32_e32 v6, 0x1000, v3
	v_lshrrev_b32_e32 v3, 5, v74
	s_movk_i32 s0, 0xf8
	v_and_or_b32 v3, v2, s0, v3
	v_lshlrev_b32_e32 v7, 4, v3
	v_and_b32_e32 v8, 0x78, v2
	v_or_b32_e32 v10, 32, v7
	v_lshrrev_b32_e32 v3, 1, v74
	v_xor_b32_e32 v10, v10, v8
	v_xor_b32_e32 v2, v7, v8
	v_and_b32_e32 v9, 8, v3
	v_or_b32_e32 v10, v10, v6
	v_or_b32_e32 v2, v2, v6
	v_xor_b32_e32 v27, v10, v9
	v_or_b32_e32 v10, 64, v7
	v_xor_b32_e32 v26, v2, v9
	v_xor_b32_e32 v10, v10, v8
	s_waitcnt lgkmcnt(0)
	s_barrier
	v_or_b32_e32 v13, v10, v6
	ds_read_b64 v[10:11], v26 offset:49152
	v_lshl_or_b32 v14, v76, 8, v34
	v_lshlrev_b32_e32 v25, 1, v14
	v_add_u32_e32 v12, 0x4000, v25
	ds_read2_b64 v[2:5], v12 offset1:16
	v_or_b32_e32 v7, 0x60, v7
	v_xor_b32_e32 v7, v7, v8
	v_or_b32_e32 v6, v7, v6
	v_xor_b32_e32 v28, v13, v9
	v_xor_b32_e32 v29, v6, v9
	ds_read_b64 v[20:21], v27 offset:49152
	ds_read_b64 v[36:37], v28 offset:49152
	;; [unrolled: 1-line block ×3, first 2 shown]
	s_waitcnt lgkmcnt(3)
	v_mfma_f32_16x16x16_bf16 a[0:3], v[10:11], v[2:3], 0
	ds_read2st64_b64 v[6:9], v25 offset0:36 offset1:40
	s_lshl_b64 s[0:1], s[24:25], 8
	s_add_u32 s4, s4, s0
	v_mfma_f32_16x16x16_bf16 a[4:7], v[10:11], v[4:5], 0
	ds_read2_b64 v[2:5], v12 offset0:32 offset1:48
	s_addc_u32 s5, s5, s1
	s_add_i32 s1, s41, s33
	s_waitcnt lgkmcnt(0)
	v_mfma_f32_16x16x16_bf16 a[8:11], v[10:11], v[2:3], 0
	v_or_b32_e32 v2, 64, v14
	v_lshlrev_b32_e32 v30, 1, v2
	s_add_i32 s0, s31, -1
	v_mfma_f32_16x16x16_bf16 a[12:15], v[10:11], v[4:5], 0
	ds_read2st64_b64 v[2:5], v30 offset0:36 offset1:40
	s_add_i32 s37, s1, s40
	s_add_i32 s1, s43, s42
	v_mfma_f32_16x16x16_bf16 a[0:3], v[20:21], v[6:7], a[0:3]
	v_or_b32_e32 v6, 0x80, v14
	v_lshlrev_b32_e32 v31, 1, v6
	ds_read2st64_b64 v[10:13], v31 offset0:36 offset1:40
	s_waitcnt lgkmcnt(1)
	v_mfma_f32_16x16x16_bf16 a[4:7], v[20:21], v[2:3], a[4:7]
	v_or_b32_e32 v2, 0xc0, v14
	v_lshlrev_b32_e32 v32, 1, v2
	ds_read2st64_b64 v[14:17], v32 offset0:36 offset1:40
	s_add_i32 s35, s1, s44
	s_ashr_i32 s1, s0, 31
	s_mul_i32 s2, s0, s29
	s_mul_hi_u32 s3, s0, s28
	s_add_i32 s2, s3, s2
	s_mul_i32 s1, s1, s28
	s_waitcnt lgkmcnt(1)
	v_mfma_f32_16x16x16_bf16 a[8:11], v[20:21], v[10:11], a[8:11]
	s_add_i32 s1, s2, s1
	s_lshl_b64 s[2:3], s[36:37], 2
	s_add_u32 s10, s10, s2
	s_waitcnt lgkmcnt(0)
	v_mfma_f32_16x16x16_bf16 a[12:15], v[20:21], v[14:15], a[12:15]
	s_addc_u32 s11, s11, s3
	s_lshl_b64 s[2:3], s[34:35], 2
	s_mul_i32 s0, s0, s28
	v_mfma_f32_16x16x16_bf16 a[0:3], v[36:37], v[8:9], a[0:3]
	ds_read_b64 v[2:3], v25 offset:22528
	s_add_u32 s10, s10, s2
	s_addc_u32 s11, s11, s3
	v_mfma_f32_16x16x16_bf16 a[4:7], v[36:37], v[4:5], a[4:7]
	ds_read_b64 v[4:5], v30 offset:22528
	ds_read_b64 v[6:7], v31 offset:22528
	;; [unrolled: 1-line block ×3, first 2 shown]
	s_lshl_b64 s[0:1], s[0:1], 2
	s_add_u32 s0, s10, s0
	v_mfma_f32_16x16x16_bf16 a[8:11], v[36:37], v[12:13], a[8:11]
	s_addc_u32 s1, s11, s1
	s_load_dword s12, s[0:1], 0x0
	s_and_b64 vcc, exec, s[22:23]
	v_mfma_f32_16x16x16_bf16 a[12:15], v[36:37], v[16:17], a[12:15]
	s_waitcnt lgkmcnt(0)
	v_mfma_f32_16x16x16_bf16 a[0:3], v[38:39], v[2:3], a[0:3]
	v_mfma_f32_16x16x16_bf16 a[4:7], v[38:39], v[4:5], a[4:7]
	;; [unrolled: 1-line block ×4, first 2 shown]
	s_cbranch_vccz .LBB180_42
; %bb.32:
	v_lshlrev_b32_e32 v20, 1, v24
	s_and_b64 vcc, exec, s[6:7]
	s_cbranch_vccz .LBB180_43
; %bb.33:
	v_cmp_gt_i32_e32 vcc, s27, v20
	v_mov_b32_e32 v6, 0
	v_mov_b32_e32 v2, 0
	;; [unrolled: 1-line block ×5, first 2 shown]
	s_and_saveexec_b64 s[0:1], vcc
	s_cbranch_execz .LBB180_35
; %bb.34:
	v_mad_i64_i32 v[2:3], s[2:3], s15, v20, 0
	v_lshl_add_u64 v[2:3], v[2:3], 1, s[4:5]
	v_lshlrev_b32_e32 v4, 1, v18
	v_mov_b32_e32 v5, 0
	v_lshl_add_u64 v[2:3], v[2:3], 0, v[4:5]
	global_load_dwordx4 v[2:5], v[2:3], off
.LBB180_35:
	s_or_b64 exec, exec, s[0:1]
	v_or_b32_e32 v21, 1, v20
	v_cmp_gt_i32_e64 s[0:1], s27, v21
	v_mov_b32_e32 v7, 0
	v_mov_b32_e32 v8, 0
	;; [unrolled: 1-line block ×3, first 2 shown]
	s_and_saveexec_b64 s[2:3], s[0:1]
	s_cbranch_execz .LBB180_37
; %bb.36:
	v_mad_i64_i32 v[6:7], s[16:17], s15, v21, 0
	v_lshl_add_u64 v[6:7], v[6:7], 1, s[4:5]
	v_lshlrev_b32_e32 v8, 1, v18
	v_mov_b32_e32 v9, 0
	v_lshl_add_u64 v[6:7], v[6:7], 0, v[8:9]
	global_load_dwordx4 v[6:9], v[6:7], off
.LBB180_37:
	s_or_b64 exec, exec, s[2:3]
	v_mov_b32_e32 v17, 0
	v_mov_b32_e32 v10, 0
	;; [unrolled: 1-line block ×5, first 2 shown]
	s_and_saveexec_b64 s[2:3], vcc
	s_cbranch_execz .LBB180_39
; %bb.38:
	v_mad_i64_i32 v[10:11], s[16:17], s15, v20, 0
	v_lshl_add_u64 v[10:11], v[10:11], 1, s[4:5]
	v_lshlrev_b32_e32 v12, 1, v18
	v_mov_b32_e32 v13, 0
	v_lshl_add_u64 v[10:11], v[10:11], 0, v[12:13]
	global_load_dwordx4 v[10:13], v[10:11], off offset:128
.LBB180_39:
	s_or_b64 exec, exec, s[2:3]
	v_mov_b32_e32 v16, 0
	v_mov_b32_e32 v15, 0
	;; [unrolled: 1-line block ×3, first 2 shown]
	s_and_saveexec_b64 s[2:3], s[0:1]
	s_cbranch_execz .LBB180_41
; %bb.40:
	v_mad_i64_i32 v[14:15], s[0:1], s15, v21, 0
	v_lshl_add_u64 v[14:15], v[14:15], 1, s[4:5]
	v_lshlrev_b32_e32 v16, 1, v18
	v_mov_b32_e32 v17, 0
	v_lshl_add_u64 v[14:15], v[14:15], 0, v[16:17]
	global_load_dwordx4 v[14:17], v[14:15], off offset:128
.LBB180_41:
	s_or_b64 exec, exec, s[2:3]
	s_branch .LBB180_45
.LBB180_42:
                                        ; implicit-def: $vgpr5
                                        ; implicit-def: $vgpr9
                                        ; implicit-def: $vgpr13
                                        ; implicit-def: $vgpr17
	v_lshrrev_b32_e32 v33, 2, v74
	s_branch .LBB180_46
.LBB180_43:
                                        ; implicit-def: $vgpr5
                                        ; implicit-def: $vgpr9
                                        ; implicit-def: $vgpr13
                                        ; implicit-def: $vgpr17
	s_cbranch_execz .LBB180_45
; %bb.44:
	s_waitcnt vmcnt(0)
	v_mad_u64_u32 v[2:3], s[0:1], v20, s15, v[18:19]
	v_lshlrev_b32_e32 v20, 1, v2
	s_lshl_b32 s2, s15, 7
	s_and_b32 s1, s5, 0xffff
	s_mov_b32 s3, 0x20000
	s_mov_b32 s0, s4
	v_add_lshl_u32 v21, v2, s15, 1
	s_movk_i32 s13, 0x80
	buffer_load_dwordx4 v[2:5], v20, s[0:3], 0 offen
	buffer_load_dwordx4 v[10:13], v20, s[0:3], s13 offen
	;; [unrolled: 1-line block ×4, first 2 shown]
.LBB180_45:
	v_lshrrev_b32_e32 v33, 2, v74
	s_cbranch_execnz .LBB180_58
.LBB180_46:
	s_and_b64 vcc, exec, s[6:7]
	s_cbranch_vccz .LBB180_56
; %bb.47:
	s_waitcnt vmcnt(0)
	v_lshlrev_b32_e32 v7, 1, v24
	v_cmp_gt_i32_e32 vcc, s27, v7
	v_mov_b32_e32 v6, 0
	v_lshlrev_b32_e32 v14, 9, v24
	v_mov_b32_e32 v2, 0
	v_mov_b32_e32 v3, 0
	;; [unrolled: 1-line block ×4, first 2 shown]
	s_and_saveexec_b64 s[0:1], vcc
	s_cbranch_execz .LBB180_49
; %bb.48:
	v_mov_b32_e32 v15, 0
	v_lshl_add_u64 v[2:3], s[4:5], 0, v[14:15]
	v_lshlrev_b32_e32 v4, 1, v18
	v_mov_b32_e32 v5, v15
	v_lshl_add_u64 v[2:3], v[2:3], 0, v[4:5]
	global_load_dwordx4 v[2:5], v[2:3], off
.LBB180_49:
	s_or_b64 exec, exec, s[0:1]
	v_or_b32_e32 v7, 1, v7
	v_cmp_gt_i32_e64 s[0:1], s27, v7
	v_lshlrev_b32_e32 v20, 8, v7
	v_mov_b32_e32 v7, 0
	v_mov_b32_e32 v8, 0
	;; [unrolled: 1-line block ×3, first 2 shown]
	s_and_saveexec_b64 s[2:3], s[0:1]
	s_cbranch_execz .LBB180_51
; %bb.50:
	v_mov_b32_e32 v21, 0
	v_lshl_add_u64 v[6:7], s[4:5], 0, v[20:21]
	v_lshlrev_b32_e32 v8, 1, v18
	v_mov_b32_e32 v9, v21
	v_lshl_add_u64 v[6:7], v[6:7], 0, v[8:9]
	global_load_dwordx4 v[6:9], v[6:7], off
.LBB180_51:
	s_or_b64 exec, exec, s[2:3]
	v_mov_b32_e32 v17, 0
	v_mov_b32_e32 v10, 0
	v_mov_b32_e32 v11, 0
	v_mov_b32_e32 v12, 0
	v_mov_b32_e32 v13, 0
	s_and_saveexec_b64 s[2:3], vcc
	s_cbranch_execz .LBB180_53
; %bb.52:
	v_mov_b32_e32 v15, 0
	v_lshl_add_u64 v[10:11], s[4:5], 0, v[14:15]
	v_lshlrev_b32_e32 v14, 1, v18
	v_lshl_add_u64 v[10:11], v[10:11], 0, v[14:15]
	global_load_dwordx4 v[10:13], v[10:11], off offset:128
.LBB180_53:
	s_or_b64 exec, exec, s[2:3]
	v_mov_b32_e32 v16, 0
	v_mov_b32_e32 v15, 0
	;; [unrolled: 1-line block ×3, first 2 shown]
	s_and_saveexec_b64 s[2:3], s[0:1]
	s_cbranch_execz .LBB180_55
; %bb.54:
	v_mov_b32_e32 v21, 0
	v_lshl_add_u64 v[14:15], s[4:5], 0, v[20:21]
	v_lshlrev_b32_e32 v20, 1, v18
	v_lshl_add_u64 v[14:15], v[14:15], 0, v[20:21]
	global_load_dwordx4 v[14:17], v[14:15], off offset:128
.LBB180_55:
	s_or_b64 exec, exec, s[2:3]
	s_branch .LBB180_58
.LBB180_56:
                                        ; implicit-def: $vgpr5
                                        ; implicit-def: $vgpr9
                                        ; implicit-def: $vgpr13
                                        ; implicit-def: $vgpr17
	s_cbranch_execz .LBB180_58
; %bb.57:
	s_waitcnt vmcnt(0)
	v_lshlrev_b32_e32 v2, 1, v18
	v_lshl_or_b32 v18, v24, 9, v2
	s_and_b32 s5, s5, 0xffff
	s_mov_b32 s7, 0x20000
	s_movk_i32 s6, 0x4000
	s_movk_i32 s0, 0x80
	buffer_load_dwordx4 v[2:5], v18, s[4:7], 0 offen
	buffer_load_dwordx4 v[6:9], v18, s[4:7], 0 offen offset:256
	buffer_load_dwordx4 v[10:13], v18, s[4:7], s0 offen
	buffer_load_dwordx4 v[14:17], v18, s[4:7], s0 offen offset:256
.LBB180_58:
	ds_read_b64 v[20:21], v26 offset:57344
	v_add_u32_e32 v18, 0x6000, v25
	ds_read2_b64 v[36:39], v18 offset1:16
	ds_read_b64 v[48:49], v27 offset:57344
	ds_read_b64 v[50:51], v28 offset:57344
	;; [unrolled: 1-line block ×3, first 2 shown]
	ds_read2_b64 v[26:29], v18 offset0:32 offset1:48
	v_and_b32_e32 v18, 6, v0
	v_xor_b32_e32 v24, v24, v18
	v_lshlrev_b32_e32 v24, 2, v24
	v_and_b32_e32 v0, 1, v0
	v_cmp_eq_u32_e32 vcc, 0, v0
	s_waitcnt lgkmcnt(4)
	v_mfma_f32_16x16x16_bf16 a[0:3], v[20:21], v[36:37], a[0:3]
	s_mov_b32 s0, 0x1000504
	s_mov_b32 s1, 0x3020706
	v_mfma_f32_16x16x16_bf16 a[4:7], v[20:21], v[38:39], a[4:7]
	ds_read2st64_b64 v[36:39], v25 offset0:52 offset1:56
	s_waitcnt lgkmcnt(1)
	v_mfma_f32_16x16x16_bf16 a[8:11], v[20:21], v[26:27], a[8:11]
	v_mfma_f32_16x16x16_bf16 a[12:15], v[20:21], v[28:29], a[12:15]
	ds_read2st64_b64 v[26:29], v30 offset0:52 offset1:56
	ds_read2st64_b64 v[40:43], v31 offset0:52 offset1:56
	ds_read2st64_b64 v[44:47], v32 offset0:52 offset1:56
	s_waitcnt lgkmcnt(3)
	v_mfma_f32_16x16x16_bf16 a[0:3], v[48:49], v[36:37], a[0:3]
	ds_read_b64 v[20:21], v25 offset:30720
	ds_read_b64 v[36:37], v30 offset:30720
	;; [unrolled: 1-line block ×4, first 2 shown]
	v_xor_b32_e32 v25, 0x440, v24
	v_cndmask_b32_e32 v0, v25, v24, vcc
	s_waitcnt lgkmcnt(6)
	v_mfma_f32_16x16x16_bf16 a[4:7], v[48:49], v[26:27], a[4:7]
	v_lshl_or_b32 v0, v18, 10, v0
	s_waitcnt vmcnt(0)
	v_perm_b32 v18, v2, v6, s0
	v_perm_b32 v24, v10, v14, s0
	s_waitcnt lgkmcnt(5)
	v_mfma_f32_16x16x16_bf16 a[8:11], v[48:49], v[40:41], a[8:11]
	ds_write2st64_b32 v0, v18, v24 offset0:128 offset1:160
	v_xor_b32_e32 v18, 8, v0
	v_perm_b32 v2, v2, v6, s1
	s_waitcnt lgkmcnt(5)
	v_mfma_f32_16x16x16_bf16 a[12:15], v[48:49], v[44:45], a[12:15]
	v_perm_b32 v6, v10, v14, s1
	v_add_u32_e32 v10, 0x80, v18
	ds_write2st64_b32 v10, v2, v6 offset0:128 offset1:160
	v_mfma_f32_16x16x16_bf16 a[0:3], v[50:51], v[38:39], a[0:3]
	v_xor_b32_e32 v2, 16, v0
	v_perm_b32 v6, v3, v7, s0
	v_perm_b32 v10, v11, v15, s0
	v_mfma_f32_16x16x16_bf16 a[4:7], v[50:51], v[28:29], a[4:7]
	ds_write2st64_b32 v2, v6, v10 offset0:129 offset1:161
	v_xor_b32_e32 v2, 24, v0
	v_perm_b32 v3, v3, v7, s1
	v_mfma_f32_16x16x16_bf16 a[16:19], v[50:51], v[42:43], a[8:11]
	v_perm_b32 v6, v11, v15, s1
	v_add_u32_e32 v2, 0x80, v2
	ds_write2st64_b32 v2, v3, v6 offset0:129 offset1:161
	v_mfma_f32_16x16x16_bf16 a[20:23], v[50:51], v[46:47], a[12:15]
	v_xor_b32_e32 v2, 32, v0
	v_perm_b32 v3, v4, v8, s0
	v_perm_b32 v6, v12, v16, s0
	s_waitcnt lgkmcnt(7)
	v_mfma_f32_16x16x16_bf16 a[12:15], v[52:53], v[20:21], a[0:3]
	ds_write2st64_b32 v2, v3, v6 offset0:130 offset1:162
	v_xor_b32_e32 v2, 40, v0
	v_perm_b32 v3, v4, v8, s1
	s_waitcnt lgkmcnt(7)
	v_mfma_f32_16x16x16_bf16 a[8:11], v[52:53], v[36:37], a[4:7]
	v_perm_b32 v4, v12, v16, s1
	v_add_u32_e32 v2, 0x80, v2
	ds_write2st64_b32 v2, v3, v4 offset0:130 offset1:162
	s_waitcnt lgkmcnt(7)
	v_mfma_f32_16x16x16_bf16 a[4:7], v[52:53], v[30:31], a[16:19]
	v_xor_b32_e32 v2, 48, v0
	v_perm_b32 v3, v5, v9, s0
	v_perm_b32 v4, v13, v17, s0
	s_waitcnt lgkmcnt(6)
	v_mfma_f32_16x16x16_bf16 a[0:3], v[52:53], v[54:55], a[20:23]
	v_xor_b32_e32 v0, 56, v0
	v_and_or_b32 v18, v33, 12, v1
	ds_write2st64_b32 v2, v3, v4 offset0:131 offset1:163
	v_perm_b32 v2, v5, v9, s1
	v_perm_b32 v3, v13, v17, s1
	v_add_u32_e32 v0, 0x80, v0
	v_cmp_gt_i32_e32 vcc, s27, v18
	v_mov_b32_e32 v14, 0
	v_mov_b32_e32 v16, 0
	ds_write2st64_b32 v0, v2, v3 offset0:131 offset1:163
	s_and_saveexec_b64 s[0:1], vcc
	s_cbranch_execz .LBB180_60
; %bb.59:
	v_add_u32_e32 v0, s26, v18
	v_ashrrev_i32_e32 v1, 31, v0
	v_mul_lo_u32 v2, v1, s28
	v_mul_lo_u32 v3, v0, s29
	v_mad_u64_u32 v[0:1], s[2:3], v0, s28, 0
	v_add3_u32 v1, v1, v3, v2
	v_lshl_add_u64 v[0:1], v[0:1], 2, s[10:11]
	global_load_dword v0, v[0:1], off
	s_waitcnt vmcnt(0)
	v_sub_f32_e32 v0, s12, v0
	v_exp_f32_e32 v16, v0
.LBB180_60:
	s_or_b64 exec, exec, s[0:1]
	v_or_b32_e32 v8, 1, v18
	v_cmp_gt_i32_e64 s[0:1], s27, v8
	s_and_saveexec_b64 s[2:3], s[0:1]
	s_cbranch_execz .LBB180_62
; %bb.61:
	v_add_u32_e32 v0, s26, v8
	v_ashrrev_i32_e32 v1, 31, v0
	v_mul_lo_u32 v2, v1, s28
	v_mul_lo_u32 v3, v0, s29
	v_mad_u64_u32 v[0:1], s[4:5], v0, s28, 0
	v_add3_u32 v1, v1, v3, v2
	v_lshl_add_u64 v[0:1], v[0:1], 2, s[10:11]
	global_load_dword v0, v[0:1], off
	s_waitcnt vmcnt(0)
	v_sub_f32_e32 v0, s12, v0
	v_exp_f32_e32 v14, v0
.LBB180_62:
	s_or_b64 exec, exec, s[2:3]
	v_or_b32_e32 v10, 2, v18
	v_cmp_gt_i32_e64 s[2:3], s27, v10
	v_mov_b32_e32 v15, 0
	v_mov_b32_e32 v17, 0
	s_and_saveexec_b64 s[4:5], s[2:3]
	s_cbranch_execz .LBB180_64
; %bb.63:
	v_add_u32_e32 v0, s26, v10
	v_ashrrev_i32_e32 v1, 31, v0
	v_mul_lo_u32 v2, v1, s28
	v_mul_lo_u32 v3, v0, s29
	v_mad_u64_u32 v[0:1], s[6:7], v0, s28, 0
	v_add3_u32 v1, v1, v3, v2
	v_lshl_add_u64 v[0:1], v[0:1], 2, s[10:11]
	global_load_dword v0, v[0:1], off
	s_waitcnt vmcnt(0)
	v_sub_f32_e32 v0, s12, v0
	v_exp_f32_e32 v17, v0
.LBB180_64:
	s_or_b64 exec, exec, s[4:5]
	v_or_b32_e32 v12, 3, v18
	v_cmp_gt_i32_e64 s[4:5], s27, v12
	s_and_saveexec_b64 s[6:7], s[4:5]
	s_cbranch_execz .LBB180_66
; %bb.65:
	v_add_u32_e32 v0, s26, v12
	v_ashrrev_i32_e32 v1, 31, v0
	v_mul_lo_u32 v2, v1, s28
	v_mul_lo_u32 v3, v0, s29
	v_mad_u64_u32 v[0:1], s[14:15], v0, s28, 0
	v_add3_u32 v1, v1, v3, v2
	v_lshl_add_u64 v[0:1], v[0:1], 2, s[10:11]
	global_load_dword v0, v[0:1], off
	s_waitcnt vmcnt(0)
	v_sub_f32_e32 v0, s12, v0
	v_exp_f32_e32 v15, v0
.LBB180_66:
	s_or_b64 exec, exec, s[6:7]
	s_add_u32 s6, s8, s20
	v_accvgpr_read_b32 v0, a12
	s_addc_u32 s7, s9, s21
	v_ashrrev_i32_e32 v67, 31, v66
	v_accvgpr_read_b32 v1, a13
	v_accvgpr_read_b32 v2, a14
	;; [unrolled: 1-line block ×3, first 2 shown]
	v_lshl_add_u64 v[4:5], v[66:67], 1, s[6:7]
	v_mov_b32_e32 v9, 0
	v_lshlrev_b32_e32 v6, 8, v18
	v_mov_b32_e32 v7, 0
	s_and_saveexec_b64 s[6:7], vcc
	s_cbranch_execz .LBB180_68
; %bb.67:
	v_mov_b32_e32 v7, 0
	v_lshl_add_u64 v[20:21], v[4:5], 0, v[6:7]
	global_load_ushort v7, v[20:21], off
	s_waitcnt vmcnt(0)
	v_lshlrev_b32_e32 v7, 16, v7
	v_sub_f32_e32 v0, v7, v0
	v_mul_f32_e32 v0, v16, v0
	v_lshrrev_b32_e32 v7, 16, v0
.LBB180_68:
	s_or_b64 exec, exec, s[6:7]
	v_lshlrev_b32_e32 v8, 8, v8
	s_and_saveexec_b64 s[6:7], s[0:1]
	s_cbranch_execz .LBB180_70
; %bb.69:
	v_mov_b32_e32 v9, 0
	v_lshl_add_u64 v[20:21], v[4:5], 0, v[8:9]
	global_load_ushort v0, v[20:21], off
	s_waitcnt vmcnt(0)
	v_lshlrev_b32_e32 v0, 16, v0
	v_sub_f32_e32 v0, v0, v1
	v_mul_f32_e32 v0, v14, v0
	v_lshrrev_b32_e32 v9, 16, v0
.LBB180_70:
	s_or_b64 exec, exec, s[6:7]
	v_mov_b32_e32 v13, 0
	v_lshlrev_b32_e32 v10, 8, v10
	v_mov_b32_e32 v11, 0
	s_and_saveexec_b64 s[6:7], s[2:3]
	s_cbranch_execz .LBB180_72
; %bb.71:
	v_mov_b32_e32 v11, 0
	v_lshl_add_u64 v[0:1], v[4:5], 0, v[10:11]
	global_load_ushort v0, v[0:1], off
	s_waitcnt vmcnt(0)
	v_lshlrev_b32_e32 v0, 16, v0
	v_sub_f32_e32 v0, v0, v2
	v_mul_f32_e32 v0, v17, v0
	v_lshrrev_b32_e32 v11, 16, v0
.LBB180_72:
	s_or_b64 exec, exec, s[6:7]
	v_lshlrev_b32_e32 v12, 8, v12
	s_and_saveexec_b64 s[6:7], s[4:5]
	s_cbranch_execz .LBB180_74
; %bb.73:
	v_mov_b32_e32 v13, 0
	v_lshl_add_u64 v[0:1], v[4:5], 0, v[12:13]
	global_load_ushort v0, v[0:1], off
	s_waitcnt vmcnt(0)
	v_lshlrev_b32_e32 v0, 16, v0
	v_sub_f32_e32 v0, v0, v3
	v_mul_f32_e32 v0, v15, v0
	v_lshrrev_b32_e32 v13, 16, v0
.LBB180_74:
	s_or_b64 exec, exec, s[6:7]
	v_lshlrev_b32_e32 v18, 6, v18
	s_mov_b32 s6, 0x5040100
	v_perm_b32 v20, v9, v7, s6
	v_or_b32_e32 v7, v18, v34
	v_accvgpr_read_b32 v0, a8
	v_perm_b32 v21, v13, v11, s6
	v_lshlrev_b32_e32 v7, 1, v7
	v_accvgpr_read_b32 v1, a9
	v_accvgpr_read_b32 v2, a10
	;; [unrolled: 1-line block ×3, first 2 shown]
	ds_write_b64 v7, v[20:21] offset:24576
	v_mov_b32_e32 v9, 0
	v_mov_b32_e32 v7, 0
	s_and_saveexec_b64 s[6:7], vcc
	s_cbranch_execz .LBB180_76
; %bb.75:
	v_mov_b32_e32 v7, 0
	v_lshl_add_u64 v[20:21], v[4:5], 0, v[6:7]
	global_load_ushort v7, v[20:21], off offset:32
	s_waitcnt vmcnt(0)
	v_lshlrev_b32_e32 v7, 16, v7
	v_sub_f32_e32 v0, v7, v0
	v_mul_f32_e32 v0, v16, v0
	v_lshrrev_b32_e32 v7, 16, v0
.LBB180_76:
	s_or_b64 exec, exec, s[6:7]
	s_and_saveexec_b64 s[6:7], s[0:1]
	s_cbranch_execz .LBB180_78
; %bb.77:
	v_mov_b32_e32 v9, 0
	v_lshl_add_u64 v[20:21], v[4:5], 0, v[8:9]
	global_load_ushort v0, v[20:21], off offset:32
	s_waitcnt vmcnt(0)
	v_lshlrev_b32_e32 v0, 16, v0
	v_sub_f32_e32 v0, v0, v1
	v_mul_f32_e32 v0, v14, v0
	v_lshrrev_b32_e32 v9, 16, v0
.LBB180_78:
	s_or_b64 exec, exec, s[6:7]
	v_mov_b32_e32 v13, 0
	v_mov_b32_e32 v11, 0
	s_and_saveexec_b64 s[6:7], s[2:3]
	s_cbranch_execz .LBB180_80
; %bb.79:
	v_mov_b32_e32 v11, 0
	v_lshl_add_u64 v[0:1], v[4:5], 0, v[10:11]
	global_load_ushort v0, v[0:1], off offset:32
	s_waitcnt vmcnt(0)
	v_lshlrev_b32_e32 v0, 16, v0
	v_sub_f32_e32 v0, v0, v2
	v_mul_f32_e32 v0, v17, v0
	v_lshrrev_b32_e32 v11, 16, v0
.LBB180_80:
	s_or_b64 exec, exec, s[6:7]
	s_and_saveexec_b64 s[6:7], s[4:5]
	s_cbranch_execz .LBB180_82
; %bb.81:
	v_mov_b32_e32 v13, 0
	v_lshl_add_u64 v[0:1], v[4:5], 0, v[12:13]
	global_load_ushort v0, v[0:1], off offset:32
	s_waitcnt vmcnt(0)
	v_lshlrev_b32_e32 v0, 16, v0
	v_sub_f32_e32 v0, v0, v3
	v_mul_f32_e32 v0, v15, v0
	v_lshrrev_b32_e32 v13, 16, v0
.LBB180_82:
	s_or_b64 exec, exec, s[6:7]
	s_mov_b32 s6, 0x5040100
	v_perm_b32 v20, v9, v7, s6
	v_or_b32_e32 v7, v18, v23
	v_accvgpr_read_b32 v0, a4
	v_perm_b32 v21, v13, v11, s6
	v_lshlrev_b32_e32 v7, 1, v7
	v_accvgpr_read_b32 v1, a5
	v_accvgpr_read_b32 v2, a6
	;; [unrolled: 1-line block ×3, first 2 shown]
	ds_write_b64 v7, v[20:21] offset:24576
	v_mov_b32_e32 v9, 0
	v_mov_b32_e32 v7, 0
	s_and_saveexec_b64 s[6:7], vcc
	s_cbranch_execz .LBB180_84
; %bb.83:
	v_mov_b32_e32 v7, 0
	v_lshl_add_u64 v[20:21], v[4:5], 0, v[6:7]
	global_load_ushort v7, v[20:21], off offset:64
	s_waitcnt vmcnt(0)
	v_lshlrev_b32_e32 v7, 16, v7
	v_sub_f32_e32 v0, v7, v0
	v_mul_f32_e32 v0, v16, v0
	v_lshrrev_b32_e32 v7, 16, v0
.LBB180_84:
	s_or_b64 exec, exec, s[6:7]
	s_and_saveexec_b64 s[6:7], s[0:1]
	s_cbranch_execz .LBB180_86
; %bb.85:
	v_mov_b32_e32 v9, 0
	v_lshl_add_u64 v[20:21], v[4:5], 0, v[8:9]
	global_load_ushort v0, v[20:21], off offset:64
	s_waitcnt vmcnt(0)
	v_lshlrev_b32_e32 v0, 16, v0
	v_sub_f32_e32 v0, v0, v1
	v_mul_f32_e32 v0, v14, v0
	v_lshrrev_b32_e32 v9, 16, v0
.LBB180_86:
	s_or_b64 exec, exec, s[6:7]
	v_mov_b32_e32 v13, 0
	v_mov_b32_e32 v11, 0
	s_and_saveexec_b64 s[6:7], s[2:3]
	s_cbranch_execz .LBB180_88
; %bb.87:
	v_mov_b32_e32 v11, 0
	v_lshl_add_u64 v[0:1], v[4:5], 0, v[10:11]
	global_load_ushort v0, v[0:1], off offset:64
	s_waitcnt vmcnt(0)
	v_lshlrev_b32_e32 v0, 16, v0
	v_sub_f32_e32 v0, v0, v2
	v_mul_f32_e32 v0, v17, v0
	v_lshrrev_b32_e32 v11, 16, v0
.LBB180_88:
	s_or_b64 exec, exec, s[6:7]
	s_and_saveexec_b64 s[6:7], s[4:5]
	s_cbranch_execz .LBB180_90
; %bb.89:
	v_mov_b32_e32 v13, 0
	v_lshl_add_u64 v[0:1], v[4:5], 0, v[12:13]
	global_load_ushort v0, v[0:1], off offset:64
	s_waitcnt vmcnt(0)
	v_lshlrev_b32_e32 v0, 16, v0
	v_sub_f32_e32 v0, v0, v3
	v_mul_f32_e32 v0, v15, v0
	v_lshrrev_b32_e32 v13, 16, v0
.LBB180_90:
	s_or_b64 exec, exec, s[6:7]
	s_mov_b32 s6, 0x5040100
	v_perm_b32 v20, v9, v7, s6
	v_or_b32_e32 v7, v18, v22
	v_accvgpr_read_b32 v0, a0
	v_perm_b32 v21, v13, v11, s6
	v_lshlrev_b32_e32 v7, 1, v7
	v_accvgpr_read_b32 v1, a1
	v_accvgpr_read_b32 v2, a2
	;; [unrolled: 1-line block ×3, first 2 shown]
	ds_write_b64 v7, v[20:21] offset:24576
	v_mov_b32_e32 v9, 0
	v_mov_b32_e32 v7, 0
	s_and_saveexec_b64 s[6:7], vcc
	s_cbranch_execz .LBB180_92
; %bb.91:
	v_mov_b32_e32 v7, 0
	v_lshl_add_u64 v[6:7], v[4:5], 0, v[6:7]
	global_load_ushort v6, v[6:7], off offset:96
	s_waitcnt vmcnt(0)
	v_lshlrev_b32_e32 v6, 16, v6
	v_sub_f32_e32 v0, v6, v0
	v_mul_f32_e32 v0, v16, v0
	v_lshrrev_b32_e32 v7, 16, v0
.LBB180_92:
	s_or_b64 exec, exec, s[6:7]
	s_and_saveexec_b64 s[6:7], s[0:1]
	s_cbranch_execz .LBB180_94
; %bb.93:
	v_mov_b32_e32 v9, 0
	v_lshl_add_u64 v[8:9], v[4:5], 0, v[8:9]
	global_load_ushort v0, v[8:9], off offset:96
	s_waitcnt vmcnt(0)
	v_lshlrev_b32_e32 v0, 16, v0
	v_sub_f32_e32 v0, v0, v1
	v_mul_f32_e32 v0, v14, v0
	v_lshrrev_b32_e32 v9, 16, v0
.LBB180_94:
	s_or_b64 exec, exec, s[6:7]
	v_mov_b32_e32 v0, 0
	v_mov_b32_e32 v1, 0
	s_and_saveexec_b64 s[0:1], s[2:3]
	s_cbranch_execz .LBB180_96
; %bb.95:
	v_mov_b32_e32 v11, 0
	v_lshl_add_u64 v[10:11], v[4:5], 0, v[10:11]
	global_load_ushort v1, v[10:11], off offset:96
	s_waitcnt vmcnt(0)
	v_lshlrev_b32_e32 v1, 16, v1
	v_sub_f32_e32 v1, v1, v2
	v_mul_f32_e32 v1, v17, v1
	v_lshrrev_b32_e32 v1, 16, v1
.LBB180_96:
	s_or_b64 exec, exec, s[0:1]
	s_and_saveexec_b64 s[0:1], s[4:5]
	s_cbranch_execz .LBB180_98
; %bb.97:
	v_mov_b32_e32 v13, 0
	v_lshl_add_u64 v[4:5], v[4:5], 0, v[12:13]
	global_load_ushort v0, v[4:5], off offset:96
	s_waitcnt vmcnt(0)
	v_lshlrev_b32_e32 v0, 16, v0
	v_sub_f32_e32 v0, v0, v3
	v_mul_f32_e32 v0, v15, v0
	v_lshrrev_b32_e32 v0, 16, v0
.LBB180_98:
	s_or_b64 exec, exec, s[0:1]
	s_mov_b32 s0, 0x5040100
	v_or_b32_e32 v2, v18, v19
	v_perm_b32 v1, v0, v1, s0
	v_perm_b32 v0, v9, v7, s0
	v_lshlrev_b32_e32 v2, 1, v2
	ds_write_b64 v2, v[0:1] offset:24576
	s_waitcnt lgkmcnt(0)
	s_barrier
.LBB180_99:
	s_endpgm
	.section	.rodata,"a",@progbits
	.p2align	6, 0x0
	.amdhsa_kernel _ZN12_GLOBAL__N_139chunk_gated_delta_rule_fwd_h_hip_kernelILi64ELb1ELb0ELb0ELb1ELb1ELb0ELb0ELb0EEEvPK12hip_bfloat16S3_S3_PKfS5_PKvPS1_S8_PvPKiSB_iiiiilll
		.amdhsa_group_segment_fixed_size 65536
		.amdhsa_private_segment_fixed_size 0
		.amdhsa_kernarg_size 136
		.amdhsa_user_sgpr_count 2
		.amdhsa_user_sgpr_dispatch_ptr 0
		.amdhsa_user_sgpr_queue_ptr 0
		.amdhsa_user_sgpr_kernarg_segment_ptr 1
		.amdhsa_user_sgpr_dispatch_id 0
		.amdhsa_user_sgpr_kernarg_preload_length 0
		.amdhsa_user_sgpr_kernarg_preload_offset 0
		.amdhsa_user_sgpr_private_segment_size 0
		.amdhsa_uses_dynamic_stack 0
		.amdhsa_enable_private_segment 0
		.amdhsa_system_sgpr_workgroup_id_x 1
		.amdhsa_system_sgpr_workgroup_id_y 1
		.amdhsa_system_sgpr_workgroup_id_z 0
		.amdhsa_system_sgpr_workgroup_info 0
		.amdhsa_system_vgpr_workitem_id 0
		.amdhsa_next_free_vgpr 216
		.amdhsa_next_free_sgpr 61
		.amdhsa_accum_offset 180
		.amdhsa_reserve_vcc 1
		.amdhsa_float_round_mode_32 0
		.amdhsa_float_round_mode_16_64 0
		.amdhsa_float_denorm_mode_32 3
		.amdhsa_float_denorm_mode_16_64 3
		.amdhsa_dx10_clamp 1
		.amdhsa_ieee_mode 1
		.amdhsa_fp16_overflow 0
		.amdhsa_tg_split 0
		.amdhsa_exception_fp_ieee_invalid_op 0
		.amdhsa_exception_fp_denorm_src 0
		.amdhsa_exception_fp_ieee_div_zero 0
		.amdhsa_exception_fp_ieee_overflow 0
		.amdhsa_exception_fp_ieee_underflow 0
		.amdhsa_exception_fp_ieee_inexact 0
		.amdhsa_exception_int_div_zero 0
	.end_amdhsa_kernel
	.section	.text._ZN12_GLOBAL__N_139chunk_gated_delta_rule_fwd_h_hip_kernelILi64ELb1ELb0ELb0ELb1ELb1ELb0ELb0ELb0EEEvPK12hip_bfloat16S3_S3_PKfS5_PKvPS1_S8_PvPKiSB_iiiiilll,"axG",@progbits,_ZN12_GLOBAL__N_139chunk_gated_delta_rule_fwd_h_hip_kernelILi64ELb1ELb0ELb0ELb1ELb1ELb0ELb0ELb0EEEvPK12hip_bfloat16S3_S3_PKfS5_PKvPS1_S8_PvPKiSB_iiiiilll,comdat
.Lfunc_end180:
	.size	_ZN12_GLOBAL__N_139chunk_gated_delta_rule_fwd_h_hip_kernelILi64ELb1ELb0ELb0ELb1ELb1ELb0ELb0ELb0EEEvPK12hip_bfloat16S3_S3_PKfS5_PKvPS1_S8_PvPKiSB_iiiiilll, .Lfunc_end180-_ZN12_GLOBAL__N_139chunk_gated_delta_rule_fwd_h_hip_kernelILi64ELb1ELb0ELb0ELb1ELb1ELb0ELb0ELb0EEEvPK12hip_bfloat16S3_S3_PKfS5_PKvPS1_S8_PvPKiSB_iiiiilll
                                        ; -- End function
	.section	.AMDGPU.csdata,"",@progbits
; Kernel info:
; codeLenInByte = 10616
; NumSgprs: 67
; NumVgprs: 178
; NumAgprs: 36
; TotalNumVgprs: 216
; ScratchSize: 0
; MemoryBound: 0
; FloatMode: 240
; IeeeMode: 1
; LDSByteSize: 65536 bytes/workgroup (compile time only)
; SGPRBlocks: 8
; VGPRBlocks: 26
; NumSGPRsForWavesPerEU: 67
; NumVGPRsForWavesPerEU: 216
; AccumOffset: 180
; Occupancy: 1
; WaveLimiterHint : 1
; COMPUTE_PGM_RSRC2:SCRATCH_EN: 0
; COMPUTE_PGM_RSRC2:USER_SGPR: 2
; COMPUTE_PGM_RSRC2:TRAP_HANDLER: 0
; COMPUTE_PGM_RSRC2:TGID_X_EN: 1
; COMPUTE_PGM_RSRC2:TGID_Y_EN: 1
; COMPUTE_PGM_RSRC2:TGID_Z_EN: 0
; COMPUTE_PGM_RSRC2:TIDIG_COMP_CNT: 0
; COMPUTE_PGM_RSRC3_GFX90A:ACCUM_OFFSET: 44
; COMPUTE_PGM_RSRC3_GFX90A:TG_SPLIT: 0
	.section	.text._ZN12_GLOBAL__N_139chunk_gated_delta_rule_fwd_h_hip_kernelILi64ELb0ELb1ELb1ELb1ELb1ELb0ELb0ELb0EEEvPK12hip_bfloat16S3_S3_PKfS5_PKvPS1_S8_PvPKiSB_iiiiilll,"axG",@progbits,_ZN12_GLOBAL__N_139chunk_gated_delta_rule_fwd_h_hip_kernelILi64ELb0ELb1ELb1ELb1ELb1ELb0ELb0ELb0EEEvPK12hip_bfloat16S3_S3_PKfS5_PKvPS1_S8_PvPKiSB_iiiiilll,comdat
	.globl	_ZN12_GLOBAL__N_139chunk_gated_delta_rule_fwd_h_hip_kernelILi64ELb0ELb1ELb1ELb1ELb1ELb0ELb0ELb0EEEvPK12hip_bfloat16S3_S3_PKfS5_PKvPS1_S8_PvPKiSB_iiiiilll ; -- Begin function _ZN12_GLOBAL__N_139chunk_gated_delta_rule_fwd_h_hip_kernelILi64ELb0ELb1ELb1ELb1ELb1ELb0ELb0ELb0EEEvPK12hip_bfloat16S3_S3_PKfS5_PKvPS1_S8_PvPKiSB_iiiiilll
	.p2align	8
	.type	_ZN12_GLOBAL__N_139chunk_gated_delta_rule_fwd_h_hip_kernelILi64ELb0ELb1ELb1ELb1ELb1ELb0ELb0ELb0EEEvPK12hip_bfloat16S3_S3_PKfS5_PKvPS1_S8_PvPKiSB_iiiiilll,@function
_ZN12_GLOBAL__N_139chunk_gated_delta_rule_fwd_h_hip_kernelILi64ELb0ELb1ELb1ELb1ELb1ELb0ELb0ELb0EEEvPK12hip_bfloat16S3_S3_PKfS5_PKvPS1_S8_PvPKiSB_iiiiilll: ; @_ZN12_GLOBAL__N_139chunk_gated_delta_rule_fwd_h_hip_kernelILi64ELb0ELb1ELb1ELb1ELb1ELb0ELb0ELb0EEEvPK12hip_bfloat16S3_S3_PKfS5_PKvPS1_S8_PvPKiSB_iiiiilll
; %bb.0:
	s_load_dwordx4 s[20:23], s[0:1], 0x5c
	s_abs_i32 s27, s3
	s_ashr_i32 s26, s3, 31
	s_load_dwordx2 s[24:25], s[0:1], 0x50
	s_load_dwordx8 s[4:11], s[0:1], 0x30
	s_load_dwordx8 s[12:19], s[0:1], 0x0
	s_waitcnt lgkmcnt(0)
	s_abs_i32 s30, s21
	v_cvt_f32_u32_e32 v1, s30
	s_sub_i32 s28, 0, s30
	s_ashr_i32 s33, s21, 31
	s_xor_b32 s26, s26, s33
	v_rcp_iflag_f32_e32 v1, v1
	v_lshrrev_b32_e32 v74, 6, v0
	v_bfe_u32 v77, v0, 4, 2
	v_lshlrev_b32_e32 v75, 4, v74
	v_mul_f32_e32 v1, 0x4f7ffffe, v1
	v_cvt_u32_f32_e32 v1, v1
	v_lshlrev_b32_e32 v34, 2, v77
	v_and_b32_e32 v76, 63, v0
	v_mov_b32_e32 v5, 0
	v_readfirstlane_b32 s29, v1
	s_mul_i32 s28, s28, s29
	s_mul_hi_u32 s28, s29, s28
	s_add_i32 s29, s29, s28
	s_mul_hi_u32 s28, s27, s29
	s_mul_i32 s29, s28, s30
	s_sub_i32 s27, s27, s29
	s_add_i32 s31, s28, 1
	s_sub_i32 s29, s27, s30
	s_cmp_ge_u32 s27, s30
	s_cselect_b32 s28, s31, s28
	s_cselect_b32 s27, s29, s27
	s_add_i32 s29, s28, 1
	s_cmp_ge_u32 s27, s30
	s_cselect_b32 s27, s29, s28
	s_xor_b32 s27, s27, s26
	s_sub_i32 s34, s27, s26
	s_mul_i32 s26, s34, s21
	s_ashr_i32 s35, s34, 31
	s_sub_i32 s46, s3, s26
	s_lshl_b64 s[26:27], s[34:35], 2
	s_add_u32 s10, s10, s26
	s_addc_u32 s11, s11, s27
	s_add_u32 s28, s24, s26
	s_addc_u32 s29, s25, s27
	s_abs_i32 s3, s22
	v_cvt_f32_u32_e32 v1, s3
	s_load_dwordx2 s[40:41], s[10:11], 0x0
	s_sub_i32 s11, 0, s3
	s_mov_b32 s47, s21
	v_rcp_iflag_f32_e32 v1, v1
	v_and_b32_e32 v78, 15, v0
	s_waitcnt lgkmcnt(0)
	s_sub_i32 s56, s41, s40
	s_ashr_i32 s10, s56, 31
	v_mul_f32_e32 v1, 0x4f7ffffe, v1
	v_cvt_u32_f32_e32 v1, v1
	s_lshr_b32 s10, s10, 26
	s_add_i32 s10, s56, s10
	s_ashr_i32 s51, s10, 6
	v_readfirstlane_b32 s24, v1
	s_mul_i32 s11, s11, s24
	s_mul_hi_u32 s11, s24, s11
	s_add_i32 s24, s24, s11
	s_mul_hi_u32 s11, s30, s24
	s_mul_i32 s24, s11, s3
	s_ashr_i32 s10, s22, 31
	s_sub_i32 s24, s30, s24
	s_xor_b32 s10, s33, s10
	s_add_i32 s25, s11, 1
	s_sub_i32 s26, s24, s3
	s_cmp_ge_u32 s24, s3
	s_cselect_b32 s11, s25, s11
	s_cselect_b32 s24, s26, s24
	s_add_i32 s25, s11, 1
	s_cmp_ge_u32 s24, s3
	s_cselect_b32 s3, s25, s11
	s_xor_b32 s3, s3, s10
	s_sub_i32 s3, s3, s10
	s_abs_i32 s30, s3
	v_cvt_f32_u32_e32 v1, s30
	s_load_dwordx2 s[10:11], s[0:1], 0x80
	s_load_dwordx4 s[24:27], s[0:1], 0x70
	s_load_dword s52, s[28:29], 0x0
	s_xor_b32 s0, s46, s3
	v_rcp_iflag_f32_e32 v1, v1
	s_sub_i32 s3, 0, s30
	s_abs_i32 s1, s46
	s_ashr_i32 s0, s0, 31
	v_mul_f32_e32 v1, 0x4f7ffffe, v1
	v_cvt_u32_f32_e32 v1, v1
	s_mul_hi_i32 s53, s46, s20
	s_mul_i32 s54, s46, s20
	v_lshrrev_b32_e32 v80, 3, v76
	v_readfirstlane_b32 s28, v1
	s_mul_i32 s3, s3, s28
	s_mul_hi_u32 s3, s28, s3
	s_add_i32 s28, s28, s3
	s_mul_hi_u32 s3, s1, s28
	s_mul_i32 s28, s3, s30
	s_sub_i32 s1, s1, s28
	s_add_i32 s28, s3, 1
	s_sub_i32 s29, s1, s30
	s_cmp_ge_u32 s1, s30
	s_cselect_b32 s3, s28, s3
	s_cselect_b32 s1, s29, s1
	s_add_i32 s28, s3, 1
	s_cmp_ge_u32 s1, s30
	s_cselect_b32 s1, s28, s3
	s_xor_b32 s1, s1, s0
	s_sub_i32 s55, s1, s0
	v_or_b32_e32 v1, v34, v75
	s_lshl_b32 s2, s2, 6
	v_or_b32_e32 v81, 64, v1
	s_cmp_lt_i32 s56, 64
	v_lshlrev_b32_e32 v79, 3, v0
	s_waitcnt lgkmcnt(0)
	s_mul_i32 s48, s34, s25
	s_mul_hi_u32 s49, s34, s24
	s_mul_i32 s50, s35, s24
	s_mul_i32 s24, s34, s24
	v_mov_b32_e32 v4, v5
	v_mov_b32_e32 v3, v5
	;; [unrolled: 1-line block ×31, first 2 shown]
	s_cbranch_scc1 .LBB181_18
; %bb.1:
	s_ashr_i32 s58, s46, 31
	s_ashr_i32 s1, s40, 31
	s_add_u32 s0, s54, s40
	s_addc_u32 s1, s53, s1
	s_lshl_b64 s[0:1], s[0:1], 8
	v_and_b32_e32 v83, 56, v79
	s_add_u32 s28, s14, s0
	v_lshl_or_b32 v82, v74, 3, v80
	v_lshlrev_b32_e32 v2, 1, v83
	s_addc_u32 s0, s15, s1
	v_lshl_or_b32 v84, v82, 8, v2
	s_and_b32 s29, s0, 0xffff
	s_mov_b32 s31, 0x20000
	s_movk_i32 s30, 0x4000
	s_movk_i32 s0, 0x80
	v_or_b32_e32 v85, 0x2000, v84
	buffer_load_dwordx4 v[4:7], v84, s[28:31], 0 offen
	buffer_load_dwordx4 v[8:11], v84, s[28:31], s0 offen
	;; [unrolled: 1-line block ×4, first 2 shown]
	v_lshlrev_b32_e32 v3, 3, v82
	v_and_or_b32 v21, v0, 7, v3
	v_and_b32_e32 v3, 0x78, v3
	v_lshlrev_b32_e32 v21, 4, v21
	v_xor_b32_e32 v86, v21, v3
	v_mul_lo_u32 v20, v82, s23
	v_or_b32_e32 v87, 0x1000, v86
	v_xor_b32_e32 v3, 8, v86
	s_cmpk_eq_i32 s23, 0x80
	s_mov_b32 s57, s40
	v_xor_b32_e32 v21, 8, v87
	s_cselect_b64 s[0:1], -1, 0
	s_cmpk_lg_i32 s23, 0x80
	s_waitcnt vmcnt(3)
	ds_write_b64 v86, v[4:5] offset:49152
	ds_write_b64 v3, v[6:7] offset:49152
	s_waitcnt vmcnt(2)
	ds_write_b64 v86, v[8:9] offset:57344
	ds_write_b64 v3, v[10:11] offset:57344
	;; [unrolled: 3-line block ×4, first 2 shown]
	v_lshl_add_u32 v3, v20, 1, v83
	s_cbranch_scc0 .LBB181_3
; %bb.2:
	v_lshlrev_b32_e32 v5, 1, v3
	v_add_lshl_u32 v4, v3, s23, 1
	s_lshl_b32 s30, s23, 7
	v_lshl_or_b32 v2, v82, 9, v2
	s_cbranch_execz .LBB181_4
	s_branch .LBB181_5
.LBB181_3:
                                        ; implicit-def: $vgpr4
                                        ; implicit-def: $vgpr5
                                        ; implicit-def: $sgpr30
	v_lshl_or_b32 v2, v82, 9, v2
.LBB181_4:
	v_or_b32_e32 v4, 0x100, v2
	s_movk_i32 s30, 0x4000
	v_mov_b32_e32 v5, v2
.LBB181_5:
	s_mul_i32 s25, s40, s22
	s_ashr_i32 s59, s55, 31
	s_mul_hi_i32 s3, s40, s22
	s_add_u32 s28, s25, s55
	s_addc_u32 s29, s3, s59
	s_lshl_b64 s[28:29], s[28:29], 8
	s_add_u32 s28, s12, s28
	s_addc_u32 s3, s13, s29
	s_and_b32 s29, s3, 0xffff
	s_movk_i32 s60, 0x80
	buffer_load_dwordx4 v[6:9], v5, s[28:31], 0 offen
	buffer_load_dwordx4 v[10:13], v5, s[28:31], s60 offen
	;; [unrolled: 1-line block ×4, first 2 shown]
	v_and_b32_e32 v5, 6, v0
	v_lshlrev_b32_e32 v4, 7, v1
	v_xor_b32_e32 v27, v82, v5
	v_and_b32_e32 v22, 1, v0
	v_lshl_or_b32 v30, v78, 3, v4
	v_lshlrev_b32_e32 v27, 2, v27
	v_lshlrev_b32_e32 v23, 2, v78
	v_or_b32_e32 v88, 0x4000, v30
	v_or_b32_e32 v89, 0x6000, v30
	v_xor_b32_e32 v30, 0x440, v27
	v_cmp_eq_u32_e32 vcc, 0, v22
	v_or_b32_e32 v25, 16, v78
	v_or_b32_e32 v26, 32, v78
	v_xor_b32_e32 v28, v1, v23
	v_xor_b32_e32 v29, v81, v23
	v_cndmask_b32_e32 v22, v30, v27, vcc
	s_add_i32 s3, s49, s48
	s_mov_b32 s61, 0x1000504
	v_lshl_or_b32 v31, v25, 3, v4
	v_lshlrev_b32_e32 v25, 8, v25
	v_lshl_or_b32 v32, v26, 3, v4
	v_lshlrev_b32_e32 v28, 1, v28
	v_lshlrev_b32_e32 v29, 1, v29
	v_lshl_or_b32 v5, v5, 10, v22
	s_add_i32 s25, s3, s50
	s_mul_i32 s3, s46, s27
	s_mul_hi_u32 s28, s46, s26
	s_mov_b32 s62, 0x3020706
	v_lshlrev_b32_e32 v24, 8, v78
	v_or_b32_e32 v92, 0x4000, v32
	v_or_b32_e32 v93, 0x6000, v32
	;; [unrolled: 1-line block ×4, first 2 shown]
	v_xor_b32_e32 v22, 8, v5
	v_xor_b32_e32 v25, 24, v5
	v_xor_b32_e32 v30, 40, v5
	v_xor_b32_e32 v32, 56, v5
	s_add_i32 s3, s28, s3
	s_mul_i32 s28, s58, s26
	v_or_b32_e32 v90, 0x4000, v31
	v_or_b32_e32 v91, 0x6000, v31
	;; [unrolled: 1-line block ×4, first 2 shown]
	v_xor_b32_e32 v24, 16, v5
	v_xor_b32_e32 v27, 32, v5
	;; [unrolled: 1-line block ×3, first 2 shown]
	v_add_u32_e32 v22, 0x80, v22
	v_add_u32_e32 v25, 0x80, v25
	;; [unrolled: 1-line block ×4, first 2 shown]
	s_add_i32 s29, s3, s28
	s_lshl_b64 s[36:37], s[24:25], 2
	s_mul_i32 s28, s46, s26
	s_add_u32 s3, s18, s36
	s_addc_u32 s25, s19, s37
	s_lshl_b64 s[28:29], s[28:29], 2
	s_add_u32 s42, s3, s28
	s_movk_i32 s3, 0xf8
	s_addc_u32 s43, s25, s29
	s_lshl_b32 s38, s23, 7
	s_movk_i32 s25, 0x100
	v_mov_b32_e32 v67, 0
	v_lshlrev_b32_e32 v66, 4, v78
	v_cmp_gt_u32_e32 vcc, s25, v0
	v_lshlrev_b32_e32 v26, 8, v26
	s_mov_b32 s63, 0
	s_movk_i32 s30, 0x4000
	v_or_b32_e32 v98, v26, v28
	v_or_b32_e32 v99, v26, v29
	v_add_u32_e32 v128, v75, v34
	s_movk_i32 s25, 0x2000
	s_movk_i32 s64, 0x3000
	v_mov_b32_e32 v26, v67
	s_waitcnt vmcnt(1)
	v_perm_b32 v33, v6, v14, s61
	s_waitcnt vmcnt(0)
	v_perm_b32 v35, v10, v18, s61
	v_perm_b32 v6, v6, v14, s62
	v_perm_b32 v10, v10, v18, s62
	v_perm_b32 v14, v7, v15, s61
	v_perm_b32 v18, v11, v19, s61
	v_perm_b32 v7, v7, v15, s62
	v_perm_b32 v11, v11, v19, s62
	v_perm_b32 v15, v8, v16, s61
	v_perm_b32 v19, v12, v20, s61
	v_perm_b32 v8, v8, v16, s62
	v_perm_b32 v12, v12, v20, s62
	v_perm_b32 v16, v9, v17, s61
	v_perm_b32 v20, v13, v21, s61
	v_perm_b32 v9, v9, v17, s62
	v_perm_b32 v13, v13, v21, s62
	ds_write2st64_b32 v5, v33, v35 offset0:128 offset1:160
	ds_write2st64_b32 v22, v6, v10 offset0:128 offset1:160
	;; [unrolled: 1-line block ×8, first 2 shown]
	v_or_b32_e32 v5, 48, v78
	v_lshl_or_b32 v6, v5, 3, v4
	v_lshlrev_b32_e32 v5, 8, v5
	v_or_b32_e32 v102, v5, v28
	v_or_b32_e32 v103, v5, v29
	;; [unrolled: 1-line block ×3, first 2 shown]
	v_lshlrev_b32_e32 v5, 3, v5
	v_lshrrev_b32_e32 v7, 5, v76
	v_and_or_b32 v7, v5, s3, v7
	v_lshlrev_b32_e32 v7, 4, v7
	v_lshlrev_b32_e32 v10, 11, v74
	v_and_b32_e32 v5, 0x78, v5
	v_or_b32_e32 v13, 32, v7
	v_or_b32_e32 v100, 0x4000, v6
	v_or_b32_e32 v101, 0x6000, v6
	v_and_b32_e32 v6, 0x1000, v10
	v_xor_b32_e32 v8, v7, v5
	v_lshrrev_b32_e32 v11, 1, v0
	v_xor_b32_e32 v13, v13, v5
	v_or_b32_e32 v8, v8, v6
	v_and_b32_e32 v9, 8, v11
	v_lshlrev_b32_e32 v12, 8, v77
	v_or_b32_e32 v13, v13, v6
	v_xor_b32_e32 v104, v8, v9
	v_or_b32_e32 v8, v12, v23
	v_xor_b32_e32 v106, v13, v9
	v_or_b32_e32 v13, 64, v7
	v_or_b32_e32 v7, 0x60, v7
	s_ashr_i32 s3, s2, 31
	v_lshlrev_b32_e32 v8, 1, v8
	v_xor_b32_e32 v13, v13, v5
	v_xor_b32_e32 v5, v7, v5
	s_lshl_b64 s[28:29], s[2:3], 8
	v_or_b32_e32 v105, 0x4000, v8
	v_or_b32_e32 v107, 0x4080, v8
	;; [unrolled: 1-line block ×10, first 2 shown]
	s_add_u32 s28, s4, s28
	v_lshlrev_b32_e32 v8, 1, v78
	v_xor_b32_e32 v110, v13, v9
	v_xor_b32_e32 v111, v5, v9
	v_lshrrev_b32_e32 v14, 4, v0
	s_addc_u32 s29, s5, s29
	v_or_b32_e32 v9, 1, v8
	v_mov_b32_e32 v18, 0xa000
	v_mov_b32_e32 v19, 0x8000
	v_xor_b32_e32 v15, v14, v8
	v_xor_b32_e32 v16, v9, v14
	v_lshl_add_u64 v[8:9], s[28:29], 0, v[66:67]
	v_lshlrev_b32_e32 v66, 8, v14
	v_cndmask_b32_e32 v18, v18, v19, vcc
	v_lshlrev_b32_e32 v19, 3, v74
	v_and_b32_e32 v11, 24, v11
	v_lshl_or_b32 v116, v15, 3, v66
	v_and_b32_e32 v15, 8, v0
	v_xor_b32_e32 v20, v19, v11
	v_or_b32_e32 v21, 0x440, v20
	v_cmp_eq_u32_e32 vcc, 0, v15
	v_and_b32_e32 v14, 7, v0
	v_lshl_or_b32 v117, v16, 3, v66
	v_cndmask_b32_e32 v15, v21, v20, vcc
	v_lshlrev_b32_e32 v16, 3, v14
	v_lshlrev_b32_e32 v14, 7, v14
	v_or_b32_e32 v15, v15, v10
	v_lshlrev_b32_e32 v17, 2, v0
	v_xad_u32 v118, v15, v16, v14
	v_or_b32_e32 v15, 32, v11
	v_and_or_b32 v12, v17, 60, v12
	v_xor_b32_e32 v15, v19, v15
	v_lshlrev_b32_e32 v12, 1, v12
	v_or_b32_e32 v17, 0x440, v15
	v_or_b32_e32 v119, 0x6000, v12
	v_cndmask_b32_e32 v15, v17, v15, vcc
	v_or_b32_e32 v121, 0x6080, v12
	v_or_b32_e32 v122, 0x6100, v12
	;; [unrolled: 1-line block ×5, first 2 shown]
	v_xor_b32_e32 v12, v19, v12
	v_xad_u32 v120, v15, v16, v14
	v_xor_b32_e32 v15, 0x440, v12
	v_cndmask_b32_e32 v12, v15, v12, vcc
	v_or_b32_e32 v11, 0x60, v11
	v_or_b32_e32 v12, v12, v10
	v_xor_b32_e32 v11, v19, v11
	v_xad_u32 v124, v12, v16, v14
	v_xor_b32_e32 v12, 0x440, v11
	v_or_b32_e32 v6, s2, v78
	v_cndmask_b32_e32 v11, v12, v11, vcc
	v_ashrrev_i32_e32 v7, 31, v6
	v_lshlrev_b32_e32 v5, 1, v3
	v_add_lshl_u32 v3, v3, s23, 1
	v_or_b32_e32 v13, 0x100, v2
	v_or_b32_e32 v10, v11, v10
	v_xad_u32 v125, v10, v16, v14
	v_cndmask_b32_e64 v126, v5, v2, s[0:1]
	v_cndmask_b32_e64 v127, v3, v13, s[0:1]
	v_lshlrev_b64 v[2:3], 1, v[6:7]
	v_lshl_add_u64 v[68:69], s[16:17], 0, v[2:3]
	v_lshl_add_u64 v[70:71], s[6:7], 0, v[2:3]
	;; [unrolled: 1-line block ×3, first 2 shown]
	s_mov_b32 s3, 0x7060302
	v_lshlrev_b32_e32 v66, 1, v4
	v_add_u32_e32 v129, v18, v118
	v_add_u32_e32 v130, v18, v120
	v_add_u32_e32 v131, v18, v124
	v_add_u32_e32 v132, v18, v125
	v_mov_b32_e32 v27, v67
	v_mov_b32_e32 v28, v67
	;; [unrolled: 1-line block ×31, first 2 shown]
	s_waitcnt lgkmcnt(0)
	s_barrier
.LBB181_6:                              ; =>This Inner Loop Header: Depth=1
	s_add_i32 s65, s63, 1
	s_cmp_lt_i32 s65, s51
	s_mov_b64 s[36:37], 0
	s_cselect_b64 s[44:45], -1, 0
	s_cmp_ge_i32 s65, s51
	s_mov_b64 s[28:29], 0
	s_cbranch_scc1 .LBB181_8
; %bb.7:                                ;   in Loop: Header=BB181_6 Depth=1
	s_add_i32 s0, s57, 64
	s_ashr_i32 s1, s0, 31
	s_add_u32 s0, s54, s0
	s_addc_u32 s1, s53, s1
	s_lshl_b64 s[0:1], s[0:1], 8
	s_add_u32 s28, s14, s0
	s_addc_u32 s29, s15, s1
.LBB181_8:                              ;   in Loop: Header=BB181_6 Depth=1
	v_cndmask_b32_e64 v34, 0, 1, s[44:45]
	v_cmp_ne_u32_e64 s[0:1], 1, v34
	s_andn2_b64 vcc, exec, s[44:45]
	s_cbranch_vccnz .LBB181_10
; %bb.9:                                ;   in Loop: Header=BB181_6 Depth=1
	s_add_i32 s36, s57, 64
	s_mul_hi_i32 s37, s36, s22
	s_mul_i32 s36, s36, s22
	s_add_u32 s36, s36, s55
	s_addc_u32 s37, s37, s59
	s_lshl_b64 s[36:37], s[36:37], 8
	s_add_u32 s36, s12, s36
	s_addc_u32 s37, s13, s37
.LBB181_10:                             ;   in Loop: Header=BB181_6 Depth=1
	v_perm_b32 v35, v33, v32, s3
	v_perm_b32 v34, v31, v30, s3
	v_perm_b32 v37, v29, v28, s3
	v_perm_b32 v36, v27, v26, s3
	ds_write_b64 v88, v[34:35]
	ds_write_b64 v89, v[36:37]
	ds_write_b64 v94, v[34:35]
	ds_write_b64 v95, v[36:37]
	v_perm_b32 v35, v25, v24, s3
	v_perm_b32 v34, v23, v22, s3
	v_perm_b32 v37, v21, v20, s3
	v_perm_b32 v36, v19, v18, s3
	ds_write_b64 v90, v[34:35]
	ds_write_b64 v91, v[36:37]
	ds_write_b64 v96, v[34:35]
	ds_write_b64 v97, v[36:37]
	;; [unrolled: 8-line block ×4, first 2 shown]
	s_waitcnt lgkmcnt(0)
	s_barrier
	ds_read_b64 v[38:39], v104 offset:49152
	ds_read2_b64 v[34:37], v105 offset1:16
	ds_read_b64 v[50:51], v107 offset:6144
	ds_read_b64 v[52:53], v105 offset:6144
	s_waitcnt lgkmcnt(2)
	v_mfma_f32_16x16x16_bf16 a[0:3], v[38:39], v[34:35], 0
	ds_read_b64 v[54:55], v106 offset:49152
	ds_read2st64_b64 v[42:45], v108 offset0:4 offset1:8
	ds_read2st64_b64 v[46:49], v109 offset0:4 offset1:8
	v_mfma_f32_16x16x16_bf16 a[4:7], v[38:39], v[36:37], 0
	ds_read2_b64 v[34:37], v105 offset0:32 offset1:48
	s_add_i32 s39, s57, 63
	s_ashr_i32 s44, s39, 31
	s_waitcnt lgkmcnt(0)
	v_mfma_f32_16x16x16_bf16 a[8:11], v[38:39], v[34:35], 0
	s_mul_i32 s45, s39, s11
	s_mul_hi_u32 s66, s39, s10
	s_add_i32 s45, s66, s45
	v_mfma_f32_16x16x16_bf16 a[12:15], v[38:39], v[36:37], 0
	ds_read2st64_b64 v[34:37], v105 offset0:4 offset1:8
	ds_read2st64_b64 v[38:41], v107 offset0:4 offset1:8
	s_mul_i32 s44, s44, s10
	s_waitcnt lgkmcnt(1)
	v_mfma_f32_16x16x16_bf16 a[0:3], v[54:55], v[34:35], a[0:3]
	s_add_i32 s45, s45, s44
	s_mul_i32 s44, s39, s10
	s_lshl_b64 s[44:45], s[44:45], 2
	s_waitcnt lgkmcnt(0)
	v_mfma_f32_16x16x16_bf16 a[4:7], v[54:55], v[38:39], a[4:7]
	s_add_u32 s44, s42, s44
	s_addc_u32 s45, s43, s45
	s_and_b64 vcc, exec, s[0:1]
	v_mfma_f32_16x16x16_bf16 a[8:11], v[54:55], v[42:43], a[8:11]
	ds_read_b64 v[34:35], v110 offset:49152
	ds_read_b64 v[38:39], v111 offset:49152
	;; [unrolled: 1-line block ×3, first 2 shown]
	v_mov_b32_e32 v135, 0
	v_mov_b32_e32 v134, 0
	v_mfma_f32_16x16x16_bf16 a[12:15], v[54:55], v[46:47], a[12:15]
	v_mov_b32_e32 v133, 0
	v_mov_b32_e32 v46, 0
	;; [unrolled: 1-line block ×3, first 2 shown]
	s_waitcnt lgkmcnt(2)
	v_mfma_f32_16x16x16_bf16 a[0:3], v[34:35], v[36:37], a[0:3]
	v_mov_b32_e32 v36, 0
	v_mov_b32_e32 v37, 0
	v_mfma_f32_16x16x16_bf16 a[16:19], v[34:35], v[40:41], a[4:7]
	v_mov_b32_e32 v40, 0
	v_mov_b32_e32 v41, 0
	;; [unrolled: 3-line block ×3, first 2 shown]
	v_mfma_f32_16x16x16_bf16 a[24:27], v[34:35], v[48:49], a[12:15]
	ds_read_b64 v[34:35], v108 offset:6144
	v_mov_b32_e32 v48, 0
	v_mov_b32_e32 v49, 0
	s_waitcnt lgkmcnt(2)
	v_mfma_f32_16x16x16_bf16 a[4:7], v[38:39], v[52:53], a[0:3]
	v_mfma_f32_16x16x16_bf16 a[8:11], v[38:39], v[50:51], a[16:19]
	s_waitcnt lgkmcnt(0)
	v_mfma_f32_16x16x16_bf16 a[12:15], v[38:39], v[34:35], a[20:23]
	v_mov_b32_e32 v34, 0
	v_mov_b32_e32 v35, 0
	v_mfma_f32_16x16x16_bf16 a[0:3], v[38:39], v[42:43], a[24:27]
	v_mov_b32_e32 v38, 0
	v_mov_b32_e32 v39, 0
	;; [unrolled: 1-line block ×4, first 2 shown]
	s_cbranch_vccnz .LBB181_12
; %bb.11:                               ;   in Loop: Header=BB181_6 Depth=1
	s_and_b32 s29, s29, 0xffff
	buffer_load_dwordx4 v[46:49], v84, s[28:31], 0 offen
	buffer_load_dwordx4 v[42:45], v84, s[28:31], s60 offen
	;; [unrolled: 1-line block ×4, first 2 shown]
	v_mov_b32_e32 v134, v86
	v_mov_b32_e32 v133, v87
.LBB181_12:                             ;   in Loop: Header=BB181_6 Depth=1
	ds_read_b64 v[62:63], v104 offset:57344
	ds_read2_b64 v[50:53], v112 offset1:16
	ds_read_b64 v[136:137], v106 offset:57344
	ds_read_b64 v[138:139], v110 offset:57344
	;; [unrolled: 1-line block ×3, first 2 shown]
	v_add_u32_e32 v64, s57, v128
	s_waitcnt lgkmcnt(3)
	v_mfma_f32_16x16x16_bf16 a[4:7], v[62:63], v[50:51], a[4:7]
	v_mfma_f32_16x16x16_bf16 a[8:11], v[62:63], v[52:53], a[8:11]
	ds_read2_b64 v[50:53], v112 offset0:32 offset1:48
	ds_read2st64_b64 v[54:57], v112 offset0:4 offset1:8
	ds_read2st64_b64 v[58:61], v113 offset0:4 offset1:8
	s_waitcnt lgkmcnt(2)
	v_mfma_f32_16x16x16_bf16 a[12:15], v[62:63], v[50:51], a[12:15]
	v_ashrrev_i32_e32 v50, 31, v64
	v_mul_lo_u32 v65, v50, s10
	v_mad_u64_u32 v[50:51], s[28:29], v64, s10, 0
	v_mfma_f32_16x16x16_bf16 a[0:3], v[62:63], v[52:53], a[0:3]
	v_mul_lo_u32 v52, v64, s11
	v_add3_u32 v51, v51, v52, v65
	v_add_u32_e32 v52, 1, v64
	v_ashrrev_i32_e32 v53, 31, v52
	s_waitcnt lgkmcnt(1)
	v_mfma_f32_16x16x16_bf16 a[4:7], v[136:137], v[54:55], a[4:7]
	v_mul_lo_u32 v54, v53, s10
	v_mul_lo_u32 v55, v52, s11
	v_mad_u64_u32 v[52:53], s[28:29], v52, s10, 0
	v_add3_u32 v53, v53, v55, v54
	v_add_u32_e32 v54, 2, v64
	v_ashrrev_i32_e32 v55, 31, v54
	v_mul_lo_u32 v62, v55, s10
	v_mul_lo_u32 v63, v54, s11
	v_mad_u64_u32 v[54:55], s[28:29], v54, s10, 0
	v_add3_u32 v55, v55, v63, v62
	v_add_u32_e32 v62, 3, v64
	v_ashrrev_i32_e32 v63, 31, v62
	v_mul_lo_u32 v64, v63, s10
	v_mul_lo_u32 v65, v62, s11
	v_mad_u64_u32 v[62:63], s[28:29], v62, s10, 0
	s_ashr_i32 s29, s57, 31
	s_add_u32 s28, s54, s57
	s_addc_u32 s29, s53, s29
	v_lshl_add_u64 v[50:51], v[50:51], 2, s[42:43]
	v_add3_u32 v63, v63, v65, v64
	s_lshl_b64 s[28:29], s[28:29], 8
	v_lshl_add_u64 v[52:53], v[52:53], 2, s[42:43]
	v_lshl_add_u64 v[54:55], v[54:55], 2, s[42:43]
	;; [unrolled: 1-line block ×3, first 2 shown]
	global_load_dword v142, v[50:51], off
	global_load_dword v143, v[52:53], off
	;; [unrolled: 1-line block ×4, first 2 shown]
	v_lshl_add_u64 v[50:51], v[68:69], 0, s[28:29]
	v_lshl_add_u64 v[54:55], v[50:51], 0, v[66:67]
	global_load_ushort v146, v[54:55], off offset:256
	global_load_ushort v147, v[54:55], off
	ds_read2st64_b64 v[50:53], v114 offset0:4 offset1:8
	global_load_ushort v148, v[54:55], off offset:768
	global_load_ushort v149, v[54:55], off offset:512
	ds_read2st64_b64 v[62:65], v115 offset0:4 offset1:8
	global_load_ushort v150, v[54:55], off offset:288
	global_load_ushort v151, v[54:55], off offset:32
	global_load_ushort v152, v[54:55], off offset:800
	global_load_ushort v153, v[54:55], off offset:544
	s_waitcnt lgkmcnt(2)
	v_mfma_f32_16x16x16_bf16 a[8:11], v[136:137], v[58:59], a[8:11]
	global_load_ushort v154, v[54:55], off offset:320
	global_load_ushort v155, v[54:55], off offset:64
	;; [unrolled: 1-line block ×4, first 2 shown]
	s_and_b64 vcc, exec, s[0:1]
	s_waitcnt lgkmcnt(1)
	v_mfma_f32_16x16x16_bf16 a[12:15], v[136:137], v[50:51], a[12:15]
	ds_read_b64 v[50:51], v112 offset:6144
	s_waitcnt lgkmcnt(1)
	v_mfma_f32_16x16x16_bf16 a[0:3], v[136:137], v[62:63], a[0:3]
	v_lshl_add_u64 v[62:63], v[70:71], 0, s[28:29]
	v_lshl_add_u64 v[62:63], v[62:63], 0, v[66:67]
	v_mfma_f32_16x16x16_bf16 a[4:7], v[138:139], v[56:57], a[4:7]
	v_mfma_f32_16x16x16_bf16 a[8:11], v[138:139], v[60:61], a[8:11]
	;; [unrolled: 1-line block ×4, first 2 shown]
	global_load_ushort v138, v[54:55], off offset:352
	global_load_ushort v139, v[54:55], off offset:96
	ds_read_b64 v[52:53], v113 offset:6144
	ds_read_b64 v[56:57], v114 offset:6144
	;; [unrolled: 1-line block ×3, first 2 shown]
	s_load_dword s44, s[44:45], 0x0
	global_load_ushort v158, v[54:55], off offset:864
	global_load_ushort v159, v[54:55], off offset:608
	s_waitcnt lgkmcnt(0)
	v_mfma_f32_16x16x16_bf16 a[4:7], v[140:141], v[50:51], a[4:7]
	s_waitcnt vmcnt(17)
	v_sub_f32_e32 v60, s44, v144
	v_mfma_f32_16x16x16_bf16 a[0:3], v[140:141], v[58:59], a[0:3]
	v_sub_f32_e32 v58, s44, v142
	v_sub_f32_e32 v59, s44, v143
	s_waitcnt vmcnt(16)
	v_sub_f32_e32 v61, s44, v145
	v_mfma_f32_16x16x16_bf16 a[8:11], v[140:141], v[52:53], a[8:11]
	v_exp_f32_e32 v58, v58
	v_exp_f32_e32 v59, v59
	v_exp_f32_e32 v60, v60
	v_exp_f32_e32 v61, v61
	v_accvgpr_read_b32 v137, a5
	s_waitcnt vmcnt(15)
	v_lshlrev_b32_e32 v65, 16, v146
	s_waitcnt vmcnt(14)
	v_lshlrev_b32_e32 v64, 16, v147
	v_accvgpr_read_b32 v136, a4
	v_accvgpr_read_b32 v51, a7
	;; [unrolled: 1-line block ×3, first 2 shown]
	v_pk_add_f32 v[64:65], v[64:65], v[136:137] neg_lo:[0,1] neg_hi:[0,1]
	s_waitcnt vmcnt(13)
	v_lshlrev_b32_e32 v137, 16, v148
	s_waitcnt vmcnt(12)
	v_lshlrev_b32_e32 v136, 16, v149
	v_pk_add_f32 v[50:51], v[136:137], v[50:51] neg_lo:[0,1] neg_hi:[0,1]
	global_store_short_d16_hi v[62:63], v64, off
	global_store_short_d16_hi v[62:63], v65, off offset:256
	global_store_short_d16_hi v[62:63], v50, off offset:512
	;; [unrolled: 1-line block ×3, first 2 shown]
	v_pk_mul_f32 v[64:65], v[58:59], v[64:65]
	v_pk_mul_f32 v[50:51], v[60:61], v[50:51]
	v_accvgpr_read_b32 v137, a9
	v_perm_b32 v64, v65, v64, s3
	v_perm_b32 v65, v51, v50, s3
	s_waitcnt vmcnt(15)
	v_lshlrev_b32_e32 v51, 16, v150
	s_waitcnt vmcnt(14)
	v_lshlrev_b32_e32 v50, 16, v151
	v_accvgpr_read_b32 v136, a8
	v_accvgpr_read_b32 v53, a11
	v_mfma_f32_16x16x16_bf16 a[12:15], v[140:141], v[56:57], a[12:15]
	v_accvgpr_read_b32 v52, a10
	v_pk_add_f32 v[50:51], v[50:51], v[136:137] neg_lo:[0,1] neg_hi:[0,1]
	s_waitcnt vmcnt(13)
	v_lshlrev_b32_e32 v137, 16, v152
	s_waitcnt vmcnt(12)
	v_lshlrev_b32_e32 v136, 16, v153
	v_pk_add_f32 v[52:53], v[136:137], v[52:53] neg_lo:[0,1] neg_hi:[0,1]
	global_store_short_d16_hi v[62:63], v50, off offset:32
	global_store_short_d16_hi v[62:63], v51, off offset:288
	;; [unrolled: 1-line block ×4, first 2 shown]
	v_pk_mul_f32 v[50:51], v[58:59], v[50:51]
	v_pk_mul_f32 v[52:53], v[60:61], v[52:53]
	v_accvgpr_read_b32 v55, a15
	v_perm_b32 v53, v53, v52, s3
	v_perm_b32 v52, v51, v50, s3
	ds_write2_b64 v89, v[64:65], v[52:53] offset1:16
	v_accvgpr_read_b32 v53, a13
	s_waitcnt vmcnt(15)
	v_lshlrev_b32_e32 v51, 16, v154
	s_waitcnt vmcnt(14)
	v_lshlrev_b32_e32 v50, 16, v155
	v_accvgpr_read_b32 v52, a12
	v_accvgpr_read_b32 v54, a14
	v_pk_add_f32 v[50:51], v[50:51], v[52:53] neg_lo:[0,1] neg_hi:[0,1]
	s_waitcnt vmcnt(13)
	v_lshlrev_b32_e32 v53, 16, v156
	s_waitcnt vmcnt(12)
	v_lshlrev_b32_e32 v52, 16, v157
	v_pk_add_f32 v[52:53], v[52:53], v[54:55] neg_lo:[0,1] neg_hi:[0,1]
	global_store_short_d16_hi v[62:63], v50, off offset:64
	global_store_short_d16_hi v[62:63], v51, off offset:320
	;; [unrolled: 1-line block ×4, first 2 shown]
	v_pk_mul_f32 v[50:51], v[58:59], v[50:51]
	v_pk_mul_f32 v[52:53], v[60:61], v[52:53]
	v_accvgpr_read_b32 v55, a1
	v_perm_b32 v50, v51, v50, s3
	v_perm_b32 v51, v53, v52, s3
	s_waitcnt vmcnt(15)
	v_lshlrev_b32_e32 v53, 16, v138
	s_waitcnt vmcnt(14)
	v_lshlrev_b32_e32 v52, 16, v139
	v_accvgpr_read_b32 v54, a0
	v_accvgpr_read_b32 v57, a3
	;; [unrolled: 1-line block ×3, first 2 shown]
	v_pk_add_f32 v[52:53], v[52:53], v[54:55] neg_lo:[0,1] neg_hi:[0,1]
	s_waitcnt vmcnt(13)
	v_lshlrev_b32_e32 v55, 16, v158
	s_waitcnt vmcnt(12)
	v_lshlrev_b32_e32 v54, 16, v159
	v_pk_add_f32 v[54:55], v[54:55], v[56:57] neg_lo:[0,1] neg_hi:[0,1]
	global_store_short_d16_hi v[62:63], v52, off offset:96
	global_store_short_d16_hi v[62:63], v53, off offset:352
	;; [unrolled: 1-line block ×4, first 2 shown]
	v_pk_mul_f32 v[52:53], v[58:59], v[52:53]
	v_pk_mul_f32 v[54:55], v[60:61], v[54:55]
	v_mov_b32_e32 v136, 0
	v_perm_b32 v55, v55, v54, s3
	v_perm_b32 v54, v53, v52, s3
	ds_write2_b64 v89, v[50:51], v[54:55] offset0:32 offset1:48
	v_mov_b32_e32 v50, 0
	v_mov_b32_e32 v51, 0
	;; [unrolled: 1-line block ×16, first 2 shown]
	s_cbranch_vccnz .LBB181_14
; %bb.13:                               ;   in Loop: Header=BB181_6 Depth=1
	s_and_b32 s37, s37, 0xffff
	s_mov_b32 s39, s31
	buffer_load_dwordx4 v[62:65], v126, s[36:39], 0 offen
	buffer_load_dwordx4 v[54:57], v126, s[36:39], s60 offen
	;; [unrolled: 1-line block ×4, first 2 shown]
	v_mov_b32_e32 v135, v83
	v_mov_b32_e32 v136, v82
.LBB181_14:                             ;   in Loop: Header=BB181_6 Depth=1
	s_waitcnt lgkmcnt(0)
	s_barrier
	ds_read_b64 v[146:147], v129
	ds_read2_b64 v[138:141], v119 offset1:16
	ds_read_b64 v[162:163], v130
	ds_read_b64 v[164:165], v131
	;; [unrolled: 1-line block ×3, first 2 shown]
	ds_read2_b64 v[142:145], v119 offset0:32 offset1:48
	s_waitcnt lgkmcnt(4)
	v_mfma_f32_16x16x16_bf16 a[0:3], v[146:147], v[138:139], 0
	ds_read2st64_b64 v[150:153], v121 offset0:4 offset1:8
	ds_read2st64_b64 v[154:157], v122 offset0:4 offset1:8
	;; [unrolled: 1-line block ×3, first 2 shown]
	v_mfma_f32_16x16x16_bf16 a[4:7], v[146:147], v[140:141], 0
	s_add_i32 s28, s52, s63
	s_mul_hi_i32 s29, s28, s47
	s_mul_i32 s28, s28, s47
	s_waitcnt lgkmcnt(3)
	v_mfma_f32_16x16x16_bf16 a[8:11], v[146:147], v[142:143], 0
	s_add_u32 s28, s28, s46
	s_addc_u32 s29, s29, s58
	s_lshl_b64 s[28:29], s[28:29], 15
	v_mfma_f32_16x16x16_bf16 a[12:15], v[146:147], v[144:145], 0
	ds_read2st64_b64 v[146:149], v119 offset0:4 offset1:8
	s_waitcnt lgkmcnt(0)
	v_mfma_f32_16x16x16_bf16 a[0:3], v[162:163], v[146:147], a[0:3]
	v_mfma_f32_16x16x16_bf16 a[4:7], v[162:163], v[150:151], a[4:7]
	;; [unrolled: 1-line block ×8, first 2 shown]
	ds_read_b64 v[162:163], v119 offset:6144
	ds_read_b64 v[164:165], v120 offset:40960
	;; [unrolled: 1-line block ×8, first 2 shown]
	s_waitcnt lgkmcnt(5)
	v_mfma_f32_16x16x16_bf16 a[16:19], v[168:169], v[138:139], 0
	v_mfma_f32_16x16x16_bf16 a[20:23], v[168:169], v[140:141], 0
	ds_read2st64_b64 v[138:141], v116 offset1:8
	v_mfma_f32_16x16x16_bf16 a[24:27], v[168:169], v[142:143], 0
	v_mfma_f32_16x16x16_bf16 a[28:31], v[168:169], v[144:145], 0
	ds_read2st64_b64 v[142:145], v117 offset1:8
	v_mfma_f32_16x16x16_bf16 a[16:19], v[164:165], v[146:147], a[16:19]
	s_waitcnt lgkmcnt(1)
	v_mov_b32_e32 v146, v138
	v_mov_b32_e32 v147, v139
	v_mfma_f32_16x16x16_bf16 a[20:23], v[164:165], v[150:151], a[20:23]
	v_lshl_add_u64 v[150:151], v[72:73], 0, s[28:29]
	v_mfma_f32_16x16x16_bf16 a[24:27], v[164:165], v[154:155], a[24:27]
	v_mfma_f32_16x16x16_bf16 a[28:31], v[164:165], v[158:159], a[28:31]
	;; [unrolled: 1-line block ×3, first 2 shown]
	s_waitcnt lgkmcnt(0)
	v_mov_b32_e32 v148, v142
	v_mov_b32_e32 v149, v143
	v_mov_b32_e32 v142, v140
	v_mfma_f32_16x16x16_bf16 a[32:35], v[176:177], v[152:153], a[20:23]
	v_mov_b32_e32 v143, v141
	ds_read2st64_b64 v[138:141], v116 offset0:16 offset1:24
	global_store_dwordx4 v[150:151], v[146:149], off
	v_mfma_f32_16x16x16_bf16 a[24:27], v[176:177], v[156:157], a[24:27]
	ds_read2st64_b64 v[146:149], v117 offset0:16 offset1:24
	v_add_co_u32_e32 v152, vcc, s25, v150
	v_mfma_f32_16x16x16_bf16 a[28:31], v[176:177], v[160:161], a[28:31]
	s_nop 0
	v_addc_co_u32_e32 v153, vcc, 0, v151, vcc
	global_store_dwordx4 v[152:153], v[142:145], off offset:-4096
	v_mfma_f32_16x16x16_bf16 a[0:3], v[166:167], v[162:163], a[0:3]
	s_waitcnt lgkmcnt(1)
	v_mov_b32_e32 v142, v138
	v_add_co_u32_e32 v138, vcc, s64, v150
	v_mfma_f32_16x16x16_bf16 a[4:7], v[166:167], v[170:171], a[4:7]
	v_mov_b32_e32 v143, v139
	v_addc_co_u32_e32 v139, vcc, 0, v151, vcc
	v_mfma_f32_16x16x16_bf16 a[8:11], v[166:167], v[172:173], a[8:11]
	s_waitcnt lgkmcnt(0)
	v_mov_b32_e32 v144, v146
	v_mov_b32_e32 v145, v147
	;; [unrolled: 1-line block ×3, first 2 shown]
	v_mfma_f32_16x16x16_bf16 a[12:15], v[166:167], v[174:175], a[12:15]
	v_mov_b32_e32 v147, v141
	s_and_b64 vcc, exec, s[0:1]
	global_store_dwordx4 v[152:153], v[142:145], off
	v_mfma_f32_16x16x16_bf16 a[20:23], v[178:179], v[162:163], a[16:19]
	global_store_dwordx4 v[138:139], v[146:149], off
	v_mfma_f32_16x16x16_bf16 a[16:19], v[178:179], v[170:171], a[32:35]
	v_mfma_f32_16x16x16_bf16 a[24:27], v[178:179], v[172:173], a[24:27]
	;; [unrolled: 1-line block ×3, first 2 shown]
	s_cbranch_vccnz .LBB181_16
; %bb.15:                               ;   in Loop: Header=BB181_6 Depth=1
	v_lshrrev_b32_e32 v137, 3, v135
	v_and_b32_e32 v137, 6, v137
	v_xor_b32_e32 v136, v137, v136
	v_lshlrev_b32_e32 v136, 2, v136
	v_and_b32_e32 v135, 8, v135
	v_xor_b32_e32 v138, 0x440, v136
	v_cmp_eq_u32_e32 vcc, 0, v135
	s_barrier
	s_nop 0
	v_cndmask_b32_e32 v135, v138, v136, vcc
	v_lshl_or_b32 v135, v137, 10, v135
	s_waitcnt vmcnt(5)
	v_perm_b32 v136, v62, v58, s61
	s_waitcnt vmcnt(4)
	v_perm_b32 v137, v54, v50, s61
	ds_write2st64_b32 v135, v136, v137 offset0:128 offset1:160
	v_xor_b32_e32 v136, 8, v135
	v_perm_b32 v58, v62, v58, s62
	v_perm_b32 v50, v54, v50, s62
	v_add_u32_e32 v54, 0x80, v136
	ds_write2st64_b32 v54, v58, v50 offset0:128 offset1:160
	v_xor_b32_e32 v50, 16, v135
	v_perm_b32 v54, v63, v59, s61
	v_perm_b32 v58, v55, v51, s61
	ds_write2st64_b32 v50, v54, v58 offset0:129 offset1:161
	v_xor_b32_e32 v50, 24, v135
	v_perm_b32 v54, v63, v59, s62
	v_perm_b32 v51, v55, v51, s62
	v_add_u32_e32 v50, 0x80, v50
	ds_write2st64_b32 v50, v54, v51 offset0:129 offset1:161
	v_xor_b32_e32 v50, 32, v135
	v_perm_b32 v51, v64, v60, s61
	;; [unrolled: 9-line block ×3, first 2 shown]
	v_perm_b32 v52, v57, v53, s61
	ds_write2st64_b32 v50, v51, v52 offset0:131 offset1:163
	v_xor_b32_e32 v50, 56, v135
	v_perm_b32 v51, v65, v61, s62
	v_perm_b32 v52, v57, v53, s62
	v_add_u32_e32 v50, 0x80, v50
	ds_write2st64_b32 v50, v51, v52 offset0:131 offset1:163
	ds_write_b64 v134, v[46:47] offset:49152
	v_xor_b32_e32 v46, 8, v134
	ds_write_b64 v46, v[48:49] offset:49152
	ds_write_b64 v134, v[42:43] offset:57344
	;; [unrolled: 1-line block ×4, first 2 shown]
	v_xor_b32_e32 v38, 8, v133
	ds_write_b64 v38, v[40:41] offset:49152
	ds_write_b64 v133, v[34:35] offset:57344
	;; [unrolled: 1-line block ×3, first 2 shown]
.LBB181_16:                             ;   in Loop: Header=BB181_6 Depth=1
	v_exp_f32_e32 v134, s44
	v_accvgpr_read_b32 v37, a3
	v_accvgpr_read_b32 v41, a7
	;; [unrolled: 1-line block ×4, first 2 shown]
	s_waitcnt vmcnt(4)
	v_accvgpr_read_b32 v53, a23
	v_accvgpr_read_b32 v57, a19
	;; [unrolled: 1-line block ×28, first 2 shown]
	s_add_i32 s57, s57, 64
	v_pk_fma_f32 v[30:31], v[134:135], v[30:31], v[34:35] op_sel_hi:[0,1,1]
	v_pk_fma_f32 v[32:33], v[134:135], v[32:33], v[36:37] op_sel_hi:[0,1,1]
	v_pk_fma_f32 v[22:23], v[134:135], v[22:23], v[38:39] op_sel_hi:[0,1,1]
	v_pk_fma_f32 v[24:25], v[134:135], v[24:25], v[40:41] op_sel_hi:[0,1,1]
	v_pk_fma_f32 v[14:15], v[134:135], v[14:15], v[42:43] op_sel_hi:[0,1,1]
	v_pk_fma_f32 v[16:17], v[134:135], v[16:17], v[44:45] op_sel_hi:[0,1,1]
	v_pk_fma_f32 v[2:3], v[134:135], v[2:3], v[46:47] op_sel_hi:[0,1,1]
	v_pk_fma_f32 v[4:5], v[134:135], v[4:5], v[48:49] op_sel_hi:[0,1,1]
	v_pk_fma_f32 v[26:27], v[134:135], v[26:27], v[50:51] op_sel_hi:[0,1,1]
	v_pk_fma_f32 v[28:29], v[134:135], v[28:29], v[52:53] op_sel_hi:[0,1,1]
	v_pk_fma_f32 v[18:19], v[134:135], v[18:19], v[54:55] op_sel_hi:[0,1,1]
	v_pk_fma_f32 v[20:21], v[134:135], v[20:21], v[56:57] op_sel_hi:[0,1,1]
	v_pk_fma_f32 v[10:11], v[134:135], v[10:11], v[58:59] op_sel_hi:[0,1,1]
	v_pk_fma_f32 v[12:13], v[134:135], v[12:13], v[60:61] op_sel_hi:[0,1,1]
	v_pk_fma_f32 v[6:7], v[134:135], v[6:7], v[62:63] op_sel_hi:[0,1,1]
	s_cmp_eq_u32 s51, s65
	v_pk_fma_f32 v[8:9], v[134:135], v[8:9], v[64:65] op_sel_hi:[0,1,1]
	s_cbranch_scc1 .LBB181_18
; %bb.17:                               ;   in Loop: Header=BB181_6 Depth=1
	s_mov_b32 s63, s65
	s_branch .LBB181_6
.LBB181_18:
	s_lshl_b32 s3, s51, 6
	s_sub_i32 s56, s56, s3
	s_cmp_gt_i32 s56, 0
	v_or_b32_e32 v50, s2, v78
	s_cbranch_scc1 .LBB181_20
; %bb.19:
	s_ashr_i32 s37, s46, 31
	v_or_b32_e32 v34, s2, v78
	s_cbranch_execz .LBB181_21
	s_branch .LBB181_101
.LBB181_20:
                                        ; implicit-def: $vgpr34
                                        ; implicit-def: $sgpr36_sgpr37
.LBB181_21:
	s_add_i32 s36, s3, s40
	s_ashr_i32 s3, s36, 31
	s_cmpk_lg_i32 s23, 0x80
	s_cselect_b64 s[42:43], -1, 0
	s_and_b64 vcc, exec, s[42:43]
	s_cbranch_vccz .LBB181_23
; %bb.22:
	s_mul_hi_i32 s0, s36, s22
	s_mul_i32 s1, s36, s22
	s_ashr_i32 s22, s55, 31
	s_add_u32 s44, s1, s55
	s_addc_u32 s45, s0, s22
	s_cbranch_execz .LBB181_24
	s_branch .LBB181_25
.LBB181_23:
                                        ; implicit-def: $sgpr44_sgpr45
.LBB181_24:
	s_mul_i32 s1, s55, s20
	s_mul_hi_i32 s0, s55, s20
	s_add_u32 s44, s1, s36
	s_addc_u32 s45, s0, s3
.LBB181_25:
	s_add_i32 s20, s51, s52
	s_ashr_i32 s37, s46, 31
	s_add_u32 s0, s54, s36
	v_lshlrev_b32_e32 v38, 6, v1
	v_lshlrev_b32_e32 v58, 2, v78
	s_addc_u32 s1, s53, s3
	s_mov_b32 s3, 0x7060302
	v_or_b32_e32 v41, v38, v58
	v_xor_b32_e32 v39, v1, v58
	v_perm_b32 v35, v33, v32, s3
	v_perm_b32 v34, v31, v30, s3
	;; [unrolled: 1-line block ×4, first 2 shown]
	v_lshlrev_b32_e32 v41, 1, v41
	v_xor_b32_e32 v40, v81, v58
	ds_write2st64_b64 v41, v[34:35], v[36:37] offset0:32 offset1:48
	v_lshlrev_b32_e32 v39, 1, v39
	v_lshlrev_b32_e32 v41, 8, v78
	v_or_b32_e32 v42, v39, v41
	v_lshlrev_b32_e32 v40, 1, v40
	ds_write_b64 v42, v[34:35]
	v_or_b32_e32 v34, v40, v41
	v_or_b32_e32 v41, 16, v78
	v_lshlrev_b32_e32 v57, 2, v41
	v_or_b32_e32 v42, v38, v57
	ds_write_b64 v34, v[36:37]
	v_perm_b32 v35, v25, v24, s3
	v_perm_b32 v34, v23, v22, s3
	;; [unrolled: 1-line block ×4, first 2 shown]
	v_lshlrev_b32_e32 v42, 1, v42
	v_lshlrev_b32_e32 v41, 8, v41
	ds_write2st64_b64 v42, v[34:35], v[36:37] offset0:32 offset1:48
	v_or_b32_e32 v42, v39, v41
	ds_write_b64 v42, v[34:35]
	v_or_b32_e32 v34, v40, v41
	v_or_b32_e32 v41, 32, v78
	v_lshlrev_b32_e32 v56, 2, v41
	v_or_b32_e32 v42, v38, v56
	ds_write_b64 v34, v[36:37]
	v_perm_b32 v35, v17, v16, s3
	v_perm_b32 v34, v15, v14, s3
	;; [unrolled: 1-line block ×4, first 2 shown]
	v_lshlrev_b32_e32 v42, 1, v42
	v_lshlrev_b32_e32 v41, 8, v41
	s_lshl_b64 s[38:39], s[0:1], 8
	ds_write2st64_b64 v42, v[34:35], v[36:37] offset0:32 offset1:48
	v_or_b32_e32 v42, v39, v41
	s_add_u32 s0, s14, s38
	ds_write_b64 v42, v[34:35]
	v_or_b32_e32 v34, v40, v41
	s_addc_u32 s1, s15, s39
	ds_write_b64 v34, v[36:37]
	v_perm_b32 v35, v5, v4, s3
	v_perm_b32 v34, v3, v2, s3
	v_perm_b32 v37, v9, v8, s3
	v_perm_b32 v36, v7, v6, s3
	v_or_b32_e32 v41, 48, v78
	s_mul_hi_i32 s3, s20, s21
	s_mul_i32 s20, s20, s21
	v_lshlrev_b32_e32 v53, 2, v41
	s_add_u32 s14, s20, s46
	v_or_b32_e32 v38, v38, v53
	s_addc_u32 s15, s3, s37
	v_lshlrev_b32_e32 v38, 1, v38
	s_ashr_i32 s3, s2, 31
	s_lshl_b64 s[14:15], s[14:15], 15
	ds_write2st64_b64 v38, v[34:35], v[36:37] offset0:32 offset1:48
	v_lshlrev_b32_e32 v38, 8, v41
	s_add_u32 s4, s4, s14
	v_or_b32_e32 v39, v39, v38
	s_addc_u32 s5, s5, s15
	s_lshl_b64 s[2:3], s[2:3], 8
	ds_write_b64 v39, v[34:35]
	v_or_b32_e32 v34, v40, v38
	s_add_u32 s2, s4, s2
	v_lshlrev_b32_e32 v35, 1, v78
	ds_write_b64 v34, v[36:37]
	v_lshrrev_b32_e32 v34, 4, v0
	s_addc_u32 s3, s5, s3
	v_or_b32_e32 v36, 1, v35
	v_lshlrev_b32_e32 v42, 4, v78
	v_mov_b32_e32 v43, 0
	v_xor_b32_e32 v35, v34, v35
	v_xor_b32_e32 v38, v36, v34
	v_lshl_add_u64 v[44:45], s[2:3], 0, v[42:43]
	v_lshlrev_b32_e32 v42, 8, v34
	v_lshl_or_b32 v48, v35, 3, v42
	v_lshl_or_b32 v49, v38, 3, v42
	s_waitcnt lgkmcnt(0)
	s_barrier
	ds_read2st64_b64 v[34:37], v48 offset1:8
	ds_read2st64_b64 v[38:41], v49 offset1:8
	v_lshl_add_u64 v[46:47], v[44:45], 0, v[42:43]
	s_movk_i32 s2, 0x2000
	s_cmp_lg_u32 s56, 64
	s_waitcnt lgkmcnt(1)
	v_mov_b32_e32 v42, v34
	v_mov_b32_e32 v43, v35
	s_waitcnt lgkmcnt(0)
	v_mov_b32_e32 v44, v38
	v_mov_b32_e32 v45, v39
	global_store_dwordx4 v[46:47], v[42:45], off
	v_mov_b32_e32 v38, v36
	v_mov_b32_e32 v39, v37
	ds_read2st64_b64 v[34:37], v48 offset0:16 offset1:24
	ds_read2st64_b64 v[42:45], v49 offset0:16 offset1:24
	v_add_co_u32_e32 v48, vcc, s2, v46
	s_cselect_b64 s[4:5], -1, 0
	s_nop 0
	v_addc_co_u32_e32 v49, vcc, 0, v47, vcc
	global_store_dwordx4 v[48:49], v[38:41], off offset:-4096
	v_lshl_or_b32 v51, v74, 3, v80
	s_mov_b32 s28, 0
	s_waitcnt lgkmcnt(1)
	v_mov_b32_e32 v38, v34
	v_add_co_u32_e32 v34, vcc, 0x3000, v46
	v_mov_b32_e32 v39, v35
	s_nop 0
	v_addc_co_u32_e32 v35, vcc, 0, v47, vcc
	s_waitcnt lgkmcnt(0)
	v_mov_b32_e32 v40, v42
	v_mov_b32_e32 v41, v43
	;; [unrolled: 1-line block ×4, first 2 shown]
	v_or_b32_e32 v54, 32, v51
	v_and_b32_e32 v52, 56, v79
	s_and_b64 vcc, exec, s[4:5]
	global_store_dwordx4 v[48:49], v[38:41], off
	global_store_dwordx4 v[34:35], v[42:45], off
	s_cbranch_vccz .LBB181_31
; %bb.26:
	s_mov_b32 s30, s28
	s_mov_b32 s31, s28
	;; [unrolled: 1-line block ×3, first 2 shown]
	v_mov_b64_e32 v[40:41], s[30:31]
	v_mov_b64_e32 v[38:39], s[28:29]
	;; [unrolled: 1-line block ×3, first 2 shown]
	v_cmp_gt_i32_e32 vcc, s56, v51
	v_mov_b64_e32 v[36:37], v[40:41]
	s_and_saveexec_b64 s[2:3], vcc
	s_cbranch_execz .LBB181_28
; %bb.27:
	v_lshlrev_b32_e32 v34, 8, v51
	v_mov_b32_e32 v35, 0
	v_lshl_add_u64 v[36:37], s[0:1], 0, v[34:35]
	v_lshlrev_b32_e32 v34, 1, v52
	v_lshl_add_u64 v[42:43], v[36:37], 0, v[34:35]
	global_load_dwordx4 v[38:41], v[42:43], off
	global_load_dwordx4 v[34:37], v[42:43], off offset:128
.LBB181_28:
	s_or_b64 exec, exec, s[2:3]
	s_mov_b32 s30, s28
	s_mov_b32 s31, s28
	;; [unrolled: 1-line block ×3, first 2 shown]
	v_mov_b64_e32 v[48:49], s[30:31]
	v_mov_b64_e32 v[46:47], s[28:29]
	;; [unrolled: 1-line block ×3, first 2 shown]
	v_cmp_gt_i32_e32 vcc, s56, v54
	v_lshlrev_b32_e32 v55, 7, v54
	v_mov_b64_e32 v[44:45], v[48:49]
	s_and_saveexec_b64 s[2:3], vcc
	s_cbranch_execz .LBB181_30
; %bb.29:
	v_lshlrev_b32_e32 v42, 1, v55
	v_mov_b32_e32 v43, 0
	v_lshl_add_u64 v[44:45], s[0:1], 0, v[42:43]
	v_lshlrev_b32_e32 v42, 1, v52
	v_lshl_add_u64 v[60:61], v[44:45], 0, v[42:43]
	global_load_dwordx4 v[46:49], v[60:61], off
	global_load_dwordx4 v[42:45], v[60:61], off offset:128
.LBB181_30:
	s_or_b64 exec, exec, s[2:3]
	v_lshrrev_b32_e32 v59, 3, v52
	v_lshlrev_b32_e32 v60, 3, v51
	v_or_b32_e32 v59, v60, v59
	v_lshlrev_b32_e32 v59, 4, v59
	v_and_b32_e32 v60, 0x78, v60
	v_xor_b32_e32 v59, v59, v60
	s_branch .LBB181_33
.LBB181_31:
                                        ; implicit-def: $vgpr59
                                        ; implicit-def: $vgpr55
                                        ; implicit-def: $vgpr38_vgpr39_vgpr40_vgpr41
                                        ; implicit-def: $vgpr34_vgpr35_vgpr36_vgpr37
                                        ; implicit-def: $vgpr46_vgpr47_vgpr48_vgpr49
                                        ; implicit-def: $vgpr42_vgpr43_vgpr44_vgpr45
	s_cbranch_execz .LBB181_33
; %bb.32:
	s_waitcnt vmcnt(0)
	v_lshlrev_b32_e32 v34, 1, v52
	v_lshl_or_b32 v55, v51, 8, v34
	s_and_b32 s1, s1, 0xffff
	s_mov_b32 s3, 0x20000
	s_movk_i32 s2, 0x4000
	v_lshl_or_b32 v59, v54, 8, v34
	s_movk_i32 s14, 0x80
	buffer_load_dwordx4 v[38:41], v55, s[0:3], 0 offen
	buffer_load_dwordx4 v[34:37], v55, s[0:3], s14 offen
	;; [unrolled: 1-line block ×4, first 2 shown]
	v_lshrrev_b32_e32 v55, 3, v52
	v_lshlrev_b32_e32 v59, 3, v51
	v_or_b32_e32 v55, v59, v55
	v_lshlrev_b32_e32 v55, 4, v55
	v_and_b32_e32 v59, 0x78, v59
	v_xor_b32_e32 v59, v55, v59
	v_lshlrev_b32_e32 v55, 7, v54
.LBB181_33:
	s_movk_i32 s0, 0x1000
	v_and_or_b32 v54, v55, s0, v59
	s_waitcnt vmcnt(1)
	ds_write_b64 v59, v[38:39] offset:49152
	v_xor_b32_e32 v38, 8, v59
	ds_write_b64 v38, v[40:41] offset:49152
	s_waitcnt vmcnt(0)
	ds_write_b64 v59, v[34:35] offset:57344
	ds_write_b64 v38, v[36:37] offset:57344
	;; [unrolled: 1-line block ×3, first 2 shown]
	v_xor_b32_e32 v34, 8, v54
	ds_write_b64 v34, v[48:49] offset:49152
	ds_write_b64 v54, v[42:43] offset:57344
	;; [unrolled: 1-line block ×3, first 2 shown]
	v_or_b32_e32 v34, v75, v78
	v_lshlrev_b32_e32 v34, 3, v34
	v_lshrrev_b32_e32 v35, 5, v76
	s_movk_i32 s0, 0xf8
	v_and_or_b32 v35, v34, s0, v35
	v_lshlrev_b32_e32 v39, 4, v35
	v_lshlrev_b32_e32 v59, 11, v74
	v_and_b32_e32 v40, 0x78, v34
	v_or_b32_e32 v42, 32, v39
	v_and_b32_e32 v38, 0x1000, v59
	v_lshrrev_b32_e32 v35, 1, v76
	v_xor_b32_e32 v42, v42, v40
	v_xor_b32_e32 v34, v39, v40
	v_and_b32_e32 v41, 8, v35
	v_or_b32_e32 v42, v42, v38
	v_or_b32_e32 v34, v34, v38
	v_xor_b32_e32 v65, v42, v41
	v_or_b32_e32 v42, 64, v39
	v_xor_b32_e32 v64, v34, v41
	v_xor_b32_e32 v42, v42, v40
	s_waitcnt lgkmcnt(0)
	s_barrier
	v_or_b32_e32 v45, v42, v38
	ds_read_b64 v[42:43], v64 offset:49152
	v_lshl_or_b32 v46, v77, 8, v58
	v_lshlrev_b32_e32 v60, 1, v46
	v_add_u32_e32 v44, 0x4000, v60
	ds_read2_b64 v[34:37], v44 offset1:16
	v_or_b32_e32 v39, 0x60, v39
	v_xor_b32_e32 v39, v39, v40
	v_or_b32_e32 v38, v39, v38
	v_xor_b32_e32 v66, v45, v41
	v_xor_b32_e32 v67, v38, v41
	ds_read_b64 v[54:55], v65 offset:49152
	ds_read_b64 v[68:69], v66 offset:49152
	;; [unrolled: 1-line block ×3, first 2 shown]
	s_waitcnt lgkmcnt(3)
	v_mfma_f32_16x16x16_bf16 a[0:3], v[42:43], v[34:35], 0
	ds_read2_b64 v[38:41], v44 offset0:32 offset1:48
	s_lshl_b64 s[0:1], s[44:45], 8
	s_add_u32 s12, s12, s0
	v_mfma_f32_16x16x16_bf16 a[4:7], v[42:43], v[36:37], 0
	ds_read2st64_b64 v[34:37], v60 offset0:36 offset1:40
	s_addc_u32 s13, s13, s1
	s_add_i32 s2, s41, -1
	s_waitcnt lgkmcnt(1)
	v_mfma_f32_16x16x16_bf16 a[8:11], v[42:43], v[38:39], 0
	v_or_b32_e32 v38, 64, v46
	v_lshlrev_b32_e32 v61, 1, v38
	s_add_i32 s0, s49, s48
	s_waitcnt lgkmcnt(0)
	v_mfma_f32_16x16x16_bf16 a[0:3], v[54:55], v[34:35], a[0:3]
	v_or_b32_e32 v34, 0x80, v46
	v_lshlrev_b32_e32 v62, 1, v34
	v_or_b32_e32 v34, 0xc0, v46
	v_mfma_f32_16x16x16_bf16 a[12:15], v[42:43], v[40:41], 0
	ds_read2st64_b64 v[38:41], v61 offset0:36 offset1:40
	v_lshlrev_b32_e32 v63, 1, v34
	ds_read2st64_b64 v[42:45], v62 offset0:36 offset1:40
	ds_read2st64_b64 v[46:49], v63 offset0:36 offset1:40
	s_add_i32 s25, s0, s50
	s_mul_i32 s0, s46, s27
	s_mul_hi_u32 s1, s46, s26
	s_ashr_i32 s3, s2, 31
	s_mul_i32 s14, s2, s11
	s_mul_hi_u32 s15, s2, s10
	s_waitcnt lgkmcnt(2)
	v_mfma_f32_16x16x16_bf16 a[4:7], v[54:55], v[38:39], a[4:7]
	s_add_i32 s0, s1, s0
	s_mul_i32 s1, s37, s26
	s_add_i32 s14, s15, s14
	s_mul_i32 s3, s3, s10
	s_waitcnt lgkmcnt(1)
	v_mfma_f32_16x16x16_bf16 a[8:11], v[54:55], v[42:43], a[8:11]
	s_add_i32 s1, s0, s1
	s_add_i32 s3, s14, s3
	s_lshl_b64 s[14:15], s[24:25], 2
	s_waitcnt lgkmcnt(0)
	v_mfma_f32_16x16x16_bf16 a[12:15], v[54:55], v[46:47], a[12:15]
	s_mul_i32 s0, s46, s26
	s_add_u32 s14, s18, s14
	s_addc_u32 s15, s19, s15
	s_lshl_b64 s[0:1], s[0:1], 2
	v_mfma_f32_16x16x16_bf16 a[0:3], v[68:69], v[36:37], a[0:3]
	s_mul_i32 s2, s2, s10
	ds_read_b64 v[34:35], v60 offset:22528
	s_add_u32 s18, s14, s0
	v_mfma_f32_16x16x16_bf16 a[4:7], v[68:69], v[40:41], a[4:7]
	ds_read_b64 v[36:37], v61 offset:22528
	ds_read_b64 v[38:39], v62 offset:22528
	;; [unrolled: 1-line block ×3, first 2 shown]
	s_addc_u32 s19, s15, s1
	s_lshl_b64 s[0:1], s[2:3], 2
	v_mfma_f32_16x16x16_bf16 a[8:11], v[68:69], v[44:45], a[8:11]
	s_add_u32 s0, s18, s0
	s_addc_u32 s1, s19, s1
	s_load_dword s20, s[0:1], 0x0
	v_mfma_f32_16x16x16_bf16 a[12:15], v[68:69], v[48:49], a[12:15]
	s_and_b64 vcc, exec, s[42:43]
	s_waitcnt lgkmcnt(0)
	v_mfma_f32_16x16x16_bf16 a[0:3], v[70:71], v[34:35], a[0:3]
	v_mfma_f32_16x16x16_bf16 a[4:7], v[70:71], v[36:37], a[4:7]
	v_mfma_f32_16x16x16_bf16 a[8:11], v[70:71], v[38:39], a[8:11]
	v_mfma_f32_16x16x16_bf16 a[12:15], v[70:71], v[40:41], a[12:15]
	s_cbranch_vccz .LBB181_44
; %bb.34:
	v_lshlrev_b32_e32 v54, 1, v51
	s_and_b64 vcc, exec, s[4:5]
	s_cbranch_vccz .LBB181_45
; %bb.35:
	v_cmp_gt_i32_e32 vcc, s56, v54
	v_mov_b32_e32 v38, 0
	v_mov_b32_e32 v34, 0
	;; [unrolled: 1-line block ×5, first 2 shown]
	s_and_saveexec_b64 s[0:1], vcc
	s_cbranch_execz .LBB181_37
; %bb.36:
	v_mad_i64_i32 v[34:35], s[2:3], s23, v54, 0
	v_lshl_add_u64 v[34:35], v[34:35], 1, s[12:13]
	v_lshlrev_b32_e32 v36, 1, v52
	v_mov_b32_e32 v37, 0
	v_lshl_add_u64 v[34:35], v[34:35], 0, v[36:37]
	global_load_dwordx4 v[34:37], v[34:35], off
.LBB181_37:
	s_or_b64 exec, exec, s[0:1]
	v_or_b32_e32 v55, 1, v54
	v_cmp_gt_i32_e64 s[0:1], s56, v55
	v_mov_b32_e32 v39, 0
	v_mov_b32_e32 v40, 0
	v_mov_b32_e32 v41, 0
	s_and_saveexec_b64 s[2:3], s[0:1]
	s_cbranch_execz .LBB181_39
; %bb.38:
	v_mad_i64_i32 v[38:39], s[14:15], s23, v55, 0
	v_lshl_add_u64 v[38:39], v[38:39], 1, s[12:13]
	v_lshlrev_b32_e32 v40, 1, v52
	v_mov_b32_e32 v41, 0
	v_lshl_add_u64 v[38:39], v[38:39], 0, v[40:41]
	global_load_dwordx4 v[38:41], v[38:39], off
.LBB181_39:
	s_or_b64 exec, exec, s[2:3]
	v_mov_b32_e32 v49, 0
	v_mov_b32_e32 v42, 0
	;; [unrolled: 1-line block ×5, first 2 shown]
	s_and_saveexec_b64 s[2:3], vcc
	s_cbranch_execz .LBB181_41
; %bb.40:
	v_mad_i64_i32 v[42:43], s[14:15], s23, v54, 0
	v_lshl_add_u64 v[42:43], v[42:43], 1, s[12:13]
	v_lshlrev_b32_e32 v44, 1, v52
	v_mov_b32_e32 v45, 0
	v_lshl_add_u64 v[42:43], v[42:43], 0, v[44:45]
	global_load_dwordx4 v[42:45], v[42:43], off offset:128
.LBB181_41:
	s_or_b64 exec, exec, s[2:3]
	v_mov_b32_e32 v48, 0
	v_mov_b32_e32 v47, 0
	;; [unrolled: 1-line block ×3, first 2 shown]
	s_and_saveexec_b64 s[2:3], s[0:1]
	s_cbranch_execz .LBB181_43
; %bb.42:
	v_mad_i64_i32 v[46:47], s[0:1], s23, v55, 0
	v_lshl_add_u64 v[46:47], v[46:47], 1, s[12:13]
	v_lshlrev_b32_e32 v48, 1, v52
	v_mov_b32_e32 v49, 0
	v_lshl_add_u64 v[46:47], v[46:47], 0, v[48:49]
	global_load_dwordx4 v[46:49], v[46:47], off offset:128
.LBB181_43:
	s_or_b64 exec, exec, s[2:3]
	s_branch .LBB181_47
.LBB181_44:
                                        ; implicit-def: $vgpr37
                                        ; implicit-def: $vgpr41
                                        ; implicit-def: $vgpr45
                                        ; implicit-def: $vgpr49
	v_lshrrev_b32_e32 v68, 2, v76
	s_branch .LBB181_48
.LBB181_45:
                                        ; implicit-def: $vgpr37
                                        ; implicit-def: $vgpr41
                                        ; implicit-def: $vgpr45
                                        ; implicit-def: $vgpr49
	s_cbranch_execz .LBB181_47
; %bb.46:
	s_waitcnt vmcnt(0)
	v_mad_u64_u32 v[34:35], s[0:1], v54, s23, v[52:53]
	v_lshlrev_b32_e32 v54, 1, v34
	s_lshl_b32 s2, s23, 7
	s_and_b32 s1, s13, 0xffff
	s_mov_b32 s3, 0x20000
	s_mov_b32 s0, s12
	v_add_lshl_u32 v55, v34, s23, 1
	s_movk_i32 s14, 0x80
	buffer_load_dwordx4 v[34:37], v54, s[0:3], 0 offen
	buffer_load_dwordx4 v[42:45], v54, s[0:3], s14 offen
	;; [unrolled: 1-line block ×4, first 2 shown]
.LBB181_47:
	v_lshrrev_b32_e32 v68, 2, v76
	s_cbranch_execnz .LBB181_60
.LBB181_48:
	s_and_b64 vcc, exec, s[4:5]
	s_cbranch_vccz .LBB181_58
; %bb.49:
	s_waitcnt vmcnt(0)
	v_lshlrev_b32_e32 v39, 1, v51
	v_cmp_gt_i32_e32 vcc, s56, v39
	v_mov_b32_e32 v38, 0
	v_lshlrev_b32_e32 v46, 9, v51
	v_mov_b32_e32 v34, 0
	v_mov_b32_e32 v35, 0
	;; [unrolled: 1-line block ×4, first 2 shown]
	s_and_saveexec_b64 s[0:1], vcc
	s_cbranch_execz .LBB181_51
; %bb.50:
	v_mov_b32_e32 v47, 0
	v_lshl_add_u64 v[34:35], s[12:13], 0, v[46:47]
	v_lshlrev_b32_e32 v36, 1, v52
	v_mov_b32_e32 v37, v47
	v_lshl_add_u64 v[34:35], v[34:35], 0, v[36:37]
	global_load_dwordx4 v[34:37], v[34:35], off
.LBB181_51:
	s_or_b64 exec, exec, s[0:1]
	v_or_b32_e32 v39, 1, v39
	v_cmp_gt_i32_e64 s[0:1], s56, v39
	v_lshlrev_b32_e32 v54, 8, v39
	v_mov_b32_e32 v39, 0
	v_mov_b32_e32 v40, 0
	;; [unrolled: 1-line block ×3, first 2 shown]
	s_and_saveexec_b64 s[2:3], s[0:1]
	s_cbranch_execz .LBB181_53
; %bb.52:
	v_mov_b32_e32 v55, 0
	v_lshl_add_u64 v[38:39], s[12:13], 0, v[54:55]
	v_lshlrev_b32_e32 v40, 1, v52
	v_mov_b32_e32 v41, v55
	v_lshl_add_u64 v[38:39], v[38:39], 0, v[40:41]
	global_load_dwordx4 v[38:41], v[38:39], off
.LBB181_53:
	s_or_b64 exec, exec, s[2:3]
	v_mov_b32_e32 v49, 0
	v_mov_b32_e32 v42, 0
	;; [unrolled: 1-line block ×5, first 2 shown]
	s_and_saveexec_b64 s[2:3], vcc
	s_cbranch_execz .LBB181_55
; %bb.54:
	v_mov_b32_e32 v47, 0
	v_lshl_add_u64 v[42:43], s[12:13], 0, v[46:47]
	v_lshlrev_b32_e32 v46, 1, v52
	v_lshl_add_u64 v[42:43], v[42:43], 0, v[46:47]
	global_load_dwordx4 v[42:45], v[42:43], off offset:128
.LBB181_55:
	s_or_b64 exec, exec, s[2:3]
	v_mov_b32_e32 v48, 0
	v_mov_b32_e32 v47, 0
	;; [unrolled: 1-line block ×3, first 2 shown]
	s_and_saveexec_b64 s[2:3], s[0:1]
	s_cbranch_execz .LBB181_57
; %bb.56:
	v_mov_b32_e32 v55, 0
	v_lshl_add_u64 v[46:47], s[12:13], 0, v[54:55]
	v_lshlrev_b32_e32 v54, 1, v52
	v_lshl_add_u64 v[46:47], v[46:47], 0, v[54:55]
	global_load_dwordx4 v[46:49], v[46:47], off offset:128
.LBB181_57:
	s_or_b64 exec, exec, s[2:3]
	s_branch .LBB181_60
.LBB181_58:
                                        ; implicit-def: $vgpr37
                                        ; implicit-def: $vgpr41
                                        ; implicit-def: $vgpr45
                                        ; implicit-def: $vgpr49
	s_cbranch_execz .LBB181_60
; %bb.59:
	s_waitcnt vmcnt(0)
	v_lshlrev_b32_e32 v34, 1, v52
	v_lshl_or_b32 v52, v51, 9, v34
	s_and_b32 s13, s13, 0xffff
	s_mov_b32 s15, 0x20000
	s_movk_i32 s14, 0x4000
	s_movk_i32 s0, 0x80
	buffer_load_dwordx4 v[34:37], v52, s[12:15], 0 offen
	buffer_load_dwordx4 v[38:41], v52, s[12:15], 0 offen offset:256
	buffer_load_dwordx4 v[42:45], v52, s[12:15], s0 offen
	buffer_load_dwordx4 v[46:49], v52, s[12:15], s0 offen offset:256
.LBB181_60:
	ds_read_b64 v[54:55], v64 offset:57344
	v_add_u32_e32 v52, 0x6000, v60
	ds_read2_b64 v[70:73], v52 offset1:16
	ds_read_b64 v[84:85], v65 offset:57344
	ds_read_b64 v[86:87], v66 offset:57344
	;; [unrolled: 1-line block ×3, first 2 shown]
	ds_read2_b64 v[64:67], v52 offset0:32 offset1:48
	v_and_b32_e32 v52, 6, v0
	v_xor_b32_e32 v51, v51, v52
	v_lshlrev_b32_e32 v51, 2, v51
	s_mov_b32 s0, 0x1000504
	s_mov_b32 s1, 0x3020706
	s_waitcnt lgkmcnt(4)
	v_mfma_f32_16x16x16_bf16 a[4:7], v[54:55], v[72:73], a[4:7]
	v_mfma_f32_16x16x16_bf16 a[0:3], v[54:55], v[70:71], a[0:3]
	ds_read2st64_b64 v[70:73], v60 offset0:52 offset1:56
	s_waitcnt lgkmcnt(1)
	v_mfma_f32_16x16x16_bf16 a[8:11], v[54:55], v[64:65], a[8:11]
	v_mfma_f32_16x16x16_bf16 a[12:15], v[54:55], v[66:67], a[12:15]
	ds_read2st64_b64 v[64:67], v61 offset0:52 offset1:56
	ds_read2st64_b64 v[76:79], v62 offset0:52 offset1:56
	;; [unrolled: 1-line block ×3, first 2 shown]
	s_waitcnt lgkmcnt(2)
	v_mfma_f32_16x16x16_bf16 a[4:7], v[84:85], v[64:65], a[4:7]
	v_and_b32_e32 v64, 1, v0
	v_xor_b32_e32 v65, 0x440, v51
	v_cmp_eq_u32_e32 vcc, 0, v64
	v_mfma_f32_16x16x16_bf16 a[0:3], v[84:85], v[70:71], a[0:3]
	s_waitcnt vmcnt(0)
	v_perm_b32 v64, v42, v46, s0
	v_cndmask_b32_e32 v51, v65, v51, vcc
	v_lshl_or_b32 v51, v52, 10, v51
	s_waitcnt lgkmcnt(1)
	v_mfma_f32_16x16x16_bf16 a[8:11], v[84:85], v[76:77], a[8:11]
	v_perm_b32 v52, v34, v38, s0
	ds_read_b64 v[54:55], v60 offset:30720
	ds_read_b64 v[70:71], v61 offset:30720
	;; [unrolled: 1-line block ×4, first 2 shown]
	ds_write2st64_b32 v51, v52, v64 offset0:128 offset1:160
	s_waitcnt lgkmcnt(5)
	v_mfma_f32_16x16x16_bf16 a[12:15], v[84:85], v[80:81], a[12:15]
	v_xor_b32_e32 v52, 8, v51
	v_perm_b32 v34, v34, v38, s1
	v_perm_b32 v38, v42, v46, s1
	v_add_u32_e32 v42, 0x80, v52
	ds_write2st64_b32 v42, v34, v38 offset0:128 offset1:160
	v_xor_b32_e32 v34, 16, v51
	v_perm_b32 v38, v35, v39, s0
	v_perm_b32 v42, v43, v47, s0
	v_mfma_f32_16x16x16_bf16 a[0:3], v[86:87], v[72:73], a[0:3]
	ds_write2st64_b32 v34, v38, v42 offset0:129 offset1:161
	v_xor_b32_e32 v34, 24, v51
	v_perm_b32 v35, v35, v39, s1
	v_mfma_f32_16x16x16_bf16 a[4:7], v[86:87], v[66:67], a[4:7]
	v_perm_b32 v38, v43, v47, s1
	v_add_u32_e32 v34, 0x80, v34
	ds_write2st64_b32 v34, v35, v38 offset0:129 offset1:161
	v_mfma_f32_16x16x16_bf16 a[16:19], v[86:87], v[78:79], a[8:11]
	v_xor_b32_e32 v34, 32, v51
	v_perm_b32 v35, v36, v40, s0
	v_perm_b32 v38, v44, v48, s0
	v_mfma_f32_16x16x16_bf16 a[20:23], v[86:87], v[82:83], a[12:15]
	ds_write2st64_b32 v34, v35, v38 offset0:130 offset1:162
	v_xor_b32_e32 v34, 40, v51
	v_perm_b32 v35, v36, v40, s1
	s_waitcnt lgkmcnt(8)
	v_mfma_f32_16x16x16_bf16 a[12:15], v[88:89], v[54:55], a[0:3]
	v_perm_b32 v36, v44, v48, s1
	v_add_u32_e32 v34, 0x80, v34
	ds_write2st64_b32 v34, v35, v36 offset0:130 offset1:162
	s_waitcnt lgkmcnt(8)
	v_mfma_f32_16x16x16_bf16 a[8:11], v[88:89], v[70:71], a[4:7]
	v_xor_b32_e32 v34, 48, v51
	v_perm_b32 v35, v37, v41, s0
	v_perm_b32 v36, v45, v49, s0
	s_waitcnt lgkmcnt(7)
	v_mfma_f32_16x16x16_bf16 a[4:7], v[88:89], v[90:91], a[16:19]
	ds_write2st64_b32 v34, v35, v36 offset0:131 offset1:163
	v_xor_b32_e32 v34, 56, v51
	v_and_or_b32 v65, v68, 12, v75
	s_waitcnt lgkmcnt(7)
	v_mfma_f32_16x16x16_bf16 a[0:3], v[88:89], v[92:93], a[20:23]
	v_perm_b32 v35, v37, v41, s1
	v_perm_b32 v36, v45, v49, s1
	v_add_u32_e32 v34, 0x80, v34
	v_cmp_gt_i32_e64 s[0:1], s56, v65
	v_mov_b32_e32 v54, 0
	v_mov_b32_e32 v55, 0
	ds_write2st64_b32 v34, v35, v36 offset0:131 offset1:163
	s_and_saveexec_b64 s[2:3], s[0:1]
	s_cbranch_execz .LBB181_62
; %bb.61:
	v_add_u32_e32 v34, s36, v65
	v_ashrrev_i32_e32 v35, 31, v34
	v_mul_lo_u32 v36, v35, s10
	v_mul_lo_u32 v37, v34, s11
	v_mad_u64_u32 v[34:35], s[4:5], v34, s10, 0
	v_add3_u32 v35, v35, v37, v36
	v_lshl_add_u64 v[34:35], v[34:35], 2, s[18:19]
	global_load_dword v34, v[34:35], off
	s_waitcnt vmcnt(0)
	v_sub_f32_e32 v34, s20, v34
	v_exp_f32_e32 v55, v34
.LBB181_62:
	s_or_b64 exec, exec, s[2:3]
	v_or_b32_e32 v46, 1, v65
	v_cmp_gt_i32_e64 s[4:5], s56, v46
	s_and_saveexec_b64 s[2:3], s[4:5]
	s_cbranch_execz .LBB181_64
; %bb.63:
	v_add_u32_e32 v34, s36, v46
	v_ashrrev_i32_e32 v35, 31, v34
	v_mul_lo_u32 v36, v35, s10
	v_mul_lo_u32 v37, v34, s11
	v_mad_u64_u32 v[34:35], s[12:13], v34, s10, 0
	v_add3_u32 v35, v35, v37, v36
	v_lshl_add_u64 v[34:35], v[34:35], 2, s[18:19]
	global_load_dword v34, v[34:35], off
	s_waitcnt vmcnt(0)
	v_sub_f32_e32 v34, s20, v34
	v_exp_f32_e32 v54, v34
.LBB181_64:
	s_or_b64 exec, exec, s[2:3]
	v_or_b32_e32 v42, 2, v65
	v_cmp_gt_i32_e64 s[2:3], s56, v42
	v_mov_b32_e32 v52, 0
	v_mov_b32_e32 v64, 0
	s_and_saveexec_b64 s[12:13], s[2:3]
	s_cbranch_execz .LBB181_66
; %bb.65:
	v_add_u32_e32 v34, s36, v42
	v_ashrrev_i32_e32 v35, 31, v34
	v_mul_lo_u32 v36, v35, s10
	v_mul_lo_u32 v37, v34, s11
	v_mad_u64_u32 v[34:35], s[14:15], v34, s10, 0
	v_add3_u32 v35, v35, v37, v36
	v_lshl_add_u64 v[34:35], v[34:35], 2, s[18:19]
	global_load_dword v34, v[34:35], off
	s_waitcnt vmcnt(0)
	v_sub_f32_e32 v34, s20, v34
	v_exp_f32_e32 v64, v34
.LBB181_66:
	s_or_b64 exec, exec, s[12:13]
	v_or_b32_e32 v43, 3, v65
	v_cmp_gt_i32_e32 vcc, s56, v43
	s_and_saveexec_b64 s[12:13], vcc
	s_cbranch_execz .LBB181_68
; %bb.67:
	v_add_u32_e32 v34, s36, v43
	v_ashrrev_i32_e32 v35, 31, v34
	v_mul_lo_u32 v36, v35, s10
	v_mul_lo_u32 v37, v34, s11
	v_mad_u64_u32 v[34:35], s[10:11], v34, s10, 0
	v_add3_u32 v35, v35, v37, v36
	v_lshl_add_u64 v[34:35], v[34:35], 2, s[18:19]
	global_load_dword v34, v[34:35], off
	s_waitcnt vmcnt(0)
	v_sub_f32_e32 v34, s20, v34
	v_exp_f32_e32 v52, v34
.LBB181_68:
	s_or_b64 exec, exec, s[12:13]
	s_add_u32 s10, s16, s38
	s_addc_u32 s11, s17, s39
	s_add_u32 s6, s6, s38
	v_ashrrev_i32_e32 v51, 31, v50
	v_accvgpr_read_b32 v37, a15
	s_addc_u32 s7, s7, s39
	v_lshlrev_b64 v[38:39], 1, v[50:51]
	v_accvgpr_read_b32 v36, a14
	v_accvgpr_read_b32 v35, a13
	;; [unrolled: 1-line block ×3, first 2 shown]
	v_lshl_add_u64 v[40:41], s[10:11], 0, v[38:39]
	v_lshl_add_u64 v[38:39], s[6:7], 0, v[38:39]
	v_mov_b32_e32 v47, 0
	v_lshlrev_b32_e32 v44, 8, v65
	v_mov_b32_e32 v45, 0
	s_and_saveexec_b64 s[6:7], s[0:1]
	s_cbranch_execz .LBB181_70
; %bb.69:
	v_mov_b32_e32 v45, 0
	v_lshl_add_u64 v[48:49], v[40:41], 0, v[44:45]
	global_load_ushort v51, v[48:49], off
	v_lshl_add_u64 v[48:49], v[38:39], 0, v[44:45]
	s_waitcnt vmcnt(0)
	v_lshlrev_b32_e32 v45, 16, v51
	v_sub_f32_e32 v34, v45, v34
	global_store_short_d16_hi v[48:49], v34, off
	v_mul_f32_e32 v34, v55, v34
	v_lshrrev_b32_e32 v45, 16, v34
.LBB181_70:
	s_or_b64 exec, exec, s[6:7]
	v_lshlrev_b32_e32 v46, 8, v46
	s_and_saveexec_b64 s[6:7], s[4:5]
	s_cbranch_execz .LBB181_72
; %bb.71:
	v_mov_b32_e32 v47, 0
	v_lshl_add_u64 v[48:49], v[40:41], 0, v[46:47]
	global_load_ushort v34, v[48:49], off
	v_lshl_add_u64 v[48:49], v[38:39], 0, v[46:47]
	s_waitcnt vmcnt(0)
	v_lshlrev_b32_e32 v34, 16, v34
	v_sub_f32_e32 v34, v34, v35
	global_store_short_d16_hi v[48:49], v34, off
	v_mul_f32_e32 v34, v54, v34
	v_lshrrev_b32_e32 v47, 16, v34
.LBB181_72:
	s_or_b64 exec, exec, s[6:7]
	v_mov_b32_e32 v66, 0
	v_lshlrev_b32_e32 v48, 8, v42
	v_mov_b32_e32 v49, 0
	s_and_saveexec_b64 s[6:7], s[2:3]
	s_cbranch_execz .LBB181_74
; %bb.73:
	v_mov_b32_e32 v49, 0
	v_lshl_add_u64 v[34:35], v[40:41], 0, v[48:49]
	global_load_ushort v42, v[34:35], off
	v_lshl_add_u64 v[34:35], v[38:39], 0, v[48:49]
	s_waitcnt vmcnt(0)
	v_lshlrev_b32_e32 v42, 16, v42
	v_sub_f32_e32 v36, v42, v36
	global_store_short_d16_hi v[34:35], v36, off
	v_mul_f32_e32 v34, v64, v36
	v_lshrrev_b32_e32 v49, 16, v34
.LBB181_74:
	s_or_b64 exec, exec, s[6:7]
	v_lshlrev_b32_e32 v42, 8, v43
	s_and_saveexec_b64 s[6:7], vcc
	s_cbranch_execz .LBB181_76
; %bb.75:
	v_mov_b32_e32 v43, 0
	v_lshl_add_u64 v[34:35], v[40:41], 0, v[42:43]
	global_load_ushort v36, v[34:35], off
	v_lshl_add_u64 v[34:35], v[38:39], 0, v[42:43]
	s_waitcnt vmcnt(0)
	v_lshlrev_b32_e32 v36, 16, v36
	v_sub_f32_e32 v36, v36, v37
	global_store_short_d16_hi v[34:35], v36, off
	v_mul_f32_e32 v34, v52, v36
	v_lshrrev_b32_e32 v66, 16, v34
.LBB181_76:
	s_or_b64 exec, exec, s[6:7]
	v_lshlrev_b32_e32 v51, 6, v65
	v_accvgpr_read_b32 v37, a11
	s_mov_b32 s6, 0x5040100
	v_or_b32_e32 v43, v51, v58
	v_accvgpr_read_b32 v36, a10
	v_accvgpr_read_b32 v35, a9
	;; [unrolled: 1-line block ×3, first 2 shown]
	v_perm_b32 v67, v66, v49, s6
	v_perm_b32 v66, v47, v45, s6
	v_lshlrev_b32_e32 v43, 1, v43
	v_mov_b32_e32 v47, 0
	v_mov_b32_e32 v45, 0
	ds_write_b64 v43, v[66:67] offset:24576
	s_and_saveexec_b64 s[6:7], s[0:1]
	s_cbranch_execz .LBB181_78
; %bb.77:
	v_mov_b32_e32 v45, 0
	v_lshl_add_u64 v[66:67], v[40:41], 0, v[44:45]
	global_load_ushort v43, v[66:67], off offset:32
	v_lshl_add_u64 v[66:67], v[38:39], 0, v[44:45]
	s_waitcnt vmcnt(0)
	v_lshlrev_b32_e32 v43, 16, v43
	v_sub_f32_e32 v34, v43, v34
	global_store_short_d16_hi v[66:67], v34, off offset:32
	v_mul_f32_e32 v34, v55, v34
	v_lshrrev_b32_e32 v45, 16, v34
.LBB181_78:
	s_or_b64 exec, exec, s[6:7]
	s_and_saveexec_b64 s[6:7], s[4:5]
	s_cbranch_execz .LBB181_80
; %bb.79:
	v_mov_b32_e32 v47, 0
	v_lshl_add_u64 v[66:67], v[40:41], 0, v[46:47]
	global_load_ushort v34, v[66:67], off offset:32
	v_lshl_add_u64 v[66:67], v[38:39], 0, v[46:47]
	s_waitcnt vmcnt(0)
	v_lshlrev_b32_e32 v34, 16, v34
	v_sub_f32_e32 v34, v34, v35
	global_store_short_d16_hi v[66:67], v34, off offset:32
	v_mul_f32_e32 v34, v54, v34
	v_lshrrev_b32_e32 v47, 16, v34
.LBB181_80:
	s_or_b64 exec, exec, s[6:7]
	v_mov_b32_e32 v43, 0
	v_mov_b32_e32 v49, 0
	s_and_saveexec_b64 s[6:7], s[2:3]
	s_cbranch_execz .LBB181_82
; %bb.81:
	v_mov_b32_e32 v49, 0
	v_lshl_add_u64 v[34:35], v[40:41], 0, v[48:49]
	global_load_ushort v58, v[34:35], off offset:32
	v_lshl_add_u64 v[34:35], v[38:39], 0, v[48:49]
	s_waitcnt vmcnt(0)
	v_lshlrev_b32_e32 v49, 16, v58
	v_sub_f32_e32 v36, v49, v36
	global_store_short_d16_hi v[34:35], v36, off offset:32
	v_mul_f32_e32 v34, v64, v36
	v_lshrrev_b32_e32 v49, 16, v34
.LBB181_82:
	s_or_b64 exec, exec, s[6:7]
	s_and_saveexec_b64 s[6:7], vcc
	s_cbranch_execz .LBB181_84
; %bb.83:
	v_mov_b32_e32 v43, 0
	v_lshl_add_u64 v[34:35], v[40:41], 0, v[42:43]
	global_load_ushort v36, v[34:35], off offset:32
	v_lshl_add_u64 v[34:35], v[38:39], 0, v[42:43]
	s_waitcnt vmcnt(0)
	v_lshlrev_b32_e32 v36, 16, v36
	v_sub_f32_e32 v36, v36, v37
	global_store_short_d16_hi v[34:35], v36, off offset:32
	v_mul_f32_e32 v34, v52, v36
	v_lshrrev_b32_e32 v43, 16, v34
.LBB181_84:
	s_or_b64 exec, exec, s[6:7]
	s_mov_b32 s6, 0x5040100
	v_accvgpr_read_b32 v37, a7
	v_perm_b32 v67, v43, v49, s6
	v_or_b32_e32 v43, v51, v57
	v_accvgpr_read_b32 v36, a6
	v_accvgpr_read_b32 v35, a5
	;; [unrolled: 1-line block ×3, first 2 shown]
	v_perm_b32 v66, v47, v45, s6
	v_lshlrev_b32_e32 v43, 1, v43
	v_mov_b32_e32 v47, 0
	v_mov_b32_e32 v45, 0
	ds_write_b64 v43, v[66:67] offset:24576
	s_and_saveexec_b64 s[6:7], s[0:1]
	s_cbranch_execz .LBB181_86
; %bb.85:
	v_mov_b32_e32 v45, 0
	v_lshl_add_u64 v[66:67], v[40:41], 0, v[44:45]
	global_load_ushort v43, v[66:67], off offset:64
	v_lshl_add_u64 v[66:67], v[38:39], 0, v[44:45]
	s_waitcnt vmcnt(0)
	v_lshlrev_b32_e32 v43, 16, v43
	v_sub_f32_e32 v34, v43, v34
	global_store_short_d16_hi v[66:67], v34, off offset:64
	v_mul_f32_e32 v34, v55, v34
	v_lshrrev_b32_e32 v45, 16, v34
.LBB181_86:
	s_or_b64 exec, exec, s[6:7]
	s_and_saveexec_b64 s[6:7], s[4:5]
	s_cbranch_execz .LBB181_88
; %bb.87:
	v_mov_b32_e32 v47, 0
	v_lshl_add_u64 v[66:67], v[40:41], 0, v[46:47]
	global_load_ushort v34, v[66:67], off offset:64
	v_lshl_add_u64 v[66:67], v[38:39], 0, v[46:47]
	s_waitcnt vmcnt(0)
	v_lshlrev_b32_e32 v34, 16, v34
	v_sub_f32_e32 v34, v34, v35
	global_store_short_d16_hi v[66:67], v34, off offset:64
	v_mul_f32_e32 v34, v54, v34
	v_lshrrev_b32_e32 v47, 16, v34
.LBB181_88:
	s_or_b64 exec, exec, s[6:7]
	v_mov_b32_e32 v43, 0
	v_mov_b32_e32 v49, 0
	s_and_saveexec_b64 s[6:7], s[2:3]
	s_cbranch_execz .LBB181_90
; %bb.89:
	v_mov_b32_e32 v49, 0
	v_lshl_add_u64 v[34:35], v[40:41], 0, v[48:49]
	global_load_ushort v57, v[34:35], off offset:64
	v_lshl_add_u64 v[34:35], v[38:39], 0, v[48:49]
	s_waitcnt vmcnt(0)
	v_lshlrev_b32_e32 v49, 16, v57
	v_sub_f32_e32 v36, v49, v36
	global_store_short_d16_hi v[34:35], v36, off offset:64
	v_mul_f32_e32 v34, v64, v36
	v_lshrrev_b32_e32 v49, 16, v34
.LBB181_90:
	s_or_b64 exec, exec, s[6:7]
	s_and_saveexec_b64 s[6:7], vcc
	s_cbranch_execz .LBB181_92
; %bb.91:
	v_mov_b32_e32 v43, 0
	v_lshl_add_u64 v[34:35], v[40:41], 0, v[42:43]
	global_load_ushort v36, v[34:35], off offset:64
	v_lshl_add_u64 v[34:35], v[38:39], 0, v[42:43]
	s_waitcnt vmcnt(0)
	v_lshlrev_b32_e32 v36, 16, v36
	v_sub_f32_e32 v36, v36, v37
	global_store_short_d16_hi v[34:35], v36, off offset:64
	v_mul_f32_e32 v34, v52, v36
	v_lshrrev_b32_e32 v43, 16, v34
.LBB181_92:
	s_or_b64 exec, exec, s[6:7]
	s_mov_b32 s6, 0x5040100
	v_accvgpr_read_b32 v37, a3
	v_perm_b32 v67, v43, v49, s6
	v_or_b32_e32 v43, v51, v56
	v_accvgpr_read_b32 v36, a2
	v_accvgpr_read_b32 v35, a1
	;; [unrolled: 1-line block ×3, first 2 shown]
	v_perm_b32 v66, v47, v45, s6
	v_lshlrev_b32_e32 v43, 1, v43
	v_mov_b32_e32 v47, 0
	v_mov_b32_e32 v45, 0
	ds_write_b64 v43, v[66:67] offset:24576
	s_and_saveexec_b64 s[6:7], s[0:1]
	s_cbranch_execz .LBB181_94
; %bb.93:
	v_mov_b32_e32 v45, 0
	v_lshl_add_u64 v[56:57], v[40:41], 0, v[44:45]
	global_load_ushort v43, v[56:57], off offset:96
	v_lshl_add_u64 v[44:45], v[38:39], 0, v[44:45]
	s_waitcnt vmcnt(0)
	v_lshlrev_b32_e32 v43, 16, v43
	v_sub_f32_e32 v34, v43, v34
	global_store_short_d16_hi v[44:45], v34, off offset:96
	v_mul_f32_e32 v34, v55, v34
	v_lshrrev_b32_e32 v45, 16, v34
.LBB181_94:
	s_or_b64 exec, exec, s[6:7]
	s_and_saveexec_b64 s[0:1], s[4:5]
	s_cbranch_execz .LBB181_96
; %bb.95:
	v_mov_b32_e32 v47, 0
	v_lshl_add_u64 v[56:57], v[40:41], 0, v[46:47]
	global_load_ushort v34, v[56:57], off offset:96
	v_lshl_add_u64 v[46:47], v[38:39], 0, v[46:47]
	s_waitcnt vmcnt(0)
	v_lshlrev_b32_e32 v34, 16, v34
	v_sub_f32_e32 v34, v34, v35
	global_store_short_d16_hi v[46:47], v34, off offset:96
	v_mul_f32_e32 v34, v54, v34
	v_lshrrev_b32_e32 v47, 16, v34
.LBB181_96:
	s_or_b64 exec, exec, s[0:1]
	v_mov_b32_e32 v43, 0
	v_mov_b32_e32 v46, 0
	s_and_saveexec_b64 s[0:1], s[2:3]
	s_cbranch_execz .LBB181_98
; %bb.97:
	v_mov_b32_e32 v49, 0
	v_lshl_add_u64 v[34:35], v[40:41], 0, v[48:49]
	global_load_ushort v44, v[34:35], off offset:96
	v_lshl_add_u64 v[34:35], v[38:39], 0, v[48:49]
	s_waitcnt vmcnt(0)
	v_lshlrev_b32_e32 v44, 16, v44
	v_sub_f32_e32 v36, v44, v36
	global_store_short_d16_hi v[34:35], v36, off offset:96
	v_mul_f32_e32 v34, v64, v36
	v_lshrrev_b32_e32 v46, 16, v34
.LBB181_98:
	s_or_b64 exec, exec, s[0:1]
	v_or_b32_e32 v44, 0x6000, v60
	v_or_b32_e32 v36, 0x6000, v61
	;; [unrolled: 1-line block ×4, first 2 shown]
	s_and_saveexec_b64 s[0:1], vcc
	s_cbranch_execz .LBB181_100
; %bb.99:
	v_mov_b32_e32 v43, 0
	v_lshl_add_u64 v[40:41], v[40:41], 0, v[42:43]
	global_load_ushort v40, v[40:41], off offset:96
	v_lshl_add_u64 v[38:39], v[38:39], 0, v[42:43]
	s_waitcnt vmcnt(0)
	v_lshlrev_b32_e32 v40, 16, v40
	v_sub_f32_e32 v37, v40, v37
	global_store_short_d16_hi v[38:39], v37, off offset:96
	v_mul_f32_e32 v37, v52, v37
	v_lshrrev_b32_e32 v43, 16, v37
.LBB181_100:
	s_or_b64 exec, exec, s[0:1]
	s_mov_b32 s0, 0x5040100
	v_or_b32_e32 v37, v51, v53
	v_perm_b32 v39, v43, v46, s0
	v_perm_b32 v38, v47, v45, s0
	v_lshlrev_b32_e32 v37, 1, v37
	s_movk_i32 s0, 0x100
	ds_write_b64 v37, v[38:39] offset:24576
	v_and_b32_e32 v37, 7, v0
	v_and_b32_e32 v38, 8, v0
	v_cmp_gt_u32_e32 vcc, s0, v0
	v_lshrrev_b32_e32 v0, 1, v0
	v_mov_b32_e32 v39, 0xa000
	v_mov_b32_e32 v40, 0x8000
	v_lshlrev_b32_e32 v58, 3, v74
	v_and_b32_e32 v0, 24, v0
	v_cndmask_b32_e32 v51, v39, v40, vcc
	v_xor_b32_e32 v39, v58, v0
	v_or_b32_e32 v40, 0x440, v39
	v_cmp_eq_u32_e32 vcc, 0, v38
	v_lshlrev_b32_e32 v45, 3, v37
	v_lshlrev_b32_e32 v37, 7, v37
	v_cndmask_b32_e32 v38, v40, v39, vcc
	v_or_b32_e32 v38, v38, v59
	v_xad_u32 v72, v38, v45, v37
	v_add_u32_e32 v38, v51, v72
	s_waitcnt lgkmcnt(0)
	s_barrier
	ds_read_b64 v[42:43], v38
	ds_read2_b64 v[38:41], v44 offset1:16
	ds_read2_b64 v[46:49], v44 offset0:32 offset1:48
	v_or_b32_e32 v52, 32, v0
	v_xor_b32_e32 v52, v58, v52
	v_or_b32_e32 v53, 0x440, v52
	v_cndmask_b32_e32 v52, v53, v52, vcc
	s_waitcnt lgkmcnt(1)
	v_mfma_f32_16x16x16_bf16 a[0:3], v[42:43], v[38:39], 0
	v_or_b32_e32 v52, v52, v59
	v_xad_u32 v73, v52, v45, v37
	v_add_u32_e32 v52, v51, v73
	v_mfma_f32_16x16x16_bf16 a[4:7], v[42:43], v[40:41], 0
	ds_read_b64 v[56:57], v52
	ds_read2st64_b64 v[60:63], v36 offset0:4 offset1:8
	ds_read2st64_b64 v[64:67], v35 offset0:4 offset1:8
	s_waitcnt lgkmcnt(3)
	v_mfma_f32_16x16x16_bf16 a[8:11], v[42:43], v[46:47], 0
	ds_read2st64_b64 v[68:71], v34 offset0:4 offset1:8
	v_mfma_f32_16x16x16_bf16 a[12:15], v[42:43], v[48:49], 0
	v_or_b32_e32 v42, 64, v0
	v_xor_b32_e32 v42, v58, v42
	v_xor_b32_e32 v43, 0x440, v42
	v_cndmask_b32_e32 v42, v43, v42, vcc
	v_or_b32_e32 v42, v42, v59
	v_xad_u32 v74, v42, v45, v37
	v_add_u32_e32 v42, v51, v74
	ds_read_b64 v[42:43], v42
	ds_read2st64_b64 v[52:55], v44 offset0:4 offset1:8
	v_or_b32_e32 v0, 0x60, v0
	v_xor_b32_e32 v0, v58, v0
	s_waitcnt lgkmcnt(0)
	v_mfma_f32_16x16x16_bf16 a[0:3], v[56:57], v[52:53], a[0:3]
	v_mfma_f32_16x16x16_bf16 a[4:7], v[56:57], v[60:61], a[4:7]
	;; [unrolled: 1-line block ×4, first 2 shown]
	v_xor_b32_e32 v56, 0x440, v0
	v_cndmask_b32_e32 v0, v56, v0, vcc
	v_or_b32_e32 v0, v0, v59
	v_xad_u32 v0, v0, v45, v37
	v_add_u32_e32 v37, v51, v0
	v_mfma_f32_16x16x16_bf16 a[0:3], v[42:43], v[54:55], a[0:3]
	ds_read_b64 v[56:57], v37
	ds_read_b64 v[44:45], v44 offset:6144
	v_mfma_f32_16x16x16_bf16 a[4:7], v[42:43], v[62:63], a[4:7]
	v_mfma_f32_16x16x16_bf16 a[8:11], v[42:43], v[66:67], a[8:11]
	;; [unrolled: 1-line block ×3, first 2 shown]
	ds_read_b64 v[36:37], v36 offset:6144
	ds_read_b64 v[42:43], v35 offset:6144
	;; [unrolled: 1-line block ×3, first 2 shown]
	s_waitcnt lgkmcnt(3)
	v_mfma_f32_16x16x16_bf16 a[0:3], v[56:57], v[44:45], a[0:3]
	s_waitcnt lgkmcnt(2)
	v_mfma_f32_16x16x16_bf16 a[4:7], v[56:57], v[36:37], a[4:7]
	s_waitcnt lgkmcnt(1)
	v_mfma_f32_16x16x16_bf16 a[8:11], v[56:57], v[42:43], a[8:11]
	s_waitcnt lgkmcnt(0)
	v_mfma_f32_16x16x16_bf16 a[12:15], v[56:57], v[34:35], a[12:15]
	ds_read_b64 v[56:57], v72 offset:40960
	s_waitcnt lgkmcnt(0)
	v_mfma_f32_16x16x16_bf16 a[24:27], v[56:57], v[46:47], 0
	v_exp_f32_e32 v46, s20
	v_accvgpr_read_b32 v47, a3
	v_fmac_f32_e32 v47, v46, v33
	v_mfma_f32_16x16x16_bf16 a[16:19], v[56:57], v[38:39], 0
	ds_read_b64 v[38:39], v73 offset:40960
	v_accvgpr_read_b32 v33, a4
	v_fma_f32 v22, v46, v22, v33
	v_mfma_f32_16x16x16_bf16 a[20:23], v[56:57], v[40:41], 0
	v_accvgpr_read_b32 v40, a0
	v_fma_f32 v30, v46, v30, v40
	v_accvgpr_read_b32 v40, a1
	v_fma_f32 v31, v46, v31, v40
	v_accvgpr_read_b32 v40, a2
	v_mfma_f32_16x16x16_bf16 a[28:31], v[56:57], v[48:49], 0
	v_fma_f32 v32, v46, v32, v40
	ds_read_b64 v[40:41], v74 offset:40960
	v_accvgpr_read_b32 v33, a5
	s_waitcnt lgkmcnt(1)
	v_mfma_f32_16x16x16_bf16 a[16:19], v[38:39], v[52:53], a[16:19]
	v_fma_f32 v23, v46, v23, v33
	v_accvgpr_read_b32 v33, a6
	v_accvgpr_read_b32 v48, a7
	v_mfma_f32_16x16x16_bf16 a[20:23], v[38:39], v[60:61], a[20:23]
	v_fmac_f32_e32 v48, v46, v25
	v_accvgpr_read_b32 v25, a8
	v_fma_f32 v24, v46, v24, v33
	v_mfma_f32_16x16x16_bf16 a[24:27], v[38:39], v[64:65], a[24:27]
	v_fma_f32 v14, v46, v14, v25
	v_mov_b32_e32 v33, v47
	v_mov_b32_e32 v25, v48
	v_mfma_f32_16x16x16_bf16 a[0:3], v[38:39], v[68:69], a[28:31]
	ds_read_b64 v[38:39], v0 offset:40960
	v_accvgpr_read_b32 v0, a9
	v_fma_f32 v15, v46, v15, v0
	s_waitcnt lgkmcnt(1)
	v_mfma_f32_16x16x16_bf16 a[4:7], v[40:41], v[62:63], a[20:23]
	v_accvgpr_read_b32 v0, a10
	v_fma_f32 v16, v46, v16, v0
	v_accvgpr_read_b32 v0, a11
	v_mfma_f32_16x16x16_bf16 a[16:19], v[40:41], v[54:55], a[16:19]
	v_fmac_f32_e32 v0, v46, v17
	v_accvgpr_read_b32 v17, a12
	v_fma_f32 v2, v46, v2, v17
	v_mfma_f32_16x16x16_bf16 a[20:23], v[40:41], v[66:67], a[24:27]
	v_accvgpr_read_b32 v17, a13
	v_fma_f32 v3, v46, v3, v17
	v_accvgpr_read_b32 v17, a14
	v_mfma_f32_16x16x16_bf16 a[0:3], v[40:41], v[70:71], a[0:3]
	v_fma_f32 v4, v46, v4, v17
	s_waitcnt lgkmcnt(0)
	v_mfma_f32_16x16x16_bf16 a[4:7], v[38:39], v[36:37], a[4:7]
	v_accvgpr_read_b32 v36, a15
	v_fmac_f32_e32 v36, v46, v5
	v_mfma_f32_16x16x16_bf16 a[8:11], v[38:39], v[44:45], a[16:19]
	v_mfma_f32_16x16x16_bf16 a[16:19], v[38:39], v[42:43], a[20:23]
	s_nop 2
	v_accvgpr_read_b32 v17, a4
	v_fma_f32 v18, v46, v18, v17
	v_accvgpr_read_b32 v17, a5
	v_mfma_f32_16x16x16_bf16 a[0:3], v[38:39], v[34:35], a[0:3]
	v_accvgpr_read_b32 v5, a8
	v_fma_f32 v19, v46, v19, v17
	v_accvgpr_read_b32 v17, a6
	v_fma_f32 v26, v46, v26, v5
	;; [unrolled: 2-line block ×3, first 2 shown]
	v_accvgpr_read_b32 v17, a7
	v_accvgpr_read_b32 v34, a19
	v_fma_f32 v27, v46, v27, v5
	v_accvgpr_read_b32 v5, a10
	v_fmac_f32_e32 v17, v46, v21
	v_accvgpr_read_b32 v21, a16
	v_fmac_f32_e32 v34, v46, v13
	v_accvgpr_read_b32 v13, a0
	v_fma_f32 v28, v46, v28, v5
	v_accvgpr_read_b32 v5, a11
	v_fma_f32 v10, v46, v10, v21
	;; [unrolled: 2-line block ×3, first 2 shown]
	v_accvgpr_read_b32 v13, a1
	v_accvgpr_read_b32 v35, a3
	v_fmac_f32_e32 v5, v46, v29
	v_fma_f32 v11, v46, v11, v21
	v_accvgpr_read_b32 v21, a18
	v_fma_f32 v7, v46, v7, v13
	v_accvgpr_read_b32 v13, a2
	v_fmac_f32_e32 v35, v46, v9
	v_fma_f32 v12, v46, v12, v21
	v_fma_f32 v8, v46, v8, v13
	v_mov_b32_e32 v29, v5
	v_mov_b32_e32 v21, v17
	;; [unrolled: 1-line block ×7, first 2 shown]
.LBB181_101:
	s_mul_i32 s0, s47, s35
	s_mul_hi_u32 s1, s47, s34
	s_add_i32 s0, s1, s0
	s_mul_i32 s1, s33, s34
	s_add_i32 s1, s0, s1
	s_mul_i32 s0, s47, s34
	s_add_u32 s0, s0, s46
	s_addc_u32 s1, s1, s37
	s_lshl_b64 s[0:1], s[0:1], 16
	s_add_u32 s0, s8, s0
	v_lshlrev_b32_e32 v34, 7, v34
	s_addc_u32 s1, s9, s1
	v_ashrrev_i32_e32 v35, 31, v34
	v_lshl_add_u64 v[36:37], v[34:35], 2, s[0:1]
	v_lshlrev_b32_e32 v0, 2, v1
	v_mov_b32_e32 v1, 0
	v_lshl_add_u64 v[36:37], v[36:37], 0, v[0:1]
	global_store_dwordx4 v[36:37], v[30:33], off
	global_store_dwordx4 v[36:37], v[26:29], off offset:256
	s_nop 1
	v_or_b32_e32 v26, 0x800, v34
	v_ashrrev_i32_e32 v27, 31, v26
	v_lshl_add_u64 v[26:27], v[26:27], 2, s[0:1]
	v_lshl_add_u64 v[26:27], v[26:27], 0, v[0:1]
	global_store_dwordx4 v[26:27], v[22:25], off
	global_store_dwordx4 v[26:27], v[18:21], off offset:256
	s_nop 1
	v_or_b32_e32 v18, 0x1000, v34
	v_ashrrev_i32_e32 v19, 31, v18
	v_lshl_add_u64 v[18:19], v[18:19], 2, s[0:1]
	;; [unrolled: 7-line block ×3, first 2 shown]
	v_lshl_add_u64 v[0:1], v[10:11], 0, v[0:1]
	global_store_dwordx4 v[0:1], v[2:5], off
	global_store_dwordx4 v[0:1], v[6:9], off offset:256
	s_endpgm
	.section	.rodata,"a",@progbits
	.p2align	6, 0x0
	.amdhsa_kernel _ZN12_GLOBAL__N_139chunk_gated_delta_rule_fwd_h_hip_kernelILi64ELb0ELb1ELb1ELb1ELb1ELb0ELb0ELb0EEEvPK12hip_bfloat16S3_S3_PKfS5_PKvPS1_S8_PvPKiSB_iiiiilll
		.amdhsa_group_segment_fixed_size 65536
		.amdhsa_private_segment_fixed_size 0
		.amdhsa_kernarg_size 136
		.amdhsa_user_sgpr_count 2
		.amdhsa_user_sgpr_dispatch_ptr 0
		.amdhsa_user_sgpr_queue_ptr 0
		.amdhsa_user_sgpr_kernarg_segment_ptr 1
		.amdhsa_user_sgpr_dispatch_id 0
		.amdhsa_user_sgpr_kernarg_preload_length 0
		.amdhsa_user_sgpr_kernarg_preload_offset 0
		.amdhsa_user_sgpr_private_segment_size 0
		.amdhsa_uses_dynamic_stack 0
		.amdhsa_enable_private_segment 0
		.amdhsa_system_sgpr_workgroup_id_x 1
		.amdhsa_system_sgpr_workgroup_id_y 1
		.amdhsa_system_sgpr_workgroup_id_z 0
		.amdhsa_system_sgpr_workgroup_info 0
		.amdhsa_system_vgpr_workitem_id 0
		.amdhsa_next_free_vgpr 216
		.amdhsa_next_free_sgpr 67
		.amdhsa_accum_offset 180
		.amdhsa_reserve_vcc 1
		.amdhsa_float_round_mode_32 0
		.amdhsa_float_round_mode_16_64 0
		.amdhsa_float_denorm_mode_32 3
		.amdhsa_float_denorm_mode_16_64 3
		.amdhsa_dx10_clamp 1
		.amdhsa_ieee_mode 1
		.amdhsa_fp16_overflow 0
		.amdhsa_tg_split 0
		.amdhsa_exception_fp_ieee_invalid_op 0
		.amdhsa_exception_fp_denorm_src 0
		.amdhsa_exception_fp_ieee_div_zero 0
		.amdhsa_exception_fp_ieee_overflow 0
		.amdhsa_exception_fp_ieee_underflow 0
		.amdhsa_exception_fp_ieee_inexact 0
		.amdhsa_exception_int_div_zero 0
	.end_amdhsa_kernel
	.section	.text._ZN12_GLOBAL__N_139chunk_gated_delta_rule_fwd_h_hip_kernelILi64ELb0ELb1ELb1ELb1ELb1ELb0ELb0ELb0EEEvPK12hip_bfloat16S3_S3_PKfS5_PKvPS1_S8_PvPKiSB_iiiiilll,"axG",@progbits,_ZN12_GLOBAL__N_139chunk_gated_delta_rule_fwd_h_hip_kernelILi64ELb0ELb1ELb1ELb1ELb1ELb0ELb0ELb0EEEvPK12hip_bfloat16S3_S3_PKfS5_PKvPS1_S8_PvPKiSB_iiiiilll,comdat
.Lfunc_end181:
	.size	_ZN12_GLOBAL__N_139chunk_gated_delta_rule_fwd_h_hip_kernelILi64ELb0ELb1ELb1ELb1ELb1ELb0ELb0ELb0EEEvPK12hip_bfloat16S3_S3_PKfS5_PKvPS1_S8_PvPKiSB_iiiiilll, .Lfunc_end181-_ZN12_GLOBAL__N_139chunk_gated_delta_rule_fwd_h_hip_kernelILi64ELb0ELb1ELb1ELb1ELb1ELb0ELb0ELb0EEEvPK12hip_bfloat16S3_S3_PKfS5_PKvPS1_S8_PvPKiSB_iiiiilll
                                        ; -- End function
	.section	.AMDGPU.csdata,"",@progbits
; Kernel info:
; codeLenInByte = 12564
; NumSgprs: 73
; NumVgprs: 180
; NumAgprs: 36
; TotalNumVgprs: 216
; ScratchSize: 0
; MemoryBound: 0
; FloatMode: 240
; IeeeMode: 1
; LDSByteSize: 65536 bytes/workgroup (compile time only)
; SGPRBlocks: 9
; VGPRBlocks: 26
; NumSGPRsForWavesPerEU: 73
; NumVGPRsForWavesPerEU: 216
; AccumOffset: 180
; Occupancy: 1
; WaveLimiterHint : 1
; COMPUTE_PGM_RSRC2:SCRATCH_EN: 0
; COMPUTE_PGM_RSRC2:USER_SGPR: 2
; COMPUTE_PGM_RSRC2:TRAP_HANDLER: 0
; COMPUTE_PGM_RSRC2:TGID_X_EN: 1
; COMPUTE_PGM_RSRC2:TGID_Y_EN: 1
; COMPUTE_PGM_RSRC2:TGID_Z_EN: 0
; COMPUTE_PGM_RSRC2:TIDIG_COMP_CNT: 0
; COMPUTE_PGM_RSRC3_GFX90A:ACCUM_OFFSET: 44
; COMPUTE_PGM_RSRC3_GFX90A:TG_SPLIT: 0
	.section	.text._ZN12_GLOBAL__N_139chunk_gated_delta_rule_fwd_h_hip_kernelILi64ELb0ELb1ELb0ELb1ELb1ELb0ELb0ELb0EEEvPK12hip_bfloat16S3_S3_PKfS5_PKvPS1_S8_PvPKiSB_iiiiilll,"axG",@progbits,_ZN12_GLOBAL__N_139chunk_gated_delta_rule_fwd_h_hip_kernelILi64ELb0ELb1ELb0ELb1ELb1ELb0ELb0ELb0EEEvPK12hip_bfloat16S3_S3_PKfS5_PKvPS1_S8_PvPKiSB_iiiiilll,comdat
	.globl	_ZN12_GLOBAL__N_139chunk_gated_delta_rule_fwd_h_hip_kernelILi64ELb0ELb1ELb0ELb1ELb1ELb0ELb0ELb0EEEvPK12hip_bfloat16S3_S3_PKfS5_PKvPS1_S8_PvPKiSB_iiiiilll ; -- Begin function _ZN12_GLOBAL__N_139chunk_gated_delta_rule_fwd_h_hip_kernelILi64ELb0ELb1ELb0ELb1ELb1ELb0ELb0ELb0EEEvPK12hip_bfloat16S3_S3_PKfS5_PKvPS1_S8_PvPKiSB_iiiiilll
	.p2align	8
	.type	_ZN12_GLOBAL__N_139chunk_gated_delta_rule_fwd_h_hip_kernelILi64ELb0ELb1ELb0ELb1ELb1ELb0ELb0ELb0EEEvPK12hip_bfloat16S3_S3_PKfS5_PKvPS1_S8_PvPKiSB_iiiiilll,@function
_ZN12_GLOBAL__N_139chunk_gated_delta_rule_fwd_h_hip_kernelILi64ELb0ELb1ELb0ELb1ELb1ELb0ELb0ELb0EEEvPK12hip_bfloat16S3_S3_PKfS5_PKvPS1_S8_PvPKiSB_iiiiilll: ; @_ZN12_GLOBAL__N_139chunk_gated_delta_rule_fwd_h_hip_kernelILi64ELb0ELb1ELb0ELb1ELb1ELb0ELb0ELb0EEEvPK12hip_bfloat16S3_S3_PKfS5_PKvPS1_S8_PvPKiSB_iiiiilll
; %bb.0:
	s_load_dwordx4 s[16:19], s[0:1], 0x5c
	s_abs_i32 s23, s3
	s_ashr_i32 s22, s3, 31
	s_load_dwordx2 s[20:21], s[0:1], 0x50
	s_load_dwordx8 s[4:11], s[0:1], 0x0
	s_load_dwordx4 s[12:15], s[0:1], 0x40
	s_load_dwordx2 s[38:39], s[0:1], 0x30
	s_waitcnt lgkmcnt(0)
	s_abs_i32 s26, s17
	v_cvt_f32_u32_e32 v1, s26
	s_sub_i32 s24, 0, s26
	s_ashr_i32 s33, s17, 31
	s_xor_b32 s22, s22, s33
	v_rcp_iflag_f32_e32 v1, v1
	v_lshrrev_b32_e32 v72, 6, v0
	v_bfe_u32 v75, v0, 4, 2
	v_lshlrev_b32_e32 v73, 4, v72
	v_mul_f32_e32 v1, 0x4f7ffffe, v1
	v_cvt_u32_f32_e32 v1, v1
	v_lshlrev_b32_e32 v34, 2, v75
	v_and_b32_e32 v74, 63, v0
	v_mov_b32_e32 v5, 0
	v_readfirstlane_b32 s25, v1
	s_mul_i32 s24, s24, s25
	s_mul_hi_u32 s24, s25, s24
	s_add_i32 s25, s25, s24
	s_mul_hi_u32 s24, s23, s25
	s_mul_i32 s25, s24, s26
	s_sub_i32 s23, s23, s25
	s_add_i32 s27, s24, 1
	s_sub_i32 s25, s23, s26
	s_cmp_ge_u32 s23, s26
	s_cselect_b32 s24, s27, s24
	s_cselect_b32 s23, s25, s23
	s_add_i32 s25, s24, 1
	s_cmp_ge_u32 s23, s26
	s_cselect_b32 s23, s25, s24
	s_xor_b32 s23, s23, s22
	s_sub_i32 s34, s23, s22
	s_mul_i32 s22, s34, s17
	s_ashr_i32 s35, s34, 31
	s_sub_i32 s44, s3, s22
	s_lshl_b64 s[22:23], s[34:35], 2
	s_add_u32 s14, s14, s22
	s_addc_u32 s15, s15, s23
	s_add_u32 s24, s20, s22
	s_addc_u32 s25, s21, s23
	s_abs_i32 s3, s18
	v_cvt_f32_u32_e32 v1, s3
	s_load_dwordx2 s[36:37], s[14:15], 0x0
	s_sub_i32 s15, 0, s3
	s_mov_b32 s45, s17
	v_rcp_iflag_f32_e32 v1, v1
	v_and_b32_e32 v76, 15, v0
	s_waitcnt lgkmcnt(0)
	s_sub_i32 s54, s37, s36
	s_ashr_i32 s14, s54, 31
	v_mul_f32_e32 v1, 0x4f7ffffe, v1
	v_cvt_u32_f32_e32 v1, v1
	s_lshr_b32 s14, s14, 26
	s_add_i32 s14, s54, s14
	s_ashr_i32 s49, s14, 6
	v_readfirstlane_b32 s20, v1
	s_mul_i32 s15, s15, s20
	s_mul_hi_u32 s15, s20, s15
	s_add_i32 s20, s20, s15
	s_mul_hi_u32 s15, s26, s20
	s_mul_i32 s20, s15, s3
	s_ashr_i32 s14, s18, 31
	s_sub_i32 s20, s26, s20
	s_xor_b32 s14, s33, s14
	s_add_i32 s21, s15, 1
	s_sub_i32 s22, s20, s3
	s_cmp_ge_u32 s20, s3
	s_cselect_b32 s15, s21, s15
	s_cselect_b32 s20, s22, s20
	s_add_i32 s21, s15, 1
	s_cmp_ge_u32 s20, s3
	s_cselect_b32 s3, s21, s15
	s_xor_b32 s3, s3, s14
	s_sub_i32 s3, s3, s14
	s_abs_i32 s26, s3
	v_cvt_f32_u32_e32 v1, s26
	s_load_dwordx2 s[14:15], s[0:1], 0x80
	s_load_dwordx4 s[20:23], s[0:1], 0x70
	s_load_dword s50, s[24:25], 0x0
	s_xor_b32 s0, s44, s3
	v_rcp_iflag_f32_e32 v1, v1
	s_sub_i32 s3, 0, s26
	s_abs_i32 s1, s44
	s_ashr_i32 s0, s0, 31
	v_mul_f32_e32 v1, 0x4f7ffffe, v1
	v_cvt_u32_f32_e32 v1, v1
	s_mul_hi_i32 s51, s44, s16
	s_mul_i32 s52, s44, s16
	v_lshrrev_b32_e32 v78, 3, v74
	v_readfirstlane_b32 s24, v1
	s_mul_i32 s3, s3, s24
	s_mul_hi_u32 s3, s24, s3
	s_add_i32 s24, s24, s3
	s_mul_hi_u32 s3, s1, s24
	s_mul_i32 s24, s3, s26
	s_sub_i32 s1, s1, s24
	s_add_i32 s24, s3, 1
	s_sub_i32 s25, s1, s26
	s_cmp_ge_u32 s1, s26
	s_cselect_b32 s3, s24, s3
	s_cselect_b32 s1, s25, s1
	s_add_i32 s24, s3, 1
	s_cmp_ge_u32 s1, s26
	s_cselect_b32 s1, s24, s3
	s_xor_b32 s1, s1, s0
	s_sub_i32 s53, s1, s0
	v_or_b32_e32 v1, v34, v73
	s_lshl_b32 s2, s2, 6
	v_or_b32_e32 v79, 64, v1
	s_cmp_lt_i32 s54, 64
	v_lshlrev_b32_e32 v77, 3, v0
	s_waitcnt lgkmcnt(0)
	s_mul_i32 s46, s34, s21
	s_mul_hi_u32 s47, s34, s20
	s_mul_i32 s48, s35, s20
	s_mul_i32 s20, s34, s20
	v_mov_b32_e32 v4, v5
	v_mov_b32_e32 v3, v5
	;; [unrolled: 1-line block ×31, first 2 shown]
	s_cbranch_scc1 .LBB182_18
; %bb.1:
	s_ashr_i32 s56, s44, 31
	s_ashr_i32 s1, s36, 31
	s_add_u32 s0, s52, s36
	s_addc_u32 s1, s51, s1
	s_lshl_b64 s[0:1], s[0:1], 8
	v_and_b32_e32 v81, 56, v77
	s_add_u32 s24, s6, s0
	v_lshl_or_b32 v80, v72, 3, v78
	v_lshlrev_b32_e32 v2, 1, v81
	s_addc_u32 s0, s7, s1
	v_lshl_or_b32 v82, v80, 8, v2
	s_and_b32 s25, s0, 0xffff
	s_mov_b32 s27, 0x20000
	s_movk_i32 s26, 0x4000
	s_movk_i32 s0, 0x80
	v_or_b32_e32 v83, 0x2000, v82
	buffer_load_dwordx4 v[4:7], v82, s[24:27], 0 offen
	buffer_load_dwordx4 v[8:11], v82, s[24:27], s0 offen
	;; [unrolled: 1-line block ×4, first 2 shown]
	v_lshlrev_b32_e32 v3, 3, v80
	v_and_or_b32 v21, v0, 7, v3
	v_and_b32_e32 v3, 0x78, v3
	v_lshlrev_b32_e32 v21, 4, v21
	v_xor_b32_e32 v84, v21, v3
	v_mul_lo_u32 v20, v80, s19
	v_or_b32_e32 v85, 0x1000, v84
	v_xor_b32_e32 v3, 8, v84
	s_cmpk_eq_i32 s19, 0x80
	s_mov_b32 s55, s36
	v_xor_b32_e32 v21, 8, v85
	s_cselect_b64 s[0:1], -1, 0
	s_cmpk_lg_i32 s19, 0x80
	s_waitcnt vmcnt(3)
	ds_write_b64 v84, v[4:5] offset:49152
	ds_write_b64 v3, v[6:7] offset:49152
	s_waitcnt vmcnt(2)
	ds_write_b64 v84, v[8:9] offset:57344
	ds_write_b64 v3, v[10:11] offset:57344
	;; [unrolled: 3-line block ×4, first 2 shown]
	v_lshl_add_u32 v3, v20, 1, v81
	s_cbranch_scc0 .LBB182_3
; %bb.2:
	v_lshlrev_b32_e32 v5, 1, v3
	v_add_lshl_u32 v4, v3, s19, 1
	s_lshl_b32 s26, s19, 7
	v_lshl_or_b32 v2, v80, 9, v2
	s_cbranch_execz .LBB182_4
	s_branch .LBB182_5
.LBB182_3:
                                        ; implicit-def: $vgpr4
                                        ; implicit-def: $vgpr5
                                        ; implicit-def: $sgpr26
	v_lshl_or_b32 v2, v80, 9, v2
.LBB182_4:
	v_or_b32_e32 v4, 0x100, v2
	s_movk_i32 s26, 0x4000
	v_mov_b32_e32 v5, v2
.LBB182_5:
	s_mul_i32 s21, s36, s18
	s_ashr_i32 s57, s53, 31
	s_mul_hi_i32 s3, s36, s18
	s_add_u32 s24, s21, s53
	s_addc_u32 s25, s3, s57
	s_lshl_b64 s[24:25], s[24:25], 8
	s_add_u32 s24, s4, s24
	s_addc_u32 s3, s5, s25
	s_and_b32 s25, s3, 0xffff
	s_movk_i32 s58, 0x80
	buffer_load_dwordx4 v[6:9], v5, s[24:27], 0 offen
	buffer_load_dwordx4 v[10:13], v5, s[24:27], s58 offen
	;; [unrolled: 1-line block ×4, first 2 shown]
	v_and_b32_e32 v5, 6, v0
	v_lshlrev_b32_e32 v4, 7, v1
	v_xor_b32_e32 v27, v80, v5
	v_and_b32_e32 v22, 1, v0
	v_lshl_or_b32 v30, v76, 3, v4
	v_lshlrev_b32_e32 v27, 2, v27
	v_lshlrev_b32_e32 v23, 2, v76
	v_or_b32_e32 v86, 0x4000, v30
	v_or_b32_e32 v87, 0x6000, v30
	v_xor_b32_e32 v30, 0x440, v27
	v_cmp_eq_u32_e32 vcc, 0, v22
	v_or_b32_e32 v25, 16, v76
	v_or_b32_e32 v26, 32, v76
	v_xor_b32_e32 v28, v1, v23
	v_xor_b32_e32 v29, v79, v23
	v_cndmask_b32_e32 v22, v30, v27, vcc
	s_add_i32 s3, s47, s46
	s_mov_b32 s59, 0x1000504
	v_lshl_or_b32 v31, v25, 3, v4
	v_lshlrev_b32_e32 v25, 8, v25
	v_lshl_or_b32 v32, v26, 3, v4
	v_lshlrev_b32_e32 v28, 1, v28
	v_lshlrev_b32_e32 v29, 1, v29
	v_lshl_or_b32 v5, v5, 10, v22
	s_add_i32 s21, s3, s48
	s_mul_i32 s3, s44, s23
	s_mul_hi_u32 s24, s44, s22
	s_mov_b32 s60, 0x3020706
	v_lshlrev_b32_e32 v24, 8, v76
	v_or_b32_e32 v90, 0x4000, v32
	v_or_b32_e32 v91, 0x6000, v32
	;; [unrolled: 1-line block ×4, first 2 shown]
	v_xor_b32_e32 v22, 8, v5
	v_xor_b32_e32 v25, 24, v5
	;; [unrolled: 1-line block ×4, first 2 shown]
	s_add_i32 s3, s24, s3
	s_mul_i32 s24, s56, s22
	v_or_b32_e32 v88, 0x4000, v31
	v_or_b32_e32 v89, 0x6000, v31
	;; [unrolled: 1-line block ×4, first 2 shown]
	v_xor_b32_e32 v24, 16, v5
	v_xor_b32_e32 v27, 32, v5
	;; [unrolled: 1-line block ×3, first 2 shown]
	v_add_u32_e32 v22, 0x80, v22
	v_add_u32_e32 v25, 0x80, v25
	;; [unrolled: 1-line block ×4, first 2 shown]
	s_add_i32 s25, s3, s24
	s_lshl_b64 s[28:29], s[20:21], 2
	s_mul_i32 s24, s44, s22
	s_add_u32 s3, s10, s28
	s_addc_u32 s21, s11, s29
	s_lshl_b64 s[24:25], s[24:25], 2
	s_add_u32 s40, s3, s24
	s_movk_i32 s3, 0xf8
	s_addc_u32 s41, s21, s25
	s_lshl_b32 s30, s19, 7
	s_movk_i32 s21, 0x100
	v_mov_b32_e32 v67, 0
	v_lshlrev_b32_e32 v66, 4, v76
	v_cmp_gt_u32_e32 vcc, s21, v0
	v_lshlrev_b32_e32 v26, 8, v26
	s_mov_b32 s61, 0
	s_movk_i32 s26, 0x4000
	v_or_b32_e32 v96, v26, v28
	v_or_b32_e32 v97, v26, v29
	v_add_u32_e32 v126, v73, v34
	s_movk_i32 s21, 0x2000
	s_movk_i32 s62, 0x3000
	v_mov_b32_e32 v26, v67
	s_waitcnt vmcnt(1)
	v_perm_b32 v33, v6, v14, s59
	s_waitcnt vmcnt(0)
	v_perm_b32 v35, v10, v18, s59
	v_perm_b32 v6, v6, v14, s60
	;; [unrolled: 1-line block ×15, first 2 shown]
	ds_write2st64_b32 v5, v33, v35 offset0:128 offset1:160
	ds_write2st64_b32 v22, v6, v10 offset0:128 offset1:160
	;; [unrolled: 1-line block ×8, first 2 shown]
	v_or_b32_e32 v5, 48, v76
	v_lshl_or_b32 v6, v5, 3, v4
	v_lshlrev_b32_e32 v5, 8, v5
	v_or_b32_e32 v100, v5, v28
	v_or_b32_e32 v101, v5, v29
	;; [unrolled: 1-line block ×3, first 2 shown]
	v_lshlrev_b32_e32 v5, 3, v5
	v_lshrrev_b32_e32 v7, 5, v74
	v_and_or_b32 v7, v5, s3, v7
	v_lshlrev_b32_e32 v7, 4, v7
	v_lshlrev_b32_e32 v10, 11, v72
	v_and_b32_e32 v5, 0x78, v5
	v_or_b32_e32 v13, 32, v7
	v_or_b32_e32 v98, 0x4000, v6
	;; [unrolled: 1-line block ×3, first 2 shown]
	v_and_b32_e32 v6, 0x1000, v10
	v_xor_b32_e32 v8, v7, v5
	v_lshrrev_b32_e32 v11, 1, v0
	v_xor_b32_e32 v13, v13, v5
	v_or_b32_e32 v8, v8, v6
	v_and_b32_e32 v9, 8, v11
	v_lshlrev_b32_e32 v12, 8, v75
	v_or_b32_e32 v13, v13, v6
	v_xor_b32_e32 v102, v8, v9
	v_or_b32_e32 v8, v12, v23
	v_xor_b32_e32 v104, v13, v9
	v_or_b32_e32 v13, 64, v7
	v_or_b32_e32 v7, 0x60, v7
	s_ashr_i32 s3, s2, 31
	v_lshlrev_b32_e32 v8, 1, v8
	v_xor_b32_e32 v13, v13, v5
	v_xor_b32_e32 v5, v7, v5
	s_lshl_b64 s[24:25], s[2:3], 8
	v_or_b32_e32 v103, 0x4000, v8
	v_or_b32_e32 v105, 0x4080, v8
	;; [unrolled: 1-line block ×10, first 2 shown]
	s_add_u32 s24, s38, s24
	v_lshlrev_b32_e32 v8, 1, v76
	v_xor_b32_e32 v108, v13, v9
	v_xor_b32_e32 v109, v5, v9
	v_lshrrev_b32_e32 v14, 4, v0
	s_addc_u32 s25, s39, s25
	v_or_b32_e32 v9, 1, v8
	v_mov_b32_e32 v18, 0xa000
	v_mov_b32_e32 v19, 0x8000
	v_xor_b32_e32 v15, v14, v8
	v_xor_b32_e32 v16, v9, v14
	v_lshl_add_u64 v[8:9], s[24:25], 0, v[66:67]
	v_lshlrev_b32_e32 v66, 8, v14
	v_cndmask_b32_e32 v18, v18, v19, vcc
	v_lshlrev_b32_e32 v19, 3, v72
	v_and_b32_e32 v11, 24, v11
	v_lshl_or_b32 v114, v15, 3, v66
	v_and_b32_e32 v15, 8, v0
	v_xor_b32_e32 v20, v19, v11
	v_or_b32_e32 v21, 0x440, v20
	v_cmp_eq_u32_e32 vcc, 0, v15
	v_and_b32_e32 v14, 7, v0
	v_lshl_or_b32 v115, v16, 3, v66
	v_cndmask_b32_e32 v15, v21, v20, vcc
	v_lshlrev_b32_e32 v16, 3, v14
	v_lshlrev_b32_e32 v14, 7, v14
	v_or_b32_e32 v15, v15, v10
	v_lshlrev_b32_e32 v17, 2, v0
	v_xad_u32 v116, v15, v16, v14
	v_or_b32_e32 v15, 32, v11
	v_and_or_b32 v12, v17, 60, v12
	v_xor_b32_e32 v15, v19, v15
	v_lshlrev_b32_e32 v12, 1, v12
	v_or_b32_e32 v17, 0x440, v15
	v_or_b32_e32 v117, 0x6000, v12
	v_cndmask_b32_e32 v15, v17, v15, vcc
	v_or_b32_e32 v119, 0x6080, v12
	v_or_b32_e32 v120, 0x6100, v12
	;; [unrolled: 1-line block ×5, first 2 shown]
	v_xor_b32_e32 v12, v19, v12
	v_xad_u32 v118, v15, v16, v14
	v_xor_b32_e32 v15, 0x440, v12
	v_cndmask_b32_e32 v12, v15, v12, vcc
	v_or_b32_e32 v11, 0x60, v11
	v_or_b32_e32 v12, v12, v10
	v_xor_b32_e32 v11, v19, v11
	v_xad_u32 v122, v12, v16, v14
	v_xor_b32_e32 v12, 0x440, v11
	v_cndmask_b32_e32 v11, v12, v11, vcc
	v_or_b32_e32 v6, s2, v76
	v_or_b32_e32 v10, v11, v10
	v_ashrrev_i32_e32 v7, 31, v6
	v_lshlrev_b32_e32 v5, 1, v3
	v_add_lshl_u32 v3, v3, s19, 1
	v_or_b32_e32 v13, 0x100, v2
	v_xad_u32 v123, v10, v16, v14
	v_cndmask_b32_e64 v124, v5, v2, s[0:1]
	v_cndmask_b32_e64 v125, v3, v13, s[0:1]
	v_lshl_add_u64 v[68:69], v[6:7], 1, s[8:9]
	v_lshl_add_u64 v[70:71], v[8:9], 0, v[66:67]
	s_mov_b32 s3, 0x7060302
	v_lshlrev_b32_e32 v66, 1, v4
	v_add_u32_e32 v127, v18, v116
	v_add_u32_e32 v128, v18, v118
	v_add_u32_e32 v129, v18, v122
	v_add_u32_e32 v130, v18, v123
	v_mov_b32_e32 v27, v67
	v_mov_b32_e32 v28, v67
	;; [unrolled: 1-line block ×31, first 2 shown]
	s_waitcnt lgkmcnt(0)
	s_barrier
.LBB182_6:                              ; =>This Inner Loop Header: Depth=1
	s_add_i32 s63, s61, 1
	s_cmp_lt_i32 s63, s49
	s_mov_b64 s[28:29], 0
	s_cselect_b64 s[42:43], -1, 0
	s_cmp_ge_i32 s63, s49
	s_mov_b64 s[24:25], 0
	s_cbranch_scc1 .LBB182_8
; %bb.7:                                ;   in Loop: Header=BB182_6 Depth=1
	s_add_i32 s0, s55, 64
	s_ashr_i32 s1, s0, 31
	s_add_u32 s0, s52, s0
	s_addc_u32 s1, s51, s1
	s_lshl_b64 s[0:1], s[0:1], 8
	s_add_u32 s24, s6, s0
	s_addc_u32 s25, s7, s1
.LBB182_8:                              ;   in Loop: Header=BB182_6 Depth=1
	v_cndmask_b32_e64 v34, 0, 1, s[42:43]
	v_cmp_ne_u32_e64 s[0:1], 1, v34
	s_andn2_b64 vcc, exec, s[42:43]
	s_cbranch_vccnz .LBB182_10
; %bb.9:                                ;   in Loop: Header=BB182_6 Depth=1
	s_add_i32 s28, s55, 64
	s_mul_hi_i32 s29, s28, s18
	s_mul_i32 s28, s28, s18
	s_add_u32 s28, s28, s53
	s_addc_u32 s29, s29, s57
	s_lshl_b64 s[28:29], s[28:29], 8
	s_add_u32 s28, s4, s28
	s_addc_u32 s29, s5, s29
.LBB182_10:                             ;   in Loop: Header=BB182_6 Depth=1
	v_perm_b32 v35, v33, v32, s3
	v_perm_b32 v34, v31, v30, s3
	v_perm_b32 v37, v29, v28, s3
	v_perm_b32 v36, v27, v26, s3
	ds_write_b64 v86, v[34:35]
	ds_write_b64 v87, v[36:37]
	ds_write_b64 v92, v[34:35]
	ds_write_b64 v93, v[36:37]
	v_perm_b32 v35, v25, v24, s3
	v_perm_b32 v34, v23, v22, s3
	v_perm_b32 v37, v21, v20, s3
	v_perm_b32 v36, v19, v18, s3
	ds_write_b64 v88, v[34:35]
	ds_write_b64 v89, v[36:37]
	ds_write_b64 v94, v[34:35]
	ds_write_b64 v95, v[36:37]
	;; [unrolled: 8-line block ×4, first 2 shown]
	s_waitcnt lgkmcnt(0)
	s_barrier
	ds_read_b64 v[38:39], v102 offset:49152
	ds_read2_b64 v[34:37], v103 offset1:16
	ds_read_b64 v[50:51], v105 offset:6144
	ds_read_b64 v[52:53], v103 offset:6144
	s_waitcnt lgkmcnt(2)
	v_mfma_f32_16x16x16_bf16 a[0:3], v[38:39], v[34:35], 0
	ds_read_b64 v[54:55], v104 offset:49152
	ds_read2st64_b64 v[42:45], v106 offset0:4 offset1:8
	ds_read2st64_b64 v[46:49], v107 offset0:4 offset1:8
	v_mfma_f32_16x16x16_bf16 a[4:7], v[38:39], v[36:37], 0
	ds_read2_b64 v[34:37], v103 offset0:32 offset1:48
	s_add_i32 s31, s55, 63
	s_ashr_i32 s42, s31, 31
	s_waitcnt lgkmcnt(0)
	v_mfma_f32_16x16x16_bf16 a[8:11], v[38:39], v[34:35], 0
	s_mul_i32 s43, s31, s15
	s_mul_hi_u32 s64, s31, s14
	s_add_i32 s43, s64, s43
	v_mfma_f32_16x16x16_bf16 a[12:15], v[38:39], v[36:37], 0
	ds_read2st64_b64 v[34:37], v103 offset0:4 offset1:8
	ds_read2st64_b64 v[38:41], v105 offset0:4 offset1:8
	s_mul_i32 s42, s42, s14
	s_waitcnt lgkmcnt(1)
	v_mfma_f32_16x16x16_bf16 a[0:3], v[54:55], v[34:35], a[0:3]
	s_add_i32 s43, s43, s42
	s_mul_i32 s42, s31, s14
	s_lshl_b64 s[42:43], s[42:43], 2
	s_waitcnt lgkmcnt(0)
	v_mfma_f32_16x16x16_bf16 a[4:7], v[54:55], v[38:39], a[4:7]
	s_add_u32 s42, s40, s42
	s_addc_u32 s43, s41, s43
	s_and_b64 vcc, exec, s[0:1]
	v_mfma_f32_16x16x16_bf16 a[8:11], v[54:55], v[42:43], a[8:11]
	ds_read_b64 v[34:35], v108 offset:49152
	ds_read_b64 v[38:39], v109 offset:49152
	;; [unrolled: 1-line block ×3, first 2 shown]
	v_mov_b32_e32 v133, 0
	v_mov_b32_e32 v132, 0
	v_mfma_f32_16x16x16_bf16 a[12:15], v[54:55], v[46:47], a[12:15]
	v_mov_b32_e32 v131, 0
	v_mov_b32_e32 v46, 0
	v_mov_b32_e32 v47, 0
	s_waitcnt lgkmcnt(2)
	v_mfma_f32_16x16x16_bf16 a[0:3], v[34:35], v[36:37], a[0:3]
	v_mov_b32_e32 v36, 0
	v_mov_b32_e32 v37, 0
	v_mfma_f32_16x16x16_bf16 a[16:19], v[34:35], v[40:41], a[4:7]
	v_mov_b32_e32 v40, 0
	v_mov_b32_e32 v41, 0
	;; [unrolled: 3-line block ×3, first 2 shown]
	v_mfma_f32_16x16x16_bf16 a[24:27], v[34:35], v[48:49], a[12:15]
	ds_read_b64 v[34:35], v106 offset:6144
	v_mov_b32_e32 v48, 0
	v_mov_b32_e32 v49, 0
	s_waitcnt lgkmcnt(2)
	v_mfma_f32_16x16x16_bf16 a[4:7], v[38:39], v[52:53], a[0:3]
	v_mfma_f32_16x16x16_bf16 a[8:11], v[38:39], v[50:51], a[16:19]
	s_waitcnt lgkmcnt(0)
	v_mfma_f32_16x16x16_bf16 a[12:15], v[38:39], v[34:35], a[20:23]
	v_mov_b32_e32 v34, 0
	v_mov_b32_e32 v35, 0
	v_mfma_f32_16x16x16_bf16 a[0:3], v[38:39], v[42:43], a[24:27]
	v_mov_b32_e32 v38, 0
	v_mov_b32_e32 v39, 0
	;; [unrolled: 1-line block ×4, first 2 shown]
	s_cbranch_vccnz .LBB182_12
; %bb.11:                               ;   in Loop: Header=BB182_6 Depth=1
	s_and_b32 s25, s25, 0xffff
	buffer_load_dwordx4 v[46:49], v82, s[24:27], 0 offen
	buffer_load_dwordx4 v[42:45], v82, s[24:27], s58 offen
	;; [unrolled: 1-line block ×4, first 2 shown]
	v_mov_b32_e32 v132, v84
	v_mov_b32_e32 v131, v85
.LBB182_12:                             ;   in Loop: Header=BB182_6 Depth=1
	ds_read_b64 v[134:135], v102 offset:57344
	ds_read2_b64 v[50:53], v110 offset1:16
	ds_read_b64 v[136:137], v104 offset:57344
	ds_read_b64 v[138:139], v108 offset:57344
	;; [unrolled: 1-line block ×3, first 2 shown]
	v_add_u32_e32 v142, s55, v126
	s_waitcnt lgkmcnt(3)
	v_mfma_f32_16x16x16_bf16 a[4:7], v[134:135], v[50:51], a[4:7]
	v_mfma_f32_16x16x16_bf16 a[8:11], v[134:135], v[52:53], a[8:11]
	ds_read2_b64 v[50:53], v110 offset0:32 offset1:48
	ds_read2st64_b64 v[54:57], v110 offset0:4 offset1:8
	ds_read2st64_b64 v[58:61], v111 offset0:4 offset1:8
	;; [unrolled: 1-line block ×3, first 2 shown]
	s_waitcnt lgkmcnt(3)
	v_mfma_f32_16x16x16_bf16 a[12:15], v[134:135], v[50:51], a[12:15]
	v_ashrrev_i32_e32 v50, 31, v142
	v_mfma_f32_16x16x16_bf16 a[0:3], v[134:135], v[52:53], a[0:3]
	v_mul_lo_u32 v52, v50, s14
	v_mul_lo_u32 v53, v142, s15
	v_mad_u64_u32 v[50:51], s[24:25], v142, s14, 0
	v_add3_u32 v51, v51, v53, v52
	v_add_u32_e32 v52, 1, v142
	v_ashrrev_i32_e32 v53, 31, v52
	s_waitcnt lgkmcnt(2)
	v_mfma_f32_16x16x16_bf16 a[4:7], v[136:137], v[54:55], a[4:7]
	v_mul_lo_u32 v54, v53, s14
	v_mul_lo_u32 v55, v52, s15
	v_mad_u64_u32 v[52:53], s[24:25], v52, s14, 0
	v_add3_u32 v53, v53, v55, v54
	v_add_u32_e32 v54, 2, v142
	v_ashrrev_i32_e32 v55, 31, v54
	s_waitcnt lgkmcnt(1)
	v_mfma_f32_16x16x16_bf16 a[8:11], v[136:137], v[58:59], a[8:11]
	v_mul_lo_u32 v58, v55, s14
	v_mul_lo_u32 v59, v54, s15
	v_mad_u64_u32 v[54:55], s[24:25], v54, s14, 0
	v_add3_u32 v55, v55, v59, v58
	v_add_u32_e32 v58, 3, v142
	v_ashrrev_i32_e32 v59, 31, v58
	v_mul_lo_u32 v134, v59, s14
	v_mul_lo_u32 v135, v58, s15
	v_mad_u64_u32 v[58:59], s[24:25], v58, s14, 0
	s_ashr_i32 s25, s55, 31
	s_add_u32 s24, s52, s55
	s_addc_u32 s25, s51, s25
	v_lshl_add_u64 v[50:51], v[50:51], 2, s[40:41]
	v_add3_u32 v59, v59, v135, v134
	s_lshl_b64 s[24:25], s[24:25], 8
	v_lshl_add_u64 v[52:53], v[52:53], 2, s[40:41]
	v_lshl_add_u64 v[54:55], v[54:55], 2, s[40:41]
	;; [unrolled: 1-line block ×3, first 2 shown]
	global_load_dword v134, v[50:51], off
	global_load_dword v135, v[52:53], off
	global_load_dword v142, v[54:55], off
	global_load_dword v143, v[58:59], off
	v_lshl_add_u64 v[50:51], v[68:69], 0, s[24:25]
	v_lshl_add_u64 v[54:55], v[50:51], 0, v[66:67]
	global_load_ushort v144, v[54:55], off offset:256
	global_load_ushort v145, v[54:55], off
	ds_read2st64_b64 v[50:53], v113 offset0:4 offset1:8
	global_load_ushort v146, v[54:55], off offset:768
	global_load_ushort v147, v[54:55], off offset:512
	s_waitcnt lgkmcnt(1)
	v_mfma_f32_16x16x16_bf16 a[12:15], v[136:137], v[62:63], a[12:15]
	s_and_b64 vcc, exec, s[0:1]
	s_waitcnt vmcnt(3)
	v_lshlrev_b32_e32 v63, 16, v144
	s_waitcnt lgkmcnt(0)
	v_mfma_f32_16x16x16_bf16 a[0:3], v[136:137], v[50:51], a[0:3]
	global_load_ushort v136, v[54:55], off offset:288
	global_load_ushort v137, v[54:55], off offset:32
	;; [unrolled: 1-line block ×8, first 2 shown]
	v_mfma_f32_16x16x16_bf16 a[4:7], v[138:139], v[56:57], a[4:7]
	ds_read_b64 v[50:51], v110 offset:6144
	s_waitcnt vmcnt(10)
	v_lshlrev_b32_e32 v62, 16, v145
	v_mfma_f32_16x16x16_bf16 a[8:11], v[138:139], v[60:61], a[8:11]
	v_mfma_f32_16x16x16_bf16 a[12:15], v[138:139], v[64:65], a[12:15]
	;; [unrolled: 1-line block ×3, first 2 shown]
	global_load_ushort v138, v[54:55], off offset:352
	global_load_ushort v139, v[54:55], off offset:96
	ds_read_b64 v[52:53], v111 offset:6144
	ds_read_b64 v[56:57], v112 offset:6144
	;; [unrolled: 1-line block ×3, first 2 shown]
	global_load_ushort v154, v[54:55], off offset:864
	global_load_ushort v155, v[54:55], off offset:608
	s_load_dword s24, s[42:43], 0x0
	s_waitcnt lgkmcnt(0)
	v_mfma_f32_16x16x16_bf16 a[4:7], v[140:141], v[50:51], a[4:7]
	v_sub_f32_e32 v60, s24, v142
	v_mfma_f32_16x16x16_bf16 a[0:3], v[140:141], v[58:59], a[0:3]
	v_sub_f32_e32 v58, s24, v134
	v_sub_f32_e32 v59, s24, v135
	;; [unrolled: 1-line block ×3, first 2 shown]
	v_mfma_f32_16x16x16_bf16 a[8:11], v[140:141], v[52:53], a[8:11]
	v_exp_f32_e32 v58, v58
	v_exp_f32_e32 v59, v59
	;; [unrolled: 1-line block ×4, first 2 shown]
	v_accvgpr_read_b32 v65, a5
	v_accvgpr_read_b32 v64, a4
	;; [unrolled: 1-line block ×4, first 2 shown]
	v_pk_add_f32 v[62:63], v[62:63], v[64:65] neg_lo:[0,1] neg_hi:[0,1]
	s_waitcnt vmcnt(13)
	v_lshlrev_b32_e32 v65, 16, v146
	s_waitcnt vmcnt(12)
	v_lshlrev_b32_e32 v64, 16, v147
	v_pk_add_f32 v[50:51], v[64:65], v[50:51] neg_lo:[0,1] neg_hi:[0,1]
	v_pk_mul_f32 v[62:63], v[58:59], v[62:63]
	v_pk_mul_f32 v[50:51], v[60:61], v[50:51]
	v_accvgpr_read_b32 v65, a9
	v_perm_b32 v51, v51, v50, s3
	v_perm_b32 v50, v63, v62, s3
	v_accvgpr_read_b32 v64, a8
	v_accvgpr_read_b32 v53, a11
	v_mfma_f32_16x16x16_bf16 a[12:15], v[140:141], v[56:57], a[12:15]
	v_accvgpr_read_b32 v52, a10
	v_accvgpr_read_b32 v57, a3
	;; [unrolled: 1-line block ×3, first 2 shown]
	v_mov_b32_e32 v134, 0
	s_waitcnt vmcnt(11)
	v_lshlrev_b32_e32 v63, 16, v136
	s_waitcnt vmcnt(10)
	v_lshlrev_b32_e32 v62, 16, v137
	v_pk_add_f32 v[62:63], v[62:63], v[64:65] neg_lo:[0,1] neg_hi:[0,1]
	s_waitcnt vmcnt(9)
	v_lshlrev_b32_e32 v65, 16, v148
	s_waitcnt vmcnt(8)
	v_lshlrev_b32_e32 v64, 16, v149
	v_pk_add_f32 v[52:53], v[64:65], v[52:53] neg_lo:[0,1] neg_hi:[0,1]
	v_pk_mul_f32 v[62:63], v[58:59], v[62:63]
	v_pk_mul_f32 v[52:53], v[60:61], v[52:53]
	v_accvgpr_read_b32 v55, a15
	v_perm_b32 v53, v53, v52, s3
	v_perm_b32 v52, v63, v62, s3
	ds_write2_b64 v87, v[50:51], v[52:53] offset1:16
	v_accvgpr_read_b32 v53, a13
	s_waitcnt vmcnt(7)
	v_lshlrev_b32_e32 v51, 16, v150
	s_waitcnt vmcnt(6)
	v_lshlrev_b32_e32 v50, 16, v151
	v_accvgpr_read_b32 v52, a12
	v_accvgpr_read_b32 v54, a14
	v_pk_add_f32 v[50:51], v[50:51], v[52:53] neg_lo:[0,1] neg_hi:[0,1]
	s_waitcnt vmcnt(5)
	v_lshlrev_b32_e32 v53, 16, v152
	s_waitcnt vmcnt(4)
	v_lshlrev_b32_e32 v52, 16, v153
	v_pk_add_f32 v[52:53], v[52:53], v[54:55] neg_lo:[0,1] neg_hi:[0,1]
	v_pk_mul_f32 v[50:51], v[58:59], v[50:51]
	v_pk_mul_f32 v[52:53], v[60:61], v[52:53]
	v_accvgpr_read_b32 v55, a1
	v_perm_b32 v53, v53, v52, s3
	v_perm_b32 v52, v51, v50, s3
	s_waitcnt vmcnt(3)
	v_lshlrev_b32_e32 v51, 16, v138
	s_waitcnt vmcnt(2)
	v_lshlrev_b32_e32 v50, 16, v139
	v_accvgpr_read_b32 v54, a0
	v_pk_add_f32 v[50:51], v[50:51], v[54:55] neg_lo:[0,1] neg_hi:[0,1]
	s_waitcnt vmcnt(1)
	v_lshlrev_b32_e32 v55, 16, v154
	s_waitcnt vmcnt(0)
	v_lshlrev_b32_e32 v54, 16, v155
	v_pk_add_f32 v[54:55], v[54:55], v[56:57] neg_lo:[0,1] neg_hi:[0,1]
	v_pk_mul_f32 v[50:51], v[58:59], v[50:51]
	v_pk_mul_f32 v[54:55], v[60:61], v[54:55]
	v_mov_b32_e32 v56, 0
	v_perm_b32 v55, v55, v54, s3
	v_perm_b32 v54, v51, v50, s3
	ds_write2_b64 v87, v[52:53], v[54:55] offset0:32 offset1:48
	v_mov_b32_e32 v50, 0
	v_mov_b32_e32 v51, 0
	;; [unrolled: 1-line block ×15, first 2 shown]
	s_cbranch_vccnz .LBB182_14
; %bb.13:                               ;   in Loop: Header=BB182_6 Depth=1
	s_and_b32 s29, s29, 0xffff
	s_mov_b32 s31, s27
	buffer_load_dwordx4 v[62:65], v124, s[28:31], 0 offen
	buffer_load_dwordx4 v[54:57], v124, s[28:31], s58 offen
	;; [unrolled: 1-line block ×4, first 2 shown]
	v_mov_b32_e32 v133, v81
	v_mov_b32_e32 v134, v80
.LBB182_14:                             ;   in Loop: Header=BB182_6 Depth=1
	s_waitcnt lgkmcnt(0)
	s_barrier
	ds_read_b64 v[144:145], v127
	ds_read2_b64 v[136:139], v117 offset1:16
	ds_read_b64 v[160:161], v128
	ds_read_b64 v[162:163], v129
	;; [unrolled: 1-line block ×3, first 2 shown]
	ds_read2_b64 v[140:143], v117 offset0:32 offset1:48
	s_waitcnt lgkmcnt(4)
	v_mfma_f32_16x16x16_bf16 a[0:3], v[144:145], v[136:137], 0
	ds_read2st64_b64 v[148:151], v119 offset0:4 offset1:8
	ds_read2st64_b64 v[152:155], v120 offset0:4 offset1:8
	;; [unrolled: 1-line block ×3, first 2 shown]
	v_mfma_f32_16x16x16_bf16 a[4:7], v[144:145], v[138:139], 0
	s_add_i32 s25, s50, s61
	s_mul_hi_i32 s29, s25, s45
	s_mul_i32 s25, s25, s45
	s_waitcnt lgkmcnt(3)
	v_mfma_f32_16x16x16_bf16 a[8:11], v[144:145], v[140:141], 0
	s_add_u32 s28, s25, s44
	s_addc_u32 s29, s29, s56
	s_lshl_b64 s[28:29], s[28:29], 15
	v_mfma_f32_16x16x16_bf16 a[12:15], v[144:145], v[142:143], 0
	ds_read2st64_b64 v[144:147], v117 offset0:4 offset1:8
	s_waitcnt lgkmcnt(0)
	v_mfma_f32_16x16x16_bf16 a[0:3], v[160:161], v[144:145], a[0:3]
	v_mfma_f32_16x16x16_bf16 a[4:7], v[160:161], v[148:149], a[4:7]
	;; [unrolled: 1-line block ×8, first 2 shown]
	ds_read_b64 v[160:161], v117 offset:6144
	ds_read_b64 v[162:163], v118 offset:40960
	ds_read_b64 v[166:167], v116 offset:40960
	ds_read_b64 v[168:169], v119 offset:6144
	ds_read_b64 v[170:171], v120 offset:6144
	ds_read_b64 v[172:173], v121 offset:6144
	ds_read_b64 v[174:175], v122 offset:40960
	ds_read_b64 v[176:177], v123 offset:40960
	s_waitcnt lgkmcnt(5)
	v_mfma_f32_16x16x16_bf16 a[16:19], v[166:167], v[136:137], 0
	v_mfma_f32_16x16x16_bf16 a[20:23], v[166:167], v[138:139], 0
	ds_read2st64_b64 v[136:139], v114 offset1:8
	v_mfma_f32_16x16x16_bf16 a[24:27], v[166:167], v[140:141], 0
	v_mfma_f32_16x16x16_bf16 a[28:31], v[166:167], v[142:143], 0
	ds_read2st64_b64 v[140:143], v115 offset1:8
	v_mfma_f32_16x16x16_bf16 a[16:19], v[162:163], v[144:145], a[16:19]
	s_waitcnt lgkmcnt(1)
	v_mov_b32_e32 v144, v136
	v_mov_b32_e32 v145, v137
	v_mfma_f32_16x16x16_bf16 a[20:23], v[162:163], v[148:149], a[20:23]
	v_lshl_add_u64 v[148:149], v[70:71], 0, s[28:29]
	v_mfma_f32_16x16x16_bf16 a[24:27], v[162:163], v[152:153], a[24:27]
	v_mfma_f32_16x16x16_bf16 a[28:31], v[162:163], v[156:157], a[28:31]
	v_mfma_f32_16x16x16_bf16 a[16:19], v[174:175], v[146:147], a[16:19]
	s_waitcnt lgkmcnt(0)
	v_mov_b32_e32 v146, v140
	v_mov_b32_e32 v147, v141
	;; [unrolled: 1-line block ×3, first 2 shown]
	v_mfma_f32_16x16x16_bf16 a[32:35], v[174:175], v[150:151], a[20:23]
	v_mov_b32_e32 v141, v139
	ds_read2st64_b64 v[136:139], v114 offset0:16 offset1:24
	global_store_dwordx4 v[148:149], v[144:147], off
	v_mfma_f32_16x16x16_bf16 a[24:27], v[174:175], v[154:155], a[24:27]
	ds_read2st64_b64 v[144:147], v115 offset0:16 offset1:24
	v_add_co_u32_e32 v150, vcc, s21, v148
	v_mfma_f32_16x16x16_bf16 a[28:31], v[174:175], v[158:159], a[28:31]
	s_nop 0
	v_addc_co_u32_e32 v151, vcc, 0, v149, vcc
	global_store_dwordx4 v[150:151], v[140:143], off offset:-4096
	v_mfma_f32_16x16x16_bf16 a[0:3], v[164:165], v[160:161], a[0:3]
	s_waitcnt lgkmcnt(1)
	v_mov_b32_e32 v140, v136
	v_add_co_u32_e32 v136, vcc, s62, v148
	v_mfma_f32_16x16x16_bf16 a[4:7], v[164:165], v[168:169], a[4:7]
	v_mov_b32_e32 v141, v137
	v_addc_co_u32_e32 v137, vcc, 0, v149, vcc
	v_mfma_f32_16x16x16_bf16 a[8:11], v[164:165], v[170:171], a[8:11]
	s_waitcnt lgkmcnt(0)
	v_mov_b32_e32 v142, v144
	v_mov_b32_e32 v143, v145
	;; [unrolled: 1-line block ×3, first 2 shown]
	v_mfma_f32_16x16x16_bf16 a[12:15], v[164:165], v[172:173], a[12:15]
	v_mov_b32_e32 v145, v139
	s_and_b64 vcc, exec, s[0:1]
	global_store_dwordx4 v[150:151], v[140:143], off
	v_mfma_f32_16x16x16_bf16 a[20:23], v[176:177], v[160:161], a[16:19]
	global_store_dwordx4 v[136:137], v[144:147], off
	v_mfma_f32_16x16x16_bf16 a[16:19], v[176:177], v[168:169], a[32:35]
	v_mfma_f32_16x16x16_bf16 a[24:27], v[176:177], v[170:171], a[24:27]
	;; [unrolled: 1-line block ×3, first 2 shown]
	s_cbranch_vccnz .LBB182_16
; %bb.15:                               ;   in Loop: Header=BB182_6 Depth=1
	v_lshrrev_b32_e32 v135, 3, v133
	v_and_b32_e32 v135, 6, v135
	v_xor_b32_e32 v134, v135, v134
	v_lshlrev_b32_e32 v134, 2, v134
	v_and_b32_e32 v133, 8, v133
	v_xor_b32_e32 v136, 0x440, v134
	v_cmp_eq_u32_e32 vcc, 0, v133
	s_barrier
	s_nop 0
	v_cndmask_b32_e32 v133, v136, v134, vcc
	v_lshl_or_b32 v133, v135, 10, v133
	s_waitcnt vmcnt(5)
	v_perm_b32 v134, v62, v58, s59
	s_waitcnt vmcnt(4)
	v_perm_b32 v135, v54, v50, s59
	ds_write2st64_b32 v133, v134, v135 offset0:128 offset1:160
	v_xor_b32_e32 v134, 8, v133
	v_perm_b32 v58, v62, v58, s60
	v_perm_b32 v50, v54, v50, s60
	v_add_u32_e32 v54, 0x80, v134
	ds_write2st64_b32 v54, v58, v50 offset0:128 offset1:160
	v_xor_b32_e32 v50, 16, v133
	v_perm_b32 v54, v63, v59, s59
	v_perm_b32 v58, v55, v51, s59
	ds_write2st64_b32 v50, v54, v58 offset0:129 offset1:161
	v_xor_b32_e32 v50, 24, v133
	v_perm_b32 v54, v63, v59, s60
	v_perm_b32 v51, v55, v51, s60
	v_add_u32_e32 v50, 0x80, v50
	ds_write2st64_b32 v50, v54, v51 offset0:129 offset1:161
	v_xor_b32_e32 v50, 32, v133
	v_perm_b32 v51, v64, v60, s59
	;; [unrolled: 9-line block ×3, first 2 shown]
	v_perm_b32 v52, v57, v53, s59
	ds_write2st64_b32 v50, v51, v52 offset0:131 offset1:163
	v_xor_b32_e32 v50, 56, v133
	v_perm_b32 v51, v65, v61, s60
	v_perm_b32 v52, v57, v53, s60
	v_add_u32_e32 v50, 0x80, v50
	ds_write2st64_b32 v50, v51, v52 offset0:131 offset1:163
	ds_write_b64 v132, v[46:47] offset:49152
	v_xor_b32_e32 v46, 8, v132
	ds_write_b64 v46, v[48:49] offset:49152
	ds_write_b64 v132, v[42:43] offset:57344
	;; [unrolled: 1-line block ×4, first 2 shown]
	v_xor_b32_e32 v38, 8, v131
	ds_write_b64 v38, v[40:41] offset:49152
	ds_write_b64 v131, v[34:35] offset:57344
	;; [unrolled: 1-line block ×3, first 2 shown]
.LBB182_16:                             ;   in Loop: Header=BB182_6 Depth=1
	v_exp_f32_e32 v132, s24
	v_accvgpr_read_b32 v37, a3
	v_accvgpr_read_b32 v41, a7
	;; [unrolled: 1-line block ×4, first 2 shown]
	s_waitcnt vmcnt(4)
	v_accvgpr_read_b32 v53, a23
	v_accvgpr_read_b32 v57, a19
	v_accvgpr_read_b32 v61, a27
	v_accvgpr_read_b32 v65, a31
	v_accvgpr_read_b32 v36, a2
	v_accvgpr_read_b32 v35, a1
	v_accvgpr_read_b32 v34, a0
	v_accvgpr_read_b32 v40, a6
	v_accvgpr_read_b32 v39, a5
	v_accvgpr_read_b32 v38, a4
	v_accvgpr_read_b32 v44, a10
	v_accvgpr_read_b32 v43, a9
	v_accvgpr_read_b32 v42, a8
	v_accvgpr_read_b32 v48, a14
	v_accvgpr_read_b32 v47, a13
	v_accvgpr_read_b32 v46, a12
	v_accvgpr_read_b32 v52, a22
	v_accvgpr_read_b32 v51, a21
	v_accvgpr_read_b32 v50, a20
	v_accvgpr_read_b32 v56, a18
	v_accvgpr_read_b32 v55, a17
	v_accvgpr_read_b32 v54, a16
	v_accvgpr_read_b32 v60, a26
	v_accvgpr_read_b32 v59, a25
	v_accvgpr_read_b32 v58, a24
	v_accvgpr_read_b32 v64, a30
	v_accvgpr_read_b32 v63, a29
	v_accvgpr_read_b32 v62, a28
	s_add_i32 s55, s55, 64
	v_pk_fma_f32 v[30:31], v[132:133], v[30:31], v[34:35] op_sel_hi:[0,1,1]
	v_pk_fma_f32 v[32:33], v[132:133], v[32:33], v[36:37] op_sel_hi:[0,1,1]
	;; [unrolled: 1-line block ×15, first 2 shown]
	s_cmp_eq_u32 s49, s63
	v_pk_fma_f32 v[8:9], v[132:133], v[8:9], v[64:65] op_sel_hi:[0,1,1]
	s_cbranch_scc1 .LBB182_18
; %bb.17:                               ;   in Loop: Header=BB182_6 Depth=1
	s_mov_b32 s61, s63
	s_branch .LBB182_6
.LBB182_18:
	s_lshl_b32 s3, s49, 6
	s_sub_i32 s54, s54, s3
	s_cmp_gt_i32 s54, 0
	v_or_b32_e32 v50, s2, v76
	s_cbranch_scc1 .LBB182_20
; %bb.19:
	s_ashr_i32 s29, s44, 31
	v_or_b32_e32 v34, s2, v76
	s_cbranch_execz .LBB182_21
	s_branch .LBB182_101
.LBB182_20:
                                        ; implicit-def: $vgpr34
                                        ; implicit-def: $sgpr28_sgpr29
.LBB182_21:
	s_add_i32 s28, s3, s36
	s_ashr_i32 s3, s28, 31
	s_cmpk_lg_i32 s19, 0x80
	s_cselect_b64 s[40:41], -1, 0
	s_and_b64 vcc, exec, s[40:41]
	s_cbranch_vccz .LBB182_23
; %bb.22:
	s_mul_hi_i32 s0, s28, s18
	s_mul_i32 s1, s28, s18
	s_ashr_i32 s18, s53, 31
	s_add_u32 s42, s1, s53
	s_addc_u32 s43, s0, s18
	s_cbranch_execz .LBB182_24
	s_branch .LBB182_25
.LBB182_23:
                                        ; implicit-def: $sgpr42_sgpr43
.LBB182_24:
	s_mul_i32 s1, s53, s16
	s_mul_hi_i32 s0, s53, s16
	s_add_u32 s42, s1, s28
	s_addc_u32 s43, s0, s3
.LBB182_25:
	s_add_i32 s16, s49, s50
	s_ashr_i32 s29, s44, 31
	s_add_u32 s0, s52, s28
	v_lshlrev_b32_e32 v38, 6, v1
	v_lshlrev_b32_e32 v58, 2, v76
	s_addc_u32 s1, s51, s3
	s_mov_b32 s3, 0x7060302
	v_or_b32_e32 v41, v38, v58
	v_xor_b32_e32 v39, v1, v58
	v_perm_b32 v35, v33, v32, s3
	v_perm_b32 v34, v31, v30, s3
	;; [unrolled: 1-line block ×4, first 2 shown]
	v_lshlrev_b32_e32 v41, 1, v41
	v_xor_b32_e32 v40, v79, v58
	ds_write2st64_b64 v41, v[34:35], v[36:37] offset0:32 offset1:48
	v_lshlrev_b32_e32 v39, 1, v39
	v_lshlrev_b32_e32 v41, 8, v76
	v_or_b32_e32 v42, v39, v41
	v_lshlrev_b32_e32 v40, 1, v40
	ds_write_b64 v42, v[34:35]
	v_or_b32_e32 v34, v40, v41
	v_or_b32_e32 v41, 16, v76
	v_lshlrev_b32_e32 v57, 2, v41
	v_or_b32_e32 v42, v38, v57
	ds_write_b64 v34, v[36:37]
	v_perm_b32 v35, v25, v24, s3
	v_perm_b32 v34, v23, v22, s3
	;; [unrolled: 1-line block ×4, first 2 shown]
	v_lshlrev_b32_e32 v42, 1, v42
	v_lshlrev_b32_e32 v41, 8, v41
	ds_write2st64_b64 v42, v[34:35], v[36:37] offset0:32 offset1:48
	v_or_b32_e32 v42, v39, v41
	ds_write_b64 v42, v[34:35]
	v_or_b32_e32 v34, v40, v41
	v_or_b32_e32 v41, 32, v76
	v_lshlrev_b32_e32 v56, 2, v41
	v_or_b32_e32 v42, v38, v56
	ds_write_b64 v34, v[36:37]
	v_perm_b32 v35, v17, v16, s3
	v_perm_b32 v34, v15, v14, s3
	;; [unrolled: 1-line block ×4, first 2 shown]
	v_lshlrev_b32_e32 v42, 1, v42
	v_lshlrev_b32_e32 v41, 8, v41
	s_lshl_b64 s[30:31], s[0:1], 8
	ds_write2st64_b64 v42, v[34:35], v[36:37] offset0:32 offset1:48
	v_or_b32_e32 v42, v39, v41
	s_add_u32 s0, s6, s30
	ds_write_b64 v42, v[34:35]
	v_or_b32_e32 v34, v40, v41
	s_addc_u32 s1, s7, s31
	ds_write_b64 v34, v[36:37]
	v_perm_b32 v35, v5, v4, s3
	v_perm_b32 v34, v3, v2, s3
	;; [unrolled: 1-line block ×4, first 2 shown]
	v_or_b32_e32 v41, 48, v76
	s_mul_hi_i32 s3, s16, s17
	s_mul_i32 s16, s16, s17
	v_lshlrev_b32_e32 v53, 2, v41
	s_add_u32 s6, s16, s44
	v_or_b32_e32 v38, v38, v53
	s_addc_u32 s7, s3, s29
	v_lshlrev_b32_e32 v38, 1, v38
	s_ashr_i32 s3, s2, 31
	s_lshl_b64 s[6:7], s[6:7], 15
	ds_write2st64_b64 v38, v[34:35], v[36:37] offset0:32 offset1:48
	v_lshlrev_b32_e32 v38, 8, v41
	s_add_u32 s6, s38, s6
	v_or_b32_e32 v39, v39, v38
	s_addc_u32 s7, s39, s7
	s_lshl_b64 s[2:3], s[2:3], 8
	ds_write_b64 v39, v[34:35]
	v_or_b32_e32 v34, v40, v38
	s_add_u32 s2, s6, s2
	v_lshlrev_b32_e32 v35, 1, v76
	ds_write_b64 v34, v[36:37]
	v_lshrrev_b32_e32 v34, 4, v0
	s_addc_u32 s3, s7, s3
	v_or_b32_e32 v36, 1, v35
	v_lshlrev_b32_e32 v42, 4, v76
	v_mov_b32_e32 v43, 0
	v_xor_b32_e32 v35, v34, v35
	v_xor_b32_e32 v38, v36, v34
	v_lshl_add_u64 v[44:45], s[2:3], 0, v[42:43]
	v_lshlrev_b32_e32 v42, 8, v34
	v_lshl_or_b32 v48, v35, 3, v42
	v_lshl_or_b32 v49, v38, 3, v42
	s_waitcnt lgkmcnt(0)
	s_barrier
	ds_read2st64_b64 v[34:37], v48 offset1:8
	ds_read2st64_b64 v[38:41], v49 offset1:8
	v_lshl_add_u64 v[46:47], v[44:45], 0, v[42:43]
	s_movk_i32 s2, 0x2000
	s_cmp_lg_u32 s54, 64
	s_waitcnt lgkmcnt(1)
	v_mov_b32_e32 v42, v34
	v_mov_b32_e32 v43, v35
	s_waitcnt lgkmcnt(0)
	v_mov_b32_e32 v44, v38
	v_mov_b32_e32 v45, v39
	global_store_dwordx4 v[46:47], v[42:45], off
	v_mov_b32_e32 v38, v36
	v_mov_b32_e32 v39, v37
	ds_read2st64_b64 v[34:37], v48 offset0:16 offset1:24
	ds_read2st64_b64 v[42:45], v49 offset0:16 offset1:24
	v_add_co_u32_e32 v48, vcc, s2, v46
	s_cselect_b64 s[6:7], -1, 0
	s_nop 0
	v_addc_co_u32_e32 v49, vcc, 0, v47, vcc
	global_store_dwordx4 v[48:49], v[38:41], off offset:-4096
	v_lshl_or_b32 v51, v72, 3, v78
	s_mov_b32 s24, 0
	s_waitcnt lgkmcnt(1)
	v_mov_b32_e32 v38, v34
	v_add_co_u32_e32 v34, vcc, 0x3000, v46
	v_mov_b32_e32 v39, v35
	s_nop 0
	v_addc_co_u32_e32 v35, vcc, 0, v47, vcc
	s_waitcnt lgkmcnt(0)
	v_mov_b32_e32 v40, v42
	v_mov_b32_e32 v41, v43
	;; [unrolled: 1-line block ×4, first 2 shown]
	v_or_b32_e32 v54, 32, v51
	v_and_b32_e32 v52, 56, v77
	s_and_b64 vcc, exec, s[6:7]
	global_store_dwordx4 v[48:49], v[38:41], off
	global_store_dwordx4 v[34:35], v[42:45], off
	s_cbranch_vccz .LBB182_31
; %bb.26:
	s_mov_b32 s26, s24
	s_mov_b32 s27, s24
	;; [unrolled: 1-line block ×3, first 2 shown]
	v_mov_b64_e32 v[40:41], s[26:27]
	v_mov_b64_e32 v[38:39], s[24:25]
	;; [unrolled: 1-line block ×3, first 2 shown]
	v_cmp_gt_i32_e32 vcc, s54, v51
	v_mov_b64_e32 v[36:37], v[40:41]
	s_and_saveexec_b64 s[2:3], vcc
	s_cbranch_execz .LBB182_28
; %bb.27:
	v_lshlrev_b32_e32 v34, 8, v51
	v_mov_b32_e32 v35, 0
	v_lshl_add_u64 v[36:37], s[0:1], 0, v[34:35]
	v_lshlrev_b32_e32 v34, 1, v52
	v_lshl_add_u64 v[42:43], v[36:37], 0, v[34:35]
	global_load_dwordx4 v[38:41], v[42:43], off
	global_load_dwordx4 v[34:37], v[42:43], off offset:128
.LBB182_28:
	s_or_b64 exec, exec, s[2:3]
	s_mov_b32 s26, s24
	s_mov_b32 s27, s24
	;; [unrolled: 1-line block ×3, first 2 shown]
	v_mov_b64_e32 v[48:49], s[26:27]
	v_mov_b64_e32 v[46:47], s[24:25]
	;; [unrolled: 1-line block ×3, first 2 shown]
	v_cmp_gt_i32_e32 vcc, s54, v54
	v_lshlrev_b32_e32 v55, 7, v54
	v_mov_b64_e32 v[44:45], v[48:49]
	s_and_saveexec_b64 s[2:3], vcc
	s_cbranch_execz .LBB182_30
; %bb.29:
	v_lshlrev_b32_e32 v42, 1, v55
	v_mov_b32_e32 v43, 0
	v_lshl_add_u64 v[44:45], s[0:1], 0, v[42:43]
	v_lshlrev_b32_e32 v42, 1, v52
	v_lshl_add_u64 v[60:61], v[44:45], 0, v[42:43]
	global_load_dwordx4 v[46:49], v[60:61], off
	global_load_dwordx4 v[42:45], v[60:61], off offset:128
.LBB182_30:
	s_or_b64 exec, exec, s[2:3]
	v_lshrrev_b32_e32 v59, 3, v52
	v_lshlrev_b32_e32 v60, 3, v51
	v_or_b32_e32 v59, v60, v59
	v_lshlrev_b32_e32 v59, 4, v59
	v_and_b32_e32 v60, 0x78, v60
	v_xor_b32_e32 v59, v59, v60
	s_branch .LBB182_33
.LBB182_31:
                                        ; implicit-def: $vgpr59
                                        ; implicit-def: $vgpr55
                                        ; implicit-def: $vgpr38_vgpr39_vgpr40_vgpr41
                                        ; implicit-def: $vgpr34_vgpr35_vgpr36_vgpr37
                                        ; implicit-def: $vgpr46_vgpr47_vgpr48_vgpr49
                                        ; implicit-def: $vgpr42_vgpr43_vgpr44_vgpr45
	s_cbranch_execz .LBB182_33
; %bb.32:
	s_waitcnt vmcnt(0)
	v_lshlrev_b32_e32 v34, 1, v52
	v_lshl_or_b32 v55, v51, 8, v34
	s_and_b32 s1, s1, 0xffff
	s_mov_b32 s3, 0x20000
	s_movk_i32 s2, 0x4000
	v_lshl_or_b32 v59, v54, 8, v34
	s_movk_i32 s16, 0x80
	buffer_load_dwordx4 v[38:41], v55, s[0:3], 0 offen
	buffer_load_dwordx4 v[34:37], v55, s[0:3], s16 offen
	;; [unrolled: 1-line block ×4, first 2 shown]
	v_lshrrev_b32_e32 v55, 3, v52
	v_lshlrev_b32_e32 v59, 3, v51
	v_or_b32_e32 v55, v59, v55
	v_lshlrev_b32_e32 v55, 4, v55
	v_and_b32_e32 v59, 0x78, v59
	v_xor_b32_e32 v59, v55, v59
	v_lshlrev_b32_e32 v55, 7, v54
.LBB182_33:
	s_movk_i32 s0, 0x1000
	v_and_or_b32 v54, v55, s0, v59
	s_waitcnt vmcnt(1)
	ds_write_b64 v59, v[38:39] offset:49152
	v_xor_b32_e32 v38, 8, v59
	ds_write_b64 v38, v[40:41] offset:49152
	s_waitcnt vmcnt(0)
	ds_write_b64 v59, v[34:35] offset:57344
	ds_write_b64 v38, v[36:37] offset:57344
	;; [unrolled: 1-line block ×3, first 2 shown]
	v_xor_b32_e32 v34, 8, v54
	ds_write_b64 v34, v[48:49] offset:49152
	ds_write_b64 v54, v[42:43] offset:57344
	;; [unrolled: 1-line block ×3, first 2 shown]
	v_or_b32_e32 v34, v73, v76
	v_lshlrev_b32_e32 v34, 3, v34
	v_lshrrev_b32_e32 v35, 5, v74
	s_movk_i32 s0, 0xf8
	v_and_or_b32 v35, v34, s0, v35
	v_lshlrev_b32_e32 v39, 4, v35
	v_lshlrev_b32_e32 v59, 11, v72
	v_and_b32_e32 v40, 0x78, v34
	v_or_b32_e32 v42, 32, v39
	v_and_b32_e32 v38, 0x1000, v59
	v_lshrrev_b32_e32 v35, 1, v74
	v_xor_b32_e32 v42, v42, v40
	v_xor_b32_e32 v34, v39, v40
	v_and_b32_e32 v41, 8, v35
	v_or_b32_e32 v42, v42, v38
	v_or_b32_e32 v34, v34, v38
	v_xor_b32_e32 v65, v42, v41
	v_or_b32_e32 v42, 64, v39
	v_xor_b32_e32 v64, v34, v41
	v_xor_b32_e32 v42, v42, v40
	s_waitcnt lgkmcnt(0)
	s_barrier
	v_or_b32_e32 v45, v42, v38
	ds_read_b64 v[42:43], v64 offset:49152
	v_lshl_or_b32 v46, v75, 8, v58
	v_lshlrev_b32_e32 v60, 1, v46
	v_add_u32_e32 v44, 0x4000, v60
	ds_read2_b64 v[34:37], v44 offset1:16
	v_or_b32_e32 v39, 0x60, v39
	v_xor_b32_e32 v39, v39, v40
	v_or_b32_e32 v38, v39, v38
	v_xor_b32_e32 v66, v45, v41
	v_xor_b32_e32 v67, v38, v41
	ds_read_b64 v[54:55], v65 offset:49152
	ds_read_b64 v[68:69], v66 offset:49152
	;; [unrolled: 1-line block ×3, first 2 shown]
	s_waitcnt lgkmcnt(3)
	v_mfma_f32_16x16x16_bf16 a[0:3], v[42:43], v[34:35], 0
	ds_read2_b64 v[38:41], v44 offset0:32 offset1:48
	s_lshl_b64 s[0:1], s[42:43], 8
	s_add_u32 s4, s4, s0
	v_mfma_f32_16x16x16_bf16 a[4:7], v[42:43], v[36:37], 0
	ds_read2st64_b64 v[34:37], v60 offset0:36 offset1:40
	s_addc_u32 s5, s5, s1
	s_add_i32 s2, s37, -1
	s_waitcnt lgkmcnt(1)
	v_mfma_f32_16x16x16_bf16 a[8:11], v[42:43], v[38:39], 0
	v_or_b32_e32 v38, 64, v46
	v_lshlrev_b32_e32 v61, 1, v38
	s_add_i32 s0, s47, s46
	s_waitcnt lgkmcnt(0)
	v_mfma_f32_16x16x16_bf16 a[0:3], v[54:55], v[34:35], a[0:3]
	v_or_b32_e32 v34, 0x80, v46
	v_lshlrev_b32_e32 v62, 1, v34
	v_or_b32_e32 v34, 0xc0, v46
	v_mfma_f32_16x16x16_bf16 a[12:15], v[42:43], v[40:41], 0
	ds_read2st64_b64 v[38:41], v61 offset0:36 offset1:40
	v_lshlrev_b32_e32 v63, 1, v34
	ds_read2st64_b64 v[42:45], v62 offset0:36 offset1:40
	ds_read2st64_b64 v[46:49], v63 offset0:36 offset1:40
	s_add_i32 s21, s0, s48
	s_mul_i32 s0, s44, s23
	s_mul_hi_u32 s1, s44, s22
	s_ashr_i32 s3, s2, 31
	s_mul_i32 s16, s2, s15
	s_mul_hi_u32 s17, s2, s14
	s_waitcnt lgkmcnt(2)
	v_mfma_f32_16x16x16_bf16 a[4:7], v[54:55], v[38:39], a[4:7]
	s_add_i32 s0, s1, s0
	s_mul_i32 s1, s29, s22
	s_add_i32 s16, s17, s16
	s_mul_i32 s3, s3, s14
	s_waitcnt lgkmcnt(1)
	v_mfma_f32_16x16x16_bf16 a[8:11], v[54:55], v[42:43], a[8:11]
	s_add_i32 s1, s0, s1
	s_add_i32 s3, s16, s3
	s_lshl_b64 s[16:17], s[20:21], 2
	s_waitcnt lgkmcnt(0)
	v_mfma_f32_16x16x16_bf16 a[12:15], v[54:55], v[46:47], a[12:15]
	s_mul_i32 s0, s44, s22
	s_add_u32 s10, s10, s16
	s_addc_u32 s11, s11, s17
	s_lshl_b64 s[0:1], s[0:1], 2
	v_mfma_f32_16x16x16_bf16 a[0:3], v[68:69], v[36:37], a[0:3]
	s_mul_i32 s2, s2, s14
	ds_read_b64 v[34:35], v60 offset:22528
	s_add_u32 s10, s10, s0
	v_mfma_f32_16x16x16_bf16 a[4:7], v[68:69], v[40:41], a[4:7]
	ds_read_b64 v[36:37], v61 offset:22528
	ds_read_b64 v[38:39], v62 offset:22528
	;; [unrolled: 1-line block ×3, first 2 shown]
	s_addc_u32 s11, s11, s1
	s_lshl_b64 s[0:1], s[2:3], 2
	v_mfma_f32_16x16x16_bf16 a[8:11], v[68:69], v[44:45], a[8:11]
	s_add_u32 s0, s10, s0
	s_addc_u32 s1, s11, s1
	s_load_dword s16, s[0:1], 0x0
	v_mfma_f32_16x16x16_bf16 a[12:15], v[68:69], v[48:49], a[12:15]
	s_and_b64 vcc, exec, s[40:41]
	s_waitcnt lgkmcnt(0)
	v_mfma_f32_16x16x16_bf16 a[0:3], v[70:71], v[34:35], a[0:3]
	v_mfma_f32_16x16x16_bf16 a[4:7], v[70:71], v[36:37], a[4:7]
	;; [unrolled: 1-line block ×4, first 2 shown]
	s_cbranch_vccz .LBB182_44
; %bb.34:
	v_lshlrev_b32_e32 v54, 1, v51
	s_and_b64 vcc, exec, s[6:7]
	s_cbranch_vccz .LBB182_45
; %bb.35:
	v_cmp_gt_i32_e32 vcc, s54, v54
	v_mov_b32_e32 v38, 0
	v_mov_b32_e32 v34, 0
	;; [unrolled: 1-line block ×5, first 2 shown]
	s_and_saveexec_b64 s[0:1], vcc
	s_cbranch_execz .LBB182_37
; %bb.36:
	v_mad_i64_i32 v[34:35], s[2:3], s19, v54, 0
	v_lshl_add_u64 v[34:35], v[34:35], 1, s[4:5]
	v_lshlrev_b32_e32 v36, 1, v52
	v_mov_b32_e32 v37, 0
	v_lshl_add_u64 v[34:35], v[34:35], 0, v[36:37]
	global_load_dwordx4 v[34:37], v[34:35], off
.LBB182_37:
	s_or_b64 exec, exec, s[0:1]
	v_or_b32_e32 v55, 1, v54
	v_cmp_gt_i32_e64 s[0:1], s54, v55
	v_mov_b32_e32 v39, 0
	v_mov_b32_e32 v40, 0
	;; [unrolled: 1-line block ×3, first 2 shown]
	s_and_saveexec_b64 s[2:3], s[0:1]
	s_cbranch_execz .LBB182_39
; %bb.38:
	v_mad_i64_i32 v[38:39], s[20:21], s19, v55, 0
	v_lshl_add_u64 v[38:39], v[38:39], 1, s[4:5]
	v_lshlrev_b32_e32 v40, 1, v52
	v_mov_b32_e32 v41, 0
	v_lshl_add_u64 v[38:39], v[38:39], 0, v[40:41]
	global_load_dwordx4 v[38:41], v[38:39], off
.LBB182_39:
	s_or_b64 exec, exec, s[2:3]
	v_mov_b32_e32 v49, 0
	v_mov_b32_e32 v42, 0
	;; [unrolled: 1-line block ×5, first 2 shown]
	s_and_saveexec_b64 s[2:3], vcc
	s_cbranch_execz .LBB182_41
; %bb.40:
	v_mad_i64_i32 v[42:43], s[20:21], s19, v54, 0
	v_lshl_add_u64 v[42:43], v[42:43], 1, s[4:5]
	v_lshlrev_b32_e32 v44, 1, v52
	v_mov_b32_e32 v45, 0
	v_lshl_add_u64 v[42:43], v[42:43], 0, v[44:45]
	global_load_dwordx4 v[42:45], v[42:43], off offset:128
.LBB182_41:
	s_or_b64 exec, exec, s[2:3]
	v_mov_b32_e32 v48, 0
	v_mov_b32_e32 v47, 0
	;; [unrolled: 1-line block ×3, first 2 shown]
	s_and_saveexec_b64 s[2:3], s[0:1]
	s_cbranch_execz .LBB182_43
; %bb.42:
	v_mad_i64_i32 v[46:47], s[0:1], s19, v55, 0
	v_lshl_add_u64 v[46:47], v[46:47], 1, s[4:5]
	v_lshlrev_b32_e32 v48, 1, v52
	v_mov_b32_e32 v49, 0
	v_lshl_add_u64 v[46:47], v[46:47], 0, v[48:49]
	global_load_dwordx4 v[46:49], v[46:47], off offset:128
.LBB182_43:
	s_or_b64 exec, exec, s[2:3]
	s_branch .LBB182_47
.LBB182_44:
                                        ; implicit-def: $vgpr37
                                        ; implicit-def: $vgpr41
                                        ; implicit-def: $vgpr45
                                        ; implicit-def: $vgpr49
	v_lshrrev_b32_e32 v68, 2, v74
	s_branch .LBB182_48
.LBB182_45:
                                        ; implicit-def: $vgpr37
                                        ; implicit-def: $vgpr41
                                        ; implicit-def: $vgpr45
                                        ; implicit-def: $vgpr49
	s_cbranch_execz .LBB182_47
; %bb.46:
	s_waitcnt vmcnt(0)
	v_mad_u64_u32 v[34:35], s[0:1], v54, s19, v[52:53]
	v_lshlrev_b32_e32 v54, 1, v34
	s_lshl_b32 s2, s19, 7
	s_and_b32 s1, s5, 0xffff
	s_mov_b32 s3, 0x20000
	s_mov_b32 s0, s4
	v_add_lshl_u32 v55, v34, s19, 1
	s_movk_i32 s17, 0x80
	buffer_load_dwordx4 v[34:37], v54, s[0:3], 0 offen
	buffer_load_dwordx4 v[42:45], v54, s[0:3], s17 offen
	;; [unrolled: 1-line block ×4, first 2 shown]
.LBB182_47:
	v_lshrrev_b32_e32 v68, 2, v74
	s_cbranch_execnz .LBB182_60
.LBB182_48:
	s_and_b64 vcc, exec, s[6:7]
	s_cbranch_vccz .LBB182_58
; %bb.49:
	s_waitcnt vmcnt(0)
	v_lshlrev_b32_e32 v39, 1, v51
	v_cmp_gt_i32_e32 vcc, s54, v39
	v_mov_b32_e32 v38, 0
	v_lshlrev_b32_e32 v46, 9, v51
	v_mov_b32_e32 v34, 0
	v_mov_b32_e32 v35, 0
	;; [unrolled: 1-line block ×4, first 2 shown]
	s_and_saveexec_b64 s[0:1], vcc
	s_cbranch_execz .LBB182_51
; %bb.50:
	v_mov_b32_e32 v47, 0
	v_lshl_add_u64 v[34:35], s[4:5], 0, v[46:47]
	v_lshlrev_b32_e32 v36, 1, v52
	v_mov_b32_e32 v37, v47
	v_lshl_add_u64 v[34:35], v[34:35], 0, v[36:37]
	global_load_dwordx4 v[34:37], v[34:35], off
.LBB182_51:
	s_or_b64 exec, exec, s[0:1]
	v_or_b32_e32 v39, 1, v39
	v_cmp_gt_i32_e64 s[0:1], s54, v39
	v_lshlrev_b32_e32 v54, 8, v39
	v_mov_b32_e32 v39, 0
	v_mov_b32_e32 v40, 0
	;; [unrolled: 1-line block ×3, first 2 shown]
	s_and_saveexec_b64 s[2:3], s[0:1]
	s_cbranch_execz .LBB182_53
; %bb.52:
	v_mov_b32_e32 v55, 0
	v_lshl_add_u64 v[38:39], s[4:5], 0, v[54:55]
	v_lshlrev_b32_e32 v40, 1, v52
	v_mov_b32_e32 v41, v55
	v_lshl_add_u64 v[38:39], v[38:39], 0, v[40:41]
	global_load_dwordx4 v[38:41], v[38:39], off
.LBB182_53:
	s_or_b64 exec, exec, s[2:3]
	v_mov_b32_e32 v49, 0
	v_mov_b32_e32 v42, 0
	v_mov_b32_e32 v43, 0
	v_mov_b32_e32 v44, 0
	v_mov_b32_e32 v45, 0
	s_and_saveexec_b64 s[2:3], vcc
	s_cbranch_execz .LBB182_55
; %bb.54:
	v_mov_b32_e32 v47, 0
	v_lshl_add_u64 v[42:43], s[4:5], 0, v[46:47]
	v_lshlrev_b32_e32 v46, 1, v52
	v_lshl_add_u64 v[42:43], v[42:43], 0, v[46:47]
	global_load_dwordx4 v[42:45], v[42:43], off offset:128
.LBB182_55:
	s_or_b64 exec, exec, s[2:3]
	v_mov_b32_e32 v48, 0
	v_mov_b32_e32 v47, 0
	v_mov_b32_e32 v46, 0
	s_and_saveexec_b64 s[2:3], s[0:1]
	s_cbranch_execz .LBB182_57
; %bb.56:
	v_mov_b32_e32 v55, 0
	v_lshl_add_u64 v[46:47], s[4:5], 0, v[54:55]
	v_lshlrev_b32_e32 v54, 1, v52
	v_lshl_add_u64 v[46:47], v[46:47], 0, v[54:55]
	global_load_dwordx4 v[46:49], v[46:47], off offset:128
.LBB182_57:
	s_or_b64 exec, exec, s[2:3]
	s_branch .LBB182_60
.LBB182_58:
                                        ; implicit-def: $vgpr37
                                        ; implicit-def: $vgpr41
                                        ; implicit-def: $vgpr45
                                        ; implicit-def: $vgpr49
	s_cbranch_execz .LBB182_60
; %bb.59:
	s_waitcnt vmcnt(0)
	v_lshlrev_b32_e32 v34, 1, v52
	v_lshl_or_b32 v52, v51, 9, v34
	s_and_b32 s5, s5, 0xffff
	s_mov_b32 s7, 0x20000
	s_movk_i32 s6, 0x4000
	s_movk_i32 s0, 0x80
	buffer_load_dwordx4 v[34:37], v52, s[4:7], 0 offen
	buffer_load_dwordx4 v[38:41], v52, s[4:7], 0 offen offset:256
	buffer_load_dwordx4 v[42:45], v52, s[4:7], s0 offen
	buffer_load_dwordx4 v[46:49], v52, s[4:7], s0 offen offset:256
.LBB182_60:
	ds_read_b64 v[54:55], v64 offset:57344
	v_add_u32_e32 v52, 0x6000, v60
	ds_read2_b64 v[74:77], v52 offset1:16
	ds_read_b64 v[70:71], v65 offset:57344
	ds_read_b64 v[86:87], v66 offset:57344
	;; [unrolled: 1-line block ×3, first 2 shown]
	ds_read2_b64 v[64:67], v52 offset0:32 offset1:48
	v_and_b32_e32 v52, 6, v0
	v_xor_b32_e32 v51, v51, v52
	v_lshlrev_b32_e32 v51, 2, v51
	s_mov_b32 s0, 0x1000504
	s_mov_b32 s1, 0x3020706
	s_waitcnt lgkmcnt(4)
	v_mfma_f32_16x16x16_bf16 a[4:7], v[54:55], v[76:77], a[4:7]
	v_mfma_f32_16x16x16_bf16 a[0:3], v[54:55], v[74:75], a[0:3]
	ds_read2st64_b64 v[74:77], v60 offset0:52 offset1:56
	s_waitcnt lgkmcnt(1)
	v_mfma_f32_16x16x16_bf16 a[8:11], v[54:55], v[64:65], a[8:11]
	v_mfma_f32_16x16x16_bf16 a[12:15], v[54:55], v[66:67], a[12:15]
	ds_read2st64_b64 v[64:67], v61 offset0:52 offset1:56
	ds_read2st64_b64 v[78:81], v62 offset0:52 offset1:56
	;; [unrolled: 1-line block ×3, first 2 shown]
	s_waitcnt lgkmcnt(2)
	v_mfma_f32_16x16x16_bf16 a[4:7], v[70:71], v[64:65], a[4:7]
	v_and_b32_e32 v64, 1, v0
	v_xor_b32_e32 v65, 0x440, v51
	v_cmp_eq_u32_e32 vcc, 0, v64
	v_mfma_f32_16x16x16_bf16 a[0:3], v[70:71], v[74:75], a[0:3]
	s_waitcnt vmcnt(0)
	v_perm_b32 v64, v42, v46, s0
	v_cndmask_b32_e32 v51, v65, v51, vcc
	v_lshl_or_b32 v51, v52, 10, v51
	s_waitcnt lgkmcnt(1)
	v_mfma_f32_16x16x16_bf16 a[8:11], v[70:71], v[78:79], a[8:11]
	v_perm_b32 v52, v34, v38, s0
	ds_read_b64 v[54:55], v60 offset:30720
	ds_read_b64 v[74:75], v61 offset:30720
	;; [unrolled: 1-line block ×4, first 2 shown]
	ds_write2st64_b32 v51, v52, v64 offset0:128 offset1:160
	s_waitcnt lgkmcnt(5)
	v_mfma_f32_16x16x16_bf16 a[12:15], v[70:71], v[82:83], a[12:15]
	v_xor_b32_e32 v52, 8, v51
	v_perm_b32 v34, v34, v38, s1
	v_perm_b32 v38, v42, v46, s1
	v_add_u32_e32 v42, 0x80, v52
	ds_write2st64_b32 v42, v34, v38 offset0:128 offset1:160
	v_xor_b32_e32 v34, 16, v51
	v_perm_b32 v38, v35, v39, s0
	v_perm_b32 v42, v43, v47, s0
	v_mfma_f32_16x16x16_bf16 a[0:3], v[86:87], v[76:77], a[0:3]
	ds_write2st64_b32 v34, v38, v42 offset0:129 offset1:161
	v_xor_b32_e32 v34, 24, v51
	v_perm_b32 v35, v35, v39, s1
	v_mfma_f32_16x16x16_bf16 a[4:7], v[86:87], v[66:67], a[4:7]
	v_perm_b32 v38, v43, v47, s1
	v_add_u32_e32 v34, 0x80, v34
	ds_write2st64_b32 v34, v35, v38 offset0:129 offset1:161
	v_mfma_f32_16x16x16_bf16 a[16:19], v[86:87], v[80:81], a[8:11]
	v_xor_b32_e32 v34, 32, v51
	v_perm_b32 v35, v36, v40, s0
	v_perm_b32 v38, v44, v48, s0
	v_mfma_f32_16x16x16_bf16 a[20:23], v[86:87], v[84:85], a[12:15]
	ds_write2st64_b32 v34, v35, v38 offset0:130 offset1:162
	v_xor_b32_e32 v34, 40, v51
	v_perm_b32 v35, v36, v40, s1
	s_waitcnt lgkmcnt(8)
	v_mfma_f32_16x16x16_bf16 a[12:15], v[88:89], v[54:55], a[0:3]
	v_perm_b32 v36, v44, v48, s1
	v_add_u32_e32 v34, 0x80, v34
	ds_write2st64_b32 v34, v35, v36 offset0:130 offset1:162
	s_waitcnt lgkmcnt(8)
	v_mfma_f32_16x16x16_bf16 a[8:11], v[88:89], v[74:75], a[4:7]
	v_xor_b32_e32 v34, 48, v51
	v_perm_b32 v35, v37, v41, s0
	v_perm_b32 v36, v45, v49, s0
	s_waitcnt lgkmcnt(7)
	v_mfma_f32_16x16x16_bf16 a[4:7], v[88:89], v[90:91], a[16:19]
	ds_write2st64_b32 v34, v35, v36 offset0:131 offset1:163
	v_xor_b32_e32 v34, 56, v51
	v_and_or_b32 v55, v68, 12, v73
	s_waitcnt lgkmcnt(7)
	v_mfma_f32_16x16x16_bf16 a[0:3], v[88:89], v[92:93], a[20:23]
	v_perm_b32 v35, v37, v41, s1
	v_perm_b32 v36, v45, v49, s1
	v_add_u32_e32 v34, 0x80, v34
	v_cmp_gt_i32_e32 vcc, s54, v55
	v_mov_b32_e32 v48, 0
	v_mov_b32_e32 v52, 0
	ds_write2st64_b32 v34, v35, v36 offset0:131 offset1:163
	s_and_saveexec_b64 s[0:1], vcc
	s_cbranch_execz .LBB182_62
; %bb.61:
	v_add_u32_e32 v34, s28, v55
	v_ashrrev_i32_e32 v35, 31, v34
	v_mul_lo_u32 v36, v35, s14
	v_mul_lo_u32 v37, v34, s15
	v_mad_u64_u32 v[34:35], s[2:3], v34, s14, 0
	v_add3_u32 v35, v35, v37, v36
	v_lshl_add_u64 v[34:35], v[34:35], 2, s[10:11]
	global_load_dword v34, v[34:35], off
	s_waitcnt vmcnt(0)
	v_sub_f32_e32 v34, s16, v34
	v_exp_f32_e32 v52, v34
.LBB182_62:
	s_or_b64 exec, exec, s[0:1]
	v_or_b32_e32 v40, 1, v55
	v_cmp_gt_i32_e64 s[0:1], s54, v40
	s_and_saveexec_b64 s[2:3], s[0:1]
	s_cbranch_execz .LBB182_64
; %bb.63:
	v_add_u32_e32 v34, s28, v40
	v_ashrrev_i32_e32 v35, 31, v34
	v_mul_lo_u32 v36, v35, s14
	v_mul_lo_u32 v37, v34, s15
	v_mad_u64_u32 v[34:35], s[4:5], v34, s14, 0
	v_add3_u32 v35, v35, v37, v36
	v_lshl_add_u64 v[34:35], v[34:35], 2, s[10:11]
	global_load_dword v34, v[34:35], off
	s_waitcnt vmcnt(0)
	v_sub_f32_e32 v34, s16, v34
	v_exp_f32_e32 v48, v34
.LBB182_64:
	s_or_b64 exec, exec, s[2:3]
	v_or_b32_e32 v41, 2, v55
	v_cmp_gt_i32_e64 s[2:3], s54, v41
	v_mov_b32_e32 v49, 0
	v_mov_b32_e32 v54, 0
	s_and_saveexec_b64 s[4:5], s[2:3]
	s_cbranch_execz .LBB182_66
; %bb.65:
	v_add_u32_e32 v34, s28, v41
	v_ashrrev_i32_e32 v35, 31, v34
	v_mul_lo_u32 v36, v35, s14
	v_mul_lo_u32 v37, v34, s15
	v_mad_u64_u32 v[34:35], s[6:7], v34, s14, 0
	v_add3_u32 v35, v35, v37, v36
	v_lshl_add_u64 v[34:35], v[34:35], 2, s[10:11]
	global_load_dword v34, v[34:35], off
	s_waitcnt vmcnt(0)
	v_sub_f32_e32 v34, s16, v34
	v_exp_f32_e32 v54, v34
.LBB182_66:
	s_or_b64 exec, exec, s[4:5]
	v_or_b32_e32 v64, 3, v55
	v_cmp_gt_i32_e64 s[4:5], s54, v64
	s_and_saveexec_b64 s[6:7], s[4:5]
	s_cbranch_execz .LBB182_68
; %bb.67:
	v_add_u32_e32 v34, s28, v64
	v_ashrrev_i32_e32 v35, 31, v34
	v_mul_lo_u32 v36, v35, s14
	v_mul_lo_u32 v37, v34, s15
	v_mad_u64_u32 v[34:35], s[14:15], v34, s14, 0
	v_add3_u32 v35, v35, v37, v36
	v_lshl_add_u64 v[34:35], v[34:35], 2, s[10:11]
	global_load_dword v34, v[34:35], off
	s_waitcnt vmcnt(0)
	v_sub_f32_e32 v34, s16, v34
	v_exp_f32_e32 v49, v34
.LBB182_68:
	s_or_b64 exec, exec, s[6:7]
	s_add_u32 s6, s8, s30
	v_accvgpr_read_b32 v37, a15
	s_addc_u32 s7, s9, s31
	v_ashrrev_i32_e32 v51, 31, v50
	v_accvgpr_read_b32 v36, a14
	v_accvgpr_read_b32 v35, a13
	;; [unrolled: 1-line block ×3, first 2 shown]
	v_lshl_add_u64 v[38:39], v[50:51], 1, s[6:7]
	v_mov_b32_e32 v45, 0
	v_lshlrev_b32_e32 v42, 8, v55
	v_mov_b32_e32 v43, 0
	s_and_saveexec_b64 s[6:7], vcc
	s_cbranch_execz .LBB182_70
; %bb.69:
	v_mov_b32_e32 v43, 0
	v_lshl_add_u64 v[46:47], v[38:39], 0, v[42:43]
	global_load_ushort v43, v[46:47], off
	s_waitcnt vmcnt(0)
	v_lshlrev_b32_e32 v43, 16, v43
	v_sub_f32_e32 v34, v43, v34
	v_mul_f32_e32 v34, v52, v34
	v_lshrrev_b32_e32 v43, 16, v34
.LBB182_70:
	s_or_b64 exec, exec, s[6:7]
	v_lshlrev_b32_e32 v44, 8, v40
	s_and_saveexec_b64 s[6:7], s[0:1]
	s_cbranch_execz .LBB182_72
; %bb.71:
	v_mov_b32_e32 v45, 0
	v_lshl_add_u64 v[46:47], v[38:39], 0, v[44:45]
	global_load_ushort v34, v[46:47], off
	s_waitcnt vmcnt(0)
	v_lshlrev_b32_e32 v34, 16, v34
	v_sub_f32_e32 v34, v34, v35
	v_mul_f32_e32 v34, v48, v34
	v_lshrrev_b32_e32 v45, 16, v34
.LBB182_72:
	s_or_b64 exec, exec, s[6:7]
	v_mov_b32_e32 v65, 0
	v_lshlrev_b32_e32 v46, 8, v41
	v_mov_b32_e32 v47, 0
	s_and_saveexec_b64 s[6:7], s[2:3]
	s_cbranch_execz .LBB182_74
; %bb.73:
	v_mov_b32_e32 v47, 0
	v_lshl_add_u64 v[34:35], v[38:39], 0, v[46:47]
	global_load_ushort v34, v[34:35], off
	s_waitcnt vmcnt(0)
	v_lshlrev_b32_e32 v34, 16, v34
	v_sub_f32_e32 v34, v34, v36
	v_mul_f32_e32 v34, v54, v34
	v_lshrrev_b32_e32 v47, 16, v34
.LBB182_74:
	s_or_b64 exec, exec, s[6:7]
	v_lshlrev_b32_e32 v40, 8, v64
	s_and_saveexec_b64 s[6:7], s[4:5]
	s_cbranch_execz .LBB182_76
; %bb.75:
	v_mov_b32_e32 v41, 0
	v_lshl_add_u64 v[34:35], v[38:39], 0, v[40:41]
	global_load_ushort v34, v[34:35], off
	s_waitcnt vmcnt(0)
	v_lshlrev_b32_e32 v34, 16, v34
	v_sub_f32_e32 v34, v34, v37
	v_mul_f32_e32 v34, v49, v34
	v_lshrrev_b32_e32 v65, 16, v34
.LBB182_76:
	s_or_b64 exec, exec, s[6:7]
	v_lshlrev_b32_e32 v51, 6, v55
	v_accvgpr_read_b32 v37, a11
	s_mov_b32 s6, 0x5040100
	v_or_b32_e32 v41, v51, v58
	v_accvgpr_read_b32 v36, a10
	v_accvgpr_read_b32 v35, a9
	;; [unrolled: 1-line block ×3, first 2 shown]
	v_perm_b32 v65, v65, v47, s6
	v_perm_b32 v64, v45, v43, s6
	v_lshlrev_b32_e32 v41, 1, v41
	v_mov_b32_e32 v45, 0
	v_mov_b32_e32 v43, 0
	ds_write_b64 v41, v[64:65] offset:24576
	s_and_saveexec_b64 s[6:7], vcc
	s_cbranch_execz .LBB182_78
; %bb.77:
	v_mov_b32_e32 v43, 0
	v_lshl_add_u64 v[64:65], v[38:39], 0, v[42:43]
	global_load_ushort v41, v[64:65], off offset:32
	s_waitcnt vmcnt(0)
	v_lshlrev_b32_e32 v41, 16, v41
	v_sub_f32_e32 v34, v41, v34
	v_mul_f32_e32 v34, v52, v34
	v_lshrrev_b32_e32 v43, 16, v34
.LBB182_78:
	s_or_b64 exec, exec, s[6:7]
	s_and_saveexec_b64 s[6:7], s[0:1]
	s_cbranch_execz .LBB182_80
; %bb.79:
	v_mov_b32_e32 v45, 0
	v_lshl_add_u64 v[64:65], v[38:39], 0, v[44:45]
	global_load_ushort v34, v[64:65], off offset:32
	s_waitcnt vmcnt(0)
	v_lshlrev_b32_e32 v34, 16, v34
	v_sub_f32_e32 v34, v34, v35
	v_mul_f32_e32 v34, v48, v34
	v_lshrrev_b32_e32 v45, 16, v34
.LBB182_80:
	s_or_b64 exec, exec, s[6:7]
	v_mov_b32_e32 v41, 0
	v_mov_b32_e32 v47, 0
	s_and_saveexec_b64 s[6:7], s[2:3]
	s_cbranch_execz .LBB182_82
; %bb.81:
	v_mov_b32_e32 v47, 0
	v_lshl_add_u64 v[34:35], v[38:39], 0, v[46:47]
	global_load_ushort v34, v[34:35], off offset:32
	s_waitcnt vmcnt(0)
	v_lshlrev_b32_e32 v34, 16, v34
	v_sub_f32_e32 v34, v34, v36
	v_mul_f32_e32 v34, v54, v34
	v_lshrrev_b32_e32 v47, 16, v34
.LBB182_82:
	s_or_b64 exec, exec, s[6:7]
	s_and_saveexec_b64 s[6:7], s[4:5]
	s_cbranch_execz .LBB182_84
; %bb.83:
	v_mov_b32_e32 v41, 0
	v_lshl_add_u64 v[34:35], v[38:39], 0, v[40:41]
	global_load_ushort v34, v[34:35], off offset:32
	s_waitcnt vmcnt(0)
	v_lshlrev_b32_e32 v34, 16, v34
	v_sub_f32_e32 v34, v34, v37
	v_mul_f32_e32 v34, v49, v34
	v_lshrrev_b32_e32 v41, 16, v34
.LBB182_84:
	s_or_b64 exec, exec, s[6:7]
	s_mov_b32 s6, 0x5040100
	v_accvgpr_read_b32 v37, a7
	v_perm_b32 v65, v41, v47, s6
	v_or_b32_e32 v41, v51, v57
	v_accvgpr_read_b32 v36, a6
	v_accvgpr_read_b32 v35, a5
	v_accvgpr_read_b32 v34, a4
	v_perm_b32 v64, v45, v43, s6
	v_lshlrev_b32_e32 v41, 1, v41
	v_mov_b32_e32 v45, 0
	v_mov_b32_e32 v43, 0
	ds_write_b64 v41, v[64:65] offset:24576
	s_and_saveexec_b64 s[6:7], vcc
	s_cbranch_execz .LBB182_86
; %bb.85:
	v_mov_b32_e32 v43, 0
	v_lshl_add_u64 v[64:65], v[38:39], 0, v[42:43]
	global_load_ushort v41, v[64:65], off offset:64
	s_waitcnt vmcnt(0)
	v_lshlrev_b32_e32 v41, 16, v41
	v_sub_f32_e32 v34, v41, v34
	v_mul_f32_e32 v34, v52, v34
	v_lshrrev_b32_e32 v43, 16, v34
.LBB182_86:
	s_or_b64 exec, exec, s[6:7]
	s_and_saveexec_b64 s[6:7], s[0:1]
	s_cbranch_execz .LBB182_88
; %bb.87:
	v_mov_b32_e32 v45, 0
	v_lshl_add_u64 v[64:65], v[38:39], 0, v[44:45]
	global_load_ushort v34, v[64:65], off offset:64
	s_waitcnt vmcnt(0)
	v_lshlrev_b32_e32 v34, 16, v34
	v_sub_f32_e32 v34, v34, v35
	v_mul_f32_e32 v34, v48, v34
	v_lshrrev_b32_e32 v45, 16, v34
.LBB182_88:
	s_or_b64 exec, exec, s[6:7]
	v_mov_b32_e32 v41, 0
	v_mov_b32_e32 v47, 0
	s_and_saveexec_b64 s[6:7], s[2:3]
	s_cbranch_execz .LBB182_90
; %bb.89:
	v_mov_b32_e32 v47, 0
	v_lshl_add_u64 v[34:35], v[38:39], 0, v[46:47]
	global_load_ushort v34, v[34:35], off offset:64
	s_waitcnt vmcnt(0)
	v_lshlrev_b32_e32 v34, 16, v34
	v_sub_f32_e32 v34, v34, v36
	v_mul_f32_e32 v34, v54, v34
	v_lshrrev_b32_e32 v47, 16, v34
.LBB182_90:
	s_or_b64 exec, exec, s[6:7]
	s_and_saveexec_b64 s[6:7], s[4:5]
	s_cbranch_execz .LBB182_92
; %bb.91:
	v_mov_b32_e32 v41, 0
	v_lshl_add_u64 v[34:35], v[38:39], 0, v[40:41]
	global_load_ushort v34, v[34:35], off offset:64
	s_waitcnt vmcnt(0)
	v_lshlrev_b32_e32 v34, 16, v34
	v_sub_f32_e32 v34, v34, v37
	v_mul_f32_e32 v34, v49, v34
	v_lshrrev_b32_e32 v41, 16, v34
.LBB182_92:
	s_or_b64 exec, exec, s[6:7]
	s_mov_b32 s6, 0x5040100
	v_accvgpr_read_b32 v37, a3
	v_perm_b32 v65, v41, v47, s6
	v_or_b32_e32 v41, v51, v56
	v_accvgpr_read_b32 v36, a2
	v_accvgpr_read_b32 v35, a1
	;; [unrolled: 1-line block ×3, first 2 shown]
	v_perm_b32 v64, v45, v43, s6
	v_lshlrev_b32_e32 v41, 1, v41
	v_mov_b32_e32 v45, 0
	v_mov_b32_e32 v43, 0
	ds_write_b64 v41, v[64:65] offset:24576
	s_and_saveexec_b64 s[6:7], vcc
	s_cbranch_execz .LBB182_94
; %bb.93:
	v_mov_b32_e32 v43, 0
	v_lshl_add_u64 v[42:43], v[38:39], 0, v[42:43]
	global_load_ushort v41, v[42:43], off offset:96
	s_waitcnt vmcnt(0)
	v_lshlrev_b32_e32 v41, 16, v41
	v_sub_f32_e32 v34, v41, v34
	v_mul_f32_e32 v34, v52, v34
	v_lshrrev_b32_e32 v43, 16, v34
.LBB182_94:
	s_or_b64 exec, exec, s[6:7]
	s_and_saveexec_b64 s[6:7], s[0:1]
	s_cbranch_execz .LBB182_96
; %bb.95:
	v_mov_b32_e32 v45, 0
	v_lshl_add_u64 v[44:45], v[38:39], 0, v[44:45]
	global_load_ushort v34, v[44:45], off offset:96
	s_waitcnt vmcnt(0)
	v_lshlrev_b32_e32 v34, 16, v34
	v_sub_f32_e32 v34, v34, v35
	v_mul_f32_e32 v34, v48, v34
	v_lshrrev_b32_e32 v45, 16, v34
.LBB182_96:
	s_or_b64 exec, exec, s[6:7]
	v_mov_b32_e32 v41, 0
	v_mov_b32_e32 v44, 0
	s_and_saveexec_b64 s[0:1], s[2:3]
	s_cbranch_execz .LBB182_98
; %bb.97:
	v_mov_b32_e32 v47, 0
	v_lshl_add_u64 v[34:35], v[38:39], 0, v[46:47]
	global_load_ushort v34, v[34:35], off offset:96
	s_waitcnt vmcnt(0)
	v_lshlrev_b32_e32 v34, 16, v34
	v_sub_f32_e32 v34, v34, v36
	v_mul_f32_e32 v34, v54, v34
	v_lshrrev_b32_e32 v44, 16, v34
.LBB182_98:
	s_or_b64 exec, exec, s[0:1]
	v_or_b32_e32 v42, 0x6000, v60
	v_or_b32_e32 v36, 0x6000, v61
	;; [unrolled: 1-line block ×4, first 2 shown]
	s_and_saveexec_b64 s[0:1], s[4:5]
	s_cbranch_execz .LBB182_100
; %bb.99:
	v_mov_b32_e32 v41, 0
	v_lshl_add_u64 v[38:39], v[38:39], 0, v[40:41]
	global_load_ushort v38, v[38:39], off offset:96
	s_waitcnt vmcnt(0)
	v_lshlrev_b32_e32 v38, 16, v38
	v_sub_f32_e32 v37, v38, v37
	v_mul_f32_e32 v37, v49, v37
	v_lshrrev_b32_e32 v41, 16, v37
.LBB182_100:
	s_or_b64 exec, exec, s[0:1]
	s_mov_b32 s0, 0x5040100
	v_or_b32_e32 v37, v51, v53
	v_perm_b32 v39, v41, v44, s0
	v_perm_b32 v38, v45, v43, s0
	v_lshlrev_b32_e32 v37, 1, v37
	s_movk_i32 s0, 0x100
	ds_write_b64 v37, v[38:39] offset:24576
	v_and_b32_e32 v37, 7, v0
	v_and_b32_e32 v38, 8, v0
	v_cmp_gt_u32_e32 vcc, s0, v0
	v_lshrrev_b32_e32 v0, 1, v0
	v_mov_b32_e32 v39, 0xa000
	v_mov_b32_e32 v40, 0x8000
	v_lshlrev_b32_e32 v58, 3, v72
	v_and_b32_e32 v0, 24, v0
	v_cndmask_b32_e32 v51, v39, v40, vcc
	v_xor_b32_e32 v39, v58, v0
	v_or_b32_e32 v40, 0x440, v39
	v_cmp_eq_u32_e32 vcc, 0, v38
	v_lshlrev_b32_e32 v43, 3, v37
	v_lshlrev_b32_e32 v37, 7, v37
	v_cndmask_b32_e32 v38, v40, v39, vcc
	v_or_b32_e32 v38, v38, v59
	v_xad_u32 v72, v38, v43, v37
	v_add_u32_e32 v38, v51, v72
	s_waitcnt lgkmcnt(0)
	s_barrier
	ds_read_b64 v[48:49], v38
	ds_read2_b64 v[38:41], v42 offset1:16
	ds_read2_b64 v[44:47], v42 offset0:32 offset1:48
	v_or_b32_e32 v52, 32, v0
	v_xor_b32_e32 v52, v58, v52
	v_or_b32_e32 v53, 0x440, v52
	v_cndmask_b32_e32 v52, v53, v52, vcc
	s_waitcnt lgkmcnt(1)
	v_mfma_f32_16x16x16_bf16 a[0:3], v[48:49], v[38:39], 0
	v_or_b32_e32 v52, v52, v59
	v_xad_u32 v73, v52, v43, v37
	v_add_u32_e32 v52, v51, v73
	v_mfma_f32_16x16x16_bf16 a[4:7], v[48:49], v[40:41], 0
	ds_read_b64 v[56:57], v52
	ds_read2st64_b64 v[60:63], v36 offset0:4 offset1:8
	ds_read2st64_b64 v[64:67], v35 offset0:4 offset1:8
	s_waitcnt lgkmcnt(3)
	v_mfma_f32_16x16x16_bf16 a[8:11], v[48:49], v[44:45], 0
	ds_read2st64_b64 v[68:71], v34 offset0:4 offset1:8
	v_mfma_f32_16x16x16_bf16 a[12:15], v[48:49], v[46:47], 0
	v_or_b32_e32 v48, 64, v0
	v_xor_b32_e32 v48, v58, v48
	v_xor_b32_e32 v49, 0x440, v48
	v_cndmask_b32_e32 v48, v49, v48, vcc
	v_or_b32_e32 v48, v48, v59
	v_xad_u32 v74, v48, v43, v37
	v_add_u32_e32 v48, v51, v74
	ds_read_b64 v[48:49], v48
	ds_read2st64_b64 v[52:55], v42 offset0:4 offset1:8
	v_or_b32_e32 v0, 0x60, v0
	v_xor_b32_e32 v0, v58, v0
	s_waitcnt lgkmcnt(0)
	v_mfma_f32_16x16x16_bf16 a[0:3], v[56:57], v[52:53], a[0:3]
	v_mfma_f32_16x16x16_bf16 a[4:7], v[56:57], v[60:61], a[4:7]
	;; [unrolled: 1-line block ×4, first 2 shown]
	v_xor_b32_e32 v56, 0x440, v0
	v_cndmask_b32_e32 v0, v56, v0, vcc
	v_or_b32_e32 v0, v0, v59
	v_xad_u32 v0, v0, v43, v37
	v_add_u32_e32 v37, v51, v0
	v_mfma_f32_16x16x16_bf16 a[0:3], v[48:49], v[54:55], a[0:3]
	ds_read_b64 v[56:57], v37
	ds_read_b64 v[42:43], v42 offset:6144
	v_mfma_f32_16x16x16_bf16 a[4:7], v[48:49], v[62:63], a[4:7]
	v_mfma_f32_16x16x16_bf16 a[8:11], v[48:49], v[66:67], a[8:11]
	v_mfma_f32_16x16x16_bf16 a[12:15], v[48:49], v[70:71], a[12:15]
	ds_read_b64 v[36:37], v36 offset:6144
	ds_read_b64 v[48:49], v35 offset:6144
	;; [unrolled: 1-line block ×3, first 2 shown]
	s_waitcnt lgkmcnt(3)
	v_mfma_f32_16x16x16_bf16 a[0:3], v[56:57], v[42:43], a[0:3]
	s_waitcnt lgkmcnt(2)
	v_mfma_f32_16x16x16_bf16 a[4:7], v[56:57], v[36:37], a[4:7]
	;; [unrolled: 2-line block ×4, first 2 shown]
	ds_read_b64 v[56:57], v72 offset:40960
	s_waitcnt lgkmcnt(0)
	v_mfma_f32_16x16x16_bf16 a[24:27], v[56:57], v[44:45], 0
	v_exp_f32_e32 v44, s16
	v_accvgpr_read_b32 v45, a3
	v_fmac_f32_e32 v45, v44, v33
	v_mfma_f32_16x16x16_bf16 a[16:19], v[56:57], v[38:39], 0
	ds_read_b64 v[38:39], v73 offset:40960
	v_accvgpr_read_b32 v33, a4
	v_fma_f32 v22, v44, v22, v33
	v_mfma_f32_16x16x16_bf16 a[20:23], v[56:57], v[40:41], 0
	v_accvgpr_read_b32 v40, a0
	v_fma_f32 v30, v44, v30, v40
	v_accvgpr_read_b32 v40, a1
	v_fma_f32 v31, v44, v31, v40
	v_accvgpr_read_b32 v40, a2
	v_mfma_f32_16x16x16_bf16 a[28:31], v[56:57], v[46:47], 0
	v_fma_f32 v32, v44, v32, v40
	ds_read_b64 v[40:41], v74 offset:40960
	v_accvgpr_read_b32 v33, a5
	s_waitcnt lgkmcnt(1)
	v_mfma_f32_16x16x16_bf16 a[16:19], v[38:39], v[52:53], a[16:19]
	v_fma_f32 v23, v44, v23, v33
	v_accvgpr_read_b32 v33, a6
	v_accvgpr_read_b32 v46, a7
	v_mfma_f32_16x16x16_bf16 a[20:23], v[38:39], v[60:61], a[20:23]
	v_fmac_f32_e32 v46, v44, v25
	v_accvgpr_read_b32 v25, a8
	v_fma_f32 v24, v44, v24, v33
	v_mfma_f32_16x16x16_bf16 a[24:27], v[38:39], v[64:65], a[24:27]
	v_fma_f32 v14, v44, v14, v25
	v_mov_b32_e32 v33, v45
	v_mov_b32_e32 v25, v46
	v_mfma_f32_16x16x16_bf16 a[0:3], v[38:39], v[68:69], a[28:31]
	ds_read_b64 v[38:39], v0 offset:40960
	v_accvgpr_read_b32 v0, a9
	v_fma_f32 v15, v44, v15, v0
	s_waitcnt lgkmcnt(1)
	v_mfma_f32_16x16x16_bf16 a[4:7], v[40:41], v[62:63], a[20:23]
	v_accvgpr_read_b32 v0, a10
	v_fma_f32 v16, v44, v16, v0
	v_accvgpr_read_b32 v0, a11
	v_mfma_f32_16x16x16_bf16 a[16:19], v[40:41], v[54:55], a[16:19]
	v_fmac_f32_e32 v0, v44, v17
	v_accvgpr_read_b32 v17, a12
	v_fma_f32 v2, v44, v2, v17
	v_mfma_f32_16x16x16_bf16 a[20:23], v[40:41], v[66:67], a[24:27]
	v_accvgpr_read_b32 v17, a13
	v_fma_f32 v3, v44, v3, v17
	v_accvgpr_read_b32 v17, a14
	v_mfma_f32_16x16x16_bf16 a[0:3], v[40:41], v[70:71], a[0:3]
	v_fma_f32 v4, v44, v4, v17
	s_waitcnt lgkmcnt(0)
	v_mfma_f32_16x16x16_bf16 a[4:7], v[38:39], v[36:37], a[4:7]
	v_accvgpr_read_b32 v36, a15
	v_fmac_f32_e32 v36, v44, v5
	v_mfma_f32_16x16x16_bf16 a[8:11], v[38:39], v[42:43], a[16:19]
	v_mfma_f32_16x16x16_bf16 a[16:19], v[38:39], v[48:49], a[20:23]
	s_nop 2
	v_accvgpr_read_b32 v17, a4
	v_fma_f32 v18, v44, v18, v17
	v_accvgpr_read_b32 v17, a5
	v_mfma_f32_16x16x16_bf16 a[0:3], v[38:39], v[34:35], a[0:3]
	v_accvgpr_read_b32 v5, a8
	v_fma_f32 v19, v44, v19, v17
	v_accvgpr_read_b32 v17, a6
	v_fma_f32 v26, v44, v26, v5
	;; [unrolled: 2-line block ×3, first 2 shown]
	v_accvgpr_read_b32 v17, a7
	v_accvgpr_read_b32 v34, a19
	v_fma_f32 v27, v44, v27, v5
	v_accvgpr_read_b32 v5, a10
	v_fmac_f32_e32 v17, v44, v21
	v_accvgpr_read_b32 v21, a16
	v_fmac_f32_e32 v34, v44, v13
	v_accvgpr_read_b32 v13, a0
	v_fma_f32 v28, v44, v28, v5
	v_accvgpr_read_b32 v5, a11
	v_fma_f32 v10, v44, v10, v21
	;; [unrolled: 2-line block ×3, first 2 shown]
	v_accvgpr_read_b32 v13, a1
	v_accvgpr_read_b32 v35, a3
	v_fmac_f32_e32 v5, v44, v29
	v_fma_f32 v11, v44, v11, v21
	v_accvgpr_read_b32 v21, a18
	v_fma_f32 v7, v44, v7, v13
	v_accvgpr_read_b32 v13, a2
	v_fmac_f32_e32 v35, v44, v9
	v_fma_f32 v12, v44, v12, v21
	v_fma_f32 v8, v44, v8, v13
	v_mov_b32_e32 v29, v5
	v_mov_b32_e32 v21, v17
	;; [unrolled: 1-line block ×7, first 2 shown]
.LBB182_101:
	s_mul_i32 s0, s45, s35
	s_mul_hi_u32 s1, s45, s34
	s_add_i32 s0, s1, s0
	s_mul_i32 s1, s33, s34
	s_add_i32 s1, s0, s1
	s_mul_i32 s0, s45, s34
	s_add_u32 s0, s0, s44
	s_addc_u32 s1, s1, s29
	s_lshl_b64 s[0:1], s[0:1], 16
	s_add_u32 s0, s12, s0
	v_lshlrev_b32_e32 v34, 7, v34
	s_addc_u32 s1, s13, s1
	v_ashrrev_i32_e32 v35, 31, v34
	v_lshl_add_u64 v[36:37], v[34:35], 2, s[0:1]
	v_lshlrev_b32_e32 v0, 2, v1
	v_mov_b32_e32 v1, 0
	v_lshl_add_u64 v[36:37], v[36:37], 0, v[0:1]
	global_store_dwordx4 v[36:37], v[30:33], off
	global_store_dwordx4 v[36:37], v[26:29], off offset:256
	s_nop 1
	v_or_b32_e32 v26, 0x800, v34
	v_ashrrev_i32_e32 v27, 31, v26
	v_lshl_add_u64 v[26:27], v[26:27], 2, s[0:1]
	v_lshl_add_u64 v[26:27], v[26:27], 0, v[0:1]
	global_store_dwordx4 v[26:27], v[22:25], off
	global_store_dwordx4 v[26:27], v[18:21], off offset:256
	s_nop 1
	v_or_b32_e32 v18, 0x1000, v34
	v_ashrrev_i32_e32 v19, 31, v18
	v_lshl_add_u64 v[18:19], v[18:19], 2, s[0:1]
	;; [unrolled: 7-line block ×3, first 2 shown]
	v_lshl_add_u64 v[0:1], v[10:11], 0, v[0:1]
	global_store_dwordx4 v[0:1], v[2:5], off
	global_store_dwordx4 v[0:1], v[6:9], off offset:256
	s_endpgm
	.section	.rodata,"a",@progbits
	.p2align	6, 0x0
	.amdhsa_kernel _ZN12_GLOBAL__N_139chunk_gated_delta_rule_fwd_h_hip_kernelILi64ELb0ELb1ELb0ELb1ELb1ELb0ELb0ELb0EEEvPK12hip_bfloat16S3_S3_PKfS5_PKvPS1_S8_PvPKiSB_iiiiilll
		.amdhsa_group_segment_fixed_size 65536
		.amdhsa_private_segment_fixed_size 0
		.amdhsa_kernarg_size 136
		.amdhsa_user_sgpr_count 2
		.amdhsa_user_sgpr_dispatch_ptr 0
		.amdhsa_user_sgpr_queue_ptr 0
		.amdhsa_user_sgpr_kernarg_segment_ptr 1
		.amdhsa_user_sgpr_dispatch_id 0
		.amdhsa_user_sgpr_kernarg_preload_length 0
		.amdhsa_user_sgpr_kernarg_preload_offset 0
		.amdhsa_user_sgpr_private_segment_size 0
		.amdhsa_uses_dynamic_stack 0
		.amdhsa_enable_private_segment 0
		.amdhsa_system_sgpr_workgroup_id_x 1
		.amdhsa_system_sgpr_workgroup_id_y 1
		.amdhsa_system_sgpr_workgroup_id_z 0
		.amdhsa_system_sgpr_workgroup_info 0
		.amdhsa_system_vgpr_workitem_id 0
		.amdhsa_next_free_vgpr 216
		.amdhsa_next_free_sgpr 65
		.amdhsa_accum_offset 180
		.amdhsa_reserve_vcc 1
		.amdhsa_float_round_mode_32 0
		.amdhsa_float_round_mode_16_64 0
		.amdhsa_float_denorm_mode_32 3
		.amdhsa_float_denorm_mode_16_64 3
		.amdhsa_dx10_clamp 1
		.amdhsa_ieee_mode 1
		.amdhsa_fp16_overflow 0
		.amdhsa_tg_split 0
		.amdhsa_exception_fp_ieee_invalid_op 0
		.amdhsa_exception_fp_denorm_src 0
		.amdhsa_exception_fp_ieee_div_zero 0
		.amdhsa_exception_fp_ieee_overflow 0
		.amdhsa_exception_fp_ieee_underflow 0
		.amdhsa_exception_fp_ieee_inexact 0
		.amdhsa_exception_int_div_zero 0
	.end_amdhsa_kernel
	.section	.text._ZN12_GLOBAL__N_139chunk_gated_delta_rule_fwd_h_hip_kernelILi64ELb0ELb1ELb0ELb1ELb1ELb0ELb0ELb0EEEvPK12hip_bfloat16S3_S3_PKfS5_PKvPS1_S8_PvPKiSB_iiiiilll,"axG",@progbits,_ZN12_GLOBAL__N_139chunk_gated_delta_rule_fwd_h_hip_kernelILi64ELb0ELb1ELb0ELb1ELb1ELb0ELb0ELb0EEEvPK12hip_bfloat16S3_S3_PKfS5_PKvPS1_S8_PvPKiSB_iiiiilll,comdat
.Lfunc_end182:
	.size	_ZN12_GLOBAL__N_139chunk_gated_delta_rule_fwd_h_hip_kernelILi64ELb0ELb1ELb0ELb1ELb1ELb0ELb0ELb0EEEvPK12hip_bfloat16S3_S3_PKfS5_PKvPS1_S8_PvPKiSB_iiiiilll, .Lfunc_end182-_ZN12_GLOBAL__N_139chunk_gated_delta_rule_fwd_h_hip_kernelILi64ELb0ELb1ELb0ELb1ELb1ELb0ELb0ELb0EEEvPK12hip_bfloat16S3_S3_PKfS5_PKvPS1_S8_PvPKiSB_iiiiilll
                                        ; -- End function
	.section	.AMDGPU.csdata,"",@progbits
; Kernel info:
; codeLenInByte = 12124
; NumSgprs: 71
; NumVgprs: 178
; NumAgprs: 36
; TotalNumVgprs: 216
; ScratchSize: 0
; MemoryBound: 0
; FloatMode: 240
; IeeeMode: 1
; LDSByteSize: 65536 bytes/workgroup (compile time only)
; SGPRBlocks: 8
; VGPRBlocks: 26
; NumSGPRsForWavesPerEU: 71
; NumVGPRsForWavesPerEU: 216
; AccumOffset: 180
; Occupancy: 1
; WaveLimiterHint : 1
; COMPUTE_PGM_RSRC2:SCRATCH_EN: 0
; COMPUTE_PGM_RSRC2:USER_SGPR: 2
; COMPUTE_PGM_RSRC2:TRAP_HANDLER: 0
; COMPUTE_PGM_RSRC2:TGID_X_EN: 1
; COMPUTE_PGM_RSRC2:TGID_Y_EN: 1
; COMPUTE_PGM_RSRC2:TGID_Z_EN: 0
; COMPUTE_PGM_RSRC2:TIDIG_COMP_CNT: 0
; COMPUTE_PGM_RSRC3_GFX90A:ACCUM_OFFSET: 44
; COMPUTE_PGM_RSRC3_GFX90A:TG_SPLIT: 0
	.section	.text._ZN12_GLOBAL__N_139chunk_gated_delta_rule_fwd_h_hip_kernelILi64ELb0ELb0ELb1ELb1ELb1ELb0ELb0ELb0EEEvPK12hip_bfloat16S3_S3_PKfS5_PKvPS1_S8_PvPKiSB_iiiiilll,"axG",@progbits,_ZN12_GLOBAL__N_139chunk_gated_delta_rule_fwd_h_hip_kernelILi64ELb0ELb0ELb1ELb1ELb1ELb0ELb0ELb0EEEvPK12hip_bfloat16S3_S3_PKfS5_PKvPS1_S8_PvPKiSB_iiiiilll,comdat
	.globl	_ZN12_GLOBAL__N_139chunk_gated_delta_rule_fwd_h_hip_kernelILi64ELb0ELb0ELb1ELb1ELb1ELb0ELb0ELb0EEEvPK12hip_bfloat16S3_S3_PKfS5_PKvPS1_S8_PvPKiSB_iiiiilll ; -- Begin function _ZN12_GLOBAL__N_139chunk_gated_delta_rule_fwd_h_hip_kernelILi64ELb0ELb0ELb1ELb1ELb1ELb0ELb0ELb0EEEvPK12hip_bfloat16S3_S3_PKfS5_PKvPS1_S8_PvPKiSB_iiiiilll
	.p2align	8
	.type	_ZN12_GLOBAL__N_139chunk_gated_delta_rule_fwd_h_hip_kernelILi64ELb0ELb0ELb1ELb1ELb1ELb0ELb0ELb0EEEvPK12hip_bfloat16S3_S3_PKfS5_PKvPS1_S8_PvPKiSB_iiiiilll,@function
_ZN12_GLOBAL__N_139chunk_gated_delta_rule_fwd_h_hip_kernelILi64ELb0ELb0ELb1ELb1ELb1ELb0ELb0ELb0EEEvPK12hip_bfloat16S3_S3_PKfS5_PKvPS1_S8_PvPKiSB_iiiiilll: ; @_ZN12_GLOBAL__N_139chunk_gated_delta_rule_fwd_h_hip_kernelILi64ELb0ELb0ELb1ELb1ELb1ELb0ELb0ELb0EEEvPK12hip_bfloat16S3_S3_PKfS5_PKvPS1_S8_PvPKiSB_iiiiilll
; %bb.0:
	s_load_dwordx4 s[16:19], s[0:1], 0x5c
	s_load_dwordx4 s[20:23], s[0:1], 0x70
	s_abs_i32 s25, s3
	s_ashr_i32 s24, s3, 31
	s_load_dwordx4 s[12:15], s[0:1], 0x30
	s_load_dwordx4 s[28:31], s[0:1], 0x48
	s_waitcnt lgkmcnt(0)
	s_abs_i32 s34, s17
	v_cvt_f32_u32_e32 v1, s34
	s_sub_i32 s26, 0, s34
	s_ashr_i32 s35, s17, 31
	s_xor_b32 s24, s24, s35
	v_rcp_iflag_f32_e32 v1, v1
	s_load_dwordx8 s[4:11], s[0:1], 0x0
	v_lshrrev_b32_e32 v76, 6, v0
	v_bfe_u32 v77, v0, 4, 2
	v_mul_f32_e32 v1, 0x4f7ffffe, v1
	v_cvt_u32_f32_e32 v1, v1
	v_lshlrev_b32_e32 v2, 2, v77
	v_and_b32_e32 v75, 63, v0
	v_mov_b32_e32 v35, 0
	v_readfirstlane_b32 s27, v1
	s_mul_i32 s26, s26, s27
	s_mul_hi_u32 s26, s27, s26
	s_add_i32 s27, s27, s26
	s_mul_hi_u32 s26, s25, s27
	s_mul_i32 s27, s26, s34
	s_sub_i32 s25, s25, s27
	s_add_i32 s33, s26, 1
	s_sub_i32 s27, s25, s34
	s_cmp_ge_u32 s25, s34
	s_cselect_b32 s26, s33, s26
	s_cselect_b32 s25, s27, s25
	s_add_i32 s27, s26, 1
	s_cmp_ge_u32 s25, s34
	s_cselect_b32 s25, s27, s26
	s_xor_b32 s25, s25, s24
	s_sub_i32 s24, s25, s24
	s_mul_i32 s25, s24, s17
	s_sub_i32 s33, s3, s25
	s_ashr_i32 s25, s24, 31
	s_lshl_b64 s[26:27], s[24:25], 2
	s_add_u32 s28, s28, s26
	s_addc_u32 s29, s29, s27
	s_add_u32 s26, s30, s26
	s_addc_u32 s27, s31, s27
	s_abs_i32 s3, s18
	v_cvt_f32_u32_e32 v1, s3
	s_load_dwordx2 s[38:39], s[28:29], 0x0
	s_sub_i32 s29, 0, s3
	s_load_dword s46, s[26:27], 0x0
	v_rcp_iflag_f32_e32 v1, v1
	v_and_b32_e32 v74, 15, v0
	s_waitcnt lgkmcnt(0)
	s_sub_i32 s47, s39, s38
	s_ashr_i32 s28, s47, 31
	v_mul_f32_e32 v1, 0x4f7ffffe, v1
	v_cvt_u32_f32_e32 v1, v1
	s_lshr_b32 s28, s28, 26
	s_add_i32 s28, s47, s28
	s_ashr_i32 s45, s28, 6
	v_readfirstlane_b32 s30, v1
	s_mul_i32 s29, s29, s30
	s_mul_hi_u32 s29, s30, s29
	s_add_i32 s30, s30, s29
	s_mul_hi_u32 s29, s34, s30
	s_mul_i32 s30, s29, s3
	s_ashr_i32 s28, s18, 31
	s_sub_i32 s30, s34, s30
	s_xor_b32 s28, s35, s28
	s_add_i32 s31, s29, 1
	s_sub_i32 s34, s30, s3
	s_cmp_ge_u32 s30, s3
	s_cselect_b32 s29, s31, s29
	s_cselect_b32 s30, s34, s30
	s_add_i32 s31, s29, 1
	s_cmp_ge_u32 s30, s3
	s_cselect_b32 s3, s31, s29
	s_xor_b32 s3, s3, s28
	s_sub_i32 s3, s3, s28
	s_abs_i32 s28, s3
	v_cvt_f32_u32_e32 v1, s28
	s_load_dwordx2 s[34:35], s[0:1], 0x80
	s_xor_b32 s0, s33, s3
	s_sub_i32 s3, 0, s28
	v_rcp_iflag_f32_e32 v1, v1
	s_abs_i32 s1, s33
	s_ashr_i32 s0, s0, 31
	s_mul_hi_i32 s48, s33, s16
	v_mul_f32_e32 v1, 0x4f7ffffe, v1
	v_cvt_u32_f32_e32 v1, v1
	s_mul_i32 s49, s33, s16
	v_lshrrev_b32_e32 v79, 3, v75
	v_lshlrev_b32_e32 v78, 3, v0
	v_readfirstlane_b32 s26, v1
	s_mul_i32 s3, s3, s26
	s_mul_hi_u32 s3, s26, s3
	s_add_i32 s26, s26, s3
	s_mul_hi_u32 s3, s1, s26
	s_mul_i32 s26, s3, s28
	s_sub_i32 s1, s1, s26
	s_add_i32 s26, s3, 1
	s_sub_i32 s27, s1, s28
	s_cmp_ge_u32 s1, s28
	s_cselect_b32 s3, s26, s3
	s_cselect_b32 s1, s27, s1
	s_add_i32 s26, s3, 1
	s_cmp_ge_u32 s1, s28
	s_cselect_b32 s1, s26, s3
	s_xor_b32 s1, s1, s0
	v_lshlrev_b32_e32 v1, 4, v76
	s_sub_i32 s50, s1, s0
	v_or_b32_e32 v80, v2, v1
	s_lshl_b32 s36, s2, 6
	v_or_b32_e32 v81, 64, v80
	s_cmp_lt_i32 s47, 64
	s_mul_i32 s42, s24, s21
	s_mul_hi_u32 s43, s24, s20
	s_mul_i32 s44, s25, s20
	s_mul_i32 s20, s24, s20
	v_mov_b32_e32 v34, v35
	v_mov_b32_e32 v41, v35
	;; [unrolled: 1-line block ×31, first 2 shown]
	s_cbranch_scc1 .LBB183_18
; %bb.1:
	s_ashr_i32 s53, s33, 31
	s_ashr_i32 s1, s38, 31
	s_add_u32 s0, s49, s38
	s_addc_u32 s1, s48, s1
	s_lshl_b64 s[0:1], s[0:1], 8
	v_and_b32_e32 v83, 56, v78
	s_add_u32 s0, s6, s0
	v_lshl_or_b32 v82, v76, 3, v79
	v_lshlrev_b32_e32 v3, 1, v83
	s_addc_u32 s1, s7, s1
	v_lshl_or_b32 v84, v82, 8, v3
	s_and_b32 s1, s1, 0xffff
	s_mov_b32 s3, 0x20000
	s_movk_i32 s2, 0x4000
	s_movk_i32 s21, 0x80
	v_or_b32_e32 v85, 0x2000, v84
	buffer_load_dwordx4 v[4:7], v84, s[0:3], 0 offen
	buffer_load_dwordx4 v[8:11], v84, s[0:3], s21 offen
	buffer_load_dwordx4 v[12:15], v85, s[0:3], 0 offen
	buffer_load_dwordx4 v[16:19], v85, s[0:3], s21 offen
	v_lshlrev_b32_e32 v20, 3, v82
	v_and_or_b32 v22, v0, 7, v20
	v_and_b32_e32 v20, 0x78, v20
	v_lshlrev_b32_e32 v22, 4, v22
	v_xor_b32_e32 v86, v22, v20
	v_mul_lo_u32 v21, v82, s19
	v_or_b32_e32 v87, 0x1000, v86
	s_cmpk_eq_i32 s19, 0x80
	s_mov_b32 s51, s17
	s_mov_b32 s52, s38
	v_xor_b32_e32 v20, 8, v86
	v_xor_b32_e32 v22, 8, v87
	s_cselect_b64 s[0:1], -1, 0
	s_cmpk_lg_i32 s19, 0x80
	s_waitcnt vmcnt(3)
	ds_write_b64 v86, v[4:5] offset:49152
	ds_write_b64 v20, v[6:7] offset:49152
	s_waitcnt vmcnt(2)
	ds_write_b64 v86, v[8:9] offset:57344
	ds_write_b64 v20, v[10:11] offset:57344
	s_waitcnt vmcnt(1)
	ds_write_b64 v86, v[12:13] offset:53248
	ds_write_b64 v22, v[14:15] offset:49152
	s_waitcnt vmcnt(0)
	ds_write_b64 v86, v[16:17] offset:61440
	ds_write_b64 v22, v[18:19] offset:57344
	v_lshl_add_u32 v4, v21, 1, v83
	s_cbranch_scc0 .LBB183_3
; %bb.2:
	v_lshlrev_b32_e32 v6, 1, v4
	v_add_lshl_u32 v5, v4, s19, 1
	s_lshl_b32 s26, s19, 7
	v_lshl_or_b32 v3, v82, 9, v3
	s_cbranch_execz .LBB183_4
	s_branch .LBB183_5
.LBB183_3:
                                        ; implicit-def: $vgpr5
                                        ; implicit-def: $vgpr6
                                        ; implicit-def: $sgpr26
	v_lshl_or_b32 v3, v82, 9, v3
.LBB183_4:
	v_or_b32_e32 v5, 0x100, v3
	s_movk_i32 s26, 0x4000
	v_mov_b32_e32 v6, v3
.LBB183_5:
	s_mul_i32 s2, s38, s18
	s_ashr_i32 s54, s50, 31
	s_mul_hi_i32 s3, s38, s18
	s_add_u32 s2, s2, s50
	s_addc_u32 s3, s3, s54
	s_lshl_b64 s[2:3], s[2:3], 8
	s_add_u32 s24, s4, s2
	s_addc_u32 s2, s5, s3
	s_and_b32 s25, s2, 0xffff
	s_mov_b32 s27, 0x20000
	s_movk_i32 s55, 0x80
	buffer_load_dwordx4 v[8:11], v6, s[24:27], 0 offen
	buffer_load_dwordx4 v[12:15], v6, s[24:27], s55 offen
	;; [unrolled: 1-line block ×4, first 2 shown]
	v_and_b32_e32 v5, 6, v0
	v_lshlrev_b32_e32 v6, 7, v80
	v_xor_b32_e32 v28, v82, v5
	v_and_b32_e32 v7, 1, v0
	v_lshl_or_b32 v31, v74, 3, v6
	v_lshlrev_b32_e32 v28, 2, v28
	v_lshlrev_b32_e32 v24, 2, v74
	v_or_b32_e32 v88, 0x4000, v31
	v_or_b32_e32 v89, 0x6000, v31
	v_xor_b32_e32 v31, 0x440, v28
	v_cmp_eq_u32_e32 vcc, 0, v7
	v_or_b32_e32 v26, 16, v74
	v_or_b32_e32 v27, 32, v74
	v_xor_b32_e32 v29, v80, v24
	v_xor_b32_e32 v30, v81, v24
	v_cndmask_b32_e32 v7, v31, v28, vcc
	s_add_i32 s2, s43, s42
	s_mov_b32 s56, 0x1000504
	v_lshl_or_b32 v32, v26, 3, v6
	v_lshlrev_b32_e32 v26, 8, v26
	v_lshl_or_b32 v33, v27, 3, v6
	v_lshlrev_b32_e32 v29, 1, v29
	v_lshlrev_b32_e32 v30, 1, v30
	v_lshl_or_b32 v5, v5, 10, v7
	s_add_i32 s21, s2, s44
	s_mul_i32 s2, s33, s23
	s_mul_hi_u32 s3, s33, s22
	s_mov_b32 s57, 0x3020706
	v_lshlrev_b32_e32 v25, 8, v74
	v_or_b32_e32 v92, 0x4000, v33
	v_or_b32_e32 v93, 0x6000, v33
	;; [unrolled: 1-line block ×4, first 2 shown]
	v_xor_b32_e32 v7, 8, v5
	v_xor_b32_e32 v26, 24, v5
	;; [unrolled: 1-line block ×4, first 2 shown]
	s_add_i32 s2, s3, s2
	s_mul_i32 s3, s53, s22
	v_or_b32_e32 v90, 0x4000, v32
	v_or_b32_e32 v91, 0x6000, v32
	;; [unrolled: 1-line block ×4, first 2 shown]
	v_xor_b32_e32 v25, 16, v5
	v_xor_b32_e32 v28, 32, v5
	;; [unrolled: 1-line block ×3, first 2 shown]
	v_add_u32_e32 v7, 0x80, v7
	v_add_u32_e32 v26, 0x80, v26
	;; [unrolled: 1-line block ×4, first 2 shown]
	s_add_i32 s3, s2, s3
	s_lshl_b64 s[24:25], s[20:21], 2
	s_mul_i32 s2, s33, s22
	s_add_u32 s21, s10, s24
	s_addc_u32 s24, s11, s25
	s_lshl_b64 s[2:3], s[2:3], 2
	s_add_u32 s2, s21, s2
	s_movk_i32 s21, 0xf8
	s_addc_u32 s3, s24, s3
	s_ashr_i32 s37, s36, 31
	s_lshl_b32 s30, s19, 7
	s_lshl_b64 s[24:25], s[36:37], 8
	s_add_u32 s24, s12, s24
	v_mov_b32_e32 v67, 0
	s_addc_u32 s25, s13, s25
	v_lshlrev_b32_e32 v66, 4, v74
	v_lshlrev_b32_e32 v27, 8, v27
	s_mov_b32 s58, 0
	s_movk_i32 s26, 0x4000
	v_or_b32_e32 v98, v27, v29
	v_or_b32_e32 v99, v27, v30
	v_add_u32_e32 v128, v1, v2
	s_movk_i32 s37, 0x2000
	s_movk_i32 s59, 0x3000
	v_mov_b32_e32 v58, v67
	v_mov_b32_e32 v59, v67
	;; [unrolled: 1-line block ×4, first 2 shown]
	s_waitcnt vmcnt(1)
	v_perm_b32 v34, v8, v16, s56
	s_waitcnt vmcnt(0)
	v_perm_b32 v35, v12, v20, s56
	v_perm_b32 v8, v8, v16, s57
	;; [unrolled: 1-line block ×15, first 2 shown]
	ds_write2st64_b32 v5, v34, v35 offset0:128 offset1:160
	ds_write2st64_b32 v7, v8, v12 offset0:128 offset1:160
	;; [unrolled: 1-line block ×8, first 2 shown]
	v_or_b32_e32 v5, 48, v74
	v_lshl_or_b32 v7, v5, 3, v6
	v_lshlrev_b32_e32 v5, 8, v5
	v_or_b32_e32 v102, v5, v29
	v_or_b32_e32 v103, v5, v30
	;; [unrolled: 1-line block ×3, first 2 shown]
	v_lshlrev_b32_e32 v5, 3, v5
	v_lshrrev_b32_e32 v9, 5, v75
	v_and_or_b32 v9, v5, s21, v9
	v_lshlrev_b32_e32 v9, 4, v9
	v_or_b32_e32 v100, 0x4000, v7
	v_or_b32_e32 v101, 0x6000, v7
	v_lshlrev_b32_e32 v7, 11, v76
	v_and_b32_e32 v5, 0x78, v5
	v_or_b32_e32 v14, 32, v9
	v_and_b32_e32 v8, 0x1000, v7
	v_xor_b32_e32 v10, v9, v5
	v_lshrrev_b32_e32 v11, 1, v0
	v_xor_b32_e32 v14, v14, v5
	v_or_b32_e32 v10, v10, v8
	v_and_b32_e32 v12, 8, v11
	v_or_b32_e32 v14, v14, v8
	v_xor_b32_e32 v104, v10, v12
	v_lshlrev_b32_e32 v10, 8, v77
	v_xor_b32_e32 v106, v14, v12
	v_or_b32_e32 v14, 64, v9
	v_or_b32_e32 v9, 0x60, v9
	;; [unrolled: 1-line block ×3, first 2 shown]
	v_xor_b32_e32 v14, v14, v5
	v_xor_b32_e32 v5, v9, v5
	v_lshlrev_b32_e32 v13, 1, v13
	v_or_b32_e32 v14, v14, v8
	v_or_b32_e32 v5, v5, v8
	;; [unrolled: 1-line block ×6, first 2 shown]
	v_xor_b32_e32 v110, v14, v12
	v_xor_b32_e32 v111, v5, v12
	v_or_b32_e32 v112, 0x6000, v13
	v_or_b32_e32 v113, 0x6080, v13
	;; [unrolled: 1-line block ×4, first 2 shown]
	v_lshlrev_b32_e32 v12, 1, v4
	v_add_lshl_u32 v13, v4, s19, 1
	s_movk_i32 s21, 0x100
	v_lshlrev_b32_e32 v4, 1, v74
	v_lshrrev_b32_e32 v15, 4, v0
	v_or_b32_e32 v5, 1, v4
	v_mov_b32_e32 v19, 0xa000
	v_mov_b32_e32 v20, 0x8000
	v_cmp_gt_u32_e32 vcc, s21, v0
	v_xor_b32_e32 v16, v15, v4
	v_xor_b32_e32 v17, v5, v15
	v_lshl_add_u64 v[4:5], s[24:25], 0, v[66:67]
	v_lshlrev_b32_e32 v66, 8, v15
	v_cndmask_b32_e32 v19, v19, v20, vcc
	v_lshlrev_b32_e32 v20, 3, v76
	v_and_b32_e32 v11, 24, v11
	v_lshl_or_b32 v116, v16, 3, v66
	v_and_b32_e32 v16, 8, v0
	v_xor_b32_e32 v21, v20, v11
	v_or_b32_e32 v22, 0x440, v21
	v_cmp_eq_u32_e32 vcc, 0, v16
	v_and_b32_e32 v15, 7, v0
	v_lshl_or_b32 v117, v17, 3, v66
	v_cndmask_b32_e32 v16, v22, v21, vcc
	v_lshlrev_b32_e32 v17, 3, v15
	v_lshlrev_b32_e32 v15, 7, v15
	v_or_b32_e32 v16, v16, v7
	v_lshlrev_b32_e32 v18, 2, v0
	v_xad_u32 v118, v16, v17, v15
	v_or_b32_e32 v16, 32, v11
	v_and_or_b32 v10, v18, 60, v10
	v_xor_b32_e32 v16, v20, v16
	v_lshlrev_b32_e32 v10, 1, v10
	v_or_b32_e32 v18, 0x440, v16
	v_or_b32_e32 v119, 0x6000, v10
	v_cndmask_b32_e32 v16, v18, v16, vcc
	v_or_b32_e32 v121, 0x6080, v10
	v_or_b32_e32 v122, 0x6100, v10
	;; [unrolled: 1-line block ×5, first 2 shown]
	v_xor_b32_e32 v10, v20, v10
	v_xad_u32 v120, v16, v17, v15
	v_xor_b32_e32 v16, 0x440, v10
	v_cndmask_b32_e32 v10, v16, v10, vcc
	v_or_b32_e32 v10, v10, v7
	v_xad_u32 v124, v10, v17, v15
	v_or_b32_e32 v10, 0x60, v11
	v_xor_b32_e32 v10, v20, v10
	v_xor_b32_e32 v11, 0x440, v10
	v_or_b32_e32 v8, s36, v74
	v_cndmask_b32_e32 v10, v11, v10, vcc
	v_ashrrev_i32_e32 v9, 31, v8
	v_or_b32_e32 v7, v10, v7
	v_or_b32_e32 v14, 0x100, v3
	v_xad_u32 v125, v7, v17, v15
	v_lshlrev_b64 v[8:9], 1, v[8:9]
	v_cndmask_b32_e64 v126, v12, v3, s[0:1]
	v_cndmask_b32_e64 v127, v13, v14, s[0:1]
	v_lshl_add_u64 v[68:69], s[8:9], 0, v[8:9]
	v_lshl_add_u64 v[70:71], s[14:15], 0, v[8:9]
	;; [unrolled: 1-line block ×3, first 2 shown]
	s_mov_b32 s21, 0x7060302
	v_lshlrev_b32_e32 v66, 1, v6
	v_add_u32_e32 v129, v19, v118
	v_add_u32_e32 v130, v19, v120
	;; [unrolled: 1-line block ×4, first 2 shown]
	v_mov_b32_e32 v62, v67
	v_mov_b32_e32 v63, v67
	;; [unrolled: 1-line block ×28, first 2 shown]
	s_waitcnt lgkmcnt(0)
	s_barrier
.LBB183_6:                              ; =>This Inner Loop Header: Depth=1
	s_add_i32 s60, s58, 1
	s_cmp_lt_i32 s60, s45
	s_mov_b64 s[28:29], 0
	s_cselect_b64 s[40:41], -1, 0
	s_cmp_ge_i32 s60, s45
	s_mov_b64 s[24:25], 0
	s_cbranch_scc1 .LBB183_8
; %bb.7:                                ;   in Loop: Header=BB183_6 Depth=1
	s_add_i32 s0, s52, 64
	s_ashr_i32 s1, s0, 31
	s_add_u32 s0, s49, s0
	s_addc_u32 s1, s48, s1
	s_lshl_b64 s[0:1], s[0:1], 8
	s_add_u32 s24, s6, s0
	s_addc_u32 s25, s7, s1
.LBB183_8:                              ;   in Loop: Header=BB183_6 Depth=1
	v_cndmask_b32_e64 v2, 0, 1, s[40:41]
	v_cmp_ne_u32_e64 s[0:1], 1, v2
	s_andn2_b64 vcc, exec, s[40:41]
	s_cbranch_vccnz .LBB183_10
; %bb.9:                                ;   in Loop: Header=BB183_6 Depth=1
	s_add_i32 s28, s52, 64
	s_mul_hi_i32 s29, s28, s18
	s_mul_i32 s28, s28, s18
	s_add_u32 s28, s28, s50
	s_addc_u32 s29, s29, s54
	s_lshl_b64 s[28:29], s[28:29], 8
	s_add_u32 s28, s4, s28
	s_addc_u32 s29, s5, s29
.LBB183_10:                             ;   in Loop: Header=BB183_6 Depth=1
	v_perm_b32 v3, v65, v64, s21
	v_perm_b32 v2, v63, v62, s21
	v_perm_b32 v5, v61, v60, s21
	v_perm_b32 v4, v59, v58, s21
	ds_write_b64 v88, v[2:3]
	ds_write_b64 v89, v[4:5]
	ds_write_b64 v94, v[2:3]
	ds_write_b64 v95, v[4:5]
	v_perm_b32 v3, v57, v56, s21
	v_perm_b32 v2, v55, v54, s21
	v_perm_b32 v5, v53, v52, s21
	v_perm_b32 v4, v51, v50, s21
	ds_write_b64 v90, v[2:3]
	ds_write_b64 v91, v[4:5]
	ds_write_b64 v96, v[2:3]
	ds_write_b64 v97, v[4:5]
	;; [unrolled: 8-line block ×4, first 2 shown]
	s_waitcnt lgkmcnt(0)
	s_barrier
	ds_read_b64 v[6:7], v104 offset:49152
	ds_read2_b64 v[2:5], v105 offset1:16
	ds_read_b64 v[18:19], v107 offset:6144
	ds_read_b64 v[20:21], v105 offset:6144
	s_waitcnt lgkmcnt(2)
	v_mfma_f32_16x16x16_bf16 a[0:3], v[6:7], v[2:3], 0
	ds_read_b64 v[22:23], v106 offset:49152
	ds_read2st64_b64 v[10:13], v108 offset0:4 offset1:8
	ds_read2st64_b64 v[14:17], v109 offset0:4 offset1:8
	v_mfma_f32_16x16x16_bf16 a[4:7], v[6:7], v[4:5], 0
	ds_read2_b64 v[2:5], v105 offset0:32 offset1:48
	s_add_i32 s31, s52, 63
	s_ashr_i32 s40, s31, 31
	s_waitcnt lgkmcnt(0)
	v_mfma_f32_16x16x16_bf16 a[8:11], v[6:7], v[2:3], 0
	s_mul_i32 s41, s31, s35
	s_mul_hi_u32 s61, s31, s34
	s_add_i32 s41, s61, s41
	v_mfma_f32_16x16x16_bf16 a[12:15], v[6:7], v[4:5], 0
	ds_read2st64_b64 v[2:5], v105 offset0:4 offset1:8
	ds_read2st64_b64 v[6:9], v107 offset0:4 offset1:8
	s_mul_i32 s40, s40, s34
	s_waitcnt lgkmcnt(1)
	v_mfma_f32_16x16x16_bf16 a[0:3], v[22:23], v[2:3], a[0:3]
	s_add_i32 s41, s41, s40
	s_mul_i32 s40, s31, s34
	s_lshl_b64 s[40:41], s[40:41], 2
	s_waitcnt lgkmcnt(0)
	v_mfma_f32_16x16x16_bf16 a[4:7], v[22:23], v[6:7], a[4:7]
	s_add_u32 s40, s2, s40
	s_addc_u32 s41, s3, s41
	s_and_b64 vcc, exec, s[0:1]
	v_mfma_f32_16x16x16_bf16 a[8:11], v[22:23], v[10:11], a[8:11]
	ds_read_b64 v[2:3], v110 offset:49152
	ds_read_b64 v[6:7], v111 offset:49152
	;; [unrolled: 1-line block ×3, first 2 shown]
	v_mov_b32_e32 v135, 0
	v_mov_b32_e32 v134, 0
	v_mfma_f32_16x16x16_bf16 a[12:15], v[22:23], v[14:15], a[12:15]
	v_mov_b32_e32 v133, 0
	v_mov_b32_e32 v14, 0
	;; [unrolled: 1-line block ×3, first 2 shown]
	s_waitcnt lgkmcnt(2)
	v_mfma_f32_16x16x16_bf16 a[0:3], v[2:3], v[4:5], a[0:3]
	v_mov_b32_e32 v4, 0
	v_mov_b32_e32 v5, 0
	v_mfma_f32_16x16x16_bf16 a[16:19], v[2:3], v[8:9], a[4:7]
	v_mov_b32_e32 v8, 0
	v_mov_b32_e32 v9, 0
	;; [unrolled: 3-line block ×3, first 2 shown]
	v_mfma_f32_16x16x16_bf16 a[24:27], v[2:3], v[16:17], a[12:15]
	ds_read_b64 v[2:3], v108 offset:6144
	v_mov_b32_e32 v16, 0
	v_mov_b32_e32 v17, 0
	s_waitcnt lgkmcnt(2)
	v_mfma_f32_16x16x16_bf16 a[4:7], v[6:7], v[20:21], a[0:3]
	v_mfma_f32_16x16x16_bf16 a[8:11], v[6:7], v[18:19], a[16:19]
	s_waitcnt lgkmcnt(0)
	v_mfma_f32_16x16x16_bf16 a[12:15], v[6:7], v[2:3], a[20:23]
	v_mov_b32_e32 v2, 0
	v_mov_b32_e32 v3, 0
	v_mfma_f32_16x16x16_bf16 a[0:3], v[6:7], v[10:11], a[24:27]
	v_mov_b32_e32 v6, 0
	v_mov_b32_e32 v7, 0
	;; [unrolled: 1-line block ×4, first 2 shown]
	s_cbranch_vccnz .LBB183_12
; %bb.11:                               ;   in Loop: Header=BB183_6 Depth=1
	s_and_b32 s25, s25, 0xffff
	buffer_load_dwordx4 v[14:17], v84, s[24:27], 0 offen
	buffer_load_dwordx4 v[10:13], v84, s[24:27], s55 offen
	;; [unrolled: 1-line block ×4, first 2 shown]
	v_mov_b32_e32 v134, v86
	v_mov_b32_e32 v133, v87
.LBB183_12:                             ;   in Loop: Header=BB183_6 Depth=1
	ds_read_b64 v[30:31], v104 offset:57344
	ds_read2_b64 v[18:21], v112 offset1:16
	ds_read_b64 v[136:137], v106 offset:57344
	ds_read_b64 v[138:139], v110 offset:57344
	;; [unrolled: 1-line block ×3, first 2 shown]
	v_add_u32_e32 v32, s52, v128
	s_waitcnt lgkmcnt(3)
	v_mfma_f32_16x16x16_bf16 a[4:7], v[30:31], v[18:19], a[4:7]
	v_mfma_f32_16x16x16_bf16 a[8:11], v[30:31], v[20:21], a[8:11]
	ds_read2_b64 v[18:21], v112 offset0:32 offset1:48
	ds_read2st64_b64 v[22:25], v112 offset0:4 offset1:8
	ds_read2st64_b64 v[26:29], v113 offset0:4 offset1:8
	s_waitcnt lgkmcnt(2)
	v_mfma_f32_16x16x16_bf16 a[12:15], v[30:31], v[18:19], a[12:15]
	v_ashrrev_i32_e32 v18, 31, v32
	v_mul_lo_u32 v33, v18, s34
	v_mad_u64_u32 v[18:19], s[24:25], v32, s34, 0
	v_mfma_f32_16x16x16_bf16 a[0:3], v[30:31], v[20:21], a[0:3]
	v_mul_lo_u32 v20, v32, s35
	v_add3_u32 v19, v19, v20, v33
	v_add_u32_e32 v20, 1, v32
	v_ashrrev_i32_e32 v21, 31, v20
	s_waitcnt lgkmcnt(1)
	v_mfma_f32_16x16x16_bf16 a[4:7], v[136:137], v[22:23], a[4:7]
	v_mul_lo_u32 v22, v21, s34
	v_mul_lo_u32 v23, v20, s35
	v_mad_u64_u32 v[20:21], s[24:25], v20, s34, 0
	v_add3_u32 v21, v21, v23, v22
	v_add_u32_e32 v22, 2, v32
	v_ashrrev_i32_e32 v23, 31, v22
	v_mul_lo_u32 v30, v23, s34
	v_mul_lo_u32 v31, v22, s35
	v_mad_u64_u32 v[22:23], s[24:25], v22, s34, 0
	v_add3_u32 v23, v23, v31, v30
	v_add_u32_e32 v30, 3, v32
	v_ashrrev_i32_e32 v31, 31, v30
	v_mul_lo_u32 v32, v31, s34
	v_mul_lo_u32 v33, v30, s35
	v_mad_u64_u32 v[30:31], s[24:25], v30, s34, 0
	s_ashr_i32 s25, s52, 31
	s_add_u32 s24, s49, s52
	s_addc_u32 s25, s48, s25
	v_lshl_add_u64 v[18:19], v[18:19], 2, s[2:3]
	v_add3_u32 v31, v31, v33, v32
	s_lshl_b64 s[24:25], s[24:25], 8
	v_lshl_add_u64 v[20:21], v[20:21], 2, s[2:3]
	v_lshl_add_u64 v[22:23], v[22:23], 2, s[2:3]
	;; [unrolled: 1-line block ×3, first 2 shown]
	global_load_dword v142, v[18:19], off
	global_load_dword v143, v[20:21], off
	;; [unrolled: 1-line block ×4, first 2 shown]
	v_lshl_add_u64 v[18:19], v[68:69], 0, s[24:25]
	v_lshl_add_u64 v[22:23], v[18:19], 0, v[66:67]
	global_load_ushort v146, v[22:23], off offset:256
	global_load_ushort v147, v[22:23], off
	ds_read2st64_b64 v[18:21], v114 offset0:4 offset1:8
	global_load_ushort v148, v[22:23], off offset:768
	global_load_ushort v149, v[22:23], off offset:512
	ds_read2st64_b64 v[30:33], v115 offset0:4 offset1:8
	global_load_ushort v150, v[22:23], off offset:288
	global_load_ushort v151, v[22:23], off offset:32
	;; [unrolled: 1-line block ×4, first 2 shown]
	s_waitcnt lgkmcnt(2)
	v_mfma_f32_16x16x16_bf16 a[8:11], v[136:137], v[26:27], a[8:11]
	global_load_ushort v154, v[22:23], off offset:320
	global_load_ushort v155, v[22:23], off offset:64
	;; [unrolled: 1-line block ×4, first 2 shown]
	s_and_b64 vcc, exec, s[0:1]
	s_waitcnt lgkmcnt(1)
	v_mfma_f32_16x16x16_bf16 a[12:15], v[136:137], v[18:19], a[12:15]
	ds_read_b64 v[18:19], v112 offset:6144
	s_waitcnt lgkmcnt(1)
	v_mfma_f32_16x16x16_bf16 a[0:3], v[136:137], v[30:31], a[0:3]
	v_lshl_add_u64 v[30:31], v[70:71], 0, s[24:25]
	v_lshl_add_u64 v[30:31], v[30:31], 0, v[66:67]
	v_mfma_f32_16x16x16_bf16 a[4:7], v[138:139], v[24:25], a[4:7]
	v_mfma_f32_16x16x16_bf16 a[8:11], v[138:139], v[28:29], a[8:11]
	;; [unrolled: 1-line block ×4, first 2 shown]
	global_load_ushort v138, v[22:23], off offset:352
	global_load_ushort v139, v[22:23], off offset:96
	ds_read_b64 v[20:21], v113 offset:6144
	ds_read_b64 v[24:25], v114 offset:6144
	;; [unrolled: 1-line block ×3, first 2 shown]
	s_load_dword s40, s[40:41], 0x0
	global_load_ushort v158, v[22:23], off offset:864
	global_load_ushort v159, v[22:23], off offset:608
	s_waitcnt lgkmcnt(0)
	v_mfma_f32_16x16x16_bf16 a[4:7], v[140:141], v[18:19], a[4:7]
	s_waitcnt vmcnt(17)
	v_sub_f32_e32 v28, s40, v144
	v_mfma_f32_16x16x16_bf16 a[0:3], v[140:141], v[26:27], a[0:3]
	v_sub_f32_e32 v26, s40, v142
	v_sub_f32_e32 v27, s40, v143
	s_waitcnt vmcnt(16)
	v_sub_f32_e32 v29, s40, v145
	v_mfma_f32_16x16x16_bf16 a[8:11], v[140:141], v[20:21], a[8:11]
	v_exp_f32_e32 v26, v26
	v_exp_f32_e32 v27, v27
	v_exp_f32_e32 v28, v28
	v_exp_f32_e32 v29, v29
	v_accvgpr_read_b32 v137, a5
	s_waitcnt vmcnt(15)
	v_lshlrev_b32_e32 v33, 16, v146
	s_waitcnt vmcnt(14)
	v_lshlrev_b32_e32 v32, 16, v147
	v_accvgpr_read_b32 v136, a4
	v_accvgpr_read_b32 v19, a7
	;; [unrolled: 1-line block ×3, first 2 shown]
	v_pk_add_f32 v[32:33], v[32:33], v[136:137] neg_lo:[0,1] neg_hi:[0,1]
	s_waitcnt vmcnt(13)
	v_lshlrev_b32_e32 v137, 16, v148
	s_waitcnt vmcnt(12)
	v_lshlrev_b32_e32 v136, 16, v149
	v_pk_add_f32 v[18:19], v[136:137], v[18:19] neg_lo:[0,1] neg_hi:[0,1]
	global_store_short_d16_hi v[30:31], v32, off
	global_store_short_d16_hi v[30:31], v33, off offset:256
	global_store_short_d16_hi v[30:31], v18, off offset:512
	;; [unrolled: 1-line block ×3, first 2 shown]
	v_pk_mul_f32 v[32:33], v[26:27], v[32:33]
	v_pk_mul_f32 v[18:19], v[28:29], v[18:19]
	v_accvgpr_read_b32 v137, a9
	v_perm_b32 v32, v33, v32, s21
	v_perm_b32 v33, v19, v18, s21
	s_waitcnt vmcnt(15)
	v_lshlrev_b32_e32 v19, 16, v150
	s_waitcnt vmcnt(14)
	v_lshlrev_b32_e32 v18, 16, v151
	v_accvgpr_read_b32 v136, a8
	v_accvgpr_read_b32 v21, a11
	v_mfma_f32_16x16x16_bf16 a[12:15], v[140:141], v[24:25], a[12:15]
	v_accvgpr_read_b32 v20, a10
	v_pk_add_f32 v[18:19], v[18:19], v[136:137] neg_lo:[0,1] neg_hi:[0,1]
	s_waitcnt vmcnt(13)
	v_lshlrev_b32_e32 v137, 16, v152
	s_waitcnt vmcnt(12)
	v_lshlrev_b32_e32 v136, 16, v153
	v_pk_add_f32 v[20:21], v[136:137], v[20:21] neg_lo:[0,1] neg_hi:[0,1]
	global_store_short_d16_hi v[30:31], v18, off offset:32
	global_store_short_d16_hi v[30:31], v19, off offset:288
	;; [unrolled: 1-line block ×4, first 2 shown]
	v_pk_mul_f32 v[18:19], v[26:27], v[18:19]
	v_pk_mul_f32 v[20:21], v[28:29], v[20:21]
	v_accvgpr_read_b32 v23, a15
	v_perm_b32 v21, v21, v20, s21
	v_perm_b32 v20, v19, v18, s21
	ds_write2_b64 v89, v[32:33], v[20:21] offset1:16
	v_accvgpr_read_b32 v21, a13
	s_waitcnt vmcnt(15)
	v_lshlrev_b32_e32 v19, 16, v154
	s_waitcnt vmcnt(14)
	v_lshlrev_b32_e32 v18, 16, v155
	v_accvgpr_read_b32 v20, a12
	v_accvgpr_read_b32 v22, a14
	v_pk_add_f32 v[18:19], v[18:19], v[20:21] neg_lo:[0,1] neg_hi:[0,1]
	s_waitcnt vmcnt(13)
	v_lshlrev_b32_e32 v21, 16, v156
	s_waitcnt vmcnt(12)
	v_lshlrev_b32_e32 v20, 16, v157
	v_pk_add_f32 v[20:21], v[20:21], v[22:23] neg_lo:[0,1] neg_hi:[0,1]
	global_store_short_d16_hi v[30:31], v18, off offset:64
	global_store_short_d16_hi v[30:31], v19, off offset:320
	;; [unrolled: 1-line block ×4, first 2 shown]
	v_pk_mul_f32 v[18:19], v[26:27], v[18:19]
	v_pk_mul_f32 v[20:21], v[28:29], v[20:21]
	v_accvgpr_read_b32 v23, a1
	v_perm_b32 v18, v19, v18, s21
	v_perm_b32 v19, v21, v20, s21
	s_waitcnt vmcnt(15)
	v_lshlrev_b32_e32 v21, 16, v138
	s_waitcnt vmcnt(14)
	v_lshlrev_b32_e32 v20, 16, v139
	v_accvgpr_read_b32 v22, a0
	v_accvgpr_read_b32 v25, a3
	;; [unrolled: 1-line block ×3, first 2 shown]
	v_pk_add_f32 v[20:21], v[20:21], v[22:23] neg_lo:[0,1] neg_hi:[0,1]
	s_waitcnt vmcnt(13)
	v_lshlrev_b32_e32 v23, 16, v158
	s_waitcnt vmcnt(12)
	v_lshlrev_b32_e32 v22, 16, v159
	v_pk_add_f32 v[22:23], v[22:23], v[24:25] neg_lo:[0,1] neg_hi:[0,1]
	global_store_short_d16_hi v[30:31], v20, off offset:96
	global_store_short_d16_hi v[30:31], v21, off offset:352
	;; [unrolled: 1-line block ×4, first 2 shown]
	v_pk_mul_f32 v[20:21], v[26:27], v[20:21]
	v_pk_mul_f32 v[22:23], v[28:29], v[22:23]
	v_mov_b32_e32 v136, 0
	v_perm_b32 v23, v23, v22, s21
	v_perm_b32 v22, v21, v20, s21
	ds_write2_b64 v89, v[18:19], v[22:23] offset0:32 offset1:48
	v_mov_b32_e32 v18, 0
	v_mov_b32_e32 v19, 0
	;; [unrolled: 1-line block ×16, first 2 shown]
	s_cbranch_vccnz .LBB183_14
; %bb.13:                               ;   in Loop: Header=BB183_6 Depth=1
	s_and_b32 s29, s29, 0xffff
	s_mov_b32 s31, s27
	buffer_load_dwordx4 v[30:33], v126, s[28:31], 0 offen
	buffer_load_dwordx4 v[22:25], v126, s[28:31], s55 offen
	buffer_load_dwordx4 v[26:29], v127, s[28:31], 0 offen
	buffer_load_dwordx4 v[18:21], v127, s[28:31], s55 offen
	v_mov_b32_e32 v135, v83
	v_mov_b32_e32 v136, v82
.LBB183_14:                             ;   in Loop: Header=BB183_6 Depth=1
	s_waitcnt lgkmcnt(0)
	s_barrier
	ds_read_b64 v[146:147], v129
	ds_read2_b64 v[138:141], v119 offset1:16
	ds_read_b64 v[162:163], v130
	ds_read_b64 v[164:165], v131
	;; [unrolled: 1-line block ×3, first 2 shown]
	ds_read2_b64 v[142:145], v119 offset0:32 offset1:48
	s_waitcnt lgkmcnt(4)
	v_mfma_f32_16x16x16_bf16 a[0:3], v[146:147], v[138:139], 0
	ds_read2st64_b64 v[150:153], v121 offset0:4 offset1:8
	ds_read2st64_b64 v[154:157], v122 offset0:4 offset1:8
	;; [unrolled: 1-line block ×3, first 2 shown]
	v_mfma_f32_16x16x16_bf16 a[4:7], v[146:147], v[140:141], 0
	s_add_i32 s24, s46, s58
	s_mul_hi_i32 s25, s24, s51
	s_mul_i32 s24, s24, s51
	s_waitcnt lgkmcnt(3)
	v_mfma_f32_16x16x16_bf16 a[8:11], v[146:147], v[142:143], 0
	s_add_u32 s24, s24, s33
	s_addc_u32 s25, s25, s53
	s_lshl_b64 s[24:25], s[24:25], 15
	v_mfma_f32_16x16x16_bf16 a[12:15], v[146:147], v[144:145], 0
	ds_read2st64_b64 v[146:149], v119 offset0:4 offset1:8
	s_waitcnt lgkmcnt(0)
	v_mfma_f32_16x16x16_bf16 a[0:3], v[162:163], v[146:147], a[0:3]
	v_mfma_f32_16x16x16_bf16 a[4:7], v[162:163], v[150:151], a[4:7]
	;; [unrolled: 1-line block ×8, first 2 shown]
	ds_read_b64 v[162:163], v119 offset:6144
	ds_read_b64 v[164:165], v120 offset:40960
	;; [unrolled: 1-line block ×8, first 2 shown]
	s_waitcnt lgkmcnt(5)
	v_mfma_f32_16x16x16_bf16 a[16:19], v[168:169], v[138:139], 0
	v_mfma_f32_16x16x16_bf16 a[20:23], v[168:169], v[140:141], 0
	ds_read2st64_b64 v[138:141], v116 offset1:8
	v_mfma_f32_16x16x16_bf16 a[24:27], v[168:169], v[142:143], 0
	v_mfma_f32_16x16x16_bf16 a[28:31], v[168:169], v[144:145], 0
	ds_read2st64_b64 v[142:145], v117 offset1:8
	v_mfma_f32_16x16x16_bf16 a[16:19], v[164:165], v[146:147], a[16:19]
	s_waitcnt lgkmcnt(1)
	v_mov_b32_e32 v146, v138
	v_mov_b32_e32 v147, v139
	v_mfma_f32_16x16x16_bf16 a[20:23], v[164:165], v[150:151], a[20:23]
	v_lshl_add_u64 v[150:151], v[72:73], 0, s[24:25]
	v_mfma_f32_16x16x16_bf16 a[24:27], v[164:165], v[154:155], a[24:27]
	v_mfma_f32_16x16x16_bf16 a[28:31], v[164:165], v[158:159], a[28:31]
	;; [unrolled: 1-line block ×3, first 2 shown]
	s_waitcnt lgkmcnt(0)
	v_mov_b32_e32 v148, v142
	v_mov_b32_e32 v149, v143
	;; [unrolled: 1-line block ×3, first 2 shown]
	v_mfma_f32_16x16x16_bf16 a[32:35], v[176:177], v[152:153], a[20:23]
	v_mov_b32_e32 v143, v141
	ds_read2st64_b64 v[138:141], v116 offset0:16 offset1:24
	global_store_dwordx4 v[150:151], v[146:149], off
	v_mfma_f32_16x16x16_bf16 a[24:27], v[176:177], v[156:157], a[24:27]
	ds_read2st64_b64 v[146:149], v117 offset0:16 offset1:24
	v_add_co_u32_e32 v152, vcc, s37, v150
	v_mfma_f32_16x16x16_bf16 a[28:31], v[176:177], v[160:161], a[28:31]
	s_nop 0
	v_addc_co_u32_e32 v153, vcc, 0, v151, vcc
	global_store_dwordx4 v[152:153], v[142:145], off offset:-4096
	v_mfma_f32_16x16x16_bf16 a[0:3], v[166:167], v[162:163], a[0:3]
	s_waitcnt lgkmcnt(1)
	v_mov_b32_e32 v142, v138
	v_add_co_u32_e32 v138, vcc, s59, v150
	v_mfma_f32_16x16x16_bf16 a[4:7], v[166:167], v[170:171], a[4:7]
	v_mov_b32_e32 v143, v139
	v_addc_co_u32_e32 v139, vcc, 0, v151, vcc
	v_mfma_f32_16x16x16_bf16 a[8:11], v[166:167], v[172:173], a[8:11]
	s_waitcnt lgkmcnt(0)
	v_mov_b32_e32 v144, v146
	v_mov_b32_e32 v145, v147
	;; [unrolled: 1-line block ×3, first 2 shown]
	v_mfma_f32_16x16x16_bf16 a[12:15], v[166:167], v[174:175], a[12:15]
	v_mov_b32_e32 v147, v141
	s_and_b64 vcc, exec, s[0:1]
	global_store_dwordx4 v[152:153], v[142:145], off
	v_mfma_f32_16x16x16_bf16 a[20:23], v[178:179], v[162:163], a[16:19]
	global_store_dwordx4 v[138:139], v[146:149], off
	v_mfma_f32_16x16x16_bf16 a[16:19], v[178:179], v[170:171], a[32:35]
	v_mfma_f32_16x16x16_bf16 a[24:27], v[178:179], v[172:173], a[24:27]
	;; [unrolled: 1-line block ×3, first 2 shown]
	s_cbranch_vccnz .LBB183_16
; %bb.15:                               ;   in Loop: Header=BB183_6 Depth=1
	v_lshrrev_b32_e32 v137, 3, v135
	v_and_b32_e32 v137, 6, v137
	v_xor_b32_e32 v136, v137, v136
	v_lshlrev_b32_e32 v136, 2, v136
	v_and_b32_e32 v135, 8, v135
	v_xor_b32_e32 v138, 0x440, v136
	v_cmp_eq_u32_e32 vcc, 0, v135
	s_barrier
	s_nop 0
	v_cndmask_b32_e32 v135, v138, v136, vcc
	v_lshl_or_b32 v135, v137, 10, v135
	s_waitcnt vmcnt(5)
	v_perm_b32 v136, v30, v26, s56
	s_waitcnt vmcnt(4)
	v_perm_b32 v137, v22, v18, s56
	ds_write2st64_b32 v135, v136, v137 offset0:128 offset1:160
	v_xor_b32_e32 v136, 8, v135
	v_perm_b32 v26, v30, v26, s57
	v_perm_b32 v18, v22, v18, s57
	v_add_u32_e32 v22, 0x80, v136
	ds_write2st64_b32 v22, v26, v18 offset0:128 offset1:160
	v_xor_b32_e32 v18, 16, v135
	v_perm_b32 v22, v31, v27, s56
	v_perm_b32 v26, v23, v19, s56
	ds_write2st64_b32 v18, v22, v26 offset0:129 offset1:161
	v_xor_b32_e32 v18, 24, v135
	v_perm_b32 v22, v31, v27, s57
	v_perm_b32 v19, v23, v19, s57
	v_add_u32_e32 v18, 0x80, v18
	ds_write2st64_b32 v18, v22, v19 offset0:129 offset1:161
	v_xor_b32_e32 v18, 32, v135
	v_perm_b32 v19, v32, v28, s56
	;; [unrolled: 9-line block ×3, first 2 shown]
	v_perm_b32 v20, v25, v21, s56
	ds_write2st64_b32 v18, v19, v20 offset0:131 offset1:163
	v_xor_b32_e32 v18, 56, v135
	v_perm_b32 v19, v33, v29, s57
	v_perm_b32 v20, v25, v21, s57
	v_add_u32_e32 v18, 0x80, v18
	ds_write2st64_b32 v18, v19, v20 offset0:131 offset1:163
	ds_write_b64 v134, v[14:15] offset:49152
	v_xor_b32_e32 v14, 8, v134
	ds_write_b64 v14, v[16:17] offset:49152
	ds_write_b64 v134, v[10:11] offset:57344
	;; [unrolled: 1-line block ×4, first 2 shown]
	v_xor_b32_e32 v6, 8, v133
	ds_write_b64 v6, v[8:9] offset:49152
	ds_write_b64 v133, v[2:3] offset:57344
	;; [unrolled: 1-line block ×3, first 2 shown]
.LBB183_16:                             ;   in Loop: Header=BB183_6 Depth=1
	v_exp_f32_e32 v134, s40
	v_accvgpr_read_b32 v5, a3
	v_accvgpr_read_b32 v9, a7
	;; [unrolled: 1-line block ×4, first 2 shown]
	s_waitcnt vmcnt(4)
	v_accvgpr_read_b32 v18, a20
	v_accvgpr_read_b32 v25, a19
	;; [unrolled: 1-line block ×28, first 2 shown]
	s_add_i32 s52, s52, 64
	v_pk_fma_f32 v[62:63], v[134:135], v[62:63], v[2:3] op_sel_hi:[0,1,1]
	v_pk_fma_f32 v[64:65], v[134:135], v[64:65], v[4:5] op_sel_hi:[0,1,1]
	;; [unrolled: 1-line block ×15, first 2 shown]
	s_cmp_eq_u32 s45, s60
	v_pk_fma_f32 v[38:39], v[134:135], v[38:39], v[32:33] op_sel_hi:[0,1,1]
	s_cbranch_scc1 .LBB183_18
; %bb.17:                               ;   in Loop: Header=BB183_6 Depth=1
	s_mov_b32 s58, s60
	s_branch .LBB183_6
.LBB183_18:
	s_lshl_b32 s0, s45, 6
	s_sub_i32 s47, s47, s0
	s_cmp_gt_i32 s47, 0
	s_cbranch_scc0 .LBB183_99
; %bb.19:
	s_add_i32 s38, s0, s38
	s_ashr_i32 s2, s38, 31
	s_cmpk_lg_i32 s19, 0x80
	s_cselect_b64 s[30:31], -1, 0
	s_and_b64 vcc, exec, s[30:31]
	s_cbranch_vccz .LBB183_21
; %bb.20:
	s_mul_i32 s1, s38, s18
	s_ashr_i32 s3, s50, 31
	s_mul_hi_i32 s0, s38, s18
	s_add_u32 s40, s1, s50
	s_addc_u32 s41, s0, s3
	s_cbranch_execz .LBB183_22
	s_branch .LBB183_23
.LBB183_21:
                                        ; implicit-def: $sgpr40_sgpr41
.LBB183_22:
	s_mul_i32 s1, s50, s16
	s_mul_hi_i32 s0, s50, s16
	s_add_u32 s40, s1, s38
	s_addc_u32 s41, s0, s2
.LBB183_23:
	s_add_i32 s3, s45, s46
	s_ashr_i32 s16, s33, 31
	s_add_u32 s0, s49, s38
	v_lshlrev_b32_e32 v6, 6, v80
	v_lshlrev_b32_e32 v24, 2, v74
	s_addc_u32 s1, s48, s2
	s_mov_b32 s2, 0x7060302
	v_or_b32_e32 v9, v6, v24
	v_xor_b32_e32 v7, v80, v24
	v_perm_b32 v3, v65, v64, s2
	v_perm_b32 v2, v63, v62, s2
	;; [unrolled: 1-line block ×4, first 2 shown]
	v_lshlrev_b32_e32 v9, 1, v9
	v_xor_b32_e32 v8, v81, v24
	ds_write2st64_b64 v9, v[2:3], v[4:5] offset0:32 offset1:48
	v_lshlrev_b32_e32 v7, 1, v7
	v_lshlrev_b32_e32 v9, 8, v74
	v_or_b32_e32 v10, v7, v9
	v_lshlrev_b32_e32 v8, 1, v8
	ds_write_b64 v10, v[2:3]
	v_or_b32_e32 v2, v8, v9
	v_or_b32_e32 v9, 16, v74
	v_lshlrev_b32_e32 v23, 2, v9
	v_or_b32_e32 v10, v6, v23
	ds_write_b64 v2, v[4:5]
	v_perm_b32 v3, v57, v56, s2
	v_perm_b32 v2, v55, v54, s2
	;; [unrolled: 1-line block ×4, first 2 shown]
	v_lshlrev_b32_e32 v10, 1, v10
	v_lshlrev_b32_e32 v9, 8, v9
	ds_write2st64_b64 v10, v[2:3], v[4:5] offset0:32 offset1:48
	v_or_b32_e32 v10, v7, v9
	ds_write_b64 v10, v[2:3]
	v_or_b32_e32 v2, v8, v9
	v_or_b32_e32 v9, 32, v74
	v_lshlrev_b32_e32 v22, 2, v9
	v_or_b32_e32 v10, v6, v22
	s_lshl_b64 s[28:29], s[0:1], 8
	ds_write_b64 v2, v[4:5]
	v_perm_b32 v3, v49, v48, s2
	v_perm_b32 v2, v47, v46, s2
	v_perm_b32 v5, v45, v44, s2
	v_perm_b32 v4, v43, v42, s2
	v_lshlrev_b32_e32 v10, 1, v10
	v_lshlrev_b32_e32 v9, 8, v9
	s_add_u32 s0, s6, s28
	ds_write2st64_b64 v10, v[2:3], v[4:5] offset0:32 offset1:48
	v_or_b32_e32 v10, v7, v9
	s_addc_u32 s1, s7, s29
	ds_write_b64 v10, v[2:3]
	v_or_b32_e32 v2, v8, v9
	v_or_b32_e32 v9, 48, v74
	s_mul_hi_i32 s6, s3, s17
	s_mul_i32 s3, s3, s17
	ds_write_b64 v2, v[4:5]
	v_perm_b32 v3, v35, v34, s2
	v_perm_b32 v2, v41, v40, s2
	;; [unrolled: 1-line block ×4, first 2 shown]
	v_lshlrev_b32_e32 v19, 2, v9
	s_add_u32 s2, s3, s33
	v_or_b32_e32 v6, v6, v19
	s_addc_u32 s3, s6, s16
	v_lshlrev_b32_e32 v6, 1, v6
	s_ashr_i32 s37, s36, 31
	s_lshl_b64 s[2:3], s[2:3], 15
	ds_write2st64_b64 v6, v[2:3], v[4:5] offset0:32 offset1:48
	v_lshlrev_b32_e32 v6, 8, v9
	s_add_u32 s6, s12, s2
	v_or_b32_e32 v7, v7, v6
	s_addc_u32 s7, s13, s3
	s_lshl_b64 s[2:3], s[36:37], 8
	ds_write_b64 v7, v[2:3]
	v_or_b32_e32 v2, v8, v6
	s_add_u32 s2, s6, s2
	v_lshlrev_b32_e32 v3, 1, v74
	ds_write_b64 v2, v[4:5]
	v_lshrrev_b32_e32 v2, 4, v0
	s_addc_u32 s3, s7, s3
	v_or_b32_e32 v4, 1, v3
	v_lshlrev_b32_e32 v10, 4, v74
	v_mov_b32_e32 v11, 0
	v_xor_b32_e32 v3, v2, v3
	v_xor_b32_e32 v6, v4, v2
	v_lshl_add_u64 v[12:13], s[2:3], 0, v[10:11]
	v_lshlrev_b32_e32 v10, 8, v2
	v_lshl_or_b32 v16, v3, 3, v10
	v_lshl_or_b32 v17, v6, 3, v10
	s_waitcnt lgkmcnt(0)
	s_barrier
	ds_read2st64_b64 v[2:5], v16 offset1:8
	ds_read2st64_b64 v[6:9], v17 offset1:8
	v_lshl_add_u64 v[14:15], v[12:13], 0, v[10:11]
	s_movk_i32 s2, 0x2000
	s_cmp_lg_u32 s47, 64
	s_waitcnt lgkmcnt(1)
	v_mov_b32_e32 v10, v2
	v_mov_b32_e32 v11, v3
	s_waitcnt lgkmcnt(0)
	v_mov_b32_e32 v12, v6
	v_mov_b32_e32 v13, v7
	global_store_dwordx4 v[14:15], v[10:13], off
	v_mov_b32_e32 v6, v4
	v_mov_b32_e32 v7, v5
	ds_read2st64_b64 v[2:5], v16 offset0:16 offset1:24
	ds_read2st64_b64 v[10:13], v17 offset0:16 offset1:24
	v_add_co_u32_e32 v16, vcc, s2, v14
	s_cselect_b64 s[6:7], -1, 0
	s_nop 0
	v_addc_co_u32_e32 v17, vcc, 0, v15, vcc
	global_store_dwordx4 v[16:17], v[6:9], off offset:-4096
	v_lshl_or_b32 v25, v76, 3, v79
	s_mov_b32 s24, 0
	s_waitcnt lgkmcnt(1)
	v_mov_b32_e32 v6, v2
	v_add_co_u32_e32 v2, vcc, 0x3000, v14
	v_mov_b32_e32 v7, v3
	s_nop 0
	v_addc_co_u32_e32 v3, vcc, 0, v15, vcc
	s_waitcnt lgkmcnt(0)
	v_mov_b32_e32 v8, v10
	v_mov_b32_e32 v9, v11
	;; [unrolled: 1-line block ×4, first 2 shown]
	v_or_b32_e32 v20, 32, v25
	v_and_b32_e32 v18, 56, v78
	s_and_b64 vcc, exec, s[6:7]
	global_store_dwordx4 v[16:17], v[6:9], off
	global_store_dwordx4 v[2:3], v[10:13], off
	s_cbranch_vccz .LBB183_29
; %bb.24:
	s_mov_b32 s25, s24
	s_mov_b32 s26, s24
	;; [unrolled: 1-line block ×3, first 2 shown]
	v_mov_b64_e32 v[6:7], s[24:25]
	v_mov_b64_e32 v[8:9], s[26:27]
	;; [unrolled: 1-line block ×3, first 2 shown]
	v_cmp_gt_i32_e32 vcc, s47, v25
	v_mov_b64_e32 v[4:5], v[8:9]
	s_and_saveexec_b64 s[2:3], vcc
	s_cbranch_execz .LBB183_26
; %bb.25:
	v_lshlrev_b32_e32 v2, 8, v25
	v_mov_b32_e32 v3, 0
	v_lshl_add_u64 v[4:5], s[0:1], 0, v[2:3]
	v_lshlrev_b32_e32 v2, 1, v18
	v_lshl_add_u64 v[10:11], v[4:5], 0, v[2:3]
	global_load_dwordx4 v[6:9], v[10:11], off
	global_load_dwordx4 v[2:5], v[10:11], off offset:128
.LBB183_26:
	s_or_b64 exec, exec, s[2:3]
	s_mov_b32 s25, s24
	s_mov_b32 s26, s24
	;; [unrolled: 1-line block ×3, first 2 shown]
	v_mov_b64_e32 v[14:15], s[24:25]
	v_mov_b64_e32 v[16:17], s[26:27]
	;; [unrolled: 1-line block ×3, first 2 shown]
	v_cmp_gt_i32_e32 vcc, s47, v20
	v_lshlrev_b32_e32 v21, 7, v20
	v_mov_b64_e32 v[12:13], v[16:17]
	s_and_saveexec_b64 s[2:3], vcc
	s_cbranch_execz .LBB183_28
; %bb.27:
	v_lshlrev_b32_e32 v10, 1, v21
	v_mov_b32_e32 v11, 0
	v_lshl_add_u64 v[12:13], s[0:1], 0, v[10:11]
	v_lshlrev_b32_e32 v10, 1, v18
	v_lshl_add_u64 v[26:27], v[12:13], 0, v[10:11]
	global_load_dwordx4 v[14:17], v[26:27], off
	global_load_dwordx4 v[10:13], v[26:27], off offset:128
.LBB183_28:
	s_or_b64 exec, exec, s[2:3]
	v_lshrrev_b32_e32 v26, 3, v18
	v_lshlrev_b32_e32 v27, 3, v25
	v_or_b32_e32 v26, v27, v26
	v_lshlrev_b32_e32 v26, 4, v26
	v_and_b32_e32 v27, 0x78, v27
	v_xor_b32_e32 v26, v26, v27
	s_branch .LBB183_31
.LBB183_29:
                                        ; implicit-def: $vgpr26
                                        ; implicit-def: $vgpr21
                                        ; implicit-def: $vgpr6_vgpr7_vgpr8_vgpr9
                                        ; implicit-def: $vgpr2_vgpr3_vgpr4_vgpr5
                                        ; implicit-def: $vgpr14_vgpr15_vgpr16_vgpr17
                                        ; implicit-def: $vgpr10_vgpr11_vgpr12_vgpr13
	s_cbranch_execz .LBB183_31
; %bb.30:
	s_waitcnt vmcnt(0)
	v_lshlrev_b32_e32 v2, 1, v18
	v_lshl_or_b32 v21, v25, 8, v2
	s_and_b32 s1, s1, 0xffff
	s_mov_b32 s3, 0x20000
	s_movk_i32 s2, 0x4000
	v_lshl_or_b32 v26, v20, 8, v2
	s_movk_i32 s12, 0x80
	buffer_load_dwordx4 v[6:9], v21, s[0:3], 0 offen
	buffer_load_dwordx4 v[2:5], v21, s[0:3], s12 offen
	;; [unrolled: 1-line block ×4, first 2 shown]
	v_lshrrev_b32_e32 v21, 3, v18
	v_lshlrev_b32_e32 v26, 3, v25
	v_or_b32_e32 v21, v26, v21
	v_lshlrev_b32_e32 v21, 4, v21
	v_and_b32_e32 v26, 0x78, v26
	v_xor_b32_e32 v26, v21, v26
	v_lshlrev_b32_e32 v21, 7, v20
.LBB183_31:
	s_movk_i32 s0, 0x1000
	v_and_or_b32 v20, v21, s0, v26
	s_waitcnt vmcnt(1)
	ds_write_b64 v26, v[6:7] offset:49152
	v_xor_b32_e32 v6, 8, v26
	ds_write_b64 v6, v[8:9] offset:49152
	s_waitcnt vmcnt(0)
	ds_write_b64 v26, v[2:3] offset:57344
	ds_write_b64 v6, v[4:5] offset:57344
	;; [unrolled: 1-line block ×3, first 2 shown]
	v_xor_b32_e32 v2, 8, v20
	ds_write_b64 v2, v[16:17] offset:49152
	ds_write_b64 v20, v[10:11] offset:57344
	;; [unrolled: 1-line block ×3, first 2 shown]
	v_or_b32_e32 v2, v1, v74
	v_lshlrev_b32_e32 v3, 11, v76
	v_lshlrev_b32_e32 v2, 3, v2
	v_and_b32_e32 v6, 0x1000, v3
	v_lshrrev_b32_e32 v3, 5, v75
	s_movk_i32 s0, 0xf8
	v_and_or_b32 v3, v2, s0, v3
	v_lshlrev_b32_e32 v7, 4, v3
	v_and_b32_e32 v8, 0x78, v2
	v_or_b32_e32 v10, 32, v7
	v_lshrrev_b32_e32 v3, 1, v75
	v_xor_b32_e32 v10, v10, v8
	v_xor_b32_e32 v2, v7, v8
	v_and_b32_e32 v9, 8, v3
	v_or_b32_e32 v10, v10, v6
	v_or_b32_e32 v2, v2, v6
	v_xor_b32_e32 v28, v10, v9
	v_or_b32_e32 v10, 64, v7
	v_xor_b32_e32 v27, v2, v9
	v_xor_b32_e32 v10, v10, v8
	s_waitcnt lgkmcnt(0)
	s_barrier
	v_or_b32_e32 v13, v10, v6
	ds_read_b64 v[10:11], v27 offset:49152
	v_lshl_or_b32 v14, v77, 8, v24
	v_lshlrev_b32_e32 v26, 1, v14
	v_add_u32_e32 v12, 0x4000, v26
	ds_read2_b64 v[2:5], v12 offset1:16
	v_or_b32_e32 v7, 0x60, v7
	v_xor_b32_e32 v7, v7, v8
	v_or_b32_e32 v6, v7, v6
	v_xor_b32_e32 v29, v13, v9
	v_xor_b32_e32 v30, v6, v9
	ds_read_b64 v[20:21], v28 offset:49152
	ds_read_b64 v[34:35], v29 offset:49152
	ds_read_b64 v[36:37], v30 offset:49152
	s_waitcnt lgkmcnt(3)
	v_mfma_f32_16x16x16_bf16 a[0:3], v[10:11], v[2:3], 0
	ds_read2_b64 v[6:9], v12 offset0:32 offset1:48
	s_lshl_b64 s[0:1], s[40:41], 8
	s_add_u32 s4, s4, s0
	v_mfma_f32_16x16x16_bf16 a[4:7], v[10:11], v[4:5], 0
	ds_read2st64_b64 v[2:5], v26 offset0:36 offset1:40
	s_addc_u32 s5, s5, s1
	s_add_i32 s2, s39, -1
	s_waitcnt lgkmcnt(1)
	v_mfma_f32_16x16x16_bf16 a[8:11], v[10:11], v[6:7], 0
	v_or_b32_e32 v6, 64, v14
	v_lshlrev_b32_e32 v31, 1, v6
	s_add_i32 s0, s43, s42
	s_waitcnt lgkmcnt(0)
	v_mfma_f32_16x16x16_bf16 a[0:3], v[20:21], v[2:3], a[0:3]
	v_or_b32_e32 v2, 0x80, v14
	v_lshlrev_b32_e32 v32, 1, v2
	v_or_b32_e32 v2, 0xc0, v14
	v_mfma_f32_16x16x16_bf16 a[12:15], v[10:11], v[8:9], 0
	ds_read2st64_b64 v[6:9], v31 offset0:36 offset1:40
	v_lshlrev_b32_e32 v33, 1, v2
	ds_read2st64_b64 v[10:13], v32 offset0:36 offset1:40
	ds_read2st64_b64 v[14:17], v33 offset0:36 offset1:40
	s_add_i32 s21, s0, s44
	s_mul_i32 s0, s33, s23
	s_mul_hi_u32 s1, s33, s22
	s_ashr_i32 s3, s2, 31
	s_mul_i32 s12, s2, s35
	s_mul_hi_u32 s13, s2, s34
	s_waitcnt lgkmcnt(2)
	v_mfma_f32_16x16x16_bf16 a[4:7], v[20:21], v[6:7], a[4:7]
	s_add_i32 s0, s1, s0
	s_mul_i32 s1, s16, s22
	s_add_i32 s12, s13, s12
	s_mul_i32 s3, s3, s34
	s_waitcnt lgkmcnt(1)
	v_mfma_f32_16x16x16_bf16 a[8:11], v[20:21], v[10:11], a[8:11]
	s_add_i32 s1, s0, s1
	s_add_i32 s3, s12, s3
	s_lshl_b64 s[12:13], s[20:21], 2
	s_waitcnt lgkmcnt(0)
	v_mfma_f32_16x16x16_bf16 a[12:15], v[20:21], v[14:15], a[12:15]
	s_mul_i32 s0, s33, s22
	s_add_u32 s10, s10, s12
	s_addc_u32 s11, s11, s13
	s_lshl_b64 s[0:1], s[0:1], 2
	v_mfma_f32_16x16x16_bf16 a[0:3], v[34:35], v[4:5], a[0:3]
	s_mul_i32 s2, s2, s34
	ds_read_b64 v[2:3], v26 offset:22528
	s_add_u32 s10, s10, s0
	v_mfma_f32_16x16x16_bf16 a[4:7], v[34:35], v[8:9], a[4:7]
	ds_read_b64 v[4:5], v31 offset:22528
	ds_read_b64 v[6:7], v32 offset:22528
	;; [unrolled: 1-line block ×3, first 2 shown]
	s_addc_u32 s11, s11, s1
	s_lshl_b64 s[0:1], s[2:3], 2
	v_mfma_f32_16x16x16_bf16 a[8:11], v[34:35], v[12:13], a[8:11]
	s_add_u32 s0, s10, s0
	s_addc_u32 s1, s11, s1
	s_load_dword s12, s[0:1], 0x0
	v_mfma_f32_16x16x16_bf16 a[12:15], v[34:35], v[16:17], a[12:15]
	s_and_b64 vcc, exec, s[30:31]
	s_waitcnt lgkmcnt(0)
	v_mfma_f32_16x16x16_bf16 a[0:3], v[36:37], v[2:3], a[0:3]
	v_mfma_f32_16x16x16_bf16 a[4:7], v[36:37], v[4:5], a[4:7]
	;; [unrolled: 1-line block ×4, first 2 shown]
	s_cbranch_vccz .LBB183_42
; %bb.32:
	v_lshlrev_b32_e32 v20, 1, v25
	s_and_b64 vcc, exec, s[6:7]
	s_cbranch_vccz .LBB183_43
; %bb.33:
	v_cmp_gt_i32_e32 vcc, s47, v20
	v_mov_b32_e32 v6, 0
	v_mov_b32_e32 v2, 0
	;; [unrolled: 1-line block ×5, first 2 shown]
	s_and_saveexec_b64 s[0:1], vcc
	s_cbranch_execz .LBB183_35
; %bb.34:
	v_mad_i64_i32 v[2:3], s[2:3], s19, v20, 0
	v_lshl_add_u64 v[2:3], v[2:3], 1, s[4:5]
	v_lshlrev_b32_e32 v4, 1, v18
	v_mov_b32_e32 v5, 0
	v_lshl_add_u64 v[2:3], v[2:3], 0, v[4:5]
	global_load_dwordx4 v[2:5], v[2:3], off
.LBB183_35:
	s_or_b64 exec, exec, s[0:1]
	v_or_b32_e32 v21, 1, v20
	v_cmp_gt_i32_e64 s[0:1], s47, v21
	v_mov_b32_e32 v7, 0
	v_mov_b32_e32 v8, 0
	;; [unrolled: 1-line block ×3, first 2 shown]
	s_and_saveexec_b64 s[2:3], s[0:1]
	s_cbranch_execz .LBB183_37
; %bb.36:
	v_mad_i64_i32 v[6:7], s[16:17], s19, v21, 0
	v_lshl_add_u64 v[6:7], v[6:7], 1, s[4:5]
	v_lshlrev_b32_e32 v8, 1, v18
	v_mov_b32_e32 v9, 0
	v_lshl_add_u64 v[6:7], v[6:7], 0, v[8:9]
	global_load_dwordx4 v[6:9], v[6:7], off
.LBB183_37:
	s_or_b64 exec, exec, s[2:3]
	v_mov_b32_e32 v17, 0
	v_mov_b32_e32 v10, 0
	v_mov_b32_e32 v11, 0
	v_mov_b32_e32 v12, 0
	v_mov_b32_e32 v13, 0
	s_and_saveexec_b64 s[2:3], vcc
	s_cbranch_execz .LBB183_39
; %bb.38:
	v_mad_i64_i32 v[10:11], s[16:17], s19, v20, 0
	v_lshl_add_u64 v[10:11], v[10:11], 1, s[4:5]
	v_lshlrev_b32_e32 v12, 1, v18
	v_mov_b32_e32 v13, 0
	v_lshl_add_u64 v[10:11], v[10:11], 0, v[12:13]
	global_load_dwordx4 v[10:13], v[10:11], off offset:128
.LBB183_39:
	s_or_b64 exec, exec, s[2:3]
	v_mov_b32_e32 v16, 0
	v_mov_b32_e32 v15, 0
	;; [unrolled: 1-line block ×3, first 2 shown]
	s_and_saveexec_b64 s[2:3], s[0:1]
	s_cbranch_execz .LBB183_41
; %bb.40:
	v_mad_i64_i32 v[14:15], s[0:1], s19, v21, 0
	v_lshl_add_u64 v[14:15], v[14:15], 1, s[4:5]
	v_lshlrev_b32_e32 v16, 1, v18
	v_mov_b32_e32 v17, 0
	v_lshl_add_u64 v[14:15], v[14:15], 0, v[16:17]
	global_load_dwordx4 v[14:17], v[14:15], off offset:128
.LBB183_41:
	s_or_b64 exec, exec, s[2:3]
	s_branch .LBB183_45
.LBB183_42:
                                        ; implicit-def: $vgpr5
                                        ; implicit-def: $vgpr9
                                        ; implicit-def: $vgpr13
                                        ; implicit-def: $vgpr17
	v_lshrrev_b32_e32 v34, 2, v75
	s_branch .LBB183_46
.LBB183_43:
                                        ; implicit-def: $vgpr5
                                        ; implicit-def: $vgpr9
                                        ; implicit-def: $vgpr13
                                        ; implicit-def: $vgpr17
	s_cbranch_execz .LBB183_45
; %bb.44:
	s_waitcnt vmcnt(0)
	v_mad_u64_u32 v[2:3], s[0:1], v20, s19, v[18:19]
	v_lshlrev_b32_e32 v20, 1, v2
	s_lshl_b32 s2, s19, 7
	s_and_b32 s1, s5, 0xffff
	s_mov_b32 s3, 0x20000
	s_mov_b32 s0, s4
	v_add_lshl_u32 v21, v2, s19, 1
	s_movk_i32 s13, 0x80
	buffer_load_dwordx4 v[2:5], v20, s[0:3], 0 offen
	buffer_load_dwordx4 v[10:13], v20, s[0:3], s13 offen
	;; [unrolled: 1-line block ×4, first 2 shown]
.LBB183_45:
	v_lshrrev_b32_e32 v34, 2, v75
	s_cbranch_execnz .LBB183_58
.LBB183_46:
	s_and_b64 vcc, exec, s[6:7]
	s_cbranch_vccz .LBB183_56
; %bb.47:
	s_waitcnt vmcnt(0)
	v_lshlrev_b32_e32 v7, 1, v25
	v_cmp_gt_i32_e32 vcc, s47, v7
	v_mov_b32_e32 v6, 0
	v_lshlrev_b32_e32 v14, 9, v25
	v_mov_b32_e32 v2, 0
	v_mov_b32_e32 v3, 0
	;; [unrolled: 1-line block ×4, first 2 shown]
	s_and_saveexec_b64 s[0:1], vcc
	s_cbranch_execz .LBB183_49
; %bb.48:
	v_mov_b32_e32 v15, 0
	v_lshl_add_u64 v[2:3], s[4:5], 0, v[14:15]
	v_lshlrev_b32_e32 v4, 1, v18
	v_mov_b32_e32 v5, v15
	v_lshl_add_u64 v[2:3], v[2:3], 0, v[4:5]
	global_load_dwordx4 v[2:5], v[2:3], off
.LBB183_49:
	s_or_b64 exec, exec, s[0:1]
	v_or_b32_e32 v7, 1, v7
	v_cmp_gt_i32_e64 s[0:1], s47, v7
	v_lshlrev_b32_e32 v20, 8, v7
	v_mov_b32_e32 v7, 0
	v_mov_b32_e32 v8, 0
	;; [unrolled: 1-line block ×3, first 2 shown]
	s_and_saveexec_b64 s[2:3], s[0:1]
	s_cbranch_execz .LBB183_51
; %bb.50:
	v_mov_b32_e32 v21, 0
	v_lshl_add_u64 v[6:7], s[4:5], 0, v[20:21]
	v_lshlrev_b32_e32 v8, 1, v18
	v_mov_b32_e32 v9, v21
	v_lshl_add_u64 v[6:7], v[6:7], 0, v[8:9]
	global_load_dwordx4 v[6:9], v[6:7], off
.LBB183_51:
	s_or_b64 exec, exec, s[2:3]
	v_mov_b32_e32 v17, 0
	v_mov_b32_e32 v10, 0
	;; [unrolled: 1-line block ×5, first 2 shown]
	s_and_saveexec_b64 s[2:3], vcc
	s_cbranch_execz .LBB183_53
; %bb.52:
	v_mov_b32_e32 v15, 0
	v_lshl_add_u64 v[10:11], s[4:5], 0, v[14:15]
	v_lshlrev_b32_e32 v14, 1, v18
	v_lshl_add_u64 v[10:11], v[10:11], 0, v[14:15]
	global_load_dwordx4 v[10:13], v[10:11], off offset:128
.LBB183_53:
	s_or_b64 exec, exec, s[2:3]
	v_mov_b32_e32 v16, 0
	v_mov_b32_e32 v15, 0
	;; [unrolled: 1-line block ×3, first 2 shown]
	s_and_saveexec_b64 s[2:3], s[0:1]
	s_cbranch_execz .LBB183_55
; %bb.54:
	v_mov_b32_e32 v21, 0
	v_lshl_add_u64 v[14:15], s[4:5], 0, v[20:21]
	v_lshlrev_b32_e32 v20, 1, v18
	v_lshl_add_u64 v[14:15], v[14:15], 0, v[20:21]
	global_load_dwordx4 v[14:17], v[14:15], off offset:128
.LBB183_55:
	s_or_b64 exec, exec, s[2:3]
	s_branch .LBB183_58
.LBB183_56:
                                        ; implicit-def: $vgpr5
                                        ; implicit-def: $vgpr9
                                        ; implicit-def: $vgpr13
                                        ; implicit-def: $vgpr17
	s_cbranch_execz .LBB183_58
; %bb.57:
	s_waitcnt vmcnt(0)
	v_lshlrev_b32_e32 v2, 1, v18
	v_lshl_or_b32 v18, v25, 9, v2
	s_and_b32 s5, s5, 0xffff
	s_mov_b32 s7, 0x20000
	s_movk_i32 s6, 0x4000
	s_movk_i32 s0, 0x80
	buffer_load_dwordx4 v[2:5], v18, s[4:7], 0 offen
	buffer_load_dwordx4 v[6:9], v18, s[4:7], 0 offen offset:256
	buffer_load_dwordx4 v[10:13], v18, s[4:7], s0 offen
	buffer_load_dwordx4 v[14:17], v18, s[4:7], s0 offen offset:256
.LBB183_58:
	ds_read_b64 v[20:21], v27 offset:57344
	v_add_u32_e32 v18, 0x6000, v26
	ds_read2_b64 v[36:39], v18 offset1:16
	ds_read_b64 v[52:53], v28 offset:57344
	ds_read_b64 v[28:29], v29 offset:57344
	;; [unrolled: 1-line block ×3, first 2 shown]
	ds_read2st64_b64 v[40:43], v26 offset0:52 offset1:56
	s_mov_b32 s0, 0x1000504
	s_mov_b32 s1, 0x3020706
	s_waitcnt lgkmcnt(4)
	v_mfma_f32_16x16x16_bf16 a[0:3], v[20:21], v[36:37], a[0:3]
	v_mfma_f32_16x16x16_bf16 a[4:7], v[20:21], v[38:39], a[4:7]
	ds_read2_b64 v[36:39], v18 offset0:32 offset1:48
	v_and_b32_e32 v18, 6, v0
	v_xor_b32_e32 v25, v25, v18
	s_waitcnt lgkmcnt(0)
	v_mfma_f32_16x16x16_bf16 a[8:11], v[20:21], v[36:37], a[8:11]
	v_lshlrev_b32_e32 v25, 2, v25
	v_and_b32_e32 v0, 1, v0
	v_xor_b32_e32 v35, 0x440, v25
	v_mfma_f32_16x16x16_bf16 a[12:15], v[20:21], v[38:39], a[12:15]
	ds_read2st64_b64 v[36:39], v31 offset0:52 offset1:56
	ds_read2st64_b64 v[44:47], v32 offset0:52 offset1:56
	ds_read2st64_b64 v[48:51], v33 offset0:52 offset1:56
	v_cmp_eq_u32_e32 vcc, 0, v0
	ds_read_b64 v[20:21], v26 offset:30720
	ds_read_b64 v[26:27], v31 offset:30720
	;; [unrolled: 1-line block ×4, first 2 shown]
	v_mfma_f32_16x16x16_bf16 a[0:3], v[52:53], v[40:41], a[0:3]
	v_cndmask_b32_e32 v0, v35, v25, vcc
	v_lshl_or_b32 v0, v18, 10, v0
	s_waitcnt vmcnt(0)
	v_perm_b32 v18, v2, v6, s0
	s_waitcnt lgkmcnt(6)
	v_mfma_f32_16x16x16_bf16 a[4:7], v[52:53], v[36:37], a[4:7]
	v_perm_b32 v25, v10, v14, s0
	ds_write2st64_b32 v0, v18, v25 offset0:128 offset1:160
	v_xor_b32_e32 v18, 8, v0
	s_waitcnt lgkmcnt(6)
	v_mfma_f32_16x16x16_bf16 a[8:11], v[52:53], v[44:45], a[8:11]
	v_perm_b32 v2, v2, v6, s1
	v_perm_b32 v6, v10, v14, s1
	v_add_u32_e32 v10, 0x80, v18
	s_waitcnt lgkmcnt(5)
	v_mfma_f32_16x16x16_bf16 a[12:15], v[52:53], v[48:49], a[12:15]
	ds_write2st64_b32 v10, v2, v6 offset0:128 offset1:160
	v_xor_b32_e32 v2, 16, v0
	v_perm_b32 v6, v3, v7, s0
	v_mfma_f32_16x16x16_bf16 a[0:3], v[28:29], v[42:43], a[0:3]
	v_perm_b32 v10, v11, v15, s0
	ds_write2st64_b32 v2, v6, v10 offset0:129 offset1:161
	v_xor_b32_e32 v2, 24, v0
	v_mfma_f32_16x16x16_bf16 a[4:7], v[28:29], v[38:39], a[4:7]
	v_perm_b32 v3, v3, v7, s1
	v_perm_b32 v6, v11, v15, s1
	v_add_u32_e32 v2, 0x80, v2
	v_mfma_f32_16x16x16_bf16 a[16:19], v[28:29], v[46:47], a[8:11]
	ds_write2st64_b32 v2, v3, v6 offset0:129 offset1:161
	v_xor_b32_e32 v2, 32, v0
	v_perm_b32 v3, v4, v8, s0
	v_mfma_f32_16x16x16_bf16 a[20:23], v[28:29], v[50:51], a[12:15]
	v_perm_b32 v6, v12, v16, s0
	ds_write2st64_b32 v2, v3, v6 offset0:130 offset1:162
	v_xor_b32_e32 v2, 40, v0
	s_waitcnt lgkmcnt(8)
	v_mfma_f32_16x16x16_bf16 a[12:15], v[54:55], v[20:21], a[0:3]
	v_perm_b32 v3, v4, v8, s1
	v_perm_b32 v4, v12, v16, s1
	v_add_u32_e32 v2, 0x80, v2
	s_waitcnt lgkmcnt(7)
	v_mfma_f32_16x16x16_bf16 a[8:11], v[54:55], v[26:27], a[4:7]
	ds_write2st64_b32 v2, v3, v4 offset0:130 offset1:162
	v_xor_b32_e32 v2, 48, v0
	v_perm_b32 v3, v5, v9, s0
	s_waitcnt lgkmcnt(7)
	v_mfma_f32_16x16x16_bf16 a[4:7], v[54:55], v[30:31], a[16:19]
	v_perm_b32 v4, v13, v17, s0
	v_xor_b32_e32 v0, 56, v0
	v_and_or_b32 v21, v34, 12, v1
	s_waitcnt lgkmcnt(6)
	v_mfma_f32_16x16x16_bf16 a[0:3], v[54:55], v[32:33], a[20:23]
	ds_write2st64_b32 v2, v3, v4 offset0:131 offset1:163
	v_perm_b32 v2, v5, v9, s1
	v_perm_b32 v3, v13, v17, s1
	v_add_u32_e32 v0, 0x80, v0
	v_cmp_gt_i32_e32 vcc, s47, v21
	v_mov_b32_e32 v16, 0
	v_mov_b32_e32 v18, 0
	ds_write2st64_b32 v0, v2, v3 offset0:131 offset1:163
	s_and_saveexec_b64 s[0:1], vcc
	s_cbranch_execz .LBB183_60
; %bb.59:
	v_add_u32_e32 v0, s38, v21
	v_ashrrev_i32_e32 v1, 31, v0
	v_mul_lo_u32 v2, v1, s34
	v_mul_lo_u32 v3, v0, s35
	v_mad_u64_u32 v[0:1], s[2:3], v0, s34, 0
	v_add3_u32 v1, v1, v3, v2
	v_lshl_add_u64 v[0:1], v[0:1], 2, s[10:11]
	global_load_dword v0, v[0:1], off
	s_waitcnt vmcnt(0)
	v_sub_f32_e32 v0, s12, v0
	v_exp_f32_e32 v18, v0
.LBB183_60:
	s_or_b64 exec, exec, s[0:1]
	v_or_b32_e32 v10, 1, v21
	v_cmp_gt_i32_e64 s[2:3], s47, v10
	s_and_saveexec_b64 s[0:1], s[2:3]
	s_cbranch_execz .LBB183_62
; %bb.61:
	v_add_u32_e32 v0, s38, v10
	v_ashrrev_i32_e32 v1, 31, v0
	v_mul_lo_u32 v2, v1, s34
	v_mul_lo_u32 v3, v0, s35
	v_mad_u64_u32 v[0:1], s[4:5], v0, s34, 0
	v_add3_u32 v1, v1, v3, v2
	v_lshl_add_u64 v[0:1], v[0:1], 2, s[10:11]
	global_load_dword v0, v[0:1], off
	s_waitcnt vmcnt(0)
	v_sub_f32_e32 v0, s12, v0
	v_exp_f32_e32 v16, v0
.LBB183_62:
	s_or_b64 exec, exec, s[0:1]
	v_or_b32_e32 v12, 2, v21
	v_cmp_gt_i32_e64 s[0:1], s47, v12
	v_mov_b32_e32 v17, 0
	v_mov_b32_e32 v20, 0
	s_and_saveexec_b64 s[4:5], s[0:1]
	s_cbranch_execz .LBB183_64
; %bb.63:
	v_add_u32_e32 v0, s38, v12
	v_ashrrev_i32_e32 v1, 31, v0
	v_mul_lo_u32 v2, v1, s34
	v_mul_lo_u32 v3, v0, s35
	v_mad_u64_u32 v[0:1], s[6:7], v0, s34, 0
	v_add3_u32 v1, v1, v3, v2
	v_lshl_add_u64 v[0:1], v[0:1], 2, s[10:11]
	global_load_dword v0, v[0:1], off
	s_waitcnt vmcnt(0)
	v_sub_f32_e32 v0, s12, v0
	v_exp_f32_e32 v20, v0
.LBB183_64:
	s_or_b64 exec, exec, s[4:5]
	v_or_b32_e32 v14, 3, v21
	v_cmp_gt_i32_e64 s[4:5], s47, v14
	s_and_saveexec_b64 s[6:7], s[4:5]
	s_cbranch_execz .LBB183_66
; %bb.65:
	v_add_u32_e32 v0, s38, v14
	v_ashrrev_i32_e32 v1, 31, v0
	v_mul_lo_u32 v2, v1, s34
	v_mul_lo_u32 v3, v0, s35
	v_mad_u64_u32 v[0:1], s[16:17], v0, s34, 0
	v_add3_u32 v1, v1, v3, v2
	v_lshl_add_u64 v[0:1], v[0:1], 2, s[10:11]
	global_load_dword v0, v[0:1], off
	s_waitcnt vmcnt(0)
	v_sub_f32_e32 v0, s12, v0
	v_exp_f32_e32 v17, v0
.LBB183_66:
	s_or_b64 exec, exec, s[6:7]
	s_add_u32 s6, s8, s28
	v_or_b32_e32 v4, s36, v74
	s_addc_u32 s7, s9, s29
	s_add_u32 s8, s14, s28
	v_ashrrev_i32_e32 v5, 31, v4
	v_accvgpr_read_b32 v0, a12
	s_addc_u32 s9, s15, s29
	v_lshlrev_b64 v[4:5], 1, v[4:5]
	v_accvgpr_read_b32 v1, a13
	v_accvgpr_read_b32 v2, a14
	;; [unrolled: 1-line block ×3, first 2 shown]
	v_lshl_add_u64 v[6:7], s[6:7], 0, v[4:5]
	v_lshl_add_u64 v[4:5], s[8:9], 0, v[4:5]
	v_mov_b32_e32 v11, 0
	v_lshlrev_b32_e32 v8, 8, v21
	v_mov_b32_e32 v9, 0
	s_and_saveexec_b64 s[6:7], vcc
	s_cbranch_execz .LBB183_68
; %bb.67:
	v_mov_b32_e32 v9, 0
	v_lshl_add_u64 v[26:27], v[6:7], 0, v[8:9]
	global_load_ushort v13, v[26:27], off
	v_lshl_add_u64 v[26:27], v[4:5], 0, v[8:9]
	s_waitcnt vmcnt(0)
	v_lshlrev_b32_e32 v9, 16, v13
	v_sub_f32_e32 v0, v9, v0
	global_store_short_d16_hi v[26:27], v0, off
	v_mul_f32_e32 v0, v18, v0
	v_lshrrev_b32_e32 v9, 16, v0
.LBB183_68:
	s_or_b64 exec, exec, s[6:7]
	v_lshlrev_b32_e32 v10, 8, v10
	s_and_saveexec_b64 s[6:7], s[2:3]
	s_cbranch_execz .LBB183_70
; %bb.69:
	v_mov_b32_e32 v11, 0
	v_lshl_add_u64 v[26:27], v[6:7], 0, v[10:11]
	global_load_ushort v0, v[26:27], off
	v_lshl_add_u64 v[26:27], v[4:5], 0, v[10:11]
	s_waitcnt vmcnt(0)
	v_lshlrev_b32_e32 v0, 16, v0
	v_sub_f32_e32 v0, v0, v1
	global_store_short_d16_hi v[26:27], v0, off
	v_mul_f32_e32 v0, v16, v0
	v_lshrrev_b32_e32 v11, 16, v0
.LBB183_70:
	s_or_b64 exec, exec, s[6:7]
	v_mov_b32_e32 v15, 0
	v_lshlrev_b32_e32 v12, 8, v12
	v_mov_b32_e32 v13, 0
	s_and_saveexec_b64 s[6:7], s[0:1]
	s_cbranch_execz .LBB183_72
; %bb.71:
	v_mov_b32_e32 v13, 0
	v_lshl_add_u64 v[0:1], v[6:7], 0, v[12:13]
	global_load_ushort v25, v[0:1], off
	v_lshl_add_u64 v[0:1], v[4:5], 0, v[12:13]
	s_waitcnt vmcnt(0)
	v_lshlrev_b32_e32 v13, 16, v25
	v_sub_f32_e32 v2, v13, v2
	global_store_short_d16_hi v[0:1], v2, off
	v_mul_f32_e32 v0, v20, v2
	v_lshrrev_b32_e32 v13, 16, v0
.LBB183_72:
	s_or_b64 exec, exec, s[6:7]
	v_lshlrev_b32_e32 v14, 8, v14
	s_and_saveexec_b64 s[6:7], s[4:5]
	s_cbranch_execz .LBB183_74
; %bb.73:
	v_mov_b32_e32 v15, 0
	v_lshl_add_u64 v[0:1], v[6:7], 0, v[14:15]
	global_load_ushort v2, v[0:1], off
	v_lshl_add_u64 v[0:1], v[4:5], 0, v[14:15]
	s_waitcnt vmcnt(0)
	v_lshlrev_b32_e32 v2, 16, v2
	v_sub_f32_e32 v2, v2, v3
	global_store_short_d16_hi v[0:1], v2, off
	v_mul_f32_e32 v0, v17, v2
	v_lshrrev_b32_e32 v15, 16, v0
.LBB183_74:
	s_or_b64 exec, exec, s[6:7]
	v_lshlrev_b32_e32 v21, 6, v21
	s_mov_b32 s6, 0x5040100
	v_perm_b32 v26, v11, v9, s6
	v_or_b32_e32 v9, v21, v24
	v_accvgpr_read_b32 v0, a8
	v_perm_b32 v27, v15, v13, s6
	v_lshlrev_b32_e32 v9, 1, v9
	v_accvgpr_read_b32 v1, a9
	v_accvgpr_read_b32 v2, a10
	v_accvgpr_read_b32 v3, a11
	ds_write_b64 v9, v[26:27] offset:24576
	v_mov_b32_e32 v11, 0
	v_mov_b32_e32 v9, 0
	s_and_saveexec_b64 s[6:7], vcc
	s_cbranch_execz .LBB183_76
; %bb.75:
	v_mov_b32_e32 v9, 0
	v_lshl_add_u64 v[24:25], v[6:7], 0, v[8:9]
	global_load_ushort v13, v[24:25], off offset:32
	v_lshl_add_u64 v[24:25], v[4:5], 0, v[8:9]
	s_waitcnt vmcnt(0)
	v_lshlrev_b32_e32 v9, 16, v13
	v_sub_f32_e32 v0, v9, v0
	global_store_short_d16_hi v[24:25], v0, off offset:32
	v_mul_f32_e32 v0, v18, v0
	v_lshrrev_b32_e32 v9, 16, v0
.LBB183_76:
	s_or_b64 exec, exec, s[6:7]
	s_and_saveexec_b64 s[6:7], s[2:3]
	s_cbranch_execz .LBB183_78
; %bb.77:
	v_mov_b32_e32 v11, 0
	v_lshl_add_u64 v[24:25], v[6:7], 0, v[10:11]
	global_load_ushort v0, v[24:25], off offset:32
	v_lshl_add_u64 v[24:25], v[4:5], 0, v[10:11]
	s_waitcnt vmcnt(0)
	v_lshlrev_b32_e32 v0, 16, v0
	v_sub_f32_e32 v0, v0, v1
	global_store_short_d16_hi v[24:25], v0, off offset:32
	v_mul_f32_e32 v0, v16, v0
	v_lshrrev_b32_e32 v11, 16, v0
.LBB183_78:
	s_or_b64 exec, exec, s[6:7]
	v_mov_b32_e32 v15, 0
	v_mov_b32_e32 v13, 0
	s_and_saveexec_b64 s[6:7], s[0:1]
	s_cbranch_execz .LBB183_80
; %bb.79:
	v_mov_b32_e32 v13, 0
	v_lshl_add_u64 v[0:1], v[6:7], 0, v[12:13]
	global_load_ushort v24, v[0:1], off offset:32
	v_lshl_add_u64 v[0:1], v[4:5], 0, v[12:13]
	s_waitcnt vmcnt(0)
	v_lshlrev_b32_e32 v13, 16, v24
	v_sub_f32_e32 v2, v13, v2
	global_store_short_d16_hi v[0:1], v2, off offset:32
	v_mul_f32_e32 v0, v20, v2
	v_lshrrev_b32_e32 v13, 16, v0
.LBB183_80:
	s_or_b64 exec, exec, s[6:7]
	s_and_saveexec_b64 s[6:7], s[4:5]
	s_cbranch_execz .LBB183_82
; %bb.81:
	v_mov_b32_e32 v15, 0
	v_lshl_add_u64 v[0:1], v[6:7], 0, v[14:15]
	global_load_ushort v2, v[0:1], off offset:32
	v_lshl_add_u64 v[0:1], v[4:5], 0, v[14:15]
	s_waitcnt vmcnt(0)
	v_lshlrev_b32_e32 v2, 16, v2
	v_sub_f32_e32 v2, v2, v3
	global_store_short_d16_hi v[0:1], v2, off offset:32
	v_mul_f32_e32 v0, v17, v2
	v_lshrrev_b32_e32 v15, 16, v0
.LBB183_82:
	s_or_b64 exec, exec, s[6:7]
	s_mov_b32 s6, 0x5040100
	v_perm_b32 v24, v11, v9, s6
	v_or_b32_e32 v9, v21, v23
	v_accvgpr_read_b32 v0, a4
	v_perm_b32 v25, v15, v13, s6
	v_lshlrev_b32_e32 v9, 1, v9
	v_accvgpr_read_b32 v1, a5
	v_accvgpr_read_b32 v2, a6
	;; [unrolled: 1-line block ×3, first 2 shown]
	ds_write_b64 v9, v[24:25] offset:24576
	v_mov_b32_e32 v11, 0
	v_mov_b32_e32 v9, 0
	s_and_saveexec_b64 s[6:7], vcc
	s_cbranch_execz .LBB183_84
; %bb.83:
	v_mov_b32_e32 v9, 0
	v_lshl_add_u64 v[24:25], v[6:7], 0, v[8:9]
	global_load_ushort v13, v[24:25], off offset:64
	v_lshl_add_u64 v[24:25], v[4:5], 0, v[8:9]
	s_waitcnt vmcnt(0)
	v_lshlrev_b32_e32 v9, 16, v13
	v_sub_f32_e32 v0, v9, v0
	global_store_short_d16_hi v[24:25], v0, off offset:64
	v_mul_f32_e32 v0, v18, v0
	v_lshrrev_b32_e32 v9, 16, v0
.LBB183_84:
	s_or_b64 exec, exec, s[6:7]
	s_and_saveexec_b64 s[6:7], s[2:3]
	s_cbranch_execz .LBB183_86
; %bb.85:
	v_mov_b32_e32 v11, 0
	v_lshl_add_u64 v[24:25], v[6:7], 0, v[10:11]
	global_load_ushort v0, v[24:25], off offset:64
	v_lshl_add_u64 v[24:25], v[4:5], 0, v[10:11]
	s_waitcnt vmcnt(0)
	v_lshlrev_b32_e32 v0, 16, v0
	v_sub_f32_e32 v0, v0, v1
	global_store_short_d16_hi v[24:25], v0, off offset:64
	v_mul_f32_e32 v0, v16, v0
	v_lshrrev_b32_e32 v11, 16, v0
.LBB183_86:
	s_or_b64 exec, exec, s[6:7]
	v_mov_b32_e32 v15, 0
	v_mov_b32_e32 v13, 0
	s_and_saveexec_b64 s[6:7], s[0:1]
	s_cbranch_execz .LBB183_88
; %bb.87:
	v_mov_b32_e32 v13, 0
	v_lshl_add_u64 v[0:1], v[6:7], 0, v[12:13]
	global_load_ushort v23, v[0:1], off offset:64
	v_lshl_add_u64 v[0:1], v[4:5], 0, v[12:13]
	s_waitcnt vmcnt(0)
	v_lshlrev_b32_e32 v13, 16, v23
	v_sub_f32_e32 v2, v13, v2
	global_store_short_d16_hi v[0:1], v2, off offset:64
	v_mul_f32_e32 v0, v20, v2
	v_lshrrev_b32_e32 v13, 16, v0
.LBB183_88:
	s_or_b64 exec, exec, s[6:7]
	s_and_saveexec_b64 s[6:7], s[4:5]
	s_cbranch_execz .LBB183_90
; %bb.89:
	v_mov_b32_e32 v15, 0
	v_lshl_add_u64 v[0:1], v[6:7], 0, v[14:15]
	global_load_ushort v2, v[0:1], off offset:64
	v_lshl_add_u64 v[0:1], v[4:5], 0, v[14:15]
	s_waitcnt vmcnt(0)
	v_lshlrev_b32_e32 v2, 16, v2
	v_sub_f32_e32 v2, v2, v3
	global_store_short_d16_hi v[0:1], v2, off offset:64
	v_mul_f32_e32 v0, v17, v2
	v_lshrrev_b32_e32 v15, 16, v0
.LBB183_90:
	s_or_b64 exec, exec, s[6:7]
	s_mov_b32 s6, 0x5040100
	v_perm_b32 v24, v11, v9, s6
	v_or_b32_e32 v9, v21, v22
	v_accvgpr_read_b32 v0, a0
	v_perm_b32 v25, v15, v13, s6
	v_lshlrev_b32_e32 v9, 1, v9
	v_accvgpr_read_b32 v1, a1
	v_accvgpr_read_b32 v2, a2
	;; [unrolled: 1-line block ×3, first 2 shown]
	ds_write_b64 v9, v[24:25] offset:24576
	v_mov_b32_e32 v11, 0
	v_mov_b32_e32 v9, 0
	s_and_saveexec_b64 s[6:7], vcc
	s_cbranch_execz .LBB183_92
; %bb.91:
	v_mov_b32_e32 v9, 0
	v_lshl_add_u64 v[22:23], v[6:7], 0, v[8:9]
	global_load_ushort v13, v[22:23], off offset:96
	v_lshl_add_u64 v[8:9], v[4:5], 0, v[8:9]
	s_waitcnt vmcnt(0)
	v_lshlrev_b32_e32 v13, 16, v13
	v_sub_f32_e32 v0, v13, v0
	global_store_short_d16_hi v[8:9], v0, off offset:96
	v_mul_f32_e32 v0, v18, v0
	v_lshrrev_b32_e32 v9, 16, v0
.LBB183_92:
	s_or_b64 exec, exec, s[6:7]
	s_and_saveexec_b64 s[6:7], s[2:3]
	s_cbranch_execz .LBB183_94
; %bb.93:
	v_mov_b32_e32 v11, 0
	v_lshl_add_u64 v[22:23], v[6:7], 0, v[10:11]
	global_load_ushort v0, v[22:23], off offset:96
	v_lshl_add_u64 v[10:11], v[4:5], 0, v[10:11]
	s_waitcnt vmcnt(0)
	v_lshlrev_b32_e32 v0, 16, v0
	v_sub_f32_e32 v0, v0, v1
	global_store_short_d16_hi v[10:11], v0, off offset:96
	v_mul_f32_e32 v0, v16, v0
	v_lshrrev_b32_e32 v11, 16, v0
.LBB183_94:
	s_or_b64 exec, exec, s[6:7]
	v_mov_b32_e32 v0, 0
	v_mov_b32_e32 v1, 0
	s_and_saveexec_b64 s[2:3], s[0:1]
	s_cbranch_execz .LBB183_96
; %bb.95:
	v_mov_b32_e32 v13, 0
	v_lshl_add_u64 v[22:23], v[6:7], 0, v[12:13]
	global_load_ushort v1, v[22:23], off offset:96
	v_lshl_add_u64 v[12:13], v[4:5], 0, v[12:13]
	s_waitcnt vmcnt(0)
	v_lshlrev_b32_e32 v1, 16, v1
	v_sub_f32_e32 v1, v1, v2
	global_store_short_d16_hi v[12:13], v1, off offset:96
	v_mul_f32_e32 v1, v20, v1
	v_lshrrev_b32_e32 v1, 16, v1
.LBB183_96:
	s_or_b64 exec, exec, s[2:3]
	s_and_saveexec_b64 s[0:1], s[4:5]
	s_cbranch_execz .LBB183_98
; %bb.97:
	v_mov_b32_e32 v15, 0
	v_lshl_add_u64 v[6:7], v[6:7], 0, v[14:15]
	global_load_ushort v0, v[6:7], off offset:96
	v_lshl_add_u64 v[4:5], v[4:5], 0, v[14:15]
	s_waitcnt vmcnt(0)
	v_lshlrev_b32_e32 v0, 16, v0
	v_sub_f32_e32 v0, v0, v3
	global_store_short_d16_hi v[4:5], v0, off offset:96
	v_mul_f32_e32 v0, v17, v0
	v_lshrrev_b32_e32 v0, 16, v0
.LBB183_98:
	s_or_b64 exec, exec, s[0:1]
	s_mov_b32 s0, 0x5040100
	v_or_b32_e32 v2, v21, v19
	v_perm_b32 v1, v0, v1, s0
	v_perm_b32 v0, v11, v9, s0
	v_lshlrev_b32_e32 v2, 1, v2
	ds_write_b64 v2, v[0:1] offset:24576
	s_waitcnt lgkmcnt(0)
	s_barrier
.LBB183_99:
	s_endpgm
	.section	.rodata,"a",@progbits
	.p2align	6, 0x0
	.amdhsa_kernel _ZN12_GLOBAL__N_139chunk_gated_delta_rule_fwd_h_hip_kernelILi64ELb0ELb0ELb1ELb1ELb1ELb0ELb0ELb0EEEvPK12hip_bfloat16S3_S3_PKfS5_PKvPS1_S8_PvPKiSB_iiiiilll
		.amdhsa_group_segment_fixed_size 65536
		.amdhsa_private_segment_fixed_size 0
		.amdhsa_kernarg_size 136
		.amdhsa_user_sgpr_count 2
		.amdhsa_user_sgpr_dispatch_ptr 0
		.amdhsa_user_sgpr_queue_ptr 0
		.amdhsa_user_sgpr_kernarg_segment_ptr 1
		.amdhsa_user_sgpr_dispatch_id 0
		.amdhsa_user_sgpr_kernarg_preload_length 0
		.amdhsa_user_sgpr_kernarg_preload_offset 0
		.amdhsa_user_sgpr_private_segment_size 0
		.amdhsa_uses_dynamic_stack 0
		.amdhsa_enable_private_segment 0
		.amdhsa_system_sgpr_workgroup_id_x 1
		.amdhsa_system_sgpr_workgroup_id_y 1
		.amdhsa_system_sgpr_workgroup_id_z 0
		.amdhsa_system_sgpr_workgroup_info 0
		.amdhsa_system_vgpr_workitem_id 0
		.amdhsa_next_free_vgpr 216
		.amdhsa_next_free_sgpr 62
		.amdhsa_accum_offset 180
		.amdhsa_reserve_vcc 1
		.amdhsa_float_round_mode_32 0
		.amdhsa_float_round_mode_16_64 0
		.amdhsa_float_denorm_mode_32 3
		.amdhsa_float_denorm_mode_16_64 3
		.amdhsa_dx10_clamp 1
		.amdhsa_ieee_mode 1
		.amdhsa_fp16_overflow 0
		.amdhsa_tg_split 0
		.amdhsa_exception_fp_ieee_invalid_op 0
		.amdhsa_exception_fp_denorm_src 0
		.amdhsa_exception_fp_ieee_div_zero 0
		.amdhsa_exception_fp_ieee_overflow 0
		.amdhsa_exception_fp_ieee_underflow 0
		.amdhsa_exception_fp_ieee_inexact 0
		.amdhsa_exception_int_div_zero 0
	.end_amdhsa_kernel
	.section	.text._ZN12_GLOBAL__N_139chunk_gated_delta_rule_fwd_h_hip_kernelILi64ELb0ELb0ELb1ELb1ELb1ELb0ELb0ELb0EEEvPK12hip_bfloat16S3_S3_PKfS5_PKvPS1_S8_PvPKiSB_iiiiilll,"axG",@progbits,_ZN12_GLOBAL__N_139chunk_gated_delta_rule_fwd_h_hip_kernelILi64ELb0ELb0ELb1ELb1ELb1ELb0ELb0ELb0EEEvPK12hip_bfloat16S3_S3_PKfS5_PKvPS1_S8_PvPKiSB_iiiiilll,comdat
.Lfunc_end183:
	.size	_ZN12_GLOBAL__N_139chunk_gated_delta_rule_fwd_h_hip_kernelILi64ELb0ELb0ELb1ELb1ELb1ELb0ELb0ELb0EEEvPK12hip_bfloat16S3_S3_PKfS5_PKvPS1_S8_PvPKiSB_iiiiilll, .Lfunc_end183-_ZN12_GLOBAL__N_139chunk_gated_delta_rule_fwd_h_hip_kernelILi64ELb0ELb0ELb1ELb1ELb1ELb0ELb0ELb0EEEvPK12hip_bfloat16S3_S3_PKfS5_PKvPS1_S8_PvPKiSB_iiiiilll
                                        ; -- End function
	.section	.AMDGPU.csdata,"",@progbits
; Kernel info:
; codeLenInByte = 11112
; NumSgprs: 68
; NumVgprs: 180
; NumAgprs: 36
; TotalNumVgprs: 216
; ScratchSize: 0
; MemoryBound: 0
; FloatMode: 240
; IeeeMode: 1
; LDSByteSize: 65536 bytes/workgroup (compile time only)
; SGPRBlocks: 8
; VGPRBlocks: 26
; NumSGPRsForWavesPerEU: 68
; NumVGPRsForWavesPerEU: 216
; AccumOffset: 180
; Occupancy: 1
; WaveLimiterHint : 1
; COMPUTE_PGM_RSRC2:SCRATCH_EN: 0
; COMPUTE_PGM_RSRC2:USER_SGPR: 2
; COMPUTE_PGM_RSRC2:TRAP_HANDLER: 0
; COMPUTE_PGM_RSRC2:TGID_X_EN: 1
; COMPUTE_PGM_RSRC2:TGID_Y_EN: 1
; COMPUTE_PGM_RSRC2:TGID_Z_EN: 0
; COMPUTE_PGM_RSRC2:TIDIG_COMP_CNT: 0
; COMPUTE_PGM_RSRC3_GFX90A:ACCUM_OFFSET: 44
; COMPUTE_PGM_RSRC3_GFX90A:TG_SPLIT: 0
	.section	.text._ZN12_GLOBAL__N_139chunk_gated_delta_rule_fwd_h_hip_kernelILi64ELb0ELb0ELb0ELb1ELb1ELb0ELb0ELb0EEEvPK12hip_bfloat16S3_S3_PKfS5_PKvPS1_S8_PvPKiSB_iiiiilll,"axG",@progbits,_ZN12_GLOBAL__N_139chunk_gated_delta_rule_fwd_h_hip_kernelILi64ELb0ELb0ELb0ELb1ELb1ELb0ELb0ELb0EEEvPK12hip_bfloat16S3_S3_PKfS5_PKvPS1_S8_PvPKiSB_iiiiilll,comdat
	.globl	_ZN12_GLOBAL__N_139chunk_gated_delta_rule_fwd_h_hip_kernelILi64ELb0ELb0ELb0ELb1ELb1ELb0ELb0ELb0EEEvPK12hip_bfloat16S3_S3_PKfS5_PKvPS1_S8_PvPKiSB_iiiiilll ; -- Begin function _ZN12_GLOBAL__N_139chunk_gated_delta_rule_fwd_h_hip_kernelILi64ELb0ELb0ELb0ELb1ELb1ELb0ELb0ELb0EEEvPK12hip_bfloat16S3_S3_PKfS5_PKvPS1_S8_PvPKiSB_iiiiilll
	.p2align	8
	.type	_ZN12_GLOBAL__N_139chunk_gated_delta_rule_fwd_h_hip_kernelILi64ELb0ELb0ELb0ELb1ELb1ELb0ELb0ELb0EEEvPK12hip_bfloat16S3_S3_PKfS5_PKvPS1_S8_PvPKiSB_iiiiilll,@function
_ZN12_GLOBAL__N_139chunk_gated_delta_rule_fwd_h_hip_kernelILi64ELb0ELb0ELb0ELb1ELb1ELb0ELb0ELb0EEEvPK12hip_bfloat16S3_S3_PKfS5_PKvPS1_S8_PvPKiSB_iiiiilll: ; @_ZN12_GLOBAL__N_139chunk_gated_delta_rule_fwd_h_hip_kernelILi64ELb0ELb0ELb0ELb1ELb1ELb0ELb0ELb0EEEvPK12hip_bfloat16S3_S3_PKfS5_PKvPS1_S8_PvPKiSB_iiiiilll
; %bb.0:
	s_load_dwordx4 s[12:15], s[0:1], 0x5c
	s_load_dwordx4 s[16:19], s[0:1], 0x70
	s_abs_i32 s21, s3
	s_ashr_i32 s20, s3, 31
	s_load_dwordx2 s[36:37], s[0:1], 0x30
	s_load_dwordx4 s[24:27], s[0:1], 0x48
	s_waitcnt lgkmcnt(0)
	s_abs_i32 s28, s13
	v_cvt_f32_u32_e32 v1, s28
	s_sub_i32 s22, 0, s28
	s_ashr_i32 s29, s13, 31
	s_xor_b32 s20, s20, s29
	v_rcp_iflag_f32_e32 v1, v1
	s_load_dwordx8 s[4:11], s[0:1], 0x0
	v_lshrrev_b32_e32 v74, 6, v0
	v_bfe_u32 v75, v0, 4, 2
	v_mul_f32_e32 v1, 0x4f7ffffe, v1
	v_cvt_u32_f32_e32 v1, v1
	v_lshlrev_b32_e32 v2, 2, v75
	v_and_b32_e32 v73, 63, v0
	v_mov_b32_e32 v35, 0
	v_readfirstlane_b32 s23, v1
	s_mul_i32 s22, s22, s23
	s_mul_hi_u32 s22, s23, s22
	s_add_i32 s23, s23, s22
	s_mul_hi_u32 s22, s21, s23
	s_mul_i32 s23, s22, s28
	s_sub_i32 s21, s21, s23
	s_add_i32 s30, s22, 1
	s_sub_i32 s23, s21, s28
	s_cmp_ge_u32 s21, s28
	s_cselect_b32 s22, s30, s22
	s_cselect_b32 s21, s23, s21
	s_add_i32 s23, s22, 1
	s_cmp_ge_u32 s21, s28
	s_cselect_b32 s21, s23, s22
	s_xor_b32 s21, s21, s20
	s_sub_i32 s20, s21, s20
	s_mul_i32 s21, s20, s13
	s_sub_i32 s33, s3, s21
	s_ashr_i32 s21, s20, 31
	s_lshl_b64 s[22:23], s[20:21], 2
	s_add_u32 s24, s24, s22
	s_addc_u32 s25, s25, s23
	s_add_u32 s22, s26, s22
	s_addc_u32 s23, s27, s23
	s_abs_i32 s3, s14
	v_cvt_f32_u32_e32 v1, s3
	s_load_dwordx2 s[34:35], s[24:25], 0x0
	s_sub_i32 s25, 0, s3
	s_load_dword s44, s[22:23], 0x0
	v_rcp_iflag_f32_e32 v1, v1
	v_and_b32_e32 v72, 15, v0
	s_waitcnt lgkmcnt(0)
	s_sub_i32 s45, s35, s34
	s_ashr_i32 s24, s45, 31
	v_mul_f32_e32 v1, 0x4f7ffffe, v1
	v_cvt_u32_f32_e32 v1, v1
	s_lshr_b32 s24, s24, 26
	s_add_i32 s24, s45, s24
	s_ashr_i32 s43, s24, 6
	v_readfirstlane_b32 s26, v1
	s_mul_i32 s25, s25, s26
	s_mul_hi_u32 s25, s26, s25
	s_add_i32 s26, s26, s25
	s_mul_hi_u32 s25, s28, s26
	s_mul_i32 s26, s25, s3
	s_ashr_i32 s24, s14, 31
	s_sub_i32 s26, s28, s26
	s_xor_b32 s24, s29, s24
	s_add_i32 s27, s25, 1
	s_sub_i32 s28, s26, s3
	s_cmp_ge_u32 s26, s3
	s_cselect_b32 s25, s27, s25
	s_cselect_b32 s26, s28, s26
	s_add_i32 s27, s25, 1
	s_cmp_ge_u32 s26, s3
	s_cselect_b32 s3, s27, s25
	s_xor_b32 s3, s3, s24
	s_sub_i32 s3, s3, s24
	s_abs_i32 s24, s3
	v_cvt_f32_u32_e32 v1, s24
	s_load_dwordx2 s[28:29], s[0:1], 0x80
	s_xor_b32 s0, s33, s3
	s_sub_i32 s3, 0, s24
	v_rcp_iflag_f32_e32 v1, v1
	s_abs_i32 s1, s33
	s_ashr_i32 s0, s0, 31
	s_mul_hi_i32 s46, s33, s12
	v_mul_f32_e32 v1, 0x4f7ffffe, v1
	v_cvt_u32_f32_e32 v1, v1
	s_mul_i32 s47, s33, s12
	v_lshrrev_b32_e32 v77, 3, v73
	v_lshlrev_b32_e32 v76, 3, v0
	v_readfirstlane_b32 s22, v1
	s_mul_i32 s3, s3, s22
	s_mul_hi_u32 s3, s22, s3
	s_add_i32 s22, s22, s3
	s_mul_hi_u32 s3, s1, s22
	s_mul_i32 s22, s3, s24
	s_sub_i32 s1, s1, s22
	s_add_i32 s22, s3, 1
	s_sub_i32 s23, s1, s24
	s_cmp_ge_u32 s1, s24
	s_cselect_b32 s3, s22, s3
	s_cselect_b32 s1, s23, s1
	s_add_i32 s22, s3, 1
	s_cmp_ge_u32 s1, s24
	s_cselect_b32 s1, s22, s3
	s_xor_b32 s1, s1, s0
	v_lshlrev_b32_e32 v1, 4, v74
	s_sub_i32 s48, s1, s0
	v_or_b32_e32 v78, v2, v1
	s_lshl_b32 s30, s2, 6
	v_or_b32_e32 v79, 64, v78
	s_cmp_lt_i32 s45, 64
	s_mul_i32 s40, s20, s17
	s_mul_hi_u32 s41, s20, s16
	s_mul_i32 s42, s21, s16
	s_mul_i32 s16, s20, s16
	v_mov_b32_e32 v34, v35
	v_mov_b32_e32 v41, v35
	;; [unrolled: 1-line block ×31, first 2 shown]
	s_cbranch_scc1 .LBB184_18
; %bb.1:
	s_ashr_i32 s51, s33, 31
	s_ashr_i32 s1, s34, 31
	s_add_u32 s0, s47, s34
	s_addc_u32 s1, s46, s1
	s_lshl_b64 s[0:1], s[0:1], 8
	v_and_b32_e32 v81, 56, v76
	s_add_u32 s0, s6, s0
	v_lshl_or_b32 v80, v74, 3, v77
	v_lshlrev_b32_e32 v3, 1, v81
	s_addc_u32 s1, s7, s1
	v_lshl_or_b32 v82, v80, 8, v3
	s_and_b32 s1, s1, 0xffff
	s_mov_b32 s3, 0x20000
	s_movk_i32 s2, 0x4000
	s_movk_i32 s17, 0x80
	v_or_b32_e32 v83, 0x2000, v82
	buffer_load_dwordx4 v[4:7], v82, s[0:3], 0 offen
	buffer_load_dwordx4 v[8:11], v82, s[0:3], s17 offen
	;; [unrolled: 1-line block ×4, first 2 shown]
	v_lshlrev_b32_e32 v20, 3, v80
	v_and_or_b32 v22, v0, 7, v20
	v_and_b32_e32 v20, 0x78, v20
	v_lshlrev_b32_e32 v22, 4, v22
	v_xor_b32_e32 v84, v22, v20
	v_mul_lo_u32 v21, v80, s15
	v_or_b32_e32 v85, 0x1000, v84
	s_cmpk_eq_i32 s15, 0x80
	s_mov_b32 s49, s13
	s_mov_b32 s50, s34
	v_xor_b32_e32 v20, 8, v84
	v_xor_b32_e32 v22, 8, v85
	s_cselect_b64 s[0:1], -1, 0
	s_cmpk_lg_i32 s15, 0x80
	s_waitcnt vmcnt(3)
	ds_write_b64 v84, v[4:5] offset:49152
	ds_write_b64 v20, v[6:7] offset:49152
	s_waitcnt vmcnt(2)
	ds_write_b64 v84, v[8:9] offset:57344
	ds_write_b64 v20, v[10:11] offset:57344
	;; [unrolled: 3-line block ×4, first 2 shown]
	v_lshl_add_u32 v4, v21, 1, v81
	s_cbranch_scc0 .LBB184_3
; %bb.2:
	v_lshlrev_b32_e32 v6, 1, v4
	v_add_lshl_u32 v5, v4, s15, 1
	s_lshl_b32 s22, s15, 7
	v_lshl_or_b32 v3, v80, 9, v3
	s_cbranch_execz .LBB184_4
	s_branch .LBB184_5
.LBB184_3:
                                        ; implicit-def: $vgpr5
                                        ; implicit-def: $vgpr6
                                        ; implicit-def: $sgpr22
	v_lshl_or_b32 v3, v80, 9, v3
.LBB184_4:
	v_or_b32_e32 v5, 0x100, v3
	s_movk_i32 s22, 0x4000
	v_mov_b32_e32 v6, v3
.LBB184_5:
	s_mul_i32 s2, s34, s14
	s_ashr_i32 s52, s48, 31
	s_mul_hi_i32 s3, s34, s14
	s_add_u32 s2, s2, s48
	s_addc_u32 s3, s3, s52
	s_lshl_b64 s[2:3], s[2:3], 8
	s_add_u32 s20, s4, s2
	s_addc_u32 s2, s5, s3
	s_and_b32 s21, s2, 0xffff
	s_mov_b32 s23, 0x20000
	s_movk_i32 s53, 0x80
	buffer_load_dwordx4 v[8:11], v6, s[20:23], 0 offen
	buffer_load_dwordx4 v[12:15], v6, s[20:23], s53 offen
	;; [unrolled: 1-line block ×4, first 2 shown]
	v_and_b32_e32 v5, 6, v0
	v_lshlrev_b32_e32 v6, 7, v78
	v_xor_b32_e32 v28, v80, v5
	v_and_b32_e32 v7, 1, v0
	v_lshl_or_b32 v31, v72, 3, v6
	v_lshlrev_b32_e32 v28, 2, v28
	v_lshlrev_b32_e32 v24, 2, v72
	v_or_b32_e32 v86, 0x4000, v31
	v_or_b32_e32 v87, 0x6000, v31
	v_xor_b32_e32 v31, 0x440, v28
	v_cmp_eq_u32_e32 vcc, 0, v7
	v_or_b32_e32 v26, 16, v72
	v_or_b32_e32 v27, 32, v72
	v_xor_b32_e32 v29, v78, v24
	v_xor_b32_e32 v30, v79, v24
	v_cndmask_b32_e32 v7, v31, v28, vcc
	s_add_i32 s2, s41, s40
	s_mov_b32 s54, 0x1000504
	v_lshl_or_b32 v32, v26, 3, v6
	v_lshlrev_b32_e32 v26, 8, v26
	v_lshl_or_b32 v33, v27, 3, v6
	v_lshlrev_b32_e32 v29, 1, v29
	v_lshlrev_b32_e32 v30, 1, v30
	v_lshl_or_b32 v5, v5, 10, v7
	s_add_i32 s17, s2, s42
	s_mul_i32 s2, s33, s19
	s_mul_hi_u32 s3, s33, s18
	s_mov_b32 s55, 0x3020706
	v_lshlrev_b32_e32 v25, 8, v72
	v_or_b32_e32 v90, 0x4000, v33
	v_or_b32_e32 v91, 0x6000, v33
	;; [unrolled: 1-line block ×4, first 2 shown]
	v_xor_b32_e32 v7, 8, v5
	v_xor_b32_e32 v26, 24, v5
	;; [unrolled: 1-line block ×4, first 2 shown]
	s_add_i32 s2, s3, s2
	s_mul_i32 s3, s51, s18
	v_or_b32_e32 v88, 0x4000, v32
	v_or_b32_e32 v89, 0x6000, v32
	;; [unrolled: 1-line block ×4, first 2 shown]
	v_xor_b32_e32 v25, 16, v5
	v_xor_b32_e32 v28, 32, v5
	;; [unrolled: 1-line block ×3, first 2 shown]
	v_add_u32_e32 v7, 0x80, v7
	v_add_u32_e32 v26, 0x80, v26
	;; [unrolled: 1-line block ×4, first 2 shown]
	s_add_i32 s3, s2, s3
	s_lshl_b64 s[20:21], s[16:17], 2
	s_mul_i32 s2, s33, s18
	s_add_u32 s17, s10, s20
	s_addc_u32 s20, s11, s21
	s_lshl_b64 s[2:3], s[2:3], 2
	s_add_u32 s2, s17, s2
	s_movk_i32 s17, 0xf8
	s_addc_u32 s3, s20, s3
	s_ashr_i32 s31, s30, 31
	s_lshl_b32 s26, s15, 7
	s_lshl_b64 s[20:21], s[30:31], 8
	s_add_u32 s20, s36, s20
	v_mov_b32_e32 v67, 0
	s_addc_u32 s21, s37, s21
	v_lshlrev_b32_e32 v66, 4, v72
	v_lshlrev_b32_e32 v27, 8, v27
	s_mov_b32 s56, 0
	s_movk_i32 s22, 0x4000
	v_or_b32_e32 v96, v27, v29
	v_or_b32_e32 v97, v27, v30
	v_add_u32_e32 v126, v1, v2
	s_movk_i32 s31, 0x2000
	s_movk_i32 s57, 0x3000
	v_mov_b32_e32 v58, v67
	v_mov_b32_e32 v59, v67
	;; [unrolled: 1-line block ×4, first 2 shown]
	s_waitcnt vmcnt(1)
	v_perm_b32 v34, v8, v16, s54
	s_waitcnt vmcnt(0)
	v_perm_b32 v35, v12, v20, s54
	v_perm_b32 v8, v8, v16, s55
	;; [unrolled: 1-line block ×15, first 2 shown]
	ds_write2st64_b32 v5, v34, v35 offset0:128 offset1:160
	ds_write2st64_b32 v7, v8, v12 offset0:128 offset1:160
	;; [unrolled: 1-line block ×8, first 2 shown]
	v_or_b32_e32 v5, 48, v72
	v_lshl_or_b32 v7, v5, 3, v6
	v_lshlrev_b32_e32 v5, 8, v5
	v_or_b32_e32 v100, v5, v29
	v_or_b32_e32 v101, v5, v30
	;; [unrolled: 1-line block ×3, first 2 shown]
	v_lshlrev_b32_e32 v5, 3, v5
	v_lshrrev_b32_e32 v9, 5, v73
	v_and_or_b32 v9, v5, s17, v9
	v_lshlrev_b32_e32 v9, 4, v9
	v_or_b32_e32 v98, 0x4000, v7
	v_or_b32_e32 v99, 0x6000, v7
	v_lshlrev_b32_e32 v7, 11, v74
	v_and_b32_e32 v5, 0x78, v5
	v_or_b32_e32 v14, 32, v9
	v_and_b32_e32 v8, 0x1000, v7
	v_xor_b32_e32 v10, v9, v5
	v_lshrrev_b32_e32 v11, 1, v0
	v_xor_b32_e32 v14, v14, v5
	v_or_b32_e32 v10, v10, v8
	v_and_b32_e32 v12, 8, v11
	v_or_b32_e32 v14, v14, v8
	v_xor_b32_e32 v102, v10, v12
	v_lshlrev_b32_e32 v10, 8, v75
	v_xor_b32_e32 v104, v14, v12
	v_or_b32_e32 v14, 64, v9
	v_or_b32_e32 v9, 0x60, v9
	;; [unrolled: 1-line block ×3, first 2 shown]
	v_xor_b32_e32 v14, v14, v5
	v_xor_b32_e32 v5, v9, v5
	v_lshlrev_b32_e32 v13, 1, v13
	v_or_b32_e32 v14, v14, v8
	v_or_b32_e32 v5, v5, v8
	;; [unrolled: 1-line block ×6, first 2 shown]
	v_xor_b32_e32 v108, v14, v12
	v_xor_b32_e32 v109, v5, v12
	v_or_b32_e32 v110, 0x6000, v13
	v_or_b32_e32 v111, 0x6080, v13
	;; [unrolled: 1-line block ×4, first 2 shown]
	v_lshlrev_b32_e32 v12, 1, v4
	v_add_lshl_u32 v13, v4, s15, 1
	s_movk_i32 s17, 0x100
	v_lshlrev_b32_e32 v4, 1, v72
	v_lshrrev_b32_e32 v15, 4, v0
	v_or_b32_e32 v5, 1, v4
	v_mov_b32_e32 v19, 0xa000
	v_mov_b32_e32 v20, 0x8000
	v_cmp_gt_u32_e32 vcc, s17, v0
	v_xor_b32_e32 v16, v15, v4
	v_xor_b32_e32 v17, v5, v15
	v_lshl_add_u64 v[4:5], s[20:21], 0, v[66:67]
	v_lshlrev_b32_e32 v66, 8, v15
	v_cndmask_b32_e32 v19, v19, v20, vcc
	v_lshlrev_b32_e32 v20, 3, v74
	v_and_b32_e32 v11, 24, v11
	v_lshl_or_b32 v114, v16, 3, v66
	v_and_b32_e32 v16, 8, v0
	v_xor_b32_e32 v21, v20, v11
	v_or_b32_e32 v22, 0x440, v21
	v_cmp_eq_u32_e32 vcc, 0, v16
	v_and_b32_e32 v15, 7, v0
	v_lshl_or_b32 v115, v17, 3, v66
	v_cndmask_b32_e32 v16, v22, v21, vcc
	v_lshlrev_b32_e32 v17, 3, v15
	v_lshlrev_b32_e32 v15, 7, v15
	v_or_b32_e32 v16, v16, v7
	v_lshlrev_b32_e32 v18, 2, v0
	v_xad_u32 v116, v16, v17, v15
	v_or_b32_e32 v16, 32, v11
	v_and_or_b32 v10, v18, 60, v10
	v_xor_b32_e32 v16, v20, v16
	v_lshlrev_b32_e32 v10, 1, v10
	v_or_b32_e32 v18, 0x440, v16
	v_or_b32_e32 v117, 0x6000, v10
	v_cndmask_b32_e32 v16, v18, v16, vcc
	v_or_b32_e32 v119, 0x6080, v10
	v_or_b32_e32 v120, 0x6100, v10
	;; [unrolled: 1-line block ×5, first 2 shown]
	v_xor_b32_e32 v10, v20, v10
	v_xad_u32 v118, v16, v17, v15
	v_xor_b32_e32 v16, 0x440, v10
	v_cndmask_b32_e32 v10, v16, v10, vcc
	v_or_b32_e32 v10, v10, v7
	v_xad_u32 v122, v10, v17, v15
	v_or_b32_e32 v10, 0x60, v11
	v_xor_b32_e32 v10, v20, v10
	v_xor_b32_e32 v11, 0x440, v10
	v_cndmask_b32_e32 v10, v11, v10, vcc
	v_or_b32_e32 v8, s30, v72
	v_or_b32_e32 v7, v10, v7
	v_ashrrev_i32_e32 v9, 31, v8
	v_or_b32_e32 v14, 0x100, v3
	v_xad_u32 v123, v7, v17, v15
	v_cndmask_b32_e64 v124, v12, v3, s[0:1]
	v_cndmask_b32_e64 v125, v13, v14, s[0:1]
	v_lshl_add_u64 v[68:69], v[8:9], 1, s[8:9]
	v_lshl_add_u64 v[70:71], v[4:5], 0, v[66:67]
	s_mov_b32 s17, 0x7060302
	v_lshlrev_b32_e32 v66, 1, v6
	v_add_u32_e32 v127, v19, v116
	v_add_u32_e32 v128, v19, v118
	;; [unrolled: 1-line block ×4, first 2 shown]
	v_mov_b32_e32 v62, v67
	v_mov_b32_e32 v63, v67
	;; [unrolled: 1-line block ×28, first 2 shown]
	s_waitcnt lgkmcnt(0)
	s_barrier
.LBB184_6:                              ; =>This Inner Loop Header: Depth=1
	s_add_i32 s58, s56, 1
	s_cmp_lt_i32 s58, s43
	s_mov_b64 s[24:25], 0
	s_cselect_b64 s[38:39], -1, 0
	s_cmp_ge_i32 s58, s43
	s_mov_b64 s[20:21], 0
	s_cbranch_scc1 .LBB184_8
; %bb.7:                                ;   in Loop: Header=BB184_6 Depth=1
	s_add_i32 s0, s50, 64
	s_ashr_i32 s1, s0, 31
	s_add_u32 s0, s47, s0
	s_addc_u32 s1, s46, s1
	s_lshl_b64 s[0:1], s[0:1], 8
	s_add_u32 s20, s6, s0
	s_addc_u32 s21, s7, s1
.LBB184_8:                              ;   in Loop: Header=BB184_6 Depth=1
	v_cndmask_b32_e64 v2, 0, 1, s[38:39]
	v_cmp_ne_u32_e64 s[0:1], 1, v2
	s_andn2_b64 vcc, exec, s[38:39]
	s_cbranch_vccnz .LBB184_10
; %bb.9:                                ;   in Loop: Header=BB184_6 Depth=1
	s_add_i32 s24, s50, 64
	s_mul_hi_i32 s25, s24, s14
	s_mul_i32 s24, s24, s14
	s_add_u32 s24, s24, s48
	s_addc_u32 s25, s25, s52
	s_lshl_b64 s[24:25], s[24:25], 8
	s_add_u32 s24, s4, s24
	s_addc_u32 s25, s5, s25
.LBB184_10:                             ;   in Loop: Header=BB184_6 Depth=1
	v_perm_b32 v3, v65, v64, s17
	v_perm_b32 v2, v63, v62, s17
	v_perm_b32 v5, v61, v60, s17
	v_perm_b32 v4, v59, v58, s17
	ds_write_b64 v86, v[2:3]
	ds_write_b64 v87, v[4:5]
	ds_write_b64 v92, v[2:3]
	ds_write_b64 v93, v[4:5]
	v_perm_b32 v3, v57, v56, s17
	v_perm_b32 v2, v55, v54, s17
	v_perm_b32 v5, v53, v52, s17
	v_perm_b32 v4, v51, v50, s17
	ds_write_b64 v88, v[2:3]
	ds_write_b64 v89, v[4:5]
	ds_write_b64 v94, v[2:3]
	ds_write_b64 v95, v[4:5]
	;; [unrolled: 8-line block ×4, first 2 shown]
	s_waitcnt lgkmcnt(0)
	s_barrier
	ds_read_b64 v[6:7], v102 offset:49152
	ds_read2_b64 v[2:5], v103 offset1:16
	ds_read_b64 v[18:19], v105 offset:6144
	ds_read_b64 v[20:21], v103 offset:6144
	s_waitcnt lgkmcnt(2)
	v_mfma_f32_16x16x16_bf16 a[0:3], v[6:7], v[2:3], 0
	ds_read_b64 v[22:23], v104 offset:49152
	ds_read2st64_b64 v[10:13], v106 offset0:4 offset1:8
	ds_read2st64_b64 v[14:17], v107 offset0:4 offset1:8
	v_mfma_f32_16x16x16_bf16 a[4:7], v[6:7], v[4:5], 0
	ds_read2_b64 v[2:5], v103 offset0:32 offset1:48
	s_add_i32 s27, s50, 63
	s_ashr_i32 s38, s27, 31
	s_waitcnt lgkmcnt(0)
	v_mfma_f32_16x16x16_bf16 a[8:11], v[6:7], v[2:3], 0
	s_mul_i32 s39, s27, s29
	s_mul_hi_u32 s59, s27, s28
	s_add_i32 s39, s59, s39
	v_mfma_f32_16x16x16_bf16 a[12:15], v[6:7], v[4:5], 0
	ds_read2st64_b64 v[2:5], v103 offset0:4 offset1:8
	ds_read2st64_b64 v[6:9], v105 offset0:4 offset1:8
	s_mul_i32 s38, s38, s28
	s_waitcnt lgkmcnt(1)
	v_mfma_f32_16x16x16_bf16 a[0:3], v[22:23], v[2:3], a[0:3]
	s_add_i32 s39, s39, s38
	s_mul_i32 s38, s27, s28
	s_lshl_b64 s[38:39], s[38:39], 2
	s_waitcnt lgkmcnt(0)
	v_mfma_f32_16x16x16_bf16 a[4:7], v[22:23], v[6:7], a[4:7]
	s_add_u32 s38, s2, s38
	s_addc_u32 s39, s3, s39
	s_and_b64 vcc, exec, s[0:1]
	v_mfma_f32_16x16x16_bf16 a[8:11], v[22:23], v[10:11], a[8:11]
	ds_read_b64 v[2:3], v108 offset:49152
	ds_read_b64 v[6:7], v109 offset:49152
	;; [unrolled: 1-line block ×3, first 2 shown]
	v_mov_b32_e32 v133, 0
	v_mov_b32_e32 v132, 0
	v_mfma_f32_16x16x16_bf16 a[12:15], v[22:23], v[14:15], a[12:15]
	v_mov_b32_e32 v131, 0
	v_mov_b32_e32 v14, 0
	;; [unrolled: 1-line block ×3, first 2 shown]
	s_waitcnt lgkmcnt(2)
	v_mfma_f32_16x16x16_bf16 a[0:3], v[2:3], v[4:5], a[0:3]
	v_mov_b32_e32 v4, 0
	v_mov_b32_e32 v5, 0
	v_mfma_f32_16x16x16_bf16 a[16:19], v[2:3], v[8:9], a[4:7]
	v_mov_b32_e32 v8, 0
	v_mov_b32_e32 v9, 0
	;; [unrolled: 3-line block ×3, first 2 shown]
	v_mfma_f32_16x16x16_bf16 a[24:27], v[2:3], v[16:17], a[12:15]
	ds_read_b64 v[2:3], v106 offset:6144
	v_mov_b32_e32 v16, 0
	v_mov_b32_e32 v17, 0
	s_waitcnt lgkmcnt(2)
	v_mfma_f32_16x16x16_bf16 a[4:7], v[6:7], v[20:21], a[0:3]
	v_mfma_f32_16x16x16_bf16 a[8:11], v[6:7], v[18:19], a[16:19]
	s_waitcnt lgkmcnt(0)
	v_mfma_f32_16x16x16_bf16 a[12:15], v[6:7], v[2:3], a[20:23]
	v_mov_b32_e32 v2, 0
	v_mov_b32_e32 v3, 0
	v_mfma_f32_16x16x16_bf16 a[0:3], v[6:7], v[10:11], a[24:27]
	v_mov_b32_e32 v6, 0
	v_mov_b32_e32 v7, 0
	;; [unrolled: 1-line block ×4, first 2 shown]
	s_cbranch_vccnz .LBB184_12
; %bb.11:                               ;   in Loop: Header=BB184_6 Depth=1
	s_and_b32 s21, s21, 0xffff
	buffer_load_dwordx4 v[14:17], v82, s[20:23], 0 offen
	buffer_load_dwordx4 v[10:13], v82, s[20:23], s53 offen
	;; [unrolled: 1-line block ×4, first 2 shown]
	v_mov_b32_e32 v132, v84
	v_mov_b32_e32 v131, v85
.LBB184_12:                             ;   in Loop: Header=BB184_6 Depth=1
	ds_read_b64 v[134:135], v102 offset:57344
	ds_read2_b64 v[18:21], v110 offset1:16
	ds_read_b64 v[136:137], v104 offset:57344
	ds_read_b64 v[138:139], v108 offset:57344
	;; [unrolled: 1-line block ×3, first 2 shown]
	v_add_u32_e32 v142, s50, v126
	s_waitcnt lgkmcnt(3)
	v_mfma_f32_16x16x16_bf16 a[4:7], v[134:135], v[18:19], a[4:7]
	v_mfma_f32_16x16x16_bf16 a[8:11], v[134:135], v[20:21], a[8:11]
	ds_read2_b64 v[18:21], v110 offset0:32 offset1:48
	ds_read2st64_b64 v[22:25], v110 offset0:4 offset1:8
	ds_read2st64_b64 v[26:29], v111 offset0:4 offset1:8
	;; [unrolled: 1-line block ×3, first 2 shown]
	s_waitcnt lgkmcnt(3)
	v_mfma_f32_16x16x16_bf16 a[12:15], v[134:135], v[18:19], a[12:15]
	v_ashrrev_i32_e32 v18, 31, v142
	v_mfma_f32_16x16x16_bf16 a[0:3], v[134:135], v[20:21], a[0:3]
	v_mul_lo_u32 v20, v18, s28
	v_mul_lo_u32 v21, v142, s29
	v_mad_u64_u32 v[18:19], s[20:21], v142, s28, 0
	v_add3_u32 v19, v19, v21, v20
	v_add_u32_e32 v20, 1, v142
	v_ashrrev_i32_e32 v21, 31, v20
	s_waitcnt lgkmcnt(2)
	v_mfma_f32_16x16x16_bf16 a[4:7], v[136:137], v[22:23], a[4:7]
	v_mul_lo_u32 v22, v21, s28
	v_mul_lo_u32 v23, v20, s29
	v_mad_u64_u32 v[20:21], s[20:21], v20, s28, 0
	v_add3_u32 v21, v21, v23, v22
	v_add_u32_e32 v22, 2, v142
	v_ashrrev_i32_e32 v23, 31, v22
	s_waitcnt lgkmcnt(1)
	v_mfma_f32_16x16x16_bf16 a[8:11], v[136:137], v[26:27], a[8:11]
	v_mul_lo_u32 v26, v23, s28
	v_mul_lo_u32 v27, v22, s29
	v_mad_u64_u32 v[22:23], s[20:21], v22, s28, 0
	v_add3_u32 v23, v23, v27, v26
	v_add_u32_e32 v26, 3, v142
	v_ashrrev_i32_e32 v27, 31, v26
	v_mul_lo_u32 v134, v27, s28
	v_mul_lo_u32 v135, v26, s29
	v_mad_u64_u32 v[26:27], s[20:21], v26, s28, 0
	s_ashr_i32 s21, s50, 31
	s_add_u32 s20, s47, s50
	s_addc_u32 s21, s46, s21
	v_lshl_add_u64 v[18:19], v[18:19], 2, s[2:3]
	v_add3_u32 v27, v27, v135, v134
	s_lshl_b64 s[20:21], s[20:21], 8
	v_lshl_add_u64 v[20:21], v[20:21], 2, s[2:3]
	v_lshl_add_u64 v[22:23], v[22:23], 2, s[2:3]
	;; [unrolled: 1-line block ×3, first 2 shown]
	global_load_dword v134, v[18:19], off
	global_load_dword v135, v[20:21], off
	;; [unrolled: 1-line block ×4, first 2 shown]
	v_lshl_add_u64 v[18:19], v[68:69], 0, s[20:21]
	v_lshl_add_u64 v[22:23], v[18:19], 0, v[66:67]
	global_load_ushort v144, v[22:23], off offset:256
	global_load_ushort v145, v[22:23], off
	ds_read2st64_b64 v[18:21], v113 offset0:4 offset1:8
	global_load_ushort v146, v[22:23], off offset:768
	global_load_ushort v147, v[22:23], off offset:512
	s_waitcnt lgkmcnt(1)
	v_mfma_f32_16x16x16_bf16 a[12:15], v[136:137], v[30:31], a[12:15]
	s_and_b64 vcc, exec, s[0:1]
	s_waitcnt vmcnt(3)
	v_lshlrev_b32_e32 v31, 16, v144
	s_waitcnt lgkmcnt(0)
	v_mfma_f32_16x16x16_bf16 a[0:3], v[136:137], v[18:19], a[0:3]
	global_load_ushort v136, v[22:23], off offset:288
	global_load_ushort v137, v[22:23], off offset:32
	;; [unrolled: 1-line block ×8, first 2 shown]
	v_mfma_f32_16x16x16_bf16 a[4:7], v[138:139], v[24:25], a[4:7]
	ds_read_b64 v[18:19], v110 offset:6144
	s_waitcnt vmcnt(10)
	v_lshlrev_b32_e32 v30, 16, v145
	v_mfma_f32_16x16x16_bf16 a[8:11], v[138:139], v[28:29], a[8:11]
	v_mfma_f32_16x16x16_bf16 a[12:15], v[138:139], v[32:33], a[12:15]
	;; [unrolled: 1-line block ×3, first 2 shown]
	global_load_ushort v138, v[22:23], off offset:352
	global_load_ushort v139, v[22:23], off offset:96
	ds_read_b64 v[20:21], v111 offset:6144
	ds_read_b64 v[24:25], v112 offset:6144
	;; [unrolled: 1-line block ×3, first 2 shown]
	global_load_ushort v154, v[22:23], off offset:864
	global_load_ushort v155, v[22:23], off offset:608
	s_load_dword s20, s[38:39], 0x0
	s_waitcnt lgkmcnt(0)
	v_mfma_f32_16x16x16_bf16 a[4:7], v[140:141], v[18:19], a[4:7]
	v_sub_f32_e32 v28, s20, v142
	v_mfma_f32_16x16x16_bf16 a[0:3], v[140:141], v[26:27], a[0:3]
	v_sub_f32_e32 v26, s20, v134
	v_sub_f32_e32 v27, s20, v135
	;; [unrolled: 1-line block ×3, first 2 shown]
	v_mfma_f32_16x16x16_bf16 a[8:11], v[140:141], v[20:21], a[8:11]
	v_exp_f32_e32 v26, v26
	v_exp_f32_e32 v27, v27
	;; [unrolled: 1-line block ×4, first 2 shown]
	v_accvgpr_read_b32 v33, a5
	v_accvgpr_read_b32 v32, a4
	;; [unrolled: 1-line block ×4, first 2 shown]
	v_pk_add_f32 v[30:31], v[30:31], v[32:33] neg_lo:[0,1] neg_hi:[0,1]
	s_waitcnt vmcnt(13)
	v_lshlrev_b32_e32 v33, 16, v146
	s_waitcnt vmcnt(12)
	v_lshlrev_b32_e32 v32, 16, v147
	v_pk_add_f32 v[18:19], v[32:33], v[18:19] neg_lo:[0,1] neg_hi:[0,1]
	v_pk_mul_f32 v[30:31], v[26:27], v[30:31]
	v_pk_mul_f32 v[18:19], v[28:29], v[18:19]
	v_accvgpr_read_b32 v33, a9
	v_perm_b32 v19, v19, v18, s17
	v_perm_b32 v18, v31, v30, s17
	v_accvgpr_read_b32 v32, a8
	v_accvgpr_read_b32 v21, a11
	v_mfma_f32_16x16x16_bf16 a[12:15], v[140:141], v[24:25], a[12:15]
	v_accvgpr_read_b32 v20, a10
	v_accvgpr_read_b32 v25, a3
	v_accvgpr_read_b32 v24, a2
	v_mov_b32_e32 v134, 0
	s_waitcnt vmcnt(11)
	v_lshlrev_b32_e32 v31, 16, v136
	s_waitcnt vmcnt(10)
	v_lshlrev_b32_e32 v30, 16, v137
	v_pk_add_f32 v[30:31], v[30:31], v[32:33] neg_lo:[0,1] neg_hi:[0,1]
	s_waitcnt vmcnt(9)
	v_lshlrev_b32_e32 v33, 16, v148
	s_waitcnt vmcnt(8)
	v_lshlrev_b32_e32 v32, 16, v149
	v_pk_add_f32 v[20:21], v[32:33], v[20:21] neg_lo:[0,1] neg_hi:[0,1]
	v_pk_mul_f32 v[30:31], v[26:27], v[30:31]
	v_pk_mul_f32 v[20:21], v[28:29], v[20:21]
	v_accvgpr_read_b32 v23, a15
	v_perm_b32 v21, v21, v20, s17
	v_perm_b32 v20, v31, v30, s17
	ds_write2_b64 v87, v[18:19], v[20:21] offset1:16
	v_accvgpr_read_b32 v21, a13
	s_waitcnt vmcnt(7)
	v_lshlrev_b32_e32 v19, 16, v150
	s_waitcnt vmcnt(6)
	v_lshlrev_b32_e32 v18, 16, v151
	v_accvgpr_read_b32 v20, a12
	v_accvgpr_read_b32 v22, a14
	v_pk_add_f32 v[18:19], v[18:19], v[20:21] neg_lo:[0,1] neg_hi:[0,1]
	s_waitcnt vmcnt(5)
	v_lshlrev_b32_e32 v21, 16, v152
	s_waitcnt vmcnt(4)
	v_lshlrev_b32_e32 v20, 16, v153
	v_pk_add_f32 v[20:21], v[20:21], v[22:23] neg_lo:[0,1] neg_hi:[0,1]
	v_pk_mul_f32 v[18:19], v[26:27], v[18:19]
	v_pk_mul_f32 v[20:21], v[28:29], v[20:21]
	v_accvgpr_read_b32 v23, a1
	v_perm_b32 v21, v21, v20, s17
	v_perm_b32 v20, v19, v18, s17
	s_waitcnt vmcnt(3)
	v_lshlrev_b32_e32 v19, 16, v138
	s_waitcnt vmcnt(2)
	v_lshlrev_b32_e32 v18, 16, v139
	v_accvgpr_read_b32 v22, a0
	v_pk_add_f32 v[18:19], v[18:19], v[22:23] neg_lo:[0,1] neg_hi:[0,1]
	s_waitcnt vmcnt(1)
	v_lshlrev_b32_e32 v23, 16, v154
	s_waitcnt vmcnt(0)
	v_lshlrev_b32_e32 v22, 16, v155
	v_pk_add_f32 v[22:23], v[22:23], v[24:25] neg_lo:[0,1] neg_hi:[0,1]
	v_pk_mul_f32 v[18:19], v[26:27], v[18:19]
	v_pk_mul_f32 v[22:23], v[28:29], v[22:23]
	v_mov_b32_e32 v24, 0
	v_perm_b32 v23, v23, v22, s17
	v_perm_b32 v22, v19, v18, s17
	ds_write2_b64 v87, v[20:21], v[22:23] offset0:32 offset1:48
	v_mov_b32_e32 v18, 0
	v_mov_b32_e32 v19, 0
	;; [unrolled: 1-line block ×15, first 2 shown]
	s_cbranch_vccnz .LBB184_14
; %bb.13:                               ;   in Loop: Header=BB184_6 Depth=1
	s_and_b32 s25, s25, 0xffff
	s_mov_b32 s27, s23
	buffer_load_dwordx4 v[30:33], v124, s[24:27], 0 offen
	buffer_load_dwordx4 v[22:25], v124, s[24:27], s53 offen
	;; [unrolled: 1-line block ×4, first 2 shown]
	v_mov_b32_e32 v133, v81
	v_mov_b32_e32 v134, v80
.LBB184_14:                             ;   in Loop: Header=BB184_6 Depth=1
	s_waitcnt lgkmcnt(0)
	s_barrier
	ds_read_b64 v[144:145], v127
	ds_read2_b64 v[136:139], v117 offset1:16
	ds_read_b64 v[160:161], v128
	ds_read_b64 v[162:163], v129
	;; [unrolled: 1-line block ×3, first 2 shown]
	ds_read2_b64 v[140:143], v117 offset0:32 offset1:48
	s_waitcnt lgkmcnt(4)
	v_mfma_f32_16x16x16_bf16 a[0:3], v[144:145], v[136:137], 0
	ds_read2st64_b64 v[148:151], v119 offset0:4 offset1:8
	ds_read2st64_b64 v[152:155], v120 offset0:4 offset1:8
	;; [unrolled: 1-line block ×3, first 2 shown]
	v_mfma_f32_16x16x16_bf16 a[4:7], v[144:145], v[138:139], 0
	s_add_i32 s21, s44, s56
	s_mul_hi_i32 s25, s21, s49
	s_mul_i32 s21, s21, s49
	s_waitcnt lgkmcnt(3)
	v_mfma_f32_16x16x16_bf16 a[8:11], v[144:145], v[140:141], 0
	s_add_u32 s24, s21, s33
	s_addc_u32 s25, s25, s51
	s_lshl_b64 s[24:25], s[24:25], 15
	v_mfma_f32_16x16x16_bf16 a[12:15], v[144:145], v[142:143], 0
	ds_read2st64_b64 v[144:147], v117 offset0:4 offset1:8
	s_waitcnt lgkmcnt(0)
	v_mfma_f32_16x16x16_bf16 a[0:3], v[160:161], v[144:145], a[0:3]
	v_mfma_f32_16x16x16_bf16 a[4:7], v[160:161], v[148:149], a[4:7]
	;; [unrolled: 1-line block ×8, first 2 shown]
	ds_read_b64 v[160:161], v117 offset:6144
	ds_read_b64 v[162:163], v118 offset:40960
	;; [unrolled: 1-line block ×8, first 2 shown]
	s_waitcnt lgkmcnt(5)
	v_mfma_f32_16x16x16_bf16 a[16:19], v[166:167], v[136:137], 0
	v_mfma_f32_16x16x16_bf16 a[20:23], v[166:167], v[138:139], 0
	ds_read2st64_b64 v[136:139], v114 offset1:8
	v_mfma_f32_16x16x16_bf16 a[24:27], v[166:167], v[140:141], 0
	v_mfma_f32_16x16x16_bf16 a[28:31], v[166:167], v[142:143], 0
	ds_read2st64_b64 v[140:143], v115 offset1:8
	v_mfma_f32_16x16x16_bf16 a[16:19], v[162:163], v[144:145], a[16:19]
	s_waitcnt lgkmcnt(1)
	v_mov_b32_e32 v144, v136
	v_mov_b32_e32 v145, v137
	v_mfma_f32_16x16x16_bf16 a[20:23], v[162:163], v[148:149], a[20:23]
	v_lshl_add_u64 v[148:149], v[70:71], 0, s[24:25]
	v_mfma_f32_16x16x16_bf16 a[24:27], v[162:163], v[152:153], a[24:27]
	v_mfma_f32_16x16x16_bf16 a[28:31], v[162:163], v[156:157], a[28:31]
	;; [unrolled: 1-line block ×3, first 2 shown]
	s_waitcnt lgkmcnt(0)
	v_mov_b32_e32 v146, v140
	v_mov_b32_e32 v147, v141
	;; [unrolled: 1-line block ×3, first 2 shown]
	v_mfma_f32_16x16x16_bf16 a[32:35], v[174:175], v[150:151], a[20:23]
	v_mov_b32_e32 v141, v139
	ds_read2st64_b64 v[136:139], v114 offset0:16 offset1:24
	global_store_dwordx4 v[148:149], v[144:147], off
	v_mfma_f32_16x16x16_bf16 a[24:27], v[174:175], v[154:155], a[24:27]
	ds_read2st64_b64 v[144:147], v115 offset0:16 offset1:24
	v_add_co_u32_e32 v150, vcc, s31, v148
	v_mfma_f32_16x16x16_bf16 a[28:31], v[174:175], v[158:159], a[28:31]
	s_nop 0
	v_addc_co_u32_e32 v151, vcc, 0, v149, vcc
	global_store_dwordx4 v[150:151], v[140:143], off offset:-4096
	v_mfma_f32_16x16x16_bf16 a[0:3], v[164:165], v[160:161], a[0:3]
	s_waitcnt lgkmcnt(1)
	v_mov_b32_e32 v140, v136
	v_add_co_u32_e32 v136, vcc, s57, v148
	v_mfma_f32_16x16x16_bf16 a[4:7], v[164:165], v[168:169], a[4:7]
	v_mov_b32_e32 v141, v137
	v_addc_co_u32_e32 v137, vcc, 0, v149, vcc
	v_mfma_f32_16x16x16_bf16 a[8:11], v[164:165], v[170:171], a[8:11]
	s_waitcnt lgkmcnt(0)
	v_mov_b32_e32 v142, v144
	v_mov_b32_e32 v143, v145
	;; [unrolled: 1-line block ×3, first 2 shown]
	v_mfma_f32_16x16x16_bf16 a[12:15], v[164:165], v[172:173], a[12:15]
	v_mov_b32_e32 v145, v139
	s_and_b64 vcc, exec, s[0:1]
	global_store_dwordx4 v[150:151], v[140:143], off
	v_mfma_f32_16x16x16_bf16 a[20:23], v[176:177], v[160:161], a[16:19]
	global_store_dwordx4 v[136:137], v[144:147], off
	v_mfma_f32_16x16x16_bf16 a[16:19], v[176:177], v[168:169], a[32:35]
	v_mfma_f32_16x16x16_bf16 a[24:27], v[176:177], v[170:171], a[24:27]
	;; [unrolled: 1-line block ×3, first 2 shown]
	s_cbranch_vccnz .LBB184_16
; %bb.15:                               ;   in Loop: Header=BB184_6 Depth=1
	v_lshrrev_b32_e32 v135, 3, v133
	v_and_b32_e32 v135, 6, v135
	v_xor_b32_e32 v134, v135, v134
	v_lshlrev_b32_e32 v134, 2, v134
	v_and_b32_e32 v133, 8, v133
	v_xor_b32_e32 v136, 0x440, v134
	v_cmp_eq_u32_e32 vcc, 0, v133
	s_barrier
	s_nop 0
	v_cndmask_b32_e32 v133, v136, v134, vcc
	v_lshl_or_b32 v133, v135, 10, v133
	s_waitcnt vmcnt(5)
	v_perm_b32 v134, v30, v26, s54
	s_waitcnt vmcnt(4)
	v_perm_b32 v135, v22, v18, s54
	ds_write2st64_b32 v133, v134, v135 offset0:128 offset1:160
	v_xor_b32_e32 v134, 8, v133
	v_perm_b32 v26, v30, v26, s55
	v_perm_b32 v18, v22, v18, s55
	v_add_u32_e32 v22, 0x80, v134
	ds_write2st64_b32 v22, v26, v18 offset0:128 offset1:160
	v_xor_b32_e32 v18, 16, v133
	v_perm_b32 v22, v31, v27, s54
	v_perm_b32 v26, v23, v19, s54
	ds_write2st64_b32 v18, v22, v26 offset0:129 offset1:161
	v_xor_b32_e32 v18, 24, v133
	v_perm_b32 v22, v31, v27, s55
	v_perm_b32 v19, v23, v19, s55
	v_add_u32_e32 v18, 0x80, v18
	ds_write2st64_b32 v18, v22, v19 offset0:129 offset1:161
	v_xor_b32_e32 v18, 32, v133
	v_perm_b32 v19, v32, v28, s54
	;; [unrolled: 9-line block ×3, first 2 shown]
	v_perm_b32 v20, v25, v21, s54
	ds_write2st64_b32 v18, v19, v20 offset0:131 offset1:163
	v_xor_b32_e32 v18, 56, v133
	v_perm_b32 v19, v33, v29, s55
	v_perm_b32 v20, v25, v21, s55
	v_add_u32_e32 v18, 0x80, v18
	ds_write2st64_b32 v18, v19, v20 offset0:131 offset1:163
	ds_write_b64 v132, v[14:15] offset:49152
	v_xor_b32_e32 v14, 8, v132
	ds_write_b64 v14, v[16:17] offset:49152
	ds_write_b64 v132, v[10:11] offset:57344
	;; [unrolled: 1-line block ×4, first 2 shown]
	v_xor_b32_e32 v6, 8, v131
	ds_write_b64 v6, v[8:9] offset:49152
	ds_write_b64 v131, v[2:3] offset:57344
	ds_write_b64 v6, v[4:5] offset:57344
.LBB184_16:                             ;   in Loop: Header=BB184_6 Depth=1
	v_exp_f32_e32 v132, s20
	v_accvgpr_read_b32 v5, a3
	v_accvgpr_read_b32 v9, a7
	;; [unrolled: 1-line block ×4, first 2 shown]
	s_waitcnt vmcnt(4)
	v_accvgpr_read_b32 v18, a20
	v_accvgpr_read_b32 v25, a19
	;; [unrolled: 1-line block ×28, first 2 shown]
	s_add_i32 s50, s50, 64
	v_pk_fma_f32 v[62:63], v[132:133], v[62:63], v[2:3] op_sel_hi:[0,1,1]
	v_pk_fma_f32 v[64:65], v[132:133], v[64:65], v[4:5] op_sel_hi:[0,1,1]
	;; [unrolled: 1-line block ×15, first 2 shown]
	s_cmp_eq_u32 s43, s58
	v_pk_fma_f32 v[38:39], v[132:133], v[38:39], v[32:33] op_sel_hi:[0,1,1]
	s_cbranch_scc1 .LBB184_18
; %bb.17:                               ;   in Loop: Header=BB184_6 Depth=1
	s_mov_b32 s56, s58
	s_branch .LBB184_6
.LBB184_18:
	s_lshl_b32 s0, s43, 6
	s_sub_i32 s45, s45, s0
	s_cmp_gt_i32 s45, 0
	s_cbranch_scc0 .LBB184_99
; %bb.19:
	s_add_i32 s34, s0, s34
	s_ashr_i32 s2, s34, 31
	s_cmpk_lg_i32 s15, 0x80
	s_cselect_b64 s[26:27], -1, 0
	s_and_b64 vcc, exec, s[26:27]
	s_cbranch_vccz .LBB184_21
; %bb.20:
	s_mul_i32 s1, s34, s14
	s_ashr_i32 s3, s48, 31
	s_mul_hi_i32 s0, s34, s14
	s_add_u32 s38, s1, s48
	s_addc_u32 s39, s0, s3
	s_cbranch_execz .LBB184_22
	s_branch .LBB184_23
.LBB184_21:
                                        ; implicit-def: $sgpr38_sgpr39
.LBB184_22:
	s_mul_i32 s1, s48, s12
	s_mul_hi_i32 s0, s48, s12
	s_add_u32 s38, s1, s34
	s_addc_u32 s39, s0, s2
.LBB184_23:
	s_add_i32 s3, s43, s44
	s_ashr_i32 s12, s33, 31
	s_add_u32 s0, s47, s34
	v_lshlrev_b32_e32 v6, 6, v78
	v_lshlrev_b32_e32 v24, 2, v72
	s_addc_u32 s1, s46, s2
	s_mov_b32 s2, 0x7060302
	v_or_b32_e32 v9, v6, v24
	v_xor_b32_e32 v7, v78, v24
	v_perm_b32 v3, v65, v64, s2
	v_perm_b32 v2, v63, v62, s2
	;; [unrolled: 1-line block ×4, first 2 shown]
	v_lshlrev_b32_e32 v9, 1, v9
	v_xor_b32_e32 v8, v79, v24
	ds_write2st64_b64 v9, v[2:3], v[4:5] offset0:32 offset1:48
	v_lshlrev_b32_e32 v7, 1, v7
	v_lshlrev_b32_e32 v9, 8, v72
	v_or_b32_e32 v10, v7, v9
	v_lshlrev_b32_e32 v8, 1, v8
	ds_write_b64 v10, v[2:3]
	v_or_b32_e32 v2, v8, v9
	v_or_b32_e32 v9, 16, v72
	v_lshlrev_b32_e32 v23, 2, v9
	v_or_b32_e32 v10, v6, v23
	ds_write_b64 v2, v[4:5]
	v_perm_b32 v3, v57, v56, s2
	v_perm_b32 v2, v55, v54, s2
	;; [unrolled: 1-line block ×4, first 2 shown]
	v_lshlrev_b32_e32 v10, 1, v10
	v_lshlrev_b32_e32 v9, 8, v9
	ds_write2st64_b64 v10, v[2:3], v[4:5] offset0:32 offset1:48
	v_or_b32_e32 v10, v7, v9
	ds_write_b64 v10, v[2:3]
	v_or_b32_e32 v2, v8, v9
	v_or_b32_e32 v9, 32, v72
	v_lshlrev_b32_e32 v22, 2, v9
	v_or_b32_e32 v10, v6, v22
	s_lshl_b64 s[24:25], s[0:1], 8
	ds_write_b64 v2, v[4:5]
	v_perm_b32 v3, v49, v48, s2
	v_perm_b32 v2, v47, v46, s2
	;; [unrolled: 1-line block ×4, first 2 shown]
	v_lshlrev_b32_e32 v10, 1, v10
	v_lshlrev_b32_e32 v9, 8, v9
	s_add_u32 s0, s6, s24
	ds_write2st64_b64 v10, v[2:3], v[4:5] offset0:32 offset1:48
	v_or_b32_e32 v10, v7, v9
	s_addc_u32 s1, s7, s25
	ds_write_b64 v10, v[2:3]
	v_or_b32_e32 v2, v8, v9
	v_or_b32_e32 v9, 48, v72
	s_mul_hi_i32 s6, s3, s13
	s_mul_i32 s3, s3, s13
	ds_write_b64 v2, v[4:5]
	v_perm_b32 v3, v35, v34, s2
	v_perm_b32 v2, v41, v40, s2
	;; [unrolled: 1-line block ×4, first 2 shown]
	v_lshlrev_b32_e32 v19, 2, v9
	s_add_u32 s2, s3, s33
	v_or_b32_e32 v6, v6, v19
	s_addc_u32 s3, s6, s12
	v_lshlrev_b32_e32 v6, 1, v6
	s_ashr_i32 s31, s30, 31
	s_lshl_b64 s[2:3], s[2:3], 15
	ds_write2st64_b64 v6, v[2:3], v[4:5] offset0:32 offset1:48
	v_lshlrev_b32_e32 v6, 8, v9
	s_add_u32 s6, s36, s2
	v_or_b32_e32 v7, v7, v6
	s_addc_u32 s7, s37, s3
	s_lshl_b64 s[2:3], s[30:31], 8
	ds_write_b64 v7, v[2:3]
	v_or_b32_e32 v2, v8, v6
	s_add_u32 s2, s6, s2
	v_lshlrev_b32_e32 v3, 1, v72
	ds_write_b64 v2, v[4:5]
	v_lshrrev_b32_e32 v2, 4, v0
	s_addc_u32 s3, s7, s3
	v_or_b32_e32 v4, 1, v3
	v_lshlrev_b32_e32 v10, 4, v72
	v_mov_b32_e32 v11, 0
	v_xor_b32_e32 v3, v2, v3
	v_xor_b32_e32 v6, v4, v2
	v_lshl_add_u64 v[12:13], s[2:3], 0, v[10:11]
	v_lshlrev_b32_e32 v10, 8, v2
	v_lshl_or_b32 v16, v3, 3, v10
	v_lshl_or_b32 v17, v6, 3, v10
	s_waitcnt lgkmcnt(0)
	s_barrier
	ds_read2st64_b64 v[2:5], v16 offset1:8
	ds_read2st64_b64 v[6:9], v17 offset1:8
	v_lshl_add_u64 v[14:15], v[12:13], 0, v[10:11]
	s_movk_i32 s2, 0x2000
	s_cmp_lg_u32 s45, 64
	s_waitcnt lgkmcnt(1)
	v_mov_b32_e32 v10, v2
	v_mov_b32_e32 v11, v3
	s_waitcnt lgkmcnt(0)
	v_mov_b32_e32 v12, v6
	v_mov_b32_e32 v13, v7
	global_store_dwordx4 v[14:15], v[10:13], off
	v_mov_b32_e32 v6, v4
	v_mov_b32_e32 v7, v5
	ds_read2st64_b64 v[2:5], v16 offset0:16 offset1:24
	ds_read2st64_b64 v[10:13], v17 offset0:16 offset1:24
	v_add_co_u32_e32 v16, vcc, s2, v14
	s_cselect_b64 s[6:7], -1, 0
	s_nop 0
	v_addc_co_u32_e32 v17, vcc, 0, v15, vcc
	global_store_dwordx4 v[16:17], v[6:9], off offset:-4096
	v_lshl_or_b32 v25, v74, 3, v77
	s_mov_b32 s20, 0
	s_waitcnt lgkmcnt(1)
	v_mov_b32_e32 v6, v2
	v_add_co_u32_e32 v2, vcc, 0x3000, v14
	v_mov_b32_e32 v7, v3
	s_nop 0
	v_addc_co_u32_e32 v3, vcc, 0, v15, vcc
	s_waitcnt lgkmcnt(0)
	v_mov_b32_e32 v8, v10
	v_mov_b32_e32 v9, v11
	;; [unrolled: 1-line block ×4, first 2 shown]
	v_or_b32_e32 v20, 32, v25
	v_and_b32_e32 v18, 56, v76
	s_and_b64 vcc, exec, s[6:7]
	global_store_dwordx4 v[16:17], v[6:9], off
	global_store_dwordx4 v[2:3], v[10:13], off
	s_cbranch_vccz .LBB184_29
; %bb.24:
	s_mov_b32 s21, s20
	s_mov_b32 s22, s20
	;; [unrolled: 1-line block ×3, first 2 shown]
	v_mov_b64_e32 v[6:7], s[20:21]
	v_mov_b64_e32 v[8:9], s[22:23]
	;; [unrolled: 1-line block ×3, first 2 shown]
	v_cmp_gt_i32_e32 vcc, s45, v25
	v_mov_b64_e32 v[4:5], v[8:9]
	s_and_saveexec_b64 s[2:3], vcc
	s_cbranch_execz .LBB184_26
; %bb.25:
	v_lshlrev_b32_e32 v2, 8, v25
	v_mov_b32_e32 v3, 0
	v_lshl_add_u64 v[4:5], s[0:1], 0, v[2:3]
	v_lshlrev_b32_e32 v2, 1, v18
	v_lshl_add_u64 v[10:11], v[4:5], 0, v[2:3]
	global_load_dwordx4 v[6:9], v[10:11], off
	global_load_dwordx4 v[2:5], v[10:11], off offset:128
.LBB184_26:
	s_or_b64 exec, exec, s[2:3]
	s_mov_b32 s21, s20
	s_mov_b32 s22, s20
	;; [unrolled: 1-line block ×3, first 2 shown]
	v_mov_b64_e32 v[14:15], s[20:21]
	v_mov_b64_e32 v[16:17], s[22:23]
	;; [unrolled: 1-line block ×3, first 2 shown]
	v_cmp_gt_i32_e32 vcc, s45, v20
	v_lshlrev_b32_e32 v21, 7, v20
	v_mov_b64_e32 v[12:13], v[16:17]
	s_and_saveexec_b64 s[2:3], vcc
	s_cbranch_execz .LBB184_28
; %bb.27:
	v_lshlrev_b32_e32 v10, 1, v21
	v_mov_b32_e32 v11, 0
	v_lshl_add_u64 v[12:13], s[0:1], 0, v[10:11]
	v_lshlrev_b32_e32 v10, 1, v18
	v_lshl_add_u64 v[26:27], v[12:13], 0, v[10:11]
	global_load_dwordx4 v[14:17], v[26:27], off
	global_load_dwordx4 v[10:13], v[26:27], off offset:128
.LBB184_28:
	s_or_b64 exec, exec, s[2:3]
	v_lshrrev_b32_e32 v26, 3, v18
	v_lshlrev_b32_e32 v27, 3, v25
	v_or_b32_e32 v26, v27, v26
	v_lshlrev_b32_e32 v26, 4, v26
	v_and_b32_e32 v27, 0x78, v27
	v_xor_b32_e32 v26, v26, v27
	s_branch .LBB184_31
.LBB184_29:
                                        ; implicit-def: $vgpr26
                                        ; implicit-def: $vgpr21
                                        ; implicit-def: $vgpr6_vgpr7_vgpr8_vgpr9
                                        ; implicit-def: $vgpr2_vgpr3_vgpr4_vgpr5
                                        ; implicit-def: $vgpr14_vgpr15_vgpr16_vgpr17
                                        ; implicit-def: $vgpr10_vgpr11_vgpr12_vgpr13
	s_cbranch_execz .LBB184_31
; %bb.30:
	s_waitcnt vmcnt(0)
	v_lshlrev_b32_e32 v2, 1, v18
	v_lshl_or_b32 v21, v25, 8, v2
	s_and_b32 s1, s1, 0xffff
	s_mov_b32 s3, 0x20000
	s_movk_i32 s2, 0x4000
	v_lshl_or_b32 v26, v20, 8, v2
	s_movk_i32 s13, 0x80
	buffer_load_dwordx4 v[6:9], v21, s[0:3], 0 offen
	buffer_load_dwordx4 v[2:5], v21, s[0:3], s13 offen
	;; [unrolled: 1-line block ×4, first 2 shown]
	v_lshrrev_b32_e32 v21, 3, v18
	v_lshlrev_b32_e32 v26, 3, v25
	v_or_b32_e32 v21, v26, v21
	v_lshlrev_b32_e32 v21, 4, v21
	v_and_b32_e32 v26, 0x78, v26
	v_xor_b32_e32 v26, v21, v26
	v_lshlrev_b32_e32 v21, 7, v20
.LBB184_31:
	s_movk_i32 s0, 0x1000
	v_and_or_b32 v20, v21, s0, v26
	s_waitcnt vmcnt(1)
	ds_write_b64 v26, v[6:7] offset:49152
	v_xor_b32_e32 v6, 8, v26
	ds_write_b64 v6, v[8:9] offset:49152
	s_waitcnt vmcnt(0)
	ds_write_b64 v26, v[2:3] offset:57344
	ds_write_b64 v6, v[4:5] offset:57344
	;; [unrolled: 1-line block ×3, first 2 shown]
	v_xor_b32_e32 v2, 8, v20
	ds_write_b64 v2, v[16:17] offset:49152
	ds_write_b64 v20, v[10:11] offset:57344
	;; [unrolled: 1-line block ×3, first 2 shown]
	v_or_b32_e32 v2, v1, v72
	v_lshlrev_b32_e32 v3, 11, v74
	v_lshlrev_b32_e32 v2, 3, v2
	v_and_b32_e32 v6, 0x1000, v3
	v_lshrrev_b32_e32 v3, 5, v73
	s_movk_i32 s0, 0xf8
	v_and_or_b32 v3, v2, s0, v3
	v_lshlrev_b32_e32 v7, 4, v3
	v_and_b32_e32 v8, 0x78, v2
	v_or_b32_e32 v10, 32, v7
	v_lshrrev_b32_e32 v3, 1, v73
	v_xor_b32_e32 v10, v10, v8
	v_xor_b32_e32 v2, v7, v8
	v_and_b32_e32 v9, 8, v3
	v_or_b32_e32 v10, v10, v6
	v_or_b32_e32 v2, v2, v6
	v_xor_b32_e32 v28, v10, v9
	v_or_b32_e32 v10, 64, v7
	v_xor_b32_e32 v27, v2, v9
	v_xor_b32_e32 v10, v10, v8
	s_waitcnt lgkmcnt(0)
	s_barrier
	v_or_b32_e32 v13, v10, v6
	ds_read_b64 v[10:11], v27 offset:49152
	v_lshl_or_b32 v14, v75, 8, v24
	v_lshlrev_b32_e32 v26, 1, v14
	v_add_u32_e32 v12, 0x4000, v26
	ds_read2_b64 v[2:5], v12 offset1:16
	v_or_b32_e32 v7, 0x60, v7
	v_xor_b32_e32 v7, v7, v8
	v_or_b32_e32 v6, v7, v6
	v_xor_b32_e32 v29, v13, v9
	v_xor_b32_e32 v30, v6, v9
	ds_read_b64 v[20:21], v28 offset:49152
	ds_read_b64 v[34:35], v29 offset:49152
	;; [unrolled: 1-line block ×3, first 2 shown]
	s_waitcnt lgkmcnt(3)
	v_mfma_f32_16x16x16_bf16 a[0:3], v[10:11], v[2:3], 0
	ds_read2_b64 v[6:9], v12 offset0:32 offset1:48
	s_lshl_b64 s[0:1], s[38:39], 8
	s_add_u32 s4, s4, s0
	v_mfma_f32_16x16x16_bf16 a[4:7], v[10:11], v[4:5], 0
	ds_read2st64_b64 v[2:5], v26 offset0:36 offset1:40
	s_addc_u32 s5, s5, s1
	s_add_i32 s0, s41, s40
	s_waitcnt lgkmcnt(1)
	v_mfma_f32_16x16x16_bf16 a[8:11], v[10:11], v[6:7], 0
	v_or_b32_e32 v6, 64, v14
	v_lshlrev_b32_e32 v31, 1, v6
	s_add_i32 s2, s35, -1
	s_waitcnt lgkmcnt(0)
	v_mfma_f32_16x16x16_bf16 a[0:3], v[20:21], v[2:3], a[0:3]
	v_or_b32_e32 v2, 0x80, v14
	v_lshlrev_b32_e32 v32, 1, v2
	v_or_b32_e32 v2, 0xc0, v14
	v_mfma_f32_16x16x16_bf16 a[12:15], v[10:11], v[8:9], 0
	ds_read2st64_b64 v[6:9], v31 offset0:36 offset1:40
	v_lshlrev_b32_e32 v33, 1, v2
	ds_read2st64_b64 v[10:13], v32 offset0:36 offset1:40
	ds_read2st64_b64 v[14:17], v33 offset0:36 offset1:40
	s_add_i32 s17, s0, s42
	s_mul_i32 s0, s33, s19
	s_mul_hi_u32 s1, s33, s18
	s_add_i32 s0, s1, s0
	s_mul_i32 s1, s12, s18
	s_ashr_i32 s3, s2, 31
	s_mul_i32 s12, s2, s29
	s_mul_hi_u32 s13, s2, s28
	s_waitcnt lgkmcnt(2)
	v_mfma_f32_16x16x16_bf16 a[4:7], v[20:21], v[6:7], a[4:7]
	s_add_i32 s12, s13, s12
	s_mul_i32 s3, s3, s28
	s_add_i32 s1, s0, s1
	s_waitcnt lgkmcnt(1)
	v_mfma_f32_16x16x16_bf16 a[8:11], v[20:21], v[10:11], a[8:11]
	s_add_i32 s3, s12, s3
	s_lshl_b64 s[12:13], s[16:17], 2
	s_mul_i32 s0, s33, s18
	s_waitcnt lgkmcnt(0)
	v_mfma_f32_16x16x16_bf16 a[12:15], v[20:21], v[14:15], a[12:15]
	s_add_u32 s10, s10, s12
	s_addc_u32 s11, s11, s13
	s_lshl_b64 s[0:1], s[0:1], 2
	v_mfma_f32_16x16x16_bf16 a[0:3], v[34:35], v[4:5], a[0:3]
	s_mul_i32 s2, s2, s28
	ds_read_b64 v[2:3], v26 offset:22528
	s_add_u32 s10, s10, s0
	v_mfma_f32_16x16x16_bf16 a[4:7], v[34:35], v[8:9], a[4:7]
	ds_read_b64 v[4:5], v31 offset:22528
	ds_read_b64 v[6:7], v32 offset:22528
	;; [unrolled: 1-line block ×3, first 2 shown]
	s_addc_u32 s11, s11, s1
	s_lshl_b64 s[0:1], s[2:3], 2
	v_mfma_f32_16x16x16_bf16 a[8:11], v[34:35], v[12:13], a[8:11]
	s_add_u32 s0, s10, s0
	s_addc_u32 s1, s11, s1
	s_load_dword s12, s[0:1], 0x0
	v_mfma_f32_16x16x16_bf16 a[12:15], v[34:35], v[16:17], a[12:15]
	s_and_b64 vcc, exec, s[26:27]
	s_waitcnt lgkmcnt(0)
	v_mfma_f32_16x16x16_bf16 a[0:3], v[36:37], v[2:3], a[0:3]
	v_mfma_f32_16x16x16_bf16 a[4:7], v[36:37], v[4:5], a[4:7]
	;; [unrolled: 1-line block ×4, first 2 shown]
	s_cbranch_vccz .LBB184_42
; %bb.32:
	v_lshlrev_b32_e32 v20, 1, v25
	s_and_b64 vcc, exec, s[6:7]
	s_cbranch_vccz .LBB184_43
; %bb.33:
	v_cmp_gt_i32_e32 vcc, s45, v20
	v_mov_b32_e32 v6, 0
	v_mov_b32_e32 v2, 0
	;; [unrolled: 1-line block ×5, first 2 shown]
	s_and_saveexec_b64 s[0:1], vcc
	s_cbranch_execz .LBB184_35
; %bb.34:
	v_mad_i64_i32 v[2:3], s[2:3], s15, v20, 0
	v_lshl_add_u64 v[2:3], v[2:3], 1, s[4:5]
	v_lshlrev_b32_e32 v4, 1, v18
	v_mov_b32_e32 v5, 0
	v_lshl_add_u64 v[2:3], v[2:3], 0, v[4:5]
	global_load_dwordx4 v[2:5], v[2:3], off
.LBB184_35:
	s_or_b64 exec, exec, s[0:1]
	v_or_b32_e32 v21, 1, v20
	v_cmp_gt_i32_e64 s[0:1], s45, v21
	v_mov_b32_e32 v7, 0
	v_mov_b32_e32 v8, 0
	;; [unrolled: 1-line block ×3, first 2 shown]
	s_and_saveexec_b64 s[2:3], s[0:1]
	s_cbranch_execz .LBB184_37
; %bb.36:
	v_mad_i64_i32 v[6:7], s[16:17], s15, v21, 0
	v_lshl_add_u64 v[6:7], v[6:7], 1, s[4:5]
	v_lshlrev_b32_e32 v8, 1, v18
	v_mov_b32_e32 v9, 0
	v_lshl_add_u64 v[6:7], v[6:7], 0, v[8:9]
	global_load_dwordx4 v[6:9], v[6:7], off
.LBB184_37:
	s_or_b64 exec, exec, s[2:3]
	v_mov_b32_e32 v17, 0
	v_mov_b32_e32 v10, 0
	;; [unrolled: 1-line block ×5, first 2 shown]
	s_and_saveexec_b64 s[2:3], vcc
	s_cbranch_execz .LBB184_39
; %bb.38:
	v_mad_i64_i32 v[10:11], s[16:17], s15, v20, 0
	v_lshl_add_u64 v[10:11], v[10:11], 1, s[4:5]
	v_lshlrev_b32_e32 v12, 1, v18
	v_mov_b32_e32 v13, 0
	v_lshl_add_u64 v[10:11], v[10:11], 0, v[12:13]
	global_load_dwordx4 v[10:13], v[10:11], off offset:128
.LBB184_39:
	s_or_b64 exec, exec, s[2:3]
	v_mov_b32_e32 v16, 0
	v_mov_b32_e32 v15, 0
	;; [unrolled: 1-line block ×3, first 2 shown]
	s_and_saveexec_b64 s[2:3], s[0:1]
	s_cbranch_execz .LBB184_41
; %bb.40:
	v_mad_i64_i32 v[14:15], s[0:1], s15, v21, 0
	v_lshl_add_u64 v[14:15], v[14:15], 1, s[4:5]
	v_lshlrev_b32_e32 v16, 1, v18
	v_mov_b32_e32 v17, 0
	v_lshl_add_u64 v[14:15], v[14:15], 0, v[16:17]
	global_load_dwordx4 v[14:17], v[14:15], off offset:128
.LBB184_41:
	s_or_b64 exec, exec, s[2:3]
	s_branch .LBB184_45
.LBB184_42:
                                        ; implicit-def: $vgpr5
                                        ; implicit-def: $vgpr9
                                        ; implicit-def: $vgpr13
                                        ; implicit-def: $vgpr17
	v_lshrrev_b32_e32 v34, 2, v73
	s_branch .LBB184_46
.LBB184_43:
                                        ; implicit-def: $vgpr5
                                        ; implicit-def: $vgpr9
                                        ; implicit-def: $vgpr13
                                        ; implicit-def: $vgpr17
	s_cbranch_execz .LBB184_45
; %bb.44:
	s_waitcnt vmcnt(0)
	v_mad_u64_u32 v[2:3], s[0:1], v20, s15, v[18:19]
	v_lshlrev_b32_e32 v20, 1, v2
	s_lshl_b32 s2, s15, 7
	s_and_b32 s1, s5, 0xffff
	s_mov_b32 s3, 0x20000
	s_mov_b32 s0, s4
	v_add_lshl_u32 v21, v2, s15, 1
	s_movk_i32 s13, 0x80
	buffer_load_dwordx4 v[2:5], v20, s[0:3], 0 offen
	buffer_load_dwordx4 v[10:13], v20, s[0:3], s13 offen
	;; [unrolled: 1-line block ×4, first 2 shown]
.LBB184_45:
	v_lshrrev_b32_e32 v34, 2, v73
	s_cbranch_execnz .LBB184_58
.LBB184_46:
	s_and_b64 vcc, exec, s[6:7]
	s_cbranch_vccz .LBB184_56
; %bb.47:
	s_waitcnt vmcnt(0)
	v_lshlrev_b32_e32 v7, 1, v25
	v_cmp_gt_i32_e32 vcc, s45, v7
	v_mov_b32_e32 v6, 0
	v_lshlrev_b32_e32 v14, 9, v25
	v_mov_b32_e32 v2, 0
	v_mov_b32_e32 v3, 0
	;; [unrolled: 1-line block ×4, first 2 shown]
	s_and_saveexec_b64 s[0:1], vcc
	s_cbranch_execz .LBB184_49
; %bb.48:
	v_mov_b32_e32 v15, 0
	v_lshl_add_u64 v[2:3], s[4:5], 0, v[14:15]
	v_lshlrev_b32_e32 v4, 1, v18
	v_mov_b32_e32 v5, v15
	v_lshl_add_u64 v[2:3], v[2:3], 0, v[4:5]
	global_load_dwordx4 v[2:5], v[2:3], off
.LBB184_49:
	s_or_b64 exec, exec, s[0:1]
	v_or_b32_e32 v7, 1, v7
	v_cmp_gt_i32_e64 s[0:1], s45, v7
	v_lshlrev_b32_e32 v20, 8, v7
	v_mov_b32_e32 v7, 0
	v_mov_b32_e32 v8, 0
	;; [unrolled: 1-line block ×3, first 2 shown]
	s_and_saveexec_b64 s[2:3], s[0:1]
	s_cbranch_execz .LBB184_51
; %bb.50:
	v_mov_b32_e32 v21, 0
	v_lshl_add_u64 v[6:7], s[4:5], 0, v[20:21]
	v_lshlrev_b32_e32 v8, 1, v18
	v_mov_b32_e32 v9, v21
	v_lshl_add_u64 v[6:7], v[6:7], 0, v[8:9]
	global_load_dwordx4 v[6:9], v[6:7], off
.LBB184_51:
	s_or_b64 exec, exec, s[2:3]
	v_mov_b32_e32 v17, 0
	v_mov_b32_e32 v10, 0
	;; [unrolled: 1-line block ×5, first 2 shown]
	s_and_saveexec_b64 s[2:3], vcc
	s_cbranch_execz .LBB184_53
; %bb.52:
	v_mov_b32_e32 v15, 0
	v_lshl_add_u64 v[10:11], s[4:5], 0, v[14:15]
	v_lshlrev_b32_e32 v14, 1, v18
	v_lshl_add_u64 v[10:11], v[10:11], 0, v[14:15]
	global_load_dwordx4 v[10:13], v[10:11], off offset:128
.LBB184_53:
	s_or_b64 exec, exec, s[2:3]
	v_mov_b32_e32 v16, 0
	v_mov_b32_e32 v15, 0
	;; [unrolled: 1-line block ×3, first 2 shown]
	s_and_saveexec_b64 s[2:3], s[0:1]
	s_cbranch_execz .LBB184_55
; %bb.54:
	v_mov_b32_e32 v21, 0
	v_lshl_add_u64 v[14:15], s[4:5], 0, v[20:21]
	v_lshlrev_b32_e32 v20, 1, v18
	v_lshl_add_u64 v[14:15], v[14:15], 0, v[20:21]
	global_load_dwordx4 v[14:17], v[14:15], off offset:128
.LBB184_55:
	s_or_b64 exec, exec, s[2:3]
	s_branch .LBB184_58
.LBB184_56:
                                        ; implicit-def: $vgpr5
                                        ; implicit-def: $vgpr9
                                        ; implicit-def: $vgpr13
                                        ; implicit-def: $vgpr17
	s_cbranch_execz .LBB184_58
; %bb.57:
	s_waitcnt vmcnt(0)
	v_lshlrev_b32_e32 v2, 1, v18
	v_lshl_or_b32 v18, v25, 9, v2
	s_and_b32 s5, s5, 0xffff
	s_mov_b32 s7, 0x20000
	s_movk_i32 s6, 0x4000
	s_movk_i32 s0, 0x80
	buffer_load_dwordx4 v[2:5], v18, s[4:7], 0 offen
	buffer_load_dwordx4 v[6:9], v18, s[4:7], 0 offen offset:256
	buffer_load_dwordx4 v[10:13], v18, s[4:7], s0 offen
	buffer_load_dwordx4 v[14:17], v18, s[4:7], s0 offen offset:256
.LBB184_58:
	ds_read_b64 v[20:21], v27 offset:57344
	v_add_u32_e32 v18, 0x6000, v26
	ds_read2_b64 v[36:39], v18 offset1:16
	ds_read_b64 v[52:53], v28 offset:57344
	ds_read_b64 v[28:29], v29 offset:57344
	;; [unrolled: 1-line block ×3, first 2 shown]
	ds_read2st64_b64 v[40:43], v26 offset0:52 offset1:56
	s_mov_b32 s0, 0x1000504
	s_mov_b32 s1, 0x3020706
	s_waitcnt lgkmcnt(4)
	v_mfma_f32_16x16x16_bf16 a[0:3], v[20:21], v[36:37], a[0:3]
	v_mfma_f32_16x16x16_bf16 a[4:7], v[20:21], v[38:39], a[4:7]
	ds_read2_b64 v[36:39], v18 offset0:32 offset1:48
	v_and_b32_e32 v18, 6, v0
	v_xor_b32_e32 v25, v25, v18
	s_waitcnt lgkmcnt(0)
	v_mfma_f32_16x16x16_bf16 a[8:11], v[20:21], v[36:37], a[8:11]
	v_lshlrev_b32_e32 v25, 2, v25
	v_and_b32_e32 v0, 1, v0
	v_xor_b32_e32 v35, 0x440, v25
	v_mfma_f32_16x16x16_bf16 a[12:15], v[20:21], v[38:39], a[12:15]
	ds_read2st64_b64 v[36:39], v31 offset0:52 offset1:56
	ds_read2st64_b64 v[44:47], v32 offset0:52 offset1:56
	;; [unrolled: 1-line block ×3, first 2 shown]
	v_cmp_eq_u32_e32 vcc, 0, v0
	ds_read_b64 v[20:21], v26 offset:30720
	ds_read_b64 v[26:27], v31 offset:30720
	;; [unrolled: 1-line block ×4, first 2 shown]
	v_mfma_f32_16x16x16_bf16 a[0:3], v[52:53], v[40:41], a[0:3]
	v_cndmask_b32_e32 v0, v35, v25, vcc
	v_lshl_or_b32 v0, v18, 10, v0
	s_waitcnt vmcnt(0)
	v_perm_b32 v18, v2, v6, s0
	s_waitcnt lgkmcnt(6)
	v_mfma_f32_16x16x16_bf16 a[4:7], v[52:53], v[36:37], a[4:7]
	v_perm_b32 v25, v10, v14, s0
	ds_write2st64_b32 v0, v18, v25 offset0:128 offset1:160
	v_xor_b32_e32 v18, 8, v0
	s_waitcnt lgkmcnt(6)
	v_mfma_f32_16x16x16_bf16 a[8:11], v[52:53], v[44:45], a[8:11]
	v_perm_b32 v2, v2, v6, s1
	v_perm_b32 v6, v10, v14, s1
	v_add_u32_e32 v10, 0x80, v18
	s_waitcnt lgkmcnt(5)
	v_mfma_f32_16x16x16_bf16 a[12:15], v[52:53], v[48:49], a[12:15]
	ds_write2st64_b32 v10, v2, v6 offset0:128 offset1:160
	v_xor_b32_e32 v2, 16, v0
	v_perm_b32 v6, v3, v7, s0
	v_mfma_f32_16x16x16_bf16 a[0:3], v[28:29], v[42:43], a[0:3]
	v_perm_b32 v10, v11, v15, s0
	ds_write2st64_b32 v2, v6, v10 offset0:129 offset1:161
	v_xor_b32_e32 v2, 24, v0
	v_mfma_f32_16x16x16_bf16 a[4:7], v[28:29], v[38:39], a[4:7]
	v_perm_b32 v3, v3, v7, s1
	v_perm_b32 v6, v11, v15, s1
	v_add_u32_e32 v2, 0x80, v2
	v_mfma_f32_16x16x16_bf16 a[16:19], v[28:29], v[46:47], a[8:11]
	ds_write2st64_b32 v2, v3, v6 offset0:129 offset1:161
	v_xor_b32_e32 v2, 32, v0
	v_perm_b32 v3, v4, v8, s0
	v_mfma_f32_16x16x16_bf16 a[20:23], v[28:29], v[50:51], a[12:15]
	v_perm_b32 v6, v12, v16, s0
	ds_write2st64_b32 v2, v3, v6 offset0:130 offset1:162
	v_xor_b32_e32 v2, 40, v0
	s_waitcnt lgkmcnt(8)
	v_mfma_f32_16x16x16_bf16 a[12:15], v[54:55], v[20:21], a[0:3]
	v_perm_b32 v3, v4, v8, s1
	v_perm_b32 v4, v12, v16, s1
	v_add_u32_e32 v2, 0x80, v2
	s_waitcnt lgkmcnt(7)
	v_mfma_f32_16x16x16_bf16 a[8:11], v[54:55], v[26:27], a[4:7]
	ds_write2st64_b32 v2, v3, v4 offset0:130 offset1:162
	v_xor_b32_e32 v2, 48, v0
	v_perm_b32 v3, v5, v9, s0
	s_waitcnt lgkmcnt(7)
	v_mfma_f32_16x16x16_bf16 a[4:7], v[54:55], v[30:31], a[16:19]
	v_perm_b32 v4, v13, v17, s0
	v_xor_b32_e32 v0, 56, v0
	v_and_or_b32 v18, v34, 12, v1
	s_waitcnt lgkmcnt(6)
	v_mfma_f32_16x16x16_bf16 a[0:3], v[54:55], v[32:33], a[20:23]
	ds_write2st64_b32 v2, v3, v4 offset0:131 offset1:163
	v_perm_b32 v2, v5, v9, s1
	v_perm_b32 v3, v13, v17, s1
	v_add_u32_e32 v0, 0x80, v0
	v_cmp_gt_i32_e32 vcc, s45, v18
	v_mov_b32_e32 v14, 0
	v_mov_b32_e32 v16, 0
	ds_write2st64_b32 v0, v2, v3 offset0:131 offset1:163
	s_and_saveexec_b64 s[0:1], vcc
	s_cbranch_execz .LBB184_60
; %bb.59:
	v_add_u32_e32 v0, s34, v18
	v_ashrrev_i32_e32 v1, 31, v0
	v_mul_lo_u32 v2, v1, s28
	v_mul_lo_u32 v3, v0, s29
	v_mad_u64_u32 v[0:1], s[2:3], v0, s28, 0
	v_add3_u32 v1, v1, v3, v2
	v_lshl_add_u64 v[0:1], v[0:1], 2, s[10:11]
	global_load_dword v0, v[0:1], off
	s_waitcnt vmcnt(0)
	v_sub_f32_e32 v0, s12, v0
	v_exp_f32_e32 v16, v0
.LBB184_60:
	s_or_b64 exec, exec, s[0:1]
	v_or_b32_e32 v8, 1, v18
	v_cmp_gt_i32_e64 s[0:1], s45, v8
	s_and_saveexec_b64 s[2:3], s[0:1]
	s_cbranch_execz .LBB184_62
; %bb.61:
	v_add_u32_e32 v0, s34, v8
	v_ashrrev_i32_e32 v1, 31, v0
	v_mul_lo_u32 v2, v1, s28
	v_mul_lo_u32 v3, v0, s29
	v_mad_u64_u32 v[0:1], s[4:5], v0, s28, 0
	v_add3_u32 v1, v1, v3, v2
	v_lshl_add_u64 v[0:1], v[0:1], 2, s[10:11]
	global_load_dword v0, v[0:1], off
	s_waitcnt vmcnt(0)
	v_sub_f32_e32 v0, s12, v0
	v_exp_f32_e32 v14, v0
.LBB184_62:
	s_or_b64 exec, exec, s[2:3]
	v_or_b32_e32 v10, 2, v18
	v_cmp_gt_i32_e64 s[2:3], s45, v10
	v_mov_b32_e32 v15, 0
	v_mov_b32_e32 v17, 0
	s_and_saveexec_b64 s[4:5], s[2:3]
	s_cbranch_execz .LBB184_64
; %bb.63:
	v_add_u32_e32 v0, s34, v10
	v_ashrrev_i32_e32 v1, 31, v0
	v_mul_lo_u32 v2, v1, s28
	v_mul_lo_u32 v3, v0, s29
	v_mad_u64_u32 v[0:1], s[6:7], v0, s28, 0
	v_add3_u32 v1, v1, v3, v2
	v_lshl_add_u64 v[0:1], v[0:1], 2, s[10:11]
	global_load_dword v0, v[0:1], off
	s_waitcnt vmcnt(0)
	v_sub_f32_e32 v0, s12, v0
	v_exp_f32_e32 v17, v0
.LBB184_64:
	s_or_b64 exec, exec, s[4:5]
	v_or_b32_e32 v12, 3, v18
	v_cmp_gt_i32_e64 s[4:5], s45, v12
	s_and_saveexec_b64 s[6:7], s[4:5]
	s_cbranch_execz .LBB184_66
; %bb.65:
	v_add_u32_e32 v0, s34, v12
	v_ashrrev_i32_e32 v1, 31, v0
	v_mul_lo_u32 v2, v1, s28
	v_mul_lo_u32 v3, v0, s29
	v_mad_u64_u32 v[0:1], s[14:15], v0, s28, 0
	v_add3_u32 v1, v1, v3, v2
	v_lshl_add_u64 v[0:1], v[0:1], 2, s[10:11]
	global_load_dword v0, v[0:1], off
	s_waitcnt vmcnt(0)
	v_sub_f32_e32 v0, s12, v0
	v_exp_f32_e32 v15, v0
.LBB184_66:
	s_or_b64 exec, exec, s[6:7]
	v_or_b32_e32 v4, s30, v72
	s_add_u32 s6, s8, s24
	v_accvgpr_read_b32 v0, a12
	s_addc_u32 s7, s9, s25
	v_ashrrev_i32_e32 v5, 31, v4
	v_accvgpr_read_b32 v1, a13
	v_accvgpr_read_b32 v2, a14
	;; [unrolled: 1-line block ×3, first 2 shown]
	v_lshl_add_u64 v[4:5], v[4:5], 1, s[6:7]
	v_mov_b32_e32 v9, 0
	v_lshlrev_b32_e32 v6, 8, v18
	v_mov_b32_e32 v7, 0
	s_and_saveexec_b64 s[6:7], vcc
	s_cbranch_execz .LBB184_68
; %bb.67:
	v_mov_b32_e32 v7, 0
	v_lshl_add_u64 v[20:21], v[4:5], 0, v[6:7]
	global_load_ushort v7, v[20:21], off
	s_waitcnt vmcnt(0)
	v_lshlrev_b32_e32 v7, 16, v7
	v_sub_f32_e32 v0, v7, v0
	v_mul_f32_e32 v0, v16, v0
	v_lshrrev_b32_e32 v7, 16, v0
.LBB184_68:
	s_or_b64 exec, exec, s[6:7]
	v_lshlrev_b32_e32 v8, 8, v8
	s_and_saveexec_b64 s[6:7], s[0:1]
	s_cbranch_execz .LBB184_70
; %bb.69:
	v_mov_b32_e32 v9, 0
	v_lshl_add_u64 v[20:21], v[4:5], 0, v[8:9]
	global_load_ushort v0, v[20:21], off
	s_waitcnt vmcnt(0)
	v_lshlrev_b32_e32 v0, 16, v0
	v_sub_f32_e32 v0, v0, v1
	v_mul_f32_e32 v0, v14, v0
	v_lshrrev_b32_e32 v9, 16, v0
.LBB184_70:
	s_or_b64 exec, exec, s[6:7]
	v_mov_b32_e32 v13, 0
	v_lshlrev_b32_e32 v10, 8, v10
	v_mov_b32_e32 v11, 0
	s_and_saveexec_b64 s[6:7], s[2:3]
	s_cbranch_execz .LBB184_72
; %bb.71:
	v_mov_b32_e32 v11, 0
	v_lshl_add_u64 v[0:1], v[4:5], 0, v[10:11]
	global_load_ushort v0, v[0:1], off
	s_waitcnt vmcnt(0)
	v_lshlrev_b32_e32 v0, 16, v0
	v_sub_f32_e32 v0, v0, v2
	v_mul_f32_e32 v0, v17, v0
	v_lshrrev_b32_e32 v11, 16, v0
.LBB184_72:
	s_or_b64 exec, exec, s[6:7]
	v_lshlrev_b32_e32 v12, 8, v12
	s_and_saveexec_b64 s[6:7], s[4:5]
	s_cbranch_execz .LBB184_74
; %bb.73:
	v_mov_b32_e32 v13, 0
	v_lshl_add_u64 v[0:1], v[4:5], 0, v[12:13]
	global_load_ushort v0, v[0:1], off
	s_waitcnt vmcnt(0)
	v_lshlrev_b32_e32 v0, 16, v0
	v_sub_f32_e32 v0, v0, v3
	v_mul_f32_e32 v0, v15, v0
	v_lshrrev_b32_e32 v13, 16, v0
.LBB184_74:
	s_or_b64 exec, exec, s[6:7]
	v_lshlrev_b32_e32 v18, 6, v18
	s_mov_b32 s6, 0x5040100
	v_perm_b32 v20, v9, v7, s6
	v_or_b32_e32 v7, v18, v24
	v_accvgpr_read_b32 v0, a8
	v_perm_b32 v21, v13, v11, s6
	v_lshlrev_b32_e32 v7, 1, v7
	v_accvgpr_read_b32 v1, a9
	v_accvgpr_read_b32 v2, a10
	;; [unrolled: 1-line block ×3, first 2 shown]
	ds_write_b64 v7, v[20:21] offset:24576
	v_mov_b32_e32 v9, 0
	v_mov_b32_e32 v7, 0
	s_and_saveexec_b64 s[6:7], vcc
	s_cbranch_execz .LBB184_76
; %bb.75:
	v_mov_b32_e32 v7, 0
	v_lshl_add_u64 v[20:21], v[4:5], 0, v[6:7]
	global_load_ushort v7, v[20:21], off offset:32
	s_waitcnt vmcnt(0)
	v_lshlrev_b32_e32 v7, 16, v7
	v_sub_f32_e32 v0, v7, v0
	v_mul_f32_e32 v0, v16, v0
	v_lshrrev_b32_e32 v7, 16, v0
.LBB184_76:
	s_or_b64 exec, exec, s[6:7]
	s_and_saveexec_b64 s[6:7], s[0:1]
	s_cbranch_execz .LBB184_78
; %bb.77:
	v_mov_b32_e32 v9, 0
	v_lshl_add_u64 v[20:21], v[4:5], 0, v[8:9]
	global_load_ushort v0, v[20:21], off offset:32
	s_waitcnt vmcnt(0)
	v_lshlrev_b32_e32 v0, 16, v0
	v_sub_f32_e32 v0, v0, v1
	v_mul_f32_e32 v0, v14, v0
	v_lshrrev_b32_e32 v9, 16, v0
.LBB184_78:
	s_or_b64 exec, exec, s[6:7]
	v_mov_b32_e32 v13, 0
	v_mov_b32_e32 v11, 0
	s_and_saveexec_b64 s[6:7], s[2:3]
	s_cbranch_execz .LBB184_80
; %bb.79:
	v_mov_b32_e32 v11, 0
	v_lshl_add_u64 v[0:1], v[4:5], 0, v[10:11]
	global_load_ushort v0, v[0:1], off offset:32
	s_waitcnt vmcnt(0)
	v_lshlrev_b32_e32 v0, 16, v0
	v_sub_f32_e32 v0, v0, v2
	v_mul_f32_e32 v0, v17, v0
	v_lshrrev_b32_e32 v11, 16, v0
.LBB184_80:
	s_or_b64 exec, exec, s[6:7]
	s_and_saveexec_b64 s[6:7], s[4:5]
	s_cbranch_execz .LBB184_82
; %bb.81:
	v_mov_b32_e32 v13, 0
	v_lshl_add_u64 v[0:1], v[4:5], 0, v[12:13]
	global_load_ushort v0, v[0:1], off offset:32
	s_waitcnt vmcnt(0)
	v_lshlrev_b32_e32 v0, 16, v0
	v_sub_f32_e32 v0, v0, v3
	v_mul_f32_e32 v0, v15, v0
	v_lshrrev_b32_e32 v13, 16, v0
.LBB184_82:
	s_or_b64 exec, exec, s[6:7]
	s_mov_b32 s6, 0x5040100
	v_perm_b32 v20, v9, v7, s6
	v_or_b32_e32 v7, v18, v23
	v_accvgpr_read_b32 v0, a4
	v_perm_b32 v21, v13, v11, s6
	v_lshlrev_b32_e32 v7, 1, v7
	v_accvgpr_read_b32 v1, a5
	v_accvgpr_read_b32 v2, a6
	;; [unrolled: 1-line block ×3, first 2 shown]
	ds_write_b64 v7, v[20:21] offset:24576
	v_mov_b32_e32 v9, 0
	v_mov_b32_e32 v7, 0
	s_and_saveexec_b64 s[6:7], vcc
	s_cbranch_execz .LBB184_84
; %bb.83:
	v_mov_b32_e32 v7, 0
	v_lshl_add_u64 v[20:21], v[4:5], 0, v[6:7]
	global_load_ushort v7, v[20:21], off offset:64
	s_waitcnt vmcnt(0)
	v_lshlrev_b32_e32 v7, 16, v7
	v_sub_f32_e32 v0, v7, v0
	v_mul_f32_e32 v0, v16, v0
	v_lshrrev_b32_e32 v7, 16, v0
.LBB184_84:
	s_or_b64 exec, exec, s[6:7]
	s_and_saveexec_b64 s[6:7], s[0:1]
	s_cbranch_execz .LBB184_86
; %bb.85:
	v_mov_b32_e32 v9, 0
	v_lshl_add_u64 v[20:21], v[4:5], 0, v[8:9]
	global_load_ushort v0, v[20:21], off offset:64
	s_waitcnt vmcnt(0)
	v_lshlrev_b32_e32 v0, 16, v0
	v_sub_f32_e32 v0, v0, v1
	v_mul_f32_e32 v0, v14, v0
	v_lshrrev_b32_e32 v9, 16, v0
.LBB184_86:
	s_or_b64 exec, exec, s[6:7]
	v_mov_b32_e32 v13, 0
	v_mov_b32_e32 v11, 0
	s_and_saveexec_b64 s[6:7], s[2:3]
	s_cbranch_execz .LBB184_88
; %bb.87:
	v_mov_b32_e32 v11, 0
	v_lshl_add_u64 v[0:1], v[4:5], 0, v[10:11]
	global_load_ushort v0, v[0:1], off offset:64
	s_waitcnt vmcnt(0)
	v_lshlrev_b32_e32 v0, 16, v0
	v_sub_f32_e32 v0, v0, v2
	v_mul_f32_e32 v0, v17, v0
	v_lshrrev_b32_e32 v11, 16, v0
.LBB184_88:
	s_or_b64 exec, exec, s[6:7]
	s_and_saveexec_b64 s[6:7], s[4:5]
	s_cbranch_execz .LBB184_90
; %bb.89:
	v_mov_b32_e32 v13, 0
	v_lshl_add_u64 v[0:1], v[4:5], 0, v[12:13]
	global_load_ushort v0, v[0:1], off offset:64
	s_waitcnt vmcnt(0)
	v_lshlrev_b32_e32 v0, 16, v0
	v_sub_f32_e32 v0, v0, v3
	v_mul_f32_e32 v0, v15, v0
	v_lshrrev_b32_e32 v13, 16, v0
.LBB184_90:
	s_or_b64 exec, exec, s[6:7]
	s_mov_b32 s6, 0x5040100
	v_perm_b32 v20, v9, v7, s6
	v_or_b32_e32 v7, v18, v22
	v_accvgpr_read_b32 v0, a0
	v_perm_b32 v21, v13, v11, s6
	v_lshlrev_b32_e32 v7, 1, v7
	v_accvgpr_read_b32 v1, a1
	v_accvgpr_read_b32 v2, a2
	;; [unrolled: 1-line block ×3, first 2 shown]
	ds_write_b64 v7, v[20:21] offset:24576
	v_mov_b32_e32 v9, 0
	v_mov_b32_e32 v7, 0
	s_and_saveexec_b64 s[6:7], vcc
	s_cbranch_execz .LBB184_92
; %bb.91:
	v_mov_b32_e32 v7, 0
	v_lshl_add_u64 v[6:7], v[4:5], 0, v[6:7]
	global_load_ushort v6, v[6:7], off offset:96
	s_waitcnt vmcnt(0)
	v_lshlrev_b32_e32 v6, 16, v6
	v_sub_f32_e32 v0, v6, v0
	v_mul_f32_e32 v0, v16, v0
	v_lshrrev_b32_e32 v7, 16, v0
.LBB184_92:
	s_or_b64 exec, exec, s[6:7]
	s_and_saveexec_b64 s[6:7], s[0:1]
	s_cbranch_execz .LBB184_94
; %bb.93:
	v_mov_b32_e32 v9, 0
	v_lshl_add_u64 v[8:9], v[4:5], 0, v[8:9]
	global_load_ushort v0, v[8:9], off offset:96
	s_waitcnt vmcnt(0)
	v_lshlrev_b32_e32 v0, 16, v0
	v_sub_f32_e32 v0, v0, v1
	v_mul_f32_e32 v0, v14, v0
	v_lshrrev_b32_e32 v9, 16, v0
.LBB184_94:
	s_or_b64 exec, exec, s[6:7]
	v_mov_b32_e32 v0, 0
	v_mov_b32_e32 v1, 0
	s_and_saveexec_b64 s[0:1], s[2:3]
	s_cbranch_execz .LBB184_96
; %bb.95:
	v_mov_b32_e32 v11, 0
	v_lshl_add_u64 v[10:11], v[4:5], 0, v[10:11]
	global_load_ushort v1, v[10:11], off offset:96
	s_waitcnt vmcnt(0)
	v_lshlrev_b32_e32 v1, 16, v1
	v_sub_f32_e32 v1, v1, v2
	v_mul_f32_e32 v1, v17, v1
	v_lshrrev_b32_e32 v1, 16, v1
.LBB184_96:
	s_or_b64 exec, exec, s[0:1]
	s_and_saveexec_b64 s[0:1], s[4:5]
	s_cbranch_execz .LBB184_98
; %bb.97:
	v_mov_b32_e32 v13, 0
	v_lshl_add_u64 v[4:5], v[4:5], 0, v[12:13]
	global_load_ushort v0, v[4:5], off offset:96
	s_waitcnt vmcnt(0)
	v_lshlrev_b32_e32 v0, 16, v0
	v_sub_f32_e32 v0, v0, v3
	v_mul_f32_e32 v0, v15, v0
	v_lshrrev_b32_e32 v0, 16, v0
.LBB184_98:
	s_or_b64 exec, exec, s[0:1]
	s_mov_b32 s0, 0x5040100
	v_or_b32_e32 v2, v18, v19
	v_perm_b32 v1, v0, v1, s0
	v_perm_b32 v0, v9, v7, s0
	v_lshlrev_b32_e32 v2, 1, v2
	ds_write_b64 v2, v[0:1] offset:24576
	s_waitcnt lgkmcnt(0)
	s_barrier
.LBB184_99:
	s_endpgm
	.section	.rodata,"a",@progbits
	.p2align	6, 0x0
	.amdhsa_kernel _ZN12_GLOBAL__N_139chunk_gated_delta_rule_fwd_h_hip_kernelILi64ELb0ELb0ELb0ELb1ELb1ELb0ELb0ELb0EEEvPK12hip_bfloat16S3_S3_PKfS5_PKvPS1_S8_PvPKiSB_iiiiilll
		.amdhsa_group_segment_fixed_size 65536
		.amdhsa_private_segment_fixed_size 0
		.amdhsa_kernarg_size 136
		.amdhsa_user_sgpr_count 2
		.amdhsa_user_sgpr_dispatch_ptr 0
		.amdhsa_user_sgpr_queue_ptr 0
		.amdhsa_user_sgpr_kernarg_segment_ptr 1
		.amdhsa_user_sgpr_dispatch_id 0
		.amdhsa_user_sgpr_kernarg_preload_length 0
		.amdhsa_user_sgpr_kernarg_preload_offset 0
		.amdhsa_user_sgpr_private_segment_size 0
		.amdhsa_uses_dynamic_stack 0
		.amdhsa_enable_private_segment 0
		.amdhsa_system_sgpr_workgroup_id_x 1
		.amdhsa_system_sgpr_workgroup_id_y 1
		.amdhsa_system_sgpr_workgroup_id_z 0
		.amdhsa_system_sgpr_workgroup_info 0
		.amdhsa_system_vgpr_workitem_id 0
		.amdhsa_next_free_vgpr 216
		.amdhsa_next_free_sgpr 60
		.amdhsa_accum_offset 180
		.amdhsa_reserve_vcc 1
		.amdhsa_float_round_mode_32 0
		.amdhsa_float_round_mode_16_64 0
		.amdhsa_float_denorm_mode_32 3
		.amdhsa_float_denorm_mode_16_64 3
		.amdhsa_dx10_clamp 1
		.amdhsa_ieee_mode 1
		.amdhsa_fp16_overflow 0
		.amdhsa_tg_split 0
		.amdhsa_exception_fp_ieee_invalid_op 0
		.amdhsa_exception_fp_denorm_src 0
		.amdhsa_exception_fp_ieee_div_zero 0
		.amdhsa_exception_fp_ieee_overflow 0
		.amdhsa_exception_fp_ieee_underflow 0
		.amdhsa_exception_fp_ieee_inexact 0
		.amdhsa_exception_int_div_zero 0
	.end_amdhsa_kernel
	.section	.text._ZN12_GLOBAL__N_139chunk_gated_delta_rule_fwd_h_hip_kernelILi64ELb0ELb0ELb0ELb1ELb1ELb0ELb0ELb0EEEvPK12hip_bfloat16S3_S3_PKfS5_PKvPS1_S8_PvPKiSB_iiiiilll,"axG",@progbits,_ZN12_GLOBAL__N_139chunk_gated_delta_rule_fwd_h_hip_kernelILi64ELb0ELb0ELb0ELb1ELb1ELb0ELb0ELb0EEEvPK12hip_bfloat16S3_S3_PKfS5_PKvPS1_S8_PvPKiSB_iiiiilll,comdat
.Lfunc_end184:
	.size	_ZN12_GLOBAL__N_139chunk_gated_delta_rule_fwd_h_hip_kernelILi64ELb0ELb0ELb0ELb1ELb1ELb0ELb0ELb0EEEvPK12hip_bfloat16S3_S3_PKfS5_PKvPS1_S8_PvPKiSB_iiiiilll, .Lfunc_end184-_ZN12_GLOBAL__N_139chunk_gated_delta_rule_fwd_h_hip_kernelILi64ELb0ELb0ELb0ELb1ELb1ELb0ELb0ELb0EEEvPK12hip_bfloat16S3_S3_PKfS5_PKvPS1_S8_PvPKiSB_iiiiilll
                                        ; -- End function
	.section	.AMDGPU.csdata,"",@progbits
; Kernel info:
; codeLenInByte = 10664
; NumSgprs: 66
; NumVgprs: 178
; NumAgprs: 36
; TotalNumVgprs: 216
; ScratchSize: 0
; MemoryBound: 0
; FloatMode: 240
; IeeeMode: 1
; LDSByteSize: 65536 bytes/workgroup (compile time only)
; SGPRBlocks: 8
; VGPRBlocks: 26
; NumSGPRsForWavesPerEU: 66
; NumVGPRsForWavesPerEU: 216
; AccumOffset: 180
; Occupancy: 1
; WaveLimiterHint : 1
; COMPUTE_PGM_RSRC2:SCRATCH_EN: 0
; COMPUTE_PGM_RSRC2:USER_SGPR: 2
; COMPUTE_PGM_RSRC2:TRAP_HANDLER: 0
; COMPUTE_PGM_RSRC2:TGID_X_EN: 1
; COMPUTE_PGM_RSRC2:TGID_Y_EN: 1
; COMPUTE_PGM_RSRC2:TGID_Z_EN: 0
; COMPUTE_PGM_RSRC2:TIDIG_COMP_CNT: 0
; COMPUTE_PGM_RSRC3_GFX90A:ACCUM_OFFSET: 44
; COMPUTE_PGM_RSRC3_GFX90A:TG_SPLIT: 0
	.section	.text._ZN12_GLOBAL__N_139chunk_gated_delta_rule_fwd_h_hip_kernelILi64ELb1ELb1ELb1ELb0ELb1ELb0ELb0ELb0EEEvPK12hip_bfloat16S3_S3_PKfS5_PKvPS1_S8_PvPKiSB_iiiiilll,"axG",@progbits,_ZN12_GLOBAL__N_139chunk_gated_delta_rule_fwd_h_hip_kernelILi64ELb1ELb1ELb1ELb0ELb1ELb0ELb0ELb0EEEvPK12hip_bfloat16S3_S3_PKfS5_PKvPS1_S8_PvPKiSB_iiiiilll,comdat
	.globl	_ZN12_GLOBAL__N_139chunk_gated_delta_rule_fwd_h_hip_kernelILi64ELb1ELb1ELb1ELb0ELb1ELb0ELb0ELb0EEEvPK12hip_bfloat16S3_S3_PKfS5_PKvPS1_S8_PvPKiSB_iiiiilll ; -- Begin function _ZN12_GLOBAL__N_139chunk_gated_delta_rule_fwd_h_hip_kernelILi64ELb1ELb1ELb1ELb0ELb1ELb0ELb0ELb0EEEvPK12hip_bfloat16S3_S3_PKfS5_PKvPS1_S8_PvPKiSB_iiiiilll
	.p2align	8
	.type	_ZN12_GLOBAL__N_139chunk_gated_delta_rule_fwd_h_hip_kernelILi64ELb1ELb1ELb1ELb0ELb1ELb0ELb0ELb0EEEvPK12hip_bfloat16S3_S3_PKfS5_PKvPS1_S8_PvPKiSB_iiiiilll,@function
_ZN12_GLOBAL__N_139chunk_gated_delta_rule_fwd_h_hip_kernelILi64ELb1ELb1ELb1ELb0ELb1ELb0ELb0ELb0EEEvPK12hip_bfloat16S3_S3_PKfS5_PKvPS1_S8_PvPKiSB_iiiiilll: ; @_ZN12_GLOBAL__N_139chunk_gated_delta_rule_fwd_h_hip_kernelILi64ELb1ELb1ELb1ELb0ELb1ELb0ELb0ELb0EEEvPK12hip_bfloat16S3_S3_PKfS5_PKvPS1_S8_PvPKiSB_iiiiilll
; %bb.0:
	s_load_dwordx4 s[20:23], s[0:1], 0x5c
	s_load_dwordx4 s[24:27], s[0:1], 0x70
	s_abs_i32 s6, s3
	s_ashr_i32 s5, s3, 31
	v_and_b32_e32 v88, 15, v0
	s_waitcnt lgkmcnt(0)
	s_abs_i32 s4, s21
	v_cvt_f32_u32_e32 v1, s4
	s_sub_i32 s8, 0, s4
	s_ashr_i32 s7, s21, 31
	s_xor_b32 s5, s5, s7
	v_rcp_iflag_f32_e32 v1, v1
	v_bfe_u32 v87, v0, 4, 2
	v_mov_b32_e32 v67, 0
	v_lshlrev_b32_e32 v89, 3, v0
	v_mul_f32_e32 v1, 0x4f7ffffe, v1
	v_cvt_u32_f32_e32 v1, v1
	s_nop 0
	v_readfirstlane_b32 s9, v1
	s_mul_i32 s8, s8, s9
	s_mul_hi_u32 s8, s9, s8
	s_add_i32 s9, s9, s8
	s_mul_hi_u32 s8, s6, s9
	s_mul_i32 s9, s8, s4
	s_sub_i32 s6, s6, s9
	s_add_i32 s10, s8, 1
	s_sub_i32 s9, s6, s4
	s_cmp_ge_u32 s6, s4
	s_cselect_b32 s8, s10, s8
	s_cselect_b32 s6, s9, s6
	s_add_i32 s9, s8, 1
	s_cmp_ge_u32 s6, s4
	s_cselect_b32 s6, s9, s8
	s_xor_b32 s6, s6, s5
	s_add_i32 s8, s20, 63
	s_sub_i32 s55, s6, s5
	s_ashr_i32 s9, s8, 31
	s_mul_i32 s12, s55, s21
	s_sub_i32 s52, s3, s12
	s_lshr_b32 s3, s9, 26
	s_add_i32 s8, s8, s3
	s_abs_i32 s3, s22
	v_cvt_f32_u32_e32 v1, s3
	s_ashr_i32 s54, s20, 31
	s_lshr_b32 s5, s54, 26
	s_add_i32 s5, s20, s5
	v_rcp_iflag_f32_e32 v1, v1
	s_ashr_i32 s57, s22, 31
	s_ashr_i32 s56, s5, 6
	s_xor_b32 s5, s7, s57
	v_mul_f32_e32 v1, 0x4f7ffffe, v1
	v_cvt_u32_f32_e32 v1, v1
	s_sub_i32 s6, 0, s3
	s_ashr_i32 s28, s8, 6
	s_lshl_b32 s2, s2, 6
	v_readfirstlane_b32 s7, v1
	s_mul_i32 s6, s6, s7
	s_mul_hi_u32 s6, s7, s6
	s_add_i32 s7, s7, s6
	s_mul_hi_u32 s6, s4, s7
	s_mul_i32 s7, s6, s3
	s_sub_i32 s4, s4, s7
	s_add_i32 s7, s6, 1
	s_sub_i32 s8, s4, s3
	s_cmp_ge_u32 s4, s3
	s_cselect_b32 s6, s7, s6
	s_cselect_b32 s4, s8, s4
	s_add_i32 s7, s6, 1
	s_cmp_ge_u32 s4, s3
	s_cselect_b32 s3, s7, s6
	s_xor_b32 s3, s3, s5
	s_sub_i32 s3, s3, s5
	s_abs_i32 s13, s3
	v_cvt_f32_u32_e32 v1, s13
	s_sub_i32 s15, 0, s13
	s_abs_i32 s14, s52
	s_xor_b32 s3, s52, s3
	v_rcp_iflag_f32_e32 v2, v1
	s_ashr_i32 s3, s3, 31
	s_load_dwordx8 s[4:11], s[0:1], 0x28
	v_lshrrev_b32_e32 v1, 6, v0
	v_mul_f32_e32 v2, 0x4f7ffffe, v2
	v_cvt_u32_f32_e32 v2, v2
	v_or_b32_e32 v76, s2, v88
	v_lshlrev_b32_e32 v86, 4, v1
	v_lshlrev_b32_e32 v68, 7, v76
	v_readfirstlane_b32 s16, v2
	s_mul_i32 s15, s15, s16
	s_mul_hi_u32 s15, s16, s15
	s_add_i32 s16, s16, s15
	s_mul_hi_u32 s15, s14, s16
	s_mul_i32 s16, s15, s13
	s_sub_i32 s14, s14, s16
	s_add_i32 s16, s15, 1
	s_sub_i32 s17, s14, s13
	s_cmp_ge_u32 s14, s13
	s_cselect_b32 s15, s16, s15
	s_cselect_b32 s14, s17, s14
	s_add_i32 s16, s15, 1
	s_cmp_ge_u32 s14, s13
	s_cselect_b32 s13, s16, s15
	s_xor_b32 s13, s13, s3
	s_sub_i32 s58, s13, s3
	s_ashr_i32 s3, s55, 31
	s_ashr_i32 s53, s52, 31
	s_mul_hi_i32 s13, s55, s21
	s_add_u32 s42, s12, s52
	s_addc_u32 s43, s13, s53
	s_lshl_b64 s[34:35], s[42:43], 16
	s_waitcnt lgkmcnt(0)
	s_add_u32 s4, s4, s34
	v_lshl_or_b32 v91, v87, 2, v86
	s_addc_u32 s5, s5, s35
	v_ashrrev_i32_e32 v69, 31, v68
	v_lshl_add_u64 v[2:3], v[68:69], 2, s[4:5]
	v_lshlrev_b32_e32 v66, 2, v91
	v_or_b32_e32 v70, 0x800, v68
	v_lshl_add_u64 v[10:11], v[2:3], 0, v[66:67]
	v_ashrrev_i32_e32 v71, 31, v70
	global_load_dwordx4 v[6:9], v[10:11], off
	global_load_dwordx4 v[2:5], v[10:11], off offset:256
	v_lshl_add_u64 v[10:11], v[70:71], 2, s[4:5]
	v_or_b32_e32 v72, 0x1000, v68
	v_lshl_add_u64 v[18:19], v[10:11], 0, v[66:67]
	v_ashrrev_i32_e32 v73, 31, v72
	global_load_dwordx4 v[14:17], v[18:19], off
	global_load_dwordx4 v[10:13], v[18:19], off offset:256
	v_lshl_add_u64 v[18:19], v[72:73], 2, s[4:5]
	;; [unrolled: 6-line block ×3, first 2 shown]
	v_lshl_add_u64 v[34:35], v[26:27], 0, v[66:67]
	global_load_dwordx4 v[30:33], v[34:35], off
	global_load_dwordx4 v[26:29], v[34:35], off offset:256
	s_load_dwordx8 s[12:19], s[0:1], 0x0
	s_load_dwordx2 s[36:37], s[0:1], 0x80
	v_and_b32_e32 v67, 63, v0
	s_mul_i32 s59, s55, s28
	v_or_b32_e32 v92, 64, v91
	s_cmp_lt_i32 s20, 64
	v_lshrrev_b32_e32 v90, 3, v67
	s_mul_i32 s60, s43, s20
	s_mul_hi_u32 s61, s42, s20
	s_mul_i32 s4, s42, s20
	s_mul_i32 s33, s55, s25
	s_mul_hi_u32 s48, s55, s24
	s_mul_i32 s43, s3, s24
	s_mul_i32 s40, s55, s24
	;; [unrolled: 1-line block ×3, first 2 shown]
	s_mul_hi_u32 s50, s52, s26
	s_mul_i32 s51, s53, s26
	s_mul_i32 s38, s52, s26
	s_cbranch_scc1 .LBB185_18
; %bb.1:
	s_add_i32 s5, s61, s60
	s_lshl_b64 s[0:1], s[4:5], 8
	v_and_b32_e32 v94, 56, v89
	s_waitcnt lgkmcnt(0)
	s_add_u32 s24, s14, s0
	v_lshl_or_b32 v93, v1, 3, v90
	v_lshlrev_b32_e32 v34, 1, v94
	s_addc_u32 s0, s15, s1
	v_lshl_or_b32 v95, v93, 8, v34
	s_and_b32 s25, s0, 0xffff
	s_mov_b32 s27, 0x20000
	s_movk_i32 s26, 0x4000
	s_movk_i32 s0, 0x80
	v_or_b32_e32 v96, 0x2000, v95
	buffer_load_dwordx4 v[36:39], v95, s[24:27], 0 offen
	buffer_load_dwordx4 v[40:43], v95, s[24:27], s0 offen
	;; [unrolled: 1-line block ×4, first 2 shown]
	v_lshlrev_b32_e32 v35, 3, v93
	v_and_or_b32 v53, v0, 7, v35
	v_and_b32_e32 v35, 0x78, v35
	v_lshlrev_b32_e32 v53, 4, v53
	v_xor_b32_e32 v97, v53, v35
	v_mul_lo_u32 v52, v93, s23
	v_or_b32_e32 v98, 0x1000, v97
	v_xor_b32_e32 v35, 8, v97
	s_cmpk_eq_i32 s23, 0x80
	s_mov_b32 s62, s22
	v_xor_b32_e32 v53, 8, v98
	s_cselect_b64 s[0:1], -1, 0
	s_cmpk_lg_i32 s23, 0x80
	s_waitcnt vmcnt(3)
	ds_write_b64 v97, v[36:37] offset:49152
	ds_write_b64 v35, v[38:39] offset:49152
	s_waitcnt vmcnt(2)
	ds_write_b64 v97, v[40:41] offset:57344
	ds_write_b64 v35, v[42:43] offset:57344
	;; [unrolled: 3-line block ×4, first 2 shown]
	v_lshl_add_u32 v35, v52, 1, v94
	s_cbranch_scc0 .LBB185_3
; %bb.2:
	v_lshlrev_b32_e32 v37, 1, v35
	v_add_lshl_u32 v36, v35, s23, 1
	s_lshl_b32 s26, s23, 7
	v_lshl_or_b32 v34, v93, 9, v34
	s_cbranch_execz .LBB185_4
	s_branch .LBB185_5
.LBB185_3:
                                        ; implicit-def: $vgpr36
                                        ; implicit-def: $vgpr37
                                        ; implicit-def: $sgpr26
	v_lshl_or_b32 v34, v93, 9, v34
.LBB185_4:
	v_or_b32_e32 v36, 0x100, v34
	s_movk_i32 s26, 0x4000
	v_mov_b32_e32 v37, v34
.LBB185_5:
	s_mul_hi_u32 s24, s22, s20
	s_mul_i32 s25, s57, s20
	s_add_i32 s24, s24, s25
	s_mul_i32 s25, s22, s20
	s_mul_i32 s27, s25, s3
	s_mul_hi_u32 s28, s25, s55
	s_add_i32 s27, s28, s27
	s_mul_i32 s24, s24, s55
	s_add_i32 s27, s27, s24
	s_mul_i32 s25, s25, s55
	s_ashr_i32 s63, s58, 31
	s_add_u32 s24, s25, s58
	s_addc_u32 s25, s27, s63
	s_lshl_b64 s[24:25], s[24:25], 8
	s_add_u32 s24, s12, s24
	s_addc_u32 s25, s13, s25
	s_and_b32 s25, s25, 0xffff
	s_mov_b32 s27, 0x20000
	s_movk_i32 s64, 0x80
	buffer_load_dwordx4 v[38:41], v37, s[24:27], 0 offen
	buffer_load_dwordx4 v[42:45], v37, s[24:27], s64 offen
	buffer_load_dwordx4 v[46:49], v36, s[24:27], 0 offen
	buffer_load_dwordx4 v[50:53], v36, s[24:27], s64 offen
	v_and_b32_e32 v37, 6, v0
	v_lshlrev_b32_e32 v36, 7, v91
	v_xor_b32_e32 v58, v93, v37
	v_and_b32_e32 v54, 1, v0
	v_lshl_or_b32 v61, v88, 3, v36
	v_lshlrev_b32_e32 v58, 2, v58
	v_or_b32_e32 v99, 0x4000, v61
	v_or_b32_e32 v100, 0x6000, v61
	v_xor_b32_e32 v61, 0x440, v58
	v_cmp_eq_u32_e32 vcc, 0, v54
	v_lshlrev_b32_e32 v55, 2, v88
	s_mov_b32 s66, 0x1000504
	v_cndmask_b32_e32 v54, v61, v58, vcc
	v_xor_b32_e32 v59, v91, v55
	v_xor_b32_e32 v60, v92, v55
	v_lshl_or_b32 v37, v37, 10, v54
	s_mov_b32 s67, 0x3020706
	v_lshlrev_b32_e32 v56, 8, v88
	v_or_b32_e32 v57, 16, v88
	v_lshlrev_b32_e32 v59, 1, v59
	v_lshlrev_b32_e32 v60, 1, v60
	v_xor_b32_e32 v54, 8, v37
	v_xor_b32_e32 v58, 24, v37
	v_xor_b32_e32 v63, 40, v37
	v_xor_b32_e32 v65, 56, v37
	s_mul_i32 s3, s3, s20
	s_mul_hi_u32 s24, s55, s20
	v_or_b32_e32 v102, v56, v59
	v_or_b32_e32 v103, v56, v60
	v_xor_b32_e32 v56, 16, v37
	v_xor_b32_e32 v61, 32, v37
	v_xor_b32_e32 v64, 48, v37
	v_add_u32_e32 v54, 0x80, v54
	v_add_u32_e32 v58, 0x80, v58
	;; [unrolled: 1-line block ×4, first 2 shown]
	s_add_i32 s69, s24, s3
	s_add_i32 s3, s48, s33
	;; [unrolled: 1-line block ×5, first 2 shown]
	s_lshl_b64 s[24:25], s[40:41], 2
	s_add_u32 s3, s18, s24
	s_addc_u32 s28, s19, s25
	s_lshl_b64 s[24:25], s[38:39], 2
	s_add_u32 s44, s3, s24
	s_movk_i32 s3, 0xf8
	s_addc_u32 s45, s28, s25
	s_lshl_b32 s30, s23, 7
	s_movk_i32 s28, 0x100
	v_mov_b32_e32 v79, 0
	v_cmp_gt_u32_e32 vcc, s28, v0
	v_lshl_or_b32 v62, v57, 3, v36
	s_mov_b32 s65, 0
	s_mul_i32 s68, s55, s20
	v_or_b32_e32 v101, 0x4000, v62
	s_movk_i32 s26, 0x4000
	v_or_b32_e32 v104, 0x6000, v62
	s_movk_i32 s39, 0x2000
	s_movk_i32 s41, 0x3000
	s_mov_b32 s71, 0
	s_waitcnt vmcnt(1)
	v_perm_b32 v77, v38, v46, s66
	s_waitcnt vmcnt(0)
	v_perm_b32 v78, v42, v50, s66
	v_perm_b32 v38, v38, v46, s67
	;; [unrolled: 1-line block ×15, first 2 shown]
	ds_write2st64_b32 v37, v77, v78 offset0:128 offset1:160
	ds_write2st64_b32 v54, v38, v42 offset0:128 offset1:160
	;; [unrolled: 1-line block ×8, first 2 shown]
	v_lshlrev_b32_e32 v37, 8, v57
	v_or_b32_e32 v105, v37, v59
	v_or_b32_e32 v106, v37, v60
	;; [unrolled: 1-line block ×3, first 2 shown]
	v_lshl_or_b32 v38, v37, 3, v36
	v_lshlrev_b32_e32 v37, 8, v37
	v_or_b32_e32 v109, v37, v59
	v_or_b32_e32 v110, v37, v60
	;; [unrolled: 1-line block ×5, first 2 shown]
	v_lshl_or_b32 v38, v37, 3, v36
	v_lshlrev_b32_e32 v37, 8, v37
	v_or_b32_e32 v113, v37, v59
	v_or_b32_e32 v114, v37, v60
	;; [unrolled: 1-line block ×3, first 2 shown]
	v_lshlrev_b32_e32 v37, 3, v37
	v_lshrrev_b32_e32 v39, 5, v67
	v_and_or_b32 v39, v37, s3, v39
	v_lshlrev_b32_e32 v39, 4, v39
	v_lshlrev_b32_e32 v40, 11, v1
	v_and_b32_e32 v37, 0x78, v37
	v_or_b32_e32 v45, 32, v39
	v_or_b32_e32 v111, 0x4000, v38
	;; [unrolled: 1-line block ×3, first 2 shown]
	v_and_b32_e32 v38, 0x1000, v40
	v_xor_b32_e32 v41, v39, v37
	v_lshrrev_b32_e32 v42, 1, v0
	v_xor_b32_e32 v45, v45, v37
	v_or_b32_e32 v41, v41, v38
	v_and_b32_e32 v43, 8, v42
	v_or_b32_e32 v45, v45, v38
	v_xor_b32_e32 v115, v41, v43
	v_lshlrev_b32_e32 v41, 8, v87
	v_xor_b32_e32 v117, v45, v43
	v_or_b32_e32 v45, 64, v39
	v_or_b32_e32 v39, 0x60, v39
	s_ashr_i32 s3, s2, 31
	v_or_b32_e32 v44, v41, v55
	v_xor_b32_e32 v45, v45, v37
	v_xor_b32_e32 v37, v39, v37
	s_lshl_b64 s[24:25], s[2:3], 8
	v_lshlrev_b32_e32 v44, 1, v44
	v_or_b32_e32 v45, v45, v38
	v_or_b32_e32 v37, v37, v38
	s_add_u32 s24, s6, s24
	v_lshlrev_b32_e32 v38, 1, v88
	v_or_b32_e32 v116, 0x4000, v44
	v_or_b32_e32 v118, 0x4080, v44
	v_or_b32_e32 v119, 0x4100, v44
	v_or_b32_e32 v120, 0x4180, v44
	v_or_b32_e32 v123, 0x6000, v44
	v_or_b32_e32 v124, 0x6080, v44
	v_or_b32_e32 v125, 0x6100, v44
	v_or_b32_e32 v126, 0x6180, v44
	v_lshrrev_b32_e32 v44, 4, v0
	s_addc_u32 s25, s7, s25
	v_or_b32_e32 v39, 1, v38
	v_lshlrev_b32_e32 v78, 4, v88
	v_mov_b32_e32 v48, 0xa000
	v_mov_b32_e32 v49, 0x8000
	v_xor_b32_e32 v121, v45, v43
	v_xor_b32_e32 v45, v44, v38
	;; [unrolled: 1-line block ×3, first 2 shown]
	v_lshl_add_u64 v[38:39], s[24:25], 0, v[78:79]
	v_lshlrev_b32_e32 v78, 8, v44
	v_cndmask_b32_e32 v48, v48, v49, vcc
	v_lshlrev_b32_e32 v49, 3, v1
	v_and_b32_e32 v42, 24, v42
	v_lshl_or_b32 v127, v45, 3, v78
	v_and_b32_e32 v45, 8, v0
	v_xor_b32_e32 v50, v49, v42
	v_or_b32_e32 v51, 0x440, v50
	v_cmp_eq_u32_e32 vcc, 0, v45
	v_and_b32_e32 v44, 7, v0
	v_lshl_or_b32 v128, v46, 3, v78
	v_cndmask_b32_e32 v45, v51, v50, vcc
	v_lshlrev_b32_e32 v46, 3, v44
	v_lshlrev_b32_e32 v44, 7, v44
	v_or_b32_e32 v45, v45, v40
	v_lshlrev_b32_e32 v47, 2, v0
	v_xad_u32 v129, v45, v46, v44
	v_or_b32_e32 v45, 32, v42
	v_and_or_b32 v41, v47, 60, v41
	v_xor_b32_e32 v45, v49, v45
	v_lshlrev_b32_e32 v41, 1, v41
	v_or_b32_e32 v47, 0x440, v45
	v_or_b32_e32 v130, 0x6000, v41
	v_cndmask_b32_e32 v45, v47, v45, vcc
	v_or_b32_e32 v132, 0x6080, v41
	v_or_b32_e32 v133, 0x6100, v41
	;; [unrolled: 1-line block ×5, first 2 shown]
	v_xor_b32_e32 v41, v49, v41
	v_xad_u32 v131, v45, v46, v44
	v_xor_b32_e32 v45, 0x440, v41
	v_cndmask_b32_e32 v41, v45, v41, vcc
	v_or_b32_e32 v41, v41, v40
	v_xad_u32 v135, v41, v46, v44
	v_or_b32_e32 v41, 0x60, v42
	v_xor_b32_e32 v41, v49, v41
	v_xor_b32_e32 v42, 0x440, v41
	v_cndmask_b32_e32 v41, v42, v41, vcc
	v_xor_b32_e32 v122, v37, v43
	v_ashrrev_i32_e32 v77, 31, v76
	v_lshlrev_b32_e32 v37, 1, v35
	v_add_lshl_u32 v35, v35, s23, 1
	v_or_b32_e32 v43, 0x100, v34
	v_or_b32_e32 v40, v41, v40
	v_xad_u32 v136, v40, v46, v44
	v_cndmask_b32_e64 v137, v37, v34, s[0:1]
	v_cndmask_b32_e64 v138, v35, v43, s[0:1]
	v_lshlrev_b64 v[34:35], 1, v[76:77]
	v_lshl_add_u64 v[80:81], s[16:17], 0, v[34:35]
	v_lshl_add_u64 v[82:83], s[8:9], 0, v[34:35]
	v_lshl_add_u64 v[84:85], v[38:39], 0, v[78:79]
	s_mov_b32 s3, 0x7060302
	v_lshlrev_b32_e32 v78, 1, v36
	v_add_u32_e32 v77, v48, v129
	v_add_u32_e32 v139, v48, v131
	;; [unrolled: 1-line block ×4, first 2 shown]
	s_waitcnt lgkmcnt(0)
	s_barrier
.LBB185_6:                              ; =>This Inner Loop Header: Depth=1
	s_add_i32 s70, s71, 1
	s_cmp_lt_i32 s70, s56
	s_mov_b64 s[28:29], 0
	s_cselect_b64 s[46:47], -1, 0
	s_cmp_ge_i32 s70, s56
	s_mov_b64 s[24:25], 0
	s_cbranch_scc1 .LBB185_8
; %bb.7:                                ;   in Loop: Header=BB185_6 Depth=1
	s_add_i32 s0, s65, 64
	s_add_u32 s0, s4, s0
	s_addc_u32 s1, s5, 0
	s_lshl_b64 s[0:1], s[0:1], 8
	s_add_u32 s24, s14, s0
	s_addc_u32 s25, s15, s1
.LBB185_8:                              ;   in Loop: Header=BB185_6 Depth=1
	v_cndmask_b32_e64 v34, 0, 1, s[46:47]
	v_cmp_ne_u32_e64 s[0:1], 1, v34
	s_andn2_b64 vcc, exec, s[46:47]
	s_cbranch_vccnz .LBB185_10
; %bb.9:                                ;   in Loop: Header=BB185_6 Depth=1
	s_add_i32 s28, s65, 64
	s_add_u32 s28, s68, s28
	s_addc_u32 s29, s69, 0
	s_mul_i32 s31, s28, s57
	s_mul_hi_u32 s46, s28, s62
	s_add_i32 s31, s46, s31
	s_mul_i32 s29, s29, s62
	s_add_i32 s31, s31, s29
	s_mul_i32 s28, s28, s62
	s_add_u32 s28, s28, s58
	s_addc_u32 s29, s31, s63
	s_lshl_b64 s[28:29], s[28:29], 8
	s_add_u32 s28, s12, s28
	s_addc_u32 s29, s13, s29
.LBB185_10:                             ;   in Loop: Header=BB185_6 Depth=1
	v_perm_b32 v35, v9, v8, s3
	v_perm_b32 v34, v7, v6, s3
	v_perm_b32 v37, v5, v4, s3
	v_perm_b32 v36, v3, v2, s3
	ds_write_b64 v99, v[34:35]
	ds_write_b64 v100, v[36:37]
	ds_write_b64 v102, v[34:35]
	ds_write_b64 v103, v[36:37]
	v_perm_b32 v35, v17, v16, s3
	v_perm_b32 v34, v15, v14, s3
	v_perm_b32 v37, v13, v12, s3
	v_perm_b32 v36, v11, v10, s3
	ds_write_b64 v101, v[34:35]
	ds_write_b64 v104, v[36:37]
	ds_write_b64 v105, v[34:35]
	ds_write_b64 v106, v[36:37]
	;; [unrolled: 8-line block ×4, first 2 shown]
	s_waitcnt lgkmcnt(0)
	s_barrier
	ds_read_b64 v[38:39], v115 offset:49152
	ds_read2_b64 v[34:37], v116 offset1:16
	ds_read_b64 v[50:51], v118 offset:6144
	ds_read_b64 v[52:53], v116 offset:6144
	s_waitcnt lgkmcnt(2)
	v_mfma_f32_16x16x16_bf16 a[0:3], v[38:39], v[34:35], 0
	ds_read_b64 v[54:55], v117 offset:49152
	ds_read2st64_b64 v[42:45], v119 offset0:4 offset1:8
	ds_read2st64_b64 v[46:49], v120 offset0:4 offset1:8
	v_mfma_f32_16x16x16_bf16 a[4:7], v[38:39], v[36:37], 0
	ds_read2_b64 v[34:37], v116 offset0:32 offset1:48
	s_add_i32 s31, s65, 63
	s_mul_i32 s46, s31, s37
	s_waitcnt lgkmcnt(0)
	v_mfma_f32_16x16x16_bf16 a[8:11], v[38:39], v[34:35], 0
	s_mul_hi_u32 s47, s31, s36
	s_add_i32 s47, s47, s46
	s_mul_i32 s46, s31, s36
	v_mfma_f32_16x16x16_bf16 a[12:15], v[38:39], v[36:37], 0
	ds_read2st64_b64 v[34:37], v116 offset0:4 offset1:8
	ds_read2st64_b64 v[38:41], v118 offset0:4 offset1:8
	s_lshl_b64 s[46:47], s[46:47], 2
	s_waitcnt lgkmcnt(1)
	v_mfma_f32_16x16x16_bf16 a[0:3], v[54:55], v[34:35], a[0:3]
	s_add_u32 s46, s44, s46
	s_addc_u32 s47, s45, s47
	s_and_b64 vcc, exec, s[0:1]
	s_waitcnt lgkmcnt(0)
	v_mfma_f32_16x16x16_bf16 a[4:7], v[54:55], v[38:39], a[4:7]
	v_mov_b32_e32 v144, 0
	v_mov_b32_e32 v143, 0
	;; [unrolled: 1-line block ×3, first 2 shown]
	v_mfma_f32_16x16x16_bf16 a[8:11], v[54:55], v[42:43], a[8:11]
	ds_read_b64 v[34:35], v121 offset:49152
	ds_read_b64 v[38:39], v122 offset:49152
	;; [unrolled: 1-line block ×3, first 2 shown]
	v_mfma_f32_16x16x16_bf16 a[12:15], v[54:55], v[46:47], a[12:15]
	v_mov_b32_e32 v46, 0
	v_mov_b32_e32 v47, 0
	s_waitcnt lgkmcnt(2)
	v_mfma_f32_16x16x16_bf16 a[0:3], v[34:35], v[36:37], a[0:3]
	v_mov_b32_e32 v36, 0
	v_mov_b32_e32 v37, 0
	v_mfma_f32_16x16x16_bf16 a[16:19], v[34:35], v[40:41], a[4:7]
	v_mov_b32_e32 v40, 0
	v_mov_b32_e32 v41, 0
	;; [unrolled: 3-line block ×3, first 2 shown]
	v_mfma_f32_16x16x16_bf16 a[24:27], v[34:35], v[48:49], a[12:15]
	ds_read_b64 v[34:35], v119 offset:6144
	v_mov_b32_e32 v48, 0
	v_mov_b32_e32 v49, 0
	s_waitcnt lgkmcnt(2)
	v_mfma_f32_16x16x16_bf16 a[4:7], v[38:39], v[52:53], a[0:3]
	v_mfma_f32_16x16x16_bf16 a[8:11], v[38:39], v[50:51], a[16:19]
	s_waitcnt lgkmcnt(0)
	v_mfma_f32_16x16x16_bf16 a[12:15], v[38:39], v[34:35], a[20:23]
	v_mov_b32_e32 v34, 0
	v_mov_b32_e32 v35, 0
	v_mfma_f32_16x16x16_bf16 a[0:3], v[38:39], v[42:43], a[24:27]
	v_mov_b32_e32 v38, 0
	v_mov_b32_e32 v39, 0
	;; [unrolled: 1-line block ×4, first 2 shown]
	s_cbranch_vccnz .LBB185_12
; %bb.11:                               ;   in Loop: Header=BB185_6 Depth=1
	s_and_b32 s25, s25, 0xffff
	buffer_load_dwordx4 v[46:49], v95, s[24:27], 0 offen
	buffer_load_dwordx4 v[42:45], v95, s[24:27], s64 offen
	;; [unrolled: 1-line block ×4, first 2 shown]
	v_mov_b32_e32 v143, v97
	v_mov_b32_e32 v142, v98
.LBB185_12:                             ;   in Loop: Header=BB185_6 Depth=1
	ds_read_b64 v[62:63], v115 offset:57344
	ds_read2_b64 v[50:53], v123 offset1:16
	ds_read_b64 v[146:147], v117 offset:57344
	ds_read_b64 v[148:149], v121 offset:57344
	ds_read_b64 v[150:151], v122 offset:57344
	v_add_u32_e32 v64, s65, v91
	s_waitcnt lgkmcnt(3)
	v_mfma_f32_16x16x16_bf16 a[4:7], v[62:63], v[50:51], a[4:7]
	v_mfma_f32_16x16x16_bf16 a[8:11], v[62:63], v[52:53], a[8:11]
	ds_read2_b64 v[50:53], v123 offset0:32 offset1:48
	ds_read2st64_b64 v[54:57], v123 offset0:4 offset1:8
	ds_read2st64_b64 v[58:61], v124 offset0:4 offset1:8
	s_waitcnt lgkmcnt(2)
	v_mfma_f32_16x16x16_bf16 a[12:15], v[62:63], v[50:51], a[12:15]
	v_ashrrev_i32_e32 v50, 31, v64
	v_mul_lo_u32 v65, v50, s36
	v_mad_u64_u32 v[50:51], s[24:25], v64, s36, 0
	v_mfma_f32_16x16x16_bf16 a[0:3], v[62:63], v[52:53], a[0:3]
	v_mul_lo_u32 v52, v64, s37
	v_add3_u32 v51, v51, v52, v65
	v_add_u32_e32 v52, 1, v64
	v_ashrrev_i32_e32 v53, 31, v52
	s_waitcnt lgkmcnt(1)
	v_mfma_f32_16x16x16_bf16 a[4:7], v[146:147], v[54:55], a[4:7]
	v_mul_lo_u32 v54, v53, s36
	v_mul_lo_u32 v55, v52, s37
	v_mad_u64_u32 v[52:53], s[24:25], v52, s36, 0
	v_add3_u32 v53, v53, v55, v54
	v_add_u32_e32 v54, 2, v64
	v_ashrrev_i32_e32 v55, 31, v54
	v_mul_lo_u32 v62, v55, s36
	v_mul_lo_u32 v63, v54, s37
	v_mad_u64_u32 v[54:55], s[24:25], v54, s36, 0
	v_add3_u32 v55, v55, v63, v62
	v_add_u32_e32 v62, 3, v64
	v_ashrrev_i32_e32 v63, 31, v62
	v_mul_lo_u32 v64, v63, s36
	v_mul_lo_u32 v65, v62, s37
	v_mad_u64_u32 v[62:63], s[24:25], v62, s36, 0
	s_add_u32 s24, s4, s65
	v_lshl_add_u64 v[50:51], v[50:51], 2, s[44:45]
	v_add3_u32 v63, v63, v65, v64
	s_addc_u32 s25, s5, 0
	v_lshl_add_u64 v[52:53], v[52:53], 2, s[44:45]
	global_load_dword v145, v[50:51], off
	v_lshl_add_u64 v[50:51], v[62:63], 2, s[44:45]
	s_lshl_b64 s[24:25], s[24:25], 8
	v_lshl_add_u64 v[54:55], v[54:55], 2, s[44:45]
	global_load_dword v152, v[52:53], off
	global_load_dword v153, v[54:55], off
	;; [unrolled: 1-line block ×3, first 2 shown]
	v_lshl_add_u64 v[50:51], v[80:81], 0, s[24:25]
	v_lshl_add_u64 v[54:55], v[50:51], 0, v[78:79]
	global_load_ushort v155, v[54:55], off offset:256
	global_load_ushort v156, v[54:55], off
	ds_read2st64_b64 v[50:53], v125 offset0:4 offset1:8
	global_load_ushort v157, v[54:55], off offset:768
	global_load_ushort v158, v[54:55], off offset:512
	ds_read2st64_b64 v[62:65], v126 offset0:4 offset1:8
	global_load_ushort v159, v[54:55], off offset:288
	global_load_ushort v160, v[54:55], off offset:32
	;; [unrolled: 1-line block ×4, first 2 shown]
	s_waitcnt lgkmcnt(2)
	v_mfma_f32_16x16x16_bf16 a[8:11], v[146:147], v[58:59], a[8:11]
	global_load_ushort v163, v[54:55], off offset:320
	global_load_ushort v164, v[54:55], off offset:64
	;; [unrolled: 1-line block ×4, first 2 shown]
	s_and_b64 vcc, exec, s[0:1]
	s_waitcnt lgkmcnt(1)
	v_mfma_f32_16x16x16_bf16 a[12:15], v[146:147], v[50:51], a[12:15]
	ds_read_b64 v[50:51], v123 offset:6144
	s_waitcnt lgkmcnt(1)
	v_mfma_f32_16x16x16_bf16 a[0:3], v[146:147], v[62:63], a[0:3]
	v_lshl_add_u64 v[62:63], v[82:83], 0, s[24:25]
	v_lshl_add_u64 v[62:63], v[62:63], 0, v[78:79]
	v_mfma_f32_16x16x16_bf16 a[4:7], v[148:149], v[56:57], a[4:7]
	v_mfma_f32_16x16x16_bf16 a[8:11], v[148:149], v[60:61], a[8:11]
	;; [unrolled: 1-line block ×4, first 2 shown]
	global_load_ushort v148, v[54:55], off offset:352
	global_load_ushort v149, v[54:55], off offset:96
	ds_read_b64 v[52:53], v124 offset:6144
	ds_read_b64 v[56:57], v125 offset:6144
	ds_read_b64 v[58:59], v126 offset:6144
	s_load_dword s46, s[46:47], 0x0
	global_load_ushort v167, v[54:55], off offset:864
	global_load_ushort v168, v[54:55], off offset:608
	s_waitcnt lgkmcnt(0)
	v_mfma_f32_16x16x16_bf16 a[4:7], v[150:151], v[50:51], a[4:7]
	s_waitcnt vmcnt(17)
	v_sub_f32_e32 v60, s46, v153
	v_mfma_f32_16x16x16_bf16 a[0:3], v[150:151], v[58:59], a[0:3]
	v_sub_f32_e32 v58, s46, v145
	v_sub_f32_e32 v59, s46, v152
	s_waitcnt vmcnt(16)
	v_sub_f32_e32 v61, s46, v154
	v_mfma_f32_16x16x16_bf16 a[8:11], v[150:151], v[52:53], a[8:11]
	v_exp_f32_e32 v58, v58
	v_exp_f32_e32 v59, v59
	;; [unrolled: 1-line block ×4, first 2 shown]
	v_accvgpr_read_b32 v147, a5
	s_waitcnt vmcnt(15)
	v_lshlrev_b32_e32 v65, 16, v155
	s_waitcnt vmcnt(14)
	v_lshlrev_b32_e32 v64, 16, v156
	v_accvgpr_read_b32 v146, a4
	v_accvgpr_read_b32 v51, a7
	;; [unrolled: 1-line block ×3, first 2 shown]
	v_pk_add_f32 v[64:65], v[64:65], v[146:147] neg_lo:[0,1] neg_hi:[0,1]
	s_waitcnt vmcnt(13)
	v_lshlrev_b32_e32 v147, 16, v157
	s_waitcnt vmcnt(12)
	v_lshlrev_b32_e32 v146, 16, v158
	v_pk_add_f32 v[50:51], v[146:147], v[50:51] neg_lo:[0,1] neg_hi:[0,1]
	global_store_short_d16_hi v[62:63], v64, off
	global_store_short_d16_hi v[62:63], v65, off offset:256
	global_store_short_d16_hi v[62:63], v50, off offset:512
	;; [unrolled: 1-line block ×3, first 2 shown]
	v_pk_mul_f32 v[64:65], v[58:59], v[64:65]
	v_pk_mul_f32 v[50:51], v[60:61], v[50:51]
	v_accvgpr_read_b32 v147, a9
	v_perm_b32 v64, v65, v64, s3
	v_perm_b32 v65, v51, v50, s3
	s_waitcnt vmcnt(15)
	v_lshlrev_b32_e32 v51, 16, v159
	s_waitcnt vmcnt(14)
	v_lshlrev_b32_e32 v50, 16, v160
	v_accvgpr_read_b32 v146, a8
	v_accvgpr_read_b32 v53, a11
	v_mfma_f32_16x16x16_bf16 a[12:15], v[150:151], v[56:57], a[12:15]
	v_accvgpr_read_b32 v52, a10
	v_pk_add_f32 v[50:51], v[50:51], v[146:147] neg_lo:[0,1] neg_hi:[0,1]
	s_waitcnt vmcnt(13)
	v_lshlrev_b32_e32 v147, 16, v161
	s_waitcnt vmcnt(12)
	v_lshlrev_b32_e32 v146, 16, v162
	v_pk_add_f32 v[52:53], v[146:147], v[52:53] neg_lo:[0,1] neg_hi:[0,1]
	global_store_short_d16_hi v[62:63], v50, off offset:32
	global_store_short_d16_hi v[62:63], v51, off offset:288
	;; [unrolled: 1-line block ×4, first 2 shown]
	v_pk_mul_f32 v[50:51], v[58:59], v[50:51]
	v_pk_mul_f32 v[52:53], v[60:61], v[52:53]
	v_accvgpr_read_b32 v55, a15
	v_perm_b32 v53, v53, v52, s3
	v_perm_b32 v52, v51, v50, s3
	ds_write2_b64 v100, v[64:65], v[52:53] offset1:16
	v_accvgpr_read_b32 v53, a13
	s_waitcnt vmcnt(15)
	v_lshlrev_b32_e32 v51, 16, v163
	s_waitcnt vmcnt(14)
	v_lshlrev_b32_e32 v50, 16, v164
	v_accvgpr_read_b32 v52, a12
	v_accvgpr_read_b32 v54, a14
	v_pk_add_f32 v[50:51], v[50:51], v[52:53] neg_lo:[0,1] neg_hi:[0,1]
	s_waitcnt vmcnt(13)
	v_lshlrev_b32_e32 v53, 16, v165
	s_waitcnt vmcnt(12)
	v_lshlrev_b32_e32 v52, 16, v166
	v_pk_add_f32 v[52:53], v[52:53], v[54:55] neg_lo:[0,1] neg_hi:[0,1]
	global_store_short_d16_hi v[62:63], v50, off offset:64
	global_store_short_d16_hi v[62:63], v51, off offset:320
	;; [unrolled: 1-line block ×4, first 2 shown]
	v_pk_mul_f32 v[50:51], v[58:59], v[50:51]
	v_pk_mul_f32 v[52:53], v[60:61], v[52:53]
	v_accvgpr_read_b32 v55, a1
	v_perm_b32 v50, v51, v50, s3
	v_perm_b32 v51, v53, v52, s3
	s_waitcnt vmcnt(15)
	v_lshlrev_b32_e32 v53, 16, v148
	s_waitcnt vmcnt(14)
	v_lshlrev_b32_e32 v52, 16, v149
	v_accvgpr_read_b32 v54, a0
	v_accvgpr_read_b32 v57, a3
	;; [unrolled: 1-line block ×3, first 2 shown]
	v_pk_add_f32 v[52:53], v[52:53], v[54:55] neg_lo:[0,1] neg_hi:[0,1]
	s_waitcnt vmcnt(13)
	v_lshlrev_b32_e32 v55, 16, v167
	s_waitcnt vmcnt(12)
	v_lshlrev_b32_e32 v54, 16, v168
	v_pk_add_f32 v[54:55], v[54:55], v[56:57] neg_lo:[0,1] neg_hi:[0,1]
	global_store_short_d16_hi v[62:63], v52, off offset:96
	global_store_short_d16_hi v[62:63], v53, off offset:352
	;; [unrolled: 1-line block ×4, first 2 shown]
	v_pk_mul_f32 v[52:53], v[58:59], v[52:53]
	v_pk_mul_f32 v[54:55], v[60:61], v[54:55]
	v_mov_b32_e32 v145, 0
	v_perm_b32 v55, v55, v54, s3
	v_perm_b32 v54, v53, v52, s3
	ds_write2_b64 v100, v[50:51], v[54:55] offset0:32 offset1:48
	v_mov_b32_e32 v50, 0
	v_mov_b32_e32 v51, 0
	;; [unrolled: 1-line block ×16, first 2 shown]
	s_cbranch_vccnz .LBB185_14
; %bb.13:                               ;   in Loop: Header=BB185_6 Depth=1
	s_and_b32 s29, s29, 0xffff
	s_mov_b32 s31, s27
	buffer_load_dwordx4 v[62:65], v137, s[28:31], 0 offen
	buffer_load_dwordx4 v[54:57], v137, s[28:31], s64 offen
	;; [unrolled: 1-line block ×4, first 2 shown]
	v_mov_b32_e32 v144, v94
	v_mov_b32_e32 v145, v93
.LBB185_14:                             ;   in Loop: Header=BB185_6 Depth=1
	s_waitcnt lgkmcnt(0)
	s_barrier
	ds_read_b64 v[154:155], v77
	ds_read2_b64 v[146:149], v130 offset1:16
	ds_read_b64 v[170:171], v139
	ds_read_b64 v[172:173], v140
	;; [unrolled: 1-line block ×3, first 2 shown]
	ds_read2_b64 v[150:153], v130 offset0:32 offset1:48
	s_waitcnt lgkmcnt(4)
	v_mfma_f32_16x16x16_bf16 a[0:3], v[154:155], v[146:147], 0
	ds_read2st64_b64 v[158:161], v132 offset0:4 offset1:8
	ds_read2st64_b64 v[162:165], v133 offset0:4 offset1:8
	;; [unrolled: 1-line block ×3, first 2 shown]
	v_mfma_f32_16x16x16_bf16 a[4:7], v[154:155], v[148:149], 0
	s_add_i32 s24, s59, s71
	s_mul_hi_i32 s25, s24, s21
	s_mul_i32 s24, s24, s21
	s_waitcnt lgkmcnt(3)
	v_mfma_f32_16x16x16_bf16 a[8:11], v[154:155], v[150:151], 0
	s_add_u32 s24, s24, s52
	s_addc_u32 s25, s25, s53
	s_lshl_b64 s[24:25], s[24:25], 15
	v_mfma_f32_16x16x16_bf16 a[12:15], v[154:155], v[152:153], 0
	ds_read2st64_b64 v[154:157], v130 offset0:4 offset1:8
	s_waitcnt lgkmcnt(0)
	v_mfma_f32_16x16x16_bf16 a[0:3], v[170:171], v[154:155], a[0:3]
	v_mfma_f32_16x16x16_bf16 a[4:7], v[170:171], v[158:159], a[4:7]
	;; [unrolled: 1-line block ×8, first 2 shown]
	ds_read_b64 v[170:171], v130 offset:6144
	ds_read_b64 v[172:173], v131 offset:40960
	;; [unrolled: 1-line block ×8, first 2 shown]
	s_waitcnt lgkmcnt(5)
	v_mfma_f32_16x16x16_bf16 a[16:19], v[176:177], v[146:147], 0
	v_mfma_f32_16x16x16_bf16 a[20:23], v[176:177], v[148:149], 0
	ds_read2st64_b64 v[146:149], v127 offset1:8
	v_mfma_f32_16x16x16_bf16 a[24:27], v[176:177], v[150:151], 0
	v_mfma_f32_16x16x16_bf16 a[28:31], v[176:177], v[152:153], 0
	ds_read2st64_b64 v[150:153], v128 offset1:8
	v_mfma_f32_16x16x16_bf16 a[16:19], v[172:173], v[154:155], a[16:19]
	s_waitcnt lgkmcnt(1)
	v_mov_b32_e32 v154, v146
	v_mov_b32_e32 v155, v147
	v_mfma_f32_16x16x16_bf16 a[20:23], v[172:173], v[158:159], a[20:23]
	v_lshl_add_u64 v[158:159], v[84:85], 0, s[24:25]
	v_mfma_f32_16x16x16_bf16 a[24:27], v[172:173], v[162:163], a[24:27]
	v_mfma_f32_16x16x16_bf16 a[28:31], v[172:173], v[166:167], a[28:31]
	;; [unrolled: 1-line block ×3, first 2 shown]
	s_waitcnt lgkmcnt(0)
	v_mov_b32_e32 v156, v150
	v_mov_b32_e32 v157, v151
	;; [unrolled: 1-line block ×3, first 2 shown]
	v_mfma_f32_16x16x16_bf16 a[32:35], v[184:185], v[160:161], a[20:23]
	v_mov_b32_e32 v151, v149
	ds_read2st64_b64 v[146:149], v127 offset0:16 offset1:24
	global_store_dwordx4 v[158:159], v[154:157], off
	v_mfma_f32_16x16x16_bf16 a[24:27], v[184:185], v[164:165], a[24:27]
	ds_read2st64_b64 v[154:157], v128 offset0:16 offset1:24
	v_add_co_u32_e32 v160, vcc, s39, v158
	v_mfma_f32_16x16x16_bf16 a[28:31], v[184:185], v[168:169], a[28:31]
	s_nop 0
	v_addc_co_u32_e32 v161, vcc, 0, v159, vcc
	global_store_dwordx4 v[160:161], v[150:153], off offset:-4096
	v_mfma_f32_16x16x16_bf16 a[0:3], v[174:175], v[170:171], a[0:3]
	s_waitcnt lgkmcnt(1)
	v_mov_b32_e32 v150, v146
	v_add_co_u32_e32 v146, vcc, s41, v158
	v_mfma_f32_16x16x16_bf16 a[4:7], v[174:175], v[178:179], a[4:7]
	v_mov_b32_e32 v151, v147
	v_addc_co_u32_e32 v147, vcc, 0, v159, vcc
	v_mfma_f32_16x16x16_bf16 a[8:11], v[174:175], v[180:181], a[8:11]
	s_waitcnt lgkmcnt(0)
	v_mov_b32_e32 v152, v154
	v_mov_b32_e32 v153, v155
	;; [unrolled: 1-line block ×3, first 2 shown]
	v_mfma_f32_16x16x16_bf16 a[12:15], v[174:175], v[182:183], a[12:15]
	v_mov_b32_e32 v155, v149
	s_and_b64 vcc, exec, s[0:1]
	global_store_dwordx4 v[160:161], v[150:153], off
	v_mfma_f32_16x16x16_bf16 a[20:23], v[186:187], v[170:171], a[16:19]
	global_store_dwordx4 v[146:147], v[154:157], off
	v_mfma_f32_16x16x16_bf16 a[16:19], v[186:187], v[178:179], a[32:35]
	v_mfma_f32_16x16x16_bf16 a[24:27], v[186:187], v[180:181], a[24:27]
	;; [unrolled: 1-line block ×3, first 2 shown]
	s_cbranch_vccnz .LBB185_16
; %bb.15:                               ;   in Loop: Header=BB185_6 Depth=1
	v_lshrrev_b32_e32 v146, 3, v144
	v_and_b32_e32 v146, 6, v146
	v_xor_b32_e32 v145, v146, v145
	v_lshlrev_b32_e32 v145, 2, v145
	v_and_b32_e32 v144, 8, v144
	v_xor_b32_e32 v147, 0x440, v145
	v_cmp_eq_u32_e32 vcc, 0, v144
	s_barrier
	s_nop 0
	v_cndmask_b32_e32 v144, v147, v145, vcc
	v_lshl_or_b32 v144, v146, 10, v144
	s_waitcnt vmcnt(5)
	v_perm_b32 v145, v62, v58, s66
	s_waitcnt vmcnt(4)
	v_perm_b32 v146, v54, v50, s66
	ds_write2st64_b32 v144, v145, v146 offset0:128 offset1:160
	v_xor_b32_e32 v145, 8, v144
	v_perm_b32 v58, v62, v58, s67
	v_perm_b32 v50, v54, v50, s67
	v_add_u32_e32 v54, 0x80, v145
	ds_write2st64_b32 v54, v58, v50 offset0:128 offset1:160
	v_xor_b32_e32 v50, 16, v144
	v_perm_b32 v54, v63, v59, s66
	v_perm_b32 v58, v55, v51, s66
	ds_write2st64_b32 v50, v54, v58 offset0:129 offset1:161
	v_xor_b32_e32 v50, 24, v144
	v_perm_b32 v54, v63, v59, s67
	v_perm_b32 v51, v55, v51, s67
	v_add_u32_e32 v50, 0x80, v50
	ds_write2st64_b32 v50, v54, v51 offset0:129 offset1:161
	v_xor_b32_e32 v50, 32, v144
	v_perm_b32 v51, v64, v60, s66
	;; [unrolled: 9-line block ×3, first 2 shown]
	v_perm_b32 v52, v57, v53, s66
	ds_write2st64_b32 v50, v51, v52 offset0:131 offset1:163
	v_xor_b32_e32 v50, 56, v144
	v_perm_b32 v51, v65, v61, s67
	v_perm_b32 v52, v57, v53, s67
	v_add_u32_e32 v50, 0x80, v50
	ds_write2st64_b32 v50, v51, v52 offset0:131 offset1:163
	ds_write_b64 v143, v[46:47] offset:49152
	v_xor_b32_e32 v46, 8, v143
	ds_write_b64 v46, v[48:49] offset:49152
	ds_write_b64 v143, v[42:43] offset:57344
	;; [unrolled: 1-line block ×4, first 2 shown]
	v_xor_b32_e32 v38, 8, v142
	ds_write_b64 v38, v[40:41] offset:49152
	ds_write_b64 v142, v[34:35] offset:57344
	;; [unrolled: 1-line block ×3, first 2 shown]
.LBB185_16:                             ;   in Loop: Header=BB185_6 Depth=1
	v_exp_f32_e32 v142, s46
	v_accvgpr_read_b32 v37, a3
	v_accvgpr_read_b32 v41, a7
	;; [unrolled: 1-line block ×4, first 2 shown]
	s_waitcnt vmcnt(4)
	v_accvgpr_read_b32 v53, a23
	v_accvgpr_read_b32 v57, a19
	;; [unrolled: 1-line block ×28, first 2 shown]
	s_add_i32 s65, s65, 64
	v_pk_fma_f32 v[6:7], v[6:7], v[142:143], v[34:35] op_sel_hi:[1,0,1]
	v_pk_fma_f32 v[8:9], v[8:9], v[142:143], v[36:37] op_sel_hi:[1,0,1]
	;; [unrolled: 1-line block ×15, first 2 shown]
	s_cmp_eq_u32 s56, s70
	v_pk_fma_f32 v[28:29], v[28:29], v[142:143], v[64:65] op_sel_hi:[1,0,1]
	s_cbranch_scc1 .LBB185_18
; %bb.17:                               ;   in Loop: Header=BB185_6 Depth=1
	s_mov_b32 s71, s70
	s_branch .LBB185_6
.LBB185_18:
	s_lshl_b32 s30, s56, 6
	s_sub_i32 s31, s20, s30
	s_cmp_gt_i32 s31, 0
	s_cbranch_scc0 .LBB185_99
; %bb.19:
	s_ashr_i32 s3, s30, 31
	s_cmpk_lg_i32 s23, 0x80
	s_cselect_b64 s[26:27], -1, 0
	s_and_b64 vcc, exec, s[26:27]
	s_cbranch_vccz .LBB185_21
; %bb.20:
	s_mul_i32 s1, s55, s20
	s_mul_hi_i32 s0, s55, s20
	s_add_u32 s1, s1, s30
	s_addc_u32 s0, s0, s3
	s_mul_i32 s5, s1, s57
	s_mul_hi_u32 s24, s1, s22
	s_add_i32 s5, s24, s5
	s_mul_i32 s0, s0, s22
	s_add_i32 s5, s5, s0
	s_mul_i32 s1, s1, s22
	s_ashr_i32 s0, s58, 31
	s_add_u32 s28, s1, s58
	s_addc_u32 s29, s5, s0
	s_cbranch_execz .LBB185_22
	s_branch .LBB185_23
.LBB185_21:
                                        ; implicit-def: $sgpr28_sgpr29
.LBB185_22:
	s_mul_hi_i32 s0, s55, s22
	s_mul_i32 s55, s55, s22
	s_ashr_i32 s1, s58, 31
	s_add_u32 s5, s55, s58
	s_addc_u32 s0, s0, s1
	s_mul_i32 s1, s5, s54
	s_mul_hi_u32 s22, s5, s20
	s_add_i32 s1, s22, s1
	s_mul_i32 s0, s0, s20
	s_add_i32 s1, s1, s0
	s_mul_i32 s5, s5, s20
	s_add_u32 s28, s5, s30
	s_addc_u32 s29, s1, s3
.LBB185_23:
	s_mul_i32 s0, s42, s54
	s_add_i32 s0, s61, s0
	s_add_i32 s5, s59, s56
	;; [unrolled: 1-line block ×3, first 2 shown]
	s_add_u32 s0, s4, s30
	v_lshlrev_b32_e32 v38, 6, v91
	v_lshlrev_b32_e32 v56, 2, v88
	s_addc_u32 s1, s1, s3
	s_mov_b32 s3, 0x7060302
	v_or_b32_e32 v41, v38, v56
	v_xor_b32_e32 v39, v91, v56
	s_waitcnt vmcnt(7)
	v_perm_b32 v35, v9, v8, s3
	v_perm_b32 v34, v7, v6, s3
	s_waitcnt vmcnt(6)
	v_perm_b32 v37, v5, v4, s3
	v_perm_b32 v36, v3, v2, s3
	v_lshlrev_b32_e32 v41, 1, v41
	v_xor_b32_e32 v40, v92, v56
	ds_write2st64_b64 v41, v[34:35], v[36:37] offset0:32 offset1:48
	v_lshlrev_b32_e32 v39, 1, v39
	v_lshlrev_b32_e32 v41, 8, v88
	v_or_b32_e32 v42, v39, v41
	v_lshlrev_b32_e32 v40, 1, v40
	ds_write_b64 v42, v[34:35]
	v_or_b32_e32 v34, v40, v41
	v_or_b32_e32 v41, 16, v88
	v_lshlrev_b32_e32 v55, 2, v41
	v_or_b32_e32 v42, v38, v55
	ds_write_b64 v34, v[36:37]
	s_waitcnt vmcnt(5)
	v_perm_b32 v35, v17, v16, s3
	v_perm_b32 v34, v15, v14, s3
	s_waitcnt vmcnt(4)
	v_perm_b32 v37, v13, v12, s3
	v_perm_b32 v36, v11, v10, s3
	v_lshlrev_b32_e32 v42, 1, v42
	v_lshlrev_b32_e32 v41, 8, v41
	ds_write2st64_b64 v42, v[34:35], v[36:37] offset0:32 offset1:48
	v_or_b32_e32 v42, v39, v41
	ds_write_b64 v42, v[34:35]
	v_or_b32_e32 v34, v40, v41
	v_or_b32_e32 v41, 32, v88
	v_lshlrev_b32_e32 v54, 2, v41
	v_or_b32_e32 v42, v38, v54
	ds_write_b64 v34, v[36:37]
	s_waitcnt vmcnt(3)
	v_perm_b32 v35, v25, v24, s3
	v_perm_b32 v34, v23, v22, s3
	s_waitcnt vmcnt(2)
	v_perm_b32 v37, v21, v20, s3
	v_perm_b32 v36, v19, v18, s3
	v_lshlrev_b32_e32 v42, 1, v42
	v_lshlrev_b32_e32 v41, 8, v41
	s_lshl_b64 s[24:25], s[0:1], 8
	ds_write2st64_b64 v42, v[34:35], v[36:37] offset0:32 offset1:48
	v_or_b32_e32 v42, v39, v41
	s_waitcnt lgkmcnt(0)
	s_add_u32 s0, s14, s24
	ds_write_b64 v42, v[34:35]
	v_or_b32_e32 v34, v40, v41
	s_addc_u32 s1, s15, s25
	ds_write_b64 v34, v[36:37]
	s_waitcnt vmcnt(1)
	v_perm_b32 v35, v33, v32, s3
	v_perm_b32 v34, v31, v30, s3
	s_waitcnt vmcnt(0)
	v_perm_b32 v37, v29, v28, s3
	v_perm_b32 v36, v27, v26, s3
	v_or_b32_e32 v41, 48, v88
	s_mul_hi_i32 s3, s5, s21
	s_mul_i32 s5, s5, s21
	v_lshlrev_b32_e32 v51, 2, v41
	s_add_u32 s4, s5, s52
	v_or_b32_e32 v38, v38, v51
	s_addc_u32 s5, s3, s53
	v_lshlrev_b32_e32 v38, 1, v38
	s_ashr_i32 s3, s2, 31
	s_lshl_b64 s[4:5], s[4:5], 15
	ds_write2st64_b64 v38, v[34:35], v[36:37] offset0:32 offset1:48
	v_lshlrev_b32_e32 v38, 8, v41
	s_add_u32 s4, s6, s4
	v_or_b32_e32 v39, v39, v38
	s_addc_u32 s5, s7, s5
	s_lshl_b64 s[2:3], s[2:3], 8
	ds_write_b64 v39, v[34:35]
	v_or_b32_e32 v34, v40, v38
	s_add_u32 s2, s4, s2
	v_lshlrev_b32_e32 v35, 1, v88
	ds_write_b64 v34, v[36:37]
	v_lshrrev_b32_e32 v34, 4, v0
	s_addc_u32 s3, s5, s3
	v_or_b32_e32 v36, 1, v35
	v_lshlrev_b32_e32 v42, 4, v88
	v_mov_b32_e32 v43, 0
	v_xor_b32_e32 v35, v34, v35
	v_xor_b32_e32 v38, v36, v34
	v_lshl_add_u64 v[44:45], s[2:3], 0, v[42:43]
	v_lshlrev_b32_e32 v42, 8, v34
	v_lshl_or_b32 v48, v35, 3, v42
	v_lshl_or_b32 v49, v38, 3, v42
	s_waitcnt lgkmcnt(0)
	s_barrier
	ds_read2st64_b64 v[34:37], v48 offset1:8
	ds_read2st64_b64 v[38:41], v49 offset1:8
	v_lshl_add_u64 v[46:47], v[44:45], 0, v[42:43]
	s_movk_i32 s2, 0x2000
	s_cmp_lg_u32 s31, 64
	s_waitcnt lgkmcnt(1)
	v_mov_b32_e32 v42, v34
	v_mov_b32_e32 v43, v35
	s_waitcnt lgkmcnt(0)
	v_mov_b32_e32 v44, v38
	v_mov_b32_e32 v45, v39
	global_store_dwordx4 v[46:47], v[42:45], off
	v_mov_b32_e32 v38, v36
	v_mov_b32_e32 v39, v37
	ds_read2st64_b64 v[34:37], v48 offset0:16 offset1:24
	ds_read2st64_b64 v[42:45], v49 offset0:16 offset1:24
	v_add_co_u32_e32 v48, vcc, s2, v46
	s_cselect_b64 s[14:15], -1, 0
	s_nop 0
	v_addc_co_u32_e32 v49, vcc, 0, v47, vcc
	global_store_dwordx4 v[48:49], v[38:41], off offset:-4096
	v_lshl_or_b32 v62, v1, 3, v90
	s_mov_b32 s4, 0
	s_waitcnt lgkmcnt(1)
	v_mov_b32_e32 v38, v34
	v_add_co_u32_e32 v34, vcc, 0x3000, v46
	v_mov_b32_e32 v39, v35
	s_nop 0
	v_addc_co_u32_e32 v35, vcc, 0, v47, vcc
	s_waitcnt lgkmcnt(0)
	v_mov_b32_e32 v40, v42
	v_mov_b32_e32 v41, v43
	;; [unrolled: 1-line block ×4, first 2 shown]
	v_or_b32_e32 v52, 32, v62
	v_and_b32_e32 v50, 56, v89
	s_and_b64 vcc, exec, s[14:15]
	global_store_dwordx4 v[48:49], v[38:41], off
	global_store_dwordx4 v[34:35], v[42:45], off
	s_cbranch_vccz .LBB185_29
; %bb.24:
	s_mov_b32 s6, s4
	s_mov_b32 s7, s4
	;; [unrolled: 1-line block ×3, first 2 shown]
	v_mov_b64_e32 v[40:41], s[6:7]
	v_mov_b64_e32 v[38:39], s[4:5]
	;; [unrolled: 1-line block ×3, first 2 shown]
	v_cmp_gt_i32_e32 vcc, s31, v62
	v_mov_b64_e32 v[36:37], v[40:41]
	s_and_saveexec_b64 s[2:3], vcc
	s_cbranch_execz .LBB185_26
; %bb.25:
	v_lshlrev_b32_e32 v34, 8, v62
	v_mov_b32_e32 v35, 0
	v_lshl_add_u64 v[36:37], s[0:1], 0, v[34:35]
	v_lshlrev_b32_e32 v34, 1, v50
	v_lshl_add_u64 v[42:43], v[36:37], 0, v[34:35]
	global_load_dwordx4 v[38:41], v[42:43], off
	global_load_dwordx4 v[34:37], v[42:43], off offset:128
.LBB185_26:
	s_or_b64 exec, exec, s[2:3]
	s_mov_b32 s6, s4
	s_mov_b32 s7, s4
	s_mov_b32 s5, s4
	v_mov_b64_e32 v[48:49], s[6:7]
	v_mov_b64_e32 v[46:47], s[4:5]
	;; [unrolled: 1-line block ×3, first 2 shown]
	v_cmp_gt_i32_e32 vcc, s31, v52
	v_lshlrev_b32_e32 v53, 7, v52
	v_mov_b64_e32 v[44:45], v[48:49]
	s_and_saveexec_b64 s[2:3], vcc
	s_cbranch_execz .LBB185_28
; %bb.27:
	v_lshlrev_b32_e32 v42, 1, v53
	v_mov_b32_e32 v43, 0
	v_lshl_add_u64 v[44:45], s[0:1], 0, v[42:43]
	v_lshlrev_b32_e32 v42, 1, v50
	v_lshl_add_u64 v[58:59], v[44:45], 0, v[42:43]
	global_load_dwordx4 v[46:49], v[58:59], off
	global_load_dwordx4 v[42:45], v[58:59], off offset:128
.LBB185_28:
	s_or_b64 exec, exec, s[2:3]
	v_lshrrev_b32_e32 v57, 3, v50
	v_lshlrev_b32_e32 v58, 3, v62
	v_or_b32_e32 v57, v58, v57
	v_lshlrev_b32_e32 v57, 4, v57
	v_and_b32_e32 v58, 0x78, v58
	v_xor_b32_e32 v57, v57, v58
	s_branch .LBB185_31
.LBB185_29:
                                        ; implicit-def: $vgpr57
                                        ; implicit-def: $vgpr53
                                        ; implicit-def: $vgpr38_vgpr39_vgpr40_vgpr41
                                        ; implicit-def: $vgpr34_vgpr35_vgpr36_vgpr37
                                        ; implicit-def: $vgpr46_vgpr47_vgpr48_vgpr49
                                        ; implicit-def: $vgpr42_vgpr43_vgpr44_vgpr45
	s_cbranch_execz .LBB185_31
; %bb.30:
	s_waitcnt vmcnt(0)
	v_lshlrev_b32_e32 v34, 1, v50
	v_lshl_or_b32 v53, v62, 8, v34
	s_and_b32 s1, s1, 0xffff
	s_mov_b32 s3, 0x20000
	s_movk_i32 s2, 0x4000
	v_lshl_or_b32 v57, v52, 8, v34
	s_movk_i32 s4, 0x80
	buffer_load_dwordx4 v[38:41], v53, s[0:3], 0 offen
	buffer_load_dwordx4 v[34:37], v53, s[0:3], s4 offen
	;; [unrolled: 1-line block ×4, first 2 shown]
	v_lshrrev_b32_e32 v53, 3, v50
	v_lshlrev_b32_e32 v57, 3, v62
	v_or_b32_e32 v53, v57, v53
	v_lshlrev_b32_e32 v53, 4, v53
	v_and_b32_e32 v57, 0x78, v57
	v_xor_b32_e32 v57, v53, v57
	v_lshlrev_b32_e32 v53, 7, v52
.LBB185_31:
	s_movk_i32 s0, 0x1000
	v_and_or_b32 v52, v53, s0, v57
	s_waitcnt vmcnt(1)
	ds_write_b64 v57, v[38:39] offset:49152
	v_xor_b32_e32 v38, 8, v57
	ds_write_b64 v38, v[40:41] offset:49152
	s_waitcnt vmcnt(0)
	ds_write_b64 v57, v[34:35] offset:57344
	ds_write_b64 v38, v[36:37] offset:57344
	;; [unrolled: 1-line block ×3, first 2 shown]
	v_xor_b32_e32 v34, 8, v52
	ds_write_b64 v34, v[48:49] offset:49152
	ds_write_b64 v52, v[42:43] offset:57344
	;; [unrolled: 1-line block ×3, first 2 shown]
	v_or_b32_e32 v34, v86, v88
	v_lshlrev_b32_e32 v34, 3, v34
	v_lshrrev_b32_e32 v35, 5, v67
	s_movk_i32 s0, 0xf8
	v_and_or_b32 v35, v34, s0, v35
	v_lshlrev_b32_e32 v39, 4, v35
	v_lshlrev_b32_e32 v57, 11, v1
	v_and_b32_e32 v40, 0x78, v34
	v_or_b32_e32 v42, 32, v39
	v_and_b32_e32 v38, 0x1000, v57
	v_lshrrev_b32_e32 v35, 1, v67
	v_xor_b32_e32 v42, v42, v40
	v_xor_b32_e32 v34, v39, v40
	v_and_b32_e32 v41, 8, v35
	v_or_b32_e32 v42, v42, v38
	v_or_b32_e32 v34, v34, v38
	v_xor_b32_e32 v64, v42, v41
	v_or_b32_e32 v42, 64, v39
	v_xor_b32_e32 v63, v34, v41
	v_xor_b32_e32 v42, v42, v40
	s_waitcnt lgkmcnt(0)
	s_barrier
	v_or_b32_e32 v45, v42, v38
	ds_read_b64 v[42:43], v63 offset:49152
	v_lshl_or_b32 v46, v87, 8, v56
	v_lshlrev_b32_e32 v58, 1, v46
	v_add_u32_e32 v44, 0x4000, v58
	ds_read2_b64 v[34:37], v44 offset1:16
	v_or_b32_e32 v39, 0x60, v39
	v_xor_b32_e32 v39, v39, v40
	v_or_b32_e32 v38, v39, v38
	v_xor_b32_e32 v65, v45, v41
	v_xor_b32_e32 v77, v38, v41
	ds_read_b64 v[52:53], v64 offset:49152
	ds_read_b64 v[78:79], v65 offset:49152
	;; [unrolled: 1-line block ×3, first 2 shown]
	s_waitcnt lgkmcnt(3)
	v_mfma_f32_16x16x16_bf16 a[0:3], v[42:43], v[34:35], 0
	ds_read2st64_b64 v[38:41], v58 offset0:36 offset1:40
	s_lshl_b64 s[0:1], s[28:29], 8
	s_add_u32 s4, s12, s0
	v_mfma_f32_16x16x16_bf16 a[4:7], v[42:43], v[36:37], 0
	ds_read2_b64 v[34:37], v44 offset0:32 offset1:48
	s_addc_u32 s5, s13, s1
	s_add_i32 s1, s48, s33
	s_waitcnt lgkmcnt(0)
	v_mfma_f32_16x16x16_bf16 a[8:11], v[42:43], v[34:35], 0
	v_or_b32_e32 v34, 64, v46
	v_lshlrev_b32_e32 v59, 1, v34
	s_add_i32 s0, s20, -1
	v_mfma_f32_16x16x16_bf16 a[12:15], v[42:43], v[36:37], 0
	ds_read2st64_b64 v[34:37], v59 offset0:36 offset1:40
	s_add_i32 s41, s1, s43
	s_add_i32 s1, s50, s49
	v_mfma_f32_16x16x16_bf16 a[0:3], v[52:53], v[38:39], a[0:3]
	v_or_b32_e32 v38, 0x80, v46
	v_lshlrev_b32_e32 v60, 1, v38
	ds_read2st64_b64 v[42:45], v60 offset0:36 offset1:40
	s_waitcnt lgkmcnt(1)
	v_mfma_f32_16x16x16_bf16 a[4:7], v[52:53], v[34:35], a[4:7]
	v_or_b32_e32 v34, 0xc0, v46
	v_lshlrev_b32_e32 v61, 1, v34
	ds_read2st64_b64 v[46:49], v61 offset0:36 offset1:40
	s_add_i32 s39, s1, s51
	s_ashr_i32 s1, s0, 31
	s_mul_i32 s2, s0, s37
	s_mul_hi_u32 s3, s0, s36
	s_add_i32 s2, s3, s2
	s_mul_i32 s1, s1, s36
	s_waitcnt lgkmcnt(1)
	v_mfma_f32_16x16x16_bf16 a[8:11], v[52:53], v[42:43], a[8:11]
	s_add_i32 s1, s2, s1
	s_lshl_b64 s[2:3], s[40:41], 2
	s_add_u32 s6, s18, s2
	s_waitcnt lgkmcnt(0)
	v_mfma_f32_16x16x16_bf16 a[12:15], v[52:53], v[46:47], a[12:15]
	s_addc_u32 s7, s19, s3
	s_lshl_b64 s[2:3], s[38:39], 2
	s_mul_i32 s0, s0, s36
	v_mfma_f32_16x16x16_bf16 a[0:3], v[78:79], v[40:41], a[0:3]
	ds_read_b64 v[34:35], v58 offset:22528
	s_add_u32 s12, s6, s2
	s_addc_u32 s13, s7, s3
	v_mfma_f32_16x16x16_bf16 a[4:7], v[78:79], v[36:37], a[4:7]
	ds_read_b64 v[36:37], v59 offset:22528
	ds_read_b64 v[38:39], v60 offset:22528
	;; [unrolled: 1-line block ×3, first 2 shown]
	s_lshl_b64 s[0:1], s[0:1], 2
	s_add_u32 s0, s12, s0
	v_mfma_f32_16x16x16_bf16 a[8:11], v[78:79], v[44:45], a[8:11]
	s_addc_u32 s1, s13, s1
	s_load_dword s18, s[0:1], 0x0
	s_and_b64 vcc, exec, s[26:27]
	v_mfma_f32_16x16x16_bf16 a[12:15], v[78:79], v[48:49], a[12:15]
	s_waitcnt lgkmcnt(0)
	v_mfma_f32_16x16x16_bf16 a[0:3], v[80:81], v[34:35], a[0:3]
	v_mfma_f32_16x16x16_bf16 a[4:7], v[80:81], v[36:37], a[4:7]
	;; [unrolled: 1-line block ×4, first 2 shown]
	s_cbranch_vccz .LBB185_42
; %bb.32:
	v_lshlrev_b32_e32 v52, 1, v62
	s_and_b64 vcc, exec, s[14:15]
	s_cbranch_vccz .LBB185_43
; %bb.33:
	v_cmp_gt_i32_e32 vcc, s31, v52
	v_mov_b32_e32 v38, 0
	v_mov_b32_e32 v34, 0
	;; [unrolled: 1-line block ×5, first 2 shown]
	s_and_saveexec_b64 s[0:1], vcc
	s_cbranch_execz .LBB185_35
; %bb.34:
	v_mad_i64_i32 v[34:35], s[2:3], s23, v52, 0
	v_lshl_add_u64 v[34:35], v[34:35], 1, s[4:5]
	v_lshlrev_b32_e32 v36, 1, v50
	v_mov_b32_e32 v37, 0
	v_lshl_add_u64 v[34:35], v[34:35], 0, v[36:37]
	global_load_dwordx4 v[34:37], v[34:35], off
.LBB185_35:
	s_or_b64 exec, exec, s[0:1]
	v_or_b32_e32 v53, 1, v52
	v_cmp_gt_i32_e64 s[0:1], s31, v53
	v_mov_b32_e32 v39, 0
	v_mov_b32_e32 v40, 0
	;; [unrolled: 1-line block ×3, first 2 shown]
	s_and_saveexec_b64 s[2:3], s[0:1]
	s_cbranch_execz .LBB185_37
; %bb.36:
	v_mad_i64_i32 v[38:39], s[6:7], s23, v53, 0
	v_lshl_add_u64 v[38:39], v[38:39], 1, s[4:5]
	v_lshlrev_b32_e32 v40, 1, v50
	v_mov_b32_e32 v41, 0
	v_lshl_add_u64 v[38:39], v[38:39], 0, v[40:41]
	global_load_dwordx4 v[38:41], v[38:39], off
.LBB185_37:
	s_or_b64 exec, exec, s[2:3]
	v_mov_b32_e32 v49, 0
	v_mov_b32_e32 v42, 0
	;; [unrolled: 1-line block ×5, first 2 shown]
	s_and_saveexec_b64 s[2:3], vcc
	s_cbranch_execz .LBB185_39
; %bb.38:
	v_mad_i64_i32 v[42:43], s[6:7], s23, v52, 0
	v_lshl_add_u64 v[42:43], v[42:43], 1, s[4:5]
	v_lshlrev_b32_e32 v44, 1, v50
	v_mov_b32_e32 v45, 0
	v_lshl_add_u64 v[42:43], v[42:43], 0, v[44:45]
	global_load_dwordx4 v[42:45], v[42:43], off offset:128
.LBB185_39:
	s_or_b64 exec, exec, s[2:3]
	v_mov_b32_e32 v48, 0
	v_mov_b32_e32 v47, 0
	;; [unrolled: 1-line block ×3, first 2 shown]
	s_and_saveexec_b64 s[2:3], s[0:1]
	s_cbranch_execz .LBB185_41
; %bb.40:
	v_mad_i64_i32 v[46:47], s[0:1], s23, v53, 0
	v_lshl_add_u64 v[46:47], v[46:47], 1, s[4:5]
	v_lshlrev_b32_e32 v48, 1, v50
	v_mov_b32_e32 v49, 0
	v_lshl_add_u64 v[46:47], v[46:47], 0, v[48:49]
	global_load_dwordx4 v[46:49], v[46:47], off offset:128
.LBB185_41:
	s_or_b64 exec, exec, s[2:3]
	s_branch .LBB185_45
.LBB185_42:
                                        ; implicit-def: $vgpr37
                                        ; implicit-def: $vgpr41
                                        ; implicit-def: $vgpr45
                                        ; implicit-def: $vgpr49
	v_lshrrev_b32_e32 v67, 2, v67
	s_branch .LBB185_46
.LBB185_43:
                                        ; implicit-def: $vgpr37
                                        ; implicit-def: $vgpr41
                                        ; implicit-def: $vgpr45
                                        ; implicit-def: $vgpr49
	s_cbranch_execz .LBB185_45
; %bb.44:
	s_waitcnt vmcnt(0)
	v_mad_u64_u32 v[34:35], s[0:1], v52, s23, v[50:51]
	v_lshlrev_b32_e32 v52, 1, v34
	s_lshl_b32 s2, s23, 7
	s_and_b32 s1, s5, 0xffff
	s_mov_b32 s3, 0x20000
	s_mov_b32 s0, s4
	v_add_lshl_u32 v53, v34, s23, 1
	s_movk_i32 s6, 0x80
	buffer_load_dwordx4 v[34:37], v52, s[0:3], 0 offen
	buffer_load_dwordx4 v[42:45], v52, s[0:3], s6 offen
	;; [unrolled: 1-line block ×4, first 2 shown]
.LBB185_45:
	v_lshrrev_b32_e32 v67, 2, v67
	s_cbranch_execnz .LBB185_58
.LBB185_46:
	s_and_b64 vcc, exec, s[14:15]
	s_cbranch_vccz .LBB185_56
; %bb.47:
	s_waitcnt vmcnt(0)
	v_lshlrev_b32_e32 v39, 1, v62
	v_cmp_gt_i32_e32 vcc, s31, v39
	v_mov_b32_e32 v38, 0
	v_lshlrev_b32_e32 v46, 9, v62
	v_mov_b32_e32 v34, 0
	v_mov_b32_e32 v35, 0
	;; [unrolled: 1-line block ×4, first 2 shown]
	s_and_saveexec_b64 s[0:1], vcc
	s_cbranch_execz .LBB185_49
; %bb.48:
	v_mov_b32_e32 v47, 0
	v_lshl_add_u64 v[34:35], s[4:5], 0, v[46:47]
	v_lshlrev_b32_e32 v36, 1, v50
	v_mov_b32_e32 v37, v47
	v_lshl_add_u64 v[34:35], v[34:35], 0, v[36:37]
	global_load_dwordx4 v[34:37], v[34:35], off
.LBB185_49:
	s_or_b64 exec, exec, s[0:1]
	v_or_b32_e32 v39, 1, v39
	v_cmp_gt_i32_e64 s[0:1], s31, v39
	v_lshlrev_b32_e32 v52, 8, v39
	v_mov_b32_e32 v39, 0
	v_mov_b32_e32 v40, 0
	;; [unrolled: 1-line block ×3, first 2 shown]
	s_and_saveexec_b64 s[2:3], s[0:1]
	s_cbranch_execz .LBB185_51
; %bb.50:
	v_mov_b32_e32 v53, 0
	v_lshl_add_u64 v[38:39], s[4:5], 0, v[52:53]
	v_lshlrev_b32_e32 v40, 1, v50
	v_mov_b32_e32 v41, v53
	v_lshl_add_u64 v[38:39], v[38:39], 0, v[40:41]
	global_load_dwordx4 v[38:41], v[38:39], off
.LBB185_51:
	s_or_b64 exec, exec, s[2:3]
	v_mov_b32_e32 v49, 0
	v_mov_b32_e32 v42, 0
	;; [unrolled: 1-line block ×5, first 2 shown]
	s_and_saveexec_b64 s[2:3], vcc
	s_cbranch_execz .LBB185_53
; %bb.52:
	v_mov_b32_e32 v47, 0
	v_lshl_add_u64 v[42:43], s[4:5], 0, v[46:47]
	v_lshlrev_b32_e32 v46, 1, v50
	v_lshl_add_u64 v[42:43], v[42:43], 0, v[46:47]
	global_load_dwordx4 v[42:45], v[42:43], off offset:128
.LBB185_53:
	s_or_b64 exec, exec, s[2:3]
	v_mov_b32_e32 v48, 0
	v_mov_b32_e32 v47, 0
	;; [unrolled: 1-line block ×3, first 2 shown]
	s_and_saveexec_b64 s[2:3], s[0:1]
	s_cbranch_execz .LBB185_55
; %bb.54:
	v_mov_b32_e32 v53, 0
	v_lshl_add_u64 v[46:47], s[4:5], 0, v[52:53]
	v_lshlrev_b32_e32 v52, 1, v50
	v_lshl_add_u64 v[46:47], v[46:47], 0, v[52:53]
	global_load_dwordx4 v[46:49], v[46:47], off offset:128
.LBB185_55:
	s_or_b64 exec, exec, s[2:3]
	s_branch .LBB185_58
.LBB185_56:
                                        ; implicit-def: $vgpr37
                                        ; implicit-def: $vgpr41
                                        ; implicit-def: $vgpr45
                                        ; implicit-def: $vgpr49
	s_cbranch_execz .LBB185_58
; %bb.57:
	s_waitcnt vmcnt(0)
	v_lshlrev_b32_e32 v34, 1, v50
	v_lshl_or_b32 v50, v62, 9, v34
	s_and_b32 s5, s5, 0xffff
	s_mov_b32 s7, 0x20000
	s_movk_i32 s6, 0x4000
	s_movk_i32 s0, 0x80
	buffer_load_dwordx4 v[34:37], v50, s[4:7], 0 offen
	buffer_load_dwordx4 v[38:41], v50, s[4:7], 0 offen offset:256
	buffer_load_dwordx4 v[42:45], v50, s[4:7], s0 offen
	buffer_load_dwordx4 v[46:49], v50, s[4:7], s0 offen offset:256
.LBB185_58:
	ds_read_b64 v[52:53], v63 offset:57344
	v_add_u32_e32 v50, 0x6000, v58
	ds_read2_b64 v[78:81], v50 offset1:16
	ds_read_b64 v[96:97], v64 offset:57344
	ds_read_b64 v[64:65], v65 offset:57344
	;; [unrolled: 1-line block ×3, first 2 shown]
	ds_read2st64_b64 v[82:85], v58 offset0:52 offset1:56
	v_and_b32_e32 v63, 1, v0
	v_cmp_eq_u32_e32 vcc, 0, v63
	s_mov_b32 s0, 0x1000504
	s_waitcnt vmcnt(0)
	v_perm_b32 v63, v42, v46, s0
	s_mov_b32 s1, 0x3020706
	s_waitcnt lgkmcnt(4)
	v_mfma_f32_16x16x16_bf16 a[0:3], v[52:53], v[78:79], a[0:3]
	v_mfma_f32_16x16x16_bf16 a[4:7], v[52:53], v[80:81], a[4:7]
	ds_read2_b64 v[78:81], v50 offset0:32 offset1:48
	v_and_b32_e32 v50, 6, v0
	v_xor_b32_e32 v62, v62, v50
	s_waitcnt lgkmcnt(0)
	v_mfma_f32_16x16x16_bf16 a[8:11], v[52:53], v[78:79], a[8:11]
	v_lshlrev_b32_e32 v62, 2, v62
	v_xor_b32_e32 v77, 0x440, v62
	v_cndmask_b32_e32 v62, v77, v62, vcc
	v_mfma_f32_16x16x16_bf16 a[12:15], v[52:53], v[80:81], a[12:15]
	ds_read2st64_b64 v[78:81], v59 offset0:52 offset1:56
	ds_read2st64_b64 v[88:91], v60 offset0:52 offset1:56
	;; [unrolled: 1-line block ×3, first 2 shown]
	v_lshl_or_b32 v50, v50, 10, v62
	v_perm_b32 v62, v34, v38, s0
	v_mfma_f32_16x16x16_bf16 a[0:3], v[96:97], v[82:83], a[0:3]
	ds_read_b64 v[52:53], v58 offset:30720
	ds_read_b64 v[82:83], v59 offset:30720
	ds_read_b64 v[100:101], v60 offset:30720
	ds_read_b64 v[102:103], v61 offset:30720
	ds_write2st64_b32 v50, v62, v63 offset0:128 offset1:160
	v_xor_b32_e32 v62, 8, v50
	s_waitcnt lgkmcnt(7)
	v_mfma_f32_16x16x16_bf16 a[4:7], v[96:97], v[78:79], a[4:7]
	v_perm_b32 v34, v34, v38, s1
	v_perm_b32 v38, v42, v46, s1
	v_add_u32_e32 v42, 0x80, v62
	s_waitcnt lgkmcnt(6)
	v_mfma_f32_16x16x16_bf16 a[8:11], v[96:97], v[88:89], a[8:11]
	ds_write2st64_b32 v42, v34, v38 offset0:128 offset1:160
	v_xor_b32_e32 v34, 16, v50
	v_perm_b32 v38, v35, v39, s0
	s_waitcnt lgkmcnt(6)
	v_mfma_f32_16x16x16_bf16 a[12:15], v[96:97], v[92:93], a[12:15]
	v_perm_b32 v42, v43, v47, s0
	ds_write2st64_b32 v34, v38, v42 offset0:129 offset1:161
	v_xor_b32_e32 v34, 24, v50
	v_mfma_f32_16x16x16_bf16 a[0:3], v[64:65], v[84:85], a[0:3]
	v_perm_b32 v35, v35, v39, s1
	v_perm_b32 v38, v43, v47, s1
	v_add_u32_e32 v34, 0x80, v34
	v_mfma_f32_16x16x16_bf16 a[4:7], v[64:65], v[80:81], a[4:7]
	ds_write2st64_b32 v34, v35, v38 offset0:129 offset1:161
	v_xor_b32_e32 v34, 32, v50
	v_perm_b32 v35, v36, v40, s0
	v_mfma_f32_16x16x16_bf16 a[16:19], v[64:65], v[90:91], a[8:11]
	v_perm_b32 v38, v44, v48, s0
	ds_write2st64_b32 v34, v35, v38 offset0:130 offset1:162
	v_xor_b32_e32 v34, 40, v50
	v_mfma_f32_16x16x16_bf16 a[20:23], v[64:65], v[94:95], a[12:15]
	v_perm_b32 v35, v36, v40, s1
	v_perm_b32 v36, v44, v48, s1
	v_add_u32_e32 v34, 0x80, v34
	s_waitcnt lgkmcnt(8)
	v_mfma_f32_16x16x16_bf16 a[12:15], v[98:99], v[52:53], a[0:3]
	ds_write2st64_b32 v34, v35, v36 offset0:130 offset1:162
	v_xor_b32_e32 v34, 48, v50
	v_perm_b32 v35, v37, v41, s0
	s_waitcnt lgkmcnt(8)
	v_mfma_f32_16x16x16_bf16 a[8:11], v[98:99], v[82:83], a[4:7]
	v_perm_b32 v36, v45, v49, s0
	ds_write2st64_b32 v34, v35, v36 offset0:131 offset1:163
	v_xor_b32_e32 v34, 56, v50
	s_waitcnt lgkmcnt(8)
	v_mfma_f32_16x16x16_bf16 a[4:7], v[98:99], v[100:101], a[16:19]
	v_and_or_b32 v63, v67, 12, v86
	v_perm_b32 v35, v37, v41, s1
	v_perm_b32 v36, v45, v49, s1
	s_waitcnt lgkmcnt(7)
	v_mfma_f32_16x16x16_bf16 a[0:3], v[98:99], v[102:103], a[20:23]
	v_add_u32_e32 v34, 0x80, v34
	v_cmp_gt_i32_e64 s[0:1], s31, v63
	v_mov_b32_e32 v52, 0
	v_mov_b32_e32 v53, 0
	ds_write2st64_b32 v34, v35, v36 offset0:131 offset1:163
	s_and_saveexec_b64 s[2:3], s[0:1]
	s_cbranch_execz .LBB185_60
; %bb.59:
	v_add_u32_e32 v34, s30, v63
	v_ashrrev_i32_e32 v35, 31, v34
	v_mul_lo_u32 v36, v35, s36
	v_mul_lo_u32 v37, v34, s37
	v_mad_u64_u32 v[34:35], s[4:5], v34, s36, 0
	v_add3_u32 v35, v35, v37, v36
	v_lshl_add_u64 v[34:35], v[34:35], 2, s[12:13]
	global_load_dword v34, v[34:35], off
	s_waitcnt vmcnt(0)
	v_sub_f32_e32 v34, s18, v34
	v_exp_f32_e32 v53, v34
.LBB185_60:
	s_or_b64 exec, exec, s[2:3]
	v_or_b32_e32 v46, 1, v63
	v_cmp_gt_i32_e64 s[4:5], s31, v46
	s_and_saveexec_b64 s[2:3], s[4:5]
	s_cbranch_execz .LBB185_62
; %bb.61:
	v_add_u32_e32 v34, s30, v46
	v_ashrrev_i32_e32 v35, 31, v34
	v_mul_lo_u32 v36, v35, s36
	v_mul_lo_u32 v37, v34, s37
	v_mad_u64_u32 v[34:35], s[6:7], v34, s36, 0
	v_add3_u32 v35, v35, v37, v36
	v_lshl_add_u64 v[34:35], v[34:35], 2, s[12:13]
	global_load_dword v34, v[34:35], off
	s_waitcnt vmcnt(0)
	v_sub_f32_e32 v34, s18, v34
	v_exp_f32_e32 v52, v34
.LBB185_62:
	s_or_b64 exec, exec, s[2:3]
	v_or_b32_e32 v42, 2, v63
	v_cmp_gt_i32_e64 s[2:3], s31, v42
	v_mov_b32_e32 v50, 0
	v_mov_b32_e32 v62, 0
	s_and_saveexec_b64 s[6:7], s[2:3]
	s_cbranch_execz .LBB185_64
; %bb.63:
	v_add_u32_e32 v34, s30, v42
	v_ashrrev_i32_e32 v35, 31, v34
	v_mul_lo_u32 v36, v35, s36
	v_mul_lo_u32 v37, v34, s37
	v_mad_u64_u32 v[34:35], s[14:15], v34, s36, 0
	v_add3_u32 v35, v35, v37, v36
	v_lshl_add_u64 v[34:35], v[34:35], 2, s[12:13]
	global_load_dword v34, v[34:35], off
	s_waitcnt vmcnt(0)
	v_sub_f32_e32 v34, s18, v34
	v_exp_f32_e32 v62, v34
.LBB185_64:
	s_or_b64 exec, exec, s[6:7]
	v_or_b32_e32 v43, 3, v63
	v_cmp_gt_i32_e32 vcc, s31, v43
	s_and_saveexec_b64 s[6:7], vcc
	s_cbranch_execz .LBB185_66
; %bb.65:
	v_add_u32_e32 v34, s30, v43
	v_ashrrev_i32_e32 v35, 31, v34
	v_mul_lo_u32 v36, v35, s36
	v_mul_lo_u32 v37, v34, s37
	v_mad_u64_u32 v[34:35], s[14:15], v34, s36, 0
	v_add3_u32 v35, v35, v37, v36
	v_lshl_add_u64 v[34:35], v[34:35], 2, s[12:13]
	global_load_dword v34, v[34:35], off
	s_waitcnt vmcnt(0)
	v_sub_f32_e32 v34, s18, v34
	v_exp_f32_e32 v50, v34
.LBB185_66:
	s_or_b64 exec, exec, s[6:7]
	s_add_u32 s6, s16, s24
	s_addc_u32 s7, s17, s25
	s_add_u32 s8, s8, s24
	v_ashrrev_i32_e32 v77, 31, v76
	v_accvgpr_read_b32 v37, a15
	s_addc_u32 s9, s9, s25
	v_lshlrev_b64 v[38:39], 1, v[76:77]
	v_accvgpr_read_b32 v36, a14
	v_accvgpr_read_b32 v35, a13
	;; [unrolled: 1-line block ×3, first 2 shown]
	v_lshl_add_u64 v[40:41], s[6:7], 0, v[38:39]
	v_lshl_add_u64 v[38:39], s[8:9], 0, v[38:39]
	v_mov_b32_e32 v47, 0
	v_lshlrev_b32_e32 v44, 8, v63
	v_mov_b32_e32 v45, 0
	s_and_saveexec_b64 s[6:7], s[0:1]
	s_cbranch_execz .LBB185_68
; %bb.67:
	v_mov_b32_e32 v45, 0
	v_lshl_add_u64 v[48:49], v[40:41], 0, v[44:45]
	global_load_ushort v64, v[48:49], off
	v_lshl_add_u64 v[48:49], v[38:39], 0, v[44:45]
	s_waitcnt vmcnt(0)
	v_lshlrev_b32_e32 v45, 16, v64
	v_sub_f32_e32 v34, v45, v34
	global_store_short_d16_hi v[48:49], v34, off
	v_mul_f32_e32 v34, v53, v34
	v_lshrrev_b32_e32 v45, 16, v34
.LBB185_68:
	s_or_b64 exec, exec, s[6:7]
	v_lshlrev_b32_e32 v46, 8, v46
	s_and_saveexec_b64 s[6:7], s[4:5]
	s_cbranch_execz .LBB185_70
; %bb.69:
	v_mov_b32_e32 v47, 0
	v_lshl_add_u64 v[48:49], v[40:41], 0, v[46:47]
	global_load_ushort v34, v[48:49], off
	v_lshl_add_u64 v[48:49], v[38:39], 0, v[46:47]
	s_waitcnt vmcnt(0)
	v_lshlrev_b32_e32 v34, 16, v34
	v_sub_f32_e32 v34, v34, v35
	global_store_short_d16_hi v[48:49], v34, off
	v_mul_f32_e32 v34, v52, v34
	v_lshrrev_b32_e32 v47, 16, v34
.LBB185_70:
	s_or_b64 exec, exec, s[6:7]
	v_mov_b32_e32 v64, 0
	v_lshlrev_b32_e32 v48, 8, v42
	v_mov_b32_e32 v49, 0
	s_and_saveexec_b64 s[6:7], s[2:3]
	s_cbranch_execz .LBB185_72
; %bb.71:
	v_mov_b32_e32 v49, 0
	v_lshl_add_u64 v[34:35], v[40:41], 0, v[48:49]
	global_load_ushort v42, v[34:35], off
	v_lshl_add_u64 v[34:35], v[38:39], 0, v[48:49]
	s_waitcnt vmcnt(0)
	v_lshlrev_b32_e32 v42, 16, v42
	v_sub_f32_e32 v36, v42, v36
	global_store_short_d16_hi v[34:35], v36, off
	v_mul_f32_e32 v34, v62, v36
	v_lshrrev_b32_e32 v49, 16, v34
.LBB185_72:
	s_or_b64 exec, exec, s[6:7]
	v_lshlrev_b32_e32 v42, 8, v43
	s_and_saveexec_b64 s[6:7], vcc
	s_cbranch_execz .LBB185_74
; %bb.73:
	v_mov_b32_e32 v43, 0
	v_lshl_add_u64 v[34:35], v[40:41], 0, v[42:43]
	global_load_ushort v36, v[34:35], off
	v_lshl_add_u64 v[34:35], v[38:39], 0, v[42:43]
	s_waitcnt vmcnt(0)
	v_lshlrev_b32_e32 v36, 16, v36
	v_sub_f32_e32 v36, v36, v37
	global_store_short_d16_hi v[34:35], v36, off
	v_mul_f32_e32 v34, v50, v36
	v_lshrrev_b32_e32 v64, 16, v34
.LBB185_74:
	s_or_b64 exec, exec, s[6:7]
	v_lshlrev_b32_e32 v63, 6, v63
	v_accvgpr_read_b32 v37, a11
	s_mov_b32 s6, 0x5040100
	v_or_b32_e32 v43, v63, v56
	v_accvgpr_read_b32 v36, a10
	v_accvgpr_read_b32 v35, a9
	;; [unrolled: 1-line block ×3, first 2 shown]
	v_perm_b32 v65, v64, v49, s6
	v_perm_b32 v64, v47, v45, s6
	v_lshlrev_b32_e32 v43, 1, v43
	v_mov_b32_e32 v47, 0
	v_mov_b32_e32 v45, 0
	ds_write_b64 v43, v[64:65] offset:24576
	s_and_saveexec_b64 s[6:7], s[0:1]
	s_cbranch_execz .LBB185_76
; %bb.75:
	v_mov_b32_e32 v45, 0
	v_lshl_add_u64 v[64:65], v[40:41], 0, v[44:45]
	global_load_ushort v43, v[64:65], off offset:32
	v_lshl_add_u64 v[64:65], v[38:39], 0, v[44:45]
	s_waitcnt vmcnt(0)
	v_lshlrev_b32_e32 v43, 16, v43
	v_sub_f32_e32 v34, v43, v34
	global_store_short_d16_hi v[64:65], v34, off offset:32
	v_mul_f32_e32 v34, v53, v34
	v_lshrrev_b32_e32 v45, 16, v34
.LBB185_76:
	s_or_b64 exec, exec, s[6:7]
	s_and_saveexec_b64 s[6:7], s[4:5]
	s_cbranch_execz .LBB185_78
; %bb.77:
	v_mov_b32_e32 v47, 0
	v_lshl_add_u64 v[64:65], v[40:41], 0, v[46:47]
	global_load_ushort v34, v[64:65], off offset:32
	v_lshl_add_u64 v[64:65], v[38:39], 0, v[46:47]
	s_waitcnt vmcnt(0)
	v_lshlrev_b32_e32 v34, 16, v34
	v_sub_f32_e32 v34, v34, v35
	global_store_short_d16_hi v[64:65], v34, off offset:32
	v_mul_f32_e32 v34, v52, v34
	v_lshrrev_b32_e32 v47, 16, v34
.LBB185_78:
	s_or_b64 exec, exec, s[6:7]
	v_mov_b32_e32 v43, 0
	v_mov_b32_e32 v49, 0
	s_and_saveexec_b64 s[6:7], s[2:3]
	s_cbranch_execz .LBB185_80
; %bb.79:
	v_mov_b32_e32 v49, 0
	v_lshl_add_u64 v[34:35], v[40:41], 0, v[48:49]
	global_load_ushort v56, v[34:35], off offset:32
	v_lshl_add_u64 v[34:35], v[38:39], 0, v[48:49]
	s_waitcnt vmcnt(0)
	v_lshlrev_b32_e32 v49, 16, v56
	v_sub_f32_e32 v36, v49, v36
	global_store_short_d16_hi v[34:35], v36, off offset:32
	v_mul_f32_e32 v34, v62, v36
	v_lshrrev_b32_e32 v49, 16, v34
.LBB185_80:
	s_or_b64 exec, exec, s[6:7]
	s_and_saveexec_b64 s[6:7], vcc
	s_cbranch_execz .LBB185_82
; %bb.81:
	v_mov_b32_e32 v43, 0
	v_lshl_add_u64 v[34:35], v[40:41], 0, v[42:43]
	global_load_ushort v36, v[34:35], off offset:32
	v_lshl_add_u64 v[34:35], v[38:39], 0, v[42:43]
	s_waitcnt vmcnt(0)
	v_lshlrev_b32_e32 v36, 16, v36
	v_sub_f32_e32 v36, v36, v37
	global_store_short_d16_hi v[34:35], v36, off offset:32
	v_mul_f32_e32 v34, v50, v36
	v_lshrrev_b32_e32 v43, 16, v34
.LBB185_82:
	s_or_b64 exec, exec, s[6:7]
	s_mov_b32 s6, 0x5040100
	v_accvgpr_read_b32 v37, a7
	v_perm_b32 v65, v43, v49, s6
	v_or_b32_e32 v43, v63, v55
	v_accvgpr_read_b32 v36, a6
	v_accvgpr_read_b32 v35, a5
	;; [unrolled: 1-line block ×3, first 2 shown]
	v_perm_b32 v64, v47, v45, s6
	v_lshlrev_b32_e32 v43, 1, v43
	v_mov_b32_e32 v47, 0
	v_mov_b32_e32 v45, 0
	ds_write_b64 v43, v[64:65] offset:24576
	s_and_saveexec_b64 s[6:7], s[0:1]
	s_cbranch_execz .LBB185_84
; %bb.83:
	v_mov_b32_e32 v45, 0
	v_lshl_add_u64 v[64:65], v[40:41], 0, v[44:45]
	global_load_ushort v43, v[64:65], off offset:64
	v_lshl_add_u64 v[64:65], v[38:39], 0, v[44:45]
	s_waitcnt vmcnt(0)
	v_lshlrev_b32_e32 v43, 16, v43
	v_sub_f32_e32 v34, v43, v34
	global_store_short_d16_hi v[64:65], v34, off offset:64
	v_mul_f32_e32 v34, v53, v34
	v_lshrrev_b32_e32 v45, 16, v34
.LBB185_84:
	s_or_b64 exec, exec, s[6:7]
	s_and_saveexec_b64 s[6:7], s[4:5]
	s_cbranch_execz .LBB185_86
; %bb.85:
	v_mov_b32_e32 v47, 0
	v_lshl_add_u64 v[64:65], v[40:41], 0, v[46:47]
	global_load_ushort v34, v[64:65], off offset:64
	v_lshl_add_u64 v[64:65], v[38:39], 0, v[46:47]
	s_waitcnt vmcnt(0)
	v_lshlrev_b32_e32 v34, 16, v34
	v_sub_f32_e32 v34, v34, v35
	global_store_short_d16_hi v[64:65], v34, off offset:64
	v_mul_f32_e32 v34, v52, v34
	v_lshrrev_b32_e32 v47, 16, v34
.LBB185_86:
	s_or_b64 exec, exec, s[6:7]
	v_mov_b32_e32 v43, 0
	v_mov_b32_e32 v49, 0
	s_and_saveexec_b64 s[6:7], s[2:3]
	s_cbranch_execz .LBB185_88
; %bb.87:
	v_mov_b32_e32 v49, 0
	v_lshl_add_u64 v[34:35], v[40:41], 0, v[48:49]
	global_load_ushort v55, v[34:35], off offset:64
	v_lshl_add_u64 v[34:35], v[38:39], 0, v[48:49]
	s_waitcnt vmcnt(0)
	v_lshlrev_b32_e32 v49, 16, v55
	v_sub_f32_e32 v36, v49, v36
	global_store_short_d16_hi v[34:35], v36, off offset:64
	v_mul_f32_e32 v34, v62, v36
	v_lshrrev_b32_e32 v49, 16, v34
.LBB185_88:
	s_or_b64 exec, exec, s[6:7]
	s_and_saveexec_b64 s[6:7], vcc
	s_cbranch_execz .LBB185_90
; %bb.89:
	v_mov_b32_e32 v43, 0
	v_lshl_add_u64 v[34:35], v[40:41], 0, v[42:43]
	global_load_ushort v36, v[34:35], off offset:64
	v_lshl_add_u64 v[34:35], v[38:39], 0, v[42:43]
	s_waitcnt vmcnt(0)
	v_lshlrev_b32_e32 v36, 16, v36
	v_sub_f32_e32 v36, v36, v37
	global_store_short_d16_hi v[34:35], v36, off offset:64
	v_mul_f32_e32 v34, v50, v36
	v_lshrrev_b32_e32 v43, 16, v34
.LBB185_90:
	s_or_b64 exec, exec, s[6:7]
	s_mov_b32 s6, 0x5040100
	v_accvgpr_read_b32 v37, a3
	v_perm_b32 v65, v43, v49, s6
	v_or_b32_e32 v43, v63, v54
	v_accvgpr_read_b32 v36, a2
	v_accvgpr_read_b32 v35, a1
	;; [unrolled: 1-line block ×3, first 2 shown]
	v_perm_b32 v64, v47, v45, s6
	v_lshlrev_b32_e32 v43, 1, v43
	v_mov_b32_e32 v47, 0
	v_mov_b32_e32 v45, 0
	ds_write_b64 v43, v[64:65] offset:24576
	s_and_saveexec_b64 s[6:7], s[0:1]
	s_cbranch_execz .LBB185_92
; %bb.91:
	v_mov_b32_e32 v45, 0
	v_lshl_add_u64 v[54:55], v[40:41], 0, v[44:45]
	global_load_ushort v43, v[54:55], off offset:96
	v_lshl_add_u64 v[44:45], v[38:39], 0, v[44:45]
	s_waitcnt vmcnt(0)
	v_lshlrev_b32_e32 v43, 16, v43
	v_sub_f32_e32 v34, v43, v34
	global_store_short_d16_hi v[44:45], v34, off offset:96
	v_mul_f32_e32 v34, v53, v34
	v_lshrrev_b32_e32 v45, 16, v34
.LBB185_92:
	s_or_b64 exec, exec, s[6:7]
	s_and_saveexec_b64 s[0:1], s[4:5]
	s_cbranch_execz .LBB185_94
; %bb.93:
	v_mov_b32_e32 v47, 0
	v_lshl_add_u64 v[54:55], v[40:41], 0, v[46:47]
	global_load_ushort v34, v[54:55], off offset:96
	v_lshl_add_u64 v[46:47], v[38:39], 0, v[46:47]
	s_waitcnt vmcnt(0)
	v_lshlrev_b32_e32 v34, 16, v34
	v_sub_f32_e32 v34, v34, v35
	global_store_short_d16_hi v[46:47], v34, off offset:96
	v_mul_f32_e32 v34, v52, v34
	v_lshrrev_b32_e32 v47, 16, v34
.LBB185_94:
	s_or_b64 exec, exec, s[0:1]
	v_mov_b32_e32 v43, 0
	v_mov_b32_e32 v46, 0
	s_and_saveexec_b64 s[0:1], s[2:3]
	s_cbranch_execz .LBB185_96
; %bb.95:
	v_mov_b32_e32 v49, 0
	v_lshl_add_u64 v[34:35], v[40:41], 0, v[48:49]
	global_load_ushort v44, v[34:35], off offset:96
	v_lshl_add_u64 v[34:35], v[38:39], 0, v[48:49]
	s_waitcnt vmcnt(0)
	v_lshlrev_b32_e32 v44, 16, v44
	v_sub_f32_e32 v36, v44, v36
	global_store_short_d16_hi v[34:35], v36, off offset:96
	v_mul_f32_e32 v34, v62, v36
	v_lshrrev_b32_e32 v46, 16, v34
.LBB185_96:
	s_or_b64 exec, exec, s[0:1]
	v_or_b32_e32 v44, 0x6000, v58
	v_or_b32_e32 v36, 0x6000, v59
	v_or_b32_e32 v35, 0x6000, v60
	v_or_b32_e32 v34, 0x6000, v61
	s_and_saveexec_b64 s[0:1], vcc
	s_cbranch_execz .LBB185_98
; %bb.97:
	v_mov_b32_e32 v43, 0
	v_lshl_add_u64 v[40:41], v[40:41], 0, v[42:43]
	global_load_ushort v40, v[40:41], off offset:96
	v_lshl_add_u64 v[38:39], v[38:39], 0, v[42:43]
	s_waitcnt vmcnt(0)
	v_lshlrev_b32_e32 v40, 16, v40
	v_sub_f32_e32 v37, v40, v37
	global_store_short_d16_hi v[38:39], v37, off offset:96
	v_mul_f32_e32 v37, v50, v37
	v_lshrrev_b32_e32 v43, 16, v37
.LBB185_98:
	s_or_b64 exec, exec, s[0:1]
	s_mov_b32 s0, 0x5040100
	v_or_b32_e32 v37, v63, v51
	v_perm_b32 v39, v43, v46, s0
	v_perm_b32 v38, v47, v45, s0
	v_lshlrev_b32_e32 v37, 1, v37
	s_movk_i32 s0, 0x100
	ds_write_b64 v37, v[38:39] offset:24576
	v_and_b32_e32 v37, 7, v0
	v_and_b32_e32 v38, 8, v0
	v_cmp_gt_u32_e32 vcc, s0, v0
	v_lshrrev_b32_e32 v0, 1, v0
	v_lshlrev_b32_e32 v55, 3, v1
	v_and_b32_e32 v56, 24, v0
	v_mov_b32_e32 v39, 0xa000
	v_mov_b32_e32 v40, 0x8000
	v_xor_b32_e32 v0, v55, v56
	v_cndmask_b32_e32 v54, v39, v40, vcc
	v_or_b32_e32 v1, 0x440, v0
	v_cmp_eq_u32_e32 vcc, 0, v38
	v_lshlrev_b32_e32 v45, 3, v37
	v_lshlrev_b32_e32 v37, 7, v37
	v_cndmask_b32_e32 v0, v1, v0, vcc
	v_or_b32_e32 v0, v0, v57
	v_xad_u32 v67, v0, v45, v37
	v_or_b32_e32 v42, 32, v56
	v_add_u32_e32 v0, v54, v67
	v_xor_b32_e32 v42, v55, v42
	s_waitcnt lgkmcnt(0)
	s_barrier
	ds_read_b64 v[0:1], v0
	ds_read2_b64 v[38:41], v44 offset1:16
	ds_read2_b64 v[46:49], v44 offset0:32 offset1:48
	v_or_b32_e32 v43, 0x440, v42
	v_cndmask_b32_e32 v42, v43, v42, vcc
	v_or_b32_e32 v42, v42, v57
	v_xad_u32 v80, v42, v45, v37
	v_add_u32_e32 v42, v54, v80
	s_waitcnt lgkmcnt(1)
	v_mfma_f32_16x16x16_bf16 a[0:3], v[0:1], v[38:39], 0
	ds_read_b64 v[42:43], v42
	ds_read2st64_b64 v[50:53], v44 offset0:4 offset1:8
	ds_read2st64_b64 v[58:61], v36 offset0:4 offset1:8
	v_mfma_f32_16x16x16_bf16 a[4:7], v[0:1], v[40:41], 0
	ds_read2st64_b64 v[62:65], v35 offset0:4 offset1:8
	ds_read2st64_b64 v[76:79], v34 offset0:4 offset1:8
	s_waitcnt lgkmcnt(5)
	v_mfma_f32_16x16x16_bf16 a[8:11], v[0:1], v[46:47], 0
	v_mfma_f32_16x16x16_bf16 a[12:15], v[0:1], v[48:49], 0
	v_or_b32_e32 v0, 64, v56
	v_xor_b32_e32 v0, v55, v0
	v_xor_b32_e32 v1, 0x440, v0
	v_cndmask_b32_e32 v0, v1, v0, vcc
	v_or_b32_e32 v0, v0, v57
	v_xad_u32 v81, v0, v45, v37
	v_add_u32_e32 v0, v54, v81
	ds_read_b64 v[0:1], v0
	s_waitcnt lgkmcnt(4)
	v_mfma_f32_16x16x16_bf16 a[0:3], v[42:43], v[50:51], a[0:3]
	s_waitcnt lgkmcnt(3)
	v_mfma_f32_16x16x16_bf16 a[4:7], v[42:43], v[58:59], a[4:7]
	;; [unrolled: 2-line block ×4, first 2 shown]
	v_or_b32_e32 v42, 0x60, v56
	v_xor_b32_e32 v42, v55, v42
	v_xor_b32_e32 v43, 0x440, v42
	v_cndmask_b32_e32 v42, v43, v42, vcc
	v_or_b32_e32 v42, v42, v57
	v_xad_u32 v55, v42, v45, v37
	v_add_u32_e32 v37, v54, v55
	s_waitcnt lgkmcnt(0)
	v_mfma_f32_16x16x16_bf16 a[0:3], v[0:1], v[52:53], a[0:3]
	ds_read_b64 v[42:43], v37
	ds_read_b64 v[44:45], v44 offset:6144
	v_mfma_f32_16x16x16_bf16 a[4:7], v[0:1], v[60:61], a[4:7]
	v_mfma_f32_16x16x16_bf16 a[8:11], v[0:1], v[64:65], a[8:11]
	;; [unrolled: 1-line block ×3, first 2 shown]
	ds_read_b64 v[0:1], v36 offset:6144
	ds_read_b64 v[36:37], v35 offset:6144
	;; [unrolled: 1-line block ×3, first 2 shown]
	s_waitcnt lgkmcnt(3)
	v_mfma_f32_16x16x16_bf16 a[0:3], v[42:43], v[44:45], a[0:3]
	s_waitcnt lgkmcnt(2)
	v_mfma_f32_16x16x16_bf16 a[4:7], v[42:43], v[0:1], a[4:7]
	;; [unrolled: 2-line block ×4, first 2 shown]
	ds_read_b64 v[42:43], v67 offset:40960
	s_waitcnt lgkmcnt(0)
	v_mfma_f32_16x16x16_bf16 a[16:19], v[42:43], v[38:39], 0
	ds_read_b64 v[38:39], v80 offset:40960
	v_mfma_f32_16x16x16_bf16 a[20:23], v[42:43], v[40:41], 0
	v_accvgpr_read_b32 v40, a0
	v_mfma_f32_16x16x16_bf16 a[24:27], v[42:43], v[46:47], 0
	v_accvgpr_read_b32 v46, a7
	v_mfma_f32_16x16x16_bf16 a[28:31], v[42:43], v[48:49], 0
	v_exp_f32_e32 v42, s18
	v_accvgpr_read_b32 v43, a3
	v_fma_f32 v6, v6, v42, v40
	v_accvgpr_read_b32 v40, a1
	v_fma_f32 v7, v7, v42, v40
	;; [unrolled: 2-line block ×3, first 2 shown]
	ds_read_b64 v[40:41], v81 offset:40960
	s_waitcnt lgkmcnt(1)
	v_mfma_f32_16x16x16_bf16 a[16:19], v[38:39], v[50:51], a[16:19]
	v_fmac_f32_e32 v43, v9, v42
	v_accvgpr_read_b32 v9, a4
	v_fma_f32 v14, v14, v42, v9
	v_mfma_f32_16x16x16_bf16 a[20:23], v[38:39], v[58:59], a[20:23]
	v_accvgpr_read_b32 v9, a5
	v_fma_f32 v15, v15, v42, v9
	v_accvgpr_read_b32 v9, a6
	v_mfma_f32_16x16x16_bf16 a[24:27], v[38:39], v[62:63], a[24:27]
	v_fma_f32 v16, v16, v42, v9
	v_accvgpr_read_b32 v9, a8
	v_fma_f32 v22, v22, v42, v9
	v_mfma_f32_16x16x16_bf16 a[0:3], v[38:39], v[76:77], a[28:31]
	ds_read_b64 v[38:39], v55 offset:40960
	v_accvgpr_read_b32 v9, a9
	v_fma_f32 v23, v23, v42, v9
	s_waitcnt lgkmcnt(1)
	v_mfma_f32_16x16x16_bf16 a[16:19], v[40:41], v[52:53], a[16:19]
	v_accvgpr_read_b32 v9, a10
	v_fma_f32 v24, v24, v42, v9
	v_accvgpr_read_b32 v9, a12
	v_mfma_f32_16x16x16_bf16 a[4:7], v[40:41], v[60:61], a[20:23]
	v_fma_f32 v30, v30, v42, v9
	v_fmac_f32_e32 v46, v17, v42
	v_mov_b32_e32 v17, v46
	v_mfma_f32_16x16x16_bf16 a[20:23], v[40:41], v[64:65], a[24:27]
	v_mfma_f32_16x16x16_bf16 a[0:3], v[40:41], v[78:79], a[0:3]
	v_accvgpr_read_b32 v40, a11
	v_fmac_f32_e32 v40, v25, v42
	s_waitcnt lgkmcnt(0)
	v_mfma_f32_16x16x16_bf16 a[8:11], v[38:39], v[44:45], a[16:19]
	v_mfma_f32_16x16x16_bf16 a[4:7], v[38:39], v[0:1], a[4:7]
	v_accvgpr_read_b32 v0, a13
	v_fma_f32 v31, v31, v42, v0
	v_accvgpr_read_b32 v0, a14
	s_nop 2
	v_accvgpr_read_b32 v1, a8
	v_fma_f32 v2, v2, v42, v1
	v_accvgpr_read_b32 v1, a9
	v_fma_f32 v3, v3, v42, v1
	v_accvgpr_read_b32 v1, a10
	v_mfma_f32_16x16x16_bf16 a[16:19], v[38:39], v[36:37], a[20:23]
	v_fma_f32 v4, v4, v42, v1
	v_accvgpr_read_b32 v1, a11
	v_fmac_f32_e32 v1, v5, v42
	v_mfma_f32_16x16x16_bf16 a[0:3], v[38:39], v[34:35], a[0:3]
	v_accvgpr_read_b32 v5, a4
	v_fma_f32 v10, v10, v42, v5
	v_accvgpr_read_b32 v5, a5
	v_fma_f32 v11, v11, v42, v5
	;; [unrolled: 2-line block ×3, first 2 shown]
	v_accvgpr_read_b32 v5, a16
	v_accvgpr_read_b32 v9, a0
	v_fma_f32 v18, v18, v42, v5
	v_accvgpr_read_b32 v5, a17
	v_fma_f32 v26, v26, v42, v9
	;; [unrolled: 2-line block ×5, first 2 shown]
	v_accvgpr_read_b32 v0, a15
	v_accvgpr_read_b32 v25, a7
	v_fma_f32 v20, v20, v42, v5
	v_accvgpr_read_b32 v5, a19
	v_fma_f32 v28, v28, v42, v9
	v_accvgpr_read_b32 v9, a3
	v_fmac_f32_e32 v0, v33, v42
	v_fmac_f32_e32 v25, v13, v42
	;; [unrolled: 1-line block ×4, first 2 shown]
	v_mov_b32_e32 v29, v9
	v_mov_b32_e32 v33, v0
	v_mov_b32_e32 v21, v5
	v_mov_b32_e32 v9, v43
	v_mov_b32_e32 v5, v1
	v_mov_b32_e32 v13, v25
	v_mov_b32_e32 v25, v40
.LBB185_99:
	s_add_u32 s0, s10, s34
	s_addc_u32 s1, s11, s35
	v_lshl_add_u64 v[0:1], v[68:69], 2, s[0:1]
	v_mov_b32_e32 v67, 0
	v_lshl_add_u64 v[0:1], v[0:1], 0, v[66:67]
	s_waitcnt vmcnt(7)
	global_store_dwordx4 v[0:1], v[6:9], off
	s_waitcnt vmcnt(7)
	global_store_dwordx4 v[0:1], v[2:5], off offset:256
	v_lshl_add_u64 v[0:1], v[70:71], 2, s[0:1]
	v_lshl_add_u64 v[0:1], v[0:1], 0, v[66:67]
	s_waitcnt vmcnt(7)
	global_store_dwordx4 v[0:1], v[14:17], off
	s_waitcnt vmcnt(7)
	global_store_dwordx4 v[0:1], v[10:13], off offset:256
	v_lshl_add_u64 v[0:1], v[72:73], 2, s[0:1]
	;; [unrolled: 6-line block ×3, first 2 shown]
	v_lshl_add_u64 v[0:1], v[0:1], 0, v[66:67]
	s_waitcnt vmcnt(7)
	global_store_dwordx4 v[0:1], v[30:33], off
	s_waitcnt vmcnt(7)
	global_store_dwordx4 v[0:1], v[26:29], off offset:256
	s_endpgm
	.section	.rodata,"a",@progbits
	.p2align	6, 0x0
	.amdhsa_kernel _ZN12_GLOBAL__N_139chunk_gated_delta_rule_fwd_h_hip_kernelILi64ELb1ELb1ELb1ELb0ELb1ELb0ELb0ELb0EEEvPK12hip_bfloat16S3_S3_PKfS5_PKvPS1_S8_PvPKiSB_iiiiilll
		.amdhsa_group_segment_fixed_size 65536
		.amdhsa_private_segment_fixed_size 0
		.amdhsa_kernarg_size 136
		.amdhsa_user_sgpr_count 2
		.amdhsa_user_sgpr_dispatch_ptr 0
		.amdhsa_user_sgpr_queue_ptr 0
		.amdhsa_user_sgpr_kernarg_segment_ptr 1
		.amdhsa_user_sgpr_dispatch_id 0
		.amdhsa_user_sgpr_kernarg_preload_length 0
		.amdhsa_user_sgpr_kernarg_preload_offset 0
		.amdhsa_user_sgpr_private_segment_size 0
		.amdhsa_uses_dynamic_stack 0
		.amdhsa_enable_private_segment 0
		.amdhsa_system_sgpr_workgroup_id_x 1
		.amdhsa_system_sgpr_workgroup_id_y 1
		.amdhsa_system_sgpr_workgroup_id_z 0
		.amdhsa_system_sgpr_workgroup_info 0
		.amdhsa_system_vgpr_workitem_id 0
		.amdhsa_next_free_vgpr 224
		.amdhsa_next_free_sgpr 72
		.amdhsa_accum_offset 188
		.amdhsa_reserve_vcc 1
		.amdhsa_float_round_mode_32 0
		.amdhsa_float_round_mode_16_64 0
		.amdhsa_float_denorm_mode_32 3
		.amdhsa_float_denorm_mode_16_64 3
		.amdhsa_dx10_clamp 1
		.amdhsa_ieee_mode 1
		.amdhsa_fp16_overflow 0
		.amdhsa_tg_split 0
		.amdhsa_exception_fp_ieee_invalid_op 0
		.amdhsa_exception_fp_denorm_src 0
		.amdhsa_exception_fp_ieee_div_zero 0
		.amdhsa_exception_fp_ieee_overflow 0
		.amdhsa_exception_fp_ieee_underflow 0
		.amdhsa_exception_fp_ieee_inexact 0
		.amdhsa_exception_int_div_zero 0
	.end_amdhsa_kernel
	.section	.text._ZN12_GLOBAL__N_139chunk_gated_delta_rule_fwd_h_hip_kernelILi64ELb1ELb1ELb1ELb0ELb1ELb0ELb0ELb0EEEvPK12hip_bfloat16S3_S3_PKfS5_PKvPS1_S8_PvPKiSB_iiiiilll,"axG",@progbits,_ZN12_GLOBAL__N_139chunk_gated_delta_rule_fwd_h_hip_kernelILi64ELb1ELb1ELb1ELb0ELb1ELb0ELb0ELb0EEEvPK12hip_bfloat16S3_S3_PKfS5_PKvPS1_S8_PvPKiSB_iiiiilll,comdat
.Lfunc_end185:
	.size	_ZN12_GLOBAL__N_139chunk_gated_delta_rule_fwd_h_hip_kernelILi64ELb1ELb1ELb1ELb0ELb1ELb0ELb0ELb0EEEvPK12hip_bfloat16S3_S3_PKfS5_PKvPS1_S8_PvPKiSB_iiiiilll, .Lfunc_end185-_ZN12_GLOBAL__N_139chunk_gated_delta_rule_fwd_h_hip_kernelILi64ELb1ELb1ELb1ELb0ELb1ELb0ELb0ELb0EEEvPK12hip_bfloat16S3_S3_PKfS5_PKvPS1_S8_PvPKiSB_iiiiilll
                                        ; -- End function
	.section	.AMDGPU.csdata,"",@progbits
; Kernel info:
; codeLenInByte = 12560
; NumSgprs: 78
; NumVgprs: 188
; NumAgprs: 36
; TotalNumVgprs: 224
; ScratchSize: 0
; MemoryBound: 0
; FloatMode: 240
; IeeeMode: 1
; LDSByteSize: 65536 bytes/workgroup (compile time only)
; SGPRBlocks: 9
; VGPRBlocks: 27
; NumSGPRsForWavesPerEU: 78
; NumVGPRsForWavesPerEU: 224
; AccumOffset: 188
; Occupancy: 1
; WaveLimiterHint : 1
; COMPUTE_PGM_RSRC2:SCRATCH_EN: 0
; COMPUTE_PGM_RSRC2:USER_SGPR: 2
; COMPUTE_PGM_RSRC2:TRAP_HANDLER: 0
; COMPUTE_PGM_RSRC2:TGID_X_EN: 1
; COMPUTE_PGM_RSRC2:TGID_Y_EN: 1
; COMPUTE_PGM_RSRC2:TGID_Z_EN: 0
; COMPUTE_PGM_RSRC2:TIDIG_COMP_CNT: 0
; COMPUTE_PGM_RSRC3_GFX90A:ACCUM_OFFSET: 46
; COMPUTE_PGM_RSRC3_GFX90A:TG_SPLIT: 0
	.section	.text._ZN12_GLOBAL__N_139chunk_gated_delta_rule_fwd_h_hip_kernelILi64ELb1ELb1ELb0ELb0ELb1ELb0ELb0ELb0EEEvPK12hip_bfloat16S3_S3_PKfS5_PKvPS1_S8_PvPKiSB_iiiiilll,"axG",@progbits,_ZN12_GLOBAL__N_139chunk_gated_delta_rule_fwd_h_hip_kernelILi64ELb1ELb1ELb0ELb0ELb1ELb0ELb0ELb0EEEvPK12hip_bfloat16S3_S3_PKfS5_PKvPS1_S8_PvPKiSB_iiiiilll,comdat
	.globl	_ZN12_GLOBAL__N_139chunk_gated_delta_rule_fwd_h_hip_kernelILi64ELb1ELb1ELb0ELb0ELb1ELb0ELb0ELb0EEEvPK12hip_bfloat16S3_S3_PKfS5_PKvPS1_S8_PvPKiSB_iiiiilll ; -- Begin function _ZN12_GLOBAL__N_139chunk_gated_delta_rule_fwd_h_hip_kernelILi64ELb1ELb1ELb0ELb0ELb1ELb0ELb0ELb0EEEvPK12hip_bfloat16S3_S3_PKfS5_PKvPS1_S8_PvPKiSB_iiiiilll
	.p2align	8
	.type	_ZN12_GLOBAL__N_139chunk_gated_delta_rule_fwd_h_hip_kernelILi64ELb1ELb1ELb0ELb0ELb1ELb0ELb0ELb0EEEvPK12hip_bfloat16S3_S3_PKfS5_PKvPS1_S8_PvPKiSB_iiiiilll,@function
_ZN12_GLOBAL__N_139chunk_gated_delta_rule_fwd_h_hip_kernelILi64ELb1ELb1ELb0ELb0ELb1ELb0ELb0ELb0EEEvPK12hip_bfloat16S3_S3_PKfS5_PKvPS1_S8_PvPKiSB_iiiiilll: ; @_ZN12_GLOBAL__N_139chunk_gated_delta_rule_fwd_h_hip_kernelILi64ELb1ELb1ELb0ELb0ELb1ELb0ELb0ELb0EEEvPK12hip_bfloat16S3_S3_PKfS5_PKvPS1_S8_PvPKiSB_iiiiilll
; %bb.0:
	s_load_dwordx4 s[12:15], s[0:1], 0x5c
	s_load_dwordx4 s[20:23], s[0:1], 0x70
	s_abs_i32 s6, s3
	s_ashr_i32 s5, s3, 31
	s_load_dwordx4 s[16:19], s[0:1], 0x28
	s_waitcnt lgkmcnt(0)
	s_abs_i32 s4, s13
	v_cvt_f32_u32_e32 v1, s4
	s_sub_i32 s8, 0, s4
	s_ashr_i32 s7, s13, 31
	s_xor_b32 s5, s5, s7
	v_rcp_iflag_f32_e32 v1, v1
	v_and_b32_e32 v86, 15, v0
	v_bfe_u32 v85, v0, 4, 2
	v_mov_b32_e32 v67, 0
	v_mul_f32_e32 v1, 0x4f7ffffe, v1
	v_cvt_u32_f32_e32 v1, v1
	v_lshlrev_b32_e32 v87, 3, v0
	v_readfirstlane_b32 s9, v1
	s_mul_i32 s8, s8, s9
	s_mul_hi_u32 s8, s9, s8
	s_add_i32 s9, s9, s8
	s_mul_hi_u32 s8, s6, s9
	s_mul_i32 s9, s8, s4
	s_sub_i32 s6, s6, s9
	s_add_i32 s10, s8, 1
	s_sub_i32 s9, s6, s4
	s_cmp_ge_u32 s6, s4
	s_cselect_b32 s8, s10, s8
	s_cselect_b32 s6, s9, s6
	s_add_i32 s9, s8, 1
	s_cmp_ge_u32 s6, s4
	s_cselect_b32 s6, s9, s8
	s_xor_b32 s6, s6, s5
	s_add_i32 s8, s12, 63
	s_sub_i32 s53, s6, s5
	s_ashr_i32 s9, s8, 31
	s_mul_i32 s5, s53, s13
	s_sub_i32 s50, s3, s5
	s_lshr_b32 s3, s9, 26
	s_add_i32 s8, s8, s3
	s_abs_i32 s3, s14
	v_cvt_f32_u32_e32 v1, s3
	s_ashr_i32 s52, s12, 31
	s_lshr_b32 s6, s52, 26
	s_add_i32 s6, s12, s6
	v_rcp_iflag_f32_e32 v1, v1
	s_ashr_i32 s55, s14, 31
	s_ashr_i32 s24, s8, 6
	;; [unrolled: 1-line block ×3, first 2 shown]
	v_mul_f32_e32 v1, 0x4f7ffffe, v1
	v_cvt_u32_f32_e32 v1, v1
	s_xor_b32 s6, s7, s55
	s_sub_i32 s7, 0, s3
	s_lshl_b32 s2, s2, 6
	v_readfirstlane_b32 s8, v1
	s_mul_i32 s7, s7, s8
	s_mul_hi_u32 s7, s8, s7
	s_add_i32 s8, s8, s7
	s_mul_hi_u32 s7, s4, s8
	s_mul_i32 s8, s7, s3
	s_sub_i32 s4, s4, s8
	s_add_i32 s8, s7, 1
	s_sub_i32 s9, s4, s3
	s_cmp_ge_u32 s4, s3
	s_cselect_b32 s7, s8, s7
	s_cselect_b32 s4, s9, s4
	s_add_i32 s8, s7, 1
	s_cmp_ge_u32 s4, s3
	s_cselect_b32 s3, s8, s7
	s_xor_b32 s3, s3, s6
	s_sub_i32 s3, s3, s6
	s_abs_i32 s4, s3
	v_cvt_f32_u32_e32 v1, s4
	s_sub_i32 s7, 0, s4
	s_abs_i32 s6, s50
	s_xor_b32 s3, s50, s3
	v_rcp_iflag_f32_e32 v2, v1
	s_ashr_i32 s3, s3, 31
	v_lshrrev_b32_e32 v1, 6, v0
	v_or_b32_e32 v76, s2, v86
	v_mul_f32_e32 v2, 0x4f7ffffe, v2
	v_cvt_u32_f32_e32 v2, v2
	v_lshlrev_b32_e32 v84, 4, v1
	v_lshlrev_b32_e32 v68, 7, v76
	v_lshl_or_b32 v89, v85, 2, v84
	v_readfirstlane_b32 s8, v2
	s_mul_i32 s7, s7, s8
	s_mul_hi_u32 s7, s8, s7
	s_add_i32 s8, s8, s7
	s_mul_hi_u32 s7, s6, s8
	s_mul_i32 s8, s7, s4
	s_sub_i32 s6, s6, s8
	s_add_i32 s8, s7, 1
	s_sub_i32 s9, s6, s4
	s_cmp_ge_u32 s6, s4
	s_cselect_b32 s7, s8, s7
	s_cselect_b32 s6, s9, s6
	s_add_i32 s8, s7, 1
	s_cmp_ge_u32 s6, s4
	s_cselect_b32 s4, s8, s7
	s_xor_b32 s4, s4, s3
	s_sub_i32 s56, s4, s3
	s_ashr_i32 s3, s53, 31
	s_ashr_i32 s51, s50, 31
	s_mul_hi_i32 s4, s53, s13
	s_add_u32 s40, s5, s50
	s_addc_u32 s41, s4, s51
	s_lshl_b64 s[28:29], s[40:41], 16
	s_add_u32 s4, s16, s28
	s_addc_u32 s5, s17, s29
	v_ashrrev_i32_e32 v69, 31, v68
	v_lshl_add_u64 v[2:3], v[68:69], 2, s[4:5]
	v_lshlrev_b32_e32 v66, 2, v89
	v_or_b32_e32 v70, 0x800, v68
	v_lshl_add_u64 v[10:11], v[2:3], 0, v[66:67]
	v_ashrrev_i32_e32 v71, 31, v70
	global_load_dwordx4 v[6:9], v[10:11], off
	global_load_dwordx4 v[2:5], v[10:11], off offset:256
	v_lshl_add_u64 v[10:11], v[70:71], 2, s[4:5]
	v_or_b32_e32 v72, 0x1000, v68
	v_lshl_add_u64 v[18:19], v[10:11], 0, v[66:67]
	v_ashrrev_i32_e32 v73, 31, v72
	global_load_dwordx4 v[14:17], v[18:19], off
	global_load_dwordx4 v[10:13], v[18:19], off offset:256
	v_lshl_add_u64 v[18:19], v[72:73], 2, s[4:5]
	;; [unrolled: 6-line block ×3, first 2 shown]
	v_lshl_add_u64 v[34:35], v[26:27], 0, v[66:67]
	global_load_dwordx4 v[30:33], v[34:35], off
	global_load_dwordx4 v[26:29], v[34:35], off offset:256
	s_load_dwordx2 s[30:31], s[0:1], 0x40
	s_load_dwordx8 s[4:11], s[0:1], 0x0
	s_load_dwordx2 s[34:35], s[0:1], 0x80
	v_and_b32_e32 v67, 63, v0
	s_mul_i32 s57, s53, s24
	v_or_b32_e32 v90, 64, v89
	s_cmp_lt_i32 s12, 64
	v_lshrrev_b32_e32 v88, 3, v67
	s_mul_i32 s58, s41, s12
	s_mul_hi_u32 s59, s40, s12
	s_mul_i32 s16, s40, s12
	s_mul_i32 s33, s53, s21
	s_mul_hi_u32 s46, s53, s20
	s_mul_i32 s41, s3, s20
	s_mul_i32 s38, s53, s20
	;; [unrolled: 1-line block ×3, first 2 shown]
	s_mul_hi_u32 s48, s50, s22
	s_mul_i32 s49, s51, s22
	s_mul_i32 s36, s50, s22
	s_cbranch_scc1 .LBB186_18
; %bb.1:
	s_add_i32 s17, s59, s58
	s_lshl_b64 s[0:1], s[16:17], 8
	v_and_b32_e32 v92, 56, v87
	s_waitcnt lgkmcnt(0)
	s_add_u32 s20, s6, s0
	v_lshl_or_b32 v91, v1, 3, v88
	v_lshlrev_b32_e32 v34, 1, v92
	s_addc_u32 s0, s7, s1
	v_lshl_or_b32 v93, v91, 8, v34
	s_and_b32 s21, s0, 0xffff
	s_mov_b32 s23, 0x20000
	s_movk_i32 s22, 0x4000
	s_movk_i32 s0, 0x80
	v_or_b32_e32 v94, 0x2000, v93
	buffer_load_dwordx4 v[36:39], v93, s[20:23], 0 offen
	buffer_load_dwordx4 v[40:43], v93, s[20:23], s0 offen
	;; [unrolled: 1-line block ×4, first 2 shown]
	v_lshlrev_b32_e32 v35, 3, v91
	v_and_or_b32 v53, v0, 7, v35
	v_and_b32_e32 v35, 0x78, v35
	v_lshlrev_b32_e32 v53, 4, v53
	v_xor_b32_e32 v95, v53, v35
	v_mul_lo_u32 v52, v91, s15
	v_or_b32_e32 v96, 0x1000, v95
	v_xor_b32_e32 v35, 8, v95
	s_cmpk_eq_i32 s15, 0x80
	s_mov_b32 s60, s14
	v_xor_b32_e32 v53, 8, v96
	s_cselect_b64 s[0:1], -1, 0
	s_cmpk_lg_i32 s15, 0x80
	s_waitcnt vmcnt(3)
	ds_write_b64 v95, v[36:37] offset:49152
	ds_write_b64 v35, v[38:39] offset:49152
	s_waitcnt vmcnt(2)
	ds_write_b64 v95, v[40:41] offset:57344
	ds_write_b64 v35, v[42:43] offset:57344
	;; [unrolled: 3-line block ×4, first 2 shown]
	v_lshl_add_u32 v35, v52, 1, v92
	s_cbranch_scc0 .LBB186_3
; %bb.2:
	v_lshlrev_b32_e32 v37, 1, v35
	v_add_lshl_u32 v36, v35, s15, 1
	s_lshl_b32 s22, s15, 7
	v_lshl_or_b32 v34, v91, 9, v34
	s_cbranch_execz .LBB186_4
	s_branch .LBB186_5
.LBB186_3:
                                        ; implicit-def: $vgpr36
                                        ; implicit-def: $vgpr37
                                        ; implicit-def: $sgpr22
	v_lshl_or_b32 v34, v91, 9, v34
.LBB186_4:
	v_or_b32_e32 v36, 0x100, v34
	s_movk_i32 s22, 0x4000
	v_mov_b32_e32 v37, v34
.LBB186_5:
	s_mul_hi_u32 s20, s14, s12
	s_mul_i32 s21, s55, s12
	s_add_i32 s20, s20, s21
	s_mul_i32 s21, s14, s12
	s_mul_i32 s23, s21, s3
	s_mul_hi_u32 s24, s21, s53
	s_add_i32 s23, s24, s23
	s_mul_i32 s20, s20, s53
	s_add_i32 s23, s23, s20
	s_mul_i32 s21, s21, s53
	s_ashr_i32 s61, s56, 31
	s_add_u32 s20, s21, s56
	s_addc_u32 s21, s23, s61
	s_lshl_b64 s[20:21], s[20:21], 8
	s_add_u32 s20, s4, s20
	s_addc_u32 s21, s5, s21
	s_and_b32 s21, s21, 0xffff
	s_mov_b32 s23, 0x20000
	s_movk_i32 s62, 0x80
	buffer_load_dwordx4 v[38:41], v37, s[20:23], 0 offen
	buffer_load_dwordx4 v[42:45], v37, s[20:23], s62 offen
	;; [unrolled: 1-line block ×4, first 2 shown]
	v_and_b32_e32 v37, 6, v0
	v_lshlrev_b32_e32 v36, 7, v89
	v_xor_b32_e32 v58, v91, v37
	v_and_b32_e32 v54, 1, v0
	v_lshl_or_b32 v61, v86, 3, v36
	v_lshlrev_b32_e32 v58, 2, v58
	v_or_b32_e32 v97, 0x4000, v61
	v_or_b32_e32 v98, 0x6000, v61
	v_xor_b32_e32 v61, 0x440, v58
	v_cmp_eq_u32_e32 vcc, 0, v54
	v_lshlrev_b32_e32 v55, 2, v86
	s_mov_b32 s64, 0x1000504
	v_cndmask_b32_e32 v54, v61, v58, vcc
	v_xor_b32_e32 v59, v89, v55
	v_xor_b32_e32 v60, v90, v55
	v_lshl_or_b32 v37, v37, 10, v54
	s_mov_b32 s65, 0x3020706
	v_lshlrev_b32_e32 v56, 8, v86
	v_or_b32_e32 v57, 16, v86
	v_lshlrev_b32_e32 v59, 1, v59
	v_lshlrev_b32_e32 v60, 1, v60
	v_xor_b32_e32 v54, 8, v37
	v_xor_b32_e32 v58, 24, v37
	;; [unrolled: 1-line block ×4, first 2 shown]
	s_mul_i32 s3, s3, s12
	s_mul_hi_u32 s20, s53, s12
	v_or_b32_e32 v100, v56, v59
	v_or_b32_e32 v101, v56, v60
	v_xor_b32_e32 v56, 16, v37
	v_xor_b32_e32 v61, 32, v37
	;; [unrolled: 1-line block ×3, first 2 shown]
	v_add_u32_e32 v54, 0x80, v54
	v_add_u32_e32 v58, 0x80, v58
	;; [unrolled: 1-line block ×4, first 2 shown]
	s_add_i32 s67, s20, s3
	s_add_i32 s3, s46, s33
	s_add_i32 s39, s3, s41
	s_add_i32 s3, s48, s47
	s_add_i32 s37, s3, s49
	s_lshl_b64 s[20:21], s[38:39], 2
	s_add_u32 s3, s10, s20
	s_addc_u32 s24, s11, s21
	s_lshl_b64 s[20:21], s[36:37], 2
	s_add_u32 s42, s3, s20
	s_movk_i32 s3, 0xf8
	s_addc_u32 s43, s24, s21
	s_lshl_b32 s26, s15, 7
	s_movk_i32 s24, 0x100
	v_mov_b32_e32 v79, 0
	v_cmp_gt_u32_e32 vcc, s24, v0
	v_lshl_or_b32 v62, v57, 3, v36
	s_mov_b32 s63, 0
	s_mul_i32 s66, s53, s12
	v_or_b32_e32 v99, 0x4000, v62
	s_movk_i32 s22, 0x4000
	v_or_b32_e32 v102, 0x6000, v62
	s_movk_i32 s37, 0x2000
	s_movk_i32 s39, 0x3000
	s_mov_b32 s69, 0
	s_waitcnt vmcnt(1)
	v_perm_b32 v77, v38, v46, s64
	s_waitcnt vmcnt(0)
	v_perm_b32 v78, v42, v50, s64
	v_perm_b32 v38, v38, v46, s65
	;; [unrolled: 1-line block ×15, first 2 shown]
	ds_write2st64_b32 v37, v77, v78 offset0:128 offset1:160
	ds_write2st64_b32 v54, v38, v42 offset0:128 offset1:160
	;; [unrolled: 1-line block ×8, first 2 shown]
	v_lshlrev_b32_e32 v37, 8, v57
	v_or_b32_e32 v103, v37, v59
	v_or_b32_e32 v104, v37, v60
	;; [unrolled: 1-line block ×3, first 2 shown]
	v_lshl_or_b32 v38, v37, 3, v36
	v_lshlrev_b32_e32 v37, 8, v37
	v_or_b32_e32 v107, v37, v59
	v_or_b32_e32 v108, v37, v60
	;; [unrolled: 1-line block ×5, first 2 shown]
	v_lshl_or_b32 v38, v37, 3, v36
	v_lshlrev_b32_e32 v37, 8, v37
	v_or_b32_e32 v111, v37, v59
	v_or_b32_e32 v112, v37, v60
	;; [unrolled: 1-line block ×3, first 2 shown]
	v_lshlrev_b32_e32 v37, 3, v37
	v_lshrrev_b32_e32 v39, 5, v67
	v_and_or_b32 v39, v37, s3, v39
	v_lshlrev_b32_e32 v39, 4, v39
	v_lshlrev_b32_e32 v40, 11, v1
	v_and_b32_e32 v37, 0x78, v37
	v_or_b32_e32 v45, 32, v39
	v_or_b32_e32 v109, 0x4000, v38
	;; [unrolled: 1-line block ×3, first 2 shown]
	v_and_b32_e32 v38, 0x1000, v40
	v_xor_b32_e32 v41, v39, v37
	v_lshrrev_b32_e32 v42, 1, v0
	v_xor_b32_e32 v45, v45, v37
	v_or_b32_e32 v41, v41, v38
	v_and_b32_e32 v43, 8, v42
	v_or_b32_e32 v45, v45, v38
	v_xor_b32_e32 v113, v41, v43
	v_lshlrev_b32_e32 v41, 8, v85
	v_xor_b32_e32 v115, v45, v43
	v_or_b32_e32 v45, 64, v39
	v_or_b32_e32 v39, 0x60, v39
	s_ashr_i32 s3, s2, 31
	v_or_b32_e32 v44, v41, v55
	v_xor_b32_e32 v45, v45, v37
	v_xor_b32_e32 v37, v39, v37
	s_lshl_b64 s[20:21], s[2:3], 8
	v_lshlrev_b32_e32 v44, 1, v44
	v_or_b32_e32 v45, v45, v38
	v_or_b32_e32 v37, v37, v38
	s_add_u32 s20, s18, s20
	v_lshlrev_b32_e32 v38, 1, v86
	v_or_b32_e32 v114, 0x4000, v44
	v_or_b32_e32 v116, 0x4080, v44
	;; [unrolled: 1-line block ×8, first 2 shown]
	v_lshrrev_b32_e32 v44, 4, v0
	s_addc_u32 s21, s19, s21
	v_or_b32_e32 v39, 1, v38
	v_lshlrev_b32_e32 v78, 4, v86
	v_mov_b32_e32 v48, 0xa000
	v_mov_b32_e32 v49, 0x8000
	v_xor_b32_e32 v119, v45, v43
	v_xor_b32_e32 v45, v44, v38
	v_xor_b32_e32 v46, v39, v44
	v_lshl_add_u64 v[38:39], s[20:21], 0, v[78:79]
	v_lshlrev_b32_e32 v78, 8, v44
	v_cndmask_b32_e32 v48, v48, v49, vcc
	v_lshlrev_b32_e32 v49, 3, v1
	v_and_b32_e32 v42, 24, v42
	v_lshl_or_b32 v125, v45, 3, v78
	v_and_b32_e32 v45, 8, v0
	v_xor_b32_e32 v50, v49, v42
	v_or_b32_e32 v51, 0x440, v50
	v_cmp_eq_u32_e32 vcc, 0, v45
	v_and_b32_e32 v44, 7, v0
	v_lshl_or_b32 v126, v46, 3, v78
	v_cndmask_b32_e32 v45, v51, v50, vcc
	v_lshlrev_b32_e32 v46, 3, v44
	v_lshlrev_b32_e32 v44, 7, v44
	v_or_b32_e32 v45, v45, v40
	v_lshlrev_b32_e32 v47, 2, v0
	v_xad_u32 v127, v45, v46, v44
	v_or_b32_e32 v45, 32, v42
	v_and_or_b32 v41, v47, 60, v41
	v_xor_b32_e32 v45, v49, v45
	v_lshlrev_b32_e32 v41, 1, v41
	v_or_b32_e32 v47, 0x440, v45
	v_or_b32_e32 v128, 0x6000, v41
	v_cndmask_b32_e32 v45, v47, v45, vcc
	v_or_b32_e32 v130, 0x6080, v41
	v_or_b32_e32 v131, 0x6100, v41
	;; [unrolled: 1-line block ×5, first 2 shown]
	v_xor_b32_e32 v41, v49, v41
	v_xad_u32 v129, v45, v46, v44
	v_xor_b32_e32 v45, 0x440, v41
	v_cndmask_b32_e32 v41, v45, v41, vcc
	v_or_b32_e32 v41, v41, v40
	v_xad_u32 v133, v41, v46, v44
	v_or_b32_e32 v41, 0x60, v42
	v_xor_b32_e32 v41, v49, v41
	v_xor_b32_e32 v42, 0x440, v41
	v_cndmask_b32_e32 v41, v42, v41, vcc
	v_or_b32_e32 v40, v41, v40
	v_xor_b32_e32 v120, v37, v43
	v_ashrrev_i32_e32 v77, 31, v76
	v_lshlrev_b32_e32 v37, 1, v35
	v_add_lshl_u32 v35, v35, s15, 1
	v_or_b32_e32 v43, 0x100, v34
	v_xad_u32 v134, v40, v46, v44
	v_cndmask_b32_e64 v135, v37, v34, s[0:1]
	v_cndmask_b32_e64 v136, v35, v43, s[0:1]
	v_lshl_add_u64 v[80:81], v[76:77], 1, s[8:9]
	v_lshl_add_u64 v[82:83], v[38:39], 0, v[78:79]
	s_mov_b32 s3, 0x7060302
	v_lshlrev_b32_e32 v78, 1, v36
	v_add_u32_e32 v77, v48, v127
	v_add_u32_e32 v137, v48, v129
	;; [unrolled: 1-line block ×4, first 2 shown]
	s_waitcnt lgkmcnt(0)
	s_barrier
.LBB186_6:                              ; =>This Inner Loop Header: Depth=1
	s_add_i32 s68, s69, 1
	s_cmp_lt_i32 s68, s54
	s_mov_b64 s[24:25], 0
	s_cselect_b64 s[44:45], -1, 0
	s_cmp_ge_i32 s68, s54
	s_mov_b64 s[20:21], 0
	s_cbranch_scc1 .LBB186_8
; %bb.7:                                ;   in Loop: Header=BB186_6 Depth=1
	s_add_i32 s0, s63, 64
	s_add_u32 s0, s16, s0
	s_addc_u32 s1, s17, 0
	s_lshl_b64 s[0:1], s[0:1], 8
	s_add_u32 s20, s6, s0
	s_addc_u32 s21, s7, s1
.LBB186_8:                              ;   in Loop: Header=BB186_6 Depth=1
	v_cndmask_b32_e64 v34, 0, 1, s[44:45]
	v_cmp_ne_u32_e64 s[0:1], 1, v34
	s_andn2_b64 vcc, exec, s[44:45]
	s_cbranch_vccnz .LBB186_10
; %bb.9:                                ;   in Loop: Header=BB186_6 Depth=1
	s_add_i32 s24, s63, 64
	s_add_u32 s24, s66, s24
	s_addc_u32 s25, s67, 0
	s_mul_i32 s27, s24, s55
	s_mul_hi_u32 s44, s24, s60
	s_add_i32 s27, s44, s27
	s_mul_i32 s25, s25, s60
	s_add_i32 s27, s27, s25
	s_mul_i32 s24, s24, s60
	s_add_u32 s24, s24, s56
	s_addc_u32 s25, s27, s61
	s_lshl_b64 s[24:25], s[24:25], 8
	s_add_u32 s24, s4, s24
	s_addc_u32 s25, s5, s25
.LBB186_10:                             ;   in Loop: Header=BB186_6 Depth=1
	v_perm_b32 v35, v9, v8, s3
	v_perm_b32 v34, v7, v6, s3
	v_perm_b32 v37, v5, v4, s3
	v_perm_b32 v36, v3, v2, s3
	ds_write_b64 v97, v[34:35]
	ds_write_b64 v98, v[36:37]
	ds_write_b64 v100, v[34:35]
	ds_write_b64 v101, v[36:37]
	v_perm_b32 v35, v17, v16, s3
	v_perm_b32 v34, v15, v14, s3
	v_perm_b32 v37, v13, v12, s3
	v_perm_b32 v36, v11, v10, s3
	ds_write_b64 v99, v[34:35]
	ds_write_b64 v102, v[36:37]
	ds_write_b64 v103, v[34:35]
	ds_write_b64 v104, v[36:37]
	;; [unrolled: 8-line block ×4, first 2 shown]
	s_waitcnt lgkmcnt(0)
	s_barrier
	ds_read_b64 v[38:39], v113 offset:49152
	ds_read2_b64 v[34:37], v114 offset1:16
	ds_read_b64 v[50:51], v116 offset:6144
	ds_read_b64 v[52:53], v114 offset:6144
	s_waitcnt lgkmcnt(2)
	v_mfma_f32_16x16x16_bf16 a[0:3], v[38:39], v[34:35], 0
	ds_read_b64 v[54:55], v115 offset:49152
	ds_read2st64_b64 v[42:45], v117 offset0:4 offset1:8
	ds_read2st64_b64 v[46:49], v118 offset0:4 offset1:8
	v_mfma_f32_16x16x16_bf16 a[4:7], v[38:39], v[36:37], 0
	ds_read2_b64 v[34:37], v114 offset0:32 offset1:48
	s_add_i32 s27, s63, 63
	s_mul_i32 s44, s27, s35
	s_waitcnt lgkmcnt(0)
	v_mfma_f32_16x16x16_bf16 a[8:11], v[38:39], v[34:35], 0
	s_mul_hi_u32 s45, s27, s34
	s_add_i32 s45, s45, s44
	s_mul_i32 s44, s27, s34
	v_mfma_f32_16x16x16_bf16 a[12:15], v[38:39], v[36:37], 0
	ds_read2st64_b64 v[34:37], v114 offset0:4 offset1:8
	ds_read2st64_b64 v[38:41], v116 offset0:4 offset1:8
	s_lshl_b64 s[44:45], s[44:45], 2
	s_waitcnt lgkmcnt(1)
	v_mfma_f32_16x16x16_bf16 a[0:3], v[54:55], v[34:35], a[0:3]
	s_add_u32 s44, s42, s44
	s_addc_u32 s45, s43, s45
	s_and_b64 vcc, exec, s[0:1]
	s_waitcnt lgkmcnt(0)
	v_mfma_f32_16x16x16_bf16 a[4:7], v[54:55], v[38:39], a[4:7]
	v_mov_b32_e32 v142, 0
	v_mov_b32_e32 v141, 0
	;; [unrolled: 1-line block ×3, first 2 shown]
	v_mfma_f32_16x16x16_bf16 a[8:11], v[54:55], v[42:43], a[8:11]
	ds_read_b64 v[34:35], v119 offset:49152
	ds_read_b64 v[38:39], v120 offset:49152
	;; [unrolled: 1-line block ×3, first 2 shown]
	v_mfma_f32_16x16x16_bf16 a[12:15], v[54:55], v[46:47], a[12:15]
	v_mov_b32_e32 v46, 0
	v_mov_b32_e32 v47, 0
	s_waitcnt lgkmcnt(2)
	v_mfma_f32_16x16x16_bf16 a[0:3], v[34:35], v[36:37], a[0:3]
	v_mov_b32_e32 v36, 0
	v_mov_b32_e32 v37, 0
	v_mfma_f32_16x16x16_bf16 a[16:19], v[34:35], v[40:41], a[4:7]
	v_mov_b32_e32 v40, 0
	v_mov_b32_e32 v41, 0
	;; [unrolled: 3-line block ×3, first 2 shown]
	v_mfma_f32_16x16x16_bf16 a[24:27], v[34:35], v[48:49], a[12:15]
	ds_read_b64 v[34:35], v117 offset:6144
	v_mov_b32_e32 v48, 0
	v_mov_b32_e32 v49, 0
	s_waitcnt lgkmcnt(2)
	v_mfma_f32_16x16x16_bf16 a[4:7], v[38:39], v[52:53], a[0:3]
	v_mfma_f32_16x16x16_bf16 a[8:11], v[38:39], v[50:51], a[16:19]
	s_waitcnt lgkmcnt(0)
	v_mfma_f32_16x16x16_bf16 a[12:15], v[38:39], v[34:35], a[20:23]
	v_mov_b32_e32 v34, 0
	v_mov_b32_e32 v35, 0
	v_mfma_f32_16x16x16_bf16 a[0:3], v[38:39], v[42:43], a[24:27]
	v_mov_b32_e32 v38, 0
	v_mov_b32_e32 v39, 0
	;; [unrolled: 1-line block ×4, first 2 shown]
	s_cbranch_vccnz .LBB186_12
; %bb.11:                               ;   in Loop: Header=BB186_6 Depth=1
	s_and_b32 s21, s21, 0xffff
	buffer_load_dwordx4 v[46:49], v93, s[20:23], 0 offen
	buffer_load_dwordx4 v[42:45], v93, s[20:23], s62 offen
	;; [unrolled: 1-line block ×4, first 2 shown]
	v_mov_b32_e32 v141, v95
	v_mov_b32_e32 v140, v96
.LBB186_12:                             ;   in Loop: Header=BB186_6 Depth=1
	ds_read_b64 v[144:145], v113 offset:57344
	ds_read2_b64 v[50:53], v121 offset1:16
	ds_read_b64 v[146:147], v115 offset:57344
	ds_read_b64 v[148:149], v119 offset:57344
	;; [unrolled: 1-line block ×3, first 2 shown]
	v_add_u32_e32 v143, s63, v89
	s_waitcnt lgkmcnt(3)
	v_mfma_f32_16x16x16_bf16 a[4:7], v[144:145], v[50:51], a[4:7]
	v_mfma_f32_16x16x16_bf16 a[8:11], v[144:145], v[52:53], a[8:11]
	ds_read2_b64 v[50:53], v121 offset0:32 offset1:48
	ds_read2st64_b64 v[54:57], v121 offset0:4 offset1:8
	ds_read2st64_b64 v[58:61], v122 offset0:4 offset1:8
	;; [unrolled: 1-line block ×3, first 2 shown]
	s_waitcnt lgkmcnt(3)
	v_mfma_f32_16x16x16_bf16 a[12:15], v[144:145], v[50:51], a[12:15]
	v_ashrrev_i32_e32 v50, 31, v143
	v_mfma_f32_16x16x16_bf16 a[0:3], v[144:145], v[52:53], a[0:3]
	v_mul_lo_u32 v52, v50, s34
	v_mul_lo_u32 v53, v143, s35
	v_mad_u64_u32 v[50:51], s[20:21], v143, s34, 0
	v_add3_u32 v51, v51, v53, v52
	v_add_u32_e32 v52, 1, v143
	v_ashrrev_i32_e32 v53, 31, v52
	s_waitcnt lgkmcnt(2)
	v_mfma_f32_16x16x16_bf16 a[4:7], v[146:147], v[54:55], a[4:7]
	v_mul_lo_u32 v54, v53, s34
	v_mul_lo_u32 v55, v52, s35
	v_mad_u64_u32 v[52:53], s[20:21], v52, s34, 0
	v_add3_u32 v53, v53, v55, v54
	v_add_u32_e32 v54, 2, v143
	v_ashrrev_i32_e32 v55, 31, v54
	s_waitcnt lgkmcnt(1)
	v_mfma_f32_16x16x16_bf16 a[8:11], v[146:147], v[58:59], a[8:11]
	v_mul_lo_u32 v58, v55, s34
	v_mul_lo_u32 v59, v54, s35
	v_mad_u64_u32 v[54:55], s[20:21], v54, s34, 0
	v_add3_u32 v55, v55, v59, v58
	v_add_u32_e32 v58, 3, v143
	v_ashrrev_i32_e32 v59, 31, v58
	v_mul_lo_u32 v143, v59, s34
	v_mul_lo_u32 v144, v58, s35
	v_mad_u64_u32 v[58:59], s[20:21], v58, s34, 0
	s_add_u32 s20, s16, s63
	s_addc_u32 s21, s17, 0
	v_lshl_add_u64 v[50:51], v[50:51], 2, s[42:43]
	v_add3_u32 v59, v59, v144, v143
	s_lshl_b64 s[20:21], s[20:21], 8
	v_lshl_add_u64 v[52:53], v[52:53], 2, s[42:43]
	v_lshl_add_u64 v[54:55], v[54:55], 2, s[42:43]
	;; [unrolled: 1-line block ×3, first 2 shown]
	global_load_dword v143, v[50:51], off
	global_load_dword v144, v[52:53], off
	;; [unrolled: 1-line block ×4, first 2 shown]
	v_lshl_add_u64 v[50:51], v[80:81], 0, s[20:21]
	v_lshl_add_u64 v[54:55], v[50:51], 0, v[78:79]
	global_load_ushort v153, v[54:55], off offset:256
	global_load_ushort v154, v[54:55], off
	ds_read2st64_b64 v[50:53], v124 offset0:4 offset1:8
	global_load_ushort v155, v[54:55], off offset:768
	global_load_ushort v156, v[54:55], off offset:512
	s_waitcnt lgkmcnt(1)
	v_mfma_f32_16x16x16_bf16 a[12:15], v[146:147], v[62:63], a[12:15]
	s_and_b64 vcc, exec, s[0:1]
	s_waitcnt vmcnt(3)
	v_lshlrev_b32_e32 v63, 16, v153
	s_waitcnt lgkmcnt(0)
	v_mfma_f32_16x16x16_bf16 a[0:3], v[146:147], v[50:51], a[0:3]
	global_load_ushort v146, v[54:55], off offset:288
	global_load_ushort v147, v[54:55], off offset:32
	;; [unrolled: 1-line block ×8, first 2 shown]
	v_mfma_f32_16x16x16_bf16 a[4:7], v[148:149], v[56:57], a[4:7]
	ds_read_b64 v[50:51], v121 offset:6144
	s_waitcnt vmcnt(10)
	v_lshlrev_b32_e32 v62, 16, v154
	v_mfma_f32_16x16x16_bf16 a[8:11], v[148:149], v[60:61], a[8:11]
	v_mfma_f32_16x16x16_bf16 a[12:15], v[148:149], v[64:65], a[12:15]
	;; [unrolled: 1-line block ×3, first 2 shown]
	global_load_ushort v148, v[54:55], off offset:352
	global_load_ushort v149, v[54:55], off offset:96
	ds_read_b64 v[52:53], v122 offset:6144
	ds_read_b64 v[56:57], v123 offset:6144
	;; [unrolled: 1-line block ×3, first 2 shown]
	global_load_ushort v163, v[54:55], off offset:864
	global_load_ushort v164, v[54:55], off offset:608
	s_load_dword s20, s[44:45], 0x0
	s_waitcnt lgkmcnt(0)
	v_mfma_f32_16x16x16_bf16 a[4:7], v[150:151], v[50:51], a[4:7]
	v_sub_f32_e32 v60, s20, v145
	v_mfma_f32_16x16x16_bf16 a[0:3], v[150:151], v[58:59], a[0:3]
	v_sub_f32_e32 v58, s20, v143
	v_sub_f32_e32 v59, s20, v144
	;; [unrolled: 1-line block ×3, first 2 shown]
	v_mfma_f32_16x16x16_bf16 a[8:11], v[150:151], v[52:53], a[8:11]
	v_exp_f32_e32 v58, v58
	v_exp_f32_e32 v59, v59
	;; [unrolled: 1-line block ×4, first 2 shown]
	v_accvgpr_read_b32 v65, a5
	v_accvgpr_read_b32 v64, a4
	v_accvgpr_read_b32 v51, a7
	v_accvgpr_read_b32 v50, a6
	v_pk_add_f32 v[62:63], v[62:63], v[64:65] neg_lo:[0,1] neg_hi:[0,1]
	s_waitcnt vmcnt(13)
	v_lshlrev_b32_e32 v65, 16, v155
	s_waitcnt vmcnt(12)
	v_lshlrev_b32_e32 v64, 16, v156
	v_pk_add_f32 v[50:51], v[64:65], v[50:51] neg_lo:[0,1] neg_hi:[0,1]
	v_pk_mul_f32 v[62:63], v[58:59], v[62:63]
	v_pk_mul_f32 v[50:51], v[60:61], v[50:51]
	v_accvgpr_read_b32 v65, a9
	v_perm_b32 v51, v51, v50, s3
	v_perm_b32 v50, v63, v62, s3
	v_accvgpr_read_b32 v64, a8
	v_accvgpr_read_b32 v53, a11
	v_mfma_f32_16x16x16_bf16 a[12:15], v[150:151], v[56:57], a[12:15]
	v_accvgpr_read_b32 v52, a10
	v_accvgpr_read_b32 v57, a3
	;; [unrolled: 1-line block ×3, first 2 shown]
	v_mov_b32_e32 v143, 0
	s_waitcnt vmcnt(11)
	v_lshlrev_b32_e32 v63, 16, v146
	s_waitcnt vmcnt(10)
	v_lshlrev_b32_e32 v62, 16, v147
	v_pk_add_f32 v[62:63], v[62:63], v[64:65] neg_lo:[0,1] neg_hi:[0,1]
	s_waitcnt vmcnt(9)
	v_lshlrev_b32_e32 v65, 16, v157
	s_waitcnt vmcnt(8)
	v_lshlrev_b32_e32 v64, 16, v158
	v_pk_add_f32 v[52:53], v[64:65], v[52:53] neg_lo:[0,1] neg_hi:[0,1]
	v_pk_mul_f32 v[62:63], v[58:59], v[62:63]
	v_pk_mul_f32 v[52:53], v[60:61], v[52:53]
	v_accvgpr_read_b32 v55, a15
	v_perm_b32 v53, v53, v52, s3
	v_perm_b32 v52, v63, v62, s3
	ds_write2_b64 v98, v[50:51], v[52:53] offset1:16
	v_accvgpr_read_b32 v53, a13
	s_waitcnt vmcnt(7)
	v_lshlrev_b32_e32 v51, 16, v159
	s_waitcnt vmcnt(6)
	v_lshlrev_b32_e32 v50, 16, v160
	v_accvgpr_read_b32 v52, a12
	v_accvgpr_read_b32 v54, a14
	v_pk_add_f32 v[50:51], v[50:51], v[52:53] neg_lo:[0,1] neg_hi:[0,1]
	s_waitcnt vmcnt(5)
	v_lshlrev_b32_e32 v53, 16, v161
	s_waitcnt vmcnt(4)
	v_lshlrev_b32_e32 v52, 16, v162
	v_pk_add_f32 v[52:53], v[52:53], v[54:55] neg_lo:[0,1] neg_hi:[0,1]
	v_pk_mul_f32 v[50:51], v[58:59], v[50:51]
	v_pk_mul_f32 v[52:53], v[60:61], v[52:53]
	v_accvgpr_read_b32 v55, a1
	v_perm_b32 v53, v53, v52, s3
	v_perm_b32 v52, v51, v50, s3
	s_waitcnt vmcnt(3)
	v_lshlrev_b32_e32 v51, 16, v148
	s_waitcnt vmcnt(2)
	v_lshlrev_b32_e32 v50, 16, v149
	v_accvgpr_read_b32 v54, a0
	v_pk_add_f32 v[50:51], v[50:51], v[54:55] neg_lo:[0,1] neg_hi:[0,1]
	s_waitcnt vmcnt(1)
	v_lshlrev_b32_e32 v55, 16, v163
	s_waitcnt vmcnt(0)
	v_lshlrev_b32_e32 v54, 16, v164
	v_pk_add_f32 v[54:55], v[54:55], v[56:57] neg_lo:[0,1] neg_hi:[0,1]
	v_pk_mul_f32 v[50:51], v[58:59], v[50:51]
	v_pk_mul_f32 v[54:55], v[60:61], v[54:55]
	v_mov_b32_e32 v56, 0
	v_perm_b32 v55, v55, v54, s3
	v_perm_b32 v54, v51, v50, s3
	ds_write2_b64 v98, v[52:53], v[54:55] offset0:32 offset1:48
	v_mov_b32_e32 v50, 0
	v_mov_b32_e32 v51, 0
	;; [unrolled: 1-line block ×15, first 2 shown]
	s_cbranch_vccnz .LBB186_14
; %bb.13:                               ;   in Loop: Header=BB186_6 Depth=1
	s_and_b32 s25, s25, 0xffff
	s_mov_b32 s27, s23
	buffer_load_dwordx4 v[62:65], v135, s[24:27], 0 offen
	buffer_load_dwordx4 v[54:57], v135, s[24:27], s62 offen
	;; [unrolled: 1-line block ×4, first 2 shown]
	v_mov_b32_e32 v142, v92
	v_mov_b32_e32 v143, v91
.LBB186_14:                             ;   in Loop: Header=BB186_6 Depth=1
	s_waitcnt lgkmcnt(0)
	s_barrier
	ds_read_b64 v[152:153], v77
	ds_read2_b64 v[144:147], v128 offset1:16
	ds_read_b64 v[168:169], v137
	ds_read_b64 v[170:171], v138
	;; [unrolled: 1-line block ×3, first 2 shown]
	ds_read2_b64 v[148:151], v128 offset0:32 offset1:48
	s_waitcnt lgkmcnt(4)
	v_mfma_f32_16x16x16_bf16 a[0:3], v[152:153], v[144:145], 0
	ds_read2st64_b64 v[156:159], v130 offset0:4 offset1:8
	ds_read2st64_b64 v[160:163], v131 offset0:4 offset1:8
	;; [unrolled: 1-line block ×3, first 2 shown]
	v_mfma_f32_16x16x16_bf16 a[4:7], v[152:153], v[146:147], 0
	s_add_i32 s21, s57, s69
	s_mul_hi_i32 s25, s21, s13
	s_mul_i32 s21, s21, s13
	s_waitcnt lgkmcnt(3)
	v_mfma_f32_16x16x16_bf16 a[8:11], v[152:153], v[148:149], 0
	s_add_u32 s24, s21, s50
	s_addc_u32 s25, s25, s51
	s_lshl_b64 s[24:25], s[24:25], 15
	v_mfma_f32_16x16x16_bf16 a[12:15], v[152:153], v[150:151], 0
	ds_read2st64_b64 v[152:155], v128 offset0:4 offset1:8
	s_waitcnt lgkmcnt(0)
	v_mfma_f32_16x16x16_bf16 a[0:3], v[168:169], v[152:153], a[0:3]
	v_mfma_f32_16x16x16_bf16 a[4:7], v[168:169], v[156:157], a[4:7]
	;; [unrolled: 1-line block ×8, first 2 shown]
	ds_read_b64 v[168:169], v128 offset:6144
	ds_read_b64 v[170:171], v129 offset:40960
	;; [unrolled: 1-line block ×8, first 2 shown]
	s_waitcnt lgkmcnt(5)
	v_mfma_f32_16x16x16_bf16 a[16:19], v[174:175], v[144:145], 0
	v_mfma_f32_16x16x16_bf16 a[20:23], v[174:175], v[146:147], 0
	ds_read2st64_b64 v[144:147], v125 offset1:8
	v_mfma_f32_16x16x16_bf16 a[24:27], v[174:175], v[148:149], 0
	v_mfma_f32_16x16x16_bf16 a[28:31], v[174:175], v[150:151], 0
	ds_read2st64_b64 v[148:151], v126 offset1:8
	v_mfma_f32_16x16x16_bf16 a[16:19], v[170:171], v[152:153], a[16:19]
	s_waitcnt lgkmcnt(1)
	v_mov_b32_e32 v152, v144
	v_mov_b32_e32 v153, v145
	v_mfma_f32_16x16x16_bf16 a[20:23], v[170:171], v[156:157], a[20:23]
	v_lshl_add_u64 v[156:157], v[82:83], 0, s[24:25]
	v_mfma_f32_16x16x16_bf16 a[24:27], v[170:171], v[160:161], a[24:27]
	v_mfma_f32_16x16x16_bf16 a[28:31], v[170:171], v[164:165], a[28:31]
	;; [unrolled: 1-line block ×3, first 2 shown]
	s_waitcnt lgkmcnt(0)
	v_mov_b32_e32 v154, v148
	v_mov_b32_e32 v155, v149
	;; [unrolled: 1-line block ×3, first 2 shown]
	v_mfma_f32_16x16x16_bf16 a[32:35], v[182:183], v[158:159], a[20:23]
	v_mov_b32_e32 v149, v147
	ds_read2st64_b64 v[144:147], v125 offset0:16 offset1:24
	global_store_dwordx4 v[156:157], v[152:155], off
	v_mfma_f32_16x16x16_bf16 a[24:27], v[182:183], v[162:163], a[24:27]
	ds_read2st64_b64 v[152:155], v126 offset0:16 offset1:24
	v_add_co_u32_e32 v158, vcc, s37, v156
	v_mfma_f32_16x16x16_bf16 a[28:31], v[182:183], v[166:167], a[28:31]
	s_nop 0
	v_addc_co_u32_e32 v159, vcc, 0, v157, vcc
	global_store_dwordx4 v[158:159], v[148:151], off offset:-4096
	v_mfma_f32_16x16x16_bf16 a[0:3], v[172:173], v[168:169], a[0:3]
	s_waitcnt lgkmcnt(1)
	v_mov_b32_e32 v148, v144
	v_add_co_u32_e32 v144, vcc, s39, v156
	v_mfma_f32_16x16x16_bf16 a[4:7], v[172:173], v[176:177], a[4:7]
	v_mov_b32_e32 v149, v145
	v_addc_co_u32_e32 v145, vcc, 0, v157, vcc
	v_mfma_f32_16x16x16_bf16 a[8:11], v[172:173], v[178:179], a[8:11]
	s_waitcnt lgkmcnt(0)
	v_mov_b32_e32 v150, v152
	v_mov_b32_e32 v151, v153
	;; [unrolled: 1-line block ×3, first 2 shown]
	v_mfma_f32_16x16x16_bf16 a[12:15], v[172:173], v[180:181], a[12:15]
	v_mov_b32_e32 v153, v147
	s_and_b64 vcc, exec, s[0:1]
	global_store_dwordx4 v[158:159], v[148:151], off
	v_mfma_f32_16x16x16_bf16 a[20:23], v[184:185], v[168:169], a[16:19]
	global_store_dwordx4 v[144:145], v[152:155], off
	v_mfma_f32_16x16x16_bf16 a[16:19], v[184:185], v[176:177], a[32:35]
	v_mfma_f32_16x16x16_bf16 a[24:27], v[184:185], v[178:179], a[24:27]
	v_mfma_f32_16x16x16_bf16 a[28:31], v[184:185], v[180:181], a[28:31]
	s_cbranch_vccnz .LBB186_16
; %bb.15:                               ;   in Loop: Header=BB186_6 Depth=1
	v_lshrrev_b32_e32 v144, 3, v142
	v_and_b32_e32 v144, 6, v144
	v_xor_b32_e32 v143, v144, v143
	v_lshlrev_b32_e32 v143, 2, v143
	v_and_b32_e32 v142, 8, v142
	v_xor_b32_e32 v145, 0x440, v143
	v_cmp_eq_u32_e32 vcc, 0, v142
	s_barrier
	s_nop 0
	v_cndmask_b32_e32 v142, v145, v143, vcc
	v_lshl_or_b32 v142, v144, 10, v142
	s_waitcnt vmcnt(5)
	v_perm_b32 v143, v62, v58, s64
	s_waitcnt vmcnt(4)
	v_perm_b32 v144, v54, v50, s64
	ds_write2st64_b32 v142, v143, v144 offset0:128 offset1:160
	v_xor_b32_e32 v143, 8, v142
	v_perm_b32 v58, v62, v58, s65
	v_perm_b32 v50, v54, v50, s65
	v_add_u32_e32 v54, 0x80, v143
	ds_write2st64_b32 v54, v58, v50 offset0:128 offset1:160
	v_xor_b32_e32 v50, 16, v142
	v_perm_b32 v54, v63, v59, s64
	v_perm_b32 v58, v55, v51, s64
	ds_write2st64_b32 v50, v54, v58 offset0:129 offset1:161
	v_xor_b32_e32 v50, 24, v142
	v_perm_b32 v54, v63, v59, s65
	v_perm_b32 v51, v55, v51, s65
	v_add_u32_e32 v50, 0x80, v50
	ds_write2st64_b32 v50, v54, v51 offset0:129 offset1:161
	v_xor_b32_e32 v50, 32, v142
	v_perm_b32 v51, v64, v60, s64
	v_perm_b32 v54, v56, v52, s64
	ds_write2st64_b32 v50, v51, v54 offset0:130 offset1:162
	v_xor_b32_e32 v50, 40, v142
	v_perm_b32 v51, v64, v60, s65
	v_perm_b32 v52, v56, v52, s65
	v_add_u32_e32 v50, 0x80, v50
	ds_write2st64_b32 v50, v51, v52 offset0:130 offset1:162
	v_xor_b32_e32 v50, 48, v142
	v_perm_b32 v51, v65, v61, s64
	v_perm_b32 v52, v57, v53, s64
	ds_write2st64_b32 v50, v51, v52 offset0:131 offset1:163
	v_xor_b32_e32 v50, 56, v142
	v_perm_b32 v51, v65, v61, s65
	v_perm_b32 v52, v57, v53, s65
	v_add_u32_e32 v50, 0x80, v50
	ds_write2st64_b32 v50, v51, v52 offset0:131 offset1:163
	ds_write_b64 v141, v[46:47] offset:49152
	v_xor_b32_e32 v46, 8, v141
	ds_write_b64 v46, v[48:49] offset:49152
	ds_write_b64 v141, v[42:43] offset:57344
	;; [unrolled: 1-line block ×4, first 2 shown]
	v_xor_b32_e32 v38, 8, v140
	ds_write_b64 v38, v[40:41] offset:49152
	ds_write_b64 v140, v[34:35] offset:57344
	;; [unrolled: 1-line block ×3, first 2 shown]
.LBB186_16:                             ;   in Loop: Header=BB186_6 Depth=1
	v_exp_f32_e32 v140, s20
	v_accvgpr_read_b32 v37, a3
	v_accvgpr_read_b32 v41, a7
	;; [unrolled: 1-line block ×4, first 2 shown]
	s_waitcnt vmcnt(4)
	v_accvgpr_read_b32 v53, a23
	v_accvgpr_read_b32 v57, a19
	v_accvgpr_read_b32 v61, a27
	v_accvgpr_read_b32 v65, a31
	v_accvgpr_read_b32 v36, a2
	v_accvgpr_read_b32 v35, a1
	v_accvgpr_read_b32 v34, a0
	v_accvgpr_read_b32 v40, a6
	v_accvgpr_read_b32 v39, a5
	v_accvgpr_read_b32 v38, a4
	v_accvgpr_read_b32 v44, a10
	v_accvgpr_read_b32 v43, a9
	v_accvgpr_read_b32 v42, a8
	v_accvgpr_read_b32 v48, a14
	v_accvgpr_read_b32 v47, a13
	v_accvgpr_read_b32 v46, a12
	v_accvgpr_read_b32 v52, a22
	v_accvgpr_read_b32 v51, a21
	v_accvgpr_read_b32 v50, a20
	v_accvgpr_read_b32 v56, a18
	v_accvgpr_read_b32 v55, a17
	v_accvgpr_read_b32 v54, a16
	v_accvgpr_read_b32 v60, a26
	v_accvgpr_read_b32 v59, a25
	v_accvgpr_read_b32 v58, a24
	v_accvgpr_read_b32 v64, a30
	v_accvgpr_read_b32 v63, a29
	v_accvgpr_read_b32 v62, a28
	s_add_i32 s63, s63, 64
	v_pk_fma_f32 v[6:7], v[6:7], v[140:141], v[34:35] op_sel_hi:[1,0,1]
	v_pk_fma_f32 v[8:9], v[8:9], v[140:141], v[36:37] op_sel_hi:[1,0,1]
	;; [unrolled: 1-line block ×15, first 2 shown]
	s_cmp_eq_u32 s54, s68
	v_pk_fma_f32 v[28:29], v[28:29], v[140:141], v[64:65] op_sel_hi:[1,0,1]
	s_cbranch_scc1 .LBB186_18
; %bb.17:                               ;   in Loop: Header=BB186_6 Depth=1
	s_mov_b32 s69, s68
	s_branch .LBB186_6
.LBB186_18:
	s_lshl_b32 s26, s54, 6
	s_sub_i32 s27, s12, s26
	s_cmp_gt_i32 s27, 0
	s_cbranch_scc0 .LBB186_99
; %bb.19:
	s_ashr_i32 s3, s26, 31
	s_cmpk_lg_i32 s15, 0x80
	s_cselect_b64 s[22:23], -1, 0
	s_and_b64 vcc, exec, s[22:23]
	s_cbranch_vccz .LBB186_21
; %bb.20:
	s_mul_i32 s1, s53, s12
	s_mul_hi_i32 s0, s53, s12
	s_add_u32 s1, s1, s26
	s_addc_u32 s0, s0, s3
	s_mul_i32 s17, s1, s55
	s_mul_hi_u32 s20, s1, s14
	s_add_i32 s17, s20, s17
	s_mul_i32 s0, s0, s14
	s_add_i32 s17, s17, s0
	s_mul_i32 s1, s1, s14
	s_ashr_i32 s0, s56, 31
	s_add_u32 s24, s1, s56
	s_addc_u32 s25, s17, s0
	s_cbranch_execz .LBB186_22
	s_branch .LBB186_23
.LBB186_21:
                                        ; implicit-def: $sgpr24_sgpr25
.LBB186_22:
	s_mul_hi_i32 s0, s53, s14
	s_mul_i32 s53, s53, s14
	s_ashr_i32 s1, s56, 31
	s_add_u32 s14, s53, s56
	s_addc_u32 s0, s0, s1
	s_mul_i32 s1, s14, s52
	s_mul_hi_u32 s17, s14, s12
	s_add_i32 s1, s17, s1
	s_mul_i32 s0, s0, s12
	s_add_i32 s1, s1, s0
	s_mul_i32 s14, s14, s12
	s_add_u32 s24, s14, s26
	s_addc_u32 s25, s1, s3
.LBB186_23:
	s_mul_i32 s0, s40, s52
	s_add_i32 s0, s59, s0
	s_add_i32 s14, s57, s54
	;; [unrolled: 1-line block ×3, first 2 shown]
	s_add_u32 s0, s16, s26
	v_lshlrev_b32_e32 v38, 6, v89
	v_lshlrev_b32_e32 v56, 2, v86
	s_addc_u32 s1, s1, s3
	s_mov_b32 s3, 0x7060302
	v_or_b32_e32 v41, v38, v56
	v_xor_b32_e32 v39, v89, v56
	s_waitcnt vmcnt(7)
	v_perm_b32 v35, v9, v8, s3
	v_perm_b32 v34, v7, v6, s3
	s_waitcnt vmcnt(6)
	v_perm_b32 v37, v5, v4, s3
	v_perm_b32 v36, v3, v2, s3
	v_lshlrev_b32_e32 v41, 1, v41
	v_xor_b32_e32 v40, v90, v56
	ds_write2st64_b64 v41, v[34:35], v[36:37] offset0:32 offset1:48
	v_lshlrev_b32_e32 v39, 1, v39
	v_lshlrev_b32_e32 v41, 8, v86
	v_or_b32_e32 v42, v39, v41
	v_lshlrev_b32_e32 v40, 1, v40
	ds_write_b64 v42, v[34:35]
	v_or_b32_e32 v34, v40, v41
	v_or_b32_e32 v41, 16, v86
	v_lshlrev_b32_e32 v55, 2, v41
	v_or_b32_e32 v42, v38, v55
	ds_write_b64 v34, v[36:37]
	s_waitcnt vmcnt(5)
	v_perm_b32 v35, v17, v16, s3
	v_perm_b32 v34, v15, v14, s3
	s_waitcnt vmcnt(4)
	v_perm_b32 v37, v13, v12, s3
	v_perm_b32 v36, v11, v10, s3
	v_lshlrev_b32_e32 v42, 1, v42
	v_lshlrev_b32_e32 v41, 8, v41
	ds_write2st64_b64 v42, v[34:35], v[36:37] offset0:32 offset1:48
	v_or_b32_e32 v42, v39, v41
	ds_write_b64 v42, v[34:35]
	v_or_b32_e32 v34, v40, v41
	v_or_b32_e32 v41, 32, v86
	v_lshlrev_b32_e32 v54, 2, v41
	v_or_b32_e32 v42, v38, v54
	ds_write_b64 v34, v[36:37]
	s_waitcnt vmcnt(3)
	v_perm_b32 v35, v25, v24, s3
	v_perm_b32 v34, v23, v22, s3
	s_waitcnt vmcnt(2)
	v_perm_b32 v37, v21, v20, s3
	v_perm_b32 v36, v19, v18, s3
	v_lshlrev_b32_e32 v42, 1, v42
	v_lshlrev_b32_e32 v41, 8, v41
	s_lshl_b64 s[20:21], s[0:1], 8
	ds_write2st64_b64 v42, v[34:35], v[36:37] offset0:32 offset1:48
	v_or_b32_e32 v42, v39, v41
	s_waitcnt lgkmcnt(0)
	s_add_u32 s0, s6, s20
	ds_write_b64 v42, v[34:35]
	v_or_b32_e32 v34, v40, v41
	s_addc_u32 s1, s7, s21
	ds_write_b64 v34, v[36:37]
	s_waitcnt vmcnt(1)
	v_perm_b32 v35, v33, v32, s3
	v_perm_b32 v34, v31, v30, s3
	s_waitcnt vmcnt(0)
	v_perm_b32 v37, v29, v28, s3
	v_perm_b32 v36, v27, v26, s3
	v_or_b32_e32 v41, 48, v86
	s_mul_hi_i32 s3, s14, s13
	s_mul_i32 s14, s14, s13
	v_lshlrev_b32_e32 v51, 2, v41
	s_add_u32 s6, s14, s50
	v_or_b32_e32 v38, v38, v51
	s_addc_u32 s7, s3, s51
	v_lshlrev_b32_e32 v38, 1, v38
	s_ashr_i32 s3, s2, 31
	s_lshl_b64 s[6:7], s[6:7], 15
	ds_write2st64_b64 v38, v[34:35], v[36:37] offset0:32 offset1:48
	v_lshlrev_b32_e32 v38, 8, v41
	s_add_u32 s6, s18, s6
	v_or_b32_e32 v39, v39, v38
	s_addc_u32 s7, s19, s7
	s_lshl_b64 s[2:3], s[2:3], 8
	ds_write_b64 v39, v[34:35]
	v_or_b32_e32 v34, v40, v38
	s_add_u32 s2, s6, s2
	v_lshlrev_b32_e32 v35, 1, v86
	ds_write_b64 v34, v[36:37]
	v_lshrrev_b32_e32 v34, 4, v0
	s_addc_u32 s3, s7, s3
	v_or_b32_e32 v36, 1, v35
	v_lshlrev_b32_e32 v42, 4, v86
	v_mov_b32_e32 v43, 0
	v_xor_b32_e32 v35, v34, v35
	v_xor_b32_e32 v38, v36, v34
	v_lshl_add_u64 v[44:45], s[2:3], 0, v[42:43]
	v_lshlrev_b32_e32 v42, 8, v34
	v_lshl_or_b32 v48, v35, 3, v42
	v_lshl_or_b32 v49, v38, 3, v42
	s_waitcnt lgkmcnt(0)
	s_barrier
	ds_read2st64_b64 v[34:37], v48 offset1:8
	ds_read2st64_b64 v[38:41], v49 offset1:8
	v_lshl_add_u64 v[46:47], v[44:45], 0, v[42:43]
	s_movk_i32 s2, 0x2000
	s_cmp_lg_u32 s27, 64
	s_waitcnt lgkmcnt(1)
	v_mov_b32_e32 v42, v34
	v_mov_b32_e32 v43, v35
	s_waitcnt lgkmcnt(0)
	v_mov_b32_e32 v44, v38
	v_mov_b32_e32 v45, v39
	global_store_dwordx4 v[46:47], v[42:45], off
	v_mov_b32_e32 v38, v36
	v_mov_b32_e32 v39, v37
	ds_read2st64_b64 v[34:37], v48 offset0:16 offset1:24
	ds_read2st64_b64 v[42:45], v49 offset0:16 offset1:24
	v_add_co_u32_e32 v48, vcc, s2, v46
	s_cselect_b64 s[6:7], -1, 0
	s_nop 0
	v_addc_co_u32_e32 v49, vcc, 0, v47, vcc
	global_store_dwordx4 v[48:49], v[38:41], off offset:-4096
	v_lshl_or_b32 v62, v1, 3, v88
	s_mov_b32 s16, 0
	s_waitcnt lgkmcnt(1)
	v_mov_b32_e32 v38, v34
	v_add_co_u32_e32 v34, vcc, 0x3000, v46
	v_mov_b32_e32 v39, v35
	s_nop 0
	v_addc_co_u32_e32 v35, vcc, 0, v47, vcc
	s_waitcnt lgkmcnt(0)
	v_mov_b32_e32 v40, v42
	v_mov_b32_e32 v41, v43
	;; [unrolled: 1-line block ×4, first 2 shown]
	v_or_b32_e32 v52, 32, v62
	v_and_b32_e32 v50, 56, v87
	s_and_b64 vcc, exec, s[6:7]
	global_store_dwordx4 v[48:49], v[38:41], off
	global_store_dwordx4 v[34:35], v[42:45], off
	s_cbranch_vccz .LBB186_29
; %bb.24:
	s_mov_b32 s18, s16
	s_mov_b32 s19, s16
	;; [unrolled: 1-line block ×3, first 2 shown]
	v_mov_b64_e32 v[40:41], s[18:19]
	v_mov_b64_e32 v[38:39], s[16:17]
	;; [unrolled: 1-line block ×3, first 2 shown]
	v_cmp_gt_i32_e32 vcc, s27, v62
	v_mov_b64_e32 v[36:37], v[40:41]
	s_and_saveexec_b64 s[2:3], vcc
	s_cbranch_execz .LBB186_26
; %bb.25:
	v_lshlrev_b32_e32 v34, 8, v62
	v_mov_b32_e32 v35, 0
	v_lshl_add_u64 v[36:37], s[0:1], 0, v[34:35]
	v_lshlrev_b32_e32 v34, 1, v50
	v_lshl_add_u64 v[42:43], v[36:37], 0, v[34:35]
	global_load_dwordx4 v[38:41], v[42:43], off
	global_load_dwordx4 v[34:37], v[42:43], off offset:128
.LBB186_26:
	s_or_b64 exec, exec, s[2:3]
	s_mov_b32 s18, s16
	s_mov_b32 s19, s16
	;; [unrolled: 1-line block ×3, first 2 shown]
	v_mov_b64_e32 v[48:49], s[18:19]
	v_mov_b64_e32 v[46:47], s[16:17]
	;; [unrolled: 1-line block ×3, first 2 shown]
	v_cmp_gt_i32_e32 vcc, s27, v52
	v_lshlrev_b32_e32 v53, 7, v52
	v_mov_b64_e32 v[44:45], v[48:49]
	s_and_saveexec_b64 s[2:3], vcc
	s_cbranch_execz .LBB186_28
; %bb.27:
	v_lshlrev_b32_e32 v42, 1, v53
	v_mov_b32_e32 v43, 0
	v_lshl_add_u64 v[44:45], s[0:1], 0, v[42:43]
	v_lshlrev_b32_e32 v42, 1, v50
	v_lshl_add_u64 v[58:59], v[44:45], 0, v[42:43]
	global_load_dwordx4 v[46:49], v[58:59], off
	global_load_dwordx4 v[42:45], v[58:59], off offset:128
.LBB186_28:
	s_or_b64 exec, exec, s[2:3]
	v_lshrrev_b32_e32 v57, 3, v50
	v_lshlrev_b32_e32 v58, 3, v62
	v_or_b32_e32 v57, v58, v57
	v_lshlrev_b32_e32 v57, 4, v57
	v_and_b32_e32 v58, 0x78, v58
	v_xor_b32_e32 v57, v57, v58
	s_branch .LBB186_31
.LBB186_29:
                                        ; implicit-def: $vgpr57
                                        ; implicit-def: $vgpr53
                                        ; implicit-def: $vgpr38_vgpr39_vgpr40_vgpr41
                                        ; implicit-def: $vgpr34_vgpr35_vgpr36_vgpr37
                                        ; implicit-def: $vgpr46_vgpr47_vgpr48_vgpr49
                                        ; implicit-def: $vgpr42_vgpr43_vgpr44_vgpr45
	s_cbranch_execz .LBB186_31
; %bb.30:
	s_waitcnt vmcnt(0)
	v_lshlrev_b32_e32 v34, 1, v50
	v_lshl_or_b32 v53, v62, 8, v34
	s_and_b32 s1, s1, 0xffff
	s_mov_b32 s3, 0x20000
	s_movk_i32 s2, 0x4000
	v_lshl_or_b32 v57, v52, 8, v34
	s_movk_i32 s13, 0x80
	buffer_load_dwordx4 v[38:41], v53, s[0:3], 0 offen
	buffer_load_dwordx4 v[34:37], v53, s[0:3], s13 offen
	;; [unrolled: 1-line block ×4, first 2 shown]
	v_lshrrev_b32_e32 v53, 3, v50
	v_lshlrev_b32_e32 v57, 3, v62
	v_or_b32_e32 v53, v57, v53
	v_lshlrev_b32_e32 v53, 4, v53
	v_and_b32_e32 v57, 0x78, v57
	v_xor_b32_e32 v57, v53, v57
	v_lshlrev_b32_e32 v53, 7, v52
.LBB186_31:
	s_movk_i32 s0, 0x1000
	v_and_or_b32 v52, v53, s0, v57
	s_waitcnt vmcnt(1)
	ds_write_b64 v57, v[38:39] offset:49152
	v_xor_b32_e32 v38, 8, v57
	ds_write_b64 v38, v[40:41] offset:49152
	s_waitcnt vmcnt(0)
	ds_write_b64 v57, v[34:35] offset:57344
	ds_write_b64 v38, v[36:37] offset:57344
	;; [unrolled: 1-line block ×3, first 2 shown]
	v_xor_b32_e32 v34, 8, v52
	ds_write_b64 v34, v[48:49] offset:49152
	ds_write_b64 v52, v[42:43] offset:57344
	;; [unrolled: 1-line block ×3, first 2 shown]
	v_or_b32_e32 v34, v84, v86
	v_lshlrev_b32_e32 v34, 3, v34
	v_lshrrev_b32_e32 v35, 5, v67
	s_movk_i32 s0, 0xf8
	v_and_or_b32 v35, v34, s0, v35
	v_lshlrev_b32_e32 v39, 4, v35
	v_lshlrev_b32_e32 v57, 11, v1
	v_and_b32_e32 v40, 0x78, v34
	v_or_b32_e32 v42, 32, v39
	v_and_b32_e32 v38, 0x1000, v57
	v_lshrrev_b32_e32 v35, 1, v67
	v_xor_b32_e32 v42, v42, v40
	v_xor_b32_e32 v34, v39, v40
	v_and_b32_e32 v41, 8, v35
	v_or_b32_e32 v42, v42, v38
	v_or_b32_e32 v34, v34, v38
	v_xor_b32_e32 v64, v42, v41
	v_or_b32_e32 v42, 64, v39
	v_xor_b32_e32 v63, v34, v41
	v_xor_b32_e32 v42, v42, v40
	s_waitcnt lgkmcnt(0)
	s_barrier
	v_or_b32_e32 v45, v42, v38
	ds_read_b64 v[42:43], v63 offset:49152
	v_lshl_or_b32 v46, v85, 8, v56
	v_lshlrev_b32_e32 v58, 1, v46
	v_add_u32_e32 v44, 0x4000, v58
	ds_read2_b64 v[34:37], v44 offset1:16
	v_or_b32_e32 v39, 0x60, v39
	v_xor_b32_e32 v39, v39, v40
	v_or_b32_e32 v38, v39, v38
	v_xor_b32_e32 v65, v45, v41
	v_xor_b32_e32 v77, v38, v41
	ds_read_b64 v[52:53], v64 offset:49152
	ds_read_b64 v[78:79], v65 offset:49152
	;; [unrolled: 1-line block ×3, first 2 shown]
	s_waitcnt lgkmcnt(3)
	v_mfma_f32_16x16x16_bf16 a[0:3], v[42:43], v[34:35], 0
	ds_read2st64_b64 v[38:41], v58 offset0:36 offset1:40
	s_lshl_b64 s[0:1], s[24:25], 8
	s_add_u32 s4, s4, s0
	v_mfma_f32_16x16x16_bf16 a[4:7], v[42:43], v[36:37], 0
	ds_read2_b64 v[34:37], v44 offset0:32 offset1:48
	s_addc_u32 s5, s5, s1
	s_add_i32 s1, s46, s33
	s_waitcnt lgkmcnt(0)
	v_mfma_f32_16x16x16_bf16 a[8:11], v[42:43], v[34:35], 0
	v_or_b32_e32 v34, 64, v46
	v_lshlrev_b32_e32 v59, 1, v34
	s_add_i32 s0, s12, -1
	v_mfma_f32_16x16x16_bf16 a[12:15], v[42:43], v[36:37], 0
	ds_read2st64_b64 v[34:37], v59 offset0:36 offset1:40
	s_add_i32 s39, s1, s41
	s_add_i32 s1, s48, s47
	v_mfma_f32_16x16x16_bf16 a[0:3], v[52:53], v[38:39], a[0:3]
	v_or_b32_e32 v38, 0x80, v46
	v_lshlrev_b32_e32 v60, 1, v38
	ds_read2st64_b64 v[42:45], v60 offset0:36 offset1:40
	s_waitcnt lgkmcnt(1)
	v_mfma_f32_16x16x16_bf16 a[4:7], v[52:53], v[34:35], a[4:7]
	v_or_b32_e32 v34, 0xc0, v46
	v_lshlrev_b32_e32 v61, 1, v34
	ds_read2st64_b64 v[46:49], v61 offset0:36 offset1:40
	s_add_i32 s37, s1, s49
	s_ashr_i32 s1, s0, 31
	s_mul_i32 s2, s0, s35
	s_mul_hi_u32 s3, s0, s34
	s_add_i32 s2, s3, s2
	s_mul_i32 s1, s1, s34
	s_waitcnt lgkmcnt(1)
	v_mfma_f32_16x16x16_bf16 a[8:11], v[52:53], v[42:43], a[8:11]
	s_add_i32 s1, s2, s1
	s_lshl_b64 s[2:3], s[38:39], 2
	s_add_u32 s10, s10, s2
	s_waitcnt lgkmcnt(0)
	v_mfma_f32_16x16x16_bf16 a[12:15], v[52:53], v[46:47], a[12:15]
	s_addc_u32 s11, s11, s3
	s_lshl_b64 s[2:3], s[36:37], 2
	s_mul_i32 s0, s0, s34
	v_mfma_f32_16x16x16_bf16 a[0:3], v[78:79], v[40:41], a[0:3]
	ds_read_b64 v[34:35], v58 offset:22528
	s_add_u32 s10, s10, s2
	s_addc_u32 s11, s11, s3
	v_mfma_f32_16x16x16_bf16 a[4:7], v[78:79], v[36:37], a[4:7]
	ds_read_b64 v[36:37], v59 offset:22528
	ds_read_b64 v[38:39], v60 offset:22528
	;; [unrolled: 1-line block ×3, first 2 shown]
	s_lshl_b64 s[0:1], s[0:1], 2
	s_add_u32 s0, s10, s0
	v_mfma_f32_16x16x16_bf16 a[8:11], v[78:79], v[44:45], a[8:11]
	s_addc_u32 s1, s11, s1
	s_load_dword s12, s[0:1], 0x0
	s_and_b64 vcc, exec, s[22:23]
	v_mfma_f32_16x16x16_bf16 a[12:15], v[78:79], v[48:49], a[12:15]
	s_waitcnt lgkmcnt(0)
	v_mfma_f32_16x16x16_bf16 a[0:3], v[80:81], v[34:35], a[0:3]
	v_mfma_f32_16x16x16_bf16 a[4:7], v[80:81], v[36:37], a[4:7]
	;; [unrolled: 1-line block ×4, first 2 shown]
	s_cbranch_vccz .LBB186_42
; %bb.32:
	v_lshlrev_b32_e32 v52, 1, v62
	s_and_b64 vcc, exec, s[6:7]
	s_cbranch_vccz .LBB186_43
; %bb.33:
	v_cmp_gt_i32_e32 vcc, s27, v52
	v_mov_b32_e32 v38, 0
	v_mov_b32_e32 v34, 0
	;; [unrolled: 1-line block ×5, first 2 shown]
	s_and_saveexec_b64 s[0:1], vcc
	s_cbranch_execz .LBB186_35
; %bb.34:
	v_mad_i64_i32 v[34:35], s[2:3], s15, v52, 0
	v_lshl_add_u64 v[34:35], v[34:35], 1, s[4:5]
	v_lshlrev_b32_e32 v36, 1, v50
	v_mov_b32_e32 v37, 0
	v_lshl_add_u64 v[34:35], v[34:35], 0, v[36:37]
	global_load_dwordx4 v[34:37], v[34:35], off
.LBB186_35:
	s_or_b64 exec, exec, s[0:1]
	v_or_b32_e32 v53, 1, v52
	v_cmp_gt_i32_e64 s[0:1], s27, v53
	v_mov_b32_e32 v39, 0
	v_mov_b32_e32 v40, 0
	;; [unrolled: 1-line block ×3, first 2 shown]
	s_and_saveexec_b64 s[2:3], s[0:1]
	s_cbranch_execz .LBB186_37
; %bb.36:
	v_mad_i64_i32 v[38:39], s[16:17], s15, v53, 0
	v_lshl_add_u64 v[38:39], v[38:39], 1, s[4:5]
	v_lshlrev_b32_e32 v40, 1, v50
	v_mov_b32_e32 v41, 0
	v_lshl_add_u64 v[38:39], v[38:39], 0, v[40:41]
	global_load_dwordx4 v[38:41], v[38:39], off
.LBB186_37:
	s_or_b64 exec, exec, s[2:3]
	v_mov_b32_e32 v49, 0
	v_mov_b32_e32 v42, 0
	;; [unrolled: 1-line block ×5, first 2 shown]
	s_and_saveexec_b64 s[2:3], vcc
	s_cbranch_execz .LBB186_39
; %bb.38:
	v_mad_i64_i32 v[42:43], s[16:17], s15, v52, 0
	v_lshl_add_u64 v[42:43], v[42:43], 1, s[4:5]
	v_lshlrev_b32_e32 v44, 1, v50
	v_mov_b32_e32 v45, 0
	v_lshl_add_u64 v[42:43], v[42:43], 0, v[44:45]
	global_load_dwordx4 v[42:45], v[42:43], off offset:128
.LBB186_39:
	s_or_b64 exec, exec, s[2:3]
	v_mov_b32_e32 v48, 0
	v_mov_b32_e32 v47, 0
	;; [unrolled: 1-line block ×3, first 2 shown]
	s_and_saveexec_b64 s[2:3], s[0:1]
	s_cbranch_execz .LBB186_41
; %bb.40:
	v_mad_i64_i32 v[46:47], s[0:1], s15, v53, 0
	v_lshl_add_u64 v[46:47], v[46:47], 1, s[4:5]
	v_lshlrev_b32_e32 v48, 1, v50
	v_mov_b32_e32 v49, 0
	v_lshl_add_u64 v[46:47], v[46:47], 0, v[48:49]
	global_load_dwordx4 v[46:49], v[46:47], off offset:128
.LBB186_41:
	s_or_b64 exec, exec, s[2:3]
	s_branch .LBB186_45
.LBB186_42:
                                        ; implicit-def: $vgpr37
                                        ; implicit-def: $vgpr41
                                        ; implicit-def: $vgpr45
                                        ; implicit-def: $vgpr49
	v_lshrrev_b32_e32 v67, 2, v67
	s_branch .LBB186_46
.LBB186_43:
                                        ; implicit-def: $vgpr37
                                        ; implicit-def: $vgpr41
                                        ; implicit-def: $vgpr45
                                        ; implicit-def: $vgpr49
	s_cbranch_execz .LBB186_45
; %bb.44:
	s_waitcnt vmcnt(0)
	v_mad_u64_u32 v[34:35], s[0:1], v52, s15, v[50:51]
	v_lshlrev_b32_e32 v52, 1, v34
	s_lshl_b32 s2, s15, 7
	s_and_b32 s1, s5, 0xffff
	s_mov_b32 s3, 0x20000
	s_mov_b32 s0, s4
	v_add_lshl_u32 v53, v34, s15, 1
	s_movk_i32 s13, 0x80
	buffer_load_dwordx4 v[34:37], v52, s[0:3], 0 offen
	buffer_load_dwordx4 v[42:45], v52, s[0:3], s13 offen
	;; [unrolled: 1-line block ×4, first 2 shown]
.LBB186_45:
	v_lshrrev_b32_e32 v67, 2, v67
	s_cbranch_execnz .LBB186_58
.LBB186_46:
	s_and_b64 vcc, exec, s[6:7]
	s_cbranch_vccz .LBB186_56
; %bb.47:
	s_waitcnt vmcnt(0)
	v_lshlrev_b32_e32 v39, 1, v62
	v_cmp_gt_i32_e32 vcc, s27, v39
	v_mov_b32_e32 v38, 0
	v_lshlrev_b32_e32 v46, 9, v62
	v_mov_b32_e32 v34, 0
	v_mov_b32_e32 v35, 0
	;; [unrolled: 1-line block ×4, first 2 shown]
	s_and_saveexec_b64 s[0:1], vcc
	s_cbranch_execz .LBB186_49
; %bb.48:
	v_mov_b32_e32 v47, 0
	v_lshl_add_u64 v[34:35], s[4:5], 0, v[46:47]
	v_lshlrev_b32_e32 v36, 1, v50
	v_mov_b32_e32 v37, v47
	v_lshl_add_u64 v[34:35], v[34:35], 0, v[36:37]
	global_load_dwordx4 v[34:37], v[34:35], off
.LBB186_49:
	s_or_b64 exec, exec, s[0:1]
	v_or_b32_e32 v39, 1, v39
	v_cmp_gt_i32_e64 s[0:1], s27, v39
	v_lshlrev_b32_e32 v52, 8, v39
	v_mov_b32_e32 v39, 0
	v_mov_b32_e32 v40, 0
	v_mov_b32_e32 v41, 0
	s_and_saveexec_b64 s[2:3], s[0:1]
	s_cbranch_execz .LBB186_51
; %bb.50:
	v_mov_b32_e32 v53, 0
	v_lshl_add_u64 v[38:39], s[4:5], 0, v[52:53]
	v_lshlrev_b32_e32 v40, 1, v50
	v_mov_b32_e32 v41, v53
	v_lshl_add_u64 v[38:39], v[38:39], 0, v[40:41]
	global_load_dwordx4 v[38:41], v[38:39], off
.LBB186_51:
	s_or_b64 exec, exec, s[2:3]
	v_mov_b32_e32 v49, 0
	v_mov_b32_e32 v42, 0
	;; [unrolled: 1-line block ×5, first 2 shown]
	s_and_saveexec_b64 s[2:3], vcc
	s_cbranch_execz .LBB186_53
; %bb.52:
	v_mov_b32_e32 v47, 0
	v_lshl_add_u64 v[42:43], s[4:5], 0, v[46:47]
	v_lshlrev_b32_e32 v46, 1, v50
	v_lshl_add_u64 v[42:43], v[42:43], 0, v[46:47]
	global_load_dwordx4 v[42:45], v[42:43], off offset:128
.LBB186_53:
	s_or_b64 exec, exec, s[2:3]
	v_mov_b32_e32 v48, 0
	v_mov_b32_e32 v47, 0
	;; [unrolled: 1-line block ×3, first 2 shown]
	s_and_saveexec_b64 s[2:3], s[0:1]
	s_cbranch_execz .LBB186_55
; %bb.54:
	v_mov_b32_e32 v53, 0
	v_lshl_add_u64 v[46:47], s[4:5], 0, v[52:53]
	v_lshlrev_b32_e32 v52, 1, v50
	v_lshl_add_u64 v[46:47], v[46:47], 0, v[52:53]
	global_load_dwordx4 v[46:49], v[46:47], off offset:128
.LBB186_55:
	s_or_b64 exec, exec, s[2:3]
	s_branch .LBB186_58
.LBB186_56:
                                        ; implicit-def: $vgpr37
                                        ; implicit-def: $vgpr41
                                        ; implicit-def: $vgpr45
                                        ; implicit-def: $vgpr49
	s_cbranch_execz .LBB186_58
; %bb.57:
	s_waitcnt vmcnt(0)
	v_lshlrev_b32_e32 v34, 1, v50
	v_lshl_or_b32 v50, v62, 9, v34
	s_and_b32 s5, s5, 0xffff
	s_mov_b32 s7, 0x20000
	s_movk_i32 s6, 0x4000
	s_movk_i32 s0, 0x80
	buffer_load_dwordx4 v[34:37], v50, s[4:7], 0 offen
	buffer_load_dwordx4 v[38:41], v50, s[4:7], 0 offen offset:256
	buffer_load_dwordx4 v[42:45], v50, s[4:7], s0 offen
	buffer_load_dwordx4 v[46:49], v50, s[4:7], s0 offen offset:256
.LBB186_58:
	ds_read_b64 v[52:53], v63 offset:57344
	v_add_u32_e32 v50, 0x6000, v58
	ds_read2_b64 v[78:81], v50 offset1:16
	ds_read_b64 v[82:83], v64 offset:57344
	ds_read_b64 v[64:65], v65 offset:57344
	;; [unrolled: 1-line block ×3, first 2 shown]
	ds_read2st64_b64 v[86:89], v58 offset0:52 offset1:56
	v_and_b32_e32 v63, 1, v0
	v_cmp_eq_u32_e32 vcc, 0, v63
	s_mov_b32 s0, 0x1000504
	s_waitcnt vmcnt(0)
	v_perm_b32 v63, v42, v46, s0
	s_mov_b32 s1, 0x3020706
	s_waitcnt lgkmcnt(4)
	v_mfma_f32_16x16x16_bf16 a[0:3], v[52:53], v[78:79], a[0:3]
	v_mfma_f32_16x16x16_bf16 a[4:7], v[52:53], v[80:81], a[4:7]
	ds_read2_b64 v[78:81], v50 offset0:32 offset1:48
	v_and_b32_e32 v50, 6, v0
	v_xor_b32_e32 v62, v62, v50
	s_waitcnt lgkmcnt(0)
	v_mfma_f32_16x16x16_bf16 a[8:11], v[52:53], v[78:79], a[8:11]
	v_lshlrev_b32_e32 v62, 2, v62
	v_xor_b32_e32 v77, 0x440, v62
	v_cndmask_b32_e32 v62, v77, v62, vcc
	v_mfma_f32_16x16x16_bf16 a[12:15], v[52:53], v[80:81], a[12:15]
	ds_read2st64_b64 v[78:81], v59 offset0:52 offset1:56
	ds_read2st64_b64 v[90:93], v60 offset0:52 offset1:56
	;; [unrolled: 1-line block ×3, first 2 shown]
	v_lshl_or_b32 v50, v50, 10, v62
	v_perm_b32 v62, v34, v38, s0
	v_mfma_f32_16x16x16_bf16 a[0:3], v[82:83], v[86:87], a[0:3]
	ds_read_b64 v[52:53], v58 offset:30720
	ds_read_b64 v[86:87], v59 offset:30720
	;; [unrolled: 1-line block ×4, first 2 shown]
	ds_write2st64_b32 v50, v62, v63 offset0:128 offset1:160
	v_xor_b32_e32 v62, 8, v50
	s_waitcnt lgkmcnt(7)
	v_mfma_f32_16x16x16_bf16 a[4:7], v[82:83], v[78:79], a[4:7]
	v_perm_b32 v34, v34, v38, s1
	v_perm_b32 v38, v42, v46, s1
	v_add_u32_e32 v42, 0x80, v62
	s_waitcnt lgkmcnt(6)
	v_mfma_f32_16x16x16_bf16 a[8:11], v[82:83], v[90:91], a[8:11]
	ds_write2st64_b32 v42, v34, v38 offset0:128 offset1:160
	v_xor_b32_e32 v34, 16, v50
	v_perm_b32 v38, v35, v39, s0
	s_waitcnt lgkmcnt(6)
	v_mfma_f32_16x16x16_bf16 a[12:15], v[82:83], v[94:95], a[12:15]
	v_perm_b32 v42, v43, v47, s0
	ds_write2st64_b32 v34, v38, v42 offset0:129 offset1:161
	v_xor_b32_e32 v34, 24, v50
	v_mfma_f32_16x16x16_bf16 a[0:3], v[64:65], v[88:89], a[0:3]
	v_perm_b32 v35, v35, v39, s1
	v_perm_b32 v38, v43, v47, s1
	v_add_u32_e32 v34, 0x80, v34
	v_mfma_f32_16x16x16_bf16 a[4:7], v[64:65], v[80:81], a[4:7]
	ds_write2st64_b32 v34, v35, v38 offset0:129 offset1:161
	v_xor_b32_e32 v34, 32, v50
	v_perm_b32 v35, v36, v40, s0
	v_mfma_f32_16x16x16_bf16 a[16:19], v[64:65], v[92:93], a[8:11]
	v_perm_b32 v38, v44, v48, s0
	ds_write2st64_b32 v34, v35, v38 offset0:130 offset1:162
	v_xor_b32_e32 v34, 40, v50
	v_mfma_f32_16x16x16_bf16 a[20:23], v[64:65], v[96:97], a[12:15]
	v_perm_b32 v35, v36, v40, s1
	v_perm_b32 v36, v44, v48, s1
	v_add_u32_e32 v34, 0x80, v34
	s_waitcnt lgkmcnt(8)
	v_mfma_f32_16x16x16_bf16 a[12:15], v[98:99], v[52:53], a[0:3]
	ds_write2st64_b32 v34, v35, v36 offset0:130 offset1:162
	v_xor_b32_e32 v34, 48, v50
	v_perm_b32 v35, v37, v41, s0
	s_waitcnt lgkmcnt(8)
	v_mfma_f32_16x16x16_bf16 a[8:11], v[98:99], v[86:87], a[4:7]
	v_perm_b32 v36, v45, v49, s0
	ds_write2st64_b32 v34, v35, v36 offset0:131 offset1:163
	v_xor_b32_e32 v34, 56, v50
	s_waitcnt lgkmcnt(8)
	v_mfma_f32_16x16x16_bf16 a[4:7], v[98:99], v[100:101], a[16:19]
	v_and_or_b32 v53, v67, 12, v84
	v_perm_b32 v35, v37, v41, s1
	v_perm_b32 v36, v45, v49, s1
	s_waitcnt lgkmcnt(7)
	v_mfma_f32_16x16x16_bf16 a[0:3], v[98:99], v[102:103], a[20:23]
	v_add_u32_e32 v34, 0x80, v34
	v_cmp_gt_i32_e32 vcc, s27, v53
	v_mov_b32_e32 v48, 0
	v_mov_b32_e32 v50, 0
	ds_write2st64_b32 v34, v35, v36 offset0:131 offset1:163
	s_and_saveexec_b64 s[0:1], vcc
	s_cbranch_execz .LBB186_60
; %bb.59:
	v_add_u32_e32 v34, s26, v53
	v_ashrrev_i32_e32 v35, 31, v34
	v_mul_lo_u32 v36, v35, s34
	v_mul_lo_u32 v37, v34, s35
	v_mad_u64_u32 v[34:35], s[2:3], v34, s34, 0
	v_add3_u32 v35, v35, v37, v36
	v_lshl_add_u64 v[34:35], v[34:35], 2, s[10:11]
	global_load_dword v34, v[34:35], off
	s_waitcnt vmcnt(0)
	v_sub_f32_e32 v34, s12, v34
	v_exp_f32_e32 v50, v34
.LBB186_60:
	s_or_b64 exec, exec, s[0:1]
	v_or_b32_e32 v40, 1, v53
	v_cmp_gt_i32_e64 s[0:1], s27, v40
	s_and_saveexec_b64 s[2:3], s[0:1]
	s_cbranch_execz .LBB186_62
; %bb.61:
	v_add_u32_e32 v34, s26, v40
	v_ashrrev_i32_e32 v35, 31, v34
	v_mul_lo_u32 v36, v35, s34
	v_mul_lo_u32 v37, v34, s35
	v_mad_u64_u32 v[34:35], s[4:5], v34, s34, 0
	v_add3_u32 v35, v35, v37, v36
	v_lshl_add_u64 v[34:35], v[34:35], 2, s[10:11]
	global_load_dword v34, v[34:35], off
	s_waitcnt vmcnt(0)
	v_sub_f32_e32 v34, s12, v34
	v_exp_f32_e32 v48, v34
.LBB186_62:
	s_or_b64 exec, exec, s[2:3]
	v_or_b32_e32 v41, 2, v53
	v_cmp_gt_i32_e64 s[2:3], s27, v41
	v_mov_b32_e32 v49, 0
	v_mov_b32_e32 v52, 0
	s_and_saveexec_b64 s[4:5], s[2:3]
	s_cbranch_execz .LBB186_64
; %bb.63:
	v_add_u32_e32 v34, s26, v41
	v_ashrrev_i32_e32 v35, 31, v34
	v_mul_lo_u32 v36, v35, s34
	v_mul_lo_u32 v37, v34, s35
	v_mad_u64_u32 v[34:35], s[6:7], v34, s34, 0
	v_add3_u32 v35, v35, v37, v36
	v_lshl_add_u64 v[34:35], v[34:35], 2, s[10:11]
	global_load_dword v34, v[34:35], off
	s_waitcnt vmcnt(0)
	v_sub_f32_e32 v34, s12, v34
	v_exp_f32_e32 v52, v34
.LBB186_64:
	s_or_b64 exec, exec, s[4:5]
	v_or_b32_e32 v62, 3, v53
	v_cmp_gt_i32_e64 s[4:5], s27, v62
	s_and_saveexec_b64 s[6:7], s[4:5]
	s_cbranch_execz .LBB186_66
; %bb.65:
	v_add_u32_e32 v34, s26, v62
	v_ashrrev_i32_e32 v35, 31, v34
	v_mul_lo_u32 v36, v35, s34
	v_mul_lo_u32 v37, v34, s35
	v_mad_u64_u32 v[34:35], s[14:15], v34, s34, 0
	v_add3_u32 v35, v35, v37, v36
	v_lshl_add_u64 v[34:35], v[34:35], 2, s[10:11]
	global_load_dword v34, v[34:35], off
	s_waitcnt vmcnt(0)
	v_sub_f32_e32 v34, s12, v34
	v_exp_f32_e32 v49, v34
.LBB186_66:
	s_or_b64 exec, exec, s[6:7]
	s_add_u32 s6, s8, s20
	v_accvgpr_read_b32 v37, a15
	s_addc_u32 s7, s9, s21
	v_ashrrev_i32_e32 v77, 31, v76
	v_accvgpr_read_b32 v36, a14
	v_accvgpr_read_b32 v35, a13
	;; [unrolled: 1-line block ×3, first 2 shown]
	v_lshl_add_u64 v[38:39], v[76:77], 1, s[6:7]
	v_mov_b32_e32 v45, 0
	v_lshlrev_b32_e32 v42, 8, v53
	v_mov_b32_e32 v43, 0
	s_and_saveexec_b64 s[6:7], vcc
	s_cbranch_execz .LBB186_68
; %bb.67:
	v_mov_b32_e32 v43, 0
	v_lshl_add_u64 v[46:47], v[38:39], 0, v[42:43]
	global_load_ushort v43, v[46:47], off
	s_waitcnt vmcnt(0)
	v_lshlrev_b32_e32 v43, 16, v43
	v_sub_f32_e32 v34, v43, v34
	v_mul_f32_e32 v34, v50, v34
	v_lshrrev_b32_e32 v43, 16, v34
.LBB186_68:
	s_or_b64 exec, exec, s[6:7]
	v_lshlrev_b32_e32 v44, 8, v40
	s_and_saveexec_b64 s[6:7], s[0:1]
	s_cbranch_execz .LBB186_70
; %bb.69:
	v_mov_b32_e32 v45, 0
	v_lshl_add_u64 v[46:47], v[38:39], 0, v[44:45]
	global_load_ushort v34, v[46:47], off
	s_waitcnt vmcnt(0)
	v_lshlrev_b32_e32 v34, 16, v34
	v_sub_f32_e32 v34, v34, v35
	v_mul_f32_e32 v34, v48, v34
	v_lshrrev_b32_e32 v45, 16, v34
.LBB186_70:
	s_or_b64 exec, exec, s[6:7]
	v_mov_b32_e32 v63, 0
	v_lshlrev_b32_e32 v46, 8, v41
	v_mov_b32_e32 v47, 0
	s_and_saveexec_b64 s[6:7], s[2:3]
	s_cbranch_execz .LBB186_72
; %bb.71:
	v_mov_b32_e32 v47, 0
	v_lshl_add_u64 v[34:35], v[38:39], 0, v[46:47]
	global_load_ushort v34, v[34:35], off
	s_waitcnt vmcnt(0)
	v_lshlrev_b32_e32 v34, 16, v34
	v_sub_f32_e32 v34, v34, v36
	v_mul_f32_e32 v34, v52, v34
	v_lshrrev_b32_e32 v47, 16, v34
.LBB186_72:
	s_or_b64 exec, exec, s[6:7]
	v_lshlrev_b32_e32 v40, 8, v62
	s_and_saveexec_b64 s[6:7], s[4:5]
	s_cbranch_execz .LBB186_74
; %bb.73:
	v_mov_b32_e32 v41, 0
	v_lshl_add_u64 v[34:35], v[38:39], 0, v[40:41]
	global_load_ushort v34, v[34:35], off
	s_waitcnt vmcnt(0)
	v_lshlrev_b32_e32 v34, 16, v34
	v_sub_f32_e32 v34, v34, v37
	v_mul_f32_e32 v34, v49, v34
	v_lshrrev_b32_e32 v63, 16, v34
.LBB186_74:
	s_or_b64 exec, exec, s[6:7]
	v_lshlrev_b32_e32 v53, 6, v53
	v_accvgpr_read_b32 v37, a11
	s_mov_b32 s6, 0x5040100
	v_or_b32_e32 v41, v53, v56
	v_accvgpr_read_b32 v36, a10
	v_accvgpr_read_b32 v35, a9
	;; [unrolled: 1-line block ×3, first 2 shown]
	v_perm_b32 v63, v63, v47, s6
	v_perm_b32 v62, v45, v43, s6
	v_lshlrev_b32_e32 v41, 1, v41
	v_mov_b32_e32 v45, 0
	v_mov_b32_e32 v43, 0
	ds_write_b64 v41, v[62:63] offset:24576
	s_and_saveexec_b64 s[6:7], vcc
	s_cbranch_execz .LBB186_76
; %bb.75:
	v_mov_b32_e32 v43, 0
	v_lshl_add_u64 v[62:63], v[38:39], 0, v[42:43]
	global_load_ushort v41, v[62:63], off offset:32
	s_waitcnt vmcnt(0)
	v_lshlrev_b32_e32 v41, 16, v41
	v_sub_f32_e32 v34, v41, v34
	v_mul_f32_e32 v34, v50, v34
	v_lshrrev_b32_e32 v43, 16, v34
.LBB186_76:
	s_or_b64 exec, exec, s[6:7]
	s_and_saveexec_b64 s[6:7], s[0:1]
	s_cbranch_execz .LBB186_78
; %bb.77:
	v_mov_b32_e32 v45, 0
	v_lshl_add_u64 v[62:63], v[38:39], 0, v[44:45]
	global_load_ushort v34, v[62:63], off offset:32
	s_waitcnt vmcnt(0)
	v_lshlrev_b32_e32 v34, 16, v34
	v_sub_f32_e32 v34, v34, v35
	v_mul_f32_e32 v34, v48, v34
	v_lshrrev_b32_e32 v45, 16, v34
.LBB186_78:
	s_or_b64 exec, exec, s[6:7]
	v_mov_b32_e32 v41, 0
	v_mov_b32_e32 v47, 0
	s_and_saveexec_b64 s[6:7], s[2:3]
	s_cbranch_execz .LBB186_80
; %bb.79:
	v_mov_b32_e32 v47, 0
	v_lshl_add_u64 v[34:35], v[38:39], 0, v[46:47]
	global_load_ushort v34, v[34:35], off offset:32
	s_waitcnt vmcnt(0)
	v_lshlrev_b32_e32 v34, 16, v34
	v_sub_f32_e32 v34, v34, v36
	v_mul_f32_e32 v34, v52, v34
	v_lshrrev_b32_e32 v47, 16, v34
.LBB186_80:
	s_or_b64 exec, exec, s[6:7]
	s_and_saveexec_b64 s[6:7], s[4:5]
	s_cbranch_execz .LBB186_82
; %bb.81:
	v_mov_b32_e32 v41, 0
	v_lshl_add_u64 v[34:35], v[38:39], 0, v[40:41]
	global_load_ushort v34, v[34:35], off offset:32
	s_waitcnt vmcnt(0)
	v_lshlrev_b32_e32 v34, 16, v34
	v_sub_f32_e32 v34, v34, v37
	v_mul_f32_e32 v34, v49, v34
	v_lshrrev_b32_e32 v41, 16, v34
.LBB186_82:
	s_or_b64 exec, exec, s[6:7]
	s_mov_b32 s6, 0x5040100
	v_accvgpr_read_b32 v37, a7
	v_perm_b32 v63, v41, v47, s6
	v_or_b32_e32 v41, v53, v55
	v_accvgpr_read_b32 v36, a6
	v_accvgpr_read_b32 v35, a5
	;; [unrolled: 1-line block ×3, first 2 shown]
	v_perm_b32 v62, v45, v43, s6
	v_lshlrev_b32_e32 v41, 1, v41
	v_mov_b32_e32 v45, 0
	v_mov_b32_e32 v43, 0
	ds_write_b64 v41, v[62:63] offset:24576
	s_and_saveexec_b64 s[6:7], vcc
	s_cbranch_execz .LBB186_84
; %bb.83:
	v_mov_b32_e32 v43, 0
	v_lshl_add_u64 v[62:63], v[38:39], 0, v[42:43]
	global_load_ushort v41, v[62:63], off offset:64
	s_waitcnt vmcnt(0)
	v_lshlrev_b32_e32 v41, 16, v41
	v_sub_f32_e32 v34, v41, v34
	v_mul_f32_e32 v34, v50, v34
	v_lshrrev_b32_e32 v43, 16, v34
.LBB186_84:
	s_or_b64 exec, exec, s[6:7]
	s_and_saveexec_b64 s[6:7], s[0:1]
	s_cbranch_execz .LBB186_86
; %bb.85:
	v_mov_b32_e32 v45, 0
	v_lshl_add_u64 v[62:63], v[38:39], 0, v[44:45]
	global_load_ushort v34, v[62:63], off offset:64
	s_waitcnt vmcnt(0)
	v_lshlrev_b32_e32 v34, 16, v34
	v_sub_f32_e32 v34, v34, v35
	v_mul_f32_e32 v34, v48, v34
	v_lshrrev_b32_e32 v45, 16, v34
.LBB186_86:
	s_or_b64 exec, exec, s[6:7]
	v_mov_b32_e32 v41, 0
	v_mov_b32_e32 v47, 0
	s_and_saveexec_b64 s[6:7], s[2:3]
	s_cbranch_execz .LBB186_88
; %bb.87:
	v_mov_b32_e32 v47, 0
	v_lshl_add_u64 v[34:35], v[38:39], 0, v[46:47]
	global_load_ushort v34, v[34:35], off offset:64
	s_waitcnt vmcnt(0)
	v_lshlrev_b32_e32 v34, 16, v34
	v_sub_f32_e32 v34, v34, v36
	v_mul_f32_e32 v34, v52, v34
	v_lshrrev_b32_e32 v47, 16, v34
.LBB186_88:
	s_or_b64 exec, exec, s[6:7]
	s_and_saveexec_b64 s[6:7], s[4:5]
	s_cbranch_execz .LBB186_90
; %bb.89:
	v_mov_b32_e32 v41, 0
	v_lshl_add_u64 v[34:35], v[38:39], 0, v[40:41]
	global_load_ushort v34, v[34:35], off offset:64
	s_waitcnt vmcnt(0)
	v_lshlrev_b32_e32 v34, 16, v34
	v_sub_f32_e32 v34, v34, v37
	v_mul_f32_e32 v34, v49, v34
	v_lshrrev_b32_e32 v41, 16, v34
.LBB186_90:
	s_or_b64 exec, exec, s[6:7]
	s_mov_b32 s6, 0x5040100
	v_accvgpr_read_b32 v37, a3
	v_perm_b32 v63, v41, v47, s6
	v_or_b32_e32 v41, v53, v54
	v_accvgpr_read_b32 v36, a2
	v_accvgpr_read_b32 v35, a1
	;; [unrolled: 1-line block ×3, first 2 shown]
	v_perm_b32 v62, v45, v43, s6
	v_lshlrev_b32_e32 v41, 1, v41
	v_mov_b32_e32 v45, 0
	v_mov_b32_e32 v43, 0
	ds_write_b64 v41, v[62:63] offset:24576
	s_and_saveexec_b64 s[6:7], vcc
	s_cbranch_execz .LBB186_92
; %bb.91:
	v_mov_b32_e32 v43, 0
	v_lshl_add_u64 v[42:43], v[38:39], 0, v[42:43]
	global_load_ushort v41, v[42:43], off offset:96
	s_waitcnt vmcnt(0)
	v_lshlrev_b32_e32 v41, 16, v41
	v_sub_f32_e32 v34, v41, v34
	v_mul_f32_e32 v34, v50, v34
	v_lshrrev_b32_e32 v43, 16, v34
.LBB186_92:
	s_or_b64 exec, exec, s[6:7]
	s_and_saveexec_b64 s[6:7], s[0:1]
	s_cbranch_execz .LBB186_94
; %bb.93:
	v_mov_b32_e32 v45, 0
	v_lshl_add_u64 v[44:45], v[38:39], 0, v[44:45]
	global_load_ushort v34, v[44:45], off offset:96
	s_waitcnt vmcnt(0)
	v_lshlrev_b32_e32 v34, 16, v34
	v_sub_f32_e32 v34, v34, v35
	v_mul_f32_e32 v34, v48, v34
	v_lshrrev_b32_e32 v45, 16, v34
.LBB186_94:
	s_or_b64 exec, exec, s[6:7]
	v_mov_b32_e32 v41, 0
	v_mov_b32_e32 v44, 0
	s_and_saveexec_b64 s[0:1], s[2:3]
	s_cbranch_execz .LBB186_96
; %bb.95:
	v_mov_b32_e32 v47, 0
	v_lshl_add_u64 v[34:35], v[38:39], 0, v[46:47]
	global_load_ushort v34, v[34:35], off offset:96
	s_waitcnt vmcnt(0)
	v_lshlrev_b32_e32 v34, 16, v34
	v_sub_f32_e32 v34, v34, v36
	v_mul_f32_e32 v34, v52, v34
	v_lshrrev_b32_e32 v44, 16, v34
.LBB186_96:
	s_or_b64 exec, exec, s[0:1]
	v_or_b32_e32 v42, 0x6000, v58
	v_or_b32_e32 v36, 0x6000, v59
	;; [unrolled: 1-line block ×4, first 2 shown]
	s_and_saveexec_b64 s[0:1], s[4:5]
	s_cbranch_execz .LBB186_98
; %bb.97:
	v_mov_b32_e32 v41, 0
	v_lshl_add_u64 v[38:39], v[38:39], 0, v[40:41]
	global_load_ushort v38, v[38:39], off offset:96
	s_waitcnt vmcnt(0)
	v_lshlrev_b32_e32 v38, 16, v38
	v_sub_f32_e32 v37, v38, v37
	v_mul_f32_e32 v37, v49, v37
	v_lshrrev_b32_e32 v41, 16, v37
.LBB186_98:
	s_or_b64 exec, exec, s[0:1]
	s_mov_b32 s0, 0x5040100
	v_or_b32_e32 v37, v53, v51
	v_perm_b32 v39, v41, v44, s0
	v_perm_b32 v38, v45, v43, s0
	v_lshlrev_b32_e32 v37, 1, v37
	s_movk_i32 s0, 0x100
	ds_write_b64 v37, v[38:39] offset:24576
	v_and_b32_e32 v37, 7, v0
	v_and_b32_e32 v38, 8, v0
	v_cmp_gt_u32_e32 vcc, s0, v0
	v_lshrrev_b32_e32 v0, 1, v0
	v_lshlrev_b32_e32 v67, 3, v1
	v_and_b32_e32 v78, 24, v0
	v_mov_b32_e32 v39, 0xa000
	v_mov_b32_e32 v40, 0x8000
	v_xor_b32_e32 v0, v67, v78
	v_or_b32_e32 v48, 32, v78
	v_cndmask_b32_e32 v56, v39, v40, vcc
	v_or_b32_e32 v1, 0x440, v0
	v_cmp_eq_u32_e32 vcc, 0, v38
	v_xor_b32_e32 v48, v67, v48
	v_or_b32_e32 v49, 0x440, v48
	v_cndmask_b32_e32 v0, v1, v0, vcc
	v_lshlrev_b32_e32 v43, 3, v37
	v_lshlrev_b32_e32 v37, 7, v37
	v_or_b32_e32 v0, v0, v57
	v_cndmask_b32_e32 v48, v49, v48, vcc
	v_xad_u32 v79, v0, v43, v37
	v_or_b32_e32 v48, v48, v57
	v_add_u32_e32 v0, v56, v79
	v_xad_u32 v80, v48, v43, v37
	s_waitcnt lgkmcnt(0)
	s_barrier
	ds_read_b64 v[0:1], v0
	ds_read2_b64 v[38:41], v42 offset1:16
	ds_read2_b64 v[44:47], v42 offset0:32 offset1:48
	v_add_u32_e32 v48, v56, v80
	ds_read_b64 v[76:77], v48
	s_waitcnt lgkmcnt(2)
	v_mfma_f32_16x16x16_bf16 a[0:3], v[0:1], v[38:39], 0
	ds_read2st64_b64 v[48:51], v42 offset0:4 offset1:8
	ds_read2st64_b64 v[52:55], v36 offset0:4 offset1:8
	;; [unrolled: 1-line block ×3, first 2 shown]
	v_mfma_f32_16x16x16_bf16 a[4:7], v[0:1], v[40:41], 0
	ds_read2st64_b64 v[62:65], v34 offset0:4 offset1:8
	s_waitcnt lgkmcnt(5)
	v_mfma_f32_16x16x16_bf16 a[8:11], v[0:1], v[44:45], 0
	v_mfma_f32_16x16x16_bf16 a[12:15], v[0:1], v[46:47], 0
	v_or_b32_e32 v0, 64, v78
	v_xor_b32_e32 v0, v67, v0
	v_xor_b32_e32 v1, 0x440, v0
	v_cndmask_b32_e32 v0, v1, v0, vcc
	v_or_b32_e32 v0, v0, v57
	s_waitcnt lgkmcnt(3)
	v_mfma_f32_16x16x16_bf16 a[0:3], v[76:77], v[48:49], a[0:3]
	s_waitcnt lgkmcnt(2)
	v_mfma_f32_16x16x16_bf16 a[4:7], v[76:77], v[52:53], a[4:7]
	;; [unrolled: 2-line block ×4, first 2 shown]
	v_xad_u32 v76, v0, v43, v37
	v_add_u32_e32 v0, v56, v76
	ds_read_b64 v[0:1], v0
	v_or_b32_e32 v77, 0x60, v78
	v_xor_b32_e32 v67, v67, v77
	v_xor_b32_e32 v77, 0x440, v67
	v_cndmask_b32_e32 v67, v77, v67, vcc
	v_or_b32_e32 v57, v67, v57
	v_xad_u32 v67, v57, v43, v37
	v_add_u32_e32 v37, v56, v67
	s_waitcnt lgkmcnt(0)
	v_mfma_f32_16x16x16_bf16 a[0:3], v[0:1], v[50:51], a[0:3]
	ds_read_b64 v[56:57], v37
	ds_read_b64 v[42:43], v42 offset:6144
	v_mfma_f32_16x16x16_bf16 a[4:7], v[0:1], v[54:55], a[4:7]
	v_mfma_f32_16x16x16_bf16 a[8:11], v[0:1], v[60:61], a[8:11]
	;; [unrolled: 1-line block ×3, first 2 shown]
	ds_read_b64 v[0:1], v36 offset:6144
	ds_read_b64 v[36:37], v35 offset:6144
	;; [unrolled: 1-line block ×3, first 2 shown]
	s_waitcnt lgkmcnt(3)
	v_mfma_f32_16x16x16_bf16 a[0:3], v[56:57], v[42:43], a[0:3]
	s_waitcnt lgkmcnt(2)
	v_mfma_f32_16x16x16_bf16 a[4:7], v[56:57], v[0:1], a[4:7]
	;; [unrolled: 2-line block ×4, first 2 shown]
	ds_read_b64 v[56:57], v79 offset:40960
	s_waitcnt lgkmcnt(0)
	v_mfma_f32_16x16x16_bf16 a[24:27], v[56:57], v[44:45], 0
	v_exp_f32_e32 v44, s12
	v_accvgpr_read_b32 v45, a3
	v_fmac_f32_e32 v45, v9, v44
	v_mfma_f32_16x16x16_bf16 a[16:19], v[56:57], v[38:39], 0
	ds_read_b64 v[38:39], v80 offset:40960
	v_accvgpr_read_b32 v9, a4
	v_fma_f32 v14, v14, v44, v9
	v_mfma_f32_16x16x16_bf16 a[20:23], v[56:57], v[40:41], 0
	v_accvgpr_read_b32 v40, a0
	v_fma_f32 v6, v6, v44, v40
	v_accvgpr_read_b32 v40, a1
	v_fma_f32 v7, v7, v44, v40
	v_accvgpr_read_b32 v40, a2
	v_mfma_f32_16x16x16_bf16 a[28:31], v[56:57], v[46:47], 0
	v_fma_f32 v8, v8, v44, v40
	ds_read_b64 v[40:41], v76 offset:40960
	v_accvgpr_read_b32 v9, a5
	s_waitcnt lgkmcnt(1)
	v_mfma_f32_16x16x16_bf16 a[16:19], v[38:39], v[48:49], a[16:19]
	v_fma_f32 v15, v15, v44, v9
	v_accvgpr_read_b32 v9, a6
	v_fma_f32 v16, v16, v44, v9
	v_mfma_f32_16x16x16_bf16 a[20:23], v[38:39], v[52:53], a[20:23]
	v_accvgpr_read_b32 v9, a8
	v_fma_f32 v22, v22, v44, v9
	v_accvgpr_read_b32 v9, a9
	v_mfma_f32_16x16x16_bf16 a[24:27], v[38:39], v[58:59], a[24:27]
	v_accvgpr_read_b32 v46, a7
	v_fma_f32 v23, v23, v44, v9
	v_accvgpr_read_b32 v9, a10
	v_mfma_f32_16x16x16_bf16 a[0:3], v[38:39], v[62:63], a[28:31]
	ds_read_b64 v[38:39], v67 offset:40960
	v_fma_f32 v24, v24, v44, v9
	v_accvgpr_read_b32 v9, a12
	s_waitcnt lgkmcnt(1)
	v_mfma_f32_16x16x16_bf16 a[16:19], v[40:41], v[50:51], a[16:19]
	v_fma_f32 v30, v30, v44, v9
	v_fmac_f32_e32 v46, v17, v44
	v_mov_b32_e32 v17, v46
	v_mfma_f32_16x16x16_bf16 a[4:7], v[40:41], v[54:55], a[20:23]
	v_mfma_f32_16x16x16_bf16 a[20:23], v[40:41], v[60:61], a[24:27]
	v_mfma_f32_16x16x16_bf16 a[0:3], v[40:41], v[64:65], a[0:3]
	v_accvgpr_read_b32 v40, a11
	v_fmac_f32_e32 v40, v25, v44
	s_waitcnt lgkmcnt(0)
	v_mfma_f32_16x16x16_bf16 a[8:11], v[38:39], v[42:43], a[16:19]
	v_mfma_f32_16x16x16_bf16 a[4:7], v[38:39], v[0:1], a[4:7]
	v_accvgpr_read_b32 v0, a13
	v_fma_f32 v31, v31, v44, v0
	v_accvgpr_read_b32 v0, a14
	s_nop 2
	v_accvgpr_read_b32 v1, a8
	v_fma_f32 v2, v2, v44, v1
	v_accvgpr_read_b32 v1, a9
	v_fma_f32 v3, v3, v44, v1
	v_accvgpr_read_b32 v1, a10
	v_mfma_f32_16x16x16_bf16 a[16:19], v[38:39], v[36:37], a[20:23]
	v_fma_f32 v4, v4, v44, v1
	v_accvgpr_read_b32 v1, a11
	v_fmac_f32_e32 v1, v5, v44
	v_mfma_f32_16x16x16_bf16 a[0:3], v[38:39], v[34:35], a[0:3]
	v_accvgpr_read_b32 v5, a4
	v_fma_f32 v10, v10, v44, v5
	v_accvgpr_read_b32 v5, a5
	v_fma_f32 v11, v11, v44, v5
	;; [unrolled: 2-line block ×3, first 2 shown]
	v_accvgpr_read_b32 v5, a16
	v_accvgpr_read_b32 v9, a0
	v_fma_f32 v18, v18, v44, v5
	v_accvgpr_read_b32 v5, a17
	v_fma_f32 v26, v26, v44, v9
	v_accvgpr_read_b32 v9, a1
	v_fma_f32 v19, v19, v44, v5
	v_accvgpr_read_b32 v5, a18
	v_fma_f32 v27, v27, v44, v9
	v_accvgpr_read_b32 v9, a2
	v_fma_f32 v32, v32, v44, v0
	v_accvgpr_read_b32 v0, a15
	v_accvgpr_read_b32 v25, a7
	v_fma_f32 v20, v20, v44, v5
	v_accvgpr_read_b32 v5, a19
	v_fma_f32 v28, v28, v44, v9
	v_accvgpr_read_b32 v9, a3
	v_fmac_f32_e32 v0, v33, v44
	v_fmac_f32_e32 v25, v13, v44
	;; [unrolled: 1-line block ×4, first 2 shown]
	v_mov_b32_e32 v29, v9
	v_mov_b32_e32 v33, v0
	;; [unrolled: 1-line block ×7, first 2 shown]
.LBB186_99:
	s_waitcnt lgkmcnt(0)
	s_add_u32 s0, s30, s28
	s_addc_u32 s1, s31, s29
	v_lshl_add_u64 v[0:1], v[68:69], 2, s[0:1]
	v_mov_b32_e32 v67, 0
	v_lshl_add_u64 v[0:1], v[0:1], 0, v[66:67]
	s_waitcnt vmcnt(7)
	global_store_dwordx4 v[0:1], v[6:9], off
	s_waitcnt vmcnt(7)
	global_store_dwordx4 v[0:1], v[2:5], off offset:256
	v_lshl_add_u64 v[0:1], v[70:71], 2, s[0:1]
	v_lshl_add_u64 v[0:1], v[0:1], 0, v[66:67]
	s_waitcnt vmcnt(7)
	global_store_dwordx4 v[0:1], v[14:17], off
	s_waitcnt vmcnt(7)
	global_store_dwordx4 v[0:1], v[10:13], off offset:256
	v_lshl_add_u64 v[0:1], v[72:73], 2, s[0:1]
	;; [unrolled: 6-line block ×3, first 2 shown]
	v_lshl_add_u64 v[0:1], v[0:1], 0, v[66:67]
	s_waitcnt vmcnt(7)
	global_store_dwordx4 v[0:1], v[30:33], off
	s_waitcnt vmcnt(7)
	global_store_dwordx4 v[0:1], v[26:29], off offset:256
	s_endpgm
	.section	.rodata,"a",@progbits
	.p2align	6, 0x0
	.amdhsa_kernel _ZN12_GLOBAL__N_139chunk_gated_delta_rule_fwd_h_hip_kernelILi64ELb1ELb1ELb0ELb0ELb1ELb0ELb0ELb0EEEvPK12hip_bfloat16S3_S3_PKfS5_PKvPS1_S8_PvPKiSB_iiiiilll
		.amdhsa_group_segment_fixed_size 65536
		.amdhsa_private_segment_fixed_size 0
		.amdhsa_kernarg_size 136
		.amdhsa_user_sgpr_count 2
		.amdhsa_user_sgpr_dispatch_ptr 0
		.amdhsa_user_sgpr_queue_ptr 0
		.amdhsa_user_sgpr_kernarg_segment_ptr 1
		.amdhsa_user_sgpr_dispatch_id 0
		.amdhsa_user_sgpr_kernarg_preload_length 0
		.amdhsa_user_sgpr_kernarg_preload_offset 0
		.amdhsa_user_sgpr_private_segment_size 0
		.amdhsa_uses_dynamic_stack 0
		.amdhsa_enable_private_segment 0
		.amdhsa_system_sgpr_workgroup_id_x 1
		.amdhsa_system_sgpr_workgroup_id_y 1
		.amdhsa_system_sgpr_workgroup_id_z 0
		.amdhsa_system_sgpr_workgroup_info 0
		.amdhsa_system_vgpr_workitem_id 0
		.amdhsa_next_free_vgpr 224
		.amdhsa_next_free_sgpr 70
		.amdhsa_accum_offset 188
		.amdhsa_reserve_vcc 1
		.amdhsa_float_round_mode_32 0
		.amdhsa_float_round_mode_16_64 0
		.amdhsa_float_denorm_mode_32 3
		.amdhsa_float_denorm_mode_16_64 3
		.amdhsa_dx10_clamp 1
		.amdhsa_ieee_mode 1
		.amdhsa_fp16_overflow 0
		.amdhsa_tg_split 0
		.amdhsa_exception_fp_ieee_invalid_op 0
		.amdhsa_exception_fp_denorm_src 0
		.amdhsa_exception_fp_ieee_div_zero 0
		.amdhsa_exception_fp_ieee_overflow 0
		.amdhsa_exception_fp_ieee_underflow 0
		.amdhsa_exception_fp_ieee_inexact 0
		.amdhsa_exception_int_div_zero 0
	.end_amdhsa_kernel
	.section	.text._ZN12_GLOBAL__N_139chunk_gated_delta_rule_fwd_h_hip_kernelILi64ELb1ELb1ELb0ELb0ELb1ELb0ELb0ELb0EEEvPK12hip_bfloat16S3_S3_PKfS5_PKvPS1_S8_PvPKiSB_iiiiilll,"axG",@progbits,_ZN12_GLOBAL__N_139chunk_gated_delta_rule_fwd_h_hip_kernelILi64ELb1ELb1ELb0ELb0ELb1ELb0ELb0ELb0EEEvPK12hip_bfloat16S3_S3_PKfS5_PKvPS1_S8_PvPKiSB_iiiiilll,comdat
.Lfunc_end186:
	.size	_ZN12_GLOBAL__N_139chunk_gated_delta_rule_fwd_h_hip_kernelILi64ELb1ELb1ELb0ELb0ELb1ELb0ELb0ELb0EEEvPK12hip_bfloat16S3_S3_PKfS5_PKvPS1_S8_PvPKiSB_iiiiilll, .Lfunc_end186-_ZN12_GLOBAL__N_139chunk_gated_delta_rule_fwd_h_hip_kernelILi64ELb1ELb1ELb0ELb0ELb1ELb0ELb0ELb0EEEvPK12hip_bfloat16S3_S3_PKfS5_PKvPS1_S8_PvPKiSB_iiiiilll
                                        ; -- End function
	.section	.AMDGPU.csdata,"",@progbits
; Kernel info:
; codeLenInByte = 12116
; NumSgprs: 76
; NumVgprs: 186
; NumAgprs: 36
; TotalNumVgprs: 224
; ScratchSize: 0
; MemoryBound: 0
; FloatMode: 240
; IeeeMode: 1
; LDSByteSize: 65536 bytes/workgroup (compile time only)
; SGPRBlocks: 9
; VGPRBlocks: 27
; NumSGPRsForWavesPerEU: 76
; NumVGPRsForWavesPerEU: 224
; AccumOffset: 188
; Occupancy: 1
; WaveLimiterHint : 1
; COMPUTE_PGM_RSRC2:SCRATCH_EN: 0
; COMPUTE_PGM_RSRC2:USER_SGPR: 2
; COMPUTE_PGM_RSRC2:TRAP_HANDLER: 0
; COMPUTE_PGM_RSRC2:TGID_X_EN: 1
; COMPUTE_PGM_RSRC2:TGID_Y_EN: 1
; COMPUTE_PGM_RSRC2:TGID_Z_EN: 0
; COMPUTE_PGM_RSRC2:TIDIG_COMP_CNT: 0
; COMPUTE_PGM_RSRC3_GFX90A:ACCUM_OFFSET: 46
; COMPUTE_PGM_RSRC3_GFX90A:TG_SPLIT: 0
	.section	.text._ZN12_GLOBAL__N_139chunk_gated_delta_rule_fwd_h_hip_kernelILi64ELb1ELb0ELb1ELb0ELb1ELb0ELb0ELb0EEEvPK12hip_bfloat16S3_S3_PKfS5_PKvPS1_S8_PvPKiSB_iiiiilll,"axG",@progbits,_ZN12_GLOBAL__N_139chunk_gated_delta_rule_fwd_h_hip_kernelILi64ELb1ELb0ELb1ELb0ELb1ELb0ELb0ELb0EEEvPK12hip_bfloat16S3_S3_PKfS5_PKvPS1_S8_PvPKiSB_iiiiilll,comdat
	.globl	_ZN12_GLOBAL__N_139chunk_gated_delta_rule_fwd_h_hip_kernelILi64ELb1ELb0ELb1ELb0ELb1ELb0ELb0ELb0EEEvPK12hip_bfloat16S3_S3_PKfS5_PKvPS1_S8_PvPKiSB_iiiiilll ; -- Begin function _ZN12_GLOBAL__N_139chunk_gated_delta_rule_fwd_h_hip_kernelILi64ELb1ELb0ELb1ELb0ELb1ELb0ELb0ELb0EEEvPK12hip_bfloat16S3_S3_PKfS5_PKvPS1_S8_PvPKiSB_iiiiilll
	.p2align	8
	.type	_ZN12_GLOBAL__N_139chunk_gated_delta_rule_fwd_h_hip_kernelILi64ELb1ELb0ELb1ELb0ELb1ELb0ELb0ELb0EEEvPK12hip_bfloat16S3_S3_PKfS5_PKvPS1_S8_PvPKiSB_iiiiilll,@function
_ZN12_GLOBAL__N_139chunk_gated_delta_rule_fwd_h_hip_kernelILi64ELb1ELb0ELb1ELb0ELb1ELb0ELb0ELb0EEEvPK12hip_bfloat16S3_S3_PKfS5_PKvPS1_S8_PvPKiSB_iiiiilll: ; @_ZN12_GLOBAL__N_139chunk_gated_delta_rule_fwd_h_hip_kernelILi64ELb1ELb0ELb1ELb0ELb1ELb0ELb0ELb0EEEvPK12hip_bfloat16S3_S3_PKfS5_PKvPS1_S8_PvPKiSB_iiiiilll
; %bb.0:
	s_load_dwordx4 s[12:15], s[0:1], 0x5c
	s_load_dwordx4 s[20:23], s[0:1], 0x70
	s_abs_i32 s6, s3
	s_ashr_i32 s5, s3, 31
	s_load_dwordx4 s[16:19], s[0:1], 0x28
	s_load_dwordx2 s[28:29], s[0:1], 0x38
	s_waitcnt lgkmcnt(0)
	s_abs_i32 s4, s13
	v_cvt_f32_u32_e32 v1, s4
	s_sub_i32 s8, 0, s4
	s_ashr_i32 s7, s13, 31
	s_xor_b32 s5, s5, s7
	v_rcp_iflag_f32_e32 v1, v1
	v_and_b32_e32 v79, 15, v0
	v_lshrrev_b32_e32 v77, 6, v0
	v_bfe_u32 v78, v0, 4, 2
	v_mul_f32_e32 v1, 0x4f7ffffe, v1
	v_cvt_u32_f32_e32 v1, v1
	v_mov_b32_e32 v11, 0
	v_and_b32_e32 v76, 63, v0
	v_lshrrev_b32_e32 v81, 3, v76
	v_readfirstlane_b32 s9, v1
	s_mul_i32 s8, s8, s9
	s_mul_hi_u32 s8, s9, s8
	s_add_i32 s9, s9, s8
	s_mul_hi_u32 s8, s6, s9
	s_mul_i32 s9, s8, s4
	s_sub_i32 s6, s6, s9
	s_add_i32 s10, s8, 1
	s_sub_i32 s9, s6, s4
	s_cmp_ge_u32 s6, s4
	s_cselect_b32 s8, s10, s8
	s_cselect_b32 s6, s9, s6
	s_add_i32 s9, s8, 1
	s_cmp_ge_u32 s6, s4
	s_cselect_b32 s6, s9, s8
	s_xor_b32 s6, s6, s5
	s_add_i32 s8, s12, 63
	s_sub_i32 s51, s6, s5
	s_ashr_i32 s9, s8, 31
	s_mul_i32 s5, s51, s13
	s_sub_i32 s48, s3, s5
	s_lshr_b32 s3, s9, 26
	s_add_i32 s8, s8, s3
	s_abs_i32 s3, s14
	v_cvt_f32_u32_e32 v1, s3
	s_ashr_i32 s50, s12, 31
	s_lshr_b32 s6, s50, 26
	s_add_i32 s6, s12, s6
	v_rcp_iflag_f32_e32 v1, v1
	s_ashr_i32 s53, s14, 31
	s_ashr_i32 s24, s8, 6
	;; [unrolled: 1-line block ×3, first 2 shown]
	v_mul_f32_e32 v1, 0x4f7ffffe, v1
	v_cvt_u32_f32_e32 v1, v1
	s_xor_b32 s6, s7, s53
	s_sub_i32 s7, 0, s3
	s_lshl_b32 s2, s2, 6
	v_readfirstlane_b32 s8, v1
	s_mul_i32 s7, s7, s8
	s_mul_hi_u32 s7, s8, s7
	s_add_i32 s8, s8, s7
	s_mul_hi_u32 s7, s4, s8
	s_mul_i32 s8, s7, s3
	s_sub_i32 s4, s4, s8
	s_add_i32 s8, s7, 1
	s_sub_i32 s9, s4, s3
	s_cmp_ge_u32 s4, s3
	s_cselect_b32 s7, s8, s7
	s_cselect_b32 s4, s9, s4
	s_add_i32 s8, s7, 1
	s_cmp_ge_u32 s4, s3
	s_cselect_b32 s3, s8, s7
	s_xor_b32 s3, s3, s6
	s_sub_i32 s3, s3, s6
	s_abs_i32 s4, s3
	v_cvt_f32_u32_e32 v1, s4
	s_sub_i32 s7, 0, s4
	s_abs_i32 s6, s48
	s_xor_b32 s3, s48, s3
	v_rcp_iflag_f32_e32 v1, v1
	s_ashr_i32 s3, s3, 31
	v_or_b32_e32 v66, s2, v79
	v_lshlrev_b32_e32 v2, 7, v66
	v_mul_f32_e32 v1, 0x4f7ffffe, v1
	v_cvt_u32_f32_e32 v1, v1
	v_ashrrev_i32_e32 v3, 31, v2
	s_mul_i32 s55, s51, s24
	v_lshlrev_b32_e32 v80, 3, v0
	v_readfirstlane_b32 s8, v1
	s_mul_i32 s7, s7, s8
	s_mul_hi_u32 s7, s8, s7
	s_add_i32 s8, s8, s7
	s_mul_hi_u32 s7, s6, s8
	s_mul_i32 s8, s7, s4
	s_sub_i32 s6, s6, s8
	s_add_i32 s8, s7, 1
	s_sub_i32 s9, s6, s4
	s_cmp_ge_u32 s6, s4
	s_cselect_b32 s7, s8, s7
	s_cselect_b32 s6, s9, s6
	s_add_i32 s8, s7, 1
	s_cmp_ge_u32 s6, s4
	s_cselect_b32 s4, s8, s7
	s_xor_b32 s4, s4, s3
	s_sub_i32 s54, s4, s3
	s_ashr_i32 s3, s51, 31
	s_ashr_i32 s49, s48, 31
	s_mul_hi_i32 s4, s51, s13
	s_add_u32 s38, s5, s48
	s_addc_u32 s39, s4, s49
	s_lshl_b64 s[4:5], s[38:39], 16
	v_lshlrev_b32_e32 v1, 4, v77
	s_add_u32 s4, s16, s4
	v_lshl_or_b32 v82, v78, 2, v1
	s_addc_u32 s5, s17, s5
	v_lshl_add_u64 v[4:5], v[2:3], 2, s[4:5]
	v_lshlrev_b32_e32 v10, 2, v82
	v_lshl_add_u64 v[4:5], v[4:5], 0, v[10:11]
	global_load_dwordx4 v[22:25], v[4:5], off
	global_load_dwordx4 v[30:33], v[4:5], off offset:256
	v_or_b32_e32 v4, 0x800, v2
	v_ashrrev_i32_e32 v5, 31, v4
	v_lshl_add_u64 v[4:5], v[4:5], 2, s[4:5]
	v_lshl_add_u64 v[4:5], v[4:5], 0, v[10:11]
	global_load_dwordx4 v[14:17], v[4:5], off
	global_load_dwordx4 v[26:29], v[4:5], off offset:256
	v_or_b32_e32 v4, 0x1000, v2
	v_or_b32_e32 v2, 0x1800, v2
	v_ashrrev_i32_e32 v5, 31, v4
	v_ashrrev_i32_e32 v3, 31, v2
	v_lshl_add_u64 v[4:5], v[4:5], 2, s[4:5]
	v_lshl_add_u64 v[2:3], v[2:3], 2, s[4:5]
	;; [unrolled: 1-line block ×4, first 2 shown]
	global_load_dwordx4 v[6:9], v[4:5], off
	global_load_dwordx4 v[18:21], v[4:5], off offset:256
	s_nop 0
	global_load_dwordx4 v[2:5], v[34:35], off
	global_load_dwordx4 v[10:13], v[34:35], off offset:256
	s_load_dwordx8 s[4:11], s[0:1], 0x0
	s_load_dwordx2 s[30:31], s[0:1], 0x80
	v_or_b32_e32 v83, 64, v82
	s_cmp_lt_i32 s12, 64
	s_mul_i32 s56, s39, s12
	s_mul_hi_u32 s57, s38, s12
	s_mul_i32 s16, s38, s12
	s_mul_i32 s33, s51, s21
	s_mul_hi_u32 s44, s51, s20
	s_mul_i32 s39, s3, s20
	s_mul_i32 s36, s51, s20
	;; [unrolled: 1-line block ×3, first 2 shown]
	s_mul_hi_u32 s46, s48, s22
	s_mul_i32 s47, s49, s22
	s_mul_i32 s34, s48, s22
	s_cbranch_scc1 .LBB187_18
; %bb.1:
	s_add_i32 s17, s57, s56
	s_lshl_b64 s[0:1], s[16:17], 8
	v_and_b32_e32 v85, 56, v80
	s_waitcnt lgkmcnt(0)
	s_add_u32 s20, s6, s0
	v_lshl_or_b32 v84, v77, 3, v81
	v_lshlrev_b32_e32 v34, 1, v85
	s_addc_u32 s0, s7, s1
	v_lshl_or_b32 v86, v84, 8, v34
	s_and_b32 s21, s0, 0xffff
	s_mov_b32 s23, 0x20000
	s_movk_i32 s22, 0x4000
	s_movk_i32 s0, 0x80
	v_or_b32_e32 v87, 0x2000, v86
	buffer_load_dwordx4 v[36:39], v86, s[20:23], 0 offen
	buffer_load_dwordx4 v[40:43], v86, s[20:23], s0 offen
	;; [unrolled: 1-line block ×4, first 2 shown]
	v_lshlrev_b32_e32 v35, 3, v84
	v_and_or_b32 v53, v0, 7, v35
	v_and_b32_e32 v35, 0x78, v35
	v_lshlrev_b32_e32 v53, 4, v53
	v_xor_b32_e32 v88, v53, v35
	v_mul_lo_u32 v52, v84, s15
	v_or_b32_e32 v89, 0x1000, v88
	v_xor_b32_e32 v35, 8, v88
	s_cmpk_eq_i32 s15, 0x80
	s_mov_b32 s58, s14
	v_xor_b32_e32 v53, 8, v89
	s_cselect_b64 s[0:1], -1, 0
	s_cmpk_lg_i32 s15, 0x80
	s_waitcnt vmcnt(3)
	ds_write_b64 v88, v[36:37] offset:49152
	ds_write_b64 v35, v[38:39] offset:49152
	s_waitcnt vmcnt(2)
	ds_write_b64 v88, v[40:41] offset:57344
	ds_write_b64 v35, v[42:43] offset:57344
	;; [unrolled: 3-line block ×4, first 2 shown]
	v_lshl_add_u32 v35, v52, 1, v85
	s_cbranch_scc0 .LBB187_3
; %bb.2:
	v_lshlrev_b32_e32 v37, 1, v35
	v_add_lshl_u32 v36, v35, s15, 1
	s_lshl_b32 s22, s15, 7
	v_lshl_or_b32 v34, v84, 9, v34
	s_cbranch_execz .LBB187_4
	s_branch .LBB187_5
.LBB187_3:
                                        ; implicit-def: $vgpr36
                                        ; implicit-def: $vgpr37
                                        ; implicit-def: $sgpr22
	v_lshl_or_b32 v34, v84, 9, v34
.LBB187_4:
	v_or_b32_e32 v36, 0x100, v34
	s_movk_i32 s22, 0x4000
	v_mov_b32_e32 v37, v34
.LBB187_5:
	s_mul_hi_u32 s20, s14, s12
	s_mul_i32 s21, s53, s12
	s_add_i32 s20, s20, s21
	s_mul_i32 s21, s14, s12
	s_mul_i32 s23, s21, s3
	s_mul_hi_u32 s24, s21, s51
	s_add_i32 s23, s24, s23
	s_mul_i32 s20, s20, s51
	s_add_i32 s23, s23, s20
	s_mul_i32 s21, s21, s51
	s_ashr_i32 s59, s54, 31
	s_add_u32 s20, s21, s54
	s_addc_u32 s21, s23, s59
	s_lshl_b64 s[20:21], s[20:21], 8
	s_add_u32 s20, s4, s20
	s_addc_u32 s21, s5, s21
	s_and_b32 s21, s21, 0xffff
	s_mov_b32 s23, 0x20000
	s_movk_i32 s60, 0x80
	buffer_load_dwordx4 v[38:41], v37, s[20:23], 0 offen
	buffer_load_dwordx4 v[42:45], v37, s[20:23], s60 offen
	;; [unrolled: 1-line block ×4, first 2 shown]
	v_and_b32_e32 v37, 6, v0
	v_lshlrev_b32_e32 v36, 7, v82
	v_xor_b32_e32 v58, v84, v37
	v_and_b32_e32 v54, 1, v0
	v_lshl_or_b32 v61, v79, 3, v36
	v_lshlrev_b32_e32 v58, 2, v58
	v_or_b32_e32 v90, 0x4000, v61
	v_or_b32_e32 v91, 0x6000, v61
	v_xor_b32_e32 v61, 0x440, v58
	v_cmp_eq_u32_e32 vcc, 0, v54
	v_lshlrev_b32_e32 v55, 2, v79
	s_mov_b32 s62, 0x1000504
	v_cndmask_b32_e32 v54, v61, v58, vcc
	v_xor_b32_e32 v59, v82, v55
	v_xor_b32_e32 v60, v83, v55
	v_lshl_or_b32 v37, v37, 10, v54
	s_mov_b32 s63, 0x3020706
	v_lshlrev_b32_e32 v56, 8, v79
	v_or_b32_e32 v57, 16, v79
	v_lshlrev_b32_e32 v59, 1, v59
	v_lshlrev_b32_e32 v60, 1, v60
	v_xor_b32_e32 v54, 8, v37
	v_xor_b32_e32 v58, 24, v37
	;; [unrolled: 1-line block ×4, first 2 shown]
	s_mul_i32 s3, s3, s12
	s_mul_hi_u32 s20, s51, s12
	v_or_b32_e32 v93, v56, v59
	v_or_b32_e32 v94, v56, v60
	v_xor_b32_e32 v56, 16, v37
	v_xor_b32_e32 v61, 32, v37
	;; [unrolled: 1-line block ×3, first 2 shown]
	v_add_u32_e32 v54, 0x80, v54
	v_add_u32_e32 v58, 0x80, v58
	;; [unrolled: 1-line block ×4, first 2 shown]
	s_add_i32 s65, s20, s3
	s_add_i32 s3, s44, s33
	s_add_i32 s37, s3, s39
	s_add_i32 s3, s46, s45
	s_add_i32 s35, s3, s47
	s_lshl_b64 s[20:21], s[36:37], 2
	s_add_u32 s3, s10, s20
	s_addc_u32 s24, s11, s21
	s_lshl_b64 s[20:21], s[34:35], 2
	s_add_u32 s40, s3, s20
	s_movk_i32 s3, 0xf8
	s_addc_u32 s41, s24, s21
	s_lshl_b32 s26, s15, 7
	s_movk_i32 s24, 0x100
	v_mov_b32_e32 v69, 0
	v_cmp_gt_u32_e32 vcc, s24, v0
	v_lshl_or_b32 v62, v57, 3, v36
	s_mov_b32 s61, 0
	s_mul_i32 s64, s51, s12
	v_or_b32_e32 v92, 0x4000, v62
	s_movk_i32 s22, 0x4000
	v_or_b32_e32 v95, 0x6000, v62
	s_movk_i32 s35, 0x2000
	s_movk_i32 s37, 0x3000
	s_mov_b32 s67, 0
	s_waitcnt vmcnt(1)
	v_perm_b32 v67, v38, v46, s62
	s_waitcnt vmcnt(0)
	v_perm_b32 v68, v42, v50, s62
	v_perm_b32 v38, v38, v46, s63
	;; [unrolled: 1-line block ×15, first 2 shown]
	ds_write2st64_b32 v37, v67, v68 offset0:128 offset1:160
	ds_write2st64_b32 v54, v38, v42 offset0:128 offset1:160
	;; [unrolled: 1-line block ×8, first 2 shown]
	v_lshlrev_b32_e32 v37, 8, v57
	v_or_b32_e32 v96, v37, v59
	v_or_b32_e32 v97, v37, v60
	;; [unrolled: 1-line block ×3, first 2 shown]
	v_lshl_or_b32 v38, v37, 3, v36
	v_lshlrev_b32_e32 v37, 8, v37
	v_or_b32_e32 v100, v37, v59
	v_or_b32_e32 v101, v37, v60
	;; [unrolled: 1-line block ×5, first 2 shown]
	v_lshl_or_b32 v38, v37, 3, v36
	v_lshlrev_b32_e32 v37, 8, v37
	v_or_b32_e32 v104, v37, v59
	v_or_b32_e32 v105, v37, v60
	v_or_b32_e32 v37, v1, v79
	v_lshlrev_b32_e32 v37, 3, v37
	v_lshrrev_b32_e32 v39, 5, v76
	v_and_or_b32 v39, v37, s3, v39
	v_lshlrev_b32_e32 v39, 4, v39
	v_lshlrev_b32_e32 v40, 11, v77
	v_and_b32_e32 v37, 0x78, v37
	v_or_b32_e32 v45, 32, v39
	v_or_b32_e32 v102, 0x4000, v38
	;; [unrolled: 1-line block ×3, first 2 shown]
	v_and_b32_e32 v38, 0x1000, v40
	v_xor_b32_e32 v41, v39, v37
	v_lshrrev_b32_e32 v42, 1, v0
	v_xor_b32_e32 v45, v45, v37
	v_or_b32_e32 v41, v41, v38
	v_and_b32_e32 v43, 8, v42
	v_or_b32_e32 v45, v45, v38
	v_xor_b32_e32 v106, v41, v43
	v_lshlrev_b32_e32 v41, 8, v78
	v_xor_b32_e32 v108, v45, v43
	v_or_b32_e32 v45, 64, v39
	v_or_b32_e32 v39, 0x60, v39
	s_ashr_i32 s3, s2, 31
	v_or_b32_e32 v44, v41, v55
	v_xor_b32_e32 v45, v45, v37
	v_xor_b32_e32 v37, v39, v37
	s_lshl_b64 s[20:21], s[2:3], 8
	v_lshlrev_b32_e32 v44, 1, v44
	v_or_b32_e32 v45, v45, v38
	v_or_b32_e32 v37, v37, v38
	s_add_u32 s20, s18, s20
	v_lshlrev_b32_e32 v38, 1, v79
	v_or_b32_e32 v107, 0x4000, v44
	v_or_b32_e32 v109, 0x4080, v44
	;; [unrolled: 1-line block ×8, first 2 shown]
	v_lshrrev_b32_e32 v44, 4, v0
	s_addc_u32 s21, s19, s21
	v_or_b32_e32 v39, 1, v38
	v_lshlrev_b32_e32 v68, 4, v79
	v_mov_b32_e32 v48, 0xa000
	v_mov_b32_e32 v49, 0x8000
	v_xor_b32_e32 v112, v45, v43
	v_xor_b32_e32 v45, v44, v38
	;; [unrolled: 1-line block ×3, first 2 shown]
	v_lshl_add_u64 v[38:39], s[20:21], 0, v[68:69]
	v_lshlrev_b32_e32 v68, 8, v44
	v_cndmask_b32_e32 v48, v48, v49, vcc
	v_lshlrev_b32_e32 v49, 3, v77
	v_and_b32_e32 v42, 24, v42
	v_lshl_or_b32 v118, v45, 3, v68
	v_and_b32_e32 v45, 8, v0
	v_xor_b32_e32 v50, v49, v42
	v_or_b32_e32 v51, 0x440, v50
	v_cmp_eq_u32_e32 vcc, 0, v45
	v_and_b32_e32 v44, 7, v0
	v_lshl_or_b32 v119, v46, 3, v68
	v_cndmask_b32_e32 v45, v51, v50, vcc
	v_lshlrev_b32_e32 v46, 3, v44
	v_lshlrev_b32_e32 v44, 7, v44
	v_or_b32_e32 v45, v45, v40
	v_lshlrev_b32_e32 v47, 2, v0
	v_xad_u32 v120, v45, v46, v44
	v_or_b32_e32 v45, 32, v42
	v_and_or_b32 v41, v47, 60, v41
	v_xor_b32_e32 v45, v49, v45
	v_lshlrev_b32_e32 v41, 1, v41
	v_or_b32_e32 v47, 0x440, v45
	v_or_b32_e32 v121, 0x6000, v41
	v_cndmask_b32_e32 v45, v47, v45, vcc
	v_or_b32_e32 v123, 0x6080, v41
	v_or_b32_e32 v124, 0x6100, v41
	;; [unrolled: 1-line block ×5, first 2 shown]
	v_xor_b32_e32 v41, v49, v41
	v_xad_u32 v122, v45, v46, v44
	v_xor_b32_e32 v45, 0x440, v41
	v_cndmask_b32_e32 v41, v45, v41, vcc
	v_or_b32_e32 v41, v41, v40
	v_xad_u32 v126, v41, v46, v44
	v_or_b32_e32 v41, 0x60, v42
	v_xor_b32_e32 v41, v49, v41
	v_xor_b32_e32 v42, 0x440, v41
	v_cndmask_b32_e32 v41, v42, v41, vcc
	v_xor_b32_e32 v113, v37, v43
	v_ashrrev_i32_e32 v67, 31, v66
	v_lshlrev_b32_e32 v37, 1, v35
	v_add_lshl_u32 v35, v35, s15, 1
	v_or_b32_e32 v43, 0x100, v34
	v_or_b32_e32 v40, v41, v40
	v_xad_u32 v127, v40, v46, v44
	v_cndmask_b32_e64 v128, v37, v34, s[0:1]
	v_cndmask_b32_e64 v129, v35, v43, s[0:1]
	v_lshlrev_b64 v[34:35], 1, v[66:67]
	v_lshl_add_u64 v[70:71], s[8:9], 0, v[34:35]
	v_lshl_add_u64 v[72:73], s[28:29], 0, v[34:35]
	;; [unrolled: 1-line block ×3, first 2 shown]
	s_mov_b32 s3, 0x7060302
	v_lshlrev_b32_e32 v68, 1, v36
	v_add_u32_e32 v67, v48, v120
	v_add_u32_e32 v130, v48, v122
	;; [unrolled: 1-line block ×4, first 2 shown]
	s_waitcnt lgkmcnt(0)
	s_barrier
.LBB187_6:                              ; =>This Inner Loop Header: Depth=1
	s_add_i32 s66, s67, 1
	s_cmp_lt_i32 s66, s52
	s_mov_b64 s[24:25], 0
	s_cselect_b64 s[42:43], -1, 0
	s_cmp_ge_i32 s66, s52
	s_mov_b64 s[20:21], 0
	s_cbranch_scc1 .LBB187_8
; %bb.7:                                ;   in Loop: Header=BB187_6 Depth=1
	s_add_i32 s0, s61, 64
	s_add_u32 s0, s16, s0
	s_addc_u32 s1, s17, 0
	s_lshl_b64 s[0:1], s[0:1], 8
	s_add_u32 s20, s6, s0
	s_addc_u32 s21, s7, s1
.LBB187_8:                              ;   in Loop: Header=BB187_6 Depth=1
	v_cndmask_b32_e64 v34, 0, 1, s[42:43]
	v_cmp_ne_u32_e64 s[0:1], 1, v34
	s_andn2_b64 vcc, exec, s[42:43]
	s_cbranch_vccnz .LBB187_10
; %bb.9:                                ;   in Loop: Header=BB187_6 Depth=1
	s_add_i32 s24, s61, 64
	s_add_u32 s24, s64, s24
	s_addc_u32 s25, s65, 0
	s_mul_i32 s27, s24, s53
	s_mul_hi_u32 s42, s24, s58
	s_add_i32 s27, s42, s27
	s_mul_i32 s25, s25, s58
	s_add_i32 s27, s27, s25
	s_mul_i32 s24, s24, s58
	s_add_u32 s24, s24, s54
	s_addc_u32 s25, s27, s59
	s_lshl_b64 s[24:25], s[24:25], 8
	s_add_u32 s24, s4, s24
	s_addc_u32 s25, s5, s25
.LBB187_10:                             ;   in Loop: Header=BB187_6 Depth=1
	v_perm_b32 v35, v25, v24, s3
	v_perm_b32 v34, v23, v22, s3
	v_perm_b32 v37, v33, v32, s3
	v_perm_b32 v36, v31, v30, s3
	ds_write_b64 v90, v[34:35]
	ds_write_b64 v91, v[36:37]
	ds_write_b64 v93, v[34:35]
	ds_write_b64 v94, v[36:37]
	v_perm_b32 v35, v17, v16, s3
	v_perm_b32 v34, v15, v14, s3
	v_perm_b32 v37, v29, v28, s3
	v_perm_b32 v36, v27, v26, s3
	ds_write_b64 v92, v[34:35]
	ds_write_b64 v95, v[36:37]
	ds_write_b64 v96, v[34:35]
	ds_write_b64 v97, v[36:37]
	;; [unrolled: 8-line block ×4, first 2 shown]
	s_waitcnt lgkmcnt(0)
	s_barrier
	ds_read_b64 v[38:39], v106 offset:49152
	ds_read2_b64 v[34:37], v107 offset1:16
	ds_read_b64 v[50:51], v109 offset:6144
	ds_read_b64 v[52:53], v107 offset:6144
	s_waitcnt lgkmcnt(2)
	v_mfma_f32_16x16x16_bf16 a[0:3], v[38:39], v[34:35], 0
	ds_read_b64 v[54:55], v108 offset:49152
	ds_read2st64_b64 v[42:45], v110 offset0:4 offset1:8
	ds_read2st64_b64 v[46:49], v111 offset0:4 offset1:8
	v_mfma_f32_16x16x16_bf16 a[4:7], v[38:39], v[36:37], 0
	ds_read2_b64 v[34:37], v107 offset0:32 offset1:48
	s_add_i32 s27, s61, 63
	s_mul_i32 s42, s27, s31
	s_waitcnt lgkmcnt(0)
	v_mfma_f32_16x16x16_bf16 a[8:11], v[38:39], v[34:35], 0
	s_mul_hi_u32 s43, s27, s30
	s_add_i32 s43, s43, s42
	s_mul_i32 s42, s27, s30
	v_mfma_f32_16x16x16_bf16 a[12:15], v[38:39], v[36:37], 0
	ds_read2st64_b64 v[34:37], v107 offset0:4 offset1:8
	ds_read2st64_b64 v[38:41], v109 offset0:4 offset1:8
	s_lshl_b64 s[42:43], s[42:43], 2
	s_waitcnt lgkmcnt(1)
	v_mfma_f32_16x16x16_bf16 a[0:3], v[54:55], v[34:35], a[0:3]
	s_add_u32 s42, s40, s42
	s_addc_u32 s43, s41, s43
	s_and_b64 vcc, exec, s[0:1]
	s_waitcnt lgkmcnt(0)
	v_mfma_f32_16x16x16_bf16 a[4:7], v[54:55], v[38:39], a[4:7]
	v_mov_b32_e32 v135, 0
	v_mov_b32_e32 v134, 0
	;; [unrolled: 1-line block ×3, first 2 shown]
	v_mfma_f32_16x16x16_bf16 a[8:11], v[54:55], v[42:43], a[8:11]
	ds_read_b64 v[34:35], v112 offset:49152
	ds_read_b64 v[38:39], v113 offset:49152
	;; [unrolled: 1-line block ×3, first 2 shown]
	v_mfma_f32_16x16x16_bf16 a[12:15], v[54:55], v[46:47], a[12:15]
	v_mov_b32_e32 v46, 0
	v_mov_b32_e32 v47, 0
	s_waitcnt lgkmcnt(2)
	v_mfma_f32_16x16x16_bf16 a[0:3], v[34:35], v[36:37], a[0:3]
	v_mov_b32_e32 v36, 0
	v_mov_b32_e32 v37, 0
	v_mfma_f32_16x16x16_bf16 a[16:19], v[34:35], v[40:41], a[4:7]
	v_mov_b32_e32 v40, 0
	v_mov_b32_e32 v41, 0
	;; [unrolled: 3-line block ×3, first 2 shown]
	v_mfma_f32_16x16x16_bf16 a[24:27], v[34:35], v[48:49], a[12:15]
	ds_read_b64 v[34:35], v110 offset:6144
	v_mov_b32_e32 v48, 0
	v_mov_b32_e32 v49, 0
	s_waitcnt lgkmcnt(2)
	v_mfma_f32_16x16x16_bf16 a[4:7], v[38:39], v[52:53], a[0:3]
	v_mfma_f32_16x16x16_bf16 a[8:11], v[38:39], v[50:51], a[16:19]
	s_waitcnt lgkmcnt(0)
	v_mfma_f32_16x16x16_bf16 a[12:15], v[38:39], v[34:35], a[20:23]
	v_mov_b32_e32 v34, 0
	v_mov_b32_e32 v35, 0
	v_mfma_f32_16x16x16_bf16 a[0:3], v[38:39], v[42:43], a[24:27]
	v_mov_b32_e32 v38, 0
	v_mov_b32_e32 v39, 0
	;; [unrolled: 1-line block ×4, first 2 shown]
	s_cbranch_vccnz .LBB187_12
; %bb.11:                               ;   in Loop: Header=BB187_6 Depth=1
	s_and_b32 s21, s21, 0xffff
	buffer_load_dwordx4 v[46:49], v86, s[20:23], 0 offen
	buffer_load_dwordx4 v[42:45], v86, s[20:23], s60 offen
	;; [unrolled: 1-line block ×4, first 2 shown]
	v_mov_b32_e32 v134, v88
	v_mov_b32_e32 v133, v89
.LBB187_12:                             ;   in Loop: Header=BB187_6 Depth=1
	ds_read_b64 v[62:63], v106 offset:57344
	ds_read2_b64 v[50:53], v114 offset1:16
	ds_read_b64 v[136:137], v108 offset:57344
	ds_read_b64 v[138:139], v112 offset:57344
	;; [unrolled: 1-line block ×3, first 2 shown]
	v_add_u32_e32 v64, s61, v82
	s_waitcnt lgkmcnt(3)
	v_mfma_f32_16x16x16_bf16 a[4:7], v[62:63], v[50:51], a[4:7]
	v_mfma_f32_16x16x16_bf16 a[8:11], v[62:63], v[52:53], a[8:11]
	ds_read2_b64 v[50:53], v114 offset0:32 offset1:48
	ds_read2st64_b64 v[54:57], v114 offset0:4 offset1:8
	ds_read2st64_b64 v[58:61], v115 offset0:4 offset1:8
	s_waitcnt lgkmcnt(2)
	v_mfma_f32_16x16x16_bf16 a[12:15], v[62:63], v[50:51], a[12:15]
	v_ashrrev_i32_e32 v50, 31, v64
	v_mul_lo_u32 v65, v50, s30
	v_mad_u64_u32 v[50:51], s[20:21], v64, s30, 0
	v_mfma_f32_16x16x16_bf16 a[0:3], v[62:63], v[52:53], a[0:3]
	v_mul_lo_u32 v52, v64, s31
	v_add3_u32 v51, v51, v52, v65
	v_add_u32_e32 v52, 1, v64
	v_ashrrev_i32_e32 v53, 31, v52
	s_waitcnt lgkmcnt(1)
	v_mfma_f32_16x16x16_bf16 a[4:7], v[136:137], v[54:55], a[4:7]
	v_mul_lo_u32 v54, v53, s30
	v_mul_lo_u32 v55, v52, s31
	v_mad_u64_u32 v[52:53], s[20:21], v52, s30, 0
	v_add3_u32 v53, v53, v55, v54
	v_add_u32_e32 v54, 2, v64
	v_ashrrev_i32_e32 v55, 31, v54
	v_mul_lo_u32 v62, v55, s30
	v_mul_lo_u32 v63, v54, s31
	v_mad_u64_u32 v[54:55], s[20:21], v54, s30, 0
	v_add3_u32 v55, v55, v63, v62
	v_add_u32_e32 v62, 3, v64
	v_ashrrev_i32_e32 v63, 31, v62
	v_mul_lo_u32 v64, v63, s30
	v_mul_lo_u32 v65, v62, s31
	v_mad_u64_u32 v[62:63], s[20:21], v62, s30, 0
	s_add_u32 s20, s16, s61
	v_lshl_add_u64 v[50:51], v[50:51], 2, s[40:41]
	v_add3_u32 v63, v63, v65, v64
	s_addc_u32 s21, s17, 0
	v_lshl_add_u64 v[52:53], v[52:53], 2, s[40:41]
	global_load_dword v142, v[50:51], off
	v_lshl_add_u64 v[50:51], v[62:63], 2, s[40:41]
	s_lshl_b64 s[20:21], s[20:21], 8
	v_lshl_add_u64 v[54:55], v[54:55], 2, s[40:41]
	global_load_dword v143, v[52:53], off
	global_load_dword v144, v[54:55], off
	;; [unrolled: 1-line block ×3, first 2 shown]
	v_lshl_add_u64 v[50:51], v[70:71], 0, s[20:21]
	v_lshl_add_u64 v[54:55], v[50:51], 0, v[68:69]
	global_load_ushort v146, v[54:55], off offset:256
	global_load_ushort v147, v[54:55], off
	ds_read2st64_b64 v[50:53], v116 offset0:4 offset1:8
	global_load_ushort v148, v[54:55], off offset:768
	global_load_ushort v149, v[54:55], off offset:512
	ds_read2st64_b64 v[62:65], v117 offset0:4 offset1:8
	global_load_ushort v150, v[54:55], off offset:288
	global_load_ushort v151, v[54:55], off offset:32
	;; [unrolled: 1-line block ×4, first 2 shown]
	s_waitcnt lgkmcnt(2)
	v_mfma_f32_16x16x16_bf16 a[8:11], v[136:137], v[58:59], a[8:11]
	global_load_ushort v154, v[54:55], off offset:320
	global_load_ushort v155, v[54:55], off offset:64
	;; [unrolled: 1-line block ×4, first 2 shown]
	s_and_b64 vcc, exec, s[0:1]
	s_waitcnt lgkmcnt(1)
	v_mfma_f32_16x16x16_bf16 a[12:15], v[136:137], v[50:51], a[12:15]
	ds_read_b64 v[50:51], v114 offset:6144
	s_waitcnt lgkmcnt(1)
	v_mfma_f32_16x16x16_bf16 a[0:3], v[136:137], v[62:63], a[0:3]
	v_lshl_add_u64 v[62:63], v[72:73], 0, s[20:21]
	v_lshl_add_u64 v[62:63], v[62:63], 0, v[68:69]
	v_mfma_f32_16x16x16_bf16 a[4:7], v[138:139], v[56:57], a[4:7]
	v_mfma_f32_16x16x16_bf16 a[8:11], v[138:139], v[60:61], a[8:11]
	;; [unrolled: 1-line block ×4, first 2 shown]
	global_load_ushort v138, v[54:55], off offset:352
	global_load_ushort v139, v[54:55], off offset:96
	ds_read_b64 v[52:53], v115 offset:6144
	ds_read_b64 v[56:57], v116 offset:6144
	;; [unrolled: 1-line block ×3, first 2 shown]
	s_load_dword s42, s[42:43], 0x0
	global_load_ushort v158, v[54:55], off offset:864
	global_load_ushort v159, v[54:55], off offset:608
	s_waitcnt lgkmcnt(0)
	v_mfma_f32_16x16x16_bf16 a[4:7], v[140:141], v[50:51], a[4:7]
	s_waitcnt vmcnt(17)
	v_sub_f32_e32 v60, s42, v144
	v_mfma_f32_16x16x16_bf16 a[0:3], v[140:141], v[58:59], a[0:3]
	v_sub_f32_e32 v58, s42, v142
	v_sub_f32_e32 v59, s42, v143
	s_waitcnt vmcnt(16)
	v_sub_f32_e32 v61, s42, v145
	v_mfma_f32_16x16x16_bf16 a[8:11], v[140:141], v[52:53], a[8:11]
	v_exp_f32_e32 v58, v58
	v_exp_f32_e32 v59, v59
	;; [unrolled: 1-line block ×4, first 2 shown]
	v_accvgpr_read_b32 v137, a5
	s_waitcnt vmcnt(15)
	v_lshlrev_b32_e32 v65, 16, v146
	s_waitcnt vmcnt(14)
	v_lshlrev_b32_e32 v64, 16, v147
	v_accvgpr_read_b32 v136, a4
	v_accvgpr_read_b32 v51, a7
	;; [unrolled: 1-line block ×3, first 2 shown]
	v_pk_add_f32 v[64:65], v[64:65], v[136:137] neg_lo:[0,1] neg_hi:[0,1]
	s_waitcnt vmcnt(13)
	v_lshlrev_b32_e32 v137, 16, v148
	s_waitcnt vmcnt(12)
	v_lshlrev_b32_e32 v136, 16, v149
	v_pk_add_f32 v[50:51], v[136:137], v[50:51] neg_lo:[0,1] neg_hi:[0,1]
	global_store_short_d16_hi v[62:63], v64, off
	global_store_short_d16_hi v[62:63], v65, off offset:256
	global_store_short_d16_hi v[62:63], v50, off offset:512
	;; [unrolled: 1-line block ×3, first 2 shown]
	v_pk_mul_f32 v[64:65], v[58:59], v[64:65]
	v_pk_mul_f32 v[50:51], v[60:61], v[50:51]
	v_accvgpr_read_b32 v137, a9
	v_perm_b32 v64, v65, v64, s3
	v_perm_b32 v65, v51, v50, s3
	s_waitcnt vmcnt(15)
	v_lshlrev_b32_e32 v51, 16, v150
	s_waitcnt vmcnt(14)
	v_lshlrev_b32_e32 v50, 16, v151
	v_accvgpr_read_b32 v136, a8
	v_accvgpr_read_b32 v53, a11
	v_mfma_f32_16x16x16_bf16 a[12:15], v[140:141], v[56:57], a[12:15]
	v_accvgpr_read_b32 v52, a10
	v_pk_add_f32 v[50:51], v[50:51], v[136:137] neg_lo:[0,1] neg_hi:[0,1]
	s_waitcnt vmcnt(13)
	v_lshlrev_b32_e32 v137, 16, v152
	s_waitcnt vmcnt(12)
	v_lshlrev_b32_e32 v136, 16, v153
	v_pk_add_f32 v[52:53], v[136:137], v[52:53] neg_lo:[0,1] neg_hi:[0,1]
	global_store_short_d16_hi v[62:63], v50, off offset:32
	global_store_short_d16_hi v[62:63], v51, off offset:288
	;; [unrolled: 1-line block ×4, first 2 shown]
	v_pk_mul_f32 v[50:51], v[58:59], v[50:51]
	v_pk_mul_f32 v[52:53], v[60:61], v[52:53]
	v_accvgpr_read_b32 v55, a15
	v_perm_b32 v53, v53, v52, s3
	v_perm_b32 v52, v51, v50, s3
	ds_write2_b64 v91, v[64:65], v[52:53] offset1:16
	v_accvgpr_read_b32 v53, a13
	s_waitcnt vmcnt(15)
	v_lshlrev_b32_e32 v51, 16, v154
	s_waitcnt vmcnt(14)
	v_lshlrev_b32_e32 v50, 16, v155
	v_accvgpr_read_b32 v52, a12
	v_accvgpr_read_b32 v54, a14
	v_pk_add_f32 v[50:51], v[50:51], v[52:53] neg_lo:[0,1] neg_hi:[0,1]
	s_waitcnt vmcnt(13)
	v_lshlrev_b32_e32 v53, 16, v156
	s_waitcnt vmcnt(12)
	v_lshlrev_b32_e32 v52, 16, v157
	v_pk_add_f32 v[52:53], v[52:53], v[54:55] neg_lo:[0,1] neg_hi:[0,1]
	global_store_short_d16_hi v[62:63], v50, off offset:64
	global_store_short_d16_hi v[62:63], v51, off offset:320
	;; [unrolled: 1-line block ×4, first 2 shown]
	v_pk_mul_f32 v[50:51], v[58:59], v[50:51]
	v_pk_mul_f32 v[52:53], v[60:61], v[52:53]
	v_accvgpr_read_b32 v55, a1
	v_perm_b32 v50, v51, v50, s3
	v_perm_b32 v51, v53, v52, s3
	s_waitcnt vmcnt(15)
	v_lshlrev_b32_e32 v53, 16, v138
	s_waitcnt vmcnt(14)
	v_lshlrev_b32_e32 v52, 16, v139
	v_accvgpr_read_b32 v54, a0
	v_accvgpr_read_b32 v57, a3
	;; [unrolled: 1-line block ×3, first 2 shown]
	v_pk_add_f32 v[52:53], v[52:53], v[54:55] neg_lo:[0,1] neg_hi:[0,1]
	s_waitcnt vmcnt(13)
	v_lshlrev_b32_e32 v55, 16, v158
	s_waitcnt vmcnt(12)
	v_lshlrev_b32_e32 v54, 16, v159
	v_pk_add_f32 v[54:55], v[54:55], v[56:57] neg_lo:[0,1] neg_hi:[0,1]
	global_store_short_d16_hi v[62:63], v52, off offset:96
	global_store_short_d16_hi v[62:63], v53, off offset:352
	;; [unrolled: 1-line block ×4, first 2 shown]
	v_pk_mul_f32 v[52:53], v[58:59], v[52:53]
	v_pk_mul_f32 v[54:55], v[60:61], v[54:55]
	v_mov_b32_e32 v136, 0
	v_perm_b32 v55, v55, v54, s3
	v_perm_b32 v54, v53, v52, s3
	ds_write2_b64 v91, v[50:51], v[54:55] offset0:32 offset1:48
	v_mov_b32_e32 v50, 0
	v_mov_b32_e32 v51, 0
	;; [unrolled: 1-line block ×16, first 2 shown]
	s_cbranch_vccnz .LBB187_14
; %bb.13:                               ;   in Loop: Header=BB187_6 Depth=1
	s_and_b32 s25, s25, 0xffff
	s_mov_b32 s27, s23
	buffer_load_dwordx4 v[62:65], v128, s[24:27], 0 offen
	buffer_load_dwordx4 v[54:57], v128, s[24:27], s60 offen
	;; [unrolled: 1-line block ×4, first 2 shown]
	v_mov_b32_e32 v135, v85
	v_mov_b32_e32 v136, v84
.LBB187_14:                             ;   in Loop: Header=BB187_6 Depth=1
	s_waitcnt lgkmcnt(0)
	s_barrier
	ds_read_b64 v[146:147], v67
	ds_read2_b64 v[138:141], v121 offset1:16
	ds_read_b64 v[162:163], v130
	ds_read_b64 v[164:165], v131
	;; [unrolled: 1-line block ×3, first 2 shown]
	ds_read2_b64 v[142:145], v121 offset0:32 offset1:48
	s_waitcnt lgkmcnt(4)
	v_mfma_f32_16x16x16_bf16 a[0:3], v[146:147], v[138:139], 0
	ds_read2st64_b64 v[150:153], v123 offset0:4 offset1:8
	ds_read2st64_b64 v[154:157], v124 offset0:4 offset1:8
	;; [unrolled: 1-line block ×3, first 2 shown]
	v_mfma_f32_16x16x16_bf16 a[4:7], v[146:147], v[140:141], 0
	s_add_i32 s20, s55, s67
	s_mul_hi_i32 s21, s20, s13
	s_mul_i32 s20, s20, s13
	s_waitcnt lgkmcnt(3)
	v_mfma_f32_16x16x16_bf16 a[8:11], v[146:147], v[142:143], 0
	s_add_u32 s20, s20, s48
	s_addc_u32 s21, s21, s49
	s_lshl_b64 s[20:21], s[20:21], 15
	v_mfma_f32_16x16x16_bf16 a[12:15], v[146:147], v[144:145], 0
	ds_read2st64_b64 v[146:149], v121 offset0:4 offset1:8
	s_waitcnt lgkmcnt(0)
	v_mfma_f32_16x16x16_bf16 a[0:3], v[162:163], v[146:147], a[0:3]
	v_mfma_f32_16x16x16_bf16 a[4:7], v[162:163], v[150:151], a[4:7]
	;; [unrolled: 1-line block ×8, first 2 shown]
	ds_read_b64 v[162:163], v121 offset:6144
	ds_read_b64 v[164:165], v122 offset:40960
	;; [unrolled: 1-line block ×8, first 2 shown]
	s_waitcnt lgkmcnt(5)
	v_mfma_f32_16x16x16_bf16 a[16:19], v[168:169], v[138:139], 0
	v_mfma_f32_16x16x16_bf16 a[20:23], v[168:169], v[140:141], 0
	ds_read2st64_b64 v[138:141], v118 offset1:8
	v_mfma_f32_16x16x16_bf16 a[24:27], v[168:169], v[142:143], 0
	v_mfma_f32_16x16x16_bf16 a[28:31], v[168:169], v[144:145], 0
	ds_read2st64_b64 v[142:145], v119 offset1:8
	v_mfma_f32_16x16x16_bf16 a[16:19], v[164:165], v[146:147], a[16:19]
	s_waitcnt lgkmcnt(1)
	v_mov_b32_e32 v146, v138
	v_mov_b32_e32 v147, v139
	v_mfma_f32_16x16x16_bf16 a[20:23], v[164:165], v[150:151], a[20:23]
	v_lshl_add_u64 v[150:151], v[74:75], 0, s[20:21]
	v_mfma_f32_16x16x16_bf16 a[24:27], v[164:165], v[154:155], a[24:27]
	v_mfma_f32_16x16x16_bf16 a[28:31], v[164:165], v[158:159], a[28:31]
	;; [unrolled: 1-line block ×3, first 2 shown]
	s_waitcnt lgkmcnt(0)
	v_mov_b32_e32 v148, v142
	v_mov_b32_e32 v149, v143
	;; [unrolled: 1-line block ×3, first 2 shown]
	v_mfma_f32_16x16x16_bf16 a[32:35], v[176:177], v[152:153], a[20:23]
	v_mov_b32_e32 v143, v141
	ds_read2st64_b64 v[138:141], v118 offset0:16 offset1:24
	global_store_dwordx4 v[150:151], v[146:149], off
	v_mfma_f32_16x16x16_bf16 a[24:27], v[176:177], v[156:157], a[24:27]
	ds_read2st64_b64 v[146:149], v119 offset0:16 offset1:24
	v_add_co_u32_e32 v152, vcc, s35, v150
	v_mfma_f32_16x16x16_bf16 a[28:31], v[176:177], v[160:161], a[28:31]
	s_nop 0
	v_addc_co_u32_e32 v153, vcc, 0, v151, vcc
	global_store_dwordx4 v[152:153], v[142:145], off offset:-4096
	v_mfma_f32_16x16x16_bf16 a[0:3], v[166:167], v[162:163], a[0:3]
	s_waitcnt lgkmcnt(1)
	v_mov_b32_e32 v142, v138
	v_add_co_u32_e32 v138, vcc, s37, v150
	v_mfma_f32_16x16x16_bf16 a[4:7], v[166:167], v[170:171], a[4:7]
	v_mov_b32_e32 v143, v139
	v_addc_co_u32_e32 v139, vcc, 0, v151, vcc
	v_mfma_f32_16x16x16_bf16 a[8:11], v[166:167], v[172:173], a[8:11]
	s_waitcnt lgkmcnt(0)
	v_mov_b32_e32 v144, v146
	v_mov_b32_e32 v145, v147
	;; [unrolled: 1-line block ×3, first 2 shown]
	v_mfma_f32_16x16x16_bf16 a[12:15], v[166:167], v[174:175], a[12:15]
	v_mov_b32_e32 v147, v141
	s_and_b64 vcc, exec, s[0:1]
	global_store_dwordx4 v[152:153], v[142:145], off
	v_mfma_f32_16x16x16_bf16 a[20:23], v[178:179], v[162:163], a[16:19]
	global_store_dwordx4 v[138:139], v[146:149], off
	v_mfma_f32_16x16x16_bf16 a[16:19], v[178:179], v[170:171], a[32:35]
	v_mfma_f32_16x16x16_bf16 a[24:27], v[178:179], v[172:173], a[24:27]
	;; [unrolled: 1-line block ×3, first 2 shown]
	s_cbranch_vccnz .LBB187_16
; %bb.15:                               ;   in Loop: Header=BB187_6 Depth=1
	v_lshrrev_b32_e32 v137, 3, v135
	v_and_b32_e32 v137, 6, v137
	v_xor_b32_e32 v136, v137, v136
	v_lshlrev_b32_e32 v136, 2, v136
	v_and_b32_e32 v135, 8, v135
	v_xor_b32_e32 v138, 0x440, v136
	v_cmp_eq_u32_e32 vcc, 0, v135
	s_barrier
	s_nop 0
	v_cndmask_b32_e32 v135, v138, v136, vcc
	v_lshl_or_b32 v135, v137, 10, v135
	s_waitcnt vmcnt(5)
	v_perm_b32 v136, v62, v58, s62
	s_waitcnt vmcnt(4)
	v_perm_b32 v137, v54, v50, s62
	ds_write2st64_b32 v135, v136, v137 offset0:128 offset1:160
	v_xor_b32_e32 v136, 8, v135
	v_perm_b32 v58, v62, v58, s63
	v_perm_b32 v50, v54, v50, s63
	v_add_u32_e32 v54, 0x80, v136
	ds_write2st64_b32 v54, v58, v50 offset0:128 offset1:160
	v_xor_b32_e32 v50, 16, v135
	v_perm_b32 v54, v63, v59, s62
	v_perm_b32 v58, v55, v51, s62
	ds_write2st64_b32 v50, v54, v58 offset0:129 offset1:161
	v_xor_b32_e32 v50, 24, v135
	v_perm_b32 v54, v63, v59, s63
	v_perm_b32 v51, v55, v51, s63
	v_add_u32_e32 v50, 0x80, v50
	ds_write2st64_b32 v50, v54, v51 offset0:129 offset1:161
	v_xor_b32_e32 v50, 32, v135
	v_perm_b32 v51, v64, v60, s62
	;; [unrolled: 9-line block ×3, first 2 shown]
	v_perm_b32 v52, v57, v53, s62
	ds_write2st64_b32 v50, v51, v52 offset0:131 offset1:163
	v_xor_b32_e32 v50, 56, v135
	v_perm_b32 v51, v65, v61, s63
	v_perm_b32 v52, v57, v53, s63
	v_add_u32_e32 v50, 0x80, v50
	ds_write2st64_b32 v50, v51, v52 offset0:131 offset1:163
	ds_write_b64 v134, v[46:47] offset:49152
	v_xor_b32_e32 v46, 8, v134
	ds_write_b64 v46, v[48:49] offset:49152
	ds_write_b64 v134, v[42:43] offset:57344
	;; [unrolled: 1-line block ×4, first 2 shown]
	v_xor_b32_e32 v38, 8, v133
	ds_write_b64 v38, v[40:41] offset:49152
	ds_write_b64 v133, v[34:35] offset:57344
	;; [unrolled: 1-line block ×3, first 2 shown]
.LBB187_16:                             ;   in Loop: Header=BB187_6 Depth=1
	v_exp_f32_e32 v134, s42
	v_accvgpr_read_b32 v37, a3
	v_accvgpr_read_b32 v41, a7
	;; [unrolled: 1-line block ×4, first 2 shown]
	s_waitcnt vmcnt(4)
	v_accvgpr_read_b32 v53, a23
	v_accvgpr_read_b32 v57, a19
	;; [unrolled: 1-line block ×28, first 2 shown]
	s_add_i32 s61, s61, 64
	v_pk_fma_f32 v[22:23], v[22:23], v[134:135], v[34:35] op_sel_hi:[1,0,1]
	v_pk_fma_f32 v[24:25], v[24:25], v[134:135], v[36:37] op_sel_hi:[1,0,1]
	;; [unrolled: 1-line block ×15, first 2 shown]
	s_cmp_eq_u32 s52, s66
	v_pk_fma_f32 v[12:13], v[12:13], v[134:135], v[64:65] op_sel_hi:[1,0,1]
	s_cbranch_scc1 .LBB187_18
; %bb.17:                               ;   in Loop: Header=BB187_6 Depth=1
	s_mov_b32 s67, s66
	s_branch .LBB187_6
.LBB187_18:
	s_lshl_b32 s26, s52, 6
	s_sub_i32 s27, s12, s26
	s_cmp_gt_i32 s27, 0
	s_cbranch_scc0 .LBB187_99
; %bb.19:
	s_ashr_i32 s3, s26, 31
	s_cmpk_lg_i32 s15, 0x80
	s_cselect_b64 s[22:23], -1, 0
	s_and_b64 vcc, exec, s[22:23]
	s_cbranch_vccz .LBB187_21
; %bb.20:
	s_mul_i32 s1, s51, s12
	s_mul_hi_i32 s0, s51, s12
	s_add_u32 s1, s1, s26
	s_addc_u32 s0, s0, s3
	s_mul_i32 s17, s1, s53
	s_mul_hi_u32 s20, s1, s14
	s_add_i32 s17, s20, s17
	s_mul_i32 s0, s0, s14
	s_add_i32 s17, s17, s0
	s_mul_i32 s1, s1, s14
	s_ashr_i32 s0, s54, 31
	s_add_u32 s24, s1, s54
	s_addc_u32 s25, s17, s0
	s_cbranch_execz .LBB187_22
	s_branch .LBB187_23
.LBB187_21:
                                        ; implicit-def: $sgpr24_sgpr25
.LBB187_22:
	s_mul_hi_i32 s0, s51, s14
	s_mul_i32 s51, s51, s14
	s_ashr_i32 s1, s54, 31
	s_add_u32 s14, s51, s54
	s_addc_u32 s0, s0, s1
	s_mul_i32 s1, s14, s50
	s_mul_hi_u32 s17, s14, s12
	s_add_i32 s1, s17, s1
	s_mul_i32 s0, s0, s12
	s_add_i32 s1, s1, s0
	s_mul_i32 s14, s14, s12
	s_add_u32 s24, s14, s26
	s_addc_u32 s25, s1, s3
.LBB187_23:
	s_mul_i32 s0, s38, s50
	s_add_i32 s0, s57, s0
	s_add_i32 s14, s55, s52
	;; [unrolled: 1-line block ×3, first 2 shown]
	s_add_u32 s0, s16, s26
	s_addc_u32 s1, s1, s3
	v_lshlrev_b32_e32 v35, 6, v82
	v_lshlrev_b32_e32 v34, 2, v79
	s_mov_b32 s3, 0x7060302
	s_waitcnt vmcnt(7)
	v_perm_b32 v25, v25, v24, s3
	v_perm_b32 v24, v23, v22, s3
	s_waitcnt vmcnt(6)
	v_perm_b32 v22, v31, v30, s3
	v_or_b32_e32 v30, v35, v34
	v_xor_b32_e32 v36, v82, v34
	v_perm_b32 v23, v33, v32, s3
	v_lshlrev_b32_e32 v30, 1, v30
	ds_write2st64_b64 v30, v[24:25], v[22:23] offset0:32 offset1:48
	v_lshlrev_b32_e32 v30, 1, v36
	v_lshlrev_b32_e32 v31, 8, v79
	v_xor_b32_e32 v37, v83, v34
	v_or_b32_e32 v32, v30, v31
	ds_write_b64 v32, v[24:25]
	v_lshlrev_b32_e32 v24, 1, v37
	v_or_b32_e32 v25, v24, v31
	ds_write_b64 v25, v[22:23]
	v_or_b32_e32 v22, 16, v79
	v_lshlrev_b32_e32 v23, 2, v22
	v_or_b32_e32 v25, v35, v23
	s_waitcnt vmcnt(5)
	v_perm_b32 v17, v17, v16, s3
	v_perm_b32 v16, v15, v14, s3
	s_waitcnt vmcnt(4)
	v_perm_b32 v15, v29, v28, s3
	v_perm_b32 v14, v27, v26, s3
	v_lshlrev_b32_e32 v25, 1, v25
	v_lshlrev_b32_e32 v22, 8, v22
	ds_write2st64_b64 v25, v[16:17], v[14:15] offset0:32 offset1:48
	v_or_b32_e32 v25, v30, v22
	ds_write_b64 v25, v[16:17]
	v_or_b32_e32 v16, v24, v22
	ds_write_b64 v16, v[14:15]
	v_or_b32_e32 v14, 32, v79
	v_lshlrev_b32_e32 v22, 2, v14
	v_or_b32_e32 v15, v35, v22
	s_waitcnt vmcnt(3)
	v_perm_b32 v9, v9, v8, s3
	v_perm_b32 v8, v7, v6, s3
	s_waitcnt vmcnt(2)
	v_perm_b32 v7, v21, v20, s3
	v_perm_b32 v6, v19, v18, s3
	v_lshlrev_b32_e32 v15, 1, v15
	v_lshlrev_b32_e32 v14, 8, v14
	s_lshl_b64 s[20:21], s[0:1], 8
	ds_write2st64_b64 v15, v[8:9], v[6:7] offset0:32 offset1:48
	v_or_b32_e32 v15, v30, v14
	s_waitcnt lgkmcnt(0)
	s_add_u32 s0, s6, s20
	ds_write_b64 v15, v[8:9]
	v_or_b32_e32 v8, v24, v14
	s_addc_u32 s1, s7, s21
	ds_write_b64 v8, v[6:7]
	s_waitcnt vmcnt(1)
	v_perm_b32 v5, v5, v4, s3
	v_perm_b32 v4, v3, v2, s3
	s_waitcnt vmcnt(0)
	v_perm_b32 v3, v13, v12, s3
	v_perm_b32 v2, v11, v10, s3
	v_or_b32_e32 v6, 48, v79
	s_mul_hi_i32 s3, s14, s13
	s_mul_i32 s14, s14, s13
	v_lshlrev_b32_e32 v19, 2, v6
	s_add_u32 s6, s14, s48
	v_or_b32_e32 v7, v35, v19
	s_addc_u32 s7, s3, s49
	v_lshlrev_b32_e32 v7, 1, v7
	v_lshlrev_b32_e32 v6, 8, v6
	s_ashr_i32 s3, s2, 31
	s_lshl_b64 s[6:7], s[6:7], 15
	ds_write2st64_b64 v7, v[4:5], v[2:3] offset0:32 offset1:48
	v_or_b32_e32 v7, v30, v6
	s_add_u32 s6, s18, s6
	ds_write_b64 v7, v[4:5]
	v_or_b32_e32 v4, v24, v6
	s_addc_u32 s7, s19, s7
	s_lshl_b64 s[2:3], s[2:3], 8
	ds_write_b64 v4, v[2:3]
	s_add_u32 s2, s6, s2
	v_lshlrev_b32_e32 v3, 1, v79
	v_lshrrev_b32_e32 v2, 4, v0
	s_addc_u32 s3, s7, s3
	v_or_b32_e32 v4, 1, v3
	v_lshlrev_b32_e32 v10, 4, v79
	v_mov_b32_e32 v11, 0
	v_xor_b32_e32 v3, v2, v3
	v_xor_b32_e32 v6, v4, v2
	v_lshl_add_u64 v[12:13], s[2:3], 0, v[10:11]
	v_lshlrev_b32_e32 v10, 8, v2
	v_lshl_or_b32 v16, v3, 3, v10
	v_lshl_or_b32 v17, v6, 3, v10
	s_waitcnt lgkmcnt(0)
	s_barrier
	ds_read2st64_b64 v[2:5], v16 offset1:8
	ds_read2st64_b64 v[6:9], v17 offset1:8
	v_lshl_add_u64 v[14:15], v[12:13], 0, v[10:11]
	s_movk_i32 s2, 0x2000
	s_cmp_lg_u32 s27, 64
	s_waitcnt lgkmcnt(1)
	v_mov_b32_e32 v10, v2
	v_mov_b32_e32 v11, v3
	s_waitcnt lgkmcnt(0)
	v_mov_b32_e32 v12, v6
	v_mov_b32_e32 v13, v7
	global_store_dwordx4 v[14:15], v[10:13], off
	v_mov_b32_e32 v6, v4
	v_mov_b32_e32 v7, v5
	ds_read2st64_b64 v[2:5], v16 offset0:16 offset1:24
	ds_read2st64_b64 v[10:13], v17 offset0:16 offset1:24
	v_add_co_u32_e32 v16, vcc, s2, v14
	s_cselect_b64 s[6:7], -1, 0
	s_nop 0
	v_addc_co_u32_e32 v17, vcc, 0, v15, vcc
	global_store_dwordx4 v[16:17], v[6:9], off offset:-4096
	v_lshl_or_b32 v24, v77, 3, v81
	s_mov_b32 s16, 0
	s_waitcnt lgkmcnt(1)
	v_mov_b32_e32 v6, v2
	v_add_co_u32_e32 v2, vcc, 0x3000, v14
	v_mov_b32_e32 v7, v3
	s_nop 0
	v_addc_co_u32_e32 v3, vcc, 0, v15, vcc
	s_waitcnt lgkmcnt(0)
	v_mov_b32_e32 v8, v10
	v_mov_b32_e32 v9, v11
	;; [unrolled: 1-line block ×4, first 2 shown]
	v_or_b32_e32 v20, 32, v24
	v_and_b32_e32 v18, 56, v80
	s_and_b64 vcc, exec, s[6:7]
	global_store_dwordx4 v[16:17], v[6:9], off
	global_store_dwordx4 v[2:3], v[10:13], off
	s_cbranch_vccz .LBB187_29
; %bb.24:
	s_mov_b32 s17, s16
	s_mov_b32 s18, s16
	;; [unrolled: 1-line block ×3, first 2 shown]
	v_mov_b64_e32 v[6:7], s[16:17]
	v_mov_b64_e32 v[8:9], s[18:19]
	;; [unrolled: 1-line block ×3, first 2 shown]
	v_cmp_gt_i32_e32 vcc, s27, v24
	v_mov_b64_e32 v[4:5], v[8:9]
	s_and_saveexec_b64 s[2:3], vcc
	s_cbranch_execz .LBB187_26
; %bb.25:
	v_lshlrev_b32_e32 v2, 8, v24
	v_mov_b32_e32 v3, 0
	v_lshl_add_u64 v[4:5], s[0:1], 0, v[2:3]
	v_lshlrev_b32_e32 v2, 1, v18
	v_lshl_add_u64 v[10:11], v[4:5], 0, v[2:3]
	global_load_dwordx4 v[6:9], v[10:11], off
	global_load_dwordx4 v[2:5], v[10:11], off offset:128
.LBB187_26:
	s_or_b64 exec, exec, s[2:3]
	s_mov_b32 s17, s16
	s_mov_b32 s18, s16
	;; [unrolled: 1-line block ×3, first 2 shown]
	v_mov_b64_e32 v[14:15], s[16:17]
	v_mov_b64_e32 v[16:17], s[18:19]
	v_mov_b64_e32 v[10:11], v[14:15]
	v_cmp_gt_i32_e32 vcc, s27, v20
	v_lshlrev_b32_e32 v21, 7, v20
	v_mov_b64_e32 v[12:13], v[16:17]
	s_and_saveexec_b64 s[2:3], vcc
	s_cbranch_execz .LBB187_28
; %bb.27:
	v_lshlrev_b32_e32 v10, 1, v21
	v_mov_b32_e32 v11, 0
	v_lshl_add_u64 v[12:13], s[0:1], 0, v[10:11]
	v_lshlrev_b32_e32 v10, 1, v18
	v_lshl_add_u64 v[26:27], v[12:13], 0, v[10:11]
	global_load_dwordx4 v[14:17], v[26:27], off
	global_load_dwordx4 v[10:13], v[26:27], off offset:128
.LBB187_28:
	s_or_b64 exec, exec, s[2:3]
	v_lshrrev_b32_e32 v25, 3, v18
	v_lshlrev_b32_e32 v26, 3, v24
	v_or_b32_e32 v25, v26, v25
	v_lshlrev_b32_e32 v25, 4, v25
	v_and_b32_e32 v26, 0x78, v26
	v_xor_b32_e32 v25, v25, v26
	s_branch .LBB187_31
.LBB187_29:
                                        ; implicit-def: $vgpr25
                                        ; implicit-def: $vgpr21
                                        ; implicit-def: $vgpr6_vgpr7_vgpr8_vgpr9
                                        ; implicit-def: $vgpr2_vgpr3_vgpr4_vgpr5
                                        ; implicit-def: $vgpr14_vgpr15_vgpr16_vgpr17
                                        ; implicit-def: $vgpr10_vgpr11_vgpr12_vgpr13
	s_cbranch_execz .LBB187_31
; %bb.30:
	s_waitcnt vmcnt(0)
	v_lshlrev_b32_e32 v2, 1, v18
	v_lshl_or_b32 v21, v24, 8, v2
	s_and_b32 s1, s1, 0xffff
	s_mov_b32 s3, 0x20000
	s_movk_i32 s2, 0x4000
	v_lshl_or_b32 v25, v20, 8, v2
	s_movk_i32 s13, 0x80
	buffer_load_dwordx4 v[6:9], v21, s[0:3], 0 offen
	buffer_load_dwordx4 v[2:5], v21, s[0:3], s13 offen
	;; [unrolled: 1-line block ×4, first 2 shown]
	v_lshrrev_b32_e32 v21, 3, v18
	v_lshlrev_b32_e32 v25, 3, v24
	v_or_b32_e32 v21, v25, v21
	v_lshlrev_b32_e32 v21, 4, v21
	v_and_b32_e32 v25, 0x78, v25
	v_xor_b32_e32 v25, v21, v25
	v_lshlrev_b32_e32 v21, 7, v20
.LBB187_31:
	s_movk_i32 s0, 0x1000
	v_and_or_b32 v20, v21, s0, v25
	s_waitcnt vmcnt(1)
	ds_write_b64 v25, v[6:7] offset:49152
	v_xor_b32_e32 v6, 8, v25
	ds_write_b64 v6, v[8:9] offset:49152
	s_waitcnt vmcnt(0)
	ds_write_b64 v25, v[2:3] offset:57344
	ds_write_b64 v6, v[4:5] offset:57344
	;; [unrolled: 1-line block ×3, first 2 shown]
	v_xor_b32_e32 v2, 8, v20
	ds_write_b64 v2, v[16:17] offset:49152
	ds_write_b64 v20, v[10:11] offset:57344
	;; [unrolled: 1-line block ×3, first 2 shown]
	v_or_b32_e32 v2, v1, v79
	v_lshlrev_b32_e32 v3, 11, v77
	v_lshlrev_b32_e32 v2, 3, v2
	v_and_b32_e32 v6, 0x1000, v3
	v_lshrrev_b32_e32 v3, 5, v76
	s_movk_i32 s0, 0xf8
	v_and_or_b32 v3, v2, s0, v3
	v_lshlrev_b32_e32 v7, 4, v3
	v_and_b32_e32 v8, 0x78, v2
	v_or_b32_e32 v10, 32, v7
	v_lshrrev_b32_e32 v3, 1, v76
	v_xor_b32_e32 v10, v10, v8
	v_xor_b32_e32 v2, v7, v8
	v_and_b32_e32 v9, 8, v3
	v_or_b32_e32 v10, v10, v6
	v_or_b32_e32 v2, v2, v6
	v_xor_b32_e32 v27, v10, v9
	v_or_b32_e32 v10, 64, v7
	v_xor_b32_e32 v26, v2, v9
	v_xor_b32_e32 v10, v10, v8
	s_waitcnt lgkmcnt(0)
	s_barrier
	v_or_b32_e32 v13, v10, v6
	ds_read_b64 v[10:11], v26 offset:49152
	v_lshl_or_b32 v14, v78, 8, v34
	v_lshlrev_b32_e32 v25, 1, v14
	v_add_u32_e32 v12, 0x4000, v25
	ds_read2_b64 v[2:5], v12 offset1:16
	v_or_b32_e32 v7, 0x60, v7
	v_xor_b32_e32 v7, v7, v8
	v_or_b32_e32 v6, v7, v6
	v_xor_b32_e32 v28, v13, v9
	v_xor_b32_e32 v29, v6, v9
	ds_read_b64 v[20:21], v27 offset:49152
	ds_read_b64 v[36:37], v28 offset:49152
	;; [unrolled: 1-line block ×3, first 2 shown]
	s_waitcnt lgkmcnt(3)
	v_mfma_f32_16x16x16_bf16 a[0:3], v[10:11], v[2:3], 0
	ds_read2st64_b64 v[6:9], v25 offset0:36 offset1:40
	s_lshl_b64 s[0:1], s[24:25], 8
	s_add_u32 s4, s4, s0
	v_mfma_f32_16x16x16_bf16 a[4:7], v[10:11], v[4:5], 0
	ds_read2_b64 v[2:5], v12 offset0:32 offset1:48
	s_addc_u32 s5, s5, s1
	s_add_i32 s1, s44, s33
	s_waitcnt lgkmcnt(0)
	v_mfma_f32_16x16x16_bf16 a[8:11], v[10:11], v[2:3], 0
	v_or_b32_e32 v2, 64, v14
	v_lshlrev_b32_e32 v30, 1, v2
	s_add_i32 s0, s12, -1
	v_mfma_f32_16x16x16_bf16 a[12:15], v[10:11], v[4:5], 0
	ds_read2st64_b64 v[2:5], v30 offset0:36 offset1:40
	s_add_i32 s37, s1, s39
	s_add_i32 s1, s46, s45
	v_mfma_f32_16x16x16_bf16 a[0:3], v[20:21], v[6:7], a[0:3]
	v_or_b32_e32 v6, 0x80, v14
	v_lshlrev_b32_e32 v31, 1, v6
	ds_read2st64_b64 v[10:13], v31 offset0:36 offset1:40
	s_waitcnt lgkmcnt(1)
	v_mfma_f32_16x16x16_bf16 a[4:7], v[20:21], v[2:3], a[4:7]
	v_or_b32_e32 v2, 0xc0, v14
	v_lshlrev_b32_e32 v32, 1, v2
	ds_read2st64_b64 v[14:17], v32 offset0:36 offset1:40
	s_add_i32 s35, s1, s47
	s_ashr_i32 s1, s0, 31
	s_mul_i32 s2, s0, s31
	s_mul_hi_u32 s3, s0, s30
	s_add_i32 s2, s3, s2
	s_mul_i32 s1, s1, s30
	s_waitcnt lgkmcnt(1)
	v_mfma_f32_16x16x16_bf16 a[8:11], v[20:21], v[10:11], a[8:11]
	s_add_i32 s1, s2, s1
	s_lshl_b64 s[2:3], s[36:37], 2
	s_add_u32 s10, s10, s2
	s_waitcnt lgkmcnt(0)
	v_mfma_f32_16x16x16_bf16 a[12:15], v[20:21], v[14:15], a[12:15]
	s_addc_u32 s11, s11, s3
	s_lshl_b64 s[2:3], s[34:35], 2
	s_mul_i32 s0, s0, s30
	v_mfma_f32_16x16x16_bf16 a[0:3], v[36:37], v[8:9], a[0:3]
	ds_read_b64 v[2:3], v25 offset:22528
	s_add_u32 s10, s10, s2
	s_addc_u32 s11, s11, s3
	v_mfma_f32_16x16x16_bf16 a[4:7], v[36:37], v[4:5], a[4:7]
	ds_read_b64 v[4:5], v30 offset:22528
	ds_read_b64 v[6:7], v31 offset:22528
	;; [unrolled: 1-line block ×3, first 2 shown]
	s_lshl_b64 s[0:1], s[0:1], 2
	s_add_u32 s0, s10, s0
	v_mfma_f32_16x16x16_bf16 a[8:11], v[36:37], v[12:13], a[8:11]
	s_addc_u32 s1, s11, s1
	s_load_dword s12, s[0:1], 0x0
	s_and_b64 vcc, exec, s[22:23]
	v_mfma_f32_16x16x16_bf16 a[12:15], v[36:37], v[16:17], a[12:15]
	s_waitcnt lgkmcnt(0)
	v_mfma_f32_16x16x16_bf16 a[0:3], v[38:39], v[2:3], a[0:3]
	v_mfma_f32_16x16x16_bf16 a[4:7], v[38:39], v[4:5], a[4:7]
	;; [unrolled: 1-line block ×4, first 2 shown]
	s_cbranch_vccz .LBB187_42
; %bb.32:
	v_lshlrev_b32_e32 v20, 1, v24
	s_and_b64 vcc, exec, s[6:7]
	s_cbranch_vccz .LBB187_43
; %bb.33:
	v_cmp_gt_i32_e32 vcc, s27, v20
	v_mov_b32_e32 v6, 0
	v_mov_b32_e32 v2, 0
	;; [unrolled: 1-line block ×5, first 2 shown]
	s_and_saveexec_b64 s[0:1], vcc
	s_cbranch_execz .LBB187_35
; %bb.34:
	v_mad_i64_i32 v[2:3], s[2:3], s15, v20, 0
	v_lshl_add_u64 v[2:3], v[2:3], 1, s[4:5]
	v_lshlrev_b32_e32 v4, 1, v18
	v_mov_b32_e32 v5, 0
	v_lshl_add_u64 v[2:3], v[2:3], 0, v[4:5]
	global_load_dwordx4 v[2:5], v[2:3], off
.LBB187_35:
	s_or_b64 exec, exec, s[0:1]
	v_or_b32_e32 v21, 1, v20
	v_cmp_gt_i32_e64 s[0:1], s27, v21
	v_mov_b32_e32 v7, 0
	v_mov_b32_e32 v8, 0
	;; [unrolled: 1-line block ×3, first 2 shown]
	s_and_saveexec_b64 s[2:3], s[0:1]
	s_cbranch_execz .LBB187_37
; %bb.36:
	v_mad_i64_i32 v[6:7], s[16:17], s15, v21, 0
	v_lshl_add_u64 v[6:7], v[6:7], 1, s[4:5]
	v_lshlrev_b32_e32 v8, 1, v18
	v_mov_b32_e32 v9, 0
	v_lshl_add_u64 v[6:7], v[6:7], 0, v[8:9]
	global_load_dwordx4 v[6:9], v[6:7], off
.LBB187_37:
	s_or_b64 exec, exec, s[2:3]
	v_mov_b32_e32 v17, 0
	v_mov_b32_e32 v10, 0
	;; [unrolled: 1-line block ×5, first 2 shown]
	s_and_saveexec_b64 s[2:3], vcc
	s_cbranch_execz .LBB187_39
; %bb.38:
	v_mad_i64_i32 v[10:11], s[16:17], s15, v20, 0
	v_lshl_add_u64 v[10:11], v[10:11], 1, s[4:5]
	v_lshlrev_b32_e32 v12, 1, v18
	v_mov_b32_e32 v13, 0
	v_lshl_add_u64 v[10:11], v[10:11], 0, v[12:13]
	global_load_dwordx4 v[10:13], v[10:11], off offset:128
.LBB187_39:
	s_or_b64 exec, exec, s[2:3]
	v_mov_b32_e32 v16, 0
	v_mov_b32_e32 v15, 0
	;; [unrolled: 1-line block ×3, first 2 shown]
	s_and_saveexec_b64 s[2:3], s[0:1]
	s_cbranch_execz .LBB187_41
; %bb.40:
	v_mad_i64_i32 v[14:15], s[0:1], s15, v21, 0
	v_lshl_add_u64 v[14:15], v[14:15], 1, s[4:5]
	v_lshlrev_b32_e32 v16, 1, v18
	v_mov_b32_e32 v17, 0
	v_lshl_add_u64 v[14:15], v[14:15], 0, v[16:17]
	global_load_dwordx4 v[14:17], v[14:15], off offset:128
.LBB187_41:
	s_or_b64 exec, exec, s[2:3]
	s_branch .LBB187_45
.LBB187_42:
                                        ; implicit-def: $vgpr5
                                        ; implicit-def: $vgpr9
                                        ; implicit-def: $vgpr13
                                        ; implicit-def: $vgpr17
	v_lshrrev_b32_e32 v33, 2, v76
	s_branch .LBB187_46
.LBB187_43:
                                        ; implicit-def: $vgpr5
                                        ; implicit-def: $vgpr9
                                        ; implicit-def: $vgpr13
                                        ; implicit-def: $vgpr17
	s_cbranch_execz .LBB187_45
; %bb.44:
	s_waitcnt vmcnt(0)
	v_mad_u64_u32 v[2:3], s[0:1], v20, s15, v[18:19]
	v_lshlrev_b32_e32 v20, 1, v2
	s_lshl_b32 s2, s15, 7
	s_and_b32 s1, s5, 0xffff
	s_mov_b32 s3, 0x20000
	s_mov_b32 s0, s4
	v_add_lshl_u32 v21, v2, s15, 1
	s_movk_i32 s13, 0x80
	buffer_load_dwordx4 v[2:5], v20, s[0:3], 0 offen
	buffer_load_dwordx4 v[10:13], v20, s[0:3], s13 offen
	;; [unrolled: 1-line block ×4, first 2 shown]
.LBB187_45:
	v_lshrrev_b32_e32 v33, 2, v76
	s_cbranch_execnz .LBB187_58
.LBB187_46:
	s_and_b64 vcc, exec, s[6:7]
	s_cbranch_vccz .LBB187_56
; %bb.47:
	s_waitcnt vmcnt(0)
	v_lshlrev_b32_e32 v7, 1, v24
	v_cmp_gt_i32_e32 vcc, s27, v7
	v_mov_b32_e32 v6, 0
	v_lshlrev_b32_e32 v14, 9, v24
	v_mov_b32_e32 v2, 0
	v_mov_b32_e32 v3, 0
	;; [unrolled: 1-line block ×4, first 2 shown]
	s_and_saveexec_b64 s[0:1], vcc
	s_cbranch_execz .LBB187_49
; %bb.48:
	v_mov_b32_e32 v15, 0
	v_lshl_add_u64 v[2:3], s[4:5], 0, v[14:15]
	v_lshlrev_b32_e32 v4, 1, v18
	v_mov_b32_e32 v5, v15
	v_lshl_add_u64 v[2:3], v[2:3], 0, v[4:5]
	global_load_dwordx4 v[2:5], v[2:3], off
.LBB187_49:
	s_or_b64 exec, exec, s[0:1]
	v_or_b32_e32 v7, 1, v7
	v_cmp_gt_i32_e64 s[0:1], s27, v7
	v_lshlrev_b32_e32 v20, 8, v7
	v_mov_b32_e32 v7, 0
	v_mov_b32_e32 v8, 0
	;; [unrolled: 1-line block ×3, first 2 shown]
	s_and_saveexec_b64 s[2:3], s[0:1]
	s_cbranch_execz .LBB187_51
; %bb.50:
	v_mov_b32_e32 v21, 0
	v_lshl_add_u64 v[6:7], s[4:5], 0, v[20:21]
	v_lshlrev_b32_e32 v8, 1, v18
	v_mov_b32_e32 v9, v21
	v_lshl_add_u64 v[6:7], v[6:7], 0, v[8:9]
	global_load_dwordx4 v[6:9], v[6:7], off
.LBB187_51:
	s_or_b64 exec, exec, s[2:3]
	v_mov_b32_e32 v17, 0
	v_mov_b32_e32 v10, 0
	;; [unrolled: 1-line block ×5, first 2 shown]
	s_and_saveexec_b64 s[2:3], vcc
	s_cbranch_execz .LBB187_53
; %bb.52:
	v_mov_b32_e32 v15, 0
	v_lshl_add_u64 v[10:11], s[4:5], 0, v[14:15]
	v_lshlrev_b32_e32 v14, 1, v18
	v_lshl_add_u64 v[10:11], v[10:11], 0, v[14:15]
	global_load_dwordx4 v[10:13], v[10:11], off offset:128
.LBB187_53:
	s_or_b64 exec, exec, s[2:3]
	v_mov_b32_e32 v16, 0
	v_mov_b32_e32 v15, 0
	;; [unrolled: 1-line block ×3, first 2 shown]
	s_and_saveexec_b64 s[2:3], s[0:1]
	s_cbranch_execz .LBB187_55
; %bb.54:
	v_mov_b32_e32 v21, 0
	v_lshl_add_u64 v[14:15], s[4:5], 0, v[20:21]
	v_lshlrev_b32_e32 v20, 1, v18
	v_lshl_add_u64 v[14:15], v[14:15], 0, v[20:21]
	global_load_dwordx4 v[14:17], v[14:15], off offset:128
.LBB187_55:
	s_or_b64 exec, exec, s[2:3]
	s_branch .LBB187_58
.LBB187_56:
                                        ; implicit-def: $vgpr5
                                        ; implicit-def: $vgpr9
                                        ; implicit-def: $vgpr13
                                        ; implicit-def: $vgpr17
	s_cbranch_execz .LBB187_58
; %bb.57:
	s_waitcnt vmcnt(0)
	v_lshlrev_b32_e32 v2, 1, v18
	v_lshl_or_b32 v18, v24, 9, v2
	s_and_b32 s5, s5, 0xffff
	s_mov_b32 s7, 0x20000
	s_movk_i32 s6, 0x4000
	s_movk_i32 s0, 0x80
	buffer_load_dwordx4 v[2:5], v18, s[4:7], 0 offen
	buffer_load_dwordx4 v[6:9], v18, s[4:7], 0 offen offset:256
	buffer_load_dwordx4 v[10:13], v18, s[4:7], s0 offen
	buffer_load_dwordx4 v[14:17], v18, s[4:7], s0 offen offset:256
.LBB187_58:
	ds_read_b64 v[20:21], v26 offset:57344
	v_add_u32_e32 v18, 0x6000, v25
	ds_read2_b64 v[36:39], v18 offset1:16
	ds_read_b64 v[48:49], v27 offset:57344
	ds_read_b64 v[50:51], v28 offset:57344
	;; [unrolled: 1-line block ×3, first 2 shown]
	ds_read2_b64 v[26:29], v18 offset0:32 offset1:48
	v_and_b32_e32 v18, 6, v0
	v_xor_b32_e32 v24, v24, v18
	v_lshlrev_b32_e32 v24, 2, v24
	v_and_b32_e32 v0, 1, v0
	v_cmp_eq_u32_e32 vcc, 0, v0
	s_waitcnt lgkmcnt(4)
	v_mfma_f32_16x16x16_bf16 a[0:3], v[20:21], v[36:37], a[0:3]
	s_mov_b32 s0, 0x1000504
	s_mov_b32 s1, 0x3020706
	v_mfma_f32_16x16x16_bf16 a[4:7], v[20:21], v[38:39], a[4:7]
	ds_read2st64_b64 v[36:39], v25 offset0:52 offset1:56
	s_waitcnt lgkmcnt(1)
	v_mfma_f32_16x16x16_bf16 a[8:11], v[20:21], v[26:27], a[8:11]
	v_mfma_f32_16x16x16_bf16 a[12:15], v[20:21], v[28:29], a[12:15]
	ds_read2st64_b64 v[26:29], v30 offset0:52 offset1:56
	ds_read2st64_b64 v[40:43], v31 offset0:52 offset1:56
	;; [unrolled: 1-line block ×3, first 2 shown]
	s_waitcnt lgkmcnt(3)
	v_mfma_f32_16x16x16_bf16 a[0:3], v[48:49], v[36:37], a[0:3]
	ds_read_b64 v[20:21], v25 offset:30720
	ds_read_b64 v[36:37], v30 offset:30720
	;; [unrolled: 1-line block ×4, first 2 shown]
	v_xor_b32_e32 v25, 0x440, v24
	v_cndmask_b32_e32 v0, v25, v24, vcc
	s_waitcnt lgkmcnt(6)
	v_mfma_f32_16x16x16_bf16 a[4:7], v[48:49], v[26:27], a[4:7]
	v_lshl_or_b32 v0, v18, 10, v0
	s_waitcnt vmcnt(0)
	v_perm_b32 v18, v2, v6, s0
	v_perm_b32 v24, v10, v14, s0
	s_waitcnt lgkmcnt(5)
	v_mfma_f32_16x16x16_bf16 a[8:11], v[48:49], v[40:41], a[8:11]
	ds_write2st64_b32 v0, v18, v24 offset0:128 offset1:160
	v_xor_b32_e32 v18, 8, v0
	v_perm_b32 v2, v2, v6, s1
	s_waitcnt lgkmcnt(5)
	v_mfma_f32_16x16x16_bf16 a[12:15], v[48:49], v[44:45], a[12:15]
	v_perm_b32 v6, v10, v14, s1
	v_add_u32_e32 v10, 0x80, v18
	ds_write2st64_b32 v10, v2, v6 offset0:128 offset1:160
	v_mfma_f32_16x16x16_bf16 a[0:3], v[50:51], v[38:39], a[0:3]
	v_xor_b32_e32 v2, 16, v0
	v_perm_b32 v6, v3, v7, s0
	v_perm_b32 v10, v11, v15, s0
	v_mfma_f32_16x16x16_bf16 a[4:7], v[50:51], v[28:29], a[4:7]
	ds_write2st64_b32 v2, v6, v10 offset0:129 offset1:161
	v_xor_b32_e32 v2, 24, v0
	v_perm_b32 v3, v3, v7, s1
	v_mfma_f32_16x16x16_bf16 a[16:19], v[50:51], v[42:43], a[8:11]
	v_perm_b32 v6, v11, v15, s1
	v_add_u32_e32 v2, 0x80, v2
	ds_write2st64_b32 v2, v3, v6 offset0:129 offset1:161
	v_mfma_f32_16x16x16_bf16 a[20:23], v[50:51], v[46:47], a[12:15]
	v_xor_b32_e32 v2, 32, v0
	v_perm_b32 v3, v4, v8, s0
	v_perm_b32 v6, v12, v16, s0
	s_waitcnt lgkmcnt(7)
	v_mfma_f32_16x16x16_bf16 a[12:15], v[52:53], v[20:21], a[0:3]
	ds_write2st64_b32 v2, v3, v6 offset0:130 offset1:162
	v_xor_b32_e32 v2, 40, v0
	v_perm_b32 v3, v4, v8, s1
	s_waitcnt lgkmcnt(7)
	v_mfma_f32_16x16x16_bf16 a[8:11], v[52:53], v[36:37], a[4:7]
	v_perm_b32 v4, v12, v16, s1
	v_add_u32_e32 v2, 0x80, v2
	ds_write2st64_b32 v2, v3, v4 offset0:130 offset1:162
	s_waitcnt lgkmcnt(7)
	v_mfma_f32_16x16x16_bf16 a[4:7], v[52:53], v[30:31], a[16:19]
	v_xor_b32_e32 v2, 48, v0
	v_perm_b32 v3, v5, v9, s0
	v_perm_b32 v4, v13, v17, s0
	s_waitcnt lgkmcnt(6)
	v_mfma_f32_16x16x16_bf16 a[0:3], v[52:53], v[54:55], a[20:23]
	v_xor_b32_e32 v0, 56, v0
	v_and_or_b32 v21, v33, 12, v1
	ds_write2st64_b32 v2, v3, v4 offset0:131 offset1:163
	v_perm_b32 v2, v5, v9, s1
	v_perm_b32 v3, v13, v17, s1
	v_add_u32_e32 v0, 0x80, v0
	v_cmp_gt_i32_e32 vcc, s27, v21
	v_mov_b32_e32 v16, 0
	v_mov_b32_e32 v18, 0
	ds_write2st64_b32 v0, v2, v3 offset0:131 offset1:163
	s_and_saveexec_b64 s[0:1], vcc
	s_cbranch_execz .LBB187_60
; %bb.59:
	v_add_u32_e32 v0, s26, v21
	v_ashrrev_i32_e32 v1, 31, v0
	v_mul_lo_u32 v2, v1, s30
	v_mul_lo_u32 v3, v0, s31
	v_mad_u64_u32 v[0:1], s[2:3], v0, s30, 0
	v_add3_u32 v1, v1, v3, v2
	v_lshl_add_u64 v[0:1], v[0:1], 2, s[10:11]
	global_load_dword v0, v[0:1], off
	s_waitcnt vmcnt(0)
	v_sub_f32_e32 v0, s12, v0
	v_exp_f32_e32 v18, v0
.LBB187_60:
	s_or_b64 exec, exec, s[0:1]
	v_or_b32_e32 v10, 1, v21
	v_cmp_gt_i32_e64 s[2:3], s27, v10
	s_and_saveexec_b64 s[0:1], s[2:3]
	s_cbranch_execz .LBB187_62
; %bb.61:
	v_add_u32_e32 v0, s26, v10
	v_ashrrev_i32_e32 v1, 31, v0
	v_mul_lo_u32 v2, v1, s30
	v_mul_lo_u32 v3, v0, s31
	v_mad_u64_u32 v[0:1], s[4:5], v0, s30, 0
	v_add3_u32 v1, v1, v3, v2
	v_lshl_add_u64 v[0:1], v[0:1], 2, s[10:11]
	global_load_dword v0, v[0:1], off
	s_waitcnt vmcnt(0)
	v_sub_f32_e32 v0, s12, v0
	v_exp_f32_e32 v16, v0
.LBB187_62:
	s_or_b64 exec, exec, s[0:1]
	v_or_b32_e32 v12, 2, v21
	v_cmp_gt_i32_e64 s[0:1], s27, v12
	v_mov_b32_e32 v17, 0
	v_mov_b32_e32 v20, 0
	s_and_saveexec_b64 s[4:5], s[0:1]
	s_cbranch_execz .LBB187_64
; %bb.63:
	v_add_u32_e32 v0, s26, v12
	v_ashrrev_i32_e32 v1, 31, v0
	v_mul_lo_u32 v2, v1, s30
	v_mul_lo_u32 v3, v0, s31
	v_mad_u64_u32 v[0:1], s[6:7], v0, s30, 0
	v_add3_u32 v1, v1, v3, v2
	v_lshl_add_u64 v[0:1], v[0:1], 2, s[10:11]
	global_load_dword v0, v[0:1], off
	s_waitcnt vmcnt(0)
	v_sub_f32_e32 v0, s12, v0
	v_exp_f32_e32 v20, v0
.LBB187_64:
	s_or_b64 exec, exec, s[4:5]
	v_or_b32_e32 v14, 3, v21
	v_cmp_gt_i32_e64 s[4:5], s27, v14
	s_and_saveexec_b64 s[6:7], s[4:5]
	s_cbranch_execz .LBB187_66
; %bb.65:
	v_add_u32_e32 v0, s26, v14
	v_ashrrev_i32_e32 v1, 31, v0
	v_mul_lo_u32 v2, v1, s30
	v_mul_lo_u32 v3, v0, s31
	v_mad_u64_u32 v[0:1], s[14:15], v0, s30, 0
	v_add3_u32 v1, v1, v3, v2
	v_lshl_add_u64 v[0:1], v[0:1], 2, s[10:11]
	global_load_dword v0, v[0:1], off
	s_waitcnt vmcnt(0)
	v_sub_f32_e32 v0, s12, v0
	v_exp_f32_e32 v17, v0
.LBB187_66:
	s_or_b64 exec, exec, s[6:7]
	s_add_u32 s6, s8, s20
	s_addc_u32 s7, s9, s21
	s_add_u32 s8, s28, s20
	v_ashrrev_i32_e32 v67, 31, v66
	v_accvgpr_read_b32 v0, a12
	s_addc_u32 s9, s29, s21
	v_lshlrev_b64 v[4:5], 1, v[66:67]
	v_accvgpr_read_b32 v1, a13
	v_accvgpr_read_b32 v2, a14
	v_accvgpr_read_b32 v3, a15
	v_lshl_add_u64 v[6:7], s[6:7], 0, v[4:5]
	v_lshl_add_u64 v[4:5], s[8:9], 0, v[4:5]
	v_mov_b32_e32 v11, 0
	v_lshlrev_b32_e32 v8, 8, v21
	v_mov_b32_e32 v9, 0
	s_and_saveexec_b64 s[6:7], vcc
	s_cbranch_execz .LBB187_68
; %bb.67:
	v_mov_b32_e32 v9, 0
	v_lshl_add_u64 v[24:25], v[6:7], 0, v[8:9]
	global_load_ushort v13, v[24:25], off
	v_lshl_add_u64 v[24:25], v[4:5], 0, v[8:9]
	s_waitcnt vmcnt(0)
	v_lshlrev_b32_e32 v9, 16, v13
	v_sub_f32_e32 v0, v9, v0
	global_store_short_d16_hi v[24:25], v0, off
	v_mul_f32_e32 v0, v18, v0
	v_lshrrev_b32_e32 v9, 16, v0
.LBB187_68:
	s_or_b64 exec, exec, s[6:7]
	v_lshlrev_b32_e32 v10, 8, v10
	s_and_saveexec_b64 s[6:7], s[2:3]
	s_cbranch_execz .LBB187_70
; %bb.69:
	v_mov_b32_e32 v11, 0
	v_lshl_add_u64 v[24:25], v[6:7], 0, v[10:11]
	global_load_ushort v0, v[24:25], off
	v_lshl_add_u64 v[24:25], v[4:5], 0, v[10:11]
	s_waitcnt vmcnt(0)
	v_lshlrev_b32_e32 v0, 16, v0
	v_sub_f32_e32 v0, v0, v1
	global_store_short_d16_hi v[24:25], v0, off
	v_mul_f32_e32 v0, v16, v0
	v_lshrrev_b32_e32 v11, 16, v0
.LBB187_70:
	s_or_b64 exec, exec, s[6:7]
	v_mov_b32_e32 v15, 0
	v_lshlrev_b32_e32 v12, 8, v12
	v_mov_b32_e32 v13, 0
	s_and_saveexec_b64 s[6:7], s[0:1]
	s_cbranch_execz .LBB187_72
; %bb.71:
	v_mov_b32_e32 v13, 0
	v_lshl_add_u64 v[0:1], v[6:7], 0, v[12:13]
	global_load_ushort v24, v[0:1], off
	v_lshl_add_u64 v[0:1], v[4:5], 0, v[12:13]
	s_waitcnt vmcnt(0)
	v_lshlrev_b32_e32 v13, 16, v24
	v_sub_f32_e32 v2, v13, v2
	global_store_short_d16_hi v[0:1], v2, off
	v_mul_f32_e32 v0, v20, v2
	v_lshrrev_b32_e32 v13, 16, v0
.LBB187_72:
	s_or_b64 exec, exec, s[6:7]
	v_lshlrev_b32_e32 v14, 8, v14
	s_and_saveexec_b64 s[6:7], s[4:5]
	s_cbranch_execz .LBB187_74
; %bb.73:
	v_mov_b32_e32 v15, 0
	v_lshl_add_u64 v[0:1], v[6:7], 0, v[14:15]
	global_load_ushort v2, v[0:1], off
	v_lshl_add_u64 v[0:1], v[4:5], 0, v[14:15]
	s_waitcnt vmcnt(0)
	v_lshlrev_b32_e32 v2, 16, v2
	v_sub_f32_e32 v2, v2, v3
	global_store_short_d16_hi v[0:1], v2, off
	v_mul_f32_e32 v0, v17, v2
	v_lshrrev_b32_e32 v15, 16, v0
.LBB187_74:
	s_or_b64 exec, exec, s[6:7]
	v_lshlrev_b32_e32 v21, 6, v21
	s_mov_b32 s6, 0x5040100
	v_perm_b32 v24, v11, v9, s6
	v_or_b32_e32 v9, v21, v34
	v_accvgpr_read_b32 v0, a8
	v_perm_b32 v25, v15, v13, s6
	v_lshlrev_b32_e32 v9, 1, v9
	v_accvgpr_read_b32 v1, a9
	v_accvgpr_read_b32 v2, a10
	;; [unrolled: 1-line block ×3, first 2 shown]
	ds_write_b64 v9, v[24:25] offset:24576
	v_mov_b32_e32 v11, 0
	v_mov_b32_e32 v9, 0
	s_and_saveexec_b64 s[6:7], vcc
	s_cbranch_execz .LBB187_76
; %bb.75:
	v_mov_b32_e32 v9, 0
	v_lshl_add_u64 v[24:25], v[6:7], 0, v[8:9]
	global_load_ushort v13, v[24:25], off offset:32
	v_lshl_add_u64 v[24:25], v[4:5], 0, v[8:9]
	s_waitcnt vmcnt(0)
	v_lshlrev_b32_e32 v9, 16, v13
	v_sub_f32_e32 v0, v9, v0
	global_store_short_d16_hi v[24:25], v0, off offset:32
	v_mul_f32_e32 v0, v18, v0
	v_lshrrev_b32_e32 v9, 16, v0
.LBB187_76:
	s_or_b64 exec, exec, s[6:7]
	s_and_saveexec_b64 s[6:7], s[2:3]
	s_cbranch_execz .LBB187_78
; %bb.77:
	v_mov_b32_e32 v11, 0
	v_lshl_add_u64 v[24:25], v[6:7], 0, v[10:11]
	global_load_ushort v0, v[24:25], off offset:32
	v_lshl_add_u64 v[24:25], v[4:5], 0, v[10:11]
	s_waitcnt vmcnt(0)
	v_lshlrev_b32_e32 v0, 16, v0
	v_sub_f32_e32 v0, v0, v1
	global_store_short_d16_hi v[24:25], v0, off offset:32
	v_mul_f32_e32 v0, v16, v0
	v_lshrrev_b32_e32 v11, 16, v0
.LBB187_78:
	s_or_b64 exec, exec, s[6:7]
	v_mov_b32_e32 v15, 0
	v_mov_b32_e32 v13, 0
	s_and_saveexec_b64 s[6:7], s[0:1]
	s_cbranch_execz .LBB187_80
; %bb.79:
	v_mov_b32_e32 v13, 0
	v_lshl_add_u64 v[0:1], v[6:7], 0, v[12:13]
	global_load_ushort v24, v[0:1], off offset:32
	v_lshl_add_u64 v[0:1], v[4:5], 0, v[12:13]
	s_waitcnt vmcnt(0)
	v_lshlrev_b32_e32 v13, 16, v24
	v_sub_f32_e32 v2, v13, v2
	global_store_short_d16_hi v[0:1], v2, off offset:32
	v_mul_f32_e32 v0, v20, v2
	v_lshrrev_b32_e32 v13, 16, v0
.LBB187_80:
	s_or_b64 exec, exec, s[6:7]
	s_and_saveexec_b64 s[6:7], s[4:5]
	s_cbranch_execz .LBB187_82
; %bb.81:
	v_mov_b32_e32 v15, 0
	v_lshl_add_u64 v[0:1], v[6:7], 0, v[14:15]
	global_load_ushort v2, v[0:1], off offset:32
	v_lshl_add_u64 v[0:1], v[4:5], 0, v[14:15]
	s_waitcnt vmcnt(0)
	v_lshlrev_b32_e32 v2, 16, v2
	v_sub_f32_e32 v2, v2, v3
	global_store_short_d16_hi v[0:1], v2, off offset:32
	v_mul_f32_e32 v0, v17, v2
	v_lshrrev_b32_e32 v15, 16, v0
.LBB187_82:
	s_or_b64 exec, exec, s[6:7]
	s_mov_b32 s6, 0x5040100
	v_perm_b32 v24, v11, v9, s6
	v_or_b32_e32 v9, v21, v23
	v_accvgpr_read_b32 v0, a4
	v_perm_b32 v25, v15, v13, s6
	v_lshlrev_b32_e32 v9, 1, v9
	v_accvgpr_read_b32 v1, a5
	v_accvgpr_read_b32 v2, a6
	;; [unrolled: 1-line block ×3, first 2 shown]
	ds_write_b64 v9, v[24:25] offset:24576
	v_mov_b32_e32 v11, 0
	v_mov_b32_e32 v9, 0
	s_and_saveexec_b64 s[6:7], vcc
	s_cbranch_execz .LBB187_84
; %bb.83:
	v_mov_b32_e32 v9, 0
	v_lshl_add_u64 v[24:25], v[6:7], 0, v[8:9]
	global_load_ushort v13, v[24:25], off offset:64
	v_lshl_add_u64 v[24:25], v[4:5], 0, v[8:9]
	s_waitcnt vmcnt(0)
	v_lshlrev_b32_e32 v9, 16, v13
	v_sub_f32_e32 v0, v9, v0
	global_store_short_d16_hi v[24:25], v0, off offset:64
	v_mul_f32_e32 v0, v18, v0
	v_lshrrev_b32_e32 v9, 16, v0
.LBB187_84:
	s_or_b64 exec, exec, s[6:7]
	s_and_saveexec_b64 s[6:7], s[2:3]
	s_cbranch_execz .LBB187_86
; %bb.85:
	v_mov_b32_e32 v11, 0
	v_lshl_add_u64 v[24:25], v[6:7], 0, v[10:11]
	global_load_ushort v0, v[24:25], off offset:64
	v_lshl_add_u64 v[24:25], v[4:5], 0, v[10:11]
	s_waitcnt vmcnt(0)
	v_lshlrev_b32_e32 v0, 16, v0
	v_sub_f32_e32 v0, v0, v1
	global_store_short_d16_hi v[24:25], v0, off offset:64
	v_mul_f32_e32 v0, v16, v0
	v_lshrrev_b32_e32 v11, 16, v0
.LBB187_86:
	s_or_b64 exec, exec, s[6:7]
	v_mov_b32_e32 v15, 0
	v_mov_b32_e32 v13, 0
	s_and_saveexec_b64 s[6:7], s[0:1]
	s_cbranch_execz .LBB187_88
; %bb.87:
	v_mov_b32_e32 v13, 0
	v_lshl_add_u64 v[0:1], v[6:7], 0, v[12:13]
	global_load_ushort v23, v[0:1], off offset:64
	v_lshl_add_u64 v[0:1], v[4:5], 0, v[12:13]
	s_waitcnt vmcnt(0)
	v_lshlrev_b32_e32 v13, 16, v23
	v_sub_f32_e32 v2, v13, v2
	global_store_short_d16_hi v[0:1], v2, off offset:64
	v_mul_f32_e32 v0, v20, v2
	v_lshrrev_b32_e32 v13, 16, v0
.LBB187_88:
	s_or_b64 exec, exec, s[6:7]
	s_and_saveexec_b64 s[6:7], s[4:5]
	s_cbranch_execz .LBB187_90
; %bb.89:
	v_mov_b32_e32 v15, 0
	v_lshl_add_u64 v[0:1], v[6:7], 0, v[14:15]
	global_load_ushort v2, v[0:1], off offset:64
	v_lshl_add_u64 v[0:1], v[4:5], 0, v[14:15]
	s_waitcnt vmcnt(0)
	v_lshlrev_b32_e32 v2, 16, v2
	v_sub_f32_e32 v2, v2, v3
	global_store_short_d16_hi v[0:1], v2, off offset:64
	v_mul_f32_e32 v0, v17, v2
	v_lshrrev_b32_e32 v15, 16, v0
.LBB187_90:
	s_or_b64 exec, exec, s[6:7]
	s_mov_b32 s6, 0x5040100
	v_perm_b32 v24, v11, v9, s6
	v_or_b32_e32 v9, v21, v22
	v_accvgpr_read_b32 v0, a0
	v_perm_b32 v25, v15, v13, s6
	v_lshlrev_b32_e32 v9, 1, v9
	v_accvgpr_read_b32 v1, a1
	v_accvgpr_read_b32 v2, a2
	;; [unrolled: 1-line block ×3, first 2 shown]
	ds_write_b64 v9, v[24:25] offset:24576
	v_mov_b32_e32 v11, 0
	v_mov_b32_e32 v9, 0
	s_and_saveexec_b64 s[6:7], vcc
	s_cbranch_execz .LBB187_92
; %bb.91:
	v_mov_b32_e32 v9, 0
	v_lshl_add_u64 v[22:23], v[6:7], 0, v[8:9]
	global_load_ushort v13, v[22:23], off offset:96
	v_lshl_add_u64 v[8:9], v[4:5], 0, v[8:9]
	s_waitcnt vmcnt(0)
	v_lshlrev_b32_e32 v13, 16, v13
	v_sub_f32_e32 v0, v13, v0
	global_store_short_d16_hi v[8:9], v0, off offset:96
	v_mul_f32_e32 v0, v18, v0
	v_lshrrev_b32_e32 v9, 16, v0
.LBB187_92:
	s_or_b64 exec, exec, s[6:7]
	s_and_saveexec_b64 s[6:7], s[2:3]
	s_cbranch_execz .LBB187_94
; %bb.93:
	v_mov_b32_e32 v11, 0
	v_lshl_add_u64 v[22:23], v[6:7], 0, v[10:11]
	global_load_ushort v0, v[22:23], off offset:96
	v_lshl_add_u64 v[10:11], v[4:5], 0, v[10:11]
	s_waitcnt vmcnt(0)
	v_lshlrev_b32_e32 v0, 16, v0
	v_sub_f32_e32 v0, v0, v1
	global_store_short_d16_hi v[10:11], v0, off offset:96
	v_mul_f32_e32 v0, v16, v0
	v_lshrrev_b32_e32 v11, 16, v0
.LBB187_94:
	s_or_b64 exec, exec, s[6:7]
	v_mov_b32_e32 v0, 0
	v_mov_b32_e32 v1, 0
	s_and_saveexec_b64 s[2:3], s[0:1]
	s_cbranch_execz .LBB187_96
; %bb.95:
	v_mov_b32_e32 v13, 0
	v_lshl_add_u64 v[22:23], v[6:7], 0, v[12:13]
	global_load_ushort v1, v[22:23], off offset:96
	v_lshl_add_u64 v[12:13], v[4:5], 0, v[12:13]
	s_waitcnt vmcnt(0)
	v_lshlrev_b32_e32 v1, 16, v1
	v_sub_f32_e32 v1, v1, v2
	global_store_short_d16_hi v[12:13], v1, off offset:96
	v_mul_f32_e32 v1, v20, v1
	v_lshrrev_b32_e32 v1, 16, v1
.LBB187_96:
	s_or_b64 exec, exec, s[2:3]
	s_and_saveexec_b64 s[0:1], s[4:5]
	s_cbranch_execz .LBB187_98
; %bb.97:
	v_mov_b32_e32 v15, 0
	v_lshl_add_u64 v[6:7], v[6:7], 0, v[14:15]
	global_load_ushort v0, v[6:7], off offset:96
	v_lshl_add_u64 v[4:5], v[4:5], 0, v[14:15]
	s_waitcnt vmcnt(0)
	v_lshlrev_b32_e32 v0, 16, v0
	v_sub_f32_e32 v0, v0, v3
	global_store_short_d16_hi v[4:5], v0, off offset:96
	v_mul_f32_e32 v0, v17, v0
	v_lshrrev_b32_e32 v0, 16, v0
.LBB187_98:
	s_or_b64 exec, exec, s[0:1]
	s_mov_b32 s0, 0x5040100
	v_or_b32_e32 v2, v21, v19
	v_perm_b32 v1, v0, v1, s0
	v_perm_b32 v0, v11, v9, s0
	v_lshlrev_b32_e32 v2, 1, v2
	ds_write_b64 v2, v[0:1] offset:24576
	s_waitcnt lgkmcnt(0)
	s_barrier
.LBB187_99:
	s_endpgm
	.section	.rodata,"a",@progbits
	.p2align	6, 0x0
	.amdhsa_kernel _ZN12_GLOBAL__N_139chunk_gated_delta_rule_fwd_h_hip_kernelILi64ELb1ELb0ELb1ELb0ELb1ELb0ELb0ELb0EEEvPK12hip_bfloat16S3_S3_PKfS5_PKvPS1_S8_PvPKiSB_iiiiilll
		.amdhsa_group_segment_fixed_size 65536
		.amdhsa_private_segment_fixed_size 0
		.amdhsa_kernarg_size 136
		.amdhsa_user_sgpr_count 2
		.amdhsa_user_sgpr_dispatch_ptr 0
		.amdhsa_user_sgpr_queue_ptr 0
		.amdhsa_user_sgpr_kernarg_segment_ptr 1
		.amdhsa_user_sgpr_dispatch_id 0
		.amdhsa_user_sgpr_kernarg_preload_length 0
		.amdhsa_user_sgpr_kernarg_preload_offset 0
		.amdhsa_user_sgpr_private_segment_size 0
		.amdhsa_uses_dynamic_stack 0
		.amdhsa_enable_private_segment 0
		.amdhsa_system_sgpr_workgroup_id_x 1
		.amdhsa_system_sgpr_workgroup_id_y 1
		.amdhsa_system_sgpr_workgroup_id_z 0
		.amdhsa_system_sgpr_workgroup_info 0
		.amdhsa_system_vgpr_workitem_id 0
		.amdhsa_next_free_vgpr 216
		.amdhsa_next_free_sgpr 68
		.amdhsa_accum_offset 180
		.amdhsa_reserve_vcc 1
		.amdhsa_float_round_mode_32 0
		.amdhsa_float_round_mode_16_64 0
		.amdhsa_float_denorm_mode_32 3
		.amdhsa_float_denorm_mode_16_64 3
		.amdhsa_dx10_clamp 1
		.amdhsa_ieee_mode 1
		.amdhsa_fp16_overflow 0
		.amdhsa_tg_split 0
		.amdhsa_exception_fp_ieee_invalid_op 0
		.amdhsa_exception_fp_denorm_src 0
		.amdhsa_exception_fp_ieee_div_zero 0
		.amdhsa_exception_fp_ieee_overflow 0
		.amdhsa_exception_fp_ieee_underflow 0
		.amdhsa_exception_fp_ieee_inexact 0
		.amdhsa_exception_int_div_zero 0
	.end_amdhsa_kernel
	.section	.text._ZN12_GLOBAL__N_139chunk_gated_delta_rule_fwd_h_hip_kernelILi64ELb1ELb0ELb1ELb0ELb1ELb0ELb0ELb0EEEvPK12hip_bfloat16S3_S3_PKfS5_PKvPS1_S8_PvPKiSB_iiiiilll,"axG",@progbits,_ZN12_GLOBAL__N_139chunk_gated_delta_rule_fwd_h_hip_kernelILi64ELb1ELb0ELb1ELb0ELb1ELb0ELb0ELb0EEEvPK12hip_bfloat16S3_S3_PKfS5_PKvPS1_S8_PvPKiSB_iiiiilll,comdat
.Lfunc_end187:
	.size	_ZN12_GLOBAL__N_139chunk_gated_delta_rule_fwd_h_hip_kernelILi64ELb1ELb0ELb1ELb0ELb1ELb0ELb0ELb0EEEvPK12hip_bfloat16S3_S3_PKfS5_PKvPS1_S8_PvPKiSB_iiiiilll, .Lfunc_end187-_ZN12_GLOBAL__N_139chunk_gated_delta_rule_fwd_h_hip_kernelILi64ELb1ELb0ELb1ELb0ELb1ELb0ELb0ELb0EEEvPK12hip_bfloat16S3_S3_PKfS5_PKvPS1_S8_PvPKiSB_iiiiilll
                                        ; -- End function
	.section	.AMDGPU.csdata,"",@progbits
; Kernel info:
; codeLenInByte = 11180
; NumSgprs: 74
; NumVgprs: 180
; NumAgprs: 36
; TotalNumVgprs: 216
; ScratchSize: 0
; MemoryBound: 0
; FloatMode: 240
; IeeeMode: 1
; LDSByteSize: 65536 bytes/workgroup (compile time only)
; SGPRBlocks: 9
; VGPRBlocks: 26
; NumSGPRsForWavesPerEU: 74
; NumVGPRsForWavesPerEU: 216
; AccumOffset: 180
; Occupancy: 1
; WaveLimiterHint : 1
; COMPUTE_PGM_RSRC2:SCRATCH_EN: 0
; COMPUTE_PGM_RSRC2:USER_SGPR: 2
; COMPUTE_PGM_RSRC2:TRAP_HANDLER: 0
; COMPUTE_PGM_RSRC2:TGID_X_EN: 1
; COMPUTE_PGM_RSRC2:TGID_Y_EN: 1
; COMPUTE_PGM_RSRC2:TGID_Z_EN: 0
; COMPUTE_PGM_RSRC2:TIDIG_COMP_CNT: 0
; COMPUTE_PGM_RSRC3_GFX90A:ACCUM_OFFSET: 44
; COMPUTE_PGM_RSRC3_GFX90A:TG_SPLIT: 0
	.section	.text._ZN12_GLOBAL__N_139chunk_gated_delta_rule_fwd_h_hip_kernelILi64ELb1ELb0ELb0ELb0ELb1ELb0ELb0ELb0EEEvPK12hip_bfloat16S3_S3_PKfS5_PKvPS1_S8_PvPKiSB_iiiiilll,"axG",@progbits,_ZN12_GLOBAL__N_139chunk_gated_delta_rule_fwd_h_hip_kernelILi64ELb1ELb0ELb0ELb0ELb1ELb0ELb0ELb0EEEvPK12hip_bfloat16S3_S3_PKfS5_PKvPS1_S8_PvPKiSB_iiiiilll,comdat
	.globl	_ZN12_GLOBAL__N_139chunk_gated_delta_rule_fwd_h_hip_kernelILi64ELb1ELb0ELb0ELb0ELb1ELb0ELb0ELb0EEEvPK12hip_bfloat16S3_S3_PKfS5_PKvPS1_S8_PvPKiSB_iiiiilll ; -- Begin function _ZN12_GLOBAL__N_139chunk_gated_delta_rule_fwd_h_hip_kernelILi64ELb1ELb0ELb0ELb0ELb1ELb0ELb0ELb0EEEvPK12hip_bfloat16S3_S3_PKfS5_PKvPS1_S8_PvPKiSB_iiiiilll
	.p2align	8
	.type	_ZN12_GLOBAL__N_139chunk_gated_delta_rule_fwd_h_hip_kernelILi64ELb1ELb0ELb0ELb0ELb1ELb0ELb0ELb0EEEvPK12hip_bfloat16S3_S3_PKfS5_PKvPS1_S8_PvPKiSB_iiiiilll,@function
_ZN12_GLOBAL__N_139chunk_gated_delta_rule_fwd_h_hip_kernelILi64ELb1ELb0ELb0ELb0ELb1ELb0ELb0ELb0EEEvPK12hip_bfloat16S3_S3_PKfS5_PKvPS1_S8_PvPKiSB_iiiiilll: ; @_ZN12_GLOBAL__N_139chunk_gated_delta_rule_fwd_h_hip_kernelILi64ELb1ELb0ELb0ELb0ELb1ELb0ELb0ELb0EEEvPK12hip_bfloat16S3_S3_PKfS5_PKvPS1_S8_PvPKiSB_iiiiilll
; %bb.0:
	s_load_dwordx4 s[12:15], s[0:1], 0x5c
	s_load_dwordx4 s[16:19], s[0:1], 0x28
	s_abs_i32 s6, s3
	s_ashr_i32 s5, s3, 31
	v_and_b32_e32 v77, 15, v0
	s_waitcnt lgkmcnt(0)
	s_abs_i32 s4, s13
	v_cvt_f32_u32_e32 v1, s4
	s_sub_i32 s8, 0, s4
	s_ashr_i32 s7, s13, 31
	s_xor_b32 s5, s5, s7
	v_rcp_iflag_f32_e32 v1, v1
	v_lshrrev_b32_e32 v75, 6, v0
	v_bfe_u32 v76, v0, 4, 2
	v_mov_b32_e32 v11, 0
	v_mul_f32_e32 v1, 0x4f7ffffe, v1
	v_cvt_u32_f32_e32 v1, v1
	v_and_b32_e32 v74, 63, v0
	v_lshrrev_b32_e32 v79, 3, v74
	v_lshlrev_b32_e32 v78, 3, v0
	v_readfirstlane_b32 s9, v1
	s_mul_i32 s8, s8, s9
	s_mul_hi_u32 s8, s9, s8
	s_add_i32 s9, s9, s8
	s_mul_hi_u32 s8, s6, s9
	s_mul_i32 s9, s8, s4
	s_sub_i32 s6, s6, s9
	s_add_i32 s10, s8, 1
	s_sub_i32 s9, s6, s4
	s_cmp_ge_u32 s6, s4
	s_cselect_b32 s8, s10, s8
	s_cselect_b32 s6, s9, s6
	s_add_i32 s9, s8, 1
	s_cmp_ge_u32 s6, s4
	s_cselect_b32 s6, s9, s8
	s_xor_b32 s6, s6, s5
	s_sub_i32 s49, s6, s5
	s_mul_i32 s6, s49, s13
	s_sub_i32 s46, s3, s6
	s_abs_i32 s3, s14
	v_cvt_f32_u32_e32 v1, s3
	s_add_i32 s8, s12, 63
	s_ashr_i32 s9, s8, 31
	s_lshr_b32 s5, s9, 26
	v_rcp_iflag_f32_e32 v1, v1
	s_ashr_i32 s48, s12, 31
	s_add_i32 s8, s8, s5
	s_lshr_b32 s5, s48, 26
	v_mul_f32_e32 v1, 0x4f7ffffe, v1
	v_cvt_u32_f32_e32 v1, v1
	s_add_i32 s5, s12, s5
	s_ashr_i32 s51, s14, 31
	s_ashr_i32 s24, s8, 6
	s_ashr_i32 s50, s5, 6
	s_xor_b32 s5, s7, s51
	s_sub_i32 s7, 0, s3
	v_readfirstlane_b32 s8, v1
	s_mul_i32 s7, s7, s8
	s_mul_hi_u32 s7, s8, s7
	s_add_i32 s8, s8, s7
	s_mul_hi_u32 s7, s4, s8
	s_mul_i32 s8, s7, s3
	s_sub_i32 s4, s4, s8
	s_lshl_b32 s2, s2, 6
	s_add_i32 s8, s7, 1
	s_sub_i32 s9, s4, s3
	s_cmp_ge_u32 s4, s3
	s_cselect_b32 s7, s8, s7
	s_cselect_b32 s4, s9, s4
	s_add_i32 s8, s7, 1
	s_cmp_ge_u32 s4, s3
	s_cselect_b32 s3, s8, s7
	s_xor_b32 s3, s3, s5
	s_sub_i32 s3, s3, s5
	s_abs_i32 s4, s3
	v_cvt_f32_u32_e32 v1, s4
	s_sub_i32 s7, 0, s4
	s_abs_i32 s5, s46
	s_xor_b32 s3, s46, s3
	v_rcp_iflag_f32_e32 v1, v1
	s_ashr_i32 s3, s3, 31
	v_or_b32_e32 v66, s2, v77
	v_lshlrev_b32_e32 v2, 7, v66
	v_mul_f32_e32 v1, 0x4f7ffffe, v1
	v_cvt_u32_f32_e32 v1, v1
	v_ashrrev_i32_e32 v3, 31, v2
	s_mul_i32 s53, s49, s24
	v_readfirstlane_b32 s8, v1
	s_mul_i32 s7, s7, s8
	s_mul_hi_u32 s7, s8, s7
	s_add_i32 s8, s8, s7
	s_mul_hi_u32 s7, s5, s8
	s_mul_i32 s8, s7, s4
	s_sub_i32 s5, s5, s8
	s_add_i32 s8, s7, 1
	s_sub_i32 s9, s5, s4
	s_cmp_ge_u32 s5, s4
	s_cselect_b32 s7, s8, s7
	s_cselect_b32 s5, s9, s5
	s_add_i32 s8, s7, 1
	s_cmp_ge_u32 s5, s4
	s_cselect_b32 s4, s8, s7
	s_xor_b32 s4, s4, s3
	s_sub_i32 s52, s4, s3
	s_ashr_i32 s3, s49, 31
	s_ashr_i32 s47, s46, 31
	s_mul_hi_i32 s4, s49, s13
	s_add_u32 s36, s6, s46
	s_addc_u32 s37, s4, s47
	s_lshl_b64 s[4:5], s[36:37], 16
	v_lshlrev_b32_e32 v1, 4, v75
	s_add_u32 s4, s16, s4
	v_lshl_or_b32 v80, v76, 2, v1
	s_addc_u32 s5, s17, s5
	v_lshl_add_u64 v[4:5], v[2:3], 2, s[4:5]
	v_lshlrev_b32_e32 v10, 2, v80
	v_lshl_add_u64 v[4:5], v[4:5], 0, v[10:11]
	global_load_dwordx4 v[22:25], v[4:5], off
	global_load_dwordx4 v[30:33], v[4:5], off offset:256
	v_or_b32_e32 v4, 0x800, v2
	v_ashrrev_i32_e32 v5, 31, v4
	v_lshl_add_u64 v[4:5], v[4:5], 2, s[4:5]
	v_lshl_add_u64 v[4:5], v[4:5], 0, v[10:11]
	global_load_dwordx4 v[14:17], v[4:5], off
	global_load_dwordx4 v[26:29], v[4:5], off offset:256
	v_or_b32_e32 v4, 0x1000, v2
	v_or_b32_e32 v2, 0x1800, v2
	v_ashrrev_i32_e32 v5, 31, v4
	v_ashrrev_i32_e32 v3, 31, v2
	v_lshl_add_u64 v[4:5], v[4:5], 2, s[4:5]
	v_lshl_add_u64 v[2:3], v[2:3], 2, s[4:5]
	;; [unrolled: 1-line block ×4, first 2 shown]
	global_load_dwordx4 v[6:9], v[4:5], off
	global_load_dwordx4 v[18:21], v[4:5], off offset:256
	s_nop 0
	global_load_dwordx4 v[2:5], v[34:35], off
	global_load_dwordx4 v[10:13], v[34:35], off offset:256
	s_load_dwordx8 s[4:11], s[0:1], 0x0
	s_load_dwordx2 s[28:29], s[0:1], 0x80
	s_load_dwordx4 s[20:23], s[0:1], 0x70
	v_or_b32_e32 v81, 64, v80
	s_cmp_lt_i32 s12, 64
	s_mul_i32 s54, s37, s12
	s_mul_hi_u32 s55, s36, s12
	s_mul_i32 s16, s36, s12
	s_waitcnt lgkmcnt(0)
	s_mul_i32 s33, s49, s21
	s_mul_hi_u32 s42, s49, s20
	s_mul_i32 s37, s3, s20
	s_mul_i32 s34, s49, s20
	;; [unrolled: 1-line block ×3, first 2 shown]
	s_mul_hi_u32 s44, s46, s22
	s_mul_i32 s45, s47, s22
	s_mul_i32 s30, s46, s22
	s_cbranch_scc1 .LBB188_18
; %bb.1:
	s_add_i32 s17, s55, s54
	s_lshl_b64 s[0:1], s[16:17], 8
	v_and_b32_e32 v83, 56, v78
	s_add_u32 s20, s6, s0
	v_lshl_or_b32 v82, v75, 3, v79
	v_lshlrev_b32_e32 v34, 1, v83
	s_addc_u32 s0, s7, s1
	v_lshl_or_b32 v84, v82, 8, v34
	s_and_b32 s21, s0, 0xffff
	s_mov_b32 s23, 0x20000
	s_movk_i32 s22, 0x4000
	s_movk_i32 s0, 0x80
	v_or_b32_e32 v85, 0x2000, v84
	buffer_load_dwordx4 v[36:39], v84, s[20:23], 0 offen
	buffer_load_dwordx4 v[40:43], v84, s[20:23], s0 offen
	;; [unrolled: 1-line block ×4, first 2 shown]
	v_lshlrev_b32_e32 v35, 3, v82
	v_and_or_b32 v53, v0, 7, v35
	v_and_b32_e32 v35, 0x78, v35
	v_lshlrev_b32_e32 v53, 4, v53
	v_xor_b32_e32 v86, v53, v35
	v_mul_lo_u32 v52, v82, s15
	v_or_b32_e32 v87, 0x1000, v86
	v_xor_b32_e32 v35, 8, v86
	s_cmpk_eq_i32 s15, 0x80
	s_mov_b32 s56, s14
	v_xor_b32_e32 v53, 8, v87
	s_cselect_b64 s[0:1], -1, 0
	s_cmpk_lg_i32 s15, 0x80
	s_waitcnt vmcnt(3)
	ds_write_b64 v86, v[36:37] offset:49152
	ds_write_b64 v35, v[38:39] offset:49152
	s_waitcnt vmcnt(2)
	ds_write_b64 v86, v[40:41] offset:57344
	ds_write_b64 v35, v[42:43] offset:57344
	;; [unrolled: 3-line block ×4, first 2 shown]
	v_lshl_add_u32 v35, v52, 1, v83
	s_cbranch_scc0 .LBB188_3
; %bb.2:
	v_lshlrev_b32_e32 v37, 1, v35
	v_add_lshl_u32 v36, v35, s15, 1
	s_lshl_b32 s22, s15, 7
	v_lshl_or_b32 v34, v82, 9, v34
	s_cbranch_execz .LBB188_4
	s_branch .LBB188_5
.LBB188_3:
                                        ; implicit-def: $vgpr36
                                        ; implicit-def: $vgpr37
                                        ; implicit-def: $sgpr22
	v_lshl_or_b32 v34, v82, 9, v34
.LBB188_4:
	v_or_b32_e32 v36, 0x100, v34
	s_movk_i32 s22, 0x4000
	v_mov_b32_e32 v37, v34
.LBB188_5:
	s_mul_hi_u32 s20, s14, s12
	s_mul_i32 s21, s51, s12
	s_add_i32 s20, s20, s21
	s_mul_i32 s21, s14, s12
	s_mul_i32 s23, s21, s3
	s_mul_hi_u32 s24, s21, s49
	s_add_i32 s23, s24, s23
	s_mul_i32 s20, s20, s49
	s_add_i32 s23, s23, s20
	s_mul_i32 s21, s21, s49
	s_ashr_i32 s57, s52, 31
	s_add_u32 s20, s21, s52
	s_addc_u32 s21, s23, s57
	s_lshl_b64 s[20:21], s[20:21], 8
	s_add_u32 s20, s4, s20
	s_addc_u32 s21, s5, s21
	s_and_b32 s21, s21, 0xffff
	s_mov_b32 s23, 0x20000
	s_movk_i32 s58, 0x80
	buffer_load_dwordx4 v[38:41], v37, s[20:23], 0 offen
	buffer_load_dwordx4 v[42:45], v37, s[20:23], s58 offen
	;; [unrolled: 1-line block ×4, first 2 shown]
	v_and_b32_e32 v37, 6, v0
	v_lshlrev_b32_e32 v36, 7, v80
	v_xor_b32_e32 v58, v82, v37
	v_and_b32_e32 v54, 1, v0
	v_lshl_or_b32 v61, v77, 3, v36
	v_lshlrev_b32_e32 v58, 2, v58
	v_or_b32_e32 v88, 0x4000, v61
	v_or_b32_e32 v89, 0x6000, v61
	v_xor_b32_e32 v61, 0x440, v58
	v_cmp_eq_u32_e32 vcc, 0, v54
	v_lshlrev_b32_e32 v55, 2, v77
	s_mov_b32 s60, 0x1000504
	v_cndmask_b32_e32 v54, v61, v58, vcc
	v_xor_b32_e32 v59, v80, v55
	v_xor_b32_e32 v60, v81, v55
	v_lshl_or_b32 v37, v37, 10, v54
	s_mov_b32 s61, 0x3020706
	v_lshlrev_b32_e32 v56, 8, v77
	v_or_b32_e32 v57, 16, v77
	v_lshlrev_b32_e32 v59, 1, v59
	v_lshlrev_b32_e32 v60, 1, v60
	v_xor_b32_e32 v54, 8, v37
	v_xor_b32_e32 v58, 24, v37
	;; [unrolled: 1-line block ×4, first 2 shown]
	s_mul_i32 s3, s3, s12
	s_mul_hi_u32 s20, s49, s12
	v_or_b32_e32 v91, v56, v59
	v_or_b32_e32 v92, v56, v60
	v_xor_b32_e32 v56, 16, v37
	v_xor_b32_e32 v61, 32, v37
	;; [unrolled: 1-line block ×3, first 2 shown]
	v_add_u32_e32 v54, 0x80, v54
	v_add_u32_e32 v58, 0x80, v58
	v_add_u32_e32 v63, 0x80, v63
	v_add_u32_e32 v65, 0x80, v65
	s_add_i32 s63, s20, s3
	s_add_i32 s3, s42, s33
	;; [unrolled: 1-line block ×5, first 2 shown]
	s_lshl_b64 s[20:21], s[34:35], 2
	s_add_u32 s3, s10, s20
	s_addc_u32 s24, s11, s21
	s_lshl_b64 s[20:21], s[30:31], 2
	s_add_u32 s38, s3, s20
	s_movk_i32 s3, 0xf8
	s_addc_u32 s39, s24, s21
	s_lshl_b32 s26, s15, 7
	s_movk_i32 s24, 0x100
	v_mov_b32_e32 v69, 0
	v_cmp_gt_u32_e32 vcc, s24, v0
	v_lshl_or_b32 v62, v57, 3, v36
	s_mov_b32 s59, 0
	s_mul_i32 s62, s49, s12
	v_or_b32_e32 v90, 0x4000, v62
	s_movk_i32 s22, 0x4000
	v_or_b32_e32 v93, 0x6000, v62
	s_movk_i32 s31, 0x2000
	s_movk_i32 s35, 0x3000
	s_mov_b32 s65, 0
	s_waitcnt vmcnt(1)
	v_perm_b32 v67, v38, v46, s60
	s_waitcnt vmcnt(0)
	v_perm_b32 v68, v42, v50, s60
	v_perm_b32 v38, v38, v46, s61
	;; [unrolled: 1-line block ×15, first 2 shown]
	ds_write2st64_b32 v37, v67, v68 offset0:128 offset1:160
	ds_write2st64_b32 v54, v38, v42 offset0:128 offset1:160
	;; [unrolled: 1-line block ×8, first 2 shown]
	v_lshlrev_b32_e32 v37, 8, v57
	v_or_b32_e32 v94, v37, v59
	v_or_b32_e32 v95, v37, v60
	;; [unrolled: 1-line block ×3, first 2 shown]
	v_lshl_or_b32 v38, v37, 3, v36
	v_lshlrev_b32_e32 v37, 8, v37
	v_or_b32_e32 v98, v37, v59
	v_or_b32_e32 v99, v37, v60
	;; [unrolled: 1-line block ×5, first 2 shown]
	v_lshl_or_b32 v38, v37, 3, v36
	v_lshlrev_b32_e32 v37, 8, v37
	v_or_b32_e32 v102, v37, v59
	v_or_b32_e32 v103, v37, v60
	;; [unrolled: 1-line block ×3, first 2 shown]
	v_lshlrev_b32_e32 v37, 3, v37
	v_lshrrev_b32_e32 v39, 5, v74
	v_and_or_b32 v39, v37, s3, v39
	v_lshlrev_b32_e32 v39, 4, v39
	v_lshlrev_b32_e32 v40, 11, v75
	v_and_b32_e32 v37, 0x78, v37
	v_or_b32_e32 v45, 32, v39
	v_or_b32_e32 v100, 0x4000, v38
	;; [unrolled: 1-line block ×3, first 2 shown]
	v_and_b32_e32 v38, 0x1000, v40
	v_xor_b32_e32 v41, v39, v37
	v_lshrrev_b32_e32 v42, 1, v0
	v_xor_b32_e32 v45, v45, v37
	v_or_b32_e32 v41, v41, v38
	v_and_b32_e32 v43, 8, v42
	v_or_b32_e32 v45, v45, v38
	v_xor_b32_e32 v104, v41, v43
	v_lshlrev_b32_e32 v41, 8, v76
	v_xor_b32_e32 v106, v45, v43
	v_or_b32_e32 v45, 64, v39
	v_or_b32_e32 v39, 0x60, v39
	s_ashr_i32 s3, s2, 31
	v_or_b32_e32 v44, v41, v55
	v_xor_b32_e32 v45, v45, v37
	v_xor_b32_e32 v37, v39, v37
	s_lshl_b64 s[20:21], s[2:3], 8
	v_lshlrev_b32_e32 v44, 1, v44
	v_or_b32_e32 v45, v45, v38
	v_or_b32_e32 v37, v37, v38
	s_add_u32 s20, s18, s20
	v_lshlrev_b32_e32 v38, 1, v77
	v_or_b32_e32 v105, 0x4000, v44
	v_or_b32_e32 v107, 0x4080, v44
	;; [unrolled: 1-line block ×8, first 2 shown]
	v_lshrrev_b32_e32 v44, 4, v0
	s_addc_u32 s21, s19, s21
	v_or_b32_e32 v39, 1, v38
	v_lshlrev_b32_e32 v68, 4, v77
	v_mov_b32_e32 v48, 0xa000
	v_mov_b32_e32 v49, 0x8000
	v_xor_b32_e32 v110, v45, v43
	v_xor_b32_e32 v45, v44, v38
	;; [unrolled: 1-line block ×3, first 2 shown]
	v_lshl_add_u64 v[38:39], s[20:21], 0, v[68:69]
	v_lshlrev_b32_e32 v68, 8, v44
	v_cndmask_b32_e32 v48, v48, v49, vcc
	v_lshlrev_b32_e32 v49, 3, v75
	v_and_b32_e32 v42, 24, v42
	v_lshl_or_b32 v116, v45, 3, v68
	v_and_b32_e32 v45, 8, v0
	v_xor_b32_e32 v50, v49, v42
	v_or_b32_e32 v51, 0x440, v50
	v_cmp_eq_u32_e32 vcc, 0, v45
	v_and_b32_e32 v44, 7, v0
	v_lshl_or_b32 v117, v46, 3, v68
	v_cndmask_b32_e32 v45, v51, v50, vcc
	v_lshlrev_b32_e32 v46, 3, v44
	v_lshlrev_b32_e32 v44, 7, v44
	v_or_b32_e32 v45, v45, v40
	v_lshlrev_b32_e32 v47, 2, v0
	v_xad_u32 v118, v45, v46, v44
	v_or_b32_e32 v45, 32, v42
	v_and_or_b32 v41, v47, 60, v41
	v_xor_b32_e32 v45, v49, v45
	v_lshlrev_b32_e32 v41, 1, v41
	v_or_b32_e32 v47, 0x440, v45
	v_or_b32_e32 v119, 0x6000, v41
	v_cndmask_b32_e32 v45, v47, v45, vcc
	v_or_b32_e32 v121, 0x6080, v41
	v_or_b32_e32 v122, 0x6100, v41
	v_or_b32_e32 v123, 0x6180, v41
	v_or_b32_e32 v41, 64, v42
	v_or_b32_e32 v45, v45, v40
	v_xor_b32_e32 v41, v49, v41
	v_xad_u32 v120, v45, v46, v44
	v_xor_b32_e32 v45, 0x440, v41
	v_cndmask_b32_e32 v41, v45, v41, vcc
	v_or_b32_e32 v41, v41, v40
	v_xad_u32 v124, v41, v46, v44
	v_or_b32_e32 v41, 0x60, v42
	v_xor_b32_e32 v41, v49, v41
	v_xor_b32_e32 v42, 0x440, v41
	v_cndmask_b32_e32 v41, v42, v41, vcc
	v_or_b32_e32 v40, v41, v40
	v_xor_b32_e32 v111, v37, v43
	v_ashrrev_i32_e32 v67, 31, v66
	v_lshlrev_b32_e32 v37, 1, v35
	v_add_lshl_u32 v35, v35, s15, 1
	v_or_b32_e32 v43, 0x100, v34
	v_xad_u32 v125, v40, v46, v44
	v_cndmask_b32_e64 v126, v37, v34, s[0:1]
	v_cndmask_b32_e64 v127, v35, v43, s[0:1]
	v_lshl_add_u64 v[70:71], v[66:67], 1, s[8:9]
	v_lshl_add_u64 v[72:73], v[38:39], 0, v[68:69]
	s_mov_b32 s3, 0x7060302
	v_lshlrev_b32_e32 v68, 1, v36
	v_add_u32_e32 v67, v48, v118
	v_add_u32_e32 v128, v48, v120
	;; [unrolled: 1-line block ×4, first 2 shown]
	s_waitcnt lgkmcnt(0)
	s_barrier
.LBB188_6:                              ; =>This Inner Loop Header: Depth=1
	s_add_i32 s64, s65, 1
	s_cmp_lt_i32 s64, s50
	s_mov_b64 s[24:25], 0
	s_cselect_b64 s[40:41], -1, 0
	s_cmp_ge_i32 s64, s50
	s_mov_b64 s[20:21], 0
	s_cbranch_scc1 .LBB188_8
; %bb.7:                                ;   in Loop: Header=BB188_6 Depth=1
	s_add_i32 s0, s59, 64
	s_add_u32 s0, s16, s0
	s_addc_u32 s1, s17, 0
	s_lshl_b64 s[0:1], s[0:1], 8
	s_add_u32 s20, s6, s0
	s_addc_u32 s21, s7, s1
.LBB188_8:                              ;   in Loop: Header=BB188_6 Depth=1
	v_cndmask_b32_e64 v34, 0, 1, s[40:41]
	v_cmp_ne_u32_e64 s[0:1], 1, v34
	s_andn2_b64 vcc, exec, s[40:41]
	s_cbranch_vccnz .LBB188_10
; %bb.9:                                ;   in Loop: Header=BB188_6 Depth=1
	s_add_i32 s24, s59, 64
	s_add_u32 s24, s62, s24
	s_addc_u32 s25, s63, 0
	s_mul_i32 s27, s24, s51
	s_mul_hi_u32 s40, s24, s56
	s_add_i32 s27, s40, s27
	s_mul_i32 s25, s25, s56
	s_add_i32 s27, s27, s25
	s_mul_i32 s24, s24, s56
	s_add_u32 s24, s24, s52
	s_addc_u32 s25, s27, s57
	s_lshl_b64 s[24:25], s[24:25], 8
	s_add_u32 s24, s4, s24
	s_addc_u32 s25, s5, s25
.LBB188_10:                             ;   in Loop: Header=BB188_6 Depth=1
	v_perm_b32 v35, v25, v24, s3
	v_perm_b32 v34, v23, v22, s3
	v_perm_b32 v37, v33, v32, s3
	v_perm_b32 v36, v31, v30, s3
	ds_write_b64 v88, v[34:35]
	ds_write_b64 v89, v[36:37]
	ds_write_b64 v91, v[34:35]
	ds_write_b64 v92, v[36:37]
	v_perm_b32 v35, v17, v16, s3
	v_perm_b32 v34, v15, v14, s3
	v_perm_b32 v37, v29, v28, s3
	v_perm_b32 v36, v27, v26, s3
	ds_write_b64 v90, v[34:35]
	ds_write_b64 v93, v[36:37]
	ds_write_b64 v94, v[34:35]
	ds_write_b64 v95, v[36:37]
	;; [unrolled: 8-line block ×4, first 2 shown]
	s_waitcnt lgkmcnt(0)
	s_barrier
	ds_read_b64 v[38:39], v104 offset:49152
	ds_read2_b64 v[34:37], v105 offset1:16
	ds_read_b64 v[50:51], v107 offset:6144
	ds_read_b64 v[52:53], v105 offset:6144
	s_waitcnt lgkmcnt(2)
	v_mfma_f32_16x16x16_bf16 a[0:3], v[38:39], v[34:35], 0
	ds_read_b64 v[54:55], v106 offset:49152
	ds_read2st64_b64 v[42:45], v108 offset0:4 offset1:8
	ds_read2st64_b64 v[46:49], v109 offset0:4 offset1:8
	v_mfma_f32_16x16x16_bf16 a[4:7], v[38:39], v[36:37], 0
	ds_read2_b64 v[34:37], v105 offset0:32 offset1:48
	s_add_i32 s27, s59, 63
	s_mul_i32 s40, s27, s29
	s_waitcnt lgkmcnt(0)
	v_mfma_f32_16x16x16_bf16 a[8:11], v[38:39], v[34:35], 0
	s_mul_hi_u32 s41, s27, s28
	s_add_i32 s41, s41, s40
	s_mul_i32 s40, s27, s28
	v_mfma_f32_16x16x16_bf16 a[12:15], v[38:39], v[36:37], 0
	ds_read2st64_b64 v[34:37], v105 offset0:4 offset1:8
	ds_read2st64_b64 v[38:41], v107 offset0:4 offset1:8
	s_lshl_b64 s[40:41], s[40:41], 2
	s_waitcnt lgkmcnt(1)
	v_mfma_f32_16x16x16_bf16 a[0:3], v[54:55], v[34:35], a[0:3]
	s_add_u32 s40, s38, s40
	s_addc_u32 s41, s39, s41
	s_and_b64 vcc, exec, s[0:1]
	s_waitcnt lgkmcnt(0)
	v_mfma_f32_16x16x16_bf16 a[4:7], v[54:55], v[38:39], a[4:7]
	v_mov_b32_e32 v133, 0
	v_mov_b32_e32 v132, 0
	;; [unrolled: 1-line block ×3, first 2 shown]
	v_mfma_f32_16x16x16_bf16 a[8:11], v[54:55], v[42:43], a[8:11]
	ds_read_b64 v[34:35], v110 offset:49152
	ds_read_b64 v[38:39], v111 offset:49152
	;; [unrolled: 1-line block ×3, first 2 shown]
	v_mfma_f32_16x16x16_bf16 a[12:15], v[54:55], v[46:47], a[12:15]
	v_mov_b32_e32 v46, 0
	v_mov_b32_e32 v47, 0
	s_waitcnt lgkmcnt(2)
	v_mfma_f32_16x16x16_bf16 a[0:3], v[34:35], v[36:37], a[0:3]
	v_mov_b32_e32 v36, 0
	v_mov_b32_e32 v37, 0
	v_mfma_f32_16x16x16_bf16 a[16:19], v[34:35], v[40:41], a[4:7]
	v_mov_b32_e32 v40, 0
	v_mov_b32_e32 v41, 0
	v_mfma_f32_16x16x16_bf16 a[20:23], v[34:35], v[44:45], a[8:11]
	v_mov_b32_e32 v44, 0
	v_mov_b32_e32 v45, 0
	v_mfma_f32_16x16x16_bf16 a[24:27], v[34:35], v[48:49], a[12:15]
	ds_read_b64 v[34:35], v108 offset:6144
	v_mov_b32_e32 v48, 0
	v_mov_b32_e32 v49, 0
	s_waitcnt lgkmcnt(2)
	v_mfma_f32_16x16x16_bf16 a[4:7], v[38:39], v[52:53], a[0:3]
	v_mfma_f32_16x16x16_bf16 a[8:11], v[38:39], v[50:51], a[16:19]
	s_waitcnt lgkmcnt(0)
	v_mfma_f32_16x16x16_bf16 a[12:15], v[38:39], v[34:35], a[20:23]
	v_mov_b32_e32 v34, 0
	v_mov_b32_e32 v35, 0
	v_mfma_f32_16x16x16_bf16 a[0:3], v[38:39], v[42:43], a[24:27]
	v_mov_b32_e32 v38, 0
	v_mov_b32_e32 v39, 0
	;; [unrolled: 1-line block ×4, first 2 shown]
	s_cbranch_vccnz .LBB188_12
; %bb.11:                               ;   in Loop: Header=BB188_6 Depth=1
	s_and_b32 s21, s21, 0xffff
	buffer_load_dwordx4 v[46:49], v84, s[20:23], 0 offen
	buffer_load_dwordx4 v[42:45], v84, s[20:23], s58 offen
	;; [unrolled: 1-line block ×4, first 2 shown]
	v_mov_b32_e32 v132, v86
	v_mov_b32_e32 v131, v87
.LBB188_12:                             ;   in Loop: Header=BB188_6 Depth=1
	ds_read_b64 v[134:135], v104 offset:57344
	ds_read2_b64 v[50:53], v112 offset1:16
	ds_read_b64 v[136:137], v106 offset:57344
	ds_read_b64 v[138:139], v110 offset:57344
	;; [unrolled: 1-line block ×3, first 2 shown]
	v_add_u32_e32 v142, s59, v80
	s_waitcnt lgkmcnt(3)
	v_mfma_f32_16x16x16_bf16 a[4:7], v[134:135], v[50:51], a[4:7]
	v_mfma_f32_16x16x16_bf16 a[8:11], v[134:135], v[52:53], a[8:11]
	ds_read2_b64 v[50:53], v112 offset0:32 offset1:48
	ds_read2st64_b64 v[54:57], v112 offset0:4 offset1:8
	ds_read2st64_b64 v[58:61], v113 offset0:4 offset1:8
	;; [unrolled: 1-line block ×3, first 2 shown]
	s_waitcnt lgkmcnt(3)
	v_mfma_f32_16x16x16_bf16 a[12:15], v[134:135], v[50:51], a[12:15]
	v_ashrrev_i32_e32 v50, 31, v142
	v_mfma_f32_16x16x16_bf16 a[0:3], v[134:135], v[52:53], a[0:3]
	v_mul_lo_u32 v52, v50, s28
	v_mul_lo_u32 v53, v142, s29
	v_mad_u64_u32 v[50:51], s[20:21], v142, s28, 0
	v_add3_u32 v51, v51, v53, v52
	v_add_u32_e32 v52, 1, v142
	v_ashrrev_i32_e32 v53, 31, v52
	s_waitcnt lgkmcnt(2)
	v_mfma_f32_16x16x16_bf16 a[4:7], v[136:137], v[54:55], a[4:7]
	v_mul_lo_u32 v54, v53, s28
	v_mul_lo_u32 v55, v52, s29
	v_mad_u64_u32 v[52:53], s[20:21], v52, s28, 0
	v_add3_u32 v53, v53, v55, v54
	v_add_u32_e32 v54, 2, v142
	v_ashrrev_i32_e32 v55, 31, v54
	s_waitcnt lgkmcnt(1)
	v_mfma_f32_16x16x16_bf16 a[8:11], v[136:137], v[58:59], a[8:11]
	v_mul_lo_u32 v58, v55, s28
	v_mul_lo_u32 v59, v54, s29
	v_mad_u64_u32 v[54:55], s[20:21], v54, s28, 0
	v_add3_u32 v55, v55, v59, v58
	v_add_u32_e32 v58, 3, v142
	v_ashrrev_i32_e32 v59, 31, v58
	v_mul_lo_u32 v134, v59, s28
	v_mul_lo_u32 v135, v58, s29
	v_mad_u64_u32 v[58:59], s[20:21], v58, s28, 0
	s_add_u32 s20, s16, s59
	s_addc_u32 s21, s17, 0
	v_lshl_add_u64 v[50:51], v[50:51], 2, s[38:39]
	v_add3_u32 v59, v59, v135, v134
	s_lshl_b64 s[20:21], s[20:21], 8
	v_lshl_add_u64 v[52:53], v[52:53], 2, s[38:39]
	v_lshl_add_u64 v[54:55], v[54:55], 2, s[38:39]
	;; [unrolled: 1-line block ×3, first 2 shown]
	global_load_dword v134, v[50:51], off
	global_load_dword v135, v[52:53], off
	;; [unrolled: 1-line block ×4, first 2 shown]
	v_lshl_add_u64 v[50:51], v[70:71], 0, s[20:21]
	v_lshl_add_u64 v[54:55], v[50:51], 0, v[68:69]
	global_load_ushort v144, v[54:55], off offset:256
	global_load_ushort v145, v[54:55], off
	ds_read2st64_b64 v[50:53], v115 offset0:4 offset1:8
	global_load_ushort v146, v[54:55], off offset:768
	global_load_ushort v147, v[54:55], off offset:512
	s_waitcnt lgkmcnt(1)
	v_mfma_f32_16x16x16_bf16 a[12:15], v[136:137], v[62:63], a[12:15]
	s_and_b64 vcc, exec, s[0:1]
	s_waitcnt vmcnt(3)
	v_lshlrev_b32_e32 v63, 16, v144
	s_waitcnt lgkmcnt(0)
	v_mfma_f32_16x16x16_bf16 a[0:3], v[136:137], v[50:51], a[0:3]
	global_load_ushort v136, v[54:55], off offset:288
	global_load_ushort v137, v[54:55], off offset:32
	;; [unrolled: 1-line block ×8, first 2 shown]
	v_mfma_f32_16x16x16_bf16 a[4:7], v[138:139], v[56:57], a[4:7]
	ds_read_b64 v[50:51], v112 offset:6144
	s_waitcnt vmcnt(10)
	v_lshlrev_b32_e32 v62, 16, v145
	v_mfma_f32_16x16x16_bf16 a[8:11], v[138:139], v[60:61], a[8:11]
	v_mfma_f32_16x16x16_bf16 a[12:15], v[138:139], v[64:65], a[12:15]
	;; [unrolled: 1-line block ×3, first 2 shown]
	global_load_ushort v138, v[54:55], off offset:352
	global_load_ushort v139, v[54:55], off offset:96
	ds_read_b64 v[52:53], v113 offset:6144
	ds_read_b64 v[56:57], v114 offset:6144
	;; [unrolled: 1-line block ×3, first 2 shown]
	global_load_ushort v154, v[54:55], off offset:864
	global_load_ushort v155, v[54:55], off offset:608
	s_load_dword s20, s[40:41], 0x0
	s_waitcnt lgkmcnt(0)
	v_mfma_f32_16x16x16_bf16 a[4:7], v[140:141], v[50:51], a[4:7]
	v_sub_f32_e32 v60, s20, v142
	v_mfma_f32_16x16x16_bf16 a[0:3], v[140:141], v[58:59], a[0:3]
	v_sub_f32_e32 v58, s20, v134
	v_sub_f32_e32 v59, s20, v135
	;; [unrolled: 1-line block ×3, first 2 shown]
	v_mfma_f32_16x16x16_bf16 a[8:11], v[140:141], v[52:53], a[8:11]
	v_exp_f32_e32 v58, v58
	v_exp_f32_e32 v59, v59
	;; [unrolled: 1-line block ×4, first 2 shown]
	v_accvgpr_read_b32 v65, a5
	v_accvgpr_read_b32 v64, a4
	;; [unrolled: 1-line block ×4, first 2 shown]
	v_pk_add_f32 v[62:63], v[62:63], v[64:65] neg_lo:[0,1] neg_hi:[0,1]
	s_waitcnt vmcnt(13)
	v_lshlrev_b32_e32 v65, 16, v146
	s_waitcnt vmcnt(12)
	v_lshlrev_b32_e32 v64, 16, v147
	v_pk_add_f32 v[50:51], v[64:65], v[50:51] neg_lo:[0,1] neg_hi:[0,1]
	v_pk_mul_f32 v[62:63], v[58:59], v[62:63]
	v_pk_mul_f32 v[50:51], v[60:61], v[50:51]
	v_accvgpr_read_b32 v65, a9
	v_perm_b32 v51, v51, v50, s3
	v_perm_b32 v50, v63, v62, s3
	v_accvgpr_read_b32 v64, a8
	v_accvgpr_read_b32 v53, a11
	v_mfma_f32_16x16x16_bf16 a[12:15], v[140:141], v[56:57], a[12:15]
	v_accvgpr_read_b32 v52, a10
	v_accvgpr_read_b32 v57, a3
	;; [unrolled: 1-line block ×3, first 2 shown]
	v_mov_b32_e32 v134, 0
	s_waitcnt vmcnt(11)
	v_lshlrev_b32_e32 v63, 16, v136
	s_waitcnt vmcnt(10)
	v_lshlrev_b32_e32 v62, 16, v137
	v_pk_add_f32 v[62:63], v[62:63], v[64:65] neg_lo:[0,1] neg_hi:[0,1]
	s_waitcnt vmcnt(9)
	v_lshlrev_b32_e32 v65, 16, v148
	s_waitcnt vmcnt(8)
	v_lshlrev_b32_e32 v64, 16, v149
	v_pk_add_f32 v[52:53], v[64:65], v[52:53] neg_lo:[0,1] neg_hi:[0,1]
	v_pk_mul_f32 v[62:63], v[58:59], v[62:63]
	v_pk_mul_f32 v[52:53], v[60:61], v[52:53]
	v_accvgpr_read_b32 v55, a15
	v_perm_b32 v53, v53, v52, s3
	v_perm_b32 v52, v63, v62, s3
	ds_write2_b64 v89, v[50:51], v[52:53] offset1:16
	v_accvgpr_read_b32 v53, a13
	s_waitcnt vmcnt(7)
	v_lshlrev_b32_e32 v51, 16, v150
	s_waitcnt vmcnt(6)
	v_lshlrev_b32_e32 v50, 16, v151
	v_accvgpr_read_b32 v52, a12
	v_accvgpr_read_b32 v54, a14
	v_pk_add_f32 v[50:51], v[50:51], v[52:53] neg_lo:[0,1] neg_hi:[0,1]
	s_waitcnt vmcnt(5)
	v_lshlrev_b32_e32 v53, 16, v152
	s_waitcnt vmcnt(4)
	v_lshlrev_b32_e32 v52, 16, v153
	v_pk_add_f32 v[52:53], v[52:53], v[54:55] neg_lo:[0,1] neg_hi:[0,1]
	v_pk_mul_f32 v[50:51], v[58:59], v[50:51]
	v_pk_mul_f32 v[52:53], v[60:61], v[52:53]
	v_accvgpr_read_b32 v55, a1
	v_perm_b32 v53, v53, v52, s3
	v_perm_b32 v52, v51, v50, s3
	s_waitcnt vmcnt(3)
	v_lshlrev_b32_e32 v51, 16, v138
	s_waitcnt vmcnt(2)
	v_lshlrev_b32_e32 v50, 16, v139
	v_accvgpr_read_b32 v54, a0
	v_pk_add_f32 v[50:51], v[50:51], v[54:55] neg_lo:[0,1] neg_hi:[0,1]
	s_waitcnt vmcnt(1)
	v_lshlrev_b32_e32 v55, 16, v154
	s_waitcnt vmcnt(0)
	v_lshlrev_b32_e32 v54, 16, v155
	v_pk_add_f32 v[54:55], v[54:55], v[56:57] neg_lo:[0,1] neg_hi:[0,1]
	v_pk_mul_f32 v[50:51], v[58:59], v[50:51]
	v_pk_mul_f32 v[54:55], v[60:61], v[54:55]
	v_mov_b32_e32 v56, 0
	v_perm_b32 v55, v55, v54, s3
	v_perm_b32 v54, v51, v50, s3
	ds_write2_b64 v89, v[52:53], v[54:55] offset0:32 offset1:48
	v_mov_b32_e32 v50, 0
	v_mov_b32_e32 v51, 0
	;; [unrolled: 1-line block ×15, first 2 shown]
	s_cbranch_vccnz .LBB188_14
; %bb.13:                               ;   in Loop: Header=BB188_6 Depth=1
	s_and_b32 s25, s25, 0xffff
	s_mov_b32 s27, s23
	buffer_load_dwordx4 v[62:65], v126, s[24:27], 0 offen
	buffer_load_dwordx4 v[54:57], v126, s[24:27], s58 offen
	;; [unrolled: 1-line block ×4, first 2 shown]
	v_mov_b32_e32 v133, v83
	v_mov_b32_e32 v134, v82
.LBB188_14:                             ;   in Loop: Header=BB188_6 Depth=1
	s_waitcnt lgkmcnt(0)
	s_barrier
	ds_read_b64 v[144:145], v67
	ds_read2_b64 v[136:139], v119 offset1:16
	ds_read_b64 v[160:161], v128
	ds_read_b64 v[162:163], v129
	;; [unrolled: 1-line block ×3, first 2 shown]
	ds_read2_b64 v[140:143], v119 offset0:32 offset1:48
	s_waitcnt lgkmcnt(4)
	v_mfma_f32_16x16x16_bf16 a[0:3], v[144:145], v[136:137], 0
	ds_read2st64_b64 v[148:151], v121 offset0:4 offset1:8
	ds_read2st64_b64 v[152:155], v122 offset0:4 offset1:8
	;; [unrolled: 1-line block ×3, first 2 shown]
	v_mfma_f32_16x16x16_bf16 a[4:7], v[144:145], v[138:139], 0
	s_add_i32 s21, s53, s65
	s_mul_hi_i32 s25, s21, s13
	s_mul_i32 s21, s21, s13
	s_waitcnt lgkmcnt(3)
	v_mfma_f32_16x16x16_bf16 a[8:11], v[144:145], v[140:141], 0
	s_add_u32 s24, s21, s46
	s_addc_u32 s25, s25, s47
	s_lshl_b64 s[24:25], s[24:25], 15
	v_mfma_f32_16x16x16_bf16 a[12:15], v[144:145], v[142:143], 0
	ds_read2st64_b64 v[144:147], v119 offset0:4 offset1:8
	s_waitcnt lgkmcnt(0)
	v_mfma_f32_16x16x16_bf16 a[0:3], v[160:161], v[144:145], a[0:3]
	v_mfma_f32_16x16x16_bf16 a[4:7], v[160:161], v[148:149], a[4:7]
	;; [unrolled: 1-line block ×8, first 2 shown]
	ds_read_b64 v[160:161], v119 offset:6144
	ds_read_b64 v[162:163], v120 offset:40960
	;; [unrolled: 1-line block ×8, first 2 shown]
	s_waitcnt lgkmcnt(5)
	v_mfma_f32_16x16x16_bf16 a[16:19], v[166:167], v[136:137], 0
	v_mfma_f32_16x16x16_bf16 a[20:23], v[166:167], v[138:139], 0
	ds_read2st64_b64 v[136:139], v116 offset1:8
	v_mfma_f32_16x16x16_bf16 a[24:27], v[166:167], v[140:141], 0
	v_mfma_f32_16x16x16_bf16 a[28:31], v[166:167], v[142:143], 0
	ds_read2st64_b64 v[140:143], v117 offset1:8
	v_mfma_f32_16x16x16_bf16 a[16:19], v[162:163], v[144:145], a[16:19]
	s_waitcnt lgkmcnt(1)
	v_mov_b32_e32 v144, v136
	v_mov_b32_e32 v145, v137
	v_mfma_f32_16x16x16_bf16 a[20:23], v[162:163], v[148:149], a[20:23]
	v_lshl_add_u64 v[148:149], v[72:73], 0, s[24:25]
	v_mfma_f32_16x16x16_bf16 a[24:27], v[162:163], v[152:153], a[24:27]
	v_mfma_f32_16x16x16_bf16 a[28:31], v[162:163], v[156:157], a[28:31]
	;; [unrolled: 1-line block ×3, first 2 shown]
	s_waitcnt lgkmcnt(0)
	v_mov_b32_e32 v146, v140
	v_mov_b32_e32 v147, v141
	;; [unrolled: 1-line block ×3, first 2 shown]
	v_mfma_f32_16x16x16_bf16 a[32:35], v[174:175], v[150:151], a[20:23]
	v_mov_b32_e32 v141, v139
	ds_read2st64_b64 v[136:139], v116 offset0:16 offset1:24
	global_store_dwordx4 v[148:149], v[144:147], off
	v_mfma_f32_16x16x16_bf16 a[24:27], v[174:175], v[154:155], a[24:27]
	ds_read2st64_b64 v[144:147], v117 offset0:16 offset1:24
	v_add_co_u32_e32 v150, vcc, s31, v148
	v_mfma_f32_16x16x16_bf16 a[28:31], v[174:175], v[158:159], a[28:31]
	s_nop 0
	v_addc_co_u32_e32 v151, vcc, 0, v149, vcc
	global_store_dwordx4 v[150:151], v[140:143], off offset:-4096
	v_mfma_f32_16x16x16_bf16 a[0:3], v[164:165], v[160:161], a[0:3]
	s_waitcnt lgkmcnt(1)
	v_mov_b32_e32 v140, v136
	v_add_co_u32_e32 v136, vcc, s35, v148
	v_mfma_f32_16x16x16_bf16 a[4:7], v[164:165], v[168:169], a[4:7]
	v_mov_b32_e32 v141, v137
	v_addc_co_u32_e32 v137, vcc, 0, v149, vcc
	v_mfma_f32_16x16x16_bf16 a[8:11], v[164:165], v[170:171], a[8:11]
	s_waitcnt lgkmcnt(0)
	v_mov_b32_e32 v142, v144
	v_mov_b32_e32 v143, v145
	;; [unrolled: 1-line block ×3, first 2 shown]
	v_mfma_f32_16x16x16_bf16 a[12:15], v[164:165], v[172:173], a[12:15]
	v_mov_b32_e32 v145, v139
	s_and_b64 vcc, exec, s[0:1]
	global_store_dwordx4 v[150:151], v[140:143], off
	v_mfma_f32_16x16x16_bf16 a[20:23], v[176:177], v[160:161], a[16:19]
	global_store_dwordx4 v[136:137], v[144:147], off
	v_mfma_f32_16x16x16_bf16 a[16:19], v[176:177], v[168:169], a[32:35]
	v_mfma_f32_16x16x16_bf16 a[24:27], v[176:177], v[170:171], a[24:27]
	;; [unrolled: 1-line block ×3, first 2 shown]
	s_cbranch_vccnz .LBB188_16
; %bb.15:                               ;   in Loop: Header=BB188_6 Depth=1
	v_lshrrev_b32_e32 v135, 3, v133
	v_and_b32_e32 v135, 6, v135
	v_xor_b32_e32 v134, v135, v134
	v_lshlrev_b32_e32 v134, 2, v134
	v_and_b32_e32 v133, 8, v133
	v_xor_b32_e32 v136, 0x440, v134
	v_cmp_eq_u32_e32 vcc, 0, v133
	s_barrier
	s_nop 0
	v_cndmask_b32_e32 v133, v136, v134, vcc
	v_lshl_or_b32 v133, v135, 10, v133
	s_waitcnt vmcnt(5)
	v_perm_b32 v134, v62, v58, s60
	s_waitcnt vmcnt(4)
	v_perm_b32 v135, v54, v50, s60
	ds_write2st64_b32 v133, v134, v135 offset0:128 offset1:160
	v_xor_b32_e32 v134, 8, v133
	v_perm_b32 v58, v62, v58, s61
	v_perm_b32 v50, v54, v50, s61
	v_add_u32_e32 v54, 0x80, v134
	ds_write2st64_b32 v54, v58, v50 offset0:128 offset1:160
	v_xor_b32_e32 v50, 16, v133
	v_perm_b32 v54, v63, v59, s60
	v_perm_b32 v58, v55, v51, s60
	ds_write2st64_b32 v50, v54, v58 offset0:129 offset1:161
	v_xor_b32_e32 v50, 24, v133
	v_perm_b32 v54, v63, v59, s61
	v_perm_b32 v51, v55, v51, s61
	v_add_u32_e32 v50, 0x80, v50
	ds_write2st64_b32 v50, v54, v51 offset0:129 offset1:161
	v_xor_b32_e32 v50, 32, v133
	v_perm_b32 v51, v64, v60, s60
	;; [unrolled: 9-line block ×3, first 2 shown]
	v_perm_b32 v52, v57, v53, s60
	ds_write2st64_b32 v50, v51, v52 offset0:131 offset1:163
	v_xor_b32_e32 v50, 56, v133
	v_perm_b32 v51, v65, v61, s61
	v_perm_b32 v52, v57, v53, s61
	v_add_u32_e32 v50, 0x80, v50
	ds_write2st64_b32 v50, v51, v52 offset0:131 offset1:163
	ds_write_b64 v132, v[46:47] offset:49152
	v_xor_b32_e32 v46, 8, v132
	ds_write_b64 v46, v[48:49] offset:49152
	ds_write_b64 v132, v[42:43] offset:57344
	;; [unrolled: 1-line block ×4, first 2 shown]
	v_xor_b32_e32 v38, 8, v131
	ds_write_b64 v38, v[40:41] offset:49152
	ds_write_b64 v131, v[34:35] offset:57344
	;; [unrolled: 1-line block ×3, first 2 shown]
.LBB188_16:                             ;   in Loop: Header=BB188_6 Depth=1
	v_exp_f32_e32 v132, s20
	v_accvgpr_read_b32 v37, a3
	v_accvgpr_read_b32 v41, a7
	;; [unrolled: 1-line block ×4, first 2 shown]
	s_waitcnt vmcnt(4)
	v_accvgpr_read_b32 v53, a23
	v_accvgpr_read_b32 v57, a19
	;; [unrolled: 1-line block ×28, first 2 shown]
	s_add_i32 s59, s59, 64
	v_pk_fma_f32 v[22:23], v[22:23], v[132:133], v[34:35] op_sel_hi:[1,0,1]
	v_pk_fma_f32 v[24:25], v[24:25], v[132:133], v[36:37] op_sel_hi:[1,0,1]
	;; [unrolled: 1-line block ×15, first 2 shown]
	s_cmp_eq_u32 s50, s64
	v_pk_fma_f32 v[12:13], v[12:13], v[132:133], v[64:65] op_sel_hi:[1,0,1]
	s_cbranch_scc1 .LBB188_18
; %bb.17:                               ;   in Loop: Header=BB188_6 Depth=1
	s_mov_b32 s65, s64
	s_branch .LBB188_6
.LBB188_18:
	s_lshl_b32 s26, s50, 6
	s_sub_i32 s27, s12, s26
	s_cmp_gt_i32 s27, 0
	s_cbranch_scc0 .LBB188_99
; %bb.19:
	s_ashr_i32 s3, s26, 31
	s_cmpk_lg_i32 s15, 0x80
	s_cselect_b64 s[22:23], -1, 0
	s_and_b64 vcc, exec, s[22:23]
	s_cbranch_vccz .LBB188_21
; %bb.20:
	s_mul_i32 s1, s49, s12
	s_mul_hi_i32 s0, s49, s12
	s_add_u32 s1, s1, s26
	s_addc_u32 s0, s0, s3
	s_mul_i32 s17, s1, s51
	s_mul_hi_u32 s20, s1, s14
	s_add_i32 s17, s20, s17
	s_mul_i32 s0, s0, s14
	s_add_i32 s17, s17, s0
	s_mul_i32 s1, s1, s14
	s_ashr_i32 s0, s52, 31
	s_add_u32 s24, s1, s52
	s_addc_u32 s25, s17, s0
	s_cbranch_execz .LBB188_22
	s_branch .LBB188_23
.LBB188_21:
                                        ; implicit-def: $sgpr24_sgpr25
.LBB188_22:
	s_mul_hi_i32 s0, s49, s14
	s_mul_i32 s49, s49, s14
	s_ashr_i32 s1, s52, 31
	s_add_u32 s14, s49, s52
	s_addc_u32 s0, s0, s1
	s_mul_i32 s1, s14, s48
	s_mul_hi_u32 s17, s14, s12
	s_add_i32 s1, s17, s1
	s_mul_i32 s0, s0, s12
	s_add_i32 s1, s1, s0
	s_mul_i32 s14, s14, s12
	s_add_u32 s24, s14, s26
	s_addc_u32 s25, s1, s3
.LBB188_23:
	s_mul_i32 s0, s36, s48
	s_add_i32 s0, s55, s0
	s_add_i32 s14, s53, s50
	;; [unrolled: 1-line block ×3, first 2 shown]
	s_add_u32 s0, s16, s26
	s_addc_u32 s1, s1, s3
	v_lshlrev_b32_e32 v35, 6, v80
	v_lshlrev_b32_e32 v34, 2, v77
	s_mov_b32 s3, 0x7060302
	s_waitcnt vmcnt(7)
	v_perm_b32 v25, v25, v24, s3
	v_perm_b32 v24, v23, v22, s3
	s_waitcnt vmcnt(6)
	v_perm_b32 v22, v31, v30, s3
	v_or_b32_e32 v30, v35, v34
	v_xor_b32_e32 v36, v80, v34
	v_perm_b32 v23, v33, v32, s3
	v_lshlrev_b32_e32 v30, 1, v30
	ds_write2st64_b64 v30, v[24:25], v[22:23] offset0:32 offset1:48
	v_lshlrev_b32_e32 v30, 1, v36
	v_lshlrev_b32_e32 v31, 8, v77
	v_xor_b32_e32 v37, v81, v34
	v_or_b32_e32 v32, v30, v31
	ds_write_b64 v32, v[24:25]
	v_lshlrev_b32_e32 v24, 1, v37
	v_or_b32_e32 v25, v24, v31
	ds_write_b64 v25, v[22:23]
	v_or_b32_e32 v22, 16, v77
	v_lshlrev_b32_e32 v23, 2, v22
	v_or_b32_e32 v25, v35, v23
	s_waitcnt vmcnt(5)
	v_perm_b32 v17, v17, v16, s3
	v_perm_b32 v16, v15, v14, s3
	s_waitcnt vmcnt(4)
	v_perm_b32 v15, v29, v28, s3
	v_perm_b32 v14, v27, v26, s3
	v_lshlrev_b32_e32 v25, 1, v25
	v_lshlrev_b32_e32 v22, 8, v22
	ds_write2st64_b64 v25, v[16:17], v[14:15] offset0:32 offset1:48
	v_or_b32_e32 v25, v30, v22
	ds_write_b64 v25, v[16:17]
	v_or_b32_e32 v16, v24, v22
	ds_write_b64 v16, v[14:15]
	v_or_b32_e32 v14, 32, v77
	v_lshlrev_b32_e32 v22, 2, v14
	v_or_b32_e32 v15, v35, v22
	s_waitcnt vmcnt(3)
	v_perm_b32 v9, v9, v8, s3
	v_perm_b32 v8, v7, v6, s3
	s_waitcnt vmcnt(2)
	v_perm_b32 v7, v21, v20, s3
	v_perm_b32 v6, v19, v18, s3
	v_lshlrev_b32_e32 v15, 1, v15
	v_lshlrev_b32_e32 v14, 8, v14
	s_lshl_b64 s[20:21], s[0:1], 8
	ds_write2st64_b64 v15, v[8:9], v[6:7] offset0:32 offset1:48
	v_or_b32_e32 v15, v30, v14
	s_add_u32 s0, s6, s20
	ds_write_b64 v15, v[8:9]
	v_or_b32_e32 v8, v24, v14
	s_addc_u32 s1, s7, s21
	ds_write_b64 v8, v[6:7]
	s_waitcnt vmcnt(1)
	v_perm_b32 v5, v5, v4, s3
	v_perm_b32 v4, v3, v2, s3
	s_waitcnt vmcnt(0)
	v_perm_b32 v3, v13, v12, s3
	v_perm_b32 v2, v11, v10, s3
	v_or_b32_e32 v6, 48, v77
	s_mul_hi_i32 s3, s14, s13
	s_mul_i32 s14, s14, s13
	v_lshlrev_b32_e32 v19, 2, v6
	s_add_u32 s6, s14, s46
	v_or_b32_e32 v7, v35, v19
	s_addc_u32 s7, s3, s47
	v_lshlrev_b32_e32 v7, 1, v7
	v_lshlrev_b32_e32 v6, 8, v6
	s_ashr_i32 s3, s2, 31
	s_lshl_b64 s[6:7], s[6:7], 15
	ds_write2st64_b64 v7, v[4:5], v[2:3] offset0:32 offset1:48
	v_or_b32_e32 v7, v30, v6
	s_add_u32 s6, s18, s6
	ds_write_b64 v7, v[4:5]
	v_or_b32_e32 v4, v24, v6
	s_addc_u32 s7, s19, s7
	s_lshl_b64 s[2:3], s[2:3], 8
	ds_write_b64 v4, v[2:3]
	s_add_u32 s2, s6, s2
	v_lshlrev_b32_e32 v3, 1, v77
	v_lshrrev_b32_e32 v2, 4, v0
	s_addc_u32 s3, s7, s3
	v_or_b32_e32 v4, 1, v3
	v_lshlrev_b32_e32 v10, 4, v77
	v_mov_b32_e32 v11, 0
	v_xor_b32_e32 v3, v2, v3
	v_xor_b32_e32 v6, v4, v2
	v_lshl_add_u64 v[12:13], s[2:3], 0, v[10:11]
	v_lshlrev_b32_e32 v10, 8, v2
	v_lshl_or_b32 v16, v3, 3, v10
	v_lshl_or_b32 v17, v6, 3, v10
	s_waitcnt lgkmcnt(0)
	s_barrier
	ds_read2st64_b64 v[2:5], v16 offset1:8
	ds_read2st64_b64 v[6:9], v17 offset1:8
	v_lshl_add_u64 v[14:15], v[12:13], 0, v[10:11]
	s_movk_i32 s2, 0x2000
	s_cmp_lg_u32 s27, 64
	s_waitcnt lgkmcnt(1)
	v_mov_b32_e32 v10, v2
	v_mov_b32_e32 v11, v3
	s_waitcnt lgkmcnt(0)
	v_mov_b32_e32 v12, v6
	v_mov_b32_e32 v13, v7
	global_store_dwordx4 v[14:15], v[10:13], off
	v_mov_b32_e32 v6, v4
	v_mov_b32_e32 v7, v5
	ds_read2st64_b64 v[2:5], v16 offset0:16 offset1:24
	ds_read2st64_b64 v[10:13], v17 offset0:16 offset1:24
	v_add_co_u32_e32 v16, vcc, s2, v14
	s_cselect_b64 s[6:7], -1, 0
	s_nop 0
	v_addc_co_u32_e32 v17, vcc, 0, v15, vcc
	global_store_dwordx4 v[16:17], v[6:9], off offset:-4096
	v_lshl_or_b32 v24, v75, 3, v79
	s_mov_b32 s16, 0
	s_waitcnt lgkmcnt(1)
	v_mov_b32_e32 v6, v2
	v_add_co_u32_e32 v2, vcc, 0x3000, v14
	v_mov_b32_e32 v7, v3
	s_nop 0
	v_addc_co_u32_e32 v3, vcc, 0, v15, vcc
	s_waitcnt lgkmcnt(0)
	v_mov_b32_e32 v8, v10
	v_mov_b32_e32 v9, v11
	;; [unrolled: 1-line block ×4, first 2 shown]
	v_or_b32_e32 v20, 32, v24
	v_and_b32_e32 v18, 56, v78
	s_and_b64 vcc, exec, s[6:7]
	global_store_dwordx4 v[16:17], v[6:9], off
	global_store_dwordx4 v[2:3], v[10:13], off
	s_cbranch_vccz .LBB188_29
; %bb.24:
	s_mov_b32 s17, s16
	s_mov_b32 s18, s16
	;; [unrolled: 1-line block ×3, first 2 shown]
	v_mov_b64_e32 v[6:7], s[16:17]
	v_mov_b64_e32 v[8:9], s[18:19]
	;; [unrolled: 1-line block ×3, first 2 shown]
	v_cmp_gt_i32_e32 vcc, s27, v24
	v_mov_b64_e32 v[4:5], v[8:9]
	s_and_saveexec_b64 s[2:3], vcc
	s_cbranch_execz .LBB188_26
; %bb.25:
	v_lshlrev_b32_e32 v2, 8, v24
	v_mov_b32_e32 v3, 0
	v_lshl_add_u64 v[4:5], s[0:1], 0, v[2:3]
	v_lshlrev_b32_e32 v2, 1, v18
	v_lshl_add_u64 v[10:11], v[4:5], 0, v[2:3]
	global_load_dwordx4 v[6:9], v[10:11], off
	global_load_dwordx4 v[2:5], v[10:11], off offset:128
.LBB188_26:
	s_or_b64 exec, exec, s[2:3]
	s_mov_b32 s17, s16
	s_mov_b32 s18, s16
	;; [unrolled: 1-line block ×3, first 2 shown]
	v_mov_b64_e32 v[14:15], s[16:17]
	v_mov_b64_e32 v[16:17], s[18:19]
	;; [unrolled: 1-line block ×3, first 2 shown]
	v_cmp_gt_i32_e32 vcc, s27, v20
	v_lshlrev_b32_e32 v21, 7, v20
	v_mov_b64_e32 v[12:13], v[16:17]
	s_and_saveexec_b64 s[2:3], vcc
	s_cbranch_execz .LBB188_28
; %bb.27:
	v_lshlrev_b32_e32 v10, 1, v21
	v_mov_b32_e32 v11, 0
	v_lshl_add_u64 v[12:13], s[0:1], 0, v[10:11]
	v_lshlrev_b32_e32 v10, 1, v18
	v_lshl_add_u64 v[26:27], v[12:13], 0, v[10:11]
	global_load_dwordx4 v[14:17], v[26:27], off
	global_load_dwordx4 v[10:13], v[26:27], off offset:128
.LBB188_28:
	s_or_b64 exec, exec, s[2:3]
	v_lshrrev_b32_e32 v25, 3, v18
	v_lshlrev_b32_e32 v26, 3, v24
	v_or_b32_e32 v25, v26, v25
	v_lshlrev_b32_e32 v25, 4, v25
	v_and_b32_e32 v26, 0x78, v26
	v_xor_b32_e32 v25, v25, v26
	s_branch .LBB188_31
.LBB188_29:
                                        ; implicit-def: $vgpr25
                                        ; implicit-def: $vgpr21
                                        ; implicit-def: $vgpr6_vgpr7_vgpr8_vgpr9
                                        ; implicit-def: $vgpr2_vgpr3_vgpr4_vgpr5
                                        ; implicit-def: $vgpr14_vgpr15_vgpr16_vgpr17
                                        ; implicit-def: $vgpr10_vgpr11_vgpr12_vgpr13
	s_cbranch_execz .LBB188_31
; %bb.30:
	s_waitcnt vmcnt(0)
	v_lshlrev_b32_e32 v2, 1, v18
	v_lshl_or_b32 v21, v24, 8, v2
	s_and_b32 s1, s1, 0xffff
	s_mov_b32 s3, 0x20000
	s_movk_i32 s2, 0x4000
	v_lshl_or_b32 v25, v20, 8, v2
	s_movk_i32 s13, 0x80
	buffer_load_dwordx4 v[6:9], v21, s[0:3], 0 offen
	buffer_load_dwordx4 v[2:5], v21, s[0:3], s13 offen
	;; [unrolled: 1-line block ×4, first 2 shown]
	v_lshrrev_b32_e32 v21, 3, v18
	v_lshlrev_b32_e32 v25, 3, v24
	v_or_b32_e32 v21, v25, v21
	v_lshlrev_b32_e32 v21, 4, v21
	v_and_b32_e32 v25, 0x78, v25
	v_xor_b32_e32 v25, v21, v25
	v_lshlrev_b32_e32 v21, 7, v20
.LBB188_31:
	s_movk_i32 s0, 0x1000
	v_and_or_b32 v20, v21, s0, v25
	s_waitcnt vmcnt(1)
	ds_write_b64 v25, v[6:7] offset:49152
	v_xor_b32_e32 v6, 8, v25
	ds_write_b64 v6, v[8:9] offset:49152
	s_waitcnt vmcnt(0)
	ds_write_b64 v25, v[2:3] offset:57344
	ds_write_b64 v6, v[4:5] offset:57344
	ds_write_b64 v20, v[14:15] offset:49152
	v_xor_b32_e32 v2, 8, v20
	ds_write_b64 v2, v[16:17] offset:49152
	ds_write_b64 v20, v[10:11] offset:57344
	;; [unrolled: 1-line block ×3, first 2 shown]
	v_or_b32_e32 v2, v1, v77
	v_lshlrev_b32_e32 v3, 11, v75
	v_lshlrev_b32_e32 v2, 3, v2
	v_and_b32_e32 v6, 0x1000, v3
	v_lshrrev_b32_e32 v3, 5, v74
	s_movk_i32 s0, 0xf8
	v_and_or_b32 v3, v2, s0, v3
	v_lshlrev_b32_e32 v7, 4, v3
	v_and_b32_e32 v8, 0x78, v2
	v_or_b32_e32 v10, 32, v7
	v_lshrrev_b32_e32 v3, 1, v74
	v_xor_b32_e32 v10, v10, v8
	v_xor_b32_e32 v2, v7, v8
	v_and_b32_e32 v9, 8, v3
	v_or_b32_e32 v10, v10, v6
	v_or_b32_e32 v2, v2, v6
	v_xor_b32_e32 v27, v10, v9
	v_or_b32_e32 v10, 64, v7
	v_xor_b32_e32 v26, v2, v9
	v_xor_b32_e32 v10, v10, v8
	s_waitcnt lgkmcnt(0)
	s_barrier
	v_or_b32_e32 v13, v10, v6
	ds_read_b64 v[10:11], v26 offset:49152
	v_lshl_or_b32 v14, v76, 8, v34
	v_lshlrev_b32_e32 v25, 1, v14
	v_add_u32_e32 v12, 0x4000, v25
	ds_read2_b64 v[2:5], v12 offset1:16
	v_or_b32_e32 v7, 0x60, v7
	v_xor_b32_e32 v7, v7, v8
	v_or_b32_e32 v6, v7, v6
	v_xor_b32_e32 v28, v13, v9
	v_xor_b32_e32 v29, v6, v9
	ds_read_b64 v[20:21], v27 offset:49152
	ds_read_b64 v[36:37], v28 offset:49152
	;; [unrolled: 1-line block ×3, first 2 shown]
	s_waitcnt lgkmcnt(3)
	v_mfma_f32_16x16x16_bf16 a[0:3], v[10:11], v[2:3], 0
	ds_read2st64_b64 v[6:9], v25 offset0:36 offset1:40
	s_lshl_b64 s[0:1], s[24:25], 8
	s_add_u32 s4, s4, s0
	v_mfma_f32_16x16x16_bf16 a[4:7], v[10:11], v[4:5], 0
	ds_read2_b64 v[2:5], v12 offset0:32 offset1:48
	s_addc_u32 s5, s5, s1
	s_add_i32 s1, s42, s33
	s_waitcnt lgkmcnt(0)
	v_mfma_f32_16x16x16_bf16 a[8:11], v[10:11], v[2:3], 0
	v_or_b32_e32 v2, 64, v14
	v_lshlrev_b32_e32 v30, 1, v2
	s_add_i32 s0, s12, -1
	v_mfma_f32_16x16x16_bf16 a[12:15], v[10:11], v[4:5], 0
	ds_read2st64_b64 v[2:5], v30 offset0:36 offset1:40
	s_add_i32 s35, s1, s37
	s_add_i32 s1, s44, s43
	v_mfma_f32_16x16x16_bf16 a[0:3], v[20:21], v[6:7], a[0:3]
	v_or_b32_e32 v6, 0x80, v14
	v_lshlrev_b32_e32 v31, 1, v6
	ds_read2st64_b64 v[10:13], v31 offset0:36 offset1:40
	s_waitcnt lgkmcnt(1)
	v_mfma_f32_16x16x16_bf16 a[4:7], v[20:21], v[2:3], a[4:7]
	v_or_b32_e32 v2, 0xc0, v14
	v_lshlrev_b32_e32 v32, 1, v2
	ds_read2st64_b64 v[14:17], v32 offset0:36 offset1:40
	s_add_i32 s31, s1, s45
	s_ashr_i32 s1, s0, 31
	s_mul_i32 s2, s0, s29
	s_mul_hi_u32 s3, s0, s28
	s_add_i32 s2, s3, s2
	s_mul_i32 s1, s1, s28
	s_waitcnt lgkmcnt(1)
	v_mfma_f32_16x16x16_bf16 a[8:11], v[20:21], v[10:11], a[8:11]
	s_add_i32 s1, s2, s1
	s_lshl_b64 s[2:3], s[34:35], 2
	s_add_u32 s10, s10, s2
	s_waitcnt lgkmcnt(0)
	v_mfma_f32_16x16x16_bf16 a[12:15], v[20:21], v[14:15], a[12:15]
	s_addc_u32 s11, s11, s3
	s_lshl_b64 s[2:3], s[30:31], 2
	s_mul_i32 s0, s0, s28
	v_mfma_f32_16x16x16_bf16 a[0:3], v[36:37], v[8:9], a[0:3]
	ds_read_b64 v[2:3], v25 offset:22528
	s_add_u32 s10, s10, s2
	s_addc_u32 s11, s11, s3
	v_mfma_f32_16x16x16_bf16 a[4:7], v[36:37], v[4:5], a[4:7]
	ds_read_b64 v[4:5], v30 offset:22528
	ds_read_b64 v[6:7], v31 offset:22528
	;; [unrolled: 1-line block ×3, first 2 shown]
	s_lshl_b64 s[0:1], s[0:1], 2
	s_add_u32 s0, s10, s0
	v_mfma_f32_16x16x16_bf16 a[8:11], v[36:37], v[12:13], a[8:11]
	s_addc_u32 s1, s11, s1
	s_load_dword s12, s[0:1], 0x0
	s_and_b64 vcc, exec, s[22:23]
	v_mfma_f32_16x16x16_bf16 a[12:15], v[36:37], v[16:17], a[12:15]
	s_waitcnt lgkmcnt(0)
	v_mfma_f32_16x16x16_bf16 a[0:3], v[38:39], v[2:3], a[0:3]
	v_mfma_f32_16x16x16_bf16 a[4:7], v[38:39], v[4:5], a[4:7]
	;; [unrolled: 1-line block ×4, first 2 shown]
	s_cbranch_vccz .LBB188_42
; %bb.32:
	v_lshlrev_b32_e32 v20, 1, v24
	s_and_b64 vcc, exec, s[6:7]
	s_cbranch_vccz .LBB188_43
; %bb.33:
	v_cmp_gt_i32_e32 vcc, s27, v20
	v_mov_b32_e32 v6, 0
	v_mov_b32_e32 v2, 0
	;; [unrolled: 1-line block ×5, first 2 shown]
	s_and_saveexec_b64 s[0:1], vcc
	s_cbranch_execz .LBB188_35
; %bb.34:
	v_mad_i64_i32 v[2:3], s[2:3], s15, v20, 0
	v_lshl_add_u64 v[2:3], v[2:3], 1, s[4:5]
	v_lshlrev_b32_e32 v4, 1, v18
	v_mov_b32_e32 v5, 0
	v_lshl_add_u64 v[2:3], v[2:3], 0, v[4:5]
	global_load_dwordx4 v[2:5], v[2:3], off
.LBB188_35:
	s_or_b64 exec, exec, s[0:1]
	v_or_b32_e32 v21, 1, v20
	v_cmp_gt_i32_e64 s[0:1], s27, v21
	v_mov_b32_e32 v7, 0
	v_mov_b32_e32 v8, 0
	;; [unrolled: 1-line block ×3, first 2 shown]
	s_and_saveexec_b64 s[2:3], s[0:1]
	s_cbranch_execz .LBB188_37
; %bb.36:
	v_mad_i64_i32 v[6:7], s[16:17], s15, v21, 0
	v_lshl_add_u64 v[6:7], v[6:7], 1, s[4:5]
	v_lshlrev_b32_e32 v8, 1, v18
	v_mov_b32_e32 v9, 0
	v_lshl_add_u64 v[6:7], v[6:7], 0, v[8:9]
	global_load_dwordx4 v[6:9], v[6:7], off
.LBB188_37:
	s_or_b64 exec, exec, s[2:3]
	v_mov_b32_e32 v17, 0
	v_mov_b32_e32 v10, 0
	;; [unrolled: 1-line block ×5, first 2 shown]
	s_and_saveexec_b64 s[2:3], vcc
	s_cbranch_execz .LBB188_39
; %bb.38:
	v_mad_i64_i32 v[10:11], s[16:17], s15, v20, 0
	v_lshl_add_u64 v[10:11], v[10:11], 1, s[4:5]
	v_lshlrev_b32_e32 v12, 1, v18
	v_mov_b32_e32 v13, 0
	v_lshl_add_u64 v[10:11], v[10:11], 0, v[12:13]
	global_load_dwordx4 v[10:13], v[10:11], off offset:128
.LBB188_39:
	s_or_b64 exec, exec, s[2:3]
	v_mov_b32_e32 v16, 0
	v_mov_b32_e32 v15, 0
	;; [unrolled: 1-line block ×3, first 2 shown]
	s_and_saveexec_b64 s[2:3], s[0:1]
	s_cbranch_execz .LBB188_41
; %bb.40:
	v_mad_i64_i32 v[14:15], s[0:1], s15, v21, 0
	v_lshl_add_u64 v[14:15], v[14:15], 1, s[4:5]
	v_lshlrev_b32_e32 v16, 1, v18
	v_mov_b32_e32 v17, 0
	v_lshl_add_u64 v[14:15], v[14:15], 0, v[16:17]
	global_load_dwordx4 v[14:17], v[14:15], off offset:128
.LBB188_41:
	s_or_b64 exec, exec, s[2:3]
	s_branch .LBB188_45
.LBB188_42:
                                        ; implicit-def: $vgpr5
                                        ; implicit-def: $vgpr9
                                        ; implicit-def: $vgpr13
                                        ; implicit-def: $vgpr17
	v_lshrrev_b32_e32 v33, 2, v74
	s_branch .LBB188_46
.LBB188_43:
                                        ; implicit-def: $vgpr5
                                        ; implicit-def: $vgpr9
                                        ; implicit-def: $vgpr13
                                        ; implicit-def: $vgpr17
	s_cbranch_execz .LBB188_45
; %bb.44:
	s_waitcnt vmcnt(0)
	v_mad_u64_u32 v[2:3], s[0:1], v20, s15, v[18:19]
	v_lshlrev_b32_e32 v20, 1, v2
	s_lshl_b32 s2, s15, 7
	s_and_b32 s1, s5, 0xffff
	s_mov_b32 s3, 0x20000
	s_mov_b32 s0, s4
	v_add_lshl_u32 v21, v2, s15, 1
	s_movk_i32 s13, 0x80
	buffer_load_dwordx4 v[2:5], v20, s[0:3], 0 offen
	buffer_load_dwordx4 v[10:13], v20, s[0:3], s13 offen
	;; [unrolled: 1-line block ×4, first 2 shown]
.LBB188_45:
	v_lshrrev_b32_e32 v33, 2, v74
	s_cbranch_execnz .LBB188_58
.LBB188_46:
	s_and_b64 vcc, exec, s[6:7]
	s_cbranch_vccz .LBB188_56
; %bb.47:
	s_waitcnt vmcnt(0)
	v_lshlrev_b32_e32 v7, 1, v24
	v_cmp_gt_i32_e32 vcc, s27, v7
	v_mov_b32_e32 v6, 0
	v_lshlrev_b32_e32 v14, 9, v24
	v_mov_b32_e32 v2, 0
	v_mov_b32_e32 v3, 0
	;; [unrolled: 1-line block ×4, first 2 shown]
	s_and_saveexec_b64 s[0:1], vcc
	s_cbranch_execz .LBB188_49
; %bb.48:
	v_mov_b32_e32 v15, 0
	v_lshl_add_u64 v[2:3], s[4:5], 0, v[14:15]
	v_lshlrev_b32_e32 v4, 1, v18
	v_mov_b32_e32 v5, v15
	v_lshl_add_u64 v[2:3], v[2:3], 0, v[4:5]
	global_load_dwordx4 v[2:5], v[2:3], off
.LBB188_49:
	s_or_b64 exec, exec, s[0:1]
	v_or_b32_e32 v7, 1, v7
	v_cmp_gt_i32_e64 s[0:1], s27, v7
	v_lshlrev_b32_e32 v20, 8, v7
	v_mov_b32_e32 v7, 0
	v_mov_b32_e32 v8, 0
	;; [unrolled: 1-line block ×3, first 2 shown]
	s_and_saveexec_b64 s[2:3], s[0:1]
	s_cbranch_execz .LBB188_51
; %bb.50:
	v_mov_b32_e32 v21, 0
	v_lshl_add_u64 v[6:7], s[4:5], 0, v[20:21]
	v_lshlrev_b32_e32 v8, 1, v18
	v_mov_b32_e32 v9, v21
	v_lshl_add_u64 v[6:7], v[6:7], 0, v[8:9]
	global_load_dwordx4 v[6:9], v[6:7], off
.LBB188_51:
	s_or_b64 exec, exec, s[2:3]
	v_mov_b32_e32 v17, 0
	v_mov_b32_e32 v10, 0
	;; [unrolled: 1-line block ×5, first 2 shown]
	s_and_saveexec_b64 s[2:3], vcc
	s_cbranch_execz .LBB188_53
; %bb.52:
	v_mov_b32_e32 v15, 0
	v_lshl_add_u64 v[10:11], s[4:5], 0, v[14:15]
	v_lshlrev_b32_e32 v14, 1, v18
	v_lshl_add_u64 v[10:11], v[10:11], 0, v[14:15]
	global_load_dwordx4 v[10:13], v[10:11], off offset:128
.LBB188_53:
	s_or_b64 exec, exec, s[2:3]
	v_mov_b32_e32 v16, 0
	v_mov_b32_e32 v15, 0
	v_mov_b32_e32 v14, 0
	s_and_saveexec_b64 s[2:3], s[0:1]
	s_cbranch_execz .LBB188_55
; %bb.54:
	v_mov_b32_e32 v21, 0
	v_lshl_add_u64 v[14:15], s[4:5], 0, v[20:21]
	v_lshlrev_b32_e32 v20, 1, v18
	v_lshl_add_u64 v[14:15], v[14:15], 0, v[20:21]
	global_load_dwordx4 v[14:17], v[14:15], off offset:128
.LBB188_55:
	s_or_b64 exec, exec, s[2:3]
	s_branch .LBB188_58
.LBB188_56:
                                        ; implicit-def: $vgpr5
                                        ; implicit-def: $vgpr9
                                        ; implicit-def: $vgpr13
                                        ; implicit-def: $vgpr17
	s_cbranch_execz .LBB188_58
; %bb.57:
	s_waitcnt vmcnt(0)
	v_lshlrev_b32_e32 v2, 1, v18
	v_lshl_or_b32 v18, v24, 9, v2
	s_and_b32 s5, s5, 0xffff
	s_mov_b32 s7, 0x20000
	s_movk_i32 s6, 0x4000
	s_movk_i32 s0, 0x80
	buffer_load_dwordx4 v[2:5], v18, s[4:7], 0 offen
	buffer_load_dwordx4 v[6:9], v18, s[4:7], 0 offen offset:256
	buffer_load_dwordx4 v[10:13], v18, s[4:7], s0 offen
	buffer_load_dwordx4 v[14:17], v18, s[4:7], s0 offen offset:256
.LBB188_58:
	ds_read_b64 v[20:21], v26 offset:57344
	v_add_u32_e32 v18, 0x6000, v25
	ds_read2_b64 v[36:39], v18 offset1:16
	ds_read_b64 v[48:49], v27 offset:57344
	ds_read_b64 v[50:51], v28 offset:57344
	;; [unrolled: 1-line block ×3, first 2 shown]
	ds_read2_b64 v[26:29], v18 offset0:32 offset1:48
	v_and_b32_e32 v18, 6, v0
	v_xor_b32_e32 v24, v24, v18
	v_lshlrev_b32_e32 v24, 2, v24
	v_and_b32_e32 v0, 1, v0
	v_cmp_eq_u32_e32 vcc, 0, v0
	s_waitcnt lgkmcnt(4)
	v_mfma_f32_16x16x16_bf16 a[0:3], v[20:21], v[36:37], a[0:3]
	s_mov_b32 s0, 0x1000504
	s_mov_b32 s1, 0x3020706
	v_mfma_f32_16x16x16_bf16 a[4:7], v[20:21], v[38:39], a[4:7]
	ds_read2st64_b64 v[36:39], v25 offset0:52 offset1:56
	s_waitcnt lgkmcnt(1)
	v_mfma_f32_16x16x16_bf16 a[8:11], v[20:21], v[26:27], a[8:11]
	v_mfma_f32_16x16x16_bf16 a[12:15], v[20:21], v[28:29], a[12:15]
	ds_read2st64_b64 v[26:29], v30 offset0:52 offset1:56
	ds_read2st64_b64 v[40:43], v31 offset0:52 offset1:56
	;; [unrolled: 1-line block ×3, first 2 shown]
	s_waitcnt lgkmcnt(3)
	v_mfma_f32_16x16x16_bf16 a[0:3], v[48:49], v[36:37], a[0:3]
	ds_read_b64 v[20:21], v25 offset:30720
	ds_read_b64 v[36:37], v30 offset:30720
	ds_read_b64 v[30:31], v31 offset:30720
	ds_read_b64 v[54:55], v32 offset:30720
	v_xor_b32_e32 v25, 0x440, v24
	v_cndmask_b32_e32 v0, v25, v24, vcc
	s_waitcnt lgkmcnt(6)
	v_mfma_f32_16x16x16_bf16 a[4:7], v[48:49], v[26:27], a[4:7]
	v_lshl_or_b32 v0, v18, 10, v0
	s_waitcnt vmcnt(0)
	v_perm_b32 v18, v2, v6, s0
	v_perm_b32 v24, v10, v14, s0
	s_waitcnt lgkmcnt(5)
	v_mfma_f32_16x16x16_bf16 a[8:11], v[48:49], v[40:41], a[8:11]
	ds_write2st64_b32 v0, v18, v24 offset0:128 offset1:160
	v_xor_b32_e32 v18, 8, v0
	v_perm_b32 v2, v2, v6, s1
	s_waitcnt lgkmcnt(5)
	v_mfma_f32_16x16x16_bf16 a[12:15], v[48:49], v[44:45], a[12:15]
	v_perm_b32 v6, v10, v14, s1
	v_add_u32_e32 v10, 0x80, v18
	ds_write2st64_b32 v10, v2, v6 offset0:128 offset1:160
	v_mfma_f32_16x16x16_bf16 a[0:3], v[50:51], v[38:39], a[0:3]
	v_xor_b32_e32 v2, 16, v0
	v_perm_b32 v6, v3, v7, s0
	v_perm_b32 v10, v11, v15, s0
	v_mfma_f32_16x16x16_bf16 a[4:7], v[50:51], v[28:29], a[4:7]
	ds_write2st64_b32 v2, v6, v10 offset0:129 offset1:161
	v_xor_b32_e32 v2, 24, v0
	v_perm_b32 v3, v3, v7, s1
	v_mfma_f32_16x16x16_bf16 a[16:19], v[50:51], v[42:43], a[8:11]
	v_perm_b32 v6, v11, v15, s1
	v_add_u32_e32 v2, 0x80, v2
	ds_write2st64_b32 v2, v3, v6 offset0:129 offset1:161
	v_mfma_f32_16x16x16_bf16 a[20:23], v[50:51], v[46:47], a[12:15]
	v_xor_b32_e32 v2, 32, v0
	v_perm_b32 v3, v4, v8, s0
	v_perm_b32 v6, v12, v16, s0
	s_waitcnt lgkmcnt(7)
	v_mfma_f32_16x16x16_bf16 a[12:15], v[52:53], v[20:21], a[0:3]
	ds_write2st64_b32 v2, v3, v6 offset0:130 offset1:162
	v_xor_b32_e32 v2, 40, v0
	v_perm_b32 v3, v4, v8, s1
	s_waitcnt lgkmcnt(7)
	v_mfma_f32_16x16x16_bf16 a[8:11], v[52:53], v[36:37], a[4:7]
	v_perm_b32 v4, v12, v16, s1
	v_add_u32_e32 v2, 0x80, v2
	ds_write2st64_b32 v2, v3, v4 offset0:130 offset1:162
	s_waitcnt lgkmcnt(7)
	v_mfma_f32_16x16x16_bf16 a[4:7], v[52:53], v[30:31], a[16:19]
	v_xor_b32_e32 v2, 48, v0
	v_perm_b32 v3, v5, v9, s0
	v_perm_b32 v4, v13, v17, s0
	s_waitcnt lgkmcnt(6)
	v_mfma_f32_16x16x16_bf16 a[0:3], v[52:53], v[54:55], a[20:23]
	v_xor_b32_e32 v0, 56, v0
	v_and_or_b32 v18, v33, 12, v1
	ds_write2st64_b32 v2, v3, v4 offset0:131 offset1:163
	v_perm_b32 v2, v5, v9, s1
	v_perm_b32 v3, v13, v17, s1
	v_add_u32_e32 v0, 0x80, v0
	v_cmp_gt_i32_e32 vcc, s27, v18
	v_mov_b32_e32 v14, 0
	v_mov_b32_e32 v16, 0
	ds_write2st64_b32 v0, v2, v3 offset0:131 offset1:163
	s_and_saveexec_b64 s[0:1], vcc
	s_cbranch_execz .LBB188_60
; %bb.59:
	v_add_u32_e32 v0, s26, v18
	v_ashrrev_i32_e32 v1, 31, v0
	v_mul_lo_u32 v2, v1, s28
	v_mul_lo_u32 v3, v0, s29
	v_mad_u64_u32 v[0:1], s[2:3], v0, s28, 0
	v_add3_u32 v1, v1, v3, v2
	v_lshl_add_u64 v[0:1], v[0:1], 2, s[10:11]
	global_load_dword v0, v[0:1], off
	s_waitcnt vmcnt(0)
	v_sub_f32_e32 v0, s12, v0
	v_exp_f32_e32 v16, v0
.LBB188_60:
	s_or_b64 exec, exec, s[0:1]
	v_or_b32_e32 v8, 1, v18
	v_cmp_gt_i32_e64 s[0:1], s27, v8
	s_and_saveexec_b64 s[2:3], s[0:1]
	s_cbranch_execz .LBB188_62
; %bb.61:
	v_add_u32_e32 v0, s26, v8
	v_ashrrev_i32_e32 v1, 31, v0
	v_mul_lo_u32 v2, v1, s28
	v_mul_lo_u32 v3, v0, s29
	v_mad_u64_u32 v[0:1], s[4:5], v0, s28, 0
	v_add3_u32 v1, v1, v3, v2
	v_lshl_add_u64 v[0:1], v[0:1], 2, s[10:11]
	global_load_dword v0, v[0:1], off
	s_waitcnt vmcnt(0)
	v_sub_f32_e32 v0, s12, v0
	v_exp_f32_e32 v14, v0
.LBB188_62:
	s_or_b64 exec, exec, s[2:3]
	v_or_b32_e32 v10, 2, v18
	v_cmp_gt_i32_e64 s[2:3], s27, v10
	v_mov_b32_e32 v15, 0
	v_mov_b32_e32 v17, 0
	s_and_saveexec_b64 s[4:5], s[2:3]
	s_cbranch_execz .LBB188_64
; %bb.63:
	v_add_u32_e32 v0, s26, v10
	v_ashrrev_i32_e32 v1, 31, v0
	v_mul_lo_u32 v2, v1, s28
	v_mul_lo_u32 v3, v0, s29
	v_mad_u64_u32 v[0:1], s[6:7], v0, s28, 0
	v_add3_u32 v1, v1, v3, v2
	v_lshl_add_u64 v[0:1], v[0:1], 2, s[10:11]
	global_load_dword v0, v[0:1], off
	s_waitcnt vmcnt(0)
	v_sub_f32_e32 v0, s12, v0
	v_exp_f32_e32 v17, v0
.LBB188_64:
	s_or_b64 exec, exec, s[4:5]
	v_or_b32_e32 v12, 3, v18
	v_cmp_gt_i32_e64 s[4:5], s27, v12
	s_and_saveexec_b64 s[6:7], s[4:5]
	s_cbranch_execz .LBB188_66
; %bb.65:
	v_add_u32_e32 v0, s26, v12
	v_ashrrev_i32_e32 v1, 31, v0
	v_mul_lo_u32 v2, v1, s28
	v_mul_lo_u32 v3, v0, s29
	v_mad_u64_u32 v[0:1], s[14:15], v0, s28, 0
	v_add3_u32 v1, v1, v3, v2
	v_lshl_add_u64 v[0:1], v[0:1], 2, s[10:11]
	global_load_dword v0, v[0:1], off
	s_waitcnt vmcnt(0)
	v_sub_f32_e32 v0, s12, v0
	v_exp_f32_e32 v15, v0
.LBB188_66:
	s_or_b64 exec, exec, s[6:7]
	s_add_u32 s6, s8, s20
	v_accvgpr_read_b32 v0, a12
	s_addc_u32 s7, s9, s21
	v_ashrrev_i32_e32 v67, 31, v66
	v_accvgpr_read_b32 v1, a13
	v_accvgpr_read_b32 v2, a14
	;; [unrolled: 1-line block ×3, first 2 shown]
	v_lshl_add_u64 v[4:5], v[66:67], 1, s[6:7]
	v_mov_b32_e32 v9, 0
	v_lshlrev_b32_e32 v6, 8, v18
	v_mov_b32_e32 v7, 0
	s_and_saveexec_b64 s[6:7], vcc
	s_cbranch_execz .LBB188_68
; %bb.67:
	v_mov_b32_e32 v7, 0
	v_lshl_add_u64 v[20:21], v[4:5], 0, v[6:7]
	global_load_ushort v7, v[20:21], off
	s_waitcnt vmcnt(0)
	v_lshlrev_b32_e32 v7, 16, v7
	v_sub_f32_e32 v0, v7, v0
	v_mul_f32_e32 v0, v16, v0
	v_lshrrev_b32_e32 v7, 16, v0
.LBB188_68:
	s_or_b64 exec, exec, s[6:7]
	v_lshlrev_b32_e32 v8, 8, v8
	s_and_saveexec_b64 s[6:7], s[0:1]
	s_cbranch_execz .LBB188_70
; %bb.69:
	v_mov_b32_e32 v9, 0
	v_lshl_add_u64 v[20:21], v[4:5], 0, v[8:9]
	global_load_ushort v0, v[20:21], off
	s_waitcnt vmcnt(0)
	v_lshlrev_b32_e32 v0, 16, v0
	v_sub_f32_e32 v0, v0, v1
	v_mul_f32_e32 v0, v14, v0
	v_lshrrev_b32_e32 v9, 16, v0
.LBB188_70:
	s_or_b64 exec, exec, s[6:7]
	v_mov_b32_e32 v13, 0
	v_lshlrev_b32_e32 v10, 8, v10
	v_mov_b32_e32 v11, 0
	s_and_saveexec_b64 s[6:7], s[2:3]
	s_cbranch_execz .LBB188_72
; %bb.71:
	v_mov_b32_e32 v11, 0
	v_lshl_add_u64 v[0:1], v[4:5], 0, v[10:11]
	global_load_ushort v0, v[0:1], off
	s_waitcnt vmcnt(0)
	v_lshlrev_b32_e32 v0, 16, v0
	v_sub_f32_e32 v0, v0, v2
	v_mul_f32_e32 v0, v17, v0
	v_lshrrev_b32_e32 v11, 16, v0
.LBB188_72:
	s_or_b64 exec, exec, s[6:7]
	v_lshlrev_b32_e32 v12, 8, v12
	s_and_saveexec_b64 s[6:7], s[4:5]
	s_cbranch_execz .LBB188_74
; %bb.73:
	v_mov_b32_e32 v13, 0
	v_lshl_add_u64 v[0:1], v[4:5], 0, v[12:13]
	global_load_ushort v0, v[0:1], off
	s_waitcnt vmcnt(0)
	v_lshlrev_b32_e32 v0, 16, v0
	v_sub_f32_e32 v0, v0, v3
	v_mul_f32_e32 v0, v15, v0
	v_lshrrev_b32_e32 v13, 16, v0
.LBB188_74:
	s_or_b64 exec, exec, s[6:7]
	v_lshlrev_b32_e32 v18, 6, v18
	s_mov_b32 s6, 0x5040100
	v_perm_b32 v20, v9, v7, s6
	v_or_b32_e32 v7, v18, v34
	v_accvgpr_read_b32 v0, a8
	v_perm_b32 v21, v13, v11, s6
	v_lshlrev_b32_e32 v7, 1, v7
	v_accvgpr_read_b32 v1, a9
	v_accvgpr_read_b32 v2, a10
	;; [unrolled: 1-line block ×3, first 2 shown]
	ds_write_b64 v7, v[20:21] offset:24576
	v_mov_b32_e32 v9, 0
	v_mov_b32_e32 v7, 0
	s_and_saveexec_b64 s[6:7], vcc
	s_cbranch_execz .LBB188_76
; %bb.75:
	v_mov_b32_e32 v7, 0
	v_lshl_add_u64 v[20:21], v[4:5], 0, v[6:7]
	global_load_ushort v7, v[20:21], off offset:32
	s_waitcnt vmcnt(0)
	v_lshlrev_b32_e32 v7, 16, v7
	v_sub_f32_e32 v0, v7, v0
	v_mul_f32_e32 v0, v16, v0
	v_lshrrev_b32_e32 v7, 16, v0
.LBB188_76:
	s_or_b64 exec, exec, s[6:7]
	s_and_saveexec_b64 s[6:7], s[0:1]
	s_cbranch_execz .LBB188_78
; %bb.77:
	v_mov_b32_e32 v9, 0
	v_lshl_add_u64 v[20:21], v[4:5], 0, v[8:9]
	global_load_ushort v0, v[20:21], off offset:32
	s_waitcnt vmcnt(0)
	v_lshlrev_b32_e32 v0, 16, v0
	v_sub_f32_e32 v0, v0, v1
	v_mul_f32_e32 v0, v14, v0
	v_lshrrev_b32_e32 v9, 16, v0
.LBB188_78:
	s_or_b64 exec, exec, s[6:7]
	v_mov_b32_e32 v13, 0
	v_mov_b32_e32 v11, 0
	s_and_saveexec_b64 s[6:7], s[2:3]
	s_cbranch_execz .LBB188_80
; %bb.79:
	v_mov_b32_e32 v11, 0
	v_lshl_add_u64 v[0:1], v[4:5], 0, v[10:11]
	global_load_ushort v0, v[0:1], off offset:32
	s_waitcnt vmcnt(0)
	v_lshlrev_b32_e32 v0, 16, v0
	v_sub_f32_e32 v0, v0, v2
	v_mul_f32_e32 v0, v17, v0
	v_lshrrev_b32_e32 v11, 16, v0
.LBB188_80:
	s_or_b64 exec, exec, s[6:7]
	s_and_saveexec_b64 s[6:7], s[4:5]
	s_cbranch_execz .LBB188_82
; %bb.81:
	v_mov_b32_e32 v13, 0
	v_lshl_add_u64 v[0:1], v[4:5], 0, v[12:13]
	global_load_ushort v0, v[0:1], off offset:32
	s_waitcnt vmcnt(0)
	v_lshlrev_b32_e32 v0, 16, v0
	v_sub_f32_e32 v0, v0, v3
	v_mul_f32_e32 v0, v15, v0
	v_lshrrev_b32_e32 v13, 16, v0
.LBB188_82:
	s_or_b64 exec, exec, s[6:7]
	s_mov_b32 s6, 0x5040100
	v_perm_b32 v20, v9, v7, s6
	v_or_b32_e32 v7, v18, v23
	v_accvgpr_read_b32 v0, a4
	v_perm_b32 v21, v13, v11, s6
	v_lshlrev_b32_e32 v7, 1, v7
	v_accvgpr_read_b32 v1, a5
	v_accvgpr_read_b32 v2, a6
	;; [unrolled: 1-line block ×3, first 2 shown]
	ds_write_b64 v7, v[20:21] offset:24576
	v_mov_b32_e32 v9, 0
	v_mov_b32_e32 v7, 0
	s_and_saveexec_b64 s[6:7], vcc
	s_cbranch_execz .LBB188_84
; %bb.83:
	v_mov_b32_e32 v7, 0
	v_lshl_add_u64 v[20:21], v[4:5], 0, v[6:7]
	global_load_ushort v7, v[20:21], off offset:64
	s_waitcnt vmcnt(0)
	v_lshlrev_b32_e32 v7, 16, v7
	v_sub_f32_e32 v0, v7, v0
	v_mul_f32_e32 v0, v16, v0
	v_lshrrev_b32_e32 v7, 16, v0
.LBB188_84:
	s_or_b64 exec, exec, s[6:7]
	s_and_saveexec_b64 s[6:7], s[0:1]
	s_cbranch_execz .LBB188_86
; %bb.85:
	v_mov_b32_e32 v9, 0
	v_lshl_add_u64 v[20:21], v[4:5], 0, v[8:9]
	global_load_ushort v0, v[20:21], off offset:64
	s_waitcnt vmcnt(0)
	v_lshlrev_b32_e32 v0, 16, v0
	v_sub_f32_e32 v0, v0, v1
	v_mul_f32_e32 v0, v14, v0
	v_lshrrev_b32_e32 v9, 16, v0
.LBB188_86:
	s_or_b64 exec, exec, s[6:7]
	v_mov_b32_e32 v13, 0
	v_mov_b32_e32 v11, 0
	s_and_saveexec_b64 s[6:7], s[2:3]
	s_cbranch_execz .LBB188_88
; %bb.87:
	v_mov_b32_e32 v11, 0
	v_lshl_add_u64 v[0:1], v[4:5], 0, v[10:11]
	global_load_ushort v0, v[0:1], off offset:64
	s_waitcnt vmcnt(0)
	v_lshlrev_b32_e32 v0, 16, v0
	v_sub_f32_e32 v0, v0, v2
	v_mul_f32_e32 v0, v17, v0
	v_lshrrev_b32_e32 v11, 16, v0
.LBB188_88:
	s_or_b64 exec, exec, s[6:7]
	s_and_saveexec_b64 s[6:7], s[4:5]
	s_cbranch_execz .LBB188_90
; %bb.89:
	v_mov_b32_e32 v13, 0
	v_lshl_add_u64 v[0:1], v[4:5], 0, v[12:13]
	global_load_ushort v0, v[0:1], off offset:64
	s_waitcnt vmcnt(0)
	v_lshlrev_b32_e32 v0, 16, v0
	v_sub_f32_e32 v0, v0, v3
	v_mul_f32_e32 v0, v15, v0
	v_lshrrev_b32_e32 v13, 16, v0
.LBB188_90:
	s_or_b64 exec, exec, s[6:7]
	s_mov_b32 s6, 0x5040100
	v_perm_b32 v20, v9, v7, s6
	v_or_b32_e32 v7, v18, v22
	v_accvgpr_read_b32 v0, a0
	v_perm_b32 v21, v13, v11, s6
	v_lshlrev_b32_e32 v7, 1, v7
	v_accvgpr_read_b32 v1, a1
	v_accvgpr_read_b32 v2, a2
	;; [unrolled: 1-line block ×3, first 2 shown]
	ds_write_b64 v7, v[20:21] offset:24576
	v_mov_b32_e32 v9, 0
	v_mov_b32_e32 v7, 0
	s_and_saveexec_b64 s[6:7], vcc
	s_cbranch_execz .LBB188_92
; %bb.91:
	v_mov_b32_e32 v7, 0
	v_lshl_add_u64 v[6:7], v[4:5], 0, v[6:7]
	global_load_ushort v6, v[6:7], off offset:96
	s_waitcnt vmcnt(0)
	v_lshlrev_b32_e32 v6, 16, v6
	v_sub_f32_e32 v0, v6, v0
	v_mul_f32_e32 v0, v16, v0
	v_lshrrev_b32_e32 v7, 16, v0
.LBB188_92:
	s_or_b64 exec, exec, s[6:7]
	s_and_saveexec_b64 s[6:7], s[0:1]
	s_cbranch_execz .LBB188_94
; %bb.93:
	v_mov_b32_e32 v9, 0
	v_lshl_add_u64 v[8:9], v[4:5], 0, v[8:9]
	global_load_ushort v0, v[8:9], off offset:96
	s_waitcnt vmcnt(0)
	v_lshlrev_b32_e32 v0, 16, v0
	v_sub_f32_e32 v0, v0, v1
	v_mul_f32_e32 v0, v14, v0
	v_lshrrev_b32_e32 v9, 16, v0
.LBB188_94:
	s_or_b64 exec, exec, s[6:7]
	v_mov_b32_e32 v0, 0
	v_mov_b32_e32 v1, 0
	s_and_saveexec_b64 s[0:1], s[2:3]
	s_cbranch_execz .LBB188_96
; %bb.95:
	v_mov_b32_e32 v11, 0
	v_lshl_add_u64 v[10:11], v[4:5], 0, v[10:11]
	global_load_ushort v1, v[10:11], off offset:96
	s_waitcnt vmcnt(0)
	v_lshlrev_b32_e32 v1, 16, v1
	v_sub_f32_e32 v1, v1, v2
	v_mul_f32_e32 v1, v17, v1
	v_lshrrev_b32_e32 v1, 16, v1
.LBB188_96:
	s_or_b64 exec, exec, s[0:1]
	s_and_saveexec_b64 s[0:1], s[4:5]
	s_cbranch_execz .LBB188_98
; %bb.97:
	v_mov_b32_e32 v13, 0
	v_lshl_add_u64 v[4:5], v[4:5], 0, v[12:13]
	global_load_ushort v0, v[4:5], off offset:96
	s_waitcnt vmcnt(0)
	v_lshlrev_b32_e32 v0, 16, v0
	v_sub_f32_e32 v0, v0, v3
	v_mul_f32_e32 v0, v15, v0
	v_lshrrev_b32_e32 v0, 16, v0
.LBB188_98:
	s_or_b64 exec, exec, s[0:1]
	s_mov_b32 s0, 0x5040100
	v_or_b32_e32 v2, v18, v19
	v_perm_b32 v1, v0, v1, s0
	v_perm_b32 v0, v9, v7, s0
	v_lshlrev_b32_e32 v2, 1, v2
	ds_write_b64 v2, v[0:1] offset:24576
	s_waitcnt lgkmcnt(0)
	s_barrier
.LBB188_99:
	s_endpgm
	.section	.rodata,"a",@progbits
	.p2align	6, 0x0
	.amdhsa_kernel _ZN12_GLOBAL__N_139chunk_gated_delta_rule_fwd_h_hip_kernelILi64ELb1ELb0ELb0ELb0ELb1ELb0ELb0ELb0EEEvPK12hip_bfloat16S3_S3_PKfS5_PKvPS1_S8_PvPKiSB_iiiiilll
		.amdhsa_group_segment_fixed_size 65536
		.amdhsa_private_segment_fixed_size 0
		.amdhsa_kernarg_size 136
		.amdhsa_user_sgpr_count 2
		.amdhsa_user_sgpr_dispatch_ptr 0
		.amdhsa_user_sgpr_queue_ptr 0
		.amdhsa_user_sgpr_kernarg_segment_ptr 1
		.amdhsa_user_sgpr_dispatch_id 0
		.amdhsa_user_sgpr_kernarg_preload_length 0
		.amdhsa_user_sgpr_kernarg_preload_offset 0
		.amdhsa_user_sgpr_private_segment_size 0
		.amdhsa_uses_dynamic_stack 0
		.amdhsa_enable_private_segment 0
		.amdhsa_system_sgpr_workgroup_id_x 1
		.amdhsa_system_sgpr_workgroup_id_y 1
		.amdhsa_system_sgpr_workgroup_id_z 0
		.amdhsa_system_sgpr_workgroup_info 0
		.amdhsa_system_vgpr_workitem_id 0
		.amdhsa_next_free_vgpr 216
		.amdhsa_next_free_sgpr 66
		.amdhsa_accum_offset 180
		.amdhsa_reserve_vcc 1
		.amdhsa_float_round_mode_32 0
		.amdhsa_float_round_mode_16_64 0
		.amdhsa_float_denorm_mode_32 3
		.amdhsa_float_denorm_mode_16_64 3
		.amdhsa_dx10_clamp 1
		.amdhsa_ieee_mode 1
		.amdhsa_fp16_overflow 0
		.amdhsa_tg_split 0
		.amdhsa_exception_fp_ieee_invalid_op 0
		.amdhsa_exception_fp_denorm_src 0
		.amdhsa_exception_fp_ieee_div_zero 0
		.amdhsa_exception_fp_ieee_overflow 0
		.amdhsa_exception_fp_ieee_underflow 0
		.amdhsa_exception_fp_ieee_inexact 0
		.amdhsa_exception_int_div_zero 0
	.end_amdhsa_kernel
	.section	.text._ZN12_GLOBAL__N_139chunk_gated_delta_rule_fwd_h_hip_kernelILi64ELb1ELb0ELb0ELb0ELb1ELb0ELb0ELb0EEEvPK12hip_bfloat16S3_S3_PKfS5_PKvPS1_S8_PvPKiSB_iiiiilll,"axG",@progbits,_ZN12_GLOBAL__N_139chunk_gated_delta_rule_fwd_h_hip_kernelILi64ELb1ELb0ELb0ELb0ELb1ELb0ELb0ELb0EEEvPK12hip_bfloat16S3_S3_PKfS5_PKvPS1_S8_PvPKiSB_iiiiilll,comdat
.Lfunc_end188:
	.size	_ZN12_GLOBAL__N_139chunk_gated_delta_rule_fwd_h_hip_kernelILi64ELb1ELb0ELb0ELb0ELb1ELb0ELb0ELb0EEEvPK12hip_bfloat16S3_S3_PKfS5_PKvPS1_S8_PvPKiSB_iiiiilll, .Lfunc_end188-_ZN12_GLOBAL__N_139chunk_gated_delta_rule_fwd_h_hip_kernelILi64ELb1ELb0ELb0ELb0ELb1ELb0ELb0ELb0EEEvPK12hip_bfloat16S3_S3_PKfS5_PKvPS1_S8_PvPKiSB_iiiiilll
                                        ; -- End function
	.section	.AMDGPU.csdata,"",@progbits
; Kernel info:
; codeLenInByte = 10720
; NumSgprs: 72
; NumVgprs: 178
; NumAgprs: 36
; TotalNumVgprs: 216
; ScratchSize: 0
; MemoryBound: 0
; FloatMode: 240
; IeeeMode: 1
; LDSByteSize: 65536 bytes/workgroup (compile time only)
; SGPRBlocks: 8
; VGPRBlocks: 26
; NumSGPRsForWavesPerEU: 72
; NumVGPRsForWavesPerEU: 216
; AccumOffset: 180
; Occupancy: 1
; WaveLimiterHint : 1
; COMPUTE_PGM_RSRC2:SCRATCH_EN: 0
; COMPUTE_PGM_RSRC2:USER_SGPR: 2
; COMPUTE_PGM_RSRC2:TRAP_HANDLER: 0
; COMPUTE_PGM_RSRC2:TGID_X_EN: 1
; COMPUTE_PGM_RSRC2:TGID_Y_EN: 1
; COMPUTE_PGM_RSRC2:TGID_Z_EN: 0
; COMPUTE_PGM_RSRC2:TIDIG_COMP_CNT: 0
; COMPUTE_PGM_RSRC3_GFX90A:ACCUM_OFFSET: 44
; COMPUTE_PGM_RSRC3_GFX90A:TG_SPLIT: 0
	.section	.text._ZN12_GLOBAL__N_139chunk_gated_delta_rule_fwd_h_hip_kernelILi64ELb0ELb1ELb1ELb0ELb1ELb0ELb0ELb0EEEvPK12hip_bfloat16S3_S3_PKfS5_PKvPS1_S8_PvPKiSB_iiiiilll,"axG",@progbits,_ZN12_GLOBAL__N_139chunk_gated_delta_rule_fwd_h_hip_kernelILi64ELb0ELb1ELb1ELb0ELb1ELb0ELb0ELb0EEEvPK12hip_bfloat16S3_S3_PKfS5_PKvPS1_S8_PvPKiSB_iiiiilll,comdat
	.globl	_ZN12_GLOBAL__N_139chunk_gated_delta_rule_fwd_h_hip_kernelILi64ELb0ELb1ELb1ELb0ELb1ELb0ELb0ELb0EEEvPK12hip_bfloat16S3_S3_PKfS5_PKvPS1_S8_PvPKiSB_iiiiilll ; -- Begin function _ZN12_GLOBAL__N_139chunk_gated_delta_rule_fwd_h_hip_kernelILi64ELb0ELb1ELb1ELb0ELb1ELb0ELb0ELb0EEEvPK12hip_bfloat16S3_S3_PKfS5_PKvPS1_S8_PvPKiSB_iiiiilll
	.p2align	8
	.type	_ZN12_GLOBAL__N_139chunk_gated_delta_rule_fwd_h_hip_kernelILi64ELb0ELb1ELb1ELb0ELb1ELb0ELb0ELb0EEEvPK12hip_bfloat16S3_S3_PKfS5_PKvPS1_S8_PvPKiSB_iiiiilll,@function
_ZN12_GLOBAL__N_139chunk_gated_delta_rule_fwd_h_hip_kernelILi64ELb0ELb1ELb1ELb0ELb1ELb0ELb0ELb0EEEvPK12hip_bfloat16S3_S3_PKfS5_PKvPS1_S8_PvPKiSB_iiiiilll: ; @_ZN12_GLOBAL__N_139chunk_gated_delta_rule_fwd_h_hip_kernelILi64ELb0ELb1ELb1ELb0ELb1ELb0ELb0ELb0EEEvPK12hip_bfloat16S3_S3_PKfS5_PKvPS1_S8_PvPKiSB_iiiiilll
; %bb.0:
	s_load_dwordx4 s[16:19], s[0:1], 0x5c
	s_load_dwordx4 s[20:23], s[0:1], 0x70
	s_abs_i32 s14, s3
	s_ashr_i32 s13, s3, 31
	s_load_dwordx8 s[4:11], s[0:1], 0x0
	s_waitcnt lgkmcnt(0)
	s_abs_i32 s12, s17
	v_cvt_f32_u32_e32 v1, s12
	s_sub_i32 s24, 0, s12
	s_ashr_i32 s15, s17, 31
	s_xor_b32 s13, s13, s15
	v_rcp_iflag_f32_e32 v1, v1
	v_lshrrev_b32_e32 v74, 6, v0
	v_bfe_u32 v77, v0, 4, 2
	v_lshlrev_b32_e32 v75, 4, v74
	v_mul_f32_e32 v1, 0x4f7ffffe, v1
	v_cvt_u32_f32_e32 v1, v1
	v_lshlrev_b32_e32 v34, 2, v77
	v_and_b32_e32 v76, 63, v0
	v_mov_b32_e32 v5, 0
	v_readfirstlane_b32 s25, v1
	s_mul_i32 s24, s24, s25
	s_mul_hi_u32 s24, s25, s24
	s_add_i32 s25, s25, s24
	s_mul_hi_u32 s24, s14, s25
	s_mul_i32 s25, s24, s12
	s_sub_i32 s14, s14, s25
	s_add_i32 s26, s24, 1
	s_sub_i32 s25, s14, s12
	s_cmp_ge_u32 s14, s12
	s_cselect_b32 s24, s26, s24
	s_cselect_b32 s14, s25, s14
	s_add_i32 s25, s24, 1
	s_cmp_ge_u32 s14, s12
	s_cselect_b32 s14, s25, s24
	s_xor_b32 s14, s14, s13
	s_sub_i32 s49, s14, s13
	s_abs_i32 s13, s18
	v_cvt_f32_u32_e32 v1, s13
	s_add_i32 s24, s16, 63
	s_mul_i32 s47, s49, s17
	s_sub_i32 s33, s3, s47
	v_rcp_iflag_f32_e32 v1, v1
	s_ashr_i32 s3, s24, 31
	s_ashr_i32 s48, s16, 31
	s_lshr_b32 s3, s3, 26
	v_mul_f32_e32 v1, 0x4f7ffffe, v1
	v_cvt_u32_f32_e32 v1, v1
	s_lshr_b32 s14, s48, 26
	s_add_i32 s24, s24, s3
	s_add_i32 s14, s16, s14
	s_ashr_i32 s51, s18, 31
	s_ashr_i32 s3, s24, 6
	;; [unrolled: 1-line block ×3, first 2 shown]
	s_xor_b32 s14, s15, s51
	s_sub_i32 s15, 0, s13
	v_readfirstlane_b32 s24, v1
	s_mul_i32 s15, s15, s24
	s_mul_hi_u32 s15, s24, s15
	s_add_i32 s24, s24, s15
	s_mul_hi_u32 s15, s12, s24
	s_mul_i32 s24, s15, s13
	s_sub_i32 s12, s12, s24
	s_add_i32 s24, s15, 1
	s_sub_i32 s25, s12, s13
	s_cmp_ge_u32 s12, s13
	s_cselect_b32 s15, s24, s15
	s_cselect_b32 s12, s25, s12
	s_add_i32 s24, s15, 1
	s_cmp_ge_u32 s12, s13
	s_cselect_b32 s12, s24, s15
	s_xor_b32 s12, s12, s14
	s_sub_i32 s24, s12, s14
	s_abs_i32 s25, s24
	v_cvt_f32_u32_e32 v1, s25
	s_load_dwordx2 s[34:35], s[0:1], 0x40
	s_load_dwordx4 s[12:15], s[0:1], 0x30
	s_load_dwordx2 s[36:37], s[0:1], 0x80
	s_xor_b32 s0, s33, s24
	s_sub_i32 s24, 0, s25
	v_rcp_iflag_f32_e32 v1, v1
	s_abs_i32 s1, s33
	s_ashr_i32 s0, s0, 31
	s_mul_i32 s52, s49, s3
	v_mul_f32_e32 v1, 0x4f7ffffe, v1
	v_cvt_u32_f32_e32 v1, v1
	v_and_b32_e32 v78, 15, v0
	s_mul_hi_i32 s53, s49, s17
	v_lshrrev_b32_e32 v80, 3, v76
	v_readfirstlane_b32 s26, v1
	s_mul_i32 s24, s24, s26
	s_mul_hi_u32 s24, s26, s24
	s_add_i32 s26, s26, s24
	s_mul_hi_u32 s24, s1, s26
	s_mul_i32 s26, s24, s25
	s_sub_i32 s1, s1, s26
	s_add_i32 s26, s24, 1
	s_sub_i32 s27, s1, s25
	s_cmp_ge_u32 s1, s25
	s_cselect_b32 s24, s26, s24
	s_cselect_b32 s1, s27, s1
	s_add_i32 s26, s24, 1
	s_cmp_ge_u32 s1, s25
	s_cselect_b32 s1, s26, s24
	s_xor_b32 s1, s1, s0
	s_sub_i32 s54, s1, s0
	v_or_b32_e32 v1, v34, v75
	s_lshl_b32 s2, s2, 6
	v_or_b32_e32 v81, 64, v1
	s_cmp_lt_i32 s16, 64
	v_lshlrev_b32_e32 v79, 3, v0
	s_mul_i32 s21, s49, s21
	s_mul_hi_u32 s46, s49, s20
	s_mul_i32 s38, s49, s20
	v_mov_b32_e32 v4, v5
	v_mov_b32_e32 v3, v5
	;; [unrolled: 1-line block ×31, first 2 shown]
	s_cbranch_scc1 .LBB189_18
; %bb.1:
	s_ashr_i32 s3, s49, 31
	s_ashr_i32 s56, s33, 31
	s_add_u32 s0, s47, s33
	s_addc_u32 s1, s53, s56
	s_mul_i32 s1, s16, s1
	s_mul_hi_u32 s24, s16, s0
	s_add_i32 s41, s24, s1
	s_mul_i32 s40, s16, s0
	s_lshl_b64 s[0:1], s[40:41], 8
	v_and_b32_e32 v83, 56, v79
	s_add_u32 s24, s6, s0
	v_lshl_or_b32 v82, v74, 3, v80
	v_lshlrev_b32_e32 v2, 1, v83
	s_addc_u32 s0, s7, s1
	v_lshl_or_b32 v84, v82, 8, v2
	s_and_b32 s25, s0, 0xffff
	s_mov_b32 s27, 0x20000
	s_movk_i32 s26, 0x4000
	s_movk_i32 s0, 0x80
	v_or_b32_e32 v85, 0x2000, v84
	buffer_load_dwordx4 v[4:7], v84, s[24:27], 0 offen
	buffer_load_dwordx4 v[8:11], v84, s[24:27], s0 offen
	;; [unrolled: 1-line block ×4, first 2 shown]
	v_lshlrev_b32_e32 v3, 3, v82
	v_and_or_b32 v21, v0, 7, v3
	v_and_b32_e32 v3, 0x78, v3
	v_lshlrev_b32_e32 v21, 4, v21
	v_xor_b32_e32 v86, v21, v3
	v_mul_lo_u32 v20, v82, s19
	v_or_b32_e32 v87, 0x1000, v86
	v_xor_b32_e32 v3, 8, v86
	s_cmpk_eq_i32 s19, 0x80
	s_mov_b32 s55, s18
	v_xor_b32_e32 v21, 8, v87
	s_cselect_b64 s[0:1], -1, 0
	s_cmpk_lg_i32 s19, 0x80
	s_waitcnt vmcnt(3)
	ds_write_b64 v86, v[4:5] offset:49152
	ds_write_b64 v3, v[6:7] offset:49152
	s_waitcnt vmcnt(2)
	ds_write_b64 v86, v[8:9] offset:57344
	ds_write_b64 v3, v[10:11] offset:57344
	;; [unrolled: 3-line block ×4, first 2 shown]
	v_lshl_add_u32 v3, v20, 1, v83
	s_cbranch_scc0 .LBB189_3
; %bb.2:
	v_lshlrev_b32_e32 v5, 1, v3
	v_add_lshl_u32 v4, v3, s19, 1
	s_lshl_b32 s26, s19, 7
	v_lshl_or_b32 v2, v82, 9, v2
	s_cbranch_execz .LBB189_4
	s_branch .LBB189_5
.LBB189_3:
                                        ; implicit-def: $vgpr4
                                        ; implicit-def: $vgpr5
                                        ; implicit-def: $sgpr26
	v_lshl_or_b32 v2, v82, 9, v2
.LBB189_4:
	v_or_b32_e32 v4, 0x100, v2
	s_movk_i32 s26, 0x4000
	v_mov_b32_e32 v5, v2
.LBB189_5:
	s_mul_hi_u32 s24, s18, s16
	s_mul_i32 s25, s51, s16
	s_add_i32 s24, s24, s25
	s_mul_i32 s25, s18, s16
	s_mul_i32 s27, s25, s3
	s_mul_hi_u32 s28, s25, s49
	s_add_i32 s27, s28, s27
	s_mul_i32 s24, s24, s49
	s_add_i32 s27, s27, s24
	s_mul_i32 s25, s25, s49
	s_ashr_i32 s57, s54, 31
	s_add_u32 s24, s25, s54
	s_addc_u32 s25, s27, s57
	s_lshl_b64 s[24:25], s[24:25], 8
	s_add_u32 s24, s4, s24
	s_addc_u32 s25, s5, s25
	s_and_b32 s25, s25, 0xffff
	s_mov_b32 s27, 0x20000
	s_movk_i32 s58, 0x80
	buffer_load_dwordx4 v[6:9], v5, s[24:27], 0 offen
	buffer_load_dwordx4 v[10:13], v5, s[24:27], s58 offen
	;; [unrolled: 1-line block ×4, first 2 shown]
	v_and_b32_e32 v5, 6, v0
	v_lshlrev_b32_e32 v4, 7, v1
	v_xor_b32_e32 v26, v82, v5
	v_and_b32_e32 v22, 1, v0
	v_lshl_or_b32 v29, v78, 3, v4
	v_lshlrev_b32_e32 v26, 2, v26
	v_or_b32_e32 v88, 0x4000, v29
	v_or_b32_e32 v89, 0x6000, v29
	v_xor_b32_e32 v29, 0x440, v26
	v_cmp_eq_u32_e32 vcc, 0, v22
	v_lshlrev_b32_e32 v23, 2, v78
	s_mov_b32 s60, 0x1000504
	v_cndmask_b32_e32 v22, v29, v26, vcc
	v_xor_b32_e32 v27, v1, v23
	v_xor_b32_e32 v28, v81, v23
	v_lshl_or_b32 v5, v5, 10, v22
	s_mov_b32 s61, 0x3020706
	s_mul_i32 s24, s3, s16
	s_mul_hi_u32 s25, s49, s16
	v_lshlrev_b32_e32 v24, 8, v78
	v_or_b32_e32 v25, 16, v78
	v_lshlrev_b32_e32 v27, 1, v27
	v_lshlrev_b32_e32 v28, 1, v28
	v_xor_b32_e32 v22, 8, v5
	v_xor_b32_e32 v26, 24, v5
	v_xor_b32_e32 v31, 40, v5
	v_xor_b32_e32 v33, 56, v5
	v_or_b32_e32 v91, v24, v27
	v_or_b32_e32 v92, v24, v28
	v_xor_b32_e32 v24, 16, v5
	v_xor_b32_e32 v29, 32, v5
	v_xor_b32_e32 v32, 48, v5
	v_add_u32_e32 v22, 0x80, v22
	v_add_u32_e32 v26, 0x80, v26
	;; [unrolled: 1-line block ×4, first 2 shown]
	s_add_i32 s63, s25, s24
	s_add_i32 s24, s46, s21
	s_mul_i32 s3, s3, s20
	s_add_i32 s39, s24, s3
	s_mul_i32 s3, s33, s23
	s_mul_hi_u32 s24, s33, s22
	s_add_i32 s3, s24, s3
	s_mul_i32 s24, s56, s22
	s_add_i32 s25, s3, s24
	s_lshl_b64 s[28:29], s[38:39], 2
	s_mul_i32 s24, s33, s22
	s_add_u32 s3, s10, s28
	s_addc_u32 s28, s11, s29
	s_lshl_b64 s[24:25], s[24:25], 2
	s_add_u32 s42, s3, s24
	s_movk_i32 s3, 0xf8
	s_addc_u32 s43, s28, s25
	s_lshl_b32 s30, s19, 7
	s_movk_i32 s28, 0x100
	v_mov_b32_e32 v67, 0
	v_lshlrev_b32_e32 v66, 4, v78
	v_cmp_gt_u32_e32 vcc, s28, v0
	v_lshl_or_b32 v30, v25, 3, v4
	s_mov_b32 s59, 0
	s_mul_i32 s62, s49, s16
	v_or_b32_e32 v90, 0x4000, v30
	s_movk_i32 s26, 0x4000
	v_or_b32_e32 v93, 0x6000, v30
	v_add_u32_e32 v128, v75, v34
	s_movk_i32 s39, 0x2000
	s_movk_i32 s64, 0x3000
	s_mov_b32 s66, 0
	v_mov_b32_e32 v30, v67
	s_waitcnt vmcnt(1)
	v_perm_b32 v35, v6, v14, s60
	s_waitcnt vmcnt(0)
	v_perm_b32 v36, v10, v18, s60
	v_perm_b32 v6, v6, v14, s61
	;; [unrolled: 1-line block ×15, first 2 shown]
	ds_write2st64_b32 v5, v35, v36 offset0:128 offset1:160
	ds_write2st64_b32 v22, v6, v10 offset0:128 offset1:160
	;; [unrolled: 1-line block ×8, first 2 shown]
	v_lshlrev_b32_e32 v5, 8, v25
	v_or_b32_e32 v94, v5, v27
	v_or_b32_e32 v95, v5, v28
	;; [unrolled: 1-line block ×3, first 2 shown]
	v_lshl_or_b32 v6, v5, 3, v4
	v_lshlrev_b32_e32 v5, 8, v5
	v_or_b32_e32 v98, v5, v27
	v_or_b32_e32 v99, v5, v28
	v_or_b32_e32 v5, 48, v78
	v_or_b32_e32 v96, 0x4000, v6
	v_or_b32_e32 v97, 0x6000, v6
	v_lshl_or_b32 v6, v5, 3, v4
	v_lshlrev_b32_e32 v5, 8, v5
	v_or_b32_e32 v102, v5, v27
	v_or_b32_e32 v103, v5, v28
	;; [unrolled: 1-line block ×3, first 2 shown]
	v_lshlrev_b32_e32 v5, 3, v5
	v_lshrrev_b32_e32 v7, 5, v76
	v_and_or_b32 v7, v5, s3, v7
	v_lshlrev_b32_e32 v7, 4, v7
	v_lshlrev_b32_e32 v10, 11, v74
	v_and_b32_e32 v5, 0x78, v5
	v_or_b32_e32 v13, 32, v7
	v_or_b32_e32 v100, 0x4000, v6
	;; [unrolled: 1-line block ×3, first 2 shown]
	v_and_b32_e32 v6, 0x1000, v10
	v_xor_b32_e32 v8, v7, v5
	v_lshrrev_b32_e32 v11, 1, v0
	v_xor_b32_e32 v13, v13, v5
	v_or_b32_e32 v8, v8, v6
	v_and_b32_e32 v9, 8, v11
	v_lshlrev_b32_e32 v12, 8, v77
	v_or_b32_e32 v13, v13, v6
	v_xor_b32_e32 v104, v8, v9
	v_or_b32_e32 v8, v12, v23
	v_xor_b32_e32 v106, v13, v9
	v_or_b32_e32 v13, 64, v7
	v_or_b32_e32 v7, 0x60, v7
	s_ashr_i32 s3, s2, 31
	v_lshlrev_b32_e32 v8, 1, v8
	v_xor_b32_e32 v13, v13, v5
	v_xor_b32_e32 v5, v7, v5
	s_lshl_b64 s[24:25], s[2:3], 8
	v_or_b32_e32 v105, 0x4000, v8
	v_or_b32_e32 v107, 0x4080, v8
	;; [unrolled: 1-line block ×10, first 2 shown]
	s_waitcnt lgkmcnt(0)
	s_add_u32 s24, s12, s24
	v_lshlrev_b32_e32 v8, 1, v78
	v_xor_b32_e32 v110, v13, v9
	v_xor_b32_e32 v111, v5, v9
	v_lshrrev_b32_e32 v14, 4, v0
	s_addc_u32 s25, s13, s25
	v_or_b32_e32 v9, 1, v8
	v_mov_b32_e32 v18, 0xa000
	v_mov_b32_e32 v19, 0x8000
	v_xor_b32_e32 v15, v14, v8
	v_xor_b32_e32 v16, v9, v14
	v_lshl_add_u64 v[8:9], s[24:25], 0, v[66:67]
	v_lshlrev_b32_e32 v66, 8, v14
	v_cndmask_b32_e32 v18, v18, v19, vcc
	v_lshlrev_b32_e32 v19, 3, v74
	v_and_b32_e32 v11, 24, v11
	v_lshl_or_b32 v116, v15, 3, v66
	v_and_b32_e32 v15, 8, v0
	v_xor_b32_e32 v20, v19, v11
	v_or_b32_e32 v21, 0x440, v20
	v_cmp_eq_u32_e32 vcc, 0, v15
	v_and_b32_e32 v14, 7, v0
	v_lshl_or_b32 v117, v16, 3, v66
	v_cndmask_b32_e32 v15, v21, v20, vcc
	v_lshlrev_b32_e32 v16, 3, v14
	v_lshlrev_b32_e32 v14, 7, v14
	v_or_b32_e32 v15, v15, v10
	v_lshlrev_b32_e32 v17, 2, v0
	v_xad_u32 v118, v15, v16, v14
	v_or_b32_e32 v15, 32, v11
	v_and_or_b32 v12, v17, 60, v12
	v_xor_b32_e32 v15, v19, v15
	v_lshlrev_b32_e32 v12, 1, v12
	v_or_b32_e32 v17, 0x440, v15
	v_or_b32_e32 v119, 0x6000, v12
	v_cndmask_b32_e32 v15, v17, v15, vcc
	v_or_b32_e32 v121, 0x6080, v12
	v_or_b32_e32 v122, 0x6100, v12
	v_or_b32_e32 v123, 0x6180, v12
	v_or_b32_e32 v12, 64, v11
	v_or_b32_e32 v15, v15, v10
	v_xor_b32_e32 v12, v19, v12
	v_xad_u32 v120, v15, v16, v14
	v_xor_b32_e32 v15, 0x440, v12
	v_cndmask_b32_e32 v12, v15, v12, vcc
	v_or_b32_e32 v11, 0x60, v11
	v_or_b32_e32 v12, v12, v10
	v_xor_b32_e32 v11, v19, v11
	v_xad_u32 v124, v12, v16, v14
	v_xor_b32_e32 v12, 0x440, v11
	v_or_b32_e32 v6, s2, v78
	v_cndmask_b32_e32 v11, v12, v11, vcc
	v_ashrrev_i32_e32 v7, 31, v6
	v_lshlrev_b32_e32 v5, 1, v3
	v_add_lshl_u32 v3, v3, s19, 1
	v_or_b32_e32 v13, 0x100, v2
	v_or_b32_e32 v10, v11, v10
	v_xad_u32 v125, v10, v16, v14
	v_cndmask_b32_e64 v126, v5, v2, s[0:1]
	v_cndmask_b32_e64 v127, v3, v13, s[0:1]
	v_lshlrev_b64 v[2:3], 1, v[6:7]
	v_lshl_add_u64 v[68:69], s[8:9], 0, v[2:3]
	v_lshl_add_u64 v[70:71], s[14:15], 0, v[2:3]
	v_lshl_add_u64 v[72:73], v[8:9], 0, v[66:67]
	s_mov_b32 s3, 0x7060302
	v_lshlrev_b32_e32 v66, 1, v4
	v_add_u32_e32 v129, v18, v118
	v_add_u32_e32 v130, v18, v120
	;; [unrolled: 1-line block ×4, first 2 shown]
	v_mov_b32_e32 v26, v67
	v_mov_b32_e32 v27, v67
	;; [unrolled: 1-line block ×31, first 2 shown]
	s_barrier
.LBB189_6:                              ; =>This Inner Loop Header: Depth=1
	s_add_i32 s65, s66, 1
	s_cmp_lt_i32 s65, s50
	s_mov_b64 s[28:29], 0
	s_cselect_b64 s[44:45], -1, 0
	s_cmp_ge_i32 s65, s50
	s_mov_b64 s[24:25], 0
	s_cbranch_scc1 .LBB189_8
; %bb.7:                                ;   in Loop: Header=BB189_6 Depth=1
	s_add_i32 s0, s59, 64
	s_add_u32 s0, s40, s0
	s_addc_u32 s1, s41, 0
	s_lshl_b64 s[0:1], s[0:1], 8
	s_add_u32 s24, s6, s0
	s_addc_u32 s25, s7, s1
.LBB189_8:                              ;   in Loop: Header=BB189_6 Depth=1
	v_cndmask_b32_e64 v34, 0, 1, s[44:45]
	v_cmp_ne_u32_e64 s[0:1], 1, v34
	s_andn2_b64 vcc, exec, s[44:45]
	s_cbranch_vccnz .LBB189_10
; %bb.9:                                ;   in Loop: Header=BB189_6 Depth=1
	s_add_i32 s28, s59, 64
	s_add_u32 s28, s62, s28
	s_addc_u32 s29, s63, 0
	s_mul_i32 s31, s28, s51
	s_mul_hi_u32 s44, s28, s55
	s_add_i32 s31, s44, s31
	s_mul_i32 s29, s29, s55
	s_add_i32 s31, s31, s29
	s_mul_i32 s28, s28, s55
	s_add_u32 s28, s28, s54
	s_addc_u32 s29, s31, s57
	s_lshl_b64 s[28:29], s[28:29], 8
	s_add_u32 s28, s4, s28
	s_addc_u32 s29, s5, s29
.LBB189_10:                             ;   in Loop: Header=BB189_6 Depth=1
	v_perm_b32 v35, v33, v32, s3
	v_perm_b32 v34, v31, v30, s3
	v_perm_b32 v37, v29, v28, s3
	v_perm_b32 v36, v27, v26, s3
	ds_write_b64 v88, v[34:35]
	ds_write_b64 v89, v[36:37]
	ds_write_b64 v91, v[34:35]
	ds_write_b64 v92, v[36:37]
	v_perm_b32 v35, v25, v24, s3
	v_perm_b32 v34, v23, v22, s3
	v_perm_b32 v37, v21, v20, s3
	v_perm_b32 v36, v19, v18, s3
	ds_write_b64 v90, v[34:35]
	ds_write_b64 v93, v[36:37]
	ds_write_b64 v94, v[34:35]
	ds_write_b64 v95, v[36:37]
	;; [unrolled: 8-line block ×4, first 2 shown]
	s_waitcnt lgkmcnt(0)
	s_barrier
	ds_read_b64 v[38:39], v104 offset:49152
	ds_read2_b64 v[34:37], v105 offset1:16
	ds_read_b64 v[50:51], v107 offset:6144
	ds_read_b64 v[52:53], v105 offset:6144
	s_waitcnt lgkmcnt(2)
	v_mfma_f32_16x16x16_bf16 a[0:3], v[38:39], v[34:35], 0
	ds_read_b64 v[54:55], v106 offset:49152
	ds_read2st64_b64 v[42:45], v108 offset0:4 offset1:8
	ds_read2st64_b64 v[46:49], v109 offset0:4 offset1:8
	v_mfma_f32_16x16x16_bf16 a[4:7], v[38:39], v[36:37], 0
	ds_read2_b64 v[34:37], v105 offset0:32 offset1:48
	s_add_i32 s31, s59, 63
	s_mul_i32 s44, s31, s37
	s_waitcnt lgkmcnt(0)
	v_mfma_f32_16x16x16_bf16 a[8:11], v[38:39], v[34:35], 0
	s_mul_hi_u32 s45, s31, s36
	s_add_i32 s45, s45, s44
	s_mul_i32 s44, s31, s36
	v_mfma_f32_16x16x16_bf16 a[12:15], v[38:39], v[36:37], 0
	ds_read2st64_b64 v[34:37], v105 offset0:4 offset1:8
	ds_read2st64_b64 v[38:41], v107 offset0:4 offset1:8
	s_lshl_b64 s[44:45], s[44:45], 2
	s_waitcnt lgkmcnt(1)
	v_mfma_f32_16x16x16_bf16 a[0:3], v[54:55], v[34:35], a[0:3]
	s_add_u32 s44, s42, s44
	s_addc_u32 s45, s43, s45
	s_and_b64 vcc, exec, s[0:1]
	s_waitcnt lgkmcnt(0)
	v_mfma_f32_16x16x16_bf16 a[4:7], v[54:55], v[38:39], a[4:7]
	v_mov_b32_e32 v135, 0
	v_mov_b32_e32 v134, 0
	;; [unrolled: 1-line block ×3, first 2 shown]
	v_mfma_f32_16x16x16_bf16 a[8:11], v[54:55], v[42:43], a[8:11]
	ds_read_b64 v[34:35], v110 offset:49152
	ds_read_b64 v[38:39], v111 offset:49152
	;; [unrolled: 1-line block ×3, first 2 shown]
	v_mfma_f32_16x16x16_bf16 a[12:15], v[54:55], v[46:47], a[12:15]
	v_mov_b32_e32 v46, 0
	v_mov_b32_e32 v47, 0
	s_waitcnt lgkmcnt(2)
	v_mfma_f32_16x16x16_bf16 a[0:3], v[34:35], v[36:37], a[0:3]
	v_mov_b32_e32 v36, 0
	v_mov_b32_e32 v37, 0
	v_mfma_f32_16x16x16_bf16 a[16:19], v[34:35], v[40:41], a[4:7]
	v_mov_b32_e32 v40, 0
	v_mov_b32_e32 v41, 0
	;; [unrolled: 3-line block ×3, first 2 shown]
	v_mfma_f32_16x16x16_bf16 a[24:27], v[34:35], v[48:49], a[12:15]
	ds_read_b64 v[34:35], v108 offset:6144
	v_mov_b32_e32 v48, 0
	v_mov_b32_e32 v49, 0
	s_waitcnt lgkmcnt(2)
	v_mfma_f32_16x16x16_bf16 a[4:7], v[38:39], v[52:53], a[0:3]
	v_mfma_f32_16x16x16_bf16 a[8:11], v[38:39], v[50:51], a[16:19]
	s_waitcnt lgkmcnt(0)
	v_mfma_f32_16x16x16_bf16 a[12:15], v[38:39], v[34:35], a[20:23]
	v_mov_b32_e32 v34, 0
	v_mov_b32_e32 v35, 0
	v_mfma_f32_16x16x16_bf16 a[0:3], v[38:39], v[42:43], a[24:27]
	v_mov_b32_e32 v38, 0
	v_mov_b32_e32 v39, 0
	;; [unrolled: 1-line block ×4, first 2 shown]
	s_cbranch_vccnz .LBB189_12
; %bb.11:                               ;   in Loop: Header=BB189_6 Depth=1
	s_and_b32 s25, s25, 0xffff
	buffer_load_dwordx4 v[46:49], v84, s[24:27], 0 offen
	buffer_load_dwordx4 v[42:45], v84, s[24:27], s58 offen
	;; [unrolled: 1-line block ×4, first 2 shown]
	v_mov_b32_e32 v134, v86
	v_mov_b32_e32 v133, v87
.LBB189_12:                             ;   in Loop: Header=BB189_6 Depth=1
	ds_read_b64 v[62:63], v104 offset:57344
	ds_read2_b64 v[50:53], v112 offset1:16
	ds_read_b64 v[136:137], v106 offset:57344
	ds_read_b64 v[138:139], v110 offset:57344
	;; [unrolled: 1-line block ×3, first 2 shown]
	v_add_u32_e32 v64, s59, v128
	s_waitcnt lgkmcnt(3)
	v_mfma_f32_16x16x16_bf16 a[4:7], v[62:63], v[50:51], a[4:7]
	v_mfma_f32_16x16x16_bf16 a[8:11], v[62:63], v[52:53], a[8:11]
	ds_read2_b64 v[50:53], v112 offset0:32 offset1:48
	ds_read2st64_b64 v[54:57], v112 offset0:4 offset1:8
	ds_read2st64_b64 v[58:61], v113 offset0:4 offset1:8
	s_waitcnt lgkmcnt(2)
	v_mfma_f32_16x16x16_bf16 a[12:15], v[62:63], v[50:51], a[12:15]
	v_ashrrev_i32_e32 v50, 31, v64
	v_mul_lo_u32 v65, v50, s36
	v_mad_u64_u32 v[50:51], s[24:25], v64, s36, 0
	v_mfma_f32_16x16x16_bf16 a[0:3], v[62:63], v[52:53], a[0:3]
	v_mul_lo_u32 v52, v64, s37
	v_add3_u32 v51, v51, v52, v65
	v_add_u32_e32 v52, 1, v64
	v_ashrrev_i32_e32 v53, 31, v52
	s_waitcnt lgkmcnt(1)
	v_mfma_f32_16x16x16_bf16 a[4:7], v[136:137], v[54:55], a[4:7]
	v_mul_lo_u32 v54, v53, s36
	v_mul_lo_u32 v55, v52, s37
	v_mad_u64_u32 v[52:53], s[24:25], v52, s36, 0
	v_add3_u32 v53, v53, v55, v54
	v_add_u32_e32 v54, 2, v64
	v_ashrrev_i32_e32 v55, 31, v54
	v_mul_lo_u32 v62, v55, s36
	v_mul_lo_u32 v63, v54, s37
	v_mad_u64_u32 v[54:55], s[24:25], v54, s36, 0
	v_add3_u32 v55, v55, v63, v62
	v_add_u32_e32 v62, 3, v64
	v_ashrrev_i32_e32 v63, 31, v62
	v_mul_lo_u32 v64, v63, s36
	v_mul_lo_u32 v65, v62, s37
	v_mad_u64_u32 v[62:63], s[24:25], v62, s36, 0
	s_add_u32 s24, s40, s59
	v_lshl_add_u64 v[50:51], v[50:51], 2, s[42:43]
	v_add3_u32 v63, v63, v65, v64
	s_addc_u32 s25, s41, 0
	v_lshl_add_u64 v[52:53], v[52:53], 2, s[42:43]
	global_load_dword v142, v[50:51], off
	v_lshl_add_u64 v[50:51], v[62:63], 2, s[42:43]
	s_lshl_b64 s[24:25], s[24:25], 8
	v_lshl_add_u64 v[54:55], v[54:55], 2, s[42:43]
	global_load_dword v143, v[52:53], off
	global_load_dword v144, v[54:55], off
	;; [unrolled: 1-line block ×3, first 2 shown]
	v_lshl_add_u64 v[50:51], v[68:69], 0, s[24:25]
	v_lshl_add_u64 v[54:55], v[50:51], 0, v[66:67]
	global_load_ushort v146, v[54:55], off offset:256
	global_load_ushort v147, v[54:55], off
	ds_read2st64_b64 v[50:53], v114 offset0:4 offset1:8
	global_load_ushort v148, v[54:55], off offset:768
	global_load_ushort v149, v[54:55], off offset:512
	ds_read2st64_b64 v[62:65], v115 offset0:4 offset1:8
	global_load_ushort v150, v[54:55], off offset:288
	global_load_ushort v151, v[54:55], off offset:32
	global_load_ushort v152, v[54:55], off offset:800
	global_load_ushort v153, v[54:55], off offset:544
	s_waitcnt lgkmcnt(2)
	v_mfma_f32_16x16x16_bf16 a[8:11], v[136:137], v[58:59], a[8:11]
	global_load_ushort v154, v[54:55], off offset:320
	global_load_ushort v155, v[54:55], off offset:64
	global_load_ushort v156, v[54:55], off offset:832
	global_load_ushort v157, v[54:55], off offset:576
	s_and_b64 vcc, exec, s[0:1]
	s_waitcnt lgkmcnt(1)
	v_mfma_f32_16x16x16_bf16 a[12:15], v[136:137], v[50:51], a[12:15]
	ds_read_b64 v[50:51], v112 offset:6144
	s_waitcnt lgkmcnt(1)
	v_mfma_f32_16x16x16_bf16 a[0:3], v[136:137], v[62:63], a[0:3]
	v_lshl_add_u64 v[62:63], v[70:71], 0, s[24:25]
	v_lshl_add_u64 v[62:63], v[62:63], 0, v[66:67]
	v_mfma_f32_16x16x16_bf16 a[4:7], v[138:139], v[56:57], a[4:7]
	v_mfma_f32_16x16x16_bf16 a[8:11], v[138:139], v[60:61], a[8:11]
	;; [unrolled: 1-line block ×4, first 2 shown]
	global_load_ushort v138, v[54:55], off offset:352
	global_load_ushort v139, v[54:55], off offset:96
	ds_read_b64 v[52:53], v113 offset:6144
	ds_read_b64 v[56:57], v114 offset:6144
	;; [unrolled: 1-line block ×3, first 2 shown]
	s_load_dword s44, s[44:45], 0x0
	global_load_ushort v158, v[54:55], off offset:864
	global_load_ushort v159, v[54:55], off offset:608
	s_waitcnt lgkmcnt(0)
	v_mfma_f32_16x16x16_bf16 a[4:7], v[140:141], v[50:51], a[4:7]
	s_waitcnt vmcnt(17)
	v_sub_f32_e32 v60, s44, v144
	v_mfma_f32_16x16x16_bf16 a[0:3], v[140:141], v[58:59], a[0:3]
	v_sub_f32_e32 v58, s44, v142
	v_sub_f32_e32 v59, s44, v143
	s_waitcnt vmcnt(16)
	v_sub_f32_e32 v61, s44, v145
	v_mfma_f32_16x16x16_bf16 a[8:11], v[140:141], v[52:53], a[8:11]
	v_exp_f32_e32 v58, v58
	v_exp_f32_e32 v59, v59
	;; [unrolled: 1-line block ×4, first 2 shown]
	v_accvgpr_read_b32 v137, a5
	s_waitcnt vmcnt(15)
	v_lshlrev_b32_e32 v65, 16, v146
	s_waitcnt vmcnt(14)
	v_lshlrev_b32_e32 v64, 16, v147
	v_accvgpr_read_b32 v136, a4
	v_accvgpr_read_b32 v51, a7
	;; [unrolled: 1-line block ×3, first 2 shown]
	v_pk_add_f32 v[64:65], v[64:65], v[136:137] neg_lo:[0,1] neg_hi:[0,1]
	s_waitcnt vmcnt(13)
	v_lshlrev_b32_e32 v137, 16, v148
	s_waitcnt vmcnt(12)
	v_lshlrev_b32_e32 v136, 16, v149
	v_pk_add_f32 v[50:51], v[136:137], v[50:51] neg_lo:[0,1] neg_hi:[0,1]
	global_store_short_d16_hi v[62:63], v64, off
	global_store_short_d16_hi v[62:63], v65, off offset:256
	global_store_short_d16_hi v[62:63], v50, off offset:512
	;; [unrolled: 1-line block ×3, first 2 shown]
	v_pk_mul_f32 v[64:65], v[58:59], v[64:65]
	v_pk_mul_f32 v[50:51], v[60:61], v[50:51]
	v_accvgpr_read_b32 v137, a9
	v_perm_b32 v64, v65, v64, s3
	v_perm_b32 v65, v51, v50, s3
	s_waitcnt vmcnt(15)
	v_lshlrev_b32_e32 v51, 16, v150
	s_waitcnt vmcnt(14)
	v_lshlrev_b32_e32 v50, 16, v151
	v_accvgpr_read_b32 v136, a8
	v_accvgpr_read_b32 v53, a11
	v_mfma_f32_16x16x16_bf16 a[12:15], v[140:141], v[56:57], a[12:15]
	v_accvgpr_read_b32 v52, a10
	v_pk_add_f32 v[50:51], v[50:51], v[136:137] neg_lo:[0,1] neg_hi:[0,1]
	s_waitcnt vmcnt(13)
	v_lshlrev_b32_e32 v137, 16, v152
	s_waitcnt vmcnt(12)
	v_lshlrev_b32_e32 v136, 16, v153
	v_pk_add_f32 v[52:53], v[136:137], v[52:53] neg_lo:[0,1] neg_hi:[0,1]
	global_store_short_d16_hi v[62:63], v50, off offset:32
	global_store_short_d16_hi v[62:63], v51, off offset:288
	;; [unrolled: 1-line block ×4, first 2 shown]
	v_pk_mul_f32 v[50:51], v[58:59], v[50:51]
	v_pk_mul_f32 v[52:53], v[60:61], v[52:53]
	v_accvgpr_read_b32 v55, a15
	v_perm_b32 v53, v53, v52, s3
	v_perm_b32 v52, v51, v50, s3
	ds_write2_b64 v89, v[64:65], v[52:53] offset1:16
	v_accvgpr_read_b32 v53, a13
	s_waitcnt vmcnt(15)
	v_lshlrev_b32_e32 v51, 16, v154
	s_waitcnt vmcnt(14)
	v_lshlrev_b32_e32 v50, 16, v155
	v_accvgpr_read_b32 v52, a12
	v_accvgpr_read_b32 v54, a14
	v_pk_add_f32 v[50:51], v[50:51], v[52:53] neg_lo:[0,1] neg_hi:[0,1]
	s_waitcnt vmcnt(13)
	v_lshlrev_b32_e32 v53, 16, v156
	s_waitcnt vmcnt(12)
	v_lshlrev_b32_e32 v52, 16, v157
	v_pk_add_f32 v[52:53], v[52:53], v[54:55] neg_lo:[0,1] neg_hi:[0,1]
	global_store_short_d16_hi v[62:63], v50, off offset:64
	global_store_short_d16_hi v[62:63], v51, off offset:320
	;; [unrolled: 1-line block ×4, first 2 shown]
	v_pk_mul_f32 v[50:51], v[58:59], v[50:51]
	v_pk_mul_f32 v[52:53], v[60:61], v[52:53]
	v_accvgpr_read_b32 v55, a1
	v_perm_b32 v50, v51, v50, s3
	v_perm_b32 v51, v53, v52, s3
	s_waitcnt vmcnt(15)
	v_lshlrev_b32_e32 v53, 16, v138
	s_waitcnt vmcnt(14)
	v_lshlrev_b32_e32 v52, 16, v139
	v_accvgpr_read_b32 v54, a0
	v_accvgpr_read_b32 v57, a3
	v_accvgpr_read_b32 v56, a2
	v_pk_add_f32 v[52:53], v[52:53], v[54:55] neg_lo:[0,1] neg_hi:[0,1]
	s_waitcnt vmcnt(13)
	v_lshlrev_b32_e32 v55, 16, v158
	s_waitcnt vmcnt(12)
	v_lshlrev_b32_e32 v54, 16, v159
	v_pk_add_f32 v[54:55], v[54:55], v[56:57] neg_lo:[0,1] neg_hi:[0,1]
	global_store_short_d16_hi v[62:63], v52, off offset:96
	global_store_short_d16_hi v[62:63], v53, off offset:352
	;; [unrolled: 1-line block ×4, first 2 shown]
	v_pk_mul_f32 v[52:53], v[58:59], v[52:53]
	v_pk_mul_f32 v[54:55], v[60:61], v[54:55]
	v_mov_b32_e32 v136, 0
	v_perm_b32 v55, v55, v54, s3
	v_perm_b32 v54, v53, v52, s3
	ds_write2_b64 v89, v[50:51], v[54:55] offset0:32 offset1:48
	v_mov_b32_e32 v50, 0
	v_mov_b32_e32 v51, 0
	;; [unrolled: 1-line block ×16, first 2 shown]
	s_cbranch_vccnz .LBB189_14
; %bb.13:                               ;   in Loop: Header=BB189_6 Depth=1
	s_and_b32 s29, s29, 0xffff
	s_mov_b32 s31, s27
	buffer_load_dwordx4 v[62:65], v126, s[28:31], 0 offen
	buffer_load_dwordx4 v[54:57], v126, s[28:31], s58 offen
	;; [unrolled: 1-line block ×4, first 2 shown]
	v_mov_b32_e32 v135, v83
	v_mov_b32_e32 v136, v82
.LBB189_14:                             ;   in Loop: Header=BB189_6 Depth=1
	s_waitcnt lgkmcnt(0)
	s_barrier
	ds_read_b64 v[146:147], v129
	ds_read2_b64 v[138:141], v119 offset1:16
	ds_read_b64 v[162:163], v130
	ds_read_b64 v[164:165], v131
	;; [unrolled: 1-line block ×3, first 2 shown]
	ds_read2_b64 v[142:145], v119 offset0:32 offset1:48
	s_waitcnt lgkmcnt(4)
	v_mfma_f32_16x16x16_bf16 a[0:3], v[146:147], v[138:139], 0
	ds_read2st64_b64 v[150:153], v121 offset0:4 offset1:8
	ds_read2st64_b64 v[154:157], v122 offset0:4 offset1:8
	;; [unrolled: 1-line block ×3, first 2 shown]
	v_mfma_f32_16x16x16_bf16 a[4:7], v[146:147], v[140:141], 0
	s_add_i32 s24, s52, s66
	s_mul_hi_i32 s25, s24, s17
	s_mul_i32 s24, s24, s17
	s_waitcnt lgkmcnt(3)
	v_mfma_f32_16x16x16_bf16 a[8:11], v[146:147], v[142:143], 0
	s_add_u32 s24, s24, s33
	s_addc_u32 s25, s25, s56
	s_lshl_b64 s[24:25], s[24:25], 15
	v_mfma_f32_16x16x16_bf16 a[12:15], v[146:147], v[144:145], 0
	ds_read2st64_b64 v[146:149], v119 offset0:4 offset1:8
	s_waitcnt lgkmcnt(0)
	v_mfma_f32_16x16x16_bf16 a[0:3], v[162:163], v[146:147], a[0:3]
	v_mfma_f32_16x16x16_bf16 a[4:7], v[162:163], v[150:151], a[4:7]
	;; [unrolled: 1-line block ×8, first 2 shown]
	ds_read_b64 v[162:163], v119 offset:6144
	ds_read_b64 v[164:165], v120 offset:40960
	;; [unrolled: 1-line block ×8, first 2 shown]
	s_waitcnt lgkmcnt(5)
	v_mfma_f32_16x16x16_bf16 a[16:19], v[168:169], v[138:139], 0
	v_mfma_f32_16x16x16_bf16 a[20:23], v[168:169], v[140:141], 0
	ds_read2st64_b64 v[138:141], v116 offset1:8
	v_mfma_f32_16x16x16_bf16 a[24:27], v[168:169], v[142:143], 0
	v_mfma_f32_16x16x16_bf16 a[28:31], v[168:169], v[144:145], 0
	ds_read2st64_b64 v[142:145], v117 offset1:8
	v_mfma_f32_16x16x16_bf16 a[16:19], v[164:165], v[146:147], a[16:19]
	s_waitcnt lgkmcnt(1)
	v_mov_b32_e32 v146, v138
	v_mov_b32_e32 v147, v139
	v_mfma_f32_16x16x16_bf16 a[20:23], v[164:165], v[150:151], a[20:23]
	v_lshl_add_u64 v[150:151], v[72:73], 0, s[24:25]
	v_mfma_f32_16x16x16_bf16 a[24:27], v[164:165], v[154:155], a[24:27]
	v_mfma_f32_16x16x16_bf16 a[28:31], v[164:165], v[158:159], a[28:31]
	;; [unrolled: 1-line block ×3, first 2 shown]
	s_waitcnt lgkmcnt(0)
	v_mov_b32_e32 v148, v142
	v_mov_b32_e32 v149, v143
	;; [unrolled: 1-line block ×3, first 2 shown]
	v_mfma_f32_16x16x16_bf16 a[32:35], v[176:177], v[152:153], a[20:23]
	v_mov_b32_e32 v143, v141
	ds_read2st64_b64 v[138:141], v116 offset0:16 offset1:24
	global_store_dwordx4 v[150:151], v[146:149], off
	v_mfma_f32_16x16x16_bf16 a[24:27], v[176:177], v[156:157], a[24:27]
	ds_read2st64_b64 v[146:149], v117 offset0:16 offset1:24
	v_add_co_u32_e32 v152, vcc, s39, v150
	v_mfma_f32_16x16x16_bf16 a[28:31], v[176:177], v[160:161], a[28:31]
	s_nop 0
	v_addc_co_u32_e32 v153, vcc, 0, v151, vcc
	global_store_dwordx4 v[152:153], v[142:145], off offset:-4096
	v_mfma_f32_16x16x16_bf16 a[0:3], v[166:167], v[162:163], a[0:3]
	s_waitcnt lgkmcnt(1)
	v_mov_b32_e32 v142, v138
	v_add_co_u32_e32 v138, vcc, s64, v150
	v_mfma_f32_16x16x16_bf16 a[4:7], v[166:167], v[170:171], a[4:7]
	v_mov_b32_e32 v143, v139
	v_addc_co_u32_e32 v139, vcc, 0, v151, vcc
	v_mfma_f32_16x16x16_bf16 a[8:11], v[166:167], v[172:173], a[8:11]
	s_waitcnt lgkmcnt(0)
	v_mov_b32_e32 v144, v146
	v_mov_b32_e32 v145, v147
	;; [unrolled: 1-line block ×3, first 2 shown]
	v_mfma_f32_16x16x16_bf16 a[12:15], v[166:167], v[174:175], a[12:15]
	v_mov_b32_e32 v147, v141
	s_and_b64 vcc, exec, s[0:1]
	global_store_dwordx4 v[152:153], v[142:145], off
	v_mfma_f32_16x16x16_bf16 a[20:23], v[178:179], v[162:163], a[16:19]
	global_store_dwordx4 v[138:139], v[146:149], off
	v_mfma_f32_16x16x16_bf16 a[16:19], v[178:179], v[170:171], a[32:35]
	v_mfma_f32_16x16x16_bf16 a[24:27], v[178:179], v[172:173], a[24:27]
	;; [unrolled: 1-line block ×3, first 2 shown]
	s_cbranch_vccnz .LBB189_16
; %bb.15:                               ;   in Loop: Header=BB189_6 Depth=1
	v_lshrrev_b32_e32 v137, 3, v135
	v_and_b32_e32 v137, 6, v137
	v_xor_b32_e32 v136, v137, v136
	v_lshlrev_b32_e32 v136, 2, v136
	v_and_b32_e32 v135, 8, v135
	v_xor_b32_e32 v138, 0x440, v136
	v_cmp_eq_u32_e32 vcc, 0, v135
	s_barrier
	s_nop 0
	v_cndmask_b32_e32 v135, v138, v136, vcc
	v_lshl_or_b32 v135, v137, 10, v135
	s_waitcnt vmcnt(5)
	v_perm_b32 v136, v62, v58, s60
	s_waitcnt vmcnt(4)
	v_perm_b32 v137, v54, v50, s60
	ds_write2st64_b32 v135, v136, v137 offset0:128 offset1:160
	v_xor_b32_e32 v136, 8, v135
	v_perm_b32 v58, v62, v58, s61
	v_perm_b32 v50, v54, v50, s61
	v_add_u32_e32 v54, 0x80, v136
	ds_write2st64_b32 v54, v58, v50 offset0:128 offset1:160
	v_xor_b32_e32 v50, 16, v135
	v_perm_b32 v54, v63, v59, s60
	v_perm_b32 v58, v55, v51, s60
	ds_write2st64_b32 v50, v54, v58 offset0:129 offset1:161
	v_xor_b32_e32 v50, 24, v135
	v_perm_b32 v54, v63, v59, s61
	v_perm_b32 v51, v55, v51, s61
	v_add_u32_e32 v50, 0x80, v50
	ds_write2st64_b32 v50, v54, v51 offset0:129 offset1:161
	v_xor_b32_e32 v50, 32, v135
	v_perm_b32 v51, v64, v60, s60
	;; [unrolled: 9-line block ×3, first 2 shown]
	v_perm_b32 v52, v57, v53, s60
	ds_write2st64_b32 v50, v51, v52 offset0:131 offset1:163
	v_xor_b32_e32 v50, 56, v135
	v_perm_b32 v51, v65, v61, s61
	v_perm_b32 v52, v57, v53, s61
	v_add_u32_e32 v50, 0x80, v50
	ds_write2st64_b32 v50, v51, v52 offset0:131 offset1:163
	ds_write_b64 v134, v[46:47] offset:49152
	v_xor_b32_e32 v46, 8, v134
	ds_write_b64 v46, v[48:49] offset:49152
	ds_write_b64 v134, v[42:43] offset:57344
	ds_write_b64 v46, v[44:45] offset:57344
	ds_write_b64 v133, v[38:39] offset:49152
	v_xor_b32_e32 v38, 8, v133
	ds_write_b64 v38, v[40:41] offset:49152
	ds_write_b64 v133, v[34:35] offset:57344
	;; [unrolled: 1-line block ×3, first 2 shown]
.LBB189_16:                             ;   in Loop: Header=BB189_6 Depth=1
	v_exp_f32_e32 v134, s44
	v_accvgpr_read_b32 v37, a3
	v_accvgpr_read_b32 v41, a7
	;; [unrolled: 1-line block ×4, first 2 shown]
	s_waitcnt vmcnt(4)
	v_accvgpr_read_b32 v53, a23
	v_accvgpr_read_b32 v57, a19
	;; [unrolled: 1-line block ×28, first 2 shown]
	s_add_i32 s59, s59, 64
	v_pk_fma_f32 v[30:31], v[134:135], v[30:31], v[34:35] op_sel_hi:[0,1,1]
	v_pk_fma_f32 v[32:33], v[134:135], v[32:33], v[36:37] op_sel_hi:[0,1,1]
	;; [unrolled: 1-line block ×15, first 2 shown]
	s_cmp_eq_u32 s50, s65
	v_pk_fma_f32 v[8:9], v[134:135], v[8:9], v[64:65] op_sel_hi:[0,1,1]
	s_cbranch_scc1 .LBB189_18
; %bb.17:                               ;   in Loop: Header=BB189_6 Depth=1
	s_mov_b32 s66, s65
	s_branch .LBB189_6
.LBB189_18:
	s_lshl_b32 s44, s50, 6
	s_sub_i32 s45, s16, s44
	s_cmp_gt_i32 s45, 0
	v_or_b32_e32 v50, s2, v78
	s_cbranch_scc1 .LBB189_20
; %bb.19:
	s_ashr_i32 s0, s33, 31
	s_add_u32 s28, s47, s33
	s_addc_u32 s29, s53, s0
	v_or_b32_e32 v34, s2, v78
	s_cbranch_execz .LBB189_21
	s_branch .LBB189_101
.LBB189_20:
                                        ; implicit-def: $sgpr28_sgpr29
                                        ; implicit-def: $vgpr34
.LBB189_21:
	s_ashr_i32 s39, s49, 31
	s_ashr_i32 s3, s44, 31
	s_cmpk_lg_i32 s19, 0x80
	s_cselect_b64 s[40:41], -1, 0
	s_and_b64 vcc, exec, s[40:41]
	s_cbranch_vccz .LBB189_23
; %bb.22:
	s_mul_i32 s1, s49, s16
	s_mul_hi_i32 s0, s49, s16
	s_add_u32 s1, s1, s44
	s_addc_u32 s0, s0, s3
	s_mul_i32 s24, s1, s51
	s_mul_hi_u32 s25, s1, s18
	s_add_i32 s24, s25, s24
	s_mul_i32 s0, s0, s18
	s_add_i32 s24, s24, s0
	s_mul_i32 s1, s1, s18
	s_ashr_i32 s0, s54, 31
	s_add_u32 s42, s1, s54
	s_addc_u32 s43, s24, s0
	s_cbranch_execz .LBB189_24
	s_branch .LBB189_25
.LBB189_23:
                                        ; implicit-def: $sgpr42_sgpr43
.LBB189_24:
	s_mul_hi_i32 s0, s49, s18
	s_mul_i32 s49, s49, s18
	s_ashr_i32 s1, s54, 31
	s_add_u32 s18, s49, s54
	s_addc_u32 s0, s0, s1
	s_mul_i32 s1, s18, s48
	s_mul_hi_u32 s24, s18, s16
	s_add_i32 s1, s24, s1
	s_mul_i32 s0, s0, s16
	s_add_i32 s1, s1, s0
	s_mul_i32 s18, s18, s16
	s_add_u32 s42, s18, s44
	s_addc_u32 s43, s1, s3
.LBB189_25:
	s_add_i32 s24, s52, s50
	s_ashr_i32 s18, s33, 31
	s_add_u32 s28, s47, s33
	s_addc_u32 s29, s53, s18
	s_mul_i32 s0, s28, s48
	s_mul_hi_u32 s1, s28, s16
	s_add_i32 s0, s1, s0
	s_mul_i32 s1, s29, s16
	s_add_i32 s1, s0, s1
	s_mul_i32 s0, s28, s16
	s_add_u32 s0, s0, s44
	v_lshlrev_b32_e32 v38, 6, v1
	v_lshlrev_b32_e32 v58, 2, v78
	s_addc_u32 s1, s1, s3
	s_mov_b32 s3, 0x7060302
	v_or_b32_e32 v41, v38, v58
	v_xor_b32_e32 v39, v1, v58
	v_perm_b32 v35, v33, v32, s3
	v_perm_b32 v34, v31, v30, s3
	;; [unrolled: 1-line block ×4, first 2 shown]
	v_lshlrev_b32_e32 v41, 1, v41
	v_xor_b32_e32 v40, v81, v58
	ds_write2st64_b64 v41, v[34:35], v[36:37] offset0:32 offset1:48
	v_lshlrev_b32_e32 v39, 1, v39
	v_lshlrev_b32_e32 v41, 8, v78
	v_or_b32_e32 v42, v39, v41
	v_lshlrev_b32_e32 v40, 1, v40
	ds_write_b64 v42, v[34:35]
	v_or_b32_e32 v34, v40, v41
	v_or_b32_e32 v41, 16, v78
	v_lshlrev_b32_e32 v57, 2, v41
	v_or_b32_e32 v42, v38, v57
	ds_write_b64 v34, v[36:37]
	v_perm_b32 v35, v25, v24, s3
	v_perm_b32 v34, v23, v22, s3
	;; [unrolled: 1-line block ×4, first 2 shown]
	v_lshlrev_b32_e32 v42, 1, v42
	v_lshlrev_b32_e32 v41, 8, v41
	ds_write2st64_b64 v42, v[34:35], v[36:37] offset0:32 offset1:48
	v_or_b32_e32 v42, v39, v41
	ds_write_b64 v42, v[34:35]
	v_or_b32_e32 v34, v40, v41
	v_or_b32_e32 v41, 32, v78
	v_lshlrev_b32_e32 v56, 2, v41
	v_or_b32_e32 v42, v38, v56
	ds_write_b64 v34, v[36:37]
	v_perm_b32 v35, v17, v16, s3
	v_perm_b32 v34, v15, v14, s3
	;; [unrolled: 1-line block ×4, first 2 shown]
	v_lshlrev_b32_e32 v42, 1, v42
	v_lshlrev_b32_e32 v41, 8, v41
	s_lshl_b64 s[30:31], s[0:1], 8
	ds_write2st64_b64 v42, v[34:35], v[36:37] offset0:32 offset1:48
	v_or_b32_e32 v42, v39, v41
	s_add_u32 s0, s6, s30
	ds_write_b64 v42, v[34:35]
	v_or_b32_e32 v34, v40, v41
	s_addc_u32 s1, s7, s31
	ds_write_b64 v34, v[36:37]
	v_perm_b32 v35, v5, v4, s3
	v_perm_b32 v34, v3, v2, s3
	;; [unrolled: 1-line block ×4, first 2 shown]
	v_or_b32_e32 v41, 48, v78
	s_mul_hi_i32 s3, s24, s17
	s_mul_i32 s24, s24, s17
	v_lshlrev_b32_e32 v53, 2, v41
	s_add_u32 s6, s24, s33
	v_or_b32_e32 v38, v38, v53
	s_addc_u32 s7, s3, s18
	v_lshlrev_b32_e32 v38, 1, v38
	s_ashr_i32 s3, s2, 31
	s_lshl_b64 s[6:7], s[6:7], 15
	ds_write2st64_b64 v38, v[34:35], v[36:37] offset0:32 offset1:48
	v_lshlrev_b32_e32 v38, 8, v41
	s_waitcnt lgkmcnt(0)
	s_add_u32 s6, s12, s6
	v_or_b32_e32 v39, v39, v38
	s_addc_u32 s7, s13, s7
	s_lshl_b64 s[2:3], s[2:3], 8
	ds_write_b64 v39, v[34:35]
	v_or_b32_e32 v34, v40, v38
	s_add_u32 s2, s6, s2
	v_lshlrev_b32_e32 v35, 1, v78
	ds_write_b64 v34, v[36:37]
	v_lshrrev_b32_e32 v34, 4, v0
	s_addc_u32 s3, s7, s3
	v_or_b32_e32 v36, 1, v35
	v_lshlrev_b32_e32 v42, 4, v78
	v_mov_b32_e32 v43, 0
	v_xor_b32_e32 v35, v34, v35
	v_xor_b32_e32 v38, v36, v34
	v_lshl_add_u64 v[44:45], s[2:3], 0, v[42:43]
	v_lshlrev_b32_e32 v42, 8, v34
	v_lshl_or_b32 v48, v35, 3, v42
	v_lshl_or_b32 v49, v38, 3, v42
	s_waitcnt lgkmcnt(0)
	s_barrier
	ds_read2st64_b64 v[34:37], v48 offset1:8
	ds_read2st64_b64 v[38:41], v49 offset1:8
	v_lshl_add_u64 v[46:47], v[44:45], 0, v[42:43]
	s_movk_i32 s2, 0x2000
	s_cmp_lg_u32 s45, 64
	s_waitcnt lgkmcnt(1)
	v_mov_b32_e32 v42, v34
	v_mov_b32_e32 v43, v35
	s_waitcnt lgkmcnt(0)
	v_mov_b32_e32 v44, v38
	v_mov_b32_e32 v45, v39
	global_store_dwordx4 v[46:47], v[42:45], off
	v_mov_b32_e32 v38, v36
	v_mov_b32_e32 v39, v37
	ds_read2st64_b64 v[34:37], v48 offset0:16 offset1:24
	ds_read2st64_b64 v[42:45], v49 offset0:16 offset1:24
	v_add_co_u32_e32 v48, vcc, s2, v46
	s_cselect_b64 s[6:7], -1, 0
	s_nop 0
	v_addc_co_u32_e32 v49, vcc, 0, v47, vcc
	global_store_dwordx4 v[48:49], v[38:41], off offset:-4096
	v_lshl_or_b32 v51, v74, 3, v80
	s_mov_b32 s24, 0
	s_waitcnt lgkmcnt(1)
	v_mov_b32_e32 v38, v34
	v_add_co_u32_e32 v34, vcc, 0x3000, v46
	v_mov_b32_e32 v39, v35
	s_nop 0
	v_addc_co_u32_e32 v35, vcc, 0, v47, vcc
	s_waitcnt lgkmcnt(0)
	v_mov_b32_e32 v40, v42
	v_mov_b32_e32 v41, v43
	;; [unrolled: 1-line block ×4, first 2 shown]
	v_or_b32_e32 v54, 32, v51
	v_and_b32_e32 v52, 56, v79
	s_and_b64 vcc, exec, s[6:7]
	global_store_dwordx4 v[48:49], v[38:41], off
	global_store_dwordx4 v[34:35], v[42:45], off
	s_cbranch_vccz .LBB189_31
; %bb.26:
	s_mov_b32 s26, s24
	s_mov_b32 s27, s24
	;; [unrolled: 1-line block ×3, first 2 shown]
	v_mov_b64_e32 v[40:41], s[26:27]
	v_mov_b64_e32 v[38:39], s[24:25]
	;; [unrolled: 1-line block ×3, first 2 shown]
	v_cmp_gt_i32_e32 vcc, s45, v51
	v_mov_b64_e32 v[36:37], v[40:41]
	s_and_saveexec_b64 s[2:3], vcc
	s_cbranch_execz .LBB189_28
; %bb.27:
	v_lshlrev_b32_e32 v34, 8, v51
	v_mov_b32_e32 v35, 0
	v_lshl_add_u64 v[36:37], s[0:1], 0, v[34:35]
	v_lshlrev_b32_e32 v34, 1, v52
	v_lshl_add_u64 v[42:43], v[36:37], 0, v[34:35]
	global_load_dwordx4 v[38:41], v[42:43], off
	global_load_dwordx4 v[34:37], v[42:43], off offset:128
.LBB189_28:
	s_or_b64 exec, exec, s[2:3]
	s_mov_b32 s26, s24
	s_mov_b32 s27, s24
	;; [unrolled: 1-line block ×3, first 2 shown]
	v_mov_b64_e32 v[48:49], s[26:27]
	v_mov_b64_e32 v[46:47], s[24:25]
	;; [unrolled: 1-line block ×3, first 2 shown]
	v_cmp_gt_i32_e32 vcc, s45, v54
	v_lshlrev_b32_e32 v55, 7, v54
	v_mov_b64_e32 v[44:45], v[48:49]
	s_and_saveexec_b64 s[2:3], vcc
	s_cbranch_execz .LBB189_30
; %bb.29:
	v_lshlrev_b32_e32 v42, 1, v55
	v_mov_b32_e32 v43, 0
	v_lshl_add_u64 v[44:45], s[0:1], 0, v[42:43]
	v_lshlrev_b32_e32 v42, 1, v52
	v_lshl_add_u64 v[60:61], v[44:45], 0, v[42:43]
	global_load_dwordx4 v[46:49], v[60:61], off
	global_load_dwordx4 v[42:45], v[60:61], off offset:128
.LBB189_30:
	s_or_b64 exec, exec, s[2:3]
	v_lshrrev_b32_e32 v59, 3, v52
	v_lshlrev_b32_e32 v60, 3, v51
	v_or_b32_e32 v59, v60, v59
	v_lshlrev_b32_e32 v59, 4, v59
	v_and_b32_e32 v60, 0x78, v60
	v_xor_b32_e32 v59, v59, v60
	s_branch .LBB189_33
.LBB189_31:
                                        ; implicit-def: $vgpr59
                                        ; implicit-def: $vgpr55
                                        ; implicit-def: $vgpr38_vgpr39_vgpr40_vgpr41
                                        ; implicit-def: $vgpr34_vgpr35_vgpr36_vgpr37
                                        ; implicit-def: $vgpr46_vgpr47_vgpr48_vgpr49
                                        ; implicit-def: $vgpr42_vgpr43_vgpr44_vgpr45
	s_cbranch_execz .LBB189_33
; %bb.32:
	s_waitcnt vmcnt(0)
	v_lshlrev_b32_e32 v34, 1, v52
	v_lshl_or_b32 v55, v51, 8, v34
	s_and_b32 s1, s1, 0xffff
	s_mov_b32 s3, 0x20000
	s_movk_i32 s2, 0x4000
	v_lshl_or_b32 v59, v54, 8, v34
	s_movk_i32 s12, 0x80
	buffer_load_dwordx4 v[38:41], v55, s[0:3], 0 offen
	buffer_load_dwordx4 v[34:37], v55, s[0:3], s12 offen
	;; [unrolled: 1-line block ×4, first 2 shown]
	v_lshrrev_b32_e32 v55, 3, v52
	v_lshlrev_b32_e32 v59, 3, v51
	v_or_b32_e32 v55, v59, v55
	v_lshlrev_b32_e32 v55, 4, v55
	v_and_b32_e32 v59, 0x78, v59
	v_xor_b32_e32 v59, v55, v59
	v_lshlrev_b32_e32 v55, 7, v54
.LBB189_33:
	s_movk_i32 s0, 0x1000
	v_and_or_b32 v54, v55, s0, v59
	s_waitcnt vmcnt(1)
	ds_write_b64 v59, v[38:39] offset:49152
	v_xor_b32_e32 v38, 8, v59
	ds_write_b64 v38, v[40:41] offset:49152
	s_waitcnt vmcnt(0)
	ds_write_b64 v59, v[34:35] offset:57344
	ds_write_b64 v38, v[36:37] offset:57344
	;; [unrolled: 1-line block ×3, first 2 shown]
	v_xor_b32_e32 v34, 8, v54
	ds_write_b64 v34, v[48:49] offset:49152
	ds_write_b64 v54, v[42:43] offset:57344
	;; [unrolled: 1-line block ×3, first 2 shown]
	v_or_b32_e32 v34, v75, v78
	v_lshlrev_b32_e32 v34, 3, v34
	v_lshrrev_b32_e32 v35, 5, v76
	s_movk_i32 s0, 0xf8
	v_and_or_b32 v35, v34, s0, v35
	v_lshlrev_b32_e32 v39, 4, v35
	v_lshlrev_b32_e32 v59, 11, v74
	v_and_b32_e32 v40, 0x78, v34
	v_or_b32_e32 v42, 32, v39
	v_and_b32_e32 v38, 0x1000, v59
	v_lshrrev_b32_e32 v35, 1, v76
	v_xor_b32_e32 v42, v42, v40
	v_xor_b32_e32 v34, v39, v40
	v_and_b32_e32 v41, 8, v35
	v_or_b32_e32 v42, v42, v38
	v_or_b32_e32 v34, v34, v38
	v_xor_b32_e32 v65, v42, v41
	v_or_b32_e32 v42, 64, v39
	v_xor_b32_e32 v64, v34, v41
	v_xor_b32_e32 v42, v42, v40
	s_waitcnt lgkmcnt(0)
	s_barrier
	v_or_b32_e32 v45, v42, v38
	ds_read_b64 v[42:43], v64 offset:49152
	v_lshl_or_b32 v46, v77, 8, v58
	v_lshlrev_b32_e32 v60, 1, v46
	v_add_u32_e32 v44, 0x4000, v60
	ds_read2_b64 v[34:37], v44 offset1:16
	v_or_b32_e32 v39, 0x60, v39
	v_xor_b32_e32 v39, v39, v40
	v_or_b32_e32 v38, v39, v38
	v_xor_b32_e32 v66, v45, v41
	v_xor_b32_e32 v67, v38, v41
	ds_read_b64 v[54:55], v65 offset:49152
	ds_read_b64 v[68:69], v66 offset:49152
	;; [unrolled: 1-line block ×3, first 2 shown]
	s_waitcnt lgkmcnt(3)
	v_mfma_f32_16x16x16_bf16 a[0:3], v[42:43], v[34:35], 0
	ds_read2_b64 v[38:41], v44 offset0:32 offset1:48
	s_lshl_b64 s[0:1], s[42:43], 8
	s_add_u32 s4, s4, s0
	v_mfma_f32_16x16x16_bf16 a[4:7], v[42:43], v[36:37], 0
	ds_read2st64_b64 v[34:37], v60 offset0:36 offset1:40
	s_addc_u32 s5, s5, s1
	s_add_i32 s2, s16, -1
	s_waitcnt lgkmcnt(1)
	v_mfma_f32_16x16x16_bf16 a[8:11], v[42:43], v[38:39], 0
	v_or_b32_e32 v38, 64, v46
	v_lshlrev_b32_e32 v61, 1, v38
	s_add_i32 s0, s46, s21
	s_waitcnt lgkmcnt(0)
	v_mfma_f32_16x16x16_bf16 a[0:3], v[54:55], v[34:35], a[0:3]
	v_or_b32_e32 v34, 0x80, v46
	v_lshlrev_b32_e32 v62, 1, v34
	v_or_b32_e32 v34, 0xc0, v46
	v_mfma_f32_16x16x16_bf16 a[12:15], v[42:43], v[40:41], 0
	ds_read2st64_b64 v[38:41], v61 offset0:36 offset1:40
	v_lshlrev_b32_e32 v63, 1, v34
	ds_read2st64_b64 v[42:45], v62 offset0:36 offset1:40
	ds_read2st64_b64 v[46:49], v63 offset0:36 offset1:40
	s_mul_i32 s39, s39, s20
	s_add_i32 s39, s0, s39
	s_mul_i32 s0, s33, s23
	s_mul_hi_u32 s1, s33, s22
	s_ashr_i32 s3, s2, 31
	s_mul_i32 s12, s2, s37
	s_mul_hi_u32 s13, s2, s36
	s_waitcnt lgkmcnt(2)
	v_mfma_f32_16x16x16_bf16 a[4:7], v[54:55], v[38:39], a[4:7]
	s_add_i32 s0, s1, s0
	s_mul_i32 s1, s18, s22
	s_add_i32 s12, s13, s12
	s_mul_i32 s3, s3, s36
	s_waitcnt lgkmcnt(1)
	v_mfma_f32_16x16x16_bf16 a[8:11], v[54:55], v[42:43], a[8:11]
	s_add_i32 s1, s0, s1
	s_add_i32 s3, s12, s3
	s_lshl_b64 s[12:13], s[38:39], 2
	s_waitcnt lgkmcnt(0)
	v_mfma_f32_16x16x16_bf16 a[12:15], v[54:55], v[46:47], a[12:15]
	s_mul_i32 s0, s33, s22
	s_add_u32 s10, s10, s12
	s_addc_u32 s11, s11, s13
	s_lshl_b64 s[0:1], s[0:1], 2
	v_mfma_f32_16x16x16_bf16 a[0:3], v[68:69], v[36:37], a[0:3]
	s_mul_i32 s2, s2, s36
	ds_read_b64 v[34:35], v60 offset:22528
	s_add_u32 s10, s10, s0
	v_mfma_f32_16x16x16_bf16 a[4:7], v[68:69], v[40:41], a[4:7]
	ds_read_b64 v[36:37], v61 offset:22528
	ds_read_b64 v[38:39], v62 offset:22528
	;; [unrolled: 1-line block ×3, first 2 shown]
	s_addc_u32 s11, s11, s1
	s_lshl_b64 s[0:1], s[2:3], 2
	v_mfma_f32_16x16x16_bf16 a[8:11], v[68:69], v[44:45], a[8:11]
	s_add_u32 s0, s10, s0
	s_addc_u32 s1, s11, s1
	s_load_dword s12, s[0:1], 0x0
	v_mfma_f32_16x16x16_bf16 a[12:15], v[68:69], v[48:49], a[12:15]
	s_and_b64 vcc, exec, s[40:41]
	s_waitcnt lgkmcnt(0)
	v_mfma_f32_16x16x16_bf16 a[0:3], v[70:71], v[34:35], a[0:3]
	v_mfma_f32_16x16x16_bf16 a[4:7], v[70:71], v[36:37], a[4:7]
	;; [unrolled: 1-line block ×4, first 2 shown]
	s_cbranch_vccz .LBB189_44
; %bb.34:
	v_lshlrev_b32_e32 v54, 1, v51
	s_and_b64 vcc, exec, s[6:7]
	s_cbranch_vccz .LBB189_45
; %bb.35:
	v_cmp_gt_i32_e32 vcc, s45, v54
	v_mov_b32_e32 v38, 0
	v_mov_b32_e32 v34, 0
	;; [unrolled: 1-line block ×5, first 2 shown]
	s_and_saveexec_b64 s[0:1], vcc
	s_cbranch_execz .LBB189_37
; %bb.36:
	v_mad_i64_i32 v[34:35], s[2:3], s19, v54, 0
	v_lshl_add_u64 v[34:35], v[34:35], 1, s[4:5]
	v_lshlrev_b32_e32 v36, 1, v52
	v_mov_b32_e32 v37, 0
	v_lshl_add_u64 v[34:35], v[34:35], 0, v[36:37]
	global_load_dwordx4 v[34:37], v[34:35], off
.LBB189_37:
	s_or_b64 exec, exec, s[0:1]
	v_or_b32_e32 v55, 1, v54
	v_cmp_gt_i32_e64 s[0:1], s45, v55
	v_mov_b32_e32 v39, 0
	v_mov_b32_e32 v40, 0
	;; [unrolled: 1-line block ×3, first 2 shown]
	s_and_saveexec_b64 s[2:3], s[0:1]
	s_cbranch_execz .LBB189_39
; %bb.38:
	v_mad_i64_i32 v[38:39], s[16:17], s19, v55, 0
	v_lshl_add_u64 v[38:39], v[38:39], 1, s[4:5]
	v_lshlrev_b32_e32 v40, 1, v52
	v_mov_b32_e32 v41, 0
	v_lshl_add_u64 v[38:39], v[38:39], 0, v[40:41]
	global_load_dwordx4 v[38:41], v[38:39], off
.LBB189_39:
	s_or_b64 exec, exec, s[2:3]
	v_mov_b32_e32 v49, 0
	v_mov_b32_e32 v42, 0
	v_mov_b32_e32 v43, 0
	v_mov_b32_e32 v44, 0
	v_mov_b32_e32 v45, 0
	s_and_saveexec_b64 s[2:3], vcc
	s_cbranch_execz .LBB189_41
; %bb.40:
	v_mad_i64_i32 v[42:43], s[16:17], s19, v54, 0
	v_lshl_add_u64 v[42:43], v[42:43], 1, s[4:5]
	v_lshlrev_b32_e32 v44, 1, v52
	v_mov_b32_e32 v45, 0
	v_lshl_add_u64 v[42:43], v[42:43], 0, v[44:45]
	global_load_dwordx4 v[42:45], v[42:43], off offset:128
.LBB189_41:
	s_or_b64 exec, exec, s[2:3]
	v_mov_b32_e32 v48, 0
	v_mov_b32_e32 v47, 0
	;; [unrolled: 1-line block ×3, first 2 shown]
	s_and_saveexec_b64 s[2:3], s[0:1]
	s_cbranch_execz .LBB189_43
; %bb.42:
	v_mad_i64_i32 v[46:47], s[0:1], s19, v55, 0
	v_lshl_add_u64 v[46:47], v[46:47], 1, s[4:5]
	v_lshlrev_b32_e32 v48, 1, v52
	v_mov_b32_e32 v49, 0
	v_lshl_add_u64 v[46:47], v[46:47], 0, v[48:49]
	global_load_dwordx4 v[46:49], v[46:47], off offset:128
.LBB189_43:
	s_or_b64 exec, exec, s[2:3]
	s_branch .LBB189_47
.LBB189_44:
                                        ; implicit-def: $vgpr37
                                        ; implicit-def: $vgpr41
                                        ; implicit-def: $vgpr45
                                        ; implicit-def: $vgpr49
	v_lshrrev_b32_e32 v68, 2, v76
	s_branch .LBB189_48
.LBB189_45:
                                        ; implicit-def: $vgpr37
                                        ; implicit-def: $vgpr41
                                        ; implicit-def: $vgpr45
                                        ; implicit-def: $vgpr49
	s_cbranch_execz .LBB189_47
; %bb.46:
	s_waitcnt vmcnt(0)
	v_mad_u64_u32 v[34:35], s[0:1], v54, s19, v[52:53]
	v_lshlrev_b32_e32 v54, 1, v34
	s_lshl_b32 s2, s19, 7
	s_and_b32 s1, s5, 0xffff
	s_mov_b32 s3, 0x20000
	s_mov_b32 s0, s4
	v_add_lshl_u32 v55, v34, s19, 1
	s_movk_i32 s13, 0x80
	buffer_load_dwordx4 v[34:37], v54, s[0:3], 0 offen
	buffer_load_dwordx4 v[42:45], v54, s[0:3], s13 offen
	;; [unrolled: 1-line block ×4, first 2 shown]
.LBB189_47:
	v_lshrrev_b32_e32 v68, 2, v76
	s_cbranch_execnz .LBB189_60
.LBB189_48:
	s_and_b64 vcc, exec, s[6:7]
	s_cbranch_vccz .LBB189_58
; %bb.49:
	s_waitcnt vmcnt(0)
	v_lshlrev_b32_e32 v39, 1, v51
	v_cmp_gt_i32_e32 vcc, s45, v39
	v_mov_b32_e32 v38, 0
	v_lshlrev_b32_e32 v46, 9, v51
	v_mov_b32_e32 v34, 0
	v_mov_b32_e32 v35, 0
	;; [unrolled: 1-line block ×4, first 2 shown]
	s_and_saveexec_b64 s[0:1], vcc
	s_cbranch_execz .LBB189_51
; %bb.50:
	v_mov_b32_e32 v47, 0
	v_lshl_add_u64 v[34:35], s[4:5], 0, v[46:47]
	v_lshlrev_b32_e32 v36, 1, v52
	v_mov_b32_e32 v37, v47
	v_lshl_add_u64 v[34:35], v[34:35], 0, v[36:37]
	global_load_dwordx4 v[34:37], v[34:35], off
.LBB189_51:
	s_or_b64 exec, exec, s[0:1]
	v_or_b32_e32 v39, 1, v39
	v_cmp_gt_i32_e64 s[0:1], s45, v39
	v_lshlrev_b32_e32 v54, 8, v39
	v_mov_b32_e32 v39, 0
	v_mov_b32_e32 v40, 0
	;; [unrolled: 1-line block ×3, first 2 shown]
	s_and_saveexec_b64 s[2:3], s[0:1]
	s_cbranch_execz .LBB189_53
; %bb.52:
	v_mov_b32_e32 v55, 0
	v_lshl_add_u64 v[38:39], s[4:5], 0, v[54:55]
	v_lshlrev_b32_e32 v40, 1, v52
	v_mov_b32_e32 v41, v55
	v_lshl_add_u64 v[38:39], v[38:39], 0, v[40:41]
	global_load_dwordx4 v[38:41], v[38:39], off
.LBB189_53:
	s_or_b64 exec, exec, s[2:3]
	v_mov_b32_e32 v49, 0
	v_mov_b32_e32 v42, 0
	;; [unrolled: 1-line block ×5, first 2 shown]
	s_and_saveexec_b64 s[2:3], vcc
	s_cbranch_execz .LBB189_55
; %bb.54:
	v_mov_b32_e32 v47, 0
	v_lshl_add_u64 v[42:43], s[4:5], 0, v[46:47]
	v_lshlrev_b32_e32 v46, 1, v52
	v_lshl_add_u64 v[42:43], v[42:43], 0, v[46:47]
	global_load_dwordx4 v[42:45], v[42:43], off offset:128
.LBB189_55:
	s_or_b64 exec, exec, s[2:3]
	v_mov_b32_e32 v48, 0
	v_mov_b32_e32 v47, 0
	v_mov_b32_e32 v46, 0
	s_and_saveexec_b64 s[2:3], s[0:1]
	s_cbranch_execz .LBB189_57
; %bb.56:
	v_mov_b32_e32 v55, 0
	v_lshl_add_u64 v[46:47], s[4:5], 0, v[54:55]
	v_lshlrev_b32_e32 v54, 1, v52
	v_lshl_add_u64 v[46:47], v[46:47], 0, v[54:55]
	global_load_dwordx4 v[46:49], v[46:47], off offset:128
.LBB189_57:
	s_or_b64 exec, exec, s[2:3]
	s_branch .LBB189_60
.LBB189_58:
                                        ; implicit-def: $vgpr37
                                        ; implicit-def: $vgpr41
                                        ; implicit-def: $vgpr45
                                        ; implicit-def: $vgpr49
	s_cbranch_execz .LBB189_60
; %bb.59:
	s_waitcnt vmcnt(0)
	v_lshlrev_b32_e32 v34, 1, v52
	v_lshl_or_b32 v52, v51, 9, v34
	s_and_b32 s5, s5, 0xffff
	s_mov_b32 s7, 0x20000
	s_movk_i32 s6, 0x4000
	s_movk_i32 s0, 0x80
	buffer_load_dwordx4 v[34:37], v52, s[4:7], 0 offen
	buffer_load_dwordx4 v[38:41], v52, s[4:7], 0 offen offset:256
	buffer_load_dwordx4 v[42:45], v52, s[4:7], s0 offen
	buffer_load_dwordx4 v[46:49], v52, s[4:7], s0 offen offset:256
.LBB189_60:
	ds_read_b64 v[54:55], v64 offset:57344
	v_add_u32_e32 v52, 0x6000, v60
	ds_read2_b64 v[70:73], v52 offset1:16
	ds_read_b64 v[84:85], v65 offset:57344
	ds_read_b64 v[86:87], v66 offset:57344
	;; [unrolled: 1-line block ×3, first 2 shown]
	ds_read2_b64 v[64:67], v52 offset0:32 offset1:48
	v_and_b32_e32 v52, 6, v0
	v_xor_b32_e32 v51, v51, v52
	v_lshlrev_b32_e32 v51, 2, v51
	s_mov_b32 s0, 0x1000504
	s_mov_b32 s1, 0x3020706
	s_waitcnt lgkmcnt(4)
	v_mfma_f32_16x16x16_bf16 a[4:7], v[54:55], v[72:73], a[4:7]
	v_mfma_f32_16x16x16_bf16 a[0:3], v[54:55], v[70:71], a[0:3]
	ds_read2st64_b64 v[70:73], v60 offset0:52 offset1:56
	s_waitcnt lgkmcnt(1)
	v_mfma_f32_16x16x16_bf16 a[8:11], v[54:55], v[64:65], a[8:11]
	v_mfma_f32_16x16x16_bf16 a[12:15], v[54:55], v[66:67], a[12:15]
	ds_read2st64_b64 v[64:67], v61 offset0:52 offset1:56
	ds_read2st64_b64 v[76:79], v62 offset0:52 offset1:56
	;; [unrolled: 1-line block ×3, first 2 shown]
	s_waitcnt lgkmcnt(2)
	v_mfma_f32_16x16x16_bf16 a[4:7], v[84:85], v[64:65], a[4:7]
	v_and_b32_e32 v64, 1, v0
	v_xor_b32_e32 v65, 0x440, v51
	v_cmp_eq_u32_e32 vcc, 0, v64
	v_mfma_f32_16x16x16_bf16 a[0:3], v[84:85], v[70:71], a[0:3]
	s_waitcnt vmcnt(0)
	v_perm_b32 v64, v42, v46, s0
	v_cndmask_b32_e32 v51, v65, v51, vcc
	v_lshl_or_b32 v51, v52, 10, v51
	s_waitcnt lgkmcnt(1)
	v_mfma_f32_16x16x16_bf16 a[8:11], v[84:85], v[76:77], a[8:11]
	v_perm_b32 v52, v34, v38, s0
	ds_read_b64 v[54:55], v60 offset:30720
	ds_read_b64 v[70:71], v61 offset:30720
	;; [unrolled: 1-line block ×4, first 2 shown]
	ds_write2st64_b32 v51, v52, v64 offset0:128 offset1:160
	s_waitcnt lgkmcnt(5)
	v_mfma_f32_16x16x16_bf16 a[12:15], v[84:85], v[80:81], a[12:15]
	v_xor_b32_e32 v52, 8, v51
	v_perm_b32 v34, v34, v38, s1
	v_perm_b32 v38, v42, v46, s1
	v_add_u32_e32 v42, 0x80, v52
	ds_write2st64_b32 v42, v34, v38 offset0:128 offset1:160
	v_xor_b32_e32 v34, 16, v51
	v_perm_b32 v38, v35, v39, s0
	v_perm_b32 v42, v43, v47, s0
	v_mfma_f32_16x16x16_bf16 a[0:3], v[86:87], v[72:73], a[0:3]
	ds_write2st64_b32 v34, v38, v42 offset0:129 offset1:161
	v_xor_b32_e32 v34, 24, v51
	v_perm_b32 v35, v35, v39, s1
	v_mfma_f32_16x16x16_bf16 a[4:7], v[86:87], v[66:67], a[4:7]
	v_perm_b32 v38, v43, v47, s1
	v_add_u32_e32 v34, 0x80, v34
	ds_write2st64_b32 v34, v35, v38 offset0:129 offset1:161
	v_mfma_f32_16x16x16_bf16 a[16:19], v[86:87], v[78:79], a[8:11]
	v_xor_b32_e32 v34, 32, v51
	v_perm_b32 v35, v36, v40, s0
	v_perm_b32 v38, v44, v48, s0
	v_mfma_f32_16x16x16_bf16 a[20:23], v[86:87], v[82:83], a[12:15]
	ds_write2st64_b32 v34, v35, v38 offset0:130 offset1:162
	v_xor_b32_e32 v34, 40, v51
	v_perm_b32 v35, v36, v40, s1
	s_waitcnt lgkmcnt(8)
	v_mfma_f32_16x16x16_bf16 a[12:15], v[88:89], v[54:55], a[0:3]
	v_perm_b32 v36, v44, v48, s1
	v_add_u32_e32 v34, 0x80, v34
	ds_write2st64_b32 v34, v35, v36 offset0:130 offset1:162
	s_waitcnt lgkmcnt(8)
	v_mfma_f32_16x16x16_bf16 a[8:11], v[88:89], v[70:71], a[4:7]
	v_xor_b32_e32 v34, 48, v51
	v_perm_b32 v35, v37, v41, s0
	v_perm_b32 v36, v45, v49, s0
	s_waitcnt lgkmcnt(7)
	v_mfma_f32_16x16x16_bf16 a[4:7], v[88:89], v[90:91], a[16:19]
	ds_write2st64_b32 v34, v35, v36 offset0:131 offset1:163
	v_xor_b32_e32 v34, 56, v51
	v_and_or_b32 v65, v68, 12, v75
	s_waitcnt lgkmcnt(7)
	v_mfma_f32_16x16x16_bf16 a[0:3], v[88:89], v[92:93], a[20:23]
	v_perm_b32 v35, v37, v41, s1
	v_perm_b32 v36, v45, v49, s1
	v_add_u32_e32 v34, 0x80, v34
	v_cmp_gt_i32_e64 s[0:1], s45, v65
	v_mov_b32_e32 v54, 0
	v_mov_b32_e32 v55, 0
	ds_write2st64_b32 v34, v35, v36 offset0:131 offset1:163
	s_and_saveexec_b64 s[2:3], s[0:1]
	s_cbranch_execz .LBB189_62
; %bb.61:
	v_add_u32_e32 v34, s44, v65
	v_ashrrev_i32_e32 v35, 31, v34
	v_mul_lo_u32 v36, v35, s36
	v_mul_lo_u32 v37, v34, s37
	v_mad_u64_u32 v[34:35], s[4:5], v34, s36, 0
	v_add3_u32 v35, v35, v37, v36
	v_lshl_add_u64 v[34:35], v[34:35], 2, s[10:11]
	global_load_dword v34, v[34:35], off
	s_waitcnt vmcnt(0)
	v_sub_f32_e32 v34, s12, v34
	v_exp_f32_e32 v55, v34
.LBB189_62:
	s_or_b64 exec, exec, s[2:3]
	v_or_b32_e32 v46, 1, v65
	v_cmp_gt_i32_e64 s[4:5], s45, v46
	s_and_saveexec_b64 s[2:3], s[4:5]
	s_cbranch_execz .LBB189_64
; %bb.63:
	v_add_u32_e32 v34, s44, v46
	v_ashrrev_i32_e32 v35, 31, v34
	v_mul_lo_u32 v36, v35, s36
	v_mul_lo_u32 v37, v34, s37
	v_mad_u64_u32 v[34:35], s[6:7], v34, s36, 0
	v_add3_u32 v35, v35, v37, v36
	v_lshl_add_u64 v[34:35], v[34:35], 2, s[10:11]
	global_load_dword v34, v[34:35], off
	s_waitcnt vmcnt(0)
	v_sub_f32_e32 v34, s12, v34
	v_exp_f32_e32 v54, v34
.LBB189_64:
	s_or_b64 exec, exec, s[2:3]
	v_or_b32_e32 v42, 2, v65
	v_cmp_gt_i32_e64 s[2:3], s45, v42
	v_mov_b32_e32 v52, 0
	v_mov_b32_e32 v64, 0
	s_and_saveexec_b64 s[6:7], s[2:3]
	s_cbranch_execz .LBB189_66
; %bb.65:
	v_add_u32_e32 v34, s44, v42
	v_ashrrev_i32_e32 v35, 31, v34
	v_mul_lo_u32 v36, v35, s36
	v_mul_lo_u32 v37, v34, s37
	v_mad_u64_u32 v[34:35], s[16:17], v34, s36, 0
	v_add3_u32 v35, v35, v37, v36
	v_lshl_add_u64 v[34:35], v[34:35], 2, s[10:11]
	global_load_dword v34, v[34:35], off
	s_waitcnt vmcnt(0)
	v_sub_f32_e32 v34, s12, v34
	v_exp_f32_e32 v64, v34
.LBB189_66:
	s_or_b64 exec, exec, s[6:7]
	v_or_b32_e32 v43, 3, v65
	v_cmp_gt_i32_e32 vcc, s45, v43
	s_and_saveexec_b64 s[6:7], vcc
	s_cbranch_execz .LBB189_68
; %bb.67:
	v_add_u32_e32 v34, s44, v43
	v_ashrrev_i32_e32 v35, 31, v34
	v_mul_lo_u32 v36, v35, s36
	v_mul_lo_u32 v37, v34, s37
	v_mad_u64_u32 v[34:35], s[16:17], v34, s36, 0
	v_add3_u32 v35, v35, v37, v36
	v_lshl_add_u64 v[34:35], v[34:35], 2, s[10:11]
	global_load_dword v34, v[34:35], off
	s_waitcnt vmcnt(0)
	v_sub_f32_e32 v34, s12, v34
	v_exp_f32_e32 v52, v34
.LBB189_68:
	s_or_b64 exec, exec, s[6:7]
	s_add_u32 s6, s8, s30
	s_addc_u32 s7, s9, s31
	s_add_u32 s8, s14, s30
	v_ashrrev_i32_e32 v51, 31, v50
	v_accvgpr_read_b32 v37, a15
	s_addc_u32 s9, s15, s31
	v_lshlrev_b64 v[38:39], 1, v[50:51]
	v_accvgpr_read_b32 v36, a14
	v_accvgpr_read_b32 v35, a13
	;; [unrolled: 1-line block ×3, first 2 shown]
	v_lshl_add_u64 v[40:41], s[6:7], 0, v[38:39]
	v_lshl_add_u64 v[38:39], s[8:9], 0, v[38:39]
	v_mov_b32_e32 v47, 0
	v_lshlrev_b32_e32 v44, 8, v65
	v_mov_b32_e32 v45, 0
	s_and_saveexec_b64 s[6:7], s[0:1]
	s_cbranch_execz .LBB189_70
; %bb.69:
	v_mov_b32_e32 v45, 0
	v_lshl_add_u64 v[48:49], v[40:41], 0, v[44:45]
	global_load_ushort v51, v[48:49], off
	v_lshl_add_u64 v[48:49], v[38:39], 0, v[44:45]
	s_waitcnt vmcnt(0)
	v_lshlrev_b32_e32 v45, 16, v51
	v_sub_f32_e32 v34, v45, v34
	global_store_short_d16_hi v[48:49], v34, off
	v_mul_f32_e32 v34, v55, v34
	v_lshrrev_b32_e32 v45, 16, v34
.LBB189_70:
	s_or_b64 exec, exec, s[6:7]
	v_lshlrev_b32_e32 v46, 8, v46
	s_and_saveexec_b64 s[6:7], s[4:5]
	s_cbranch_execz .LBB189_72
; %bb.71:
	v_mov_b32_e32 v47, 0
	v_lshl_add_u64 v[48:49], v[40:41], 0, v[46:47]
	global_load_ushort v34, v[48:49], off
	v_lshl_add_u64 v[48:49], v[38:39], 0, v[46:47]
	s_waitcnt vmcnt(0)
	v_lshlrev_b32_e32 v34, 16, v34
	v_sub_f32_e32 v34, v34, v35
	global_store_short_d16_hi v[48:49], v34, off
	v_mul_f32_e32 v34, v54, v34
	v_lshrrev_b32_e32 v47, 16, v34
.LBB189_72:
	s_or_b64 exec, exec, s[6:7]
	v_mov_b32_e32 v66, 0
	v_lshlrev_b32_e32 v48, 8, v42
	v_mov_b32_e32 v49, 0
	s_and_saveexec_b64 s[6:7], s[2:3]
	s_cbranch_execz .LBB189_74
; %bb.73:
	v_mov_b32_e32 v49, 0
	v_lshl_add_u64 v[34:35], v[40:41], 0, v[48:49]
	global_load_ushort v42, v[34:35], off
	v_lshl_add_u64 v[34:35], v[38:39], 0, v[48:49]
	s_waitcnt vmcnt(0)
	v_lshlrev_b32_e32 v42, 16, v42
	v_sub_f32_e32 v36, v42, v36
	global_store_short_d16_hi v[34:35], v36, off
	v_mul_f32_e32 v34, v64, v36
	v_lshrrev_b32_e32 v49, 16, v34
.LBB189_74:
	s_or_b64 exec, exec, s[6:7]
	v_lshlrev_b32_e32 v42, 8, v43
	s_and_saveexec_b64 s[6:7], vcc
	s_cbranch_execz .LBB189_76
; %bb.75:
	v_mov_b32_e32 v43, 0
	v_lshl_add_u64 v[34:35], v[40:41], 0, v[42:43]
	global_load_ushort v36, v[34:35], off
	v_lshl_add_u64 v[34:35], v[38:39], 0, v[42:43]
	s_waitcnt vmcnt(0)
	v_lshlrev_b32_e32 v36, 16, v36
	v_sub_f32_e32 v36, v36, v37
	global_store_short_d16_hi v[34:35], v36, off
	v_mul_f32_e32 v34, v52, v36
	v_lshrrev_b32_e32 v66, 16, v34
.LBB189_76:
	s_or_b64 exec, exec, s[6:7]
	v_lshlrev_b32_e32 v51, 6, v65
	v_accvgpr_read_b32 v37, a11
	s_mov_b32 s6, 0x5040100
	v_or_b32_e32 v43, v51, v58
	v_accvgpr_read_b32 v36, a10
	v_accvgpr_read_b32 v35, a9
	;; [unrolled: 1-line block ×3, first 2 shown]
	v_perm_b32 v67, v66, v49, s6
	v_perm_b32 v66, v47, v45, s6
	v_lshlrev_b32_e32 v43, 1, v43
	v_mov_b32_e32 v47, 0
	v_mov_b32_e32 v45, 0
	ds_write_b64 v43, v[66:67] offset:24576
	s_and_saveexec_b64 s[6:7], s[0:1]
	s_cbranch_execz .LBB189_78
; %bb.77:
	v_mov_b32_e32 v45, 0
	v_lshl_add_u64 v[66:67], v[40:41], 0, v[44:45]
	global_load_ushort v43, v[66:67], off offset:32
	v_lshl_add_u64 v[66:67], v[38:39], 0, v[44:45]
	s_waitcnt vmcnt(0)
	v_lshlrev_b32_e32 v43, 16, v43
	v_sub_f32_e32 v34, v43, v34
	global_store_short_d16_hi v[66:67], v34, off offset:32
	v_mul_f32_e32 v34, v55, v34
	v_lshrrev_b32_e32 v45, 16, v34
.LBB189_78:
	s_or_b64 exec, exec, s[6:7]
	s_and_saveexec_b64 s[6:7], s[4:5]
	s_cbranch_execz .LBB189_80
; %bb.79:
	v_mov_b32_e32 v47, 0
	v_lshl_add_u64 v[66:67], v[40:41], 0, v[46:47]
	global_load_ushort v34, v[66:67], off offset:32
	v_lshl_add_u64 v[66:67], v[38:39], 0, v[46:47]
	s_waitcnt vmcnt(0)
	v_lshlrev_b32_e32 v34, 16, v34
	v_sub_f32_e32 v34, v34, v35
	global_store_short_d16_hi v[66:67], v34, off offset:32
	v_mul_f32_e32 v34, v54, v34
	v_lshrrev_b32_e32 v47, 16, v34
.LBB189_80:
	s_or_b64 exec, exec, s[6:7]
	v_mov_b32_e32 v43, 0
	v_mov_b32_e32 v49, 0
	s_and_saveexec_b64 s[6:7], s[2:3]
	s_cbranch_execz .LBB189_82
; %bb.81:
	v_mov_b32_e32 v49, 0
	v_lshl_add_u64 v[34:35], v[40:41], 0, v[48:49]
	global_load_ushort v58, v[34:35], off offset:32
	v_lshl_add_u64 v[34:35], v[38:39], 0, v[48:49]
	s_waitcnt vmcnt(0)
	v_lshlrev_b32_e32 v49, 16, v58
	v_sub_f32_e32 v36, v49, v36
	global_store_short_d16_hi v[34:35], v36, off offset:32
	v_mul_f32_e32 v34, v64, v36
	v_lshrrev_b32_e32 v49, 16, v34
.LBB189_82:
	s_or_b64 exec, exec, s[6:7]
	s_and_saveexec_b64 s[6:7], vcc
	s_cbranch_execz .LBB189_84
; %bb.83:
	v_mov_b32_e32 v43, 0
	v_lshl_add_u64 v[34:35], v[40:41], 0, v[42:43]
	global_load_ushort v36, v[34:35], off offset:32
	v_lshl_add_u64 v[34:35], v[38:39], 0, v[42:43]
	s_waitcnt vmcnt(0)
	v_lshlrev_b32_e32 v36, 16, v36
	v_sub_f32_e32 v36, v36, v37
	global_store_short_d16_hi v[34:35], v36, off offset:32
	v_mul_f32_e32 v34, v52, v36
	v_lshrrev_b32_e32 v43, 16, v34
.LBB189_84:
	s_or_b64 exec, exec, s[6:7]
	s_mov_b32 s6, 0x5040100
	v_accvgpr_read_b32 v37, a7
	v_perm_b32 v67, v43, v49, s6
	v_or_b32_e32 v43, v51, v57
	v_accvgpr_read_b32 v36, a6
	v_accvgpr_read_b32 v35, a5
	v_accvgpr_read_b32 v34, a4
	v_perm_b32 v66, v47, v45, s6
	v_lshlrev_b32_e32 v43, 1, v43
	v_mov_b32_e32 v47, 0
	v_mov_b32_e32 v45, 0
	ds_write_b64 v43, v[66:67] offset:24576
	s_and_saveexec_b64 s[6:7], s[0:1]
	s_cbranch_execz .LBB189_86
; %bb.85:
	v_mov_b32_e32 v45, 0
	v_lshl_add_u64 v[66:67], v[40:41], 0, v[44:45]
	global_load_ushort v43, v[66:67], off offset:64
	v_lshl_add_u64 v[66:67], v[38:39], 0, v[44:45]
	s_waitcnt vmcnt(0)
	v_lshlrev_b32_e32 v43, 16, v43
	v_sub_f32_e32 v34, v43, v34
	global_store_short_d16_hi v[66:67], v34, off offset:64
	v_mul_f32_e32 v34, v55, v34
	v_lshrrev_b32_e32 v45, 16, v34
.LBB189_86:
	s_or_b64 exec, exec, s[6:7]
	s_and_saveexec_b64 s[6:7], s[4:5]
	s_cbranch_execz .LBB189_88
; %bb.87:
	v_mov_b32_e32 v47, 0
	v_lshl_add_u64 v[66:67], v[40:41], 0, v[46:47]
	global_load_ushort v34, v[66:67], off offset:64
	v_lshl_add_u64 v[66:67], v[38:39], 0, v[46:47]
	s_waitcnt vmcnt(0)
	v_lshlrev_b32_e32 v34, 16, v34
	v_sub_f32_e32 v34, v34, v35
	global_store_short_d16_hi v[66:67], v34, off offset:64
	v_mul_f32_e32 v34, v54, v34
	v_lshrrev_b32_e32 v47, 16, v34
.LBB189_88:
	s_or_b64 exec, exec, s[6:7]
	v_mov_b32_e32 v43, 0
	v_mov_b32_e32 v49, 0
	s_and_saveexec_b64 s[6:7], s[2:3]
	s_cbranch_execz .LBB189_90
; %bb.89:
	v_mov_b32_e32 v49, 0
	v_lshl_add_u64 v[34:35], v[40:41], 0, v[48:49]
	global_load_ushort v57, v[34:35], off offset:64
	v_lshl_add_u64 v[34:35], v[38:39], 0, v[48:49]
	s_waitcnt vmcnt(0)
	v_lshlrev_b32_e32 v49, 16, v57
	v_sub_f32_e32 v36, v49, v36
	global_store_short_d16_hi v[34:35], v36, off offset:64
	v_mul_f32_e32 v34, v64, v36
	v_lshrrev_b32_e32 v49, 16, v34
.LBB189_90:
	s_or_b64 exec, exec, s[6:7]
	s_and_saveexec_b64 s[6:7], vcc
	s_cbranch_execz .LBB189_92
; %bb.91:
	v_mov_b32_e32 v43, 0
	v_lshl_add_u64 v[34:35], v[40:41], 0, v[42:43]
	global_load_ushort v36, v[34:35], off offset:64
	v_lshl_add_u64 v[34:35], v[38:39], 0, v[42:43]
	s_waitcnt vmcnt(0)
	v_lshlrev_b32_e32 v36, 16, v36
	v_sub_f32_e32 v36, v36, v37
	global_store_short_d16_hi v[34:35], v36, off offset:64
	v_mul_f32_e32 v34, v52, v36
	v_lshrrev_b32_e32 v43, 16, v34
.LBB189_92:
	s_or_b64 exec, exec, s[6:7]
	s_mov_b32 s6, 0x5040100
	v_accvgpr_read_b32 v37, a3
	v_perm_b32 v67, v43, v49, s6
	v_or_b32_e32 v43, v51, v56
	v_accvgpr_read_b32 v36, a2
	v_accvgpr_read_b32 v35, a1
	;; [unrolled: 1-line block ×3, first 2 shown]
	v_perm_b32 v66, v47, v45, s6
	v_lshlrev_b32_e32 v43, 1, v43
	v_mov_b32_e32 v47, 0
	v_mov_b32_e32 v45, 0
	ds_write_b64 v43, v[66:67] offset:24576
	s_and_saveexec_b64 s[6:7], s[0:1]
	s_cbranch_execz .LBB189_94
; %bb.93:
	v_mov_b32_e32 v45, 0
	v_lshl_add_u64 v[56:57], v[40:41], 0, v[44:45]
	global_load_ushort v43, v[56:57], off offset:96
	v_lshl_add_u64 v[44:45], v[38:39], 0, v[44:45]
	s_waitcnt vmcnt(0)
	v_lshlrev_b32_e32 v43, 16, v43
	v_sub_f32_e32 v34, v43, v34
	global_store_short_d16_hi v[44:45], v34, off offset:96
	v_mul_f32_e32 v34, v55, v34
	v_lshrrev_b32_e32 v45, 16, v34
.LBB189_94:
	s_or_b64 exec, exec, s[6:7]
	s_and_saveexec_b64 s[0:1], s[4:5]
	s_cbranch_execz .LBB189_96
; %bb.95:
	v_mov_b32_e32 v47, 0
	v_lshl_add_u64 v[56:57], v[40:41], 0, v[46:47]
	global_load_ushort v34, v[56:57], off offset:96
	v_lshl_add_u64 v[46:47], v[38:39], 0, v[46:47]
	s_waitcnt vmcnt(0)
	v_lshlrev_b32_e32 v34, 16, v34
	v_sub_f32_e32 v34, v34, v35
	global_store_short_d16_hi v[46:47], v34, off offset:96
	v_mul_f32_e32 v34, v54, v34
	v_lshrrev_b32_e32 v47, 16, v34
.LBB189_96:
	s_or_b64 exec, exec, s[0:1]
	v_mov_b32_e32 v43, 0
	v_mov_b32_e32 v46, 0
	s_and_saveexec_b64 s[0:1], s[2:3]
	s_cbranch_execz .LBB189_98
; %bb.97:
	v_mov_b32_e32 v49, 0
	v_lshl_add_u64 v[34:35], v[40:41], 0, v[48:49]
	global_load_ushort v44, v[34:35], off offset:96
	v_lshl_add_u64 v[34:35], v[38:39], 0, v[48:49]
	s_waitcnt vmcnt(0)
	v_lshlrev_b32_e32 v44, 16, v44
	v_sub_f32_e32 v36, v44, v36
	global_store_short_d16_hi v[34:35], v36, off offset:96
	v_mul_f32_e32 v34, v64, v36
	v_lshrrev_b32_e32 v46, 16, v34
.LBB189_98:
	s_or_b64 exec, exec, s[0:1]
	v_or_b32_e32 v44, 0x6000, v60
	v_or_b32_e32 v36, 0x6000, v61
	;; [unrolled: 1-line block ×4, first 2 shown]
	s_and_saveexec_b64 s[0:1], vcc
	s_cbranch_execz .LBB189_100
; %bb.99:
	v_mov_b32_e32 v43, 0
	v_lshl_add_u64 v[40:41], v[40:41], 0, v[42:43]
	global_load_ushort v40, v[40:41], off offset:96
	v_lshl_add_u64 v[38:39], v[38:39], 0, v[42:43]
	s_waitcnt vmcnt(0)
	v_lshlrev_b32_e32 v40, 16, v40
	v_sub_f32_e32 v37, v40, v37
	global_store_short_d16_hi v[38:39], v37, off offset:96
	v_mul_f32_e32 v37, v52, v37
	v_lshrrev_b32_e32 v43, 16, v37
.LBB189_100:
	s_or_b64 exec, exec, s[0:1]
	s_mov_b32 s0, 0x5040100
	v_or_b32_e32 v37, v51, v53
	v_perm_b32 v39, v43, v46, s0
	v_perm_b32 v38, v47, v45, s0
	v_lshlrev_b32_e32 v37, 1, v37
	s_movk_i32 s0, 0x100
	ds_write_b64 v37, v[38:39] offset:24576
	v_and_b32_e32 v37, 7, v0
	v_and_b32_e32 v38, 8, v0
	v_cmp_gt_u32_e32 vcc, s0, v0
	v_lshrrev_b32_e32 v0, 1, v0
	v_mov_b32_e32 v39, 0xa000
	v_mov_b32_e32 v40, 0x8000
	v_lshlrev_b32_e32 v58, 3, v74
	v_and_b32_e32 v0, 24, v0
	v_cndmask_b32_e32 v51, v39, v40, vcc
	v_xor_b32_e32 v39, v58, v0
	v_or_b32_e32 v40, 0x440, v39
	v_cmp_eq_u32_e32 vcc, 0, v38
	v_lshlrev_b32_e32 v45, 3, v37
	v_lshlrev_b32_e32 v37, 7, v37
	v_cndmask_b32_e32 v38, v40, v39, vcc
	v_or_b32_e32 v38, v38, v59
	v_xad_u32 v72, v38, v45, v37
	v_add_u32_e32 v38, v51, v72
	s_waitcnt lgkmcnt(0)
	s_barrier
	ds_read_b64 v[42:43], v38
	ds_read2_b64 v[38:41], v44 offset1:16
	ds_read2_b64 v[46:49], v44 offset0:32 offset1:48
	v_or_b32_e32 v52, 32, v0
	v_xor_b32_e32 v52, v58, v52
	v_or_b32_e32 v53, 0x440, v52
	v_cndmask_b32_e32 v52, v53, v52, vcc
	s_waitcnt lgkmcnt(1)
	v_mfma_f32_16x16x16_bf16 a[0:3], v[42:43], v[38:39], 0
	v_or_b32_e32 v52, v52, v59
	v_xad_u32 v73, v52, v45, v37
	v_add_u32_e32 v52, v51, v73
	v_mfma_f32_16x16x16_bf16 a[4:7], v[42:43], v[40:41], 0
	ds_read_b64 v[56:57], v52
	ds_read2st64_b64 v[60:63], v36 offset0:4 offset1:8
	ds_read2st64_b64 v[64:67], v35 offset0:4 offset1:8
	s_waitcnt lgkmcnt(3)
	v_mfma_f32_16x16x16_bf16 a[8:11], v[42:43], v[46:47], 0
	ds_read2st64_b64 v[68:71], v34 offset0:4 offset1:8
	v_mfma_f32_16x16x16_bf16 a[12:15], v[42:43], v[48:49], 0
	v_or_b32_e32 v42, 64, v0
	v_xor_b32_e32 v42, v58, v42
	v_xor_b32_e32 v43, 0x440, v42
	v_cndmask_b32_e32 v42, v43, v42, vcc
	v_or_b32_e32 v42, v42, v59
	v_xad_u32 v74, v42, v45, v37
	v_add_u32_e32 v42, v51, v74
	ds_read_b64 v[42:43], v42
	ds_read2st64_b64 v[52:55], v44 offset0:4 offset1:8
	v_or_b32_e32 v0, 0x60, v0
	v_xor_b32_e32 v0, v58, v0
	s_waitcnt lgkmcnt(0)
	v_mfma_f32_16x16x16_bf16 a[0:3], v[56:57], v[52:53], a[0:3]
	v_mfma_f32_16x16x16_bf16 a[4:7], v[56:57], v[60:61], a[4:7]
	;; [unrolled: 1-line block ×4, first 2 shown]
	v_xor_b32_e32 v56, 0x440, v0
	v_cndmask_b32_e32 v0, v56, v0, vcc
	v_or_b32_e32 v0, v0, v59
	v_xad_u32 v0, v0, v45, v37
	v_add_u32_e32 v37, v51, v0
	v_mfma_f32_16x16x16_bf16 a[0:3], v[42:43], v[54:55], a[0:3]
	ds_read_b64 v[56:57], v37
	ds_read_b64 v[44:45], v44 offset:6144
	v_mfma_f32_16x16x16_bf16 a[4:7], v[42:43], v[62:63], a[4:7]
	v_mfma_f32_16x16x16_bf16 a[8:11], v[42:43], v[66:67], a[8:11]
	;; [unrolled: 1-line block ×3, first 2 shown]
	ds_read_b64 v[36:37], v36 offset:6144
	ds_read_b64 v[42:43], v35 offset:6144
	;; [unrolled: 1-line block ×3, first 2 shown]
	s_waitcnt lgkmcnt(3)
	v_mfma_f32_16x16x16_bf16 a[0:3], v[56:57], v[44:45], a[0:3]
	s_waitcnt lgkmcnt(2)
	v_mfma_f32_16x16x16_bf16 a[4:7], v[56:57], v[36:37], a[4:7]
	;; [unrolled: 2-line block ×4, first 2 shown]
	ds_read_b64 v[56:57], v72 offset:40960
	s_waitcnt lgkmcnt(0)
	v_mfma_f32_16x16x16_bf16 a[24:27], v[56:57], v[46:47], 0
	v_exp_f32_e32 v46, s12
	v_accvgpr_read_b32 v47, a3
	v_fmac_f32_e32 v47, v46, v33
	v_mfma_f32_16x16x16_bf16 a[16:19], v[56:57], v[38:39], 0
	ds_read_b64 v[38:39], v73 offset:40960
	v_accvgpr_read_b32 v33, a4
	v_fma_f32 v22, v46, v22, v33
	v_mfma_f32_16x16x16_bf16 a[20:23], v[56:57], v[40:41], 0
	v_accvgpr_read_b32 v40, a0
	v_fma_f32 v30, v46, v30, v40
	v_accvgpr_read_b32 v40, a1
	v_fma_f32 v31, v46, v31, v40
	v_accvgpr_read_b32 v40, a2
	v_mfma_f32_16x16x16_bf16 a[28:31], v[56:57], v[48:49], 0
	v_fma_f32 v32, v46, v32, v40
	ds_read_b64 v[40:41], v74 offset:40960
	v_accvgpr_read_b32 v33, a5
	s_waitcnt lgkmcnt(1)
	v_mfma_f32_16x16x16_bf16 a[16:19], v[38:39], v[52:53], a[16:19]
	v_fma_f32 v23, v46, v23, v33
	v_accvgpr_read_b32 v33, a6
	v_accvgpr_read_b32 v48, a7
	v_mfma_f32_16x16x16_bf16 a[20:23], v[38:39], v[60:61], a[20:23]
	v_fmac_f32_e32 v48, v46, v25
	v_accvgpr_read_b32 v25, a8
	v_fma_f32 v24, v46, v24, v33
	v_mfma_f32_16x16x16_bf16 a[24:27], v[38:39], v[64:65], a[24:27]
	v_fma_f32 v14, v46, v14, v25
	v_mov_b32_e32 v33, v47
	v_mov_b32_e32 v25, v48
	v_mfma_f32_16x16x16_bf16 a[0:3], v[38:39], v[68:69], a[28:31]
	ds_read_b64 v[38:39], v0 offset:40960
	v_accvgpr_read_b32 v0, a9
	v_fma_f32 v15, v46, v15, v0
	s_waitcnt lgkmcnt(1)
	v_mfma_f32_16x16x16_bf16 a[4:7], v[40:41], v[62:63], a[20:23]
	v_accvgpr_read_b32 v0, a10
	v_fma_f32 v16, v46, v16, v0
	v_accvgpr_read_b32 v0, a11
	v_mfma_f32_16x16x16_bf16 a[16:19], v[40:41], v[54:55], a[16:19]
	v_fmac_f32_e32 v0, v46, v17
	v_accvgpr_read_b32 v17, a12
	v_fma_f32 v2, v46, v2, v17
	v_mfma_f32_16x16x16_bf16 a[20:23], v[40:41], v[66:67], a[24:27]
	v_accvgpr_read_b32 v17, a13
	v_fma_f32 v3, v46, v3, v17
	v_accvgpr_read_b32 v17, a14
	v_mfma_f32_16x16x16_bf16 a[0:3], v[40:41], v[70:71], a[0:3]
	v_fma_f32 v4, v46, v4, v17
	s_waitcnt lgkmcnt(0)
	v_mfma_f32_16x16x16_bf16 a[4:7], v[38:39], v[36:37], a[4:7]
	v_accvgpr_read_b32 v36, a15
	v_fmac_f32_e32 v36, v46, v5
	v_mfma_f32_16x16x16_bf16 a[8:11], v[38:39], v[44:45], a[16:19]
	v_mfma_f32_16x16x16_bf16 a[16:19], v[38:39], v[42:43], a[20:23]
	s_nop 2
	v_accvgpr_read_b32 v17, a4
	v_fma_f32 v18, v46, v18, v17
	v_accvgpr_read_b32 v17, a5
	v_mfma_f32_16x16x16_bf16 a[0:3], v[38:39], v[34:35], a[0:3]
	v_accvgpr_read_b32 v5, a8
	v_fma_f32 v19, v46, v19, v17
	v_accvgpr_read_b32 v17, a6
	v_fma_f32 v26, v46, v26, v5
	;; [unrolled: 2-line block ×3, first 2 shown]
	v_accvgpr_read_b32 v17, a7
	v_accvgpr_read_b32 v34, a19
	v_fma_f32 v27, v46, v27, v5
	v_accvgpr_read_b32 v5, a10
	v_fmac_f32_e32 v17, v46, v21
	v_accvgpr_read_b32 v21, a16
	v_fmac_f32_e32 v34, v46, v13
	v_accvgpr_read_b32 v13, a0
	v_fma_f32 v28, v46, v28, v5
	v_accvgpr_read_b32 v5, a11
	v_fma_f32 v10, v46, v10, v21
	;; [unrolled: 2-line block ×3, first 2 shown]
	v_accvgpr_read_b32 v13, a1
	v_accvgpr_read_b32 v35, a3
	v_fmac_f32_e32 v5, v46, v29
	v_fma_f32 v11, v46, v11, v21
	v_accvgpr_read_b32 v21, a18
	v_fma_f32 v7, v46, v7, v13
	v_accvgpr_read_b32 v13, a2
	v_fmac_f32_e32 v35, v46, v9
	v_fma_f32 v12, v46, v12, v21
	v_fma_f32 v8, v46, v8, v13
	v_mov_b32_e32 v29, v5
	v_mov_b32_e32 v21, v17
	;; [unrolled: 1-line block ×7, first 2 shown]
.LBB189_101:
	s_lshl_b64 s[0:1], s[28:29], 16
	s_waitcnt lgkmcnt(0)
	s_add_u32 s0, s34, s0
	v_lshlrev_b32_e32 v34, 7, v34
	s_addc_u32 s1, s35, s1
	v_ashrrev_i32_e32 v35, 31, v34
	v_lshl_add_u64 v[36:37], v[34:35], 2, s[0:1]
	v_lshlrev_b32_e32 v0, 2, v1
	v_mov_b32_e32 v1, 0
	v_lshl_add_u64 v[36:37], v[36:37], 0, v[0:1]
	global_store_dwordx4 v[36:37], v[30:33], off
	global_store_dwordx4 v[36:37], v[26:29], off offset:256
	s_nop 1
	v_or_b32_e32 v26, 0x800, v34
	v_ashrrev_i32_e32 v27, 31, v26
	v_lshl_add_u64 v[26:27], v[26:27], 2, s[0:1]
	v_lshl_add_u64 v[26:27], v[26:27], 0, v[0:1]
	global_store_dwordx4 v[26:27], v[22:25], off
	global_store_dwordx4 v[26:27], v[18:21], off offset:256
	s_nop 1
	v_or_b32_e32 v18, 0x1000, v34
	v_ashrrev_i32_e32 v19, 31, v18
	v_lshl_add_u64 v[18:19], v[18:19], 2, s[0:1]
	;; [unrolled: 7-line block ×3, first 2 shown]
	v_lshl_add_u64 v[0:1], v[10:11], 0, v[0:1]
	global_store_dwordx4 v[0:1], v[2:5], off
	global_store_dwordx4 v[0:1], v[6:9], off offset:256
	s_endpgm
	.section	.rodata,"a",@progbits
	.p2align	6, 0x0
	.amdhsa_kernel _ZN12_GLOBAL__N_139chunk_gated_delta_rule_fwd_h_hip_kernelILi64ELb0ELb1ELb1ELb0ELb1ELb0ELb0ELb0EEEvPK12hip_bfloat16S3_S3_PKfS5_PKvPS1_S8_PvPKiSB_iiiiilll
		.amdhsa_group_segment_fixed_size 65536
		.amdhsa_private_segment_fixed_size 0
		.amdhsa_kernarg_size 136
		.amdhsa_user_sgpr_count 2
		.amdhsa_user_sgpr_dispatch_ptr 0
		.amdhsa_user_sgpr_queue_ptr 0
		.amdhsa_user_sgpr_kernarg_segment_ptr 1
		.amdhsa_user_sgpr_dispatch_id 0
		.amdhsa_user_sgpr_kernarg_preload_length 0
		.amdhsa_user_sgpr_kernarg_preload_offset 0
		.amdhsa_user_sgpr_private_segment_size 0
		.amdhsa_uses_dynamic_stack 0
		.amdhsa_enable_private_segment 0
		.amdhsa_system_sgpr_workgroup_id_x 1
		.amdhsa_system_sgpr_workgroup_id_y 1
		.amdhsa_system_sgpr_workgroup_id_z 0
		.amdhsa_system_sgpr_workgroup_info 0
		.amdhsa_system_vgpr_workitem_id 0
		.amdhsa_next_free_vgpr 216
		.amdhsa_next_free_sgpr 67
		.amdhsa_accum_offset 180
		.amdhsa_reserve_vcc 1
		.amdhsa_float_round_mode_32 0
		.amdhsa_float_round_mode_16_64 0
		.amdhsa_float_denorm_mode_32 3
		.amdhsa_float_denorm_mode_16_64 3
		.amdhsa_dx10_clamp 1
		.amdhsa_ieee_mode 1
		.amdhsa_fp16_overflow 0
		.amdhsa_tg_split 0
		.amdhsa_exception_fp_ieee_invalid_op 0
		.amdhsa_exception_fp_denorm_src 0
		.amdhsa_exception_fp_ieee_div_zero 0
		.amdhsa_exception_fp_ieee_overflow 0
		.amdhsa_exception_fp_ieee_underflow 0
		.amdhsa_exception_fp_ieee_inexact 0
		.amdhsa_exception_int_div_zero 0
	.end_amdhsa_kernel
	.section	.text._ZN12_GLOBAL__N_139chunk_gated_delta_rule_fwd_h_hip_kernelILi64ELb0ELb1ELb1ELb0ELb1ELb0ELb0ELb0EEEvPK12hip_bfloat16S3_S3_PKfS5_PKvPS1_S8_PvPKiSB_iiiiilll,"axG",@progbits,_ZN12_GLOBAL__N_139chunk_gated_delta_rule_fwd_h_hip_kernelILi64ELb0ELb1ELb1ELb0ELb1ELb0ELb0ELb0EEEvPK12hip_bfloat16S3_S3_PKfS5_PKvPS1_S8_PvPKiSB_iiiiilll,comdat
.Lfunc_end189:
	.size	_ZN12_GLOBAL__N_139chunk_gated_delta_rule_fwd_h_hip_kernelILi64ELb0ELb1ELb1ELb0ELb1ELb0ELb0ELb0EEEvPK12hip_bfloat16S3_S3_PKfS5_PKvPS1_S8_PvPKiSB_iiiiilll, .Lfunc_end189-_ZN12_GLOBAL__N_139chunk_gated_delta_rule_fwd_h_hip_kernelILi64ELb0ELb1ELb1ELb0ELb1ELb0ELb0ELb0EEEvPK12hip_bfloat16S3_S3_PKfS5_PKvPS1_S8_PvPKiSB_iiiiilll
                                        ; -- End function
	.section	.AMDGPU.csdata,"",@progbits
; Kernel info:
; codeLenInByte = 12696
; NumSgprs: 73
; NumVgprs: 180
; NumAgprs: 36
; TotalNumVgprs: 216
; ScratchSize: 0
; MemoryBound: 0
; FloatMode: 240
; IeeeMode: 1
; LDSByteSize: 65536 bytes/workgroup (compile time only)
; SGPRBlocks: 9
; VGPRBlocks: 26
; NumSGPRsForWavesPerEU: 73
; NumVGPRsForWavesPerEU: 216
; AccumOffset: 180
; Occupancy: 1
; WaveLimiterHint : 1
; COMPUTE_PGM_RSRC2:SCRATCH_EN: 0
; COMPUTE_PGM_RSRC2:USER_SGPR: 2
; COMPUTE_PGM_RSRC2:TRAP_HANDLER: 0
; COMPUTE_PGM_RSRC2:TGID_X_EN: 1
; COMPUTE_PGM_RSRC2:TGID_Y_EN: 1
; COMPUTE_PGM_RSRC2:TGID_Z_EN: 0
; COMPUTE_PGM_RSRC2:TIDIG_COMP_CNT: 0
; COMPUTE_PGM_RSRC3_GFX90A:ACCUM_OFFSET: 44
; COMPUTE_PGM_RSRC3_GFX90A:TG_SPLIT: 0
	.section	.text._ZN12_GLOBAL__N_139chunk_gated_delta_rule_fwd_h_hip_kernelILi64ELb0ELb1ELb0ELb0ELb1ELb0ELb0ELb0EEEvPK12hip_bfloat16S3_S3_PKfS5_PKvPS1_S8_PvPKiSB_iiiiilll,"axG",@progbits,_ZN12_GLOBAL__N_139chunk_gated_delta_rule_fwd_h_hip_kernelILi64ELb0ELb1ELb0ELb0ELb1ELb0ELb0ELb0EEEvPK12hip_bfloat16S3_S3_PKfS5_PKvPS1_S8_PvPKiSB_iiiiilll,comdat
	.globl	_ZN12_GLOBAL__N_139chunk_gated_delta_rule_fwd_h_hip_kernelILi64ELb0ELb1ELb0ELb0ELb1ELb0ELb0ELb0EEEvPK12hip_bfloat16S3_S3_PKfS5_PKvPS1_S8_PvPKiSB_iiiiilll ; -- Begin function _ZN12_GLOBAL__N_139chunk_gated_delta_rule_fwd_h_hip_kernelILi64ELb0ELb1ELb0ELb0ELb1ELb0ELb0ELb0EEEvPK12hip_bfloat16S3_S3_PKfS5_PKvPS1_S8_PvPKiSB_iiiiilll
	.p2align	8
	.type	_ZN12_GLOBAL__N_139chunk_gated_delta_rule_fwd_h_hip_kernelILi64ELb0ELb1ELb0ELb0ELb1ELb0ELb0ELb0EEEvPK12hip_bfloat16S3_S3_PKfS5_PKvPS1_S8_PvPKiSB_iiiiilll,@function
_ZN12_GLOBAL__N_139chunk_gated_delta_rule_fwd_h_hip_kernelILi64ELb0ELb1ELb0ELb0ELb1ELb0ELb0ELb0EEEvPK12hip_bfloat16S3_S3_PKfS5_PKvPS1_S8_PvPKiSB_iiiiilll: ; @_ZN12_GLOBAL__N_139chunk_gated_delta_rule_fwd_h_hip_kernelILi64ELb0ELb1ELb0ELb0ELb1ELb0ELb0ELb0EEEvPK12hip_bfloat16S3_S3_PKfS5_PKvPS1_S8_PvPKiSB_iiiiilll
; %bb.0:
	s_load_dwordx4 s[12:15], s[0:1], 0x5c
	s_load_dwordx4 s[16:19], s[0:1], 0x70
	s_abs_i32 s22, s3
	s_ashr_i32 s21, s3, 31
	s_load_dwordx8 s[4:11], s[0:1], 0x0
	s_waitcnt lgkmcnt(0)
	s_abs_i32 s20, s13
	v_cvt_f32_u32_e32 v1, s20
	s_sub_i32 s24, 0, s20
	s_ashr_i32 s23, s13, 31
	s_xor_b32 s21, s21, s23
	v_rcp_iflag_f32_e32 v1, v1
	s_load_dwordx2 s[28:29], s[0:1], 0x40
	s_load_dwordx2 s[36:37], s[0:1], 0x30
	;; [unrolled: 1-line block ×3, first 2 shown]
	v_lshrrev_b32_e32 v72, 6, v0
	v_bfe_u32 v75, v0, 4, 2
	v_mul_f32_e32 v1, 0x4f7ffffe, v1
	v_cvt_u32_f32_e32 v1, v1
	v_lshlrev_b32_e32 v73, 4, v72
	v_lshlrev_b32_e32 v34, 2, v75
	v_and_b32_e32 v74, 63, v0
	v_readfirstlane_b32 s25, v1
	s_mul_i32 s24, s24, s25
	s_mul_hi_u32 s24, s25, s24
	s_add_i32 s25, s25, s24
	s_mul_hi_u32 s24, s22, s25
	s_mul_i32 s25, s24, s20
	s_sub_i32 s22, s22, s25
	s_add_i32 s26, s24, 1
	s_sub_i32 s25, s22, s20
	s_cmp_ge_u32 s22, s20
	s_cselect_b32 s24, s26, s24
	s_cselect_b32 s22, s25, s22
	s_add_i32 s25, s24, 1
	s_cmp_ge_u32 s22, s20
	s_cselect_b32 s22, s25, s24
	s_xor_b32 s22, s22, s21
	s_sub_i32 s47, s22, s21
	s_abs_i32 s21, s14
	v_cvt_f32_u32_e32 v1, s21
	s_add_i32 s24, s12, 63
	s_mul_i32 s45, s47, s13
	s_sub_i32 s33, s3, s45
	v_rcp_iflag_f32_e32 v1, v1
	s_ashr_i32 s3, s24, 31
	s_ashr_i32 s46, s12, 31
	s_lshr_b32 s3, s3, 26
	v_mul_f32_e32 v1, 0x4f7ffffe, v1
	v_cvt_u32_f32_e32 v1, v1
	s_lshr_b32 s22, s46, 26
	s_add_i32 s24, s24, s3
	s_add_i32 s22, s12, s22
	s_ashr_i32 s49, s14, 31
	s_ashr_i32 s3, s24, 6
	;; [unrolled: 1-line block ×3, first 2 shown]
	s_xor_b32 s22, s23, s49
	s_sub_i32 s23, 0, s21
	v_readfirstlane_b32 s24, v1
	s_mul_i32 s23, s23, s24
	s_mul_hi_u32 s23, s24, s23
	s_add_i32 s24, s24, s23
	s_mul_hi_u32 s23, s20, s24
	s_mul_i32 s24, s23, s21
	s_sub_i32 s20, s20, s24
	s_add_i32 s24, s23, 1
	s_sub_i32 s25, s20, s21
	s_cmp_ge_u32 s20, s21
	s_cselect_b32 s23, s24, s23
	s_cselect_b32 s20, s25, s20
	s_add_i32 s24, s23, 1
	s_cmp_ge_u32 s20, s21
	s_cselect_b32 s20, s24, s23
	s_xor_b32 s20, s20, s22
	s_sub_i32 s20, s20, s22
	s_abs_i32 s21, s20
	v_cvt_f32_u32_e32 v1, s21
	s_xor_b32 s0, s33, s20
	s_sub_i32 s20, 0, s21
	s_abs_i32 s1, s33
	v_rcp_iflag_f32_e32 v1, v1
	s_ashr_i32 s0, s0, 31
	v_mov_b32_e32 v5, 0
	s_mul_i32 s50, s47, s3
	v_mul_f32_e32 v1, 0x4f7ffffe, v1
	v_cvt_u32_f32_e32 v1, v1
	v_and_b32_e32 v76, 15, v0
	s_mul_hi_i32 s51, s47, s13
	v_lshrrev_b32_e32 v78, 3, v74
	v_readfirstlane_b32 s22, v1
	s_mul_i32 s20, s20, s22
	s_mul_hi_u32 s20, s22, s20
	s_add_i32 s22, s22, s20
	s_mul_hi_u32 s20, s1, s22
	s_mul_i32 s22, s20, s21
	s_sub_i32 s1, s1, s22
	s_add_i32 s22, s20, 1
	s_sub_i32 s23, s1, s21
	s_cmp_ge_u32 s1, s21
	s_cselect_b32 s20, s22, s20
	s_cselect_b32 s1, s23, s1
	s_add_i32 s22, s20, 1
	s_cmp_ge_u32 s1, s21
	s_cselect_b32 s1, s22, s20
	s_xor_b32 s1, s1, s0
	s_sub_i32 s52, s1, s0
	v_or_b32_e32 v1, v34, v73
	s_lshl_b32 s2, s2, 6
	v_or_b32_e32 v79, 64, v1
	s_cmp_lt_i32 s12, 64
	v_lshlrev_b32_e32 v77, 3, v0
	s_mul_i32 s17, s47, s17
	s_mul_hi_u32 s44, s47, s16
	s_mul_i32 s34, s47, s16
	v_mov_b32_e32 v4, v5
	v_mov_b32_e32 v3, v5
	;; [unrolled: 1-line block ×31, first 2 shown]
	s_cbranch_scc1 .LBB190_18
; %bb.1:
	s_ashr_i32 s3, s47, 31
	s_ashr_i32 s54, s33, 31
	s_add_u32 s0, s45, s33
	s_addc_u32 s1, s51, s54
	s_mul_i32 s1, s12, s1
	s_mul_hi_u32 s20, s12, s0
	s_add_i32 s39, s20, s1
	s_mul_i32 s38, s12, s0
	s_lshl_b64 s[0:1], s[38:39], 8
	v_and_b32_e32 v81, 56, v77
	s_add_u32 s20, s6, s0
	v_lshl_or_b32 v80, v72, 3, v78
	v_lshlrev_b32_e32 v2, 1, v81
	s_addc_u32 s0, s7, s1
	v_lshl_or_b32 v82, v80, 8, v2
	s_and_b32 s21, s0, 0xffff
	s_mov_b32 s23, 0x20000
	s_movk_i32 s22, 0x4000
	s_movk_i32 s0, 0x80
	v_or_b32_e32 v83, 0x2000, v82
	buffer_load_dwordx4 v[4:7], v82, s[20:23], 0 offen
	buffer_load_dwordx4 v[8:11], v82, s[20:23], s0 offen
	;; [unrolled: 1-line block ×4, first 2 shown]
	v_lshlrev_b32_e32 v3, 3, v80
	v_and_or_b32 v21, v0, 7, v3
	v_and_b32_e32 v3, 0x78, v3
	v_lshlrev_b32_e32 v21, 4, v21
	v_xor_b32_e32 v84, v21, v3
	v_mul_lo_u32 v20, v80, s15
	v_or_b32_e32 v85, 0x1000, v84
	v_xor_b32_e32 v3, 8, v84
	s_cmpk_eq_i32 s15, 0x80
	s_mov_b32 s53, s14
	v_xor_b32_e32 v21, 8, v85
	s_cselect_b64 s[0:1], -1, 0
	s_cmpk_lg_i32 s15, 0x80
	s_waitcnt vmcnt(3)
	ds_write_b64 v84, v[4:5] offset:49152
	ds_write_b64 v3, v[6:7] offset:49152
	s_waitcnt vmcnt(2)
	ds_write_b64 v84, v[8:9] offset:57344
	ds_write_b64 v3, v[10:11] offset:57344
	s_waitcnt vmcnt(1)
	ds_write_b64 v84, v[12:13] offset:53248
	ds_write_b64 v21, v[14:15] offset:49152
	s_waitcnt vmcnt(0)
	ds_write_b64 v84, v[16:17] offset:61440
	ds_write_b64 v21, v[18:19] offset:57344
	v_lshl_add_u32 v3, v20, 1, v81
	s_cbranch_scc0 .LBB190_3
; %bb.2:
	v_lshlrev_b32_e32 v5, 1, v3
	v_add_lshl_u32 v4, v3, s15, 1
	s_lshl_b32 s22, s15, 7
	v_lshl_or_b32 v2, v80, 9, v2
	s_cbranch_execz .LBB190_4
	s_branch .LBB190_5
.LBB190_3:
                                        ; implicit-def: $vgpr4
                                        ; implicit-def: $vgpr5
                                        ; implicit-def: $sgpr22
	v_lshl_or_b32 v2, v80, 9, v2
.LBB190_4:
	v_or_b32_e32 v4, 0x100, v2
	s_movk_i32 s22, 0x4000
	v_mov_b32_e32 v5, v2
.LBB190_5:
	s_mul_hi_u32 s20, s14, s12
	s_mul_i32 s21, s49, s12
	s_add_i32 s20, s20, s21
	s_mul_i32 s21, s14, s12
	s_mul_i32 s23, s21, s3
	s_mul_hi_u32 s24, s21, s47
	s_add_i32 s23, s24, s23
	s_mul_i32 s20, s20, s47
	s_add_i32 s23, s23, s20
	s_mul_i32 s21, s21, s47
	s_ashr_i32 s55, s52, 31
	s_add_u32 s20, s21, s52
	s_addc_u32 s21, s23, s55
	s_lshl_b64 s[20:21], s[20:21], 8
	s_add_u32 s20, s4, s20
	s_addc_u32 s21, s5, s21
	s_and_b32 s21, s21, 0xffff
	s_mov_b32 s23, 0x20000
	s_movk_i32 s56, 0x80
	buffer_load_dwordx4 v[6:9], v5, s[20:23], 0 offen
	buffer_load_dwordx4 v[10:13], v5, s[20:23], s56 offen
	;; [unrolled: 1-line block ×4, first 2 shown]
	v_and_b32_e32 v5, 6, v0
	v_lshlrev_b32_e32 v4, 7, v1
	v_xor_b32_e32 v26, v80, v5
	v_and_b32_e32 v22, 1, v0
	v_lshl_or_b32 v29, v76, 3, v4
	v_lshlrev_b32_e32 v26, 2, v26
	v_or_b32_e32 v86, 0x4000, v29
	v_or_b32_e32 v87, 0x6000, v29
	v_xor_b32_e32 v29, 0x440, v26
	v_cmp_eq_u32_e32 vcc, 0, v22
	v_lshlrev_b32_e32 v23, 2, v76
	s_mov_b32 s58, 0x1000504
	v_cndmask_b32_e32 v22, v29, v26, vcc
	v_xor_b32_e32 v27, v1, v23
	v_xor_b32_e32 v28, v79, v23
	v_lshl_or_b32 v5, v5, 10, v22
	s_mov_b32 s59, 0x3020706
	s_mul_i32 s20, s3, s12
	s_mul_hi_u32 s21, s47, s12
	v_lshlrev_b32_e32 v24, 8, v76
	v_or_b32_e32 v25, 16, v76
	v_lshlrev_b32_e32 v27, 1, v27
	v_lshlrev_b32_e32 v28, 1, v28
	v_xor_b32_e32 v22, 8, v5
	v_xor_b32_e32 v26, 24, v5
	;; [unrolled: 1-line block ×4, first 2 shown]
	v_or_b32_e32 v89, v24, v27
	v_or_b32_e32 v90, v24, v28
	v_xor_b32_e32 v24, 16, v5
	v_xor_b32_e32 v29, 32, v5
	;; [unrolled: 1-line block ×3, first 2 shown]
	v_add_u32_e32 v22, 0x80, v22
	v_add_u32_e32 v26, 0x80, v26
	;; [unrolled: 1-line block ×4, first 2 shown]
	s_add_i32 s61, s21, s20
	s_add_i32 s20, s44, s17
	s_mul_i32 s3, s3, s16
	s_add_i32 s35, s20, s3
	s_mul_i32 s3, s33, s19
	s_mul_hi_u32 s20, s33, s18
	s_add_i32 s3, s20, s3
	s_mul_i32 s20, s54, s18
	s_add_i32 s21, s3, s20
	s_lshl_b64 s[24:25], s[34:35], 2
	s_mul_i32 s20, s33, s18
	s_add_u32 s3, s10, s24
	s_addc_u32 s24, s11, s25
	s_lshl_b64 s[20:21], s[20:21], 2
	s_add_u32 s40, s3, s20
	s_movk_i32 s3, 0xf8
	s_addc_u32 s41, s24, s21
	s_lshl_b32 s26, s15, 7
	s_movk_i32 s24, 0x100
	v_mov_b32_e32 v67, 0
	v_lshlrev_b32_e32 v66, 4, v76
	v_cmp_gt_u32_e32 vcc, s24, v0
	v_lshl_or_b32 v30, v25, 3, v4
	s_mov_b32 s57, 0
	s_mul_i32 s60, s47, s12
	v_or_b32_e32 v88, 0x4000, v30
	s_movk_i32 s22, 0x4000
	v_or_b32_e32 v91, 0x6000, v30
	v_add_u32_e32 v126, v73, v34
	s_movk_i32 s35, 0x2000
	s_movk_i32 s62, 0x3000
	s_mov_b32 s64, 0
	v_mov_b32_e32 v30, v67
	s_waitcnt vmcnt(1)
	v_perm_b32 v35, v6, v14, s58
	s_waitcnt vmcnt(0)
	v_perm_b32 v36, v10, v18, s58
	v_perm_b32 v6, v6, v14, s59
	;; [unrolled: 1-line block ×15, first 2 shown]
	ds_write2st64_b32 v5, v35, v36 offset0:128 offset1:160
	ds_write2st64_b32 v22, v6, v10 offset0:128 offset1:160
	;; [unrolled: 1-line block ×8, first 2 shown]
	v_lshlrev_b32_e32 v5, 8, v25
	v_or_b32_e32 v92, v5, v27
	v_or_b32_e32 v93, v5, v28
	;; [unrolled: 1-line block ×3, first 2 shown]
	v_lshl_or_b32 v6, v5, 3, v4
	v_lshlrev_b32_e32 v5, 8, v5
	v_or_b32_e32 v96, v5, v27
	v_or_b32_e32 v97, v5, v28
	;; [unrolled: 1-line block ×5, first 2 shown]
	v_lshl_or_b32 v6, v5, 3, v4
	v_lshlrev_b32_e32 v5, 8, v5
	v_or_b32_e32 v100, v5, v27
	v_or_b32_e32 v101, v5, v28
	;; [unrolled: 1-line block ×3, first 2 shown]
	v_lshlrev_b32_e32 v5, 3, v5
	v_lshrrev_b32_e32 v7, 5, v74
	v_and_or_b32 v7, v5, s3, v7
	v_lshlrev_b32_e32 v7, 4, v7
	v_lshlrev_b32_e32 v10, 11, v72
	v_and_b32_e32 v5, 0x78, v5
	v_or_b32_e32 v13, 32, v7
	v_or_b32_e32 v98, 0x4000, v6
	;; [unrolled: 1-line block ×3, first 2 shown]
	v_and_b32_e32 v6, 0x1000, v10
	v_xor_b32_e32 v8, v7, v5
	v_lshrrev_b32_e32 v11, 1, v0
	v_xor_b32_e32 v13, v13, v5
	v_or_b32_e32 v8, v8, v6
	v_and_b32_e32 v9, 8, v11
	v_lshlrev_b32_e32 v12, 8, v75
	v_or_b32_e32 v13, v13, v6
	v_xor_b32_e32 v102, v8, v9
	v_or_b32_e32 v8, v12, v23
	v_xor_b32_e32 v104, v13, v9
	v_or_b32_e32 v13, 64, v7
	v_or_b32_e32 v7, 0x60, v7
	s_ashr_i32 s3, s2, 31
	v_lshlrev_b32_e32 v8, 1, v8
	v_xor_b32_e32 v13, v13, v5
	v_xor_b32_e32 v5, v7, v5
	s_lshl_b64 s[20:21], s[2:3], 8
	v_or_b32_e32 v103, 0x4000, v8
	v_or_b32_e32 v105, 0x4080, v8
	;; [unrolled: 1-line block ×10, first 2 shown]
	s_waitcnt lgkmcnt(0)
	s_add_u32 s20, s36, s20
	v_lshlrev_b32_e32 v8, 1, v76
	v_xor_b32_e32 v108, v13, v9
	v_xor_b32_e32 v109, v5, v9
	v_lshrrev_b32_e32 v14, 4, v0
	s_addc_u32 s21, s37, s21
	v_or_b32_e32 v9, 1, v8
	v_mov_b32_e32 v18, 0xa000
	v_mov_b32_e32 v19, 0x8000
	v_xor_b32_e32 v15, v14, v8
	v_xor_b32_e32 v16, v9, v14
	v_lshl_add_u64 v[8:9], s[20:21], 0, v[66:67]
	v_lshlrev_b32_e32 v66, 8, v14
	v_cndmask_b32_e32 v18, v18, v19, vcc
	v_lshlrev_b32_e32 v19, 3, v72
	v_and_b32_e32 v11, 24, v11
	v_lshl_or_b32 v114, v15, 3, v66
	v_and_b32_e32 v15, 8, v0
	v_xor_b32_e32 v20, v19, v11
	v_or_b32_e32 v21, 0x440, v20
	v_cmp_eq_u32_e32 vcc, 0, v15
	v_and_b32_e32 v14, 7, v0
	v_lshl_or_b32 v115, v16, 3, v66
	v_cndmask_b32_e32 v15, v21, v20, vcc
	v_lshlrev_b32_e32 v16, 3, v14
	v_lshlrev_b32_e32 v14, 7, v14
	v_or_b32_e32 v15, v15, v10
	v_lshlrev_b32_e32 v17, 2, v0
	v_xad_u32 v116, v15, v16, v14
	v_or_b32_e32 v15, 32, v11
	v_and_or_b32 v12, v17, 60, v12
	v_xor_b32_e32 v15, v19, v15
	v_lshlrev_b32_e32 v12, 1, v12
	v_or_b32_e32 v17, 0x440, v15
	v_or_b32_e32 v117, 0x6000, v12
	v_cndmask_b32_e32 v15, v17, v15, vcc
	v_or_b32_e32 v119, 0x6080, v12
	v_or_b32_e32 v120, 0x6100, v12
	;; [unrolled: 1-line block ×5, first 2 shown]
	v_xor_b32_e32 v12, v19, v12
	v_xad_u32 v118, v15, v16, v14
	v_xor_b32_e32 v15, 0x440, v12
	v_cndmask_b32_e32 v12, v15, v12, vcc
	v_or_b32_e32 v11, 0x60, v11
	v_or_b32_e32 v12, v12, v10
	v_xor_b32_e32 v11, v19, v11
	v_xad_u32 v122, v12, v16, v14
	v_xor_b32_e32 v12, 0x440, v11
	v_cndmask_b32_e32 v11, v12, v11, vcc
	v_or_b32_e32 v6, s2, v76
	v_or_b32_e32 v10, v11, v10
	v_ashrrev_i32_e32 v7, 31, v6
	v_lshlrev_b32_e32 v5, 1, v3
	v_add_lshl_u32 v3, v3, s15, 1
	v_or_b32_e32 v13, 0x100, v2
	v_xad_u32 v123, v10, v16, v14
	v_cndmask_b32_e64 v124, v5, v2, s[0:1]
	v_cndmask_b32_e64 v125, v3, v13, s[0:1]
	v_lshl_add_u64 v[68:69], v[6:7], 1, s[8:9]
	v_lshl_add_u64 v[70:71], v[8:9], 0, v[66:67]
	s_mov_b32 s3, 0x7060302
	v_lshlrev_b32_e32 v66, 1, v4
	v_add_u32_e32 v127, v18, v116
	v_add_u32_e32 v128, v18, v118
	v_add_u32_e32 v129, v18, v122
	v_add_u32_e32 v130, v18, v123
	v_mov_b32_e32 v26, v67
	v_mov_b32_e32 v27, v67
	;; [unrolled: 1-line block ×31, first 2 shown]
	s_barrier
.LBB190_6:                              ; =>This Inner Loop Header: Depth=1
	s_add_i32 s63, s64, 1
	s_cmp_lt_i32 s63, s48
	s_mov_b64 s[24:25], 0
	s_cselect_b64 s[42:43], -1, 0
	s_cmp_ge_i32 s63, s48
	s_mov_b64 s[20:21], 0
	s_cbranch_scc1 .LBB190_8
; %bb.7:                                ;   in Loop: Header=BB190_6 Depth=1
	s_add_i32 s0, s57, 64
	s_add_u32 s0, s38, s0
	s_addc_u32 s1, s39, 0
	s_lshl_b64 s[0:1], s[0:1], 8
	s_add_u32 s20, s6, s0
	s_addc_u32 s21, s7, s1
.LBB190_8:                              ;   in Loop: Header=BB190_6 Depth=1
	v_cndmask_b32_e64 v34, 0, 1, s[42:43]
	v_cmp_ne_u32_e64 s[0:1], 1, v34
	s_andn2_b64 vcc, exec, s[42:43]
	s_cbranch_vccnz .LBB190_10
; %bb.9:                                ;   in Loop: Header=BB190_6 Depth=1
	s_add_i32 s24, s57, 64
	s_add_u32 s24, s60, s24
	s_addc_u32 s25, s61, 0
	s_mul_i32 s27, s24, s49
	s_mul_hi_u32 s42, s24, s53
	s_add_i32 s27, s42, s27
	s_mul_i32 s25, s25, s53
	s_add_i32 s27, s27, s25
	s_mul_i32 s24, s24, s53
	s_add_u32 s24, s24, s52
	s_addc_u32 s25, s27, s55
	s_lshl_b64 s[24:25], s[24:25], 8
	s_add_u32 s24, s4, s24
	s_addc_u32 s25, s5, s25
.LBB190_10:                             ;   in Loop: Header=BB190_6 Depth=1
	v_perm_b32 v35, v33, v32, s3
	v_perm_b32 v34, v31, v30, s3
	v_perm_b32 v37, v29, v28, s3
	v_perm_b32 v36, v27, v26, s3
	ds_write_b64 v86, v[34:35]
	ds_write_b64 v87, v[36:37]
	ds_write_b64 v89, v[34:35]
	ds_write_b64 v90, v[36:37]
	v_perm_b32 v35, v25, v24, s3
	v_perm_b32 v34, v23, v22, s3
	v_perm_b32 v37, v21, v20, s3
	v_perm_b32 v36, v19, v18, s3
	ds_write_b64 v88, v[34:35]
	ds_write_b64 v91, v[36:37]
	ds_write_b64 v92, v[34:35]
	ds_write_b64 v93, v[36:37]
	;; [unrolled: 8-line block ×4, first 2 shown]
	s_waitcnt lgkmcnt(0)
	s_barrier
	ds_read_b64 v[38:39], v102 offset:49152
	ds_read2_b64 v[34:37], v103 offset1:16
	ds_read_b64 v[50:51], v105 offset:6144
	ds_read_b64 v[52:53], v103 offset:6144
	s_waitcnt lgkmcnt(2)
	v_mfma_f32_16x16x16_bf16 a[0:3], v[38:39], v[34:35], 0
	ds_read_b64 v[54:55], v104 offset:49152
	ds_read2st64_b64 v[42:45], v106 offset0:4 offset1:8
	ds_read2st64_b64 v[46:49], v107 offset0:4 offset1:8
	v_mfma_f32_16x16x16_bf16 a[4:7], v[38:39], v[36:37], 0
	ds_read2_b64 v[34:37], v103 offset0:32 offset1:48
	s_add_i32 s27, s57, 63
	s_mul_i32 s42, s27, s31
	s_waitcnt lgkmcnt(0)
	v_mfma_f32_16x16x16_bf16 a[8:11], v[38:39], v[34:35], 0
	s_mul_hi_u32 s43, s27, s30
	s_add_i32 s43, s43, s42
	s_mul_i32 s42, s27, s30
	v_mfma_f32_16x16x16_bf16 a[12:15], v[38:39], v[36:37], 0
	ds_read2st64_b64 v[34:37], v103 offset0:4 offset1:8
	ds_read2st64_b64 v[38:41], v105 offset0:4 offset1:8
	s_lshl_b64 s[42:43], s[42:43], 2
	s_waitcnt lgkmcnt(1)
	v_mfma_f32_16x16x16_bf16 a[0:3], v[54:55], v[34:35], a[0:3]
	s_add_u32 s42, s40, s42
	s_addc_u32 s43, s41, s43
	s_and_b64 vcc, exec, s[0:1]
	s_waitcnt lgkmcnt(0)
	v_mfma_f32_16x16x16_bf16 a[4:7], v[54:55], v[38:39], a[4:7]
	v_mov_b32_e32 v133, 0
	v_mov_b32_e32 v132, 0
	;; [unrolled: 1-line block ×3, first 2 shown]
	v_mfma_f32_16x16x16_bf16 a[8:11], v[54:55], v[42:43], a[8:11]
	ds_read_b64 v[34:35], v108 offset:49152
	ds_read_b64 v[38:39], v109 offset:49152
	;; [unrolled: 1-line block ×3, first 2 shown]
	v_mfma_f32_16x16x16_bf16 a[12:15], v[54:55], v[46:47], a[12:15]
	v_mov_b32_e32 v46, 0
	v_mov_b32_e32 v47, 0
	s_waitcnt lgkmcnt(2)
	v_mfma_f32_16x16x16_bf16 a[0:3], v[34:35], v[36:37], a[0:3]
	v_mov_b32_e32 v36, 0
	v_mov_b32_e32 v37, 0
	v_mfma_f32_16x16x16_bf16 a[16:19], v[34:35], v[40:41], a[4:7]
	v_mov_b32_e32 v40, 0
	v_mov_b32_e32 v41, 0
	;; [unrolled: 3-line block ×3, first 2 shown]
	v_mfma_f32_16x16x16_bf16 a[24:27], v[34:35], v[48:49], a[12:15]
	ds_read_b64 v[34:35], v106 offset:6144
	v_mov_b32_e32 v48, 0
	v_mov_b32_e32 v49, 0
	s_waitcnt lgkmcnt(2)
	v_mfma_f32_16x16x16_bf16 a[4:7], v[38:39], v[52:53], a[0:3]
	v_mfma_f32_16x16x16_bf16 a[8:11], v[38:39], v[50:51], a[16:19]
	s_waitcnt lgkmcnt(0)
	v_mfma_f32_16x16x16_bf16 a[12:15], v[38:39], v[34:35], a[20:23]
	v_mov_b32_e32 v34, 0
	v_mov_b32_e32 v35, 0
	v_mfma_f32_16x16x16_bf16 a[0:3], v[38:39], v[42:43], a[24:27]
	v_mov_b32_e32 v38, 0
	v_mov_b32_e32 v39, 0
	;; [unrolled: 1-line block ×4, first 2 shown]
	s_cbranch_vccnz .LBB190_12
; %bb.11:                               ;   in Loop: Header=BB190_6 Depth=1
	s_and_b32 s21, s21, 0xffff
	buffer_load_dwordx4 v[46:49], v82, s[20:23], 0 offen
	buffer_load_dwordx4 v[42:45], v82, s[20:23], s56 offen
	;; [unrolled: 1-line block ×4, first 2 shown]
	v_mov_b32_e32 v132, v84
	v_mov_b32_e32 v131, v85
.LBB190_12:                             ;   in Loop: Header=BB190_6 Depth=1
	ds_read_b64 v[134:135], v102 offset:57344
	ds_read2_b64 v[50:53], v110 offset1:16
	ds_read_b64 v[136:137], v104 offset:57344
	ds_read_b64 v[138:139], v108 offset:57344
	;; [unrolled: 1-line block ×3, first 2 shown]
	v_add_u32_e32 v142, s57, v126
	s_waitcnt lgkmcnt(3)
	v_mfma_f32_16x16x16_bf16 a[4:7], v[134:135], v[50:51], a[4:7]
	v_mfma_f32_16x16x16_bf16 a[8:11], v[134:135], v[52:53], a[8:11]
	ds_read2_b64 v[50:53], v110 offset0:32 offset1:48
	ds_read2st64_b64 v[54:57], v110 offset0:4 offset1:8
	ds_read2st64_b64 v[58:61], v111 offset0:4 offset1:8
	;; [unrolled: 1-line block ×3, first 2 shown]
	s_waitcnt lgkmcnt(3)
	v_mfma_f32_16x16x16_bf16 a[12:15], v[134:135], v[50:51], a[12:15]
	v_ashrrev_i32_e32 v50, 31, v142
	v_mfma_f32_16x16x16_bf16 a[0:3], v[134:135], v[52:53], a[0:3]
	v_mul_lo_u32 v52, v50, s30
	v_mul_lo_u32 v53, v142, s31
	v_mad_u64_u32 v[50:51], s[20:21], v142, s30, 0
	v_add3_u32 v51, v51, v53, v52
	v_add_u32_e32 v52, 1, v142
	v_ashrrev_i32_e32 v53, 31, v52
	s_waitcnt lgkmcnt(2)
	v_mfma_f32_16x16x16_bf16 a[4:7], v[136:137], v[54:55], a[4:7]
	v_mul_lo_u32 v54, v53, s30
	v_mul_lo_u32 v55, v52, s31
	v_mad_u64_u32 v[52:53], s[20:21], v52, s30, 0
	v_add3_u32 v53, v53, v55, v54
	v_add_u32_e32 v54, 2, v142
	v_ashrrev_i32_e32 v55, 31, v54
	s_waitcnt lgkmcnt(1)
	v_mfma_f32_16x16x16_bf16 a[8:11], v[136:137], v[58:59], a[8:11]
	v_mul_lo_u32 v58, v55, s30
	v_mul_lo_u32 v59, v54, s31
	v_mad_u64_u32 v[54:55], s[20:21], v54, s30, 0
	v_add3_u32 v55, v55, v59, v58
	v_add_u32_e32 v58, 3, v142
	v_ashrrev_i32_e32 v59, 31, v58
	v_mul_lo_u32 v134, v59, s30
	v_mul_lo_u32 v135, v58, s31
	v_mad_u64_u32 v[58:59], s[20:21], v58, s30, 0
	s_add_u32 s20, s38, s57
	s_addc_u32 s21, s39, 0
	v_lshl_add_u64 v[50:51], v[50:51], 2, s[40:41]
	v_add3_u32 v59, v59, v135, v134
	s_lshl_b64 s[20:21], s[20:21], 8
	v_lshl_add_u64 v[52:53], v[52:53], 2, s[40:41]
	v_lshl_add_u64 v[54:55], v[54:55], 2, s[40:41]
	;; [unrolled: 1-line block ×3, first 2 shown]
	global_load_dword v134, v[50:51], off
	global_load_dword v135, v[52:53], off
	;; [unrolled: 1-line block ×4, first 2 shown]
	v_lshl_add_u64 v[50:51], v[68:69], 0, s[20:21]
	v_lshl_add_u64 v[54:55], v[50:51], 0, v[66:67]
	global_load_ushort v144, v[54:55], off offset:256
	global_load_ushort v145, v[54:55], off
	ds_read2st64_b64 v[50:53], v113 offset0:4 offset1:8
	global_load_ushort v146, v[54:55], off offset:768
	global_load_ushort v147, v[54:55], off offset:512
	s_waitcnt lgkmcnt(1)
	v_mfma_f32_16x16x16_bf16 a[12:15], v[136:137], v[62:63], a[12:15]
	s_and_b64 vcc, exec, s[0:1]
	s_waitcnt vmcnt(3)
	v_lshlrev_b32_e32 v63, 16, v144
	s_waitcnt lgkmcnt(0)
	v_mfma_f32_16x16x16_bf16 a[0:3], v[136:137], v[50:51], a[0:3]
	global_load_ushort v136, v[54:55], off offset:288
	global_load_ushort v137, v[54:55], off offset:32
	;; [unrolled: 1-line block ×8, first 2 shown]
	v_mfma_f32_16x16x16_bf16 a[4:7], v[138:139], v[56:57], a[4:7]
	ds_read_b64 v[50:51], v110 offset:6144
	s_waitcnt vmcnt(10)
	v_lshlrev_b32_e32 v62, 16, v145
	v_mfma_f32_16x16x16_bf16 a[8:11], v[138:139], v[60:61], a[8:11]
	v_mfma_f32_16x16x16_bf16 a[12:15], v[138:139], v[64:65], a[12:15]
	;; [unrolled: 1-line block ×3, first 2 shown]
	global_load_ushort v138, v[54:55], off offset:352
	global_load_ushort v139, v[54:55], off offset:96
	ds_read_b64 v[52:53], v111 offset:6144
	ds_read_b64 v[56:57], v112 offset:6144
	;; [unrolled: 1-line block ×3, first 2 shown]
	global_load_ushort v154, v[54:55], off offset:864
	global_load_ushort v155, v[54:55], off offset:608
	s_load_dword s20, s[42:43], 0x0
	s_waitcnt lgkmcnt(0)
	v_mfma_f32_16x16x16_bf16 a[4:7], v[140:141], v[50:51], a[4:7]
	v_sub_f32_e32 v60, s20, v142
	v_mfma_f32_16x16x16_bf16 a[0:3], v[140:141], v[58:59], a[0:3]
	v_sub_f32_e32 v58, s20, v134
	v_sub_f32_e32 v59, s20, v135
	;; [unrolled: 1-line block ×3, first 2 shown]
	v_mfma_f32_16x16x16_bf16 a[8:11], v[140:141], v[52:53], a[8:11]
	v_exp_f32_e32 v58, v58
	v_exp_f32_e32 v59, v59
	v_exp_f32_e32 v60, v60
	v_exp_f32_e32 v61, v61
	v_accvgpr_read_b32 v65, a5
	v_accvgpr_read_b32 v64, a4
	v_accvgpr_read_b32 v51, a7
	v_accvgpr_read_b32 v50, a6
	v_pk_add_f32 v[62:63], v[62:63], v[64:65] neg_lo:[0,1] neg_hi:[0,1]
	s_waitcnt vmcnt(13)
	v_lshlrev_b32_e32 v65, 16, v146
	s_waitcnt vmcnt(12)
	v_lshlrev_b32_e32 v64, 16, v147
	v_pk_add_f32 v[50:51], v[64:65], v[50:51] neg_lo:[0,1] neg_hi:[0,1]
	v_pk_mul_f32 v[62:63], v[58:59], v[62:63]
	v_pk_mul_f32 v[50:51], v[60:61], v[50:51]
	v_accvgpr_read_b32 v65, a9
	v_perm_b32 v51, v51, v50, s3
	v_perm_b32 v50, v63, v62, s3
	v_accvgpr_read_b32 v64, a8
	v_accvgpr_read_b32 v53, a11
	v_mfma_f32_16x16x16_bf16 a[12:15], v[140:141], v[56:57], a[12:15]
	v_accvgpr_read_b32 v52, a10
	v_accvgpr_read_b32 v57, a3
	;; [unrolled: 1-line block ×3, first 2 shown]
	v_mov_b32_e32 v134, 0
	s_waitcnt vmcnt(11)
	v_lshlrev_b32_e32 v63, 16, v136
	s_waitcnt vmcnt(10)
	v_lshlrev_b32_e32 v62, 16, v137
	v_pk_add_f32 v[62:63], v[62:63], v[64:65] neg_lo:[0,1] neg_hi:[0,1]
	s_waitcnt vmcnt(9)
	v_lshlrev_b32_e32 v65, 16, v148
	s_waitcnt vmcnt(8)
	v_lshlrev_b32_e32 v64, 16, v149
	v_pk_add_f32 v[52:53], v[64:65], v[52:53] neg_lo:[0,1] neg_hi:[0,1]
	v_pk_mul_f32 v[62:63], v[58:59], v[62:63]
	v_pk_mul_f32 v[52:53], v[60:61], v[52:53]
	v_accvgpr_read_b32 v55, a15
	v_perm_b32 v53, v53, v52, s3
	v_perm_b32 v52, v63, v62, s3
	ds_write2_b64 v87, v[50:51], v[52:53] offset1:16
	v_accvgpr_read_b32 v53, a13
	s_waitcnt vmcnt(7)
	v_lshlrev_b32_e32 v51, 16, v150
	s_waitcnt vmcnt(6)
	v_lshlrev_b32_e32 v50, 16, v151
	v_accvgpr_read_b32 v52, a12
	v_accvgpr_read_b32 v54, a14
	v_pk_add_f32 v[50:51], v[50:51], v[52:53] neg_lo:[0,1] neg_hi:[0,1]
	s_waitcnt vmcnt(5)
	v_lshlrev_b32_e32 v53, 16, v152
	s_waitcnt vmcnt(4)
	v_lshlrev_b32_e32 v52, 16, v153
	v_pk_add_f32 v[52:53], v[52:53], v[54:55] neg_lo:[0,1] neg_hi:[0,1]
	v_pk_mul_f32 v[50:51], v[58:59], v[50:51]
	v_pk_mul_f32 v[52:53], v[60:61], v[52:53]
	v_accvgpr_read_b32 v55, a1
	v_perm_b32 v53, v53, v52, s3
	v_perm_b32 v52, v51, v50, s3
	s_waitcnt vmcnt(3)
	v_lshlrev_b32_e32 v51, 16, v138
	s_waitcnt vmcnt(2)
	v_lshlrev_b32_e32 v50, 16, v139
	v_accvgpr_read_b32 v54, a0
	v_pk_add_f32 v[50:51], v[50:51], v[54:55] neg_lo:[0,1] neg_hi:[0,1]
	s_waitcnt vmcnt(1)
	v_lshlrev_b32_e32 v55, 16, v154
	s_waitcnt vmcnt(0)
	v_lshlrev_b32_e32 v54, 16, v155
	v_pk_add_f32 v[54:55], v[54:55], v[56:57] neg_lo:[0,1] neg_hi:[0,1]
	v_pk_mul_f32 v[50:51], v[58:59], v[50:51]
	v_pk_mul_f32 v[54:55], v[60:61], v[54:55]
	v_mov_b32_e32 v56, 0
	v_perm_b32 v55, v55, v54, s3
	v_perm_b32 v54, v51, v50, s3
	ds_write2_b64 v87, v[52:53], v[54:55] offset0:32 offset1:48
	v_mov_b32_e32 v50, 0
	v_mov_b32_e32 v51, 0
	;; [unrolled: 1-line block ×15, first 2 shown]
	s_cbranch_vccnz .LBB190_14
; %bb.13:                               ;   in Loop: Header=BB190_6 Depth=1
	s_and_b32 s25, s25, 0xffff
	s_mov_b32 s27, s23
	buffer_load_dwordx4 v[62:65], v124, s[24:27], 0 offen
	buffer_load_dwordx4 v[54:57], v124, s[24:27], s56 offen
	;; [unrolled: 1-line block ×4, first 2 shown]
	v_mov_b32_e32 v133, v81
	v_mov_b32_e32 v134, v80
.LBB190_14:                             ;   in Loop: Header=BB190_6 Depth=1
	s_waitcnt lgkmcnt(0)
	s_barrier
	ds_read_b64 v[144:145], v127
	ds_read2_b64 v[136:139], v117 offset1:16
	ds_read_b64 v[160:161], v128
	ds_read_b64 v[162:163], v129
	;; [unrolled: 1-line block ×3, first 2 shown]
	ds_read2_b64 v[140:143], v117 offset0:32 offset1:48
	s_waitcnt lgkmcnt(4)
	v_mfma_f32_16x16x16_bf16 a[0:3], v[144:145], v[136:137], 0
	ds_read2st64_b64 v[148:151], v119 offset0:4 offset1:8
	ds_read2st64_b64 v[152:155], v120 offset0:4 offset1:8
	;; [unrolled: 1-line block ×3, first 2 shown]
	v_mfma_f32_16x16x16_bf16 a[4:7], v[144:145], v[138:139], 0
	s_add_i32 s21, s50, s64
	s_mul_hi_i32 s25, s21, s13
	s_mul_i32 s21, s21, s13
	s_waitcnt lgkmcnt(3)
	v_mfma_f32_16x16x16_bf16 a[8:11], v[144:145], v[140:141], 0
	s_add_u32 s24, s21, s33
	s_addc_u32 s25, s25, s54
	s_lshl_b64 s[24:25], s[24:25], 15
	v_mfma_f32_16x16x16_bf16 a[12:15], v[144:145], v[142:143], 0
	ds_read2st64_b64 v[144:147], v117 offset0:4 offset1:8
	s_waitcnt lgkmcnt(0)
	v_mfma_f32_16x16x16_bf16 a[0:3], v[160:161], v[144:145], a[0:3]
	v_mfma_f32_16x16x16_bf16 a[4:7], v[160:161], v[148:149], a[4:7]
	;; [unrolled: 1-line block ×8, first 2 shown]
	ds_read_b64 v[160:161], v117 offset:6144
	ds_read_b64 v[162:163], v118 offset:40960
	;; [unrolled: 1-line block ×8, first 2 shown]
	s_waitcnt lgkmcnt(5)
	v_mfma_f32_16x16x16_bf16 a[16:19], v[166:167], v[136:137], 0
	v_mfma_f32_16x16x16_bf16 a[20:23], v[166:167], v[138:139], 0
	ds_read2st64_b64 v[136:139], v114 offset1:8
	v_mfma_f32_16x16x16_bf16 a[24:27], v[166:167], v[140:141], 0
	v_mfma_f32_16x16x16_bf16 a[28:31], v[166:167], v[142:143], 0
	ds_read2st64_b64 v[140:143], v115 offset1:8
	v_mfma_f32_16x16x16_bf16 a[16:19], v[162:163], v[144:145], a[16:19]
	s_waitcnt lgkmcnt(1)
	v_mov_b32_e32 v144, v136
	v_mov_b32_e32 v145, v137
	v_mfma_f32_16x16x16_bf16 a[20:23], v[162:163], v[148:149], a[20:23]
	v_lshl_add_u64 v[148:149], v[70:71], 0, s[24:25]
	v_mfma_f32_16x16x16_bf16 a[24:27], v[162:163], v[152:153], a[24:27]
	v_mfma_f32_16x16x16_bf16 a[28:31], v[162:163], v[156:157], a[28:31]
	;; [unrolled: 1-line block ×3, first 2 shown]
	s_waitcnt lgkmcnt(0)
	v_mov_b32_e32 v146, v140
	v_mov_b32_e32 v147, v141
	;; [unrolled: 1-line block ×3, first 2 shown]
	v_mfma_f32_16x16x16_bf16 a[32:35], v[174:175], v[150:151], a[20:23]
	v_mov_b32_e32 v141, v139
	ds_read2st64_b64 v[136:139], v114 offset0:16 offset1:24
	global_store_dwordx4 v[148:149], v[144:147], off
	v_mfma_f32_16x16x16_bf16 a[24:27], v[174:175], v[154:155], a[24:27]
	ds_read2st64_b64 v[144:147], v115 offset0:16 offset1:24
	v_add_co_u32_e32 v150, vcc, s35, v148
	v_mfma_f32_16x16x16_bf16 a[28:31], v[174:175], v[158:159], a[28:31]
	s_nop 0
	v_addc_co_u32_e32 v151, vcc, 0, v149, vcc
	global_store_dwordx4 v[150:151], v[140:143], off offset:-4096
	v_mfma_f32_16x16x16_bf16 a[0:3], v[164:165], v[160:161], a[0:3]
	s_waitcnt lgkmcnt(1)
	v_mov_b32_e32 v140, v136
	v_add_co_u32_e32 v136, vcc, s62, v148
	v_mfma_f32_16x16x16_bf16 a[4:7], v[164:165], v[168:169], a[4:7]
	v_mov_b32_e32 v141, v137
	v_addc_co_u32_e32 v137, vcc, 0, v149, vcc
	v_mfma_f32_16x16x16_bf16 a[8:11], v[164:165], v[170:171], a[8:11]
	s_waitcnt lgkmcnt(0)
	v_mov_b32_e32 v142, v144
	v_mov_b32_e32 v143, v145
	;; [unrolled: 1-line block ×3, first 2 shown]
	v_mfma_f32_16x16x16_bf16 a[12:15], v[164:165], v[172:173], a[12:15]
	v_mov_b32_e32 v145, v139
	s_and_b64 vcc, exec, s[0:1]
	global_store_dwordx4 v[150:151], v[140:143], off
	v_mfma_f32_16x16x16_bf16 a[20:23], v[176:177], v[160:161], a[16:19]
	global_store_dwordx4 v[136:137], v[144:147], off
	v_mfma_f32_16x16x16_bf16 a[16:19], v[176:177], v[168:169], a[32:35]
	v_mfma_f32_16x16x16_bf16 a[24:27], v[176:177], v[170:171], a[24:27]
	;; [unrolled: 1-line block ×3, first 2 shown]
	s_cbranch_vccnz .LBB190_16
; %bb.15:                               ;   in Loop: Header=BB190_6 Depth=1
	v_lshrrev_b32_e32 v135, 3, v133
	v_and_b32_e32 v135, 6, v135
	v_xor_b32_e32 v134, v135, v134
	v_lshlrev_b32_e32 v134, 2, v134
	v_and_b32_e32 v133, 8, v133
	v_xor_b32_e32 v136, 0x440, v134
	v_cmp_eq_u32_e32 vcc, 0, v133
	s_barrier
	s_nop 0
	v_cndmask_b32_e32 v133, v136, v134, vcc
	v_lshl_or_b32 v133, v135, 10, v133
	s_waitcnt vmcnt(5)
	v_perm_b32 v134, v62, v58, s58
	s_waitcnt vmcnt(4)
	v_perm_b32 v135, v54, v50, s58
	ds_write2st64_b32 v133, v134, v135 offset0:128 offset1:160
	v_xor_b32_e32 v134, 8, v133
	v_perm_b32 v58, v62, v58, s59
	v_perm_b32 v50, v54, v50, s59
	v_add_u32_e32 v54, 0x80, v134
	ds_write2st64_b32 v54, v58, v50 offset0:128 offset1:160
	v_xor_b32_e32 v50, 16, v133
	v_perm_b32 v54, v63, v59, s58
	v_perm_b32 v58, v55, v51, s58
	ds_write2st64_b32 v50, v54, v58 offset0:129 offset1:161
	v_xor_b32_e32 v50, 24, v133
	v_perm_b32 v54, v63, v59, s59
	v_perm_b32 v51, v55, v51, s59
	v_add_u32_e32 v50, 0x80, v50
	ds_write2st64_b32 v50, v54, v51 offset0:129 offset1:161
	v_xor_b32_e32 v50, 32, v133
	v_perm_b32 v51, v64, v60, s58
	;; [unrolled: 9-line block ×3, first 2 shown]
	v_perm_b32 v52, v57, v53, s58
	ds_write2st64_b32 v50, v51, v52 offset0:131 offset1:163
	v_xor_b32_e32 v50, 56, v133
	v_perm_b32 v51, v65, v61, s59
	v_perm_b32 v52, v57, v53, s59
	v_add_u32_e32 v50, 0x80, v50
	ds_write2st64_b32 v50, v51, v52 offset0:131 offset1:163
	ds_write_b64 v132, v[46:47] offset:49152
	v_xor_b32_e32 v46, 8, v132
	ds_write_b64 v46, v[48:49] offset:49152
	ds_write_b64 v132, v[42:43] offset:57344
	;; [unrolled: 1-line block ×4, first 2 shown]
	v_xor_b32_e32 v38, 8, v131
	ds_write_b64 v38, v[40:41] offset:49152
	ds_write_b64 v131, v[34:35] offset:57344
	;; [unrolled: 1-line block ×3, first 2 shown]
.LBB190_16:                             ;   in Loop: Header=BB190_6 Depth=1
	v_exp_f32_e32 v132, s20
	v_accvgpr_read_b32 v37, a3
	v_accvgpr_read_b32 v41, a7
	;; [unrolled: 1-line block ×4, first 2 shown]
	s_waitcnt vmcnt(4)
	v_accvgpr_read_b32 v53, a23
	v_accvgpr_read_b32 v57, a19
	;; [unrolled: 1-line block ×28, first 2 shown]
	s_add_i32 s57, s57, 64
	v_pk_fma_f32 v[30:31], v[132:133], v[30:31], v[34:35] op_sel_hi:[0,1,1]
	v_pk_fma_f32 v[32:33], v[132:133], v[32:33], v[36:37] op_sel_hi:[0,1,1]
	v_pk_fma_f32 v[22:23], v[132:133], v[22:23], v[38:39] op_sel_hi:[0,1,1]
	v_pk_fma_f32 v[24:25], v[132:133], v[24:25], v[40:41] op_sel_hi:[0,1,1]
	v_pk_fma_f32 v[14:15], v[132:133], v[14:15], v[42:43] op_sel_hi:[0,1,1]
	v_pk_fma_f32 v[16:17], v[132:133], v[16:17], v[44:45] op_sel_hi:[0,1,1]
	v_pk_fma_f32 v[2:3], v[132:133], v[2:3], v[46:47] op_sel_hi:[0,1,1]
	v_pk_fma_f32 v[4:5], v[132:133], v[4:5], v[48:49] op_sel_hi:[0,1,1]
	v_pk_fma_f32 v[26:27], v[132:133], v[26:27], v[50:51] op_sel_hi:[0,1,1]
	v_pk_fma_f32 v[28:29], v[132:133], v[28:29], v[52:53] op_sel_hi:[0,1,1]
	v_pk_fma_f32 v[18:19], v[132:133], v[18:19], v[54:55] op_sel_hi:[0,1,1]
	v_pk_fma_f32 v[20:21], v[132:133], v[20:21], v[56:57] op_sel_hi:[0,1,1]
	v_pk_fma_f32 v[10:11], v[132:133], v[10:11], v[58:59] op_sel_hi:[0,1,1]
	v_pk_fma_f32 v[12:13], v[132:133], v[12:13], v[60:61] op_sel_hi:[0,1,1]
	v_pk_fma_f32 v[6:7], v[132:133], v[6:7], v[62:63] op_sel_hi:[0,1,1]
	s_cmp_eq_u32 s48, s63
	v_pk_fma_f32 v[8:9], v[132:133], v[8:9], v[64:65] op_sel_hi:[0,1,1]
	s_cbranch_scc1 .LBB190_18
; %bb.17:                               ;   in Loop: Header=BB190_6 Depth=1
	s_mov_b32 s64, s63
	s_branch .LBB190_6
.LBB190_18:
	s_lshl_b32 s42, s48, 6
	s_sub_i32 s43, s12, s42
	s_cmp_gt_i32 s43, 0
	v_or_b32_e32 v50, s2, v76
	s_cbranch_scc1 .LBB190_20
; %bb.19:
	s_ashr_i32 s0, s33, 31
	s_add_u32 s24, s45, s33
	s_addc_u32 s25, s51, s0
	v_or_b32_e32 v34, s2, v76
	s_cbranch_execz .LBB190_21
	s_branch .LBB190_101
.LBB190_20:
                                        ; implicit-def: $sgpr24_sgpr25
                                        ; implicit-def: $vgpr34
.LBB190_21:
	s_ashr_i32 s35, s47, 31
	s_ashr_i32 s3, s42, 31
	s_cmpk_lg_i32 s15, 0x80
	s_cselect_b64 s[38:39], -1, 0
	s_and_b64 vcc, exec, s[38:39]
	s_cbranch_vccz .LBB190_23
; %bb.22:
	s_mul_i32 s1, s47, s12
	s_mul_hi_i32 s0, s47, s12
	s_add_u32 s1, s1, s42
	s_addc_u32 s0, s0, s3
	s_mul_i32 s20, s1, s49
	s_mul_hi_u32 s21, s1, s14
	s_add_i32 s20, s21, s20
	s_mul_i32 s0, s0, s14
	s_add_i32 s20, s20, s0
	s_mul_i32 s1, s1, s14
	s_ashr_i32 s0, s52, 31
	s_add_u32 s40, s1, s52
	s_addc_u32 s41, s20, s0
	s_cbranch_execz .LBB190_24
	s_branch .LBB190_25
.LBB190_23:
                                        ; implicit-def: $sgpr40_sgpr41
.LBB190_24:
	s_mul_hi_i32 s0, s47, s14
	s_mul_i32 s47, s47, s14
	s_ashr_i32 s1, s52, 31
	s_add_u32 s14, s47, s52
	s_addc_u32 s0, s0, s1
	s_mul_i32 s1, s14, s46
	s_mul_hi_u32 s20, s14, s12
	s_add_i32 s1, s20, s1
	s_mul_i32 s0, s0, s12
	s_add_i32 s1, s1, s0
	s_mul_i32 s14, s14, s12
	s_add_u32 s40, s14, s42
	s_addc_u32 s41, s1, s3
.LBB190_25:
	s_add_i32 s20, s50, s48
	s_ashr_i32 s14, s33, 31
	s_add_u32 s24, s45, s33
	s_addc_u32 s25, s51, s14
	s_mul_i32 s0, s24, s46
	s_mul_hi_u32 s1, s24, s12
	s_add_i32 s0, s1, s0
	s_mul_i32 s1, s25, s12
	s_add_i32 s1, s0, s1
	s_mul_i32 s0, s24, s12
	s_add_u32 s0, s0, s42
	v_lshlrev_b32_e32 v38, 6, v1
	v_lshlrev_b32_e32 v58, 2, v76
	s_addc_u32 s1, s1, s3
	s_mov_b32 s3, 0x7060302
	v_or_b32_e32 v41, v38, v58
	v_xor_b32_e32 v39, v1, v58
	v_perm_b32 v35, v33, v32, s3
	v_perm_b32 v34, v31, v30, s3
	;; [unrolled: 1-line block ×4, first 2 shown]
	v_lshlrev_b32_e32 v41, 1, v41
	v_xor_b32_e32 v40, v79, v58
	ds_write2st64_b64 v41, v[34:35], v[36:37] offset0:32 offset1:48
	v_lshlrev_b32_e32 v39, 1, v39
	v_lshlrev_b32_e32 v41, 8, v76
	v_or_b32_e32 v42, v39, v41
	v_lshlrev_b32_e32 v40, 1, v40
	ds_write_b64 v42, v[34:35]
	v_or_b32_e32 v34, v40, v41
	v_or_b32_e32 v41, 16, v76
	v_lshlrev_b32_e32 v57, 2, v41
	v_or_b32_e32 v42, v38, v57
	ds_write_b64 v34, v[36:37]
	v_perm_b32 v35, v25, v24, s3
	v_perm_b32 v34, v23, v22, s3
	;; [unrolled: 1-line block ×4, first 2 shown]
	v_lshlrev_b32_e32 v42, 1, v42
	v_lshlrev_b32_e32 v41, 8, v41
	ds_write2st64_b64 v42, v[34:35], v[36:37] offset0:32 offset1:48
	v_or_b32_e32 v42, v39, v41
	ds_write_b64 v42, v[34:35]
	v_or_b32_e32 v34, v40, v41
	v_or_b32_e32 v41, 32, v76
	v_lshlrev_b32_e32 v56, 2, v41
	v_or_b32_e32 v42, v38, v56
	ds_write_b64 v34, v[36:37]
	v_perm_b32 v35, v17, v16, s3
	v_perm_b32 v34, v15, v14, s3
	v_perm_b32 v37, v13, v12, s3
	v_perm_b32 v36, v11, v10, s3
	v_lshlrev_b32_e32 v42, 1, v42
	v_lshlrev_b32_e32 v41, 8, v41
	s_lshl_b64 s[26:27], s[0:1], 8
	ds_write2st64_b64 v42, v[34:35], v[36:37] offset0:32 offset1:48
	v_or_b32_e32 v42, v39, v41
	s_add_u32 s0, s6, s26
	ds_write_b64 v42, v[34:35]
	v_or_b32_e32 v34, v40, v41
	s_addc_u32 s1, s7, s27
	ds_write_b64 v34, v[36:37]
	v_perm_b32 v35, v5, v4, s3
	v_perm_b32 v34, v3, v2, s3
	;; [unrolled: 1-line block ×4, first 2 shown]
	v_or_b32_e32 v41, 48, v76
	s_mul_hi_i32 s3, s20, s13
	s_mul_i32 s20, s20, s13
	v_lshlrev_b32_e32 v53, 2, v41
	s_add_u32 s6, s20, s33
	v_or_b32_e32 v38, v38, v53
	s_addc_u32 s7, s3, s14
	v_lshlrev_b32_e32 v38, 1, v38
	s_ashr_i32 s3, s2, 31
	s_lshl_b64 s[6:7], s[6:7], 15
	ds_write2st64_b64 v38, v[34:35], v[36:37] offset0:32 offset1:48
	v_lshlrev_b32_e32 v38, 8, v41
	s_waitcnt lgkmcnt(0)
	s_add_u32 s6, s36, s6
	v_or_b32_e32 v39, v39, v38
	s_addc_u32 s7, s37, s7
	s_lshl_b64 s[2:3], s[2:3], 8
	ds_write_b64 v39, v[34:35]
	v_or_b32_e32 v34, v40, v38
	s_add_u32 s2, s6, s2
	v_lshlrev_b32_e32 v35, 1, v76
	ds_write_b64 v34, v[36:37]
	v_lshrrev_b32_e32 v34, 4, v0
	s_addc_u32 s3, s7, s3
	v_or_b32_e32 v36, 1, v35
	v_lshlrev_b32_e32 v42, 4, v76
	v_mov_b32_e32 v43, 0
	v_xor_b32_e32 v35, v34, v35
	v_xor_b32_e32 v38, v36, v34
	v_lshl_add_u64 v[44:45], s[2:3], 0, v[42:43]
	v_lshlrev_b32_e32 v42, 8, v34
	v_lshl_or_b32 v48, v35, 3, v42
	v_lshl_or_b32 v49, v38, 3, v42
	s_waitcnt lgkmcnt(0)
	s_barrier
	ds_read2st64_b64 v[34:37], v48 offset1:8
	ds_read2st64_b64 v[38:41], v49 offset1:8
	v_lshl_add_u64 v[46:47], v[44:45], 0, v[42:43]
	s_movk_i32 s2, 0x2000
	s_cmp_lg_u32 s43, 64
	s_waitcnt lgkmcnt(1)
	v_mov_b32_e32 v42, v34
	v_mov_b32_e32 v43, v35
	s_waitcnt lgkmcnt(0)
	v_mov_b32_e32 v44, v38
	v_mov_b32_e32 v45, v39
	global_store_dwordx4 v[46:47], v[42:45], off
	v_mov_b32_e32 v38, v36
	v_mov_b32_e32 v39, v37
	ds_read2st64_b64 v[34:37], v48 offset0:16 offset1:24
	ds_read2st64_b64 v[42:45], v49 offset0:16 offset1:24
	v_add_co_u32_e32 v48, vcc, s2, v46
	s_cselect_b64 s[6:7], -1, 0
	s_nop 0
	v_addc_co_u32_e32 v49, vcc, 0, v47, vcc
	global_store_dwordx4 v[48:49], v[38:41], off offset:-4096
	v_lshl_or_b32 v51, v72, 3, v78
	s_mov_b32 s20, 0
	s_waitcnt lgkmcnt(1)
	v_mov_b32_e32 v38, v34
	v_add_co_u32_e32 v34, vcc, 0x3000, v46
	v_mov_b32_e32 v39, v35
	s_nop 0
	v_addc_co_u32_e32 v35, vcc, 0, v47, vcc
	s_waitcnt lgkmcnt(0)
	v_mov_b32_e32 v40, v42
	v_mov_b32_e32 v41, v43
	;; [unrolled: 1-line block ×4, first 2 shown]
	v_or_b32_e32 v54, 32, v51
	v_and_b32_e32 v52, 56, v77
	s_and_b64 vcc, exec, s[6:7]
	global_store_dwordx4 v[48:49], v[38:41], off
	global_store_dwordx4 v[34:35], v[42:45], off
	s_cbranch_vccz .LBB190_31
; %bb.26:
	s_mov_b32 s22, s20
	s_mov_b32 s23, s20
	;; [unrolled: 1-line block ×3, first 2 shown]
	v_mov_b64_e32 v[40:41], s[22:23]
	v_mov_b64_e32 v[38:39], s[20:21]
	;; [unrolled: 1-line block ×3, first 2 shown]
	v_cmp_gt_i32_e32 vcc, s43, v51
	v_mov_b64_e32 v[36:37], v[40:41]
	s_and_saveexec_b64 s[2:3], vcc
	s_cbranch_execz .LBB190_28
; %bb.27:
	v_lshlrev_b32_e32 v34, 8, v51
	v_mov_b32_e32 v35, 0
	v_lshl_add_u64 v[36:37], s[0:1], 0, v[34:35]
	v_lshlrev_b32_e32 v34, 1, v52
	v_lshl_add_u64 v[42:43], v[36:37], 0, v[34:35]
	global_load_dwordx4 v[38:41], v[42:43], off
	global_load_dwordx4 v[34:37], v[42:43], off offset:128
.LBB190_28:
	s_or_b64 exec, exec, s[2:3]
	s_mov_b32 s22, s20
	s_mov_b32 s23, s20
	;; [unrolled: 1-line block ×3, first 2 shown]
	v_mov_b64_e32 v[48:49], s[22:23]
	v_mov_b64_e32 v[46:47], s[20:21]
	;; [unrolled: 1-line block ×3, first 2 shown]
	v_cmp_gt_i32_e32 vcc, s43, v54
	v_lshlrev_b32_e32 v55, 7, v54
	v_mov_b64_e32 v[44:45], v[48:49]
	s_and_saveexec_b64 s[2:3], vcc
	s_cbranch_execz .LBB190_30
; %bb.29:
	v_lshlrev_b32_e32 v42, 1, v55
	v_mov_b32_e32 v43, 0
	v_lshl_add_u64 v[44:45], s[0:1], 0, v[42:43]
	v_lshlrev_b32_e32 v42, 1, v52
	v_lshl_add_u64 v[60:61], v[44:45], 0, v[42:43]
	global_load_dwordx4 v[46:49], v[60:61], off
	global_load_dwordx4 v[42:45], v[60:61], off offset:128
.LBB190_30:
	s_or_b64 exec, exec, s[2:3]
	v_lshrrev_b32_e32 v59, 3, v52
	v_lshlrev_b32_e32 v60, 3, v51
	v_or_b32_e32 v59, v60, v59
	v_lshlrev_b32_e32 v59, 4, v59
	v_and_b32_e32 v60, 0x78, v60
	v_xor_b32_e32 v59, v59, v60
	s_branch .LBB190_33
.LBB190_31:
                                        ; implicit-def: $vgpr59
                                        ; implicit-def: $vgpr55
                                        ; implicit-def: $vgpr38_vgpr39_vgpr40_vgpr41
                                        ; implicit-def: $vgpr34_vgpr35_vgpr36_vgpr37
                                        ; implicit-def: $vgpr46_vgpr47_vgpr48_vgpr49
                                        ; implicit-def: $vgpr42_vgpr43_vgpr44_vgpr45
	s_cbranch_execz .LBB190_33
; %bb.32:
	s_waitcnt vmcnt(0)
	v_lshlrev_b32_e32 v34, 1, v52
	v_lshl_or_b32 v55, v51, 8, v34
	s_and_b32 s1, s1, 0xffff
	s_mov_b32 s3, 0x20000
	s_movk_i32 s2, 0x4000
	v_lshl_or_b32 v59, v54, 8, v34
	s_movk_i32 s13, 0x80
	buffer_load_dwordx4 v[38:41], v55, s[0:3], 0 offen
	buffer_load_dwordx4 v[34:37], v55, s[0:3], s13 offen
	;; [unrolled: 1-line block ×4, first 2 shown]
	v_lshrrev_b32_e32 v55, 3, v52
	v_lshlrev_b32_e32 v59, 3, v51
	v_or_b32_e32 v55, v59, v55
	v_lshlrev_b32_e32 v55, 4, v55
	v_and_b32_e32 v59, 0x78, v59
	v_xor_b32_e32 v59, v55, v59
	v_lshlrev_b32_e32 v55, 7, v54
.LBB190_33:
	s_movk_i32 s0, 0x1000
	v_and_or_b32 v54, v55, s0, v59
	s_waitcnt vmcnt(1)
	ds_write_b64 v59, v[38:39] offset:49152
	v_xor_b32_e32 v38, 8, v59
	ds_write_b64 v38, v[40:41] offset:49152
	s_waitcnt vmcnt(0)
	ds_write_b64 v59, v[34:35] offset:57344
	ds_write_b64 v38, v[36:37] offset:57344
	;; [unrolled: 1-line block ×3, first 2 shown]
	v_xor_b32_e32 v34, 8, v54
	ds_write_b64 v34, v[48:49] offset:49152
	ds_write_b64 v54, v[42:43] offset:57344
	;; [unrolled: 1-line block ×3, first 2 shown]
	v_or_b32_e32 v34, v73, v76
	v_lshlrev_b32_e32 v34, 3, v34
	v_lshrrev_b32_e32 v35, 5, v74
	s_movk_i32 s0, 0xf8
	v_and_or_b32 v35, v34, s0, v35
	v_lshlrev_b32_e32 v39, 4, v35
	v_lshlrev_b32_e32 v59, 11, v72
	v_and_b32_e32 v40, 0x78, v34
	v_or_b32_e32 v42, 32, v39
	v_and_b32_e32 v38, 0x1000, v59
	v_lshrrev_b32_e32 v35, 1, v74
	v_xor_b32_e32 v42, v42, v40
	v_xor_b32_e32 v34, v39, v40
	v_and_b32_e32 v41, 8, v35
	v_or_b32_e32 v42, v42, v38
	v_or_b32_e32 v34, v34, v38
	v_xor_b32_e32 v65, v42, v41
	v_or_b32_e32 v42, 64, v39
	v_xor_b32_e32 v64, v34, v41
	v_xor_b32_e32 v42, v42, v40
	s_waitcnt lgkmcnt(0)
	s_barrier
	v_or_b32_e32 v45, v42, v38
	ds_read_b64 v[42:43], v64 offset:49152
	v_lshl_or_b32 v46, v75, 8, v58
	v_lshlrev_b32_e32 v60, 1, v46
	v_add_u32_e32 v44, 0x4000, v60
	ds_read2_b64 v[34:37], v44 offset1:16
	v_or_b32_e32 v39, 0x60, v39
	v_xor_b32_e32 v39, v39, v40
	v_or_b32_e32 v38, v39, v38
	v_xor_b32_e32 v66, v45, v41
	v_xor_b32_e32 v67, v38, v41
	ds_read_b64 v[54:55], v65 offset:49152
	ds_read_b64 v[68:69], v66 offset:49152
	;; [unrolled: 1-line block ×3, first 2 shown]
	s_waitcnt lgkmcnt(3)
	v_mfma_f32_16x16x16_bf16 a[0:3], v[42:43], v[34:35], 0
	ds_read2_b64 v[38:41], v44 offset0:32 offset1:48
	s_lshl_b64 s[0:1], s[40:41], 8
	s_add_u32 s4, s4, s0
	v_mfma_f32_16x16x16_bf16 a[4:7], v[42:43], v[36:37], 0
	ds_read2st64_b64 v[34:37], v60 offset0:36 offset1:40
	s_addc_u32 s5, s5, s1
	s_add_i32 s2, s12, -1
	s_waitcnt lgkmcnt(1)
	v_mfma_f32_16x16x16_bf16 a[8:11], v[42:43], v[38:39], 0
	v_or_b32_e32 v38, 64, v46
	v_lshlrev_b32_e32 v61, 1, v38
	s_add_i32 s0, s44, s17
	s_waitcnt lgkmcnt(0)
	v_mfma_f32_16x16x16_bf16 a[0:3], v[54:55], v[34:35], a[0:3]
	v_or_b32_e32 v34, 0x80, v46
	v_lshlrev_b32_e32 v62, 1, v34
	v_or_b32_e32 v34, 0xc0, v46
	v_mfma_f32_16x16x16_bf16 a[12:15], v[42:43], v[40:41], 0
	ds_read2st64_b64 v[38:41], v61 offset0:36 offset1:40
	v_lshlrev_b32_e32 v63, 1, v34
	ds_read2st64_b64 v[42:45], v62 offset0:36 offset1:40
	ds_read2st64_b64 v[46:49], v63 offset0:36 offset1:40
	s_mul_i32 s35, s35, s16
	s_add_i32 s35, s0, s35
	s_mul_i32 s0, s33, s19
	s_mul_hi_u32 s1, s33, s18
	s_ashr_i32 s3, s2, 31
	s_mul_i32 s12, s2, s31
	s_mul_hi_u32 s13, s2, s30
	s_waitcnt lgkmcnt(2)
	v_mfma_f32_16x16x16_bf16 a[4:7], v[54:55], v[38:39], a[4:7]
	s_add_i32 s0, s1, s0
	s_mul_i32 s1, s14, s18
	s_add_i32 s12, s13, s12
	s_mul_i32 s3, s3, s30
	s_waitcnt lgkmcnt(1)
	v_mfma_f32_16x16x16_bf16 a[8:11], v[54:55], v[42:43], a[8:11]
	s_add_i32 s1, s0, s1
	s_add_i32 s3, s12, s3
	s_lshl_b64 s[12:13], s[34:35], 2
	s_waitcnt lgkmcnt(0)
	v_mfma_f32_16x16x16_bf16 a[12:15], v[54:55], v[46:47], a[12:15]
	s_mul_i32 s0, s33, s18
	s_add_u32 s10, s10, s12
	s_addc_u32 s11, s11, s13
	s_lshl_b64 s[0:1], s[0:1], 2
	v_mfma_f32_16x16x16_bf16 a[0:3], v[68:69], v[36:37], a[0:3]
	s_mul_i32 s2, s2, s30
	ds_read_b64 v[34:35], v60 offset:22528
	s_add_u32 s10, s10, s0
	v_mfma_f32_16x16x16_bf16 a[4:7], v[68:69], v[40:41], a[4:7]
	ds_read_b64 v[36:37], v61 offset:22528
	ds_read_b64 v[38:39], v62 offset:22528
	;; [unrolled: 1-line block ×3, first 2 shown]
	s_addc_u32 s11, s11, s1
	s_lshl_b64 s[0:1], s[2:3], 2
	v_mfma_f32_16x16x16_bf16 a[8:11], v[68:69], v[44:45], a[8:11]
	s_add_u32 s0, s10, s0
	s_addc_u32 s1, s11, s1
	s_load_dword s12, s[0:1], 0x0
	v_mfma_f32_16x16x16_bf16 a[12:15], v[68:69], v[48:49], a[12:15]
	s_and_b64 vcc, exec, s[38:39]
	s_waitcnt lgkmcnt(0)
	v_mfma_f32_16x16x16_bf16 a[0:3], v[70:71], v[34:35], a[0:3]
	v_mfma_f32_16x16x16_bf16 a[4:7], v[70:71], v[36:37], a[4:7]
	;; [unrolled: 1-line block ×4, first 2 shown]
	s_cbranch_vccz .LBB190_44
; %bb.34:
	v_lshlrev_b32_e32 v54, 1, v51
	s_and_b64 vcc, exec, s[6:7]
	s_cbranch_vccz .LBB190_45
; %bb.35:
	v_cmp_gt_i32_e32 vcc, s43, v54
	v_mov_b32_e32 v38, 0
	v_mov_b32_e32 v34, 0
	;; [unrolled: 1-line block ×5, first 2 shown]
	s_and_saveexec_b64 s[0:1], vcc
	s_cbranch_execz .LBB190_37
; %bb.36:
	v_mad_i64_i32 v[34:35], s[2:3], s15, v54, 0
	v_lshl_add_u64 v[34:35], v[34:35], 1, s[4:5]
	v_lshlrev_b32_e32 v36, 1, v52
	v_mov_b32_e32 v37, 0
	v_lshl_add_u64 v[34:35], v[34:35], 0, v[36:37]
	global_load_dwordx4 v[34:37], v[34:35], off
.LBB190_37:
	s_or_b64 exec, exec, s[0:1]
	v_or_b32_e32 v55, 1, v54
	v_cmp_gt_i32_e64 s[0:1], s43, v55
	v_mov_b32_e32 v39, 0
	v_mov_b32_e32 v40, 0
	;; [unrolled: 1-line block ×3, first 2 shown]
	s_and_saveexec_b64 s[2:3], s[0:1]
	s_cbranch_execz .LBB190_39
; %bb.38:
	v_mad_i64_i32 v[38:39], s[16:17], s15, v55, 0
	v_lshl_add_u64 v[38:39], v[38:39], 1, s[4:5]
	v_lshlrev_b32_e32 v40, 1, v52
	v_mov_b32_e32 v41, 0
	v_lshl_add_u64 v[38:39], v[38:39], 0, v[40:41]
	global_load_dwordx4 v[38:41], v[38:39], off
.LBB190_39:
	s_or_b64 exec, exec, s[2:3]
	v_mov_b32_e32 v49, 0
	v_mov_b32_e32 v42, 0
	;; [unrolled: 1-line block ×5, first 2 shown]
	s_and_saveexec_b64 s[2:3], vcc
	s_cbranch_execz .LBB190_41
; %bb.40:
	v_mad_i64_i32 v[42:43], s[16:17], s15, v54, 0
	v_lshl_add_u64 v[42:43], v[42:43], 1, s[4:5]
	v_lshlrev_b32_e32 v44, 1, v52
	v_mov_b32_e32 v45, 0
	v_lshl_add_u64 v[42:43], v[42:43], 0, v[44:45]
	global_load_dwordx4 v[42:45], v[42:43], off offset:128
.LBB190_41:
	s_or_b64 exec, exec, s[2:3]
	v_mov_b32_e32 v48, 0
	v_mov_b32_e32 v47, 0
	;; [unrolled: 1-line block ×3, first 2 shown]
	s_and_saveexec_b64 s[2:3], s[0:1]
	s_cbranch_execz .LBB190_43
; %bb.42:
	v_mad_i64_i32 v[46:47], s[0:1], s15, v55, 0
	v_lshl_add_u64 v[46:47], v[46:47], 1, s[4:5]
	v_lshlrev_b32_e32 v48, 1, v52
	v_mov_b32_e32 v49, 0
	v_lshl_add_u64 v[46:47], v[46:47], 0, v[48:49]
	global_load_dwordx4 v[46:49], v[46:47], off offset:128
.LBB190_43:
	s_or_b64 exec, exec, s[2:3]
	s_branch .LBB190_47
.LBB190_44:
                                        ; implicit-def: $vgpr37
                                        ; implicit-def: $vgpr41
                                        ; implicit-def: $vgpr45
                                        ; implicit-def: $vgpr49
	v_lshrrev_b32_e32 v68, 2, v74
	s_branch .LBB190_48
.LBB190_45:
                                        ; implicit-def: $vgpr37
                                        ; implicit-def: $vgpr41
                                        ; implicit-def: $vgpr45
                                        ; implicit-def: $vgpr49
	s_cbranch_execz .LBB190_47
; %bb.46:
	s_waitcnt vmcnt(0)
	v_mad_u64_u32 v[34:35], s[0:1], v54, s15, v[52:53]
	v_lshlrev_b32_e32 v54, 1, v34
	s_lshl_b32 s2, s15, 7
	s_and_b32 s1, s5, 0xffff
	s_mov_b32 s3, 0x20000
	s_mov_b32 s0, s4
	v_add_lshl_u32 v55, v34, s15, 1
	s_movk_i32 s13, 0x80
	buffer_load_dwordx4 v[34:37], v54, s[0:3], 0 offen
	buffer_load_dwordx4 v[42:45], v54, s[0:3], s13 offen
	;; [unrolled: 1-line block ×4, first 2 shown]
.LBB190_47:
	v_lshrrev_b32_e32 v68, 2, v74
	s_cbranch_execnz .LBB190_60
.LBB190_48:
	s_and_b64 vcc, exec, s[6:7]
	s_cbranch_vccz .LBB190_58
; %bb.49:
	s_waitcnt vmcnt(0)
	v_lshlrev_b32_e32 v39, 1, v51
	v_cmp_gt_i32_e32 vcc, s43, v39
	v_mov_b32_e32 v38, 0
	v_lshlrev_b32_e32 v46, 9, v51
	v_mov_b32_e32 v34, 0
	v_mov_b32_e32 v35, 0
	;; [unrolled: 1-line block ×4, first 2 shown]
	s_and_saveexec_b64 s[0:1], vcc
	s_cbranch_execz .LBB190_51
; %bb.50:
	v_mov_b32_e32 v47, 0
	v_lshl_add_u64 v[34:35], s[4:5], 0, v[46:47]
	v_lshlrev_b32_e32 v36, 1, v52
	v_mov_b32_e32 v37, v47
	v_lshl_add_u64 v[34:35], v[34:35], 0, v[36:37]
	global_load_dwordx4 v[34:37], v[34:35], off
.LBB190_51:
	s_or_b64 exec, exec, s[0:1]
	v_or_b32_e32 v39, 1, v39
	v_cmp_gt_i32_e64 s[0:1], s43, v39
	v_lshlrev_b32_e32 v54, 8, v39
	v_mov_b32_e32 v39, 0
	v_mov_b32_e32 v40, 0
	;; [unrolled: 1-line block ×3, first 2 shown]
	s_and_saveexec_b64 s[2:3], s[0:1]
	s_cbranch_execz .LBB190_53
; %bb.52:
	v_mov_b32_e32 v55, 0
	v_lshl_add_u64 v[38:39], s[4:5], 0, v[54:55]
	v_lshlrev_b32_e32 v40, 1, v52
	v_mov_b32_e32 v41, v55
	v_lshl_add_u64 v[38:39], v[38:39], 0, v[40:41]
	global_load_dwordx4 v[38:41], v[38:39], off
.LBB190_53:
	s_or_b64 exec, exec, s[2:3]
	v_mov_b32_e32 v49, 0
	v_mov_b32_e32 v42, 0
	;; [unrolled: 1-line block ×5, first 2 shown]
	s_and_saveexec_b64 s[2:3], vcc
	s_cbranch_execz .LBB190_55
; %bb.54:
	v_mov_b32_e32 v47, 0
	v_lshl_add_u64 v[42:43], s[4:5], 0, v[46:47]
	v_lshlrev_b32_e32 v46, 1, v52
	v_lshl_add_u64 v[42:43], v[42:43], 0, v[46:47]
	global_load_dwordx4 v[42:45], v[42:43], off offset:128
.LBB190_55:
	s_or_b64 exec, exec, s[2:3]
	v_mov_b32_e32 v48, 0
	v_mov_b32_e32 v47, 0
	;; [unrolled: 1-line block ×3, first 2 shown]
	s_and_saveexec_b64 s[2:3], s[0:1]
	s_cbranch_execz .LBB190_57
; %bb.56:
	v_mov_b32_e32 v55, 0
	v_lshl_add_u64 v[46:47], s[4:5], 0, v[54:55]
	v_lshlrev_b32_e32 v54, 1, v52
	v_lshl_add_u64 v[46:47], v[46:47], 0, v[54:55]
	global_load_dwordx4 v[46:49], v[46:47], off offset:128
.LBB190_57:
	s_or_b64 exec, exec, s[2:3]
	s_branch .LBB190_60
.LBB190_58:
                                        ; implicit-def: $vgpr37
                                        ; implicit-def: $vgpr41
                                        ; implicit-def: $vgpr45
                                        ; implicit-def: $vgpr49
	s_cbranch_execz .LBB190_60
; %bb.59:
	s_waitcnt vmcnt(0)
	v_lshlrev_b32_e32 v34, 1, v52
	v_lshl_or_b32 v52, v51, 9, v34
	s_and_b32 s5, s5, 0xffff
	s_mov_b32 s7, 0x20000
	s_movk_i32 s6, 0x4000
	s_movk_i32 s0, 0x80
	buffer_load_dwordx4 v[34:37], v52, s[4:7], 0 offen
	buffer_load_dwordx4 v[38:41], v52, s[4:7], 0 offen offset:256
	buffer_load_dwordx4 v[42:45], v52, s[4:7], s0 offen
	buffer_load_dwordx4 v[46:49], v52, s[4:7], s0 offen offset:256
.LBB190_60:
	ds_read_b64 v[54:55], v64 offset:57344
	v_add_u32_e32 v52, 0x6000, v60
	ds_read2_b64 v[74:77], v52 offset1:16
	ds_read_b64 v[70:71], v65 offset:57344
	ds_read_b64 v[86:87], v66 offset:57344
	;; [unrolled: 1-line block ×3, first 2 shown]
	ds_read2_b64 v[64:67], v52 offset0:32 offset1:48
	v_and_b32_e32 v52, 6, v0
	v_xor_b32_e32 v51, v51, v52
	v_lshlrev_b32_e32 v51, 2, v51
	s_mov_b32 s0, 0x1000504
	s_mov_b32 s1, 0x3020706
	s_waitcnt lgkmcnt(4)
	v_mfma_f32_16x16x16_bf16 a[4:7], v[54:55], v[76:77], a[4:7]
	v_mfma_f32_16x16x16_bf16 a[0:3], v[54:55], v[74:75], a[0:3]
	ds_read2st64_b64 v[74:77], v60 offset0:52 offset1:56
	s_waitcnt lgkmcnt(1)
	v_mfma_f32_16x16x16_bf16 a[8:11], v[54:55], v[64:65], a[8:11]
	v_mfma_f32_16x16x16_bf16 a[12:15], v[54:55], v[66:67], a[12:15]
	ds_read2st64_b64 v[64:67], v61 offset0:52 offset1:56
	ds_read2st64_b64 v[78:81], v62 offset0:52 offset1:56
	;; [unrolled: 1-line block ×3, first 2 shown]
	s_waitcnt lgkmcnt(2)
	v_mfma_f32_16x16x16_bf16 a[4:7], v[70:71], v[64:65], a[4:7]
	v_and_b32_e32 v64, 1, v0
	v_xor_b32_e32 v65, 0x440, v51
	v_cmp_eq_u32_e32 vcc, 0, v64
	v_mfma_f32_16x16x16_bf16 a[0:3], v[70:71], v[74:75], a[0:3]
	s_waitcnt vmcnt(0)
	v_perm_b32 v64, v42, v46, s0
	v_cndmask_b32_e32 v51, v65, v51, vcc
	v_lshl_or_b32 v51, v52, 10, v51
	s_waitcnt lgkmcnt(1)
	v_mfma_f32_16x16x16_bf16 a[8:11], v[70:71], v[78:79], a[8:11]
	v_perm_b32 v52, v34, v38, s0
	ds_read_b64 v[54:55], v60 offset:30720
	ds_read_b64 v[74:75], v61 offset:30720
	;; [unrolled: 1-line block ×4, first 2 shown]
	ds_write2st64_b32 v51, v52, v64 offset0:128 offset1:160
	s_waitcnt lgkmcnt(5)
	v_mfma_f32_16x16x16_bf16 a[12:15], v[70:71], v[82:83], a[12:15]
	v_xor_b32_e32 v52, 8, v51
	v_perm_b32 v34, v34, v38, s1
	v_perm_b32 v38, v42, v46, s1
	v_add_u32_e32 v42, 0x80, v52
	ds_write2st64_b32 v42, v34, v38 offset0:128 offset1:160
	v_xor_b32_e32 v34, 16, v51
	v_perm_b32 v38, v35, v39, s0
	v_perm_b32 v42, v43, v47, s0
	v_mfma_f32_16x16x16_bf16 a[0:3], v[86:87], v[76:77], a[0:3]
	ds_write2st64_b32 v34, v38, v42 offset0:129 offset1:161
	v_xor_b32_e32 v34, 24, v51
	v_perm_b32 v35, v35, v39, s1
	v_mfma_f32_16x16x16_bf16 a[4:7], v[86:87], v[66:67], a[4:7]
	v_perm_b32 v38, v43, v47, s1
	v_add_u32_e32 v34, 0x80, v34
	ds_write2st64_b32 v34, v35, v38 offset0:129 offset1:161
	v_mfma_f32_16x16x16_bf16 a[16:19], v[86:87], v[80:81], a[8:11]
	v_xor_b32_e32 v34, 32, v51
	v_perm_b32 v35, v36, v40, s0
	v_perm_b32 v38, v44, v48, s0
	v_mfma_f32_16x16x16_bf16 a[20:23], v[86:87], v[84:85], a[12:15]
	ds_write2st64_b32 v34, v35, v38 offset0:130 offset1:162
	v_xor_b32_e32 v34, 40, v51
	v_perm_b32 v35, v36, v40, s1
	s_waitcnt lgkmcnt(8)
	v_mfma_f32_16x16x16_bf16 a[12:15], v[88:89], v[54:55], a[0:3]
	v_perm_b32 v36, v44, v48, s1
	v_add_u32_e32 v34, 0x80, v34
	ds_write2st64_b32 v34, v35, v36 offset0:130 offset1:162
	s_waitcnt lgkmcnt(8)
	v_mfma_f32_16x16x16_bf16 a[8:11], v[88:89], v[74:75], a[4:7]
	v_xor_b32_e32 v34, 48, v51
	v_perm_b32 v35, v37, v41, s0
	v_perm_b32 v36, v45, v49, s0
	s_waitcnt lgkmcnt(7)
	v_mfma_f32_16x16x16_bf16 a[4:7], v[88:89], v[90:91], a[16:19]
	ds_write2st64_b32 v34, v35, v36 offset0:131 offset1:163
	v_xor_b32_e32 v34, 56, v51
	v_and_or_b32 v55, v68, 12, v73
	s_waitcnt lgkmcnt(7)
	v_mfma_f32_16x16x16_bf16 a[0:3], v[88:89], v[92:93], a[20:23]
	v_perm_b32 v35, v37, v41, s1
	v_perm_b32 v36, v45, v49, s1
	v_add_u32_e32 v34, 0x80, v34
	v_cmp_gt_i32_e32 vcc, s43, v55
	v_mov_b32_e32 v48, 0
	v_mov_b32_e32 v52, 0
	ds_write2st64_b32 v34, v35, v36 offset0:131 offset1:163
	s_and_saveexec_b64 s[0:1], vcc
	s_cbranch_execz .LBB190_62
; %bb.61:
	v_add_u32_e32 v34, s42, v55
	v_ashrrev_i32_e32 v35, 31, v34
	v_mul_lo_u32 v36, v35, s30
	v_mul_lo_u32 v37, v34, s31
	v_mad_u64_u32 v[34:35], s[2:3], v34, s30, 0
	v_add3_u32 v35, v35, v37, v36
	v_lshl_add_u64 v[34:35], v[34:35], 2, s[10:11]
	global_load_dword v34, v[34:35], off
	s_waitcnt vmcnt(0)
	v_sub_f32_e32 v34, s12, v34
	v_exp_f32_e32 v52, v34
.LBB190_62:
	s_or_b64 exec, exec, s[0:1]
	v_or_b32_e32 v40, 1, v55
	v_cmp_gt_i32_e64 s[0:1], s43, v40
	s_and_saveexec_b64 s[2:3], s[0:1]
	s_cbranch_execz .LBB190_64
; %bb.63:
	v_add_u32_e32 v34, s42, v40
	v_ashrrev_i32_e32 v35, 31, v34
	v_mul_lo_u32 v36, v35, s30
	v_mul_lo_u32 v37, v34, s31
	v_mad_u64_u32 v[34:35], s[4:5], v34, s30, 0
	v_add3_u32 v35, v35, v37, v36
	v_lshl_add_u64 v[34:35], v[34:35], 2, s[10:11]
	global_load_dword v34, v[34:35], off
	s_waitcnt vmcnt(0)
	v_sub_f32_e32 v34, s12, v34
	v_exp_f32_e32 v48, v34
.LBB190_64:
	s_or_b64 exec, exec, s[2:3]
	v_or_b32_e32 v41, 2, v55
	v_cmp_gt_i32_e64 s[2:3], s43, v41
	v_mov_b32_e32 v49, 0
	v_mov_b32_e32 v54, 0
	s_and_saveexec_b64 s[4:5], s[2:3]
	s_cbranch_execz .LBB190_66
; %bb.65:
	v_add_u32_e32 v34, s42, v41
	v_ashrrev_i32_e32 v35, 31, v34
	v_mul_lo_u32 v36, v35, s30
	v_mul_lo_u32 v37, v34, s31
	v_mad_u64_u32 v[34:35], s[6:7], v34, s30, 0
	v_add3_u32 v35, v35, v37, v36
	v_lshl_add_u64 v[34:35], v[34:35], 2, s[10:11]
	global_load_dword v34, v[34:35], off
	s_waitcnt vmcnt(0)
	v_sub_f32_e32 v34, s12, v34
	v_exp_f32_e32 v54, v34
.LBB190_66:
	s_or_b64 exec, exec, s[4:5]
	v_or_b32_e32 v64, 3, v55
	v_cmp_gt_i32_e64 s[4:5], s43, v64
	s_and_saveexec_b64 s[6:7], s[4:5]
	s_cbranch_execz .LBB190_68
; %bb.67:
	v_add_u32_e32 v34, s42, v64
	v_ashrrev_i32_e32 v35, 31, v34
	v_mul_lo_u32 v36, v35, s30
	v_mul_lo_u32 v37, v34, s31
	v_mad_u64_u32 v[34:35], s[14:15], v34, s30, 0
	v_add3_u32 v35, v35, v37, v36
	v_lshl_add_u64 v[34:35], v[34:35], 2, s[10:11]
	global_load_dword v34, v[34:35], off
	s_waitcnt vmcnt(0)
	v_sub_f32_e32 v34, s12, v34
	v_exp_f32_e32 v49, v34
.LBB190_68:
	s_or_b64 exec, exec, s[6:7]
	s_add_u32 s6, s8, s26
	v_accvgpr_read_b32 v37, a15
	s_addc_u32 s7, s9, s27
	v_ashrrev_i32_e32 v51, 31, v50
	v_accvgpr_read_b32 v36, a14
	v_accvgpr_read_b32 v35, a13
	;; [unrolled: 1-line block ×3, first 2 shown]
	v_lshl_add_u64 v[38:39], v[50:51], 1, s[6:7]
	v_mov_b32_e32 v45, 0
	v_lshlrev_b32_e32 v42, 8, v55
	v_mov_b32_e32 v43, 0
	s_and_saveexec_b64 s[6:7], vcc
	s_cbranch_execz .LBB190_70
; %bb.69:
	v_mov_b32_e32 v43, 0
	v_lshl_add_u64 v[46:47], v[38:39], 0, v[42:43]
	global_load_ushort v43, v[46:47], off
	s_waitcnt vmcnt(0)
	v_lshlrev_b32_e32 v43, 16, v43
	v_sub_f32_e32 v34, v43, v34
	v_mul_f32_e32 v34, v52, v34
	v_lshrrev_b32_e32 v43, 16, v34
.LBB190_70:
	s_or_b64 exec, exec, s[6:7]
	v_lshlrev_b32_e32 v44, 8, v40
	s_and_saveexec_b64 s[6:7], s[0:1]
	s_cbranch_execz .LBB190_72
; %bb.71:
	v_mov_b32_e32 v45, 0
	v_lshl_add_u64 v[46:47], v[38:39], 0, v[44:45]
	global_load_ushort v34, v[46:47], off
	s_waitcnt vmcnt(0)
	v_lshlrev_b32_e32 v34, 16, v34
	v_sub_f32_e32 v34, v34, v35
	v_mul_f32_e32 v34, v48, v34
	v_lshrrev_b32_e32 v45, 16, v34
.LBB190_72:
	s_or_b64 exec, exec, s[6:7]
	v_mov_b32_e32 v65, 0
	v_lshlrev_b32_e32 v46, 8, v41
	v_mov_b32_e32 v47, 0
	s_and_saveexec_b64 s[6:7], s[2:3]
	s_cbranch_execz .LBB190_74
; %bb.73:
	v_mov_b32_e32 v47, 0
	v_lshl_add_u64 v[34:35], v[38:39], 0, v[46:47]
	global_load_ushort v34, v[34:35], off
	s_waitcnt vmcnt(0)
	v_lshlrev_b32_e32 v34, 16, v34
	v_sub_f32_e32 v34, v34, v36
	v_mul_f32_e32 v34, v54, v34
	v_lshrrev_b32_e32 v47, 16, v34
.LBB190_74:
	s_or_b64 exec, exec, s[6:7]
	v_lshlrev_b32_e32 v40, 8, v64
	s_and_saveexec_b64 s[6:7], s[4:5]
	s_cbranch_execz .LBB190_76
; %bb.75:
	v_mov_b32_e32 v41, 0
	v_lshl_add_u64 v[34:35], v[38:39], 0, v[40:41]
	global_load_ushort v34, v[34:35], off
	s_waitcnt vmcnt(0)
	v_lshlrev_b32_e32 v34, 16, v34
	v_sub_f32_e32 v34, v34, v37
	v_mul_f32_e32 v34, v49, v34
	v_lshrrev_b32_e32 v65, 16, v34
.LBB190_76:
	s_or_b64 exec, exec, s[6:7]
	v_lshlrev_b32_e32 v51, 6, v55
	v_accvgpr_read_b32 v37, a11
	s_mov_b32 s6, 0x5040100
	v_or_b32_e32 v41, v51, v58
	v_accvgpr_read_b32 v36, a10
	v_accvgpr_read_b32 v35, a9
	;; [unrolled: 1-line block ×3, first 2 shown]
	v_perm_b32 v65, v65, v47, s6
	v_perm_b32 v64, v45, v43, s6
	v_lshlrev_b32_e32 v41, 1, v41
	v_mov_b32_e32 v45, 0
	v_mov_b32_e32 v43, 0
	ds_write_b64 v41, v[64:65] offset:24576
	s_and_saveexec_b64 s[6:7], vcc
	s_cbranch_execz .LBB190_78
; %bb.77:
	v_mov_b32_e32 v43, 0
	v_lshl_add_u64 v[64:65], v[38:39], 0, v[42:43]
	global_load_ushort v41, v[64:65], off offset:32
	s_waitcnt vmcnt(0)
	v_lshlrev_b32_e32 v41, 16, v41
	v_sub_f32_e32 v34, v41, v34
	v_mul_f32_e32 v34, v52, v34
	v_lshrrev_b32_e32 v43, 16, v34
.LBB190_78:
	s_or_b64 exec, exec, s[6:7]
	s_and_saveexec_b64 s[6:7], s[0:1]
	s_cbranch_execz .LBB190_80
; %bb.79:
	v_mov_b32_e32 v45, 0
	v_lshl_add_u64 v[64:65], v[38:39], 0, v[44:45]
	global_load_ushort v34, v[64:65], off offset:32
	s_waitcnt vmcnt(0)
	v_lshlrev_b32_e32 v34, 16, v34
	v_sub_f32_e32 v34, v34, v35
	v_mul_f32_e32 v34, v48, v34
	v_lshrrev_b32_e32 v45, 16, v34
.LBB190_80:
	s_or_b64 exec, exec, s[6:7]
	v_mov_b32_e32 v41, 0
	v_mov_b32_e32 v47, 0
	s_and_saveexec_b64 s[6:7], s[2:3]
	s_cbranch_execz .LBB190_82
; %bb.81:
	v_mov_b32_e32 v47, 0
	v_lshl_add_u64 v[34:35], v[38:39], 0, v[46:47]
	global_load_ushort v34, v[34:35], off offset:32
	s_waitcnt vmcnt(0)
	v_lshlrev_b32_e32 v34, 16, v34
	v_sub_f32_e32 v34, v34, v36
	v_mul_f32_e32 v34, v54, v34
	v_lshrrev_b32_e32 v47, 16, v34
.LBB190_82:
	s_or_b64 exec, exec, s[6:7]
	s_and_saveexec_b64 s[6:7], s[4:5]
	s_cbranch_execz .LBB190_84
; %bb.83:
	v_mov_b32_e32 v41, 0
	v_lshl_add_u64 v[34:35], v[38:39], 0, v[40:41]
	global_load_ushort v34, v[34:35], off offset:32
	s_waitcnt vmcnt(0)
	v_lshlrev_b32_e32 v34, 16, v34
	v_sub_f32_e32 v34, v34, v37
	v_mul_f32_e32 v34, v49, v34
	v_lshrrev_b32_e32 v41, 16, v34
.LBB190_84:
	s_or_b64 exec, exec, s[6:7]
	s_mov_b32 s6, 0x5040100
	v_accvgpr_read_b32 v37, a7
	v_perm_b32 v65, v41, v47, s6
	v_or_b32_e32 v41, v51, v57
	v_accvgpr_read_b32 v36, a6
	v_accvgpr_read_b32 v35, a5
	;; [unrolled: 1-line block ×3, first 2 shown]
	v_perm_b32 v64, v45, v43, s6
	v_lshlrev_b32_e32 v41, 1, v41
	v_mov_b32_e32 v45, 0
	v_mov_b32_e32 v43, 0
	ds_write_b64 v41, v[64:65] offset:24576
	s_and_saveexec_b64 s[6:7], vcc
	s_cbranch_execz .LBB190_86
; %bb.85:
	v_mov_b32_e32 v43, 0
	v_lshl_add_u64 v[64:65], v[38:39], 0, v[42:43]
	global_load_ushort v41, v[64:65], off offset:64
	s_waitcnt vmcnt(0)
	v_lshlrev_b32_e32 v41, 16, v41
	v_sub_f32_e32 v34, v41, v34
	v_mul_f32_e32 v34, v52, v34
	v_lshrrev_b32_e32 v43, 16, v34
.LBB190_86:
	s_or_b64 exec, exec, s[6:7]
	s_and_saveexec_b64 s[6:7], s[0:1]
	s_cbranch_execz .LBB190_88
; %bb.87:
	v_mov_b32_e32 v45, 0
	v_lshl_add_u64 v[64:65], v[38:39], 0, v[44:45]
	global_load_ushort v34, v[64:65], off offset:64
	s_waitcnt vmcnt(0)
	v_lshlrev_b32_e32 v34, 16, v34
	v_sub_f32_e32 v34, v34, v35
	v_mul_f32_e32 v34, v48, v34
	v_lshrrev_b32_e32 v45, 16, v34
.LBB190_88:
	s_or_b64 exec, exec, s[6:7]
	v_mov_b32_e32 v41, 0
	v_mov_b32_e32 v47, 0
	s_and_saveexec_b64 s[6:7], s[2:3]
	s_cbranch_execz .LBB190_90
; %bb.89:
	v_mov_b32_e32 v47, 0
	v_lshl_add_u64 v[34:35], v[38:39], 0, v[46:47]
	global_load_ushort v34, v[34:35], off offset:64
	s_waitcnt vmcnt(0)
	v_lshlrev_b32_e32 v34, 16, v34
	v_sub_f32_e32 v34, v34, v36
	v_mul_f32_e32 v34, v54, v34
	v_lshrrev_b32_e32 v47, 16, v34
.LBB190_90:
	s_or_b64 exec, exec, s[6:7]
	s_and_saveexec_b64 s[6:7], s[4:5]
	s_cbranch_execz .LBB190_92
; %bb.91:
	v_mov_b32_e32 v41, 0
	v_lshl_add_u64 v[34:35], v[38:39], 0, v[40:41]
	global_load_ushort v34, v[34:35], off offset:64
	s_waitcnt vmcnt(0)
	v_lshlrev_b32_e32 v34, 16, v34
	v_sub_f32_e32 v34, v34, v37
	v_mul_f32_e32 v34, v49, v34
	v_lshrrev_b32_e32 v41, 16, v34
.LBB190_92:
	s_or_b64 exec, exec, s[6:7]
	s_mov_b32 s6, 0x5040100
	v_accvgpr_read_b32 v37, a3
	v_perm_b32 v65, v41, v47, s6
	v_or_b32_e32 v41, v51, v56
	v_accvgpr_read_b32 v36, a2
	v_accvgpr_read_b32 v35, a1
	;; [unrolled: 1-line block ×3, first 2 shown]
	v_perm_b32 v64, v45, v43, s6
	v_lshlrev_b32_e32 v41, 1, v41
	v_mov_b32_e32 v45, 0
	v_mov_b32_e32 v43, 0
	ds_write_b64 v41, v[64:65] offset:24576
	s_and_saveexec_b64 s[6:7], vcc
	s_cbranch_execz .LBB190_94
; %bb.93:
	v_mov_b32_e32 v43, 0
	v_lshl_add_u64 v[42:43], v[38:39], 0, v[42:43]
	global_load_ushort v41, v[42:43], off offset:96
	s_waitcnt vmcnt(0)
	v_lshlrev_b32_e32 v41, 16, v41
	v_sub_f32_e32 v34, v41, v34
	v_mul_f32_e32 v34, v52, v34
	v_lshrrev_b32_e32 v43, 16, v34
.LBB190_94:
	s_or_b64 exec, exec, s[6:7]
	s_and_saveexec_b64 s[6:7], s[0:1]
	s_cbranch_execz .LBB190_96
; %bb.95:
	v_mov_b32_e32 v45, 0
	v_lshl_add_u64 v[44:45], v[38:39], 0, v[44:45]
	global_load_ushort v34, v[44:45], off offset:96
	s_waitcnt vmcnt(0)
	v_lshlrev_b32_e32 v34, 16, v34
	v_sub_f32_e32 v34, v34, v35
	v_mul_f32_e32 v34, v48, v34
	v_lshrrev_b32_e32 v45, 16, v34
.LBB190_96:
	s_or_b64 exec, exec, s[6:7]
	v_mov_b32_e32 v41, 0
	v_mov_b32_e32 v44, 0
	s_and_saveexec_b64 s[0:1], s[2:3]
	s_cbranch_execz .LBB190_98
; %bb.97:
	v_mov_b32_e32 v47, 0
	v_lshl_add_u64 v[34:35], v[38:39], 0, v[46:47]
	global_load_ushort v34, v[34:35], off offset:96
	s_waitcnt vmcnt(0)
	v_lshlrev_b32_e32 v34, 16, v34
	v_sub_f32_e32 v34, v34, v36
	v_mul_f32_e32 v34, v54, v34
	v_lshrrev_b32_e32 v44, 16, v34
.LBB190_98:
	s_or_b64 exec, exec, s[0:1]
	v_or_b32_e32 v42, 0x6000, v60
	v_or_b32_e32 v36, 0x6000, v61
	;; [unrolled: 1-line block ×4, first 2 shown]
	s_and_saveexec_b64 s[0:1], s[4:5]
	s_cbranch_execz .LBB190_100
; %bb.99:
	v_mov_b32_e32 v41, 0
	v_lshl_add_u64 v[38:39], v[38:39], 0, v[40:41]
	global_load_ushort v38, v[38:39], off offset:96
	s_waitcnt vmcnt(0)
	v_lshlrev_b32_e32 v38, 16, v38
	v_sub_f32_e32 v37, v38, v37
	v_mul_f32_e32 v37, v49, v37
	v_lshrrev_b32_e32 v41, 16, v37
.LBB190_100:
	s_or_b64 exec, exec, s[0:1]
	s_mov_b32 s0, 0x5040100
	v_or_b32_e32 v37, v51, v53
	v_perm_b32 v39, v41, v44, s0
	v_perm_b32 v38, v45, v43, s0
	v_lshlrev_b32_e32 v37, 1, v37
	s_movk_i32 s0, 0x100
	ds_write_b64 v37, v[38:39] offset:24576
	v_and_b32_e32 v37, 7, v0
	v_and_b32_e32 v38, 8, v0
	v_cmp_gt_u32_e32 vcc, s0, v0
	v_lshrrev_b32_e32 v0, 1, v0
	v_mov_b32_e32 v39, 0xa000
	v_mov_b32_e32 v40, 0x8000
	v_lshlrev_b32_e32 v58, 3, v72
	v_and_b32_e32 v0, 24, v0
	v_cndmask_b32_e32 v51, v39, v40, vcc
	v_xor_b32_e32 v39, v58, v0
	v_or_b32_e32 v40, 0x440, v39
	v_cmp_eq_u32_e32 vcc, 0, v38
	v_lshlrev_b32_e32 v43, 3, v37
	v_lshlrev_b32_e32 v37, 7, v37
	v_cndmask_b32_e32 v38, v40, v39, vcc
	v_or_b32_e32 v38, v38, v59
	v_xad_u32 v72, v38, v43, v37
	v_add_u32_e32 v38, v51, v72
	s_waitcnt lgkmcnt(0)
	s_barrier
	ds_read_b64 v[48:49], v38
	ds_read2_b64 v[38:41], v42 offset1:16
	ds_read2_b64 v[44:47], v42 offset0:32 offset1:48
	v_or_b32_e32 v52, 32, v0
	v_xor_b32_e32 v52, v58, v52
	v_or_b32_e32 v53, 0x440, v52
	v_cndmask_b32_e32 v52, v53, v52, vcc
	s_waitcnt lgkmcnt(1)
	v_mfma_f32_16x16x16_bf16 a[0:3], v[48:49], v[38:39], 0
	v_or_b32_e32 v52, v52, v59
	v_xad_u32 v73, v52, v43, v37
	v_add_u32_e32 v52, v51, v73
	v_mfma_f32_16x16x16_bf16 a[4:7], v[48:49], v[40:41], 0
	ds_read_b64 v[56:57], v52
	ds_read2st64_b64 v[60:63], v36 offset0:4 offset1:8
	ds_read2st64_b64 v[64:67], v35 offset0:4 offset1:8
	s_waitcnt lgkmcnt(3)
	v_mfma_f32_16x16x16_bf16 a[8:11], v[48:49], v[44:45], 0
	ds_read2st64_b64 v[68:71], v34 offset0:4 offset1:8
	v_mfma_f32_16x16x16_bf16 a[12:15], v[48:49], v[46:47], 0
	v_or_b32_e32 v48, 64, v0
	v_xor_b32_e32 v48, v58, v48
	v_xor_b32_e32 v49, 0x440, v48
	v_cndmask_b32_e32 v48, v49, v48, vcc
	v_or_b32_e32 v48, v48, v59
	v_xad_u32 v74, v48, v43, v37
	v_add_u32_e32 v48, v51, v74
	ds_read_b64 v[48:49], v48
	ds_read2st64_b64 v[52:55], v42 offset0:4 offset1:8
	v_or_b32_e32 v0, 0x60, v0
	v_xor_b32_e32 v0, v58, v0
	s_waitcnt lgkmcnt(0)
	v_mfma_f32_16x16x16_bf16 a[0:3], v[56:57], v[52:53], a[0:3]
	v_mfma_f32_16x16x16_bf16 a[4:7], v[56:57], v[60:61], a[4:7]
	v_mfma_f32_16x16x16_bf16 a[8:11], v[56:57], v[64:65], a[8:11]
	v_mfma_f32_16x16x16_bf16 a[12:15], v[56:57], v[68:69], a[12:15]
	v_xor_b32_e32 v56, 0x440, v0
	v_cndmask_b32_e32 v0, v56, v0, vcc
	v_or_b32_e32 v0, v0, v59
	v_xad_u32 v0, v0, v43, v37
	v_add_u32_e32 v37, v51, v0
	v_mfma_f32_16x16x16_bf16 a[0:3], v[48:49], v[54:55], a[0:3]
	ds_read_b64 v[56:57], v37
	ds_read_b64 v[42:43], v42 offset:6144
	v_mfma_f32_16x16x16_bf16 a[4:7], v[48:49], v[62:63], a[4:7]
	v_mfma_f32_16x16x16_bf16 a[8:11], v[48:49], v[66:67], a[8:11]
	;; [unrolled: 1-line block ×3, first 2 shown]
	ds_read_b64 v[36:37], v36 offset:6144
	ds_read_b64 v[48:49], v35 offset:6144
	;; [unrolled: 1-line block ×3, first 2 shown]
	s_waitcnt lgkmcnt(3)
	v_mfma_f32_16x16x16_bf16 a[0:3], v[56:57], v[42:43], a[0:3]
	s_waitcnt lgkmcnt(2)
	v_mfma_f32_16x16x16_bf16 a[4:7], v[56:57], v[36:37], a[4:7]
	;; [unrolled: 2-line block ×4, first 2 shown]
	ds_read_b64 v[56:57], v72 offset:40960
	s_waitcnt lgkmcnt(0)
	v_mfma_f32_16x16x16_bf16 a[24:27], v[56:57], v[44:45], 0
	v_exp_f32_e32 v44, s12
	v_accvgpr_read_b32 v45, a3
	v_fmac_f32_e32 v45, v44, v33
	v_mfma_f32_16x16x16_bf16 a[16:19], v[56:57], v[38:39], 0
	ds_read_b64 v[38:39], v73 offset:40960
	v_accvgpr_read_b32 v33, a4
	v_fma_f32 v22, v44, v22, v33
	v_mfma_f32_16x16x16_bf16 a[20:23], v[56:57], v[40:41], 0
	v_accvgpr_read_b32 v40, a0
	v_fma_f32 v30, v44, v30, v40
	v_accvgpr_read_b32 v40, a1
	v_fma_f32 v31, v44, v31, v40
	v_accvgpr_read_b32 v40, a2
	v_mfma_f32_16x16x16_bf16 a[28:31], v[56:57], v[46:47], 0
	v_fma_f32 v32, v44, v32, v40
	ds_read_b64 v[40:41], v74 offset:40960
	v_accvgpr_read_b32 v33, a5
	s_waitcnt lgkmcnt(1)
	v_mfma_f32_16x16x16_bf16 a[16:19], v[38:39], v[52:53], a[16:19]
	v_fma_f32 v23, v44, v23, v33
	v_accvgpr_read_b32 v33, a6
	v_accvgpr_read_b32 v46, a7
	v_mfma_f32_16x16x16_bf16 a[20:23], v[38:39], v[60:61], a[20:23]
	v_fmac_f32_e32 v46, v44, v25
	v_accvgpr_read_b32 v25, a8
	v_fma_f32 v24, v44, v24, v33
	v_mfma_f32_16x16x16_bf16 a[24:27], v[38:39], v[64:65], a[24:27]
	v_fma_f32 v14, v44, v14, v25
	v_mov_b32_e32 v33, v45
	v_mov_b32_e32 v25, v46
	v_mfma_f32_16x16x16_bf16 a[0:3], v[38:39], v[68:69], a[28:31]
	ds_read_b64 v[38:39], v0 offset:40960
	v_accvgpr_read_b32 v0, a9
	v_fma_f32 v15, v44, v15, v0
	s_waitcnt lgkmcnt(1)
	v_mfma_f32_16x16x16_bf16 a[4:7], v[40:41], v[62:63], a[20:23]
	v_accvgpr_read_b32 v0, a10
	v_fma_f32 v16, v44, v16, v0
	v_accvgpr_read_b32 v0, a11
	v_mfma_f32_16x16x16_bf16 a[16:19], v[40:41], v[54:55], a[16:19]
	v_fmac_f32_e32 v0, v44, v17
	v_accvgpr_read_b32 v17, a12
	v_fma_f32 v2, v44, v2, v17
	v_mfma_f32_16x16x16_bf16 a[20:23], v[40:41], v[66:67], a[24:27]
	v_accvgpr_read_b32 v17, a13
	v_fma_f32 v3, v44, v3, v17
	v_accvgpr_read_b32 v17, a14
	v_mfma_f32_16x16x16_bf16 a[0:3], v[40:41], v[70:71], a[0:3]
	v_fma_f32 v4, v44, v4, v17
	s_waitcnt lgkmcnt(0)
	v_mfma_f32_16x16x16_bf16 a[4:7], v[38:39], v[36:37], a[4:7]
	v_accvgpr_read_b32 v36, a15
	v_fmac_f32_e32 v36, v44, v5
	v_mfma_f32_16x16x16_bf16 a[8:11], v[38:39], v[42:43], a[16:19]
	v_mfma_f32_16x16x16_bf16 a[16:19], v[38:39], v[48:49], a[20:23]
	s_nop 2
	v_accvgpr_read_b32 v17, a4
	v_fma_f32 v18, v44, v18, v17
	v_accvgpr_read_b32 v17, a5
	v_mfma_f32_16x16x16_bf16 a[0:3], v[38:39], v[34:35], a[0:3]
	v_accvgpr_read_b32 v5, a8
	v_fma_f32 v19, v44, v19, v17
	v_accvgpr_read_b32 v17, a6
	v_fma_f32 v26, v44, v26, v5
	;; [unrolled: 2-line block ×3, first 2 shown]
	v_accvgpr_read_b32 v17, a7
	v_accvgpr_read_b32 v34, a19
	v_fma_f32 v27, v44, v27, v5
	v_accvgpr_read_b32 v5, a10
	v_fmac_f32_e32 v17, v44, v21
	v_accvgpr_read_b32 v21, a16
	v_fmac_f32_e32 v34, v44, v13
	v_accvgpr_read_b32 v13, a0
	v_fma_f32 v28, v44, v28, v5
	v_accvgpr_read_b32 v5, a11
	v_fma_f32 v10, v44, v10, v21
	;; [unrolled: 2-line block ×3, first 2 shown]
	v_accvgpr_read_b32 v13, a1
	v_accvgpr_read_b32 v35, a3
	v_fmac_f32_e32 v5, v44, v29
	v_fma_f32 v11, v44, v11, v21
	v_accvgpr_read_b32 v21, a18
	v_fma_f32 v7, v44, v7, v13
	v_accvgpr_read_b32 v13, a2
	v_fmac_f32_e32 v35, v44, v9
	v_fma_f32 v12, v44, v12, v21
	v_fma_f32 v8, v44, v8, v13
	v_mov_b32_e32 v29, v5
	v_mov_b32_e32 v21, v17
	;; [unrolled: 1-line block ×7, first 2 shown]
.LBB190_101:
	s_lshl_b64 s[0:1], s[24:25], 16
	s_waitcnt lgkmcnt(0)
	s_add_u32 s0, s28, s0
	v_lshlrev_b32_e32 v34, 7, v34
	s_addc_u32 s1, s29, s1
	v_ashrrev_i32_e32 v35, 31, v34
	v_lshl_add_u64 v[36:37], v[34:35], 2, s[0:1]
	v_lshlrev_b32_e32 v0, 2, v1
	v_mov_b32_e32 v1, 0
	v_lshl_add_u64 v[36:37], v[36:37], 0, v[0:1]
	global_store_dwordx4 v[36:37], v[30:33], off
	global_store_dwordx4 v[36:37], v[26:29], off offset:256
	s_nop 1
	v_or_b32_e32 v26, 0x800, v34
	v_ashrrev_i32_e32 v27, 31, v26
	v_lshl_add_u64 v[26:27], v[26:27], 2, s[0:1]
	v_lshl_add_u64 v[26:27], v[26:27], 0, v[0:1]
	global_store_dwordx4 v[26:27], v[22:25], off
	global_store_dwordx4 v[26:27], v[18:21], off offset:256
	s_nop 1
	v_or_b32_e32 v18, 0x1000, v34
	v_ashrrev_i32_e32 v19, 31, v18
	v_lshl_add_u64 v[18:19], v[18:19], 2, s[0:1]
	;; [unrolled: 7-line block ×3, first 2 shown]
	v_lshl_add_u64 v[0:1], v[10:11], 0, v[0:1]
	global_store_dwordx4 v[0:1], v[2:5], off
	global_store_dwordx4 v[0:1], v[6:9], off offset:256
	s_endpgm
	.section	.rodata,"a",@progbits
	.p2align	6, 0x0
	.amdhsa_kernel _ZN12_GLOBAL__N_139chunk_gated_delta_rule_fwd_h_hip_kernelILi64ELb0ELb1ELb0ELb0ELb1ELb0ELb0ELb0EEEvPK12hip_bfloat16S3_S3_PKfS5_PKvPS1_S8_PvPKiSB_iiiiilll
		.amdhsa_group_segment_fixed_size 65536
		.amdhsa_private_segment_fixed_size 0
		.amdhsa_kernarg_size 136
		.amdhsa_user_sgpr_count 2
		.amdhsa_user_sgpr_dispatch_ptr 0
		.amdhsa_user_sgpr_queue_ptr 0
		.amdhsa_user_sgpr_kernarg_segment_ptr 1
		.amdhsa_user_sgpr_dispatch_id 0
		.amdhsa_user_sgpr_kernarg_preload_length 0
		.amdhsa_user_sgpr_kernarg_preload_offset 0
		.amdhsa_user_sgpr_private_segment_size 0
		.amdhsa_uses_dynamic_stack 0
		.amdhsa_enable_private_segment 0
		.amdhsa_system_sgpr_workgroup_id_x 1
		.amdhsa_system_sgpr_workgroup_id_y 1
		.amdhsa_system_sgpr_workgroup_id_z 0
		.amdhsa_system_sgpr_workgroup_info 0
		.amdhsa_system_vgpr_workitem_id 0
		.amdhsa_next_free_vgpr 216
		.amdhsa_next_free_sgpr 65
		.amdhsa_accum_offset 180
		.amdhsa_reserve_vcc 1
		.amdhsa_float_round_mode_32 0
		.amdhsa_float_round_mode_16_64 0
		.amdhsa_float_denorm_mode_32 3
		.amdhsa_float_denorm_mode_16_64 3
		.amdhsa_dx10_clamp 1
		.amdhsa_ieee_mode 1
		.amdhsa_fp16_overflow 0
		.amdhsa_tg_split 0
		.amdhsa_exception_fp_ieee_invalid_op 0
		.amdhsa_exception_fp_denorm_src 0
		.amdhsa_exception_fp_ieee_div_zero 0
		.amdhsa_exception_fp_ieee_overflow 0
		.amdhsa_exception_fp_ieee_underflow 0
		.amdhsa_exception_fp_ieee_inexact 0
		.amdhsa_exception_int_div_zero 0
	.end_amdhsa_kernel
	.section	.text._ZN12_GLOBAL__N_139chunk_gated_delta_rule_fwd_h_hip_kernelILi64ELb0ELb1ELb0ELb0ELb1ELb0ELb0ELb0EEEvPK12hip_bfloat16S3_S3_PKfS5_PKvPS1_S8_PvPKiSB_iiiiilll,"axG",@progbits,_ZN12_GLOBAL__N_139chunk_gated_delta_rule_fwd_h_hip_kernelILi64ELb0ELb1ELb0ELb0ELb1ELb0ELb0ELb0EEEvPK12hip_bfloat16S3_S3_PKfS5_PKvPS1_S8_PvPKiSB_iiiiilll,comdat
.Lfunc_end190:
	.size	_ZN12_GLOBAL__N_139chunk_gated_delta_rule_fwd_h_hip_kernelILi64ELb0ELb1ELb0ELb0ELb1ELb0ELb0ELb0EEEvPK12hip_bfloat16S3_S3_PKfS5_PKvPS1_S8_PvPKiSB_iiiiilll, .Lfunc_end190-_ZN12_GLOBAL__N_139chunk_gated_delta_rule_fwd_h_hip_kernelILi64ELb0ELb1ELb0ELb0ELb1ELb0ELb0ELb0EEEvPK12hip_bfloat16S3_S3_PKfS5_PKvPS1_S8_PvPKiSB_iiiiilll
                                        ; -- End function
	.section	.AMDGPU.csdata,"",@progbits
; Kernel info:
; codeLenInByte = 12248
; NumSgprs: 71
; NumVgprs: 178
; NumAgprs: 36
; TotalNumVgprs: 216
; ScratchSize: 0
; MemoryBound: 0
; FloatMode: 240
; IeeeMode: 1
; LDSByteSize: 65536 bytes/workgroup (compile time only)
; SGPRBlocks: 8
; VGPRBlocks: 26
; NumSGPRsForWavesPerEU: 71
; NumVGPRsForWavesPerEU: 216
; AccumOffset: 180
; Occupancy: 1
; WaveLimiterHint : 1
; COMPUTE_PGM_RSRC2:SCRATCH_EN: 0
; COMPUTE_PGM_RSRC2:USER_SGPR: 2
; COMPUTE_PGM_RSRC2:TRAP_HANDLER: 0
; COMPUTE_PGM_RSRC2:TGID_X_EN: 1
; COMPUTE_PGM_RSRC2:TGID_Y_EN: 1
; COMPUTE_PGM_RSRC2:TGID_Z_EN: 0
; COMPUTE_PGM_RSRC2:TIDIG_COMP_CNT: 0
; COMPUTE_PGM_RSRC3_GFX90A:ACCUM_OFFSET: 44
; COMPUTE_PGM_RSRC3_GFX90A:TG_SPLIT: 0
	.section	.text._ZN12_GLOBAL__N_139chunk_gated_delta_rule_fwd_h_hip_kernelILi64ELb0ELb0ELb1ELb0ELb1ELb0ELb0ELb0EEEvPK12hip_bfloat16S3_S3_PKfS5_PKvPS1_S8_PvPKiSB_iiiiilll,"axG",@progbits,_ZN12_GLOBAL__N_139chunk_gated_delta_rule_fwd_h_hip_kernelILi64ELb0ELb0ELb1ELb0ELb1ELb0ELb0ELb0EEEvPK12hip_bfloat16S3_S3_PKfS5_PKvPS1_S8_PvPKiSB_iiiiilll,comdat
	.globl	_ZN12_GLOBAL__N_139chunk_gated_delta_rule_fwd_h_hip_kernelILi64ELb0ELb0ELb1ELb0ELb1ELb0ELb0ELb0EEEvPK12hip_bfloat16S3_S3_PKfS5_PKvPS1_S8_PvPKiSB_iiiiilll ; -- Begin function _ZN12_GLOBAL__N_139chunk_gated_delta_rule_fwd_h_hip_kernelILi64ELb0ELb0ELb1ELb0ELb1ELb0ELb0ELb0EEEvPK12hip_bfloat16S3_S3_PKfS5_PKvPS1_S8_PvPKiSB_iiiiilll
	.p2align	8
	.type	_ZN12_GLOBAL__N_139chunk_gated_delta_rule_fwd_h_hip_kernelILi64ELb0ELb0ELb1ELb0ELb1ELb0ELb0ELb0EEEvPK12hip_bfloat16S3_S3_PKfS5_PKvPS1_S8_PvPKiSB_iiiiilll,@function
_ZN12_GLOBAL__N_139chunk_gated_delta_rule_fwd_h_hip_kernelILi64ELb0ELb0ELb1ELb0ELb1ELb0ELb0ELb0EEEvPK12hip_bfloat16S3_S3_PKfS5_PKvPS1_S8_PvPKiSB_iiiiilll: ; @_ZN12_GLOBAL__N_139chunk_gated_delta_rule_fwd_h_hip_kernelILi64ELb0ELb0ELb1ELb0ELb1ELb0ELb0ELb0EEEvPK12hip_bfloat16S3_S3_PKfS5_PKvPS1_S8_PvPKiSB_iiiiilll
; %bb.0:
	s_load_dwordx4 s[16:19], s[0:1], 0x5c
	s_load_dwordx4 s[12:15], s[0:1], 0x30
	s_abs_i32 s22, s3
	s_ashr_i32 s21, s3, 31
	s_load_dwordx8 s[4:11], s[0:1], 0x0
	s_waitcnt lgkmcnt(0)
	s_abs_i32 s20, s17
	v_cvt_f32_u32_e32 v1, s20
	s_sub_i32 s24, 0, s20
	s_ashr_i32 s23, s17, 31
	s_xor_b32 s21, s21, s23
	v_rcp_iflag_f32_e32 v1, v1
	v_lshrrev_b32_e32 v76, 6, v0
	v_bfe_u32 v77, v0, 4, 2
	v_lshlrev_b32_e32 v2, 2, v77
	v_mul_f32_e32 v1, 0x4f7ffffe, v1
	v_cvt_u32_f32_e32 v1, v1
	v_and_b32_e32 v75, 63, v0
	v_mov_b32_e32 v35, 0
	v_and_b32_e32 v74, 15, v0
	v_readfirstlane_b32 s25, v1
	s_mul_i32 s24, s24, s25
	s_mul_hi_u32 s24, s25, s24
	s_add_i32 s25, s25, s24
	s_mul_hi_u32 s24, s22, s25
	s_mul_i32 s25, s24, s20
	s_sub_i32 s22, s22, s25
	s_add_i32 s26, s24, 1
	s_sub_i32 s25, s22, s20
	s_cmp_ge_u32 s22, s20
	s_cselect_b32 s24, s26, s24
	s_cselect_b32 s22, s25, s22
	s_add_i32 s25, s24, 1
	s_cmp_ge_u32 s22, s20
	s_cselect_b32 s22, s25, s24
	s_xor_b32 s22, s22, s21
	s_sub_i32 s47, s22, s21
	s_abs_i32 s21, s18
	v_cvt_f32_u32_e32 v1, s21
	s_add_i32 s24, s16, 63
	s_mul_i32 s45, s47, s17
	s_sub_i32 s33, s3, s45
	v_rcp_iflag_f32_e32 v1, v1
	s_ashr_i32 s3, s24, 31
	s_ashr_i32 s46, s16, 31
	s_lshr_b32 s3, s3, 26
	v_mul_f32_e32 v1, 0x4f7ffffe, v1
	v_cvt_u32_f32_e32 v1, v1
	s_lshr_b32 s22, s46, 26
	s_add_i32 s24, s24, s3
	s_add_i32 s22, s16, s22
	s_ashr_i32 s49, s18, 31
	s_ashr_i32 s3, s24, 6
	;; [unrolled: 1-line block ×3, first 2 shown]
	s_xor_b32 s22, s23, s49
	s_sub_i32 s23, 0, s21
	v_readfirstlane_b32 s24, v1
	s_mul_i32 s23, s23, s24
	s_mul_hi_u32 s23, s24, s23
	s_add_i32 s24, s24, s23
	s_mul_hi_u32 s23, s20, s24
	s_mul_i32 s24, s23, s21
	s_sub_i32 s20, s20, s24
	s_add_i32 s24, s23, 1
	s_sub_i32 s25, s20, s21
	s_cmp_ge_u32 s20, s21
	s_cselect_b32 s23, s24, s23
	s_cselect_b32 s20, s25, s20
	s_add_i32 s24, s23, 1
	s_cmp_ge_u32 s20, s21
	s_cselect_b32 s20, s24, s23
	s_xor_b32 s20, s20, s22
	s_sub_i32 s24, s20, s22
	s_abs_i32 s25, s24
	v_cvt_f32_u32_e32 v1, s25
	s_load_dwordx2 s[34:35], s[0:1], 0x80
	s_load_dwordx4 s[20:23], s[0:1], 0x70
	s_xor_b32 s0, s33, s24
	s_sub_i32 s24, 0, s25
	v_rcp_iflag_f32_e32 v1, v1
	s_abs_i32 s1, s33
	s_ashr_i32 s0, s0, 31
	s_mul_i32 s50, s47, s3
	v_mul_f32_e32 v1, 0x4f7ffffe, v1
	v_cvt_u32_f32_e32 v1, v1
	s_mul_hi_i32 s51, s47, s17
	v_lshrrev_b32_e32 v79, 3, v75
	v_lshlrev_b32_e32 v78, 3, v0
	v_readfirstlane_b32 s26, v1
	s_mul_i32 s24, s24, s26
	s_mul_hi_u32 s24, s26, s24
	s_add_i32 s26, s26, s24
	s_mul_hi_u32 s24, s1, s26
	s_mul_i32 s26, s24, s25
	s_sub_i32 s1, s1, s26
	s_add_i32 s26, s24, 1
	s_sub_i32 s27, s1, s25
	s_cmp_ge_u32 s1, s25
	s_cselect_b32 s24, s26, s24
	s_cselect_b32 s1, s27, s1
	s_add_i32 s26, s24, 1
	s_cmp_ge_u32 s1, s25
	s_cselect_b32 s1, s26, s24
	s_xor_b32 s1, s1, s0
	v_lshlrev_b32_e32 v1, 4, v76
	s_sub_i32 s52, s1, s0
	v_or_b32_e32 v80, v2, v1
	s_lshl_b32 s36, s2, 6
	v_or_b32_e32 v81, 64, v80
	s_cmp_lt_i32 s16, 64
	s_waitcnt lgkmcnt(0)
	s_mul_i32 s21, s47, s21
	s_mul_hi_u32 s44, s47, s20
	s_mul_i32 s38, s47, s20
	v_mov_b32_e32 v34, v35
	v_mov_b32_e32 v41, v35
	;; [unrolled: 1-line block ×31, first 2 shown]
	s_cbranch_scc1 .LBB191_18
; %bb.1:
	s_ashr_i32 s28, s47, 31
	s_ashr_i32 s54, s33, 31
	s_add_u32 s0, s45, s33
	s_addc_u32 s1, s51, s54
	s_mul_i32 s1, s16, s1
	s_mul_hi_u32 s2, s16, s0
	s_add_i32 s3, s2, s1
	s_mul_i32 s2, s16, s0
	s_lshl_b64 s[0:1], s[2:3], 8
	v_and_b32_e32 v83, 56, v78
	s_add_u32 s24, s6, s0
	v_lshl_or_b32 v82, v76, 3, v79
	v_lshlrev_b32_e32 v3, 1, v83
	s_addc_u32 s0, s7, s1
	v_lshl_or_b32 v84, v82, 8, v3
	s_and_b32 s25, s0, 0xffff
	s_mov_b32 s27, 0x20000
	s_movk_i32 s26, 0x4000
	s_movk_i32 s0, 0x80
	v_or_b32_e32 v85, 0x2000, v84
	buffer_load_dwordx4 v[4:7], v84, s[24:27], 0 offen
	buffer_load_dwordx4 v[8:11], v84, s[24:27], s0 offen
	;; [unrolled: 1-line block ×4, first 2 shown]
	v_lshlrev_b32_e32 v20, 3, v82
	v_and_or_b32 v22, v0, 7, v20
	v_and_b32_e32 v20, 0x78, v20
	v_lshlrev_b32_e32 v22, 4, v22
	v_xor_b32_e32 v86, v22, v20
	v_mul_lo_u32 v21, v82, s19
	v_or_b32_e32 v87, 0x1000, v86
	s_cmpk_eq_i32 s19, 0x80
	s_mov_b32 s53, s18
	v_xor_b32_e32 v20, 8, v86
	v_xor_b32_e32 v22, 8, v87
	s_cselect_b64 s[0:1], -1, 0
	s_cmpk_lg_i32 s19, 0x80
	s_waitcnt vmcnt(3)
	ds_write_b64 v86, v[4:5] offset:49152
	ds_write_b64 v20, v[6:7] offset:49152
	s_waitcnt vmcnt(2)
	ds_write_b64 v86, v[8:9] offset:57344
	ds_write_b64 v20, v[10:11] offset:57344
	;; [unrolled: 3-line block ×4, first 2 shown]
	v_lshl_add_u32 v4, v21, 1, v83
	s_cbranch_scc0 .LBB191_3
; %bb.2:
	v_lshlrev_b32_e32 v6, 1, v4
	v_add_lshl_u32 v5, v4, s19, 1
	s_lshl_b32 s26, s19, 7
	v_lshl_or_b32 v3, v82, 9, v3
	s_cbranch_execz .LBB191_4
	s_branch .LBB191_5
.LBB191_3:
                                        ; implicit-def: $vgpr5
                                        ; implicit-def: $vgpr6
                                        ; implicit-def: $sgpr26
	v_lshl_or_b32 v3, v82, 9, v3
.LBB191_4:
	v_or_b32_e32 v5, 0x100, v3
	s_movk_i32 s26, 0x4000
	v_mov_b32_e32 v6, v3
.LBB191_5:
	s_mul_hi_u32 s24, s18, s16
	s_mul_i32 s25, s49, s16
	s_add_i32 s24, s24, s25
	s_mul_i32 s25, s18, s16
	s_mul_i32 s27, s25, s28
	s_mul_hi_u32 s29, s25, s47
	s_add_i32 s27, s29, s27
	s_mul_i32 s24, s24, s47
	s_add_i32 s27, s27, s24
	s_mul_i32 s25, s25, s47
	s_ashr_i32 s55, s52, 31
	s_add_u32 s24, s25, s52
	s_addc_u32 s25, s27, s55
	s_lshl_b64 s[24:25], s[24:25], 8
	s_add_u32 s24, s4, s24
	s_addc_u32 s25, s5, s25
	s_and_b32 s25, s25, 0xffff
	s_mov_b32 s27, 0x20000
	s_movk_i32 s56, 0x80
	buffer_load_dwordx4 v[8:11], v6, s[24:27], 0 offen
	buffer_load_dwordx4 v[12:15], v6, s[24:27], s56 offen
	;; [unrolled: 1-line block ×4, first 2 shown]
	v_and_b32_e32 v5, 6, v0
	v_lshlrev_b32_e32 v6, 7, v80
	v_xor_b32_e32 v27, v82, v5
	v_and_b32_e32 v7, 1, v0
	v_lshl_or_b32 v30, v74, 3, v6
	v_lshlrev_b32_e32 v27, 2, v27
	v_or_b32_e32 v88, 0x4000, v30
	v_or_b32_e32 v89, 0x6000, v30
	v_xor_b32_e32 v30, 0x440, v27
	v_cmp_eq_u32_e32 vcc, 0, v7
	v_lshlrev_b32_e32 v24, 2, v74
	s_mov_b32 s58, 0x1000504
	v_cndmask_b32_e32 v7, v30, v27, vcc
	v_xor_b32_e32 v28, v80, v24
	v_xor_b32_e32 v29, v81, v24
	v_lshl_or_b32 v5, v5, 10, v7
	s_mov_b32 s59, 0x3020706
	s_mul_i32 s24, s28, s16
	s_mul_hi_u32 s25, s47, s16
	v_lshlrev_b32_e32 v25, 8, v74
	v_or_b32_e32 v26, 16, v74
	v_lshlrev_b32_e32 v28, 1, v28
	v_lshlrev_b32_e32 v29, 1, v29
	v_xor_b32_e32 v7, 8, v5
	v_xor_b32_e32 v27, 24, v5
	;; [unrolled: 1-line block ×4, first 2 shown]
	v_or_b32_e32 v91, v25, v28
	v_or_b32_e32 v92, v25, v29
	v_xor_b32_e32 v25, 16, v5
	v_xor_b32_e32 v30, 32, v5
	;; [unrolled: 1-line block ×3, first 2 shown]
	v_add_u32_e32 v7, 0x80, v7
	v_add_u32_e32 v27, 0x80, v27
	;; [unrolled: 1-line block ×4, first 2 shown]
	s_add_i32 s61, s25, s24
	s_add_i32 s24, s44, s21
	s_mul_i32 s28, s28, s20
	s_add_i32 s39, s24, s28
	s_mul_i32 s24, s33, s23
	s_mul_hi_u32 s25, s33, s22
	s_add_i32 s24, s25, s24
	s_mul_i32 s25, s54, s22
	s_add_i32 s25, s24, s25
	s_lshl_b64 s[28:29], s[38:39], 2
	s_mul_i32 s24, s33, s22
	s_add_u32 s28, s10, s28
	s_addc_u32 s29, s11, s29
	s_lshl_b64 s[24:25], s[24:25], 2
	s_add_u32 s40, s28, s24
	s_movk_i32 s24, 0xf8
	s_addc_u32 s41, s29, s25
	s_ashr_i32 s37, s36, 31
	s_lshl_b32 s30, s19, 7
	s_movk_i32 s28, 0x100
	v_mov_b32_e32 v67, 0
	v_lshlrev_b32_e32 v66, 4, v74
	v_cmp_gt_u32_e32 vcc, s28, v0
	v_lshl_or_b32 v31, v26, 3, v6
	s_mov_b32 s57, 0
	s_mul_i32 s60, s47, s16
	v_or_b32_e32 v90, 0x4000, v31
	s_movk_i32 s26, 0x4000
	v_or_b32_e32 v93, 0x6000, v31
	v_add_u32_e32 v128, v1, v2
	s_movk_i32 s39, 0x2000
	s_movk_i32 s62, 0x3000
	s_mov_b32 s64, 0
	v_mov_b32_e32 v58, v67
	v_mov_b32_e32 v59, v67
	;; [unrolled: 1-line block ×9, first 2 shown]
	s_waitcnt vmcnt(1)
	v_perm_b32 v35, v8, v16, s58
	s_waitcnt vmcnt(0)
	v_perm_b32 v36, v12, v20, s58
	v_perm_b32 v8, v8, v16, s59
	;; [unrolled: 1-line block ×15, first 2 shown]
	ds_write2st64_b32 v5, v35, v36 offset0:128 offset1:160
	ds_write2st64_b32 v7, v8, v12 offset0:128 offset1:160
	;; [unrolled: 1-line block ×8, first 2 shown]
	v_lshlrev_b32_e32 v5, 8, v26
	v_or_b32_e32 v94, v5, v28
	v_or_b32_e32 v95, v5, v29
	;; [unrolled: 1-line block ×3, first 2 shown]
	v_lshl_or_b32 v7, v5, 3, v6
	v_lshlrev_b32_e32 v5, 8, v5
	v_or_b32_e32 v98, v5, v28
	v_or_b32_e32 v99, v5, v29
	;; [unrolled: 1-line block ×5, first 2 shown]
	v_lshl_or_b32 v7, v5, 3, v6
	v_lshlrev_b32_e32 v5, 8, v5
	v_or_b32_e32 v102, v5, v28
	v_or_b32_e32 v103, v5, v29
	;; [unrolled: 1-line block ×3, first 2 shown]
	v_lshlrev_b32_e32 v5, 3, v5
	v_lshrrev_b32_e32 v9, 5, v75
	v_and_or_b32 v9, v5, s24, v9
	v_lshlrev_b32_e32 v9, 4, v9
	v_or_b32_e32 v100, 0x4000, v7
	v_or_b32_e32 v101, 0x6000, v7
	v_lshlrev_b32_e32 v7, 11, v76
	v_and_b32_e32 v5, 0x78, v5
	v_or_b32_e32 v14, 32, v9
	v_and_b32_e32 v8, 0x1000, v7
	v_xor_b32_e32 v10, v9, v5
	v_lshrrev_b32_e32 v11, 1, v0
	v_xor_b32_e32 v14, v14, v5
	v_or_b32_e32 v10, v10, v8
	v_and_b32_e32 v12, 8, v11
	v_or_b32_e32 v14, v14, v8
	v_xor_b32_e32 v104, v10, v12
	v_lshlrev_b32_e32 v10, 8, v77
	v_xor_b32_e32 v106, v14, v12
	v_or_b32_e32 v14, 64, v9
	v_or_b32_e32 v9, 0x60, v9
	;; [unrolled: 1-line block ×3, first 2 shown]
	v_xor_b32_e32 v14, v14, v5
	v_xor_b32_e32 v5, v9, v5
	v_lshlrev_b32_e32 v13, 1, v13
	v_or_b32_e32 v14, v14, v8
	v_or_b32_e32 v5, v5, v8
	s_lshl_b64 s[24:25], s[36:37], 8
	v_or_b32_e32 v105, 0x4000, v13
	v_or_b32_e32 v107, 0x4080, v13
	;; [unrolled: 1-line block ×4, first 2 shown]
	v_xor_b32_e32 v110, v14, v12
	v_xor_b32_e32 v111, v5, v12
	v_or_b32_e32 v112, 0x6000, v13
	v_or_b32_e32 v113, 0x6080, v13
	;; [unrolled: 1-line block ×4, first 2 shown]
	v_lshlrev_b32_e32 v12, 1, v4
	v_add_lshl_u32 v13, v4, s19, 1
	s_add_u32 s24, s12, s24
	v_lshlrev_b32_e32 v4, 1, v74
	v_lshrrev_b32_e32 v15, 4, v0
	s_addc_u32 s25, s13, s25
	v_or_b32_e32 v5, 1, v4
	v_mov_b32_e32 v19, 0xa000
	v_mov_b32_e32 v20, 0x8000
	v_xor_b32_e32 v16, v15, v4
	v_xor_b32_e32 v17, v5, v15
	v_lshl_add_u64 v[4:5], s[24:25], 0, v[66:67]
	v_lshlrev_b32_e32 v66, 8, v15
	v_cndmask_b32_e32 v19, v19, v20, vcc
	v_lshlrev_b32_e32 v20, 3, v76
	v_and_b32_e32 v11, 24, v11
	v_lshl_or_b32 v116, v16, 3, v66
	v_and_b32_e32 v16, 8, v0
	v_xor_b32_e32 v21, v20, v11
	v_or_b32_e32 v22, 0x440, v21
	v_cmp_eq_u32_e32 vcc, 0, v16
	v_and_b32_e32 v15, 7, v0
	v_lshl_or_b32 v117, v17, 3, v66
	v_cndmask_b32_e32 v16, v22, v21, vcc
	v_lshlrev_b32_e32 v17, 3, v15
	v_lshlrev_b32_e32 v15, 7, v15
	v_or_b32_e32 v16, v16, v7
	v_lshlrev_b32_e32 v18, 2, v0
	v_xad_u32 v118, v16, v17, v15
	v_or_b32_e32 v16, 32, v11
	v_and_or_b32 v10, v18, 60, v10
	v_xor_b32_e32 v16, v20, v16
	v_lshlrev_b32_e32 v10, 1, v10
	v_or_b32_e32 v18, 0x440, v16
	v_or_b32_e32 v119, 0x6000, v10
	v_cndmask_b32_e32 v16, v18, v16, vcc
	v_or_b32_e32 v121, 0x6080, v10
	v_or_b32_e32 v122, 0x6100, v10
	;; [unrolled: 1-line block ×5, first 2 shown]
	v_xor_b32_e32 v10, v20, v10
	v_xad_u32 v120, v16, v17, v15
	v_xor_b32_e32 v16, 0x440, v10
	v_cndmask_b32_e32 v10, v16, v10, vcc
	v_or_b32_e32 v10, v10, v7
	v_xad_u32 v124, v10, v17, v15
	v_or_b32_e32 v10, 0x60, v11
	v_xor_b32_e32 v10, v20, v10
	v_xor_b32_e32 v11, 0x440, v10
	v_or_b32_e32 v8, s36, v74
	v_cndmask_b32_e32 v10, v11, v10, vcc
	v_ashrrev_i32_e32 v9, 31, v8
	v_or_b32_e32 v7, v10, v7
	v_or_b32_e32 v14, 0x100, v3
	v_xad_u32 v125, v7, v17, v15
	v_lshlrev_b64 v[8:9], 1, v[8:9]
	v_cndmask_b32_e64 v126, v12, v3, s[0:1]
	v_cndmask_b32_e64 v127, v13, v14, s[0:1]
	v_lshl_add_u64 v[68:69], s[8:9], 0, v[8:9]
	v_lshl_add_u64 v[70:71], s[14:15], 0, v[8:9]
	;; [unrolled: 1-line block ×3, first 2 shown]
	s_mov_b32 s37, 0x7060302
	v_lshlrev_b32_e32 v66, 1, v6
	v_add_u32_e32 v129, v19, v118
	v_add_u32_e32 v130, v19, v120
	;; [unrolled: 1-line block ×4, first 2 shown]
	v_mov_b32_e32 v51, v67
	v_mov_b32_e32 v52, v67
	;; [unrolled: 1-line block ×23, first 2 shown]
	s_waitcnt lgkmcnt(0)
	s_barrier
.LBB191_6:                              ; =>This Inner Loop Header: Depth=1
	s_add_i32 s63, s64, 1
	s_cmp_lt_i32 s63, s48
	s_mov_b64 s[28:29], 0
	s_cselect_b64 s[42:43], -1, 0
	s_cmp_ge_i32 s63, s48
	s_mov_b64 s[24:25], 0
	s_cbranch_scc1 .LBB191_8
; %bb.7:                                ;   in Loop: Header=BB191_6 Depth=1
	s_add_i32 s0, s57, 64
	s_add_u32 s0, s2, s0
	s_addc_u32 s1, s3, 0
	s_lshl_b64 s[0:1], s[0:1], 8
	s_add_u32 s24, s6, s0
	s_addc_u32 s25, s7, s1
.LBB191_8:                              ;   in Loop: Header=BB191_6 Depth=1
	v_cndmask_b32_e64 v2, 0, 1, s[42:43]
	v_cmp_ne_u32_e64 s[0:1], 1, v2
	s_andn2_b64 vcc, exec, s[42:43]
	s_cbranch_vccnz .LBB191_10
; %bb.9:                                ;   in Loop: Header=BB191_6 Depth=1
	s_add_i32 s28, s57, 64
	s_add_u32 s28, s60, s28
	s_addc_u32 s29, s61, 0
	s_mul_i32 s31, s28, s49
	s_mul_hi_u32 s42, s28, s53
	s_add_i32 s31, s42, s31
	s_mul_i32 s29, s29, s53
	s_add_i32 s31, s31, s29
	s_mul_i32 s28, s28, s53
	s_add_u32 s28, s28, s52
	s_addc_u32 s29, s31, s55
	s_lshl_b64 s[28:29], s[28:29], 8
	s_add_u32 s28, s4, s28
	s_addc_u32 s29, s5, s29
.LBB191_10:                             ;   in Loop: Header=BB191_6 Depth=1
	v_perm_b32 v3, v65, v64, s37
	v_perm_b32 v2, v63, v62, s37
	v_perm_b32 v5, v61, v60, s37
	v_perm_b32 v4, v59, v58, s37
	ds_write_b64 v88, v[2:3]
	ds_write_b64 v89, v[4:5]
	ds_write_b64 v91, v[2:3]
	ds_write_b64 v92, v[4:5]
	v_perm_b32 v3, v57, v56, s37
	v_perm_b32 v2, v55, v54, s37
	v_perm_b32 v5, v53, v52, s37
	v_perm_b32 v4, v51, v50, s37
	ds_write_b64 v90, v[2:3]
	ds_write_b64 v93, v[4:5]
	ds_write_b64 v94, v[2:3]
	ds_write_b64 v95, v[4:5]
	;; [unrolled: 8-line block ×4, first 2 shown]
	s_waitcnt lgkmcnt(0)
	s_barrier
	ds_read_b64 v[6:7], v104 offset:49152
	ds_read2_b64 v[2:5], v105 offset1:16
	ds_read_b64 v[18:19], v107 offset:6144
	ds_read_b64 v[20:21], v105 offset:6144
	s_waitcnt lgkmcnt(2)
	v_mfma_f32_16x16x16_bf16 a[0:3], v[6:7], v[2:3], 0
	ds_read_b64 v[22:23], v106 offset:49152
	ds_read2st64_b64 v[10:13], v108 offset0:4 offset1:8
	ds_read2st64_b64 v[14:17], v109 offset0:4 offset1:8
	v_mfma_f32_16x16x16_bf16 a[4:7], v[6:7], v[4:5], 0
	ds_read2_b64 v[2:5], v105 offset0:32 offset1:48
	s_add_i32 s31, s57, 63
	s_mul_i32 s42, s31, s35
	s_waitcnt lgkmcnt(0)
	v_mfma_f32_16x16x16_bf16 a[8:11], v[6:7], v[2:3], 0
	s_mul_hi_u32 s43, s31, s34
	s_add_i32 s43, s43, s42
	s_mul_i32 s42, s31, s34
	v_mfma_f32_16x16x16_bf16 a[12:15], v[6:7], v[4:5], 0
	ds_read2st64_b64 v[2:5], v105 offset0:4 offset1:8
	ds_read2st64_b64 v[6:9], v107 offset0:4 offset1:8
	s_lshl_b64 s[42:43], s[42:43], 2
	s_waitcnt lgkmcnt(1)
	v_mfma_f32_16x16x16_bf16 a[0:3], v[22:23], v[2:3], a[0:3]
	s_add_u32 s42, s40, s42
	s_addc_u32 s43, s41, s43
	s_and_b64 vcc, exec, s[0:1]
	s_waitcnt lgkmcnt(0)
	v_mfma_f32_16x16x16_bf16 a[4:7], v[22:23], v[6:7], a[4:7]
	v_mov_b32_e32 v135, 0
	v_mov_b32_e32 v134, 0
	;; [unrolled: 1-line block ×3, first 2 shown]
	v_mfma_f32_16x16x16_bf16 a[8:11], v[22:23], v[10:11], a[8:11]
	ds_read_b64 v[2:3], v110 offset:49152
	ds_read_b64 v[6:7], v111 offset:49152
	;; [unrolled: 1-line block ×3, first 2 shown]
	v_mfma_f32_16x16x16_bf16 a[12:15], v[22:23], v[14:15], a[12:15]
	v_mov_b32_e32 v14, 0
	v_mov_b32_e32 v15, 0
	s_waitcnt lgkmcnt(2)
	v_mfma_f32_16x16x16_bf16 a[0:3], v[2:3], v[4:5], a[0:3]
	v_mov_b32_e32 v4, 0
	v_mov_b32_e32 v5, 0
	v_mfma_f32_16x16x16_bf16 a[16:19], v[2:3], v[8:9], a[4:7]
	v_mov_b32_e32 v8, 0
	v_mov_b32_e32 v9, 0
	;; [unrolled: 3-line block ×3, first 2 shown]
	v_mfma_f32_16x16x16_bf16 a[24:27], v[2:3], v[16:17], a[12:15]
	ds_read_b64 v[2:3], v108 offset:6144
	v_mov_b32_e32 v16, 0
	v_mov_b32_e32 v17, 0
	s_waitcnt lgkmcnt(2)
	v_mfma_f32_16x16x16_bf16 a[4:7], v[6:7], v[20:21], a[0:3]
	v_mfma_f32_16x16x16_bf16 a[8:11], v[6:7], v[18:19], a[16:19]
	s_waitcnt lgkmcnt(0)
	v_mfma_f32_16x16x16_bf16 a[12:15], v[6:7], v[2:3], a[20:23]
	v_mov_b32_e32 v2, 0
	v_mov_b32_e32 v3, 0
	v_mfma_f32_16x16x16_bf16 a[0:3], v[6:7], v[10:11], a[24:27]
	v_mov_b32_e32 v6, 0
	v_mov_b32_e32 v7, 0
	;; [unrolled: 1-line block ×4, first 2 shown]
	s_cbranch_vccnz .LBB191_12
; %bb.11:                               ;   in Loop: Header=BB191_6 Depth=1
	s_and_b32 s25, s25, 0xffff
	buffer_load_dwordx4 v[14:17], v84, s[24:27], 0 offen
	buffer_load_dwordx4 v[10:13], v84, s[24:27], s56 offen
	;; [unrolled: 1-line block ×4, first 2 shown]
	v_mov_b32_e32 v134, v86
	v_mov_b32_e32 v133, v87
.LBB191_12:                             ;   in Loop: Header=BB191_6 Depth=1
	ds_read_b64 v[30:31], v104 offset:57344
	ds_read2_b64 v[18:21], v112 offset1:16
	ds_read_b64 v[136:137], v106 offset:57344
	ds_read_b64 v[138:139], v110 offset:57344
	;; [unrolled: 1-line block ×3, first 2 shown]
	v_add_u32_e32 v32, s57, v128
	s_waitcnt lgkmcnt(3)
	v_mfma_f32_16x16x16_bf16 a[4:7], v[30:31], v[18:19], a[4:7]
	v_mfma_f32_16x16x16_bf16 a[8:11], v[30:31], v[20:21], a[8:11]
	ds_read2_b64 v[18:21], v112 offset0:32 offset1:48
	ds_read2st64_b64 v[22:25], v112 offset0:4 offset1:8
	ds_read2st64_b64 v[26:29], v113 offset0:4 offset1:8
	s_waitcnt lgkmcnt(2)
	v_mfma_f32_16x16x16_bf16 a[12:15], v[30:31], v[18:19], a[12:15]
	v_ashrrev_i32_e32 v18, 31, v32
	v_mul_lo_u32 v33, v18, s34
	v_mad_u64_u32 v[18:19], s[24:25], v32, s34, 0
	v_mfma_f32_16x16x16_bf16 a[0:3], v[30:31], v[20:21], a[0:3]
	v_mul_lo_u32 v20, v32, s35
	v_add3_u32 v19, v19, v20, v33
	v_add_u32_e32 v20, 1, v32
	v_ashrrev_i32_e32 v21, 31, v20
	s_waitcnt lgkmcnt(1)
	v_mfma_f32_16x16x16_bf16 a[4:7], v[136:137], v[22:23], a[4:7]
	v_mul_lo_u32 v22, v21, s34
	v_mul_lo_u32 v23, v20, s35
	v_mad_u64_u32 v[20:21], s[24:25], v20, s34, 0
	v_add3_u32 v21, v21, v23, v22
	v_add_u32_e32 v22, 2, v32
	v_ashrrev_i32_e32 v23, 31, v22
	v_mul_lo_u32 v30, v23, s34
	v_mul_lo_u32 v31, v22, s35
	v_mad_u64_u32 v[22:23], s[24:25], v22, s34, 0
	v_add3_u32 v23, v23, v31, v30
	v_add_u32_e32 v30, 3, v32
	v_ashrrev_i32_e32 v31, 31, v30
	v_mul_lo_u32 v32, v31, s34
	v_mul_lo_u32 v33, v30, s35
	v_mad_u64_u32 v[30:31], s[24:25], v30, s34, 0
	s_add_u32 s24, s2, s57
	v_lshl_add_u64 v[18:19], v[18:19], 2, s[40:41]
	v_add3_u32 v31, v31, v33, v32
	s_addc_u32 s25, s3, 0
	v_lshl_add_u64 v[20:21], v[20:21], 2, s[40:41]
	global_load_dword v142, v[18:19], off
	v_lshl_add_u64 v[18:19], v[30:31], 2, s[40:41]
	s_lshl_b64 s[24:25], s[24:25], 8
	v_lshl_add_u64 v[22:23], v[22:23], 2, s[40:41]
	global_load_dword v143, v[20:21], off
	global_load_dword v144, v[22:23], off
	;; [unrolled: 1-line block ×3, first 2 shown]
	v_lshl_add_u64 v[18:19], v[68:69], 0, s[24:25]
	v_lshl_add_u64 v[22:23], v[18:19], 0, v[66:67]
	global_load_ushort v146, v[22:23], off offset:256
	global_load_ushort v147, v[22:23], off
	ds_read2st64_b64 v[18:21], v114 offset0:4 offset1:8
	global_load_ushort v148, v[22:23], off offset:768
	global_load_ushort v149, v[22:23], off offset:512
	ds_read2st64_b64 v[30:33], v115 offset0:4 offset1:8
	global_load_ushort v150, v[22:23], off offset:288
	global_load_ushort v151, v[22:23], off offset:32
	;; [unrolled: 1-line block ×4, first 2 shown]
	s_waitcnt lgkmcnt(2)
	v_mfma_f32_16x16x16_bf16 a[8:11], v[136:137], v[26:27], a[8:11]
	global_load_ushort v154, v[22:23], off offset:320
	global_load_ushort v155, v[22:23], off offset:64
	;; [unrolled: 1-line block ×4, first 2 shown]
	s_and_b64 vcc, exec, s[0:1]
	s_waitcnt lgkmcnt(1)
	v_mfma_f32_16x16x16_bf16 a[12:15], v[136:137], v[18:19], a[12:15]
	ds_read_b64 v[18:19], v112 offset:6144
	s_waitcnt lgkmcnt(1)
	v_mfma_f32_16x16x16_bf16 a[0:3], v[136:137], v[30:31], a[0:3]
	v_lshl_add_u64 v[30:31], v[70:71], 0, s[24:25]
	v_lshl_add_u64 v[30:31], v[30:31], 0, v[66:67]
	v_mfma_f32_16x16x16_bf16 a[4:7], v[138:139], v[24:25], a[4:7]
	v_mfma_f32_16x16x16_bf16 a[8:11], v[138:139], v[28:29], a[8:11]
	;; [unrolled: 1-line block ×4, first 2 shown]
	global_load_ushort v138, v[22:23], off offset:352
	global_load_ushort v139, v[22:23], off offset:96
	ds_read_b64 v[20:21], v113 offset:6144
	ds_read_b64 v[24:25], v114 offset:6144
	;; [unrolled: 1-line block ×3, first 2 shown]
	s_load_dword s42, s[42:43], 0x0
	global_load_ushort v158, v[22:23], off offset:864
	global_load_ushort v159, v[22:23], off offset:608
	s_waitcnt lgkmcnt(0)
	v_mfma_f32_16x16x16_bf16 a[4:7], v[140:141], v[18:19], a[4:7]
	s_waitcnt vmcnt(17)
	v_sub_f32_e32 v28, s42, v144
	v_mfma_f32_16x16x16_bf16 a[0:3], v[140:141], v[26:27], a[0:3]
	v_sub_f32_e32 v26, s42, v142
	v_sub_f32_e32 v27, s42, v143
	s_waitcnt vmcnt(16)
	v_sub_f32_e32 v29, s42, v145
	v_mfma_f32_16x16x16_bf16 a[8:11], v[140:141], v[20:21], a[8:11]
	v_exp_f32_e32 v26, v26
	v_exp_f32_e32 v27, v27
	;; [unrolled: 1-line block ×4, first 2 shown]
	v_accvgpr_read_b32 v137, a5
	s_waitcnt vmcnt(15)
	v_lshlrev_b32_e32 v33, 16, v146
	s_waitcnt vmcnt(14)
	v_lshlrev_b32_e32 v32, 16, v147
	v_accvgpr_read_b32 v136, a4
	v_accvgpr_read_b32 v19, a7
	;; [unrolled: 1-line block ×3, first 2 shown]
	v_pk_add_f32 v[32:33], v[32:33], v[136:137] neg_lo:[0,1] neg_hi:[0,1]
	s_waitcnt vmcnt(13)
	v_lshlrev_b32_e32 v137, 16, v148
	s_waitcnt vmcnt(12)
	v_lshlrev_b32_e32 v136, 16, v149
	v_pk_add_f32 v[18:19], v[136:137], v[18:19] neg_lo:[0,1] neg_hi:[0,1]
	global_store_short_d16_hi v[30:31], v32, off
	global_store_short_d16_hi v[30:31], v33, off offset:256
	global_store_short_d16_hi v[30:31], v18, off offset:512
	;; [unrolled: 1-line block ×3, first 2 shown]
	v_pk_mul_f32 v[32:33], v[26:27], v[32:33]
	v_pk_mul_f32 v[18:19], v[28:29], v[18:19]
	v_accvgpr_read_b32 v137, a9
	v_perm_b32 v32, v33, v32, s37
	v_perm_b32 v33, v19, v18, s37
	s_waitcnt vmcnt(15)
	v_lshlrev_b32_e32 v19, 16, v150
	s_waitcnt vmcnt(14)
	v_lshlrev_b32_e32 v18, 16, v151
	v_accvgpr_read_b32 v136, a8
	v_accvgpr_read_b32 v21, a11
	v_mfma_f32_16x16x16_bf16 a[12:15], v[140:141], v[24:25], a[12:15]
	v_accvgpr_read_b32 v20, a10
	v_pk_add_f32 v[18:19], v[18:19], v[136:137] neg_lo:[0,1] neg_hi:[0,1]
	s_waitcnt vmcnt(13)
	v_lshlrev_b32_e32 v137, 16, v152
	s_waitcnt vmcnt(12)
	v_lshlrev_b32_e32 v136, 16, v153
	v_pk_add_f32 v[20:21], v[136:137], v[20:21] neg_lo:[0,1] neg_hi:[0,1]
	global_store_short_d16_hi v[30:31], v18, off offset:32
	global_store_short_d16_hi v[30:31], v19, off offset:288
	;; [unrolled: 1-line block ×4, first 2 shown]
	v_pk_mul_f32 v[18:19], v[26:27], v[18:19]
	v_pk_mul_f32 v[20:21], v[28:29], v[20:21]
	v_accvgpr_read_b32 v23, a15
	v_perm_b32 v21, v21, v20, s37
	v_perm_b32 v20, v19, v18, s37
	ds_write2_b64 v89, v[32:33], v[20:21] offset1:16
	v_accvgpr_read_b32 v21, a13
	s_waitcnt vmcnt(15)
	v_lshlrev_b32_e32 v19, 16, v154
	s_waitcnt vmcnt(14)
	v_lshlrev_b32_e32 v18, 16, v155
	v_accvgpr_read_b32 v20, a12
	v_accvgpr_read_b32 v22, a14
	v_pk_add_f32 v[18:19], v[18:19], v[20:21] neg_lo:[0,1] neg_hi:[0,1]
	s_waitcnt vmcnt(13)
	v_lshlrev_b32_e32 v21, 16, v156
	s_waitcnt vmcnt(12)
	v_lshlrev_b32_e32 v20, 16, v157
	v_pk_add_f32 v[20:21], v[20:21], v[22:23] neg_lo:[0,1] neg_hi:[0,1]
	global_store_short_d16_hi v[30:31], v18, off offset:64
	global_store_short_d16_hi v[30:31], v19, off offset:320
	;; [unrolled: 1-line block ×4, first 2 shown]
	v_pk_mul_f32 v[18:19], v[26:27], v[18:19]
	v_pk_mul_f32 v[20:21], v[28:29], v[20:21]
	v_accvgpr_read_b32 v23, a1
	v_perm_b32 v18, v19, v18, s37
	v_perm_b32 v19, v21, v20, s37
	s_waitcnt vmcnt(15)
	v_lshlrev_b32_e32 v21, 16, v138
	s_waitcnt vmcnt(14)
	v_lshlrev_b32_e32 v20, 16, v139
	v_accvgpr_read_b32 v22, a0
	v_accvgpr_read_b32 v25, a3
	;; [unrolled: 1-line block ×3, first 2 shown]
	v_pk_add_f32 v[20:21], v[20:21], v[22:23] neg_lo:[0,1] neg_hi:[0,1]
	s_waitcnt vmcnt(13)
	v_lshlrev_b32_e32 v23, 16, v158
	s_waitcnt vmcnt(12)
	v_lshlrev_b32_e32 v22, 16, v159
	v_pk_add_f32 v[22:23], v[22:23], v[24:25] neg_lo:[0,1] neg_hi:[0,1]
	global_store_short_d16_hi v[30:31], v20, off offset:96
	global_store_short_d16_hi v[30:31], v21, off offset:352
	;; [unrolled: 1-line block ×4, first 2 shown]
	v_pk_mul_f32 v[20:21], v[26:27], v[20:21]
	v_pk_mul_f32 v[22:23], v[28:29], v[22:23]
	v_mov_b32_e32 v136, 0
	v_perm_b32 v23, v23, v22, s37
	v_perm_b32 v22, v21, v20, s37
	ds_write2_b64 v89, v[18:19], v[22:23] offset0:32 offset1:48
	v_mov_b32_e32 v18, 0
	v_mov_b32_e32 v19, 0
	;; [unrolled: 1-line block ×16, first 2 shown]
	s_cbranch_vccnz .LBB191_14
; %bb.13:                               ;   in Loop: Header=BB191_6 Depth=1
	s_and_b32 s29, s29, 0xffff
	s_mov_b32 s31, s27
	buffer_load_dwordx4 v[30:33], v126, s[28:31], 0 offen
	buffer_load_dwordx4 v[22:25], v126, s[28:31], s56 offen
	;; [unrolled: 1-line block ×4, first 2 shown]
	v_mov_b32_e32 v135, v83
	v_mov_b32_e32 v136, v82
.LBB191_14:                             ;   in Loop: Header=BB191_6 Depth=1
	s_waitcnt lgkmcnt(0)
	s_barrier
	ds_read_b64 v[146:147], v129
	ds_read2_b64 v[138:141], v119 offset1:16
	ds_read_b64 v[162:163], v130
	ds_read_b64 v[164:165], v131
	ds_read_b64 v[166:167], v132
	ds_read2_b64 v[142:145], v119 offset0:32 offset1:48
	s_waitcnt lgkmcnt(4)
	v_mfma_f32_16x16x16_bf16 a[0:3], v[146:147], v[138:139], 0
	ds_read2st64_b64 v[150:153], v121 offset0:4 offset1:8
	ds_read2st64_b64 v[154:157], v122 offset0:4 offset1:8
	;; [unrolled: 1-line block ×3, first 2 shown]
	v_mfma_f32_16x16x16_bf16 a[4:7], v[146:147], v[140:141], 0
	s_add_i32 s24, s50, s64
	s_mul_hi_i32 s25, s24, s17
	s_mul_i32 s24, s24, s17
	s_waitcnt lgkmcnt(3)
	v_mfma_f32_16x16x16_bf16 a[8:11], v[146:147], v[142:143], 0
	s_add_u32 s24, s24, s33
	s_addc_u32 s25, s25, s54
	s_lshl_b64 s[24:25], s[24:25], 15
	v_mfma_f32_16x16x16_bf16 a[12:15], v[146:147], v[144:145], 0
	ds_read2st64_b64 v[146:149], v119 offset0:4 offset1:8
	s_waitcnt lgkmcnt(0)
	v_mfma_f32_16x16x16_bf16 a[0:3], v[162:163], v[146:147], a[0:3]
	v_mfma_f32_16x16x16_bf16 a[4:7], v[162:163], v[150:151], a[4:7]
	;; [unrolled: 1-line block ×8, first 2 shown]
	ds_read_b64 v[162:163], v119 offset:6144
	ds_read_b64 v[164:165], v120 offset:40960
	;; [unrolled: 1-line block ×8, first 2 shown]
	s_waitcnt lgkmcnt(5)
	v_mfma_f32_16x16x16_bf16 a[16:19], v[168:169], v[138:139], 0
	v_mfma_f32_16x16x16_bf16 a[20:23], v[168:169], v[140:141], 0
	ds_read2st64_b64 v[138:141], v116 offset1:8
	v_mfma_f32_16x16x16_bf16 a[24:27], v[168:169], v[142:143], 0
	v_mfma_f32_16x16x16_bf16 a[28:31], v[168:169], v[144:145], 0
	ds_read2st64_b64 v[142:145], v117 offset1:8
	v_mfma_f32_16x16x16_bf16 a[16:19], v[164:165], v[146:147], a[16:19]
	s_waitcnt lgkmcnt(1)
	v_mov_b32_e32 v146, v138
	v_mov_b32_e32 v147, v139
	v_mfma_f32_16x16x16_bf16 a[20:23], v[164:165], v[150:151], a[20:23]
	v_lshl_add_u64 v[150:151], v[72:73], 0, s[24:25]
	v_mfma_f32_16x16x16_bf16 a[24:27], v[164:165], v[154:155], a[24:27]
	v_mfma_f32_16x16x16_bf16 a[28:31], v[164:165], v[158:159], a[28:31]
	;; [unrolled: 1-line block ×3, first 2 shown]
	s_waitcnt lgkmcnt(0)
	v_mov_b32_e32 v148, v142
	v_mov_b32_e32 v149, v143
	;; [unrolled: 1-line block ×3, first 2 shown]
	v_mfma_f32_16x16x16_bf16 a[32:35], v[176:177], v[152:153], a[20:23]
	v_mov_b32_e32 v143, v141
	ds_read2st64_b64 v[138:141], v116 offset0:16 offset1:24
	global_store_dwordx4 v[150:151], v[146:149], off
	v_mfma_f32_16x16x16_bf16 a[24:27], v[176:177], v[156:157], a[24:27]
	ds_read2st64_b64 v[146:149], v117 offset0:16 offset1:24
	v_add_co_u32_e32 v152, vcc, s39, v150
	v_mfma_f32_16x16x16_bf16 a[28:31], v[176:177], v[160:161], a[28:31]
	s_nop 0
	v_addc_co_u32_e32 v153, vcc, 0, v151, vcc
	global_store_dwordx4 v[152:153], v[142:145], off offset:-4096
	v_mfma_f32_16x16x16_bf16 a[0:3], v[166:167], v[162:163], a[0:3]
	s_waitcnt lgkmcnt(1)
	v_mov_b32_e32 v142, v138
	v_add_co_u32_e32 v138, vcc, s62, v150
	v_mfma_f32_16x16x16_bf16 a[4:7], v[166:167], v[170:171], a[4:7]
	v_mov_b32_e32 v143, v139
	v_addc_co_u32_e32 v139, vcc, 0, v151, vcc
	v_mfma_f32_16x16x16_bf16 a[8:11], v[166:167], v[172:173], a[8:11]
	s_waitcnt lgkmcnt(0)
	v_mov_b32_e32 v144, v146
	v_mov_b32_e32 v145, v147
	;; [unrolled: 1-line block ×3, first 2 shown]
	v_mfma_f32_16x16x16_bf16 a[12:15], v[166:167], v[174:175], a[12:15]
	v_mov_b32_e32 v147, v141
	s_and_b64 vcc, exec, s[0:1]
	global_store_dwordx4 v[152:153], v[142:145], off
	v_mfma_f32_16x16x16_bf16 a[20:23], v[178:179], v[162:163], a[16:19]
	global_store_dwordx4 v[138:139], v[146:149], off
	v_mfma_f32_16x16x16_bf16 a[16:19], v[178:179], v[170:171], a[32:35]
	v_mfma_f32_16x16x16_bf16 a[24:27], v[178:179], v[172:173], a[24:27]
	;; [unrolled: 1-line block ×3, first 2 shown]
	s_cbranch_vccnz .LBB191_16
; %bb.15:                               ;   in Loop: Header=BB191_6 Depth=1
	v_lshrrev_b32_e32 v137, 3, v135
	v_and_b32_e32 v137, 6, v137
	v_xor_b32_e32 v136, v137, v136
	v_lshlrev_b32_e32 v136, 2, v136
	v_and_b32_e32 v135, 8, v135
	v_xor_b32_e32 v138, 0x440, v136
	v_cmp_eq_u32_e32 vcc, 0, v135
	s_barrier
	s_nop 0
	v_cndmask_b32_e32 v135, v138, v136, vcc
	v_lshl_or_b32 v135, v137, 10, v135
	s_waitcnt vmcnt(5)
	v_perm_b32 v136, v30, v26, s58
	s_waitcnt vmcnt(4)
	v_perm_b32 v137, v22, v18, s58
	ds_write2st64_b32 v135, v136, v137 offset0:128 offset1:160
	v_xor_b32_e32 v136, 8, v135
	v_perm_b32 v26, v30, v26, s59
	v_perm_b32 v18, v22, v18, s59
	v_add_u32_e32 v22, 0x80, v136
	ds_write2st64_b32 v22, v26, v18 offset0:128 offset1:160
	v_xor_b32_e32 v18, 16, v135
	v_perm_b32 v22, v31, v27, s58
	v_perm_b32 v26, v23, v19, s58
	ds_write2st64_b32 v18, v22, v26 offset0:129 offset1:161
	v_xor_b32_e32 v18, 24, v135
	v_perm_b32 v22, v31, v27, s59
	v_perm_b32 v19, v23, v19, s59
	v_add_u32_e32 v18, 0x80, v18
	ds_write2st64_b32 v18, v22, v19 offset0:129 offset1:161
	v_xor_b32_e32 v18, 32, v135
	v_perm_b32 v19, v32, v28, s58
	;; [unrolled: 9-line block ×3, first 2 shown]
	v_perm_b32 v20, v25, v21, s58
	ds_write2st64_b32 v18, v19, v20 offset0:131 offset1:163
	v_xor_b32_e32 v18, 56, v135
	v_perm_b32 v19, v33, v29, s59
	v_perm_b32 v20, v25, v21, s59
	v_add_u32_e32 v18, 0x80, v18
	ds_write2st64_b32 v18, v19, v20 offset0:131 offset1:163
	ds_write_b64 v134, v[14:15] offset:49152
	v_xor_b32_e32 v14, 8, v134
	ds_write_b64 v14, v[16:17] offset:49152
	ds_write_b64 v134, v[10:11] offset:57344
	;; [unrolled: 1-line block ×4, first 2 shown]
	v_xor_b32_e32 v6, 8, v133
	ds_write_b64 v6, v[8:9] offset:49152
	ds_write_b64 v133, v[2:3] offset:57344
	;; [unrolled: 1-line block ×3, first 2 shown]
.LBB191_16:                             ;   in Loop: Header=BB191_6 Depth=1
	v_exp_f32_e32 v134, s42
	v_accvgpr_read_b32 v5, a3
	v_accvgpr_read_b32 v9, a7
	;; [unrolled: 1-line block ×4, first 2 shown]
	s_waitcnt vmcnt(4)
	v_accvgpr_read_b32 v18, a20
	v_accvgpr_read_b32 v25, a19
	;; [unrolled: 1-line block ×28, first 2 shown]
	s_add_i32 s57, s57, 64
	v_pk_fma_f32 v[62:63], v[134:135], v[62:63], v[2:3] op_sel_hi:[0,1,1]
	v_pk_fma_f32 v[64:65], v[134:135], v[64:65], v[4:5] op_sel_hi:[0,1,1]
	;; [unrolled: 1-line block ×15, first 2 shown]
	s_cmp_eq_u32 s48, s63
	v_pk_fma_f32 v[38:39], v[134:135], v[38:39], v[32:33] op_sel_hi:[0,1,1]
	s_cbranch_scc1 .LBB191_18
; %bb.17:                               ;   in Loop: Header=BB191_6 Depth=1
	s_mov_b32 s64, s63
	s_branch .LBB191_6
.LBB191_18:
	s_lshl_b32 s42, s48, 6
	s_sub_i32 s43, s16, s42
	s_cmp_gt_i32 s43, 0
	s_cbranch_scc0 .LBB191_99
; %bb.19:
	s_ashr_i32 s39, s47, 31
	s_ashr_i32 s2, s42, 31
	s_cmpk_lg_i32 s19, 0x80
	s_cselect_b64 s[30:31], -1, 0
	s_and_b64 vcc, exec, s[30:31]
	s_cbranch_vccz .LBB191_21
; %bb.20:
	s_mul_i32 s1, s47, s16
	s_mul_hi_i32 s0, s47, s16
	s_add_u32 s1, s1, s42
	s_addc_u32 s0, s0, s2
	s_mul_i32 s3, s1, s49
	s_mul_hi_u32 s24, s1, s18
	s_add_i32 s3, s24, s3
	s_mul_i32 s0, s0, s18
	s_add_i32 s3, s3, s0
	s_mul_i32 s1, s1, s18
	s_ashr_i32 s0, s52, 31
	s_add_u32 s40, s1, s52
	s_addc_u32 s41, s3, s0
	s_cbranch_execz .LBB191_22
	s_branch .LBB191_23
.LBB191_21:
                                        ; implicit-def: $sgpr40_sgpr41
.LBB191_22:
	s_mul_hi_i32 s0, s47, s18
	s_mul_i32 s47, s47, s18
	s_ashr_i32 s1, s52, 31
	s_add_u32 s3, s47, s52
	s_addc_u32 s0, s0, s1
	s_mul_i32 s1, s3, s46
	s_mul_hi_u32 s18, s3, s16
	s_add_i32 s1, s18, s1
	s_mul_i32 s0, s0, s16
	s_add_i32 s1, s1, s0
	s_mul_i32 s3, s3, s16
	s_add_u32 s40, s3, s42
	s_addc_u32 s41, s1, s2
.LBB191_23:
	s_add_i32 s3, s50, s48
	s_ashr_i32 s18, s33, 31
	s_add_u32 s0, s45, s33
	s_addc_u32 s1, s51, s18
	s_mul_i32 s24, s0, s46
	s_mul_hi_u32 s25, s0, s16
	s_add_i32 s24, s25, s24
	s_mul_i32 s1, s1, s16
	s_add_i32 s24, s24, s1
	s_mul_i32 s0, s0, s16
	s_add_u32 s0, s0, s42
	v_lshlrev_b32_e32 v6, 6, v80
	v_lshlrev_b32_e32 v24, 2, v74
	s_addc_u32 s1, s24, s2
	s_mov_b32 s2, 0x7060302
	v_or_b32_e32 v9, v6, v24
	v_xor_b32_e32 v7, v80, v24
	v_perm_b32 v3, v65, v64, s2
	v_perm_b32 v2, v63, v62, s2
	v_perm_b32 v5, v61, v60, s2
	v_perm_b32 v4, v59, v58, s2
	v_lshlrev_b32_e32 v9, 1, v9
	v_xor_b32_e32 v8, v81, v24
	ds_write2st64_b64 v9, v[2:3], v[4:5] offset0:32 offset1:48
	v_lshlrev_b32_e32 v7, 1, v7
	v_lshlrev_b32_e32 v9, 8, v74
	v_or_b32_e32 v10, v7, v9
	v_lshlrev_b32_e32 v8, 1, v8
	ds_write_b64 v10, v[2:3]
	v_or_b32_e32 v2, v8, v9
	v_or_b32_e32 v9, 16, v74
	v_lshlrev_b32_e32 v23, 2, v9
	v_or_b32_e32 v10, v6, v23
	ds_write_b64 v2, v[4:5]
	v_perm_b32 v3, v57, v56, s2
	v_perm_b32 v2, v55, v54, s2
	v_perm_b32 v5, v53, v52, s2
	v_perm_b32 v4, v51, v50, s2
	v_lshlrev_b32_e32 v10, 1, v10
	v_lshlrev_b32_e32 v9, 8, v9
	ds_write2st64_b64 v10, v[2:3], v[4:5] offset0:32 offset1:48
	v_or_b32_e32 v10, v7, v9
	ds_write_b64 v10, v[2:3]
	v_or_b32_e32 v2, v8, v9
	v_or_b32_e32 v9, 32, v74
	v_lshlrev_b32_e32 v22, 2, v9
	v_or_b32_e32 v10, v6, v22
	s_lshl_b64 s[28:29], s[0:1], 8
	ds_write_b64 v2, v[4:5]
	v_perm_b32 v3, v49, v48, s2
	v_perm_b32 v2, v47, v46, s2
	;; [unrolled: 1-line block ×4, first 2 shown]
	v_lshlrev_b32_e32 v10, 1, v10
	v_lshlrev_b32_e32 v9, 8, v9
	s_add_u32 s0, s6, s28
	ds_write2st64_b64 v10, v[2:3], v[4:5] offset0:32 offset1:48
	v_or_b32_e32 v10, v7, v9
	s_addc_u32 s1, s7, s29
	ds_write_b64 v10, v[2:3]
	v_or_b32_e32 v2, v8, v9
	v_or_b32_e32 v9, 48, v74
	s_mul_hi_i32 s6, s3, s17
	s_mul_i32 s3, s3, s17
	ds_write_b64 v2, v[4:5]
	v_perm_b32 v3, v35, v34, s2
	v_perm_b32 v2, v41, v40, s2
	;; [unrolled: 1-line block ×4, first 2 shown]
	v_lshlrev_b32_e32 v19, 2, v9
	s_add_u32 s2, s3, s33
	v_or_b32_e32 v6, v6, v19
	s_addc_u32 s3, s6, s18
	v_lshlrev_b32_e32 v6, 1, v6
	s_ashr_i32 s37, s36, 31
	s_lshl_b64 s[2:3], s[2:3], 15
	ds_write2st64_b64 v6, v[2:3], v[4:5] offset0:32 offset1:48
	v_lshlrev_b32_e32 v6, 8, v9
	s_add_u32 s6, s12, s2
	v_or_b32_e32 v7, v7, v6
	s_addc_u32 s7, s13, s3
	s_lshl_b64 s[2:3], s[36:37], 8
	ds_write_b64 v7, v[2:3]
	v_or_b32_e32 v2, v8, v6
	s_add_u32 s2, s6, s2
	v_lshlrev_b32_e32 v3, 1, v74
	ds_write_b64 v2, v[4:5]
	v_lshrrev_b32_e32 v2, 4, v0
	s_addc_u32 s3, s7, s3
	v_or_b32_e32 v4, 1, v3
	v_lshlrev_b32_e32 v10, 4, v74
	v_mov_b32_e32 v11, 0
	v_xor_b32_e32 v3, v2, v3
	v_xor_b32_e32 v6, v4, v2
	v_lshl_add_u64 v[12:13], s[2:3], 0, v[10:11]
	v_lshlrev_b32_e32 v10, 8, v2
	v_lshl_or_b32 v16, v3, 3, v10
	v_lshl_or_b32 v17, v6, 3, v10
	s_waitcnt lgkmcnt(0)
	s_barrier
	ds_read2st64_b64 v[2:5], v16 offset1:8
	ds_read2st64_b64 v[6:9], v17 offset1:8
	v_lshl_add_u64 v[14:15], v[12:13], 0, v[10:11]
	s_movk_i32 s2, 0x2000
	s_cmp_lg_u32 s43, 64
	s_waitcnt lgkmcnt(1)
	v_mov_b32_e32 v10, v2
	v_mov_b32_e32 v11, v3
	s_waitcnt lgkmcnt(0)
	v_mov_b32_e32 v12, v6
	v_mov_b32_e32 v13, v7
	global_store_dwordx4 v[14:15], v[10:13], off
	v_mov_b32_e32 v6, v4
	v_mov_b32_e32 v7, v5
	ds_read2st64_b64 v[2:5], v16 offset0:16 offset1:24
	ds_read2st64_b64 v[10:13], v17 offset0:16 offset1:24
	v_add_co_u32_e32 v16, vcc, s2, v14
	s_cselect_b64 s[6:7], -1, 0
	s_nop 0
	v_addc_co_u32_e32 v17, vcc, 0, v15, vcc
	global_store_dwordx4 v[16:17], v[6:9], off offset:-4096
	v_lshl_or_b32 v25, v76, 3, v79
	s_mov_b32 s24, 0
	s_waitcnt lgkmcnt(1)
	v_mov_b32_e32 v6, v2
	v_add_co_u32_e32 v2, vcc, 0x3000, v14
	v_mov_b32_e32 v7, v3
	s_nop 0
	v_addc_co_u32_e32 v3, vcc, 0, v15, vcc
	s_waitcnt lgkmcnt(0)
	v_mov_b32_e32 v8, v10
	v_mov_b32_e32 v9, v11
	;; [unrolled: 1-line block ×4, first 2 shown]
	v_or_b32_e32 v20, 32, v25
	v_and_b32_e32 v18, 56, v78
	s_and_b64 vcc, exec, s[6:7]
	global_store_dwordx4 v[16:17], v[6:9], off
	global_store_dwordx4 v[2:3], v[10:13], off
	s_cbranch_vccz .LBB191_29
; %bb.24:
	s_mov_b32 s25, s24
	s_mov_b32 s26, s24
	s_mov_b32 s27, s24
	v_mov_b64_e32 v[6:7], s[24:25]
	v_mov_b64_e32 v[8:9], s[26:27]
	;; [unrolled: 1-line block ×3, first 2 shown]
	v_cmp_gt_i32_e32 vcc, s43, v25
	v_mov_b64_e32 v[4:5], v[8:9]
	s_and_saveexec_b64 s[2:3], vcc
	s_cbranch_execz .LBB191_26
; %bb.25:
	v_lshlrev_b32_e32 v2, 8, v25
	v_mov_b32_e32 v3, 0
	v_lshl_add_u64 v[4:5], s[0:1], 0, v[2:3]
	v_lshlrev_b32_e32 v2, 1, v18
	v_lshl_add_u64 v[10:11], v[4:5], 0, v[2:3]
	global_load_dwordx4 v[6:9], v[10:11], off
	global_load_dwordx4 v[2:5], v[10:11], off offset:128
.LBB191_26:
	s_or_b64 exec, exec, s[2:3]
	s_mov_b32 s25, s24
	s_mov_b32 s26, s24
	;; [unrolled: 1-line block ×3, first 2 shown]
	v_mov_b64_e32 v[14:15], s[24:25]
	v_mov_b64_e32 v[16:17], s[26:27]
	;; [unrolled: 1-line block ×3, first 2 shown]
	v_cmp_gt_i32_e32 vcc, s43, v20
	v_lshlrev_b32_e32 v21, 7, v20
	v_mov_b64_e32 v[12:13], v[16:17]
	s_and_saveexec_b64 s[2:3], vcc
	s_cbranch_execz .LBB191_28
; %bb.27:
	v_lshlrev_b32_e32 v10, 1, v21
	v_mov_b32_e32 v11, 0
	v_lshl_add_u64 v[12:13], s[0:1], 0, v[10:11]
	v_lshlrev_b32_e32 v10, 1, v18
	v_lshl_add_u64 v[26:27], v[12:13], 0, v[10:11]
	global_load_dwordx4 v[14:17], v[26:27], off
	global_load_dwordx4 v[10:13], v[26:27], off offset:128
.LBB191_28:
	s_or_b64 exec, exec, s[2:3]
	v_lshrrev_b32_e32 v26, 3, v18
	v_lshlrev_b32_e32 v27, 3, v25
	v_or_b32_e32 v26, v27, v26
	v_lshlrev_b32_e32 v26, 4, v26
	v_and_b32_e32 v27, 0x78, v27
	v_xor_b32_e32 v26, v26, v27
	s_branch .LBB191_31
.LBB191_29:
                                        ; implicit-def: $vgpr26
                                        ; implicit-def: $vgpr21
                                        ; implicit-def: $vgpr6_vgpr7_vgpr8_vgpr9
                                        ; implicit-def: $vgpr2_vgpr3_vgpr4_vgpr5
                                        ; implicit-def: $vgpr14_vgpr15_vgpr16_vgpr17
                                        ; implicit-def: $vgpr10_vgpr11_vgpr12_vgpr13
	s_cbranch_execz .LBB191_31
; %bb.30:
	s_waitcnt vmcnt(0)
	v_lshlrev_b32_e32 v2, 1, v18
	v_lshl_or_b32 v21, v25, 8, v2
	s_and_b32 s1, s1, 0xffff
	s_mov_b32 s3, 0x20000
	s_movk_i32 s2, 0x4000
	v_lshl_or_b32 v26, v20, 8, v2
	s_movk_i32 s12, 0x80
	buffer_load_dwordx4 v[6:9], v21, s[0:3], 0 offen
	buffer_load_dwordx4 v[2:5], v21, s[0:3], s12 offen
	;; [unrolled: 1-line block ×4, first 2 shown]
	v_lshrrev_b32_e32 v21, 3, v18
	v_lshlrev_b32_e32 v26, 3, v25
	v_or_b32_e32 v21, v26, v21
	v_lshlrev_b32_e32 v21, 4, v21
	v_and_b32_e32 v26, 0x78, v26
	v_xor_b32_e32 v26, v21, v26
	v_lshlrev_b32_e32 v21, 7, v20
.LBB191_31:
	s_movk_i32 s0, 0x1000
	v_and_or_b32 v20, v21, s0, v26
	s_waitcnt vmcnt(1)
	ds_write_b64 v26, v[6:7] offset:49152
	v_xor_b32_e32 v6, 8, v26
	ds_write_b64 v6, v[8:9] offset:49152
	s_waitcnt vmcnt(0)
	ds_write_b64 v26, v[2:3] offset:57344
	ds_write_b64 v6, v[4:5] offset:57344
	;; [unrolled: 1-line block ×3, first 2 shown]
	v_xor_b32_e32 v2, 8, v20
	ds_write_b64 v2, v[16:17] offset:49152
	ds_write_b64 v20, v[10:11] offset:57344
	ds_write_b64 v2, v[12:13] offset:57344
	v_or_b32_e32 v2, v1, v74
	v_lshlrev_b32_e32 v3, 11, v76
	v_lshlrev_b32_e32 v2, 3, v2
	v_and_b32_e32 v6, 0x1000, v3
	v_lshrrev_b32_e32 v3, 5, v75
	s_movk_i32 s0, 0xf8
	v_and_or_b32 v3, v2, s0, v3
	v_lshlrev_b32_e32 v7, 4, v3
	v_and_b32_e32 v8, 0x78, v2
	v_or_b32_e32 v10, 32, v7
	v_lshrrev_b32_e32 v3, 1, v75
	v_xor_b32_e32 v10, v10, v8
	v_xor_b32_e32 v2, v7, v8
	v_and_b32_e32 v9, 8, v3
	v_or_b32_e32 v10, v10, v6
	v_or_b32_e32 v2, v2, v6
	v_xor_b32_e32 v28, v10, v9
	v_or_b32_e32 v10, 64, v7
	v_xor_b32_e32 v27, v2, v9
	v_xor_b32_e32 v10, v10, v8
	s_waitcnt lgkmcnt(0)
	s_barrier
	v_or_b32_e32 v13, v10, v6
	ds_read_b64 v[10:11], v27 offset:49152
	v_lshl_or_b32 v14, v77, 8, v24
	v_lshlrev_b32_e32 v26, 1, v14
	v_add_u32_e32 v12, 0x4000, v26
	ds_read2_b64 v[2:5], v12 offset1:16
	v_or_b32_e32 v7, 0x60, v7
	v_xor_b32_e32 v7, v7, v8
	v_or_b32_e32 v6, v7, v6
	v_xor_b32_e32 v29, v13, v9
	v_xor_b32_e32 v30, v6, v9
	ds_read_b64 v[20:21], v28 offset:49152
	ds_read_b64 v[34:35], v29 offset:49152
	;; [unrolled: 1-line block ×3, first 2 shown]
	s_waitcnt lgkmcnt(3)
	v_mfma_f32_16x16x16_bf16 a[0:3], v[10:11], v[2:3], 0
	ds_read2_b64 v[6:9], v12 offset0:32 offset1:48
	s_lshl_b64 s[0:1], s[40:41], 8
	s_add_u32 s4, s4, s0
	v_mfma_f32_16x16x16_bf16 a[4:7], v[10:11], v[4:5], 0
	ds_read2st64_b64 v[2:5], v26 offset0:36 offset1:40
	s_addc_u32 s5, s5, s1
	s_add_i32 s2, s16, -1
	s_waitcnt lgkmcnt(1)
	v_mfma_f32_16x16x16_bf16 a[8:11], v[10:11], v[6:7], 0
	v_or_b32_e32 v6, 64, v14
	v_lshlrev_b32_e32 v31, 1, v6
	s_add_i32 s0, s44, s21
	s_waitcnt lgkmcnt(0)
	v_mfma_f32_16x16x16_bf16 a[0:3], v[20:21], v[2:3], a[0:3]
	v_or_b32_e32 v2, 0x80, v14
	v_lshlrev_b32_e32 v32, 1, v2
	v_or_b32_e32 v2, 0xc0, v14
	v_mfma_f32_16x16x16_bf16 a[12:15], v[10:11], v[8:9], 0
	ds_read2st64_b64 v[6:9], v31 offset0:36 offset1:40
	v_lshlrev_b32_e32 v33, 1, v2
	ds_read2st64_b64 v[10:13], v32 offset0:36 offset1:40
	ds_read2st64_b64 v[14:17], v33 offset0:36 offset1:40
	s_mul_i32 s39, s39, s20
	s_add_i32 s39, s0, s39
	s_mul_i32 s0, s33, s23
	s_mul_hi_u32 s1, s33, s22
	s_ashr_i32 s3, s2, 31
	s_mul_i32 s12, s2, s35
	s_mul_hi_u32 s13, s2, s34
	s_waitcnt lgkmcnt(2)
	v_mfma_f32_16x16x16_bf16 a[4:7], v[20:21], v[6:7], a[4:7]
	s_add_i32 s0, s1, s0
	s_mul_i32 s1, s18, s22
	s_add_i32 s12, s13, s12
	s_mul_i32 s3, s3, s34
	s_waitcnt lgkmcnt(1)
	v_mfma_f32_16x16x16_bf16 a[8:11], v[20:21], v[10:11], a[8:11]
	s_add_i32 s1, s0, s1
	s_add_i32 s3, s12, s3
	s_lshl_b64 s[12:13], s[38:39], 2
	s_waitcnt lgkmcnt(0)
	v_mfma_f32_16x16x16_bf16 a[12:15], v[20:21], v[14:15], a[12:15]
	s_mul_i32 s0, s33, s22
	s_add_u32 s10, s10, s12
	s_addc_u32 s11, s11, s13
	s_lshl_b64 s[0:1], s[0:1], 2
	v_mfma_f32_16x16x16_bf16 a[0:3], v[34:35], v[4:5], a[0:3]
	s_mul_i32 s2, s2, s34
	ds_read_b64 v[2:3], v26 offset:22528
	s_add_u32 s10, s10, s0
	v_mfma_f32_16x16x16_bf16 a[4:7], v[34:35], v[8:9], a[4:7]
	ds_read_b64 v[4:5], v31 offset:22528
	ds_read_b64 v[6:7], v32 offset:22528
	;; [unrolled: 1-line block ×3, first 2 shown]
	s_addc_u32 s11, s11, s1
	s_lshl_b64 s[0:1], s[2:3], 2
	v_mfma_f32_16x16x16_bf16 a[8:11], v[34:35], v[12:13], a[8:11]
	s_add_u32 s0, s10, s0
	s_addc_u32 s1, s11, s1
	s_load_dword s12, s[0:1], 0x0
	v_mfma_f32_16x16x16_bf16 a[12:15], v[34:35], v[16:17], a[12:15]
	s_and_b64 vcc, exec, s[30:31]
	s_waitcnt lgkmcnt(0)
	v_mfma_f32_16x16x16_bf16 a[0:3], v[36:37], v[2:3], a[0:3]
	v_mfma_f32_16x16x16_bf16 a[4:7], v[36:37], v[4:5], a[4:7]
	;; [unrolled: 1-line block ×4, first 2 shown]
	s_cbranch_vccz .LBB191_42
; %bb.32:
	v_lshlrev_b32_e32 v20, 1, v25
	s_and_b64 vcc, exec, s[6:7]
	s_cbranch_vccz .LBB191_43
; %bb.33:
	v_cmp_gt_i32_e32 vcc, s43, v20
	v_mov_b32_e32 v6, 0
	v_mov_b32_e32 v2, 0
	;; [unrolled: 1-line block ×5, first 2 shown]
	s_and_saveexec_b64 s[0:1], vcc
	s_cbranch_execz .LBB191_35
; %bb.34:
	v_mad_i64_i32 v[2:3], s[2:3], s19, v20, 0
	v_lshl_add_u64 v[2:3], v[2:3], 1, s[4:5]
	v_lshlrev_b32_e32 v4, 1, v18
	v_mov_b32_e32 v5, 0
	v_lshl_add_u64 v[2:3], v[2:3], 0, v[4:5]
	global_load_dwordx4 v[2:5], v[2:3], off
.LBB191_35:
	s_or_b64 exec, exec, s[0:1]
	v_or_b32_e32 v21, 1, v20
	v_cmp_gt_i32_e64 s[0:1], s43, v21
	v_mov_b32_e32 v7, 0
	v_mov_b32_e32 v8, 0
	;; [unrolled: 1-line block ×3, first 2 shown]
	s_and_saveexec_b64 s[2:3], s[0:1]
	s_cbranch_execz .LBB191_37
; %bb.36:
	v_mad_i64_i32 v[6:7], s[16:17], s19, v21, 0
	v_lshl_add_u64 v[6:7], v[6:7], 1, s[4:5]
	v_lshlrev_b32_e32 v8, 1, v18
	v_mov_b32_e32 v9, 0
	v_lshl_add_u64 v[6:7], v[6:7], 0, v[8:9]
	global_load_dwordx4 v[6:9], v[6:7], off
.LBB191_37:
	s_or_b64 exec, exec, s[2:3]
	v_mov_b32_e32 v17, 0
	v_mov_b32_e32 v10, 0
	;; [unrolled: 1-line block ×5, first 2 shown]
	s_and_saveexec_b64 s[2:3], vcc
	s_cbranch_execz .LBB191_39
; %bb.38:
	v_mad_i64_i32 v[10:11], s[16:17], s19, v20, 0
	v_lshl_add_u64 v[10:11], v[10:11], 1, s[4:5]
	v_lshlrev_b32_e32 v12, 1, v18
	v_mov_b32_e32 v13, 0
	v_lshl_add_u64 v[10:11], v[10:11], 0, v[12:13]
	global_load_dwordx4 v[10:13], v[10:11], off offset:128
.LBB191_39:
	s_or_b64 exec, exec, s[2:3]
	v_mov_b32_e32 v16, 0
	v_mov_b32_e32 v15, 0
	;; [unrolled: 1-line block ×3, first 2 shown]
	s_and_saveexec_b64 s[2:3], s[0:1]
	s_cbranch_execz .LBB191_41
; %bb.40:
	v_mad_i64_i32 v[14:15], s[0:1], s19, v21, 0
	v_lshl_add_u64 v[14:15], v[14:15], 1, s[4:5]
	v_lshlrev_b32_e32 v16, 1, v18
	v_mov_b32_e32 v17, 0
	v_lshl_add_u64 v[14:15], v[14:15], 0, v[16:17]
	global_load_dwordx4 v[14:17], v[14:15], off offset:128
.LBB191_41:
	s_or_b64 exec, exec, s[2:3]
	s_branch .LBB191_45
.LBB191_42:
                                        ; implicit-def: $vgpr5
                                        ; implicit-def: $vgpr9
                                        ; implicit-def: $vgpr13
                                        ; implicit-def: $vgpr17
	v_lshrrev_b32_e32 v34, 2, v75
	s_branch .LBB191_46
.LBB191_43:
                                        ; implicit-def: $vgpr5
                                        ; implicit-def: $vgpr9
                                        ; implicit-def: $vgpr13
                                        ; implicit-def: $vgpr17
	s_cbranch_execz .LBB191_45
; %bb.44:
	s_waitcnt vmcnt(0)
	v_mad_u64_u32 v[2:3], s[0:1], v20, s19, v[18:19]
	v_lshlrev_b32_e32 v20, 1, v2
	s_lshl_b32 s2, s19, 7
	s_and_b32 s1, s5, 0xffff
	s_mov_b32 s3, 0x20000
	s_mov_b32 s0, s4
	v_add_lshl_u32 v21, v2, s19, 1
	s_movk_i32 s13, 0x80
	buffer_load_dwordx4 v[2:5], v20, s[0:3], 0 offen
	buffer_load_dwordx4 v[10:13], v20, s[0:3], s13 offen
	;; [unrolled: 1-line block ×4, first 2 shown]
.LBB191_45:
	v_lshrrev_b32_e32 v34, 2, v75
	s_cbranch_execnz .LBB191_58
.LBB191_46:
	s_and_b64 vcc, exec, s[6:7]
	s_cbranch_vccz .LBB191_56
; %bb.47:
	s_waitcnt vmcnt(0)
	v_lshlrev_b32_e32 v7, 1, v25
	v_cmp_gt_i32_e32 vcc, s43, v7
	v_mov_b32_e32 v6, 0
	v_lshlrev_b32_e32 v14, 9, v25
	v_mov_b32_e32 v2, 0
	v_mov_b32_e32 v3, 0
	;; [unrolled: 1-line block ×4, first 2 shown]
	s_and_saveexec_b64 s[0:1], vcc
	s_cbranch_execz .LBB191_49
; %bb.48:
	v_mov_b32_e32 v15, 0
	v_lshl_add_u64 v[2:3], s[4:5], 0, v[14:15]
	v_lshlrev_b32_e32 v4, 1, v18
	v_mov_b32_e32 v5, v15
	v_lshl_add_u64 v[2:3], v[2:3], 0, v[4:5]
	global_load_dwordx4 v[2:5], v[2:3], off
.LBB191_49:
	s_or_b64 exec, exec, s[0:1]
	v_or_b32_e32 v7, 1, v7
	v_cmp_gt_i32_e64 s[0:1], s43, v7
	v_lshlrev_b32_e32 v20, 8, v7
	v_mov_b32_e32 v7, 0
	v_mov_b32_e32 v8, 0
	;; [unrolled: 1-line block ×3, first 2 shown]
	s_and_saveexec_b64 s[2:3], s[0:1]
	s_cbranch_execz .LBB191_51
; %bb.50:
	v_mov_b32_e32 v21, 0
	v_lshl_add_u64 v[6:7], s[4:5], 0, v[20:21]
	v_lshlrev_b32_e32 v8, 1, v18
	v_mov_b32_e32 v9, v21
	v_lshl_add_u64 v[6:7], v[6:7], 0, v[8:9]
	global_load_dwordx4 v[6:9], v[6:7], off
.LBB191_51:
	s_or_b64 exec, exec, s[2:3]
	v_mov_b32_e32 v17, 0
	v_mov_b32_e32 v10, 0
	;; [unrolled: 1-line block ×5, first 2 shown]
	s_and_saveexec_b64 s[2:3], vcc
	s_cbranch_execz .LBB191_53
; %bb.52:
	v_mov_b32_e32 v15, 0
	v_lshl_add_u64 v[10:11], s[4:5], 0, v[14:15]
	v_lshlrev_b32_e32 v14, 1, v18
	v_lshl_add_u64 v[10:11], v[10:11], 0, v[14:15]
	global_load_dwordx4 v[10:13], v[10:11], off offset:128
.LBB191_53:
	s_or_b64 exec, exec, s[2:3]
	v_mov_b32_e32 v16, 0
	v_mov_b32_e32 v15, 0
	;; [unrolled: 1-line block ×3, first 2 shown]
	s_and_saveexec_b64 s[2:3], s[0:1]
	s_cbranch_execz .LBB191_55
; %bb.54:
	v_mov_b32_e32 v21, 0
	v_lshl_add_u64 v[14:15], s[4:5], 0, v[20:21]
	v_lshlrev_b32_e32 v20, 1, v18
	v_lshl_add_u64 v[14:15], v[14:15], 0, v[20:21]
	global_load_dwordx4 v[14:17], v[14:15], off offset:128
.LBB191_55:
	s_or_b64 exec, exec, s[2:3]
	s_branch .LBB191_58
.LBB191_56:
                                        ; implicit-def: $vgpr5
                                        ; implicit-def: $vgpr9
                                        ; implicit-def: $vgpr13
                                        ; implicit-def: $vgpr17
	s_cbranch_execz .LBB191_58
; %bb.57:
	s_waitcnt vmcnt(0)
	v_lshlrev_b32_e32 v2, 1, v18
	v_lshl_or_b32 v18, v25, 9, v2
	s_and_b32 s5, s5, 0xffff
	s_mov_b32 s7, 0x20000
	s_movk_i32 s6, 0x4000
	s_movk_i32 s0, 0x80
	buffer_load_dwordx4 v[2:5], v18, s[4:7], 0 offen
	buffer_load_dwordx4 v[6:9], v18, s[4:7], 0 offen offset:256
	buffer_load_dwordx4 v[10:13], v18, s[4:7], s0 offen
	buffer_load_dwordx4 v[14:17], v18, s[4:7], s0 offen offset:256
.LBB191_58:
	ds_read_b64 v[20:21], v27 offset:57344
	v_add_u32_e32 v18, 0x6000, v26
	ds_read2_b64 v[36:39], v18 offset1:16
	ds_read_b64 v[52:53], v28 offset:57344
	ds_read_b64 v[28:29], v29 offset:57344
	;; [unrolled: 1-line block ×3, first 2 shown]
	ds_read2st64_b64 v[40:43], v26 offset0:52 offset1:56
	s_mov_b32 s0, 0x1000504
	s_mov_b32 s1, 0x3020706
	s_waitcnt lgkmcnt(4)
	v_mfma_f32_16x16x16_bf16 a[0:3], v[20:21], v[36:37], a[0:3]
	v_mfma_f32_16x16x16_bf16 a[4:7], v[20:21], v[38:39], a[4:7]
	ds_read2_b64 v[36:39], v18 offset0:32 offset1:48
	v_and_b32_e32 v18, 6, v0
	v_xor_b32_e32 v25, v25, v18
	s_waitcnt lgkmcnt(0)
	v_mfma_f32_16x16x16_bf16 a[8:11], v[20:21], v[36:37], a[8:11]
	v_lshlrev_b32_e32 v25, 2, v25
	v_and_b32_e32 v0, 1, v0
	v_xor_b32_e32 v35, 0x440, v25
	v_mfma_f32_16x16x16_bf16 a[12:15], v[20:21], v[38:39], a[12:15]
	ds_read2st64_b64 v[36:39], v31 offset0:52 offset1:56
	ds_read2st64_b64 v[44:47], v32 offset0:52 offset1:56
	;; [unrolled: 1-line block ×3, first 2 shown]
	v_cmp_eq_u32_e32 vcc, 0, v0
	ds_read_b64 v[20:21], v26 offset:30720
	ds_read_b64 v[26:27], v31 offset:30720
	;; [unrolled: 1-line block ×4, first 2 shown]
	v_mfma_f32_16x16x16_bf16 a[0:3], v[52:53], v[40:41], a[0:3]
	v_cndmask_b32_e32 v0, v35, v25, vcc
	v_lshl_or_b32 v0, v18, 10, v0
	s_waitcnt vmcnt(0)
	v_perm_b32 v18, v2, v6, s0
	s_waitcnt lgkmcnt(6)
	v_mfma_f32_16x16x16_bf16 a[4:7], v[52:53], v[36:37], a[4:7]
	v_perm_b32 v25, v10, v14, s0
	ds_write2st64_b32 v0, v18, v25 offset0:128 offset1:160
	v_xor_b32_e32 v18, 8, v0
	s_waitcnt lgkmcnt(6)
	v_mfma_f32_16x16x16_bf16 a[8:11], v[52:53], v[44:45], a[8:11]
	v_perm_b32 v2, v2, v6, s1
	v_perm_b32 v6, v10, v14, s1
	v_add_u32_e32 v10, 0x80, v18
	s_waitcnt lgkmcnt(5)
	v_mfma_f32_16x16x16_bf16 a[12:15], v[52:53], v[48:49], a[12:15]
	ds_write2st64_b32 v10, v2, v6 offset0:128 offset1:160
	v_xor_b32_e32 v2, 16, v0
	v_perm_b32 v6, v3, v7, s0
	v_mfma_f32_16x16x16_bf16 a[0:3], v[28:29], v[42:43], a[0:3]
	v_perm_b32 v10, v11, v15, s0
	ds_write2st64_b32 v2, v6, v10 offset0:129 offset1:161
	v_xor_b32_e32 v2, 24, v0
	v_mfma_f32_16x16x16_bf16 a[4:7], v[28:29], v[38:39], a[4:7]
	v_perm_b32 v3, v3, v7, s1
	v_perm_b32 v6, v11, v15, s1
	v_add_u32_e32 v2, 0x80, v2
	v_mfma_f32_16x16x16_bf16 a[16:19], v[28:29], v[46:47], a[8:11]
	ds_write2st64_b32 v2, v3, v6 offset0:129 offset1:161
	v_xor_b32_e32 v2, 32, v0
	v_perm_b32 v3, v4, v8, s0
	v_mfma_f32_16x16x16_bf16 a[20:23], v[28:29], v[50:51], a[12:15]
	v_perm_b32 v6, v12, v16, s0
	ds_write2st64_b32 v2, v3, v6 offset0:130 offset1:162
	v_xor_b32_e32 v2, 40, v0
	s_waitcnt lgkmcnt(8)
	v_mfma_f32_16x16x16_bf16 a[12:15], v[54:55], v[20:21], a[0:3]
	v_perm_b32 v3, v4, v8, s1
	v_perm_b32 v4, v12, v16, s1
	v_add_u32_e32 v2, 0x80, v2
	s_waitcnt lgkmcnt(7)
	v_mfma_f32_16x16x16_bf16 a[8:11], v[54:55], v[26:27], a[4:7]
	ds_write2st64_b32 v2, v3, v4 offset0:130 offset1:162
	v_xor_b32_e32 v2, 48, v0
	v_perm_b32 v3, v5, v9, s0
	s_waitcnt lgkmcnt(7)
	v_mfma_f32_16x16x16_bf16 a[4:7], v[54:55], v[30:31], a[16:19]
	v_perm_b32 v4, v13, v17, s0
	v_xor_b32_e32 v0, 56, v0
	v_and_or_b32 v21, v34, 12, v1
	s_waitcnt lgkmcnt(6)
	v_mfma_f32_16x16x16_bf16 a[0:3], v[54:55], v[32:33], a[20:23]
	ds_write2st64_b32 v2, v3, v4 offset0:131 offset1:163
	v_perm_b32 v2, v5, v9, s1
	v_perm_b32 v3, v13, v17, s1
	v_add_u32_e32 v0, 0x80, v0
	v_cmp_gt_i32_e32 vcc, s43, v21
	v_mov_b32_e32 v16, 0
	v_mov_b32_e32 v18, 0
	ds_write2st64_b32 v0, v2, v3 offset0:131 offset1:163
	s_and_saveexec_b64 s[0:1], vcc
	s_cbranch_execz .LBB191_60
; %bb.59:
	v_add_u32_e32 v0, s42, v21
	v_ashrrev_i32_e32 v1, 31, v0
	v_mul_lo_u32 v2, v1, s34
	v_mul_lo_u32 v3, v0, s35
	v_mad_u64_u32 v[0:1], s[2:3], v0, s34, 0
	v_add3_u32 v1, v1, v3, v2
	v_lshl_add_u64 v[0:1], v[0:1], 2, s[10:11]
	global_load_dword v0, v[0:1], off
	s_waitcnt vmcnt(0)
	v_sub_f32_e32 v0, s12, v0
	v_exp_f32_e32 v18, v0
.LBB191_60:
	s_or_b64 exec, exec, s[0:1]
	v_or_b32_e32 v10, 1, v21
	v_cmp_gt_i32_e64 s[2:3], s43, v10
	s_and_saveexec_b64 s[0:1], s[2:3]
	s_cbranch_execz .LBB191_62
; %bb.61:
	v_add_u32_e32 v0, s42, v10
	v_ashrrev_i32_e32 v1, 31, v0
	v_mul_lo_u32 v2, v1, s34
	v_mul_lo_u32 v3, v0, s35
	v_mad_u64_u32 v[0:1], s[4:5], v0, s34, 0
	v_add3_u32 v1, v1, v3, v2
	v_lshl_add_u64 v[0:1], v[0:1], 2, s[10:11]
	global_load_dword v0, v[0:1], off
	s_waitcnt vmcnt(0)
	v_sub_f32_e32 v0, s12, v0
	v_exp_f32_e32 v16, v0
.LBB191_62:
	s_or_b64 exec, exec, s[0:1]
	v_or_b32_e32 v12, 2, v21
	v_cmp_gt_i32_e64 s[0:1], s43, v12
	v_mov_b32_e32 v17, 0
	v_mov_b32_e32 v20, 0
	s_and_saveexec_b64 s[4:5], s[0:1]
	s_cbranch_execz .LBB191_64
; %bb.63:
	v_add_u32_e32 v0, s42, v12
	v_ashrrev_i32_e32 v1, 31, v0
	v_mul_lo_u32 v2, v1, s34
	v_mul_lo_u32 v3, v0, s35
	v_mad_u64_u32 v[0:1], s[6:7], v0, s34, 0
	v_add3_u32 v1, v1, v3, v2
	v_lshl_add_u64 v[0:1], v[0:1], 2, s[10:11]
	global_load_dword v0, v[0:1], off
	s_waitcnt vmcnt(0)
	v_sub_f32_e32 v0, s12, v0
	v_exp_f32_e32 v20, v0
.LBB191_64:
	s_or_b64 exec, exec, s[4:5]
	v_or_b32_e32 v14, 3, v21
	v_cmp_gt_i32_e64 s[4:5], s43, v14
	s_and_saveexec_b64 s[6:7], s[4:5]
	s_cbranch_execz .LBB191_66
; %bb.65:
	v_add_u32_e32 v0, s42, v14
	v_ashrrev_i32_e32 v1, 31, v0
	v_mul_lo_u32 v2, v1, s34
	v_mul_lo_u32 v3, v0, s35
	v_mad_u64_u32 v[0:1], s[16:17], v0, s34, 0
	v_add3_u32 v1, v1, v3, v2
	v_lshl_add_u64 v[0:1], v[0:1], 2, s[10:11]
	global_load_dword v0, v[0:1], off
	s_waitcnt vmcnt(0)
	v_sub_f32_e32 v0, s12, v0
	v_exp_f32_e32 v17, v0
.LBB191_66:
	s_or_b64 exec, exec, s[6:7]
	s_add_u32 s6, s8, s28
	v_or_b32_e32 v4, s36, v74
	s_addc_u32 s7, s9, s29
	s_add_u32 s8, s14, s28
	v_ashrrev_i32_e32 v5, 31, v4
	v_accvgpr_read_b32 v0, a12
	s_addc_u32 s9, s15, s29
	v_lshlrev_b64 v[4:5], 1, v[4:5]
	v_accvgpr_read_b32 v1, a13
	v_accvgpr_read_b32 v2, a14
	;; [unrolled: 1-line block ×3, first 2 shown]
	v_lshl_add_u64 v[6:7], s[6:7], 0, v[4:5]
	v_lshl_add_u64 v[4:5], s[8:9], 0, v[4:5]
	v_mov_b32_e32 v11, 0
	v_lshlrev_b32_e32 v8, 8, v21
	v_mov_b32_e32 v9, 0
	s_and_saveexec_b64 s[6:7], vcc
	s_cbranch_execz .LBB191_68
; %bb.67:
	v_mov_b32_e32 v9, 0
	v_lshl_add_u64 v[26:27], v[6:7], 0, v[8:9]
	global_load_ushort v13, v[26:27], off
	v_lshl_add_u64 v[26:27], v[4:5], 0, v[8:9]
	s_waitcnt vmcnt(0)
	v_lshlrev_b32_e32 v9, 16, v13
	v_sub_f32_e32 v0, v9, v0
	global_store_short_d16_hi v[26:27], v0, off
	v_mul_f32_e32 v0, v18, v0
	v_lshrrev_b32_e32 v9, 16, v0
.LBB191_68:
	s_or_b64 exec, exec, s[6:7]
	v_lshlrev_b32_e32 v10, 8, v10
	s_and_saveexec_b64 s[6:7], s[2:3]
	s_cbranch_execz .LBB191_70
; %bb.69:
	v_mov_b32_e32 v11, 0
	v_lshl_add_u64 v[26:27], v[6:7], 0, v[10:11]
	global_load_ushort v0, v[26:27], off
	v_lshl_add_u64 v[26:27], v[4:5], 0, v[10:11]
	s_waitcnt vmcnt(0)
	v_lshlrev_b32_e32 v0, 16, v0
	v_sub_f32_e32 v0, v0, v1
	global_store_short_d16_hi v[26:27], v0, off
	v_mul_f32_e32 v0, v16, v0
	v_lshrrev_b32_e32 v11, 16, v0
.LBB191_70:
	s_or_b64 exec, exec, s[6:7]
	v_mov_b32_e32 v15, 0
	v_lshlrev_b32_e32 v12, 8, v12
	v_mov_b32_e32 v13, 0
	s_and_saveexec_b64 s[6:7], s[0:1]
	s_cbranch_execz .LBB191_72
; %bb.71:
	v_mov_b32_e32 v13, 0
	v_lshl_add_u64 v[0:1], v[6:7], 0, v[12:13]
	global_load_ushort v25, v[0:1], off
	v_lshl_add_u64 v[0:1], v[4:5], 0, v[12:13]
	s_waitcnt vmcnt(0)
	v_lshlrev_b32_e32 v13, 16, v25
	v_sub_f32_e32 v2, v13, v2
	global_store_short_d16_hi v[0:1], v2, off
	v_mul_f32_e32 v0, v20, v2
	v_lshrrev_b32_e32 v13, 16, v0
.LBB191_72:
	s_or_b64 exec, exec, s[6:7]
	v_lshlrev_b32_e32 v14, 8, v14
	s_and_saveexec_b64 s[6:7], s[4:5]
	s_cbranch_execz .LBB191_74
; %bb.73:
	v_mov_b32_e32 v15, 0
	v_lshl_add_u64 v[0:1], v[6:7], 0, v[14:15]
	global_load_ushort v2, v[0:1], off
	v_lshl_add_u64 v[0:1], v[4:5], 0, v[14:15]
	s_waitcnt vmcnt(0)
	v_lshlrev_b32_e32 v2, 16, v2
	v_sub_f32_e32 v2, v2, v3
	global_store_short_d16_hi v[0:1], v2, off
	v_mul_f32_e32 v0, v17, v2
	v_lshrrev_b32_e32 v15, 16, v0
.LBB191_74:
	s_or_b64 exec, exec, s[6:7]
	v_lshlrev_b32_e32 v21, 6, v21
	s_mov_b32 s6, 0x5040100
	v_perm_b32 v26, v11, v9, s6
	v_or_b32_e32 v9, v21, v24
	v_accvgpr_read_b32 v0, a8
	v_perm_b32 v27, v15, v13, s6
	v_lshlrev_b32_e32 v9, 1, v9
	v_accvgpr_read_b32 v1, a9
	v_accvgpr_read_b32 v2, a10
	;; [unrolled: 1-line block ×3, first 2 shown]
	ds_write_b64 v9, v[26:27] offset:24576
	v_mov_b32_e32 v11, 0
	v_mov_b32_e32 v9, 0
	s_and_saveexec_b64 s[6:7], vcc
	s_cbranch_execz .LBB191_76
; %bb.75:
	v_mov_b32_e32 v9, 0
	v_lshl_add_u64 v[24:25], v[6:7], 0, v[8:9]
	global_load_ushort v13, v[24:25], off offset:32
	v_lshl_add_u64 v[24:25], v[4:5], 0, v[8:9]
	s_waitcnt vmcnt(0)
	v_lshlrev_b32_e32 v9, 16, v13
	v_sub_f32_e32 v0, v9, v0
	global_store_short_d16_hi v[24:25], v0, off offset:32
	v_mul_f32_e32 v0, v18, v0
	v_lshrrev_b32_e32 v9, 16, v0
.LBB191_76:
	s_or_b64 exec, exec, s[6:7]
	s_and_saveexec_b64 s[6:7], s[2:3]
	s_cbranch_execz .LBB191_78
; %bb.77:
	v_mov_b32_e32 v11, 0
	v_lshl_add_u64 v[24:25], v[6:7], 0, v[10:11]
	global_load_ushort v0, v[24:25], off offset:32
	v_lshl_add_u64 v[24:25], v[4:5], 0, v[10:11]
	s_waitcnt vmcnt(0)
	v_lshlrev_b32_e32 v0, 16, v0
	v_sub_f32_e32 v0, v0, v1
	global_store_short_d16_hi v[24:25], v0, off offset:32
	v_mul_f32_e32 v0, v16, v0
	v_lshrrev_b32_e32 v11, 16, v0
.LBB191_78:
	s_or_b64 exec, exec, s[6:7]
	v_mov_b32_e32 v15, 0
	v_mov_b32_e32 v13, 0
	s_and_saveexec_b64 s[6:7], s[0:1]
	s_cbranch_execz .LBB191_80
; %bb.79:
	v_mov_b32_e32 v13, 0
	v_lshl_add_u64 v[0:1], v[6:7], 0, v[12:13]
	global_load_ushort v24, v[0:1], off offset:32
	v_lshl_add_u64 v[0:1], v[4:5], 0, v[12:13]
	s_waitcnt vmcnt(0)
	v_lshlrev_b32_e32 v13, 16, v24
	v_sub_f32_e32 v2, v13, v2
	global_store_short_d16_hi v[0:1], v2, off offset:32
	v_mul_f32_e32 v0, v20, v2
	v_lshrrev_b32_e32 v13, 16, v0
.LBB191_80:
	s_or_b64 exec, exec, s[6:7]
	s_and_saveexec_b64 s[6:7], s[4:5]
	s_cbranch_execz .LBB191_82
; %bb.81:
	v_mov_b32_e32 v15, 0
	v_lshl_add_u64 v[0:1], v[6:7], 0, v[14:15]
	global_load_ushort v2, v[0:1], off offset:32
	v_lshl_add_u64 v[0:1], v[4:5], 0, v[14:15]
	s_waitcnt vmcnt(0)
	v_lshlrev_b32_e32 v2, 16, v2
	v_sub_f32_e32 v2, v2, v3
	global_store_short_d16_hi v[0:1], v2, off offset:32
	v_mul_f32_e32 v0, v17, v2
	v_lshrrev_b32_e32 v15, 16, v0
.LBB191_82:
	s_or_b64 exec, exec, s[6:7]
	s_mov_b32 s6, 0x5040100
	v_perm_b32 v24, v11, v9, s6
	v_or_b32_e32 v9, v21, v23
	v_accvgpr_read_b32 v0, a4
	v_perm_b32 v25, v15, v13, s6
	v_lshlrev_b32_e32 v9, 1, v9
	v_accvgpr_read_b32 v1, a5
	v_accvgpr_read_b32 v2, a6
	;; [unrolled: 1-line block ×3, first 2 shown]
	ds_write_b64 v9, v[24:25] offset:24576
	v_mov_b32_e32 v11, 0
	v_mov_b32_e32 v9, 0
	s_and_saveexec_b64 s[6:7], vcc
	s_cbranch_execz .LBB191_84
; %bb.83:
	v_mov_b32_e32 v9, 0
	v_lshl_add_u64 v[24:25], v[6:7], 0, v[8:9]
	global_load_ushort v13, v[24:25], off offset:64
	v_lshl_add_u64 v[24:25], v[4:5], 0, v[8:9]
	s_waitcnt vmcnt(0)
	v_lshlrev_b32_e32 v9, 16, v13
	v_sub_f32_e32 v0, v9, v0
	global_store_short_d16_hi v[24:25], v0, off offset:64
	v_mul_f32_e32 v0, v18, v0
	v_lshrrev_b32_e32 v9, 16, v0
.LBB191_84:
	s_or_b64 exec, exec, s[6:7]
	s_and_saveexec_b64 s[6:7], s[2:3]
	s_cbranch_execz .LBB191_86
; %bb.85:
	v_mov_b32_e32 v11, 0
	v_lshl_add_u64 v[24:25], v[6:7], 0, v[10:11]
	global_load_ushort v0, v[24:25], off offset:64
	v_lshl_add_u64 v[24:25], v[4:5], 0, v[10:11]
	s_waitcnt vmcnt(0)
	v_lshlrev_b32_e32 v0, 16, v0
	v_sub_f32_e32 v0, v0, v1
	global_store_short_d16_hi v[24:25], v0, off offset:64
	v_mul_f32_e32 v0, v16, v0
	v_lshrrev_b32_e32 v11, 16, v0
.LBB191_86:
	s_or_b64 exec, exec, s[6:7]
	v_mov_b32_e32 v15, 0
	v_mov_b32_e32 v13, 0
	s_and_saveexec_b64 s[6:7], s[0:1]
	s_cbranch_execz .LBB191_88
; %bb.87:
	v_mov_b32_e32 v13, 0
	v_lshl_add_u64 v[0:1], v[6:7], 0, v[12:13]
	global_load_ushort v23, v[0:1], off offset:64
	v_lshl_add_u64 v[0:1], v[4:5], 0, v[12:13]
	s_waitcnt vmcnt(0)
	v_lshlrev_b32_e32 v13, 16, v23
	v_sub_f32_e32 v2, v13, v2
	global_store_short_d16_hi v[0:1], v2, off offset:64
	v_mul_f32_e32 v0, v20, v2
	v_lshrrev_b32_e32 v13, 16, v0
.LBB191_88:
	s_or_b64 exec, exec, s[6:7]
	s_and_saveexec_b64 s[6:7], s[4:5]
	s_cbranch_execz .LBB191_90
; %bb.89:
	v_mov_b32_e32 v15, 0
	v_lshl_add_u64 v[0:1], v[6:7], 0, v[14:15]
	global_load_ushort v2, v[0:1], off offset:64
	v_lshl_add_u64 v[0:1], v[4:5], 0, v[14:15]
	s_waitcnt vmcnt(0)
	v_lshlrev_b32_e32 v2, 16, v2
	v_sub_f32_e32 v2, v2, v3
	global_store_short_d16_hi v[0:1], v2, off offset:64
	v_mul_f32_e32 v0, v17, v2
	v_lshrrev_b32_e32 v15, 16, v0
.LBB191_90:
	s_or_b64 exec, exec, s[6:7]
	s_mov_b32 s6, 0x5040100
	v_perm_b32 v24, v11, v9, s6
	v_or_b32_e32 v9, v21, v22
	v_accvgpr_read_b32 v0, a0
	v_perm_b32 v25, v15, v13, s6
	v_lshlrev_b32_e32 v9, 1, v9
	v_accvgpr_read_b32 v1, a1
	v_accvgpr_read_b32 v2, a2
	;; [unrolled: 1-line block ×3, first 2 shown]
	ds_write_b64 v9, v[24:25] offset:24576
	v_mov_b32_e32 v11, 0
	v_mov_b32_e32 v9, 0
	s_and_saveexec_b64 s[6:7], vcc
	s_cbranch_execz .LBB191_92
; %bb.91:
	v_mov_b32_e32 v9, 0
	v_lshl_add_u64 v[22:23], v[6:7], 0, v[8:9]
	global_load_ushort v13, v[22:23], off offset:96
	v_lshl_add_u64 v[8:9], v[4:5], 0, v[8:9]
	s_waitcnt vmcnt(0)
	v_lshlrev_b32_e32 v13, 16, v13
	v_sub_f32_e32 v0, v13, v0
	global_store_short_d16_hi v[8:9], v0, off offset:96
	v_mul_f32_e32 v0, v18, v0
	v_lshrrev_b32_e32 v9, 16, v0
.LBB191_92:
	s_or_b64 exec, exec, s[6:7]
	s_and_saveexec_b64 s[6:7], s[2:3]
	s_cbranch_execz .LBB191_94
; %bb.93:
	v_mov_b32_e32 v11, 0
	v_lshl_add_u64 v[22:23], v[6:7], 0, v[10:11]
	global_load_ushort v0, v[22:23], off offset:96
	v_lshl_add_u64 v[10:11], v[4:5], 0, v[10:11]
	s_waitcnt vmcnt(0)
	v_lshlrev_b32_e32 v0, 16, v0
	v_sub_f32_e32 v0, v0, v1
	global_store_short_d16_hi v[10:11], v0, off offset:96
	v_mul_f32_e32 v0, v16, v0
	v_lshrrev_b32_e32 v11, 16, v0
.LBB191_94:
	s_or_b64 exec, exec, s[6:7]
	v_mov_b32_e32 v0, 0
	v_mov_b32_e32 v1, 0
	s_and_saveexec_b64 s[2:3], s[0:1]
	s_cbranch_execz .LBB191_96
; %bb.95:
	v_mov_b32_e32 v13, 0
	v_lshl_add_u64 v[22:23], v[6:7], 0, v[12:13]
	global_load_ushort v1, v[22:23], off offset:96
	v_lshl_add_u64 v[12:13], v[4:5], 0, v[12:13]
	s_waitcnt vmcnt(0)
	v_lshlrev_b32_e32 v1, 16, v1
	v_sub_f32_e32 v1, v1, v2
	global_store_short_d16_hi v[12:13], v1, off offset:96
	v_mul_f32_e32 v1, v20, v1
	v_lshrrev_b32_e32 v1, 16, v1
.LBB191_96:
	s_or_b64 exec, exec, s[2:3]
	s_and_saveexec_b64 s[0:1], s[4:5]
	s_cbranch_execz .LBB191_98
; %bb.97:
	v_mov_b32_e32 v15, 0
	v_lshl_add_u64 v[6:7], v[6:7], 0, v[14:15]
	global_load_ushort v0, v[6:7], off offset:96
	v_lshl_add_u64 v[4:5], v[4:5], 0, v[14:15]
	s_waitcnt vmcnt(0)
	v_lshlrev_b32_e32 v0, 16, v0
	v_sub_f32_e32 v0, v0, v3
	global_store_short_d16_hi v[4:5], v0, off offset:96
	v_mul_f32_e32 v0, v17, v0
	v_lshrrev_b32_e32 v0, 16, v0
.LBB191_98:
	s_or_b64 exec, exec, s[0:1]
	s_mov_b32 s0, 0x5040100
	v_or_b32_e32 v2, v21, v19
	v_perm_b32 v1, v0, v1, s0
	v_perm_b32 v0, v11, v9, s0
	v_lshlrev_b32_e32 v2, 1, v2
	ds_write_b64 v2, v[0:1] offset:24576
	s_waitcnt lgkmcnt(0)
	s_barrier
.LBB191_99:
	s_endpgm
	.section	.rodata,"a",@progbits
	.p2align	6, 0x0
	.amdhsa_kernel _ZN12_GLOBAL__N_139chunk_gated_delta_rule_fwd_h_hip_kernelILi64ELb0ELb0ELb1ELb0ELb1ELb0ELb0ELb0EEEvPK12hip_bfloat16S3_S3_PKfS5_PKvPS1_S8_PvPKiSB_iiiiilll
		.amdhsa_group_segment_fixed_size 65536
		.amdhsa_private_segment_fixed_size 0
		.amdhsa_kernarg_size 136
		.amdhsa_user_sgpr_count 2
		.amdhsa_user_sgpr_dispatch_ptr 0
		.amdhsa_user_sgpr_queue_ptr 0
		.amdhsa_user_sgpr_kernarg_segment_ptr 1
		.amdhsa_user_sgpr_dispatch_id 0
		.amdhsa_user_sgpr_kernarg_preload_length 0
		.amdhsa_user_sgpr_kernarg_preload_offset 0
		.amdhsa_user_sgpr_private_segment_size 0
		.amdhsa_uses_dynamic_stack 0
		.amdhsa_enable_private_segment 0
		.amdhsa_system_sgpr_workgroup_id_x 1
		.amdhsa_system_sgpr_workgroup_id_y 1
		.amdhsa_system_sgpr_workgroup_id_z 0
		.amdhsa_system_sgpr_workgroup_info 0
		.amdhsa_system_vgpr_workitem_id 0
		.amdhsa_next_free_vgpr 216
		.amdhsa_next_free_sgpr 65
		.amdhsa_accum_offset 180
		.amdhsa_reserve_vcc 1
		.amdhsa_float_round_mode_32 0
		.amdhsa_float_round_mode_16_64 0
		.amdhsa_float_denorm_mode_32 3
		.amdhsa_float_denorm_mode_16_64 3
		.amdhsa_dx10_clamp 1
		.amdhsa_ieee_mode 1
		.amdhsa_fp16_overflow 0
		.amdhsa_tg_split 0
		.amdhsa_exception_fp_ieee_invalid_op 0
		.amdhsa_exception_fp_denorm_src 0
		.amdhsa_exception_fp_ieee_div_zero 0
		.amdhsa_exception_fp_ieee_overflow 0
		.amdhsa_exception_fp_ieee_underflow 0
		.amdhsa_exception_fp_ieee_inexact 0
		.amdhsa_exception_int_div_zero 0
	.end_amdhsa_kernel
	.section	.text._ZN12_GLOBAL__N_139chunk_gated_delta_rule_fwd_h_hip_kernelILi64ELb0ELb0ELb1ELb0ELb1ELb0ELb0ELb0EEEvPK12hip_bfloat16S3_S3_PKfS5_PKvPS1_S8_PvPKiSB_iiiiilll,"axG",@progbits,_ZN12_GLOBAL__N_139chunk_gated_delta_rule_fwd_h_hip_kernelILi64ELb0ELb0ELb1ELb0ELb1ELb0ELb0ELb0EEEvPK12hip_bfloat16S3_S3_PKfS5_PKvPS1_S8_PvPKiSB_iiiiilll,comdat
.Lfunc_end191:
	.size	_ZN12_GLOBAL__N_139chunk_gated_delta_rule_fwd_h_hip_kernelILi64ELb0ELb0ELb1ELb0ELb1ELb0ELb0ELb0EEEvPK12hip_bfloat16S3_S3_PKfS5_PKvPS1_S8_PvPKiSB_iiiiilll, .Lfunc_end191-_ZN12_GLOBAL__N_139chunk_gated_delta_rule_fwd_h_hip_kernelILi64ELb0ELb0ELb1ELb0ELb1ELb0ELb0ELb0EEEvPK12hip_bfloat16S3_S3_PKfS5_PKvPS1_S8_PvPKiSB_iiiiilll
                                        ; -- End function
	.section	.AMDGPU.csdata,"",@progbits
; Kernel info:
; codeLenInByte = 11252
; NumSgprs: 71
; NumVgprs: 180
; NumAgprs: 36
; TotalNumVgprs: 216
; ScratchSize: 0
; MemoryBound: 0
; FloatMode: 240
; IeeeMode: 1
; LDSByteSize: 65536 bytes/workgroup (compile time only)
; SGPRBlocks: 8
; VGPRBlocks: 26
; NumSGPRsForWavesPerEU: 71
; NumVGPRsForWavesPerEU: 216
; AccumOffset: 180
; Occupancy: 1
; WaveLimiterHint : 1
; COMPUTE_PGM_RSRC2:SCRATCH_EN: 0
; COMPUTE_PGM_RSRC2:USER_SGPR: 2
; COMPUTE_PGM_RSRC2:TRAP_HANDLER: 0
; COMPUTE_PGM_RSRC2:TGID_X_EN: 1
; COMPUTE_PGM_RSRC2:TGID_Y_EN: 1
; COMPUTE_PGM_RSRC2:TGID_Z_EN: 0
; COMPUTE_PGM_RSRC2:TIDIG_COMP_CNT: 0
; COMPUTE_PGM_RSRC3_GFX90A:ACCUM_OFFSET: 44
; COMPUTE_PGM_RSRC3_GFX90A:TG_SPLIT: 0
	.section	.text._ZN12_GLOBAL__N_139chunk_gated_delta_rule_fwd_h_hip_kernelILi64ELb0ELb0ELb0ELb0ELb1ELb0ELb0ELb0EEEvPK12hip_bfloat16S3_S3_PKfS5_PKvPS1_S8_PvPKiSB_iiiiilll,"axG",@progbits,_ZN12_GLOBAL__N_139chunk_gated_delta_rule_fwd_h_hip_kernelILi64ELb0ELb0ELb0ELb0ELb1ELb0ELb0ELb0EEEvPK12hip_bfloat16S3_S3_PKfS5_PKvPS1_S8_PvPKiSB_iiiiilll,comdat
	.globl	_ZN12_GLOBAL__N_139chunk_gated_delta_rule_fwd_h_hip_kernelILi64ELb0ELb0ELb0ELb0ELb1ELb0ELb0ELb0EEEvPK12hip_bfloat16S3_S3_PKfS5_PKvPS1_S8_PvPKiSB_iiiiilll ; -- Begin function _ZN12_GLOBAL__N_139chunk_gated_delta_rule_fwd_h_hip_kernelILi64ELb0ELb0ELb0ELb0ELb1ELb0ELb0ELb0EEEvPK12hip_bfloat16S3_S3_PKfS5_PKvPS1_S8_PvPKiSB_iiiiilll
	.p2align	8
	.type	_ZN12_GLOBAL__N_139chunk_gated_delta_rule_fwd_h_hip_kernelILi64ELb0ELb0ELb0ELb0ELb1ELb0ELb0ELb0EEEvPK12hip_bfloat16S3_S3_PKfS5_PKvPS1_S8_PvPKiSB_iiiiilll,@function
_ZN12_GLOBAL__N_139chunk_gated_delta_rule_fwd_h_hip_kernelILi64ELb0ELb0ELb0ELb0ELb1ELb0ELb0ELb0EEEvPK12hip_bfloat16S3_S3_PKfS5_PKvPS1_S8_PvPKiSB_iiiiilll: ; @_ZN12_GLOBAL__N_139chunk_gated_delta_rule_fwd_h_hip_kernelILi64ELb0ELb0ELb0ELb0ELb1ELb0ELb0ELb0EEEvPK12hip_bfloat16S3_S3_PKfS5_PKvPS1_S8_PvPKiSB_iiiiilll
; %bb.0:
	s_load_dwordx4 s[12:15], s[0:1], 0x5c
	s_load_dwordx2 s[36:37], s[0:1], 0x30
	s_abs_i32 s18, s3
	s_ashr_i32 s17, s3, 31
	s_load_dwordx8 s[4:11], s[0:1], 0x0
	s_waitcnt lgkmcnt(0)
	s_abs_i32 s16, s13
	v_cvt_f32_u32_e32 v1, s16
	s_sub_i32 s20, 0, s16
	s_ashr_i32 s19, s13, 31
	s_xor_b32 s17, s17, s19
	v_rcp_iflag_f32_e32 v1, v1
	v_lshrrev_b32_e32 v74, 6, v0
	v_bfe_u32 v75, v0, 4, 2
	v_lshlrev_b32_e32 v2, 2, v75
	v_mul_f32_e32 v1, 0x4f7ffffe, v1
	v_cvt_u32_f32_e32 v1, v1
	v_and_b32_e32 v73, 63, v0
	v_mov_b32_e32 v35, 0
	v_and_b32_e32 v72, 15, v0
	v_readfirstlane_b32 s21, v1
	s_mul_i32 s20, s20, s21
	s_mul_hi_u32 s20, s21, s20
	s_add_i32 s21, s21, s20
	s_mul_hi_u32 s20, s18, s21
	s_mul_i32 s21, s20, s16
	s_sub_i32 s18, s18, s21
	s_add_i32 s22, s20, 1
	s_sub_i32 s21, s18, s16
	s_cmp_ge_u32 s18, s16
	s_cselect_b32 s20, s22, s20
	s_cselect_b32 s18, s21, s18
	s_add_i32 s21, s20, 1
	s_cmp_ge_u32 s18, s16
	s_cselect_b32 s18, s21, s20
	s_xor_b32 s18, s18, s17
	s_sub_i32 s45, s18, s17
	s_abs_i32 s17, s14
	v_cvt_f32_u32_e32 v1, s17
	s_add_i32 s20, s12, 63
	s_mul_i32 s43, s45, s13
	s_sub_i32 s33, s3, s43
	v_rcp_iflag_f32_e32 v1, v1
	s_ashr_i32 s3, s20, 31
	s_ashr_i32 s44, s12, 31
	s_lshr_b32 s3, s3, 26
	v_mul_f32_e32 v1, 0x4f7ffffe, v1
	v_cvt_u32_f32_e32 v1, v1
	s_lshr_b32 s18, s44, 26
	s_add_i32 s20, s20, s3
	s_add_i32 s18, s12, s18
	s_ashr_i32 s47, s14, 31
	s_ashr_i32 s3, s20, 6
	;; [unrolled: 1-line block ×3, first 2 shown]
	s_xor_b32 s18, s19, s47
	s_sub_i32 s19, 0, s17
	v_readfirstlane_b32 s20, v1
	s_mul_i32 s19, s19, s20
	s_mul_hi_u32 s19, s20, s19
	s_add_i32 s20, s20, s19
	s_mul_hi_u32 s19, s16, s20
	s_mul_i32 s20, s19, s17
	s_sub_i32 s16, s16, s20
	s_add_i32 s20, s19, 1
	s_sub_i32 s21, s16, s17
	s_cmp_ge_u32 s16, s17
	s_cselect_b32 s19, s20, s19
	s_cselect_b32 s16, s21, s16
	s_add_i32 s20, s19, 1
	s_cmp_ge_u32 s16, s17
	s_cselect_b32 s16, s20, s19
	s_xor_b32 s16, s16, s18
	s_sub_i32 s20, s16, s18
	s_abs_i32 s21, s20
	v_cvt_f32_u32_e32 v1, s21
	s_load_dwordx2 s[28:29], s[0:1], 0x80
	s_load_dwordx4 s[16:19], s[0:1], 0x70
	s_xor_b32 s0, s33, s20
	s_sub_i32 s20, 0, s21
	v_rcp_iflag_f32_e32 v1, v1
	s_abs_i32 s1, s33
	s_ashr_i32 s0, s0, 31
	s_mul_i32 s48, s45, s3
	v_mul_f32_e32 v1, 0x4f7ffffe, v1
	v_cvt_u32_f32_e32 v1, v1
	s_mul_hi_i32 s49, s45, s13
	v_lshrrev_b32_e32 v77, 3, v73
	v_lshlrev_b32_e32 v76, 3, v0
	v_readfirstlane_b32 s22, v1
	s_mul_i32 s20, s20, s22
	s_mul_hi_u32 s20, s22, s20
	s_add_i32 s22, s22, s20
	s_mul_hi_u32 s20, s1, s22
	s_mul_i32 s22, s20, s21
	s_sub_i32 s1, s1, s22
	s_add_i32 s22, s20, 1
	s_sub_i32 s23, s1, s21
	s_cmp_ge_u32 s1, s21
	s_cselect_b32 s20, s22, s20
	s_cselect_b32 s1, s23, s1
	s_add_i32 s22, s20, 1
	s_cmp_ge_u32 s1, s21
	s_cselect_b32 s1, s22, s20
	s_xor_b32 s1, s1, s0
	v_lshlrev_b32_e32 v1, 4, v74
	s_sub_i32 s50, s1, s0
	v_or_b32_e32 v78, v2, v1
	s_lshl_b32 s30, s2, 6
	v_or_b32_e32 v79, 64, v78
	s_cmp_lt_i32 s12, 64
	s_waitcnt lgkmcnt(0)
	s_mul_i32 s17, s45, s17
	s_mul_hi_u32 s42, s45, s16
	s_mul_i32 s34, s45, s16
	v_mov_b32_e32 v34, v35
	v_mov_b32_e32 v41, v35
	;; [unrolled: 1-line block ×31, first 2 shown]
	s_cbranch_scc1 .LBB192_18
; %bb.1:
	s_ashr_i32 s24, s45, 31
	s_ashr_i32 s52, s33, 31
	s_add_u32 s0, s43, s33
	s_addc_u32 s1, s49, s52
	s_mul_i32 s1, s12, s1
	s_mul_hi_u32 s2, s12, s0
	s_add_i32 s3, s2, s1
	s_mul_i32 s2, s12, s0
	s_lshl_b64 s[0:1], s[2:3], 8
	v_and_b32_e32 v81, 56, v76
	s_add_u32 s20, s6, s0
	v_lshl_or_b32 v80, v74, 3, v77
	v_lshlrev_b32_e32 v3, 1, v81
	s_addc_u32 s0, s7, s1
	v_lshl_or_b32 v82, v80, 8, v3
	s_and_b32 s21, s0, 0xffff
	s_mov_b32 s23, 0x20000
	s_movk_i32 s22, 0x4000
	s_movk_i32 s0, 0x80
	v_or_b32_e32 v83, 0x2000, v82
	buffer_load_dwordx4 v[4:7], v82, s[20:23], 0 offen
	buffer_load_dwordx4 v[8:11], v82, s[20:23], s0 offen
	;; [unrolled: 1-line block ×4, first 2 shown]
	v_lshlrev_b32_e32 v20, 3, v80
	v_and_or_b32 v22, v0, 7, v20
	v_and_b32_e32 v20, 0x78, v20
	v_lshlrev_b32_e32 v22, 4, v22
	v_xor_b32_e32 v84, v22, v20
	v_mul_lo_u32 v21, v80, s15
	v_or_b32_e32 v85, 0x1000, v84
	s_cmpk_eq_i32 s15, 0x80
	s_mov_b32 s51, s14
	v_xor_b32_e32 v20, 8, v84
	v_xor_b32_e32 v22, 8, v85
	s_cselect_b64 s[0:1], -1, 0
	s_cmpk_lg_i32 s15, 0x80
	s_waitcnt vmcnt(3)
	ds_write_b64 v84, v[4:5] offset:49152
	ds_write_b64 v20, v[6:7] offset:49152
	s_waitcnt vmcnt(2)
	ds_write_b64 v84, v[8:9] offset:57344
	ds_write_b64 v20, v[10:11] offset:57344
	;; [unrolled: 3-line block ×4, first 2 shown]
	v_lshl_add_u32 v4, v21, 1, v81
	s_cbranch_scc0 .LBB192_3
; %bb.2:
	v_lshlrev_b32_e32 v6, 1, v4
	v_add_lshl_u32 v5, v4, s15, 1
	s_lshl_b32 s22, s15, 7
	v_lshl_or_b32 v3, v80, 9, v3
	s_cbranch_execz .LBB192_4
	s_branch .LBB192_5
.LBB192_3:
                                        ; implicit-def: $vgpr5
                                        ; implicit-def: $vgpr6
                                        ; implicit-def: $sgpr22
	v_lshl_or_b32 v3, v80, 9, v3
.LBB192_4:
	v_or_b32_e32 v5, 0x100, v3
	s_movk_i32 s22, 0x4000
	v_mov_b32_e32 v6, v3
.LBB192_5:
	s_mul_hi_u32 s20, s14, s12
	s_mul_i32 s21, s47, s12
	s_add_i32 s20, s20, s21
	s_mul_i32 s21, s14, s12
	s_mul_i32 s23, s21, s24
	s_mul_hi_u32 s25, s21, s45
	s_add_i32 s23, s25, s23
	s_mul_i32 s20, s20, s45
	s_add_i32 s23, s23, s20
	s_mul_i32 s21, s21, s45
	s_ashr_i32 s53, s50, 31
	s_add_u32 s20, s21, s50
	s_addc_u32 s21, s23, s53
	s_lshl_b64 s[20:21], s[20:21], 8
	s_add_u32 s20, s4, s20
	s_addc_u32 s21, s5, s21
	s_and_b32 s21, s21, 0xffff
	s_mov_b32 s23, 0x20000
	s_movk_i32 s54, 0x80
	buffer_load_dwordx4 v[8:11], v6, s[20:23], 0 offen
	buffer_load_dwordx4 v[12:15], v6, s[20:23], s54 offen
	;; [unrolled: 1-line block ×4, first 2 shown]
	v_and_b32_e32 v5, 6, v0
	v_lshlrev_b32_e32 v6, 7, v78
	v_xor_b32_e32 v27, v80, v5
	v_and_b32_e32 v7, 1, v0
	v_lshl_or_b32 v30, v72, 3, v6
	v_lshlrev_b32_e32 v27, 2, v27
	v_or_b32_e32 v86, 0x4000, v30
	v_or_b32_e32 v87, 0x6000, v30
	v_xor_b32_e32 v30, 0x440, v27
	v_cmp_eq_u32_e32 vcc, 0, v7
	v_lshlrev_b32_e32 v24, 2, v72
	s_mov_b32 s56, 0x1000504
	v_cndmask_b32_e32 v7, v30, v27, vcc
	v_xor_b32_e32 v28, v78, v24
	v_xor_b32_e32 v29, v79, v24
	v_lshl_or_b32 v5, v5, 10, v7
	s_mov_b32 s57, 0x3020706
	s_mul_i32 s20, s24, s12
	s_mul_hi_u32 s21, s45, s12
	v_lshlrev_b32_e32 v25, 8, v72
	v_or_b32_e32 v26, 16, v72
	v_lshlrev_b32_e32 v28, 1, v28
	v_lshlrev_b32_e32 v29, 1, v29
	v_xor_b32_e32 v7, 8, v5
	v_xor_b32_e32 v27, 24, v5
	;; [unrolled: 1-line block ×4, first 2 shown]
	v_or_b32_e32 v89, v25, v28
	v_or_b32_e32 v90, v25, v29
	v_xor_b32_e32 v25, 16, v5
	v_xor_b32_e32 v30, 32, v5
	;; [unrolled: 1-line block ×3, first 2 shown]
	v_add_u32_e32 v7, 0x80, v7
	v_add_u32_e32 v27, 0x80, v27
	;; [unrolled: 1-line block ×4, first 2 shown]
	s_add_i32 s59, s21, s20
	s_add_i32 s20, s42, s17
	s_mul_i32 s24, s24, s16
	s_add_i32 s35, s20, s24
	s_mul_i32 s20, s33, s19
	s_mul_hi_u32 s21, s33, s18
	s_add_i32 s20, s21, s20
	s_mul_i32 s21, s52, s18
	s_add_i32 s21, s20, s21
	s_lshl_b64 s[24:25], s[34:35], 2
	s_mul_i32 s20, s33, s18
	s_add_u32 s24, s10, s24
	s_addc_u32 s25, s11, s25
	s_lshl_b64 s[20:21], s[20:21], 2
	s_add_u32 s38, s24, s20
	s_movk_i32 s20, 0xf8
	s_addc_u32 s39, s25, s21
	s_ashr_i32 s31, s30, 31
	s_lshl_b32 s26, s15, 7
	s_movk_i32 s24, 0x100
	v_mov_b32_e32 v67, 0
	v_lshlrev_b32_e32 v66, 4, v72
	v_cmp_gt_u32_e32 vcc, s24, v0
	v_lshl_or_b32 v31, v26, 3, v6
	s_mov_b32 s55, 0
	s_mul_i32 s58, s45, s12
	v_or_b32_e32 v88, 0x4000, v31
	s_movk_i32 s22, 0x4000
	v_or_b32_e32 v91, 0x6000, v31
	v_add_u32_e32 v126, v1, v2
	s_movk_i32 s35, 0x2000
	s_movk_i32 s60, 0x3000
	s_mov_b32 s62, 0
	v_mov_b32_e32 v58, v67
	v_mov_b32_e32 v59, v67
	;; [unrolled: 1-line block ×9, first 2 shown]
	s_waitcnt vmcnt(1)
	v_perm_b32 v35, v8, v16, s56
	s_waitcnt vmcnt(0)
	v_perm_b32 v36, v12, v20, s56
	v_perm_b32 v8, v8, v16, s57
	;; [unrolled: 1-line block ×15, first 2 shown]
	ds_write2st64_b32 v5, v35, v36 offset0:128 offset1:160
	ds_write2st64_b32 v7, v8, v12 offset0:128 offset1:160
	;; [unrolled: 1-line block ×8, first 2 shown]
	v_lshlrev_b32_e32 v5, 8, v26
	v_or_b32_e32 v92, v5, v28
	v_or_b32_e32 v93, v5, v29
	v_or_b32_e32 v5, 32, v72
	v_lshl_or_b32 v7, v5, 3, v6
	v_lshlrev_b32_e32 v5, 8, v5
	v_or_b32_e32 v96, v5, v28
	v_or_b32_e32 v97, v5, v29
	;; [unrolled: 1-line block ×5, first 2 shown]
	v_lshl_or_b32 v7, v5, 3, v6
	v_lshlrev_b32_e32 v5, 8, v5
	v_or_b32_e32 v100, v5, v28
	v_or_b32_e32 v101, v5, v29
	;; [unrolled: 1-line block ×3, first 2 shown]
	v_lshlrev_b32_e32 v5, 3, v5
	v_lshrrev_b32_e32 v9, 5, v73
	v_and_or_b32 v9, v5, s20, v9
	v_lshlrev_b32_e32 v9, 4, v9
	v_or_b32_e32 v98, 0x4000, v7
	v_or_b32_e32 v99, 0x6000, v7
	v_lshlrev_b32_e32 v7, 11, v74
	v_and_b32_e32 v5, 0x78, v5
	v_or_b32_e32 v14, 32, v9
	v_and_b32_e32 v8, 0x1000, v7
	v_xor_b32_e32 v10, v9, v5
	v_lshrrev_b32_e32 v11, 1, v0
	v_xor_b32_e32 v14, v14, v5
	v_or_b32_e32 v10, v10, v8
	v_and_b32_e32 v12, 8, v11
	v_or_b32_e32 v14, v14, v8
	v_xor_b32_e32 v102, v10, v12
	v_lshlrev_b32_e32 v10, 8, v75
	v_xor_b32_e32 v104, v14, v12
	v_or_b32_e32 v14, 64, v9
	v_or_b32_e32 v9, 0x60, v9
	;; [unrolled: 1-line block ×3, first 2 shown]
	v_xor_b32_e32 v14, v14, v5
	v_xor_b32_e32 v5, v9, v5
	v_lshlrev_b32_e32 v13, 1, v13
	v_or_b32_e32 v14, v14, v8
	v_or_b32_e32 v5, v5, v8
	s_lshl_b64 s[20:21], s[30:31], 8
	v_or_b32_e32 v103, 0x4000, v13
	v_or_b32_e32 v105, 0x4080, v13
	;; [unrolled: 1-line block ×4, first 2 shown]
	v_xor_b32_e32 v108, v14, v12
	v_xor_b32_e32 v109, v5, v12
	v_or_b32_e32 v110, 0x6000, v13
	v_or_b32_e32 v111, 0x6080, v13
	;; [unrolled: 1-line block ×4, first 2 shown]
	v_lshlrev_b32_e32 v12, 1, v4
	v_add_lshl_u32 v13, v4, s15, 1
	s_add_u32 s20, s36, s20
	v_lshlrev_b32_e32 v4, 1, v72
	v_lshrrev_b32_e32 v15, 4, v0
	s_addc_u32 s21, s37, s21
	v_or_b32_e32 v5, 1, v4
	v_mov_b32_e32 v19, 0xa000
	v_mov_b32_e32 v20, 0x8000
	v_xor_b32_e32 v16, v15, v4
	v_xor_b32_e32 v17, v5, v15
	v_lshl_add_u64 v[4:5], s[20:21], 0, v[66:67]
	v_lshlrev_b32_e32 v66, 8, v15
	v_cndmask_b32_e32 v19, v19, v20, vcc
	v_lshlrev_b32_e32 v20, 3, v74
	v_and_b32_e32 v11, 24, v11
	v_lshl_or_b32 v114, v16, 3, v66
	v_and_b32_e32 v16, 8, v0
	v_xor_b32_e32 v21, v20, v11
	v_or_b32_e32 v22, 0x440, v21
	v_cmp_eq_u32_e32 vcc, 0, v16
	v_and_b32_e32 v15, 7, v0
	v_lshl_or_b32 v115, v17, 3, v66
	v_cndmask_b32_e32 v16, v22, v21, vcc
	v_lshlrev_b32_e32 v17, 3, v15
	v_lshlrev_b32_e32 v15, 7, v15
	v_or_b32_e32 v16, v16, v7
	v_lshlrev_b32_e32 v18, 2, v0
	v_xad_u32 v116, v16, v17, v15
	v_or_b32_e32 v16, 32, v11
	v_and_or_b32 v10, v18, 60, v10
	v_xor_b32_e32 v16, v20, v16
	v_lshlrev_b32_e32 v10, 1, v10
	v_or_b32_e32 v18, 0x440, v16
	v_or_b32_e32 v117, 0x6000, v10
	v_cndmask_b32_e32 v16, v18, v16, vcc
	v_or_b32_e32 v119, 0x6080, v10
	v_or_b32_e32 v120, 0x6100, v10
	v_or_b32_e32 v121, 0x6180, v10
	v_or_b32_e32 v10, 64, v11
	v_or_b32_e32 v16, v16, v7
	v_xor_b32_e32 v10, v20, v10
	v_xad_u32 v118, v16, v17, v15
	v_xor_b32_e32 v16, 0x440, v10
	v_cndmask_b32_e32 v10, v16, v10, vcc
	v_or_b32_e32 v10, v10, v7
	v_xad_u32 v122, v10, v17, v15
	v_or_b32_e32 v10, 0x60, v11
	v_xor_b32_e32 v10, v20, v10
	v_xor_b32_e32 v11, 0x440, v10
	v_cndmask_b32_e32 v10, v11, v10, vcc
	v_or_b32_e32 v8, s30, v72
	v_or_b32_e32 v7, v10, v7
	v_ashrrev_i32_e32 v9, 31, v8
	v_or_b32_e32 v14, 0x100, v3
	v_xad_u32 v123, v7, v17, v15
	v_cndmask_b32_e64 v124, v12, v3, s[0:1]
	v_cndmask_b32_e64 v125, v13, v14, s[0:1]
	v_lshl_add_u64 v[68:69], v[8:9], 1, s[8:9]
	v_lshl_add_u64 v[70:71], v[4:5], 0, v[66:67]
	s_mov_b32 s31, 0x7060302
	v_lshlrev_b32_e32 v66, 1, v6
	v_add_u32_e32 v127, v19, v116
	v_add_u32_e32 v128, v19, v118
	;; [unrolled: 1-line block ×4, first 2 shown]
	v_mov_b32_e32 v51, v67
	v_mov_b32_e32 v52, v67
	;; [unrolled: 1-line block ×23, first 2 shown]
	s_waitcnt lgkmcnt(0)
	s_barrier
.LBB192_6:                              ; =>This Inner Loop Header: Depth=1
	s_add_i32 s61, s62, 1
	s_cmp_lt_i32 s61, s46
	s_mov_b64 s[24:25], 0
	s_cselect_b64 s[40:41], -1, 0
	s_cmp_ge_i32 s61, s46
	s_mov_b64 s[20:21], 0
	s_cbranch_scc1 .LBB192_8
; %bb.7:                                ;   in Loop: Header=BB192_6 Depth=1
	s_add_i32 s0, s55, 64
	s_add_u32 s0, s2, s0
	s_addc_u32 s1, s3, 0
	s_lshl_b64 s[0:1], s[0:1], 8
	s_add_u32 s20, s6, s0
	s_addc_u32 s21, s7, s1
.LBB192_8:                              ;   in Loop: Header=BB192_6 Depth=1
	v_cndmask_b32_e64 v2, 0, 1, s[40:41]
	v_cmp_ne_u32_e64 s[0:1], 1, v2
	s_andn2_b64 vcc, exec, s[40:41]
	s_cbranch_vccnz .LBB192_10
; %bb.9:                                ;   in Loop: Header=BB192_6 Depth=1
	s_add_i32 s24, s55, 64
	s_add_u32 s24, s58, s24
	s_addc_u32 s25, s59, 0
	s_mul_i32 s27, s24, s47
	s_mul_hi_u32 s40, s24, s51
	s_add_i32 s27, s40, s27
	s_mul_i32 s25, s25, s51
	s_add_i32 s27, s27, s25
	s_mul_i32 s24, s24, s51
	s_add_u32 s24, s24, s50
	s_addc_u32 s25, s27, s53
	s_lshl_b64 s[24:25], s[24:25], 8
	s_add_u32 s24, s4, s24
	s_addc_u32 s25, s5, s25
.LBB192_10:                             ;   in Loop: Header=BB192_6 Depth=1
	v_perm_b32 v3, v65, v64, s31
	v_perm_b32 v2, v63, v62, s31
	v_perm_b32 v5, v61, v60, s31
	v_perm_b32 v4, v59, v58, s31
	ds_write_b64 v86, v[2:3]
	ds_write_b64 v87, v[4:5]
	ds_write_b64 v89, v[2:3]
	ds_write_b64 v90, v[4:5]
	v_perm_b32 v3, v57, v56, s31
	v_perm_b32 v2, v55, v54, s31
	v_perm_b32 v5, v53, v52, s31
	v_perm_b32 v4, v51, v50, s31
	ds_write_b64 v88, v[2:3]
	ds_write_b64 v91, v[4:5]
	ds_write_b64 v92, v[2:3]
	ds_write_b64 v93, v[4:5]
	v_perm_b32 v3, v49, v48, s31
	v_perm_b32 v2, v47, v46, s31
	v_perm_b32 v5, v45, v44, s31
	v_perm_b32 v4, v43, v42, s31
	ds_write_b64 v94, v[2:3]
	ds_write_b64 v95, v[4:5]
	ds_write_b64 v96, v[2:3]
	ds_write_b64 v97, v[4:5]
	v_perm_b32 v3, v35, v34, s31
	v_perm_b32 v2, v41, v40, s31
	v_perm_b32 v5, v39, v38, s31
	v_perm_b32 v4, v37, v36, s31
	ds_write_b64 v98, v[2:3]
	ds_write_b64 v99, v[4:5]
	ds_write_b64 v100, v[2:3]
	ds_write_b64 v101, v[4:5]
	s_waitcnt lgkmcnt(0)
	s_barrier
	ds_read_b64 v[6:7], v102 offset:49152
	ds_read2_b64 v[2:5], v103 offset1:16
	ds_read_b64 v[18:19], v105 offset:6144
	ds_read_b64 v[20:21], v103 offset:6144
	s_waitcnt lgkmcnt(2)
	v_mfma_f32_16x16x16_bf16 a[0:3], v[6:7], v[2:3], 0
	ds_read_b64 v[22:23], v104 offset:49152
	ds_read2st64_b64 v[10:13], v106 offset0:4 offset1:8
	ds_read2st64_b64 v[14:17], v107 offset0:4 offset1:8
	v_mfma_f32_16x16x16_bf16 a[4:7], v[6:7], v[4:5], 0
	ds_read2_b64 v[2:5], v103 offset0:32 offset1:48
	s_add_i32 s27, s55, 63
	s_mul_i32 s40, s27, s29
	s_waitcnt lgkmcnt(0)
	v_mfma_f32_16x16x16_bf16 a[8:11], v[6:7], v[2:3], 0
	s_mul_hi_u32 s41, s27, s28
	s_add_i32 s41, s41, s40
	s_mul_i32 s40, s27, s28
	v_mfma_f32_16x16x16_bf16 a[12:15], v[6:7], v[4:5], 0
	ds_read2st64_b64 v[2:5], v103 offset0:4 offset1:8
	ds_read2st64_b64 v[6:9], v105 offset0:4 offset1:8
	s_lshl_b64 s[40:41], s[40:41], 2
	s_waitcnt lgkmcnt(1)
	v_mfma_f32_16x16x16_bf16 a[0:3], v[22:23], v[2:3], a[0:3]
	s_add_u32 s40, s38, s40
	s_addc_u32 s41, s39, s41
	s_and_b64 vcc, exec, s[0:1]
	s_waitcnt lgkmcnt(0)
	v_mfma_f32_16x16x16_bf16 a[4:7], v[22:23], v[6:7], a[4:7]
	v_mov_b32_e32 v133, 0
	v_mov_b32_e32 v132, 0
	;; [unrolled: 1-line block ×3, first 2 shown]
	v_mfma_f32_16x16x16_bf16 a[8:11], v[22:23], v[10:11], a[8:11]
	ds_read_b64 v[2:3], v108 offset:49152
	ds_read_b64 v[6:7], v109 offset:49152
	;; [unrolled: 1-line block ×3, first 2 shown]
	v_mfma_f32_16x16x16_bf16 a[12:15], v[22:23], v[14:15], a[12:15]
	v_mov_b32_e32 v14, 0
	v_mov_b32_e32 v15, 0
	s_waitcnt lgkmcnt(2)
	v_mfma_f32_16x16x16_bf16 a[0:3], v[2:3], v[4:5], a[0:3]
	v_mov_b32_e32 v4, 0
	v_mov_b32_e32 v5, 0
	v_mfma_f32_16x16x16_bf16 a[16:19], v[2:3], v[8:9], a[4:7]
	v_mov_b32_e32 v8, 0
	v_mov_b32_e32 v9, 0
	;; [unrolled: 3-line block ×3, first 2 shown]
	v_mfma_f32_16x16x16_bf16 a[24:27], v[2:3], v[16:17], a[12:15]
	ds_read_b64 v[2:3], v106 offset:6144
	v_mov_b32_e32 v16, 0
	v_mov_b32_e32 v17, 0
	s_waitcnt lgkmcnt(2)
	v_mfma_f32_16x16x16_bf16 a[4:7], v[6:7], v[20:21], a[0:3]
	v_mfma_f32_16x16x16_bf16 a[8:11], v[6:7], v[18:19], a[16:19]
	s_waitcnt lgkmcnt(0)
	v_mfma_f32_16x16x16_bf16 a[12:15], v[6:7], v[2:3], a[20:23]
	v_mov_b32_e32 v2, 0
	v_mov_b32_e32 v3, 0
	v_mfma_f32_16x16x16_bf16 a[0:3], v[6:7], v[10:11], a[24:27]
	v_mov_b32_e32 v6, 0
	v_mov_b32_e32 v7, 0
	;; [unrolled: 1-line block ×4, first 2 shown]
	s_cbranch_vccnz .LBB192_12
; %bb.11:                               ;   in Loop: Header=BB192_6 Depth=1
	s_and_b32 s21, s21, 0xffff
	buffer_load_dwordx4 v[14:17], v82, s[20:23], 0 offen
	buffer_load_dwordx4 v[10:13], v82, s[20:23], s54 offen
	;; [unrolled: 1-line block ×4, first 2 shown]
	v_mov_b32_e32 v132, v84
	v_mov_b32_e32 v131, v85
.LBB192_12:                             ;   in Loop: Header=BB192_6 Depth=1
	ds_read_b64 v[134:135], v102 offset:57344
	ds_read2_b64 v[18:21], v110 offset1:16
	ds_read_b64 v[136:137], v104 offset:57344
	ds_read_b64 v[138:139], v108 offset:57344
	;; [unrolled: 1-line block ×3, first 2 shown]
	v_add_u32_e32 v142, s55, v126
	s_waitcnt lgkmcnt(3)
	v_mfma_f32_16x16x16_bf16 a[4:7], v[134:135], v[18:19], a[4:7]
	v_mfma_f32_16x16x16_bf16 a[8:11], v[134:135], v[20:21], a[8:11]
	ds_read2_b64 v[18:21], v110 offset0:32 offset1:48
	ds_read2st64_b64 v[22:25], v110 offset0:4 offset1:8
	ds_read2st64_b64 v[26:29], v111 offset0:4 offset1:8
	ds_read2st64_b64 v[30:33], v112 offset0:4 offset1:8
	s_waitcnt lgkmcnt(3)
	v_mfma_f32_16x16x16_bf16 a[12:15], v[134:135], v[18:19], a[12:15]
	v_ashrrev_i32_e32 v18, 31, v142
	v_mfma_f32_16x16x16_bf16 a[0:3], v[134:135], v[20:21], a[0:3]
	v_mul_lo_u32 v20, v18, s28
	v_mul_lo_u32 v21, v142, s29
	v_mad_u64_u32 v[18:19], s[20:21], v142, s28, 0
	v_add3_u32 v19, v19, v21, v20
	v_add_u32_e32 v20, 1, v142
	v_ashrrev_i32_e32 v21, 31, v20
	s_waitcnt lgkmcnt(2)
	v_mfma_f32_16x16x16_bf16 a[4:7], v[136:137], v[22:23], a[4:7]
	v_mul_lo_u32 v22, v21, s28
	v_mul_lo_u32 v23, v20, s29
	v_mad_u64_u32 v[20:21], s[20:21], v20, s28, 0
	v_add3_u32 v21, v21, v23, v22
	v_add_u32_e32 v22, 2, v142
	v_ashrrev_i32_e32 v23, 31, v22
	s_waitcnt lgkmcnt(1)
	v_mfma_f32_16x16x16_bf16 a[8:11], v[136:137], v[26:27], a[8:11]
	v_mul_lo_u32 v26, v23, s28
	v_mul_lo_u32 v27, v22, s29
	v_mad_u64_u32 v[22:23], s[20:21], v22, s28, 0
	v_add3_u32 v23, v23, v27, v26
	v_add_u32_e32 v26, 3, v142
	v_ashrrev_i32_e32 v27, 31, v26
	v_mul_lo_u32 v134, v27, s28
	v_mul_lo_u32 v135, v26, s29
	v_mad_u64_u32 v[26:27], s[20:21], v26, s28, 0
	s_add_u32 s20, s2, s55
	s_addc_u32 s21, s3, 0
	v_lshl_add_u64 v[18:19], v[18:19], 2, s[38:39]
	v_add3_u32 v27, v27, v135, v134
	s_lshl_b64 s[20:21], s[20:21], 8
	v_lshl_add_u64 v[20:21], v[20:21], 2, s[38:39]
	v_lshl_add_u64 v[22:23], v[22:23], 2, s[38:39]
	;; [unrolled: 1-line block ×3, first 2 shown]
	global_load_dword v134, v[18:19], off
	global_load_dword v135, v[20:21], off
	;; [unrolled: 1-line block ×4, first 2 shown]
	v_lshl_add_u64 v[18:19], v[68:69], 0, s[20:21]
	v_lshl_add_u64 v[22:23], v[18:19], 0, v[66:67]
	global_load_ushort v144, v[22:23], off offset:256
	global_load_ushort v145, v[22:23], off
	ds_read2st64_b64 v[18:21], v113 offset0:4 offset1:8
	global_load_ushort v146, v[22:23], off offset:768
	global_load_ushort v147, v[22:23], off offset:512
	s_waitcnt lgkmcnt(1)
	v_mfma_f32_16x16x16_bf16 a[12:15], v[136:137], v[30:31], a[12:15]
	s_and_b64 vcc, exec, s[0:1]
	s_waitcnt vmcnt(3)
	v_lshlrev_b32_e32 v31, 16, v144
	s_waitcnt lgkmcnt(0)
	v_mfma_f32_16x16x16_bf16 a[0:3], v[136:137], v[18:19], a[0:3]
	global_load_ushort v136, v[22:23], off offset:288
	global_load_ushort v137, v[22:23], off offset:32
	;; [unrolled: 1-line block ×8, first 2 shown]
	v_mfma_f32_16x16x16_bf16 a[4:7], v[138:139], v[24:25], a[4:7]
	ds_read_b64 v[18:19], v110 offset:6144
	s_waitcnt vmcnt(10)
	v_lshlrev_b32_e32 v30, 16, v145
	v_mfma_f32_16x16x16_bf16 a[8:11], v[138:139], v[28:29], a[8:11]
	v_mfma_f32_16x16x16_bf16 a[12:15], v[138:139], v[32:33], a[12:15]
	;; [unrolled: 1-line block ×3, first 2 shown]
	global_load_ushort v138, v[22:23], off offset:352
	global_load_ushort v139, v[22:23], off offset:96
	ds_read_b64 v[20:21], v111 offset:6144
	ds_read_b64 v[24:25], v112 offset:6144
	;; [unrolled: 1-line block ×3, first 2 shown]
	global_load_ushort v154, v[22:23], off offset:864
	global_load_ushort v155, v[22:23], off offset:608
	s_load_dword s20, s[40:41], 0x0
	s_waitcnt lgkmcnt(0)
	v_mfma_f32_16x16x16_bf16 a[4:7], v[140:141], v[18:19], a[4:7]
	v_sub_f32_e32 v28, s20, v142
	v_mfma_f32_16x16x16_bf16 a[0:3], v[140:141], v[26:27], a[0:3]
	v_sub_f32_e32 v26, s20, v134
	v_sub_f32_e32 v27, s20, v135
	v_sub_f32_e32 v29, s20, v143
	v_mfma_f32_16x16x16_bf16 a[8:11], v[140:141], v[20:21], a[8:11]
	v_exp_f32_e32 v26, v26
	v_exp_f32_e32 v27, v27
	;; [unrolled: 1-line block ×4, first 2 shown]
	v_accvgpr_read_b32 v33, a5
	v_accvgpr_read_b32 v32, a4
	;; [unrolled: 1-line block ×4, first 2 shown]
	v_pk_add_f32 v[30:31], v[30:31], v[32:33] neg_lo:[0,1] neg_hi:[0,1]
	s_waitcnt vmcnt(13)
	v_lshlrev_b32_e32 v33, 16, v146
	s_waitcnt vmcnt(12)
	v_lshlrev_b32_e32 v32, 16, v147
	v_pk_add_f32 v[18:19], v[32:33], v[18:19] neg_lo:[0,1] neg_hi:[0,1]
	v_pk_mul_f32 v[30:31], v[26:27], v[30:31]
	v_pk_mul_f32 v[18:19], v[28:29], v[18:19]
	v_accvgpr_read_b32 v33, a9
	v_perm_b32 v19, v19, v18, s31
	v_perm_b32 v18, v31, v30, s31
	v_accvgpr_read_b32 v32, a8
	v_accvgpr_read_b32 v21, a11
	v_mfma_f32_16x16x16_bf16 a[12:15], v[140:141], v[24:25], a[12:15]
	v_accvgpr_read_b32 v20, a10
	v_accvgpr_read_b32 v25, a3
	;; [unrolled: 1-line block ×3, first 2 shown]
	v_mov_b32_e32 v134, 0
	s_waitcnt vmcnt(11)
	v_lshlrev_b32_e32 v31, 16, v136
	s_waitcnt vmcnt(10)
	v_lshlrev_b32_e32 v30, 16, v137
	v_pk_add_f32 v[30:31], v[30:31], v[32:33] neg_lo:[0,1] neg_hi:[0,1]
	s_waitcnt vmcnt(9)
	v_lshlrev_b32_e32 v33, 16, v148
	s_waitcnt vmcnt(8)
	v_lshlrev_b32_e32 v32, 16, v149
	v_pk_add_f32 v[20:21], v[32:33], v[20:21] neg_lo:[0,1] neg_hi:[0,1]
	v_pk_mul_f32 v[30:31], v[26:27], v[30:31]
	v_pk_mul_f32 v[20:21], v[28:29], v[20:21]
	v_accvgpr_read_b32 v23, a15
	v_perm_b32 v21, v21, v20, s31
	v_perm_b32 v20, v31, v30, s31
	ds_write2_b64 v87, v[18:19], v[20:21] offset1:16
	v_accvgpr_read_b32 v21, a13
	s_waitcnt vmcnt(7)
	v_lshlrev_b32_e32 v19, 16, v150
	s_waitcnt vmcnt(6)
	v_lshlrev_b32_e32 v18, 16, v151
	v_accvgpr_read_b32 v20, a12
	v_accvgpr_read_b32 v22, a14
	v_pk_add_f32 v[18:19], v[18:19], v[20:21] neg_lo:[0,1] neg_hi:[0,1]
	s_waitcnt vmcnt(5)
	v_lshlrev_b32_e32 v21, 16, v152
	s_waitcnt vmcnt(4)
	v_lshlrev_b32_e32 v20, 16, v153
	v_pk_add_f32 v[20:21], v[20:21], v[22:23] neg_lo:[0,1] neg_hi:[0,1]
	v_pk_mul_f32 v[18:19], v[26:27], v[18:19]
	v_pk_mul_f32 v[20:21], v[28:29], v[20:21]
	v_accvgpr_read_b32 v23, a1
	v_perm_b32 v21, v21, v20, s31
	v_perm_b32 v20, v19, v18, s31
	s_waitcnt vmcnt(3)
	v_lshlrev_b32_e32 v19, 16, v138
	s_waitcnt vmcnt(2)
	v_lshlrev_b32_e32 v18, 16, v139
	v_accvgpr_read_b32 v22, a0
	v_pk_add_f32 v[18:19], v[18:19], v[22:23] neg_lo:[0,1] neg_hi:[0,1]
	s_waitcnt vmcnt(1)
	v_lshlrev_b32_e32 v23, 16, v154
	s_waitcnt vmcnt(0)
	v_lshlrev_b32_e32 v22, 16, v155
	v_pk_add_f32 v[22:23], v[22:23], v[24:25] neg_lo:[0,1] neg_hi:[0,1]
	v_pk_mul_f32 v[18:19], v[26:27], v[18:19]
	v_pk_mul_f32 v[22:23], v[28:29], v[22:23]
	v_mov_b32_e32 v24, 0
	v_perm_b32 v23, v23, v22, s31
	v_perm_b32 v22, v19, v18, s31
	ds_write2_b64 v87, v[20:21], v[22:23] offset0:32 offset1:48
	v_mov_b32_e32 v18, 0
	v_mov_b32_e32 v19, 0
	;; [unrolled: 1-line block ×15, first 2 shown]
	s_cbranch_vccnz .LBB192_14
; %bb.13:                               ;   in Loop: Header=BB192_6 Depth=1
	s_and_b32 s25, s25, 0xffff
	s_mov_b32 s27, s23
	buffer_load_dwordx4 v[30:33], v124, s[24:27], 0 offen
	buffer_load_dwordx4 v[22:25], v124, s[24:27], s54 offen
	;; [unrolled: 1-line block ×4, first 2 shown]
	v_mov_b32_e32 v133, v81
	v_mov_b32_e32 v134, v80
.LBB192_14:                             ;   in Loop: Header=BB192_6 Depth=1
	s_waitcnt lgkmcnt(0)
	s_barrier
	ds_read_b64 v[144:145], v127
	ds_read2_b64 v[136:139], v117 offset1:16
	ds_read_b64 v[160:161], v128
	ds_read_b64 v[162:163], v129
	;; [unrolled: 1-line block ×3, first 2 shown]
	ds_read2_b64 v[140:143], v117 offset0:32 offset1:48
	s_waitcnt lgkmcnt(4)
	v_mfma_f32_16x16x16_bf16 a[0:3], v[144:145], v[136:137], 0
	ds_read2st64_b64 v[148:151], v119 offset0:4 offset1:8
	ds_read2st64_b64 v[152:155], v120 offset0:4 offset1:8
	;; [unrolled: 1-line block ×3, first 2 shown]
	v_mfma_f32_16x16x16_bf16 a[4:7], v[144:145], v[138:139], 0
	s_add_i32 s21, s48, s62
	s_mul_hi_i32 s25, s21, s13
	s_mul_i32 s21, s21, s13
	s_waitcnt lgkmcnt(3)
	v_mfma_f32_16x16x16_bf16 a[8:11], v[144:145], v[140:141], 0
	s_add_u32 s24, s21, s33
	s_addc_u32 s25, s25, s52
	s_lshl_b64 s[24:25], s[24:25], 15
	v_mfma_f32_16x16x16_bf16 a[12:15], v[144:145], v[142:143], 0
	ds_read2st64_b64 v[144:147], v117 offset0:4 offset1:8
	s_waitcnt lgkmcnt(0)
	v_mfma_f32_16x16x16_bf16 a[0:3], v[160:161], v[144:145], a[0:3]
	v_mfma_f32_16x16x16_bf16 a[4:7], v[160:161], v[148:149], a[4:7]
	;; [unrolled: 1-line block ×8, first 2 shown]
	ds_read_b64 v[160:161], v117 offset:6144
	ds_read_b64 v[162:163], v118 offset:40960
	;; [unrolled: 1-line block ×8, first 2 shown]
	s_waitcnt lgkmcnt(5)
	v_mfma_f32_16x16x16_bf16 a[16:19], v[166:167], v[136:137], 0
	v_mfma_f32_16x16x16_bf16 a[20:23], v[166:167], v[138:139], 0
	ds_read2st64_b64 v[136:139], v114 offset1:8
	v_mfma_f32_16x16x16_bf16 a[24:27], v[166:167], v[140:141], 0
	v_mfma_f32_16x16x16_bf16 a[28:31], v[166:167], v[142:143], 0
	ds_read2st64_b64 v[140:143], v115 offset1:8
	v_mfma_f32_16x16x16_bf16 a[16:19], v[162:163], v[144:145], a[16:19]
	s_waitcnt lgkmcnt(1)
	v_mov_b32_e32 v144, v136
	v_mov_b32_e32 v145, v137
	v_mfma_f32_16x16x16_bf16 a[20:23], v[162:163], v[148:149], a[20:23]
	v_lshl_add_u64 v[148:149], v[70:71], 0, s[24:25]
	v_mfma_f32_16x16x16_bf16 a[24:27], v[162:163], v[152:153], a[24:27]
	v_mfma_f32_16x16x16_bf16 a[28:31], v[162:163], v[156:157], a[28:31]
	;; [unrolled: 1-line block ×3, first 2 shown]
	s_waitcnt lgkmcnt(0)
	v_mov_b32_e32 v146, v140
	v_mov_b32_e32 v147, v141
	;; [unrolled: 1-line block ×3, first 2 shown]
	v_mfma_f32_16x16x16_bf16 a[32:35], v[174:175], v[150:151], a[20:23]
	v_mov_b32_e32 v141, v139
	ds_read2st64_b64 v[136:139], v114 offset0:16 offset1:24
	global_store_dwordx4 v[148:149], v[144:147], off
	v_mfma_f32_16x16x16_bf16 a[24:27], v[174:175], v[154:155], a[24:27]
	ds_read2st64_b64 v[144:147], v115 offset0:16 offset1:24
	v_add_co_u32_e32 v150, vcc, s35, v148
	v_mfma_f32_16x16x16_bf16 a[28:31], v[174:175], v[158:159], a[28:31]
	s_nop 0
	v_addc_co_u32_e32 v151, vcc, 0, v149, vcc
	global_store_dwordx4 v[150:151], v[140:143], off offset:-4096
	v_mfma_f32_16x16x16_bf16 a[0:3], v[164:165], v[160:161], a[0:3]
	s_waitcnt lgkmcnt(1)
	v_mov_b32_e32 v140, v136
	v_add_co_u32_e32 v136, vcc, s60, v148
	v_mfma_f32_16x16x16_bf16 a[4:7], v[164:165], v[168:169], a[4:7]
	v_mov_b32_e32 v141, v137
	v_addc_co_u32_e32 v137, vcc, 0, v149, vcc
	v_mfma_f32_16x16x16_bf16 a[8:11], v[164:165], v[170:171], a[8:11]
	s_waitcnt lgkmcnt(0)
	v_mov_b32_e32 v142, v144
	v_mov_b32_e32 v143, v145
	;; [unrolled: 1-line block ×3, first 2 shown]
	v_mfma_f32_16x16x16_bf16 a[12:15], v[164:165], v[172:173], a[12:15]
	v_mov_b32_e32 v145, v139
	s_and_b64 vcc, exec, s[0:1]
	global_store_dwordx4 v[150:151], v[140:143], off
	v_mfma_f32_16x16x16_bf16 a[20:23], v[176:177], v[160:161], a[16:19]
	global_store_dwordx4 v[136:137], v[144:147], off
	v_mfma_f32_16x16x16_bf16 a[16:19], v[176:177], v[168:169], a[32:35]
	v_mfma_f32_16x16x16_bf16 a[24:27], v[176:177], v[170:171], a[24:27]
	;; [unrolled: 1-line block ×3, first 2 shown]
	s_cbranch_vccnz .LBB192_16
; %bb.15:                               ;   in Loop: Header=BB192_6 Depth=1
	v_lshrrev_b32_e32 v135, 3, v133
	v_and_b32_e32 v135, 6, v135
	v_xor_b32_e32 v134, v135, v134
	v_lshlrev_b32_e32 v134, 2, v134
	v_and_b32_e32 v133, 8, v133
	v_xor_b32_e32 v136, 0x440, v134
	v_cmp_eq_u32_e32 vcc, 0, v133
	s_barrier
	s_nop 0
	v_cndmask_b32_e32 v133, v136, v134, vcc
	v_lshl_or_b32 v133, v135, 10, v133
	s_waitcnt vmcnt(5)
	v_perm_b32 v134, v30, v26, s56
	s_waitcnt vmcnt(4)
	v_perm_b32 v135, v22, v18, s56
	ds_write2st64_b32 v133, v134, v135 offset0:128 offset1:160
	v_xor_b32_e32 v134, 8, v133
	v_perm_b32 v26, v30, v26, s57
	v_perm_b32 v18, v22, v18, s57
	v_add_u32_e32 v22, 0x80, v134
	ds_write2st64_b32 v22, v26, v18 offset0:128 offset1:160
	v_xor_b32_e32 v18, 16, v133
	v_perm_b32 v22, v31, v27, s56
	v_perm_b32 v26, v23, v19, s56
	ds_write2st64_b32 v18, v22, v26 offset0:129 offset1:161
	v_xor_b32_e32 v18, 24, v133
	v_perm_b32 v22, v31, v27, s57
	v_perm_b32 v19, v23, v19, s57
	v_add_u32_e32 v18, 0x80, v18
	ds_write2st64_b32 v18, v22, v19 offset0:129 offset1:161
	v_xor_b32_e32 v18, 32, v133
	v_perm_b32 v19, v32, v28, s56
	v_perm_b32 v22, v24, v20, s56
	ds_write2st64_b32 v18, v19, v22 offset0:130 offset1:162
	v_xor_b32_e32 v18, 40, v133
	v_perm_b32 v19, v32, v28, s57
	v_perm_b32 v20, v24, v20, s57
	v_add_u32_e32 v18, 0x80, v18
	ds_write2st64_b32 v18, v19, v20 offset0:130 offset1:162
	v_xor_b32_e32 v18, 48, v133
	v_perm_b32 v19, v33, v29, s56
	v_perm_b32 v20, v25, v21, s56
	ds_write2st64_b32 v18, v19, v20 offset0:131 offset1:163
	v_xor_b32_e32 v18, 56, v133
	v_perm_b32 v19, v33, v29, s57
	v_perm_b32 v20, v25, v21, s57
	v_add_u32_e32 v18, 0x80, v18
	ds_write2st64_b32 v18, v19, v20 offset0:131 offset1:163
	ds_write_b64 v132, v[14:15] offset:49152
	v_xor_b32_e32 v14, 8, v132
	ds_write_b64 v14, v[16:17] offset:49152
	ds_write_b64 v132, v[10:11] offset:57344
	;; [unrolled: 1-line block ×4, first 2 shown]
	v_xor_b32_e32 v6, 8, v131
	ds_write_b64 v6, v[8:9] offset:49152
	ds_write_b64 v131, v[2:3] offset:57344
	;; [unrolled: 1-line block ×3, first 2 shown]
.LBB192_16:                             ;   in Loop: Header=BB192_6 Depth=1
	v_exp_f32_e32 v132, s20
	v_accvgpr_read_b32 v5, a3
	v_accvgpr_read_b32 v9, a7
	;; [unrolled: 1-line block ×4, first 2 shown]
	s_waitcnt vmcnt(4)
	v_accvgpr_read_b32 v18, a20
	v_accvgpr_read_b32 v25, a19
	;; [unrolled: 1-line block ×28, first 2 shown]
	s_add_i32 s55, s55, 64
	v_pk_fma_f32 v[62:63], v[132:133], v[62:63], v[2:3] op_sel_hi:[0,1,1]
	v_pk_fma_f32 v[64:65], v[132:133], v[64:65], v[4:5] op_sel_hi:[0,1,1]
	;; [unrolled: 1-line block ×15, first 2 shown]
	s_cmp_eq_u32 s46, s61
	v_pk_fma_f32 v[38:39], v[132:133], v[38:39], v[32:33] op_sel_hi:[0,1,1]
	s_cbranch_scc1 .LBB192_18
; %bb.17:                               ;   in Loop: Header=BB192_6 Depth=1
	s_mov_b32 s62, s61
	s_branch .LBB192_6
.LBB192_18:
	s_lshl_b32 s40, s46, 6
	s_sub_i32 s41, s12, s40
	s_cmp_gt_i32 s41, 0
	s_cbranch_scc0 .LBB192_99
; %bb.19:
	s_ashr_i32 s35, s45, 31
	s_ashr_i32 s2, s40, 31
	s_cmpk_lg_i32 s15, 0x80
	s_cselect_b64 s[26:27], -1, 0
	s_and_b64 vcc, exec, s[26:27]
	s_cbranch_vccz .LBB192_21
; %bb.20:
	s_mul_i32 s1, s45, s12
	s_mul_hi_i32 s0, s45, s12
	s_add_u32 s1, s1, s40
	s_addc_u32 s0, s0, s2
	s_mul_i32 s3, s1, s47
	s_mul_hi_u32 s20, s1, s14
	s_add_i32 s3, s20, s3
	s_mul_i32 s0, s0, s14
	s_add_i32 s3, s3, s0
	s_mul_i32 s1, s1, s14
	s_ashr_i32 s0, s50, 31
	s_add_u32 s38, s1, s50
	s_addc_u32 s39, s3, s0
	s_cbranch_execz .LBB192_22
	s_branch .LBB192_23
.LBB192_21:
                                        ; implicit-def: $sgpr38_sgpr39
.LBB192_22:
	s_mul_hi_i32 s0, s45, s14
	s_mul_i32 s45, s45, s14
	s_ashr_i32 s1, s50, 31
	s_add_u32 s3, s45, s50
	s_addc_u32 s0, s0, s1
	s_mul_i32 s1, s3, s44
	s_mul_hi_u32 s14, s3, s12
	s_add_i32 s1, s14, s1
	s_mul_i32 s0, s0, s12
	s_add_i32 s1, s1, s0
	s_mul_i32 s3, s3, s12
	s_add_u32 s38, s3, s40
	s_addc_u32 s39, s1, s2
.LBB192_23:
	s_add_i32 s3, s48, s46
	s_ashr_i32 s14, s33, 31
	s_add_u32 s0, s43, s33
	s_addc_u32 s1, s49, s14
	s_mul_i32 s20, s0, s44
	s_mul_hi_u32 s21, s0, s12
	s_add_i32 s20, s21, s20
	s_mul_i32 s1, s1, s12
	s_add_i32 s20, s20, s1
	s_mul_i32 s0, s0, s12
	s_add_u32 s0, s0, s40
	v_lshlrev_b32_e32 v6, 6, v78
	v_lshlrev_b32_e32 v24, 2, v72
	s_addc_u32 s1, s20, s2
	s_mov_b32 s2, 0x7060302
	v_or_b32_e32 v9, v6, v24
	v_xor_b32_e32 v7, v78, v24
	v_perm_b32 v3, v65, v64, s2
	v_perm_b32 v2, v63, v62, s2
	;; [unrolled: 1-line block ×4, first 2 shown]
	v_lshlrev_b32_e32 v9, 1, v9
	v_xor_b32_e32 v8, v79, v24
	ds_write2st64_b64 v9, v[2:3], v[4:5] offset0:32 offset1:48
	v_lshlrev_b32_e32 v7, 1, v7
	v_lshlrev_b32_e32 v9, 8, v72
	v_or_b32_e32 v10, v7, v9
	v_lshlrev_b32_e32 v8, 1, v8
	ds_write_b64 v10, v[2:3]
	v_or_b32_e32 v2, v8, v9
	v_or_b32_e32 v9, 16, v72
	v_lshlrev_b32_e32 v23, 2, v9
	v_or_b32_e32 v10, v6, v23
	ds_write_b64 v2, v[4:5]
	v_perm_b32 v3, v57, v56, s2
	v_perm_b32 v2, v55, v54, s2
	;; [unrolled: 1-line block ×4, first 2 shown]
	v_lshlrev_b32_e32 v10, 1, v10
	v_lshlrev_b32_e32 v9, 8, v9
	ds_write2st64_b64 v10, v[2:3], v[4:5] offset0:32 offset1:48
	v_or_b32_e32 v10, v7, v9
	ds_write_b64 v10, v[2:3]
	v_or_b32_e32 v2, v8, v9
	v_or_b32_e32 v9, 32, v72
	v_lshlrev_b32_e32 v22, 2, v9
	v_or_b32_e32 v10, v6, v22
	s_lshl_b64 s[24:25], s[0:1], 8
	ds_write_b64 v2, v[4:5]
	v_perm_b32 v3, v49, v48, s2
	v_perm_b32 v2, v47, v46, s2
	;; [unrolled: 1-line block ×4, first 2 shown]
	v_lshlrev_b32_e32 v10, 1, v10
	v_lshlrev_b32_e32 v9, 8, v9
	s_add_u32 s0, s6, s24
	ds_write2st64_b64 v10, v[2:3], v[4:5] offset0:32 offset1:48
	v_or_b32_e32 v10, v7, v9
	s_addc_u32 s1, s7, s25
	ds_write_b64 v10, v[2:3]
	v_or_b32_e32 v2, v8, v9
	v_or_b32_e32 v9, 48, v72
	s_mul_hi_i32 s6, s3, s13
	s_mul_i32 s3, s3, s13
	ds_write_b64 v2, v[4:5]
	v_perm_b32 v3, v35, v34, s2
	v_perm_b32 v2, v41, v40, s2
	;; [unrolled: 1-line block ×4, first 2 shown]
	v_lshlrev_b32_e32 v19, 2, v9
	s_add_u32 s2, s3, s33
	v_or_b32_e32 v6, v6, v19
	s_addc_u32 s3, s6, s14
	v_lshlrev_b32_e32 v6, 1, v6
	s_ashr_i32 s31, s30, 31
	s_lshl_b64 s[2:3], s[2:3], 15
	ds_write2st64_b64 v6, v[2:3], v[4:5] offset0:32 offset1:48
	v_lshlrev_b32_e32 v6, 8, v9
	s_add_u32 s6, s36, s2
	v_or_b32_e32 v7, v7, v6
	s_addc_u32 s7, s37, s3
	s_lshl_b64 s[2:3], s[30:31], 8
	ds_write_b64 v7, v[2:3]
	v_or_b32_e32 v2, v8, v6
	s_add_u32 s2, s6, s2
	v_lshlrev_b32_e32 v3, 1, v72
	ds_write_b64 v2, v[4:5]
	v_lshrrev_b32_e32 v2, 4, v0
	s_addc_u32 s3, s7, s3
	v_or_b32_e32 v4, 1, v3
	v_lshlrev_b32_e32 v10, 4, v72
	v_mov_b32_e32 v11, 0
	v_xor_b32_e32 v3, v2, v3
	v_xor_b32_e32 v6, v4, v2
	v_lshl_add_u64 v[12:13], s[2:3], 0, v[10:11]
	v_lshlrev_b32_e32 v10, 8, v2
	v_lshl_or_b32 v16, v3, 3, v10
	v_lshl_or_b32 v17, v6, 3, v10
	s_waitcnt lgkmcnt(0)
	s_barrier
	ds_read2st64_b64 v[2:5], v16 offset1:8
	ds_read2st64_b64 v[6:9], v17 offset1:8
	v_lshl_add_u64 v[14:15], v[12:13], 0, v[10:11]
	s_movk_i32 s2, 0x2000
	s_cmp_lg_u32 s41, 64
	s_waitcnt lgkmcnt(1)
	v_mov_b32_e32 v10, v2
	v_mov_b32_e32 v11, v3
	s_waitcnt lgkmcnt(0)
	v_mov_b32_e32 v12, v6
	v_mov_b32_e32 v13, v7
	global_store_dwordx4 v[14:15], v[10:13], off
	v_mov_b32_e32 v6, v4
	v_mov_b32_e32 v7, v5
	ds_read2st64_b64 v[2:5], v16 offset0:16 offset1:24
	ds_read2st64_b64 v[10:13], v17 offset0:16 offset1:24
	v_add_co_u32_e32 v16, vcc, s2, v14
	s_cselect_b64 s[6:7], -1, 0
	s_nop 0
	v_addc_co_u32_e32 v17, vcc, 0, v15, vcc
	global_store_dwordx4 v[16:17], v[6:9], off offset:-4096
	v_lshl_or_b32 v25, v74, 3, v77
	s_mov_b32 s20, 0
	s_waitcnt lgkmcnt(1)
	v_mov_b32_e32 v6, v2
	v_add_co_u32_e32 v2, vcc, 0x3000, v14
	v_mov_b32_e32 v7, v3
	s_nop 0
	v_addc_co_u32_e32 v3, vcc, 0, v15, vcc
	s_waitcnt lgkmcnt(0)
	v_mov_b32_e32 v8, v10
	v_mov_b32_e32 v9, v11
	;; [unrolled: 1-line block ×4, first 2 shown]
	v_or_b32_e32 v20, 32, v25
	v_and_b32_e32 v18, 56, v76
	s_and_b64 vcc, exec, s[6:7]
	global_store_dwordx4 v[16:17], v[6:9], off
	global_store_dwordx4 v[2:3], v[10:13], off
	s_cbranch_vccz .LBB192_29
; %bb.24:
	s_mov_b32 s21, s20
	s_mov_b32 s22, s20
	s_mov_b32 s23, s20
	v_mov_b64_e32 v[6:7], s[20:21]
	v_mov_b64_e32 v[8:9], s[22:23]
	;; [unrolled: 1-line block ×3, first 2 shown]
	v_cmp_gt_i32_e32 vcc, s41, v25
	v_mov_b64_e32 v[4:5], v[8:9]
	s_and_saveexec_b64 s[2:3], vcc
	s_cbranch_execz .LBB192_26
; %bb.25:
	v_lshlrev_b32_e32 v2, 8, v25
	v_mov_b32_e32 v3, 0
	v_lshl_add_u64 v[4:5], s[0:1], 0, v[2:3]
	v_lshlrev_b32_e32 v2, 1, v18
	v_lshl_add_u64 v[10:11], v[4:5], 0, v[2:3]
	global_load_dwordx4 v[6:9], v[10:11], off
	global_load_dwordx4 v[2:5], v[10:11], off offset:128
.LBB192_26:
	s_or_b64 exec, exec, s[2:3]
	s_mov_b32 s21, s20
	s_mov_b32 s22, s20
	;; [unrolled: 1-line block ×3, first 2 shown]
	v_mov_b64_e32 v[14:15], s[20:21]
	v_mov_b64_e32 v[16:17], s[22:23]
	;; [unrolled: 1-line block ×3, first 2 shown]
	v_cmp_gt_i32_e32 vcc, s41, v20
	v_lshlrev_b32_e32 v21, 7, v20
	v_mov_b64_e32 v[12:13], v[16:17]
	s_and_saveexec_b64 s[2:3], vcc
	s_cbranch_execz .LBB192_28
; %bb.27:
	v_lshlrev_b32_e32 v10, 1, v21
	v_mov_b32_e32 v11, 0
	v_lshl_add_u64 v[12:13], s[0:1], 0, v[10:11]
	v_lshlrev_b32_e32 v10, 1, v18
	v_lshl_add_u64 v[26:27], v[12:13], 0, v[10:11]
	global_load_dwordx4 v[14:17], v[26:27], off
	global_load_dwordx4 v[10:13], v[26:27], off offset:128
.LBB192_28:
	s_or_b64 exec, exec, s[2:3]
	v_lshrrev_b32_e32 v26, 3, v18
	v_lshlrev_b32_e32 v27, 3, v25
	v_or_b32_e32 v26, v27, v26
	v_lshlrev_b32_e32 v26, 4, v26
	v_and_b32_e32 v27, 0x78, v27
	v_xor_b32_e32 v26, v26, v27
	s_branch .LBB192_31
.LBB192_29:
                                        ; implicit-def: $vgpr26
                                        ; implicit-def: $vgpr21
                                        ; implicit-def: $vgpr6_vgpr7_vgpr8_vgpr9
                                        ; implicit-def: $vgpr2_vgpr3_vgpr4_vgpr5
                                        ; implicit-def: $vgpr14_vgpr15_vgpr16_vgpr17
                                        ; implicit-def: $vgpr10_vgpr11_vgpr12_vgpr13
	s_cbranch_execz .LBB192_31
; %bb.30:
	s_waitcnt vmcnt(0)
	v_lshlrev_b32_e32 v2, 1, v18
	v_lshl_or_b32 v21, v25, 8, v2
	s_and_b32 s1, s1, 0xffff
	s_mov_b32 s3, 0x20000
	s_movk_i32 s2, 0x4000
	v_lshl_or_b32 v26, v20, 8, v2
	s_movk_i32 s13, 0x80
	buffer_load_dwordx4 v[6:9], v21, s[0:3], 0 offen
	buffer_load_dwordx4 v[2:5], v21, s[0:3], s13 offen
	;; [unrolled: 1-line block ×4, first 2 shown]
	v_lshrrev_b32_e32 v21, 3, v18
	v_lshlrev_b32_e32 v26, 3, v25
	v_or_b32_e32 v21, v26, v21
	v_lshlrev_b32_e32 v21, 4, v21
	v_and_b32_e32 v26, 0x78, v26
	v_xor_b32_e32 v26, v21, v26
	v_lshlrev_b32_e32 v21, 7, v20
.LBB192_31:
	s_movk_i32 s0, 0x1000
	v_and_or_b32 v20, v21, s0, v26
	s_waitcnt vmcnt(1)
	ds_write_b64 v26, v[6:7] offset:49152
	v_xor_b32_e32 v6, 8, v26
	ds_write_b64 v6, v[8:9] offset:49152
	s_waitcnt vmcnt(0)
	ds_write_b64 v26, v[2:3] offset:57344
	ds_write_b64 v6, v[4:5] offset:57344
	;; [unrolled: 1-line block ×3, first 2 shown]
	v_xor_b32_e32 v2, 8, v20
	ds_write_b64 v2, v[16:17] offset:49152
	ds_write_b64 v20, v[10:11] offset:57344
	;; [unrolled: 1-line block ×3, first 2 shown]
	v_or_b32_e32 v2, v1, v72
	v_lshlrev_b32_e32 v3, 11, v74
	v_lshlrev_b32_e32 v2, 3, v2
	v_and_b32_e32 v6, 0x1000, v3
	v_lshrrev_b32_e32 v3, 5, v73
	s_movk_i32 s0, 0xf8
	v_and_or_b32 v3, v2, s0, v3
	v_lshlrev_b32_e32 v7, 4, v3
	v_and_b32_e32 v8, 0x78, v2
	v_or_b32_e32 v10, 32, v7
	v_lshrrev_b32_e32 v3, 1, v73
	v_xor_b32_e32 v10, v10, v8
	v_xor_b32_e32 v2, v7, v8
	v_and_b32_e32 v9, 8, v3
	v_or_b32_e32 v10, v10, v6
	v_or_b32_e32 v2, v2, v6
	v_xor_b32_e32 v28, v10, v9
	v_or_b32_e32 v10, 64, v7
	v_xor_b32_e32 v27, v2, v9
	v_xor_b32_e32 v10, v10, v8
	s_waitcnt lgkmcnt(0)
	s_barrier
	v_or_b32_e32 v13, v10, v6
	ds_read_b64 v[10:11], v27 offset:49152
	v_lshl_or_b32 v14, v75, 8, v24
	v_lshlrev_b32_e32 v26, 1, v14
	v_add_u32_e32 v12, 0x4000, v26
	ds_read2_b64 v[2:5], v12 offset1:16
	v_or_b32_e32 v7, 0x60, v7
	v_xor_b32_e32 v7, v7, v8
	v_or_b32_e32 v6, v7, v6
	v_xor_b32_e32 v29, v13, v9
	v_xor_b32_e32 v30, v6, v9
	ds_read_b64 v[20:21], v28 offset:49152
	ds_read_b64 v[34:35], v29 offset:49152
	;; [unrolled: 1-line block ×3, first 2 shown]
	s_waitcnt lgkmcnt(3)
	v_mfma_f32_16x16x16_bf16 a[0:3], v[10:11], v[2:3], 0
	ds_read2_b64 v[6:9], v12 offset0:32 offset1:48
	s_lshl_b64 s[0:1], s[38:39], 8
	s_add_u32 s4, s4, s0
	v_mfma_f32_16x16x16_bf16 a[4:7], v[10:11], v[4:5], 0
	ds_read2st64_b64 v[2:5], v26 offset0:36 offset1:40
	s_addc_u32 s5, s5, s1
	s_add_i32 s2, s12, -1
	s_waitcnt lgkmcnt(1)
	v_mfma_f32_16x16x16_bf16 a[8:11], v[10:11], v[6:7], 0
	v_or_b32_e32 v6, 64, v14
	v_lshlrev_b32_e32 v31, 1, v6
	s_add_i32 s0, s42, s17
	s_waitcnt lgkmcnt(0)
	v_mfma_f32_16x16x16_bf16 a[0:3], v[20:21], v[2:3], a[0:3]
	v_or_b32_e32 v2, 0x80, v14
	v_lshlrev_b32_e32 v32, 1, v2
	v_or_b32_e32 v2, 0xc0, v14
	v_mfma_f32_16x16x16_bf16 a[12:15], v[10:11], v[8:9], 0
	ds_read2st64_b64 v[6:9], v31 offset0:36 offset1:40
	v_lshlrev_b32_e32 v33, 1, v2
	ds_read2st64_b64 v[10:13], v32 offset0:36 offset1:40
	ds_read2st64_b64 v[14:17], v33 offset0:36 offset1:40
	s_mul_i32 s35, s35, s16
	s_add_i32 s35, s0, s35
	s_mul_i32 s0, s33, s19
	s_mul_hi_u32 s1, s33, s18
	s_ashr_i32 s3, s2, 31
	s_mul_i32 s12, s2, s29
	s_mul_hi_u32 s13, s2, s28
	s_waitcnt lgkmcnt(2)
	v_mfma_f32_16x16x16_bf16 a[4:7], v[20:21], v[6:7], a[4:7]
	s_add_i32 s0, s1, s0
	s_mul_i32 s1, s14, s18
	s_add_i32 s12, s13, s12
	s_mul_i32 s3, s3, s28
	s_waitcnt lgkmcnt(1)
	v_mfma_f32_16x16x16_bf16 a[8:11], v[20:21], v[10:11], a[8:11]
	s_add_i32 s1, s0, s1
	s_add_i32 s3, s12, s3
	s_lshl_b64 s[12:13], s[34:35], 2
	s_waitcnt lgkmcnt(0)
	v_mfma_f32_16x16x16_bf16 a[12:15], v[20:21], v[14:15], a[12:15]
	s_mul_i32 s0, s33, s18
	s_add_u32 s10, s10, s12
	s_addc_u32 s11, s11, s13
	s_lshl_b64 s[0:1], s[0:1], 2
	v_mfma_f32_16x16x16_bf16 a[0:3], v[34:35], v[4:5], a[0:3]
	s_mul_i32 s2, s2, s28
	ds_read_b64 v[2:3], v26 offset:22528
	s_add_u32 s10, s10, s0
	v_mfma_f32_16x16x16_bf16 a[4:7], v[34:35], v[8:9], a[4:7]
	ds_read_b64 v[4:5], v31 offset:22528
	ds_read_b64 v[6:7], v32 offset:22528
	;; [unrolled: 1-line block ×3, first 2 shown]
	s_addc_u32 s11, s11, s1
	s_lshl_b64 s[0:1], s[2:3], 2
	v_mfma_f32_16x16x16_bf16 a[8:11], v[34:35], v[12:13], a[8:11]
	s_add_u32 s0, s10, s0
	s_addc_u32 s1, s11, s1
	s_load_dword s12, s[0:1], 0x0
	v_mfma_f32_16x16x16_bf16 a[12:15], v[34:35], v[16:17], a[12:15]
	s_and_b64 vcc, exec, s[26:27]
	s_waitcnt lgkmcnt(0)
	v_mfma_f32_16x16x16_bf16 a[0:3], v[36:37], v[2:3], a[0:3]
	v_mfma_f32_16x16x16_bf16 a[4:7], v[36:37], v[4:5], a[4:7]
	;; [unrolled: 1-line block ×4, first 2 shown]
	s_cbranch_vccz .LBB192_42
; %bb.32:
	v_lshlrev_b32_e32 v20, 1, v25
	s_and_b64 vcc, exec, s[6:7]
	s_cbranch_vccz .LBB192_43
; %bb.33:
	v_cmp_gt_i32_e32 vcc, s41, v20
	v_mov_b32_e32 v6, 0
	v_mov_b32_e32 v2, 0
	;; [unrolled: 1-line block ×5, first 2 shown]
	s_and_saveexec_b64 s[0:1], vcc
	s_cbranch_execz .LBB192_35
; %bb.34:
	v_mad_i64_i32 v[2:3], s[2:3], s15, v20, 0
	v_lshl_add_u64 v[2:3], v[2:3], 1, s[4:5]
	v_lshlrev_b32_e32 v4, 1, v18
	v_mov_b32_e32 v5, 0
	v_lshl_add_u64 v[2:3], v[2:3], 0, v[4:5]
	global_load_dwordx4 v[2:5], v[2:3], off
.LBB192_35:
	s_or_b64 exec, exec, s[0:1]
	v_or_b32_e32 v21, 1, v20
	v_cmp_gt_i32_e64 s[0:1], s41, v21
	v_mov_b32_e32 v7, 0
	v_mov_b32_e32 v8, 0
	;; [unrolled: 1-line block ×3, first 2 shown]
	s_and_saveexec_b64 s[2:3], s[0:1]
	s_cbranch_execz .LBB192_37
; %bb.36:
	v_mad_i64_i32 v[6:7], s[16:17], s15, v21, 0
	v_lshl_add_u64 v[6:7], v[6:7], 1, s[4:5]
	v_lshlrev_b32_e32 v8, 1, v18
	v_mov_b32_e32 v9, 0
	v_lshl_add_u64 v[6:7], v[6:7], 0, v[8:9]
	global_load_dwordx4 v[6:9], v[6:7], off
.LBB192_37:
	s_or_b64 exec, exec, s[2:3]
	v_mov_b32_e32 v17, 0
	v_mov_b32_e32 v10, 0
	;; [unrolled: 1-line block ×5, first 2 shown]
	s_and_saveexec_b64 s[2:3], vcc
	s_cbranch_execz .LBB192_39
; %bb.38:
	v_mad_i64_i32 v[10:11], s[16:17], s15, v20, 0
	v_lshl_add_u64 v[10:11], v[10:11], 1, s[4:5]
	v_lshlrev_b32_e32 v12, 1, v18
	v_mov_b32_e32 v13, 0
	v_lshl_add_u64 v[10:11], v[10:11], 0, v[12:13]
	global_load_dwordx4 v[10:13], v[10:11], off offset:128
.LBB192_39:
	s_or_b64 exec, exec, s[2:3]
	v_mov_b32_e32 v16, 0
	v_mov_b32_e32 v15, 0
	;; [unrolled: 1-line block ×3, first 2 shown]
	s_and_saveexec_b64 s[2:3], s[0:1]
	s_cbranch_execz .LBB192_41
; %bb.40:
	v_mad_i64_i32 v[14:15], s[0:1], s15, v21, 0
	v_lshl_add_u64 v[14:15], v[14:15], 1, s[4:5]
	v_lshlrev_b32_e32 v16, 1, v18
	v_mov_b32_e32 v17, 0
	v_lshl_add_u64 v[14:15], v[14:15], 0, v[16:17]
	global_load_dwordx4 v[14:17], v[14:15], off offset:128
.LBB192_41:
	s_or_b64 exec, exec, s[2:3]
	s_branch .LBB192_45
.LBB192_42:
                                        ; implicit-def: $vgpr5
                                        ; implicit-def: $vgpr9
                                        ; implicit-def: $vgpr13
                                        ; implicit-def: $vgpr17
	v_lshrrev_b32_e32 v34, 2, v73
	s_branch .LBB192_46
.LBB192_43:
                                        ; implicit-def: $vgpr5
                                        ; implicit-def: $vgpr9
                                        ; implicit-def: $vgpr13
                                        ; implicit-def: $vgpr17
	s_cbranch_execz .LBB192_45
; %bb.44:
	s_waitcnt vmcnt(0)
	v_mad_u64_u32 v[2:3], s[0:1], v20, s15, v[18:19]
	v_lshlrev_b32_e32 v20, 1, v2
	s_lshl_b32 s2, s15, 7
	s_and_b32 s1, s5, 0xffff
	s_mov_b32 s3, 0x20000
	s_mov_b32 s0, s4
	v_add_lshl_u32 v21, v2, s15, 1
	s_movk_i32 s13, 0x80
	buffer_load_dwordx4 v[2:5], v20, s[0:3], 0 offen
	buffer_load_dwordx4 v[10:13], v20, s[0:3], s13 offen
	;; [unrolled: 1-line block ×4, first 2 shown]
.LBB192_45:
	v_lshrrev_b32_e32 v34, 2, v73
	s_cbranch_execnz .LBB192_58
.LBB192_46:
	s_and_b64 vcc, exec, s[6:7]
	s_cbranch_vccz .LBB192_56
; %bb.47:
	s_waitcnt vmcnt(0)
	v_lshlrev_b32_e32 v7, 1, v25
	v_cmp_gt_i32_e32 vcc, s41, v7
	v_mov_b32_e32 v6, 0
	v_lshlrev_b32_e32 v14, 9, v25
	v_mov_b32_e32 v2, 0
	v_mov_b32_e32 v3, 0
	;; [unrolled: 1-line block ×4, first 2 shown]
	s_and_saveexec_b64 s[0:1], vcc
	s_cbranch_execz .LBB192_49
; %bb.48:
	v_mov_b32_e32 v15, 0
	v_lshl_add_u64 v[2:3], s[4:5], 0, v[14:15]
	v_lshlrev_b32_e32 v4, 1, v18
	v_mov_b32_e32 v5, v15
	v_lshl_add_u64 v[2:3], v[2:3], 0, v[4:5]
	global_load_dwordx4 v[2:5], v[2:3], off
.LBB192_49:
	s_or_b64 exec, exec, s[0:1]
	v_or_b32_e32 v7, 1, v7
	v_cmp_gt_i32_e64 s[0:1], s41, v7
	v_lshlrev_b32_e32 v20, 8, v7
	v_mov_b32_e32 v7, 0
	v_mov_b32_e32 v8, 0
	;; [unrolled: 1-line block ×3, first 2 shown]
	s_and_saveexec_b64 s[2:3], s[0:1]
	s_cbranch_execz .LBB192_51
; %bb.50:
	v_mov_b32_e32 v21, 0
	v_lshl_add_u64 v[6:7], s[4:5], 0, v[20:21]
	v_lshlrev_b32_e32 v8, 1, v18
	v_mov_b32_e32 v9, v21
	v_lshl_add_u64 v[6:7], v[6:7], 0, v[8:9]
	global_load_dwordx4 v[6:9], v[6:7], off
.LBB192_51:
	s_or_b64 exec, exec, s[2:3]
	v_mov_b32_e32 v17, 0
	v_mov_b32_e32 v10, 0
	;; [unrolled: 1-line block ×5, first 2 shown]
	s_and_saveexec_b64 s[2:3], vcc
	s_cbranch_execz .LBB192_53
; %bb.52:
	v_mov_b32_e32 v15, 0
	v_lshl_add_u64 v[10:11], s[4:5], 0, v[14:15]
	v_lshlrev_b32_e32 v14, 1, v18
	v_lshl_add_u64 v[10:11], v[10:11], 0, v[14:15]
	global_load_dwordx4 v[10:13], v[10:11], off offset:128
.LBB192_53:
	s_or_b64 exec, exec, s[2:3]
	v_mov_b32_e32 v16, 0
	v_mov_b32_e32 v15, 0
	;; [unrolled: 1-line block ×3, first 2 shown]
	s_and_saveexec_b64 s[2:3], s[0:1]
	s_cbranch_execz .LBB192_55
; %bb.54:
	v_mov_b32_e32 v21, 0
	v_lshl_add_u64 v[14:15], s[4:5], 0, v[20:21]
	v_lshlrev_b32_e32 v20, 1, v18
	v_lshl_add_u64 v[14:15], v[14:15], 0, v[20:21]
	global_load_dwordx4 v[14:17], v[14:15], off offset:128
.LBB192_55:
	s_or_b64 exec, exec, s[2:3]
	s_branch .LBB192_58
.LBB192_56:
                                        ; implicit-def: $vgpr5
                                        ; implicit-def: $vgpr9
                                        ; implicit-def: $vgpr13
                                        ; implicit-def: $vgpr17
	s_cbranch_execz .LBB192_58
; %bb.57:
	s_waitcnt vmcnt(0)
	v_lshlrev_b32_e32 v2, 1, v18
	v_lshl_or_b32 v18, v25, 9, v2
	s_and_b32 s5, s5, 0xffff
	s_mov_b32 s7, 0x20000
	s_movk_i32 s6, 0x4000
	s_movk_i32 s0, 0x80
	buffer_load_dwordx4 v[2:5], v18, s[4:7], 0 offen
	buffer_load_dwordx4 v[6:9], v18, s[4:7], 0 offen offset:256
	buffer_load_dwordx4 v[10:13], v18, s[4:7], s0 offen
	buffer_load_dwordx4 v[14:17], v18, s[4:7], s0 offen offset:256
.LBB192_58:
	ds_read_b64 v[20:21], v27 offset:57344
	v_add_u32_e32 v18, 0x6000, v26
	ds_read2_b64 v[36:39], v18 offset1:16
	ds_read_b64 v[52:53], v28 offset:57344
	ds_read_b64 v[28:29], v29 offset:57344
	;; [unrolled: 1-line block ×3, first 2 shown]
	ds_read2st64_b64 v[40:43], v26 offset0:52 offset1:56
	s_mov_b32 s0, 0x1000504
	s_mov_b32 s1, 0x3020706
	s_waitcnt lgkmcnt(4)
	v_mfma_f32_16x16x16_bf16 a[0:3], v[20:21], v[36:37], a[0:3]
	v_mfma_f32_16x16x16_bf16 a[4:7], v[20:21], v[38:39], a[4:7]
	ds_read2_b64 v[36:39], v18 offset0:32 offset1:48
	v_and_b32_e32 v18, 6, v0
	v_xor_b32_e32 v25, v25, v18
	s_waitcnt lgkmcnt(0)
	v_mfma_f32_16x16x16_bf16 a[8:11], v[20:21], v[36:37], a[8:11]
	v_lshlrev_b32_e32 v25, 2, v25
	v_and_b32_e32 v0, 1, v0
	v_xor_b32_e32 v35, 0x440, v25
	v_mfma_f32_16x16x16_bf16 a[12:15], v[20:21], v[38:39], a[12:15]
	ds_read2st64_b64 v[36:39], v31 offset0:52 offset1:56
	ds_read2st64_b64 v[44:47], v32 offset0:52 offset1:56
	;; [unrolled: 1-line block ×3, first 2 shown]
	v_cmp_eq_u32_e32 vcc, 0, v0
	ds_read_b64 v[20:21], v26 offset:30720
	ds_read_b64 v[26:27], v31 offset:30720
	;; [unrolled: 1-line block ×4, first 2 shown]
	v_mfma_f32_16x16x16_bf16 a[0:3], v[52:53], v[40:41], a[0:3]
	v_cndmask_b32_e32 v0, v35, v25, vcc
	v_lshl_or_b32 v0, v18, 10, v0
	s_waitcnt vmcnt(0)
	v_perm_b32 v18, v2, v6, s0
	s_waitcnt lgkmcnt(6)
	v_mfma_f32_16x16x16_bf16 a[4:7], v[52:53], v[36:37], a[4:7]
	v_perm_b32 v25, v10, v14, s0
	ds_write2st64_b32 v0, v18, v25 offset0:128 offset1:160
	v_xor_b32_e32 v18, 8, v0
	s_waitcnt lgkmcnt(6)
	v_mfma_f32_16x16x16_bf16 a[8:11], v[52:53], v[44:45], a[8:11]
	v_perm_b32 v2, v2, v6, s1
	v_perm_b32 v6, v10, v14, s1
	v_add_u32_e32 v10, 0x80, v18
	s_waitcnt lgkmcnt(5)
	v_mfma_f32_16x16x16_bf16 a[12:15], v[52:53], v[48:49], a[12:15]
	ds_write2st64_b32 v10, v2, v6 offset0:128 offset1:160
	v_xor_b32_e32 v2, 16, v0
	v_perm_b32 v6, v3, v7, s0
	v_mfma_f32_16x16x16_bf16 a[0:3], v[28:29], v[42:43], a[0:3]
	v_perm_b32 v10, v11, v15, s0
	ds_write2st64_b32 v2, v6, v10 offset0:129 offset1:161
	v_xor_b32_e32 v2, 24, v0
	v_mfma_f32_16x16x16_bf16 a[4:7], v[28:29], v[38:39], a[4:7]
	v_perm_b32 v3, v3, v7, s1
	v_perm_b32 v6, v11, v15, s1
	v_add_u32_e32 v2, 0x80, v2
	v_mfma_f32_16x16x16_bf16 a[16:19], v[28:29], v[46:47], a[8:11]
	ds_write2st64_b32 v2, v3, v6 offset0:129 offset1:161
	v_xor_b32_e32 v2, 32, v0
	v_perm_b32 v3, v4, v8, s0
	v_mfma_f32_16x16x16_bf16 a[20:23], v[28:29], v[50:51], a[12:15]
	v_perm_b32 v6, v12, v16, s0
	ds_write2st64_b32 v2, v3, v6 offset0:130 offset1:162
	v_xor_b32_e32 v2, 40, v0
	s_waitcnt lgkmcnt(8)
	v_mfma_f32_16x16x16_bf16 a[12:15], v[54:55], v[20:21], a[0:3]
	v_perm_b32 v3, v4, v8, s1
	v_perm_b32 v4, v12, v16, s1
	v_add_u32_e32 v2, 0x80, v2
	s_waitcnt lgkmcnt(7)
	v_mfma_f32_16x16x16_bf16 a[8:11], v[54:55], v[26:27], a[4:7]
	ds_write2st64_b32 v2, v3, v4 offset0:130 offset1:162
	v_xor_b32_e32 v2, 48, v0
	v_perm_b32 v3, v5, v9, s0
	s_waitcnt lgkmcnt(7)
	v_mfma_f32_16x16x16_bf16 a[4:7], v[54:55], v[30:31], a[16:19]
	v_perm_b32 v4, v13, v17, s0
	v_xor_b32_e32 v0, 56, v0
	v_and_or_b32 v18, v34, 12, v1
	s_waitcnt lgkmcnt(6)
	v_mfma_f32_16x16x16_bf16 a[0:3], v[54:55], v[32:33], a[20:23]
	ds_write2st64_b32 v2, v3, v4 offset0:131 offset1:163
	v_perm_b32 v2, v5, v9, s1
	v_perm_b32 v3, v13, v17, s1
	v_add_u32_e32 v0, 0x80, v0
	v_cmp_gt_i32_e32 vcc, s41, v18
	v_mov_b32_e32 v14, 0
	v_mov_b32_e32 v16, 0
	ds_write2st64_b32 v0, v2, v3 offset0:131 offset1:163
	s_and_saveexec_b64 s[0:1], vcc
	s_cbranch_execz .LBB192_60
; %bb.59:
	v_add_u32_e32 v0, s40, v18
	v_ashrrev_i32_e32 v1, 31, v0
	v_mul_lo_u32 v2, v1, s28
	v_mul_lo_u32 v3, v0, s29
	v_mad_u64_u32 v[0:1], s[2:3], v0, s28, 0
	v_add3_u32 v1, v1, v3, v2
	v_lshl_add_u64 v[0:1], v[0:1], 2, s[10:11]
	global_load_dword v0, v[0:1], off
	s_waitcnt vmcnt(0)
	v_sub_f32_e32 v0, s12, v0
	v_exp_f32_e32 v16, v0
.LBB192_60:
	s_or_b64 exec, exec, s[0:1]
	v_or_b32_e32 v8, 1, v18
	v_cmp_gt_i32_e64 s[0:1], s41, v8
	s_and_saveexec_b64 s[2:3], s[0:1]
	s_cbranch_execz .LBB192_62
; %bb.61:
	v_add_u32_e32 v0, s40, v8
	v_ashrrev_i32_e32 v1, 31, v0
	v_mul_lo_u32 v2, v1, s28
	v_mul_lo_u32 v3, v0, s29
	v_mad_u64_u32 v[0:1], s[4:5], v0, s28, 0
	v_add3_u32 v1, v1, v3, v2
	v_lshl_add_u64 v[0:1], v[0:1], 2, s[10:11]
	global_load_dword v0, v[0:1], off
	s_waitcnt vmcnt(0)
	v_sub_f32_e32 v0, s12, v0
	v_exp_f32_e32 v14, v0
.LBB192_62:
	s_or_b64 exec, exec, s[2:3]
	v_or_b32_e32 v10, 2, v18
	v_cmp_gt_i32_e64 s[2:3], s41, v10
	v_mov_b32_e32 v15, 0
	v_mov_b32_e32 v17, 0
	s_and_saveexec_b64 s[4:5], s[2:3]
	s_cbranch_execz .LBB192_64
; %bb.63:
	v_add_u32_e32 v0, s40, v10
	v_ashrrev_i32_e32 v1, 31, v0
	v_mul_lo_u32 v2, v1, s28
	v_mul_lo_u32 v3, v0, s29
	v_mad_u64_u32 v[0:1], s[6:7], v0, s28, 0
	v_add3_u32 v1, v1, v3, v2
	v_lshl_add_u64 v[0:1], v[0:1], 2, s[10:11]
	global_load_dword v0, v[0:1], off
	s_waitcnt vmcnt(0)
	v_sub_f32_e32 v0, s12, v0
	v_exp_f32_e32 v17, v0
.LBB192_64:
	s_or_b64 exec, exec, s[4:5]
	v_or_b32_e32 v12, 3, v18
	v_cmp_gt_i32_e64 s[4:5], s41, v12
	s_and_saveexec_b64 s[6:7], s[4:5]
	s_cbranch_execz .LBB192_66
; %bb.65:
	v_add_u32_e32 v0, s40, v12
	v_ashrrev_i32_e32 v1, 31, v0
	v_mul_lo_u32 v2, v1, s28
	v_mul_lo_u32 v3, v0, s29
	v_mad_u64_u32 v[0:1], s[14:15], v0, s28, 0
	v_add3_u32 v1, v1, v3, v2
	v_lshl_add_u64 v[0:1], v[0:1], 2, s[10:11]
	global_load_dword v0, v[0:1], off
	s_waitcnt vmcnt(0)
	v_sub_f32_e32 v0, s12, v0
	v_exp_f32_e32 v15, v0
.LBB192_66:
	s_or_b64 exec, exec, s[6:7]
	v_or_b32_e32 v4, s30, v72
	s_add_u32 s6, s8, s24
	v_accvgpr_read_b32 v0, a12
	s_addc_u32 s7, s9, s25
	v_ashrrev_i32_e32 v5, 31, v4
	v_accvgpr_read_b32 v1, a13
	v_accvgpr_read_b32 v2, a14
	v_accvgpr_read_b32 v3, a15
	v_lshl_add_u64 v[4:5], v[4:5], 1, s[6:7]
	v_mov_b32_e32 v9, 0
	v_lshlrev_b32_e32 v6, 8, v18
	v_mov_b32_e32 v7, 0
	s_and_saveexec_b64 s[6:7], vcc
	s_cbranch_execz .LBB192_68
; %bb.67:
	v_mov_b32_e32 v7, 0
	v_lshl_add_u64 v[20:21], v[4:5], 0, v[6:7]
	global_load_ushort v7, v[20:21], off
	s_waitcnt vmcnt(0)
	v_lshlrev_b32_e32 v7, 16, v7
	v_sub_f32_e32 v0, v7, v0
	v_mul_f32_e32 v0, v16, v0
	v_lshrrev_b32_e32 v7, 16, v0
.LBB192_68:
	s_or_b64 exec, exec, s[6:7]
	v_lshlrev_b32_e32 v8, 8, v8
	s_and_saveexec_b64 s[6:7], s[0:1]
	s_cbranch_execz .LBB192_70
; %bb.69:
	v_mov_b32_e32 v9, 0
	v_lshl_add_u64 v[20:21], v[4:5], 0, v[8:9]
	global_load_ushort v0, v[20:21], off
	s_waitcnt vmcnt(0)
	v_lshlrev_b32_e32 v0, 16, v0
	v_sub_f32_e32 v0, v0, v1
	v_mul_f32_e32 v0, v14, v0
	v_lshrrev_b32_e32 v9, 16, v0
.LBB192_70:
	s_or_b64 exec, exec, s[6:7]
	v_mov_b32_e32 v13, 0
	v_lshlrev_b32_e32 v10, 8, v10
	v_mov_b32_e32 v11, 0
	s_and_saveexec_b64 s[6:7], s[2:3]
	s_cbranch_execz .LBB192_72
; %bb.71:
	v_mov_b32_e32 v11, 0
	v_lshl_add_u64 v[0:1], v[4:5], 0, v[10:11]
	global_load_ushort v0, v[0:1], off
	s_waitcnt vmcnt(0)
	v_lshlrev_b32_e32 v0, 16, v0
	v_sub_f32_e32 v0, v0, v2
	v_mul_f32_e32 v0, v17, v0
	v_lshrrev_b32_e32 v11, 16, v0
.LBB192_72:
	s_or_b64 exec, exec, s[6:7]
	v_lshlrev_b32_e32 v12, 8, v12
	s_and_saveexec_b64 s[6:7], s[4:5]
	s_cbranch_execz .LBB192_74
; %bb.73:
	v_mov_b32_e32 v13, 0
	v_lshl_add_u64 v[0:1], v[4:5], 0, v[12:13]
	global_load_ushort v0, v[0:1], off
	s_waitcnt vmcnt(0)
	v_lshlrev_b32_e32 v0, 16, v0
	v_sub_f32_e32 v0, v0, v3
	v_mul_f32_e32 v0, v15, v0
	v_lshrrev_b32_e32 v13, 16, v0
.LBB192_74:
	s_or_b64 exec, exec, s[6:7]
	v_lshlrev_b32_e32 v18, 6, v18
	s_mov_b32 s6, 0x5040100
	v_perm_b32 v20, v9, v7, s6
	v_or_b32_e32 v7, v18, v24
	v_accvgpr_read_b32 v0, a8
	v_perm_b32 v21, v13, v11, s6
	v_lshlrev_b32_e32 v7, 1, v7
	v_accvgpr_read_b32 v1, a9
	v_accvgpr_read_b32 v2, a10
	;; [unrolled: 1-line block ×3, first 2 shown]
	ds_write_b64 v7, v[20:21] offset:24576
	v_mov_b32_e32 v9, 0
	v_mov_b32_e32 v7, 0
	s_and_saveexec_b64 s[6:7], vcc
	s_cbranch_execz .LBB192_76
; %bb.75:
	v_mov_b32_e32 v7, 0
	v_lshl_add_u64 v[20:21], v[4:5], 0, v[6:7]
	global_load_ushort v7, v[20:21], off offset:32
	s_waitcnt vmcnt(0)
	v_lshlrev_b32_e32 v7, 16, v7
	v_sub_f32_e32 v0, v7, v0
	v_mul_f32_e32 v0, v16, v0
	v_lshrrev_b32_e32 v7, 16, v0
.LBB192_76:
	s_or_b64 exec, exec, s[6:7]
	s_and_saveexec_b64 s[6:7], s[0:1]
	s_cbranch_execz .LBB192_78
; %bb.77:
	v_mov_b32_e32 v9, 0
	v_lshl_add_u64 v[20:21], v[4:5], 0, v[8:9]
	global_load_ushort v0, v[20:21], off offset:32
	s_waitcnt vmcnt(0)
	v_lshlrev_b32_e32 v0, 16, v0
	v_sub_f32_e32 v0, v0, v1
	v_mul_f32_e32 v0, v14, v0
	v_lshrrev_b32_e32 v9, 16, v0
.LBB192_78:
	s_or_b64 exec, exec, s[6:7]
	v_mov_b32_e32 v13, 0
	v_mov_b32_e32 v11, 0
	s_and_saveexec_b64 s[6:7], s[2:3]
	s_cbranch_execz .LBB192_80
; %bb.79:
	v_mov_b32_e32 v11, 0
	v_lshl_add_u64 v[0:1], v[4:5], 0, v[10:11]
	global_load_ushort v0, v[0:1], off offset:32
	s_waitcnt vmcnt(0)
	v_lshlrev_b32_e32 v0, 16, v0
	v_sub_f32_e32 v0, v0, v2
	v_mul_f32_e32 v0, v17, v0
	v_lshrrev_b32_e32 v11, 16, v0
.LBB192_80:
	s_or_b64 exec, exec, s[6:7]
	s_and_saveexec_b64 s[6:7], s[4:5]
	s_cbranch_execz .LBB192_82
; %bb.81:
	v_mov_b32_e32 v13, 0
	v_lshl_add_u64 v[0:1], v[4:5], 0, v[12:13]
	global_load_ushort v0, v[0:1], off offset:32
	s_waitcnt vmcnt(0)
	v_lshlrev_b32_e32 v0, 16, v0
	v_sub_f32_e32 v0, v0, v3
	v_mul_f32_e32 v0, v15, v0
	v_lshrrev_b32_e32 v13, 16, v0
.LBB192_82:
	s_or_b64 exec, exec, s[6:7]
	s_mov_b32 s6, 0x5040100
	v_perm_b32 v20, v9, v7, s6
	v_or_b32_e32 v7, v18, v23
	v_accvgpr_read_b32 v0, a4
	v_perm_b32 v21, v13, v11, s6
	v_lshlrev_b32_e32 v7, 1, v7
	v_accvgpr_read_b32 v1, a5
	v_accvgpr_read_b32 v2, a6
	;; [unrolled: 1-line block ×3, first 2 shown]
	ds_write_b64 v7, v[20:21] offset:24576
	v_mov_b32_e32 v9, 0
	v_mov_b32_e32 v7, 0
	s_and_saveexec_b64 s[6:7], vcc
	s_cbranch_execz .LBB192_84
; %bb.83:
	v_mov_b32_e32 v7, 0
	v_lshl_add_u64 v[20:21], v[4:5], 0, v[6:7]
	global_load_ushort v7, v[20:21], off offset:64
	s_waitcnt vmcnt(0)
	v_lshlrev_b32_e32 v7, 16, v7
	v_sub_f32_e32 v0, v7, v0
	v_mul_f32_e32 v0, v16, v0
	v_lshrrev_b32_e32 v7, 16, v0
.LBB192_84:
	s_or_b64 exec, exec, s[6:7]
	s_and_saveexec_b64 s[6:7], s[0:1]
	s_cbranch_execz .LBB192_86
; %bb.85:
	v_mov_b32_e32 v9, 0
	v_lshl_add_u64 v[20:21], v[4:5], 0, v[8:9]
	global_load_ushort v0, v[20:21], off offset:64
	s_waitcnt vmcnt(0)
	v_lshlrev_b32_e32 v0, 16, v0
	v_sub_f32_e32 v0, v0, v1
	v_mul_f32_e32 v0, v14, v0
	v_lshrrev_b32_e32 v9, 16, v0
.LBB192_86:
	s_or_b64 exec, exec, s[6:7]
	v_mov_b32_e32 v13, 0
	v_mov_b32_e32 v11, 0
	s_and_saveexec_b64 s[6:7], s[2:3]
	s_cbranch_execz .LBB192_88
; %bb.87:
	v_mov_b32_e32 v11, 0
	v_lshl_add_u64 v[0:1], v[4:5], 0, v[10:11]
	global_load_ushort v0, v[0:1], off offset:64
	s_waitcnt vmcnt(0)
	v_lshlrev_b32_e32 v0, 16, v0
	v_sub_f32_e32 v0, v0, v2
	v_mul_f32_e32 v0, v17, v0
	v_lshrrev_b32_e32 v11, 16, v0
.LBB192_88:
	s_or_b64 exec, exec, s[6:7]
	s_and_saveexec_b64 s[6:7], s[4:5]
	s_cbranch_execz .LBB192_90
; %bb.89:
	v_mov_b32_e32 v13, 0
	v_lshl_add_u64 v[0:1], v[4:5], 0, v[12:13]
	global_load_ushort v0, v[0:1], off offset:64
	s_waitcnt vmcnt(0)
	v_lshlrev_b32_e32 v0, 16, v0
	v_sub_f32_e32 v0, v0, v3
	v_mul_f32_e32 v0, v15, v0
	v_lshrrev_b32_e32 v13, 16, v0
.LBB192_90:
	s_or_b64 exec, exec, s[6:7]
	s_mov_b32 s6, 0x5040100
	v_perm_b32 v20, v9, v7, s6
	v_or_b32_e32 v7, v18, v22
	v_accvgpr_read_b32 v0, a0
	v_perm_b32 v21, v13, v11, s6
	v_lshlrev_b32_e32 v7, 1, v7
	v_accvgpr_read_b32 v1, a1
	v_accvgpr_read_b32 v2, a2
	v_accvgpr_read_b32 v3, a3
	ds_write_b64 v7, v[20:21] offset:24576
	v_mov_b32_e32 v9, 0
	v_mov_b32_e32 v7, 0
	s_and_saveexec_b64 s[6:7], vcc
	s_cbranch_execz .LBB192_92
; %bb.91:
	v_mov_b32_e32 v7, 0
	v_lshl_add_u64 v[6:7], v[4:5], 0, v[6:7]
	global_load_ushort v6, v[6:7], off offset:96
	s_waitcnt vmcnt(0)
	v_lshlrev_b32_e32 v6, 16, v6
	v_sub_f32_e32 v0, v6, v0
	v_mul_f32_e32 v0, v16, v0
	v_lshrrev_b32_e32 v7, 16, v0
.LBB192_92:
	s_or_b64 exec, exec, s[6:7]
	s_and_saveexec_b64 s[6:7], s[0:1]
	s_cbranch_execz .LBB192_94
; %bb.93:
	v_mov_b32_e32 v9, 0
	v_lshl_add_u64 v[8:9], v[4:5], 0, v[8:9]
	global_load_ushort v0, v[8:9], off offset:96
	s_waitcnt vmcnt(0)
	v_lshlrev_b32_e32 v0, 16, v0
	v_sub_f32_e32 v0, v0, v1
	v_mul_f32_e32 v0, v14, v0
	v_lshrrev_b32_e32 v9, 16, v0
.LBB192_94:
	s_or_b64 exec, exec, s[6:7]
	v_mov_b32_e32 v0, 0
	v_mov_b32_e32 v1, 0
	s_and_saveexec_b64 s[0:1], s[2:3]
	s_cbranch_execz .LBB192_96
; %bb.95:
	v_mov_b32_e32 v11, 0
	v_lshl_add_u64 v[10:11], v[4:5], 0, v[10:11]
	global_load_ushort v1, v[10:11], off offset:96
	s_waitcnt vmcnt(0)
	v_lshlrev_b32_e32 v1, 16, v1
	v_sub_f32_e32 v1, v1, v2
	v_mul_f32_e32 v1, v17, v1
	v_lshrrev_b32_e32 v1, 16, v1
.LBB192_96:
	s_or_b64 exec, exec, s[0:1]
	s_and_saveexec_b64 s[0:1], s[4:5]
	s_cbranch_execz .LBB192_98
; %bb.97:
	v_mov_b32_e32 v13, 0
	v_lshl_add_u64 v[4:5], v[4:5], 0, v[12:13]
	global_load_ushort v0, v[4:5], off offset:96
	s_waitcnt vmcnt(0)
	v_lshlrev_b32_e32 v0, 16, v0
	v_sub_f32_e32 v0, v0, v3
	v_mul_f32_e32 v0, v15, v0
	v_lshrrev_b32_e32 v0, 16, v0
.LBB192_98:
	s_or_b64 exec, exec, s[0:1]
	s_mov_b32 s0, 0x5040100
	v_or_b32_e32 v2, v18, v19
	v_perm_b32 v1, v0, v1, s0
	v_perm_b32 v0, v9, v7, s0
	v_lshlrev_b32_e32 v2, 1, v2
	ds_write_b64 v2, v[0:1] offset:24576
	s_waitcnt lgkmcnt(0)
	s_barrier
.LBB192_99:
	s_endpgm
	.section	.rodata,"a",@progbits
	.p2align	6, 0x0
	.amdhsa_kernel _ZN12_GLOBAL__N_139chunk_gated_delta_rule_fwd_h_hip_kernelILi64ELb0ELb0ELb0ELb0ELb1ELb0ELb0ELb0EEEvPK12hip_bfloat16S3_S3_PKfS5_PKvPS1_S8_PvPKiSB_iiiiilll
		.amdhsa_group_segment_fixed_size 65536
		.amdhsa_private_segment_fixed_size 0
		.amdhsa_kernarg_size 136
		.amdhsa_user_sgpr_count 2
		.amdhsa_user_sgpr_dispatch_ptr 0
		.amdhsa_user_sgpr_queue_ptr 0
		.amdhsa_user_sgpr_kernarg_segment_ptr 1
		.amdhsa_user_sgpr_dispatch_id 0
		.amdhsa_user_sgpr_kernarg_preload_length 0
		.amdhsa_user_sgpr_kernarg_preload_offset 0
		.amdhsa_user_sgpr_private_segment_size 0
		.amdhsa_uses_dynamic_stack 0
		.amdhsa_enable_private_segment 0
		.amdhsa_system_sgpr_workgroup_id_x 1
		.amdhsa_system_sgpr_workgroup_id_y 1
		.amdhsa_system_sgpr_workgroup_id_z 0
		.amdhsa_system_sgpr_workgroup_info 0
		.amdhsa_system_vgpr_workitem_id 0
		.amdhsa_next_free_vgpr 216
		.amdhsa_next_free_sgpr 63
		.amdhsa_accum_offset 180
		.amdhsa_reserve_vcc 1
		.amdhsa_float_round_mode_32 0
		.amdhsa_float_round_mode_16_64 0
		.amdhsa_float_denorm_mode_32 3
		.amdhsa_float_denorm_mode_16_64 3
		.amdhsa_dx10_clamp 1
		.amdhsa_ieee_mode 1
		.amdhsa_fp16_overflow 0
		.amdhsa_tg_split 0
		.amdhsa_exception_fp_ieee_invalid_op 0
		.amdhsa_exception_fp_denorm_src 0
		.amdhsa_exception_fp_ieee_div_zero 0
		.amdhsa_exception_fp_ieee_overflow 0
		.amdhsa_exception_fp_ieee_underflow 0
		.amdhsa_exception_fp_ieee_inexact 0
		.amdhsa_exception_int_div_zero 0
	.end_amdhsa_kernel
	.section	.text._ZN12_GLOBAL__N_139chunk_gated_delta_rule_fwd_h_hip_kernelILi64ELb0ELb0ELb0ELb0ELb1ELb0ELb0ELb0EEEvPK12hip_bfloat16S3_S3_PKfS5_PKvPS1_S8_PvPKiSB_iiiiilll,"axG",@progbits,_ZN12_GLOBAL__N_139chunk_gated_delta_rule_fwd_h_hip_kernelILi64ELb0ELb0ELb0ELb0ELb1ELb0ELb0ELb0EEEvPK12hip_bfloat16S3_S3_PKfS5_PKvPS1_S8_PvPKiSB_iiiiilll,comdat
.Lfunc_end192:
	.size	_ZN12_GLOBAL__N_139chunk_gated_delta_rule_fwd_h_hip_kernelILi64ELb0ELb0ELb0ELb0ELb1ELb0ELb0ELb0EEEvPK12hip_bfloat16S3_S3_PKfS5_PKvPS1_S8_PvPKiSB_iiiiilll, .Lfunc_end192-_ZN12_GLOBAL__N_139chunk_gated_delta_rule_fwd_h_hip_kernelILi64ELb0ELb0ELb0ELb0ELb1ELb0ELb0ELb0EEEvPK12hip_bfloat16S3_S3_PKfS5_PKvPS1_S8_PvPKiSB_iiiiilll
                                        ; -- End function
	.section	.AMDGPU.csdata,"",@progbits
; Kernel info:
; codeLenInByte = 10804
; NumSgprs: 69
; NumVgprs: 178
; NumAgprs: 36
; TotalNumVgprs: 216
; ScratchSize: 0
; MemoryBound: 0
; FloatMode: 240
; IeeeMode: 1
; LDSByteSize: 65536 bytes/workgroup (compile time only)
; SGPRBlocks: 8
; VGPRBlocks: 26
; NumSGPRsForWavesPerEU: 69
; NumVGPRsForWavesPerEU: 216
; AccumOffset: 180
; Occupancy: 1
; WaveLimiterHint : 1
; COMPUTE_PGM_RSRC2:SCRATCH_EN: 0
; COMPUTE_PGM_RSRC2:USER_SGPR: 2
; COMPUTE_PGM_RSRC2:TRAP_HANDLER: 0
; COMPUTE_PGM_RSRC2:TGID_X_EN: 1
; COMPUTE_PGM_RSRC2:TGID_Y_EN: 1
; COMPUTE_PGM_RSRC2:TGID_Z_EN: 0
; COMPUTE_PGM_RSRC2:TIDIG_COMP_CNT: 0
; COMPUTE_PGM_RSRC3_GFX90A:ACCUM_OFFSET: 44
; COMPUTE_PGM_RSRC3_GFX90A:TG_SPLIT: 0
	.section	.text._ZN12_GLOBAL__N_139chunk_gated_delta_rule_fwd_h_hip_kernelILi64ELb1ELb1ELb1ELb1ELb0ELb1ELb1ELb0EEEvPK12hip_bfloat16S3_S3_PKfS5_PKvPS1_S8_PvPKiSB_iiiiilll,"axG",@progbits,_ZN12_GLOBAL__N_139chunk_gated_delta_rule_fwd_h_hip_kernelILi64ELb1ELb1ELb1ELb1ELb0ELb1ELb1ELb0EEEvPK12hip_bfloat16S3_S3_PKfS5_PKvPS1_S8_PvPKiSB_iiiiilll,comdat
	.globl	_ZN12_GLOBAL__N_139chunk_gated_delta_rule_fwd_h_hip_kernelILi64ELb1ELb1ELb1ELb1ELb0ELb1ELb1ELb0EEEvPK12hip_bfloat16S3_S3_PKfS5_PKvPS1_S8_PvPKiSB_iiiiilll ; -- Begin function _ZN12_GLOBAL__N_139chunk_gated_delta_rule_fwd_h_hip_kernelILi64ELb1ELb1ELb1ELb1ELb0ELb1ELb1ELb0EEEvPK12hip_bfloat16S3_S3_PKfS5_PKvPS1_S8_PvPKiSB_iiiiilll
	.p2align	8
	.type	_ZN12_GLOBAL__N_139chunk_gated_delta_rule_fwd_h_hip_kernelILi64ELb1ELb1ELb1ELb1ELb0ELb1ELb1ELb0EEEvPK12hip_bfloat16S3_S3_PKfS5_PKvPS1_S8_PvPKiSB_iiiiilll,@function
_ZN12_GLOBAL__N_139chunk_gated_delta_rule_fwd_h_hip_kernelILi64ELb1ELb1ELb1ELb1ELb0ELb1ELb1ELb0EEEvPK12hip_bfloat16S3_S3_PKfS5_PKvPS1_S8_PvPKiSB_iiiiilll: ; @_ZN12_GLOBAL__N_139chunk_gated_delta_rule_fwd_h_hip_kernelILi64ELb1ELb1ELb1ELb1ELb0ELb1ELb1ELb0EEEvPK12hip_bfloat16S3_S3_PKfS5_PKvPS1_S8_PvPKiSB_iiiiilll
; %bb.0:
	s_load_dwordx4 s[28:31], s[0:1], 0x5c
	s_load_dwordx4 s[4:7], s[0:1], 0x70
	s_abs_i32 s11, s3
	s_ashr_i32 s10, s3, 31
	s_load_dwordx4 s[24:27], s[0:1], 0x40
	s_load_dwordx2 s[8:9], s[0:1], 0x50
	s_waitcnt lgkmcnt(0)
	s_abs_i32 s14, s29
	v_cvt_f32_u32_e32 v1, s14
	s_sub_i32 s12, 0, s14
	s_ashr_i32 s15, s29, 31
	s_xor_b32 s10, s10, s15
	v_rcp_iflag_f32_e32 v1, v1
	v_and_b32_e32 v99, 15, v0
	v_bfe_u32 v98, v0, 4, 2
	v_mov_b32_e32 v79, 0
	v_mul_f32_e32 v1, 0x4f7ffffe, v1
	v_cvt_u32_f32_e32 v1, v1
	v_lshlrev_b32_e32 v100, 3, v0
	v_readfirstlane_b32 s13, v1
	s_mul_i32 s12, s12, s13
	s_mul_hi_u32 s12, s13, s12
	s_add_i32 s13, s13, s12
	s_mul_hi_u32 s12, s11, s13
	s_mul_i32 s13, s12, s14
	s_sub_i32 s11, s11, s13
	s_add_i32 s16, s12, 1
	s_sub_i32 s13, s11, s14
	s_cmp_ge_u32 s11, s14
	s_cselect_b32 s12, s16, s12
	s_cselect_b32 s11, s13, s11
	s_add_i32 s13, s12, 1
	s_cmp_ge_u32 s11, s14
	s_cselect_b32 s11, s13, s12
	s_xor_b32 s11, s11, s10
	s_sub_i32 s36, s11, s10
	s_mul_i32 s16, s36, s29
	s_ashr_i32 s37, s36, 31
	s_sub_i32 s33, s3, s16
	s_lshl_b64 s[10:11], s[36:37], 2
	s_add_u32 s12, s26, s10
	s_addc_u32 s13, s27, s11
	s_add_u32 s38, s8, s10
	s_addc_u32 s39, s9, s11
	s_abs_i32 s3, s30
	v_cvt_f32_u32_e32 v1, s3
	s_load_dwordx2 s[34:35], s[12:13], 0x0
	s_sub_i32 s9, 0, s3
	s_lshl_b32 s2, s2, 6
	v_rcp_iflag_f32_e32 v1, v1
	v_or_b32_e32 v88, s2, v99
	s_waitcnt lgkmcnt(0)
	s_sub_i32 s56, s35, s34
	s_ashr_i32 s8, s56, 31
	v_mul_f32_e32 v1, 0x4f7ffffe, v1
	v_cvt_u32_f32_e32 v1, v1
	s_lshr_b32 s8, s8, 26
	s_add_i32 s8, s56, s8
	s_ashr_i32 s55, s8, 6
	v_readfirstlane_b32 s10, v1
	s_mul_i32 s9, s9, s10
	s_mul_hi_u32 s9, s10, s9
	s_add_i32 s10, s10, s9
	s_mul_hi_u32 s9, s14, s10
	s_mul_i32 s10, s9, s3
	s_ashr_i32 s8, s30, 31
	s_sub_i32 s10, s14, s10
	s_xor_b32 s8, s15, s8
	s_add_i32 s11, s9, 1
	s_sub_i32 s12, s10, s3
	s_cmp_ge_u32 s10, s3
	s_cselect_b32 s9, s11, s9
	s_cselect_b32 s10, s12, s10
	s_add_i32 s11, s9, 1
	s_cmp_ge_u32 s10, s3
	s_cselect_b32 s3, s11, s9
	s_xor_b32 s3, s3, s8
	s_sub_i32 s3, s3, s8
	s_abs_i32 s17, s3
	v_cvt_f32_u32_e32 v1, s17
	s_sub_i32 s19, 0, s17
	s_abs_i32 s18, s33
	s_xor_b32 s3, s33, s3
	v_rcp_iflag_f32_e32 v2, v1
	s_ashr_i32 s3, s3, 31
	s_load_dwordx8 s[8:15], s[0:1], 0x20
	v_lshrrev_b32_e32 v1, 6, v0
	v_mul_f32_e32 v2, 0x4f7ffffe, v2
	v_cvt_u32_f32_e32 v2, v2
	v_lshlrev_b32_e32 v77, 4, v1
	v_lshlrev_b32_e32 v80, 7, v88
	v_lshl_or_b32 v102, v98, 2, v77
	v_readfirstlane_b32 s20, v2
	s_mul_i32 s19, s19, s20
	s_mul_hi_u32 s19, s20, s19
	s_add_i32 s20, s20, s19
	s_mul_hi_u32 s19, s18, s20
	s_mul_i32 s20, s19, s17
	s_sub_i32 s18, s18, s20
	s_add_i32 s20, s19, 1
	s_sub_i32 s21, s18, s17
	s_cmp_ge_u32 s18, s17
	s_cselect_b32 s19, s20, s19
	s_cselect_b32 s18, s21, s18
	s_add_i32 s20, s19, 1
	s_cmp_ge_u32 s18, s17
	s_cselect_b32 s17, s20, s19
	s_xor_b32 s17, s17, s3
	s_sub_i32 s57, s17, s3
	s_ashr_i32 s48, s33, 31
	s_mul_hi_i32 s3, s36, s29
	s_add_u32 s16, s16, s33
	s_addc_u32 s17, s3, s48
	s_lshl_b64 s[26:27], s[16:17], 16
	s_waitcnt lgkmcnt(0)
	s_add_u32 s10, s10, s26
	s_addc_u32 s11, s11, s27
	v_ashrrev_i32_e32 v81, 31, v80
	v_lshl_add_u64 v[2:3], v[80:81], 2, s[10:11]
	v_lshlrev_b32_e32 v78, 2, v102
	v_or_b32_e32 v82, 0x800, v80
	v_lshl_add_u64 v[2:3], v[2:3], 0, v[78:79]
	v_ashrrev_i32_e32 v83, 31, v82
	global_load_dwordx4 v[22:25], v[2:3], off
	global_load_dwordx4 v[10:13], v[2:3], off offset:256
	v_lshl_add_u64 v[2:3], v[82:83], 2, s[10:11]
	v_or_b32_e32 v86, 0x1000, v80
	v_lshl_add_u64 v[2:3], v[2:3], 0, v[78:79]
	v_ashrrev_i32_e32 v87, 31, v86
	global_load_dwordx4 v[26:29], v[2:3], off
	global_load_dwordx4 v[14:17], v[2:3], off offset:256
	v_lshl_add_u64 v[2:3], v[86:87], 2, s[10:11]
	;; [unrolled: 6-line block ×3, first 2 shown]
	v_lshl_add_u64 v[34:35], v[2:3], 0, v[78:79]
	global_load_dwordx4 v[6:9], v[34:35], off
	global_load_dwordx4 v[2:5], v[34:35], off offset:256
	s_load_dwordx8 s[16:23], s[0:1], 0x0
	s_load_dwordx2 s[10:11], s[0:1], 0x80
	s_load_dword s58, s[38:39], 0x0
	v_and_b32_e32 v79, 63, v0
	v_or_b32_e32 v103, 64, v102
	s_cmp_lt_i32 s56, 64
	s_mul_hi_i32 s59, s33, s28
	s_mul_i32 s60, s33, s28
	v_lshrrev_b32_e32 v101, 3, v79
	s_mul_i32 s49, s36, s5
	s_mul_hi_u32 s51, s36, s4
	s_mul_i32 s50, s37, s4
	s_mul_i32 s42, s36, s4
	;; [unrolled: 1-line block ×3, first 2 shown]
	s_mul_hi_u32 s53, s33, s6
	s_mul_i32 s54, s48, s6
	s_mul_i32 s40, s33, s6
	s_cbranch_scc1 .LBB193_18
; %bb.1:
	s_ashr_i32 s1, s34, 31
	s_add_u32 s0, s60, s34
	s_addc_u32 s1, s59, s1
	s_lshl_b64 s[0:1], s[0:1], 8
	v_and_b32_e32 v105, 56, v100
	s_waitcnt lgkmcnt(0)
	s_add_u32 s4, s18, s0
	v_lshl_or_b32 v104, v1, 3, v101
	v_lshlrev_b32_e32 v34, 1, v105
	s_addc_u32 s0, s19, s1
	v_lshl_or_b32 v106, v104, 8, v34
	s_and_b32 s5, s0, 0xffff
	s_mov_b32 s7, 0x20000
	s_movk_i32 s6, 0x4000
	s_movk_i32 s0, 0x80
	v_or_b32_e32 v107, 0x2000, v106
	buffer_load_dwordx4 v[36:39], v106, s[4:7], 0 offen
	buffer_load_dwordx4 v[40:43], v106, s[4:7], s0 offen
	;; [unrolled: 1-line block ×4, first 2 shown]
	v_lshlrev_b32_e32 v35, 3, v104
	v_and_or_b32 v53, v0, 7, v35
	v_and_b32_e32 v35, 0x78, v35
	v_lshlrev_b32_e32 v53, 4, v53
	v_xor_b32_e32 v108, v53, v35
	v_mul_lo_u32 v52, v104, s31
	v_or_b32_e32 v109, 0x1000, v108
	v_xor_b32_e32 v35, 8, v108
	s_cmpk_eq_i32 s31, 0x80
	s_mov_b32 s61, s34
	v_xor_b32_e32 v53, 8, v109
	s_cselect_b64 s[0:1], -1, 0
	s_cmpk_lg_i32 s31, 0x80
	s_waitcnt vmcnt(3)
	ds_write_b64 v108, v[36:37] offset:49152
	ds_write_b64 v35, v[38:39] offset:49152
	s_waitcnt vmcnt(2)
	ds_write_b64 v108, v[40:41] offset:57344
	ds_write_b64 v35, v[42:43] offset:57344
	;; [unrolled: 3-line block ×4, first 2 shown]
	v_lshl_add_u32 v35, v52, 1, v105
	s_cbranch_scc0 .LBB193_3
; %bb.2:
	v_lshlrev_b32_e32 v37, 1, v35
	v_add_lshl_u32 v36, v35, s31, 1
	s_lshl_b32 s6, s31, 7
	v_lshl_or_b32 v34, v104, 9, v34
	s_cbranch_execz .LBB193_4
	s_branch .LBB193_5
.LBB193_3:
                                        ; implicit-def: $vgpr36
                                        ; implicit-def: $vgpr37
                                        ; implicit-def: $sgpr6
	v_lshl_or_b32 v34, v104, 9, v34
.LBB193_4:
	v_or_b32_e32 v36, 0x100, v34
	s_movk_i32 s6, 0x4000
	v_mov_b32_e32 v37, v34
.LBB193_5:
	s_mul_i32 s4, s34, s30
	s_ashr_i32 s62, s57, 31
	s_mul_hi_i32 s3, s34, s30
	s_add_u32 s4, s4, s57
	s_addc_u32 s5, s3, s62
	s_lshl_b64 s[4:5], s[4:5], 8
	s_add_u32 s4, s16, s4
	s_addc_u32 s3, s17, s5
	s_and_b32 s5, s3, 0xffff
	s_movk_i32 s63, 0x80
	buffer_load_dwordx4 v[38:41], v37, s[4:7], 0 offen
	buffer_load_dwordx4 v[42:45], v37, s[4:7], s63 offen
	;; [unrolled: 1-line block ×4, first 2 shown]
	v_and_b32_e32 v37, 6, v0
	v_lshlrev_b32_e32 v36, 7, v102
	v_xor_b32_e32 v59, v104, v37
	v_and_b32_e32 v54, 1, v0
	v_lshl_or_b32 v62, v99, 3, v36
	v_lshlrev_b32_e32 v59, 2, v59
	v_lshlrev_b32_e32 v55, 2, v99
	v_or_b32_e32 v110, 0x4000, v62
	v_or_b32_e32 v111, 0x6000, v62
	v_xor_b32_e32 v62, 0x440, v59
	v_cmp_eq_u32_e32 vcc, 0, v54
	v_or_b32_e32 v57, 16, v99
	v_or_b32_e32 v58, 32, v99
	v_xor_b32_e32 v60, v102, v55
	v_xor_b32_e32 v61, v103, v55
	v_cndmask_b32_e32 v54, v62, v59, vcc
	s_mov_b32 s64, 0x1000504
	v_lshl_or_b32 v63, v57, 3, v36
	v_lshlrev_b32_e32 v57, 8, v57
	v_lshl_or_b32 v64, v58, 3, v36
	v_lshlrev_b32_e32 v60, 1, v60
	v_lshlrev_b32_e32 v61, 1, v61
	v_lshl_or_b32 v37, v37, 10, v54
	s_add_i32 s3, s51, s49
	s_mov_b32 s65, 0x3020706
	v_lshlrev_b32_e32 v56, 8, v99
	v_or_b32_e32 v114, 0x4000, v64
	v_or_b32_e32 v115, 0x6000, v64
	v_or_b32_e32 v118, v57, v60
	v_or_b32_e32 v119, v57, v61
	v_xor_b32_e32 v54, 8, v37
	v_xor_b32_e32 v57, 24, v37
	;; [unrolled: 1-line block ×4, first 2 shown]
	s_add_i32 s43, s3, s50
	s_add_i32 s3, s53, s52
	v_or_b32_e32 v112, 0x4000, v63
	v_or_b32_e32 v113, 0x6000, v63
	;; [unrolled: 1-line block ×4, first 2 shown]
	v_xor_b32_e32 v56, 16, v37
	v_xor_b32_e32 v59, 32, v37
	;; [unrolled: 1-line block ×3, first 2 shown]
	v_add_u32_e32 v54, 0x80, v54
	v_add_u32_e32 v57, 0x80, v57
	;; [unrolled: 1-line block ×4, first 2 shown]
	s_add_i32 s41, s3, s54
	s_lshl_b64 s[4:5], s[42:43], 2
	s_add_u32 s3, s22, s4
	s_addc_u32 s36, s23, s5
	s_lshl_b64 s[4:5], s[40:41], 2
	s_add_u32 s44, s3, s4
	s_movk_i32 s3, 0xf8
	s_addc_u32 s45, s36, s5
	s_lshl_b32 s38, s31, 7
	s_movk_i32 s36, 0x100
	v_mov_b32_e32 v91, 0
	v_lshlrev_b32_e32 v90, 4, v99
	v_ashrrev_i32_e32 v89, 31, v88
	v_lshlrev_b32_e32 v58, 8, v58
	s_mov_b32 s66, 0
	s_movk_i32 s6, 0x4000
	v_or_b32_e32 v120, v58, v60
	v_or_b32_e32 v121, v58, v61
	s_movk_i32 s41, 0x2000
	s_movk_i32 s43, 0x3000
	v_mov_b32_e32 v155, 0x3fb8aa3b
	s_waitcnt vmcnt(1)
	v_perm_b32 v65, v38, v46, s64
	s_waitcnt vmcnt(0)
	v_perm_b32 v66, v42, v50, s64
	v_perm_b32 v38, v38, v46, s65
	;; [unrolled: 1-line block ×15, first 2 shown]
	ds_write2st64_b32 v37, v65, v66 offset0:128 offset1:160
	ds_write2st64_b32 v54, v38, v42 offset0:128 offset1:160
	;; [unrolled: 1-line block ×8, first 2 shown]
	v_or_b32_e32 v37, 48, v99
	v_lshl_or_b32 v38, v37, 3, v36
	v_lshlrev_b32_e32 v37, 8, v37
	v_or_b32_e32 v124, v37, v60
	v_or_b32_e32 v125, v37, v61
	;; [unrolled: 1-line block ×3, first 2 shown]
	v_lshlrev_b32_e32 v37, 3, v37
	v_lshrrev_b32_e32 v39, 5, v79
	v_and_or_b32 v39, v37, s3, v39
	v_lshlrev_b32_e32 v39, 4, v39
	v_or_b32_e32 v122, 0x4000, v38
	v_or_b32_e32 v123, 0x6000, v38
	v_lshrrev_b32_e32 v38, 2, v79
	v_lshlrev_b32_e32 v41, 11, v1
	v_and_b32_e32 v37, 0x78, v37
	v_or_b32_e32 v45, 32, v39
	v_and_b32_e32 v40, 12, v38
	v_and_b32_e32 v38, 0x1000, v41
	v_lshrrev_b32_e32 v43, 1, v79
	v_xor_b32_e32 v45, v45, v37
	v_xor_b32_e32 v42, v39, v37
	v_and_b32_e32 v43, 8, v43
	v_or_b32_e32 v45, v45, v38
	v_or_b32_e32 v42, v42, v38
	v_xor_b32_e32 v128, v45, v43
	v_or_b32_e32 v45, 64, v39
	v_or_b32_e32 v39, 0x60, v39
	v_xor_b32_e32 v126, v42, v43
	v_lshlrev_b32_e32 v42, 8, v98
	v_xor_b32_e32 v45, v45, v37
	v_xor_b32_e32 v37, v39, v37
	s_ashr_i32 s3, s2, 31
	v_or_b32_e32 v44, v42, v55
	v_or_b32_e32 v45, v45, v38
	;; [unrolled: 1-line block ×3, first 2 shown]
	s_lshl_b64 s[4:5], s[2:3], 8
	v_lshlrev_b32_e32 v47, 2, v0
	v_lshlrev_b32_e32 v44, 1, v44
	v_xor_b32_e32 v132, v45, v43
	v_xor_b32_e32 v133, v37, v43
	v_lshlrev_b32_e32 v37, 1, v35
	v_add_lshl_u32 v35, v35, s31, 1
	v_or_b32_e32 v43, 0x100, v34
	s_add_u32 s4, s12, s4
	v_lshlrev_b32_e32 v38, 1, v99
	v_lshrrev_b32_e32 v48, 1, v0
	v_and_or_b32 v42, v47, 60, v42
	v_or_b32_e32 v127, 0x4000, v44
	v_or_b32_e32 v129, 0x4080, v44
	;; [unrolled: 1-line block ×8, first 2 shown]
	v_lshrrev_b32_e32 v44, 4, v0
	s_addc_u32 s5, s13, s5
	v_or_b32_e32 v39, 1, v38
	v_and_b32_e32 v48, 24, v48
	v_lshlrev_b32_e32 v42, 1, v42
	v_cndmask_b32_e64 v144, v37, v34, s[0:1]
	v_cndmask_b32_e64 v145, v35, v43, s[0:1]
	v_mov_b32_e32 v35, 0xa000
	v_mov_b32_e32 v37, 0x8000
	v_cmp_gt_u32_e64 s[0:1], s36, v0
	v_xor_b32_e32 v45, v44, v38
	v_xor_b32_e32 v46, v39, v44
	v_lshl_add_u64 v[38:39], s[4:5], 0, v[90:91]
	v_lshlrev_b32_e32 v90, 8, v44
	v_or_b32_e32 v140, 0x6000, v42
	v_or_b32_e32 v47, 32, v48
	;; [unrolled: 1-line block ×6, first 2 shown]
	v_cndmask_b32_e64 v35, v35, v37, s[0:1]
	v_lshlrev_b32_e32 v37, 3, v1
	v_lshl_or_b32 v138, v45, 3, v90
	v_and_b32_e32 v45, 8, v0
	v_xor_b32_e32 v43, v37, v48
	v_xor_b32_e32 v47, v37, v47
	v_xor_b32_e32 v37, v37, v42
	v_mov_b32_e32 v49, 0x400
	v_cmp_eq_u32_e32 vcc, 0, v45
	v_or_b32_e32 v48, 0x440, v43
	v_or_b32_e32 v50, 0x440, v47
	v_xor_b32_e32 v42, 0x440, v37
	v_and_b32_e32 v44, 7, v0
	v_cndmask_b32_e64 v45, v49, 64, vcc
	v_cndmask_b32_e32 v48, v48, v43, vcc
	v_cndmask_b32_e32 v47, v50, v47, vcc
	;; [unrolled: 1-line block ×3, first 2 shown]
	v_lshl_or_b32 v139, v46, 3, v90
	v_lshlrev_b32_e32 v46, 3, v44
	v_or_b32_e32 v48, v48, v41
	v_or_b32_e32 v47, v47, v41
	v_or3_b32 v43, v41, v45, v43
	v_or_b32_e32 v37, v37, v41
	v_lshlrev_b32_e32 v44, 7, v44
	v_xor_b32_e32 v48, v48, v46
	v_xor_b32_e32 v47, v47, v46
	;; [unrolled: 1-line block ×4, first 2 shown]
	v_or_b32_e32 v34, v77, v40
	v_add_u32_e32 v49, v35, v48
	v_add_u32_e32 v50, v35, v47
	v_or_b32_e32 v146, v43, v44
	v_add_u32_e32 v41, v35, v37
	v_or3_b32 v40, v77, v40, 64
	v_add_u32_e32 v45, 0xa000, v48
	v_add_u32_e32 v46, 0xa000, v47
	;; [unrolled: 1-line block ×3, first 2 shown]
	v_lshlrev_b64 v[42:43], 1, v[88:89]
	v_lshl_add_u64 v[92:93], s[20:21], 0, v[42:43]
	v_lshl_add_u64 v[94:95], s[14:15], 0, v[42:43]
	;; [unrolled: 1-line block ×3, first 2 shown]
	s_mov_b32 s3, 0x7060302
	v_lshlrev_b32_e32 v90, 1, v36
	v_lshlrev_b32_e32 v89, 2, v34
	v_add_u32_e32 v147, v49, v44
	v_add_u32_e32 v148, v50, v44
	;; [unrolled: 1-line block ×4, first 2 shown]
	v_lshlrev_b32_e32 v151, 2, v40
	v_add_u32_e32 v152, v45, v44
	v_add_u32_e32 v153, v46, v44
	;; [unrolled: 1-line block ×3, first 2 shown]
	s_waitcnt lgkmcnt(0)
	s_barrier
.LBB193_6:                              ; =>This Inner Loop Header: Depth=1
	s_add_i32 s67, s66, 1
	s_cmp_lt_i32 s67, s55
	s_mov_b64 s[36:37], 0
	s_cselect_b64 s[46:47], -1, 0
	s_cmp_ge_i32 s67, s55
	s_mov_b64 s[4:5], 0
	s_cbranch_scc1 .LBB193_8
; %bb.7:                                ;   in Loop: Header=BB193_6 Depth=1
	s_add_i32 s0, s61, 64
	s_ashr_i32 s1, s0, 31
	s_add_u32 s0, s60, s0
	s_addc_u32 s1, s59, s1
	s_lshl_b64 s[0:1], s[0:1], 8
	s_add_u32 s4, s18, s0
	s_addc_u32 s5, s19, s1
.LBB193_8:                              ;   in Loop: Header=BB193_6 Depth=1
	v_cndmask_b32_e64 v34, 0, 1, s[46:47]
	v_cmp_ne_u32_e64 s[0:1], 1, v34
	s_andn2_b64 vcc, exec, s[46:47]
	s_cbranch_vccnz .LBB193_10
; %bb.9:                                ;   in Loop: Header=BB193_6 Depth=1
	s_add_i32 s36, s61, 64
	s_mul_hi_i32 s37, s36, s30
	s_mul_i32 s36, s36, s30
	s_add_u32 s36, s36, s57
	s_addc_u32 s37, s37, s62
	s_lshl_b64 s[36:37], s[36:37], 8
	s_add_u32 s36, s16, s36
	s_addc_u32 s37, s17, s37
.LBB193_10:                             ;   in Loop: Header=BB193_6 Depth=1
	v_perm_b32 v35, v25, v24, s3
	v_perm_b32 v34, v23, v22, s3
	v_perm_b32 v37, v13, v12, s3
	v_perm_b32 v36, v11, v10, s3
	ds_write_b64 v110, v[34:35]
	ds_write_b64 v111, v[36:37]
	ds_write_b64 v116, v[34:35]
	ds_write_b64 v117, v[36:37]
	v_perm_b32 v35, v29, v28, s3
	v_perm_b32 v34, v27, v26, s3
	v_perm_b32 v37, v17, v16, s3
	v_perm_b32 v36, v15, v14, s3
	ds_write_b64 v112, v[34:35]
	ds_write_b64 v113, v[36:37]
	ds_write_b64 v118, v[34:35]
	ds_write_b64 v119, v[36:37]
	;; [unrolled: 8-line block ×4, first 2 shown]
	s_waitcnt lgkmcnt(0)
	s_barrier
	ds_read_b64 v[38:39], v126 offset:49152
	ds_read2_b64 v[34:37], v127 offset1:16
	ds_read_b64 v[50:51], v129 offset:6144
	ds_read_b64 v[52:53], v127 offset:6144
	s_waitcnt lgkmcnt(2)
	v_mfma_f32_16x16x16_bf16 a[0:3], v[38:39], v[34:35], 0
	ds_read_b64 v[54:55], v128 offset:49152
	ds_read2st64_b64 v[42:45], v130 offset0:4 offset1:8
	ds_read2st64_b64 v[46:49], v131 offset0:4 offset1:8
	v_mfma_f32_16x16x16_bf16 a[4:7], v[38:39], v[36:37], 0
	ds_read2_b64 v[34:37], v127 offset0:32 offset1:48
	s_add_i32 s68, s61, 63
	s_ashr_i32 s39, s68, 31
	s_waitcnt lgkmcnt(0)
	v_mfma_f32_16x16x16_bf16 a[8:11], v[38:39], v[34:35], 0
	s_mul_i32 s46, s68, s11
	s_mul_hi_u32 s47, s68, s10
	s_add_i32 s46, s47, s46
	v_mfma_f32_16x16x16_bf16 a[12:15], v[38:39], v[36:37], 0
	ds_read2st64_b64 v[34:37], v127 offset0:4 offset1:8
	ds_read2st64_b64 v[38:41], v129 offset0:4 offset1:8
	s_mul_i32 s39, s39, s10
	s_waitcnt lgkmcnt(1)
	v_mfma_f32_16x16x16_bf16 a[0:3], v[54:55], v[34:35], a[0:3]
	s_add_i32 s47, s46, s39
	s_mul_i32 s46, s68, s10
	s_lshl_b64 s[46:47], s[46:47], 2
	s_waitcnt lgkmcnt(0)
	v_mfma_f32_16x16x16_bf16 a[4:7], v[54:55], v[38:39], a[4:7]
	s_add_u32 s46, s44, s46
	s_addc_u32 s47, s45, s47
	s_and_b64 vcc, exec, s[0:1]
	v_mfma_f32_16x16x16_bf16 a[8:11], v[54:55], v[42:43], a[8:11]
	ds_read_b64 v[34:35], v132 offset:49152
	ds_read_b64 v[38:39], v133 offset:49152
	;; [unrolled: 1-line block ×3, first 2 shown]
	v_mov_b32_e32 v158, 0
	v_mov_b32_e32 v157, 0
	v_mfma_f32_16x16x16_bf16 a[12:15], v[54:55], v[46:47], a[12:15]
	v_mov_b32_e32 v156, 0
	v_mov_b32_e32 v46, 0
	;; [unrolled: 1-line block ×3, first 2 shown]
	s_waitcnt lgkmcnt(2)
	v_mfma_f32_16x16x16_bf16 a[0:3], v[34:35], v[36:37], a[0:3]
	v_mov_b32_e32 v36, 0
	v_mov_b32_e32 v37, 0
	v_mfma_f32_16x16x16_bf16 a[4:7], v[34:35], v[40:41], a[4:7]
	v_mov_b32_e32 v40, 0
	v_mov_b32_e32 v41, 0
	;; [unrolled: 3-line block ×3, first 2 shown]
	v_mfma_f32_16x16x16_bf16 a[12:15], v[34:35], v[48:49], a[12:15]
	ds_read_b64 v[34:35], v130 offset:6144
	v_mov_b32_e32 v48, 0
	v_mov_b32_e32 v49, 0
	s_waitcnt lgkmcnt(2)
	v_mfma_f32_16x16x16_bf16 a[0:3], v[38:39], v[52:53], a[0:3]
	v_mfma_f32_16x16x16_bf16 a[4:7], v[38:39], v[50:51], a[4:7]
	s_waitcnt lgkmcnt(0)
	v_mfma_f32_16x16x16_bf16 a[8:11], v[38:39], v[34:35], a[8:11]
	v_mov_b32_e32 v34, 0
	v_mov_b32_e32 v35, 0
	v_mfma_f32_16x16x16_bf16 a[12:15], v[38:39], v[42:43], a[12:15]
	v_mov_b32_e32 v38, 0
	v_mov_b32_e32 v39, 0
	;; [unrolled: 1-line block ×4, first 2 shown]
	s_cbranch_vccnz .LBB193_12
; %bb.11:                               ;   in Loop: Header=BB193_6 Depth=1
	s_and_b32 s5, s5, 0xffff
	buffer_load_dwordx4 v[46:49], v106, s[4:7], 0 offen
	buffer_load_dwordx4 v[42:45], v106, s[4:7], s63 offen
	buffer_load_dwordx4 v[38:41], v107, s[4:7], 0 offen
	buffer_load_dwordx4 v[34:37], v107, s[4:7], s63 offen
	v_mov_b32_e32 v157, v108
	v_mov_b32_e32 v156, v109
.LBB193_12:                             ;   in Loop: Header=BB193_6 Depth=1
	ds_read_b64 v[70:71], v126 offset:57344
	ds_read2_b64 v[50:53], v134 offset1:16
	ds_read_b64 v[72:73], v128 offset:57344
	ds_read_b64 v[74:75], v132 offset:57344
	;; [unrolled: 1-line block ×3, first 2 shown]
	s_waitcnt lgkmcnt(3)
	v_mfma_f32_16x16x16_bf16 a[0:3], v[70:71], v[50:51], a[0:3]
	v_mfma_f32_16x16x16_bf16 a[4:7], v[70:71], v[52:53], a[4:7]
	ds_read2_b64 v[50:53], v134 offset0:32 offset1:48
	ds_read2st64_b64 v[54:57], v134 offset0:4 offset1:8
	ds_read2st64_b64 v[58:61], v135 offset0:4 offset1:8
	;; [unrolled: 1-line block ×4, first 2 shown]
	s_waitcnt lgkmcnt(4)
	v_mfma_f32_16x16x16_bf16 a[8:11], v[70:71], v[50:51], a[8:11]
	v_mfma_f32_16x16x16_bf16 a[12:15], v[70:71], v[52:53], a[12:15]
	v_add_u32_e32 v70, s61, v102
	v_ashrrev_i32_e32 v50, 31, v70
	v_mul_lo_u32 v52, v50, s10
	v_mul_lo_u32 v53, v70, s11
	v_mad_u64_u32 v[50:51], s[4:5], v70, s10, 0
	v_add3_u32 v51, v51, v53, v52
	v_add_u32_e32 v52, 1, v70
	v_ashrrev_i32_e32 v53, 31, v52
	s_waitcnt lgkmcnt(3)
	v_mfma_f32_16x16x16_bf16 a[0:3], v[72:73], v[54:55], a[0:3]
	v_mul_lo_u32 v54, v53, s10
	v_mul_lo_u32 v55, v52, s11
	v_mad_u64_u32 v[52:53], s[4:5], v52, s10, 0
	v_add3_u32 v53, v53, v55, v54
	v_add_u32_e32 v54, 2, v70
	v_ashrrev_i32_e32 v55, 31, v54
	s_waitcnt lgkmcnt(2)
	v_mfma_f32_16x16x16_bf16 a[4:7], v[72:73], v[58:59], a[4:7]
	v_mul_lo_u32 v58, v55, s10
	v_mul_lo_u32 v59, v54, s11
	v_mad_u64_u32 v[54:55], s[4:5], v54, s10, 0
	v_lshl_add_u64 v[50:51], v[50:51], 2, s[44:45]
	v_lshl_add_u64 v[52:53], v[52:53], 2, s[44:45]
	v_add3_u32 v55, v55, v59, v58
	v_add_u32_e32 v58, 3, v70
	s_waitcnt lgkmcnt(1)
	v_mfma_f32_16x16x16_bf16 a[8:11], v[72:73], v[62:63], a[8:11]
	global_load_dword v63, v[50:51], off
	v_ashrrev_i32_e32 v59, 31, v58
	v_mul_lo_u32 v59, v59, s10
	s_waitcnt lgkmcnt(0)
	v_mfma_f32_16x16x16_bf16 a[12:15], v[72:73], v[66:67], a[12:15]
	global_load_dword v66, v[52:53], off
	v_mad_u64_u32 v[50:51], s[4:5], v58, s10, 0
	s_ashr_i32 s5, s61, 31
	v_mul_lo_u32 v62, v58, s11
	s_add_u32 s4, s60, s61
	v_lshl_add_u64 v[54:55], v[54:55], 2, s[44:45]
	v_add3_u32 v51, v51, v62, v59
	s_addc_u32 s5, s59, s5
	v_lshl_add_u64 v[50:51], v[50:51], 2, s[44:45]
	global_load_dword v62, v[54:55], off
	global_load_dword v67, v[50:51], off
	s_lshl_b64 s[4:5], s[4:5], 8
	v_lshl_add_u64 v[50:51], v[92:93], 0, s[4:5]
	v_lshl_add_u64 v[50:51], v[50:51], 0, v[90:91]
	global_load_ushort v70, v[50:51], off offset:256
	global_load_ushort v71, v[50:51], off
	global_load_ushort v72, v[50:51], off offset:768
	global_load_ushort v73, v[50:51], off offset:512
	;; [unrolled: 1-line block ×6, first 2 shown]
	s_load_dword s46, s[46:47], 0x0
	v_mfma_f32_16x16x16_bf16 a[12:15], v[74:75], v[68:69], a[12:15]
	global_load_ushort v68, v[50:51], off offset:320
	global_load_ushort v69, v[50:51], off offset:64
	s_and_b64 vcc, exec, s[0:1]
	v_mfma_f32_16x16x16_bf16 a[0:3], v[74:75], v[56:57], a[0:3]
	ds_read_b64 v[52:53], v134 offset:6144
	ds_read_b64 v[54:55], v135 offset:6144
	;; [unrolled: 1-line block ×4, first 2 shown]
	v_mfma_f32_16x16x16_bf16 a[4:7], v[74:75], v[60:61], a[4:7]
	s_waitcnt vmcnt(11) lgkmcnt(0)
	v_sub_f32_e32 v60, s46, v62
	v_mfma_f32_16x16x16_bf16 a[8:11], v[74:75], v[64:65], a[8:11]
	global_load_ushort v74, v[50:51], off offset:832
	global_load_ushort v75, v[50:51], off offset:576
	;; [unrolled: 1-line block ×6, first 2 shown]
	v_mfma_f32_16x16x16_bf16 a[0:3], v[160:161], v[52:53], a[0:3]
	s_waitcnt vmcnt(16)
	v_sub_f32_e32 v61, s46, v67
	v_mul_f32_e32 v60, 0x3fb8aa3b, v60
	v_mul_f32_e32 v61, 0x3fb8aa3b, v61
	v_exp_f32_e32 v60, v60
	v_exp_f32_e32 v61, v61
	s_waitcnt vmcnt(15)
	v_lshlrev_b32_e32 v65, 16, v70
	s_waitcnt vmcnt(14)
	v_lshlrev_b32_e32 v64, 16, v71
	v_accvgpr_read_b32 v53, a3
	v_accvgpr_read_b32 v52, a2
	v_mfma_f32_16x16x16_bf16 a[2:5], v[160:161], v[54:55], a[4:7]
	v_mfma_f32_16x16x16_bf16 a[6:9], v[160:161], v[56:57], a[8:11]
	s_nop 5
	v_accvgpr_read_b32 v55, a5
	v_accvgpr_read_b32 v54, a4
	;; [unrolled: 1-line block ×4, first 2 shown]
	v_mfma_f32_16x16x16_bf16 a[8:11], v[160:161], v[58:59], a[12:15]
	v_sub_f32_e32 v58, s46, v63
	v_sub_f32_e32 v59, s46, v66
	v_mul_f32_e32 v58, 0x3fb8aa3b, v58
	v_mul_f32_e32 v59, 0x3fb8aa3b, v59
	v_exp_f32_e32 v58, v58
	v_exp_f32_e32 v59, v59
	v_accvgpr_read_b32 v67, a1
	v_accvgpr_read_b32 v66, a0
	v_lshl_add_u64 v[62:63], v[94:95], 0, s[4:5]
	v_pk_add_f32 v[64:65], v[64:65], v[66:67] neg_lo:[0,1] neg_hi:[0,1]
	s_waitcnt vmcnt(13)
	v_lshlrev_b32_e32 v67, 16, v72
	s_waitcnt vmcnt(12)
	v_lshlrev_b32_e32 v66, 16, v73
	v_lshl_add_u64 v[62:63], v[62:63], 0, v[90:91]
	v_pk_add_f32 v[52:53], v[66:67], v[52:53] neg_lo:[0,1] neg_hi:[0,1]
	global_store_short_d16_hi v[62:63], v64, off
	global_store_short_d16_hi v[62:63], v65, off offset:256
	global_store_short_d16_hi v[62:63], v52, off offset:512
	;; [unrolled: 1-line block ×3, first 2 shown]
	v_pk_mul_f32 v[64:65], v[58:59], v[64:65]
	v_pk_mul_f32 v[52:53], v[60:61], v[52:53]
	v_accvgpr_read_b32 v67, a3
	v_perm_b32 v53, v53, v52, s3
	v_perm_b32 v52, v65, v64, s3
	s_waitcnt vmcnt(15)
	v_lshlrev_b32_e32 v65, 16, v76
	s_waitcnt vmcnt(14)
	v_lshlrev_b32_e32 v64, 16, v159
	v_accvgpr_read_b32 v66, a2
	v_pk_add_f32 v[64:65], v[64:65], v[66:67] neg_lo:[0,1] neg_hi:[0,1]
	s_waitcnt vmcnt(13)
	v_lshlrev_b32_e32 v67, 16, v162
	s_waitcnt vmcnt(12)
	v_lshlrev_b32_e32 v66, 16, v163
	v_pk_add_f32 v[54:55], v[66:67], v[54:55] neg_lo:[0,1] neg_hi:[0,1]
	global_store_short_d16_hi v[62:63], v64, off offset:32
	global_store_short_d16_hi v[62:63], v65, off offset:288
	;; [unrolled: 1-line block ×4, first 2 shown]
	v_pk_mul_f32 v[64:65], v[58:59], v[64:65]
	v_pk_mul_f32 v[54:55], v[60:61], v[54:55]
	v_accvgpr_read_b32 v57, a11
	v_perm_b32 v55, v55, v54, s3
	v_perm_b32 v54, v65, v64, s3
	ds_write2_b64 v111, v[52:53], v[54:55] offset1:16
	v_accvgpr_read_b32 v55, a7
	s_waitcnt vmcnt(15)
	v_lshlrev_b32_e32 v53, 16, v68
	s_waitcnt vmcnt(14)
	v_lshlrev_b32_e32 v52, 16, v69
	v_accvgpr_read_b32 v54, a6
	v_pk_add_f32 v[52:53], v[52:53], v[54:55] neg_lo:[0,1] neg_hi:[0,1]
	global_store_short_d16_hi v[62:63], v52, off offset:64
	global_store_short_d16_hi v[62:63], v53, off offset:320
	v_pk_mul_f32 v[52:53], v[58:59], v[52:53]
	v_accvgpr_read_b32 v56, a10
	v_perm_b32 v52, v53, v52, s3
	v_mov_b32_e32 v159, 0
	v_mov_b32_e32 v64, 0
	;; [unrolled: 1-line block ×3, first 2 shown]
	s_waitcnt vmcnt(15)
	v_lshlrev_b32_e32 v55, 16, v74
	s_waitcnt vmcnt(14)
	v_lshlrev_b32_e32 v54, 16, v75
	v_pk_add_f32 v[50:51], v[54:55], v[50:51] neg_lo:[0,1] neg_hi:[0,1]
	global_store_short_d16_hi v[62:63], v50, off offset:576
	global_store_short_d16_hi v[62:63], v51, off offset:832
	v_pk_mul_f32 v[50:51], v[60:61], v[50:51]
	v_accvgpr_read_b32 v55, a9
	v_perm_b32 v53, v51, v50, s3
	s_waitcnt vmcnt(15)
	v_lshlrev_b32_e32 v51, 16, v164
	s_waitcnt vmcnt(14)
	v_lshlrev_b32_e32 v50, 16, v165
	v_accvgpr_read_b32 v54, a8
	v_pk_add_f32 v[50:51], v[50:51], v[54:55] neg_lo:[0,1] neg_hi:[0,1]
	s_waitcnt vmcnt(13)
	v_lshlrev_b32_e32 v55, 16, v166
	s_waitcnt vmcnt(12)
	v_lshlrev_b32_e32 v54, 16, v167
	v_pk_add_f32 v[54:55], v[54:55], v[56:57] neg_lo:[0,1] neg_hi:[0,1]
	global_store_short_d16_hi v[62:63], v50, off offset:96
	global_store_short_d16_hi v[62:63], v51, off offset:352
	;; [unrolled: 1-line block ×4, first 2 shown]
	v_pk_mul_f32 v[50:51], v[58:59], v[50:51]
	v_pk_mul_f32 v[54:55], v[60:61], v[54:55]
	v_mov_b32_e32 v56, 0
	v_perm_b32 v55, v55, v54, s3
	v_perm_b32 v54, v51, v50, s3
	ds_write2_b64 v111, v[52:53], v[54:55] offset0:32 offset1:48
	v_mov_b32_e32 v50, 0
	v_mov_b32_e32 v51, 0
	;; [unrolled: 1-line block ×13, first 2 shown]
	s_cbranch_vccnz .LBB193_14
; %bb.13:                               ;   in Loop: Header=BB193_6 Depth=1
	s_and_b32 s37, s37, 0xffff
	s_mov_b32 s39, s7
	buffer_load_dwordx4 v[62:65], v144, s[36:39], 0 offen
	buffer_load_dwordx4 v[54:57], v144, s[36:39], s63 offen
	;; [unrolled: 1-line block ×4, first 2 shown]
	v_mov_b32_e32 v158, v105
	v_mov_b32_e32 v159, v104
.LBB193_14:                             ;   in Loop: Header=BB193_6 Depth=1
	s_waitcnt lgkmcnt(0)
	s_barrier
	ds_read_b64 v[74:75], v147
	ds_read2_b64 v[66:69], v140 offset1:16
	ds_read_b64 v[176:177], v148
	ds_read_b64 v[178:179], v149
	;; [unrolled: 1-line block ×3, first 2 shown]
	ds_read2_b64 v[70:73], v140 offset0:32 offset1:48
	ds_read2st64_b64 v[160:163], v140 offset0:4 offset1:8
	ds_read2st64_b64 v[164:167], v141 offset0:4 offset1:8
	;; [unrolled: 1-line block ×4, first 2 shown]
	s_waitcnt lgkmcnt(8)
	v_mfma_f32_16x16x16_bf16 a[0:3], v[74:75], v[66:67], 0
	s_add_i32 s4, s58, s66
	s_mul_hi_i32 s5, s4, s29
	s_mul_i32 s4, s4, s29
	v_mfma_f32_16x16x16_bf16 a[4:7], v[74:75], v[68:69], 0
	s_add_u32 s4, s4, s33
	s_addc_u32 s5, s5, s48
	s_lshl_b64 s[4:5], s[4:5], 15
	s_waitcnt lgkmcnt(4)
	v_mfma_f32_16x16x16_bf16 a[8:11], v[74:75], v[70:71], 0
	s_mul_i32 s36, s68, s29
	s_mul_hi_i32 s37, s68, s29
	s_add_u32 s36, s36, s33
	v_mfma_f32_16x16x16_bf16 a[12:15], v[74:75], v[72:73], 0
	ds_read_b64 v[74:75], v140 offset:6144
	ds_read_b64 v[188:189], v141 offset:6144
	;; [unrolled: 1-line block ×4, first 2 shown]
	s_addc_u32 s37, s37, s48
	s_waitcnt lgkmcnt(7)
	v_mfma_f32_16x16x16_bf16 a[0:3], v[176:177], v[160:161], a[0:3]
	s_lshl_b64 s[36:37], s[36:37], 9
	s_add_u32 s36, s8, s36
	s_addc_u32 s37, s9, s37
	s_waitcnt lgkmcnt(6)
	v_mfma_f32_16x16x16_bf16 a[4:7], v[176:177], v[164:165], a[4:7]
	v_lshl_add_u64 v[198:199], v[96:97], 0, s[4:5]
	s_waitcnt lgkmcnt(5)
	v_mfma_f32_16x16x16_bf16 a[8:11], v[176:177], v[168:169], a[8:11]
	s_waitcnt lgkmcnt(4)
	v_mfma_f32_16x16x16_bf16 a[12:15], v[176:177], v[172:173], a[12:15]
	ds_read_b64 v[176:177], v152
	ds_read_b64 v[186:187], v153
	;; [unrolled: 1-line block ×3, first 2 shown]
	s_waitcnt lgkmcnt(2)
	v_mfma_f32_16x16x16_bf16 a[16:19], v[176:177], v[66:67], 0
	v_mfma_f32_16x16x16_bf16 a[20:23], v[176:177], v[68:69], 0
	global_load_dwordx4 v[66:69], v151, s[36:37]
	v_mfma_f32_16x16x16_bf16 a[24:27], v[176:177], v[70:71], 0
	v_mfma_f32_16x16x16_bf16 a[28:31], v[176:177], v[72:73], 0
	global_load_dwordx4 v[70:73], v89, s[36:37]
	v_mfma_f32_16x16x16_bf16 a[0:3], v[178:179], v[162:163], a[0:3]
	v_mfma_f32_16x16x16_bf16 a[4:7], v[178:179], v[166:167], a[4:7]
	;; [unrolled: 1-line block ×8, first 2 shown]
	ds_read2st64_b64 v[176:179], v138 offset1:8
	ds_read2st64_b64 v[180:183], v139 offset1:8
	ds_read_b64 v[196:197], v146 offset:40960
	s_waitcnt lgkmcnt(2)
	v_mov_b32_e32 v184, v176
	v_mfma_f32_16x16x16_bf16 a[16:19], v[186:187], v[160:161], a[16:19]
	v_mov_b32_e32 v185, v177
	v_mfma_f32_16x16x16_bf16 a[20:23], v[186:187], v[164:165], a[20:23]
	v_mfma_f32_16x16x16_bf16 a[24:27], v[186:187], v[168:169], a[24:27]
	;; [unrolled: 1-line block ×3, first 2 shown]
	v_add_co_u32_e32 v172, vcc, s41, v198
	s_waitcnt lgkmcnt(1)
	v_mov_b32_e32 v186, v180
	s_waitcnt lgkmcnt(0)
	v_mfma_f32_16x16x16_bf16 a[16:19], v[196:197], v[162:163], a[16:19]
	ds_read2st64_b64 v[160:163], v138 offset0:16 offset1:24
	v_addc_co_u32_e32 v173, vcc, 0, v199, vcc
	v_mfma_f32_16x16x16_bf16 a[20:23], v[196:197], v[166:167], a[20:23]
	ds_read2st64_b64 v[164:167], v139 offset0:16 offset1:24
	v_mov_b32_e32 v187, v181
	v_mov_b32_e32 v180, v178
	v_mfma_f32_16x16x16_bf16 a[32:35], v[196:197], v[170:171], a[24:27]
	v_mov_b32_e32 v181, v179
	s_waitcnt lgkmcnt(0)
	v_mov_b32_e32 v170, v164
	v_mov_b32_e32 v171, v165
	v_mfma_f32_16x16x16_bf16 a[36:39], v[196:197], v[174:175], a[28:31]
	v_mov_b32_e32 v164, v162
	v_mov_b32_e32 v165, v163
	;; [unrolled: 1-line block ×3, first 2 shown]
	v_mfma_f32_16x16x16_bf16 a[24:27], v[194:195], v[74:75], a[16:19]
	v_add_co_u32_e32 v74, vcc, s43, v198
	v_mov_b32_e32 v169, v161
	v_mfma_f32_16x16x16_bf16 a[28:31], v[194:195], v[188:189], a[20:23]
	v_addc_co_u32_e32 v75, vcc, 0, v199, vcc
	global_store_dwordx4 v[74:75], v[164:167], off
	v_mfma_f32_16x16x16_bf16 a[16:19], v[194:195], v[190:191], a[32:35]
	s_waitcnt vmcnt(2)
	v_mov_b32_e32 v76, v69
	v_mov_b32_e32 v75, v68
	;; [unrolled: 1-line block ×3, first 2 shown]
	v_mfma_f32_16x16x16_bf16 a[20:23], v[194:195], v[192:193], a[36:39]
	s_and_b64 vcc, exec, s[0:1]
	global_store_dwordx4 v[198:199], v[184:187], off
	global_store_dwordx4 v[172:173], v[180:183], off offset:-4096
	global_store_dwordx4 v[172:173], v[168:171], off
	s_cbranch_vccnz .LBB193_16
; %bb.15:                               ;   in Loop: Header=BB193_6 Depth=1
	v_lshrrev_b32_e32 v67, 3, v158
	v_and_b32_e32 v67, 6, v67
	v_xor_b32_e32 v68, v67, v159
	v_lshlrev_b32_e32 v68, 2, v68
	v_and_b32_e32 v69, 8, v158
	v_xor_b32_e32 v158, 0x440, v68
	v_cmp_eq_u32_e32 vcc, 0, v69
	v_perm_b32 v69, v54, v50, s64
	s_nop 0
	v_cndmask_b32_e32 v68, v158, v68, vcc
	v_lshl_or_b32 v67, v67, 10, v68
	v_perm_b32 v68, v62, v58, s64
	s_barrier
	ds_write2st64_b32 v67, v68, v69 offset0:128 offset1:160
	v_xor_b32_e32 v68, 8, v67
	v_perm_b32 v58, v62, v58, s65
	v_perm_b32 v50, v54, v50, s65
	v_add_u32_e32 v54, 0x80, v68
	ds_write2st64_b32 v54, v58, v50 offset0:128 offset1:160
	v_xor_b32_e32 v50, 16, v67
	v_perm_b32 v54, v63, v59, s64
	v_perm_b32 v58, v55, v51, s64
	ds_write2st64_b32 v50, v54, v58 offset0:129 offset1:161
	v_xor_b32_e32 v50, 24, v67
	v_perm_b32 v54, v63, v59, s65
	v_perm_b32 v51, v55, v51, s65
	v_add_u32_e32 v50, 0x80, v50
	ds_write2st64_b32 v50, v54, v51 offset0:129 offset1:161
	v_xor_b32_e32 v50, 32, v67
	v_perm_b32 v51, v64, v60, s64
	v_perm_b32 v54, v56, v52, s64
	;; [unrolled: 9-line block ×3, first 2 shown]
	ds_write2st64_b32 v50, v51, v52 offset0:131 offset1:163
	v_xor_b32_e32 v50, 56, v67
	v_perm_b32 v51, v65, v61, s65
	v_perm_b32 v52, v57, v53, s65
	v_add_u32_e32 v50, 0x80, v50
	ds_write2st64_b32 v50, v51, v52 offset0:131 offset1:163
	ds_write_b64 v157, v[46:47] offset:49152
	v_xor_b32_e32 v46, 8, v157
	ds_write_b64 v46, v[48:49] offset:49152
	ds_write_b64 v157, v[42:43] offset:57344
	;; [unrolled: 1-line block ×4, first 2 shown]
	v_xor_b32_e32 v38, 8, v156
	ds_write_b64 v38, v[40:41] offset:49152
	ds_write_b64 v156, v[34:35] offset:57344
	;; [unrolled: 1-line block ×3, first 2 shown]
.LBB193_16:                             ;   in Loop: Header=BB193_6 Depth=1
	v_mul_f32_e32 v58, s46, v155
	v_exp_f32_e32 v68, v58
	s_waitcnt vmcnt(4)
	v_mul_f32_e32 v58, 0x3fb8aa3b, v70
	v_exp_f32_e32 v70, v58
	v_mul_f32_e32 v58, 0x3fb8aa3b, v71
	v_exp_f32_e32 v71, v58
	;; [unrolled: 2-line block ×4, first 2 shown]
	v_accvgpr_read_b32 v37, a3
	v_accvgpr_read_b32 v36, a2
	;; [unrolled: 1-line block ×4, first 2 shown]
	v_pk_mul_f32 v[70:71], v[68:69], v[70:71] op_sel_hi:[0,1]
	v_pk_mul_f32 v[72:73], v[68:69], v[72:73] op_sel_hi:[0,1]
	v_pk_fma_f32 v[22:23], v[22:23], v[70:71], v[34:35]
	v_pk_fma_f32 v[24:25], v[24:25], v[72:73], v[36:37]
	v_mul_f32_e32 v34, 0x3fb8aa3b, v66
	v_mul_f32_e32 v35, 0x3fb8aa3b, v74
	;; [unrolled: 1-line block ×4, first 2 shown]
	v_exp_f32_e32 v34, v34
	v_exp_f32_e32 v35, v35
	;; [unrolled: 1-line block ×4, first 2 shown]
	v_accvgpr_read_b32 v41, a7
	v_accvgpr_read_b32 v45, a11
	;; [unrolled: 1-line block ×28, first 2 shown]
	v_pk_mul_f32 v[34:35], v[68:69], v[34:35] op_sel_hi:[0,1]
	v_pk_mul_f32 v[36:37], v[68:69], v[36:37] op_sel_hi:[0,1]
	s_add_i32 s61, s61, 64
	v_pk_fma_f32 v[26:27], v[70:71], v[26:27], v[38:39]
	v_pk_fma_f32 v[28:29], v[72:73], v[28:29], v[40:41]
	;; [unrolled: 1-line block ×13, first 2 shown]
	s_cmp_eq_u32 s55, s67
	v_pk_fma_f32 v[4:5], v[36:37], v[4:5], v[64:65]
	s_cbranch_scc1 .LBB193_18
; %bb.17:                               ;   in Loop: Header=BB193_6 Depth=1
	s_mov_b32 s66, s67
	s_branch .LBB193_6
.LBB193_18:
	s_lshl_b32 s0, s55, 6
	s_sub_i32 s46, s56, s0
	s_cmp_gt_i32 s46, 0
	s_cbranch_scc0 .LBB193_99
; %bb.19:
	s_add_i32 s34, s0, s34
	s_ashr_i32 s3, s34, 31
	s_cmpk_lg_i32 s31, 0x80
	s_cselect_b64 s[38:39], -1, 0
	s_and_b64 vcc, exec, s[38:39]
	s_cbranch_vccz .LBB193_21
; %bb.20:
	s_mul_i32 s1, s34, s30
	s_ashr_i32 s4, s57, 31
	s_mul_hi_i32 s0, s34, s30
	s_add_u32 s44, s1, s57
	s_addc_u32 s45, s0, s4
	s_cbranch_execz .LBB193_22
	s_branch .LBB193_23
.LBB193_21:
                                        ; implicit-def: $sgpr44_sgpr45
.LBB193_22:
	s_mul_i32 s1, s57, s28
	s_mul_hi_i32 s0, s57, s28
	s_add_u32 s44, s1, s34
	s_addc_u32 s45, s0, s3
.LBB193_23:
	s_waitcnt lgkmcnt(0)
	s_add_i32 s4, s55, s58
	s_add_u32 s0, s60, s34
	v_lshlrev_b32_e32 v38, 6, v102
	v_lshlrev_b32_e32 v57, 2, v99
	s_addc_u32 s1, s59, s3
	s_mov_b32 s3, 0x7060302
	v_or_b32_e32 v41, v38, v57
	v_xor_b32_e32 v39, v102, v57
	s_waitcnt vmcnt(7)
	v_perm_b32 v35, v25, v24, s3
	v_perm_b32 v34, v23, v22, s3
	s_waitcnt vmcnt(6)
	v_perm_b32 v37, v13, v12, s3
	v_perm_b32 v36, v11, v10, s3
	v_lshlrev_b32_e32 v41, 1, v41
	v_xor_b32_e32 v40, v103, v57
	ds_write2st64_b64 v41, v[34:35], v[36:37] offset0:32 offset1:48
	v_lshlrev_b32_e32 v39, 1, v39
	v_lshlrev_b32_e32 v41, 8, v99
	v_or_b32_e32 v42, v39, v41
	v_lshlrev_b32_e32 v40, 1, v40
	ds_write_b64 v42, v[34:35]
	v_or_b32_e32 v34, v40, v41
	v_or_b32_e32 v41, 16, v99
	v_lshlrev_b32_e32 v55, 2, v41
	v_or_b32_e32 v42, v38, v55
	ds_write_b64 v34, v[36:37]
	s_waitcnt vmcnt(5)
	v_perm_b32 v35, v29, v28, s3
	v_perm_b32 v34, v27, v26, s3
	s_waitcnt vmcnt(4)
	v_perm_b32 v37, v17, v16, s3
	v_perm_b32 v36, v15, v14, s3
	v_lshlrev_b32_e32 v42, 1, v42
	v_lshlrev_b32_e32 v41, 8, v41
	ds_write2st64_b64 v42, v[34:35], v[36:37] offset0:32 offset1:48
	v_or_b32_e32 v42, v39, v41
	ds_write_b64 v42, v[34:35]
	v_or_b32_e32 v34, v40, v41
	v_or_b32_e32 v41, 32, v99
	v_lshlrev_b32_e32 v54, 2, v41
	v_or_b32_e32 v42, v38, v54
	ds_write_b64 v34, v[36:37]
	s_waitcnt vmcnt(3)
	v_perm_b32 v35, v33, v32, s3
	v_perm_b32 v34, v31, v30, s3
	s_waitcnt vmcnt(2)
	v_perm_b32 v37, v21, v20, s3
	v_perm_b32 v36, v19, v18, s3
	v_lshlrev_b32_e32 v42, 1, v42
	v_lshlrev_b32_e32 v41, 8, v41
	s_lshl_b64 s[36:37], s[0:1], 8
	ds_write2st64_b64 v42, v[34:35], v[36:37] offset0:32 offset1:48
	v_or_b32_e32 v42, v39, v41
	s_add_u32 s0, s18, s36
	ds_write_b64 v42, v[34:35]
	v_or_b32_e32 v34, v40, v41
	s_addc_u32 s1, s19, s37
	ds_write_b64 v34, v[36:37]
	s_waitcnt vmcnt(1)
	v_perm_b32 v35, v9, v8, s3
	v_perm_b32 v34, v7, v6, s3
	s_waitcnt vmcnt(0)
	v_perm_b32 v37, v5, v4, s3
	v_perm_b32 v36, v3, v2, s3
	v_or_b32_e32 v41, 48, v99
	s_mul_hi_i32 s3, s4, s29
	s_mul_i32 s4, s4, s29
	v_lshlrev_b32_e32 v51, 2, v41
	s_add_u32 s4, s4, s33
	v_or_b32_e32 v38, v38, v51
	s_addc_u32 s5, s3, s48
	v_lshlrev_b32_e32 v38, 1, v38
	s_ashr_i32 s3, s2, 31
	s_lshl_b64 s[4:5], s[4:5], 15
	ds_write2st64_b64 v38, v[34:35], v[36:37] offset0:32 offset1:48
	v_lshlrev_b32_e32 v38, 8, v41
	s_add_u32 s4, s12, s4
	v_or_b32_e32 v39, v39, v38
	s_addc_u32 s5, s13, s5
	s_lshl_b64 s[2:3], s[2:3], 8
	ds_write_b64 v39, v[34:35]
	v_or_b32_e32 v34, v40, v38
	s_add_u32 s2, s4, s2
	v_lshlrev_b32_e32 v35, 1, v99
	ds_write_b64 v34, v[36:37]
	v_lshrrev_b32_e32 v34, 4, v0
	s_addc_u32 s3, s5, s3
	v_or_b32_e32 v36, 1, v35
	v_lshlrev_b32_e32 v42, 4, v99
	v_mov_b32_e32 v43, 0
	v_xor_b32_e32 v35, v34, v35
	v_xor_b32_e32 v38, v36, v34
	v_lshl_add_u64 v[44:45], s[2:3], 0, v[42:43]
	v_lshlrev_b32_e32 v42, 8, v34
	v_lshl_or_b32 v48, v35, 3, v42
	v_lshl_or_b32 v49, v38, 3, v42
	s_waitcnt lgkmcnt(0)
	s_barrier
	ds_read2st64_b64 v[34:37], v48 offset1:8
	ds_read2st64_b64 v[38:41], v49 offset1:8
	v_lshl_add_u64 v[46:47], v[44:45], 0, v[42:43]
	s_movk_i32 s2, 0x2000
	s_cmp_lg_u32 s46, 64
	s_waitcnt lgkmcnt(1)
	v_mov_b32_e32 v42, v34
	v_mov_b32_e32 v43, v35
	s_waitcnt lgkmcnt(0)
	v_mov_b32_e32 v44, v38
	v_mov_b32_e32 v45, v39
	global_store_dwordx4 v[46:47], v[42:45], off
	v_mov_b32_e32 v38, v36
	v_mov_b32_e32 v39, v37
	ds_read2st64_b64 v[34:37], v48 offset0:16 offset1:24
	ds_read2st64_b64 v[42:45], v49 offset0:16 offset1:24
	v_add_co_u32_e32 v48, vcc, s2, v46
	s_cselect_b64 s[18:19], -1, 0
	s_nop 0
	v_addc_co_u32_e32 v49, vcc, 0, v47, vcc
	global_store_dwordx4 v[48:49], v[38:41], off offset:-4096
	v_lshl_or_b32 v62, v1, 3, v101
	s_mov_b32 s4, 0
	s_waitcnt lgkmcnt(1)
	v_mov_b32_e32 v38, v34
	v_add_co_u32_e32 v34, vcc, 0x3000, v46
	v_mov_b32_e32 v39, v35
	s_nop 0
	v_addc_co_u32_e32 v35, vcc, 0, v47, vcc
	s_waitcnt lgkmcnt(0)
	v_mov_b32_e32 v40, v42
	v_mov_b32_e32 v41, v43
	;; [unrolled: 1-line block ×4, first 2 shown]
	v_or_b32_e32 v52, 32, v62
	v_and_b32_e32 v50, 56, v100
	s_and_b64 vcc, exec, s[18:19]
	global_store_dwordx4 v[48:49], v[38:41], off
	global_store_dwordx4 v[34:35], v[42:45], off
	s_cbranch_vccz .LBB193_29
; %bb.24:
	s_mov_b32 s6, s4
	s_mov_b32 s7, s4
	s_mov_b32 s5, s4
	v_mov_b64_e32 v[40:41], s[6:7]
	v_mov_b64_e32 v[38:39], s[4:5]
	;; [unrolled: 1-line block ×3, first 2 shown]
	v_cmp_gt_i32_e32 vcc, s46, v62
	v_mov_b64_e32 v[36:37], v[40:41]
	s_and_saveexec_b64 s[2:3], vcc
	s_cbranch_execz .LBB193_26
; %bb.25:
	v_lshlrev_b32_e32 v34, 8, v62
	v_mov_b32_e32 v35, 0
	v_lshl_add_u64 v[36:37], s[0:1], 0, v[34:35]
	v_lshlrev_b32_e32 v34, 1, v50
	v_lshl_add_u64 v[42:43], v[36:37], 0, v[34:35]
	global_load_dwordx4 v[38:41], v[42:43], off
	global_load_dwordx4 v[34:37], v[42:43], off offset:128
.LBB193_26:
	s_or_b64 exec, exec, s[2:3]
	s_mov_b32 s6, s4
	s_mov_b32 s7, s4
	;; [unrolled: 1-line block ×3, first 2 shown]
	v_mov_b64_e32 v[48:49], s[6:7]
	v_mov_b64_e32 v[46:47], s[4:5]
	v_mov_b64_e32 v[42:43], v[46:47]
	v_cmp_gt_i32_e32 vcc, s46, v52
	v_lshlrev_b32_e32 v53, 7, v52
	v_mov_b64_e32 v[44:45], v[48:49]
	s_and_saveexec_b64 s[2:3], vcc
	s_cbranch_execz .LBB193_28
; %bb.27:
	v_lshlrev_b32_e32 v42, 1, v53
	v_mov_b32_e32 v43, 0
	v_lshl_add_u64 v[44:45], s[0:1], 0, v[42:43]
	v_lshlrev_b32_e32 v42, 1, v50
	v_lshl_add_u64 v[58:59], v[44:45], 0, v[42:43]
	global_load_dwordx4 v[46:49], v[58:59], off
	global_load_dwordx4 v[42:45], v[58:59], off offset:128
.LBB193_28:
	s_or_b64 exec, exec, s[2:3]
	v_lshrrev_b32_e32 v56, 3, v50
	v_lshlrev_b32_e32 v58, 3, v62
	v_or_b32_e32 v56, v58, v56
	v_lshlrev_b32_e32 v56, 4, v56
	v_and_b32_e32 v58, 0x78, v58
	v_xor_b32_e32 v56, v56, v58
	s_branch .LBB193_31
.LBB193_29:
                                        ; implicit-def: $vgpr56
                                        ; implicit-def: $vgpr53
                                        ; implicit-def: $vgpr38_vgpr39_vgpr40_vgpr41
                                        ; implicit-def: $vgpr34_vgpr35_vgpr36_vgpr37
                                        ; implicit-def: $vgpr46_vgpr47_vgpr48_vgpr49
                                        ; implicit-def: $vgpr42_vgpr43_vgpr44_vgpr45
	s_cbranch_execz .LBB193_31
; %bb.30:
	s_waitcnt vmcnt(0)
	v_lshlrev_b32_e32 v34, 1, v50
	v_lshl_or_b32 v53, v62, 8, v34
	s_and_b32 s1, s1, 0xffff
	s_mov_b32 s3, 0x20000
	s_movk_i32 s2, 0x4000
	v_lshl_or_b32 v56, v52, 8, v34
	s_movk_i32 s4, 0x80
	buffer_load_dwordx4 v[38:41], v53, s[0:3], 0 offen
	buffer_load_dwordx4 v[34:37], v53, s[0:3], s4 offen
	;; [unrolled: 1-line block ×4, first 2 shown]
	v_lshrrev_b32_e32 v53, 3, v50
	v_lshlrev_b32_e32 v56, 3, v62
	v_or_b32_e32 v53, v56, v53
	v_lshlrev_b32_e32 v53, 4, v53
	v_and_b32_e32 v56, 0x78, v56
	v_xor_b32_e32 v56, v53, v56
	v_lshlrev_b32_e32 v53, 7, v52
.LBB193_31:
	s_movk_i32 s0, 0x1000
	v_and_or_b32 v52, v53, s0, v56
	s_waitcnt vmcnt(1)
	ds_write_b64 v56, v[38:39] offset:49152
	v_xor_b32_e32 v38, 8, v56
	ds_write_b64 v38, v[40:41] offset:49152
	s_waitcnt vmcnt(0)
	ds_write_b64 v56, v[34:35] offset:57344
	ds_write_b64 v38, v[36:37] offset:57344
	ds_write_b64 v52, v[46:47] offset:49152
	v_xor_b32_e32 v34, 8, v52
	ds_write_b64 v34, v[48:49] offset:49152
	ds_write_b64 v52, v[42:43] offset:57344
	;; [unrolled: 1-line block ×3, first 2 shown]
	v_or_b32_e32 v34, v77, v99
	v_lshlrev_b32_e32 v34, 3, v34
	v_lshrrev_b32_e32 v35, 5, v79
	s_movk_i32 s0, 0xf8
	v_and_or_b32 v35, v34, s0, v35
	v_lshlrev_b32_e32 v39, 4, v35
	v_lshlrev_b32_e32 v56, 11, v1
	v_and_b32_e32 v40, 0x78, v34
	v_or_b32_e32 v42, 32, v39
	v_and_b32_e32 v38, 0x1000, v56
	v_lshrrev_b32_e32 v35, 1, v79
	v_xor_b32_e32 v42, v42, v40
	v_xor_b32_e32 v34, v39, v40
	v_and_b32_e32 v41, 8, v35
	v_or_b32_e32 v42, v42, v38
	v_or_b32_e32 v34, v34, v38
	v_xor_b32_e32 v64, v42, v41
	v_or_b32_e32 v42, 64, v39
	v_xor_b32_e32 v63, v34, v41
	v_xor_b32_e32 v42, v42, v40
	s_waitcnt lgkmcnt(0)
	s_barrier
	v_or_b32_e32 v45, v42, v38
	ds_read_b64 v[42:43], v63 offset:49152
	v_lshl_or_b32 v46, v98, 8, v57
	v_lshlrev_b32_e32 v58, 1, v46
	v_add_u32_e32 v44, 0x4000, v58
	ds_read2_b64 v[34:37], v44 offset1:16
	v_or_b32_e32 v39, 0x60, v39
	v_xor_b32_e32 v39, v39, v40
	v_or_b32_e32 v38, v39, v38
	v_xor_b32_e32 v65, v45, v41
	v_xor_b32_e32 v66, v38, v41
	ds_read_b64 v[52:53], v64 offset:49152
	ds_read_b64 v[68:69], v65 offset:49152
	;; [unrolled: 1-line block ×3, first 2 shown]
	s_waitcnt lgkmcnt(3)
	v_mfma_f32_16x16x16_bf16 a[0:3], v[42:43], v[34:35], 0
	ds_read2st64_b64 v[38:41], v58 offset0:36 offset1:40
	s_lshl_b64 s[0:1], s[44:45], 8
	s_add_u32 s4, s16, s0
	v_mfma_f32_16x16x16_bf16 a[4:7], v[42:43], v[36:37], 0
	ds_read2_b64 v[34:37], v44 offset0:32 offset1:48
	s_addc_u32 s5, s17, s1
	s_add_i32 s0, s51, s49
	s_waitcnt lgkmcnt(0)
	v_mfma_f32_16x16x16_bf16 a[8:11], v[42:43], v[34:35], 0
	v_or_b32_e32 v34, 64, v46
	v_lshlrev_b32_e32 v59, 1, v34
	s_add_i32 s17, s35, -1
	v_mfma_f32_16x16x16_bf16 a[12:15], v[42:43], v[36:37], 0
	ds_read2st64_b64 v[34:37], v59 offset0:36 offset1:40
	s_add_i32 s43, s0, s50
	s_add_i32 s0, s53, s52
	v_mfma_f32_16x16x16_bf16 a[0:3], v[52:53], v[38:39], a[0:3]
	v_or_b32_e32 v38, 0x80, v46
	v_lshlrev_b32_e32 v60, 1, v38
	ds_read2st64_b64 v[42:45], v60 offset0:36 offset1:40
	s_waitcnt lgkmcnt(1)
	v_mfma_f32_16x16x16_bf16 a[4:7], v[52:53], v[34:35], a[4:7]
	v_or_b32_e32 v34, 0xc0, v46
	v_lshlrev_b32_e32 v61, 1, v34
	ds_read2st64_b64 v[46:49], v61 offset0:36 offset1:40
	s_add_i32 s41, s0, s54
	s_ashr_i32 s0, s17, 31
	s_mul_i32 s1, s17, s11
	s_mul_hi_u32 s2, s17, s10
	s_add_i32 s1, s2, s1
	s_mul_i32 s0, s0, s10
	s_waitcnt lgkmcnt(1)
	v_mfma_f32_16x16x16_bf16 a[8:11], v[52:53], v[42:43], a[8:11]
	s_add_i32 s1, s1, s0
	s_lshl_b64 s[2:3], s[42:43], 2
	s_add_u32 s6, s22, s2
	s_waitcnt lgkmcnt(0)
	v_mfma_f32_16x16x16_bf16 a[12:15], v[52:53], v[46:47], a[12:15]
	s_addc_u32 s7, s23, s3
	s_lshl_b64 s[2:3], s[40:41], 2
	s_mul_i32 s0, s17, s10
	v_mfma_f32_16x16x16_bf16 a[0:3], v[68:69], v[40:41], a[0:3]
	ds_read_b64 v[34:35], v58 offset:22528
	s_add_u32 s12, s6, s2
	s_addc_u32 s13, s7, s3
	v_mfma_f32_16x16x16_bf16 a[4:7], v[68:69], v[36:37], a[4:7]
	ds_read_b64 v[36:37], v59 offset:22528
	ds_read_b64 v[38:39], v60 offset:22528
	;; [unrolled: 1-line block ×3, first 2 shown]
	s_lshl_b64 s[0:1], s[0:1], 2
	s_add_u32 s0, s12, s0
	v_mfma_f32_16x16x16_bf16 a[8:11], v[68:69], v[44:45], a[8:11]
	s_addc_u32 s1, s13, s1
	s_load_dword s16, s[0:1], 0x0
	s_and_b64 vcc, exec, s[38:39]
	v_mfma_f32_16x16x16_bf16 a[12:15], v[68:69], v[48:49], a[12:15]
	s_waitcnt lgkmcnt(0)
	v_mfma_f32_16x16x16_bf16 a[0:3], v[70:71], v[34:35], a[0:3]
	v_mfma_f32_16x16x16_bf16 a[4:7], v[70:71], v[36:37], a[4:7]
	;; [unrolled: 1-line block ×4, first 2 shown]
	s_cbranch_vccz .LBB193_42
; %bb.32:
	v_lshlrev_b32_e32 v52, 1, v62
	s_and_b64 vcc, exec, s[18:19]
	s_cbranch_vccz .LBB193_43
; %bb.33:
	v_cmp_gt_i32_e32 vcc, s46, v52
	v_mov_b32_e32 v38, 0
	v_mov_b32_e32 v34, 0
	;; [unrolled: 1-line block ×5, first 2 shown]
	s_and_saveexec_b64 s[0:1], vcc
	s_cbranch_execz .LBB193_35
; %bb.34:
	v_mad_i64_i32 v[34:35], s[2:3], s31, v52, 0
	v_lshl_add_u64 v[34:35], v[34:35], 1, s[4:5]
	v_lshlrev_b32_e32 v36, 1, v50
	v_mov_b32_e32 v37, 0
	v_lshl_add_u64 v[34:35], v[34:35], 0, v[36:37]
	global_load_dwordx4 v[34:37], v[34:35], off
.LBB193_35:
	s_or_b64 exec, exec, s[0:1]
	v_or_b32_e32 v53, 1, v52
	v_cmp_gt_i32_e64 s[0:1], s46, v53
	v_mov_b32_e32 v39, 0
	v_mov_b32_e32 v40, 0
	;; [unrolled: 1-line block ×3, first 2 shown]
	s_and_saveexec_b64 s[2:3], s[0:1]
	s_cbranch_execz .LBB193_37
; %bb.36:
	v_mad_i64_i32 v[38:39], s[6:7], s31, v53, 0
	v_lshl_add_u64 v[38:39], v[38:39], 1, s[4:5]
	v_lshlrev_b32_e32 v40, 1, v50
	v_mov_b32_e32 v41, 0
	v_lshl_add_u64 v[38:39], v[38:39], 0, v[40:41]
	global_load_dwordx4 v[38:41], v[38:39], off
.LBB193_37:
	s_or_b64 exec, exec, s[2:3]
	v_mov_b32_e32 v49, 0
	v_mov_b32_e32 v42, 0
	;; [unrolled: 1-line block ×5, first 2 shown]
	s_and_saveexec_b64 s[2:3], vcc
	s_cbranch_execz .LBB193_39
; %bb.38:
	v_mad_i64_i32 v[42:43], s[6:7], s31, v52, 0
	v_lshl_add_u64 v[42:43], v[42:43], 1, s[4:5]
	v_lshlrev_b32_e32 v44, 1, v50
	v_mov_b32_e32 v45, 0
	v_lshl_add_u64 v[42:43], v[42:43], 0, v[44:45]
	global_load_dwordx4 v[42:45], v[42:43], off offset:128
.LBB193_39:
	s_or_b64 exec, exec, s[2:3]
	v_mov_b32_e32 v48, 0
	v_mov_b32_e32 v47, 0
	;; [unrolled: 1-line block ×3, first 2 shown]
	s_and_saveexec_b64 s[2:3], s[0:1]
	s_cbranch_execz .LBB193_41
; %bb.40:
	v_mad_i64_i32 v[46:47], s[0:1], s31, v53, 0
	v_lshl_add_u64 v[46:47], v[46:47], 1, s[4:5]
	v_lshlrev_b32_e32 v48, 1, v50
	v_mov_b32_e32 v49, 0
	v_lshl_add_u64 v[46:47], v[46:47], 0, v[48:49]
	global_load_dwordx4 v[46:49], v[46:47], off offset:128
.LBB193_41:
	s_or_b64 exec, exec, s[2:3]
	s_branch .LBB193_45
.LBB193_42:
                                        ; implicit-def: $vgpr37
                                        ; implicit-def: $vgpr41
                                        ; implicit-def: $vgpr45
                                        ; implicit-def: $vgpr49
	v_lshrrev_b32_e32 v67, 2, v79
	s_branch .LBB193_46
.LBB193_43:
                                        ; implicit-def: $vgpr37
                                        ; implicit-def: $vgpr41
                                        ; implicit-def: $vgpr45
                                        ; implicit-def: $vgpr49
	s_cbranch_execz .LBB193_45
; %bb.44:
	s_waitcnt vmcnt(0)
	v_mad_u64_u32 v[34:35], s[0:1], v52, s31, v[50:51]
	v_lshlrev_b32_e32 v52, 1, v34
	s_lshl_b32 s2, s31, 7
	s_and_b32 s1, s5, 0xffff
	s_mov_b32 s3, 0x20000
	s_mov_b32 s0, s4
	v_add_lshl_u32 v53, v34, s31, 1
	s_movk_i32 s6, 0x80
	buffer_load_dwordx4 v[34:37], v52, s[0:3], 0 offen
	buffer_load_dwordx4 v[42:45], v52, s[0:3], s6 offen
	;; [unrolled: 1-line block ×4, first 2 shown]
.LBB193_45:
	v_lshrrev_b32_e32 v67, 2, v79
	s_cbranch_execnz .LBB193_58
.LBB193_46:
	s_and_b64 vcc, exec, s[18:19]
	s_cbranch_vccz .LBB193_56
; %bb.47:
	s_waitcnt vmcnt(0)
	v_lshlrev_b32_e32 v39, 1, v62
	v_cmp_gt_i32_e32 vcc, s46, v39
	v_mov_b32_e32 v38, 0
	v_lshlrev_b32_e32 v46, 9, v62
	v_mov_b32_e32 v34, 0
	v_mov_b32_e32 v35, 0
	;; [unrolled: 1-line block ×4, first 2 shown]
	s_and_saveexec_b64 s[0:1], vcc
	s_cbranch_execz .LBB193_49
; %bb.48:
	v_mov_b32_e32 v47, 0
	v_lshl_add_u64 v[34:35], s[4:5], 0, v[46:47]
	v_lshlrev_b32_e32 v36, 1, v50
	v_mov_b32_e32 v37, v47
	v_lshl_add_u64 v[34:35], v[34:35], 0, v[36:37]
	global_load_dwordx4 v[34:37], v[34:35], off
.LBB193_49:
	s_or_b64 exec, exec, s[0:1]
	v_or_b32_e32 v39, 1, v39
	v_cmp_gt_i32_e64 s[0:1], s46, v39
	v_lshlrev_b32_e32 v52, 8, v39
	v_mov_b32_e32 v39, 0
	v_mov_b32_e32 v40, 0
	v_mov_b32_e32 v41, 0
	s_and_saveexec_b64 s[2:3], s[0:1]
	s_cbranch_execz .LBB193_51
; %bb.50:
	v_mov_b32_e32 v53, 0
	v_lshl_add_u64 v[38:39], s[4:5], 0, v[52:53]
	v_lshlrev_b32_e32 v40, 1, v50
	v_mov_b32_e32 v41, v53
	v_lshl_add_u64 v[38:39], v[38:39], 0, v[40:41]
	global_load_dwordx4 v[38:41], v[38:39], off
.LBB193_51:
	s_or_b64 exec, exec, s[2:3]
	v_mov_b32_e32 v49, 0
	v_mov_b32_e32 v42, 0
	;; [unrolled: 1-line block ×5, first 2 shown]
	s_and_saveexec_b64 s[2:3], vcc
	s_cbranch_execz .LBB193_53
; %bb.52:
	v_mov_b32_e32 v47, 0
	v_lshl_add_u64 v[42:43], s[4:5], 0, v[46:47]
	v_lshlrev_b32_e32 v46, 1, v50
	v_lshl_add_u64 v[42:43], v[42:43], 0, v[46:47]
	global_load_dwordx4 v[42:45], v[42:43], off offset:128
.LBB193_53:
	s_or_b64 exec, exec, s[2:3]
	v_mov_b32_e32 v48, 0
	v_mov_b32_e32 v47, 0
	;; [unrolled: 1-line block ×3, first 2 shown]
	s_and_saveexec_b64 s[2:3], s[0:1]
	s_cbranch_execz .LBB193_55
; %bb.54:
	v_mov_b32_e32 v53, 0
	v_lshl_add_u64 v[46:47], s[4:5], 0, v[52:53]
	v_lshlrev_b32_e32 v52, 1, v50
	v_lshl_add_u64 v[46:47], v[46:47], 0, v[52:53]
	global_load_dwordx4 v[46:49], v[46:47], off offset:128
.LBB193_55:
	s_or_b64 exec, exec, s[2:3]
	s_branch .LBB193_58
.LBB193_56:
                                        ; implicit-def: $vgpr37
                                        ; implicit-def: $vgpr41
                                        ; implicit-def: $vgpr45
                                        ; implicit-def: $vgpr49
	s_cbranch_execz .LBB193_58
; %bb.57:
	s_waitcnt vmcnt(0)
	v_lshlrev_b32_e32 v34, 1, v50
	v_lshl_or_b32 v50, v62, 9, v34
	s_and_b32 s5, s5, 0xffff
	s_mov_b32 s7, 0x20000
	s_movk_i32 s6, 0x4000
	s_movk_i32 s0, 0x80
	buffer_load_dwordx4 v[34:37], v50, s[4:7], 0 offen
	buffer_load_dwordx4 v[38:41], v50, s[4:7], 0 offen offset:256
	buffer_load_dwordx4 v[42:45], v50, s[4:7], s0 offen
	buffer_load_dwordx4 v[46:49], v50, s[4:7], s0 offen offset:256
.LBB193_58:
	ds_read_b64 v[52:53], v63 offset:57344
	v_add_u32_e32 v50, 0x6000, v58
	ds_read2_b64 v[68:71], v50 offset1:16
	ds_read_b64 v[94:95], v64 offset:57344
	ds_read_b64 v[96:97], v65 offset:57344
	;; [unrolled: 1-line block ×3, first 2 shown]
	v_and_b32_e32 v63, 6, v0
	v_xor_b32_e32 v62, v62, v63
	v_lshlrev_b32_e32 v62, 2, v62
	s_mov_b32 s0, 0x1000504
	s_mov_b32 s1, 0x3020706
	s_waitcnt lgkmcnt(3)
	v_mfma_f32_16x16x16_bf16 a[0:3], v[52:53], v[68:69], a[0:3]
	v_mfma_f32_16x16x16_bf16 a[4:7], v[52:53], v[70:71], a[4:7]
	ds_read2_b64 v[68:71], v50 offset0:32 offset1:48
	v_and_b32_e32 v50, 12, v67
	ds_read2st64_b64 v[64:67], v58 offset0:52 offset1:56
	s_waitcnt lgkmcnt(1)
	v_mfma_f32_16x16x16_bf16 a[8:11], v[52:53], v[68:69], a[8:11]
	v_mfma_f32_16x16x16_bf16 a[12:15], v[52:53], v[70:71], a[12:15]
	ds_read2st64_b64 v[68:71], v59 offset0:52 offset1:56
	ds_read2st64_b64 v[72:75], v60 offset0:52 offset1:56
	;; [unrolled: 1-line block ×3, first 2 shown]
	s_waitcnt lgkmcnt(3)
	v_mfma_f32_16x16x16_bf16 a[0:3], v[94:95], v[64:65], a[0:3]
	ds_read_b64 v[52:53], v58 offset:30720
	ds_read_b64 v[64:65], v59 offset:30720
	;; [unrolled: 1-line block ×4, first 2 shown]
	s_waitcnt lgkmcnt(6)
	v_mfma_f32_16x16x16_bf16 a[4:7], v[94:95], v[68:69], a[4:7]
	v_and_b32_e32 v68, 1, v0
	v_xor_b32_e32 v69, 0x440, v62
	v_cmp_eq_u32_e32 vcc, 0, v68
	s_waitcnt lgkmcnt(5)
	v_mfma_f32_16x16x16_bf16 a[8:11], v[94:95], v[72:73], a[8:11]
	v_cndmask_b32_e32 v62, v69, v62, vcc
	v_lshl_or_b32 v62, v63, 10, v62
	s_waitcnt lgkmcnt(4)
	v_mfma_f32_16x16x16_bf16 a[12:15], v[94:95], v[90:91], a[12:15]
	s_waitcnt vmcnt(0)
	v_perm_b32 v63, v34, v38, s0
	v_perm_b32 v34, v34, v38, s1
	;; [unrolled: 1-line block ×3, first 2 shown]
	v_mfma_f32_16x16x16_bf16 a[0:3], v[96:97], v[66:67], a[0:3]
	v_perm_b32 v66, v42, v46, s0
	ds_write2st64_b32 v62, v63, v66 offset0:128 offset1:160
	v_xor_b32_e32 v63, 8, v62
	v_add_u32_e32 v42, 0x80, v63
	ds_write2st64_b32 v42, v34, v38 offset0:128 offset1:160
	v_xor_b32_e32 v34, 16, v62
	v_perm_b32 v38, v35, v39, s0
	v_perm_b32 v42, v43, v47, s0
	v_mfma_f32_16x16x16_bf16 a[4:7], v[96:97], v[70:71], a[4:7]
	ds_write2st64_b32 v34, v38, v42 offset0:129 offset1:161
	v_xor_b32_e32 v34, 24, v62
	v_perm_b32 v35, v35, v39, s1
	v_mfma_f32_16x16x16_bf16 a[16:19], v[96:97], v[74:75], a[8:11]
	v_perm_b32 v38, v43, v47, s1
	v_add_u32_e32 v34, 0x80, v34
	ds_write2st64_b32 v34, v35, v38 offset0:129 offset1:161
	v_mfma_f32_16x16x16_bf16 a[20:23], v[96:97], v[92:93], a[12:15]
	v_xor_b32_e32 v34, 32, v62
	v_perm_b32 v35, v36, v40, s0
	v_perm_b32 v38, v44, v48, s0
	ds_write2st64_b32 v34, v35, v38 offset0:130 offset1:162
	v_xor_b32_e32 v34, 40, v62
	s_waitcnt lgkmcnt(8)
	v_mfma_f32_16x16x16_bf16 a[12:15], v[98:99], v[52:53], a[0:3]
	v_perm_b32 v35, v36, v40, s1
	v_perm_b32 v36, v44, v48, s1
	v_add_u32_e32 v34, 0x80, v34
	s_waitcnt lgkmcnt(7)
	v_mfma_f32_16x16x16_bf16 a[8:11], v[98:99], v[64:65], a[4:7]
	ds_write2st64_b32 v34, v35, v36 offset0:130 offset1:162
	v_xor_b32_e32 v34, 48, v62
	v_perm_b32 v35, v37, v41, s0
	s_waitcnt lgkmcnt(7)
	v_mfma_f32_16x16x16_bf16 a[4:7], v[98:99], v[100:101], a[16:19]
	v_perm_b32 v36, v45, v49, s0
	ds_write2st64_b32 v34, v35, v36 offset0:131 offset1:163
	v_xor_b32_e32 v34, 56, v62
	s_waitcnt lgkmcnt(7)
	v_mfma_f32_16x16x16_bf16 a[0:3], v[98:99], v[102:103], a[20:23]
	v_or_b32_e32 v52, v50, v77
	v_perm_b32 v35, v37, v41, s1
	v_perm_b32 v36, v45, v49, s1
	v_add_u32_e32 v34, 0x80, v34
	v_cmp_gt_i32_e64 s[0:1], s46, v52
	v_mov_b32_e32 v62, 0
	v_mov_b32_e32 v63, 0
	ds_write2st64_b32 v34, v35, v36 offset0:131 offset1:163
	s_and_saveexec_b64 s[2:3], s[0:1]
	s_cbranch_execz .LBB193_60
; %bb.59:
	v_add_u32_e32 v34, s34, v52
	v_ashrrev_i32_e32 v35, 31, v34
	v_mul_lo_u32 v36, v35, s10
	v_mul_lo_u32 v37, v34, s11
	v_mad_u64_u32 v[34:35], s[4:5], v34, s10, 0
	v_add3_u32 v35, v35, v37, v36
	v_lshl_add_u64 v[34:35], v[34:35], 2, s[12:13]
	global_load_dword v34, v[34:35], off
	s_waitcnt vmcnt(0)
	v_sub_f32_e32 v34, s16, v34
	v_mul_f32_e32 v34, 0x3fb8aa3b, v34
	v_exp_f32_e32 v63, v34
.LBB193_60:
	s_or_b64 exec, exec, s[2:3]
	v_or_b32_e32 v43, 1, v52
	v_cmp_gt_i32_e64 s[2:3], s46, v43
	s_and_saveexec_b64 s[4:5], s[2:3]
	s_cbranch_execz .LBB193_62
; %bb.61:
	v_add_u32_e32 v34, s34, v43
	v_ashrrev_i32_e32 v35, 31, v34
	v_mul_lo_u32 v36, v35, s10
	v_mul_lo_u32 v37, v34, s11
	v_mad_u64_u32 v[34:35], s[6:7], v34, s10, 0
	v_add3_u32 v35, v35, v37, v36
	v_lshl_add_u64 v[34:35], v[34:35], 2, s[12:13]
	global_load_dword v34, v[34:35], off
	s_waitcnt vmcnt(0)
	v_sub_f32_e32 v34, s16, v34
	v_mul_f32_e32 v34, 0x3fb8aa3b, v34
	v_exp_f32_e32 v62, v34
.LBB193_62:
	s_or_b64 exec, exec, s[4:5]
	v_or_b32_e32 v42, 2, v52
	v_cmp_gt_i32_e64 s[4:5], s46, v42
	v_mov_b32_e32 v53, 0
	v_mov_b32_e32 v64, 0
	s_and_saveexec_b64 s[6:7], s[4:5]
	s_cbranch_execz .LBB193_64
; %bb.63:
	v_add_u32_e32 v34, s34, v42
	v_ashrrev_i32_e32 v35, 31, v34
	v_mul_lo_u32 v36, v35, s10
	v_mul_lo_u32 v37, v34, s11
	v_mad_u64_u32 v[34:35], s[18:19], v34, s10, 0
	v_add3_u32 v35, v35, v37, v36
	v_lshl_add_u64 v[34:35], v[34:35], 2, s[12:13]
	global_load_dword v34, v[34:35], off
	s_waitcnt vmcnt(0)
	v_sub_f32_e32 v34, s16, v34
	v_mul_f32_e32 v34, 0x3fb8aa3b, v34
	v_exp_f32_e32 v64, v34
.LBB193_64:
	s_or_b64 exec, exec, s[6:7]
	v_or_b32_e32 v65, 3, v52
	v_cmp_gt_i32_e32 vcc, s46, v65
	s_and_saveexec_b64 s[6:7], vcc
	s_cbranch_execz .LBB193_66
; %bb.65:
	v_add_u32_e32 v34, s34, v65
	v_ashrrev_i32_e32 v35, 31, v34
	v_mul_lo_u32 v36, v35, s10
	v_mul_lo_u32 v37, v34, s11
	v_mad_u64_u32 v[34:35], s[10:11], v34, s10, 0
	v_add3_u32 v35, v35, v37, v36
	v_lshl_add_u64 v[34:35], v[34:35], 2, s[12:13]
	global_load_dword v34, v[34:35], off
	s_waitcnt vmcnt(0)
	v_sub_f32_e32 v34, s16, v34
	v_mul_f32_e32 v34, 0x3fb8aa3b, v34
	v_exp_f32_e32 v53, v34
.LBB193_66:
	s_or_b64 exec, exec, s[6:7]
	s_add_u32 s6, s20, s36
	s_addc_u32 s7, s21, s37
	s_add_u32 s10, s14, s36
	v_ashrrev_i32_e32 v89, 31, v88
	v_accvgpr_read_b32 v37, a15
	s_addc_u32 s11, s15, s37
	v_lshlrev_b64 v[38:39], 1, v[88:89]
	v_accvgpr_read_b32 v36, a14
	v_accvgpr_read_b32 v35, a13
	;; [unrolled: 1-line block ×3, first 2 shown]
	v_lshl_add_u64 v[40:41], s[6:7], 0, v[38:39]
	v_lshl_add_u64 v[38:39], s[10:11], 0, v[38:39]
	v_mov_b32_e32 v47, 0
	v_lshlrev_b32_e32 v44, 8, v52
	v_mov_b32_e32 v45, 0
	s_and_saveexec_b64 s[6:7], s[0:1]
	s_cbranch_execz .LBB193_68
; %bb.67:
	v_mov_b32_e32 v45, 0
	v_lshl_add_u64 v[48:49], v[40:41], 0, v[44:45]
	global_load_ushort v46, v[48:49], off
	v_lshl_add_u64 v[48:49], v[38:39], 0, v[44:45]
	s_waitcnt vmcnt(0)
	v_lshlrev_b32_e32 v45, 16, v46
	v_sub_f32_e32 v34, v45, v34
	global_store_short_d16_hi v[48:49], v34, off
	v_mul_f32_e32 v34, v63, v34
	v_lshrrev_b32_e32 v45, 16, v34
.LBB193_68:
	s_or_b64 exec, exec, s[6:7]
	v_lshlrev_b32_e32 v46, 8, v43
	s_and_saveexec_b64 s[6:7], s[2:3]
	s_cbranch_execz .LBB193_70
; %bb.69:
	v_mov_b32_e32 v47, 0
	v_lshl_add_u64 v[48:49], v[40:41], 0, v[46:47]
	global_load_ushort v34, v[48:49], off
	v_lshl_add_u64 v[48:49], v[38:39], 0, v[46:47]
	s_waitcnt vmcnt(0)
	v_lshlrev_b32_e32 v34, 16, v34
	v_sub_f32_e32 v34, v34, v35
	global_store_short_d16_hi v[48:49], v34, off
	v_mul_f32_e32 v34, v62, v34
	v_lshrrev_b32_e32 v47, 16, v34
.LBB193_70:
	s_or_b64 exec, exec, s[6:7]
	v_mov_b32_e32 v43, 0
	v_lshlrev_b32_e32 v48, 8, v42
	v_mov_b32_e32 v49, 0
	s_and_saveexec_b64 s[6:7], s[4:5]
	s_cbranch_execz .LBB193_72
; %bb.71:
	v_mov_b32_e32 v49, 0
	v_lshl_add_u64 v[34:35], v[40:41], 0, v[48:49]
	global_load_ushort v42, v[34:35], off
	v_lshl_add_u64 v[34:35], v[38:39], 0, v[48:49]
	s_waitcnt vmcnt(0)
	v_lshlrev_b32_e32 v42, 16, v42
	v_sub_f32_e32 v36, v42, v36
	global_store_short_d16_hi v[34:35], v36, off
	v_mul_f32_e32 v34, v64, v36
	v_lshrrev_b32_e32 v49, 16, v34
.LBB193_72:
	s_or_b64 exec, exec, s[6:7]
	v_lshlrev_b32_e32 v42, 8, v65
	s_and_saveexec_b64 s[6:7], vcc
	s_cbranch_execz .LBB193_74
; %bb.73:
	v_mov_b32_e32 v43, 0
	v_lshl_add_u64 v[34:35], v[40:41], 0, v[42:43]
	global_load_ushort v36, v[34:35], off
	v_lshl_add_u64 v[34:35], v[38:39], 0, v[42:43]
	s_waitcnt vmcnt(0)
	v_lshlrev_b32_e32 v36, 16, v36
	v_sub_f32_e32 v36, v36, v37
	global_store_short_d16_hi v[34:35], v36, off
	v_mul_f32_e32 v34, v53, v36
	v_lshrrev_b32_e32 v43, 16, v34
.LBB193_74:
	s_or_b64 exec, exec, s[6:7]
	v_lshlrev_b32_e32 v65, 6, v52
	s_mov_b32 s6, 0x5040100
	v_accvgpr_read_b32 v37, a11
	v_perm_b32 v67, v43, v49, s6
	v_or_b32_e32 v43, v65, v57
	v_accvgpr_read_b32 v36, a10
	v_accvgpr_read_b32 v35, a9
	;; [unrolled: 1-line block ×3, first 2 shown]
	v_perm_b32 v66, v47, v45, s6
	v_lshlrev_b32_e32 v43, 1, v43
	v_mov_b32_e32 v47, 0
	v_mov_b32_e32 v45, 0
	ds_write_b64 v43, v[66:67] offset:24576
	s_and_saveexec_b64 s[6:7], s[0:1]
	s_cbranch_execz .LBB193_76
; %bb.75:
	v_mov_b32_e32 v45, 0
	v_lshl_add_u64 v[66:67], v[40:41], 0, v[44:45]
	global_load_ushort v43, v[66:67], off offset:32
	v_lshl_add_u64 v[66:67], v[38:39], 0, v[44:45]
	s_waitcnt vmcnt(0)
	v_lshlrev_b32_e32 v43, 16, v43
	v_sub_f32_e32 v34, v43, v34
	global_store_short_d16_hi v[66:67], v34, off offset:32
	v_mul_f32_e32 v34, v63, v34
	v_lshrrev_b32_e32 v45, 16, v34
.LBB193_76:
	s_or_b64 exec, exec, s[6:7]
	s_and_saveexec_b64 s[6:7], s[2:3]
	s_cbranch_execz .LBB193_78
; %bb.77:
	v_mov_b32_e32 v47, 0
	v_lshl_add_u64 v[66:67], v[40:41], 0, v[46:47]
	global_load_ushort v34, v[66:67], off offset:32
	v_lshl_add_u64 v[66:67], v[38:39], 0, v[46:47]
	s_waitcnt vmcnt(0)
	v_lshlrev_b32_e32 v34, 16, v34
	v_sub_f32_e32 v34, v34, v35
	global_store_short_d16_hi v[66:67], v34, off offset:32
	v_mul_f32_e32 v34, v62, v34
	v_lshrrev_b32_e32 v47, 16, v34
.LBB193_78:
	s_or_b64 exec, exec, s[6:7]
	v_mov_b32_e32 v43, 0
	v_mov_b32_e32 v49, 0
	s_and_saveexec_b64 s[6:7], s[4:5]
	s_cbranch_execz .LBB193_80
; %bb.79:
	v_mov_b32_e32 v49, 0
	v_lshl_add_u64 v[34:35], v[40:41], 0, v[48:49]
	global_load_ushort v57, v[34:35], off offset:32
	v_lshl_add_u64 v[34:35], v[38:39], 0, v[48:49]
	s_waitcnt vmcnt(0)
	v_lshlrev_b32_e32 v49, 16, v57
	v_sub_f32_e32 v36, v49, v36
	global_store_short_d16_hi v[34:35], v36, off offset:32
	v_mul_f32_e32 v34, v64, v36
	v_lshrrev_b32_e32 v49, 16, v34
.LBB193_80:
	s_or_b64 exec, exec, s[6:7]
	s_and_saveexec_b64 s[6:7], vcc
	s_cbranch_execz .LBB193_82
; %bb.81:
	v_mov_b32_e32 v43, 0
	v_lshl_add_u64 v[34:35], v[40:41], 0, v[42:43]
	global_load_ushort v36, v[34:35], off offset:32
	v_lshl_add_u64 v[34:35], v[38:39], 0, v[42:43]
	s_waitcnt vmcnt(0)
	v_lshlrev_b32_e32 v36, 16, v36
	v_sub_f32_e32 v36, v36, v37
	global_store_short_d16_hi v[34:35], v36, off offset:32
	v_mul_f32_e32 v34, v53, v36
	v_lshrrev_b32_e32 v43, 16, v34
.LBB193_82:
	s_or_b64 exec, exec, s[6:7]
	s_mov_b32 s6, 0x5040100
	v_accvgpr_read_b32 v37, a7
	v_perm_b32 v67, v43, v49, s6
	v_or_b32_e32 v43, v65, v55
	v_accvgpr_read_b32 v36, a6
	v_accvgpr_read_b32 v35, a5
	;; [unrolled: 1-line block ×3, first 2 shown]
	v_perm_b32 v66, v47, v45, s6
	v_lshlrev_b32_e32 v43, 1, v43
	v_mov_b32_e32 v47, 0
	v_mov_b32_e32 v45, 0
	ds_write_b64 v43, v[66:67] offset:24576
	s_and_saveexec_b64 s[6:7], s[0:1]
	s_cbranch_execz .LBB193_84
; %bb.83:
	v_mov_b32_e32 v45, 0
	v_lshl_add_u64 v[66:67], v[40:41], 0, v[44:45]
	global_load_ushort v43, v[66:67], off offset:64
	v_lshl_add_u64 v[66:67], v[38:39], 0, v[44:45]
	s_waitcnt vmcnt(0)
	v_lshlrev_b32_e32 v43, 16, v43
	v_sub_f32_e32 v34, v43, v34
	global_store_short_d16_hi v[66:67], v34, off offset:64
	v_mul_f32_e32 v34, v63, v34
	v_lshrrev_b32_e32 v45, 16, v34
.LBB193_84:
	s_or_b64 exec, exec, s[6:7]
	s_and_saveexec_b64 s[6:7], s[2:3]
	s_cbranch_execz .LBB193_86
; %bb.85:
	v_mov_b32_e32 v47, 0
	v_lshl_add_u64 v[66:67], v[40:41], 0, v[46:47]
	global_load_ushort v34, v[66:67], off offset:64
	v_lshl_add_u64 v[66:67], v[38:39], 0, v[46:47]
	s_waitcnt vmcnt(0)
	v_lshlrev_b32_e32 v34, 16, v34
	v_sub_f32_e32 v34, v34, v35
	global_store_short_d16_hi v[66:67], v34, off offset:64
	v_mul_f32_e32 v34, v62, v34
	v_lshrrev_b32_e32 v47, 16, v34
.LBB193_86:
	s_or_b64 exec, exec, s[6:7]
	v_mov_b32_e32 v43, 0
	v_mov_b32_e32 v49, 0
	s_and_saveexec_b64 s[6:7], s[4:5]
	s_cbranch_execz .LBB193_88
; %bb.87:
	v_mov_b32_e32 v49, 0
	v_lshl_add_u64 v[34:35], v[40:41], 0, v[48:49]
	global_load_ushort v55, v[34:35], off offset:64
	v_lshl_add_u64 v[34:35], v[38:39], 0, v[48:49]
	s_waitcnt vmcnt(0)
	v_lshlrev_b32_e32 v49, 16, v55
	v_sub_f32_e32 v36, v49, v36
	global_store_short_d16_hi v[34:35], v36, off offset:64
	v_mul_f32_e32 v34, v64, v36
	v_lshrrev_b32_e32 v49, 16, v34
.LBB193_88:
	s_or_b64 exec, exec, s[6:7]
	s_and_saveexec_b64 s[6:7], vcc
	s_cbranch_execz .LBB193_90
; %bb.89:
	v_mov_b32_e32 v43, 0
	v_lshl_add_u64 v[34:35], v[40:41], 0, v[42:43]
	global_load_ushort v36, v[34:35], off offset:64
	v_lshl_add_u64 v[34:35], v[38:39], 0, v[42:43]
	s_waitcnt vmcnt(0)
	v_lshlrev_b32_e32 v36, 16, v36
	v_sub_f32_e32 v36, v36, v37
	global_store_short_d16_hi v[34:35], v36, off offset:64
	v_mul_f32_e32 v34, v53, v36
	v_lshrrev_b32_e32 v43, 16, v34
.LBB193_90:
	s_or_b64 exec, exec, s[6:7]
	s_mov_b32 s6, 0x5040100
	v_accvgpr_read_b32 v37, a3
	v_perm_b32 v67, v43, v49, s6
	v_or_b32_e32 v43, v65, v54
	v_accvgpr_read_b32 v36, a2
	v_accvgpr_read_b32 v35, a1
	v_accvgpr_read_b32 v34, a0
	v_perm_b32 v66, v47, v45, s6
	v_lshlrev_b32_e32 v43, 1, v43
	v_mov_b32_e32 v47, 0
	v_mov_b32_e32 v45, 0
	ds_write_b64 v43, v[66:67] offset:24576
	s_and_saveexec_b64 s[6:7], s[0:1]
	s_cbranch_execz .LBB193_92
; %bb.91:
	v_mov_b32_e32 v45, 0
	v_lshl_add_u64 v[54:55], v[40:41], 0, v[44:45]
	global_load_ushort v43, v[54:55], off offset:96
	v_lshl_add_u64 v[44:45], v[38:39], 0, v[44:45]
	s_waitcnt vmcnt(0)
	v_lshlrev_b32_e32 v43, 16, v43
	v_sub_f32_e32 v34, v43, v34
	global_store_short_d16_hi v[44:45], v34, off offset:96
	v_mul_f32_e32 v34, v63, v34
	v_lshrrev_b32_e32 v45, 16, v34
.LBB193_92:
	s_or_b64 exec, exec, s[6:7]
	s_and_saveexec_b64 s[0:1], s[2:3]
	s_cbranch_execz .LBB193_94
; %bb.93:
	v_mov_b32_e32 v47, 0
	v_lshl_add_u64 v[54:55], v[40:41], 0, v[46:47]
	global_load_ushort v34, v[54:55], off offset:96
	v_lshl_add_u64 v[46:47], v[38:39], 0, v[46:47]
	s_waitcnt vmcnt(0)
	v_lshlrev_b32_e32 v34, 16, v34
	v_sub_f32_e32 v34, v34, v35
	global_store_short_d16_hi v[46:47], v34, off offset:96
	v_mul_f32_e32 v34, v62, v34
	v_lshrrev_b32_e32 v47, 16, v34
.LBB193_94:
	s_or_b64 exec, exec, s[0:1]
	v_mov_b32_e32 v43, 0
	v_mov_b32_e32 v46, 0
	s_and_saveexec_b64 s[0:1], s[4:5]
	s_cbranch_execz .LBB193_96
; %bb.95:
	v_mov_b32_e32 v49, 0
	v_lshl_add_u64 v[34:35], v[40:41], 0, v[48:49]
	global_load_ushort v44, v[34:35], off offset:96
	v_lshl_add_u64 v[34:35], v[38:39], 0, v[48:49]
	s_waitcnt vmcnt(0)
	v_lshlrev_b32_e32 v44, 16, v44
	v_sub_f32_e32 v36, v44, v36
	global_store_short_d16_hi v[34:35], v36, off offset:96
	v_mul_f32_e32 v34, v64, v36
	v_lshrrev_b32_e32 v46, 16, v34
.LBB193_96:
	s_or_b64 exec, exec, s[0:1]
	v_or_b32_e32 v34, 0x6000, v58
	v_or_b32_e32 v35, 0x6000, v59
	;; [unrolled: 1-line block ×4, first 2 shown]
	s_and_saveexec_b64 s[0:1], vcc
	s_cbranch_execz .LBB193_98
; %bb.97:
	v_mov_b32_e32 v43, 0
	v_lshl_add_u64 v[40:41], v[40:41], 0, v[42:43]
	global_load_ushort v40, v[40:41], off offset:96
	v_lshl_add_u64 v[38:39], v[38:39], 0, v[42:43]
	s_waitcnt vmcnt(0)
	v_lshlrev_b32_e32 v40, 16, v40
	v_sub_f32_e32 v37, v40, v37
	global_store_short_d16_hi v[38:39], v37, off offset:96
	v_mul_f32_e32 v37, v53, v37
	v_lshrrev_b32_e32 v43, 16, v37
.LBB193_98:
	s_or_b64 exec, exec, s[0:1]
	s_mov_b32 s0, 0x5040100
	v_or_b32_e32 v37, v65, v51
	v_perm_b32 v39, v43, v46, s0
	v_perm_b32 v38, v47, v45, s0
	v_lshlrev_b32_e32 v37, 1, v37
	ds_write_b64 v37, v[38:39] offset:24576
	v_and_b32_e32 v37, 7, v0
	v_lshlrev_b32_e32 v45, 3, v37
	v_lshlrev_b32_e32 v79, 7, v37
	v_lshrrev_b32_e32 v37, 1, v0
	v_and_b32_e32 v37, 24, v37
	v_lshlrev_b32_e32 v76, 3, v1
	s_mul_i32 s0, s17, s29
	v_and_b32_e32 v42, 8, v0
	s_movk_i32 s4, 0x100
	v_xor_b32_e32 v77, v76, v37
	s_add_u32 s2, s0, s33
	v_cmp_eq_u32_e32 vcc, 0, v42
	v_cmp_gt_u32_e64 s[0:1], s4, v0
	v_or_b32_e32 v0, 0x440, v77
	v_mov_b32_e32 v43, 0x400
	v_cndmask_b32_e32 v0, v0, v77, vcc
	v_cndmask_b32_e64 v51, v43, 64, vcc
	v_mov_b32_e32 v42, 0xa000
	v_mov_b32_e32 v43, 0x8000
	v_or_b32_e32 v0, v0, v56
	v_cndmask_b32_e64 v57, v42, v43, s[0:1]
	v_xor_b32_e32 v92, v0, v45
	v_add3_u32 v0, v57, v92, v79
	s_waitcnt lgkmcnt(0)
	s_barrier
	ds_read_b64 v[42:43], v0
	v_or_b32_e32 v0, 32, v37
	v_xor_b32_e32 v0, v76, v0
	v_or_b32_e32 v46, 0x440, v0
	ds_read2_b64 v[38:41], v34 offset1:16
	v_cndmask_b32_e32 v0, v46, v0, vcc
	ds_read2_b64 v[46:49], v34 offset0:32 offset1:48
	s_mul_hi_i32 s3, s17, s29
	s_waitcnt lgkmcnt(1)
	v_mfma_f32_16x16x16_bf16 a[0:3], v[42:43], v[38:39], 0
	v_or_b32_e32 v0, v0, v56
	s_addc_u32 s3, s3, s48
	v_or_b32_e32 v37, 0x60, v37
	v_mfma_f32_16x16x16_bf16 a[4:7], v[42:43], v[40:41], 0
	v_xor_b32_e32 v93, v0, v45
	s_lshl_b64 s[0:1], s[2:3], 9
	v_xor_b32_e32 v37, v76, v37
	s_waitcnt lgkmcnt(0)
	v_mfma_f32_16x16x16_bf16 a[8:11], v[42:43], v[46:47], 0
	v_add3_u32 v0, v57, v93, v79
	s_add_u32 s0, s8, s0
	ds_read_b64 v[74:75], v0
	v_mfma_f32_16x16x16_bf16 a[12:15], v[42:43], v[48:49], 0
	v_or3_b32 v42, v56, v51, v77
	v_xor_b32_e32 v42, v42, v45
	v_or_b32_e32 v94, v42, v79
	v_or_b32_e32 v42, v57, v94
	v_xor_b32_e32 v43, 0x440, v37
	s_addc_u32 s1, s9, s1
	v_cndmask_b32_e32 v37, v43, v37, vcc
	ds_read_b64 v[42:43], v42
	v_lshlrev_b32_e32 v0, 2, v52
	global_load_dwordx4 v[52:55], v0, s[0:1]
	ds_read2st64_b64 v[58:61], v34 offset0:4 offset1:8
	ds_read2st64_b64 v[62:65], v35 offset0:4 offset1:8
	;; [unrolled: 1-line block ×4, first 2 shown]
	v_or_b32_e32 v37, v37, v56
	v_xor_b32_e32 v95, v37, v45
	v_lshlrev_b32_e32 v1, 6, v1
	v_lshlrev_b32_e32 v37, 2, v50
	v_or3_b32 v1, v1, v37, s4
	s_waitcnt lgkmcnt(3)
	v_mfma_f32_16x16x16_bf16 a[0:3], v[74:75], v[58:59], a[0:3]
	v_mov_b32_e32 v0, 0x3fb8aa3b
	v_mul_f32_e32 v0, s16, v0
	v_exp_f32_e32 v0, v0
	s_waitcnt lgkmcnt(2)
	v_mfma_f32_16x16x16_bf16 a[4:7], v[74:75], v[62:63], a[4:7]
	s_waitcnt lgkmcnt(1)
	v_mfma_f32_16x16x16_bf16 a[8:11], v[74:75], v[66:67], a[8:11]
	;; [unrolled: 2-line block ×3, first 2 shown]
	global_load_dwordx4 v[74:77], v1, s[0:1]
	v_add3_u32 v1, v57, v95, v79
	ds_read_b64 v[50:51], v1
	ds_read_b64 v[56:57], v34 offset:6144
	ds_read_b64 v[88:89], v35 offset:6144
	;; [unrolled: 1-line block ×4, first 2 shown]
	v_mfma_f32_16x16x16_bf16 a[0:3], v[42:43], v[60:61], a[0:3]
	s_waitcnt vmcnt(1)
	v_mul_f32_e32 v1, 0x3fb8aa3b, v52
	v_exp_f32_e32 v34, v1
	v_mul_f32_e32 v1, 0x3fb8aa3b, v53
	v_exp_f32_e32 v35, v1
	v_mul_f32_e32 v1, 0x3fb8aa3b, v54
	v_exp_f32_e32 v36, v1
	v_mul_f32_e32 v1, 0x3fb8aa3b, v55
	v_exp_f32_e32 v37, v1
	v_pk_mul_f32 v[34:35], v[0:1], v[34:35] op_sel_hi:[0,1]
	v_mfma_f32_16x16x16_bf16 a[4:7], v[42:43], v[64:65], a[4:7]
	v_add_u32_e32 v54, v95, v79
	v_pk_mul_f32 v[36:37], v[0:1], v[36:37] op_sel_hi:[0,1]
	v_add_u32_e32 v1, v92, v79
	v_mfma_f32_16x16x16_bf16 a[8:11], v[42:43], v[68:69], a[8:11]
	v_pk_mul_f32 v[22:23], v[22:23], v[34:35]
	v_pk_mul_f32 v[24:25], v[24:25], v[36:37]
	;; [unrolled: 1-line block ×3, first 2 shown]
	v_mfma_f32_16x16x16_bf16 a[12:15], v[42:43], v[72:73], a[12:15]
	ds_read_b64 v[42:43], v1 offset:40960
	v_add_u32_e32 v1, v93, v79
	ds_read_b64 v[52:53], v1 offset:40960
	ds_read_b64 v[54:55], v54 offset:40960
	s_waitcnt lgkmcnt(6)
	v_mfma_f32_16x16x16_bf16 a[0:3], v[50:51], v[56:57], a[0:3]
	v_pk_mul_f32 v[28:29], v[36:37], v[28:29]
	v_pk_mul_f32 v[30:31], v[34:35], v[30:31]
	;; [unrolled: 1-line block ×3, first 2 shown]
	s_waitcnt lgkmcnt(3)
	v_mfma_f32_16x16x16_bf16 a[12:15], v[50:51], v[44:45], a[12:15]
	v_mfma_f32_16x16x16_bf16 a[4:7], v[50:51], v[88:89], a[4:7]
	s_nop 0
	v_accvgpr_read_b32 v1, a0
	v_add_f32_e32 v22, v22, v1
	v_accvgpr_read_b32 v1, a1
	v_mfma_f32_16x16x16_bf16 a[8:11], v[50:51], v[90:91], a[8:11]
	s_nop 0
	v_accvgpr_read_b32 v51, a15
	v_accvgpr_read_b32 v50, a14
	v_add_f32_e32 v23, v23, v1
	s_waitcnt lgkmcnt(2)
	v_mfma_f32_16x16x16_bf16 a[14:17], v[42:43], v[38:39], 0
	v_accvgpr_read_b32 v1, a2
	ds_read_b64 v[38:39], v94 offset:40960
	v_add_f32_e32 v24, v24, v1
	v_accvgpr_read_b32 v1, a3
	v_add_f32_e32 v25, v25, v1
	v_accvgpr_read_b32 v1, a4
	;; [unrolled: 2-line block ×4, first 2 shown]
	v_mfma_f32_16x16x16_bf16 a[18:21], v[42:43], v[40:41], 0
	v_add_f32_e32 v28, v28, v1
	v_accvgpr_read_b32 v1, a7
	v_add_f32_e32 v29, v29, v1
	s_waitcnt lgkmcnt(2)
	v_mfma_f32_16x16x16_bf16 a[14:17], v[52:53], v[58:59], a[14:17]
	v_accvgpr_read_b32 v1, a8
	v_add_f32_e32 v30, v30, v1
	v_accvgpr_read_b32 v1, a9
	v_add_f32_e32 v31, v31, v1
	v_accvgpr_read_b32 v1, a10
	v_accvgpr_read_b32 v41, a13
	v_mfma_f32_16x16x16_bf16 a[22:25], v[42:43], v[46:47], 0
	v_add_f32_e32 v32, v32, v1
	v_accvgpr_read_b32 v1, a11
	v_accvgpr_read_b32 v40, a12
	v_mfma_f32_16x16x16_bf16 a[0:3], v[42:43], v[48:49], 0
	v_add_f32_e32 v33, v33, v1
	v_pk_fma_f32 v[6:7], v[34:35], v[6:7], v[40:41]
	v_pk_fma_f32 v[8:9], v[36:37], v[8:9], v[50:51]
	v_mfma_f32_16x16x16_bf16 a[4:7], v[52:53], v[62:63], a[18:21]
	s_waitcnt vmcnt(0)
	v_mov_b32_e32 v34, v75
	v_mul_f32_e32 v1, 0x3fb8aa3b, v74
	v_mov_b32_e32 v35, v76
	s_waitcnt lgkmcnt(0)
	v_mfma_f32_16x16x16_bf16 a[8:11], v[38:39], v[60:61], a[14:17]
	v_exp_f32_e32 v40, v1
	v_mul_f32_e32 v1, 0x3fb8aa3b, v34
	v_mov_b32_e32 v36, v77
	v_exp_f32_e32 v41, v1
	v_mul_f32_e32 v1, 0x3fb8aa3b, v35
	v_mfma_f32_16x16x16_bf16 a[18:21], v[52:53], v[66:67], a[22:25]
	v_exp_f32_e32 v34, v1
	v_mul_f32_e32 v1, 0x3fb8aa3b, v36
	v_exp_f32_e32 v35, v1
	v_mfma_f32_16x16x16_bf16 a[0:3], v[52:53], v[70:71], a[0:3]
	v_pk_mul_f32 v[36:37], v[0:1], v[40:41] op_sel_hi:[0,1]
	v_pk_mul_f32 v[10:11], v[10:11], v[36:37]
	v_pk_mul_f32 v[0:1], v[0:1], v[34:35] op_sel_hi:[0,1]
	v_mfma_f32_16x16x16_bf16 a[4:7], v[38:39], v[64:65], a[4:7]
	v_pk_mul_f32 v[12:13], v[12:13], v[0:1]
	v_pk_mul_f32 v[14:15], v[36:37], v[14:15]
	;; [unrolled: 1-line block ×3, first 2 shown]
	v_mfma_f32_16x16x16_bf16 a[8:11], v[54:55], v[56:57], a[8:11]
	v_pk_mul_f32 v[18:19], v[36:37], v[18:19]
	v_pk_mul_f32 v[20:21], v[0:1], v[20:21]
	v_mfma_f32_16x16x16_bf16 a[12:15], v[38:39], v[68:69], a[18:21]
	v_mfma_f32_16x16x16_bf16 a[0:3], v[38:39], v[72:73], a[0:3]
	s_nop 2
	v_accvgpr_read_b32 v38, a8
	v_add_f32_e32 v10, v10, v38
	v_accvgpr_read_b32 v38, a9
	v_mfma_f32_16x16x16_bf16 a[4:7], v[54:55], v[88:89], a[4:7]
	v_add_f32_e32 v11, v11, v38
	v_accvgpr_read_b32 v38, a10
	v_add_f32_e32 v12, v12, v38
	v_accvgpr_read_b32 v38, a11
	v_mfma_f32_16x16x16_bf16 a[12:15], v[54:55], v[90:91], a[12:15]
	v_add_f32_e32 v13, v13, v38
	s_nop 0
	v_accvgpr_read_b32 v38, a4
	v_add_f32_e32 v14, v14, v38
	v_accvgpr_read_b32 v38, a5
	v_add_f32_e32 v15, v15, v38
	v_accvgpr_read_b32 v38, a6
	v_add_f32_e32 v16, v16, v38
	v_accvgpr_read_b32 v38, a7
	v_mfma_f32_16x16x16_bf16 a[0:3], v[54:55], v[44:45], a[0:3]
	v_add_f32_e32 v17, v17, v38
	v_accvgpr_read_b32 v38, a12
	v_add_f32_e32 v18, v18, v38
	v_accvgpr_read_b32 v38, a13
	;; [unrolled: 2-line block ×5, first 2 shown]
	v_accvgpr_read_b32 v35, a3
	v_accvgpr_read_b32 v34, a2
	;; [unrolled: 1-line block ×3, first 2 shown]
	v_pk_fma_f32 v[2:3], v[36:37], v[2:3], v[38:39]
	v_pk_fma_f32 v[4:5], v[0:1], v[4:5], v[34:35]
.LBB193_99:
	s_add_u32 s0, s24, s26
	s_addc_u32 s1, s25, s27
	v_lshl_add_u64 v[0:1], v[80:81], 2, s[0:1]
	v_mov_b32_e32 v79, 0
	v_lshl_add_u64 v[0:1], v[0:1], 0, v[78:79]
	s_waitcnt vmcnt(7)
	global_store_dwordx4 v[0:1], v[22:25], off
	s_waitcnt vmcnt(7)
	global_store_dwordx4 v[0:1], v[10:13], off offset:256
	v_lshl_add_u64 v[0:1], v[82:83], 2, s[0:1]
	v_lshl_add_u64 v[0:1], v[0:1], 0, v[78:79]
	s_waitcnt vmcnt(7)
	global_store_dwordx4 v[0:1], v[26:29], off
	s_waitcnt vmcnt(7)
	global_store_dwordx4 v[0:1], v[14:17], off offset:256
	v_lshl_add_u64 v[0:1], v[86:87], 2, s[0:1]
	;; [unrolled: 6-line block ×3, first 2 shown]
	v_lshl_add_u64 v[0:1], v[0:1], 0, v[78:79]
	s_waitcnt vmcnt(7)
	global_store_dwordx4 v[0:1], v[6:9], off
	s_waitcnt vmcnt(7)
	global_store_dwordx4 v[0:1], v[2:5], off offset:256
	s_endpgm
	.section	.rodata,"a",@progbits
	.p2align	6, 0x0
	.amdhsa_kernel _ZN12_GLOBAL__N_139chunk_gated_delta_rule_fwd_h_hip_kernelILi64ELb1ELb1ELb1ELb1ELb0ELb1ELb1ELb0EEEvPK12hip_bfloat16S3_S3_PKfS5_PKvPS1_S8_PvPKiSB_iiiiilll
		.amdhsa_group_segment_fixed_size 65536
		.amdhsa_private_segment_fixed_size 0
		.amdhsa_kernarg_size 136
		.amdhsa_user_sgpr_count 2
		.amdhsa_user_sgpr_dispatch_ptr 0
		.amdhsa_user_sgpr_queue_ptr 0
		.amdhsa_user_sgpr_kernarg_segment_ptr 1
		.amdhsa_user_sgpr_dispatch_id 0
		.amdhsa_user_sgpr_kernarg_preload_length 0
		.amdhsa_user_sgpr_kernarg_preload_offset 0
		.amdhsa_user_sgpr_private_segment_size 0
		.amdhsa_uses_dynamic_stack 0
		.amdhsa_enable_private_segment 0
		.amdhsa_system_sgpr_workgroup_id_x 1
		.amdhsa_system_sgpr_workgroup_id_y 1
		.amdhsa_system_sgpr_workgroup_id_z 0
		.amdhsa_system_sgpr_workgroup_info 0
		.amdhsa_system_vgpr_workitem_id 0
		.amdhsa_next_free_vgpr 240
		.amdhsa_next_free_sgpr 69
		.amdhsa_accum_offset 200
		.amdhsa_reserve_vcc 1
		.amdhsa_float_round_mode_32 0
		.amdhsa_float_round_mode_16_64 0
		.amdhsa_float_denorm_mode_32 3
		.amdhsa_float_denorm_mode_16_64 3
		.amdhsa_dx10_clamp 1
		.amdhsa_ieee_mode 1
		.amdhsa_fp16_overflow 0
		.amdhsa_tg_split 0
		.amdhsa_exception_fp_ieee_invalid_op 0
		.amdhsa_exception_fp_denorm_src 0
		.amdhsa_exception_fp_ieee_div_zero 0
		.amdhsa_exception_fp_ieee_overflow 0
		.amdhsa_exception_fp_ieee_underflow 0
		.amdhsa_exception_fp_ieee_inexact 0
		.amdhsa_exception_int_div_zero 0
	.end_amdhsa_kernel
	.section	.text._ZN12_GLOBAL__N_139chunk_gated_delta_rule_fwd_h_hip_kernelILi64ELb1ELb1ELb1ELb1ELb0ELb1ELb1ELb0EEEvPK12hip_bfloat16S3_S3_PKfS5_PKvPS1_S8_PvPKiSB_iiiiilll,"axG",@progbits,_ZN12_GLOBAL__N_139chunk_gated_delta_rule_fwd_h_hip_kernelILi64ELb1ELb1ELb1ELb1ELb0ELb1ELb1ELb0EEEvPK12hip_bfloat16S3_S3_PKfS5_PKvPS1_S8_PvPKiSB_iiiiilll,comdat
.Lfunc_end193:
	.size	_ZN12_GLOBAL__N_139chunk_gated_delta_rule_fwd_h_hip_kernelILi64ELb1ELb1ELb1ELb1ELb0ELb1ELb1ELb0EEEvPK12hip_bfloat16S3_S3_PKfS5_PKvPS1_S8_PvPKiSB_iiiiilll, .Lfunc_end193-_ZN12_GLOBAL__N_139chunk_gated_delta_rule_fwd_h_hip_kernelILi64ELb1ELb1ELb1ELb1ELb0ELb1ELb1ELb0EEEvPK12hip_bfloat16S3_S3_PKfS5_PKvPS1_S8_PvPKiSB_iiiiilll
                                        ; -- End function
	.section	.AMDGPU.csdata,"",@progbits
; Kernel info:
; codeLenInByte = 13008
; NumSgprs: 75
; NumVgprs: 200
; NumAgprs: 40
; TotalNumVgprs: 240
; ScratchSize: 0
; MemoryBound: 0
; FloatMode: 240
; IeeeMode: 1
; LDSByteSize: 65536 bytes/workgroup (compile time only)
; SGPRBlocks: 9
; VGPRBlocks: 29
; NumSGPRsForWavesPerEU: 75
; NumVGPRsForWavesPerEU: 240
; AccumOffset: 200
; Occupancy: 1
; WaveLimiterHint : 1
; COMPUTE_PGM_RSRC2:SCRATCH_EN: 0
; COMPUTE_PGM_RSRC2:USER_SGPR: 2
; COMPUTE_PGM_RSRC2:TRAP_HANDLER: 0
; COMPUTE_PGM_RSRC2:TGID_X_EN: 1
; COMPUTE_PGM_RSRC2:TGID_Y_EN: 1
; COMPUTE_PGM_RSRC2:TGID_Z_EN: 0
; COMPUTE_PGM_RSRC2:TIDIG_COMP_CNT: 0
; COMPUTE_PGM_RSRC3_GFX90A:ACCUM_OFFSET: 49
; COMPUTE_PGM_RSRC3_GFX90A:TG_SPLIT: 0
	.section	.text._ZN12_GLOBAL__N_139chunk_gated_delta_rule_fwd_h_hip_kernelILi64ELb1ELb1ELb0ELb1ELb0ELb1ELb1ELb0EEEvPK12hip_bfloat16S3_S3_PKfS5_PKvPS1_S8_PvPKiSB_iiiiilll,"axG",@progbits,_ZN12_GLOBAL__N_139chunk_gated_delta_rule_fwd_h_hip_kernelILi64ELb1ELb1ELb0ELb1ELb0ELb1ELb1ELb0EEEvPK12hip_bfloat16S3_S3_PKfS5_PKvPS1_S8_PvPKiSB_iiiiilll,comdat
	.globl	_ZN12_GLOBAL__N_139chunk_gated_delta_rule_fwd_h_hip_kernelILi64ELb1ELb1ELb0ELb1ELb0ELb1ELb1ELb0EEEvPK12hip_bfloat16S3_S3_PKfS5_PKvPS1_S8_PvPKiSB_iiiiilll ; -- Begin function _ZN12_GLOBAL__N_139chunk_gated_delta_rule_fwd_h_hip_kernelILi64ELb1ELb1ELb0ELb1ELb0ELb1ELb1ELb0EEEvPK12hip_bfloat16S3_S3_PKfS5_PKvPS1_S8_PvPKiSB_iiiiilll
	.p2align	8
	.type	_ZN12_GLOBAL__N_139chunk_gated_delta_rule_fwd_h_hip_kernelILi64ELb1ELb1ELb0ELb1ELb0ELb1ELb1ELb0EEEvPK12hip_bfloat16S3_S3_PKfS5_PKvPS1_S8_PvPKiSB_iiiiilll,@function
_ZN12_GLOBAL__N_139chunk_gated_delta_rule_fwd_h_hip_kernelILi64ELb1ELb1ELb0ELb1ELb0ELb1ELb1ELb0EEEvPK12hip_bfloat16S3_S3_PKfS5_PKvPS1_S8_PvPKiSB_iiiiilll: ; @_ZN12_GLOBAL__N_139chunk_gated_delta_rule_fwd_h_hip_kernelILi64ELb1ELb1ELb0ELb1ELb0ELb1ELb1ELb0EEEvPK12hip_bfloat16S3_S3_PKfS5_PKvPS1_S8_PvPKiSB_iiiiilll
; %bb.0:
	s_load_dwordx4 s[16:19], s[0:1], 0x5c
	s_load_dwordx4 s[24:27], s[0:1], 0x70
	s_abs_i32 s7, s3
	s_ashr_i32 s6, s3, 31
	s_load_dwordx4 s[12:15], s[0:1], 0x40
	s_load_dwordx2 s[4:5], s[0:1], 0x50
	s_waitcnt lgkmcnt(0)
	s_abs_i32 s10, s17
	v_cvt_f32_u32_e32 v1, s10
	s_sub_i32 s8, 0, s10
	s_ashr_i32 s11, s17, 31
	s_xor_b32 s6, s6, s11
	v_rcp_iflag_f32_e32 v1, v1
	v_and_b32_e32 v97, 15, v0
	v_bfe_u32 v96, v0, 4, 2
	v_mov_b32_e32 v79, 0
	v_mul_f32_e32 v1, 0x4f7ffffe, v1
	v_cvt_u32_f32_e32 v1, v1
	v_lshlrev_b32_e32 v98, 3, v0
	v_readfirstlane_b32 s9, v1
	s_mul_i32 s8, s8, s9
	s_mul_hi_u32 s8, s9, s8
	s_add_i32 s9, s9, s8
	s_mul_hi_u32 s8, s7, s9
	s_mul_i32 s9, s8, s10
	s_sub_i32 s7, s7, s9
	s_add_i32 s20, s8, 1
	s_sub_i32 s9, s7, s10
	s_cmp_ge_u32 s7, s10
	s_cselect_b32 s8, s20, s8
	s_cselect_b32 s7, s9, s7
	s_add_i32 s9, s8, 1
	s_cmp_ge_u32 s7, s10
	s_cselect_b32 s7, s9, s8
	s_xor_b32 s7, s7, s6
	s_sub_i32 s28, s7, s6
	s_mul_i32 s36, s28, s17
	s_ashr_i32 s29, s28, 31
	s_sub_i32 s33, s3, s36
	s_lshl_b64 s[6:7], s[28:29], 2
	s_add_u32 s8, s14, s6
	s_addc_u32 s9, s15, s7
	s_add_u32 s30, s4, s6
	s_addc_u32 s31, s5, s7
	s_abs_i32 s3, s18
	v_cvt_f32_u32_e32 v1, s3
	s_load_dwordx2 s[34:35], s[8:9], 0x0
	s_sub_i32 s5, 0, s3
	s_lshl_b32 s2, s2, 6
	v_rcp_iflag_f32_e32 v1, v1
	s_load_dwordx4 s[20:23], s[0:1], 0x20
	s_load_dwordx2 s[40:41], s[0:1], 0x30
	s_waitcnt lgkmcnt(0)
	s_sub_i32 s54, s35, s34
	s_ashr_i32 s4, s54, 31
	v_mul_f32_e32 v1, 0x4f7ffffe, v1
	v_cvt_u32_f32_e32 v1, v1
	s_lshr_b32 s4, s4, 26
	s_add_i32 s4, s54, s4
	s_ashr_i32 s53, s4, 6
	v_readfirstlane_b32 s6, v1
	s_mul_i32 s5, s5, s6
	s_mul_hi_u32 s5, s6, s5
	s_add_i32 s6, s6, s5
	s_mul_hi_u32 s5, s10, s6
	s_mul_i32 s6, s5, s3
	s_ashr_i32 s4, s18, 31
	s_sub_i32 s6, s10, s6
	s_xor_b32 s4, s11, s4
	s_add_i32 s7, s5, 1
	s_sub_i32 s8, s6, s3
	s_cmp_ge_u32 s6, s3
	s_cselect_b32 s5, s7, s5
	s_cselect_b32 s6, s8, s6
	s_add_i32 s7, s5, 1
	s_cmp_ge_u32 s6, s3
	s_cselect_b32 s3, s7, s5
	s_xor_b32 s3, s3, s4
	s_sub_i32 s3, s3, s4
	s_abs_i32 s4, s3
	v_cvt_f32_u32_e32 v1, s4
	s_sub_i32 s6, 0, s4
	s_abs_i32 s5, s33
	s_xor_b32 s3, s33, s3
	v_rcp_iflag_f32_e32 v2, v1
	s_ashr_i32 s3, s3, 31
	v_lshrrev_b32_e32 v1, 6, v0
	v_or_b32_e32 v88, s2, v97
	v_mul_f32_e32 v2, 0x4f7ffffe, v2
	v_cvt_u32_f32_e32 v2, v2
	v_lshlrev_b32_e32 v77, 4, v1
	v_lshlrev_b32_e32 v80, 7, v88
	v_lshl_or_b32 v100, v96, 2, v77
	v_readfirstlane_b32 s7, v2
	s_mul_i32 s6, s6, s7
	s_mul_hi_u32 s6, s7, s6
	s_add_i32 s7, s7, s6
	s_mul_hi_u32 s6, s5, s7
	s_mul_i32 s7, s6, s4
	s_sub_i32 s5, s5, s7
	s_add_i32 s7, s6, 1
	s_sub_i32 s8, s5, s4
	s_cmp_ge_u32 s5, s4
	s_cselect_b32 s6, s7, s6
	s_cselect_b32 s5, s8, s5
	s_add_i32 s7, s6, 1
	s_cmp_ge_u32 s5, s4
	s_cselect_b32 s4, s7, s6
	s_xor_b32 s4, s4, s3
	s_sub_i32 s55, s4, s3
	s_ashr_i32 s46, s33, 31
	s_mul_hi_i32 s3, s28, s17
	s_add_u32 s4, s36, s33
	s_addc_u32 s5, s3, s46
	s_lshl_b64 s[14:15], s[4:5], 16
	s_add_u32 s4, s22, s14
	s_addc_u32 s5, s23, s15
	v_ashrrev_i32_e32 v81, 31, v80
	v_lshl_add_u64 v[2:3], v[80:81], 2, s[4:5]
	v_lshlrev_b32_e32 v78, 2, v100
	v_or_b32_e32 v82, 0x800, v80
	v_lshl_add_u64 v[2:3], v[2:3], 0, v[78:79]
	v_ashrrev_i32_e32 v83, 31, v82
	global_load_dwordx4 v[22:25], v[2:3], off
	global_load_dwordx4 v[10:13], v[2:3], off offset:256
	v_lshl_add_u64 v[2:3], v[82:83], 2, s[4:5]
	v_or_b32_e32 v86, 0x1000, v80
	v_lshl_add_u64 v[2:3], v[2:3], 0, v[78:79]
	v_ashrrev_i32_e32 v87, 31, v86
	global_load_dwordx4 v[26:29], v[2:3], off
	global_load_dwordx4 v[14:17], v[2:3], off offset:256
	v_lshl_add_u64 v[2:3], v[86:87], 2, s[4:5]
	;; [unrolled: 6-line block ×3, first 2 shown]
	v_lshl_add_u64 v[34:35], v[2:3], 0, v[78:79]
	global_load_dwordx4 v[6:9], v[34:35], off
	global_load_dwordx4 v[2:5], v[34:35], off offset:256
	s_load_dwordx8 s[4:11], s[0:1], 0x0
	s_load_dwordx2 s[22:23], s[0:1], 0x80
	s_load_dword s56, s[30:31], 0x0
	v_and_b32_e32 v79, 63, v0
	v_or_b32_e32 v101, 64, v100
	s_cmp_lt_i32 s54, 64
	s_mul_hi_i32 s57, s33, s16
	s_mul_i32 s58, s33, s16
	v_lshrrev_b32_e32 v99, 3, v79
	s_mul_i32 s47, s28, s25
	s_mul_hi_u32 s49, s28, s24
	s_mul_i32 s48, s29, s24
	s_mul_i32 s38, s28, s24
	;; [unrolled: 1-line block ×3, first 2 shown]
	s_mul_hi_u32 s51, s33, s26
	s_mul_i32 s52, s46, s26
	s_mul_i32 s36, s33, s26
	s_cbranch_scc1 .LBB194_18
; %bb.1:
	s_ashr_i32 s1, s34, 31
	s_add_u32 s0, s58, s34
	s_addc_u32 s1, s57, s1
	s_lshl_b64 s[0:1], s[0:1], 8
	v_and_b32_e32 v103, 56, v98
	s_waitcnt lgkmcnt(0)
	s_add_u32 s24, s6, s0
	v_lshl_or_b32 v102, v1, 3, v99
	v_lshlrev_b32_e32 v34, 1, v103
	s_addc_u32 s0, s7, s1
	v_lshl_or_b32 v104, v102, 8, v34
	s_and_b32 s25, s0, 0xffff
	s_mov_b32 s27, 0x20000
	s_movk_i32 s26, 0x4000
	s_movk_i32 s0, 0x80
	v_or_b32_e32 v105, 0x2000, v104
	buffer_load_dwordx4 v[36:39], v104, s[24:27], 0 offen
	buffer_load_dwordx4 v[40:43], v104, s[24:27], s0 offen
	;; [unrolled: 1-line block ×4, first 2 shown]
	v_lshlrev_b32_e32 v35, 3, v102
	v_and_or_b32 v53, v0, 7, v35
	v_and_b32_e32 v35, 0x78, v35
	v_lshlrev_b32_e32 v53, 4, v53
	v_xor_b32_e32 v106, v53, v35
	v_mul_lo_u32 v52, v102, s19
	v_or_b32_e32 v107, 0x1000, v106
	v_xor_b32_e32 v35, 8, v106
	s_cmpk_eq_i32 s19, 0x80
	s_mov_b32 s59, s34
	v_xor_b32_e32 v53, 8, v107
	s_cselect_b64 s[0:1], -1, 0
	s_cmpk_lg_i32 s19, 0x80
	s_waitcnt vmcnt(3)
	ds_write_b64 v106, v[36:37] offset:49152
	ds_write_b64 v35, v[38:39] offset:49152
	s_waitcnt vmcnt(2)
	ds_write_b64 v106, v[40:41] offset:57344
	ds_write_b64 v35, v[42:43] offset:57344
	s_waitcnt vmcnt(1)
	ds_write_b64 v106, v[44:45] offset:53248
	ds_write_b64 v53, v[46:47] offset:49152
	s_waitcnt vmcnt(0)
	ds_write_b64 v106, v[48:49] offset:61440
	ds_write_b64 v53, v[50:51] offset:57344
	v_lshl_add_u32 v35, v52, 1, v103
	s_cbranch_scc0 .LBB194_3
; %bb.2:
	v_lshlrev_b32_e32 v37, 1, v35
	v_add_lshl_u32 v36, v35, s19, 1
	s_lshl_b32 s26, s19, 7
	v_lshl_or_b32 v34, v102, 9, v34
	s_cbranch_execz .LBB194_4
	s_branch .LBB194_5
.LBB194_3:
                                        ; implicit-def: $vgpr36
                                        ; implicit-def: $vgpr37
                                        ; implicit-def: $sgpr26
	v_lshl_or_b32 v34, v102, 9, v34
.LBB194_4:
	v_or_b32_e32 v36, 0x100, v34
	s_movk_i32 s26, 0x4000
	v_mov_b32_e32 v37, v34
.LBB194_5:
	s_mul_i32 s24, s34, s18
	s_ashr_i32 s60, s55, 31
	s_mul_hi_i32 s3, s34, s18
	s_add_u32 s24, s24, s55
	s_addc_u32 s25, s3, s60
	s_lshl_b64 s[24:25], s[24:25], 8
	s_add_u32 s24, s4, s24
	s_addc_u32 s3, s5, s25
	s_and_b32 s25, s3, 0xffff
	s_movk_i32 s61, 0x80
	buffer_load_dwordx4 v[38:41], v37, s[24:27], 0 offen
	buffer_load_dwordx4 v[42:45], v37, s[24:27], s61 offen
	buffer_load_dwordx4 v[46:49], v36, s[24:27], 0 offen
	buffer_load_dwordx4 v[50:53], v36, s[24:27], s61 offen
	v_and_b32_e32 v37, 6, v0
	v_lshlrev_b32_e32 v36, 7, v100
	v_xor_b32_e32 v59, v102, v37
	v_and_b32_e32 v54, 1, v0
	v_lshl_or_b32 v62, v97, 3, v36
	v_lshlrev_b32_e32 v59, 2, v59
	v_lshlrev_b32_e32 v55, 2, v97
	v_or_b32_e32 v108, 0x4000, v62
	v_or_b32_e32 v109, 0x6000, v62
	v_xor_b32_e32 v62, 0x440, v59
	v_cmp_eq_u32_e32 vcc, 0, v54
	v_or_b32_e32 v57, 16, v97
	v_or_b32_e32 v58, 32, v97
	v_xor_b32_e32 v60, v100, v55
	v_xor_b32_e32 v61, v101, v55
	v_cndmask_b32_e32 v54, v62, v59, vcc
	s_mov_b32 s62, 0x1000504
	v_lshl_or_b32 v63, v57, 3, v36
	v_lshlrev_b32_e32 v57, 8, v57
	v_lshl_or_b32 v64, v58, 3, v36
	v_lshlrev_b32_e32 v60, 1, v60
	v_lshlrev_b32_e32 v61, 1, v61
	v_lshl_or_b32 v37, v37, 10, v54
	s_add_i32 s3, s49, s47
	s_mov_b32 s63, 0x3020706
	v_lshlrev_b32_e32 v56, 8, v97
	v_or_b32_e32 v112, 0x4000, v64
	v_or_b32_e32 v113, 0x6000, v64
	;; [unrolled: 1-line block ×4, first 2 shown]
	v_xor_b32_e32 v54, 8, v37
	v_xor_b32_e32 v57, 24, v37
	;; [unrolled: 1-line block ×4, first 2 shown]
	s_add_i32 s39, s3, s48
	s_add_i32 s3, s51, s50
	v_or_b32_e32 v110, 0x4000, v63
	v_or_b32_e32 v111, 0x6000, v63
	;; [unrolled: 1-line block ×4, first 2 shown]
	v_xor_b32_e32 v56, 16, v37
	v_xor_b32_e32 v59, 32, v37
	v_xor_b32_e32 v63, 48, v37
	v_add_u32_e32 v54, 0x80, v54
	v_add_u32_e32 v57, 0x80, v57
	;; [unrolled: 1-line block ×4, first 2 shown]
	s_add_i32 s37, s3, s52
	s_lshl_b64 s[24:25], s[38:39], 2
	s_add_u32 s3, s10, s24
	s_addc_u32 s28, s11, s25
	s_lshl_b64 s[24:25], s[36:37], 2
	s_add_u32 s42, s3, s24
	s_movk_i32 s3, 0xf8
	s_addc_u32 s43, s28, s25
	s_lshl_b32 s30, s19, 7
	s_movk_i32 s28, 0x100
	v_mov_b32_e32 v91, 0
	v_lshlrev_b32_e32 v90, 4, v97
	v_lshlrev_b32_e32 v58, 8, v58
	v_ashrrev_i32_e32 v89, 31, v88
	s_mov_b32 s64, 0
	s_movk_i32 s26, 0x4000
	v_or_b32_e32 v118, v58, v60
	v_or_b32_e32 v119, v58, v61
	v_lshl_add_u64 v[92:93], v[88:89], 1, s[8:9]
	s_movk_i32 s37, 0x2000
	s_movk_i32 s39, 0x3000
	v_mov_b32_e32 v153, 0x3fb8aa3b
	s_waitcnt vmcnt(1)
	v_perm_b32 v65, v38, v46, s62
	s_waitcnt vmcnt(0)
	v_perm_b32 v66, v42, v50, s62
	v_perm_b32 v38, v38, v46, s63
	;; [unrolled: 1-line block ×15, first 2 shown]
	ds_write2st64_b32 v37, v65, v66 offset0:128 offset1:160
	ds_write2st64_b32 v54, v38, v42 offset0:128 offset1:160
	ds_write2st64_b32 v56, v46, v50 offset0:129 offset1:161
	ds_write2st64_b32 v57, v39, v43 offset0:129 offset1:161
	ds_write2st64_b32 v59, v47, v51 offset0:130 offset1:162
	ds_write2st64_b32 v62, v40, v44 offset0:130 offset1:162
	ds_write2st64_b32 v63, v48, v52 offset0:131 offset1:163
	ds_write2st64_b32 v64, v41, v45 offset0:131 offset1:163
	v_or_b32_e32 v37, 48, v97
	v_lshl_or_b32 v38, v37, 3, v36
	v_lshlrev_b32_e32 v37, 8, v37
	v_or_b32_e32 v122, v37, v60
	v_or_b32_e32 v123, v37, v61
	;; [unrolled: 1-line block ×3, first 2 shown]
	v_lshlrev_b32_e32 v37, 3, v37
	v_lshrrev_b32_e32 v39, 5, v79
	v_and_or_b32 v39, v37, s3, v39
	v_lshlrev_b32_e32 v39, 4, v39
	v_or_b32_e32 v120, 0x4000, v38
	v_or_b32_e32 v121, 0x6000, v38
	v_lshrrev_b32_e32 v38, 2, v79
	v_lshlrev_b32_e32 v41, 11, v1
	v_and_b32_e32 v37, 0x78, v37
	v_or_b32_e32 v45, 32, v39
	v_and_b32_e32 v40, 12, v38
	v_and_b32_e32 v38, 0x1000, v41
	v_lshrrev_b32_e32 v43, 1, v79
	v_xor_b32_e32 v45, v45, v37
	v_xor_b32_e32 v42, v39, v37
	v_and_b32_e32 v43, 8, v43
	v_or_b32_e32 v45, v45, v38
	v_or_b32_e32 v42, v42, v38
	v_xor_b32_e32 v126, v45, v43
	v_or_b32_e32 v45, 64, v39
	v_or_b32_e32 v39, 0x60, v39
	v_xor_b32_e32 v124, v42, v43
	v_lshlrev_b32_e32 v42, 8, v96
	v_xor_b32_e32 v45, v45, v37
	v_xor_b32_e32 v37, v39, v37
	s_ashr_i32 s3, s2, 31
	v_or_b32_e32 v44, v42, v55
	v_or_b32_e32 v45, v45, v38
	;; [unrolled: 1-line block ×3, first 2 shown]
	s_lshl_b64 s[24:25], s[2:3], 8
	v_lshlrev_b32_e32 v47, 2, v0
	v_lshlrev_b32_e32 v44, 1, v44
	v_xor_b32_e32 v130, v45, v43
	v_xor_b32_e32 v131, v37, v43
	v_lshlrev_b32_e32 v37, 1, v35
	v_add_lshl_u32 v35, v35, s19, 1
	v_or_b32_e32 v43, 0x100, v34
	s_add_u32 s24, s40, s24
	v_lshlrev_b32_e32 v38, 1, v97
	v_lshrrev_b32_e32 v48, 1, v0
	v_and_or_b32 v42, v47, 60, v42
	v_or_b32_e32 v125, 0x4000, v44
	v_or_b32_e32 v127, 0x4080, v44
	;; [unrolled: 1-line block ×8, first 2 shown]
	v_lshrrev_b32_e32 v44, 4, v0
	s_addc_u32 s25, s41, s25
	v_or_b32_e32 v39, 1, v38
	v_and_b32_e32 v48, 24, v48
	v_lshlrev_b32_e32 v42, 1, v42
	v_cndmask_b32_e64 v142, v37, v34, s[0:1]
	v_cndmask_b32_e64 v143, v35, v43, s[0:1]
	v_mov_b32_e32 v35, 0xa000
	v_mov_b32_e32 v37, 0x8000
	v_cmp_gt_u32_e64 s[0:1], s28, v0
	v_xor_b32_e32 v45, v44, v38
	v_xor_b32_e32 v46, v39, v44
	v_lshl_add_u64 v[38:39], s[24:25], 0, v[90:91]
	v_lshlrev_b32_e32 v90, 8, v44
	v_or_b32_e32 v138, 0x6000, v42
	v_or_b32_e32 v47, 32, v48
	;; [unrolled: 1-line block ×6, first 2 shown]
	v_cndmask_b32_e64 v35, v35, v37, s[0:1]
	v_lshlrev_b32_e32 v37, 3, v1
	v_lshl_or_b32 v136, v45, 3, v90
	v_and_b32_e32 v45, 8, v0
	v_xor_b32_e32 v43, v37, v48
	v_xor_b32_e32 v47, v37, v47
	;; [unrolled: 1-line block ×3, first 2 shown]
	v_mov_b32_e32 v49, 0x400
	v_cmp_eq_u32_e32 vcc, 0, v45
	v_or_b32_e32 v48, 0x440, v43
	v_or_b32_e32 v50, 0x440, v47
	v_xor_b32_e32 v42, 0x440, v37
	v_and_b32_e32 v44, 7, v0
	v_cndmask_b32_e64 v45, v49, 64, vcc
	v_cndmask_b32_e32 v48, v48, v43, vcc
	v_cndmask_b32_e32 v47, v50, v47, vcc
	;; [unrolled: 1-line block ×3, first 2 shown]
	v_lshl_or_b32 v137, v46, 3, v90
	v_lshlrev_b32_e32 v46, 3, v44
	v_or_b32_e32 v48, v48, v41
	v_or_b32_e32 v47, v47, v41
	v_or3_b32 v43, v41, v45, v43
	v_or_b32_e32 v37, v37, v41
	v_lshlrev_b32_e32 v44, 7, v44
	v_xor_b32_e32 v48, v48, v46
	v_xor_b32_e32 v47, v47, v46
	;; [unrolled: 1-line block ×4, first 2 shown]
	v_or_b32_e32 v34, v77, v40
	v_add_u32_e32 v49, v35, v48
	v_add_u32_e32 v50, v35, v47
	v_or_b32_e32 v144, v43, v44
	v_add_u32_e32 v41, v35, v37
	v_or3_b32 v40, v77, v40, 64
	v_add_u32_e32 v42, 0xa000, v48
	v_add_u32_e32 v43, 0xa000, v47
	;; [unrolled: 1-line block ×3, first 2 shown]
	v_lshl_add_u64 v[94:95], v[38:39], 0, v[90:91]
	s_mov_b32 s3, 0x7060302
	v_lshlrev_b32_e32 v90, 1, v36
	v_lshlrev_b32_e32 v89, 2, v34
	v_add_u32_e32 v145, v49, v44
	v_add_u32_e32 v146, v50, v44
	;; [unrolled: 1-line block ×4, first 2 shown]
	v_lshlrev_b32_e32 v149, 2, v40
	v_add_u32_e32 v150, v42, v44
	v_add_u32_e32 v151, v43, v44
	;; [unrolled: 1-line block ×3, first 2 shown]
	s_waitcnt lgkmcnt(0)
	s_barrier
.LBB194_6:                              ; =>This Inner Loop Header: Depth=1
	s_add_i32 s65, s64, 1
	s_cmp_lt_i32 s65, s53
	s_mov_b64 s[28:29], 0
	s_cselect_b64 s[44:45], -1, 0
	s_cmp_ge_i32 s65, s53
	s_mov_b64 s[24:25], 0
	s_cbranch_scc1 .LBB194_8
; %bb.7:                                ;   in Loop: Header=BB194_6 Depth=1
	s_add_i32 s0, s59, 64
	s_ashr_i32 s1, s0, 31
	s_add_u32 s0, s58, s0
	s_addc_u32 s1, s57, s1
	s_lshl_b64 s[0:1], s[0:1], 8
	s_add_u32 s24, s6, s0
	s_addc_u32 s25, s7, s1
.LBB194_8:                              ;   in Loop: Header=BB194_6 Depth=1
	v_cndmask_b32_e64 v34, 0, 1, s[44:45]
	v_cmp_ne_u32_e64 s[0:1], 1, v34
	s_andn2_b64 vcc, exec, s[44:45]
	s_cbranch_vccnz .LBB194_10
; %bb.9:                                ;   in Loop: Header=BB194_6 Depth=1
	s_add_i32 s28, s59, 64
	s_mul_hi_i32 s29, s28, s18
	s_mul_i32 s28, s28, s18
	s_add_u32 s28, s28, s55
	s_addc_u32 s29, s29, s60
	s_lshl_b64 s[28:29], s[28:29], 8
	s_add_u32 s28, s4, s28
	s_addc_u32 s29, s5, s29
.LBB194_10:                             ;   in Loop: Header=BB194_6 Depth=1
	v_perm_b32 v35, v25, v24, s3
	v_perm_b32 v34, v23, v22, s3
	v_perm_b32 v37, v13, v12, s3
	v_perm_b32 v36, v11, v10, s3
	ds_write_b64 v108, v[34:35]
	ds_write_b64 v109, v[36:37]
	ds_write_b64 v114, v[34:35]
	ds_write_b64 v115, v[36:37]
	v_perm_b32 v35, v29, v28, s3
	v_perm_b32 v34, v27, v26, s3
	v_perm_b32 v37, v17, v16, s3
	v_perm_b32 v36, v15, v14, s3
	ds_write_b64 v110, v[34:35]
	ds_write_b64 v111, v[36:37]
	ds_write_b64 v116, v[34:35]
	ds_write_b64 v117, v[36:37]
	;; [unrolled: 8-line block ×4, first 2 shown]
	s_waitcnt lgkmcnt(0)
	s_barrier
	ds_read_b64 v[38:39], v124 offset:49152
	ds_read2_b64 v[34:37], v125 offset1:16
	ds_read_b64 v[50:51], v127 offset:6144
	ds_read_b64 v[52:53], v125 offset:6144
	s_waitcnt lgkmcnt(2)
	v_mfma_f32_16x16x16_bf16 a[0:3], v[38:39], v[34:35], 0
	ds_read_b64 v[54:55], v126 offset:49152
	ds_read2st64_b64 v[42:45], v128 offset0:4 offset1:8
	ds_read2st64_b64 v[46:49], v129 offset0:4 offset1:8
	v_mfma_f32_16x16x16_bf16 a[4:7], v[38:39], v[36:37], 0
	ds_read2_b64 v[34:37], v125 offset0:32 offset1:48
	s_add_i32 s66, s59, 63
	s_ashr_i32 s31, s66, 31
	s_waitcnt lgkmcnt(0)
	v_mfma_f32_16x16x16_bf16 a[8:11], v[38:39], v[34:35], 0
	s_mul_i32 s44, s66, s23
	s_mul_hi_u32 s45, s66, s22
	s_add_i32 s44, s45, s44
	v_mfma_f32_16x16x16_bf16 a[12:15], v[38:39], v[36:37], 0
	ds_read2st64_b64 v[34:37], v125 offset0:4 offset1:8
	ds_read2st64_b64 v[38:41], v127 offset0:4 offset1:8
	s_mul_i32 s31, s31, s22
	s_waitcnt lgkmcnt(1)
	v_mfma_f32_16x16x16_bf16 a[0:3], v[54:55], v[34:35], a[0:3]
	s_add_i32 s45, s44, s31
	s_mul_i32 s44, s66, s22
	s_lshl_b64 s[44:45], s[44:45], 2
	s_waitcnt lgkmcnt(0)
	v_mfma_f32_16x16x16_bf16 a[4:7], v[54:55], v[38:39], a[4:7]
	s_add_u32 s44, s42, s44
	s_addc_u32 s45, s43, s45
	s_and_b64 vcc, exec, s[0:1]
	v_mfma_f32_16x16x16_bf16 a[8:11], v[54:55], v[42:43], a[8:11]
	ds_read_b64 v[34:35], v130 offset:49152
	ds_read_b64 v[38:39], v131 offset:49152
	;; [unrolled: 1-line block ×3, first 2 shown]
	v_mov_b32_e32 v156, 0
	v_mov_b32_e32 v155, 0
	v_mfma_f32_16x16x16_bf16 a[12:15], v[54:55], v[46:47], a[12:15]
	v_mov_b32_e32 v154, 0
	v_mov_b32_e32 v46, 0
	;; [unrolled: 1-line block ×3, first 2 shown]
	s_waitcnt lgkmcnt(2)
	v_mfma_f32_16x16x16_bf16 a[0:3], v[34:35], v[36:37], a[0:3]
	v_mov_b32_e32 v36, 0
	v_mov_b32_e32 v37, 0
	v_mfma_f32_16x16x16_bf16 a[16:19], v[34:35], v[40:41], a[4:7]
	v_mov_b32_e32 v40, 0
	v_mov_b32_e32 v41, 0
	;; [unrolled: 3-line block ×3, first 2 shown]
	v_mfma_f32_16x16x16_bf16 a[24:27], v[34:35], v[48:49], a[12:15]
	ds_read_b64 v[34:35], v128 offset:6144
	v_mov_b32_e32 v48, 0
	v_mov_b32_e32 v49, 0
	s_waitcnt lgkmcnt(2)
	v_mfma_f32_16x16x16_bf16 a[4:7], v[38:39], v[52:53], a[0:3]
	v_mfma_f32_16x16x16_bf16 a[8:11], v[38:39], v[50:51], a[16:19]
	s_waitcnt lgkmcnt(0)
	v_mfma_f32_16x16x16_bf16 a[12:15], v[38:39], v[34:35], a[20:23]
	v_mov_b32_e32 v34, 0
	v_mov_b32_e32 v35, 0
	v_mfma_f32_16x16x16_bf16 a[0:3], v[38:39], v[42:43], a[24:27]
	v_mov_b32_e32 v38, 0
	v_mov_b32_e32 v39, 0
	;; [unrolled: 1-line block ×4, first 2 shown]
	s_cbranch_vccnz .LBB194_12
; %bb.11:                               ;   in Loop: Header=BB194_6 Depth=1
	s_and_b32 s25, s25, 0xffff
	buffer_load_dwordx4 v[46:49], v104, s[24:27], 0 offen
	buffer_load_dwordx4 v[42:45], v104, s[24:27], s61 offen
	;; [unrolled: 1-line block ×4, first 2 shown]
	v_mov_b32_e32 v155, v106
	v_mov_b32_e32 v154, v107
.LBB194_12:                             ;   in Loop: Header=BB194_6 Depth=1
	ds_read_b64 v[66:67], v124 offset:57344
	ds_read2_b64 v[50:53], v132 offset1:16
	ds_read_b64 v[68:69], v126 offset:57344
	ds_read_b64 v[70:71], v130 offset:57344
	;; [unrolled: 1-line block ×3, first 2 shown]
	v_add_u32_e32 v74, s59, v100
	s_waitcnt lgkmcnt(3)
	v_mfma_f32_16x16x16_bf16 a[4:7], v[66:67], v[50:51], a[4:7]
	v_mfma_f32_16x16x16_bf16 a[8:11], v[66:67], v[52:53], a[8:11]
	ds_read2_b64 v[50:53], v132 offset0:32 offset1:48
	ds_read2st64_b64 v[54:57], v132 offset0:4 offset1:8
	ds_read2st64_b64 v[58:61], v133 offset0:4 offset1:8
	;; [unrolled: 1-line block ×3, first 2 shown]
	s_waitcnt lgkmcnt(3)
	v_mfma_f32_16x16x16_bf16 a[12:15], v[66:67], v[50:51], a[12:15]
	v_ashrrev_i32_e32 v50, 31, v74
	v_mfma_f32_16x16x16_bf16 a[0:3], v[66:67], v[52:53], a[0:3]
	v_mul_lo_u32 v52, v50, s22
	v_mul_lo_u32 v53, v74, s23
	v_mad_u64_u32 v[50:51], s[24:25], v74, s22, 0
	v_add3_u32 v51, v51, v53, v52
	v_add_u32_e32 v52, 1, v74
	v_ashrrev_i32_e32 v53, 31, v52
	s_waitcnt lgkmcnt(2)
	v_mfma_f32_16x16x16_bf16 a[4:7], v[68:69], v[54:55], a[4:7]
	v_mul_lo_u32 v54, v53, s22
	v_mul_lo_u32 v55, v52, s23
	v_mad_u64_u32 v[52:53], s[24:25], v52, s22, 0
	v_add3_u32 v53, v53, v55, v54
	v_add_u32_e32 v54, 2, v74
	v_ashrrev_i32_e32 v55, 31, v54
	s_waitcnt lgkmcnt(1)
	v_mfma_f32_16x16x16_bf16 a[8:11], v[68:69], v[58:59], a[8:11]
	v_mul_lo_u32 v58, v55, s22
	v_mul_lo_u32 v59, v54, s23
	v_mad_u64_u32 v[54:55], s[24:25], v54, s22, 0
	v_add3_u32 v55, v55, v59, v58
	v_add_u32_e32 v58, 3, v74
	v_ashrrev_i32_e32 v59, 31, v58
	v_mul_lo_u32 v66, v59, s22
	v_mul_lo_u32 v67, v58, s23
	v_mad_u64_u32 v[58:59], s[24:25], v58, s22, 0
	s_ashr_i32 s25, s59, 31
	s_add_u32 s24, s58, s59
	v_lshl_add_u64 v[50:51], v[50:51], 2, s[42:43]
	v_add3_u32 v59, v59, v67, v66
	s_addc_u32 s25, s57, s25
	v_lshl_add_u64 v[52:53], v[52:53], 2, s[42:43]
	global_load_dword v74, v[50:51], off
	v_lshl_add_u64 v[50:51], v[58:59], 2, s[42:43]
	s_lshl_b64 s[24:25], s[24:25], 8
	v_lshl_add_u64 v[54:55], v[54:55], 2, s[42:43]
	global_load_dword v66, v[52:53], off
	global_load_dword v67, v[54:55], off
	;; [unrolled: 1-line block ×3, first 2 shown]
	v_lshl_add_u64 v[50:51], v[92:93], 0, s[24:25]
	v_lshl_add_u64 v[54:55], v[50:51], 0, v[90:91]
	global_load_ushort v76, v[54:55], off offset:256
	global_load_ushort v157, v[54:55], off
	ds_read2st64_b64 v[50:53], v135 offset0:4 offset1:8
	global_load_ushort v158, v[54:55], off offset:768
	global_load_ushort v159, v[54:55], off offset:512
	s_waitcnt lgkmcnt(1)
	v_mfma_f32_16x16x16_bf16 a[12:15], v[68:69], v[62:63], a[12:15]
	s_and_b64 vcc, exec, s[0:1]
	s_waitcnt vmcnt(3)
	v_lshlrev_b32_e32 v63, 16, v76
	s_waitcnt lgkmcnt(0)
	v_mfma_f32_16x16x16_bf16 a[0:3], v[68:69], v[50:51], a[0:3]
	global_load_ushort v68, v[54:55], off offset:288
	global_load_ushort v69, v[54:55], off offset:32
	;; [unrolled: 1-line block ×8, first 2 shown]
	v_mfma_f32_16x16x16_bf16 a[4:7], v[70:71], v[56:57], a[4:7]
	ds_read_b64 v[50:51], v132 offset:6144
	s_waitcnt vmcnt(10)
	v_lshlrev_b32_e32 v62, 16, v157
	v_mov_b32_e32 v157, 0
	v_mfma_f32_16x16x16_bf16 a[8:11], v[70:71], v[60:61], a[8:11]
	v_mfma_f32_16x16x16_bf16 a[12:15], v[70:71], v[64:65], a[12:15]
	;; [unrolled: 1-line block ×3, first 2 shown]
	global_load_ushort v70, v[54:55], off offset:352
	global_load_ushort v71, v[54:55], off offset:96
	ds_read_b64 v[52:53], v133 offset:6144
	ds_read_b64 v[56:57], v134 offset:6144
	;; [unrolled: 1-line block ×3, first 2 shown]
	global_load_ushort v166, v[54:55], off offset:864
	global_load_ushort v167, v[54:55], off offset:608
	s_load_dword s24, s[44:45], 0x0
	s_waitcnt lgkmcnt(0)
	v_mfma_f32_16x16x16_bf16 a[4:7], v[72:73], v[50:51], a[4:7]
	v_sub_f32_e32 v60, s24, v67
	v_mfma_f32_16x16x16_bf16 a[0:3], v[72:73], v[58:59], a[0:3]
	v_sub_f32_e32 v58, s24, v74
	v_sub_f32_e32 v59, s24, v66
	;; [unrolled: 1-line block ×3, first 2 shown]
	v_mul_f32_e32 v58, 0x3fb8aa3b, v58
	v_mul_f32_e32 v59, 0x3fb8aa3b, v59
	;; [unrolled: 1-line block ×4, first 2 shown]
	v_mfma_f32_16x16x16_bf16 a[8:11], v[72:73], v[52:53], a[8:11]
	v_exp_f32_e32 v58, v58
	v_exp_f32_e32 v59, v59
	;; [unrolled: 1-line block ×4, first 2 shown]
	v_accvgpr_read_b32 v65, a5
	v_accvgpr_read_b32 v64, a4
	;; [unrolled: 1-line block ×4, first 2 shown]
	v_pk_add_f32 v[62:63], v[62:63], v[64:65] neg_lo:[0,1] neg_hi:[0,1]
	s_waitcnt vmcnt(13)
	v_lshlrev_b32_e32 v65, 16, v158
	s_waitcnt vmcnt(12)
	v_lshlrev_b32_e32 v64, 16, v159
	v_pk_add_f32 v[50:51], v[64:65], v[50:51] neg_lo:[0,1] neg_hi:[0,1]
	v_pk_mul_f32 v[62:63], v[58:59], v[62:63]
	v_pk_mul_f32 v[50:51], v[60:61], v[50:51]
	v_accvgpr_read_b32 v65, a9
	v_perm_b32 v51, v51, v50, s3
	v_perm_b32 v50, v63, v62, s3
	v_accvgpr_read_b32 v64, a8
	v_accvgpr_read_b32 v53, a11
	v_mfma_f32_16x16x16_bf16 a[12:15], v[72:73], v[56:57], a[12:15]
	v_accvgpr_read_b32 v52, a10
	v_accvgpr_read_b32 v57, a3
	v_accvgpr_read_b32 v56, a2
	s_waitcnt vmcnt(11)
	v_lshlrev_b32_e32 v63, 16, v68
	s_waitcnt vmcnt(10)
	v_lshlrev_b32_e32 v62, 16, v69
	v_pk_add_f32 v[62:63], v[62:63], v[64:65] neg_lo:[0,1] neg_hi:[0,1]
	s_waitcnt vmcnt(9)
	v_lshlrev_b32_e32 v65, 16, v160
	s_waitcnt vmcnt(8)
	v_lshlrev_b32_e32 v64, 16, v161
	v_pk_add_f32 v[52:53], v[64:65], v[52:53] neg_lo:[0,1] neg_hi:[0,1]
	v_pk_mul_f32 v[62:63], v[58:59], v[62:63]
	v_pk_mul_f32 v[52:53], v[60:61], v[52:53]
	v_accvgpr_read_b32 v55, a15
	v_perm_b32 v53, v53, v52, s3
	v_perm_b32 v52, v63, v62, s3
	ds_write2_b64 v109, v[50:51], v[52:53] offset1:16
	v_accvgpr_read_b32 v53, a13
	s_waitcnt vmcnt(7)
	v_lshlrev_b32_e32 v51, 16, v162
	s_waitcnt vmcnt(6)
	v_lshlrev_b32_e32 v50, 16, v163
	v_accvgpr_read_b32 v52, a12
	v_accvgpr_read_b32 v54, a14
	v_pk_add_f32 v[50:51], v[50:51], v[52:53] neg_lo:[0,1] neg_hi:[0,1]
	s_waitcnt vmcnt(5)
	v_lshlrev_b32_e32 v53, 16, v164
	s_waitcnt vmcnt(4)
	v_lshlrev_b32_e32 v52, 16, v165
	v_pk_add_f32 v[52:53], v[52:53], v[54:55] neg_lo:[0,1] neg_hi:[0,1]
	v_pk_mul_f32 v[50:51], v[58:59], v[50:51]
	v_pk_mul_f32 v[52:53], v[60:61], v[52:53]
	v_accvgpr_read_b32 v55, a1
	v_perm_b32 v53, v53, v52, s3
	v_perm_b32 v52, v51, v50, s3
	s_waitcnt vmcnt(3)
	v_lshlrev_b32_e32 v51, 16, v70
	s_waitcnt vmcnt(2)
	v_lshlrev_b32_e32 v50, 16, v71
	v_accvgpr_read_b32 v54, a0
	v_pk_add_f32 v[50:51], v[50:51], v[54:55] neg_lo:[0,1] neg_hi:[0,1]
	s_waitcnt vmcnt(1)
	v_lshlrev_b32_e32 v55, 16, v166
	s_waitcnt vmcnt(0)
	v_lshlrev_b32_e32 v54, 16, v167
	v_pk_add_f32 v[54:55], v[54:55], v[56:57] neg_lo:[0,1] neg_hi:[0,1]
	v_pk_mul_f32 v[50:51], v[58:59], v[50:51]
	v_pk_mul_f32 v[54:55], v[60:61], v[54:55]
	v_mov_b32_e32 v56, 0
	v_perm_b32 v55, v55, v54, s3
	v_perm_b32 v54, v51, v50, s3
	ds_write2_b64 v109, v[52:53], v[54:55] offset0:32 offset1:48
	v_mov_b32_e32 v50, 0
	v_mov_b32_e32 v51, 0
	;; [unrolled: 1-line block ×15, first 2 shown]
	s_cbranch_vccnz .LBB194_14
; %bb.13:                               ;   in Loop: Header=BB194_6 Depth=1
	s_and_b32 s29, s29, 0xffff
	s_mov_b32 s31, s27
	buffer_load_dwordx4 v[62:65], v142, s[28:31], 0 offen
	buffer_load_dwordx4 v[54:57], v142, s[28:31], s61 offen
	;; [unrolled: 1-line block ×4, first 2 shown]
	v_mov_b32_e32 v156, v103
	v_mov_b32_e32 v157, v102
.LBB194_14:                             ;   in Loop: Header=BB194_6 Depth=1
	s_waitcnt lgkmcnt(0)
	s_barrier
	ds_read_b64 v[74:75], v145
	ds_read2_b64 v[66:69], v138 offset1:16
	ds_read_b64 v[174:175], v146
	ds_read_b64 v[176:177], v147
	;; [unrolled: 1-line block ×3, first 2 shown]
	ds_read2_b64 v[70:73], v138 offset0:32 offset1:48
	ds_read2st64_b64 v[158:161], v138 offset0:4 offset1:8
	ds_read2st64_b64 v[162:165], v139 offset0:4 offset1:8
	;; [unrolled: 1-line block ×4, first 2 shown]
	s_waitcnt lgkmcnt(8)
	v_mfma_f32_16x16x16_bf16 a[0:3], v[74:75], v[66:67], 0
	s_add_i32 s25, s56, s64
	s_mul_hi_i32 s29, s25, s17
	s_mul_i32 s25, s25, s17
	v_mfma_f32_16x16x16_bf16 a[4:7], v[74:75], v[68:69], 0
	s_add_u32 s28, s25, s33
	s_addc_u32 s29, s29, s46
	s_lshl_b64 s[28:29], s[28:29], 15
	s_waitcnt lgkmcnt(4)
	v_mfma_f32_16x16x16_bf16 a[8:11], v[74:75], v[70:71], 0
	s_mul_i32 s31, s66, s17
	s_mul_hi_i32 s25, s66, s17
	s_add_u32 s44, s31, s33
	v_mfma_f32_16x16x16_bf16 a[12:15], v[74:75], v[72:73], 0
	ds_read_b64 v[74:75], v138 offset:6144
	ds_read_b64 v[186:187], v139 offset:6144
	;; [unrolled: 1-line block ×4, first 2 shown]
	s_addc_u32 s45, s25, s46
	s_waitcnt lgkmcnt(7)
	v_mfma_f32_16x16x16_bf16 a[0:3], v[174:175], v[158:159], a[0:3]
	s_lshl_b64 s[44:45], s[44:45], 9
	s_add_u32 s44, s20, s44
	s_addc_u32 s45, s21, s45
	s_waitcnt lgkmcnt(6)
	v_mfma_f32_16x16x16_bf16 a[4:7], v[174:175], v[162:163], a[4:7]
	v_lshl_add_u64 v[196:197], v[94:95], 0, s[28:29]
	s_waitcnt lgkmcnt(5)
	v_mfma_f32_16x16x16_bf16 a[8:11], v[174:175], v[166:167], a[8:11]
	s_waitcnt lgkmcnt(4)
	v_mfma_f32_16x16x16_bf16 a[12:15], v[174:175], v[170:171], a[12:15]
	ds_read_b64 v[174:175], v150
	ds_read_b64 v[184:185], v151
	;; [unrolled: 1-line block ×3, first 2 shown]
	s_waitcnt lgkmcnt(2)
	v_mfma_f32_16x16x16_bf16 a[16:19], v[174:175], v[66:67], 0
	v_mfma_f32_16x16x16_bf16 a[20:23], v[174:175], v[68:69], 0
	global_load_dwordx4 v[66:69], v149, s[44:45]
	v_mfma_f32_16x16x16_bf16 a[24:27], v[174:175], v[70:71], 0
	v_mfma_f32_16x16x16_bf16 a[28:31], v[174:175], v[72:73], 0
	global_load_dwordx4 v[70:73], v89, s[44:45]
	v_mfma_f32_16x16x16_bf16 a[0:3], v[176:177], v[160:161], a[0:3]
	v_mfma_f32_16x16x16_bf16 a[4:7], v[176:177], v[164:165], a[4:7]
	;; [unrolled: 1-line block ×8, first 2 shown]
	ds_read2st64_b64 v[174:177], v136 offset1:8
	ds_read2st64_b64 v[178:181], v137 offset1:8
	ds_read_b64 v[194:195], v144 offset:40960
	s_waitcnt lgkmcnt(2)
	v_mov_b32_e32 v182, v174
	v_mfma_f32_16x16x16_bf16 a[16:19], v[184:185], v[158:159], a[16:19]
	v_mov_b32_e32 v183, v175
	v_mfma_f32_16x16x16_bf16 a[20:23], v[184:185], v[162:163], a[20:23]
	v_mfma_f32_16x16x16_bf16 a[24:27], v[184:185], v[166:167], a[24:27]
	;; [unrolled: 1-line block ×3, first 2 shown]
	v_add_co_u32_e32 v170, vcc, s37, v196
	s_waitcnt lgkmcnt(1)
	v_mov_b32_e32 v184, v178
	s_waitcnt lgkmcnt(0)
	v_mfma_f32_16x16x16_bf16 a[16:19], v[194:195], v[160:161], a[16:19]
	ds_read2st64_b64 v[158:161], v136 offset0:16 offset1:24
	v_addc_co_u32_e32 v171, vcc, 0, v197, vcc
	v_mfma_f32_16x16x16_bf16 a[20:23], v[194:195], v[164:165], a[20:23]
	ds_read2st64_b64 v[162:165], v137 offset0:16 offset1:24
	v_mov_b32_e32 v185, v179
	v_mov_b32_e32 v178, v176
	v_mfma_f32_16x16x16_bf16 a[32:35], v[194:195], v[168:169], a[24:27]
	v_mov_b32_e32 v179, v177
	s_waitcnt lgkmcnt(0)
	v_mov_b32_e32 v168, v162
	v_mov_b32_e32 v169, v163
	v_mfma_f32_16x16x16_bf16 a[36:39], v[194:195], v[172:173], a[28:31]
	v_mov_b32_e32 v162, v160
	v_mov_b32_e32 v163, v161
	;; [unrolled: 1-line block ×3, first 2 shown]
	v_mfma_f32_16x16x16_bf16 a[24:27], v[192:193], v[74:75], a[16:19]
	v_add_co_u32_e32 v74, vcc, s39, v196
	v_mov_b32_e32 v167, v159
	v_mfma_f32_16x16x16_bf16 a[28:31], v[192:193], v[186:187], a[20:23]
	v_addc_co_u32_e32 v75, vcc, 0, v197, vcc
	global_store_dwordx4 v[74:75], v[162:165], off
	v_mfma_f32_16x16x16_bf16 a[16:19], v[192:193], v[188:189], a[32:35]
	s_waitcnt vmcnt(2)
	v_mov_b32_e32 v76, v69
	v_mov_b32_e32 v75, v68
	;; [unrolled: 1-line block ×3, first 2 shown]
	v_mfma_f32_16x16x16_bf16 a[20:23], v[192:193], v[190:191], a[36:39]
	s_and_b64 vcc, exec, s[0:1]
	global_store_dwordx4 v[196:197], v[182:185], off
	global_store_dwordx4 v[170:171], v[178:181], off offset:-4096
	global_store_dwordx4 v[170:171], v[166:169], off
	s_cbranch_vccnz .LBB194_16
; %bb.15:                               ;   in Loop: Header=BB194_6 Depth=1
	v_lshrrev_b32_e32 v67, 3, v156
	v_and_b32_e32 v67, 6, v67
	v_xor_b32_e32 v68, v67, v157
	v_lshlrev_b32_e32 v68, 2, v68
	v_and_b32_e32 v69, 8, v156
	v_xor_b32_e32 v156, 0x440, v68
	v_cmp_eq_u32_e32 vcc, 0, v69
	v_perm_b32 v69, v54, v50, s62
	s_nop 0
	v_cndmask_b32_e32 v68, v156, v68, vcc
	v_lshl_or_b32 v67, v67, 10, v68
	v_perm_b32 v68, v62, v58, s62
	s_barrier
	ds_write2st64_b32 v67, v68, v69 offset0:128 offset1:160
	v_xor_b32_e32 v68, 8, v67
	v_perm_b32 v58, v62, v58, s63
	v_perm_b32 v50, v54, v50, s63
	v_add_u32_e32 v54, 0x80, v68
	ds_write2st64_b32 v54, v58, v50 offset0:128 offset1:160
	v_xor_b32_e32 v50, 16, v67
	v_perm_b32 v54, v63, v59, s62
	v_perm_b32 v58, v55, v51, s62
	ds_write2st64_b32 v50, v54, v58 offset0:129 offset1:161
	v_xor_b32_e32 v50, 24, v67
	v_perm_b32 v54, v63, v59, s63
	v_perm_b32 v51, v55, v51, s63
	v_add_u32_e32 v50, 0x80, v50
	ds_write2st64_b32 v50, v54, v51 offset0:129 offset1:161
	v_xor_b32_e32 v50, 32, v67
	v_perm_b32 v51, v64, v60, s62
	v_perm_b32 v54, v56, v52, s62
	;; [unrolled: 9-line block ×3, first 2 shown]
	ds_write2st64_b32 v50, v51, v52 offset0:131 offset1:163
	v_xor_b32_e32 v50, 56, v67
	v_perm_b32 v51, v65, v61, s63
	v_perm_b32 v52, v57, v53, s63
	v_add_u32_e32 v50, 0x80, v50
	ds_write2st64_b32 v50, v51, v52 offset0:131 offset1:163
	ds_write_b64 v155, v[46:47] offset:49152
	v_xor_b32_e32 v46, 8, v155
	ds_write_b64 v46, v[48:49] offset:49152
	ds_write_b64 v155, v[42:43] offset:57344
	;; [unrolled: 1-line block ×4, first 2 shown]
	v_xor_b32_e32 v38, 8, v154
	ds_write_b64 v38, v[40:41] offset:49152
	ds_write_b64 v154, v[34:35] offset:57344
	;; [unrolled: 1-line block ×3, first 2 shown]
.LBB194_16:                             ;   in Loop: Header=BB194_6 Depth=1
	v_mul_f32_e32 v58, s24, v153
	v_exp_f32_e32 v68, v58
	s_waitcnt vmcnt(4)
	v_mul_f32_e32 v58, 0x3fb8aa3b, v70
	v_exp_f32_e32 v70, v58
	v_mul_f32_e32 v58, 0x3fb8aa3b, v71
	v_exp_f32_e32 v71, v58
	;; [unrolled: 2-line block ×4, first 2 shown]
	v_accvgpr_read_b32 v37, a3
	v_accvgpr_read_b32 v36, a2
	;; [unrolled: 1-line block ×4, first 2 shown]
	v_pk_mul_f32 v[70:71], v[68:69], v[70:71] op_sel_hi:[0,1]
	v_pk_mul_f32 v[72:73], v[68:69], v[72:73] op_sel_hi:[0,1]
	v_pk_fma_f32 v[22:23], v[22:23], v[70:71], v[34:35]
	v_pk_fma_f32 v[24:25], v[24:25], v[72:73], v[36:37]
	v_mul_f32_e32 v34, 0x3fb8aa3b, v66
	v_mul_f32_e32 v35, 0x3fb8aa3b, v74
	;; [unrolled: 1-line block ×4, first 2 shown]
	v_exp_f32_e32 v34, v34
	v_exp_f32_e32 v35, v35
	;; [unrolled: 1-line block ×4, first 2 shown]
	v_accvgpr_read_b32 v41, a7
	v_accvgpr_read_b32 v45, a11
	;; [unrolled: 1-line block ×28, first 2 shown]
	v_pk_mul_f32 v[34:35], v[68:69], v[34:35] op_sel_hi:[0,1]
	v_pk_mul_f32 v[36:37], v[68:69], v[36:37] op_sel_hi:[0,1]
	s_add_i32 s59, s59, 64
	v_pk_fma_f32 v[26:27], v[70:71], v[26:27], v[38:39]
	v_pk_fma_f32 v[28:29], v[72:73], v[28:29], v[40:41]
	;; [unrolled: 1-line block ×13, first 2 shown]
	s_cmp_eq_u32 s53, s65
	v_pk_fma_f32 v[4:5], v[36:37], v[4:5], v[64:65]
	s_cbranch_scc1 .LBB194_18
; %bb.17:                               ;   in Loop: Header=BB194_6 Depth=1
	s_mov_b32 s64, s65
	s_branch .LBB194_6
.LBB194_18:
	s_lshl_b32 s0, s53, 6
	s_sub_i32 s44, s54, s0
	s_cmp_gt_i32 s44, 0
	s_cbranch_scc0 .LBB194_99
; %bb.19:
	s_add_i32 s34, s0, s34
	s_ashr_i32 s3, s34, 31
	s_cmpk_lg_i32 s19, 0x80
	s_cselect_b64 s[30:31], -1, 0
	s_and_b64 vcc, exec, s[30:31]
	s_cbranch_vccz .LBB194_21
; %bb.20:
	s_mul_hi_i32 s0, s34, s18
	s_mul_i32 s1, s34, s18
	s_ashr_i32 s18, s55, 31
	s_add_u32 s42, s1, s55
	s_addc_u32 s43, s0, s18
	s_cbranch_execz .LBB194_22
	s_branch .LBB194_23
.LBB194_21:
                                        ; implicit-def: $sgpr42_sgpr43
.LBB194_22:
	s_mul_i32 s1, s55, s16
	s_mul_hi_i32 s0, s55, s16
	s_add_u32 s42, s1, s34
	s_addc_u32 s43, s0, s3
.LBB194_23:
	s_waitcnt lgkmcnt(0)
	s_add_i32 s16, s53, s56
	s_add_u32 s0, s58, s34
	v_lshlrev_b32_e32 v38, 6, v100
	v_lshlrev_b32_e32 v57, 2, v97
	s_addc_u32 s1, s57, s3
	s_mov_b32 s3, 0x7060302
	v_or_b32_e32 v41, v38, v57
	v_xor_b32_e32 v39, v100, v57
	s_waitcnt vmcnt(7)
	v_perm_b32 v35, v25, v24, s3
	v_perm_b32 v34, v23, v22, s3
	s_waitcnt vmcnt(6)
	v_perm_b32 v37, v13, v12, s3
	v_perm_b32 v36, v11, v10, s3
	v_lshlrev_b32_e32 v41, 1, v41
	v_xor_b32_e32 v40, v101, v57
	ds_write2st64_b64 v41, v[34:35], v[36:37] offset0:32 offset1:48
	v_lshlrev_b32_e32 v39, 1, v39
	v_lshlrev_b32_e32 v41, 8, v97
	v_or_b32_e32 v42, v39, v41
	v_lshlrev_b32_e32 v40, 1, v40
	ds_write_b64 v42, v[34:35]
	v_or_b32_e32 v34, v40, v41
	v_or_b32_e32 v41, 16, v97
	v_lshlrev_b32_e32 v55, 2, v41
	v_or_b32_e32 v42, v38, v55
	ds_write_b64 v34, v[36:37]
	s_waitcnt vmcnt(5)
	v_perm_b32 v35, v29, v28, s3
	v_perm_b32 v34, v27, v26, s3
	s_waitcnt vmcnt(4)
	v_perm_b32 v37, v17, v16, s3
	v_perm_b32 v36, v15, v14, s3
	v_lshlrev_b32_e32 v42, 1, v42
	v_lshlrev_b32_e32 v41, 8, v41
	ds_write2st64_b64 v42, v[34:35], v[36:37] offset0:32 offset1:48
	v_or_b32_e32 v42, v39, v41
	ds_write_b64 v42, v[34:35]
	v_or_b32_e32 v34, v40, v41
	v_or_b32_e32 v41, 32, v97
	v_lshlrev_b32_e32 v54, 2, v41
	v_or_b32_e32 v42, v38, v54
	ds_write_b64 v34, v[36:37]
	s_waitcnt vmcnt(3)
	v_perm_b32 v35, v33, v32, s3
	v_perm_b32 v34, v31, v30, s3
	s_waitcnt vmcnt(2)
	v_perm_b32 v37, v21, v20, s3
	v_perm_b32 v36, v19, v18, s3
	v_lshlrev_b32_e32 v42, 1, v42
	v_lshlrev_b32_e32 v41, 8, v41
	s_lshl_b64 s[28:29], s[0:1], 8
	ds_write2st64_b64 v42, v[34:35], v[36:37] offset0:32 offset1:48
	v_or_b32_e32 v42, v39, v41
	s_add_u32 s0, s6, s28
	ds_write_b64 v42, v[34:35]
	v_or_b32_e32 v34, v40, v41
	s_addc_u32 s1, s7, s29
	ds_write_b64 v34, v[36:37]
	s_waitcnt vmcnt(1)
	v_perm_b32 v35, v9, v8, s3
	v_perm_b32 v34, v7, v6, s3
	s_waitcnt vmcnt(0)
	v_perm_b32 v37, v5, v4, s3
	v_perm_b32 v36, v3, v2, s3
	v_or_b32_e32 v41, 48, v97
	s_mul_hi_i32 s3, s16, s17
	s_mul_i32 s16, s16, s17
	v_lshlrev_b32_e32 v51, 2, v41
	s_add_u32 s6, s16, s33
	v_or_b32_e32 v38, v38, v51
	s_addc_u32 s7, s3, s46
	v_lshlrev_b32_e32 v38, 1, v38
	s_ashr_i32 s3, s2, 31
	s_lshl_b64 s[6:7], s[6:7], 15
	ds_write2st64_b64 v38, v[34:35], v[36:37] offset0:32 offset1:48
	v_lshlrev_b32_e32 v38, 8, v41
	s_add_u32 s6, s40, s6
	v_or_b32_e32 v39, v39, v38
	s_addc_u32 s7, s41, s7
	s_lshl_b64 s[2:3], s[2:3], 8
	ds_write_b64 v39, v[34:35]
	v_or_b32_e32 v34, v40, v38
	s_add_u32 s2, s6, s2
	v_lshlrev_b32_e32 v35, 1, v97
	ds_write_b64 v34, v[36:37]
	v_lshrrev_b32_e32 v34, 4, v0
	s_addc_u32 s3, s7, s3
	v_or_b32_e32 v36, 1, v35
	v_lshlrev_b32_e32 v42, 4, v97
	v_mov_b32_e32 v43, 0
	v_xor_b32_e32 v35, v34, v35
	v_xor_b32_e32 v38, v36, v34
	v_lshl_add_u64 v[44:45], s[2:3], 0, v[42:43]
	v_lshlrev_b32_e32 v42, 8, v34
	v_lshl_or_b32 v48, v35, 3, v42
	v_lshl_or_b32 v49, v38, 3, v42
	s_waitcnt lgkmcnt(0)
	s_barrier
	ds_read2st64_b64 v[34:37], v48 offset1:8
	ds_read2st64_b64 v[38:41], v49 offset1:8
	v_lshl_add_u64 v[46:47], v[44:45], 0, v[42:43]
	s_movk_i32 s2, 0x2000
	s_cmp_lg_u32 s44, 64
	s_waitcnt lgkmcnt(1)
	v_mov_b32_e32 v42, v34
	v_mov_b32_e32 v43, v35
	s_waitcnt lgkmcnt(0)
	v_mov_b32_e32 v44, v38
	v_mov_b32_e32 v45, v39
	global_store_dwordx4 v[46:47], v[42:45], off
	v_mov_b32_e32 v38, v36
	v_mov_b32_e32 v39, v37
	ds_read2st64_b64 v[34:37], v48 offset0:16 offset1:24
	ds_read2st64_b64 v[42:45], v49 offset0:16 offset1:24
	v_add_co_u32_e32 v48, vcc, s2, v46
	s_cselect_b64 s[6:7], -1, 0
	s_nop 0
	v_addc_co_u32_e32 v49, vcc, 0, v47, vcc
	global_store_dwordx4 v[48:49], v[38:41], off offset:-4096
	v_lshl_or_b32 v62, v1, 3, v99
	s_mov_b32 s24, 0
	s_waitcnt lgkmcnt(1)
	v_mov_b32_e32 v38, v34
	v_add_co_u32_e32 v34, vcc, 0x3000, v46
	v_mov_b32_e32 v39, v35
	s_nop 0
	v_addc_co_u32_e32 v35, vcc, 0, v47, vcc
	s_waitcnt lgkmcnt(0)
	v_mov_b32_e32 v40, v42
	v_mov_b32_e32 v41, v43
	;; [unrolled: 1-line block ×4, first 2 shown]
	v_or_b32_e32 v52, 32, v62
	v_and_b32_e32 v50, 56, v98
	s_and_b64 vcc, exec, s[6:7]
	global_store_dwordx4 v[48:49], v[38:41], off
	global_store_dwordx4 v[34:35], v[42:45], off
	s_cbranch_vccz .LBB194_29
; %bb.24:
	s_mov_b32 s26, s24
	s_mov_b32 s27, s24
	;; [unrolled: 1-line block ×3, first 2 shown]
	v_mov_b64_e32 v[40:41], s[26:27]
	v_mov_b64_e32 v[38:39], s[24:25]
	;; [unrolled: 1-line block ×3, first 2 shown]
	v_cmp_gt_i32_e32 vcc, s44, v62
	v_mov_b64_e32 v[36:37], v[40:41]
	s_and_saveexec_b64 s[2:3], vcc
	s_cbranch_execz .LBB194_26
; %bb.25:
	v_lshlrev_b32_e32 v34, 8, v62
	v_mov_b32_e32 v35, 0
	v_lshl_add_u64 v[36:37], s[0:1], 0, v[34:35]
	v_lshlrev_b32_e32 v34, 1, v50
	v_lshl_add_u64 v[42:43], v[36:37], 0, v[34:35]
	global_load_dwordx4 v[38:41], v[42:43], off
	global_load_dwordx4 v[34:37], v[42:43], off offset:128
.LBB194_26:
	s_or_b64 exec, exec, s[2:3]
	s_mov_b32 s26, s24
	s_mov_b32 s27, s24
	;; [unrolled: 1-line block ×3, first 2 shown]
	v_mov_b64_e32 v[48:49], s[26:27]
	v_mov_b64_e32 v[46:47], s[24:25]
	;; [unrolled: 1-line block ×3, first 2 shown]
	v_cmp_gt_i32_e32 vcc, s44, v52
	v_lshlrev_b32_e32 v53, 7, v52
	v_mov_b64_e32 v[44:45], v[48:49]
	s_and_saveexec_b64 s[2:3], vcc
	s_cbranch_execz .LBB194_28
; %bb.27:
	v_lshlrev_b32_e32 v42, 1, v53
	v_mov_b32_e32 v43, 0
	v_lshl_add_u64 v[44:45], s[0:1], 0, v[42:43]
	v_lshlrev_b32_e32 v42, 1, v50
	v_lshl_add_u64 v[58:59], v[44:45], 0, v[42:43]
	global_load_dwordx4 v[46:49], v[58:59], off
	global_load_dwordx4 v[42:45], v[58:59], off offset:128
.LBB194_28:
	s_or_b64 exec, exec, s[2:3]
	v_lshrrev_b32_e32 v56, 3, v50
	v_lshlrev_b32_e32 v58, 3, v62
	v_or_b32_e32 v56, v58, v56
	v_lshlrev_b32_e32 v56, 4, v56
	v_and_b32_e32 v58, 0x78, v58
	v_xor_b32_e32 v56, v56, v58
	s_branch .LBB194_31
.LBB194_29:
                                        ; implicit-def: $vgpr56
                                        ; implicit-def: $vgpr53
                                        ; implicit-def: $vgpr38_vgpr39_vgpr40_vgpr41
                                        ; implicit-def: $vgpr34_vgpr35_vgpr36_vgpr37
                                        ; implicit-def: $vgpr46_vgpr47_vgpr48_vgpr49
                                        ; implicit-def: $vgpr42_vgpr43_vgpr44_vgpr45
	s_cbranch_execz .LBB194_31
; %bb.30:
	s_waitcnt vmcnt(0)
	v_lshlrev_b32_e32 v34, 1, v50
	v_lshl_or_b32 v53, v62, 8, v34
	s_and_b32 s1, s1, 0xffff
	s_mov_b32 s3, 0x20000
	s_movk_i32 s2, 0x4000
	v_lshl_or_b32 v56, v52, 8, v34
	s_movk_i32 s16, 0x80
	buffer_load_dwordx4 v[38:41], v53, s[0:3], 0 offen
	buffer_load_dwordx4 v[34:37], v53, s[0:3], s16 offen
	;; [unrolled: 1-line block ×4, first 2 shown]
	v_lshrrev_b32_e32 v53, 3, v50
	v_lshlrev_b32_e32 v56, 3, v62
	v_or_b32_e32 v53, v56, v53
	v_lshlrev_b32_e32 v53, 4, v53
	v_and_b32_e32 v56, 0x78, v56
	v_xor_b32_e32 v56, v53, v56
	v_lshlrev_b32_e32 v53, 7, v52
.LBB194_31:
	s_movk_i32 s0, 0x1000
	v_and_or_b32 v52, v53, s0, v56
	s_waitcnt vmcnt(1)
	ds_write_b64 v56, v[38:39] offset:49152
	v_xor_b32_e32 v38, 8, v56
	ds_write_b64 v38, v[40:41] offset:49152
	s_waitcnt vmcnt(0)
	ds_write_b64 v56, v[34:35] offset:57344
	ds_write_b64 v38, v[36:37] offset:57344
	ds_write_b64 v52, v[46:47] offset:49152
	v_xor_b32_e32 v34, 8, v52
	ds_write_b64 v34, v[48:49] offset:49152
	ds_write_b64 v52, v[42:43] offset:57344
	;; [unrolled: 1-line block ×3, first 2 shown]
	v_or_b32_e32 v34, v77, v97
	v_lshlrev_b32_e32 v34, 3, v34
	v_lshrrev_b32_e32 v35, 5, v79
	s_movk_i32 s0, 0xf8
	v_and_or_b32 v35, v34, s0, v35
	v_lshlrev_b32_e32 v39, 4, v35
	v_lshlrev_b32_e32 v56, 11, v1
	v_and_b32_e32 v40, 0x78, v34
	v_or_b32_e32 v42, 32, v39
	v_and_b32_e32 v38, 0x1000, v56
	v_lshrrev_b32_e32 v35, 1, v79
	v_xor_b32_e32 v42, v42, v40
	v_xor_b32_e32 v34, v39, v40
	v_and_b32_e32 v41, 8, v35
	v_or_b32_e32 v42, v42, v38
	v_or_b32_e32 v34, v34, v38
	v_xor_b32_e32 v64, v42, v41
	v_or_b32_e32 v42, 64, v39
	v_xor_b32_e32 v63, v34, v41
	v_xor_b32_e32 v42, v42, v40
	s_waitcnt lgkmcnt(0)
	s_barrier
	v_or_b32_e32 v45, v42, v38
	ds_read_b64 v[42:43], v63 offset:49152
	v_lshl_or_b32 v46, v96, 8, v57
	v_lshlrev_b32_e32 v58, 1, v46
	v_add_u32_e32 v44, 0x4000, v58
	ds_read2_b64 v[34:37], v44 offset1:16
	v_or_b32_e32 v39, 0x60, v39
	v_xor_b32_e32 v39, v39, v40
	v_or_b32_e32 v38, v39, v38
	v_xor_b32_e32 v65, v45, v41
	v_xor_b32_e32 v66, v38, v41
	ds_read_b64 v[52:53], v64 offset:49152
	ds_read_b64 v[68:69], v65 offset:49152
	;; [unrolled: 1-line block ×3, first 2 shown]
	s_waitcnt lgkmcnt(3)
	v_mfma_f32_16x16x16_bf16 a[0:3], v[42:43], v[34:35], 0
	ds_read2st64_b64 v[38:41], v58 offset0:36 offset1:40
	s_lshl_b64 s[0:1], s[42:43], 8
	s_add_u32 s4, s4, s0
	v_mfma_f32_16x16x16_bf16 a[4:7], v[42:43], v[36:37], 0
	ds_read2_b64 v[34:37], v44 offset0:32 offset1:48
	s_addc_u32 s5, s5, s1
	s_add_i32 s0, s49, s47
	s_waitcnt lgkmcnt(0)
	v_mfma_f32_16x16x16_bf16 a[8:11], v[42:43], v[34:35], 0
	v_or_b32_e32 v34, 64, v46
	v_lshlrev_b32_e32 v59, 1, v34
	s_add_i32 s18, s35, -1
	v_mfma_f32_16x16x16_bf16 a[12:15], v[42:43], v[36:37], 0
	ds_read2st64_b64 v[34:37], v59 offset0:36 offset1:40
	s_add_i32 s39, s0, s48
	s_add_i32 s0, s51, s50
	v_mfma_f32_16x16x16_bf16 a[0:3], v[52:53], v[38:39], a[0:3]
	v_or_b32_e32 v38, 0x80, v46
	v_lshlrev_b32_e32 v60, 1, v38
	ds_read2st64_b64 v[42:45], v60 offset0:36 offset1:40
	s_waitcnt lgkmcnt(1)
	v_mfma_f32_16x16x16_bf16 a[4:7], v[52:53], v[34:35], a[4:7]
	v_or_b32_e32 v34, 0xc0, v46
	v_lshlrev_b32_e32 v61, 1, v34
	ds_read2st64_b64 v[46:49], v61 offset0:36 offset1:40
	s_add_i32 s37, s0, s52
	s_ashr_i32 s0, s18, 31
	s_mul_i32 s1, s18, s23
	s_mul_hi_u32 s2, s18, s22
	s_add_i32 s1, s2, s1
	s_mul_i32 s0, s0, s22
	s_waitcnt lgkmcnt(1)
	v_mfma_f32_16x16x16_bf16 a[8:11], v[52:53], v[42:43], a[8:11]
	s_add_i32 s1, s1, s0
	s_lshl_b64 s[2:3], s[38:39], 2
	s_add_u32 s10, s10, s2
	s_waitcnt lgkmcnt(0)
	v_mfma_f32_16x16x16_bf16 a[12:15], v[52:53], v[46:47], a[12:15]
	s_addc_u32 s11, s11, s3
	s_lshl_b64 s[2:3], s[36:37], 2
	s_mul_i32 s0, s18, s22
	v_mfma_f32_16x16x16_bf16 a[0:3], v[68:69], v[40:41], a[0:3]
	ds_read_b64 v[34:35], v58 offset:22528
	s_add_u32 s10, s10, s2
	s_addc_u32 s11, s11, s3
	v_mfma_f32_16x16x16_bf16 a[4:7], v[68:69], v[36:37], a[4:7]
	ds_read_b64 v[36:37], v59 offset:22528
	ds_read_b64 v[38:39], v60 offset:22528
	ds_read_b64 v[40:41], v61 offset:22528
	s_lshl_b64 s[0:1], s[0:1], 2
	s_add_u32 s0, s10, s0
	v_mfma_f32_16x16x16_bf16 a[8:11], v[68:69], v[44:45], a[8:11]
	s_addc_u32 s1, s11, s1
	s_load_dword s16, s[0:1], 0x0
	s_and_b64 vcc, exec, s[30:31]
	v_mfma_f32_16x16x16_bf16 a[12:15], v[68:69], v[48:49], a[12:15]
	s_waitcnt lgkmcnt(0)
	v_mfma_f32_16x16x16_bf16 a[0:3], v[70:71], v[34:35], a[0:3]
	v_mfma_f32_16x16x16_bf16 a[4:7], v[70:71], v[36:37], a[4:7]
	;; [unrolled: 1-line block ×4, first 2 shown]
	s_cbranch_vccz .LBB194_42
; %bb.32:
	v_lshlrev_b32_e32 v52, 1, v62
	s_and_b64 vcc, exec, s[6:7]
	s_cbranch_vccz .LBB194_43
; %bb.33:
	v_cmp_gt_i32_e32 vcc, s44, v52
	v_mov_b32_e32 v38, 0
	v_mov_b32_e32 v34, 0
	;; [unrolled: 1-line block ×5, first 2 shown]
	s_and_saveexec_b64 s[0:1], vcc
	s_cbranch_execz .LBB194_35
; %bb.34:
	v_mad_i64_i32 v[34:35], s[2:3], s19, v52, 0
	v_lshl_add_u64 v[34:35], v[34:35], 1, s[4:5]
	v_lshlrev_b32_e32 v36, 1, v50
	v_mov_b32_e32 v37, 0
	v_lshl_add_u64 v[34:35], v[34:35], 0, v[36:37]
	global_load_dwordx4 v[34:37], v[34:35], off
.LBB194_35:
	s_or_b64 exec, exec, s[0:1]
	v_or_b32_e32 v53, 1, v52
	v_cmp_gt_i32_e64 s[0:1], s44, v53
	v_mov_b32_e32 v39, 0
	v_mov_b32_e32 v40, 0
	;; [unrolled: 1-line block ×3, first 2 shown]
	s_and_saveexec_b64 s[2:3], s[0:1]
	s_cbranch_execz .LBB194_37
; %bb.36:
	v_mad_i64_i32 v[38:39], s[24:25], s19, v53, 0
	v_lshl_add_u64 v[38:39], v[38:39], 1, s[4:5]
	v_lshlrev_b32_e32 v40, 1, v50
	v_mov_b32_e32 v41, 0
	v_lshl_add_u64 v[38:39], v[38:39], 0, v[40:41]
	global_load_dwordx4 v[38:41], v[38:39], off
.LBB194_37:
	s_or_b64 exec, exec, s[2:3]
	v_mov_b32_e32 v49, 0
	v_mov_b32_e32 v42, 0
	;; [unrolled: 1-line block ×5, first 2 shown]
	s_and_saveexec_b64 s[2:3], vcc
	s_cbranch_execz .LBB194_39
; %bb.38:
	v_mad_i64_i32 v[42:43], s[24:25], s19, v52, 0
	v_lshl_add_u64 v[42:43], v[42:43], 1, s[4:5]
	v_lshlrev_b32_e32 v44, 1, v50
	v_mov_b32_e32 v45, 0
	v_lshl_add_u64 v[42:43], v[42:43], 0, v[44:45]
	global_load_dwordx4 v[42:45], v[42:43], off offset:128
.LBB194_39:
	s_or_b64 exec, exec, s[2:3]
	v_mov_b32_e32 v48, 0
	v_mov_b32_e32 v47, 0
	;; [unrolled: 1-line block ×3, first 2 shown]
	s_and_saveexec_b64 s[2:3], s[0:1]
	s_cbranch_execz .LBB194_41
; %bb.40:
	v_mad_i64_i32 v[46:47], s[0:1], s19, v53, 0
	v_lshl_add_u64 v[46:47], v[46:47], 1, s[4:5]
	v_lshlrev_b32_e32 v48, 1, v50
	v_mov_b32_e32 v49, 0
	v_lshl_add_u64 v[46:47], v[46:47], 0, v[48:49]
	global_load_dwordx4 v[46:49], v[46:47], off offset:128
.LBB194_41:
	s_or_b64 exec, exec, s[2:3]
	s_branch .LBB194_45
.LBB194_42:
                                        ; implicit-def: $vgpr37
                                        ; implicit-def: $vgpr41
                                        ; implicit-def: $vgpr45
                                        ; implicit-def: $vgpr49
	v_lshrrev_b32_e32 v67, 2, v79
	s_branch .LBB194_46
.LBB194_43:
                                        ; implicit-def: $vgpr37
                                        ; implicit-def: $vgpr41
                                        ; implicit-def: $vgpr45
                                        ; implicit-def: $vgpr49
	s_cbranch_execz .LBB194_45
; %bb.44:
	s_waitcnt vmcnt(0)
	v_mad_u64_u32 v[34:35], s[0:1], v52, s19, v[50:51]
	v_lshlrev_b32_e32 v52, 1, v34
	s_lshl_b32 s2, s19, 7
	s_and_b32 s1, s5, 0xffff
	s_mov_b32 s3, 0x20000
	s_mov_b32 s0, s4
	v_add_lshl_u32 v53, v34, s19, 1
	s_movk_i32 s19, 0x80
	buffer_load_dwordx4 v[34:37], v52, s[0:3], 0 offen
	buffer_load_dwordx4 v[42:45], v52, s[0:3], s19 offen
	;; [unrolled: 1-line block ×4, first 2 shown]
.LBB194_45:
	v_lshrrev_b32_e32 v67, 2, v79
	s_cbranch_execnz .LBB194_58
.LBB194_46:
	s_and_b64 vcc, exec, s[6:7]
	s_cbranch_vccz .LBB194_56
; %bb.47:
	s_waitcnt vmcnt(0)
	v_lshlrev_b32_e32 v39, 1, v62
	v_cmp_gt_i32_e32 vcc, s44, v39
	v_mov_b32_e32 v38, 0
	v_lshlrev_b32_e32 v46, 9, v62
	v_mov_b32_e32 v34, 0
	v_mov_b32_e32 v35, 0
	;; [unrolled: 1-line block ×4, first 2 shown]
	s_and_saveexec_b64 s[0:1], vcc
	s_cbranch_execz .LBB194_49
; %bb.48:
	v_mov_b32_e32 v47, 0
	v_lshl_add_u64 v[34:35], s[4:5], 0, v[46:47]
	v_lshlrev_b32_e32 v36, 1, v50
	v_mov_b32_e32 v37, v47
	v_lshl_add_u64 v[34:35], v[34:35], 0, v[36:37]
	global_load_dwordx4 v[34:37], v[34:35], off
.LBB194_49:
	s_or_b64 exec, exec, s[0:1]
	v_or_b32_e32 v39, 1, v39
	v_cmp_gt_i32_e64 s[0:1], s44, v39
	v_lshlrev_b32_e32 v52, 8, v39
	v_mov_b32_e32 v39, 0
	v_mov_b32_e32 v40, 0
	;; [unrolled: 1-line block ×3, first 2 shown]
	s_and_saveexec_b64 s[2:3], s[0:1]
	s_cbranch_execz .LBB194_51
; %bb.50:
	v_mov_b32_e32 v53, 0
	v_lshl_add_u64 v[38:39], s[4:5], 0, v[52:53]
	v_lshlrev_b32_e32 v40, 1, v50
	v_mov_b32_e32 v41, v53
	v_lshl_add_u64 v[38:39], v[38:39], 0, v[40:41]
	global_load_dwordx4 v[38:41], v[38:39], off
.LBB194_51:
	s_or_b64 exec, exec, s[2:3]
	v_mov_b32_e32 v49, 0
	v_mov_b32_e32 v42, 0
	;; [unrolled: 1-line block ×5, first 2 shown]
	s_and_saveexec_b64 s[2:3], vcc
	s_cbranch_execz .LBB194_53
; %bb.52:
	v_mov_b32_e32 v47, 0
	v_lshl_add_u64 v[42:43], s[4:5], 0, v[46:47]
	v_lshlrev_b32_e32 v46, 1, v50
	v_lshl_add_u64 v[42:43], v[42:43], 0, v[46:47]
	global_load_dwordx4 v[42:45], v[42:43], off offset:128
.LBB194_53:
	s_or_b64 exec, exec, s[2:3]
	v_mov_b32_e32 v48, 0
	v_mov_b32_e32 v47, 0
	;; [unrolled: 1-line block ×3, first 2 shown]
	s_and_saveexec_b64 s[2:3], s[0:1]
	s_cbranch_execz .LBB194_55
; %bb.54:
	v_mov_b32_e32 v53, 0
	v_lshl_add_u64 v[46:47], s[4:5], 0, v[52:53]
	v_lshlrev_b32_e32 v52, 1, v50
	v_lshl_add_u64 v[46:47], v[46:47], 0, v[52:53]
	global_load_dwordx4 v[46:49], v[46:47], off offset:128
.LBB194_55:
	s_or_b64 exec, exec, s[2:3]
	s_branch .LBB194_58
.LBB194_56:
                                        ; implicit-def: $vgpr37
                                        ; implicit-def: $vgpr41
                                        ; implicit-def: $vgpr45
                                        ; implicit-def: $vgpr49
	s_cbranch_execz .LBB194_58
; %bb.57:
	s_waitcnt vmcnt(0)
	v_lshlrev_b32_e32 v34, 1, v50
	v_lshl_or_b32 v50, v62, 9, v34
	s_and_b32 s5, s5, 0xffff
	s_mov_b32 s7, 0x20000
	s_movk_i32 s6, 0x4000
	s_movk_i32 s0, 0x80
	buffer_load_dwordx4 v[34:37], v50, s[4:7], 0 offen
	buffer_load_dwordx4 v[38:41], v50, s[4:7], 0 offen offset:256
	buffer_load_dwordx4 v[42:45], v50, s[4:7], s0 offen
	buffer_load_dwordx4 v[46:49], v50, s[4:7], s0 offen offset:256
.LBB194_58:
	ds_read_b64 v[52:53], v63 offset:57344
	v_add_u32_e32 v50, 0x6000, v58
	ds_read2_b64 v[68:71], v50 offset1:16
	ds_read_b64 v[94:95], v64 offset:57344
	ds_read_b64 v[96:97], v65 offset:57344
	;; [unrolled: 1-line block ×3, first 2 shown]
	v_and_b32_e32 v63, 6, v0
	v_xor_b32_e32 v62, v62, v63
	v_lshlrev_b32_e32 v62, 2, v62
	s_mov_b32 s0, 0x1000504
	s_mov_b32 s1, 0x3020706
	s_waitcnt lgkmcnt(3)
	v_mfma_f32_16x16x16_bf16 a[0:3], v[52:53], v[68:69], a[0:3]
	v_mfma_f32_16x16x16_bf16 a[4:7], v[52:53], v[70:71], a[4:7]
	ds_read2_b64 v[68:71], v50 offset0:32 offset1:48
	v_and_b32_e32 v50, 12, v67
	ds_read2st64_b64 v[64:67], v58 offset0:52 offset1:56
	s_waitcnt lgkmcnt(1)
	v_mfma_f32_16x16x16_bf16 a[8:11], v[52:53], v[68:69], a[8:11]
	v_mfma_f32_16x16x16_bf16 a[12:15], v[52:53], v[70:71], a[12:15]
	ds_read2st64_b64 v[68:71], v59 offset0:52 offset1:56
	ds_read2st64_b64 v[72:75], v60 offset0:52 offset1:56
	;; [unrolled: 1-line block ×3, first 2 shown]
	s_waitcnt lgkmcnt(3)
	v_mfma_f32_16x16x16_bf16 a[0:3], v[94:95], v[64:65], a[0:3]
	ds_read_b64 v[52:53], v58 offset:30720
	ds_read_b64 v[64:65], v59 offset:30720
	;; [unrolled: 1-line block ×4, first 2 shown]
	s_waitcnt lgkmcnt(6)
	v_mfma_f32_16x16x16_bf16 a[4:7], v[94:95], v[68:69], a[4:7]
	v_and_b32_e32 v68, 1, v0
	v_xor_b32_e32 v69, 0x440, v62
	v_cmp_eq_u32_e32 vcc, 0, v68
	s_waitcnt lgkmcnt(5)
	v_mfma_f32_16x16x16_bf16 a[8:11], v[94:95], v[72:73], a[8:11]
	v_cndmask_b32_e32 v62, v69, v62, vcc
	v_lshl_or_b32 v62, v63, 10, v62
	s_waitcnt lgkmcnt(4)
	v_mfma_f32_16x16x16_bf16 a[12:15], v[94:95], v[90:91], a[12:15]
	s_waitcnt vmcnt(0)
	v_perm_b32 v63, v34, v38, s0
	v_perm_b32 v34, v34, v38, s1
	;; [unrolled: 1-line block ×3, first 2 shown]
	v_mfma_f32_16x16x16_bf16 a[0:3], v[96:97], v[66:67], a[0:3]
	v_perm_b32 v66, v42, v46, s0
	ds_write2st64_b32 v62, v63, v66 offset0:128 offset1:160
	v_xor_b32_e32 v63, 8, v62
	v_add_u32_e32 v42, 0x80, v63
	ds_write2st64_b32 v42, v34, v38 offset0:128 offset1:160
	v_xor_b32_e32 v34, 16, v62
	v_perm_b32 v38, v35, v39, s0
	v_perm_b32 v42, v43, v47, s0
	v_mfma_f32_16x16x16_bf16 a[4:7], v[96:97], v[70:71], a[4:7]
	ds_write2st64_b32 v34, v38, v42 offset0:129 offset1:161
	v_xor_b32_e32 v34, 24, v62
	v_perm_b32 v35, v35, v39, s1
	v_mfma_f32_16x16x16_bf16 a[16:19], v[96:97], v[74:75], a[8:11]
	v_perm_b32 v38, v43, v47, s1
	v_add_u32_e32 v34, 0x80, v34
	ds_write2st64_b32 v34, v35, v38 offset0:129 offset1:161
	v_mfma_f32_16x16x16_bf16 a[20:23], v[96:97], v[92:93], a[12:15]
	v_xor_b32_e32 v34, 32, v62
	v_perm_b32 v35, v36, v40, s0
	v_perm_b32 v38, v44, v48, s0
	ds_write2st64_b32 v34, v35, v38 offset0:130 offset1:162
	v_xor_b32_e32 v34, 40, v62
	s_waitcnt lgkmcnt(8)
	v_mfma_f32_16x16x16_bf16 a[12:15], v[98:99], v[52:53], a[0:3]
	v_perm_b32 v35, v36, v40, s1
	v_perm_b32 v36, v44, v48, s1
	v_add_u32_e32 v34, 0x80, v34
	s_waitcnt lgkmcnt(7)
	v_mfma_f32_16x16x16_bf16 a[8:11], v[98:99], v[64:65], a[4:7]
	ds_write2st64_b32 v34, v35, v36 offset0:130 offset1:162
	v_xor_b32_e32 v34, 48, v62
	v_perm_b32 v35, v37, v41, s0
	s_waitcnt lgkmcnt(7)
	v_mfma_f32_16x16x16_bf16 a[4:7], v[98:99], v[100:101], a[16:19]
	v_perm_b32 v36, v45, v49, s0
	ds_write2st64_b32 v34, v35, v36 offset0:131 offset1:163
	v_xor_b32_e32 v34, 56, v62
	s_waitcnt lgkmcnt(7)
	v_mfma_f32_16x16x16_bf16 a[0:3], v[98:99], v[102:103], a[20:23]
	v_or_b32_e32 v48, v50, v77
	v_perm_b32 v35, v37, v41, s1
	v_perm_b32 v36, v45, v49, s1
	v_add_u32_e32 v34, 0x80, v34
	v_cmp_gt_i32_e64 s[0:1], s44, v48
	v_mov_b32_e32 v52, 0
	v_mov_b32_e32 v53, 0
	ds_write2st64_b32 v34, v35, v36 offset0:131 offset1:163
	s_and_saveexec_b64 s[2:3], s[0:1]
	s_cbranch_execz .LBB194_60
; %bb.59:
	v_add_u32_e32 v34, s34, v48
	v_ashrrev_i32_e32 v35, 31, v34
	v_mul_lo_u32 v36, v35, s22
	v_mul_lo_u32 v37, v34, s23
	v_mad_u64_u32 v[34:35], s[4:5], v34, s22, 0
	v_add3_u32 v35, v35, v37, v36
	v_lshl_add_u64 v[34:35], v[34:35], 2, s[10:11]
	global_load_dword v34, v[34:35], off
	s_waitcnt vmcnt(0)
	v_sub_f32_e32 v34, s16, v34
	v_mul_f32_e32 v34, 0x3fb8aa3b, v34
	v_exp_f32_e32 v53, v34
.LBB194_60:
	s_or_b64 exec, exec, s[2:3]
	v_or_b32_e32 v40, 1, v48
	v_cmp_gt_i32_e64 s[2:3], s44, v40
	s_and_saveexec_b64 s[4:5], s[2:3]
	s_cbranch_execz .LBB194_62
; %bb.61:
	v_add_u32_e32 v34, s34, v40
	v_ashrrev_i32_e32 v35, 31, v34
	v_mul_lo_u32 v36, v35, s22
	v_mul_lo_u32 v37, v34, s23
	v_mad_u64_u32 v[34:35], s[6:7], v34, s22, 0
	v_add3_u32 v35, v35, v37, v36
	v_lshl_add_u64 v[34:35], v[34:35], 2, s[10:11]
	global_load_dword v34, v[34:35], off
	s_waitcnt vmcnt(0)
	v_sub_f32_e32 v34, s16, v34
	v_mul_f32_e32 v34, 0x3fb8aa3b, v34
	v_exp_f32_e32 v52, v34
.LBB194_62:
	s_or_b64 exec, exec, s[4:5]
	v_or_b32_e32 v41, 2, v48
	v_cmp_gt_i32_e64 s[4:5], s44, v41
	v_mov_b32_e32 v49, 0
	v_mov_b32_e32 v62, 0
	s_and_saveexec_b64 s[6:7], s[4:5]
	s_cbranch_execz .LBB194_64
; %bb.63:
	v_add_u32_e32 v34, s34, v41
	v_ashrrev_i32_e32 v35, 31, v34
	v_mul_lo_u32 v36, v35, s22
	v_mul_lo_u32 v37, v34, s23
	v_mad_u64_u32 v[34:35], s[24:25], v34, s22, 0
	v_add3_u32 v35, v35, v37, v36
	v_lshl_add_u64 v[34:35], v[34:35], 2, s[10:11]
	global_load_dword v34, v[34:35], off
	s_waitcnt vmcnt(0)
	v_sub_f32_e32 v34, s16, v34
	v_mul_f32_e32 v34, 0x3fb8aa3b, v34
	v_exp_f32_e32 v62, v34
.LBB194_64:
	s_or_b64 exec, exec, s[6:7]
	v_or_b32_e32 v63, 3, v48
	v_cmp_gt_i32_e32 vcc, s44, v63
	s_and_saveexec_b64 s[6:7], vcc
	s_cbranch_execz .LBB194_66
; %bb.65:
	v_add_u32_e32 v34, s34, v63
	v_ashrrev_i32_e32 v35, 31, v34
	v_mul_lo_u32 v36, v35, s22
	v_mul_lo_u32 v37, v34, s23
	v_mad_u64_u32 v[34:35], s[22:23], v34, s22, 0
	v_add3_u32 v35, v35, v37, v36
	v_lshl_add_u64 v[34:35], v[34:35], 2, s[10:11]
	global_load_dword v34, v[34:35], off
	s_waitcnt vmcnt(0)
	v_sub_f32_e32 v34, s16, v34
	v_mul_f32_e32 v34, 0x3fb8aa3b, v34
	v_exp_f32_e32 v49, v34
.LBB194_66:
	s_or_b64 exec, exec, s[6:7]
	s_add_u32 s6, s8, s28
	v_accvgpr_read_b32 v37, a15
	s_addc_u32 s7, s9, s29
	v_ashrrev_i32_e32 v89, 31, v88
	v_accvgpr_read_b32 v36, a14
	v_accvgpr_read_b32 v35, a13
	v_accvgpr_read_b32 v34, a12
	v_lshl_add_u64 v[38:39], v[88:89], 1, s[6:7]
	v_mov_b32_e32 v45, 0
	v_lshlrev_b32_e32 v42, 8, v48
	v_mov_b32_e32 v43, 0
	s_and_saveexec_b64 s[6:7], s[0:1]
	s_cbranch_execz .LBB194_68
; %bb.67:
	v_mov_b32_e32 v43, 0
	v_lshl_add_u64 v[46:47], v[38:39], 0, v[42:43]
	global_load_ushort v43, v[46:47], off
	s_waitcnt vmcnt(0)
	v_lshlrev_b32_e32 v43, 16, v43
	v_sub_f32_e32 v34, v43, v34
	v_mul_f32_e32 v34, v53, v34
	v_lshrrev_b32_e32 v43, 16, v34
.LBB194_68:
	s_or_b64 exec, exec, s[6:7]
	v_lshlrev_b32_e32 v44, 8, v40
	s_and_saveexec_b64 s[6:7], s[2:3]
	s_cbranch_execz .LBB194_70
; %bb.69:
	v_mov_b32_e32 v45, 0
	v_lshl_add_u64 v[46:47], v[38:39], 0, v[44:45]
	global_load_ushort v34, v[46:47], off
	s_waitcnt vmcnt(0)
	v_lshlrev_b32_e32 v34, 16, v34
	v_sub_f32_e32 v34, v34, v35
	v_mul_f32_e32 v34, v52, v34
	v_lshrrev_b32_e32 v45, 16, v34
.LBB194_70:
	s_or_b64 exec, exec, s[6:7]
	v_mov_b32_e32 v64, 0
	v_lshlrev_b32_e32 v46, 8, v41
	v_mov_b32_e32 v47, 0
	s_and_saveexec_b64 s[6:7], s[4:5]
	s_cbranch_execz .LBB194_72
; %bb.71:
	v_mov_b32_e32 v47, 0
	v_lshl_add_u64 v[34:35], v[38:39], 0, v[46:47]
	global_load_ushort v34, v[34:35], off
	s_waitcnt vmcnt(0)
	v_lshlrev_b32_e32 v34, 16, v34
	v_sub_f32_e32 v34, v34, v36
	v_mul_f32_e32 v34, v62, v34
	v_lshrrev_b32_e32 v47, 16, v34
.LBB194_72:
	s_or_b64 exec, exec, s[6:7]
	v_lshlrev_b32_e32 v40, 8, v63
	s_and_saveexec_b64 s[6:7], vcc
	s_cbranch_execz .LBB194_74
; %bb.73:
	v_mov_b32_e32 v41, 0
	v_lshl_add_u64 v[34:35], v[38:39], 0, v[40:41]
	global_load_ushort v34, v[34:35], off
	s_waitcnt vmcnt(0)
	v_lshlrev_b32_e32 v34, 16, v34
	v_sub_f32_e32 v34, v34, v37
	v_mul_f32_e32 v34, v49, v34
	v_lshrrev_b32_e32 v64, 16, v34
.LBB194_74:
	s_or_b64 exec, exec, s[6:7]
	v_lshlrev_b32_e32 v63, 6, v48
	v_accvgpr_read_b32 v37, a11
	s_mov_b32 s6, 0x5040100
	v_or_b32_e32 v41, v63, v57
	v_accvgpr_read_b32 v36, a10
	v_accvgpr_read_b32 v35, a9
	;; [unrolled: 1-line block ×3, first 2 shown]
	v_perm_b32 v65, v64, v47, s6
	v_perm_b32 v64, v45, v43, s6
	v_lshlrev_b32_e32 v41, 1, v41
	v_mov_b32_e32 v45, 0
	v_mov_b32_e32 v43, 0
	ds_write_b64 v41, v[64:65] offset:24576
	s_and_saveexec_b64 s[6:7], s[0:1]
	s_cbranch_execz .LBB194_76
; %bb.75:
	v_mov_b32_e32 v43, 0
	v_lshl_add_u64 v[64:65], v[38:39], 0, v[42:43]
	global_load_ushort v41, v[64:65], off offset:32
	s_waitcnt vmcnt(0)
	v_lshlrev_b32_e32 v41, 16, v41
	v_sub_f32_e32 v34, v41, v34
	v_mul_f32_e32 v34, v53, v34
	v_lshrrev_b32_e32 v43, 16, v34
.LBB194_76:
	s_or_b64 exec, exec, s[6:7]
	s_and_saveexec_b64 s[6:7], s[2:3]
	s_cbranch_execz .LBB194_78
; %bb.77:
	v_mov_b32_e32 v45, 0
	v_lshl_add_u64 v[64:65], v[38:39], 0, v[44:45]
	global_load_ushort v34, v[64:65], off offset:32
	s_waitcnt vmcnt(0)
	v_lshlrev_b32_e32 v34, 16, v34
	v_sub_f32_e32 v34, v34, v35
	v_mul_f32_e32 v34, v52, v34
	v_lshrrev_b32_e32 v45, 16, v34
.LBB194_78:
	s_or_b64 exec, exec, s[6:7]
	v_mov_b32_e32 v41, 0
	v_mov_b32_e32 v47, 0
	s_and_saveexec_b64 s[6:7], s[4:5]
	s_cbranch_execz .LBB194_80
; %bb.79:
	v_mov_b32_e32 v47, 0
	v_lshl_add_u64 v[34:35], v[38:39], 0, v[46:47]
	global_load_ushort v34, v[34:35], off offset:32
	s_waitcnt vmcnt(0)
	v_lshlrev_b32_e32 v34, 16, v34
	v_sub_f32_e32 v34, v34, v36
	v_mul_f32_e32 v34, v62, v34
	v_lshrrev_b32_e32 v47, 16, v34
.LBB194_80:
	s_or_b64 exec, exec, s[6:7]
	s_and_saveexec_b64 s[6:7], vcc
	s_cbranch_execz .LBB194_82
; %bb.81:
	v_mov_b32_e32 v41, 0
	v_lshl_add_u64 v[34:35], v[38:39], 0, v[40:41]
	global_load_ushort v34, v[34:35], off offset:32
	s_waitcnt vmcnt(0)
	v_lshlrev_b32_e32 v34, 16, v34
	v_sub_f32_e32 v34, v34, v37
	v_mul_f32_e32 v34, v49, v34
	v_lshrrev_b32_e32 v41, 16, v34
.LBB194_82:
	s_or_b64 exec, exec, s[6:7]
	s_mov_b32 s6, 0x5040100
	v_accvgpr_read_b32 v37, a7
	v_perm_b32 v65, v41, v47, s6
	v_or_b32_e32 v41, v63, v55
	v_accvgpr_read_b32 v36, a6
	v_accvgpr_read_b32 v35, a5
	;; [unrolled: 1-line block ×3, first 2 shown]
	v_perm_b32 v64, v45, v43, s6
	v_lshlrev_b32_e32 v41, 1, v41
	v_mov_b32_e32 v45, 0
	v_mov_b32_e32 v43, 0
	ds_write_b64 v41, v[64:65] offset:24576
	s_and_saveexec_b64 s[6:7], s[0:1]
	s_cbranch_execz .LBB194_84
; %bb.83:
	v_mov_b32_e32 v43, 0
	v_lshl_add_u64 v[64:65], v[38:39], 0, v[42:43]
	global_load_ushort v41, v[64:65], off offset:64
	s_waitcnt vmcnt(0)
	v_lshlrev_b32_e32 v41, 16, v41
	v_sub_f32_e32 v34, v41, v34
	v_mul_f32_e32 v34, v53, v34
	v_lshrrev_b32_e32 v43, 16, v34
.LBB194_84:
	s_or_b64 exec, exec, s[6:7]
	s_and_saveexec_b64 s[6:7], s[2:3]
	s_cbranch_execz .LBB194_86
; %bb.85:
	v_mov_b32_e32 v45, 0
	v_lshl_add_u64 v[64:65], v[38:39], 0, v[44:45]
	global_load_ushort v34, v[64:65], off offset:64
	s_waitcnt vmcnt(0)
	v_lshlrev_b32_e32 v34, 16, v34
	v_sub_f32_e32 v34, v34, v35
	v_mul_f32_e32 v34, v52, v34
	v_lshrrev_b32_e32 v45, 16, v34
.LBB194_86:
	s_or_b64 exec, exec, s[6:7]
	v_mov_b32_e32 v41, 0
	v_mov_b32_e32 v47, 0
	s_and_saveexec_b64 s[6:7], s[4:5]
	s_cbranch_execz .LBB194_88
; %bb.87:
	v_mov_b32_e32 v47, 0
	v_lshl_add_u64 v[34:35], v[38:39], 0, v[46:47]
	global_load_ushort v34, v[34:35], off offset:64
	s_waitcnt vmcnt(0)
	v_lshlrev_b32_e32 v34, 16, v34
	v_sub_f32_e32 v34, v34, v36
	v_mul_f32_e32 v34, v62, v34
	v_lshrrev_b32_e32 v47, 16, v34
.LBB194_88:
	s_or_b64 exec, exec, s[6:7]
	s_and_saveexec_b64 s[6:7], vcc
	s_cbranch_execz .LBB194_90
; %bb.89:
	v_mov_b32_e32 v41, 0
	v_lshl_add_u64 v[34:35], v[38:39], 0, v[40:41]
	global_load_ushort v34, v[34:35], off offset:64
	s_waitcnt vmcnt(0)
	v_lshlrev_b32_e32 v34, 16, v34
	v_sub_f32_e32 v34, v34, v37
	v_mul_f32_e32 v34, v49, v34
	v_lshrrev_b32_e32 v41, 16, v34
.LBB194_90:
	s_or_b64 exec, exec, s[6:7]
	s_mov_b32 s6, 0x5040100
	v_accvgpr_read_b32 v37, a3
	v_perm_b32 v65, v41, v47, s6
	v_or_b32_e32 v41, v63, v54
	v_accvgpr_read_b32 v36, a2
	v_accvgpr_read_b32 v35, a1
	;; [unrolled: 1-line block ×3, first 2 shown]
	v_perm_b32 v64, v45, v43, s6
	v_lshlrev_b32_e32 v41, 1, v41
	v_mov_b32_e32 v45, 0
	v_mov_b32_e32 v43, 0
	ds_write_b64 v41, v[64:65] offset:24576
	s_and_saveexec_b64 s[6:7], s[0:1]
	s_cbranch_execz .LBB194_92
; %bb.91:
	v_mov_b32_e32 v43, 0
	v_lshl_add_u64 v[42:43], v[38:39], 0, v[42:43]
	global_load_ushort v41, v[42:43], off offset:96
	s_waitcnt vmcnt(0)
	v_lshlrev_b32_e32 v41, 16, v41
	v_sub_f32_e32 v34, v41, v34
	v_mul_f32_e32 v34, v53, v34
	v_lshrrev_b32_e32 v43, 16, v34
.LBB194_92:
	s_or_b64 exec, exec, s[6:7]
	s_and_saveexec_b64 s[0:1], s[2:3]
	s_cbranch_execz .LBB194_94
; %bb.93:
	v_mov_b32_e32 v45, 0
	v_lshl_add_u64 v[44:45], v[38:39], 0, v[44:45]
	global_load_ushort v34, v[44:45], off offset:96
	s_waitcnt vmcnt(0)
	v_lshlrev_b32_e32 v34, 16, v34
	v_sub_f32_e32 v34, v34, v35
	v_mul_f32_e32 v34, v52, v34
	v_lshrrev_b32_e32 v45, 16, v34
.LBB194_94:
	s_or_b64 exec, exec, s[0:1]
	v_mov_b32_e32 v41, 0
	v_mov_b32_e32 v44, 0
	s_and_saveexec_b64 s[0:1], s[4:5]
	s_cbranch_execz .LBB194_96
; %bb.95:
	v_mov_b32_e32 v47, 0
	v_lshl_add_u64 v[34:35], v[38:39], 0, v[46:47]
	global_load_ushort v34, v[34:35], off offset:96
	s_waitcnt vmcnt(0)
	v_lshlrev_b32_e32 v34, 16, v34
	v_sub_f32_e32 v34, v34, v36
	v_mul_f32_e32 v34, v62, v34
	v_lshrrev_b32_e32 v44, 16, v34
.LBB194_96:
	s_or_b64 exec, exec, s[0:1]
	v_or_b32_e32 v34, 0x6000, v58
	v_or_b32_e32 v35, 0x6000, v59
	;; [unrolled: 1-line block ×4, first 2 shown]
	s_and_saveexec_b64 s[0:1], vcc
	s_cbranch_execz .LBB194_98
; %bb.97:
	v_mov_b32_e32 v41, 0
	v_lshl_add_u64 v[38:39], v[38:39], 0, v[40:41]
	global_load_ushort v38, v[38:39], off offset:96
	s_waitcnt vmcnt(0)
	v_lshlrev_b32_e32 v38, 16, v38
	v_sub_f32_e32 v37, v38, v37
	v_mul_f32_e32 v37, v49, v37
	v_lshrrev_b32_e32 v41, 16, v37
.LBB194_98:
	s_or_b64 exec, exec, s[0:1]
	s_mov_b32 s0, 0x5040100
	v_or_b32_e32 v37, v63, v51
	v_perm_b32 v39, v41, v44, s0
	v_perm_b32 v38, v45, v43, s0
	v_lshlrev_b32_e32 v37, 1, v37
	ds_write_b64 v37, v[38:39] offset:24576
	v_and_b32_e32 v37, 7, v0
	v_lshlrev_b32_e32 v49, 3, v37
	v_lshlrev_b32_e32 v79, 7, v37
	v_lshrrev_b32_e32 v37, 1, v0
	v_and_b32_e32 v37, 24, v37
	v_lshlrev_b32_e32 v51, 3, v1
	s_mul_i32 s0, s18, s17
	v_and_b32_e32 v43, 8, v0
	s_movk_i32 s4, 0x100
	v_xor_b32_e32 v76, v51, v37
	s_add_u32 s2, s0, s33
	v_cmp_eq_u32_e32 vcc, 0, v43
	v_cmp_gt_u32_e64 s[0:1], s4, v0
	v_or_b32_e32 v0, 0x440, v76
	v_mov_b32_e32 v44, 0x400
	v_cndmask_b32_e32 v0, v0, v76, vcc
	v_cndmask_b32_e64 v43, v44, 64, vcc
	v_mov_b32_e32 v44, 0xa000
	v_mov_b32_e32 v45, 0x8000
	v_or_b32_e32 v0, v0, v56
	v_cndmask_b32_e64 v57, v44, v45, s[0:1]
	v_xor_b32_e32 v92, v0, v49
	v_add3_u32 v0, v57, v92, v79
	s_waitcnt lgkmcnt(0)
	s_barrier
	ds_read_b64 v[58:59], v0
	v_or_b32_e32 v0, 32, v37
	v_xor_b32_e32 v0, v51, v0
	v_or_b32_e32 v44, 0x440, v0
	s_mul_hi_i32 s3, s18, s17
	v_cndmask_b32_e32 v0, v44, v0, vcc
	v_or_b32_e32 v0, v0, v56
	s_addc_u32 s3, s3, s46
	v_xor_b32_e32 v93, v0, v49
	s_lshl_b64 s[0:1], s[2:3], 9
	v_add3_u32 v0, v57, v93, v79
	s_add_u32 s0, s20, s0
	ds_read_b64 v[74:75], v0
	s_addc_u32 s1, s21, s1
	v_lshlrev_b32_e32 v0, 2, v48
	global_load_dwordx4 v[52:55], v0, s[0:1]
	v_or_b32_e32 v37, 0x60, v37
	v_xor_b32_e32 v37, v51, v37
	v_xor_b32_e32 v48, 0x440, v37
	v_cndmask_b32_e32 v37, v48, v37, vcc
	v_or_b32_e32 v37, v37, v56
	v_xor_b32_e32 v95, v37, v49
	v_lshlrev_b32_e32 v1, 6, v1
	v_lshlrev_b32_e32 v37, 2, v50
	v_or3_b32 v43, v56, v43, v76
	v_or3_b32 v1, v1, v37, s4
	v_xor_b32_e32 v43, v43, v49
	global_load_dwordx4 v[48:51], v1, s[0:1]
	ds_read2_b64 v[38:41], v34 offset1:16
	ds_read2_b64 v[44:47], v34 offset0:32 offset1:48
	s_waitcnt lgkmcnt(1)
	v_mfma_f32_16x16x16_bf16 a[0:3], v[58:59], v[38:39], 0
	ds_read2st64_b64 v[62:65], v35 offset0:4 offset1:8
	ds_read2st64_b64 v[66:69], v36 offset0:4 offset1:8
	;; [unrolled: 1-line block ×3, first 2 shown]
	v_mfma_f32_16x16x16_bf16 a[4:7], v[58:59], v[40:41], 0
	v_or_b32_e32 v94, v43, v79
	v_or_b32_e32 v43, v57, v94
	v_add3_u32 v1, v57, v95, v79
	s_waitcnt lgkmcnt(3)
	v_mfma_f32_16x16x16_bf16 a[8:11], v[58:59], v[44:45], 0
	ds_read_b64 v[56:57], v1
	v_mov_b32_e32 v0, 0x3fb8aa3b
	v_mul_f32_e32 v0, s16, v0
	v_mfma_f32_16x16x16_bf16 a[12:15], v[58:59], v[46:47], 0
	ds_read2st64_b64 v[58:61], v34 offset0:4 offset1:8
	v_exp_f32_e32 v0, v0
	s_waitcnt vmcnt(1)
	v_mul_f32_e32 v1, 0x3fb8aa3b, v52
	s_waitcnt lgkmcnt(0)
	v_mfma_f32_16x16x16_bf16 a[0:3], v[74:75], v[58:59], a[0:3]
	v_mfma_f32_16x16x16_bf16 a[4:7], v[74:75], v[62:63], a[4:7]
	;; [unrolled: 1-line block ×4, first 2 shown]
	ds_read_b64 v[74:75], v43
	ds_read_b64 v[76:77], v34 offset:6144
	ds_read_b64 v[88:89], v35 offset:6144
	;; [unrolled: 1-line block ×4, first 2 shown]
	v_exp_f32_e32 v34, v1
	v_mul_f32_e32 v1, 0x3fb8aa3b, v53
	v_exp_f32_e32 v35, v1
	v_mul_f32_e32 v1, 0x3fb8aa3b, v54
	;; [unrolled: 2-line block ×3, first 2 shown]
	v_exp_f32_e32 v37, v1
	s_waitcnt lgkmcnt(4)
	v_mfma_f32_16x16x16_bf16 a[0:3], v[74:75], v[60:61], a[0:3]
	v_pk_mul_f32 v[34:35], v[0:1], v[34:35] op_sel_hi:[0,1]
	v_pk_mul_f32 v[22:23], v[22:23], v[34:35]
	v_pk_mul_f32 v[36:37], v[0:1], v[36:37] op_sel_hi:[0,1]
	v_add_u32_e32 v1, v92, v79
	ds_read_b64 v[52:53], v1 offset:40960
	v_mfma_f32_16x16x16_bf16 a[12:15], v[74:75], v[72:73], a[12:15]
	v_add_u32_e32 v1, v93, v79
	v_pk_mul_f32 v[24:25], v[24:25], v[36:37]
	v_pk_mul_f32 v[26:27], v[34:35], v[26:27]
	v_mfma_f32_16x16x16_bf16 a[4:7], v[74:75], v[64:65], a[4:7]
	v_pk_mul_f32 v[28:29], v[36:37], v[28:29]
	v_pk_mul_f32 v[30:31], v[34:35], v[30:31]
	;; [unrolled: 1-line block ×3, first 2 shown]
	v_mfma_f32_16x16x16_bf16 a[8:11], v[74:75], v[68:69], a[8:11]
	v_add_u32_e32 v74, v95, v79
	s_waitcnt lgkmcnt(4)
	v_mfma_f32_16x16x16_bf16 a[0:3], v[56:57], v[76:77], a[0:3]
	s_waitcnt lgkmcnt(1)
	v_mfma_f32_16x16x16_bf16 a[12:15], v[56:57], v[42:43], a[12:15]
	v_mfma_f32_16x16x16_bf16 a[4:7], v[56:57], v[88:89], a[4:7]
	;; [unrolled: 1-line block ×3, first 2 shown]
	ds_read_b64 v[56:57], v1 offset:40960
	ds_read_b64 v[74:75], v74 offset:40960
	s_nop 0
	v_accvgpr_read_b32 v1, a0
	v_add_f32_e32 v22, v22, v1
	v_accvgpr_read_b32 v1, a1
	v_accvgpr_read_b32 v55, a15
	;; [unrolled: 1-line block ×3, first 2 shown]
	s_waitcnt lgkmcnt(2)
	v_mfma_f32_16x16x16_bf16 a[14:17], v[52:53], v[38:39], 0
	v_add_f32_e32 v23, v23, v1
	v_accvgpr_read_b32 v1, a2
	ds_read_b64 v[38:39], v94 offset:40960
	v_add_f32_e32 v24, v24, v1
	v_accvgpr_read_b32 v1, a3
	v_add_f32_e32 v25, v25, v1
	v_accvgpr_read_b32 v1, a4
	;; [unrolled: 2-line block ×4, first 2 shown]
	v_mfma_f32_16x16x16_bf16 a[18:21], v[52:53], v[40:41], 0
	v_add_f32_e32 v28, v28, v1
	v_accvgpr_read_b32 v1, a7
	v_add_f32_e32 v29, v29, v1
	s_waitcnt lgkmcnt(2)
	v_mfma_f32_16x16x16_bf16 a[14:17], v[56:57], v[58:59], a[14:17]
	v_accvgpr_read_b32 v1, a8
	v_add_f32_e32 v30, v30, v1
	v_accvgpr_read_b32 v1, a9
	v_add_f32_e32 v31, v31, v1
	v_accvgpr_read_b32 v1, a10
	v_accvgpr_read_b32 v41, a13
	v_mfma_f32_16x16x16_bf16 a[22:25], v[52:53], v[44:45], 0
	v_add_f32_e32 v32, v32, v1
	v_accvgpr_read_b32 v1, a11
	v_accvgpr_read_b32 v40, a12
	v_mfma_f32_16x16x16_bf16 a[0:3], v[52:53], v[46:47], 0
	v_add_f32_e32 v33, v33, v1
	v_pk_fma_f32 v[6:7], v[34:35], v[6:7], v[40:41]
	v_pk_fma_f32 v[8:9], v[36:37], v[8:9], v[54:55]
	v_mfma_f32_16x16x16_bf16 a[4:7], v[56:57], v[62:63], a[18:21]
	s_waitcnt vmcnt(0)
	v_mov_b32_e32 v34, v49
	v_mul_f32_e32 v1, 0x3fb8aa3b, v48
	v_mov_b32_e32 v35, v50
	s_waitcnt lgkmcnt(0)
	v_mfma_f32_16x16x16_bf16 a[8:11], v[38:39], v[60:61], a[14:17]
	v_exp_f32_e32 v40, v1
	v_mul_f32_e32 v1, 0x3fb8aa3b, v34
	v_mov_b32_e32 v36, v51
	v_exp_f32_e32 v41, v1
	v_mul_f32_e32 v1, 0x3fb8aa3b, v35
	v_mfma_f32_16x16x16_bf16 a[18:21], v[56:57], v[66:67], a[22:25]
	v_exp_f32_e32 v34, v1
	v_mul_f32_e32 v1, 0x3fb8aa3b, v36
	v_exp_f32_e32 v35, v1
	v_mfma_f32_16x16x16_bf16 a[0:3], v[56:57], v[70:71], a[0:3]
	v_pk_mul_f32 v[36:37], v[0:1], v[40:41] op_sel_hi:[0,1]
	v_pk_mul_f32 v[10:11], v[10:11], v[36:37]
	v_pk_mul_f32 v[0:1], v[0:1], v[34:35] op_sel_hi:[0,1]
	v_mfma_f32_16x16x16_bf16 a[4:7], v[38:39], v[64:65], a[4:7]
	v_pk_mul_f32 v[12:13], v[12:13], v[0:1]
	v_pk_mul_f32 v[14:15], v[36:37], v[14:15]
	v_pk_mul_f32 v[16:17], v[0:1], v[16:17]
	v_mfma_f32_16x16x16_bf16 a[8:11], v[74:75], v[76:77], a[8:11]
	v_pk_mul_f32 v[18:19], v[36:37], v[18:19]
	v_pk_mul_f32 v[20:21], v[0:1], v[20:21]
	v_mfma_f32_16x16x16_bf16 a[12:15], v[38:39], v[68:69], a[18:21]
	v_mfma_f32_16x16x16_bf16 a[0:3], v[38:39], v[72:73], a[0:3]
	s_nop 2
	v_accvgpr_read_b32 v38, a8
	v_add_f32_e32 v10, v10, v38
	v_accvgpr_read_b32 v38, a9
	v_mfma_f32_16x16x16_bf16 a[4:7], v[74:75], v[88:89], a[4:7]
	v_add_f32_e32 v11, v11, v38
	v_accvgpr_read_b32 v38, a10
	v_add_f32_e32 v12, v12, v38
	v_accvgpr_read_b32 v38, a11
	v_mfma_f32_16x16x16_bf16 a[12:15], v[74:75], v[90:91], a[12:15]
	v_add_f32_e32 v13, v13, v38
	s_nop 0
	v_accvgpr_read_b32 v38, a4
	v_add_f32_e32 v14, v14, v38
	v_accvgpr_read_b32 v38, a5
	v_add_f32_e32 v15, v15, v38
	;; [unrolled: 2-line block ×3, first 2 shown]
	v_accvgpr_read_b32 v38, a7
	v_mfma_f32_16x16x16_bf16 a[0:3], v[74:75], v[42:43], a[0:3]
	v_add_f32_e32 v17, v17, v38
	v_accvgpr_read_b32 v38, a12
	v_add_f32_e32 v18, v18, v38
	v_accvgpr_read_b32 v38, a13
	;; [unrolled: 2-line block ×5, first 2 shown]
	v_accvgpr_read_b32 v35, a3
	v_accvgpr_read_b32 v34, a2
	;; [unrolled: 1-line block ×3, first 2 shown]
	v_pk_fma_f32 v[2:3], v[36:37], v[2:3], v[38:39]
	v_pk_fma_f32 v[4:5], v[0:1], v[4:5], v[34:35]
.LBB194_99:
	s_add_u32 s0, s12, s14
	s_addc_u32 s1, s13, s15
	v_lshl_add_u64 v[0:1], v[80:81], 2, s[0:1]
	v_mov_b32_e32 v79, 0
	v_lshl_add_u64 v[0:1], v[0:1], 0, v[78:79]
	s_waitcnt vmcnt(7)
	global_store_dwordx4 v[0:1], v[22:25], off
	s_waitcnt vmcnt(7)
	global_store_dwordx4 v[0:1], v[10:13], off offset:256
	v_lshl_add_u64 v[0:1], v[82:83], 2, s[0:1]
	v_lshl_add_u64 v[0:1], v[0:1], 0, v[78:79]
	s_waitcnt vmcnt(7)
	global_store_dwordx4 v[0:1], v[26:29], off
	s_waitcnt vmcnt(7)
	global_store_dwordx4 v[0:1], v[14:17], off offset:256
	v_lshl_add_u64 v[0:1], v[86:87], 2, s[0:1]
	;; [unrolled: 6-line block ×3, first 2 shown]
	v_lshl_add_u64 v[0:1], v[0:1], 0, v[78:79]
	s_waitcnt vmcnt(7)
	global_store_dwordx4 v[0:1], v[6:9], off
	s_waitcnt vmcnt(7)
	global_store_dwordx4 v[0:1], v[2:5], off offset:256
	s_endpgm
	.section	.rodata,"a",@progbits
	.p2align	6, 0x0
	.amdhsa_kernel _ZN12_GLOBAL__N_139chunk_gated_delta_rule_fwd_h_hip_kernelILi64ELb1ELb1ELb0ELb1ELb0ELb1ELb1ELb0EEEvPK12hip_bfloat16S3_S3_PKfS5_PKvPS1_S8_PvPKiSB_iiiiilll
		.amdhsa_group_segment_fixed_size 65536
		.amdhsa_private_segment_fixed_size 0
		.amdhsa_kernarg_size 136
		.amdhsa_user_sgpr_count 2
		.amdhsa_user_sgpr_dispatch_ptr 0
		.amdhsa_user_sgpr_queue_ptr 0
		.amdhsa_user_sgpr_kernarg_segment_ptr 1
		.amdhsa_user_sgpr_dispatch_id 0
		.amdhsa_user_sgpr_kernarg_preload_length 0
		.amdhsa_user_sgpr_kernarg_preload_offset 0
		.amdhsa_user_sgpr_private_segment_size 0
		.amdhsa_uses_dynamic_stack 0
		.amdhsa_enable_private_segment 0
		.amdhsa_system_sgpr_workgroup_id_x 1
		.amdhsa_system_sgpr_workgroup_id_y 1
		.amdhsa_system_sgpr_workgroup_id_z 0
		.amdhsa_system_sgpr_workgroup_info 0
		.amdhsa_system_vgpr_workitem_id 0
		.amdhsa_next_free_vgpr 240
		.amdhsa_next_free_sgpr 67
		.amdhsa_accum_offset 200
		.amdhsa_reserve_vcc 1
		.amdhsa_float_round_mode_32 0
		.amdhsa_float_round_mode_16_64 0
		.amdhsa_float_denorm_mode_32 3
		.amdhsa_float_denorm_mode_16_64 3
		.amdhsa_dx10_clamp 1
		.amdhsa_ieee_mode 1
		.amdhsa_fp16_overflow 0
		.amdhsa_tg_split 0
		.amdhsa_exception_fp_ieee_invalid_op 0
		.amdhsa_exception_fp_denorm_src 0
		.amdhsa_exception_fp_ieee_div_zero 0
		.amdhsa_exception_fp_ieee_overflow 0
		.amdhsa_exception_fp_ieee_underflow 0
		.amdhsa_exception_fp_ieee_inexact 0
		.amdhsa_exception_int_div_zero 0
	.end_amdhsa_kernel
	.section	.text._ZN12_GLOBAL__N_139chunk_gated_delta_rule_fwd_h_hip_kernelILi64ELb1ELb1ELb0ELb1ELb0ELb1ELb1ELb0EEEvPK12hip_bfloat16S3_S3_PKfS5_PKvPS1_S8_PvPKiSB_iiiiilll,"axG",@progbits,_ZN12_GLOBAL__N_139chunk_gated_delta_rule_fwd_h_hip_kernelILi64ELb1ELb1ELb0ELb1ELb0ELb1ELb1ELb0EEEvPK12hip_bfloat16S3_S3_PKfS5_PKvPS1_S8_PvPKiSB_iiiiilll,comdat
.Lfunc_end194:
	.size	_ZN12_GLOBAL__N_139chunk_gated_delta_rule_fwd_h_hip_kernelILi64ELb1ELb1ELb0ELb1ELb0ELb1ELb1ELb0EEEvPK12hip_bfloat16S3_S3_PKfS5_PKvPS1_S8_PvPKiSB_iiiiilll, .Lfunc_end194-_ZN12_GLOBAL__N_139chunk_gated_delta_rule_fwd_h_hip_kernelILi64ELb1ELb1ELb0ELb1ELb0ELb1ELb1ELb0EEEvPK12hip_bfloat16S3_S3_PKfS5_PKvPS1_S8_PvPKiSB_iiiiilll
                                        ; -- End function
	.section	.AMDGPU.csdata,"",@progbits
; Kernel info:
; codeLenInByte = 12552
; NumSgprs: 73
; NumVgprs: 198
; NumAgprs: 40
; TotalNumVgprs: 240
; ScratchSize: 0
; MemoryBound: 0
; FloatMode: 240
; IeeeMode: 1
; LDSByteSize: 65536 bytes/workgroup (compile time only)
; SGPRBlocks: 9
; VGPRBlocks: 29
; NumSGPRsForWavesPerEU: 73
; NumVGPRsForWavesPerEU: 240
; AccumOffset: 200
; Occupancy: 1
; WaveLimiterHint : 1
; COMPUTE_PGM_RSRC2:SCRATCH_EN: 0
; COMPUTE_PGM_RSRC2:USER_SGPR: 2
; COMPUTE_PGM_RSRC2:TRAP_HANDLER: 0
; COMPUTE_PGM_RSRC2:TGID_X_EN: 1
; COMPUTE_PGM_RSRC2:TGID_Y_EN: 1
; COMPUTE_PGM_RSRC2:TGID_Z_EN: 0
; COMPUTE_PGM_RSRC2:TIDIG_COMP_CNT: 0
; COMPUTE_PGM_RSRC3_GFX90A:ACCUM_OFFSET: 49
; COMPUTE_PGM_RSRC3_GFX90A:TG_SPLIT: 0
	.section	.text._ZN12_GLOBAL__N_139chunk_gated_delta_rule_fwd_h_hip_kernelILi64ELb1ELb0ELb1ELb1ELb0ELb1ELb1ELb0EEEvPK12hip_bfloat16S3_S3_PKfS5_PKvPS1_S8_PvPKiSB_iiiiilll,"axG",@progbits,_ZN12_GLOBAL__N_139chunk_gated_delta_rule_fwd_h_hip_kernelILi64ELb1ELb0ELb1ELb1ELb0ELb1ELb1ELb0EEEvPK12hip_bfloat16S3_S3_PKfS5_PKvPS1_S8_PvPKiSB_iiiiilll,comdat
	.globl	_ZN12_GLOBAL__N_139chunk_gated_delta_rule_fwd_h_hip_kernelILi64ELb1ELb0ELb1ELb1ELb0ELb1ELb1ELb0EEEvPK12hip_bfloat16S3_S3_PKfS5_PKvPS1_S8_PvPKiSB_iiiiilll ; -- Begin function _ZN12_GLOBAL__N_139chunk_gated_delta_rule_fwd_h_hip_kernelILi64ELb1ELb0ELb1ELb1ELb0ELb1ELb1ELb0EEEvPK12hip_bfloat16S3_S3_PKfS5_PKvPS1_S8_PvPKiSB_iiiiilll
	.p2align	8
	.type	_ZN12_GLOBAL__N_139chunk_gated_delta_rule_fwd_h_hip_kernelILi64ELb1ELb0ELb1ELb1ELb0ELb1ELb1ELb0EEEvPK12hip_bfloat16S3_S3_PKfS5_PKvPS1_S8_PvPKiSB_iiiiilll,@function
_ZN12_GLOBAL__N_139chunk_gated_delta_rule_fwd_h_hip_kernelILi64ELb1ELb0ELb1ELb1ELb0ELb1ELb1ELb0EEEvPK12hip_bfloat16S3_S3_PKfS5_PKvPS1_S8_PvPKiSB_iiiiilll: ; @_ZN12_GLOBAL__N_139chunk_gated_delta_rule_fwd_h_hip_kernelILi64ELb1ELb0ELb1ELb1ELb0ELb1ELb1ELb0EEEvPK12hip_bfloat16S3_S3_PKfS5_PKvPS1_S8_PvPKiSB_iiiiilll
; %bb.0:
	s_load_dwordx4 s[12:15], s[0:1], 0x5c
	s_load_dwordx4 s[4:7], s[0:1], 0x48
	s_abs_i32 s9, s3
	s_ashr_i32 s8, s3, 31
	v_and_b32_e32 v90, 15, v0
	s_waitcnt lgkmcnt(0)
	s_abs_i32 s10, s13
	v_cvt_f32_u32_e32 v1, s10
	s_sub_i32 s16, 0, s10
	s_ashr_i32 s11, s13, 31
	s_xor_b32 s8, s8, s11
	v_rcp_iflag_f32_e32 v1, v1
	v_lshrrev_b32_e32 v88, 6, v0
	v_bfe_u32 v89, v0, 4, 2
	v_mov_b32_e32 v11, 0
	v_mul_f32_e32 v1, 0x4f7ffffe, v1
	v_cvt_u32_f32_e32 v1, v1
	v_and_b32_e32 v77, 63, v0
	v_lshrrev_b32_e32 v92, 3, v77
	v_lshlrev_b32_e32 v91, 3, v0
	v_readfirstlane_b32 s17, v1
	s_mul_i32 s16, s16, s17
	s_mul_hi_u32 s16, s17, s16
	s_add_i32 s17, s17, s16
	s_mul_hi_u32 s16, s9, s17
	s_mul_i32 s17, s16, s10
	s_sub_i32 s9, s9, s17
	s_add_i32 s18, s16, 1
	s_sub_i32 s17, s9, s10
	s_cmp_ge_u32 s9, s10
	s_cselect_b32 s16, s18, s16
	s_cselect_b32 s9, s17, s9
	s_add_i32 s17, s16, 1
	s_cmp_ge_u32 s9, s10
	s_cselect_b32 s9, s17, s16
	s_xor_b32 s9, s9, s8
	s_sub_i32 s20, s9, s8
	s_mul_i32 s24, s20, s13
	s_ashr_i32 s21, s20, 31
	s_sub_i32 s49, s3, s24
	s_lshl_b64 s[8:9], s[20:21], 2
	s_add_u32 s4, s4, s8
	s_addc_u32 s5, s5, s9
	s_add_u32 s22, s6, s8
	s_addc_u32 s23, s7, s9
	s_abs_i32 s3, s14
	v_cvt_f32_u32_e32 v1, s3
	s_load_dwordx2 s[34:35], s[4:5], 0x0
	s_lshl_b32 s40, s2, 6
	s_ashr_i32 s2, s14, 31
	v_rcp_iflag_f32_e32 v1, v1
	s_xor_b32 s2, s11, s2
	s_waitcnt lgkmcnt(0)
	s_sub_i32 s52, s35, s34
	s_ashr_i32 s4, s52, 31
	v_mul_f32_e32 v1, 0x4f7ffffe, v1
	v_cvt_u32_f32_e32 v1, v1
	s_lshr_b32 s4, s4, 26
	s_add_i32 s4, s52, s4
	s_ashr_i32 s51, s4, 6
	s_sub_i32 s4, 0, s3
	v_readfirstlane_b32 s5, v1
	s_mul_i32 s4, s4, s5
	s_mul_hi_u32 s4, s5, s4
	s_add_i32 s5, s5, s4
	s_mul_hi_u32 s4, s10, s5
	s_mul_i32 s5, s4, s3
	s_sub_i32 s5, s10, s5
	s_add_i32 s6, s4, 1
	s_sub_i32 s7, s5, s3
	s_cmp_ge_u32 s5, s3
	s_cselect_b32 s4, s6, s4
	s_cselect_b32 s5, s7, s5
	s_add_i32 s6, s4, 1
	s_cmp_ge_u32 s5, s3
	s_cselect_b32 s3, s6, s4
	s_xor_b32 s3, s3, s2
	s_sub_i32 s2, s3, s2
	s_abs_i32 s3, s2
	v_cvt_f32_u32_e32 v1, s3
	s_sub_i32 s5, 0, s3
	s_abs_i32 s4, s49
	s_xor_b32 s2, s49, s2
	v_rcp_iflag_f32_e32 v1, v1
	s_ashr_i32 s2, s2, 31
	s_load_dwordx4 s[16:19], s[0:1], 0x28
	s_load_dwordx2 s[28:29], s[0:1], 0x38
	v_or_b32_e32 v78, s40, v90
	v_mul_f32_e32 v1, 0x4f7ffffe, v1
	v_cvt_u32_f32_e32 v1, v1
	v_lshlrev_b32_e32 v2, 7, v78
	v_ashrrev_i32_e32 v3, 31, v2
	s_mul_hi_i32 s55, s49, s12
	v_readfirstlane_b32 s6, v1
	s_mul_i32 s5, s5, s6
	s_mul_hi_u32 s5, s6, s5
	s_add_i32 s6, s6, s5
	s_mul_hi_u32 s5, s4, s6
	s_mul_i32 s6, s5, s3
	s_sub_i32 s4, s4, s6
	s_add_i32 s6, s5, 1
	s_sub_i32 s7, s4, s3
	s_cmp_ge_u32 s4, s3
	s_cselect_b32 s5, s6, s5
	s_cselect_b32 s4, s7, s4
	s_add_i32 s6, s5, 1
	s_cmp_ge_u32 s4, s3
	s_cselect_b32 s3, s6, s5
	s_xor_b32 s3, s3, s2
	s_sub_i32 s53, s3, s2
	s_ashr_i32 s50, s49, 31
	s_mul_hi_i32 s3, s20, s13
	s_add_u32 s2, s24, s49
	s_addc_u32 s3, s3, s50
	s_lshl_b64 s[2:3], s[2:3], 16
	v_lshlrev_b32_e32 v1, 4, v88
	s_waitcnt lgkmcnt(0)
	s_add_u32 s2, s16, s2
	v_lshl_or_b32 v93, v89, 2, v1
	s_addc_u32 s3, s17, s3
	v_lshl_add_u64 v[4:5], v[2:3], 2, s[2:3]
	v_lshlrev_b32_e32 v10, 2, v93
	v_lshl_add_u64 v[4:5], v[4:5], 0, v[10:11]
	global_load_dwordx4 v[22:25], v[4:5], off
	global_load_dwordx4 v[30:33], v[4:5], off offset:256
	v_or_b32_e32 v4, 0x800, v2
	v_ashrrev_i32_e32 v5, 31, v4
	v_lshl_add_u64 v[4:5], v[4:5], 2, s[2:3]
	v_lshl_add_u64 v[4:5], v[4:5], 0, v[10:11]
	global_load_dwordx4 v[14:17], v[4:5], off
	global_load_dwordx4 v[26:29], v[4:5], off offset:256
	v_or_b32_e32 v4, 0x1000, v2
	v_or_b32_e32 v2, 0x1800, v2
	v_ashrrev_i32_e32 v5, 31, v4
	v_ashrrev_i32_e32 v3, 31, v2
	v_lshl_add_u64 v[4:5], v[4:5], 2, s[2:3]
	v_lshl_add_u64 v[2:3], v[2:3], 2, s[2:3]
	v_lshl_add_u64 v[4:5], v[4:5], 0, v[10:11]
	v_lshl_add_u64 v[34:35], v[2:3], 0, v[10:11]
	global_load_dwordx4 v[6:9], v[4:5], off
	global_load_dwordx4 v[18:21], v[4:5], off offset:256
	s_nop 0
	global_load_dwordx4 v[2:5], v[34:35], off
	global_load_dwordx4 v[10:13], v[34:35], off offset:256
	s_load_dwordx8 s[4:11], s[0:1], 0x0
	s_load_dwordx2 s[30:31], s[0:1], 0x80
	s_load_dwordx4 s[24:27], s[0:1], 0x70
	s_load_dword s54, s[22:23], 0x0
	v_or_b32_e32 v94, 64, v93
	s_cmp_lt_i32 s52, 64
	s_mul_i32 s56, s49, s12
	s_waitcnt lgkmcnt(0)
	s_mul_i32 s33, s20, s25
	s_mul_hi_u32 s45, s20, s24
	s_mul_i32 s44, s21, s24
	s_mul_i32 s38, s20, s24
	;; [unrolled: 1-line block ×3, first 2 shown]
	s_mul_hi_u32 s47, s49, s26
	s_mul_i32 s48, s50, s26
	s_mul_i32 s36, s49, s26
	s_cbranch_scc1 .LBB195_18
; %bb.1:
	s_ashr_i32 s3, s34, 31
	s_add_u32 s2, s56, s34
	s_addc_u32 s3, s55, s3
	s_lshl_b64 s[2:3], s[2:3], 8
	v_and_b32_e32 v96, 56, v91
	s_add_u32 s20, s6, s2
	v_lshl_or_b32 v95, v88, 3, v92
	v_lshlrev_b32_e32 v34, 1, v96
	s_addc_u32 s2, s7, s3
	v_lshl_or_b32 v97, v95, 8, v34
	s_and_b32 s21, s2, 0xffff
	s_mov_b32 s23, 0x20000
	s_movk_i32 s22, 0x4000
	s_movk_i32 s2, 0x80
	v_or_b32_e32 v98, 0x2000, v97
	buffer_load_dwordx4 v[36:39], v97, s[20:23], 0 offen
	buffer_load_dwordx4 v[40:43], v97, s[20:23], s2 offen
	;; [unrolled: 1-line block ×4, first 2 shown]
	v_lshlrev_b32_e32 v35, 3, v95
	v_and_or_b32 v53, v0, 7, v35
	v_and_b32_e32 v35, 0x78, v35
	v_lshlrev_b32_e32 v53, 4, v53
	v_xor_b32_e32 v99, v53, v35
	v_mul_lo_u32 v52, v95, s15
	v_or_b32_e32 v100, 0x1000, v99
	v_xor_b32_e32 v35, 8, v99
	s_cmpk_eq_i32 s15, 0x80
	s_mov_b32 s57, s34
	v_xor_b32_e32 v53, 8, v100
	s_cselect_b64 s[2:3], -1, 0
	s_cmpk_lg_i32 s15, 0x80
	s_waitcnt vmcnt(3)
	ds_write_b64 v99, v[36:37] offset:49152
	ds_write_b64 v35, v[38:39] offset:49152
	s_waitcnt vmcnt(2)
	ds_write_b64 v99, v[40:41] offset:57344
	ds_write_b64 v35, v[42:43] offset:57344
	;; [unrolled: 3-line block ×4, first 2 shown]
	v_lshl_add_u32 v35, v52, 1, v96
	s_cbranch_scc0 .LBB195_3
; %bb.2:
	v_lshlrev_b32_e32 v37, 1, v35
	v_add_lshl_u32 v36, v35, s15, 1
	s_lshl_b32 s22, s15, 7
	s_load_dwordx2 s[16:17], s[0:1], 0x20
	v_lshl_or_b32 v34, v95, 9, v34
	s_cbranch_execz .LBB195_4
	s_branch .LBB195_5
.LBB195_3:
                                        ; implicit-def: $vgpr36
                                        ; implicit-def: $vgpr37
                                        ; implicit-def: $sgpr22
	s_load_dwordx2 s[16:17], s[0:1], 0x20
	v_lshl_or_b32 v34, v95, 9, v34
.LBB195_4:
	v_or_b32_e32 v36, 0x100, v34
	s_movk_i32 s22, 0x4000
	v_mov_b32_e32 v37, v34
.LBB195_5:
	s_mul_i32 s0, s34, s14
	s_ashr_i32 s58, s53, 31
	s_mul_hi_i32 s1, s34, s14
	s_add_u32 s0, s0, s53
	s_addc_u32 s1, s1, s58
	s_lshl_b64 s[0:1], s[0:1], 8
	s_add_u32 s20, s4, s0
	s_addc_u32 s0, s5, s1
	s_and_b32 s21, s0, 0xffff
	s_movk_i32 s59, 0x80
	buffer_load_dwordx4 v[38:41], v37, s[20:23], 0 offen
	buffer_load_dwordx4 v[42:45], v37, s[20:23], s59 offen
	buffer_load_dwordx4 v[46:49], v36, s[20:23], 0 offen
	buffer_load_dwordx4 v[50:53], v36, s[20:23], s59 offen
	v_and_b32_e32 v37, 6, v0
	v_lshlrev_b32_e32 v36, 7, v93
	v_xor_b32_e32 v59, v95, v37
	v_and_b32_e32 v54, 1, v0
	v_lshl_or_b32 v62, v90, 3, v36
	v_lshlrev_b32_e32 v59, 2, v59
	v_lshlrev_b32_e32 v55, 2, v90
	v_or_b32_e32 v101, 0x4000, v62
	v_or_b32_e32 v102, 0x6000, v62
	v_xor_b32_e32 v62, 0x440, v59
	v_cmp_eq_u32_e32 vcc, 0, v54
	v_or_b32_e32 v57, 16, v90
	v_or_b32_e32 v58, 32, v90
	v_xor_b32_e32 v60, v93, v55
	v_xor_b32_e32 v61, v94, v55
	v_cndmask_b32_e32 v54, v62, v59, vcc
	s_mov_b32 s60, 0x1000504
	v_lshl_or_b32 v63, v57, 3, v36
	v_lshlrev_b32_e32 v57, 8, v57
	v_lshl_or_b32 v64, v58, 3, v36
	v_lshlrev_b32_e32 v60, 1, v60
	v_lshlrev_b32_e32 v61, 1, v61
	v_lshl_or_b32 v37, v37, 10, v54
	s_add_i32 s0, s45, s33
	s_mov_b32 s61, 0x3020706
	v_lshlrev_b32_e32 v56, 8, v90
	v_or_b32_e32 v105, 0x4000, v64
	v_or_b32_e32 v106, 0x6000, v64
	;; [unrolled: 1-line block ×4, first 2 shown]
	v_xor_b32_e32 v54, 8, v37
	v_xor_b32_e32 v57, 24, v37
	;; [unrolled: 1-line block ×4, first 2 shown]
	s_add_i32 s39, s0, s44
	s_add_i32 s0, s47, s46
	v_or_b32_e32 v103, 0x4000, v63
	v_or_b32_e32 v104, 0x6000, v63
	;; [unrolled: 1-line block ×4, first 2 shown]
	v_xor_b32_e32 v56, 16, v37
	v_xor_b32_e32 v59, 32, v37
	;; [unrolled: 1-line block ×3, first 2 shown]
	v_add_u32_e32 v54, 0x80, v54
	v_add_u32_e32 v57, 0x80, v57
	;; [unrolled: 1-line block ×4, first 2 shown]
	s_add_i32 s37, s0, s48
	s_lshl_b64 s[0:1], s[38:39], 2
	s_add_u32 s20, s10, s0
	s_addc_u32 s21, s11, s1
	s_lshl_b64 s[0:1], s[36:37], 2
	s_add_u32 s42, s20, s0
	s_movk_i32 s0, 0xf8
	s_addc_u32 s43, s21, s1
	s_ashr_i32 s41, s40, 31
	s_lshl_b32 s26, s15, 7
	v_mov_b32_e32 v81, 0
	s_movk_i32 s20, 0x100
	v_lshlrev_b32_e32 v80, 4, v90
	v_ashrrev_i32_e32 v79, 31, v78
	v_lshlrev_b32_e32 v58, 8, v58
	s_mov_b32 s62, 0
	s_movk_i32 s22, 0x4000
	v_or_b32_e32 v111, v58, v60
	v_or_b32_e32 v112, v58, v61
	s_mov_b32 s37, 0x7060302
	s_movk_i32 s39, 0x2000
	v_mov_b32_e32 v146, 0x3fb8aa3b
	s_waitcnt vmcnt(1)
	v_perm_b32 v65, v38, v46, s60
	s_waitcnt vmcnt(0)
	v_perm_b32 v66, v42, v50, s60
	v_perm_b32 v38, v38, v46, s61
	;; [unrolled: 1-line block ×15, first 2 shown]
	ds_write2st64_b32 v37, v65, v66 offset0:128 offset1:160
	ds_write2st64_b32 v54, v38, v42 offset0:128 offset1:160
	ds_write2st64_b32 v56, v46, v50 offset0:129 offset1:161
	ds_write2st64_b32 v57, v39, v43 offset0:129 offset1:161
	ds_write2st64_b32 v59, v47, v51 offset0:130 offset1:162
	ds_write2st64_b32 v62, v40, v44 offset0:130 offset1:162
	ds_write2st64_b32 v63, v48, v52 offset0:131 offset1:163
	ds_write2st64_b32 v64, v41, v45 offset0:131 offset1:163
	v_or_b32_e32 v37, 48, v90
	v_lshl_or_b32 v38, v37, 3, v36
	v_lshlrev_b32_e32 v37, 8, v37
	v_or_b32_e32 v115, v37, v60
	v_or_b32_e32 v116, v37, v61
	;; [unrolled: 1-line block ×3, first 2 shown]
	v_lshlrev_b32_e32 v37, 3, v37
	v_lshrrev_b32_e32 v39, 5, v77
	v_and_or_b32 v39, v37, s0, v39
	v_lshlrev_b32_e32 v39, 4, v39
	v_or_b32_e32 v113, 0x4000, v38
	v_or_b32_e32 v114, 0x6000, v38
	v_lshrrev_b32_e32 v38, 2, v77
	v_lshlrev_b32_e32 v41, 11, v88
	v_and_b32_e32 v37, 0x78, v37
	v_or_b32_e32 v45, 32, v39
	v_and_b32_e32 v40, 12, v38
	v_and_b32_e32 v38, 0x1000, v41
	v_xor_b32_e32 v42, v39, v37
	v_lshrrev_b32_e32 v43, 1, v77
	v_xor_b32_e32 v45, v45, v37
	v_or_b32_e32 v42, v42, v38
	v_and_b32_e32 v43, 8, v43
	v_or_b32_e32 v45, v45, v38
	v_xor_b32_e32 v117, v42, v43
	v_lshlrev_b32_e32 v42, 8, v89
	v_xor_b32_e32 v119, v45, v43
	v_or_b32_e32 v45, 64, v39
	v_or_b32_e32 v39, 0x60, v39
	;; [unrolled: 1-line block ×3, first 2 shown]
	v_xor_b32_e32 v45, v45, v37
	v_xor_b32_e32 v37, v39, v37
	s_lshl_b64 s[0:1], s[40:41], 8
	v_lshlrev_b32_e32 v44, 1, v44
	v_or_b32_e32 v45, v45, v38
	v_or_b32_e32 v37, v37, v38
	s_add_u32 s0, s18, s0
	v_lshlrev_b32_e32 v38, 1, v90
	v_lshlrev_b32_e32 v47, 2, v0
	v_or_b32_e32 v118, 0x4000, v44
	v_or_b32_e32 v120, 0x4080, v44
	;; [unrolled: 1-line block ×4, first 2 shown]
	v_xor_b32_e32 v123, v45, v43
	v_xor_b32_e32 v124, v37, v43
	v_or_b32_e32 v125, 0x6000, v44
	v_or_b32_e32 v126, 0x6080, v44
	v_or_b32_e32 v127, 0x6100, v44
	v_or_b32_e32 v128, 0x6180, v44
	v_lshlrev_b32_e32 v37, 1, v35
	v_add_lshl_u32 v35, v35, s15, 1
	v_or_b32_e32 v43, 0x100, v34
	v_lshrrev_b32_e32 v44, 4, v0
	s_addc_u32 s1, s19, s1
	v_or_b32_e32 v39, 1, v38
	v_lshrrev_b32_e32 v48, 1, v0
	v_and_or_b32 v42, v47, 60, v42
	v_xor_b32_e32 v45, v44, v38
	v_xor_b32_e32 v46, v39, v44
	v_lshl_add_u64 v[38:39], s[0:1], 0, v[80:81]
	v_and_b32_e32 v48, 24, v48
	v_lshlrev_b32_e32 v42, 1, v42
	v_cndmask_b32_e64 v135, v37, v34, s[2:3]
	v_cndmask_b32_e64 v136, v35, v43, s[2:3]
	v_mov_b32_e32 v35, 0xa000
	v_mov_b32_e32 v37, 0x8000
	v_cmp_gt_u32_e64 s[0:1], s20, v0
	v_lshlrev_b32_e32 v80, 8, v44
	v_or_b32_e32 v131, 0x6000, v42
	v_or_b32_e32 v47, 32, v48
	;; [unrolled: 1-line block ×6, first 2 shown]
	v_cndmask_b32_e64 v35, v35, v37, s[0:1]
	v_lshlrev_b32_e32 v37, 3, v88
	v_lshl_or_b32 v129, v45, 3, v80
	v_and_b32_e32 v45, 8, v0
	v_xor_b32_e32 v43, v37, v48
	v_xor_b32_e32 v47, v37, v47
	;; [unrolled: 1-line block ×3, first 2 shown]
	v_mov_b32_e32 v49, 0x400
	v_cmp_eq_u32_e32 vcc, 0, v45
	v_or_b32_e32 v48, 0x440, v43
	v_or_b32_e32 v50, 0x440, v47
	v_xor_b32_e32 v42, 0x440, v37
	v_and_b32_e32 v44, 7, v0
	v_cndmask_b32_e64 v45, v49, 64, vcc
	v_cndmask_b32_e32 v48, v48, v43, vcc
	v_cndmask_b32_e32 v47, v50, v47, vcc
	;; [unrolled: 1-line block ×3, first 2 shown]
	v_lshl_or_b32 v130, v46, 3, v80
	v_lshlrev_b32_e32 v46, 3, v44
	v_or_b32_e32 v48, v48, v41
	v_or_b32_e32 v47, v47, v41
	v_or3_b32 v43, v41, v45, v43
	v_or_b32_e32 v37, v37, v41
	v_lshlrev_b32_e32 v44, 7, v44
	v_xor_b32_e32 v48, v48, v46
	v_xor_b32_e32 v47, v47, v46
	;; [unrolled: 1-line block ×4, first 2 shown]
	v_or_b32_e32 v34, v1, v40
	v_add_u32_e32 v49, v35, v48
	v_add_u32_e32 v50, v35, v47
	v_or_b32_e32 v137, v43, v44
	v_add_u32_e32 v41, v35, v37
	v_or3_b32 v40, v1, v40, 64
	v_add_u32_e32 v45, 0xa000, v48
	v_add_u32_e32 v46, 0xa000, v47
	;; [unrolled: 1-line block ×3, first 2 shown]
	v_lshlrev_b64 v[42:43], 1, v[78:79]
	v_lshl_add_u64 v[82:83], s[8:9], 0, v[42:43]
	v_lshl_add_u64 v[84:85], s[28:29], 0, v[42:43]
	;; [unrolled: 1-line block ×3, first 2 shown]
	v_lshlrev_b32_e32 v80, 1, v36
	s_movk_i32 s41, 0x3000
	v_lshlrev_b32_e32 v79, 2, v34
	v_add_u32_e32 v138, v49, v44
	v_add_u32_e32 v139, v50, v44
	;; [unrolled: 1-line block ×4, first 2 shown]
	v_lshlrev_b32_e32 v142, 2, v40
	v_add_u32_e32 v143, v45, v44
	v_add_u32_e32 v144, v46, v44
	;; [unrolled: 1-line block ×3, first 2 shown]
	s_waitcnt lgkmcnt(0)
	s_barrier
.LBB195_6:                              ; =>This Inner Loop Header: Depth=1
	s_add_i32 s63, s62, 1
	s_cmp_lt_i32 s63, s51
	s_mov_b64 s[24:25], 0
	s_cselect_b64 s[2:3], -1, 0
	s_cmp_ge_i32 s63, s51
	s_mov_b64 s[20:21], 0
	s_cbranch_scc1 .LBB195_8
; %bb.7:                                ;   in Loop: Header=BB195_6 Depth=1
	s_add_i32 s0, s57, 64
	s_ashr_i32 s1, s0, 31
	s_add_u32 s0, s56, s0
	s_addc_u32 s1, s55, s1
	s_lshl_b64 s[0:1], s[0:1], 8
	s_add_u32 s20, s6, s0
	s_addc_u32 s21, s7, s1
.LBB195_8:                              ;   in Loop: Header=BB195_6 Depth=1
	v_cndmask_b32_e64 v34, 0, 1, s[2:3]
	v_cmp_ne_u32_e64 s[0:1], 1, v34
	s_andn2_b64 vcc, exec, s[2:3]
	s_cbranch_vccnz .LBB195_10
; %bb.9:                                ;   in Loop: Header=BB195_6 Depth=1
	s_add_i32 s2, s57, 64
	s_mul_hi_i32 s3, s2, s14
	s_mul_i32 s2, s2, s14
	s_add_u32 s2, s2, s53
	s_addc_u32 s3, s3, s58
	s_lshl_b64 s[2:3], s[2:3], 8
	s_add_u32 s24, s4, s2
	s_addc_u32 s25, s5, s3
.LBB195_10:                             ;   in Loop: Header=BB195_6 Depth=1
	v_perm_b32 v35, v25, v24, s37
	v_perm_b32 v34, v23, v22, s37
	v_perm_b32 v37, v33, v32, s37
	v_perm_b32 v36, v31, v30, s37
	ds_write_b64 v101, v[34:35]
	ds_write_b64 v102, v[36:37]
	ds_write_b64 v107, v[34:35]
	ds_write_b64 v108, v[36:37]
	v_perm_b32 v35, v17, v16, s37
	v_perm_b32 v34, v15, v14, s37
	v_perm_b32 v37, v29, v28, s37
	v_perm_b32 v36, v27, v26, s37
	ds_write_b64 v103, v[34:35]
	ds_write_b64 v104, v[36:37]
	ds_write_b64 v109, v[34:35]
	ds_write_b64 v110, v[36:37]
	v_perm_b32 v35, v9, v8, s37
	v_perm_b32 v34, v7, v6, s37
	v_perm_b32 v37, v21, v20, s37
	v_perm_b32 v36, v19, v18, s37
	ds_write_b64 v105, v[34:35]
	ds_write_b64 v106, v[36:37]
	ds_write_b64 v111, v[34:35]
	ds_write_b64 v112, v[36:37]
	v_perm_b32 v35, v5, v4, s37
	v_perm_b32 v34, v3, v2, s37
	v_perm_b32 v37, v13, v12, s37
	v_perm_b32 v36, v11, v10, s37
	ds_write_b64 v113, v[34:35]
	ds_write_b64 v114, v[36:37]
	ds_write_b64 v115, v[34:35]
	ds_write_b64 v116, v[36:37]
	s_waitcnt lgkmcnt(0)
	s_barrier
	ds_read_b64 v[38:39], v117 offset:49152
	ds_read2_b64 v[34:37], v118 offset1:16
	ds_read_b64 v[50:51], v120 offset:6144
	ds_read_b64 v[52:53], v118 offset:6144
	s_waitcnt lgkmcnt(2)
	v_mfma_f32_16x16x16_bf16 a[0:3], v[38:39], v[34:35], 0
	ds_read_b64 v[54:55], v119 offset:49152
	ds_read2st64_b64 v[42:45], v121 offset0:4 offset1:8
	ds_read2st64_b64 v[46:49], v122 offset0:4 offset1:8
	v_mfma_f32_16x16x16_bf16 a[4:7], v[38:39], v[36:37], 0
	ds_read2_b64 v[34:37], v118 offset0:32 offset1:48
	s_add_i32 s64, s57, 63
	s_ashr_i32 s2, s64, 31
	s_waitcnt lgkmcnt(0)
	v_mfma_f32_16x16x16_bf16 a[8:11], v[38:39], v[34:35], 0
	s_mul_i32 s3, s64, s31
	s_mul_hi_u32 s27, s64, s30
	s_add_i32 s3, s27, s3
	v_mfma_f32_16x16x16_bf16 a[12:15], v[38:39], v[36:37], 0
	ds_read2st64_b64 v[34:37], v118 offset0:4 offset1:8
	ds_read2st64_b64 v[38:41], v120 offset0:4 offset1:8
	s_mul_i32 s2, s2, s30
	s_waitcnt lgkmcnt(1)
	v_mfma_f32_16x16x16_bf16 a[0:3], v[54:55], v[34:35], a[0:3]
	s_add_i32 s3, s3, s2
	s_mul_i32 s2, s64, s30
	s_lshl_b64 s[2:3], s[2:3], 2
	s_waitcnt lgkmcnt(0)
	v_mfma_f32_16x16x16_bf16 a[4:7], v[54:55], v[38:39], a[4:7]
	s_add_u32 s2, s42, s2
	s_addc_u32 s3, s43, s3
	s_and_b64 vcc, exec, s[0:1]
	v_mfma_f32_16x16x16_bf16 a[8:11], v[54:55], v[42:43], a[8:11]
	ds_read_b64 v[34:35], v123 offset:49152
	ds_read_b64 v[38:39], v124 offset:49152
	;; [unrolled: 1-line block ×3, first 2 shown]
	v_mov_b32_e32 v149, 0
	v_mov_b32_e32 v148, 0
	v_mfma_f32_16x16x16_bf16 a[12:15], v[54:55], v[46:47], a[12:15]
	v_mov_b32_e32 v147, 0
	v_mov_b32_e32 v46, 0
	;; [unrolled: 1-line block ×3, first 2 shown]
	s_waitcnt lgkmcnt(2)
	v_mfma_f32_16x16x16_bf16 a[0:3], v[34:35], v[36:37], a[0:3]
	v_mov_b32_e32 v36, 0
	v_mov_b32_e32 v37, 0
	v_mfma_f32_16x16x16_bf16 a[4:7], v[34:35], v[40:41], a[4:7]
	v_mov_b32_e32 v40, 0
	v_mov_b32_e32 v41, 0
	;; [unrolled: 3-line block ×3, first 2 shown]
	v_mfma_f32_16x16x16_bf16 a[12:15], v[34:35], v[48:49], a[12:15]
	ds_read_b64 v[34:35], v121 offset:6144
	v_mov_b32_e32 v48, 0
	v_mov_b32_e32 v49, 0
	s_waitcnt lgkmcnt(2)
	v_mfma_f32_16x16x16_bf16 a[0:3], v[38:39], v[52:53], a[0:3]
	v_mfma_f32_16x16x16_bf16 a[4:7], v[38:39], v[50:51], a[4:7]
	s_waitcnt lgkmcnt(0)
	v_mfma_f32_16x16x16_bf16 a[8:11], v[38:39], v[34:35], a[8:11]
	v_mov_b32_e32 v34, 0
	v_mov_b32_e32 v35, 0
	v_mfma_f32_16x16x16_bf16 a[12:15], v[38:39], v[42:43], a[12:15]
	v_mov_b32_e32 v38, 0
	v_mov_b32_e32 v39, 0
	;; [unrolled: 1-line block ×4, first 2 shown]
	s_cbranch_vccnz .LBB195_12
; %bb.11:                               ;   in Loop: Header=BB195_6 Depth=1
	s_and_b32 s21, s21, 0xffff
	buffer_load_dwordx4 v[46:49], v97, s[20:23], 0 offen
	buffer_load_dwordx4 v[42:45], v97, s[20:23], s59 offen
	;; [unrolled: 1-line block ×4, first 2 shown]
	v_mov_b32_e32 v148, v99
	v_mov_b32_e32 v147, v100
.LBB195_12:                             ;   in Loop: Header=BB195_6 Depth=1
	ds_read_b64 v[70:71], v117 offset:57344
	ds_read2_b64 v[50:53], v125 offset1:16
	ds_read_b64 v[72:73], v119 offset:57344
	ds_read_b64 v[74:75], v123 offset:57344
	;; [unrolled: 1-line block ×3, first 2 shown]
	s_waitcnt lgkmcnt(3)
	v_mfma_f32_16x16x16_bf16 a[0:3], v[70:71], v[50:51], a[0:3]
	v_mfma_f32_16x16x16_bf16 a[4:7], v[70:71], v[52:53], a[4:7]
	ds_read2_b64 v[50:53], v125 offset0:32 offset1:48
	ds_read2st64_b64 v[54:57], v125 offset0:4 offset1:8
	ds_read2st64_b64 v[58:61], v126 offset0:4 offset1:8
	;; [unrolled: 1-line block ×4, first 2 shown]
	s_waitcnt lgkmcnt(4)
	v_mfma_f32_16x16x16_bf16 a[8:11], v[70:71], v[50:51], a[8:11]
	v_mfma_f32_16x16x16_bf16 a[12:15], v[70:71], v[52:53], a[12:15]
	v_add_u32_e32 v70, s57, v93
	v_ashrrev_i32_e32 v50, 31, v70
	v_mul_lo_u32 v52, v50, s30
	v_mul_lo_u32 v53, v70, s31
	v_mad_u64_u32 v[50:51], s[20:21], v70, s30, 0
	v_add3_u32 v51, v51, v53, v52
	v_add_u32_e32 v52, 1, v70
	v_ashrrev_i32_e32 v53, 31, v52
	s_waitcnt lgkmcnt(3)
	v_mfma_f32_16x16x16_bf16 a[0:3], v[72:73], v[54:55], a[0:3]
	v_mul_lo_u32 v54, v53, s30
	v_mul_lo_u32 v55, v52, s31
	v_mad_u64_u32 v[52:53], s[20:21], v52, s30, 0
	v_add3_u32 v53, v53, v55, v54
	v_add_u32_e32 v54, 2, v70
	v_ashrrev_i32_e32 v55, 31, v54
	s_waitcnt lgkmcnt(2)
	v_mfma_f32_16x16x16_bf16 a[4:7], v[72:73], v[58:59], a[4:7]
	v_mul_lo_u32 v58, v55, s30
	v_mul_lo_u32 v59, v54, s31
	v_mad_u64_u32 v[54:55], s[20:21], v54, s30, 0
	v_lshl_add_u64 v[50:51], v[50:51], 2, s[42:43]
	v_lshl_add_u64 v[52:53], v[52:53], 2, s[42:43]
	v_add3_u32 v55, v55, v59, v58
	v_add_u32_e32 v58, 3, v70
	s_waitcnt lgkmcnt(1)
	v_mfma_f32_16x16x16_bf16 a[8:11], v[72:73], v[62:63], a[8:11]
	global_load_dword v63, v[50:51], off
	v_ashrrev_i32_e32 v59, 31, v58
	v_mul_lo_u32 v59, v59, s30
	s_waitcnt lgkmcnt(0)
	v_mfma_f32_16x16x16_bf16 a[12:15], v[72:73], v[66:67], a[12:15]
	global_load_dword v66, v[52:53], off
	v_mad_u64_u32 v[50:51], s[20:21], v58, s30, 0
	s_ashr_i32 s21, s57, 31
	v_mul_lo_u32 v62, v58, s31
	s_add_u32 s20, s56, s57
	v_lshl_add_u64 v[54:55], v[54:55], 2, s[42:43]
	v_add3_u32 v51, v51, v62, v59
	s_addc_u32 s21, s55, s21
	v_lshl_add_u64 v[50:51], v[50:51], 2, s[42:43]
	global_load_dword v62, v[54:55], off
	global_load_dword v67, v[50:51], off
	s_lshl_b64 s[20:21], s[20:21], 8
	v_lshl_add_u64 v[50:51], v[82:83], 0, s[20:21]
	v_lshl_add_u64 v[50:51], v[50:51], 0, v[80:81]
	global_load_ushort v70, v[50:51], off offset:256
	global_load_ushort v71, v[50:51], off
	global_load_ushort v72, v[50:51], off offset:768
	global_load_ushort v73, v[50:51], off offset:512
	;; [unrolled: 1-line block ×6, first 2 shown]
	s_load_dword s2, s[2:3], 0x0
	v_mfma_f32_16x16x16_bf16 a[12:15], v[74:75], v[68:69], a[12:15]
	global_load_ushort v68, v[50:51], off offset:320
	global_load_ushort v69, v[50:51], off offset:64
	s_and_b64 vcc, exec, s[0:1]
	v_mfma_f32_16x16x16_bf16 a[0:3], v[74:75], v[56:57], a[0:3]
	ds_read_b64 v[52:53], v125 offset:6144
	ds_read_b64 v[54:55], v126 offset:6144
	;; [unrolled: 1-line block ×4, first 2 shown]
	v_mfma_f32_16x16x16_bf16 a[4:7], v[74:75], v[60:61], a[4:7]
	s_waitcnt vmcnt(11) lgkmcnt(0)
	v_sub_f32_e32 v60, s2, v62
	v_mfma_f32_16x16x16_bf16 a[8:11], v[74:75], v[64:65], a[8:11]
	global_load_ushort v74, v[50:51], off offset:832
	global_load_ushort v75, v[50:51], off offset:576
	;; [unrolled: 1-line block ×6, first 2 shown]
	v_mfma_f32_16x16x16_bf16 a[0:3], v[150:151], v[52:53], a[0:3]
	s_waitcnt vmcnt(16)
	v_sub_f32_e32 v61, s2, v67
	v_mul_f32_e32 v60, 0x3fb8aa3b, v60
	v_mul_f32_e32 v61, 0x3fb8aa3b, v61
	v_exp_f32_e32 v60, v60
	v_exp_f32_e32 v61, v61
	s_waitcnt vmcnt(15)
	v_lshlrev_b32_e32 v65, 16, v70
	s_waitcnt vmcnt(14)
	v_lshlrev_b32_e32 v64, 16, v71
	v_accvgpr_read_b32 v53, a3
	v_accvgpr_read_b32 v52, a2
	v_mfma_f32_16x16x16_bf16 a[2:5], v[150:151], v[54:55], a[4:7]
	v_mfma_f32_16x16x16_bf16 a[6:9], v[150:151], v[56:57], a[8:11]
	s_nop 5
	v_accvgpr_read_b32 v55, a5
	v_accvgpr_read_b32 v54, a4
	;; [unrolled: 1-line block ×4, first 2 shown]
	v_mfma_f32_16x16x16_bf16 a[8:11], v[150:151], v[58:59], a[12:15]
	v_sub_f32_e32 v58, s2, v63
	v_sub_f32_e32 v59, s2, v66
	v_mul_f32_e32 v58, 0x3fb8aa3b, v58
	v_mul_f32_e32 v59, 0x3fb8aa3b, v59
	v_exp_f32_e32 v58, v58
	v_exp_f32_e32 v59, v59
	v_accvgpr_read_b32 v67, a1
	v_accvgpr_read_b32 v66, a0
	v_lshl_add_u64 v[62:63], v[84:85], 0, s[20:21]
	v_pk_add_f32 v[64:65], v[64:65], v[66:67] neg_lo:[0,1] neg_hi:[0,1]
	s_waitcnt vmcnt(13)
	v_lshlrev_b32_e32 v67, 16, v72
	s_waitcnt vmcnt(12)
	v_lshlrev_b32_e32 v66, 16, v73
	v_lshl_add_u64 v[62:63], v[62:63], 0, v[80:81]
	v_pk_add_f32 v[52:53], v[66:67], v[52:53] neg_lo:[0,1] neg_hi:[0,1]
	global_store_short_d16_hi v[62:63], v64, off
	global_store_short_d16_hi v[62:63], v65, off offset:256
	global_store_short_d16_hi v[62:63], v52, off offset:512
	;; [unrolled: 1-line block ×3, first 2 shown]
	v_pk_mul_f32 v[64:65], v[58:59], v[64:65]
	v_pk_mul_f32 v[52:53], v[60:61], v[52:53]
	v_accvgpr_read_b32 v67, a3
	v_perm_b32 v53, v53, v52, s37
	v_perm_b32 v52, v65, v64, s37
	s_waitcnt vmcnt(15)
	v_lshlrev_b32_e32 v65, 16, v76
	s_waitcnt vmcnt(14)
	v_lshlrev_b32_e32 v64, 16, v152
	v_accvgpr_read_b32 v66, a2
	v_pk_add_f32 v[64:65], v[64:65], v[66:67] neg_lo:[0,1] neg_hi:[0,1]
	s_waitcnt vmcnt(13)
	v_lshlrev_b32_e32 v67, 16, v153
	s_waitcnt vmcnt(12)
	v_lshlrev_b32_e32 v66, 16, v154
	v_pk_add_f32 v[54:55], v[66:67], v[54:55] neg_lo:[0,1] neg_hi:[0,1]
	global_store_short_d16_hi v[62:63], v64, off offset:32
	global_store_short_d16_hi v[62:63], v65, off offset:288
	;; [unrolled: 1-line block ×4, first 2 shown]
	v_pk_mul_f32 v[64:65], v[58:59], v[64:65]
	v_pk_mul_f32 v[54:55], v[60:61], v[54:55]
	v_accvgpr_read_b32 v57, a11
	v_perm_b32 v55, v55, v54, s37
	v_perm_b32 v54, v65, v64, s37
	ds_write2_b64 v102, v[52:53], v[54:55] offset1:16
	v_accvgpr_read_b32 v55, a7
	s_waitcnt vmcnt(15)
	v_lshlrev_b32_e32 v53, 16, v68
	s_waitcnt vmcnt(14)
	v_lshlrev_b32_e32 v52, 16, v69
	v_accvgpr_read_b32 v54, a6
	v_pk_add_f32 v[52:53], v[52:53], v[54:55] neg_lo:[0,1] neg_hi:[0,1]
	global_store_short_d16_hi v[62:63], v52, off offset:64
	global_store_short_d16_hi v[62:63], v53, off offset:320
	v_pk_mul_f32 v[52:53], v[58:59], v[52:53]
	v_accvgpr_read_b32 v56, a10
	v_perm_b32 v52, v53, v52, s37
	v_mov_b32_e32 v150, 0
	v_mov_b32_e32 v64, 0
	;; [unrolled: 1-line block ×3, first 2 shown]
	s_waitcnt vmcnt(15)
	v_lshlrev_b32_e32 v55, 16, v74
	s_waitcnt vmcnt(14)
	v_lshlrev_b32_e32 v54, 16, v75
	v_pk_add_f32 v[50:51], v[54:55], v[50:51] neg_lo:[0,1] neg_hi:[0,1]
	global_store_short_d16_hi v[62:63], v50, off offset:576
	global_store_short_d16_hi v[62:63], v51, off offset:832
	v_pk_mul_f32 v[50:51], v[60:61], v[50:51]
	v_accvgpr_read_b32 v55, a9
	v_perm_b32 v53, v51, v50, s37
	s_waitcnt vmcnt(15)
	v_lshlrev_b32_e32 v51, 16, v155
	s_waitcnt vmcnt(14)
	v_lshlrev_b32_e32 v50, 16, v156
	v_accvgpr_read_b32 v54, a8
	v_pk_add_f32 v[50:51], v[50:51], v[54:55] neg_lo:[0,1] neg_hi:[0,1]
	s_waitcnt vmcnt(13)
	v_lshlrev_b32_e32 v55, 16, v157
	s_waitcnt vmcnt(12)
	v_lshlrev_b32_e32 v54, 16, v158
	v_pk_add_f32 v[54:55], v[54:55], v[56:57] neg_lo:[0,1] neg_hi:[0,1]
	global_store_short_d16_hi v[62:63], v50, off offset:96
	global_store_short_d16_hi v[62:63], v51, off offset:352
	;; [unrolled: 1-line block ×4, first 2 shown]
	v_pk_mul_f32 v[50:51], v[58:59], v[50:51]
	v_pk_mul_f32 v[54:55], v[60:61], v[54:55]
	v_mov_b32_e32 v56, 0
	v_perm_b32 v55, v55, v54, s37
	v_perm_b32 v54, v51, v50, s37
	ds_write2_b64 v102, v[52:53], v[54:55] offset0:32 offset1:48
	v_mov_b32_e32 v50, 0
	v_mov_b32_e32 v51, 0
	;; [unrolled: 1-line block ×13, first 2 shown]
	s_cbranch_vccnz .LBB195_14
; %bb.13:                               ;   in Loop: Header=BB195_6 Depth=1
	s_and_b32 s25, s25, 0xffff
	s_mov_b32 s27, s23
	buffer_load_dwordx4 v[62:65], v135, s[24:27], 0 offen
	buffer_load_dwordx4 v[54:57], v135, s[24:27], s59 offen
	;; [unrolled: 1-line block ×4, first 2 shown]
	v_mov_b32_e32 v149, v96
	v_mov_b32_e32 v150, v95
.LBB195_14:                             ;   in Loop: Header=BB195_6 Depth=1
	s_waitcnt lgkmcnt(0)
	s_barrier
	ds_read_b64 v[74:75], v138
	ds_read2_b64 v[66:69], v131 offset1:16
	ds_read_b64 v[168:169], v139
	ds_read_b64 v[170:171], v140
	;; [unrolled: 1-line block ×3, first 2 shown]
	ds_read2_b64 v[70:73], v131 offset0:32 offset1:48
	ds_read2st64_b64 v[152:155], v131 offset0:4 offset1:8
	ds_read2st64_b64 v[156:159], v132 offset0:4 offset1:8
	;; [unrolled: 1-line block ×4, first 2 shown]
	s_waitcnt lgkmcnt(8)
	v_mfma_f32_16x16x16_bf16 a[0:3], v[74:75], v[66:67], 0
	s_add_i32 s3, s54, s62
	s_mul_hi_i32 s21, s3, s13
	s_mul_i32 s3, s3, s13
	v_mfma_f32_16x16x16_bf16 a[4:7], v[74:75], v[68:69], 0
	s_add_u32 s20, s3, s49
	s_addc_u32 s21, s21, s50
	s_lshl_b64 s[20:21], s[20:21], 15
	s_waitcnt lgkmcnt(4)
	v_mfma_f32_16x16x16_bf16 a[8:11], v[74:75], v[70:71], 0
	s_mul_i32 s24, s64, s13
	s_mul_hi_i32 s3, s64, s13
	s_add_u32 s24, s24, s49
	v_mfma_f32_16x16x16_bf16 a[12:15], v[74:75], v[72:73], 0
	ds_read_b64 v[74:75], v131 offset:6144
	ds_read_b64 v[180:181], v132 offset:6144
	;; [unrolled: 1-line block ×4, first 2 shown]
	s_addc_u32 s25, s3, s50
	s_waitcnt lgkmcnt(7)
	v_mfma_f32_16x16x16_bf16 a[0:3], v[168:169], v[152:153], a[0:3]
	s_lshl_b64 s[24:25], s[24:25], 9
	s_add_u32 s24, s16, s24
	s_addc_u32 s25, s17, s25
	s_waitcnt lgkmcnt(6)
	v_mfma_f32_16x16x16_bf16 a[4:7], v[168:169], v[156:157], a[4:7]
	v_lshl_add_u64 v[190:191], v[86:87], 0, s[20:21]
	s_waitcnt lgkmcnt(5)
	v_mfma_f32_16x16x16_bf16 a[8:11], v[168:169], v[160:161], a[8:11]
	s_waitcnt lgkmcnt(4)
	v_mfma_f32_16x16x16_bf16 a[12:15], v[168:169], v[164:165], a[12:15]
	ds_read_b64 v[168:169], v143
	ds_read_b64 v[178:179], v144
	;; [unrolled: 1-line block ×3, first 2 shown]
	s_waitcnt lgkmcnt(2)
	v_mfma_f32_16x16x16_bf16 a[16:19], v[168:169], v[66:67], 0
	v_mfma_f32_16x16x16_bf16 a[20:23], v[168:169], v[68:69], 0
	global_load_dwordx4 v[66:69], v142, s[24:25]
	v_mfma_f32_16x16x16_bf16 a[24:27], v[168:169], v[70:71], 0
	v_mfma_f32_16x16x16_bf16 a[28:31], v[168:169], v[72:73], 0
	global_load_dwordx4 v[70:73], v79, s[24:25]
	v_mfma_f32_16x16x16_bf16 a[0:3], v[170:171], v[154:155], a[0:3]
	v_mfma_f32_16x16x16_bf16 a[4:7], v[170:171], v[158:159], a[4:7]
	;; [unrolled: 1-line block ×8, first 2 shown]
	ds_read2st64_b64 v[168:171], v129 offset1:8
	ds_read2st64_b64 v[172:175], v130 offset1:8
	ds_read_b64 v[188:189], v137 offset:40960
	s_waitcnt lgkmcnt(2)
	v_mov_b32_e32 v176, v168
	v_mfma_f32_16x16x16_bf16 a[16:19], v[178:179], v[152:153], a[16:19]
	v_mov_b32_e32 v177, v169
	v_mfma_f32_16x16x16_bf16 a[20:23], v[178:179], v[156:157], a[20:23]
	v_mfma_f32_16x16x16_bf16 a[24:27], v[178:179], v[160:161], a[24:27]
	;; [unrolled: 1-line block ×3, first 2 shown]
	v_add_co_u32_e32 v164, vcc, s39, v190
	s_waitcnt lgkmcnt(1)
	v_mov_b32_e32 v178, v172
	s_waitcnt lgkmcnt(0)
	v_mfma_f32_16x16x16_bf16 a[16:19], v[188:189], v[154:155], a[16:19]
	ds_read2st64_b64 v[152:155], v129 offset0:16 offset1:24
	v_addc_co_u32_e32 v165, vcc, 0, v191, vcc
	v_mfma_f32_16x16x16_bf16 a[20:23], v[188:189], v[158:159], a[20:23]
	ds_read2st64_b64 v[156:159], v130 offset0:16 offset1:24
	v_mov_b32_e32 v179, v173
	v_mov_b32_e32 v172, v170
	v_mfma_f32_16x16x16_bf16 a[32:35], v[188:189], v[162:163], a[24:27]
	v_mov_b32_e32 v173, v171
	s_waitcnt lgkmcnt(0)
	v_mov_b32_e32 v162, v156
	v_mov_b32_e32 v163, v157
	v_mfma_f32_16x16x16_bf16 a[36:39], v[188:189], v[166:167], a[28:31]
	v_mov_b32_e32 v156, v154
	v_mov_b32_e32 v157, v155
	;; [unrolled: 1-line block ×3, first 2 shown]
	v_mfma_f32_16x16x16_bf16 a[24:27], v[186:187], v[74:75], a[16:19]
	v_add_co_u32_e32 v74, vcc, s41, v190
	v_mov_b32_e32 v161, v153
	v_mfma_f32_16x16x16_bf16 a[28:31], v[186:187], v[180:181], a[20:23]
	v_addc_co_u32_e32 v75, vcc, 0, v191, vcc
	global_store_dwordx4 v[74:75], v[156:159], off
	v_mfma_f32_16x16x16_bf16 a[16:19], v[186:187], v[182:183], a[32:35]
	s_waitcnt vmcnt(2)
	v_mov_b32_e32 v76, v69
	v_mov_b32_e32 v75, v68
	;; [unrolled: 1-line block ×3, first 2 shown]
	v_mfma_f32_16x16x16_bf16 a[20:23], v[186:187], v[184:185], a[36:39]
	s_and_b64 vcc, exec, s[0:1]
	global_store_dwordx4 v[190:191], v[176:179], off
	global_store_dwordx4 v[164:165], v[172:175], off offset:-4096
	global_store_dwordx4 v[164:165], v[160:163], off
	s_cbranch_vccnz .LBB195_16
; %bb.15:                               ;   in Loop: Header=BB195_6 Depth=1
	v_lshrrev_b32_e32 v67, 3, v149
	v_and_b32_e32 v67, 6, v67
	v_xor_b32_e32 v68, v67, v150
	v_lshlrev_b32_e32 v68, 2, v68
	v_and_b32_e32 v69, 8, v149
	v_xor_b32_e32 v149, 0x440, v68
	v_cmp_eq_u32_e32 vcc, 0, v69
	v_perm_b32 v69, v54, v50, s60
	s_nop 0
	v_cndmask_b32_e32 v68, v149, v68, vcc
	v_lshl_or_b32 v67, v67, 10, v68
	v_perm_b32 v68, v62, v58, s60
	s_barrier
	ds_write2st64_b32 v67, v68, v69 offset0:128 offset1:160
	v_xor_b32_e32 v68, 8, v67
	v_perm_b32 v58, v62, v58, s61
	v_perm_b32 v50, v54, v50, s61
	v_add_u32_e32 v54, 0x80, v68
	ds_write2st64_b32 v54, v58, v50 offset0:128 offset1:160
	v_xor_b32_e32 v50, 16, v67
	v_perm_b32 v54, v63, v59, s60
	v_perm_b32 v58, v55, v51, s60
	ds_write2st64_b32 v50, v54, v58 offset0:129 offset1:161
	v_xor_b32_e32 v50, 24, v67
	v_perm_b32 v54, v63, v59, s61
	v_perm_b32 v51, v55, v51, s61
	v_add_u32_e32 v50, 0x80, v50
	ds_write2st64_b32 v50, v54, v51 offset0:129 offset1:161
	v_xor_b32_e32 v50, 32, v67
	v_perm_b32 v51, v64, v60, s60
	v_perm_b32 v54, v56, v52, s60
	;; [unrolled: 9-line block ×3, first 2 shown]
	ds_write2st64_b32 v50, v51, v52 offset0:131 offset1:163
	v_xor_b32_e32 v50, 56, v67
	v_perm_b32 v51, v65, v61, s61
	v_perm_b32 v52, v57, v53, s61
	v_add_u32_e32 v50, 0x80, v50
	ds_write2st64_b32 v50, v51, v52 offset0:131 offset1:163
	ds_write_b64 v148, v[46:47] offset:49152
	v_xor_b32_e32 v46, 8, v148
	ds_write_b64 v46, v[48:49] offset:49152
	ds_write_b64 v148, v[42:43] offset:57344
	;; [unrolled: 1-line block ×4, first 2 shown]
	v_xor_b32_e32 v38, 8, v147
	ds_write_b64 v38, v[40:41] offset:49152
	ds_write_b64 v147, v[34:35] offset:57344
	;; [unrolled: 1-line block ×3, first 2 shown]
.LBB195_16:                             ;   in Loop: Header=BB195_6 Depth=1
	v_mul_f32_e32 v58, s2, v146
	v_exp_f32_e32 v68, v58
	s_waitcnt vmcnt(4)
	v_mul_f32_e32 v58, 0x3fb8aa3b, v70
	v_exp_f32_e32 v70, v58
	v_mul_f32_e32 v58, 0x3fb8aa3b, v71
	v_exp_f32_e32 v71, v58
	;; [unrolled: 2-line block ×4, first 2 shown]
	v_accvgpr_read_b32 v37, a3
	v_accvgpr_read_b32 v36, a2
	v_accvgpr_read_b32 v35, a1
	v_accvgpr_read_b32 v34, a0
	v_pk_mul_f32 v[70:71], v[68:69], v[70:71] op_sel_hi:[0,1]
	v_pk_mul_f32 v[72:73], v[68:69], v[72:73] op_sel_hi:[0,1]
	v_pk_fma_f32 v[22:23], v[22:23], v[70:71], v[34:35]
	v_pk_fma_f32 v[24:25], v[24:25], v[72:73], v[36:37]
	v_mul_f32_e32 v34, 0x3fb8aa3b, v66
	v_mul_f32_e32 v35, 0x3fb8aa3b, v74
	;; [unrolled: 1-line block ×4, first 2 shown]
	v_exp_f32_e32 v34, v34
	v_exp_f32_e32 v35, v35
	v_exp_f32_e32 v36, v36
	v_exp_f32_e32 v37, v37
	v_accvgpr_read_b32 v41, a7
	v_accvgpr_read_b32 v45, a11
	;; [unrolled: 1-line block ×28, first 2 shown]
	v_pk_mul_f32 v[34:35], v[68:69], v[34:35] op_sel_hi:[0,1]
	v_pk_mul_f32 v[36:37], v[68:69], v[36:37] op_sel_hi:[0,1]
	s_add_i32 s57, s57, 64
	v_pk_fma_f32 v[14:15], v[70:71], v[14:15], v[38:39]
	v_pk_fma_f32 v[16:17], v[72:73], v[16:17], v[40:41]
	;; [unrolled: 1-line block ×13, first 2 shown]
	s_cmp_eq_u32 s51, s63
	v_pk_fma_f32 v[12:13], v[36:37], v[12:13], v[64:65]
	s_cbranch_scc1 .LBB195_18
; %bb.17:                               ;   in Loop: Header=BB195_6 Depth=1
	s_mov_b32 s62, s63
	s_branch .LBB195_6
.LBB195_18:
	s_lshl_b32 s26, s51, 6
	s_sub_i32 s27, s52, s26
	s_cmp_gt_i32 s27, 0
	s_cbranch_scc0 .LBB195_99
; %bb.19:
	s_add_i32 s26, s26, s34
	s_ashr_i32 s2, s26, 31
	s_cmpk_lg_i32 s15, 0x80
	s_cselect_b64 s[22:23], -1, 0
	s_and_b64 vcc, exec, s[22:23]
	s_cbranch_vccz .LBB195_21
; %bb.20:
	s_mul_i32 s1, s26, s14
	s_ashr_i32 s3, s53, 31
	s_mul_hi_i32 s0, s26, s14
	s_add_u32 s24, s1, s53
	s_addc_u32 s25, s0, s3
	s_cbranch_execz .LBB195_22
	s_branch .LBB195_23
.LBB195_21:
                                        ; implicit-def: $sgpr24_sgpr25
.LBB195_22:
	s_mul_i32 s1, s53, s12
	s_mul_hi_i32 s0, s53, s12
	s_add_u32 s24, s1, s26
	s_addc_u32 s25, s0, s2
.LBB195_23:
	s_add_i32 s3, s51, s54
	s_add_u32 s0, s56, s26
	s_addc_u32 s1, s55, s2
	v_lshlrev_b32_e32 v35, 6, v93
	v_lshlrev_b32_e32 v34, 2, v90
	s_mov_b32 s2, 0x7060302
	s_waitcnt vmcnt(7)
	v_perm_b32 v25, v25, v24, s2
	v_perm_b32 v24, v23, v22, s2
	s_waitcnt vmcnt(6)
	v_perm_b32 v22, v31, v30, s2
	v_or_b32_e32 v30, v35, v34
	v_xor_b32_e32 v36, v93, v34
	v_perm_b32 v23, v33, v32, s2
	v_lshlrev_b32_e32 v30, 1, v30
	ds_write2st64_b64 v30, v[24:25], v[22:23] offset0:32 offset1:48
	v_lshlrev_b32_e32 v30, 1, v36
	v_lshlrev_b32_e32 v31, 8, v90
	v_xor_b32_e32 v37, v94, v34
	v_or_b32_e32 v32, v30, v31
	ds_write_b64 v32, v[24:25]
	v_lshlrev_b32_e32 v24, 1, v37
	v_or_b32_e32 v25, v24, v31
	ds_write_b64 v25, v[22:23]
	v_or_b32_e32 v22, 16, v90
	v_lshlrev_b32_e32 v23, 2, v22
	v_or_b32_e32 v25, v35, v23
	s_waitcnt vmcnt(5)
	v_perm_b32 v17, v17, v16, s2
	v_perm_b32 v16, v15, v14, s2
	s_waitcnt vmcnt(4)
	v_perm_b32 v15, v29, v28, s2
	v_perm_b32 v14, v27, v26, s2
	v_lshlrev_b32_e32 v25, 1, v25
	v_lshlrev_b32_e32 v22, 8, v22
	ds_write2st64_b64 v25, v[16:17], v[14:15] offset0:32 offset1:48
	v_or_b32_e32 v25, v30, v22
	ds_write_b64 v25, v[16:17]
	v_or_b32_e32 v16, v24, v22
	ds_write_b64 v16, v[14:15]
	v_or_b32_e32 v14, 32, v90
	v_lshlrev_b32_e32 v22, 2, v14
	v_or_b32_e32 v15, v35, v22
	s_waitcnt vmcnt(3)
	v_perm_b32 v9, v9, v8, s2
	v_perm_b32 v8, v7, v6, s2
	s_waitcnt vmcnt(2)
	v_perm_b32 v7, v21, v20, s2
	v_perm_b32 v6, v19, v18, s2
	v_lshlrev_b32_e32 v15, 1, v15
	v_lshlrev_b32_e32 v14, 8, v14
	s_lshl_b64 s[20:21], s[0:1], 8
	ds_write2st64_b64 v15, v[8:9], v[6:7] offset0:32 offset1:48
	v_or_b32_e32 v15, v30, v14
	s_add_u32 s0, s6, s20
	ds_write_b64 v15, v[8:9]
	v_or_b32_e32 v8, v24, v14
	s_addc_u32 s1, s7, s21
	ds_write_b64 v8, v[6:7]
	v_or_b32_e32 v6, 48, v90
	s_mul_hi_i32 s6, s3, s13
	s_mul_i32 s3, s3, s13
	s_waitcnt vmcnt(1)
	v_perm_b32 v5, v5, v4, s2
	v_perm_b32 v4, v3, v2, s2
	s_waitcnt vmcnt(0)
	v_perm_b32 v3, v13, v12, s2
	v_perm_b32 v2, v11, v10, s2
	v_lshlrev_b32_e32 v19, 2, v6
	s_add_u32 s2, s3, s49
	v_or_b32_e32 v7, v35, v19
	s_addc_u32 s3, s6, s50
	v_lshlrev_b32_e32 v7, 1, v7
	v_lshlrev_b32_e32 v6, 8, v6
	s_ashr_i32 s41, s40, 31
	s_lshl_b64 s[2:3], s[2:3], 15
	ds_write2st64_b64 v7, v[4:5], v[2:3] offset0:32 offset1:48
	v_or_b32_e32 v7, v30, v6
	s_add_u32 s6, s18, s2
	ds_write_b64 v7, v[4:5]
	v_or_b32_e32 v4, v24, v6
	s_addc_u32 s7, s19, s3
	s_lshl_b64 s[2:3], s[40:41], 8
	ds_write_b64 v4, v[2:3]
	s_add_u32 s2, s6, s2
	v_lshlrev_b32_e32 v3, 1, v90
	v_lshrrev_b32_e32 v2, 4, v0
	s_addc_u32 s3, s7, s3
	v_or_b32_e32 v4, 1, v3
	v_lshlrev_b32_e32 v10, 4, v90
	v_mov_b32_e32 v11, 0
	v_xor_b32_e32 v3, v2, v3
	v_xor_b32_e32 v6, v4, v2
	v_lshl_add_u64 v[12:13], s[2:3], 0, v[10:11]
	v_lshlrev_b32_e32 v10, 8, v2
	v_lshl_or_b32 v16, v3, 3, v10
	v_lshl_or_b32 v17, v6, 3, v10
	s_waitcnt lgkmcnt(0)
	s_barrier
	ds_read2st64_b64 v[2:5], v16 offset1:8
	ds_read2st64_b64 v[6:9], v17 offset1:8
	v_lshl_add_u64 v[14:15], v[12:13], 0, v[10:11]
	s_movk_i32 s2, 0x2000
	s_cmp_lg_u32 s27, 64
	s_waitcnt lgkmcnt(1)
	v_mov_b32_e32 v10, v2
	v_mov_b32_e32 v11, v3
	s_waitcnt lgkmcnt(0)
	v_mov_b32_e32 v12, v6
	v_mov_b32_e32 v13, v7
	global_store_dwordx4 v[14:15], v[10:13], off
	v_mov_b32_e32 v6, v4
	v_mov_b32_e32 v7, v5
	ds_read2st64_b64 v[2:5], v16 offset0:16 offset1:24
	ds_read2st64_b64 v[10:13], v17 offset0:16 offset1:24
	v_add_co_u32_e32 v16, vcc, s2, v14
	s_cselect_b64 s[6:7], -1, 0
	s_nop 0
	v_addc_co_u32_e32 v17, vcc, 0, v15, vcc
	global_store_dwordx4 v[16:17], v[6:9], off offset:-4096
	v_lshl_or_b32 v24, v88, 3, v92
	s_mov_b32 s16, 0
	s_waitcnt lgkmcnt(1)
	v_mov_b32_e32 v6, v2
	v_add_co_u32_e32 v2, vcc, 0x3000, v14
	v_mov_b32_e32 v7, v3
	s_nop 0
	v_addc_co_u32_e32 v3, vcc, 0, v15, vcc
	s_waitcnt lgkmcnt(0)
	v_mov_b32_e32 v8, v10
	v_mov_b32_e32 v9, v11
	v_mov_b32_e32 v10, v4
	v_mov_b32_e32 v11, v5
	v_or_b32_e32 v20, 32, v24
	v_and_b32_e32 v18, 56, v91
	s_and_b64 vcc, exec, s[6:7]
	global_store_dwordx4 v[16:17], v[6:9], off
	global_store_dwordx4 v[2:3], v[10:13], off
	s_cbranch_vccz .LBB195_29
; %bb.24:
	s_mov_b32 s17, s16
	s_mov_b32 s18, s16
	;; [unrolled: 1-line block ×3, first 2 shown]
	v_mov_b64_e32 v[6:7], s[16:17]
	v_mov_b64_e32 v[8:9], s[18:19]
	;; [unrolled: 1-line block ×3, first 2 shown]
	v_cmp_gt_i32_e32 vcc, s27, v24
	v_mov_b64_e32 v[4:5], v[8:9]
	s_and_saveexec_b64 s[2:3], vcc
	s_cbranch_execz .LBB195_26
; %bb.25:
	v_lshlrev_b32_e32 v2, 8, v24
	v_mov_b32_e32 v3, 0
	v_lshl_add_u64 v[4:5], s[0:1], 0, v[2:3]
	v_lshlrev_b32_e32 v2, 1, v18
	v_lshl_add_u64 v[10:11], v[4:5], 0, v[2:3]
	global_load_dwordx4 v[6:9], v[10:11], off
	global_load_dwordx4 v[2:5], v[10:11], off offset:128
.LBB195_26:
	s_or_b64 exec, exec, s[2:3]
	s_mov_b32 s17, s16
	s_mov_b32 s18, s16
	;; [unrolled: 1-line block ×3, first 2 shown]
	v_mov_b64_e32 v[14:15], s[16:17]
	v_mov_b64_e32 v[16:17], s[18:19]
	;; [unrolled: 1-line block ×3, first 2 shown]
	v_cmp_gt_i32_e32 vcc, s27, v20
	v_lshlrev_b32_e32 v21, 7, v20
	v_mov_b64_e32 v[12:13], v[16:17]
	s_and_saveexec_b64 s[2:3], vcc
	s_cbranch_execz .LBB195_28
; %bb.27:
	v_lshlrev_b32_e32 v10, 1, v21
	v_mov_b32_e32 v11, 0
	v_lshl_add_u64 v[12:13], s[0:1], 0, v[10:11]
	v_lshlrev_b32_e32 v10, 1, v18
	v_lshl_add_u64 v[26:27], v[12:13], 0, v[10:11]
	global_load_dwordx4 v[14:17], v[26:27], off
	global_load_dwordx4 v[10:13], v[26:27], off offset:128
.LBB195_28:
	s_or_b64 exec, exec, s[2:3]
	v_lshrrev_b32_e32 v25, 3, v18
	v_lshlrev_b32_e32 v26, 3, v24
	v_or_b32_e32 v25, v26, v25
	v_lshlrev_b32_e32 v25, 4, v25
	v_and_b32_e32 v26, 0x78, v26
	v_xor_b32_e32 v25, v25, v26
	s_branch .LBB195_31
.LBB195_29:
                                        ; implicit-def: $vgpr25
                                        ; implicit-def: $vgpr21
                                        ; implicit-def: $vgpr6_vgpr7_vgpr8_vgpr9
                                        ; implicit-def: $vgpr2_vgpr3_vgpr4_vgpr5
                                        ; implicit-def: $vgpr14_vgpr15_vgpr16_vgpr17
                                        ; implicit-def: $vgpr10_vgpr11_vgpr12_vgpr13
	s_cbranch_execz .LBB195_31
; %bb.30:
	s_waitcnt vmcnt(0)
	v_lshlrev_b32_e32 v2, 1, v18
	v_lshl_or_b32 v21, v24, 8, v2
	s_and_b32 s1, s1, 0xffff
	s_mov_b32 s3, 0x20000
	s_movk_i32 s2, 0x4000
	v_lshl_or_b32 v25, v20, 8, v2
	s_movk_i32 s12, 0x80
	buffer_load_dwordx4 v[6:9], v21, s[0:3], 0 offen
	buffer_load_dwordx4 v[2:5], v21, s[0:3], s12 offen
	;; [unrolled: 1-line block ×4, first 2 shown]
	v_lshrrev_b32_e32 v21, 3, v18
	v_lshlrev_b32_e32 v25, 3, v24
	v_or_b32_e32 v21, v25, v21
	v_lshlrev_b32_e32 v21, 4, v21
	v_and_b32_e32 v25, 0x78, v25
	v_xor_b32_e32 v25, v21, v25
	v_lshlrev_b32_e32 v21, 7, v20
.LBB195_31:
	s_movk_i32 s0, 0x1000
	v_and_or_b32 v20, v21, s0, v25
	s_waitcnt vmcnt(1)
	ds_write_b64 v25, v[6:7] offset:49152
	v_xor_b32_e32 v6, 8, v25
	ds_write_b64 v6, v[8:9] offset:49152
	s_waitcnt vmcnt(0)
	ds_write_b64 v25, v[2:3] offset:57344
	ds_write_b64 v6, v[4:5] offset:57344
	;; [unrolled: 1-line block ×3, first 2 shown]
	v_xor_b32_e32 v2, 8, v20
	ds_write_b64 v2, v[16:17] offset:49152
	ds_write_b64 v20, v[10:11] offset:57344
	;; [unrolled: 1-line block ×3, first 2 shown]
	v_or_b32_e32 v2, v1, v90
	v_lshlrev_b32_e32 v3, 11, v88
	v_lshlrev_b32_e32 v2, 3, v2
	v_and_b32_e32 v6, 0x1000, v3
	v_lshrrev_b32_e32 v3, 5, v77
	s_movk_i32 s0, 0xf8
	v_and_or_b32 v3, v2, s0, v3
	v_lshlrev_b32_e32 v7, 4, v3
	v_and_b32_e32 v8, 0x78, v2
	v_or_b32_e32 v10, 32, v7
	v_lshrrev_b32_e32 v3, 1, v77
	v_xor_b32_e32 v10, v10, v8
	v_xor_b32_e32 v2, v7, v8
	v_and_b32_e32 v9, 8, v3
	v_or_b32_e32 v10, v10, v6
	v_or_b32_e32 v2, v2, v6
	v_xor_b32_e32 v27, v10, v9
	v_or_b32_e32 v10, 64, v7
	v_xor_b32_e32 v26, v2, v9
	v_xor_b32_e32 v10, v10, v8
	s_waitcnt lgkmcnt(0)
	s_barrier
	v_or_b32_e32 v13, v10, v6
	ds_read_b64 v[10:11], v26 offset:49152
	v_lshl_or_b32 v14, v89, 8, v34
	v_lshlrev_b32_e32 v25, 1, v14
	v_add_u32_e32 v12, 0x4000, v25
	ds_read2_b64 v[2:5], v12 offset1:16
	v_or_b32_e32 v7, 0x60, v7
	v_xor_b32_e32 v7, v7, v8
	v_or_b32_e32 v6, v7, v6
	v_xor_b32_e32 v28, v13, v9
	v_xor_b32_e32 v29, v6, v9
	ds_read_b64 v[20:21], v27 offset:49152
	ds_read_b64 v[36:37], v28 offset:49152
	;; [unrolled: 1-line block ×3, first 2 shown]
	s_waitcnt lgkmcnt(3)
	v_mfma_f32_16x16x16_bf16 a[0:3], v[10:11], v[2:3], 0
	ds_read2st64_b64 v[6:9], v25 offset0:36 offset1:40
	s_lshl_b64 s[0:1], s[24:25], 8
	s_add_u32 s4, s4, s0
	v_mfma_f32_16x16x16_bf16 a[4:7], v[10:11], v[4:5], 0
	ds_read2_b64 v[2:5], v12 offset0:32 offset1:48
	s_addc_u32 s5, s5, s1
	s_add_i32 s1, s45, s33
	s_waitcnt lgkmcnt(0)
	v_mfma_f32_16x16x16_bf16 a[8:11], v[10:11], v[2:3], 0
	v_or_b32_e32 v2, 64, v14
	v_lshlrev_b32_e32 v30, 1, v2
	s_add_i32 s0, s35, -1
	v_mfma_f32_16x16x16_bf16 a[12:15], v[10:11], v[4:5], 0
	ds_read2st64_b64 v[2:5], v30 offset0:36 offset1:40
	s_add_i32 s39, s1, s44
	s_add_i32 s1, s47, s46
	v_mfma_f32_16x16x16_bf16 a[0:3], v[20:21], v[6:7], a[0:3]
	v_or_b32_e32 v6, 0x80, v14
	v_lshlrev_b32_e32 v31, 1, v6
	ds_read2st64_b64 v[10:13], v31 offset0:36 offset1:40
	s_waitcnt lgkmcnt(1)
	v_mfma_f32_16x16x16_bf16 a[4:7], v[20:21], v[2:3], a[4:7]
	v_or_b32_e32 v2, 0xc0, v14
	v_lshlrev_b32_e32 v32, 1, v2
	ds_read2st64_b64 v[14:17], v32 offset0:36 offset1:40
	s_add_i32 s37, s1, s48
	s_ashr_i32 s1, s0, 31
	s_mul_i32 s2, s0, s31
	s_mul_hi_u32 s3, s0, s30
	s_add_i32 s2, s3, s2
	s_mul_i32 s1, s1, s30
	s_waitcnt lgkmcnt(1)
	v_mfma_f32_16x16x16_bf16 a[8:11], v[20:21], v[10:11], a[8:11]
	s_add_i32 s1, s2, s1
	s_lshl_b64 s[2:3], s[38:39], 2
	s_add_u32 s10, s10, s2
	s_waitcnt lgkmcnt(0)
	v_mfma_f32_16x16x16_bf16 a[12:15], v[20:21], v[14:15], a[12:15]
	s_addc_u32 s11, s11, s3
	s_lshl_b64 s[2:3], s[36:37], 2
	s_mul_i32 s0, s0, s30
	v_mfma_f32_16x16x16_bf16 a[0:3], v[36:37], v[8:9], a[0:3]
	ds_read_b64 v[2:3], v25 offset:22528
	s_add_u32 s10, s10, s2
	s_addc_u32 s11, s11, s3
	v_mfma_f32_16x16x16_bf16 a[4:7], v[36:37], v[4:5], a[4:7]
	ds_read_b64 v[4:5], v30 offset:22528
	ds_read_b64 v[6:7], v31 offset:22528
	;; [unrolled: 1-line block ×3, first 2 shown]
	s_lshl_b64 s[0:1], s[0:1], 2
	s_add_u32 s0, s10, s0
	v_mfma_f32_16x16x16_bf16 a[8:11], v[36:37], v[12:13], a[8:11]
	s_addc_u32 s1, s11, s1
	s_load_dword s12, s[0:1], 0x0
	s_and_b64 vcc, exec, s[22:23]
	v_mfma_f32_16x16x16_bf16 a[12:15], v[36:37], v[16:17], a[12:15]
	s_waitcnt lgkmcnt(0)
	v_mfma_f32_16x16x16_bf16 a[0:3], v[38:39], v[2:3], a[0:3]
	v_mfma_f32_16x16x16_bf16 a[4:7], v[38:39], v[4:5], a[4:7]
	;; [unrolled: 1-line block ×4, first 2 shown]
	s_cbranch_vccz .LBB195_42
; %bb.32:
	v_lshlrev_b32_e32 v20, 1, v24
	s_and_b64 vcc, exec, s[6:7]
	s_cbranch_vccz .LBB195_43
; %bb.33:
	v_cmp_gt_i32_e32 vcc, s27, v20
	v_mov_b32_e32 v6, 0
	v_mov_b32_e32 v2, 0
	;; [unrolled: 1-line block ×5, first 2 shown]
	s_and_saveexec_b64 s[0:1], vcc
	s_cbranch_execz .LBB195_35
; %bb.34:
	v_mad_i64_i32 v[2:3], s[2:3], s15, v20, 0
	v_lshl_add_u64 v[2:3], v[2:3], 1, s[4:5]
	v_lshlrev_b32_e32 v4, 1, v18
	v_mov_b32_e32 v5, 0
	v_lshl_add_u64 v[2:3], v[2:3], 0, v[4:5]
	global_load_dwordx4 v[2:5], v[2:3], off
.LBB195_35:
	s_or_b64 exec, exec, s[0:1]
	v_or_b32_e32 v21, 1, v20
	v_cmp_gt_i32_e64 s[0:1], s27, v21
	v_mov_b32_e32 v7, 0
	v_mov_b32_e32 v8, 0
	;; [unrolled: 1-line block ×3, first 2 shown]
	s_and_saveexec_b64 s[2:3], s[0:1]
	s_cbranch_execz .LBB195_37
; %bb.36:
	v_mad_i64_i32 v[6:7], s[16:17], s15, v21, 0
	v_lshl_add_u64 v[6:7], v[6:7], 1, s[4:5]
	v_lshlrev_b32_e32 v8, 1, v18
	v_mov_b32_e32 v9, 0
	v_lshl_add_u64 v[6:7], v[6:7], 0, v[8:9]
	global_load_dwordx4 v[6:9], v[6:7], off
.LBB195_37:
	s_or_b64 exec, exec, s[2:3]
	v_mov_b32_e32 v17, 0
	v_mov_b32_e32 v10, 0
	;; [unrolled: 1-line block ×5, first 2 shown]
	s_and_saveexec_b64 s[2:3], vcc
	s_cbranch_execz .LBB195_39
; %bb.38:
	v_mad_i64_i32 v[10:11], s[16:17], s15, v20, 0
	v_lshl_add_u64 v[10:11], v[10:11], 1, s[4:5]
	v_lshlrev_b32_e32 v12, 1, v18
	v_mov_b32_e32 v13, 0
	v_lshl_add_u64 v[10:11], v[10:11], 0, v[12:13]
	global_load_dwordx4 v[10:13], v[10:11], off offset:128
.LBB195_39:
	s_or_b64 exec, exec, s[2:3]
	v_mov_b32_e32 v16, 0
	v_mov_b32_e32 v15, 0
	;; [unrolled: 1-line block ×3, first 2 shown]
	s_and_saveexec_b64 s[2:3], s[0:1]
	s_cbranch_execz .LBB195_41
; %bb.40:
	v_mad_i64_i32 v[14:15], s[0:1], s15, v21, 0
	v_lshl_add_u64 v[14:15], v[14:15], 1, s[4:5]
	v_lshlrev_b32_e32 v16, 1, v18
	v_mov_b32_e32 v17, 0
	v_lshl_add_u64 v[14:15], v[14:15], 0, v[16:17]
	global_load_dwordx4 v[14:17], v[14:15], off offset:128
.LBB195_41:
	s_or_b64 exec, exec, s[2:3]
	s_branch .LBB195_45
.LBB195_42:
                                        ; implicit-def: $vgpr5
                                        ; implicit-def: $vgpr9
                                        ; implicit-def: $vgpr13
                                        ; implicit-def: $vgpr17
	v_lshrrev_b32_e32 v33, 2, v77
	s_branch .LBB195_46
.LBB195_43:
                                        ; implicit-def: $vgpr5
                                        ; implicit-def: $vgpr9
                                        ; implicit-def: $vgpr13
                                        ; implicit-def: $vgpr17
	s_cbranch_execz .LBB195_45
; %bb.44:
	s_waitcnt vmcnt(0)
	v_mad_u64_u32 v[2:3], s[0:1], v20, s15, v[18:19]
	v_lshlrev_b32_e32 v20, 1, v2
	s_lshl_b32 s2, s15, 7
	s_and_b32 s1, s5, 0xffff
	s_mov_b32 s3, 0x20000
	s_mov_b32 s0, s4
	v_add_lshl_u32 v21, v2, s15, 1
	s_movk_i32 s13, 0x80
	buffer_load_dwordx4 v[2:5], v20, s[0:3], 0 offen
	buffer_load_dwordx4 v[10:13], v20, s[0:3], s13 offen
	;; [unrolled: 1-line block ×4, first 2 shown]
.LBB195_45:
	v_lshrrev_b32_e32 v33, 2, v77
	s_cbranch_execnz .LBB195_58
.LBB195_46:
	s_and_b64 vcc, exec, s[6:7]
	s_cbranch_vccz .LBB195_56
; %bb.47:
	s_waitcnt vmcnt(0)
	v_lshlrev_b32_e32 v7, 1, v24
	v_cmp_gt_i32_e32 vcc, s27, v7
	v_mov_b32_e32 v6, 0
	v_lshlrev_b32_e32 v14, 9, v24
	v_mov_b32_e32 v2, 0
	v_mov_b32_e32 v3, 0
	;; [unrolled: 1-line block ×4, first 2 shown]
	s_and_saveexec_b64 s[0:1], vcc
	s_cbranch_execz .LBB195_49
; %bb.48:
	v_mov_b32_e32 v15, 0
	v_lshl_add_u64 v[2:3], s[4:5], 0, v[14:15]
	v_lshlrev_b32_e32 v4, 1, v18
	v_mov_b32_e32 v5, v15
	v_lshl_add_u64 v[2:3], v[2:3], 0, v[4:5]
	global_load_dwordx4 v[2:5], v[2:3], off
.LBB195_49:
	s_or_b64 exec, exec, s[0:1]
	v_or_b32_e32 v7, 1, v7
	v_cmp_gt_i32_e64 s[0:1], s27, v7
	v_lshlrev_b32_e32 v20, 8, v7
	v_mov_b32_e32 v7, 0
	v_mov_b32_e32 v8, 0
	;; [unrolled: 1-line block ×3, first 2 shown]
	s_and_saveexec_b64 s[2:3], s[0:1]
	s_cbranch_execz .LBB195_51
; %bb.50:
	v_mov_b32_e32 v21, 0
	v_lshl_add_u64 v[6:7], s[4:5], 0, v[20:21]
	v_lshlrev_b32_e32 v8, 1, v18
	v_mov_b32_e32 v9, v21
	v_lshl_add_u64 v[6:7], v[6:7], 0, v[8:9]
	global_load_dwordx4 v[6:9], v[6:7], off
.LBB195_51:
	s_or_b64 exec, exec, s[2:3]
	v_mov_b32_e32 v17, 0
	v_mov_b32_e32 v10, 0
	;; [unrolled: 1-line block ×5, first 2 shown]
	s_and_saveexec_b64 s[2:3], vcc
	s_cbranch_execz .LBB195_53
; %bb.52:
	v_mov_b32_e32 v15, 0
	v_lshl_add_u64 v[10:11], s[4:5], 0, v[14:15]
	v_lshlrev_b32_e32 v14, 1, v18
	v_lshl_add_u64 v[10:11], v[10:11], 0, v[14:15]
	global_load_dwordx4 v[10:13], v[10:11], off offset:128
.LBB195_53:
	s_or_b64 exec, exec, s[2:3]
	v_mov_b32_e32 v16, 0
	v_mov_b32_e32 v15, 0
	;; [unrolled: 1-line block ×3, first 2 shown]
	s_and_saveexec_b64 s[2:3], s[0:1]
	s_cbranch_execz .LBB195_55
; %bb.54:
	v_mov_b32_e32 v21, 0
	v_lshl_add_u64 v[14:15], s[4:5], 0, v[20:21]
	v_lshlrev_b32_e32 v20, 1, v18
	v_lshl_add_u64 v[14:15], v[14:15], 0, v[20:21]
	global_load_dwordx4 v[14:17], v[14:15], off offset:128
.LBB195_55:
	s_or_b64 exec, exec, s[2:3]
	s_branch .LBB195_58
.LBB195_56:
                                        ; implicit-def: $vgpr5
                                        ; implicit-def: $vgpr9
                                        ; implicit-def: $vgpr13
                                        ; implicit-def: $vgpr17
	s_cbranch_execz .LBB195_58
; %bb.57:
	s_waitcnt vmcnt(0)
	v_lshlrev_b32_e32 v2, 1, v18
	v_lshl_or_b32 v18, v24, 9, v2
	s_and_b32 s5, s5, 0xffff
	s_mov_b32 s7, 0x20000
	s_movk_i32 s6, 0x4000
	s_movk_i32 s0, 0x80
	buffer_load_dwordx4 v[2:5], v18, s[4:7], 0 offen
	buffer_load_dwordx4 v[6:9], v18, s[4:7], 0 offen offset:256
	buffer_load_dwordx4 v[10:13], v18, s[4:7], s0 offen
	buffer_load_dwordx4 v[14:17], v18, s[4:7], s0 offen offset:256
.LBB195_58:
	ds_read_b64 v[20:21], v26 offset:57344
	v_add_u32_e32 v18, 0x6000, v25
	ds_read2_b64 v[36:39], v18 offset1:16
	ds_read_b64 v[48:49], v27 offset:57344
	ds_read_b64 v[50:51], v28 offset:57344
	;; [unrolled: 1-line block ×3, first 2 shown]
	ds_read2_b64 v[26:29], v18 offset0:32 offset1:48
	v_and_b32_e32 v18, 6, v0
	v_xor_b32_e32 v24, v24, v18
	v_lshlrev_b32_e32 v24, 2, v24
	v_and_b32_e32 v0, 1, v0
	v_cmp_eq_u32_e32 vcc, 0, v0
	s_waitcnt lgkmcnt(4)
	v_mfma_f32_16x16x16_bf16 a[0:3], v[20:21], v[36:37], a[0:3]
	s_mov_b32 s0, 0x1000504
	s_mov_b32 s1, 0x3020706
	v_mfma_f32_16x16x16_bf16 a[4:7], v[20:21], v[38:39], a[4:7]
	ds_read2st64_b64 v[36:39], v25 offset0:52 offset1:56
	s_waitcnt lgkmcnt(1)
	v_mfma_f32_16x16x16_bf16 a[8:11], v[20:21], v[26:27], a[8:11]
	v_mfma_f32_16x16x16_bf16 a[12:15], v[20:21], v[28:29], a[12:15]
	ds_read2st64_b64 v[26:29], v30 offset0:52 offset1:56
	ds_read2st64_b64 v[40:43], v31 offset0:52 offset1:56
	;; [unrolled: 1-line block ×3, first 2 shown]
	s_waitcnt lgkmcnt(3)
	v_mfma_f32_16x16x16_bf16 a[0:3], v[48:49], v[36:37], a[0:3]
	ds_read_b64 v[20:21], v25 offset:30720
	ds_read_b64 v[36:37], v30 offset:30720
	;; [unrolled: 1-line block ×4, first 2 shown]
	v_xor_b32_e32 v25, 0x440, v24
	v_cndmask_b32_e32 v0, v25, v24, vcc
	s_waitcnt lgkmcnt(6)
	v_mfma_f32_16x16x16_bf16 a[4:7], v[48:49], v[26:27], a[4:7]
	v_lshl_or_b32 v0, v18, 10, v0
	s_waitcnt vmcnt(0)
	v_perm_b32 v18, v2, v6, s0
	v_perm_b32 v24, v10, v14, s0
	s_waitcnt lgkmcnt(5)
	v_mfma_f32_16x16x16_bf16 a[8:11], v[48:49], v[40:41], a[8:11]
	ds_write2st64_b32 v0, v18, v24 offset0:128 offset1:160
	v_xor_b32_e32 v18, 8, v0
	v_perm_b32 v2, v2, v6, s1
	s_waitcnt lgkmcnt(5)
	v_mfma_f32_16x16x16_bf16 a[12:15], v[48:49], v[44:45], a[12:15]
	v_perm_b32 v6, v10, v14, s1
	v_add_u32_e32 v10, 0x80, v18
	ds_write2st64_b32 v10, v2, v6 offset0:128 offset1:160
	v_mfma_f32_16x16x16_bf16 a[0:3], v[50:51], v[38:39], a[0:3]
	v_xor_b32_e32 v2, 16, v0
	v_perm_b32 v6, v3, v7, s0
	v_perm_b32 v10, v11, v15, s0
	v_mfma_f32_16x16x16_bf16 a[4:7], v[50:51], v[28:29], a[4:7]
	ds_write2st64_b32 v2, v6, v10 offset0:129 offset1:161
	v_xor_b32_e32 v2, 24, v0
	v_perm_b32 v3, v3, v7, s1
	v_mfma_f32_16x16x16_bf16 a[16:19], v[50:51], v[42:43], a[8:11]
	v_perm_b32 v6, v11, v15, s1
	v_add_u32_e32 v2, 0x80, v2
	ds_write2st64_b32 v2, v3, v6 offset0:129 offset1:161
	v_mfma_f32_16x16x16_bf16 a[20:23], v[50:51], v[46:47], a[12:15]
	v_xor_b32_e32 v2, 32, v0
	v_perm_b32 v3, v4, v8, s0
	v_perm_b32 v6, v12, v16, s0
	s_waitcnt lgkmcnt(7)
	v_mfma_f32_16x16x16_bf16 a[12:15], v[52:53], v[20:21], a[0:3]
	ds_write2st64_b32 v2, v3, v6 offset0:130 offset1:162
	v_xor_b32_e32 v2, 40, v0
	v_perm_b32 v3, v4, v8, s1
	s_waitcnt lgkmcnt(7)
	v_mfma_f32_16x16x16_bf16 a[8:11], v[52:53], v[36:37], a[4:7]
	v_perm_b32 v4, v12, v16, s1
	v_add_u32_e32 v2, 0x80, v2
	ds_write2st64_b32 v2, v3, v4 offset0:130 offset1:162
	s_waitcnt lgkmcnt(7)
	v_mfma_f32_16x16x16_bf16 a[4:7], v[52:53], v[30:31], a[16:19]
	v_xor_b32_e32 v2, 48, v0
	v_perm_b32 v3, v5, v9, s0
	v_perm_b32 v4, v13, v17, s0
	s_waitcnt lgkmcnt(6)
	v_mfma_f32_16x16x16_bf16 a[0:3], v[52:53], v[54:55], a[20:23]
	v_xor_b32_e32 v0, 56, v0
	v_and_or_b32 v21, v33, 12, v1
	ds_write2st64_b32 v2, v3, v4 offset0:131 offset1:163
	v_perm_b32 v2, v5, v9, s1
	v_perm_b32 v3, v13, v17, s1
	v_add_u32_e32 v0, 0x80, v0
	v_cmp_gt_i32_e32 vcc, s27, v21
	v_mov_b32_e32 v16, 0
	v_mov_b32_e32 v18, 0
	ds_write2st64_b32 v0, v2, v3 offset0:131 offset1:163
	s_and_saveexec_b64 s[0:1], vcc
	s_cbranch_execz .LBB195_60
; %bb.59:
	v_add_u32_e32 v0, s26, v21
	v_ashrrev_i32_e32 v1, 31, v0
	v_mul_lo_u32 v2, v1, s30
	v_mul_lo_u32 v3, v0, s31
	v_mad_u64_u32 v[0:1], s[2:3], v0, s30, 0
	v_add3_u32 v1, v1, v3, v2
	v_lshl_add_u64 v[0:1], v[0:1], 2, s[10:11]
	global_load_dword v0, v[0:1], off
	s_waitcnt vmcnt(0)
	v_sub_f32_e32 v0, s12, v0
	v_mul_f32_e32 v0, 0x3fb8aa3b, v0
	v_exp_f32_e32 v18, v0
.LBB195_60:
	s_or_b64 exec, exec, s[0:1]
	v_or_b32_e32 v10, 1, v21
	v_cmp_gt_i32_e64 s[0:1], s27, v10
	s_and_saveexec_b64 s[2:3], s[0:1]
	s_cbranch_execz .LBB195_62
; %bb.61:
	v_add_u32_e32 v0, s26, v10
	v_ashrrev_i32_e32 v1, 31, v0
	v_mul_lo_u32 v2, v1, s30
	v_mul_lo_u32 v3, v0, s31
	v_mad_u64_u32 v[0:1], s[4:5], v0, s30, 0
	v_add3_u32 v1, v1, v3, v2
	v_lshl_add_u64 v[0:1], v[0:1], 2, s[10:11]
	global_load_dword v0, v[0:1], off
	s_waitcnt vmcnt(0)
	v_sub_f32_e32 v0, s12, v0
	v_mul_f32_e32 v0, 0x3fb8aa3b, v0
	v_exp_f32_e32 v16, v0
.LBB195_62:
	s_or_b64 exec, exec, s[2:3]
	v_or_b32_e32 v12, 2, v21
	v_cmp_gt_i32_e64 s[2:3], s27, v12
	v_mov_b32_e32 v17, 0
	v_mov_b32_e32 v20, 0
	s_and_saveexec_b64 s[4:5], s[2:3]
	s_cbranch_execz .LBB195_64
; %bb.63:
	v_add_u32_e32 v0, s26, v12
	v_ashrrev_i32_e32 v1, 31, v0
	v_mul_lo_u32 v2, v1, s30
	v_mul_lo_u32 v3, v0, s31
	v_mad_u64_u32 v[0:1], s[6:7], v0, s30, 0
	v_add3_u32 v1, v1, v3, v2
	v_lshl_add_u64 v[0:1], v[0:1], 2, s[10:11]
	global_load_dword v0, v[0:1], off
	s_waitcnt vmcnt(0)
	v_sub_f32_e32 v0, s12, v0
	v_mul_f32_e32 v0, 0x3fb8aa3b, v0
	v_exp_f32_e32 v20, v0
.LBB195_64:
	s_or_b64 exec, exec, s[4:5]
	v_or_b32_e32 v14, 3, v21
	v_cmp_gt_i32_e64 s[4:5], s27, v14
	s_and_saveexec_b64 s[6:7], s[4:5]
	s_cbranch_execz .LBB195_66
; %bb.65:
	v_add_u32_e32 v0, s26, v14
	v_ashrrev_i32_e32 v1, 31, v0
	v_mul_lo_u32 v2, v1, s30
	v_mul_lo_u32 v3, v0, s31
	v_mad_u64_u32 v[0:1], s[14:15], v0, s30, 0
	v_add3_u32 v1, v1, v3, v2
	v_lshl_add_u64 v[0:1], v[0:1], 2, s[10:11]
	global_load_dword v0, v[0:1], off
	s_waitcnt vmcnt(0)
	v_sub_f32_e32 v0, s12, v0
	v_mul_f32_e32 v0, 0x3fb8aa3b, v0
	v_exp_f32_e32 v17, v0
.LBB195_66:
	s_or_b64 exec, exec, s[6:7]
	s_add_u32 s6, s8, s20
	s_addc_u32 s7, s9, s21
	s_add_u32 s8, s28, s20
	v_ashrrev_i32_e32 v79, 31, v78
	v_accvgpr_read_b32 v0, a12
	s_addc_u32 s9, s29, s21
	v_lshlrev_b64 v[4:5], 1, v[78:79]
	v_accvgpr_read_b32 v1, a13
	v_accvgpr_read_b32 v2, a14
	v_accvgpr_read_b32 v3, a15
	v_lshl_add_u64 v[6:7], s[6:7], 0, v[4:5]
	v_lshl_add_u64 v[4:5], s[8:9], 0, v[4:5]
	v_mov_b32_e32 v11, 0
	v_lshlrev_b32_e32 v8, 8, v21
	v_mov_b32_e32 v9, 0
	s_and_saveexec_b64 s[6:7], vcc
	s_cbranch_execz .LBB195_68
; %bb.67:
	v_mov_b32_e32 v9, 0
	v_lshl_add_u64 v[24:25], v[6:7], 0, v[8:9]
	global_load_ushort v13, v[24:25], off
	v_lshl_add_u64 v[24:25], v[4:5], 0, v[8:9]
	s_waitcnt vmcnt(0)
	v_lshlrev_b32_e32 v9, 16, v13
	v_sub_f32_e32 v0, v9, v0
	global_store_short_d16_hi v[24:25], v0, off
	v_mul_f32_e32 v0, v18, v0
	v_lshrrev_b32_e32 v9, 16, v0
.LBB195_68:
	s_or_b64 exec, exec, s[6:7]
	v_lshlrev_b32_e32 v10, 8, v10
	s_and_saveexec_b64 s[6:7], s[0:1]
	s_cbranch_execz .LBB195_70
; %bb.69:
	v_mov_b32_e32 v11, 0
	v_lshl_add_u64 v[24:25], v[6:7], 0, v[10:11]
	global_load_ushort v0, v[24:25], off
	v_lshl_add_u64 v[24:25], v[4:5], 0, v[10:11]
	s_waitcnt vmcnt(0)
	v_lshlrev_b32_e32 v0, 16, v0
	v_sub_f32_e32 v0, v0, v1
	global_store_short_d16_hi v[24:25], v0, off
	v_mul_f32_e32 v0, v16, v0
	v_lshrrev_b32_e32 v11, 16, v0
.LBB195_70:
	s_or_b64 exec, exec, s[6:7]
	v_mov_b32_e32 v15, 0
	v_lshlrev_b32_e32 v12, 8, v12
	v_mov_b32_e32 v13, 0
	s_and_saveexec_b64 s[6:7], s[2:3]
	s_cbranch_execz .LBB195_72
; %bb.71:
	v_mov_b32_e32 v13, 0
	v_lshl_add_u64 v[0:1], v[6:7], 0, v[12:13]
	global_load_ushort v24, v[0:1], off
	v_lshl_add_u64 v[0:1], v[4:5], 0, v[12:13]
	s_waitcnt vmcnt(0)
	v_lshlrev_b32_e32 v13, 16, v24
	v_sub_f32_e32 v2, v13, v2
	global_store_short_d16_hi v[0:1], v2, off
	v_mul_f32_e32 v0, v20, v2
	v_lshrrev_b32_e32 v13, 16, v0
.LBB195_72:
	s_or_b64 exec, exec, s[6:7]
	v_lshlrev_b32_e32 v14, 8, v14
	s_and_saveexec_b64 s[6:7], s[4:5]
	s_cbranch_execz .LBB195_74
; %bb.73:
	v_mov_b32_e32 v15, 0
	v_lshl_add_u64 v[0:1], v[6:7], 0, v[14:15]
	global_load_ushort v2, v[0:1], off
	v_lshl_add_u64 v[0:1], v[4:5], 0, v[14:15]
	s_waitcnt vmcnt(0)
	v_lshlrev_b32_e32 v2, 16, v2
	v_sub_f32_e32 v2, v2, v3
	global_store_short_d16_hi v[0:1], v2, off
	v_mul_f32_e32 v0, v17, v2
	v_lshrrev_b32_e32 v15, 16, v0
.LBB195_74:
	s_or_b64 exec, exec, s[6:7]
	v_lshlrev_b32_e32 v21, 6, v21
	s_mov_b32 s6, 0x5040100
	v_perm_b32 v24, v11, v9, s6
	v_or_b32_e32 v9, v21, v34
	v_accvgpr_read_b32 v0, a8
	v_perm_b32 v25, v15, v13, s6
	v_lshlrev_b32_e32 v9, 1, v9
	v_accvgpr_read_b32 v1, a9
	v_accvgpr_read_b32 v2, a10
	;; [unrolled: 1-line block ×3, first 2 shown]
	ds_write_b64 v9, v[24:25] offset:24576
	v_mov_b32_e32 v11, 0
	v_mov_b32_e32 v9, 0
	s_and_saveexec_b64 s[6:7], vcc
	s_cbranch_execz .LBB195_76
; %bb.75:
	v_mov_b32_e32 v9, 0
	v_lshl_add_u64 v[24:25], v[6:7], 0, v[8:9]
	global_load_ushort v13, v[24:25], off offset:32
	v_lshl_add_u64 v[24:25], v[4:5], 0, v[8:9]
	s_waitcnt vmcnt(0)
	v_lshlrev_b32_e32 v9, 16, v13
	v_sub_f32_e32 v0, v9, v0
	global_store_short_d16_hi v[24:25], v0, off offset:32
	v_mul_f32_e32 v0, v18, v0
	v_lshrrev_b32_e32 v9, 16, v0
.LBB195_76:
	s_or_b64 exec, exec, s[6:7]
	s_and_saveexec_b64 s[6:7], s[0:1]
	s_cbranch_execz .LBB195_78
; %bb.77:
	v_mov_b32_e32 v11, 0
	v_lshl_add_u64 v[24:25], v[6:7], 0, v[10:11]
	global_load_ushort v0, v[24:25], off offset:32
	v_lshl_add_u64 v[24:25], v[4:5], 0, v[10:11]
	s_waitcnt vmcnt(0)
	v_lshlrev_b32_e32 v0, 16, v0
	v_sub_f32_e32 v0, v0, v1
	global_store_short_d16_hi v[24:25], v0, off offset:32
	v_mul_f32_e32 v0, v16, v0
	v_lshrrev_b32_e32 v11, 16, v0
.LBB195_78:
	s_or_b64 exec, exec, s[6:7]
	v_mov_b32_e32 v15, 0
	v_mov_b32_e32 v13, 0
	s_and_saveexec_b64 s[6:7], s[2:3]
	s_cbranch_execz .LBB195_80
; %bb.79:
	v_mov_b32_e32 v13, 0
	v_lshl_add_u64 v[0:1], v[6:7], 0, v[12:13]
	global_load_ushort v24, v[0:1], off offset:32
	v_lshl_add_u64 v[0:1], v[4:5], 0, v[12:13]
	s_waitcnt vmcnt(0)
	v_lshlrev_b32_e32 v13, 16, v24
	v_sub_f32_e32 v2, v13, v2
	global_store_short_d16_hi v[0:1], v2, off offset:32
	v_mul_f32_e32 v0, v20, v2
	v_lshrrev_b32_e32 v13, 16, v0
.LBB195_80:
	s_or_b64 exec, exec, s[6:7]
	s_and_saveexec_b64 s[6:7], s[4:5]
	s_cbranch_execz .LBB195_82
; %bb.81:
	v_mov_b32_e32 v15, 0
	v_lshl_add_u64 v[0:1], v[6:7], 0, v[14:15]
	global_load_ushort v2, v[0:1], off offset:32
	v_lshl_add_u64 v[0:1], v[4:5], 0, v[14:15]
	s_waitcnt vmcnt(0)
	v_lshlrev_b32_e32 v2, 16, v2
	v_sub_f32_e32 v2, v2, v3
	global_store_short_d16_hi v[0:1], v2, off offset:32
	v_mul_f32_e32 v0, v17, v2
	v_lshrrev_b32_e32 v15, 16, v0
.LBB195_82:
	s_or_b64 exec, exec, s[6:7]
	s_mov_b32 s6, 0x5040100
	v_perm_b32 v24, v11, v9, s6
	v_or_b32_e32 v9, v21, v23
	v_accvgpr_read_b32 v0, a4
	v_perm_b32 v25, v15, v13, s6
	v_lshlrev_b32_e32 v9, 1, v9
	v_accvgpr_read_b32 v1, a5
	v_accvgpr_read_b32 v2, a6
	v_accvgpr_read_b32 v3, a7
	ds_write_b64 v9, v[24:25] offset:24576
	v_mov_b32_e32 v11, 0
	v_mov_b32_e32 v9, 0
	s_and_saveexec_b64 s[6:7], vcc
	s_cbranch_execz .LBB195_84
; %bb.83:
	v_mov_b32_e32 v9, 0
	v_lshl_add_u64 v[24:25], v[6:7], 0, v[8:9]
	global_load_ushort v13, v[24:25], off offset:64
	v_lshl_add_u64 v[24:25], v[4:5], 0, v[8:9]
	s_waitcnt vmcnt(0)
	v_lshlrev_b32_e32 v9, 16, v13
	v_sub_f32_e32 v0, v9, v0
	global_store_short_d16_hi v[24:25], v0, off offset:64
	v_mul_f32_e32 v0, v18, v0
	v_lshrrev_b32_e32 v9, 16, v0
.LBB195_84:
	s_or_b64 exec, exec, s[6:7]
	s_and_saveexec_b64 s[6:7], s[0:1]
	s_cbranch_execz .LBB195_86
; %bb.85:
	v_mov_b32_e32 v11, 0
	v_lshl_add_u64 v[24:25], v[6:7], 0, v[10:11]
	global_load_ushort v0, v[24:25], off offset:64
	v_lshl_add_u64 v[24:25], v[4:5], 0, v[10:11]
	s_waitcnt vmcnt(0)
	v_lshlrev_b32_e32 v0, 16, v0
	v_sub_f32_e32 v0, v0, v1
	global_store_short_d16_hi v[24:25], v0, off offset:64
	v_mul_f32_e32 v0, v16, v0
	v_lshrrev_b32_e32 v11, 16, v0
.LBB195_86:
	s_or_b64 exec, exec, s[6:7]
	v_mov_b32_e32 v15, 0
	v_mov_b32_e32 v13, 0
	s_and_saveexec_b64 s[6:7], s[2:3]
	s_cbranch_execz .LBB195_88
; %bb.87:
	v_mov_b32_e32 v13, 0
	v_lshl_add_u64 v[0:1], v[6:7], 0, v[12:13]
	global_load_ushort v23, v[0:1], off offset:64
	v_lshl_add_u64 v[0:1], v[4:5], 0, v[12:13]
	s_waitcnt vmcnt(0)
	v_lshlrev_b32_e32 v13, 16, v23
	v_sub_f32_e32 v2, v13, v2
	global_store_short_d16_hi v[0:1], v2, off offset:64
	v_mul_f32_e32 v0, v20, v2
	v_lshrrev_b32_e32 v13, 16, v0
.LBB195_88:
	s_or_b64 exec, exec, s[6:7]
	s_and_saveexec_b64 s[6:7], s[4:5]
	s_cbranch_execz .LBB195_90
; %bb.89:
	v_mov_b32_e32 v15, 0
	v_lshl_add_u64 v[0:1], v[6:7], 0, v[14:15]
	global_load_ushort v2, v[0:1], off offset:64
	v_lshl_add_u64 v[0:1], v[4:5], 0, v[14:15]
	s_waitcnt vmcnt(0)
	v_lshlrev_b32_e32 v2, 16, v2
	v_sub_f32_e32 v2, v2, v3
	global_store_short_d16_hi v[0:1], v2, off offset:64
	v_mul_f32_e32 v0, v17, v2
	v_lshrrev_b32_e32 v15, 16, v0
.LBB195_90:
	s_or_b64 exec, exec, s[6:7]
	s_mov_b32 s6, 0x5040100
	v_perm_b32 v24, v11, v9, s6
	v_or_b32_e32 v9, v21, v22
	v_accvgpr_read_b32 v0, a0
	v_perm_b32 v25, v15, v13, s6
	v_lshlrev_b32_e32 v9, 1, v9
	v_accvgpr_read_b32 v1, a1
	v_accvgpr_read_b32 v2, a2
	;; [unrolled: 1-line block ×3, first 2 shown]
	ds_write_b64 v9, v[24:25] offset:24576
	v_mov_b32_e32 v11, 0
	v_mov_b32_e32 v9, 0
	s_and_saveexec_b64 s[6:7], vcc
	s_cbranch_execz .LBB195_92
; %bb.91:
	v_mov_b32_e32 v9, 0
	v_lshl_add_u64 v[22:23], v[6:7], 0, v[8:9]
	global_load_ushort v13, v[22:23], off offset:96
	v_lshl_add_u64 v[8:9], v[4:5], 0, v[8:9]
	s_waitcnt vmcnt(0)
	v_lshlrev_b32_e32 v13, 16, v13
	v_sub_f32_e32 v0, v13, v0
	global_store_short_d16_hi v[8:9], v0, off offset:96
	v_mul_f32_e32 v0, v18, v0
	v_lshrrev_b32_e32 v9, 16, v0
.LBB195_92:
	s_or_b64 exec, exec, s[6:7]
	s_and_saveexec_b64 s[6:7], s[0:1]
	s_cbranch_execz .LBB195_94
; %bb.93:
	v_mov_b32_e32 v11, 0
	v_lshl_add_u64 v[22:23], v[6:7], 0, v[10:11]
	global_load_ushort v0, v[22:23], off offset:96
	v_lshl_add_u64 v[10:11], v[4:5], 0, v[10:11]
	s_waitcnt vmcnt(0)
	v_lshlrev_b32_e32 v0, 16, v0
	v_sub_f32_e32 v0, v0, v1
	global_store_short_d16_hi v[10:11], v0, off offset:96
	v_mul_f32_e32 v0, v16, v0
	v_lshrrev_b32_e32 v11, 16, v0
.LBB195_94:
	s_or_b64 exec, exec, s[6:7]
	v_mov_b32_e32 v0, 0
	v_mov_b32_e32 v1, 0
	s_and_saveexec_b64 s[0:1], s[2:3]
	s_cbranch_execz .LBB195_96
; %bb.95:
	v_mov_b32_e32 v13, 0
	v_lshl_add_u64 v[22:23], v[6:7], 0, v[12:13]
	global_load_ushort v1, v[22:23], off offset:96
	v_lshl_add_u64 v[12:13], v[4:5], 0, v[12:13]
	s_waitcnt vmcnt(0)
	v_lshlrev_b32_e32 v1, 16, v1
	v_sub_f32_e32 v1, v1, v2
	global_store_short_d16_hi v[12:13], v1, off offset:96
	v_mul_f32_e32 v1, v20, v1
	v_lshrrev_b32_e32 v1, 16, v1
.LBB195_96:
	s_or_b64 exec, exec, s[0:1]
	s_and_saveexec_b64 s[0:1], s[4:5]
	s_cbranch_execz .LBB195_98
; %bb.97:
	v_mov_b32_e32 v15, 0
	v_lshl_add_u64 v[6:7], v[6:7], 0, v[14:15]
	global_load_ushort v0, v[6:7], off offset:96
	v_lshl_add_u64 v[4:5], v[4:5], 0, v[14:15]
	s_waitcnt vmcnt(0)
	v_lshlrev_b32_e32 v0, 16, v0
	v_sub_f32_e32 v0, v0, v3
	global_store_short_d16_hi v[4:5], v0, off offset:96
	v_mul_f32_e32 v0, v17, v0
	v_lshrrev_b32_e32 v0, 16, v0
.LBB195_98:
	s_or_b64 exec, exec, s[0:1]
	s_mov_b32 s0, 0x5040100
	v_or_b32_e32 v2, v21, v19
	v_perm_b32 v1, v0, v1, s0
	v_perm_b32 v0, v11, v9, s0
	v_lshlrev_b32_e32 v2, 1, v2
	ds_write_b64 v2, v[0:1] offset:24576
	s_waitcnt lgkmcnt(0)
	s_barrier
.LBB195_99:
	s_endpgm
	.section	.rodata,"a",@progbits
	.p2align	6, 0x0
	.amdhsa_kernel _ZN12_GLOBAL__N_139chunk_gated_delta_rule_fwd_h_hip_kernelILi64ELb1ELb0ELb1ELb1ELb0ELb1ELb1ELb0EEEvPK12hip_bfloat16S3_S3_PKfS5_PKvPS1_S8_PvPKiSB_iiiiilll
		.amdhsa_group_segment_fixed_size 65536
		.amdhsa_private_segment_fixed_size 0
		.amdhsa_kernarg_size 136
		.amdhsa_user_sgpr_count 2
		.amdhsa_user_sgpr_dispatch_ptr 0
		.amdhsa_user_sgpr_queue_ptr 0
		.amdhsa_user_sgpr_kernarg_segment_ptr 1
		.amdhsa_user_sgpr_dispatch_id 0
		.amdhsa_user_sgpr_kernarg_preload_length 0
		.amdhsa_user_sgpr_kernarg_preload_offset 0
		.amdhsa_user_sgpr_private_segment_size 0
		.amdhsa_uses_dynamic_stack 0
		.amdhsa_enable_private_segment 0
		.amdhsa_system_sgpr_workgroup_id_x 1
		.amdhsa_system_sgpr_workgroup_id_y 1
		.amdhsa_system_sgpr_workgroup_id_z 0
		.amdhsa_system_sgpr_workgroup_info 0
		.amdhsa_system_vgpr_workitem_id 0
		.amdhsa_next_free_vgpr 232
		.amdhsa_next_free_sgpr 65
		.amdhsa_accum_offset 192
		.amdhsa_reserve_vcc 1
		.amdhsa_float_round_mode_32 0
		.amdhsa_float_round_mode_16_64 0
		.amdhsa_float_denorm_mode_32 3
		.amdhsa_float_denorm_mode_16_64 3
		.amdhsa_dx10_clamp 1
		.amdhsa_ieee_mode 1
		.amdhsa_fp16_overflow 0
		.amdhsa_tg_split 0
		.amdhsa_exception_fp_ieee_invalid_op 0
		.amdhsa_exception_fp_denorm_src 0
		.amdhsa_exception_fp_ieee_div_zero 0
		.amdhsa_exception_fp_ieee_overflow 0
		.amdhsa_exception_fp_ieee_underflow 0
		.amdhsa_exception_fp_ieee_inexact 0
		.amdhsa_exception_int_div_zero 0
	.end_amdhsa_kernel
	.section	.text._ZN12_GLOBAL__N_139chunk_gated_delta_rule_fwd_h_hip_kernelILi64ELb1ELb0ELb1ELb1ELb0ELb1ELb1ELb0EEEvPK12hip_bfloat16S3_S3_PKfS5_PKvPS1_S8_PvPKiSB_iiiiilll,"axG",@progbits,_ZN12_GLOBAL__N_139chunk_gated_delta_rule_fwd_h_hip_kernelILi64ELb1ELb0ELb1ELb1ELb0ELb1ELb1ELb0EEEvPK12hip_bfloat16S3_S3_PKfS5_PKvPS1_S8_PvPKiSB_iiiiilll,comdat
.Lfunc_end195:
	.size	_ZN12_GLOBAL__N_139chunk_gated_delta_rule_fwd_h_hip_kernelILi64ELb1ELb0ELb1ELb1ELb0ELb1ELb1ELb0EEEvPK12hip_bfloat16S3_S3_PKfS5_PKvPS1_S8_PvPKiSB_iiiiilll, .Lfunc_end195-_ZN12_GLOBAL__N_139chunk_gated_delta_rule_fwd_h_hip_kernelILi64ELb1ELb0ELb1ELb1ELb0ELb1ELb1ELb0EEEvPK12hip_bfloat16S3_S3_PKfS5_PKvPS1_S8_PvPKiSB_iiiiilll
                                        ; -- End function
	.section	.AMDGPU.csdata,"",@progbits
; Kernel info:
; codeLenInByte = 11428
; NumSgprs: 71
; NumVgprs: 192
; NumAgprs: 40
; TotalNumVgprs: 232
; ScratchSize: 0
; MemoryBound: 0
; FloatMode: 240
; IeeeMode: 1
; LDSByteSize: 65536 bytes/workgroup (compile time only)
; SGPRBlocks: 8
; VGPRBlocks: 28
; NumSGPRsForWavesPerEU: 71
; NumVGPRsForWavesPerEU: 232
; AccumOffset: 192
; Occupancy: 1
; WaveLimiterHint : 1
; COMPUTE_PGM_RSRC2:SCRATCH_EN: 0
; COMPUTE_PGM_RSRC2:USER_SGPR: 2
; COMPUTE_PGM_RSRC2:TRAP_HANDLER: 0
; COMPUTE_PGM_RSRC2:TGID_X_EN: 1
; COMPUTE_PGM_RSRC2:TGID_Y_EN: 1
; COMPUTE_PGM_RSRC2:TGID_Z_EN: 0
; COMPUTE_PGM_RSRC2:TIDIG_COMP_CNT: 0
; COMPUTE_PGM_RSRC3_GFX90A:ACCUM_OFFSET: 47
; COMPUTE_PGM_RSRC3_GFX90A:TG_SPLIT: 0
	.section	.text._ZN12_GLOBAL__N_139chunk_gated_delta_rule_fwd_h_hip_kernelILi64ELb1ELb0ELb0ELb1ELb0ELb1ELb1ELb0EEEvPK12hip_bfloat16S3_S3_PKfS5_PKvPS1_S8_PvPKiSB_iiiiilll,"axG",@progbits,_ZN12_GLOBAL__N_139chunk_gated_delta_rule_fwd_h_hip_kernelILi64ELb1ELb0ELb0ELb1ELb0ELb1ELb1ELb0EEEvPK12hip_bfloat16S3_S3_PKfS5_PKvPS1_S8_PvPKiSB_iiiiilll,comdat
	.globl	_ZN12_GLOBAL__N_139chunk_gated_delta_rule_fwd_h_hip_kernelILi64ELb1ELb0ELb0ELb1ELb0ELb1ELb1ELb0EEEvPK12hip_bfloat16S3_S3_PKfS5_PKvPS1_S8_PvPKiSB_iiiiilll ; -- Begin function _ZN12_GLOBAL__N_139chunk_gated_delta_rule_fwd_h_hip_kernelILi64ELb1ELb0ELb0ELb1ELb0ELb1ELb1ELb0EEEvPK12hip_bfloat16S3_S3_PKfS5_PKvPS1_S8_PvPKiSB_iiiiilll
	.p2align	8
	.type	_ZN12_GLOBAL__N_139chunk_gated_delta_rule_fwd_h_hip_kernelILi64ELb1ELb0ELb0ELb1ELb0ELb1ELb1ELb0EEEvPK12hip_bfloat16S3_S3_PKfS5_PKvPS1_S8_PvPKiSB_iiiiilll,@function
_ZN12_GLOBAL__N_139chunk_gated_delta_rule_fwd_h_hip_kernelILi64ELb1ELb0ELb0ELb1ELb0ELb1ELb1ELb0EEEvPK12hip_bfloat16S3_S3_PKfS5_PKvPS1_S8_PvPKiSB_iiiiilll: ; @_ZN12_GLOBAL__N_139chunk_gated_delta_rule_fwd_h_hip_kernelILi64ELb1ELb0ELb0ELb1ELb0ELb1ELb1ELb0EEEvPK12hip_bfloat16S3_S3_PKfS5_PKvPS1_S8_PvPKiSB_iiiiilll
; %bb.0:
	s_load_dwordx4 s[12:15], s[0:1], 0x5c
	s_load_dwordx4 s[20:23], s[0:1], 0x70
	s_abs_i32 s9, s3
	s_ashr_i32 s8, s3, 31
	s_load_dwordx4 s[4:7], s[0:1], 0x48
	s_waitcnt lgkmcnt(0)
	s_abs_i32 s10, s13
	v_cvt_f32_u32_e32 v1, s10
	s_sub_i32 s16, 0, s10
	s_ashr_i32 s11, s13, 31
	s_xor_b32 s8, s8, s11
	v_rcp_iflag_f32_e32 v1, v1
	v_and_b32_e32 v88, 15, v0
	v_lshrrev_b32_e32 v86, 6, v0
	v_bfe_u32 v87, v0, 4, 2
	v_mul_f32_e32 v1, 0x4f7ffffe, v1
	v_cvt_u32_f32_e32 v1, v1
	v_mov_b32_e32 v11, 0
	v_and_b32_e32 v77, 63, v0
	v_lshrrev_b32_e32 v90, 3, v77
	v_readfirstlane_b32 s17, v1
	s_mul_i32 s16, s16, s17
	s_mul_hi_u32 s16, s17, s16
	s_add_i32 s17, s17, s16
	s_mul_hi_u32 s16, s9, s17
	s_mul_i32 s17, s16, s10
	s_sub_i32 s9, s9, s17
	s_add_i32 s18, s16, 1
	s_sub_i32 s17, s9, s10
	s_cmp_ge_u32 s9, s10
	s_cselect_b32 s16, s18, s16
	s_cselect_b32 s9, s17, s9
	s_add_i32 s17, s16, 1
	s_cmp_ge_u32 s9, s10
	s_cselect_b32 s9, s17, s16
	s_load_dwordx4 s[16:19], s[0:1], 0x28
	s_xor_b32 s9, s9, s8
	s_sub_i32 s24, s9, s8
	s_mul_i32 s28, s24, s13
	s_ashr_i32 s25, s24, 31
	s_sub_i32 s47, s3, s28
	s_lshl_b64 s[8:9], s[24:25], 2
	s_add_u32 s4, s4, s8
	s_addc_u32 s5, s5, s9
	s_add_u32 s26, s6, s8
	s_addc_u32 s27, s7, s9
	s_abs_i32 s3, s14
	v_cvt_f32_u32_e32 v1, s3
	s_load_dwordx2 s[30:31], s[4:5], 0x0
	s_lshl_b32 s38, s2, 6
	s_ashr_i32 s2, s14, 31
	v_rcp_iflag_f32_e32 v1, v1
	s_xor_b32 s2, s11, s2
	s_waitcnt lgkmcnt(0)
	s_sub_i32 s50, s31, s30
	s_ashr_i32 s4, s50, 31
	v_mul_f32_e32 v1, 0x4f7ffffe, v1
	v_cvt_u32_f32_e32 v1, v1
	s_lshr_b32 s4, s4, 26
	s_add_i32 s4, s50, s4
	s_ashr_i32 s49, s4, 6
	s_sub_i32 s4, 0, s3
	v_readfirstlane_b32 s5, v1
	s_mul_i32 s4, s4, s5
	s_mul_hi_u32 s4, s5, s4
	s_add_i32 s5, s5, s4
	s_mul_hi_u32 s4, s10, s5
	s_mul_i32 s5, s4, s3
	s_sub_i32 s5, s10, s5
	s_add_i32 s6, s4, 1
	s_sub_i32 s7, s5, s3
	s_cmp_ge_u32 s5, s3
	s_cselect_b32 s4, s6, s4
	s_cselect_b32 s5, s7, s5
	s_add_i32 s6, s4, 1
	s_cmp_ge_u32 s5, s3
	s_cselect_b32 s3, s6, s4
	s_xor_b32 s3, s3, s2
	s_sub_i32 s2, s3, s2
	s_abs_i32 s3, s2
	v_cvt_f32_u32_e32 v1, s3
	s_sub_i32 s5, 0, s3
	s_abs_i32 s4, s47
	s_xor_b32 s2, s47, s2
	v_rcp_iflag_f32_e32 v1, v1
	s_ashr_i32 s2, s2, 31
	v_or_b32_e32 v78, s38, v88
	v_lshlrev_b32_e32 v2, 7, v78
	v_mul_f32_e32 v1, 0x4f7ffffe, v1
	v_cvt_u32_f32_e32 v1, v1
	v_ashrrev_i32_e32 v3, 31, v2
	s_mul_hi_i32 s53, s47, s12
	s_mul_i32 s54, s47, s12
	v_readfirstlane_b32 s6, v1
	s_mul_i32 s5, s5, s6
	s_mul_hi_u32 s5, s6, s5
	s_add_i32 s6, s6, s5
	s_mul_hi_u32 s5, s4, s6
	s_mul_i32 s6, s5, s3
	s_sub_i32 s4, s4, s6
	s_add_i32 s6, s5, 1
	s_sub_i32 s7, s4, s3
	s_cmp_ge_u32 s4, s3
	s_cselect_b32 s5, s6, s5
	s_cselect_b32 s4, s7, s4
	s_add_i32 s6, s5, 1
	s_cmp_ge_u32 s4, s3
	s_cselect_b32 s3, s6, s5
	s_xor_b32 s3, s3, s2
	s_sub_i32 s51, s3, s2
	s_ashr_i32 s48, s47, 31
	s_mul_hi_i32 s3, s24, s13
	s_add_u32 s2, s28, s47
	s_addc_u32 s3, s3, s48
	s_lshl_b64 s[2:3], s[2:3], 16
	v_lshlrev_b32_e32 v1, 4, v86
	s_add_u32 s2, s16, s2
	v_lshl_or_b32 v91, v87, 2, v1
	s_addc_u32 s3, s17, s3
	v_lshl_add_u64 v[4:5], v[2:3], 2, s[2:3]
	v_lshlrev_b32_e32 v10, 2, v91
	v_lshl_add_u64 v[4:5], v[4:5], 0, v[10:11]
	global_load_dwordx4 v[22:25], v[4:5], off
	global_load_dwordx4 v[30:33], v[4:5], off offset:256
	v_or_b32_e32 v4, 0x800, v2
	v_ashrrev_i32_e32 v5, 31, v4
	v_lshl_add_u64 v[4:5], v[4:5], 2, s[2:3]
	v_lshl_add_u64 v[4:5], v[4:5], 0, v[10:11]
	global_load_dwordx4 v[14:17], v[4:5], off
	global_load_dwordx4 v[26:29], v[4:5], off offset:256
	v_or_b32_e32 v4, 0x1000, v2
	v_or_b32_e32 v2, 0x1800, v2
	v_ashrrev_i32_e32 v5, 31, v4
	v_ashrrev_i32_e32 v3, 31, v2
	v_lshl_add_u64 v[4:5], v[4:5], 2, s[2:3]
	v_lshl_add_u64 v[2:3], v[2:3], 2, s[2:3]
	;; [unrolled: 1-line block ×4, first 2 shown]
	global_load_dwordx4 v[6:9], v[4:5], off
	global_load_dwordx4 v[18:21], v[4:5], off offset:256
	s_nop 0
	global_load_dwordx4 v[2:5], v[34:35], off
	global_load_dwordx4 v[10:13], v[34:35], off offset:256
	s_load_dwordx8 s[4:11], s[0:1], 0x0
	s_load_dwordx2 s[28:29], s[0:1], 0x80
	s_load_dword s52, s[26:27], 0x0
	v_or_b32_e32 v92, 64, v91
	s_cmp_lt_i32 s50, 64
	v_lshlrev_b32_e32 v89, 3, v0
	s_mul_i32 s33, s24, s21
	s_mul_hi_u32 s43, s24, s20
	s_mul_i32 s42, s25, s20
	s_mul_i32 s36, s24, s20
	;; [unrolled: 1-line block ×3, first 2 shown]
	s_mul_hi_u32 s45, s47, s22
	s_mul_i32 s46, s48, s22
	s_mul_i32 s34, s47, s22
	s_cbranch_scc1 .LBB196_18
; %bb.1:
	s_ashr_i32 s3, s30, 31
	s_add_u32 s2, s54, s30
	s_addc_u32 s3, s53, s3
	s_lshl_b64 s[2:3], s[2:3], 8
	v_and_b32_e32 v94, 56, v89
	s_waitcnt lgkmcnt(0)
	s_add_u32 s20, s6, s2
	v_lshl_or_b32 v93, v86, 3, v90
	v_lshlrev_b32_e32 v34, 1, v94
	s_addc_u32 s2, s7, s3
	v_lshl_or_b32 v95, v93, 8, v34
	s_and_b32 s21, s2, 0xffff
	s_mov_b32 s23, 0x20000
	s_movk_i32 s22, 0x4000
	s_movk_i32 s2, 0x80
	v_or_b32_e32 v96, 0x2000, v95
	buffer_load_dwordx4 v[36:39], v95, s[20:23], 0 offen
	buffer_load_dwordx4 v[40:43], v95, s[20:23], s2 offen
	;; [unrolled: 1-line block ×4, first 2 shown]
	v_lshlrev_b32_e32 v35, 3, v93
	v_and_or_b32 v53, v0, 7, v35
	v_and_b32_e32 v35, 0x78, v35
	v_lshlrev_b32_e32 v53, 4, v53
	v_xor_b32_e32 v97, v53, v35
	v_mul_lo_u32 v52, v93, s15
	v_or_b32_e32 v98, 0x1000, v97
	v_xor_b32_e32 v35, 8, v97
	s_cmpk_eq_i32 s15, 0x80
	s_mov_b32 s55, s30
	v_xor_b32_e32 v53, 8, v98
	s_cselect_b64 s[2:3], -1, 0
	s_cmpk_lg_i32 s15, 0x80
	s_waitcnt vmcnt(3)
	ds_write_b64 v97, v[36:37] offset:49152
	ds_write_b64 v35, v[38:39] offset:49152
	s_waitcnt vmcnt(2)
	ds_write_b64 v97, v[40:41] offset:57344
	ds_write_b64 v35, v[42:43] offset:57344
	;; [unrolled: 3-line block ×4, first 2 shown]
	v_lshl_add_u32 v35, v52, 1, v94
	s_cbranch_scc0 .LBB196_3
; %bb.2:
	v_lshlrev_b32_e32 v37, 1, v35
	v_add_lshl_u32 v36, v35, s15, 1
	s_lshl_b32 s22, s15, 7
	s_load_dwordx2 s[16:17], s[0:1], 0x20
	v_lshl_or_b32 v34, v93, 9, v34
	s_cbranch_execz .LBB196_4
	s_branch .LBB196_5
.LBB196_3:
                                        ; implicit-def: $vgpr36
                                        ; implicit-def: $vgpr37
                                        ; implicit-def: $sgpr22
	s_load_dwordx2 s[16:17], s[0:1], 0x20
	v_lshl_or_b32 v34, v93, 9, v34
.LBB196_4:
	v_or_b32_e32 v36, 0x100, v34
	s_movk_i32 s22, 0x4000
	v_mov_b32_e32 v37, v34
.LBB196_5:
	s_mul_i32 s0, s30, s14
	s_ashr_i32 s56, s51, 31
	s_mul_hi_i32 s1, s30, s14
	s_add_u32 s0, s0, s51
	s_addc_u32 s1, s1, s56
	s_lshl_b64 s[0:1], s[0:1], 8
	s_add_u32 s20, s4, s0
	s_addc_u32 s0, s5, s1
	s_and_b32 s21, s0, 0xffff
	s_movk_i32 s57, 0x80
	buffer_load_dwordx4 v[38:41], v37, s[20:23], 0 offen
	buffer_load_dwordx4 v[42:45], v37, s[20:23], s57 offen
	;; [unrolled: 1-line block ×4, first 2 shown]
	v_and_b32_e32 v37, 6, v0
	v_lshlrev_b32_e32 v36, 7, v91
	v_xor_b32_e32 v59, v93, v37
	v_and_b32_e32 v54, 1, v0
	v_lshl_or_b32 v62, v88, 3, v36
	v_lshlrev_b32_e32 v59, 2, v59
	v_lshlrev_b32_e32 v55, 2, v88
	v_or_b32_e32 v99, 0x4000, v62
	v_or_b32_e32 v100, 0x6000, v62
	v_xor_b32_e32 v62, 0x440, v59
	v_cmp_eq_u32_e32 vcc, 0, v54
	v_or_b32_e32 v57, 16, v88
	v_or_b32_e32 v58, 32, v88
	v_xor_b32_e32 v60, v91, v55
	v_xor_b32_e32 v61, v92, v55
	v_cndmask_b32_e32 v54, v62, v59, vcc
	s_mov_b32 s58, 0x1000504
	v_lshl_or_b32 v63, v57, 3, v36
	v_lshlrev_b32_e32 v57, 8, v57
	v_lshl_or_b32 v64, v58, 3, v36
	v_lshlrev_b32_e32 v60, 1, v60
	v_lshlrev_b32_e32 v61, 1, v61
	v_lshl_or_b32 v37, v37, 10, v54
	s_add_i32 s0, s43, s33
	s_mov_b32 s59, 0x3020706
	v_lshlrev_b32_e32 v56, 8, v88
	v_or_b32_e32 v103, 0x4000, v64
	v_or_b32_e32 v104, 0x6000, v64
	;; [unrolled: 1-line block ×4, first 2 shown]
	v_xor_b32_e32 v54, 8, v37
	v_xor_b32_e32 v57, 24, v37
	;; [unrolled: 1-line block ×4, first 2 shown]
	s_add_i32 s37, s0, s42
	s_add_i32 s0, s45, s44
	v_or_b32_e32 v101, 0x4000, v63
	v_or_b32_e32 v102, 0x6000, v63
	;; [unrolled: 1-line block ×4, first 2 shown]
	v_xor_b32_e32 v56, 16, v37
	v_xor_b32_e32 v59, 32, v37
	;; [unrolled: 1-line block ×3, first 2 shown]
	v_add_u32_e32 v54, 0x80, v54
	v_add_u32_e32 v57, 0x80, v57
	;; [unrolled: 1-line block ×4, first 2 shown]
	s_add_i32 s35, s0, s46
	s_lshl_b64 s[0:1], s[36:37], 2
	s_add_u32 s20, s10, s0
	s_addc_u32 s21, s11, s1
	s_lshl_b64 s[0:1], s[34:35], 2
	s_add_u32 s40, s20, s0
	s_movk_i32 s0, 0xf8
	s_addc_u32 s41, s21, s1
	s_ashr_i32 s39, s38, 31
	s_lshl_b32 s26, s15, 7
	v_mov_b32_e32 v81, 0
	s_movk_i32 s20, 0x100
	v_lshlrev_b32_e32 v80, 4, v88
	v_lshlrev_b32_e32 v58, 8, v58
	v_ashrrev_i32_e32 v79, 31, v78
	s_mov_b32 s60, 0
	s_movk_i32 s22, 0x4000
	v_or_b32_e32 v109, v58, v60
	v_or_b32_e32 v110, v58, v61
	v_lshl_add_u64 v[82:83], v[78:79], 1, s[8:9]
	s_mov_b32 s35, 0x7060302
	s_movk_i32 s37, 0x2000
	v_mov_b32_e32 v144, 0x3fb8aa3b
	s_waitcnt vmcnt(1)
	v_perm_b32 v65, v38, v46, s58
	s_waitcnt vmcnt(0)
	v_perm_b32 v66, v42, v50, s58
	v_perm_b32 v38, v38, v46, s59
	v_perm_b32 v42, v42, v50, s59
	v_perm_b32 v46, v39, v47, s58
	v_perm_b32 v50, v43, v51, s58
	v_perm_b32 v39, v39, v47, s59
	v_perm_b32 v43, v43, v51, s59
	v_perm_b32 v47, v40, v48, s58
	v_perm_b32 v51, v44, v52, s58
	v_perm_b32 v40, v40, v48, s59
	v_perm_b32 v44, v44, v52, s59
	v_perm_b32 v48, v41, v49, s58
	v_perm_b32 v52, v45, v53, s58
	v_perm_b32 v41, v41, v49, s59
	v_perm_b32 v45, v45, v53, s59
	ds_write2st64_b32 v37, v65, v66 offset0:128 offset1:160
	ds_write2st64_b32 v54, v38, v42 offset0:128 offset1:160
	;; [unrolled: 1-line block ×8, first 2 shown]
	v_or_b32_e32 v37, 48, v88
	v_lshl_or_b32 v38, v37, 3, v36
	v_lshlrev_b32_e32 v37, 8, v37
	v_or_b32_e32 v113, v37, v60
	v_or_b32_e32 v114, v37, v61
	;; [unrolled: 1-line block ×3, first 2 shown]
	v_lshlrev_b32_e32 v37, 3, v37
	v_lshrrev_b32_e32 v39, 5, v77
	v_and_or_b32 v39, v37, s0, v39
	v_lshlrev_b32_e32 v39, 4, v39
	v_or_b32_e32 v111, 0x4000, v38
	v_or_b32_e32 v112, 0x6000, v38
	v_lshrrev_b32_e32 v38, 2, v77
	v_lshlrev_b32_e32 v41, 11, v86
	v_and_b32_e32 v37, 0x78, v37
	v_or_b32_e32 v45, 32, v39
	v_and_b32_e32 v40, 12, v38
	v_and_b32_e32 v38, 0x1000, v41
	v_xor_b32_e32 v42, v39, v37
	v_lshrrev_b32_e32 v43, 1, v77
	v_xor_b32_e32 v45, v45, v37
	v_or_b32_e32 v42, v42, v38
	v_and_b32_e32 v43, 8, v43
	v_or_b32_e32 v45, v45, v38
	v_xor_b32_e32 v115, v42, v43
	v_lshlrev_b32_e32 v42, 8, v87
	v_xor_b32_e32 v117, v45, v43
	v_or_b32_e32 v45, 64, v39
	v_or_b32_e32 v39, 0x60, v39
	;; [unrolled: 1-line block ×3, first 2 shown]
	v_xor_b32_e32 v45, v45, v37
	v_xor_b32_e32 v37, v39, v37
	s_lshl_b64 s[0:1], s[38:39], 8
	v_lshlrev_b32_e32 v44, 1, v44
	v_or_b32_e32 v45, v45, v38
	v_or_b32_e32 v37, v37, v38
	s_add_u32 s0, s18, s0
	v_lshlrev_b32_e32 v38, 1, v88
	v_lshlrev_b32_e32 v47, 2, v0
	v_or_b32_e32 v116, 0x4000, v44
	v_or_b32_e32 v118, 0x4080, v44
	;; [unrolled: 1-line block ×4, first 2 shown]
	v_xor_b32_e32 v121, v45, v43
	v_xor_b32_e32 v122, v37, v43
	v_or_b32_e32 v123, 0x6000, v44
	v_or_b32_e32 v124, 0x6080, v44
	;; [unrolled: 1-line block ×4, first 2 shown]
	v_lshlrev_b32_e32 v37, 1, v35
	v_add_lshl_u32 v35, v35, s15, 1
	v_or_b32_e32 v43, 0x100, v34
	v_lshrrev_b32_e32 v44, 4, v0
	s_addc_u32 s1, s19, s1
	v_or_b32_e32 v39, 1, v38
	v_lshrrev_b32_e32 v48, 1, v0
	v_and_or_b32 v42, v47, 60, v42
	v_xor_b32_e32 v45, v44, v38
	v_xor_b32_e32 v46, v39, v44
	v_lshl_add_u64 v[38:39], s[0:1], 0, v[80:81]
	v_and_b32_e32 v48, 24, v48
	v_lshlrev_b32_e32 v42, 1, v42
	v_cndmask_b32_e64 v133, v37, v34, s[2:3]
	v_cndmask_b32_e64 v134, v35, v43, s[2:3]
	v_mov_b32_e32 v35, 0xa000
	v_mov_b32_e32 v37, 0x8000
	v_cmp_gt_u32_e64 s[0:1], s20, v0
	v_lshlrev_b32_e32 v80, 8, v44
	v_or_b32_e32 v129, 0x6000, v42
	v_or_b32_e32 v47, 32, v48
	;; [unrolled: 1-line block ×6, first 2 shown]
	v_cndmask_b32_e64 v35, v35, v37, s[0:1]
	v_lshlrev_b32_e32 v37, 3, v86
	v_lshl_or_b32 v127, v45, 3, v80
	v_and_b32_e32 v45, 8, v0
	v_xor_b32_e32 v43, v37, v48
	v_xor_b32_e32 v47, v37, v47
	;; [unrolled: 1-line block ×3, first 2 shown]
	v_mov_b32_e32 v49, 0x400
	v_cmp_eq_u32_e32 vcc, 0, v45
	v_or_b32_e32 v48, 0x440, v43
	v_or_b32_e32 v50, 0x440, v47
	v_xor_b32_e32 v42, 0x440, v37
	v_and_b32_e32 v44, 7, v0
	v_cndmask_b32_e64 v45, v49, 64, vcc
	v_cndmask_b32_e32 v48, v48, v43, vcc
	v_cndmask_b32_e32 v47, v50, v47, vcc
	;; [unrolled: 1-line block ×3, first 2 shown]
	v_lshl_or_b32 v128, v46, 3, v80
	v_lshlrev_b32_e32 v46, 3, v44
	v_or_b32_e32 v48, v48, v41
	v_or_b32_e32 v47, v47, v41
	v_or3_b32 v43, v41, v45, v43
	v_or_b32_e32 v37, v37, v41
	v_lshlrev_b32_e32 v44, 7, v44
	v_xor_b32_e32 v48, v48, v46
	v_xor_b32_e32 v47, v47, v46
	;; [unrolled: 1-line block ×4, first 2 shown]
	v_or_b32_e32 v34, v1, v40
	v_add_u32_e32 v49, v35, v48
	v_add_u32_e32 v50, v35, v47
	v_or_b32_e32 v135, v43, v44
	v_add_u32_e32 v41, v35, v37
	v_or3_b32 v40, v1, v40, 64
	v_add_u32_e32 v42, 0xa000, v48
	v_add_u32_e32 v43, 0xa000, v47
	;; [unrolled: 1-line block ×3, first 2 shown]
	v_lshl_add_u64 v[84:85], v[38:39], 0, v[80:81]
	v_lshlrev_b32_e32 v80, 1, v36
	s_movk_i32 s39, 0x3000
	v_lshlrev_b32_e32 v79, 2, v34
	v_add_u32_e32 v136, v49, v44
	v_add_u32_e32 v137, v50, v44
	;; [unrolled: 1-line block ×4, first 2 shown]
	v_lshlrev_b32_e32 v140, 2, v40
	v_add_u32_e32 v141, v42, v44
	v_add_u32_e32 v142, v43, v44
	;; [unrolled: 1-line block ×3, first 2 shown]
	s_waitcnt lgkmcnt(0)
	s_barrier
.LBB196_6:                              ; =>This Inner Loop Header: Depth=1
	s_add_i32 s61, s60, 1
	s_cmp_lt_i32 s61, s49
	s_mov_b64 s[24:25], 0
	s_cselect_b64 s[2:3], -1, 0
	s_cmp_ge_i32 s61, s49
	s_mov_b64 s[20:21], 0
	s_cbranch_scc1 .LBB196_8
; %bb.7:                                ;   in Loop: Header=BB196_6 Depth=1
	s_add_i32 s0, s55, 64
	s_ashr_i32 s1, s0, 31
	s_add_u32 s0, s54, s0
	s_addc_u32 s1, s53, s1
	s_lshl_b64 s[0:1], s[0:1], 8
	s_add_u32 s20, s6, s0
	s_addc_u32 s21, s7, s1
.LBB196_8:                              ;   in Loop: Header=BB196_6 Depth=1
	v_cndmask_b32_e64 v34, 0, 1, s[2:3]
	v_cmp_ne_u32_e64 s[0:1], 1, v34
	s_andn2_b64 vcc, exec, s[2:3]
	s_cbranch_vccnz .LBB196_10
; %bb.9:                                ;   in Loop: Header=BB196_6 Depth=1
	s_add_i32 s2, s55, 64
	s_mul_hi_i32 s3, s2, s14
	s_mul_i32 s2, s2, s14
	s_add_u32 s2, s2, s51
	s_addc_u32 s3, s3, s56
	s_lshl_b64 s[2:3], s[2:3], 8
	s_add_u32 s24, s4, s2
	s_addc_u32 s25, s5, s3
.LBB196_10:                             ;   in Loop: Header=BB196_6 Depth=1
	v_perm_b32 v35, v25, v24, s35
	v_perm_b32 v34, v23, v22, s35
	v_perm_b32 v37, v33, v32, s35
	v_perm_b32 v36, v31, v30, s35
	ds_write_b64 v99, v[34:35]
	ds_write_b64 v100, v[36:37]
	ds_write_b64 v105, v[34:35]
	ds_write_b64 v106, v[36:37]
	v_perm_b32 v35, v17, v16, s35
	v_perm_b32 v34, v15, v14, s35
	v_perm_b32 v37, v29, v28, s35
	v_perm_b32 v36, v27, v26, s35
	ds_write_b64 v101, v[34:35]
	ds_write_b64 v102, v[36:37]
	ds_write_b64 v107, v[34:35]
	ds_write_b64 v108, v[36:37]
	;; [unrolled: 8-line block ×4, first 2 shown]
	s_waitcnt lgkmcnt(0)
	s_barrier
	ds_read_b64 v[38:39], v115 offset:49152
	ds_read2_b64 v[34:37], v116 offset1:16
	ds_read_b64 v[50:51], v118 offset:6144
	ds_read_b64 v[52:53], v116 offset:6144
	s_waitcnt lgkmcnt(2)
	v_mfma_f32_16x16x16_bf16 a[0:3], v[38:39], v[34:35], 0
	ds_read_b64 v[54:55], v117 offset:49152
	ds_read2st64_b64 v[42:45], v119 offset0:4 offset1:8
	ds_read2st64_b64 v[46:49], v120 offset0:4 offset1:8
	v_mfma_f32_16x16x16_bf16 a[4:7], v[38:39], v[36:37], 0
	ds_read2_b64 v[34:37], v116 offset0:32 offset1:48
	s_add_i32 s62, s55, 63
	s_ashr_i32 s2, s62, 31
	s_waitcnt lgkmcnt(0)
	v_mfma_f32_16x16x16_bf16 a[8:11], v[38:39], v[34:35], 0
	s_mul_i32 s3, s62, s29
	s_mul_hi_u32 s27, s62, s28
	s_add_i32 s3, s27, s3
	v_mfma_f32_16x16x16_bf16 a[12:15], v[38:39], v[36:37], 0
	ds_read2st64_b64 v[34:37], v116 offset0:4 offset1:8
	ds_read2st64_b64 v[38:41], v118 offset0:4 offset1:8
	s_mul_i32 s2, s2, s28
	s_waitcnt lgkmcnt(1)
	v_mfma_f32_16x16x16_bf16 a[0:3], v[54:55], v[34:35], a[0:3]
	s_add_i32 s3, s3, s2
	s_mul_i32 s2, s62, s28
	s_lshl_b64 s[2:3], s[2:3], 2
	s_waitcnt lgkmcnt(0)
	v_mfma_f32_16x16x16_bf16 a[4:7], v[54:55], v[38:39], a[4:7]
	s_add_u32 s2, s40, s2
	s_addc_u32 s3, s41, s3
	s_and_b64 vcc, exec, s[0:1]
	v_mfma_f32_16x16x16_bf16 a[8:11], v[54:55], v[42:43], a[8:11]
	ds_read_b64 v[34:35], v121 offset:49152
	ds_read_b64 v[38:39], v122 offset:49152
	;; [unrolled: 1-line block ×3, first 2 shown]
	v_mov_b32_e32 v147, 0
	v_mov_b32_e32 v146, 0
	v_mfma_f32_16x16x16_bf16 a[12:15], v[54:55], v[46:47], a[12:15]
	v_mov_b32_e32 v145, 0
	v_mov_b32_e32 v46, 0
	;; [unrolled: 1-line block ×3, first 2 shown]
	s_waitcnt lgkmcnt(2)
	v_mfma_f32_16x16x16_bf16 a[0:3], v[34:35], v[36:37], a[0:3]
	v_mov_b32_e32 v36, 0
	v_mov_b32_e32 v37, 0
	v_mfma_f32_16x16x16_bf16 a[16:19], v[34:35], v[40:41], a[4:7]
	v_mov_b32_e32 v40, 0
	v_mov_b32_e32 v41, 0
	;; [unrolled: 3-line block ×3, first 2 shown]
	v_mfma_f32_16x16x16_bf16 a[24:27], v[34:35], v[48:49], a[12:15]
	ds_read_b64 v[34:35], v119 offset:6144
	v_mov_b32_e32 v48, 0
	v_mov_b32_e32 v49, 0
	s_waitcnt lgkmcnt(2)
	v_mfma_f32_16x16x16_bf16 a[4:7], v[38:39], v[52:53], a[0:3]
	v_mfma_f32_16x16x16_bf16 a[8:11], v[38:39], v[50:51], a[16:19]
	s_waitcnt lgkmcnt(0)
	v_mfma_f32_16x16x16_bf16 a[12:15], v[38:39], v[34:35], a[20:23]
	v_mov_b32_e32 v34, 0
	v_mov_b32_e32 v35, 0
	v_mfma_f32_16x16x16_bf16 a[0:3], v[38:39], v[42:43], a[24:27]
	v_mov_b32_e32 v38, 0
	v_mov_b32_e32 v39, 0
	;; [unrolled: 1-line block ×4, first 2 shown]
	s_cbranch_vccnz .LBB196_12
; %bb.11:                               ;   in Loop: Header=BB196_6 Depth=1
	s_and_b32 s21, s21, 0xffff
	buffer_load_dwordx4 v[46:49], v95, s[20:23], 0 offen
	buffer_load_dwordx4 v[42:45], v95, s[20:23], s57 offen
	;; [unrolled: 1-line block ×4, first 2 shown]
	v_mov_b32_e32 v146, v97
	v_mov_b32_e32 v145, v98
.LBB196_12:                             ;   in Loop: Header=BB196_6 Depth=1
	ds_read_b64 v[66:67], v115 offset:57344
	ds_read2_b64 v[50:53], v123 offset1:16
	ds_read_b64 v[68:69], v117 offset:57344
	ds_read_b64 v[70:71], v121 offset:57344
	;; [unrolled: 1-line block ×3, first 2 shown]
	v_add_u32_e32 v74, s55, v91
	s_waitcnt lgkmcnt(3)
	v_mfma_f32_16x16x16_bf16 a[4:7], v[66:67], v[50:51], a[4:7]
	v_mfma_f32_16x16x16_bf16 a[8:11], v[66:67], v[52:53], a[8:11]
	ds_read2_b64 v[50:53], v123 offset0:32 offset1:48
	ds_read2st64_b64 v[54:57], v123 offset0:4 offset1:8
	ds_read2st64_b64 v[58:61], v124 offset0:4 offset1:8
	ds_read2st64_b64 v[62:65], v125 offset0:4 offset1:8
	s_waitcnt lgkmcnt(3)
	v_mfma_f32_16x16x16_bf16 a[12:15], v[66:67], v[50:51], a[12:15]
	v_ashrrev_i32_e32 v50, 31, v74
	v_mfma_f32_16x16x16_bf16 a[0:3], v[66:67], v[52:53], a[0:3]
	v_mul_lo_u32 v52, v50, s28
	v_mul_lo_u32 v53, v74, s29
	v_mad_u64_u32 v[50:51], s[20:21], v74, s28, 0
	v_add3_u32 v51, v51, v53, v52
	v_add_u32_e32 v52, 1, v74
	v_ashrrev_i32_e32 v53, 31, v52
	s_waitcnt lgkmcnt(2)
	v_mfma_f32_16x16x16_bf16 a[4:7], v[68:69], v[54:55], a[4:7]
	v_mul_lo_u32 v54, v53, s28
	v_mul_lo_u32 v55, v52, s29
	v_mad_u64_u32 v[52:53], s[20:21], v52, s28, 0
	v_add3_u32 v53, v53, v55, v54
	v_add_u32_e32 v54, 2, v74
	v_ashrrev_i32_e32 v55, 31, v54
	s_waitcnt lgkmcnt(1)
	v_mfma_f32_16x16x16_bf16 a[8:11], v[68:69], v[58:59], a[8:11]
	v_mul_lo_u32 v58, v55, s28
	v_mul_lo_u32 v59, v54, s29
	v_mad_u64_u32 v[54:55], s[20:21], v54, s28, 0
	v_add3_u32 v55, v55, v59, v58
	v_add_u32_e32 v58, 3, v74
	v_ashrrev_i32_e32 v59, 31, v58
	v_mul_lo_u32 v66, v59, s28
	v_mul_lo_u32 v67, v58, s29
	v_mad_u64_u32 v[58:59], s[20:21], v58, s28, 0
	s_ashr_i32 s21, s55, 31
	s_add_u32 s20, s54, s55
	v_lshl_add_u64 v[50:51], v[50:51], 2, s[40:41]
	v_add3_u32 v59, v59, v67, v66
	s_addc_u32 s21, s53, s21
	v_lshl_add_u64 v[52:53], v[52:53], 2, s[40:41]
	global_load_dword v74, v[50:51], off
	v_lshl_add_u64 v[50:51], v[58:59], 2, s[40:41]
	s_lshl_b64 s[20:21], s[20:21], 8
	v_lshl_add_u64 v[54:55], v[54:55], 2, s[40:41]
	global_load_dword v66, v[52:53], off
	global_load_dword v67, v[54:55], off
	;; [unrolled: 1-line block ×3, first 2 shown]
	v_lshl_add_u64 v[50:51], v[82:83], 0, s[20:21]
	v_lshl_add_u64 v[54:55], v[50:51], 0, v[80:81]
	global_load_ushort v76, v[54:55], off offset:256
	global_load_ushort v148, v[54:55], off
	ds_read2st64_b64 v[50:53], v126 offset0:4 offset1:8
	global_load_ushort v149, v[54:55], off offset:768
	global_load_ushort v150, v[54:55], off offset:512
	s_waitcnt lgkmcnt(1)
	v_mfma_f32_16x16x16_bf16 a[12:15], v[68:69], v[62:63], a[12:15]
	s_and_b64 vcc, exec, s[0:1]
	s_waitcnt vmcnt(3)
	v_lshlrev_b32_e32 v63, 16, v76
	s_waitcnt lgkmcnt(0)
	v_mfma_f32_16x16x16_bf16 a[0:3], v[68:69], v[50:51], a[0:3]
	global_load_ushort v68, v[54:55], off offset:288
	global_load_ushort v69, v[54:55], off offset:32
	;; [unrolled: 1-line block ×8, first 2 shown]
	v_mfma_f32_16x16x16_bf16 a[4:7], v[70:71], v[56:57], a[4:7]
	ds_read_b64 v[50:51], v123 offset:6144
	s_waitcnt vmcnt(10)
	v_lshlrev_b32_e32 v62, 16, v148
	v_mov_b32_e32 v148, 0
	v_mfma_f32_16x16x16_bf16 a[8:11], v[70:71], v[60:61], a[8:11]
	v_mfma_f32_16x16x16_bf16 a[12:15], v[70:71], v[64:65], a[12:15]
	;; [unrolled: 1-line block ×3, first 2 shown]
	global_load_ushort v70, v[54:55], off offset:352
	global_load_ushort v71, v[54:55], off offset:96
	ds_read_b64 v[52:53], v124 offset:6144
	ds_read_b64 v[56:57], v125 offset:6144
	;; [unrolled: 1-line block ×3, first 2 shown]
	global_load_ushort v157, v[54:55], off offset:864
	global_load_ushort v158, v[54:55], off offset:608
	s_load_dword s2, s[2:3], 0x0
	s_waitcnt lgkmcnt(0)
	v_mfma_f32_16x16x16_bf16 a[4:7], v[72:73], v[50:51], a[4:7]
	v_sub_f32_e32 v60, s2, v67
	v_mfma_f32_16x16x16_bf16 a[0:3], v[72:73], v[58:59], a[0:3]
	v_sub_f32_e32 v58, s2, v74
	v_sub_f32_e32 v59, s2, v66
	;; [unrolled: 1-line block ×3, first 2 shown]
	v_mul_f32_e32 v58, 0x3fb8aa3b, v58
	v_mul_f32_e32 v59, 0x3fb8aa3b, v59
	;; [unrolled: 1-line block ×4, first 2 shown]
	v_mfma_f32_16x16x16_bf16 a[8:11], v[72:73], v[52:53], a[8:11]
	v_exp_f32_e32 v58, v58
	v_exp_f32_e32 v59, v59
	;; [unrolled: 1-line block ×4, first 2 shown]
	v_accvgpr_read_b32 v65, a5
	v_accvgpr_read_b32 v64, a4
	;; [unrolled: 1-line block ×4, first 2 shown]
	v_pk_add_f32 v[62:63], v[62:63], v[64:65] neg_lo:[0,1] neg_hi:[0,1]
	s_waitcnt vmcnt(13)
	v_lshlrev_b32_e32 v65, 16, v149
	s_waitcnt vmcnt(12)
	v_lshlrev_b32_e32 v64, 16, v150
	v_pk_add_f32 v[50:51], v[64:65], v[50:51] neg_lo:[0,1] neg_hi:[0,1]
	v_pk_mul_f32 v[62:63], v[58:59], v[62:63]
	v_pk_mul_f32 v[50:51], v[60:61], v[50:51]
	v_accvgpr_read_b32 v65, a9
	v_perm_b32 v51, v51, v50, s35
	v_perm_b32 v50, v63, v62, s35
	v_accvgpr_read_b32 v64, a8
	v_accvgpr_read_b32 v53, a11
	v_mfma_f32_16x16x16_bf16 a[12:15], v[72:73], v[56:57], a[12:15]
	v_accvgpr_read_b32 v52, a10
	v_accvgpr_read_b32 v57, a3
	;; [unrolled: 1-line block ×3, first 2 shown]
	s_waitcnt vmcnt(11)
	v_lshlrev_b32_e32 v63, 16, v68
	s_waitcnt vmcnt(10)
	v_lshlrev_b32_e32 v62, 16, v69
	v_pk_add_f32 v[62:63], v[62:63], v[64:65] neg_lo:[0,1] neg_hi:[0,1]
	s_waitcnt vmcnt(9)
	v_lshlrev_b32_e32 v65, 16, v151
	s_waitcnt vmcnt(8)
	v_lshlrev_b32_e32 v64, 16, v152
	v_pk_add_f32 v[52:53], v[64:65], v[52:53] neg_lo:[0,1] neg_hi:[0,1]
	v_pk_mul_f32 v[62:63], v[58:59], v[62:63]
	v_pk_mul_f32 v[52:53], v[60:61], v[52:53]
	v_accvgpr_read_b32 v55, a15
	v_perm_b32 v53, v53, v52, s35
	v_perm_b32 v52, v63, v62, s35
	ds_write2_b64 v100, v[50:51], v[52:53] offset1:16
	v_accvgpr_read_b32 v53, a13
	s_waitcnt vmcnt(7)
	v_lshlrev_b32_e32 v51, 16, v153
	s_waitcnt vmcnt(6)
	v_lshlrev_b32_e32 v50, 16, v154
	v_accvgpr_read_b32 v52, a12
	v_accvgpr_read_b32 v54, a14
	v_pk_add_f32 v[50:51], v[50:51], v[52:53] neg_lo:[0,1] neg_hi:[0,1]
	s_waitcnt vmcnt(5)
	v_lshlrev_b32_e32 v53, 16, v155
	s_waitcnt vmcnt(4)
	v_lshlrev_b32_e32 v52, 16, v156
	v_pk_add_f32 v[52:53], v[52:53], v[54:55] neg_lo:[0,1] neg_hi:[0,1]
	v_pk_mul_f32 v[50:51], v[58:59], v[50:51]
	v_pk_mul_f32 v[52:53], v[60:61], v[52:53]
	v_accvgpr_read_b32 v55, a1
	v_perm_b32 v53, v53, v52, s35
	v_perm_b32 v52, v51, v50, s35
	s_waitcnt vmcnt(3)
	v_lshlrev_b32_e32 v51, 16, v70
	s_waitcnt vmcnt(2)
	v_lshlrev_b32_e32 v50, 16, v71
	v_accvgpr_read_b32 v54, a0
	v_pk_add_f32 v[50:51], v[50:51], v[54:55] neg_lo:[0,1] neg_hi:[0,1]
	s_waitcnt vmcnt(1)
	v_lshlrev_b32_e32 v55, 16, v157
	s_waitcnt vmcnt(0)
	v_lshlrev_b32_e32 v54, 16, v158
	v_pk_add_f32 v[54:55], v[54:55], v[56:57] neg_lo:[0,1] neg_hi:[0,1]
	v_pk_mul_f32 v[50:51], v[58:59], v[50:51]
	v_pk_mul_f32 v[54:55], v[60:61], v[54:55]
	v_mov_b32_e32 v56, 0
	v_perm_b32 v55, v55, v54, s35
	v_perm_b32 v54, v51, v50, s35
	ds_write2_b64 v100, v[52:53], v[54:55] offset0:32 offset1:48
	v_mov_b32_e32 v50, 0
	v_mov_b32_e32 v51, 0
	;; [unrolled: 1-line block ×15, first 2 shown]
	s_cbranch_vccnz .LBB196_14
; %bb.13:                               ;   in Loop: Header=BB196_6 Depth=1
	s_and_b32 s25, s25, 0xffff
	s_mov_b32 s27, s23
	buffer_load_dwordx4 v[62:65], v133, s[24:27], 0 offen
	buffer_load_dwordx4 v[54:57], v133, s[24:27], s57 offen
	;; [unrolled: 1-line block ×4, first 2 shown]
	v_mov_b32_e32 v147, v94
	v_mov_b32_e32 v148, v93
.LBB196_14:                             ;   in Loop: Header=BB196_6 Depth=1
	s_waitcnt lgkmcnt(0)
	s_barrier
	ds_read_b64 v[74:75], v136
	ds_read2_b64 v[66:69], v129 offset1:16
	ds_read_b64 v[166:167], v137
	ds_read_b64 v[168:169], v138
	;; [unrolled: 1-line block ×3, first 2 shown]
	ds_read2_b64 v[70:73], v129 offset0:32 offset1:48
	ds_read2st64_b64 v[150:153], v129 offset0:4 offset1:8
	ds_read2st64_b64 v[154:157], v130 offset0:4 offset1:8
	;; [unrolled: 1-line block ×4, first 2 shown]
	s_waitcnt lgkmcnt(8)
	v_mfma_f32_16x16x16_bf16 a[0:3], v[74:75], v[66:67], 0
	s_add_i32 s3, s52, s60
	s_mul_hi_i32 s21, s3, s13
	s_mul_i32 s3, s3, s13
	v_mfma_f32_16x16x16_bf16 a[4:7], v[74:75], v[68:69], 0
	s_add_u32 s20, s3, s47
	s_addc_u32 s21, s21, s48
	s_lshl_b64 s[20:21], s[20:21], 15
	s_waitcnt lgkmcnt(4)
	v_mfma_f32_16x16x16_bf16 a[8:11], v[74:75], v[70:71], 0
	s_mul_i32 s24, s62, s13
	s_mul_hi_i32 s3, s62, s13
	s_add_u32 s24, s24, s47
	v_mfma_f32_16x16x16_bf16 a[12:15], v[74:75], v[72:73], 0
	ds_read_b64 v[74:75], v129 offset:6144
	ds_read_b64 v[178:179], v130 offset:6144
	;; [unrolled: 1-line block ×4, first 2 shown]
	s_addc_u32 s25, s3, s48
	s_waitcnt lgkmcnt(7)
	v_mfma_f32_16x16x16_bf16 a[0:3], v[166:167], v[150:151], a[0:3]
	s_lshl_b64 s[24:25], s[24:25], 9
	s_add_u32 s24, s16, s24
	s_addc_u32 s25, s17, s25
	s_waitcnt lgkmcnt(6)
	v_mfma_f32_16x16x16_bf16 a[4:7], v[166:167], v[154:155], a[4:7]
	v_lshl_add_u64 v[188:189], v[84:85], 0, s[20:21]
	s_waitcnt lgkmcnt(5)
	v_mfma_f32_16x16x16_bf16 a[8:11], v[166:167], v[158:159], a[8:11]
	s_waitcnt lgkmcnt(4)
	v_mfma_f32_16x16x16_bf16 a[12:15], v[166:167], v[162:163], a[12:15]
	ds_read_b64 v[166:167], v141
	ds_read_b64 v[176:177], v142
	;; [unrolled: 1-line block ×3, first 2 shown]
	s_waitcnt lgkmcnt(2)
	v_mfma_f32_16x16x16_bf16 a[16:19], v[166:167], v[66:67], 0
	v_mfma_f32_16x16x16_bf16 a[20:23], v[166:167], v[68:69], 0
	global_load_dwordx4 v[66:69], v140, s[24:25]
	v_mfma_f32_16x16x16_bf16 a[24:27], v[166:167], v[70:71], 0
	v_mfma_f32_16x16x16_bf16 a[28:31], v[166:167], v[72:73], 0
	global_load_dwordx4 v[70:73], v79, s[24:25]
	v_mfma_f32_16x16x16_bf16 a[0:3], v[168:169], v[152:153], a[0:3]
	v_mfma_f32_16x16x16_bf16 a[4:7], v[168:169], v[156:157], a[4:7]
	;; [unrolled: 1-line block ×8, first 2 shown]
	ds_read2st64_b64 v[166:169], v127 offset1:8
	ds_read2st64_b64 v[170:173], v128 offset1:8
	ds_read_b64 v[186:187], v135 offset:40960
	s_waitcnt lgkmcnt(2)
	v_mov_b32_e32 v174, v166
	v_mfma_f32_16x16x16_bf16 a[16:19], v[176:177], v[150:151], a[16:19]
	v_mov_b32_e32 v175, v167
	v_mfma_f32_16x16x16_bf16 a[20:23], v[176:177], v[154:155], a[20:23]
	v_mfma_f32_16x16x16_bf16 a[24:27], v[176:177], v[158:159], a[24:27]
	;; [unrolled: 1-line block ×3, first 2 shown]
	v_add_co_u32_e32 v162, vcc, s37, v188
	s_waitcnt lgkmcnt(1)
	v_mov_b32_e32 v176, v170
	s_waitcnt lgkmcnt(0)
	v_mfma_f32_16x16x16_bf16 a[16:19], v[186:187], v[152:153], a[16:19]
	ds_read2st64_b64 v[150:153], v127 offset0:16 offset1:24
	v_addc_co_u32_e32 v163, vcc, 0, v189, vcc
	v_mfma_f32_16x16x16_bf16 a[20:23], v[186:187], v[156:157], a[20:23]
	ds_read2st64_b64 v[154:157], v128 offset0:16 offset1:24
	v_mov_b32_e32 v177, v171
	v_mov_b32_e32 v170, v168
	v_mfma_f32_16x16x16_bf16 a[32:35], v[186:187], v[160:161], a[24:27]
	v_mov_b32_e32 v171, v169
	s_waitcnt lgkmcnt(0)
	v_mov_b32_e32 v160, v154
	v_mov_b32_e32 v161, v155
	v_mfma_f32_16x16x16_bf16 a[36:39], v[186:187], v[164:165], a[28:31]
	v_mov_b32_e32 v154, v152
	v_mov_b32_e32 v155, v153
	;; [unrolled: 1-line block ×3, first 2 shown]
	v_mfma_f32_16x16x16_bf16 a[24:27], v[184:185], v[74:75], a[16:19]
	v_add_co_u32_e32 v74, vcc, s39, v188
	v_mov_b32_e32 v159, v151
	v_mfma_f32_16x16x16_bf16 a[28:31], v[184:185], v[178:179], a[20:23]
	v_addc_co_u32_e32 v75, vcc, 0, v189, vcc
	global_store_dwordx4 v[74:75], v[154:157], off
	v_mfma_f32_16x16x16_bf16 a[16:19], v[184:185], v[180:181], a[32:35]
	s_waitcnt vmcnt(2)
	v_mov_b32_e32 v76, v69
	v_mov_b32_e32 v75, v68
	v_mov_b32_e32 v74, v67
	v_mfma_f32_16x16x16_bf16 a[20:23], v[184:185], v[182:183], a[36:39]
	s_and_b64 vcc, exec, s[0:1]
	global_store_dwordx4 v[188:189], v[174:177], off
	global_store_dwordx4 v[162:163], v[170:173], off offset:-4096
	global_store_dwordx4 v[162:163], v[158:161], off
	s_cbranch_vccnz .LBB196_16
; %bb.15:                               ;   in Loop: Header=BB196_6 Depth=1
	v_lshrrev_b32_e32 v67, 3, v147
	v_and_b32_e32 v67, 6, v67
	v_xor_b32_e32 v68, v67, v148
	v_lshlrev_b32_e32 v68, 2, v68
	v_and_b32_e32 v69, 8, v147
	v_xor_b32_e32 v147, 0x440, v68
	v_cmp_eq_u32_e32 vcc, 0, v69
	v_perm_b32 v69, v54, v50, s58
	s_nop 0
	v_cndmask_b32_e32 v68, v147, v68, vcc
	v_lshl_or_b32 v67, v67, 10, v68
	v_perm_b32 v68, v62, v58, s58
	s_barrier
	ds_write2st64_b32 v67, v68, v69 offset0:128 offset1:160
	v_xor_b32_e32 v68, 8, v67
	v_perm_b32 v58, v62, v58, s59
	v_perm_b32 v50, v54, v50, s59
	v_add_u32_e32 v54, 0x80, v68
	ds_write2st64_b32 v54, v58, v50 offset0:128 offset1:160
	v_xor_b32_e32 v50, 16, v67
	v_perm_b32 v54, v63, v59, s58
	v_perm_b32 v58, v55, v51, s58
	ds_write2st64_b32 v50, v54, v58 offset0:129 offset1:161
	v_xor_b32_e32 v50, 24, v67
	v_perm_b32 v54, v63, v59, s59
	v_perm_b32 v51, v55, v51, s59
	v_add_u32_e32 v50, 0x80, v50
	ds_write2st64_b32 v50, v54, v51 offset0:129 offset1:161
	v_xor_b32_e32 v50, 32, v67
	v_perm_b32 v51, v64, v60, s58
	v_perm_b32 v54, v56, v52, s58
	ds_write2st64_b32 v50, v51, v54 offset0:130 offset1:162
	v_xor_b32_e32 v50, 40, v67
	v_perm_b32 v51, v64, v60, s59
	v_perm_b32 v52, v56, v52, s59
	v_add_u32_e32 v50, 0x80, v50
	ds_write2st64_b32 v50, v51, v52 offset0:130 offset1:162
	v_xor_b32_e32 v50, 48, v67
	v_perm_b32 v51, v65, v61, s58
	v_perm_b32 v52, v57, v53, s58
	ds_write2st64_b32 v50, v51, v52 offset0:131 offset1:163
	v_xor_b32_e32 v50, 56, v67
	v_perm_b32 v51, v65, v61, s59
	v_perm_b32 v52, v57, v53, s59
	v_add_u32_e32 v50, 0x80, v50
	ds_write2st64_b32 v50, v51, v52 offset0:131 offset1:163
	ds_write_b64 v146, v[46:47] offset:49152
	v_xor_b32_e32 v46, 8, v146
	ds_write_b64 v46, v[48:49] offset:49152
	ds_write_b64 v146, v[42:43] offset:57344
	;; [unrolled: 1-line block ×4, first 2 shown]
	v_xor_b32_e32 v38, 8, v145
	ds_write_b64 v38, v[40:41] offset:49152
	ds_write_b64 v145, v[34:35] offset:57344
	;; [unrolled: 1-line block ×3, first 2 shown]
.LBB196_16:                             ;   in Loop: Header=BB196_6 Depth=1
	v_mul_f32_e32 v58, s2, v144
	v_exp_f32_e32 v68, v58
	s_waitcnt vmcnt(4)
	v_mul_f32_e32 v58, 0x3fb8aa3b, v70
	v_exp_f32_e32 v70, v58
	v_mul_f32_e32 v58, 0x3fb8aa3b, v71
	v_exp_f32_e32 v71, v58
	;; [unrolled: 2-line block ×4, first 2 shown]
	v_accvgpr_read_b32 v37, a3
	v_accvgpr_read_b32 v36, a2
	;; [unrolled: 1-line block ×4, first 2 shown]
	v_pk_mul_f32 v[70:71], v[68:69], v[70:71] op_sel_hi:[0,1]
	v_pk_mul_f32 v[72:73], v[68:69], v[72:73] op_sel_hi:[0,1]
	v_pk_fma_f32 v[22:23], v[22:23], v[70:71], v[34:35]
	v_pk_fma_f32 v[24:25], v[24:25], v[72:73], v[36:37]
	v_mul_f32_e32 v34, 0x3fb8aa3b, v66
	v_mul_f32_e32 v35, 0x3fb8aa3b, v74
	;; [unrolled: 1-line block ×4, first 2 shown]
	v_exp_f32_e32 v34, v34
	v_exp_f32_e32 v35, v35
	;; [unrolled: 1-line block ×4, first 2 shown]
	v_accvgpr_read_b32 v41, a7
	v_accvgpr_read_b32 v45, a11
	;; [unrolled: 1-line block ×28, first 2 shown]
	v_pk_mul_f32 v[34:35], v[68:69], v[34:35] op_sel_hi:[0,1]
	v_pk_mul_f32 v[36:37], v[68:69], v[36:37] op_sel_hi:[0,1]
	s_add_i32 s55, s55, 64
	v_pk_fma_f32 v[14:15], v[70:71], v[14:15], v[38:39]
	v_pk_fma_f32 v[16:17], v[72:73], v[16:17], v[40:41]
	;; [unrolled: 1-line block ×13, first 2 shown]
	s_cmp_eq_u32 s49, s61
	v_pk_fma_f32 v[12:13], v[36:37], v[12:13], v[64:65]
	s_cbranch_scc1 .LBB196_18
; %bb.17:                               ;   in Loop: Header=BB196_6 Depth=1
	s_mov_b32 s60, s61
	s_branch .LBB196_6
.LBB196_18:
	s_lshl_b32 s26, s49, 6
	s_sub_i32 s27, s50, s26
	s_cmp_gt_i32 s27, 0
	s_cbranch_scc0 .LBB196_99
; %bb.19:
	s_add_i32 s26, s26, s30
	s_ashr_i32 s2, s26, 31
	s_cmpk_lg_i32 s15, 0x80
	s_cselect_b64 s[22:23], -1, 0
	s_and_b64 vcc, exec, s[22:23]
	s_cbranch_vccz .LBB196_21
; %bb.20:
	s_mul_i32 s1, s26, s14
	s_ashr_i32 s3, s51, 31
	s_mul_hi_i32 s0, s26, s14
	s_add_u32 s24, s1, s51
	s_addc_u32 s25, s0, s3
	s_cbranch_execz .LBB196_22
	s_branch .LBB196_23
.LBB196_21:
                                        ; implicit-def: $sgpr24_sgpr25
.LBB196_22:
	s_mul_i32 s1, s51, s12
	s_mul_hi_i32 s0, s51, s12
	s_add_u32 s24, s1, s26
	s_addc_u32 s25, s0, s2
.LBB196_23:
	s_waitcnt lgkmcnt(0)
	s_add_i32 s3, s49, s52
	s_add_u32 s0, s54, s26
	s_addc_u32 s1, s53, s2
	v_lshlrev_b32_e32 v35, 6, v91
	v_lshlrev_b32_e32 v34, 2, v88
	s_mov_b32 s2, 0x7060302
	s_waitcnt vmcnt(7)
	v_perm_b32 v25, v25, v24, s2
	v_perm_b32 v24, v23, v22, s2
	s_waitcnt vmcnt(6)
	v_perm_b32 v22, v31, v30, s2
	v_or_b32_e32 v30, v35, v34
	v_xor_b32_e32 v36, v91, v34
	v_perm_b32 v23, v33, v32, s2
	v_lshlrev_b32_e32 v30, 1, v30
	ds_write2st64_b64 v30, v[24:25], v[22:23] offset0:32 offset1:48
	v_lshlrev_b32_e32 v30, 1, v36
	v_lshlrev_b32_e32 v31, 8, v88
	v_xor_b32_e32 v37, v92, v34
	v_or_b32_e32 v32, v30, v31
	ds_write_b64 v32, v[24:25]
	v_lshlrev_b32_e32 v24, 1, v37
	v_or_b32_e32 v25, v24, v31
	ds_write_b64 v25, v[22:23]
	v_or_b32_e32 v22, 16, v88
	v_lshlrev_b32_e32 v23, 2, v22
	v_or_b32_e32 v25, v35, v23
	s_waitcnt vmcnt(5)
	v_perm_b32 v17, v17, v16, s2
	v_perm_b32 v16, v15, v14, s2
	s_waitcnt vmcnt(4)
	v_perm_b32 v15, v29, v28, s2
	v_perm_b32 v14, v27, v26, s2
	v_lshlrev_b32_e32 v25, 1, v25
	v_lshlrev_b32_e32 v22, 8, v22
	ds_write2st64_b64 v25, v[16:17], v[14:15] offset0:32 offset1:48
	v_or_b32_e32 v25, v30, v22
	ds_write_b64 v25, v[16:17]
	v_or_b32_e32 v16, v24, v22
	ds_write_b64 v16, v[14:15]
	v_or_b32_e32 v14, 32, v88
	v_lshlrev_b32_e32 v22, 2, v14
	v_or_b32_e32 v15, v35, v22
	s_waitcnt vmcnt(3)
	v_perm_b32 v9, v9, v8, s2
	v_perm_b32 v8, v7, v6, s2
	s_waitcnt vmcnt(2)
	v_perm_b32 v7, v21, v20, s2
	v_perm_b32 v6, v19, v18, s2
	v_lshlrev_b32_e32 v15, 1, v15
	v_lshlrev_b32_e32 v14, 8, v14
	s_lshl_b64 s[20:21], s[0:1], 8
	ds_write2st64_b64 v15, v[8:9], v[6:7] offset0:32 offset1:48
	v_or_b32_e32 v15, v30, v14
	s_add_u32 s0, s6, s20
	ds_write_b64 v15, v[8:9]
	v_or_b32_e32 v8, v24, v14
	s_addc_u32 s1, s7, s21
	ds_write_b64 v8, v[6:7]
	v_or_b32_e32 v6, 48, v88
	s_mul_hi_i32 s6, s3, s13
	s_mul_i32 s3, s3, s13
	s_waitcnt vmcnt(1)
	v_perm_b32 v5, v5, v4, s2
	v_perm_b32 v4, v3, v2, s2
	s_waitcnt vmcnt(0)
	v_perm_b32 v3, v13, v12, s2
	v_perm_b32 v2, v11, v10, s2
	v_lshlrev_b32_e32 v19, 2, v6
	s_add_u32 s2, s3, s47
	v_or_b32_e32 v7, v35, v19
	s_addc_u32 s3, s6, s48
	v_lshlrev_b32_e32 v7, 1, v7
	v_lshlrev_b32_e32 v6, 8, v6
	s_ashr_i32 s39, s38, 31
	s_lshl_b64 s[2:3], s[2:3], 15
	ds_write2st64_b64 v7, v[4:5], v[2:3] offset0:32 offset1:48
	v_or_b32_e32 v7, v30, v6
	s_add_u32 s6, s18, s2
	ds_write_b64 v7, v[4:5]
	v_or_b32_e32 v4, v24, v6
	s_addc_u32 s7, s19, s3
	s_lshl_b64 s[2:3], s[38:39], 8
	ds_write_b64 v4, v[2:3]
	s_add_u32 s2, s6, s2
	v_lshlrev_b32_e32 v3, 1, v88
	v_lshrrev_b32_e32 v2, 4, v0
	s_addc_u32 s3, s7, s3
	v_or_b32_e32 v4, 1, v3
	v_lshlrev_b32_e32 v10, 4, v88
	v_mov_b32_e32 v11, 0
	v_xor_b32_e32 v3, v2, v3
	v_xor_b32_e32 v6, v4, v2
	v_lshl_add_u64 v[12:13], s[2:3], 0, v[10:11]
	v_lshlrev_b32_e32 v10, 8, v2
	v_lshl_or_b32 v16, v3, 3, v10
	v_lshl_or_b32 v17, v6, 3, v10
	s_waitcnt lgkmcnt(0)
	s_barrier
	ds_read2st64_b64 v[2:5], v16 offset1:8
	ds_read2st64_b64 v[6:9], v17 offset1:8
	v_lshl_add_u64 v[14:15], v[12:13], 0, v[10:11]
	s_movk_i32 s2, 0x2000
	s_cmp_lg_u32 s27, 64
	s_waitcnt lgkmcnt(1)
	v_mov_b32_e32 v10, v2
	v_mov_b32_e32 v11, v3
	s_waitcnt lgkmcnt(0)
	v_mov_b32_e32 v12, v6
	v_mov_b32_e32 v13, v7
	global_store_dwordx4 v[14:15], v[10:13], off
	v_mov_b32_e32 v6, v4
	v_mov_b32_e32 v7, v5
	ds_read2st64_b64 v[2:5], v16 offset0:16 offset1:24
	ds_read2st64_b64 v[10:13], v17 offset0:16 offset1:24
	v_add_co_u32_e32 v16, vcc, s2, v14
	s_cselect_b64 s[6:7], -1, 0
	s_nop 0
	v_addc_co_u32_e32 v17, vcc, 0, v15, vcc
	global_store_dwordx4 v[16:17], v[6:9], off offset:-4096
	v_lshl_or_b32 v24, v86, 3, v90
	s_mov_b32 s16, 0
	s_waitcnt lgkmcnt(1)
	v_mov_b32_e32 v6, v2
	v_add_co_u32_e32 v2, vcc, 0x3000, v14
	v_mov_b32_e32 v7, v3
	s_nop 0
	v_addc_co_u32_e32 v3, vcc, 0, v15, vcc
	s_waitcnt lgkmcnt(0)
	v_mov_b32_e32 v8, v10
	v_mov_b32_e32 v9, v11
	;; [unrolled: 1-line block ×4, first 2 shown]
	v_or_b32_e32 v20, 32, v24
	v_and_b32_e32 v18, 56, v89
	s_and_b64 vcc, exec, s[6:7]
	global_store_dwordx4 v[16:17], v[6:9], off
	global_store_dwordx4 v[2:3], v[10:13], off
	s_cbranch_vccz .LBB196_29
; %bb.24:
	s_mov_b32 s17, s16
	s_mov_b32 s18, s16
	;; [unrolled: 1-line block ×3, first 2 shown]
	v_mov_b64_e32 v[6:7], s[16:17]
	v_mov_b64_e32 v[8:9], s[18:19]
	;; [unrolled: 1-line block ×3, first 2 shown]
	v_cmp_gt_i32_e32 vcc, s27, v24
	v_mov_b64_e32 v[4:5], v[8:9]
	s_and_saveexec_b64 s[2:3], vcc
	s_cbranch_execz .LBB196_26
; %bb.25:
	v_lshlrev_b32_e32 v2, 8, v24
	v_mov_b32_e32 v3, 0
	v_lshl_add_u64 v[4:5], s[0:1], 0, v[2:3]
	v_lshlrev_b32_e32 v2, 1, v18
	v_lshl_add_u64 v[10:11], v[4:5], 0, v[2:3]
	global_load_dwordx4 v[6:9], v[10:11], off
	global_load_dwordx4 v[2:5], v[10:11], off offset:128
.LBB196_26:
	s_or_b64 exec, exec, s[2:3]
	s_mov_b32 s17, s16
	s_mov_b32 s18, s16
	;; [unrolled: 1-line block ×3, first 2 shown]
	v_mov_b64_e32 v[14:15], s[16:17]
	v_mov_b64_e32 v[16:17], s[18:19]
	;; [unrolled: 1-line block ×3, first 2 shown]
	v_cmp_gt_i32_e32 vcc, s27, v20
	v_lshlrev_b32_e32 v21, 7, v20
	v_mov_b64_e32 v[12:13], v[16:17]
	s_and_saveexec_b64 s[2:3], vcc
	s_cbranch_execz .LBB196_28
; %bb.27:
	v_lshlrev_b32_e32 v10, 1, v21
	v_mov_b32_e32 v11, 0
	v_lshl_add_u64 v[12:13], s[0:1], 0, v[10:11]
	v_lshlrev_b32_e32 v10, 1, v18
	v_lshl_add_u64 v[26:27], v[12:13], 0, v[10:11]
	global_load_dwordx4 v[14:17], v[26:27], off
	global_load_dwordx4 v[10:13], v[26:27], off offset:128
.LBB196_28:
	s_or_b64 exec, exec, s[2:3]
	v_lshrrev_b32_e32 v25, 3, v18
	v_lshlrev_b32_e32 v26, 3, v24
	v_or_b32_e32 v25, v26, v25
	v_lshlrev_b32_e32 v25, 4, v25
	v_and_b32_e32 v26, 0x78, v26
	v_xor_b32_e32 v25, v25, v26
	s_branch .LBB196_31
.LBB196_29:
                                        ; implicit-def: $vgpr25
                                        ; implicit-def: $vgpr21
                                        ; implicit-def: $vgpr6_vgpr7_vgpr8_vgpr9
                                        ; implicit-def: $vgpr2_vgpr3_vgpr4_vgpr5
                                        ; implicit-def: $vgpr14_vgpr15_vgpr16_vgpr17
                                        ; implicit-def: $vgpr10_vgpr11_vgpr12_vgpr13
	s_cbranch_execz .LBB196_31
; %bb.30:
	s_waitcnt vmcnt(0)
	v_lshlrev_b32_e32 v2, 1, v18
	v_lshl_or_b32 v21, v24, 8, v2
	s_and_b32 s1, s1, 0xffff
	s_mov_b32 s3, 0x20000
	s_movk_i32 s2, 0x4000
	v_lshl_or_b32 v25, v20, 8, v2
	s_movk_i32 s12, 0x80
	buffer_load_dwordx4 v[6:9], v21, s[0:3], 0 offen
	buffer_load_dwordx4 v[2:5], v21, s[0:3], s12 offen
	buffer_load_dwordx4 v[14:17], v25, s[0:3], 0 offen
	buffer_load_dwordx4 v[10:13], v25, s[0:3], s12 offen
	v_lshrrev_b32_e32 v21, 3, v18
	v_lshlrev_b32_e32 v25, 3, v24
	v_or_b32_e32 v21, v25, v21
	v_lshlrev_b32_e32 v21, 4, v21
	v_and_b32_e32 v25, 0x78, v25
	v_xor_b32_e32 v25, v21, v25
	v_lshlrev_b32_e32 v21, 7, v20
.LBB196_31:
	s_movk_i32 s0, 0x1000
	v_and_or_b32 v20, v21, s0, v25
	s_waitcnt vmcnt(1)
	ds_write_b64 v25, v[6:7] offset:49152
	v_xor_b32_e32 v6, 8, v25
	ds_write_b64 v6, v[8:9] offset:49152
	s_waitcnt vmcnt(0)
	ds_write_b64 v25, v[2:3] offset:57344
	ds_write_b64 v6, v[4:5] offset:57344
	;; [unrolled: 1-line block ×3, first 2 shown]
	v_xor_b32_e32 v2, 8, v20
	ds_write_b64 v2, v[16:17] offset:49152
	ds_write_b64 v20, v[10:11] offset:57344
	;; [unrolled: 1-line block ×3, first 2 shown]
	v_or_b32_e32 v2, v1, v88
	v_lshlrev_b32_e32 v3, 11, v86
	v_lshlrev_b32_e32 v2, 3, v2
	v_and_b32_e32 v6, 0x1000, v3
	v_lshrrev_b32_e32 v3, 5, v77
	s_movk_i32 s0, 0xf8
	v_and_or_b32 v3, v2, s0, v3
	v_lshlrev_b32_e32 v7, 4, v3
	v_and_b32_e32 v8, 0x78, v2
	v_or_b32_e32 v10, 32, v7
	v_lshrrev_b32_e32 v3, 1, v77
	v_xor_b32_e32 v10, v10, v8
	v_xor_b32_e32 v2, v7, v8
	v_and_b32_e32 v9, 8, v3
	v_or_b32_e32 v10, v10, v6
	v_or_b32_e32 v2, v2, v6
	v_xor_b32_e32 v27, v10, v9
	v_or_b32_e32 v10, 64, v7
	v_xor_b32_e32 v26, v2, v9
	v_xor_b32_e32 v10, v10, v8
	s_waitcnt lgkmcnt(0)
	s_barrier
	v_or_b32_e32 v13, v10, v6
	ds_read_b64 v[10:11], v26 offset:49152
	v_lshl_or_b32 v14, v87, 8, v34
	v_lshlrev_b32_e32 v25, 1, v14
	v_add_u32_e32 v12, 0x4000, v25
	ds_read2_b64 v[2:5], v12 offset1:16
	v_or_b32_e32 v7, 0x60, v7
	v_xor_b32_e32 v7, v7, v8
	v_or_b32_e32 v6, v7, v6
	v_xor_b32_e32 v28, v13, v9
	v_xor_b32_e32 v29, v6, v9
	ds_read_b64 v[20:21], v27 offset:49152
	ds_read_b64 v[36:37], v28 offset:49152
	;; [unrolled: 1-line block ×3, first 2 shown]
	s_waitcnt lgkmcnt(3)
	v_mfma_f32_16x16x16_bf16 a[0:3], v[10:11], v[2:3], 0
	ds_read2st64_b64 v[6:9], v25 offset0:36 offset1:40
	s_lshl_b64 s[0:1], s[24:25], 8
	s_add_u32 s4, s4, s0
	v_mfma_f32_16x16x16_bf16 a[4:7], v[10:11], v[4:5], 0
	ds_read2_b64 v[2:5], v12 offset0:32 offset1:48
	s_addc_u32 s5, s5, s1
	s_add_i32 s1, s43, s33
	s_waitcnt lgkmcnt(0)
	v_mfma_f32_16x16x16_bf16 a[8:11], v[10:11], v[2:3], 0
	v_or_b32_e32 v2, 64, v14
	v_lshlrev_b32_e32 v30, 1, v2
	s_add_i32 s0, s31, -1
	v_mfma_f32_16x16x16_bf16 a[12:15], v[10:11], v[4:5], 0
	ds_read2st64_b64 v[2:5], v30 offset0:36 offset1:40
	s_add_i32 s37, s1, s42
	s_add_i32 s1, s45, s44
	v_mfma_f32_16x16x16_bf16 a[0:3], v[20:21], v[6:7], a[0:3]
	v_or_b32_e32 v6, 0x80, v14
	v_lshlrev_b32_e32 v31, 1, v6
	ds_read2st64_b64 v[10:13], v31 offset0:36 offset1:40
	s_waitcnt lgkmcnt(1)
	v_mfma_f32_16x16x16_bf16 a[4:7], v[20:21], v[2:3], a[4:7]
	v_or_b32_e32 v2, 0xc0, v14
	v_lshlrev_b32_e32 v32, 1, v2
	ds_read2st64_b64 v[14:17], v32 offset0:36 offset1:40
	s_add_i32 s35, s1, s46
	s_ashr_i32 s1, s0, 31
	s_mul_i32 s2, s0, s29
	s_mul_hi_u32 s3, s0, s28
	s_add_i32 s2, s3, s2
	s_mul_i32 s1, s1, s28
	s_waitcnt lgkmcnt(1)
	v_mfma_f32_16x16x16_bf16 a[8:11], v[20:21], v[10:11], a[8:11]
	s_add_i32 s1, s2, s1
	s_lshl_b64 s[2:3], s[36:37], 2
	s_add_u32 s10, s10, s2
	s_waitcnt lgkmcnt(0)
	v_mfma_f32_16x16x16_bf16 a[12:15], v[20:21], v[14:15], a[12:15]
	s_addc_u32 s11, s11, s3
	s_lshl_b64 s[2:3], s[34:35], 2
	s_mul_i32 s0, s0, s28
	v_mfma_f32_16x16x16_bf16 a[0:3], v[36:37], v[8:9], a[0:3]
	ds_read_b64 v[2:3], v25 offset:22528
	s_add_u32 s10, s10, s2
	s_addc_u32 s11, s11, s3
	v_mfma_f32_16x16x16_bf16 a[4:7], v[36:37], v[4:5], a[4:7]
	ds_read_b64 v[4:5], v30 offset:22528
	ds_read_b64 v[6:7], v31 offset:22528
	;; [unrolled: 1-line block ×3, first 2 shown]
	s_lshl_b64 s[0:1], s[0:1], 2
	s_add_u32 s0, s10, s0
	v_mfma_f32_16x16x16_bf16 a[8:11], v[36:37], v[12:13], a[8:11]
	s_addc_u32 s1, s11, s1
	s_load_dword s12, s[0:1], 0x0
	s_and_b64 vcc, exec, s[22:23]
	v_mfma_f32_16x16x16_bf16 a[12:15], v[36:37], v[16:17], a[12:15]
	s_waitcnt lgkmcnt(0)
	v_mfma_f32_16x16x16_bf16 a[0:3], v[38:39], v[2:3], a[0:3]
	v_mfma_f32_16x16x16_bf16 a[4:7], v[38:39], v[4:5], a[4:7]
	;; [unrolled: 1-line block ×4, first 2 shown]
	s_cbranch_vccz .LBB196_42
; %bb.32:
	v_lshlrev_b32_e32 v20, 1, v24
	s_and_b64 vcc, exec, s[6:7]
	s_cbranch_vccz .LBB196_43
; %bb.33:
	v_cmp_gt_i32_e32 vcc, s27, v20
	v_mov_b32_e32 v6, 0
	v_mov_b32_e32 v2, 0
	;; [unrolled: 1-line block ×5, first 2 shown]
	s_and_saveexec_b64 s[0:1], vcc
	s_cbranch_execz .LBB196_35
; %bb.34:
	v_mad_i64_i32 v[2:3], s[2:3], s15, v20, 0
	v_lshl_add_u64 v[2:3], v[2:3], 1, s[4:5]
	v_lshlrev_b32_e32 v4, 1, v18
	v_mov_b32_e32 v5, 0
	v_lshl_add_u64 v[2:3], v[2:3], 0, v[4:5]
	global_load_dwordx4 v[2:5], v[2:3], off
.LBB196_35:
	s_or_b64 exec, exec, s[0:1]
	v_or_b32_e32 v21, 1, v20
	v_cmp_gt_i32_e64 s[0:1], s27, v21
	v_mov_b32_e32 v7, 0
	v_mov_b32_e32 v8, 0
	v_mov_b32_e32 v9, 0
	s_and_saveexec_b64 s[2:3], s[0:1]
	s_cbranch_execz .LBB196_37
; %bb.36:
	v_mad_i64_i32 v[6:7], s[16:17], s15, v21, 0
	v_lshl_add_u64 v[6:7], v[6:7], 1, s[4:5]
	v_lshlrev_b32_e32 v8, 1, v18
	v_mov_b32_e32 v9, 0
	v_lshl_add_u64 v[6:7], v[6:7], 0, v[8:9]
	global_load_dwordx4 v[6:9], v[6:7], off
.LBB196_37:
	s_or_b64 exec, exec, s[2:3]
	v_mov_b32_e32 v17, 0
	v_mov_b32_e32 v10, 0
	;; [unrolled: 1-line block ×5, first 2 shown]
	s_and_saveexec_b64 s[2:3], vcc
	s_cbranch_execz .LBB196_39
; %bb.38:
	v_mad_i64_i32 v[10:11], s[16:17], s15, v20, 0
	v_lshl_add_u64 v[10:11], v[10:11], 1, s[4:5]
	v_lshlrev_b32_e32 v12, 1, v18
	v_mov_b32_e32 v13, 0
	v_lshl_add_u64 v[10:11], v[10:11], 0, v[12:13]
	global_load_dwordx4 v[10:13], v[10:11], off offset:128
.LBB196_39:
	s_or_b64 exec, exec, s[2:3]
	v_mov_b32_e32 v16, 0
	v_mov_b32_e32 v15, 0
	;; [unrolled: 1-line block ×3, first 2 shown]
	s_and_saveexec_b64 s[2:3], s[0:1]
	s_cbranch_execz .LBB196_41
; %bb.40:
	v_mad_i64_i32 v[14:15], s[0:1], s15, v21, 0
	v_lshl_add_u64 v[14:15], v[14:15], 1, s[4:5]
	v_lshlrev_b32_e32 v16, 1, v18
	v_mov_b32_e32 v17, 0
	v_lshl_add_u64 v[14:15], v[14:15], 0, v[16:17]
	global_load_dwordx4 v[14:17], v[14:15], off offset:128
.LBB196_41:
	s_or_b64 exec, exec, s[2:3]
	s_branch .LBB196_45
.LBB196_42:
                                        ; implicit-def: $vgpr5
                                        ; implicit-def: $vgpr9
                                        ; implicit-def: $vgpr13
                                        ; implicit-def: $vgpr17
	v_lshrrev_b32_e32 v33, 2, v77
	s_branch .LBB196_46
.LBB196_43:
                                        ; implicit-def: $vgpr5
                                        ; implicit-def: $vgpr9
                                        ; implicit-def: $vgpr13
                                        ; implicit-def: $vgpr17
	s_cbranch_execz .LBB196_45
; %bb.44:
	s_waitcnt vmcnt(0)
	v_mad_u64_u32 v[2:3], s[0:1], v20, s15, v[18:19]
	v_lshlrev_b32_e32 v20, 1, v2
	s_lshl_b32 s2, s15, 7
	s_and_b32 s1, s5, 0xffff
	s_mov_b32 s3, 0x20000
	s_mov_b32 s0, s4
	v_add_lshl_u32 v21, v2, s15, 1
	s_movk_i32 s13, 0x80
	buffer_load_dwordx4 v[2:5], v20, s[0:3], 0 offen
	buffer_load_dwordx4 v[10:13], v20, s[0:3], s13 offen
	;; [unrolled: 1-line block ×4, first 2 shown]
.LBB196_45:
	v_lshrrev_b32_e32 v33, 2, v77
	s_cbranch_execnz .LBB196_58
.LBB196_46:
	s_and_b64 vcc, exec, s[6:7]
	s_cbranch_vccz .LBB196_56
; %bb.47:
	s_waitcnt vmcnt(0)
	v_lshlrev_b32_e32 v7, 1, v24
	v_cmp_gt_i32_e32 vcc, s27, v7
	v_mov_b32_e32 v6, 0
	v_lshlrev_b32_e32 v14, 9, v24
	v_mov_b32_e32 v2, 0
	v_mov_b32_e32 v3, 0
	v_mov_b32_e32 v4, 0
	v_mov_b32_e32 v5, 0
	s_and_saveexec_b64 s[0:1], vcc
	s_cbranch_execz .LBB196_49
; %bb.48:
	v_mov_b32_e32 v15, 0
	v_lshl_add_u64 v[2:3], s[4:5], 0, v[14:15]
	v_lshlrev_b32_e32 v4, 1, v18
	v_mov_b32_e32 v5, v15
	v_lshl_add_u64 v[2:3], v[2:3], 0, v[4:5]
	global_load_dwordx4 v[2:5], v[2:3], off
.LBB196_49:
	s_or_b64 exec, exec, s[0:1]
	v_or_b32_e32 v7, 1, v7
	v_cmp_gt_i32_e64 s[0:1], s27, v7
	v_lshlrev_b32_e32 v20, 8, v7
	v_mov_b32_e32 v7, 0
	v_mov_b32_e32 v8, 0
	;; [unrolled: 1-line block ×3, first 2 shown]
	s_and_saveexec_b64 s[2:3], s[0:1]
	s_cbranch_execz .LBB196_51
; %bb.50:
	v_mov_b32_e32 v21, 0
	v_lshl_add_u64 v[6:7], s[4:5], 0, v[20:21]
	v_lshlrev_b32_e32 v8, 1, v18
	v_mov_b32_e32 v9, v21
	v_lshl_add_u64 v[6:7], v[6:7], 0, v[8:9]
	global_load_dwordx4 v[6:9], v[6:7], off
.LBB196_51:
	s_or_b64 exec, exec, s[2:3]
	v_mov_b32_e32 v17, 0
	v_mov_b32_e32 v10, 0
	;; [unrolled: 1-line block ×5, first 2 shown]
	s_and_saveexec_b64 s[2:3], vcc
	s_cbranch_execz .LBB196_53
; %bb.52:
	v_mov_b32_e32 v15, 0
	v_lshl_add_u64 v[10:11], s[4:5], 0, v[14:15]
	v_lshlrev_b32_e32 v14, 1, v18
	v_lshl_add_u64 v[10:11], v[10:11], 0, v[14:15]
	global_load_dwordx4 v[10:13], v[10:11], off offset:128
.LBB196_53:
	s_or_b64 exec, exec, s[2:3]
	v_mov_b32_e32 v16, 0
	v_mov_b32_e32 v15, 0
	;; [unrolled: 1-line block ×3, first 2 shown]
	s_and_saveexec_b64 s[2:3], s[0:1]
	s_cbranch_execz .LBB196_55
; %bb.54:
	v_mov_b32_e32 v21, 0
	v_lshl_add_u64 v[14:15], s[4:5], 0, v[20:21]
	v_lshlrev_b32_e32 v20, 1, v18
	v_lshl_add_u64 v[14:15], v[14:15], 0, v[20:21]
	global_load_dwordx4 v[14:17], v[14:15], off offset:128
.LBB196_55:
	s_or_b64 exec, exec, s[2:3]
	s_branch .LBB196_58
.LBB196_56:
                                        ; implicit-def: $vgpr5
                                        ; implicit-def: $vgpr9
                                        ; implicit-def: $vgpr13
                                        ; implicit-def: $vgpr17
	s_cbranch_execz .LBB196_58
; %bb.57:
	s_waitcnt vmcnt(0)
	v_lshlrev_b32_e32 v2, 1, v18
	v_lshl_or_b32 v18, v24, 9, v2
	s_and_b32 s5, s5, 0xffff
	s_mov_b32 s7, 0x20000
	s_movk_i32 s6, 0x4000
	s_movk_i32 s0, 0x80
	buffer_load_dwordx4 v[2:5], v18, s[4:7], 0 offen
	buffer_load_dwordx4 v[6:9], v18, s[4:7], 0 offen offset:256
	buffer_load_dwordx4 v[10:13], v18, s[4:7], s0 offen
	buffer_load_dwordx4 v[14:17], v18, s[4:7], s0 offen offset:256
.LBB196_58:
	ds_read_b64 v[20:21], v26 offset:57344
	v_add_u32_e32 v18, 0x6000, v25
	ds_read2_b64 v[36:39], v18 offset1:16
	ds_read_b64 v[48:49], v27 offset:57344
	ds_read_b64 v[50:51], v28 offset:57344
	;; [unrolled: 1-line block ×3, first 2 shown]
	ds_read2_b64 v[26:29], v18 offset0:32 offset1:48
	v_and_b32_e32 v18, 6, v0
	v_xor_b32_e32 v24, v24, v18
	v_lshlrev_b32_e32 v24, 2, v24
	v_and_b32_e32 v0, 1, v0
	v_cmp_eq_u32_e32 vcc, 0, v0
	s_waitcnt lgkmcnt(4)
	v_mfma_f32_16x16x16_bf16 a[0:3], v[20:21], v[36:37], a[0:3]
	s_mov_b32 s0, 0x1000504
	s_mov_b32 s1, 0x3020706
	v_mfma_f32_16x16x16_bf16 a[4:7], v[20:21], v[38:39], a[4:7]
	ds_read2st64_b64 v[36:39], v25 offset0:52 offset1:56
	s_waitcnt lgkmcnt(1)
	v_mfma_f32_16x16x16_bf16 a[8:11], v[20:21], v[26:27], a[8:11]
	v_mfma_f32_16x16x16_bf16 a[12:15], v[20:21], v[28:29], a[12:15]
	ds_read2st64_b64 v[26:29], v30 offset0:52 offset1:56
	ds_read2st64_b64 v[40:43], v31 offset0:52 offset1:56
	;; [unrolled: 1-line block ×3, first 2 shown]
	s_waitcnt lgkmcnt(3)
	v_mfma_f32_16x16x16_bf16 a[0:3], v[48:49], v[36:37], a[0:3]
	ds_read_b64 v[20:21], v25 offset:30720
	ds_read_b64 v[36:37], v30 offset:30720
	;; [unrolled: 1-line block ×4, first 2 shown]
	v_xor_b32_e32 v25, 0x440, v24
	v_cndmask_b32_e32 v0, v25, v24, vcc
	s_waitcnt lgkmcnt(6)
	v_mfma_f32_16x16x16_bf16 a[4:7], v[48:49], v[26:27], a[4:7]
	v_lshl_or_b32 v0, v18, 10, v0
	s_waitcnt vmcnt(0)
	v_perm_b32 v18, v2, v6, s0
	v_perm_b32 v24, v10, v14, s0
	s_waitcnt lgkmcnt(5)
	v_mfma_f32_16x16x16_bf16 a[8:11], v[48:49], v[40:41], a[8:11]
	ds_write2st64_b32 v0, v18, v24 offset0:128 offset1:160
	v_xor_b32_e32 v18, 8, v0
	v_perm_b32 v2, v2, v6, s1
	s_waitcnt lgkmcnt(5)
	v_mfma_f32_16x16x16_bf16 a[12:15], v[48:49], v[44:45], a[12:15]
	v_perm_b32 v6, v10, v14, s1
	v_add_u32_e32 v10, 0x80, v18
	ds_write2st64_b32 v10, v2, v6 offset0:128 offset1:160
	v_mfma_f32_16x16x16_bf16 a[0:3], v[50:51], v[38:39], a[0:3]
	v_xor_b32_e32 v2, 16, v0
	v_perm_b32 v6, v3, v7, s0
	v_perm_b32 v10, v11, v15, s0
	v_mfma_f32_16x16x16_bf16 a[4:7], v[50:51], v[28:29], a[4:7]
	ds_write2st64_b32 v2, v6, v10 offset0:129 offset1:161
	v_xor_b32_e32 v2, 24, v0
	v_perm_b32 v3, v3, v7, s1
	v_mfma_f32_16x16x16_bf16 a[16:19], v[50:51], v[42:43], a[8:11]
	v_perm_b32 v6, v11, v15, s1
	v_add_u32_e32 v2, 0x80, v2
	ds_write2st64_b32 v2, v3, v6 offset0:129 offset1:161
	v_mfma_f32_16x16x16_bf16 a[20:23], v[50:51], v[46:47], a[12:15]
	v_xor_b32_e32 v2, 32, v0
	v_perm_b32 v3, v4, v8, s0
	v_perm_b32 v6, v12, v16, s0
	s_waitcnt lgkmcnt(7)
	v_mfma_f32_16x16x16_bf16 a[12:15], v[52:53], v[20:21], a[0:3]
	ds_write2st64_b32 v2, v3, v6 offset0:130 offset1:162
	v_xor_b32_e32 v2, 40, v0
	v_perm_b32 v3, v4, v8, s1
	s_waitcnt lgkmcnt(7)
	v_mfma_f32_16x16x16_bf16 a[8:11], v[52:53], v[36:37], a[4:7]
	v_perm_b32 v4, v12, v16, s1
	v_add_u32_e32 v2, 0x80, v2
	ds_write2st64_b32 v2, v3, v4 offset0:130 offset1:162
	s_waitcnt lgkmcnt(7)
	v_mfma_f32_16x16x16_bf16 a[4:7], v[52:53], v[30:31], a[16:19]
	v_xor_b32_e32 v2, 48, v0
	v_perm_b32 v3, v5, v9, s0
	v_perm_b32 v4, v13, v17, s0
	s_waitcnt lgkmcnt(6)
	v_mfma_f32_16x16x16_bf16 a[0:3], v[52:53], v[54:55], a[20:23]
	v_xor_b32_e32 v0, 56, v0
	v_and_or_b32 v18, v33, 12, v1
	ds_write2st64_b32 v2, v3, v4 offset0:131 offset1:163
	v_perm_b32 v2, v5, v9, s1
	v_perm_b32 v3, v13, v17, s1
	v_add_u32_e32 v0, 0x80, v0
	v_cmp_gt_i32_e32 vcc, s27, v18
	v_mov_b32_e32 v14, 0
	v_mov_b32_e32 v16, 0
	ds_write2st64_b32 v0, v2, v3 offset0:131 offset1:163
	s_and_saveexec_b64 s[0:1], vcc
	s_cbranch_execz .LBB196_60
; %bb.59:
	v_add_u32_e32 v0, s26, v18
	v_ashrrev_i32_e32 v1, 31, v0
	v_mul_lo_u32 v2, v1, s28
	v_mul_lo_u32 v3, v0, s29
	v_mad_u64_u32 v[0:1], s[2:3], v0, s28, 0
	v_add3_u32 v1, v1, v3, v2
	v_lshl_add_u64 v[0:1], v[0:1], 2, s[10:11]
	global_load_dword v0, v[0:1], off
	s_waitcnt vmcnt(0)
	v_sub_f32_e32 v0, s12, v0
	v_mul_f32_e32 v0, 0x3fb8aa3b, v0
	v_exp_f32_e32 v16, v0
.LBB196_60:
	s_or_b64 exec, exec, s[0:1]
	v_or_b32_e32 v8, 1, v18
	v_cmp_gt_i32_e64 s[0:1], s27, v8
	s_and_saveexec_b64 s[2:3], s[0:1]
	s_cbranch_execz .LBB196_62
; %bb.61:
	v_add_u32_e32 v0, s26, v8
	v_ashrrev_i32_e32 v1, 31, v0
	v_mul_lo_u32 v2, v1, s28
	v_mul_lo_u32 v3, v0, s29
	v_mad_u64_u32 v[0:1], s[4:5], v0, s28, 0
	v_add3_u32 v1, v1, v3, v2
	v_lshl_add_u64 v[0:1], v[0:1], 2, s[10:11]
	global_load_dword v0, v[0:1], off
	s_waitcnt vmcnt(0)
	v_sub_f32_e32 v0, s12, v0
	v_mul_f32_e32 v0, 0x3fb8aa3b, v0
	v_exp_f32_e32 v14, v0
.LBB196_62:
	s_or_b64 exec, exec, s[2:3]
	v_or_b32_e32 v10, 2, v18
	v_cmp_gt_i32_e64 s[2:3], s27, v10
	v_mov_b32_e32 v15, 0
	v_mov_b32_e32 v17, 0
	s_and_saveexec_b64 s[4:5], s[2:3]
	s_cbranch_execz .LBB196_64
; %bb.63:
	v_add_u32_e32 v0, s26, v10
	v_ashrrev_i32_e32 v1, 31, v0
	v_mul_lo_u32 v2, v1, s28
	v_mul_lo_u32 v3, v0, s29
	v_mad_u64_u32 v[0:1], s[6:7], v0, s28, 0
	v_add3_u32 v1, v1, v3, v2
	v_lshl_add_u64 v[0:1], v[0:1], 2, s[10:11]
	global_load_dword v0, v[0:1], off
	s_waitcnt vmcnt(0)
	v_sub_f32_e32 v0, s12, v0
	v_mul_f32_e32 v0, 0x3fb8aa3b, v0
	v_exp_f32_e32 v17, v0
.LBB196_64:
	s_or_b64 exec, exec, s[4:5]
	v_or_b32_e32 v12, 3, v18
	v_cmp_gt_i32_e64 s[4:5], s27, v12
	s_and_saveexec_b64 s[6:7], s[4:5]
	s_cbranch_execz .LBB196_66
; %bb.65:
	v_add_u32_e32 v0, s26, v12
	v_ashrrev_i32_e32 v1, 31, v0
	v_mul_lo_u32 v2, v1, s28
	v_mul_lo_u32 v3, v0, s29
	v_mad_u64_u32 v[0:1], s[14:15], v0, s28, 0
	v_add3_u32 v1, v1, v3, v2
	v_lshl_add_u64 v[0:1], v[0:1], 2, s[10:11]
	global_load_dword v0, v[0:1], off
	s_waitcnt vmcnt(0)
	v_sub_f32_e32 v0, s12, v0
	v_mul_f32_e32 v0, 0x3fb8aa3b, v0
	v_exp_f32_e32 v15, v0
.LBB196_66:
	s_or_b64 exec, exec, s[6:7]
	s_add_u32 s6, s8, s20
	v_accvgpr_read_b32 v0, a12
	s_addc_u32 s7, s9, s21
	v_ashrrev_i32_e32 v79, 31, v78
	v_accvgpr_read_b32 v1, a13
	v_accvgpr_read_b32 v2, a14
	;; [unrolled: 1-line block ×3, first 2 shown]
	v_lshl_add_u64 v[4:5], v[78:79], 1, s[6:7]
	v_mov_b32_e32 v9, 0
	v_lshlrev_b32_e32 v6, 8, v18
	v_mov_b32_e32 v7, 0
	s_and_saveexec_b64 s[6:7], vcc
	s_cbranch_execz .LBB196_68
; %bb.67:
	v_mov_b32_e32 v7, 0
	v_lshl_add_u64 v[20:21], v[4:5], 0, v[6:7]
	global_load_ushort v7, v[20:21], off
	s_waitcnt vmcnt(0)
	v_lshlrev_b32_e32 v7, 16, v7
	v_sub_f32_e32 v0, v7, v0
	v_mul_f32_e32 v0, v16, v0
	v_lshrrev_b32_e32 v7, 16, v0
.LBB196_68:
	s_or_b64 exec, exec, s[6:7]
	v_lshlrev_b32_e32 v8, 8, v8
	s_and_saveexec_b64 s[6:7], s[0:1]
	s_cbranch_execz .LBB196_70
; %bb.69:
	v_mov_b32_e32 v9, 0
	v_lshl_add_u64 v[20:21], v[4:5], 0, v[8:9]
	global_load_ushort v0, v[20:21], off
	s_waitcnt vmcnt(0)
	v_lshlrev_b32_e32 v0, 16, v0
	v_sub_f32_e32 v0, v0, v1
	v_mul_f32_e32 v0, v14, v0
	v_lshrrev_b32_e32 v9, 16, v0
.LBB196_70:
	s_or_b64 exec, exec, s[6:7]
	v_mov_b32_e32 v13, 0
	v_lshlrev_b32_e32 v10, 8, v10
	v_mov_b32_e32 v11, 0
	s_and_saveexec_b64 s[6:7], s[2:3]
	s_cbranch_execz .LBB196_72
; %bb.71:
	v_mov_b32_e32 v11, 0
	v_lshl_add_u64 v[0:1], v[4:5], 0, v[10:11]
	global_load_ushort v0, v[0:1], off
	s_waitcnt vmcnt(0)
	v_lshlrev_b32_e32 v0, 16, v0
	v_sub_f32_e32 v0, v0, v2
	v_mul_f32_e32 v0, v17, v0
	v_lshrrev_b32_e32 v11, 16, v0
.LBB196_72:
	s_or_b64 exec, exec, s[6:7]
	v_lshlrev_b32_e32 v12, 8, v12
	s_and_saveexec_b64 s[6:7], s[4:5]
	s_cbranch_execz .LBB196_74
; %bb.73:
	v_mov_b32_e32 v13, 0
	v_lshl_add_u64 v[0:1], v[4:5], 0, v[12:13]
	global_load_ushort v0, v[0:1], off
	s_waitcnt vmcnt(0)
	v_lshlrev_b32_e32 v0, 16, v0
	v_sub_f32_e32 v0, v0, v3
	v_mul_f32_e32 v0, v15, v0
	v_lshrrev_b32_e32 v13, 16, v0
.LBB196_74:
	s_or_b64 exec, exec, s[6:7]
	v_lshlrev_b32_e32 v18, 6, v18
	s_mov_b32 s6, 0x5040100
	v_perm_b32 v20, v9, v7, s6
	v_or_b32_e32 v7, v18, v34
	v_accvgpr_read_b32 v0, a8
	v_perm_b32 v21, v13, v11, s6
	v_lshlrev_b32_e32 v7, 1, v7
	v_accvgpr_read_b32 v1, a9
	v_accvgpr_read_b32 v2, a10
	;; [unrolled: 1-line block ×3, first 2 shown]
	ds_write_b64 v7, v[20:21] offset:24576
	v_mov_b32_e32 v9, 0
	v_mov_b32_e32 v7, 0
	s_and_saveexec_b64 s[6:7], vcc
	s_cbranch_execz .LBB196_76
; %bb.75:
	v_mov_b32_e32 v7, 0
	v_lshl_add_u64 v[20:21], v[4:5], 0, v[6:7]
	global_load_ushort v7, v[20:21], off offset:32
	s_waitcnt vmcnt(0)
	v_lshlrev_b32_e32 v7, 16, v7
	v_sub_f32_e32 v0, v7, v0
	v_mul_f32_e32 v0, v16, v0
	v_lshrrev_b32_e32 v7, 16, v0
.LBB196_76:
	s_or_b64 exec, exec, s[6:7]
	s_and_saveexec_b64 s[6:7], s[0:1]
	s_cbranch_execz .LBB196_78
; %bb.77:
	v_mov_b32_e32 v9, 0
	v_lshl_add_u64 v[20:21], v[4:5], 0, v[8:9]
	global_load_ushort v0, v[20:21], off offset:32
	s_waitcnt vmcnt(0)
	v_lshlrev_b32_e32 v0, 16, v0
	v_sub_f32_e32 v0, v0, v1
	v_mul_f32_e32 v0, v14, v0
	v_lshrrev_b32_e32 v9, 16, v0
.LBB196_78:
	s_or_b64 exec, exec, s[6:7]
	v_mov_b32_e32 v13, 0
	v_mov_b32_e32 v11, 0
	s_and_saveexec_b64 s[6:7], s[2:3]
	s_cbranch_execz .LBB196_80
; %bb.79:
	v_mov_b32_e32 v11, 0
	v_lshl_add_u64 v[0:1], v[4:5], 0, v[10:11]
	global_load_ushort v0, v[0:1], off offset:32
	s_waitcnt vmcnt(0)
	v_lshlrev_b32_e32 v0, 16, v0
	v_sub_f32_e32 v0, v0, v2
	v_mul_f32_e32 v0, v17, v0
	v_lshrrev_b32_e32 v11, 16, v0
.LBB196_80:
	s_or_b64 exec, exec, s[6:7]
	s_and_saveexec_b64 s[6:7], s[4:5]
	s_cbranch_execz .LBB196_82
; %bb.81:
	v_mov_b32_e32 v13, 0
	v_lshl_add_u64 v[0:1], v[4:5], 0, v[12:13]
	global_load_ushort v0, v[0:1], off offset:32
	s_waitcnt vmcnt(0)
	v_lshlrev_b32_e32 v0, 16, v0
	v_sub_f32_e32 v0, v0, v3
	v_mul_f32_e32 v0, v15, v0
	v_lshrrev_b32_e32 v13, 16, v0
.LBB196_82:
	s_or_b64 exec, exec, s[6:7]
	s_mov_b32 s6, 0x5040100
	v_perm_b32 v20, v9, v7, s6
	v_or_b32_e32 v7, v18, v23
	v_accvgpr_read_b32 v0, a4
	v_perm_b32 v21, v13, v11, s6
	v_lshlrev_b32_e32 v7, 1, v7
	v_accvgpr_read_b32 v1, a5
	v_accvgpr_read_b32 v2, a6
	;; [unrolled: 1-line block ×3, first 2 shown]
	ds_write_b64 v7, v[20:21] offset:24576
	v_mov_b32_e32 v9, 0
	v_mov_b32_e32 v7, 0
	s_and_saveexec_b64 s[6:7], vcc
	s_cbranch_execz .LBB196_84
; %bb.83:
	v_mov_b32_e32 v7, 0
	v_lshl_add_u64 v[20:21], v[4:5], 0, v[6:7]
	global_load_ushort v7, v[20:21], off offset:64
	s_waitcnt vmcnt(0)
	v_lshlrev_b32_e32 v7, 16, v7
	v_sub_f32_e32 v0, v7, v0
	v_mul_f32_e32 v0, v16, v0
	v_lshrrev_b32_e32 v7, 16, v0
.LBB196_84:
	s_or_b64 exec, exec, s[6:7]
	s_and_saveexec_b64 s[6:7], s[0:1]
	s_cbranch_execz .LBB196_86
; %bb.85:
	v_mov_b32_e32 v9, 0
	v_lshl_add_u64 v[20:21], v[4:5], 0, v[8:9]
	global_load_ushort v0, v[20:21], off offset:64
	s_waitcnt vmcnt(0)
	v_lshlrev_b32_e32 v0, 16, v0
	v_sub_f32_e32 v0, v0, v1
	v_mul_f32_e32 v0, v14, v0
	v_lshrrev_b32_e32 v9, 16, v0
.LBB196_86:
	s_or_b64 exec, exec, s[6:7]
	v_mov_b32_e32 v13, 0
	v_mov_b32_e32 v11, 0
	s_and_saveexec_b64 s[6:7], s[2:3]
	s_cbranch_execz .LBB196_88
; %bb.87:
	v_mov_b32_e32 v11, 0
	v_lshl_add_u64 v[0:1], v[4:5], 0, v[10:11]
	global_load_ushort v0, v[0:1], off offset:64
	s_waitcnt vmcnt(0)
	v_lshlrev_b32_e32 v0, 16, v0
	v_sub_f32_e32 v0, v0, v2
	v_mul_f32_e32 v0, v17, v0
	v_lshrrev_b32_e32 v11, 16, v0
.LBB196_88:
	s_or_b64 exec, exec, s[6:7]
	s_and_saveexec_b64 s[6:7], s[4:5]
	s_cbranch_execz .LBB196_90
; %bb.89:
	v_mov_b32_e32 v13, 0
	v_lshl_add_u64 v[0:1], v[4:5], 0, v[12:13]
	global_load_ushort v0, v[0:1], off offset:64
	s_waitcnt vmcnt(0)
	v_lshlrev_b32_e32 v0, 16, v0
	v_sub_f32_e32 v0, v0, v3
	v_mul_f32_e32 v0, v15, v0
	v_lshrrev_b32_e32 v13, 16, v0
.LBB196_90:
	s_or_b64 exec, exec, s[6:7]
	s_mov_b32 s6, 0x5040100
	v_perm_b32 v20, v9, v7, s6
	v_or_b32_e32 v7, v18, v22
	v_accvgpr_read_b32 v0, a0
	v_perm_b32 v21, v13, v11, s6
	v_lshlrev_b32_e32 v7, 1, v7
	v_accvgpr_read_b32 v1, a1
	v_accvgpr_read_b32 v2, a2
	;; [unrolled: 1-line block ×3, first 2 shown]
	ds_write_b64 v7, v[20:21] offset:24576
	v_mov_b32_e32 v9, 0
	v_mov_b32_e32 v7, 0
	s_and_saveexec_b64 s[6:7], vcc
	s_cbranch_execz .LBB196_92
; %bb.91:
	v_mov_b32_e32 v7, 0
	v_lshl_add_u64 v[6:7], v[4:5], 0, v[6:7]
	global_load_ushort v6, v[6:7], off offset:96
	s_waitcnt vmcnt(0)
	v_lshlrev_b32_e32 v6, 16, v6
	v_sub_f32_e32 v0, v6, v0
	v_mul_f32_e32 v0, v16, v0
	v_lshrrev_b32_e32 v7, 16, v0
.LBB196_92:
	s_or_b64 exec, exec, s[6:7]
	s_and_saveexec_b64 s[6:7], s[0:1]
	s_cbranch_execz .LBB196_94
; %bb.93:
	v_mov_b32_e32 v9, 0
	v_lshl_add_u64 v[8:9], v[4:5], 0, v[8:9]
	global_load_ushort v0, v[8:9], off offset:96
	s_waitcnt vmcnt(0)
	v_lshlrev_b32_e32 v0, 16, v0
	v_sub_f32_e32 v0, v0, v1
	v_mul_f32_e32 v0, v14, v0
	v_lshrrev_b32_e32 v9, 16, v0
.LBB196_94:
	s_or_b64 exec, exec, s[6:7]
	v_mov_b32_e32 v0, 0
	v_mov_b32_e32 v1, 0
	s_and_saveexec_b64 s[0:1], s[2:3]
	s_cbranch_execz .LBB196_96
; %bb.95:
	v_mov_b32_e32 v11, 0
	v_lshl_add_u64 v[10:11], v[4:5], 0, v[10:11]
	global_load_ushort v1, v[10:11], off offset:96
	s_waitcnt vmcnt(0)
	v_lshlrev_b32_e32 v1, 16, v1
	v_sub_f32_e32 v1, v1, v2
	v_mul_f32_e32 v1, v17, v1
	v_lshrrev_b32_e32 v1, 16, v1
.LBB196_96:
	s_or_b64 exec, exec, s[0:1]
	s_and_saveexec_b64 s[0:1], s[4:5]
	s_cbranch_execz .LBB196_98
; %bb.97:
	v_mov_b32_e32 v13, 0
	v_lshl_add_u64 v[4:5], v[4:5], 0, v[12:13]
	global_load_ushort v0, v[4:5], off offset:96
	s_waitcnt vmcnt(0)
	v_lshlrev_b32_e32 v0, 16, v0
	v_sub_f32_e32 v0, v0, v3
	v_mul_f32_e32 v0, v15, v0
	v_lshrrev_b32_e32 v0, 16, v0
.LBB196_98:
	s_or_b64 exec, exec, s[0:1]
	s_mov_b32 s0, 0x5040100
	v_or_b32_e32 v2, v18, v19
	v_perm_b32 v1, v0, v1, s0
	v_perm_b32 v0, v9, v7, s0
	v_lshlrev_b32_e32 v2, 1, v2
	ds_write_b64 v2, v[0:1] offset:24576
	s_waitcnt lgkmcnt(0)
	s_barrier
.LBB196_99:
	s_endpgm
	.section	.rodata,"a",@progbits
	.p2align	6, 0x0
	.amdhsa_kernel _ZN12_GLOBAL__N_139chunk_gated_delta_rule_fwd_h_hip_kernelILi64ELb1ELb0ELb0ELb1ELb0ELb1ELb1ELb0EEEvPK12hip_bfloat16S3_S3_PKfS5_PKvPS1_S8_PvPKiSB_iiiiilll
		.amdhsa_group_segment_fixed_size 65536
		.amdhsa_private_segment_fixed_size 0
		.amdhsa_kernarg_size 136
		.amdhsa_user_sgpr_count 2
		.amdhsa_user_sgpr_dispatch_ptr 0
		.amdhsa_user_sgpr_queue_ptr 0
		.amdhsa_user_sgpr_kernarg_segment_ptr 1
		.amdhsa_user_sgpr_dispatch_id 0
		.amdhsa_user_sgpr_kernarg_preload_length 0
		.amdhsa_user_sgpr_kernarg_preload_offset 0
		.amdhsa_user_sgpr_private_segment_size 0
		.amdhsa_uses_dynamic_stack 0
		.amdhsa_enable_private_segment 0
		.amdhsa_system_sgpr_workgroup_id_x 1
		.amdhsa_system_sgpr_workgroup_id_y 1
		.amdhsa_system_sgpr_workgroup_id_z 0
		.amdhsa_system_sgpr_workgroup_info 0
		.amdhsa_system_vgpr_workitem_id 0
		.amdhsa_next_free_vgpr 232
		.amdhsa_next_free_sgpr 63
		.amdhsa_accum_offset 192
		.amdhsa_reserve_vcc 1
		.amdhsa_float_round_mode_32 0
		.amdhsa_float_round_mode_16_64 0
		.amdhsa_float_denorm_mode_32 3
		.amdhsa_float_denorm_mode_16_64 3
		.amdhsa_dx10_clamp 1
		.amdhsa_ieee_mode 1
		.amdhsa_fp16_overflow 0
		.amdhsa_tg_split 0
		.amdhsa_exception_fp_ieee_invalid_op 0
		.amdhsa_exception_fp_denorm_src 0
		.amdhsa_exception_fp_ieee_div_zero 0
		.amdhsa_exception_fp_ieee_overflow 0
		.amdhsa_exception_fp_ieee_underflow 0
		.amdhsa_exception_fp_ieee_inexact 0
		.amdhsa_exception_int_div_zero 0
	.end_amdhsa_kernel
	.section	.text._ZN12_GLOBAL__N_139chunk_gated_delta_rule_fwd_h_hip_kernelILi64ELb1ELb0ELb0ELb1ELb0ELb1ELb1ELb0EEEvPK12hip_bfloat16S3_S3_PKfS5_PKvPS1_S8_PvPKiSB_iiiiilll,"axG",@progbits,_ZN12_GLOBAL__N_139chunk_gated_delta_rule_fwd_h_hip_kernelILi64ELb1ELb0ELb0ELb1ELb0ELb1ELb1ELb0EEEvPK12hip_bfloat16S3_S3_PKfS5_PKvPS1_S8_PvPKiSB_iiiiilll,comdat
.Lfunc_end196:
	.size	_ZN12_GLOBAL__N_139chunk_gated_delta_rule_fwd_h_hip_kernelILi64ELb1ELb0ELb0ELb1ELb0ELb1ELb1ELb0EEEvPK12hip_bfloat16S3_S3_PKfS5_PKvPS1_S8_PvPKiSB_iiiiilll, .Lfunc_end196-_ZN12_GLOBAL__N_139chunk_gated_delta_rule_fwd_h_hip_kernelILi64ELb1ELb0ELb0ELb1ELb0ELb1ELb1ELb0EEEvPK12hip_bfloat16S3_S3_PKfS5_PKvPS1_S8_PvPKiSB_iiiiilll
                                        ; -- End function
	.section	.AMDGPU.csdata,"",@progbits
; Kernel info:
; codeLenInByte = 10972
; NumSgprs: 69
; NumVgprs: 190
; NumAgprs: 40
; TotalNumVgprs: 232
; ScratchSize: 0
; MemoryBound: 0
; FloatMode: 240
; IeeeMode: 1
; LDSByteSize: 65536 bytes/workgroup (compile time only)
; SGPRBlocks: 8
; VGPRBlocks: 28
; NumSGPRsForWavesPerEU: 69
; NumVGPRsForWavesPerEU: 232
; AccumOffset: 192
; Occupancy: 1
; WaveLimiterHint : 1
; COMPUTE_PGM_RSRC2:SCRATCH_EN: 0
; COMPUTE_PGM_RSRC2:USER_SGPR: 2
; COMPUTE_PGM_RSRC2:TRAP_HANDLER: 0
; COMPUTE_PGM_RSRC2:TGID_X_EN: 1
; COMPUTE_PGM_RSRC2:TGID_Y_EN: 1
; COMPUTE_PGM_RSRC2:TGID_Z_EN: 0
; COMPUTE_PGM_RSRC2:TIDIG_COMP_CNT: 0
; COMPUTE_PGM_RSRC3_GFX90A:ACCUM_OFFSET: 47
; COMPUTE_PGM_RSRC3_GFX90A:TG_SPLIT: 0
	.section	.text._ZN12_GLOBAL__N_139chunk_gated_delta_rule_fwd_h_hip_kernelILi64ELb0ELb1ELb1ELb1ELb0ELb1ELb1ELb0EEEvPK12hip_bfloat16S3_S3_PKfS5_PKvPS1_S8_PvPKiSB_iiiiilll,"axG",@progbits,_ZN12_GLOBAL__N_139chunk_gated_delta_rule_fwd_h_hip_kernelILi64ELb0ELb1ELb1ELb1ELb0ELb1ELb1ELb0EEEvPK12hip_bfloat16S3_S3_PKfS5_PKvPS1_S8_PvPKiSB_iiiiilll,comdat
	.globl	_ZN12_GLOBAL__N_139chunk_gated_delta_rule_fwd_h_hip_kernelILi64ELb0ELb1ELb1ELb1ELb0ELb1ELb1ELb0EEEvPK12hip_bfloat16S3_S3_PKfS5_PKvPS1_S8_PvPKiSB_iiiiilll ; -- Begin function _ZN12_GLOBAL__N_139chunk_gated_delta_rule_fwd_h_hip_kernelILi64ELb0ELb1ELb1ELb1ELb0ELb1ELb1ELb0EEEvPK12hip_bfloat16S3_S3_PKfS5_PKvPS1_S8_PvPKiSB_iiiiilll
	.p2align	8
	.type	_ZN12_GLOBAL__N_139chunk_gated_delta_rule_fwd_h_hip_kernelILi64ELb0ELb1ELb1ELb1ELb0ELb1ELb1ELb0EEEvPK12hip_bfloat16S3_S3_PKfS5_PKvPS1_S8_PvPKiSB_iiiiilll,@function
_ZN12_GLOBAL__N_139chunk_gated_delta_rule_fwd_h_hip_kernelILi64ELb0ELb1ELb1ELb1ELb0ELb1ELb1ELb0EEEvPK12hip_bfloat16S3_S3_PKfS5_PKvPS1_S8_PvPKiSB_iiiiilll: ; @_ZN12_GLOBAL__N_139chunk_gated_delta_rule_fwd_h_hip_kernelILi64ELb0ELb1ELb1ELb1ELb0ELb1ELb1ELb0EEEvPK12hip_bfloat16S3_S3_PKfS5_PKvPS1_S8_PvPKiSB_iiiiilll
; %bb.0:
	s_load_dwordx4 s[20:23], s[0:1], 0x5c
	s_load_dwordx2 s[24:25], s[0:1], 0x50
	s_abs_i32 s27, s3
	s_ashr_i32 s26, s3, 31
	s_load_dwordx8 s[4:11], s[0:1], 0x30
	s_load_dwordx8 s[12:19], s[0:1], 0x0
	s_load_dwordx2 s[40:41], s[0:1], 0x20
	s_waitcnt lgkmcnt(0)
	s_abs_i32 s30, s21
	v_cvt_f32_u32_e32 v1, s30
	s_sub_i32 s28, 0, s30
	s_ashr_i32 s48, s21, 31
	s_xor_b32 s26, s26, s48
	v_rcp_iflag_f32_e32 v1, v1
	v_lshrrev_b32_e32 v77, 6, v0
	v_bfe_u32 v88, v0, 4, 2
	v_lshlrev_b32_e32 v86, 4, v77
	v_mul_f32_e32 v1, 0x4f7ffffe, v1
	v_cvt_u32_f32_e32 v1, v1
	v_lshlrev_b32_e32 v34, 2, v88
	v_and_b32_e32 v87, 63, v0
	v_mov_b32_e32 v25, 0
	v_readfirstlane_b32 s29, v1
	s_mul_i32 s28, s28, s29
	s_mul_hi_u32 s28, s29, s28
	s_add_i32 s29, s29, s28
	s_mul_hi_u32 s28, s27, s29
	s_mul_i32 s29, s28, s30
	s_sub_i32 s27, s27, s29
	s_add_i32 s29, s28, 1
	s_sub_i32 s31, s27, s30
	s_cmp_ge_u32 s27, s30
	s_cselect_b32 s28, s29, s28
	s_cselect_b32 s27, s31, s27
	s_add_i32 s29, s28, 1
	s_cmp_ge_u32 s27, s30
	s_cselect_b32 s27, s29, s28
	s_xor_b32 s27, s27, s26
	s_sub_i32 s34, s27, s26
	s_mul_i32 s26, s34, s21
	s_ashr_i32 s35, s34, 31
	s_sub_i32 s49, s3, s26
	s_lshl_b64 s[26:27], s[34:35], 2
	s_add_u32 s10, s10, s26
	s_addc_u32 s11, s11, s27
	s_add_u32 s28, s24, s26
	s_addc_u32 s29, s25, s27
	s_abs_i32 s3, s22
	v_cvt_f32_u32_e32 v1, s3
	s_load_dwordx2 s[42:43], s[10:11], 0x0
	s_nop 0
	s_load_dwordx2 s[10:11], s[0:1], 0x80
	s_load_dwordx4 s[24:27], s[0:1], 0x70
	s_sub_i32 s1, 0, s3
	v_rcp_iflag_f32_e32 v1, v1
	s_load_dword s54, s[28:29], 0x0
	s_waitcnt lgkmcnt(0)
	s_sub_i32 s58, s43, s42
	s_ashr_i32 s0, s58, 31
	v_mul_f32_e32 v1, 0x4f7ffffe, v1
	v_cvt_u32_f32_e32 v1, v1
	s_lshr_b32 s0, s0, 26
	s_add_i32 s0, s58, s0
	s_ashr_i32 s53, s0, 6
	v_readfirstlane_b32 s31, v1
	s_mul_i32 s1, s1, s31
	s_mul_hi_u32 s1, s31, s1
	s_add_i32 s31, s31, s1
	s_mul_hi_u32 s1, s30, s31
	s_mul_i32 s31, s1, s3
	s_ashr_i32 s0, s22, 31
	s_sub_i32 s30, s30, s31
	s_xor_b32 s0, s48, s0
	s_add_i32 s31, s1, 1
	s_sub_i32 s36, s30, s3
	s_cmp_ge_u32 s30, s3
	s_cselect_b32 s1, s31, s1
	s_cselect_b32 s30, s36, s30
	s_add_i32 s31, s1, 1
	s_cmp_ge_u32 s30, s3
	s_cselect_b32 s1, s31, s1
	s_xor_b32 s1, s1, s0
	s_sub_i32 s1, s1, s0
	s_abs_i32 s3, s1
	v_cvt_f32_u32_e32 v1, s3
	s_sub_i32 s29, 0, s3
	s_abs_i32 s28, s49
	s_xor_b32 s1, s49, s1
	v_rcp_iflag_f32_e32 v1, v1
	s_ashr_i32 s1, s1, 31
	s_mov_b32 s0, 0
	s_mov_b32 s33, s21
	v_mul_f32_e32 v1, 0x4f7ffffe, v1
	v_cvt_u32_f32_e32 v1, v1
	v_and_b32_e32 v89, 15, v0
	s_mul_hi_i32 s55, s49, s20
	s_mul_i32 s57, s49, s20
	v_readfirstlane_b32 s30, v1
	s_mul_i32 s29, s29, s30
	s_mul_hi_u32 s29, s30, s29
	s_add_i32 s30, s30, s29
	s_mul_hi_u32 s29, s28, s30
	s_mul_i32 s30, s29, s3
	s_sub_i32 s28, s28, s30
	s_add_i32 s30, s29, 1
	s_sub_i32 s31, s28, s3
	s_cmp_ge_u32 s28, s3
	s_cselect_b32 s29, s30, s29
	s_cselect_b32 s28, s31, s28
	s_add_i32 s30, s29, 1
	s_cmp_ge_u32 s28, s3
	s_cselect_b32 s3, s30, s29
	s_xor_b32 s3, s3, s1
	s_sub_i32 s56, s3, s1
	v_or_b32_e32 v1, v34, v86
	s_lshl_b32 s2, s2, 6
	s_mov_b32 s1, s0
	v_or_b32_e32 v92, 64, v1
	s_cmp_lt_i32 s58, 64
	v_mov_b64_e32 v[2:3], s[0:1]
	v_lshrrev_b32_e32 v91, 3, v87
	v_lshlrev_b32_e32 v90, 3, v0
	s_mul_i32 s50, s34, s25
	s_mul_hi_u32 s51, s34, s24
	s_mul_i32 s52, s35, s24
	s_mul_i32 s24, s34, s24
	v_mov_b32_e32 v24, v25
	v_mov_b32_e32 v23, v25
	;; [unrolled: 1-line block ×23, first 2 shown]
	v_mov_b64_e32 v[4:5], s[0:1]
	v_mov_b64_e32 v[6:7], s[0:1]
	;; [unrolled: 1-line block ×3, first 2 shown]
	s_cbranch_scc1 .LBB197_18
; %bb.1:
	s_ashr_i32 s60, s49, 31
	s_ashr_i32 s1, s42, 31
	s_add_u32 s0, s57, s42
	s_addc_u32 s1, s55, s1
	s_lshl_b64 s[0:1], s[0:1], 8
	v_and_b32_e32 v94, 56, v90
	s_add_u32 s28, s14, s0
	v_lshl_or_b32 v93, v77, 3, v91
	v_lshlrev_b32_e32 v2, 1, v94
	s_addc_u32 s0, s15, s1
	v_lshl_or_b32 v95, v93, 8, v2
	s_and_b32 s29, s0, 0xffff
	s_mov_b32 s31, 0x20000
	s_movk_i32 s30, 0x4000
	s_movk_i32 s0, 0x80
	v_or_b32_e32 v96, 0x2000, v95
	buffer_load_dwordx4 v[4:7], v95, s[28:31], 0 offen
	buffer_load_dwordx4 v[8:11], v95, s[28:31], s0 offen
	buffer_load_dwordx4 v[12:15], v96, s[28:31], 0 offen
	buffer_load_dwordx4 v[16:19], v96, s[28:31], s0 offen
	v_lshlrev_b32_e32 v3, 3, v93
	v_and_or_b32 v21, v0, 7, v3
	v_and_b32_e32 v3, 0x78, v3
	v_lshlrev_b32_e32 v21, 4, v21
	v_xor_b32_e32 v97, v21, v3
	v_mul_lo_u32 v20, v93, s23
	v_or_b32_e32 v98, 0x1000, v97
	v_xor_b32_e32 v3, 8, v97
	s_cmpk_eq_i32 s23, 0x80
	s_mov_b32 s59, s42
	v_xor_b32_e32 v21, 8, v98
	s_cselect_b64 s[0:1], -1, 0
	s_cmpk_lg_i32 s23, 0x80
	s_waitcnt vmcnt(3)
	ds_write_b64 v97, v[4:5] offset:49152
	ds_write_b64 v3, v[6:7] offset:49152
	s_waitcnt vmcnt(2)
	ds_write_b64 v97, v[8:9] offset:57344
	ds_write_b64 v3, v[10:11] offset:57344
	;; [unrolled: 3-line block ×4, first 2 shown]
	v_lshl_add_u32 v3, v20, 1, v94
	s_cbranch_scc0 .LBB197_3
; %bb.2:
	v_lshlrev_b32_e32 v5, 1, v3
	v_add_lshl_u32 v4, v3, s23, 1
	s_lshl_b32 s30, s23, 7
	v_lshl_or_b32 v2, v93, 9, v2
	s_cbranch_execz .LBB197_4
	s_branch .LBB197_5
.LBB197_3:
                                        ; implicit-def: $vgpr4
                                        ; implicit-def: $vgpr5
                                        ; implicit-def: $sgpr30
	v_lshl_or_b32 v2, v93, 9, v2
.LBB197_4:
	v_or_b32_e32 v4, 0x100, v2
	s_movk_i32 s30, 0x4000
	v_mov_b32_e32 v5, v2
.LBB197_5:
	s_mul_i32 s25, s42, s22
	s_ashr_i32 s61, s56, 31
	s_mul_hi_i32 s3, s42, s22
	s_add_u32 s28, s25, s56
	s_addc_u32 s29, s3, s61
	s_lshl_b64 s[28:29], s[28:29], 8
	s_add_u32 s28, s12, s28
	s_addc_u32 s3, s13, s29
	s_and_b32 s29, s3, 0xffff
	s_movk_i32 s62, 0x80
	buffer_load_dwordx4 v[6:9], v5, s[28:31], 0 offen
	buffer_load_dwordx4 v[10:13], v5, s[28:31], s62 offen
	;; [unrolled: 1-line block ×4, first 2 shown]
	v_and_b32_e32 v5, 6, v0
	v_lshlrev_b32_e32 v4, 7, v1
	v_xor_b32_e32 v27, v93, v5
	v_and_b32_e32 v22, 1, v0
	v_lshl_or_b32 v30, v89, 3, v4
	v_lshlrev_b32_e32 v27, 2, v27
	v_lshlrev_b32_e32 v23, 2, v89
	v_or_b32_e32 v99, 0x4000, v30
	v_or_b32_e32 v100, 0x6000, v30
	v_xor_b32_e32 v30, 0x440, v27
	v_cmp_eq_u32_e32 vcc, 0, v22
	v_or_b32_e32 v25, 16, v89
	v_or_b32_e32 v26, 32, v89
	v_xor_b32_e32 v28, v1, v23
	v_xor_b32_e32 v29, v92, v23
	v_cndmask_b32_e32 v22, v30, v27, vcc
	s_add_i32 s3, s51, s50
	s_mov_b32 s63, 0x1000504
	v_lshl_or_b32 v31, v25, 3, v4
	v_lshlrev_b32_e32 v25, 8, v25
	v_lshl_or_b32 v32, v26, 3, v4
	v_lshlrev_b32_e32 v28, 1, v28
	v_lshlrev_b32_e32 v29, 1, v29
	v_lshl_or_b32 v5, v5, 10, v22
	s_add_i32 s25, s3, s52
	s_mul_i32 s3, s49, s27
	s_mul_hi_u32 s28, s49, s26
	s_mov_b32 s64, 0x3020706
	v_lshlrev_b32_e32 v24, 8, v89
	v_or_b32_e32 v103, 0x4000, v32
	v_or_b32_e32 v104, 0x6000, v32
	;; [unrolled: 1-line block ×4, first 2 shown]
	v_xor_b32_e32 v22, 8, v5
	v_xor_b32_e32 v25, 24, v5
	;; [unrolled: 1-line block ×4, first 2 shown]
	s_add_i32 s3, s28, s3
	s_mul_i32 s28, s60, s26
	v_or_b32_e32 v101, 0x4000, v31
	v_or_b32_e32 v102, 0x6000, v31
	;; [unrolled: 1-line block ×4, first 2 shown]
	v_xor_b32_e32 v24, 16, v5
	v_xor_b32_e32 v27, 32, v5
	;; [unrolled: 1-line block ×3, first 2 shown]
	v_add_u32_e32 v22, 0x80, v22
	v_add_u32_e32 v25, 0x80, v25
	;; [unrolled: 1-line block ×4, first 2 shown]
	s_add_i32 s29, s3, s28
	s_lshl_b64 s[36:37], s[24:25], 2
	s_mul_i32 s28, s49, s26
	s_add_u32 s3, s18, s36
	s_addc_u32 s25, s19, s37
	s_lshl_b64 s[28:29], s[28:29], 2
	s_add_u32 s44, s3, s28
	s_movk_i32 s3, 0xf8
	s_addc_u32 s45, s25, s29
	s_lshl_b32 s38, s23, 7
	s_movk_i32 s25, 0x100
	v_mov_b32_e32 v79, 0
	v_lshlrev_b32_e32 v78, 4, v89
	v_lshlrev_b32_e32 v26, 8, v26
	s_mov_b32 s66, 0
	s_movk_i32 s30, 0x4000
	v_or_b32_e32 v109, v26, v28
	v_or_b32_e32 v110, v26, v29
	v_add_u32_e32 v136, v86, v34
	s_movk_i32 s65, 0x3000
	v_mov_b32_e32 v146, 0x3fb8aa3b
	v_mov_b32_e32 v26, v79
	s_waitcnt vmcnt(1)
	v_perm_b32 v33, v6, v14, s63
	s_waitcnt vmcnt(0)
	v_perm_b32 v35, v10, v18, s63
	v_perm_b32 v6, v6, v14, s64
	;; [unrolled: 1-line block ×15, first 2 shown]
	ds_write2st64_b32 v5, v33, v35 offset0:128 offset1:160
	ds_write2st64_b32 v22, v6, v10 offset0:128 offset1:160
	;; [unrolled: 1-line block ×8, first 2 shown]
	v_or_b32_e32 v5, 48, v89
	v_lshl_or_b32 v6, v5, 3, v4
	v_lshlrev_b32_e32 v5, 8, v5
	v_or_b32_e32 v113, v5, v28
	v_or_b32_e32 v114, v5, v29
	;; [unrolled: 1-line block ×3, first 2 shown]
	v_lshlrev_b32_e32 v5, 3, v5
	v_lshrrev_b32_e32 v7, 5, v87
	v_and_or_b32 v7, v5, s3, v7
	v_lshlrev_b32_e32 v7, 4, v7
	v_or_b32_e32 v111, 0x4000, v6
	v_or_b32_e32 v112, 0x6000, v6
	v_lshrrev_b32_e32 v6, 2, v87
	v_lshlrev_b32_e32 v11, 11, v77
	v_and_b32_e32 v5, 0x78, v5
	v_or_b32_e32 v13, 32, v7
	v_and_b32_e32 v10, 12, v6
	v_and_b32_e32 v6, 0x1000, v11
	v_lshrrev_b32_e32 v9, 1, v87
	v_xor_b32_e32 v13, v13, v5
	v_xor_b32_e32 v8, v7, v5
	v_and_b32_e32 v9, 8, v9
	v_or_b32_e32 v13, v13, v6
	v_or_b32_e32 v8, v8, v6
	v_lshlrev_b32_e32 v12, 8, v88
	v_xor_b32_e32 v117, v13, v9
	v_or_b32_e32 v13, 64, v7
	v_or_b32_e32 v7, 0x60, v7
	v_xor_b32_e32 v115, v8, v9
	v_or_b32_e32 v8, v12, v23
	v_xor_b32_e32 v13, v13, v5
	v_xor_b32_e32 v5, v7, v5
	s_ashr_i32 s3, s2, 31
	v_lshlrev_b32_e32 v8, 1, v8
	v_or_b32_e32 v13, v13, v6
	v_or_b32_e32 v5, v5, v6
	s_lshl_b64 s[28:29], s[2:3], 8
	v_lshlrev_b32_e32 v17, 2, v0
	v_or_b32_e32 v116, 0x4000, v8
	v_or_b32_e32 v118, 0x4080, v8
	v_or_b32_e32 v119, 0x4100, v8
	v_or_b32_e32 v120, 0x4180, v8
	v_xor_b32_e32 v121, v13, v9
	v_xor_b32_e32 v122, v5, v9
	v_or_b32_e32 v123, 0x6000, v8
	v_or_b32_e32 v124, 0x6080, v8
	;; [unrolled: 1-line block ×4, first 2 shown]
	v_lshlrev_b32_e32 v5, 1, v3
	v_add_lshl_u32 v3, v3, s23, 1
	v_or_b32_e32 v13, 0x100, v2
	s_add_u32 s28, s4, s28
	v_lshlrev_b32_e32 v8, 1, v89
	v_lshrrev_b32_e32 v18, 1, v0
	v_and_or_b32 v12, v17, 60, v12
	v_lshrrev_b32_e32 v14, 4, v0
	s_addc_u32 s29, s5, s29
	v_or_b32_e32 v9, 1, v8
	v_and_b32_e32 v18, 24, v18
	v_lshlrev_b32_e32 v12, 1, v12
	v_cndmask_b32_e64 v133, v5, v2, s[0:1]
	v_cndmask_b32_e64 v134, v3, v13, s[0:1]
	v_mov_b32_e32 v3, 0xa000
	v_mov_b32_e32 v5, 0x8000
	v_cmp_gt_u32_e64 s[0:1], s25, v0
	v_xor_b32_e32 v15, v14, v8
	v_xor_b32_e32 v16, v9, v14
	v_lshl_add_u64 v[8:9], s[28:29], 0, v[78:79]
	v_lshlrev_b32_e32 v78, 8, v14
	v_or_b32_e32 v129, 0x6000, v12
	v_or_b32_e32 v17, 32, v18
	;; [unrolled: 1-line block ×6, first 2 shown]
	v_cndmask_b32_e64 v3, v3, v5, s[0:1]
	v_lshlrev_b32_e32 v5, 3, v77
	v_lshl_or_b32 v127, v15, 3, v78
	v_and_b32_e32 v15, 8, v0
	v_xor_b32_e32 v13, v5, v18
	v_xor_b32_e32 v17, v5, v17
	;; [unrolled: 1-line block ×3, first 2 shown]
	v_mov_b32_e32 v19, 0x400
	v_cmp_eq_u32_e32 vcc, 0, v15
	v_or_b32_e32 v18, 0x440, v13
	v_or_b32_e32 v20, 0x440, v17
	v_xor_b32_e32 v12, 0x440, v5
	v_and_b32_e32 v14, 7, v0
	v_cndmask_b32_e64 v15, v19, 64, vcc
	v_cndmask_b32_e32 v18, v18, v13, vcc
	v_cndmask_b32_e32 v17, v20, v17, vcc
	;; [unrolled: 1-line block ×3, first 2 shown]
	v_or_b32_e32 v6, s2, v89
	v_lshl_or_b32 v128, v16, 3, v78
	v_lshlrev_b32_e32 v16, 3, v14
	v_or_b32_e32 v18, v18, v11
	v_or_b32_e32 v17, v17, v11
	v_or3_b32 v13, v11, v15, v13
	v_or_b32_e32 v5, v5, v11
	v_ashrrev_i32_e32 v7, 31, v6
	v_lshlrev_b32_e32 v14, 7, v14
	v_xor_b32_e32 v18, v18, v16
	v_xor_b32_e32 v17, v17, v16
	;; [unrolled: 1-line block ×4, first 2 shown]
	v_or_b32_e32 v2, v86, v10
	v_add_u32_e32 v19, v3, v18
	v_add_u32_e32 v20, v3, v17
	v_or_b32_e32 v135, v13, v14
	v_add_u32_e32 v11, v3, v5
	v_or3_b32 v10, v86, v10, 64
	v_add_u32_e32 v12, 0xa000, v18
	v_add_u32_e32 v13, 0xa000, v17
	;; [unrolled: 1-line block ×3, first 2 shown]
	v_lshlrev_b64 v[6:7], 1, v[6:7]
	v_lshl_add_u64 v[80:81], s[16:17], 0, v[6:7]
	v_lshl_add_u64 v[82:83], s[6:7], 0, v[6:7]
	;; [unrolled: 1-line block ×3, first 2 shown]
	s_mov_b32 s3, 0x7060302
	v_lshlrev_b32_e32 v78, 1, v4
	s_movk_i32 s25, 0x2000
	v_lshlrev_b32_e32 v137, 2, v2
	v_add_u32_e32 v138, v19, v14
	v_add_u32_e32 v139, v20, v14
	v_add_u32_e32 v140, v3, v135
	v_add_u32_e32 v141, v11, v14
	v_lshlrev_b32_e32 v142, 2, v10
	v_add_u32_e32 v143, v12, v14
	v_add_u32_e32 v144, v13, v14
	;; [unrolled: 1-line block ×3, first 2 shown]
	v_mov_b32_e32 v8, v79
	v_mov_b32_e32 v9, v79
	v_mov_b32_e32 v6, v79
	v_mov_b32_e32 v7, v79
	v_mov_b32_e32 v4, v79
	v_mov_b32_e32 v5, v79
	v_mov_b32_e32 v2, v79
	v_mov_b32_e32 v3, v79
	v_mov_b32_e32 v18, v79
	v_mov_b32_e32 v19, v79
	v_mov_b32_e32 v20, v79
	v_mov_b32_e32 v21, v79
	v_mov_b32_e32 v30, v79
	v_mov_b32_e32 v31, v79
	v_mov_b32_e32 v32, v79
	v_mov_b32_e32 v33, v79
	v_mov_b32_e32 v14, v79
	v_mov_b32_e32 v15, v79
	v_mov_b32_e32 v16, v79
	v_mov_b32_e32 v17, v79
	v_mov_b32_e32 v27, v79
	v_mov_b32_e32 v28, v79
	v_mov_b32_e32 v29, v79
	v_mov_b32_e32 v10, v79
	v_mov_b32_e32 v11, v79
	v_mov_b32_e32 v12, v79
	v_mov_b32_e32 v13, v79
	v_mov_b32_e32 v22, v79
	v_mov_b32_e32 v23, v79
	v_mov_b32_e32 v24, v79
	v_mov_b32_e32 v25, v79
	s_waitcnt lgkmcnt(0)
	s_barrier
.LBB197_6:                              ; =>This Inner Loop Header: Depth=1
	s_add_i32 s67, s66, 1
	s_cmp_lt_i32 s67, s53
	s_mov_b64 s[36:37], 0
	s_cselect_b64 s[46:47], -1, 0
	s_cmp_ge_i32 s67, s53
	s_mov_b64 s[28:29], 0
	s_cbranch_scc1 .LBB197_8
; %bb.7:                                ;   in Loop: Header=BB197_6 Depth=1
	s_add_i32 s0, s59, 64
	s_ashr_i32 s1, s0, 31
	s_add_u32 s0, s57, s0
	s_addc_u32 s1, s55, s1
	s_lshl_b64 s[0:1], s[0:1], 8
	s_add_u32 s28, s14, s0
	s_addc_u32 s29, s15, s1
.LBB197_8:                              ;   in Loop: Header=BB197_6 Depth=1
	v_cndmask_b32_e64 v34, 0, 1, s[46:47]
	v_cmp_ne_u32_e64 s[0:1], 1, v34
	s_andn2_b64 vcc, exec, s[46:47]
	s_cbranch_vccnz .LBB197_10
; %bb.9:                                ;   in Loop: Header=BB197_6 Depth=1
	s_add_i32 s36, s59, 64
	s_mul_hi_i32 s37, s36, s22
	s_mul_i32 s36, s36, s22
	s_add_u32 s36, s36, s56
	s_addc_u32 s37, s37, s61
	s_lshl_b64 s[36:37], s[36:37], 8
	s_add_u32 s36, s12, s36
	s_addc_u32 s37, s13, s37
.LBB197_10:                             ;   in Loop: Header=BB197_6 Depth=1
	v_perm_b32 v35, v33, v32, s3
	v_perm_b32 v34, v31, v30, s3
	v_perm_b32 v37, v21, v20, s3
	v_perm_b32 v36, v19, v18, s3
	ds_write_b64 v99, v[34:35]
	ds_write_b64 v100, v[36:37]
	ds_write_b64 v105, v[34:35]
	ds_write_b64 v106, v[36:37]
	v_perm_b32 v35, v29, v28, s3
	v_perm_b32 v34, v27, v26, s3
	v_perm_b32 v37, v17, v16, s3
	v_perm_b32 v36, v15, v14, s3
	ds_write_b64 v101, v[34:35]
	ds_write_b64 v102, v[36:37]
	ds_write_b64 v107, v[34:35]
	ds_write_b64 v108, v[36:37]
	;; [unrolled: 8-line block ×4, first 2 shown]
	s_waitcnt lgkmcnt(0)
	s_barrier
	ds_read_b64 v[38:39], v115 offset:49152
	ds_read2_b64 v[34:37], v116 offset1:16
	ds_read_b64 v[50:51], v118 offset:6144
	ds_read_b64 v[52:53], v116 offset:6144
	s_waitcnt lgkmcnt(2)
	v_mfma_f32_16x16x16_bf16 a[0:3], v[38:39], v[34:35], 0
	ds_read_b64 v[54:55], v117 offset:49152
	ds_read2st64_b64 v[42:45], v119 offset0:4 offset1:8
	ds_read2st64_b64 v[46:49], v120 offset0:4 offset1:8
	v_mfma_f32_16x16x16_bf16 a[4:7], v[38:39], v[36:37], 0
	ds_read2_b64 v[34:37], v116 offset0:32 offset1:48
	s_add_i32 s68, s59, 63
	s_ashr_i32 s39, s68, 31
	s_waitcnt lgkmcnt(0)
	v_mfma_f32_16x16x16_bf16 a[8:11], v[38:39], v[34:35], 0
	s_mul_i32 s46, s68, s11
	s_mul_hi_u32 s47, s68, s10
	s_add_i32 s46, s47, s46
	v_mfma_f32_16x16x16_bf16 a[12:15], v[38:39], v[36:37], 0
	ds_read2st64_b64 v[34:37], v116 offset0:4 offset1:8
	ds_read2st64_b64 v[38:41], v118 offset0:4 offset1:8
	s_mul_i32 s39, s39, s10
	s_waitcnt lgkmcnt(1)
	v_mfma_f32_16x16x16_bf16 a[0:3], v[54:55], v[34:35], a[0:3]
	s_add_i32 s47, s46, s39
	s_mul_i32 s46, s68, s10
	s_lshl_b64 s[46:47], s[46:47], 2
	s_waitcnt lgkmcnt(0)
	v_mfma_f32_16x16x16_bf16 a[4:7], v[54:55], v[38:39], a[4:7]
	s_add_u32 s46, s44, s46
	s_addc_u32 s47, s45, s47
	s_and_b64 vcc, exec, s[0:1]
	v_mfma_f32_16x16x16_bf16 a[8:11], v[54:55], v[42:43], a[8:11]
	ds_read_b64 v[34:35], v121 offset:49152
	ds_read_b64 v[38:39], v122 offset:49152
	;; [unrolled: 1-line block ×3, first 2 shown]
	v_mov_b32_e32 v149, 0
	v_mov_b32_e32 v148, 0
	v_mfma_f32_16x16x16_bf16 a[12:15], v[54:55], v[46:47], a[12:15]
	v_mov_b32_e32 v147, 0
	v_mov_b32_e32 v46, 0
	;; [unrolled: 1-line block ×3, first 2 shown]
	s_waitcnt lgkmcnt(2)
	v_mfma_f32_16x16x16_bf16 a[0:3], v[34:35], v[36:37], a[0:3]
	v_mov_b32_e32 v36, 0
	v_mov_b32_e32 v37, 0
	v_mfma_f32_16x16x16_bf16 a[4:7], v[34:35], v[40:41], a[4:7]
	v_mov_b32_e32 v40, 0
	v_mov_b32_e32 v41, 0
	;; [unrolled: 3-line block ×3, first 2 shown]
	v_mfma_f32_16x16x16_bf16 a[12:15], v[34:35], v[48:49], a[12:15]
	ds_read_b64 v[34:35], v119 offset:6144
	v_mov_b32_e32 v48, 0
	v_mov_b32_e32 v49, 0
	s_waitcnt lgkmcnt(2)
	v_mfma_f32_16x16x16_bf16 a[0:3], v[38:39], v[52:53], a[0:3]
	v_mfma_f32_16x16x16_bf16 a[4:7], v[38:39], v[50:51], a[4:7]
	s_waitcnt lgkmcnt(0)
	v_mfma_f32_16x16x16_bf16 a[8:11], v[38:39], v[34:35], a[8:11]
	v_mov_b32_e32 v34, 0
	v_mov_b32_e32 v35, 0
	v_mfma_f32_16x16x16_bf16 a[12:15], v[38:39], v[42:43], a[12:15]
	v_mov_b32_e32 v38, 0
	v_mov_b32_e32 v39, 0
	;; [unrolled: 1-line block ×4, first 2 shown]
	s_cbranch_vccnz .LBB197_12
; %bb.11:                               ;   in Loop: Header=BB197_6 Depth=1
	s_and_b32 s29, s29, 0xffff
	buffer_load_dwordx4 v[46:49], v95, s[28:31], 0 offen
	buffer_load_dwordx4 v[42:45], v95, s[28:31], s62 offen
	;; [unrolled: 1-line block ×4, first 2 shown]
	v_mov_b32_e32 v148, v97
	v_mov_b32_e32 v147, v98
.LBB197_12:                             ;   in Loop: Header=BB197_6 Depth=1
	ds_read_b64 v[70:71], v115 offset:57344
	ds_read2_b64 v[50:53], v123 offset1:16
	ds_read_b64 v[72:73], v117 offset:57344
	ds_read_b64 v[74:75], v121 offset:57344
	;; [unrolled: 1-line block ×3, first 2 shown]
	s_waitcnt lgkmcnt(3)
	v_mfma_f32_16x16x16_bf16 a[0:3], v[70:71], v[50:51], a[0:3]
	v_mfma_f32_16x16x16_bf16 a[4:7], v[70:71], v[52:53], a[4:7]
	ds_read2_b64 v[50:53], v123 offset0:32 offset1:48
	ds_read2st64_b64 v[54:57], v123 offset0:4 offset1:8
	ds_read2st64_b64 v[58:61], v124 offset0:4 offset1:8
	;; [unrolled: 1-line block ×4, first 2 shown]
	s_waitcnt lgkmcnt(4)
	v_mfma_f32_16x16x16_bf16 a[8:11], v[70:71], v[50:51], a[8:11]
	v_mfma_f32_16x16x16_bf16 a[12:15], v[70:71], v[52:53], a[12:15]
	v_add_u32_e32 v70, s59, v136
	v_ashrrev_i32_e32 v50, 31, v70
	v_mul_lo_u32 v52, v50, s10
	v_mul_lo_u32 v53, v70, s11
	v_mad_u64_u32 v[50:51], s[28:29], v70, s10, 0
	v_add3_u32 v51, v51, v53, v52
	v_add_u32_e32 v52, 1, v70
	v_ashrrev_i32_e32 v53, 31, v52
	s_waitcnt lgkmcnt(3)
	v_mfma_f32_16x16x16_bf16 a[0:3], v[72:73], v[54:55], a[0:3]
	v_mul_lo_u32 v54, v53, s10
	v_mul_lo_u32 v55, v52, s11
	v_mad_u64_u32 v[52:53], s[28:29], v52, s10, 0
	v_add3_u32 v53, v53, v55, v54
	v_add_u32_e32 v54, 2, v70
	v_ashrrev_i32_e32 v55, 31, v54
	s_waitcnt lgkmcnt(2)
	v_mfma_f32_16x16x16_bf16 a[4:7], v[72:73], v[58:59], a[4:7]
	v_mul_lo_u32 v58, v55, s10
	v_mul_lo_u32 v59, v54, s11
	v_mad_u64_u32 v[54:55], s[28:29], v54, s10, 0
	v_lshl_add_u64 v[50:51], v[50:51], 2, s[44:45]
	v_lshl_add_u64 v[52:53], v[52:53], 2, s[44:45]
	v_add3_u32 v55, v55, v59, v58
	v_add_u32_e32 v58, 3, v70
	s_waitcnt lgkmcnt(1)
	v_mfma_f32_16x16x16_bf16 a[8:11], v[72:73], v[62:63], a[8:11]
	global_load_dword v63, v[50:51], off
	v_ashrrev_i32_e32 v59, 31, v58
	v_mul_lo_u32 v59, v59, s10
	s_waitcnt lgkmcnt(0)
	v_mfma_f32_16x16x16_bf16 a[12:15], v[72:73], v[66:67], a[12:15]
	global_load_dword v66, v[52:53], off
	v_mad_u64_u32 v[50:51], s[28:29], v58, s10, 0
	s_ashr_i32 s29, s59, 31
	v_mul_lo_u32 v62, v58, s11
	s_add_u32 s28, s57, s59
	v_lshl_add_u64 v[54:55], v[54:55], 2, s[44:45]
	v_add3_u32 v51, v51, v62, v59
	s_addc_u32 s29, s55, s29
	v_lshl_add_u64 v[50:51], v[50:51], 2, s[44:45]
	global_load_dword v62, v[54:55], off
	global_load_dword v67, v[50:51], off
	s_lshl_b64 s[28:29], s[28:29], 8
	v_lshl_add_u64 v[50:51], v[80:81], 0, s[28:29]
	v_lshl_add_u64 v[50:51], v[50:51], 0, v[78:79]
	global_load_ushort v70, v[50:51], off offset:256
	global_load_ushort v71, v[50:51], off
	global_load_ushort v72, v[50:51], off offset:768
	global_load_ushort v73, v[50:51], off offset:512
	;; [unrolled: 1-line block ×6, first 2 shown]
	s_load_dword s46, s[46:47], 0x0
	v_mfma_f32_16x16x16_bf16 a[12:15], v[74:75], v[68:69], a[12:15]
	global_load_ushort v68, v[50:51], off offset:320
	global_load_ushort v69, v[50:51], off offset:64
	s_and_b64 vcc, exec, s[0:1]
	v_mfma_f32_16x16x16_bf16 a[0:3], v[74:75], v[56:57], a[0:3]
	ds_read_b64 v[52:53], v123 offset:6144
	ds_read_b64 v[54:55], v124 offset:6144
	ds_read_b64 v[56:57], v125 offset:6144
	ds_read_b64 v[58:59], v126 offset:6144
	v_mfma_f32_16x16x16_bf16 a[4:7], v[74:75], v[60:61], a[4:7]
	s_waitcnt vmcnt(11) lgkmcnt(0)
	v_sub_f32_e32 v60, s46, v62
	v_mfma_f32_16x16x16_bf16 a[8:11], v[74:75], v[64:65], a[8:11]
	global_load_ushort v74, v[50:51], off offset:832
	global_load_ushort v75, v[50:51], off offset:576
	;; [unrolled: 1-line block ×6, first 2 shown]
	v_mfma_f32_16x16x16_bf16 a[0:3], v[150:151], v[52:53], a[0:3]
	s_waitcnt vmcnt(16)
	v_sub_f32_e32 v61, s46, v67
	v_mul_f32_e32 v60, 0x3fb8aa3b, v60
	v_mul_f32_e32 v61, 0x3fb8aa3b, v61
	v_exp_f32_e32 v60, v60
	v_exp_f32_e32 v61, v61
	s_waitcnt vmcnt(15)
	v_lshlrev_b32_e32 v65, 16, v70
	s_waitcnt vmcnt(14)
	v_lshlrev_b32_e32 v64, 16, v71
	v_accvgpr_read_b32 v53, a3
	v_accvgpr_read_b32 v52, a2
	v_mfma_f32_16x16x16_bf16 a[2:5], v[150:151], v[54:55], a[4:7]
	v_mfma_f32_16x16x16_bf16 a[6:9], v[150:151], v[56:57], a[8:11]
	s_nop 5
	v_accvgpr_read_b32 v55, a5
	v_accvgpr_read_b32 v54, a4
	v_accvgpr_read_b32 v51, a9
	v_accvgpr_read_b32 v50, a8
	v_mfma_f32_16x16x16_bf16 a[8:11], v[150:151], v[58:59], a[12:15]
	v_sub_f32_e32 v58, s46, v63
	v_sub_f32_e32 v59, s46, v66
	v_mul_f32_e32 v58, 0x3fb8aa3b, v58
	v_mul_f32_e32 v59, 0x3fb8aa3b, v59
	v_exp_f32_e32 v58, v58
	v_exp_f32_e32 v59, v59
	v_accvgpr_read_b32 v67, a1
	v_accvgpr_read_b32 v66, a0
	v_lshl_add_u64 v[62:63], v[82:83], 0, s[28:29]
	v_pk_add_f32 v[64:65], v[64:65], v[66:67] neg_lo:[0,1] neg_hi:[0,1]
	s_waitcnt vmcnt(13)
	v_lshlrev_b32_e32 v67, 16, v72
	s_waitcnt vmcnt(12)
	v_lshlrev_b32_e32 v66, 16, v73
	v_lshl_add_u64 v[62:63], v[62:63], 0, v[78:79]
	v_pk_add_f32 v[52:53], v[66:67], v[52:53] neg_lo:[0,1] neg_hi:[0,1]
	global_store_short_d16_hi v[62:63], v64, off
	global_store_short_d16_hi v[62:63], v65, off offset:256
	global_store_short_d16_hi v[62:63], v52, off offset:512
	;; [unrolled: 1-line block ×3, first 2 shown]
	v_pk_mul_f32 v[64:65], v[58:59], v[64:65]
	v_pk_mul_f32 v[52:53], v[60:61], v[52:53]
	v_accvgpr_read_b32 v67, a3
	v_perm_b32 v53, v53, v52, s3
	v_perm_b32 v52, v65, v64, s3
	s_waitcnt vmcnt(15)
	v_lshlrev_b32_e32 v65, 16, v76
	s_waitcnt vmcnt(14)
	v_lshlrev_b32_e32 v64, 16, v152
	v_accvgpr_read_b32 v66, a2
	v_pk_add_f32 v[64:65], v[64:65], v[66:67] neg_lo:[0,1] neg_hi:[0,1]
	s_waitcnt vmcnt(13)
	v_lshlrev_b32_e32 v67, 16, v153
	s_waitcnt vmcnt(12)
	v_lshlrev_b32_e32 v66, 16, v154
	v_pk_add_f32 v[54:55], v[66:67], v[54:55] neg_lo:[0,1] neg_hi:[0,1]
	global_store_short_d16_hi v[62:63], v64, off offset:32
	global_store_short_d16_hi v[62:63], v65, off offset:288
	;; [unrolled: 1-line block ×4, first 2 shown]
	v_pk_mul_f32 v[64:65], v[58:59], v[64:65]
	v_pk_mul_f32 v[54:55], v[60:61], v[54:55]
	v_accvgpr_read_b32 v57, a11
	v_perm_b32 v55, v55, v54, s3
	v_perm_b32 v54, v65, v64, s3
	ds_write2_b64 v100, v[52:53], v[54:55] offset1:16
	v_accvgpr_read_b32 v55, a7
	s_waitcnt vmcnt(15)
	v_lshlrev_b32_e32 v53, 16, v68
	s_waitcnt vmcnt(14)
	v_lshlrev_b32_e32 v52, 16, v69
	v_accvgpr_read_b32 v54, a6
	v_pk_add_f32 v[52:53], v[52:53], v[54:55] neg_lo:[0,1] neg_hi:[0,1]
	global_store_short_d16_hi v[62:63], v52, off offset:64
	global_store_short_d16_hi v[62:63], v53, off offset:320
	v_pk_mul_f32 v[52:53], v[58:59], v[52:53]
	v_accvgpr_read_b32 v56, a10
	v_perm_b32 v52, v53, v52, s3
	v_mov_b32_e32 v150, 0
	v_mov_b32_e32 v64, 0
	;; [unrolled: 1-line block ×3, first 2 shown]
	s_waitcnt vmcnt(15)
	v_lshlrev_b32_e32 v55, 16, v74
	s_waitcnt vmcnt(14)
	v_lshlrev_b32_e32 v54, 16, v75
	v_pk_add_f32 v[50:51], v[54:55], v[50:51] neg_lo:[0,1] neg_hi:[0,1]
	global_store_short_d16_hi v[62:63], v50, off offset:576
	global_store_short_d16_hi v[62:63], v51, off offset:832
	v_pk_mul_f32 v[50:51], v[60:61], v[50:51]
	v_accvgpr_read_b32 v55, a9
	v_perm_b32 v53, v51, v50, s3
	s_waitcnt vmcnt(15)
	v_lshlrev_b32_e32 v51, 16, v155
	s_waitcnt vmcnt(14)
	v_lshlrev_b32_e32 v50, 16, v156
	v_accvgpr_read_b32 v54, a8
	v_pk_add_f32 v[50:51], v[50:51], v[54:55] neg_lo:[0,1] neg_hi:[0,1]
	s_waitcnt vmcnt(13)
	v_lshlrev_b32_e32 v55, 16, v157
	s_waitcnt vmcnt(12)
	v_lshlrev_b32_e32 v54, 16, v158
	v_pk_add_f32 v[54:55], v[54:55], v[56:57] neg_lo:[0,1] neg_hi:[0,1]
	global_store_short_d16_hi v[62:63], v50, off offset:96
	global_store_short_d16_hi v[62:63], v51, off offset:352
	;; [unrolled: 1-line block ×4, first 2 shown]
	v_pk_mul_f32 v[50:51], v[58:59], v[50:51]
	v_pk_mul_f32 v[54:55], v[60:61], v[54:55]
	v_mov_b32_e32 v56, 0
	v_perm_b32 v55, v55, v54, s3
	v_perm_b32 v54, v51, v50, s3
	ds_write2_b64 v100, v[52:53], v[54:55] offset0:32 offset1:48
	v_mov_b32_e32 v50, 0
	v_mov_b32_e32 v51, 0
	v_mov_b32_e32 v52, 0
	v_mov_b32_e32 v53, 0
	v_mov_b32_e32 v54, 0
	v_mov_b32_e32 v55, 0
	v_mov_b32_e32 v57, 0
	v_mov_b32_e32 v58, 0
	v_mov_b32_e32 v59, 0
	v_mov_b32_e32 v60, 0
	v_mov_b32_e32 v61, 0
	v_mov_b32_e32 v62, 0
	v_mov_b32_e32 v63, 0
	s_cbranch_vccnz .LBB197_14
; %bb.13:                               ;   in Loop: Header=BB197_6 Depth=1
	s_and_b32 s37, s37, 0xffff
	s_mov_b32 s39, s31
	buffer_load_dwordx4 v[62:65], v133, s[36:39], 0 offen
	buffer_load_dwordx4 v[54:57], v133, s[36:39], s62 offen
	;; [unrolled: 1-line block ×4, first 2 shown]
	v_mov_b32_e32 v149, v94
	v_mov_b32_e32 v150, v93
.LBB197_14:                             ;   in Loop: Header=BB197_6 Depth=1
	s_waitcnt lgkmcnt(0)
	s_barrier
	ds_read_b64 v[74:75], v138
	ds_read2_b64 v[66:69], v129 offset1:16
	ds_read_b64 v[168:169], v139
	ds_read_b64 v[170:171], v140
	;; [unrolled: 1-line block ×3, first 2 shown]
	ds_read2_b64 v[70:73], v129 offset0:32 offset1:48
	ds_read2st64_b64 v[152:155], v129 offset0:4 offset1:8
	ds_read2st64_b64 v[156:159], v130 offset0:4 offset1:8
	;; [unrolled: 1-line block ×4, first 2 shown]
	s_waitcnt lgkmcnt(8)
	v_mfma_f32_16x16x16_bf16 a[0:3], v[74:75], v[66:67], 0
	s_add_i32 s28, s54, s66
	s_mul_hi_i32 s29, s28, s33
	s_mul_i32 s28, s28, s33
	v_mfma_f32_16x16x16_bf16 a[4:7], v[74:75], v[68:69], 0
	s_add_u32 s28, s28, s49
	s_addc_u32 s29, s29, s60
	s_lshl_b64 s[28:29], s[28:29], 15
	s_waitcnt lgkmcnt(4)
	v_mfma_f32_16x16x16_bf16 a[8:11], v[74:75], v[70:71], 0
	s_mul_i32 s36, s68, s33
	s_mul_hi_i32 s37, s68, s33
	s_add_u32 s36, s36, s49
	v_mfma_f32_16x16x16_bf16 a[12:15], v[74:75], v[72:73], 0
	ds_read_b64 v[74:75], v129 offset:6144
	ds_read_b64 v[180:181], v130 offset:6144
	;; [unrolled: 1-line block ×4, first 2 shown]
	s_addc_u32 s37, s37, s60
	s_waitcnt lgkmcnt(7)
	v_mfma_f32_16x16x16_bf16 a[0:3], v[168:169], v[152:153], a[0:3]
	s_lshl_b64 s[36:37], s[36:37], 9
	s_add_u32 s36, s40, s36
	s_addc_u32 s37, s41, s37
	s_waitcnt lgkmcnt(6)
	v_mfma_f32_16x16x16_bf16 a[4:7], v[168:169], v[156:157], a[4:7]
	v_lshl_add_u64 v[190:191], v[84:85], 0, s[28:29]
	s_waitcnt lgkmcnt(5)
	v_mfma_f32_16x16x16_bf16 a[8:11], v[168:169], v[160:161], a[8:11]
	s_waitcnt lgkmcnt(4)
	v_mfma_f32_16x16x16_bf16 a[12:15], v[168:169], v[164:165], a[12:15]
	ds_read_b64 v[168:169], v143
	ds_read_b64 v[178:179], v144
	;; [unrolled: 1-line block ×3, first 2 shown]
	s_waitcnt lgkmcnt(2)
	v_mfma_f32_16x16x16_bf16 a[16:19], v[168:169], v[66:67], 0
	v_mfma_f32_16x16x16_bf16 a[20:23], v[168:169], v[68:69], 0
	global_load_dwordx4 v[66:69], v142, s[36:37]
	v_mfma_f32_16x16x16_bf16 a[24:27], v[168:169], v[70:71], 0
	v_mfma_f32_16x16x16_bf16 a[28:31], v[168:169], v[72:73], 0
	global_load_dwordx4 v[70:73], v137, s[36:37]
	v_mfma_f32_16x16x16_bf16 a[0:3], v[170:171], v[154:155], a[0:3]
	v_mfma_f32_16x16x16_bf16 a[4:7], v[170:171], v[158:159], a[4:7]
	;; [unrolled: 1-line block ×8, first 2 shown]
	ds_read2st64_b64 v[168:171], v127 offset1:8
	ds_read2st64_b64 v[172:175], v128 offset1:8
	ds_read_b64 v[188:189], v135 offset:40960
	s_waitcnt lgkmcnt(2)
	v_mov_b32_e32 v176, v168
	v_mfma_f32_16x16x16_bf16 a[16:19], v[178:179], v[152:153], a[16:19]
	v_mov_b32_e32 v177, v169
	v_mfma_f32_16x16x16_bf16 a[20:23], v[178:179], v[156:157], a[20:23]
	v_mfma_f32_16x16x16_bf16 a[24:27], v[178:179], v[160:161], a[24:27]
	;; [unrolled: 1-line block ×3, first 2 shown]
	v_add_co_u32_e32 v164, vcc, s25, v190
	s_waitcnt lgkmcnt(1)
	v_mov_b32_e32 v178, v172
	s_waitcnt lgkmcnt(0)
	v_mfma_f32_16x16x16_bf16 a[16:19], v[188:189], v[154:155], a[16:19]
	ds_read2st64_b64 v[152:155], v127 offset0:16 offset1:24
	v_addc_co_u32_e32 v165, vcc, 0, v191, vcc
	v_mfma_f32_16x16x16_bf16 a[20:23], v[188:189], v[158:159], a[20:23]
	ds_read2st64_b64 v[156:159], v128 offset0:16 offset1:24
	v_mov_b32_e32 v179, v173
	v_mov_b32_e32 v172, v170
	v_mfma_f32_16x16x16_bf16 a[32:35], v[188:189], v[162:163], a[24:27]
	v_mov_b32_e32 v173, v171
	s_waitcnt lgkmcnt(0)
	v_mov_b32_e32 v162, v156
	v_mov_b32_e32 v163, v157
	v_mfma_f32_16x16x16_bf16 a[36:39], v[188:189], v[166:167], a[28:31]
	v_mov_b32_e32 v156, v154
	v_mov_b32_e32 v157, v155
	;; [unrolled: 1-line block ×3, first 2 shown]
	v_mfma_f32_16x16x16_bf16 a[24:27], v[186:187], v[74:75], a[16:19]
	v_add_co_u32_e32 v74, vcc, s65, v190
	v_mov_b32_e32 v161, v153
	v_mfma_f32_16x16x16_bf16 a[28:31], v[186:187], v[180:181], a[20:23]
	v_addc_co_u32_e32 v75, vcc, 0, v191, vcc
	global_store_dwordx4 v[74:75], v[156:159], off
	v_mfma_f32_16x16x16_bf16 a[16:19], v[186:187], v[182:183], a[32:35]
	s_waitcnt vmcnt(2)
	v_mov_b32_e32 v76, v69
	v_mov_b32_e32 v75, v68
	v_mov_b32_e32 v74, v67
	v_mfma_f32_16x16x16_bf16 a[20:23], v[186:187], v[184:185], a[36:39]
	s_and_b64 vcc, exec, s[0:1]
	global_store_dwordx4 v[190:191], v[176:179], off
	global_store_dwordx4 v[164:165], v[172:175], off offset:-4096
	global_store_dwordx4 v[164:165], v[160:163], off
	s_cbranch_vccnz .LBB197_16
; %bb.15:                               ;   in Loop: Header=BB197_6 Depth=1
	v_lshrrev_b32_e32 v67, 3, v149
	v_and_b32_e32 v67, 6, v67
	v_xor_b32_e32 v68, v67, v150
	v_lshlrev_b32_e32 v68, 2, v68
	v_and_b32_e32 v69, 8, v149
	v_xor_b32_e32 v149, 0x440, v68
	v_cmp_eq_u32_e32 vcc, 0, v69
	v_perm_b32 v69, v54, v50, s63
	s_nop 0
	v_cndmask_b32_e32 v68, v149, v68, vcc
	v_lshl_or_b32 v67, v67, 10, v68
	v_perm_b32 v68, v62, v58, s63
	s_barrier
	ds_write2st64_b32 v67, v68, v69 offset0:128 offset1:160
	v_xor_b32_e32 v68, 8, v67
	v_perm_b32 v58, v62, v58, s64
	v_perm_b32 v50, v54, v50, s64
	v_add_u32_e32 v54, 0x80, v68
	ds_write2st64_b32 v54, v58, v50 offset0:128 offset1:160
	v_xor_b32_e32 v50, 16, v67
	v_perm_b32 v54, v63, v59, s63
	v_perm_b32 v58, v55, v51, s63
	ds_write2st64_b32 v50, v54, v58 offset0:129 offset1:161
	v_xor_b32_e32 v50, 24, v67
	v_perm_b32 v54, v63, v59, s64
	v_perm_b32 v51, v55, v51, s64
	v_add_u32_e32 v50, 0x80, v50
	ds_write2st64_b32 v50, v54, v51 offset0:129 offset1:161
	v_xor_b32_e32 v50, 32, v67
	v_perm_b32 v51, v64, v60, s63
	v_perm_b32 v54, v56, v52, s63
	ds_write2st64_b32 v50, v51, v54 offset0:130 offset1:162
	v_xor_b32_e32 v50, 40, v67
	v_perm_b32 v51, v64, v60, s64
	v_perm_b32 v52, v56, v52, s64
	v_add_u32_e32 v50, 0x80, v50
	ds_write2st64_b32 v50, v51, v52 offset0:130 offset1:162
	v_xor_b32_e32 v50, 48, v67
	v_perm_b32 v51, v65, v61, s63
	v_perm_b32 v52, v57, v53, s63
	ds_write2st64_b32 v50, v51, v52 offset0:131 offset1:163
	v_xor_b32_e32 v50, 56, v67
	v_perm_b32 v51, v65, v61, s64
	v_perm_b32 v52, v57, v53, s64
	v_add_u32_e32 v50, 0x80, v50
	ds_write2st64_b32 v50, v51, v52 offset0:131 offset1:163
	ds_write_b64 v148, v[46:47] offset:49152
	v_xor_b32_e32 v46, 8, v148
	ds_write_b64 v46, v[48:49] offset:49152
	ds_write_b64 v148, v[42:43] offset:57344
	ds_write_b64 v46, v[44:45] offset:57344
	ds_write_b64 v147, v[38:39] offset:49152
	v_xor_b32_e32 v38, 8, v147
	ds_write_b64 v38, v[40:41] offset:49152
	ds_write_b64 v147, v[34:35] offset:57344
	;; [unrolled: 1-line block ×3, first 2 shown]
.LBB197_16:                             ;   in Loop: Header=BB197_6 Depth=1
	v_mul_f32_e32 v58, s46, v146
	v_exp_f32_e32 v68, v58
	s_waitcnt vmcnt(4)
	v_mul_f32_e32 v58, 0x3fb8aa3b, v70
	v_exp_f32_e32 v70, v58
	v_mul_f32_e32 v58, 0x3fb8aa3b, v71
	v_exp_f32_e32 v71, v58
	;; [unrolled: 2-line block ×4, first 2 shown]
	v_accvgpr_read_b32 v37, a3
	v_accvgpr_read_b32 v36, a2
	;; [unrolled: 1-line block ×4, first 2 shown]
	v_pk_mul_f32 v[70:71], v[68:69], v[70:71] op_sel_hi:[0,1]
	v_pk_mul_f32 v[72:73], v[68:69], v[72:73] op_sel_hi:[0,1]
	v_pk_fma_f32 v[30:31], v[30:31], v[70:71], v[34:35]
	v_pk_fma_f32 v[32:33], v[32:33], v[72:73], v[36:37]
	v_mul_f32_e32 v34, 0x3fb8aa3b, v66
	v_mul_f32_e32 v35, 0x3fb8aa3b, v74
	;; [unrolled: 1-line block ×4, first 2 shown]
	v_exp_f32_e32 v34, v34
	v_exp_f32_e32 v35, v35
	;; [unrolled: 1-line block ×4, first 2 shown]
	v_accvgpr_read_b32 v41, a7
	v_accvgpr_read_b32 v45, a11
	;; [unrolled: 1-line block ×28, first 2 shown]
	v_pk_mul_f32 v[34:35], v[68:69], v[34:35] op_sel_hi:[0,1]
	v_pk_mul_f32 v[36:37], v[68:69], v[36:37] op_sel_hi:[0,1]
	s_add_i32 s59, s59, 64
	v_pk_fma_f32 v[26:27], v[70:71], v[26:27], v[38:39]
	v_pk_fma_f32 v[28:29], v[72:73], v[28:29], v[40:41]
	;; [unrolled: 1-line block ×13, first 2 shown]
	s_cmp_eq_u32 s53, s67
	v_pk_fma_f32 v[8:9], v[36:37], v[8:9], v[64:65]
	s_cbranch_scc1 .LBB197_18
; %bb.17:                               ;   in Loop: Header=BB197_6 Depth=1
	s_mov_b32 s66, s67
	s_branch .LBB197_6
.LBB197_18:
	s_lshl_b32 s3, s53, 6
	s_sub_i32 s58, s58, s3
	s_cmp_gt_i32 s58, 0
	v_or_b32_e32 v50, s2, v89
	s_cbranch_scc1 .LBB197_20
; %bb.19:
	s_ashr_i32 s37, s49, 31
	v_or_b32_e32 v34, s2, v89
	s_cbranch_execz .LBB197_21
	s_branch .LBB197_101
.LBB197_20:
                                        ; implicit-def: $vgpr34
                                        ; implicit-def: $sgpr36_sgpr37
.LBB197_21:
	s_add_i32 s36, s3, s42
	s_ashr_i32 s3, s36, 31
	s_cmpk_lg_i32 s23, 0x80
	s_cselect_b64 s[44:45], -1, 0
	s_and_b64 vcc, exec, s[44:45]
	s_cbranch_vccz .LBB197_23
; %bb.22:
	s_mul_hi_i32 s0, s36, s22
	s_mul_i32 s1, s36, s22
	s_ashr_i32 s22, s56, 31
	s_add_u32 s46, s1, s56
	s_addc_u32 s47, s0, s22
	s_cbranch_execz .LBB197_24
	s_branch .LBB197_25
.LBB197_23:
                                        ; implicit-def: $sgpr46_sgpr47
.LBB197_24:
	s_mul_i32 s1, s56, s20
	s_mul_hi_i32 s0, s56, s20
	s_add_u32 s46, s1, s36
	s_addc_u32 s47, s0, s3
.LBB197_25:
	s_add_i32 s20, s53, s54
	s_ashr_i32 s37, s49, 31
	s_add_u32 s0, s57, s36
	v_lshlrev_b32_e32 v38, 6, v1
	v_lshlrev_b32_e32 v59, 2, v89
	s_addc_u32 s1, s55, s3
	s_mov_b32 s3, 0x7060302
	v_or_b32_e32 v41, v38, v59
	v_xor_b32_e32 v39, v1, v59
	v_perm_b32 v35, v33, v32, s3
	v_perm_b32 v34, v31, v30, s3
	;; [unrolled: 1-line block ×4, first 2 shown]
	v_lshlrev_b32_e32 v41, 1, v41
	v_xor_b32_e32 v40, v92, v59
	ds_write2st64_b64 v41, v[34:35], v[36:37] offset0:32 offset1:48
	v_lshlrev_b32_e32 v39, 1, v39
	v_lshlrev_b32_e32 v41, 8, v89
	v_or_b32_e32 v42, v39, v41
	v_lshlrev_b32_e32 v40, 1, v40
	ds_write_b64 v42, v[34:35]
	v_or_b32_e32 v34, v40, v41
	v_or_b32_e32 v41, 16, v89
	v_lshlrev_b32_e32 v57, 2, v41
	v_or_b32_e32 v42, v38, v57
	ds_write_b64 v34, v[36:37]
	v_perm_b32 v35, v29, v28, s3
	v_perm_b32 v34, v27, v26, s3
	;; [unrolled: 1-line block ×4, first 2 shown]
	v_lshlrev_b32_e32 v42, 1, v42
	v_lshlrev_b32_e32 v41, 8, v41
	ds_write2st64_b64 v42, v[34:35], v[36:37] offset0:32 offset1:48
	v_or_b32_e32 v42, v39, v41
	ds_write_b64 v42, v[34:35]
	v_or_b32_e32 v34, v40, v41
	v_or_b32_e32 v41, 32, v89
	v_lshlrev_b32_e32 v56, 2, v41
	v_or_b32_e32 v42, v38, v56
	ds_write_b64 v34, v[36:37]
	v_perm_b32 v35, v25, v24, s3
	v_perm_b32 v34, v23, v22, s3
	;; [unrolled: 1-line block ×4, first 2 shown]
	v_lshlrev_b32_e32 v42, 1, v42
	v_lshlrev_b32_e32 v41, 8, v41
	s_lshl_b64 s[38:39], s[0:1], 8
	ds_write2st64_b64 v42, v[34:35], v[36:37] offset0:32 offset1:48
	v_or_b32_e32 v42, v39, v41
	s_add_u32 s0, s14, s38
	ds_write_b64 v42, v[34:35]
	v_or_b32_e32 v34, v40, v41
	s_addc_u32 s1, s15, s39
	ds_write_b64 v34, v[36:37]
	v_perm_b32 v35, v5, v4, s3
	v_perm_b32 v34, v3, v2, s3
	;; [unrolled: 1-line block ×4, first 2 shown]
	v_or_b32_e32 v41, 48, v89
	s_mul_hi_i32 s3, s20, s21
	s_mul_i32 s20, s20, s21
	v_lshlrev_b32_e32 v53, 2, v41
	s_add_u32 s14, s20, s49
	v_or_b32_e32 v38, v38, v53
	s_addc_u32 s15, s3, s37
	v_lshlrev_b32_e32 v38, 1, v38
	s_ashr_i32 s3, s2, 31
	s_lshl_b64 s[14:15], s[14:15], 15
	ds_write2st64_b64 v38, v[34:35], v[36:37] offset0:32 offset1:48
	v_lshlrev_b32_e32 v38, 8, v41
	s_add_u32 s4, s4, s14
	v_or_b32_e32 v39, v39, v38
	s_addc_u32 s5, s5, s15
	s_lshl_b64 s[2:3], s[2:3], 8
	ds_write_b64 v39, v[34:35]
	v_or_b32_e32 v34, v40, v38
	s_add_u32 s2, s4, s2
	v_lshlrev_b32_e32 v35, 1, v89
	ds_write_b64 v34, v[36:37]
	v_lshrrev_b32_e32 v34, 4, v0
	s_addc_u32 s3, s5, s3
	v_or_b32_e32 v36, 1, v35
	v_lshlrev_b32_e32 v42, 4, v89
	v_mov_b32_e32 v43, 0
	v_xor_b32_e32 v35, v34, v35
	v_xor_b32_e32 v38, v36, v34
	v_lshl_add_u64 v[44:45], s[2:3], 0, v[42:43]
	v_lshlrev_b32_e32 v42, 8, v34
	v_lshl_or_b32 v48, v35, 3, v42
	v_lshl_or_b32 v49, v38, 3, v42
	s_waitcnt lgkmcnt(0)
	s_barrier
	ds_read2st64_b64 v[34:37], v48 offset1:8
	ds_read2st64_b64 v[38:41], v49 offset1:8
	v_lshl_add_u64 v[46:47], v[44:45], 0, v[42:43]
	s_movk_i32 s2, 0x2000
	s_cmp_lg_u32 s58, 64
	s_waitcnt lgkmcnt(1)
	v_mov_b32_e32 v42, v34
	v_mov_b32_e32 v43, v35
	s_waitcnt lgkmcnt(0)
	v_mov_b32_e32 v44, v38
	v_mov_b32_e32 v45, v39
	global_store_dwordx4 v[46:47], v[42:45], off
	v_mov_b32_e32 v38, v36
	v_mov_b32_e32 v39, v37
	ds_read2st64_b64 v[34:37], v48 offset0:16 offset1:24
	ds_read2st64_b64 v[42:45], v49 offset0:16 offset1:24
	v_add_co_u32_e32 v48, vcc, s2, v46
	s_cselect_b64 s[4:5], -1, 0
	s_nop 0
	v_addc_co_u32_e32 v49, vcc, 0, v47, vcc
	global_store_dwordx4 v[48:49], v[38:41], off offset:-4096
	v_lshl_or_b32 v51, v77, 3, v91
	s_mov_b32 s28, 0
	s_waitcnt lgkmcnt(1)
	v_mov_b32_e32 v38, v34
	v_add_co_u32_e32 v34, vcc, 0x3000, v46
	v_mov_b32_e32 v39, v35
	s_nop 0
	v_addc_co_u32_e32 v35, vcc, 0, v47, vcc
	s_waitcnt lgkmcnt(0)
	v_mov_b32_e32 v40, v42
	v_mov_b32_e32 v41, v43
	;; [unrolled: 1-line block ×4, first 2 shown]
	v_or_b32_e32 v54, 32, v51
	v_and_b32_e32 v52, 56, v90
	s_and_b64 vcc, exec, s[4:5]
	global_store_dwordx4 v[48:49], v[38:41], off
	global_store_dwordx4 v[34:35], v[42:45], off
	s_cbranch_vccz .LBB197_31
; %bb.26:
	s_mov_b32 s30, s28
	s_mov_b32 s31, s28
	;; [unrolled: 1-line block ×3, first 2 shown]
	v_mov_b64_e32 v[40:41], s[30:31]
	v_mov_b64_e32 v[38:39], s[28:29]
	v_mov_b64_e32 v[34:35], v[38:39]
	v_cmp_gt_i32_e32 vcc, s58, v51
	v_mov_b64_e32 v[36:37], v[40:41]
	s_and_saveexec_b64 s[2:3], vcc
	s_cbranch_execz .LBB197_28
; %bb.27:
	v_lshlrev_b32_e32 v34, 8, v51
	v_mov_b32_e32 v35, 0
	v_lshl_add_u64 v[36:37], s[0:1], 0, v[34:35]
	v_lshlrev_b32_e32 v34, 1, v52
	v_lshl_add_u64 v[42:43], v[36:37], 0, v[34:35]
	global_load_dwordx4 v[38:41], v[42:43], off
	global_load_dwordx4 v[34:37], v[42:43], off offset:128
.LBB197_28:
	s_or_b64 exec, exec, s[2:3]
	s_mov_b32 s30, s28
	s_mov_b32 s31, s28
	;; [unrolled: 1-line block ×3, first 2 shown]
	v_mov_b64_e32 v[48:49], s[30:31]
	v_mov_b64_e32 v[46:47], s[28:29]
	v_mov_b64_e32 v[42:43], v[46:47]
	v_cmp_gt_i32_e32 vcc, s58, v54
	v_lshlrev_b32_e32 v55, 7, v54
	v_mov_b64_e32 v[44:45], v[48:49]
	s_and_saveexec_b64 s[2:3], vcc
	s_cbranch_execz .LBB197_30
; %bb.29:
	v_lshlrev_b32_e32 v42, 1, v55
	v_mov_b32_e32 v43, 0
	v_lshl_add_u64 v[44:45], s[0:1], 0, v[42:43]
	v_lshlrev_b32_e32 v42, 1, v52
	v_lshl_add_u64 v[60:61], v[44:45], 0, v[42:43]
	global_load_dwordx4 v[46:49], v[60:61], off
	global_load_dwordx4 v[42:45], v[60:61], off offset:128
.LBB197_30:
	s_or_b64 exec, exec, s[2:3]
	v_lshrrev_b32_e32 v58, 3, v52
	v_lshlrev_b32_e32 v60, 3, v51
	v_or_b32_e32 v58, v60, v58
	v_lshlrev_b32_e32 v58, 4, v58
	v_and_b32_e32 v60, 0x78, v60
	v_xor_b32_e32 v58, v58, v60
	s_branch .LBB197_33
.LBB197_31:
                                        ; implicit-def: $vgpr58
                                        ; implicit-def: $vgpr55
                                        ; implicit-def: $vgpr38_vgpr39_vgpr40_vgpr41
                                        ; implicit-def: $vgpr34_vgpr35_vgpr36_vgpr37
                                        ; implicit-def: $vgpr46_vgpr47_vgpr48_vgpr49
                                        ; implicit-def: $vgpr42_vgpr43_vgpr44_vgpr45
	s_cbranch_execz .LBB197_33
; %bb.32:
	s_waitcnt vmcnt(0)
	v_lshlrev_b32_e32 v34, 1, v52
	v_lshl_or_b32 v55, v51, 8, v34
	s_and_b32 s1, s1, 0xffff
	s_mov_b32 s3, 0x20000
	s_movk_i32 s2, 0x4000
	v_lshl_or_b32 v58, v54, 8, v34
	s_movk_i32 s14, 0x80
	buffer_load_dwordx4 v[38:41], v55, s[0:3], 0 offen
	buffer_load_dwordx4 v[34:37], v55, s[0:3], s14 offen
	;; [unrolled: 1-line block ×4, first 2 shown]
	v_lshrrev_b32_e32 v55, 3, v52
	v_lshlrev_b32_e32 v58, 3, v51
	v_or_b32_e32 v55, v58, v55
	v_lshlrev_b32_e32 v55, 4, v55
	v_and_b32_e32 v58, 0x78, v58
	v_xor_b32_e32 v58, v55, v58
	v_lshlrev_b32_e32 v55, 7, v54
.LBB197_33:
	s_movk_i32 s0, 0x1000
	v_and_or_b32 v54, v55, s0, v58
	s_waitcnt vmcnt(1)
	ds_write_b64 v58, v[38:39] offset:49152
	v_xor_b32_e32 v38, 8, v58
	ds_write_b64 v38, v[40:41] offset:49152
	s_waitcnt vmcnt(0)
	ds_write_b64 v58, v[34:35] offset:57344
	ds_write_b64 v38, v[36:37] offset:57344
	;; [unrolled: 1-line block ×3, first 2 shown]
	v_xor_b32_e32 v34, 8, v54
	ds_write_b64 v34, v[48:49] offset:49152
	ds_write_b64 v54, v[42:43] offset:57344
	;; [unrolled: 1-line block ×3, first 2 shown]
	v_or_b32_e32 v34, v86, v89
	v_lshlrev_b32_e32 v34, 3, v34
	v_lshrrev_b32_e32 v35, 5, v87
	s_movk_i32 s0, 0xf8
	v_and_or_b32 v35, v34, s0, v35
	v_lshlrev_b32_e32 v39, 4, v35
	v_lshlrev_b32_e32 v58, 11, v77
	v_and_b32_e32 v40, 0x78, v34
	v_or_b32_e32 v42, 32, v39
	v_and_b32_e32 v38, 0x1000, v58
	v_lshrrev_b32_e32 v35, 1, v87
	v_xor_b32_e32 v42, v42, v40
	v_xor_b32_e32 v34, v39, v40
	v_and_b32_e32 v41, 8, v35
	v_or_b32_e32 v42, v42, v38
	v_or_b32_e32 v34, v34, v38
	v_xor_b32_e32 v65, v42, v41
	v_or_b32_e32 v42, 64, v39
	v_xor_b32_e32 v64, v34, v41
	v_xor_b32_e32 v42, v42, v40
	s_waitcnt lgkmcnt(0)
	s_barrier
	v_or_b32_e32 v45, v42, v38
	ds_read_b64 v[42:43], v64 offset:49152
	v_lshl_or_b32 v46, v88, 8, v59
	v_lshlrev_b32_e32 v60, 1, v46
	v_add_u32_e32 v44, 0x4000, v60
	ds_read2_b64 v[34:37], v44 offset1:16
	v_or_b32_e32 v39, 0x60, v39
	v_xor_b32_e32 v39, v39, v40
	v_or_b32_e32 v38, v39, v38
	v_xor_b32_e32 v66, v45, v41
	v_xor_b32_e32 v67, v38, v41
	ds_read_b64 v[54:55], v65 offset:49152
	ds_read_b64 v[68:69], v66 offset:49152
	;; [unrolled: 1-line block ×3, first 2 shown]
	s_waitcnt lgkmcnt(3)
	v_mfma_f32_16x16x16_bf16 a[0:3], v[42:43], v[34:35], 0
	ds_read2_b64 v[38:41], v44 offset0:32 offset1:48
	s_lshl_b64 s[0:1], s[46:47], 8
	s_add_u32 s12, s12, s0
	v_mfma_f32_16x16x16_bf16 a[4:7], v[42:43], v[36:37], 0
	ds_read2st64_b64 v[34:37], v60 offset0:36 offset1:40
	s_addc_u32 s13, s13, s1
	s_add_i32 s22, s43, -1
	s_waitcnt lgkmcnt(1)
	v_mfma_f32_16x16x16_bf16 a[8:11], v[42:43], v[38:39], 0
	v_or_b32_e32 v38, 64, v46
	v_lshlrev_b32_e32 v61, 1, v38
	s_add_i32 s0, s51, s50
	s_waitcnt lgkmcnt(0)
	v_mfma_f32_16x16x16_bf16 a[0:3], v[54:55], v[34:35], a[0:3]
	v_or_b32_e32 v34, 0x80, v46
	v_lshlrev_b32_e32 v62, 1, v34
	v_or_b32_e32 v34, 0xc0, v46
	v_mfma_f32_16x16x16_bf16 a[12:15], v[42:43], v[40:41], 0
	ds_read2st64_b64 v[38:41], v61 offset0:36 offset1:40
	v_lshlrev_b32_e32 v63, 1, v34
	ds_read2st64_b64 v[42:45], v62 offset0:36 offset1:40
	ds_read2st64_b64 v[46:49], v63 offset0:36 offset1:40
	s_add_i32 s25, s0, s52
	s_mul_i32 s0, s49, s27
	s_mul_hi_u32 s1, s49, s26
	s_ashr_i32 s2, s22, 31
	s_mul_i32 s3, s22, s11
	s_mul_hi_u32 s14, s22, s10
	s_waitcnt lgkmcnt(2)
	v_mfma_f32_16x16x16_bf16 a[4:7], v[54:55], v[38:39], a[4:7]
	s_add_i32 s0, s1, s0
	s_mul_i32 s1, s37, s26
	s_add_i32 s3, s14, s3
	s_mul_i32 s2, s2, s10
	s_waitcnt lgkmcnt(1)
	v_mfma_f32_16x16x16_bf16 a[8:11], v[54:55], v[42:43], a[8:11]
	s_add_i32 s1, s0, s1
	s_add_i32 s3, s3, s2
	s_lshl_b64 s[14:15], s[24:25], 2
	s_waitcnt lgkmcnt(0)
	v_mfma_f32_16x16x16_bf16 a[12:15], v[54:55], v[46:47], a[12:15]
	s_mul_i32 s0, s49, s26
	s_add_u32 s14, s18, s14
	s_addc_u32 s15, s19, s15
	s_lshl_b64 s[0:1], s[0:1], 2
	v_mfma_f32_16x16x16_bf16 a[0:3], v[68:69], v[36:37], a[0:3]
	s_mul_i32 s2, s22, s10
	ds_read_b64 v[34:35], v60 offset:22528
	s_add_u32 s18, s14, s0
	v_mfma_f32_16x16x16_bf16 a[4:7], v[68:69], v[40:41], a[4:7]
	ds_read_b64 v[36:37], v61 offset:22528
	ds_read_b64 v[38:39], v62 offset:22528
	;; [unrolled: 1-line block ×3, first 2 shown]
	s_addc_u32 s19, s15, s1
	s_lshl_b64 s[0:1], s[2:3], 2
	v_mfma_f32_16x16x16_bf16 a[8:11], v[68:69], v[44:45], a[8:11]
	s_add_u32 s0, s18, s0
	s_addc_u32 s1, s19, s1
	s_load_dword s20, s[0:1], 0x0
	v_mfma_f32_16x16x16_bf16 a[12:15], v[68:69], v[48:49], a[12:15]
	s_and_b64 vcc, exec, s[44:45]
	s_waitcnt lgkmcnt(0)
	v_mfma_f32_16x16x16_bf16 a[0:3], v[70:71], v[34:35], a[0:3]
	v_mfma_f32_16x16x16_bf16 a[4:7], v[70:71], v[36:37], a[4:7]
	;; [unrolled: 1-line block ×4, first 2 shown]
	s_cbranch_vccz .LBB197_44
; %bb.34:
	v_lshlrev_b32_e32 v54, 1, v51
	s_and_b64 vcc, exec, s[4:5]
	s_cbranch_vccz .LBB197_45
; %bb.35:
	v_cmp_gt_i32_e32 vcc, s58, v54
	v_mov_b32_e32 v38, 0
	v_mov_b32_e32 v34, 0
	;; [unrolled: 1-line block ×5, first 2 shown]
	s_and_saveexec_b64 s[0:1], vcc
	s_cbranch_execz .LBB197_37
; %bb.36:
	v_mad_i64_i32 v[34:35], s[2:3], s23, v54, 0
	v_lshl_add_u64 v[34:35], v[34:35], 1, s[12:13]
	v_lshlrev_b32_e32 v36, 1, v52
	v_mov_b32_e32 v37, 0
	v_lshl_add_u64 v[34:35], v[34:35], 0, v[36:37]
	global_load_dwordx4 v[34:37], v[34:35], off
.LBB197_37:
	s_or_b64 exec, exec, s[0:1]
	v_or_b32_e32 v55, 1, v54
	v_cmp_gt_i32_e64 s[0:1], s58, v55
	v_mov_b32_e32 v39, 0
	v_mov_b32_e32 v40, 0
	;; [unrolled: 1-line block ×3, first 2 shown]
	s_and_saveexec_b64 s[2:3], s[0:1]
	s_cbranch_execz .LBB197_39
; %bb.38:
	v_mad_i64_i32 v[38:39], s[14:15], s23, v55, 0
	v_lshl_add_u64 v[38:39], v[38:39], 1, s[12:13]
	v_lshlrev_b32_e32 v40, 1, v52
	v_mov_b32_e32 v41, 0
	v_lshl_add_u64 v[38:39], v[38:39], 0, v[40:41]
	global_load_dwordx4 v[38:41], v[38:39], off
.LBB197_39:
	s_or_b64 exec, exec, s[2:3]
	v_mov_b32_e32 v49, 0
	v_mov_b32_e32 v42, 0
	;; [unrolled: 1-line block ×5, first 2 shown]
	s_and_saveexec_b64 s[2:3], vcc
	s_cbranch_execz .LBB197_41
; %bb.40:
	v_mad_i64_i32 v[42:43], s[14:15], s23, v54, 0
	v_lshl_add_u64 v[42:43], v[42:43], 1, s[12:13]
	v_lshlrev_b32_e32 v44, 1, v52
	v_mov_b32_e32 v45, 0
	v_lshl_add_u64 v[42:43], v[42:43], 0, v[44:45]
	global_load_dwordx4 v[42:45], v[42:43], off offset:128
.LBB197_41:
	s_or_b64 exec, exec, s[2:3]
	v_mov_b32_e32 v48, 0
	v_mov_b32_e32 v47, 0
	;; [unrolled: 1-line block ×3, first 2 shown]
	s_and_saveexec_b64 s[2:3], s[0:1]
	s_cbranch_execz .LBB197_43
; %bb.42:
	v_mad_i64_i32 v[46:47], s[0:1], s23, v55, 0
	v_lshl_add_u64 v[46:47], v[46:47], 1, s[12:13]
	v_lshlrev_b32_e32 v48, 1, v52
	v_mov_b32_e32 v49, 0
	v_lshl_add_u64 v[46:47], v[46:47], 0, v[48:49]
	global_load_dwordx4 v[46:49], v[46:47], off offset:128
.LBB197_43:
	s_or_b64 exec, exec, s[2:3]
	s_branch .LBB197_47
.LBB197_44:
                                        ; implicit-def: $vgpr37
                                        ; implicit-def: $vgpr41
                                        ; implicit-def: $vgpr45
                                        ; implicit-def: $vgpr49
	v_lshrrev_b32_e32 v68, 2, v87
	s_branch .LBB197_48
.LBB197_45:
                                        ; implicit-def: $vgpr37
                                        ; implicit-def: $vgpr41
                                        ; implicit-def: $vgpr45
                                        ; implicit-def: $vgpr49
	s_cbranch_execz .LBB197_47
; %bb.46:
	s_waitcnt vmcnt(0)
	v_mad_u64_u32 v[34:35], s[0:1], v54, s23, v[52:53]
	v_lshlrev_b32_e32 v54, 1, v34
	s_lshl_b32 s2, s23, 7
	s_and_b32 s1, s13, 0xffff
	s_mov_b32 s3, 0x20000
	s_mov_b32 s0, s12
	v_add_lshl_u32 v55, v34, s23, 1
	s_movk_i32 s14, 0x80
	buffer_load_dwordx4 v[34:37], v54, s[0:3], 0 offen
	buffer_load_dwordx4 v[42:45], v54, s[0:3], s14 offen
	;; [unrolled: 1-line block ×4, first 2 shown]
.LBB197_47:
	v_lshrrev_b32_e32 v68, 2, v87
	s_cbranch_execnz .LBB197_60
.LBB197_48:
	s_and_b64 vcc, exec, s[4:5]
	s_cbranch_vccz .LBB197_58
; %bb.49:
	s_waitcnt vmcnt(0)
	v_lshlrev_b32_e32 v39, 1, v51
	v_cmp_gt_i32_e32 vcc, s58, v39
	v_mov_b32_e32 v38, 0
	v_lshlrev_b32_e32 v46, 9, v51
	v_mov_b32_e32 v34, 0
	v_mov_b32_e32 v35, 0
	v_mov_b32_e32 v36, 0
	v_mov_b32_e32 v37, 0
	s_and_saveexec_b64 s[0:1], vcc
	s_cbranch_execz .LBB197_51
; %bb.50:
	v_mov_b32_e32 v47, 0
	v_lshl_add_u64 v[34:35], s[12:13], 0, v[46:47]
	v_lshlrev_b32_e32 v36, 1, v52
	v_mov_b32_e32 v37, v47
	v_lshl_add_u64 v[34:35], v[34:35], 0, v[36:37]
	global_load_dwordx4 v[34:37], v[34:35], off
.LBB197_51:
	s_or_b64 exec, exec, s[0:1]
	v_or_b32_e32 v39, 1, v39
	v_cmp_gt_i32_e64 s[0:1], s58, v39
	v_lshlrev_b32_e32 v54, 8, v39
	v_mov_b32_e32 v39, 0
	v_mov_b32_e32 v40, 0
	;; [unrolled: 1-line block ×3, first 2 shown]
	s_and_saveexec_b64 s[2:3], s[0:1]
	s_cbranch_execz .LBB197_53
; %bb.52:
	v_mov_b32_e32 v55, 0
	v_lshl_add_u64 v[38:39], s[12:13], 0, v[54:55]
	v_lshlrev_b32_e32 v40, 1, v52
	v_mov_b32_e32 v41, v55
	v_lshl_add_u64 v[38:39], v[38:39], 0, v[40:41]
	global_load_dwordx4 v[38:41], v[38:39], off
.LBB197_53:
	s_or_b64 exec, exec, s[2:3]
	v_mov_b32_e32 v49, 0
	v_mov_b32_e32 v42, 0
	;; [unrolled: 1-line block ×5, first 2 shown]
	s_and_saveexec_b64 s[2:3], vcc
	s_cbranch_execz .LBB197_55
; %bb.54:
	v_mov_b32_e32 v47, 0
	v_lshl_add_u64 v[42:43], s[12:13], 0, v[46:47]
	v_lshlrev_b32_e32 v46, 1, v52
	v_lshl_add_u64 v[42:43], v[42:43], 0, v[46:47]
	global_load_dwordx4 v[42:45], v[42:43], off offset:128
.LBB197_55:
	s_or_b64 exec, exec, s[2:3]
	v_mov_b32_e32 v48, 0
	v_mov_b32_e32 v47, 0
	;; [unrolled: 1-line block ×3, first 2 shown]
	s_and_saveexec_b64 s[2:3], s[0:1]
	s_cbranch_execz .LBB197_57
; %bb.56:
	v_mov_b32_e32 v55, 0
	v_lshl_add_u64 v[46:47], s[12:13], 0, v[54:55]
	v_lshlrev_b32_e32 v54, 1, v52
	v_lshl_add_u64 v[46:47], v[46:47], 0, v[54:55]
	global_load_dwordx4 v[46:49], v[46:47], off offset:128
.LBB197_57:
	s_or_b64 exec, exec, s[2:3]
	s_branch .LBB197_60
.LBB197_58:
                                        ; implicit-def: $vgpr37
                                        ; implicit-def: $vgpr41
                                        ; implicit-def: $vgpr45
                                        ; implicit-def: $vgpr49
	s_cbranch_execz .LBB197_60
; %bb.59:
	s_waitcnt vmcnt(0)
	v_lshlrev_b32_e32 v34, 1, v52
	v_lshl_or_b32 v52, v51, 9, v34
	s_and_b32 s13, s13, 0xffff
	s_mov_b32 s15, 0x20000
	s_movk_i32 s14, 0x4000
	s_movk_i32 s0, 0x80
	buffer_load_dwordx4 v[34:37], v52, s[12:15], 0 offen
	buffer_load_dwordx4 v[38:41], v52, s[12:15], 0 offen offset:256
	buffer_load_dwordx4 v[42:45], v52, s[12:15], s0 offen
	buffer_load_dwordx4 v[46:49], v52, s[12:15], s0 offen offset:256
.LBB197_60:
	ds_read_b64 v[54:55], v64 offset:57344
	v_add_u32_e32 v52, 0x6000, v60
	ds_read2_b64 v[70:73], v52 offset1:16
	ds_read_b64 v[82:83], v65 offset:57344
	ds_read_b64 v[84:85], v66 offset:57344
	;; [unrolled: 1-line block ×3, first 2 shown]
	ds_read2_b64 v[64:67], v52 offset0:32 offset1:48
	v_and_b32_e32 v52, 12, v68
	v_and_b32_e32 v76, 6, v0
	v_xor_b32_e32 v51, v51, v76
	v_lshlrev_b32_e32 v51, 2, v51
	s_mov_b32 s0, 0x1000504
	s_waitcnt lgkmcnt(4)
	v_mfma_f32_16x16x16_bf16 a[4:7], v[54:55], v[72:73], a[4:7]
	s_mov_b32 s1, 0x3020706
	v_mfma_f32_16x16x16_bf16 a[0:3], v[54:55], v[70:71], a[0:3]
	ds_read2st64_b64 v[68:71], v60 offset0:52 offset1:56
	s_waitcnt lgkmcnt(1)
	v_mfma_f32_16x16x16_bf16 a[8:11], v[54:55], v[64:65], a[8:11]
	v_mfma_f32_16x16x16_bf16 a[12:15], v[54:55], v[66:67], a[12:15]
	ds_read2st64_b64 v[64:67], v61 offset0:52 offset1:56
	ds_read2st64_b64 v[72:75], v62 offset0:52 offset1:56
	;; [unrolled: 1-line block ×3, first 2 shown]
	s_waitcnt lgkmcnt(2)
	v_mfma_f32_16x16x16_bf16 a[4:7], v[82:83], v[64:65], a[4:7]
	v_and_b32_e32 v64, 1, v0
	v_xor_b32_e32 v65, 0x440, v51
	v_cmp_eq_u32_e32 vcc, 0, v64
	v_mfma_f32_16x16x16_bf16 a[0:3], v[82:83], v[68:69], a[0:3]
	s_waitcnt vmcnt(0)
	v_perm_b32 v64, v34, v38, s0
	v_cndmask_b32_e32 v51, v65, v51, vcc
	v_lshl_or_b32 v51, v76, 10, v51
	s_waitcnt lgkmcnt(1)
	v_mfma_f32_16x16x16_bf16 a[8:11], v[82:83], v[72:73], a[8:11]
	v_perm_b32 v65, v42, v46, s0
	ds_read_b64 v[54:55], v60 offset:30720
	ds_read_b64 v[68:69], v61 offset:30720
	;; [unrolled: 1-line block ×4, first 2 shown]
	ds_write2st64_b32 v51, v64, v65 offset0:128 offset1:160
	s_waitcnt lgkmcnt(5)
	v_mfma_f32_16x16x16_bf16 a[12:15], v[82:83], v[78:79], a[12:15]
	v_xor_b32_e32 v64, 8, v51
	v_perm_b32 v34, v34, v38, s1
	v_perm_b32 v38, v42, v46, s1
	v_add_u32_e32 v42, 0x80, v64
	ds_write2st64_b32 v42, v34, v38 offset0:128 offset1:160
	v_xor_b32_e32 v34, 16, v51
	v_perm_b32 v38, v35, v39, s0
	v_perm_b32 v42, v43, v47, s0
	v_mfma_f32_16x16x16_bf16 a[0:3], v[84:85], v[70:71], a[0:3]
	ds_write2st64_b32 v34, v38, v42 offset0:129 offset1:161
	v_xor_b32_e32 v34, 24, v51
	v_perm_b32 v35, v35, v39, s1
	v_mfma_f32_16x16x16_bf16 a[4:7], v[84:85], v[66:67], a[4:7]
	v_perm_b32 v38, v43, v47, s1
	v_add_u32_e32 v34, 0x80, v34
	ds_write2st64_b32 v34, v35, v38 offset0:129 offset1:161
	v_mfma_f32_16x16x16_bf16 a[16:19], v[84:85], v[74:75], a[8:11]
	v_xor_b32_e32 v34, 32, v51
	v_perm_b32 v35, v36, v40, s0
	v_perm_b32 v38, v44, v48, s0
	v_mfma_f32_16x16x16_bf16 a[20:23], v[84:85], v[80:81], a[12:15]
	ds_write2st64_b32 v34, v35, v38 offset0:130 offset1:162
	v_xor_b32_e32 v34, 40, v51
	v_perm_b32 v35, v36, v40, s1
	s_waitcnt lgkmcnt(8)
	v_mfma_f32_16x16x16_bf16 a[12:15], v[88:89], v[54:55], a[0:3]
	v_perm_b32 v36, v44, v48, s1
	v_add_u32_e32 v34, 0x80, v34
	ds_write2st64_b32 v34, v35, v36 offset0:130 offset1:162
	s_waitcnt lgkmcnt(8)
	v_mfma_f32_16x16x16_bf16 a[8:11], v[88:89], v[68:69], a[4:7]
	v_xor_b32_e32 v34, 48, v51
	v_perm_b32 v35, v37, v41, s0
	v_perm_b32 v36, v45, v49, s0
	s_waitcnt lgkmcnt(7)
	v_mfma_f32_16x16x16_bf16 a[4:7], v[88:89], v[90:91], a[16:19]
	ds_write2st64_b32 v34, v35, v36 offset0:131 offset1:163
	v_xor_b32_e32 v34, 56, v51
	v_or_b32_e32 v54, v52, v86
	s_waitcnt lgkmcnt(7)
	v_mfma_f32_16x16x16_bf16 a[0:3], v[88:89], v[92:93], a[20:23]
	v_perm_b32 v35, v37, v41, s1
	v_perm_b32 v36, v45, v49, s1
	v_add_u32_e32 v34, 0x80, v34
	v_cmp_gt_i32_e64 s[0:1], s58, v54
	v_mov_b32_e32 v64, 0
	v_mov_b32_e32 v65, 0
	ds_write2st64_b32 v34, v35, v36 offset0:131 offset1:163
	s_and_saveexec_b64 s[2:3], s[0:1]
	s_cbranch_execz .LBB197_62
; %bb.61:
	v_add_u32_e32 v34, s36, v54
	v_ashrrev_i32_e32 v35, 31, v34
	v_mul_lo_u32 v36, v35, s10
	v_mul_lo_u32 v37, v34, s11
	v_mad_u64_u32 v[34:35], s[4:5], v34, s10, 0
	v_add3_u32 v35, v35, v37, v36
	v_lshl_add_u64 v[34:35], v[34:35], 2, s[18:19]
	global_load_dword v34, v[34:35], off
	s_waitcnt vmcnt(0)
	v_sub_f32_e32 v34, s20, v34
	v_mul_f32_e32 v34, 0x3fb8aa3b, v34
	v_exp_f32_e32 v65, v34
.LBB197_62:
	s_or_b64 exec, exec, s[2:3]
	v_or_b32_e32 v43, 1, v54
	v_cmp_gt_i32_e64 s[2:3], s58, v43
	s_and_saveexec_b64 s[4:5], s[2:3]
	s_cbranch_execz .LBB197_64
; %bb.63:
	v_add_u32_e32 v34, s36, v43
	v_ashrrev_i32_e32 v35, 31, v34
	v_mul_lo_u32 v36, v35, s10
	v_mul_lo_u32 v37, v34, s11
	v_mad_u64_u32 v[34:35], s[12:13], v34, s10, 0
	v_add3_u32 v35, v35, v37, v36
	v_lshl_add_u64 v[34:35], v[34:35], 2, s[18:19]
	global_load_dword v34, v[34:35], off
	s_waitcnt vmcnt(0)
	v_sub_f32_e32 v34, s20, v34
	v_mul_f32_e32 v34, 0x3fb8aa3b, v34
	v_exp_f32_e32 v64, v34
.LBB197_64:
	s_or_b64 exec, exec, s[4:5]
	v_or_b32_e32 v42, 2, v54
	v_cmp_gt_i32_e64 s[4:5], s58, v42
	v_mov_b32_e32 v55, 0
	v_mov_b32_e32 v66, 0
	s_and_saveexec_b64 s[12:13], s[4:5]
	s_cbranch_execz .LBB197_66
; %bb.65:
	v_add_u32_e32 v34, s36, v42
	v_ashrrev_i32_e32 v35, 31, v34
	v_mul_lo_u32 v36, v35, s10
	v_mul_lo_u32 v37, v34, s11
	v_mad_u64_u32 v[34:35], s[14:15], v34, s10, 0
	v_add3_u32 v35, v35, v37, v36
	v_lshl_add_u64 v[34:35], v[34:35], 2, s[18:19]
	global_load_dword v34, v[34:35], off
	s_waitcnt vmcnt(0)
	v_sub_f32_e32 v34, s20, v34
	v_mul_f32_e32 v34, 0x3fb8aa3b, v34
	v_exp_f32_e32 v66, v34
.LBB197_66:
	s_or_b64 exec, exec, s[12:13]
	v_or_b32_e32 v67, 3, v54
	v_cmp_gt_i32_e32 vcc, s58, v67
	s_and_saveexec_b64 s[12:13], vcc
	s_cbranch_execz .LBB197_68
; %bb.67:
	v_add_u32_e32 v34, s36, v67
	v_ashrrev_i32_e32 v35, 31, v34
	v_mul_lo_u32 v36, v35, s10
	v_mul_lo_u32 v37, v34, s11
	v_mad_u64_u32 v[34:35], s[10:11], v34, s10, 0
	v_add3_u32 v35, v35, v37, v36
	v_lshl_add_u64 v[34:35], v[34:35], 2, s[18:19]
	global_load_dword v34, v[34:35], off
	s_waitcnt vmcnt(0)
	v_sub_f32_e32 v34, s20, v34
	v_mul_f32_e32 v34, 0x3fb8aa3b, v34
	v_exp_f32_e32 v55, v34
.LBB197_68:
	s_or_b64 exec, exec, s[12:13]
	s_add_u32 s10, s16, s38
	s_addc_u32 s11, s17, s39
	s_add_u32 s6, s6, s38
	v_ashrrev_i32_e32 v51, 31, v50
	v_accvgpr_read_b32 v37, a15
	s_addc_u32 s7, s7, s39
	v_lshlrev_b64 v[38:39], 1, v[50:51]
	v_accvgpr_read_b32 v36, a14
	v_accvgpr_read_b32 v35, a13
	;; [unrolled: 1-line block ×3, first 2 shown]
	v_lshl_add_u64 v[40:41], s[10:11], 0, v[38:39]
	v_lshl_add_u64 v[38:39], s[6:7], 0, v[38:39]
	v_mov_b32_e32 v47, 0
	v_lshlrev_b32_e32 v44, 8, v54
	v_mov_b32_e32 v45, 0
	s_and_saveexec_b64 s[6:7], s[0:1]
	s_cbranch_execz .LBB197_70
; %bb.69:
	v_mov_b32_e32 v45, 0
	v_lshl_add_u64 v[48:49], v[40:41], 0, v[44:45]
	global_load_ushort v46, v[48:49], off
	v_lshl_add_u64 v[48:49], v[38:39], 0, v[44:45]
	s_waitcnt vmcnt(0)
	v_lshlrev_b32_e32 v45, 16, v46
	v_sub_f32_e32 v34, v45, v34
	global_store_short_d16_hi v[48:49], v34, off
	v_mul_f32_e32 v34, v65, v34
	v_lshrrev_b32_e32 v45, 16, v34
.LBB197_70:
	s_or_b64 exec, exec, s[6:7]
	v_lshlrev_b32_e32 v46, 8, v43
	s_and_saveexec_b64 s[6:7], s[2:3]
	s_cbranch_execz .LBB197_72
; %bb.71:
	v_mov_b32_e32 v47, 0
	v_lshl_add_u64 v[48:49], v[40:41], 0, v[46:47]
	global_load_ushort v34, v[48:49], off
	v_lshl_add_u64 v[48:49], v[38:39], 0, v[46:47]
	s_waitcnt vmcnt(0)
	v_lshlrev_b32_e32 v34, 16, v34
	v_sub_f32_e32 v34, v34, v35
	global_store_short_d16_hi v[48:49], v34, off
	v_mul_f32_e32 v34, v64, v34
	v_lshrrev_b32_e32 v47, 16, v34
.LBB197_72:
	s_or_b64 exec, exec, s[6:7]
	v_mov_b32_e32 v43, 0
	v_lshlrev_b32_e32 v48, 8, v42
	v_mov_b32_e32 v49, 0
	s_and_saveexec_b64 s[6:7], s[4:5]
	s_cbranch_execz .LBB197_74
; %bb.73:
	v_mov_b32_e32 v49, 0
	v_lshl_add_u64 v[34:35], v[40:41], 0, v[48:49]
	global_load_ushort v42, v[34:35], off
	v_lshl_add_u64 v[34:35], v[38:39], 0, v[48:49]
	s_waitcnt vmcnt(0)
	v_lshlrev_b32_e32 v42, 16, v42
	v_sub_f32_e32 v36, v42, v36
	global_store_short_d16_hi v[34:35], v36, off
	v_mul_f32_e32 v34, v66, v36
	v_lshrrev_b32_e32 v49, 16, v34
.LBB197_74:
	s_or_b64 exec, exec, s[6:7]
	v_lshlrev_b32_e32 v42, 8, v67
	s_and_saveexec_b64 s[6:7], vcc
	s_cbranch_execz .LBB197_76
; %bb.75:
	v_mov_b32_e32 v43, 0
	v_lshl_add_u64 v[34:35], v[40:41], 0, v[42:43]
	global_load_ushort v36, v[34:35], off
	v_lshl_add_u64 v[34:35], v[38:39], 0, v[42:43]
	s_waitcnt vmcnt(0)
	v_lshlrev_b32_e32 v36, 16, v36
	v_sub_f32_e32 v36, v36, v37
	global_store_short_d16_hi v[34:35], v36, off
	v_mul_f32_e32 v34, v55, v36
	v_lshrrev_b32_e32 v43, 16, v34
.LBB197_76:
	s_or_b64 exec, exec, s[6:7]
	v_lshlrev_b32_e32 v51, 6, v54
	s_mov_b32 s6, 0x5040100
	v_accvgpr_read_b32 v37, a11
	v_perm_b32 v69, v43, v49, s6
	v_or_b32_e32 v43, v51, v59
	v_accvgpr_read_b32 v36, a10
	v_accvgpr_read_b32 v35, a9
	;; [unrolled: 1-line block ×3, first 2 shown]
	v_perm_b32 v68, v47, v45, s6
	v_lshlrev_b32_e32 v43, 1, v43
	v_mov_b32_e32 v47, 0
	v_mov_b32_e32 v45, 0
	ds_write_b64 v43, v[68:69] offset:24576
	s_and_saveexec_b64 s[6:7], s[0:1]
	s_cbranch_execz .LBB197_78
; %bb.77:
	v_mov_b32_e32 v45, 0
	v_lshl_add_u64 v[68:69], v[40:41], 0, v[44:45]
	global_load_ushort v43, v[68:69], off offset:32
	v_lshl_add_u64 v[68:69], v[38:39], 0, v[44:45]
	s_waitcnt vmcnt(0)
	v_lshlrev_b32_e32 v43, 16, v43
	v_sub_f32_e32 v34, v43, v34
	global_store_short_d16_hi v[68:69], v34, off offset:32
	v_mul_f32_e32 v34, v65, v34
	v_lshrrev_b32_e32 v45, 16, v34
.LBB197_78:
	s_or_b64 exec, exec, s[6:7]
	s_and_saveexec_b64 s[6:7], s[2:3]
	s_cbranch_execz .LBB197_80
; %bb.79:
	v_mov_b32_e32 v47, 0
	v_lshl_add_u64 v[68:69], v[40:41], 0, v[46:47]
	global_load_ushort v34, v[68:69], off offset:32
	v_lshl_add_u64 v[68:69], v[38:39], 0, v[46:47]
	s_waitcnt vmcnt(0)
	v_lshlrev_b32_e32 v34, 16, v34
	v_sub_f32_e32 v34, v34, v35
	global_store_short_d16_hi v[68:69], v34, off offset:32
	v_mul_f32_e32 v34, v64, v34
	v_lshrrev_b32_e32 v47, 16, v34
.LBB197_80:
	s_or_b64 exec, exec, s[6:7]
	v_mov_b32_e32 v43, 0
	v_mov_b32_e32 v49, 0
	s_and_saveexec_b64 s[6:7], s[4:5]
	s_cbranch_execz .LBB197_82
; %bb.81:
	v_mov_b32_e32 v49, 0
	v_lshl_add_u64 v[34:35], v[40:41], 0, v[48:49]
	global_load_ushort v59, v[34:35], off offset:32
	v_lshl_add_u64 v[34:35], v[38:39], 0, v[48:49]
	s_waitcnt vmcnt(0)
	v_lshlrev_b32_e32 v49, 16, v59
	v_sub_f32_e32 v36, v49, v36
	global_store_short_d16_hi v[34:35], v36, off offset:32
	v_mul_f32_e32 v34, v66, v36
	v_lshrrev_b32_e32 v49, 16, v34
.LBB197_82:
	s_or_b64 exec, exec, s[6:7]
	s_and_saveexec_b64 s[6:7], vcc
	s_cbranch_execz .LBB197_84
; %bb.83:
	v_mov_b32_e32 v43, 0
	v_lshl_add_u64 v[34:35], v[40:41], 0, v[42:43]
	global_load_ushort v36, v[34:35], off offset:32
	v_lshl_add_u64 v[34:35], v[38:39], 0, v[42:43]
	s_waitcnt vmcnt(0)
	v_lshlrev_b32_e32 v36, 16, v36
	v_sub_f32_e32 v36, v36, v37
	global_store_short_d16_hi v[34:35], v36, off offset:32
	v_mul_f32_e32 v34, v55, v36
	v_lshrrev_b32_e32 v43, 16, v34
.LBB197_84:
	s_or_b64 exec, exec, s[6:7]
	s_mov_b32 s6, 0x5040100
	v_accvgpr_read_b32 v37, a7
	v_perm_b32 v69, v43, v49, s6
	v_or_b32_e32 v43, v51, v57
	v_accvgpr_read_b32 v36, a6
	v_accvgpr_read_b32 v35, a5
	;; [unrolled: 1-line block ×3, first 2 shown]
	v_perm_b32 v68, v47, v45, s6
	v_lshlrev_b32_e32 v43, 1, v43
	v_mov_b32_e32 v47, 0
	v_mov_b32_e32 v45, 0
	ds_write_b64 v43, v[68:69] offset:24576
	s_and_saveexec_b64 s[6:7], s[0:1]
	s_cbranch_execz .LBB197_86
; %bb.85:
	v_mov_b32_e32 v45, 0
	v_lshl_add_u64 v[68:69], v[40:41], 0, v[44:45]
	global_load_ushort v43, v[68:69], off offset:64
	v_lshl_add_u64 v[68:69], v[38:39], 0, v[44:45]
	s_waitcnt vmcnt(0)
	v_lshlrev_b32_e32 v43, 16, v43
	v_sub_f32_e32 v34, v43, v34
	global_store_short_d16_hi v[68:69], v34, off offset:64
	v_mul_f32_e32 v34, v65, v34
	v_lshrrev_b32_e32 v45, 16, v34
.LBB197_86:
	s_or_b64 exec, exec, s[6:7]
	s_and_saveexec_b64 s[6:7], s[2:3]
	s_cbranch_execz .LBB197_88
; %bb.87:
	v_mov_b32_e32 v47, 0
	v_lshl_add_u64 v[68:69], v[40:41], 0, v[46:47]
	global_load_ushort v34, v[68:69], off offset:64
	v_lshl_add_u64 v[68:69], v[38:39], 0, v[46:47]
	s_waitcnt vmcnt(0)
	v_lshlrev_b32_e32 v34, 16, v34
	v_sub_f32_e32 v34, v34, v35
	global_store_short_d16_hi v[68:69], v34, off offset:64
	v_mul_f32_e32 v34, v64, v34
	v_lshrrev_b32_e32 v47, 16, v34
.LBB197_88:
	s_or_b64 exec, exec, s[6:7]
	v_mov_b32_e32 v43, 0
	v_mov_b32_e32 v49, 0
	s_and_saveexec_b64 s[6:7], s[4:5]
	s_cbranch_execz .LBB197_90
; %bb.89:
	v_mov_b32_e32 v49, 0
	v_lshl_add_u64 v[34:35], v[40:41], 0, v[48:49]
	global_load_ushort v57, v[34:35], off offset:64
	v_lshl_add_u64 v[34:35], v[38:39], 0, v[48:49]
	s_waitcnt vmcnt(0)
	v_lshlrev_b32_e32 v49, 16, v57
	v_sub_f32_e32 v36, v49, v36
	global_store_short_d16_hi v[34:35], v36, off offset:64
	v_mul_f32_e32 v34, v66, v36
	v_lshrrev_b32_e32 v49, 16, v34
.LBB197_90:
	s_or_b64 exec, exec, s[6:7]
	s_and_saveexec_b64 s[6:7], vcc
	s_cbranch_execz .LBB197_92
; %bb.91:
	v_mov_b32_e32 v43, 0
	v_lshl_add_u64 v[34:35], v[40:41], 0, v[42:43]
	global_load_ushort v36, v[34:35], off offset:64
	v_lshl_add_u64 v[34:35], v[38:39], 0, v[42:43]
	s_waitcnt vmcnt(0)
	v_lshlrev_b32_e32 v36, 16, v36
	v_sub_f32_e32 v36, v36, v37
	global_store_short_d16_hi v[34:35], v36, off offset:64
	v_mul_f32_e32 v34, v55, v36
	v_lshrrev_b32_e32 v43, 16, v34
.LBB197_92:
	s_or_b64 exec, exec, s[6:7]
	s_mov_b32 s6, 0x5040100
	v_accvgpr_read_b32 v37, a3
	v_perm_b32 v69, v43, v49, s6
	v_or_b32_e32 v43, v51, v56
	v_accvgpr_read_b32 v36, a2
	v_accvgpr_read_b32 v35, a1
	;; [unrolled: 1-line block ×3, first 2 shown]
	v_perm_b32 v68, v47, v45, s6
	v_lshlrev_b32_e32 v43, 1, v43
	v_mov_b32_e32 v47, 0
	v_mov_b32_e32 v45, 0
	ds_write_b64 v43, v[68:69] offset:24576
	s_and_saveexec_b64 s[6:7], s[0:1]
	s_cbranch_execz .LBB197_94
; %bb.93:
	v_mov_b32_e32 v45, 0
	v_lshl_add_u64 v[56:57], v[40:41], 0, v[44:45]
	global_load_ushort v43, v[56:57], off offset:96
	v_lshl_add_u64 v[44:45], v[38:39], 0, v[44:45]
	s_waitcnt vmcnt(0)
	v_lshlrev_b32_e32 v43, 16, v43
	v_sub_f32_e32 v34, v43, v34
	global_store_short_d16_hi v[44:45], v34, off offset:96
	v_mul_f32_e32 v34, v65, v34
	v_lshrrev_b32_e32 v45, 16, v34
.LBB197_94:
	s_or_b64 exec, exec, s[6:7]
	s_and_saveexec_b64 s[0:1], s[2:3]
	s_cbranch_execz .LBB197_96
; %bb.95:
	v_mov_b32_e32 v47, 0
	v_lshl_add_u64 v[56:57], v[40:41], 0, v[46:47]
	global_load_ushort v34, v[56:57], off offset:96
	v_lshl_add_u64 v[46:47], v[38:39], 0, v[46:47]
	s_waitcnt vmcnt(0)
	v_lshlrev_b32_e32 v34, 16, v34
	v_sub_f32_e32 v34, v34, v35
	global_store_short_d16_hi v[46:47], v34, off offset:96
	v_mul_f32_e32 v34, v64, v34
	v_lshrrev_b32_e32 v47, 16, v34
.LBB197_96:
	s_or_b64 exec, exec, s[0:1]
	v_mov_b32_e32 v43, 0
	v_mov_b32_e32 v46, 0
	s_and_saveexec_b64 s[0:1], s[4:5]
	s_cbranch_execz .LBB197_98
; %bb.97:
	v_mov_b32_e32 v49, 0
	v_lshl_add_u64 v[34:35], v[40:41], 0, v[48:49]
	global_load_ushort v44, v[34:35], off offset:96
	v_lshl_add_u64 v[34:35], v[38:39], 0, v[48:49]
	s_waitcnt vmcnt(0)
	v_lshlrev_b32_e32 v44, 16, v44
	v_sub_f32_e32 v36, v44, v36
	global_store_short_d16_hi v[34:35], v36, off offset:96
	v_mul_f32_e32 v34, v66, v36
	v_lshrrev_b32_e32 v46, 16, v34
.LBB197_98:
	s_or_b64 exec, exec, s[0:1]
	v_or_b32_e32 v34, 0x6000, v60
	v_or_b32_e32 v35, 0x6000, v61
	v_or_b32_e32 v36, 0x6000, v62
	v_or_b32_e32 v44, 0x6000, v63
	s_and_saveexec_b64 s[0:1], vcc
	s_cbranch_execz .LBB197_100
; %bb.99:
	v_mov_b32_e32 v43, 0
	v_lshl_add_u64 v[40:41], v[40:41], 0, v[42:43]
	global_load_ushort v40, v[40:41], off offset:96
	v_lshl_add_u64 v[38:39], v[38:39], 0, v[42:43]
	s_waitcnt vmcnt(0)
	v_lshlrev_b32_e32 v40, 16, v40
	v_sub_f32_e32 v37, v40, v37
	global_store_short_d16_hi v[38:39], v37, off offset:96
	v_mul_f32_e32 v37, v55, v37
	v_lshrrev_b32_e32 v43, 16, v37
.LBB197_100:
	s_or_b64 exec, exec, s[0:1]
	s_mov_b32 s0, 0x5040100
	v_or_b32_e32 v37, v51, v53
	v_perm_b32 v39, v43, v46, s0
	v_perm_b32 v38, v47, v45, s0
	v_lshlrev_b32_e32 v37, 1, v37
	ds_write_b64 v37, v[38:39] offset:24576
	v_and_b32_e32 v37, 7, v0
	v_lshlrev_b32_e32 v45, 3, v37
	v_lshlrev_b32_e32 v51, 7, v37
	v_lshrrev_b32_e32 v37, 1, v0
	v_and_b32_e32 v37, 24, v37
	v_lshlrev_b32_e32 v76, 3, v77
	s_mul_i32 s0, s22, s21
	v_and_b32_e32 v42, 8, v0
	s_movk_i32 s4, 0x100
	v_xor_b32_e32 v80, v76, v37
	s_add_u32 s2, s0, s49
	v_cmp_eq_u32_e32 vcc, 0, v42
	v_cmp_gt_u32_e64 s[0:1], s4, v0
	v_or_b32_e32 v0, 0x440, v80
	v_mov_b32_e32 v43, 0x400
	v_cndmask_b32_e32 v0, v0, v80, vcc
	v_cndmask_b32_e64 v53, v43, 64, vcc
	v_mov_b32_e32 v42, 0xa000
	v_mov_b32_e32 v43, 0x8000
	v_or_b32_e32 v0, v0, v58
	v_cndmask_b32_e64 v59, v42, v43, s[0:1]
	v_xor_b32_e32 v84, v0, v45
	v_add3_u32 v0, v59, v84, v51
	s_waitcnt lgkmcnt(0)
	s_barrier
	ds_read_b64 v[42:43], v0
	v_or_b32_e32 v0, 32, v37
	v_xor_b32_e32 v0, v76, v0
	v_or_b32_e32 v46, 0x440, v0
	ds_read2_b64 v[38:41], v34 offset1:16
	v_cndmask_b32_e32 v0, v46, v0, vcc
	ds_read2_b64 v[46:49], v34 offset0:32 offset1:48
	s_mul_hi_i32 s3, s22, s21
	s_waitcnt lgkmcnt(1)
	v_mfma_f32_16x16x16_bf16 a[0:3], v[42:43], v[38:39], 0
	v_or_b32_e32 v0, v0, v58
	s_addc_u32 s3, s3, s37
	v_or_b32_e32 v37, 0x60, v37
	v_mfma_f32_16x16x16_bf16 a[4:7], v[42:43], v[40:41], 0
	v_xor_b32_e32 v85, v0, v45
	s_lshl_b64 s[0:1], s[2:3], 9
	v_xor_b32_e32 v37, v76, v37
	s_waitcnt lgkmcnt(0)
	v_mfma_f32_16x16x16_bf16 a[8:11], v[42:43], v[46:47], 0
	v_add3_u32 v0, v59, v85, v51
	s_add_u32 s0, s40, s0
	ds_read_b64 v[78:79], v0
	v_mfma_f32_16x16x16_bf16 a[12:15], v[42:43], v[48:49], 0
	v_or3_b32 v42, v58, v53, v80
	v_xor_b32_e32 v42, v42, v45
	v_or_b32_e32 v86, v42, v51
	v_or_b32_e32 v42, v59, v86
	v_xor_b32_e32 v43, 0x440, v37
	s_addc_u32 s1, s41, s1
	v_cndmask_b32_e32 v37, v43, v37, vcc
	ds_read_b64 v[42:43], v42
	v_lshlrev_b32_e32 v0, 2, v54
	global_load_dwordx4 v[54:57], v0, s[0:1]
	ds_read2st64_b64 v[60:63], v34 offset0:4 offset1:8
	ds_read2st64_b64 v[64:67], v35 offset0:4 offset1:8
	;; [unrolled: 1-line block ×4, first 2 shown]
	v_or_b32_e32 v37, v37, v58
	v_xor_b32_e32 v87, v37, v45
	v_lshlrev_b32_e32 v37, 6, v77
	v_lshlrev_b32_e32 v45, 2, v52
	v_or3_b32 v37, v37, v45, s4
	s_waitcnt lgkmcnt(3)
	v_mfma_f32_16x16x16_bf16 a[0:3], v[78:79], v[60:61], a[0:3]
	v_mov_b32_e32 v0, 0x3fb8aa3b
	v_mul_f32_e32 v0, s20, v0
	v_exp_f32_e32 v0, v0
	s_waitcnt lgkmcnt(2)
	v_mfma_f32_16x16x16_bf16 a[4:7], v[78:79], v[64:65], a[4:7]
	s_waitcnt lgkmcnt(1)
	v_mfma_f32_16x16x16_bf16 a[8:11], v[78:79], v[68:69], a[8:11]
	s_waitcnt lgkmcnt(0)
	v_mfma_f32_16x16x16_bf16 a[12:15], v[78:79], v[72:73], a[12:15]
	global_load_dwordx4 v[76:79], v37, s[0:1]
	v_add3_u32 v37, v59, v87, v51
	ds_read_b64 v[52:53], v37
	v_mfma_f32_16x16x16_bf16 a[0:3], v[42:43], v[62:63], a[0:3]
	ds_read_b64 v[58:59], v34 offset:6144
	ds_read_b64 v[80:81], v35 offset:6144
	;; [unrolled: 1-line block ×4, first 2 shown]
	s_waitcnt vmcnt(1)
	v_mul_f32_e32 v34, 0x3fb8aa3b, v54
	v_mfma_f32_16x16x16_bf16 a[4:7], v[42:43], v[66:67], a[4:7]
	v_mul_f32_e32 v35, 0x3fb8aa3b, v55
	v_exp_f32_e32 v34, v34
	v_exp_f32_e32 v35, v35
	v_mfma_f32_16x16x16_bf16 a[8:11], v[42:43], v[70:71], a[8:11]
	v_mul_f32_e32 v36, 0x3fb8aa3b, v56
	v_mul_f32_e32 v37, 0x3fb8aa3b, v57
	v_exp_f32_e32 v36, v36
	v_mfma_f32_16x16x16_bf16 a[12:15], v[42:43], v[74:75], a[12:15]
	v_add_u32_e32 v42, v84, v51
	ds_read_b64 v[42:43], v42 offset:40960
	v_exp_f32_e32 v37, v37
	s_waitcnt lgkmcnt(4)
	v_mfma_f32_16x16x16_bf16 a[0:3], v[52:53], v[58:59], a[0:3]
	v_pk_mul_f32 v[34:35], v[0:1], v[34:35] op_sel_hi:[0,1]
	v_pk_mul_f32 v[30:31], v[30:31], v[34:35]
	v_pk_mul_f32 v[36:37], v[0:1], v[36:37] op_sel_hi:[0,1]
	s_waitcnt lgkmcnt(1)
	v_mfma_f32_16x16x16_bf16 a[12:15], v[52:53], v[44:45], a[12:15]
	v_pk_mul_f32 v[32:33], v[32:33], v[36:37]
	v_pk_mul_f32 v[26:27], v[34:35], v[26:27]
	;; [unrolled: 1-line block ×3, first 2 shown]
	v_mfma_f32_16x16x16_bf16 a[4:7], v[52:53], v[80:81], a[4:7]
	v_add_u32_e32 v54, v85, v51
	v_add_u32_e32 v51, v87, v51
	ds_read_b64 v[54:55], v54 offset:40960
	ds_read_b64 v[56:57], v51 offset:40960
	v_mfma_f32_16x16x16_bf16 a[8:11], v[52:53], v[82:83], a[8:11]
	v_accvgpr_read_b32 v53, a15
	v_accvgpr_read_b32 v52, a14
	v_pk_mul_f32 v[22:23], v[34:35], v[22:23]
	s_waitcnt lgkmcnt(2)
	v_mfma_f32_16x16x16_bf16 a[14:17], v[42:43], v[38:39], 0
	v_accvgpr_read_b32 v38, a0
	v_add_f32_e32 v30, v30, v38
	v_accvgpr_read_b32 v38, a1
	v_add_f32_e32 v31, v31, v38
	;; [unrolled: 2-line block ×8, first 2 shown]
	ds_read_b64 v[38:39], v86 offset:40960
	v_mfma_f32_16x16x16_bf16 a[18:21], v[42:43], v[40:41], 0
	v_accvgpr_read_b32 v40, a8
	v_add_f32_e32 v22, v22, v40
	v_accvgpr_read_b32 v40, a9
	s_waitcnt lgkmcnt(2)
	v_mfma_f32_16x16x16_bf16 a[14:17], v[54:55], v[60:61], a[14:17]
	v_pk_mul_f32 v[24:25], v[36:37], v[24:25]
	v_add_f32_e32 v23, v23, v40
	v_accvgpr_read_b32 v40, a10
	v_add_f32_e32 v24, v24, v40
	v_accvgpr_read_b32 v40, a11
	;; [unrolled: 2-line block ×3, first 2 shown]
	v_mfma_f32_16x16x16_bf16 a[22:25], v[42:43], v[46:47], 0
	v_accvgpr_read_b32 v40, a12
	v_pk_fma_f32 v[2:3], v[34:35], v[2:3], v[40:41]
	v_pk_fma_f32 v[4:5], v[36:37], v[4:5], v[52:53]
	v_mfma_f32_16x16x16_bf16 a[4:7], v[54:55], v[64:65], a[18:21]
	s_waitcnt vmcnt(0)
	v_mov_b32_e32 v34, v77
	v_mov_b32_e32 v35, v78
	;; [unrolled: 1-line block ×3, first 2 shown]
	s_waitcnt lgkmcnt(0)
	v_mfma_f32_16x16x16_bf16 a[8:11], v[38:39], v[62:63], a[14:17]
	v_mul_f32_e32 v37, 0x3fb8aa3b, v76
	v_mul_f32_e32 v34, 0x3fb8aa3b, v34
	v_exp_f32_e32 v40, v37
	v_mfma_f32_16x16x16_bf16 a[0:3], v[42:43], v[48:49], 0
	v_exp_f32_e32 v41, v34
	v_mul_f32_e32 v34, 0x3fb8aa3b, v35
	v_mul_f32_e32 v35, 0x3fb8aa3b, v36
	v_mfma_f32_16x16x16_bf16 a[18:21], v[54:55], v[68:69], a[22:25]
	v_exp_f32_e32 v34, v34
	v_exp_f32_e32 v35, v35
	v_pk_mul_f32 v[36:37], v[0:1], v[40:41] op_sel_hi:[0,1]
	v_mfma_f32_16x16x16_bf16 a[4:7], v[38:39], v[66:67], a[4:7]
	v_pk_mul_f32 v[18:19], v[18:19], v[36:37]
	v_pk_mul_f32 v[34:35], v[0:1], v[34:35] op_sel_hi:[0,1]
	v_pk_mul_f32 v[20:21], v[20:21], v[34:35]
	v_mfma_f32_16x16x16_bf16 a[8:11], v[56:57], v[58:59], a[8:11]
	v_pk_mul_f32 v[14:15], v[36:37], v[14:15]
	v_pk_mul_f32 v[16:17], v[34:35], v[16:17]
	;; [unrolled: 1-line block ×3, first 2 shown]
	v_mfma_f32_16x16x16_bf16 a[0:3], v[54:55], v[72:73], a[0:3]
	v_pk_mul_f32 v[12:13], v[34:35], v[12:13]
	v_mfma_f32_16x16x16_bf16 a[12:15], v[38:39], v[70:71], a[18:21]
	s_nop 0
	v_accvgpr_read_b32 v0, a8
	v_add_f32_e32 v18, v18, v0
	v_accvgpr_read_b32 v0, a9
	v_mfma_f32_16x16x16_bf16 a[4:7], v[56:57], v[80:81], a[4:7]
	v_add_f32_e32 v19, v19, v0
	v_accvgpr_read_b32 v0, a10
	v_add_f32_e32 v20, v20, v0
	v_mfma_f32_16x16x16_bf16 a[0:3], v[38:39], v[74:75], a[0:3]
	v_accvgpr_read_b32 v0, a11
	v_add_f32_e32 v21, v21, v0
	v_mfma_f32_16x16x16_bf16 a[12:15], v[56:57], v[82:83], a[12:15]
	v_accvgpr_read_b32 v0, a4
	v_add_f32_e32 v14, v14, v0
	v_accvgpr_read_b32 v0, a5
	v_mfma_f32_16x16x16_bf16 a[0:3], v[56:57], v[44:45], a[0:3]
	v_add_f32_e32 v15, v15, v0
	v_accvgpr_read_b32 v0, a6
	v_add_f32_e32 v16, v16, v0
	v_accvgpr_read_b32 v0, a7
	;; [unrolled: 2-line block ×5, first 2 shown]
	v_accvgpr_read_b32 v41, a1
	v_accvgpr_read_b32 v39, a3
	;; [unrolled: 1-line block ×3, first 2 shown]
	v_add_f32_e32 v12, v12, v0
	v_accvgpr_read_b32 v0, a15
	v_accvgpr_read_b32 v40, a0
	v_add_f32_e32 v13, v13, v0
	v_pk_fma_f32 v[6:7], v[36:37], v[6:7], v[40:41]
	v_pk_fma_f32 v[8:9], v[34:35], v[8:9], v[38:39]
	v_mov_b32_e32 v34, v50
.LBB197_101:
	s_mul_i32 s0, s33, s35
	s_mul_hi_u32 s1, s33, s34
	s_add_i32 s0, s1, s0
	s_mul_i32 s1, s48, s34
	s_add_i32 s1, s0, s1
	s_mul_i32 s0, s33, s34
	s_add_u32 s0, s0, s49
	s_addc_u32 s1, s1, s37
	s_lshl_b64 s[0:1], s[0:1], 16
	s_add_u32 s0, s8, s0
	v_lshlrev_b32_e32 v34, 7, v34
	s_addc_u32 s1, s9, s1
	v_ashrrev_i32_e32 v35, 31, v34
	v_lshl_add_u64 v[36:37], v[34:35], 2, s[0:1]
	v_lshlrev_b32_e32 v0, 2, v1
	v_mov_b32_e32 v1, 0
	v_lshl_add_u64 v[36:37], v[36:37], 0, v[0:1]
	global_store_dwordx4 v[36:37], v[30:33], off
	global_store_dwordx4 v[36:37], v[18:21], off offset:256
	s_nop 1
	v_or_b32_e32 v18, 0x800, v34
	v_ashrrev_i32_e32 v19, 31, v18
	v_lshl_add_u64 v[18:19], v[18:19], 2, s[0:1]
	v_lshl_add_u64 v[18:19], v[18:19], 0, v[0:1]
	global_store_dwordx4 v[18:19], v[26:29], off
	global_store_dwordx4 v[18:19], v[14:17], off offset:256
	s_nop 1
	v_or_b32_e32 v14, 0x1000, v34
	v_ashrrev_i32_e32 v15, 31, v14
	v_lshl_add_u64 v[14:15], v[14:15], 2, s[0:1]
	;; [unrolled: 7-line block ×3, first 2 shown]
	v_lshl_add_u64 v[0:1], v[10:11], 0, v[0:1]
	global_store_dwordx4 v[0:1], v[2:5], off
	global_store_dwordx4 v[0:1], v[6:9], off offset:256
	s_endpgm
	.section	.rodata,"a",@progbits
	.p2align	6, 0x0
	.amdhsa_kernel _ZN12_GLOBAL__N_139chunk_gated_delta_rule_fwd_h_hip_kernelILi64ELb0ELb1ELb1ELb1ELb0ELb1ELb1ELb0EEEvPK12hip_bfloat16S3_S3_PKfS5_PKvPS1_S8_PvPKiSB_iiiiilll
		.amdhsa_group_segment_fixed_size 65536
		.amdhsa_private_segment_fixed_size 0
		.amdhsa_kernarg_size 136
		.amdhsa_user_sgpr_count 2
		.amdhsa_user_sgpr_dispatch_ptr 0
		.amdhsa_user_sgpr_queue_ptr 0
		.amdhsa_user_sgpr_kernarg_segment_ptr 1
		.amdhsa_user_sgpr_dispatch_id 0
		.amdhsa_user_sgpr_kernarg_preload_length 0
		.amdhsa_user_sgpr_kernarg_preload_offset 0
		.amdhsa_user_sgpr_private_segment_size 0
		.amdhsa_uses_dynamic_stack 0
		.amdhsa_enable_private_segment 0
		.amdhsa_system_sgpr_workgroup_id_x 1
		.amdhsa_system_sgpr_workgroup_id_y 1
		.amdhsa_system_sgpr_workgroup_id_z 0
		.amdhsa_system_sgpr_workgroup_info 0
		.amdhsa_system_vgpr_workitem_id 0
		.amdhsa_next_free_vgpr 232
		.amdhsa_next_free_sgpr 69
		.amdhsa_accum_offset 192
		.amdhsa_reserve_vcc 1
		.amdhsa_float_round_mode_32 0
		.amdhsa_float_round_mode_16_64 0
		.amdhsa_float_denorm_mode_32 3
		.amdhsa_float_denorm_mode_16_64 3
		.amdhsa_dx10_clamp 1
		.amdhsa_ieee_mode 1
		.amdhsa_fp16_overflow 0
		.amdhsa_tg_split 0
		.amdhsa_exception_fp_ieee_invalid_op 0
		.amdhsa_exception_fp_denorm_src 0
		.amdhsa_exception_fp_ieee_div_zero 0
		.amdhsa_exception_fp_ieee_overflow 0
		.amdhsa_exception_fp_ieee_underflow 0
		.amdhsa_exception_fp_ieee_inexact 0
		.amdhsa_exception_int_div_zero 0
	.end_amdhsa_kernel
	.section	.text._ZN12_GLOBAL__N_139chunk_gated_delta_rule_fwd_h_hip_kernelILi64ELb0ELb1ELb1ELb1ELb0ELb1ELb1ELb0EEEvPK12hip_bfloat16S3_S3_PKfS5_PKvPS1_S8_PvPKiSB_iiiiilll,"axG",@progbits,_ZN12_GLOBAL__N_139chunk_gated_delta_rule_fwd_h_hip_kernelILi64ELb0ELb1ELb1ELb1ELb0ELb1ELb1ELb0EEEvPK12hip_bfloat16S3_S3_PKfS5_PKvPS1_S8_PvPKiSB_iiiiilll,comdat
.Lfunc_end197:
	.size	_ZN12_GLOBAL__N_139chunk_gated_delta_rule_fwd_h_hip_kernelILi64ELb0ELb1ELb1ELb1ELb0ELb1ELb1ELb0EEEvPK12hip_bfloat16S3_S3_PKfS5_PKvPS1_S8_PvPKiSB_iiiiilll, .Lfunc_end197-_ZN12_GLOBAL__N_139chunk_gated_delta_rule_fwd_h_hip_kernelILi64ELb0ELb1ELb1ELb1ELb0ELb1ELb1ELb0EEEvPK12hip_bfloat16S3_S3_PKfS5_PKvPS1_S8_PvPKiSB_iiiiilll
                                        ; -- End function
	.section	.AMDGPU.csdata,"",@progbits
; Kernel info:
; codeLenInByte = 13116
; NumSgprs: 75
; NumVgprs: 192
; NumAgprs: 40
; TotalNumVgprs: 232
; ScratchSize: 0
; MemoryBound: 0
; FloatMode: 240
; IeeeMode: 1
; LDSByteSize: 65536 bytes/workgroup (compile time only)
; SGPRBlocks: 9
; VGPRBlocks: 28
; NumSGPRsForWavesPerEU: 75
; NumVGPRsForWavesPerEU: 232
; AccumOffset: 192
; Occupancy: 1
; WaveLimiterHint : 1
; COMPUTE_PGM_RSRC2:SCRATCH_EN: 0
; COMPUTE_PGM_RSRC2:USER_SGPR: 2
; COMPUTE_PGM_RSRC2:TRAP_HANDLER: 0
; COMPUTE_PGM_RSRC2:TGID_X_EN: 1
; COMPUTE_PGM_RSRC2:TGID_Y_EN: 1
; COMPUTE_PGM_RSRC2:TGID_Z_EN: 0
; COMPUTE_PGM_RSRC2:TIDIG_COMP_CNT: 0
; COMPUTE_PGM_RSRC3_GFX90A:ACCUM_OFFSET: 47
; COMPUTE_PGM_RSRC3_GFX90A:TG_SPLIT: 0
	.section	.text._ZN12_GLOBAL__N_139chunk_gated_delta_rule_fwd_h_hip_kernelILi64ELb0ELb1ELb0ELb1ELb0ELb1ELb1ELb0EEEvPK12hip_bfloat16S3_S3_PKfS5_PKvPS1_S8_PvPKiSB_iiiiilll,"axG",@progbits,_ZN12_GLOBAL__N_139chunk_gated_delta_rule_fwd_h_hip_kernelILi64ELb0ELb1ELb0ELb1ELb0ELb1ELb1ELb0EEEvPK12hip_bfloat16S3_S3_PKfS5_PKvPS1_S8_PvPKiSB_iiiiilll,comdat
	.globl	_ZN12_GLOBAL__N_139chunk_gated_delta_rule_fwd_h_hip_kernelILi64ELb0ELb1ELb0ELb1ELb0ELb1ELb1ELb0EEEvPK12hip_bfloat16S3_S3_PKfS5_PKvPS1_S8_PvPKiSB_iiiiilll ; -- Begin function _ZN12_GLOBAL__N_139chunk_gated_delta_rule_fwd_h_hip_kernelILi64ELb0ELb1ELb0ELb1ELb0ELb1ELb1ELb0EEEvPK12hip_bfloat16S3_S3_PKfS5_PKvPS1_S8_PvPKiSB_iiiiilll
	.p2align	8
	.type	_ZN12_GLOBAL__N_139chunk_gated_delta_rule_fwd_h_hip_kernelILi64ELb0ELb1ELb0ELb1ELb0ELb1ELb1ELb0EEEvPK12hip_bfloat16S3_S3_PKfS5_PKvPS1_S8_PvPKiSB_iiiiilll,@function
_ZN12_GLOBAL__N_139chunk_gated_delta_rule_fwd_h_hip_kernelILi64ELb0ELb1ELb0ELb1ELb0ELb1ELb1ELb0EEEvPK12hip_bfloat16S3_S3_PKfS5_PKvPS1_S8_PvPKiSB_iiiiilll: ; @_ZN12_GLOBAL__N_139chunk_gated_delta_rule_fwd_h_hip_kernelILi64ELb0ELb1ELb0ELb1ELb0ELb1ELb1ELb0EEEvPK12hip_bfloat16S3_S3_PKfS5_PKvPS1_S8_PvPKiSB_iiiiilll
; %bb.0:
	s_load_dwordx4 s[16:19], s[0:1], 0x5c
	s_load_dwordx8 s[4:11], s[0:1], 0x0
	s_load_dwordx4 s[20:23], s[0:1], 0x70
	s_abs_i32 s27, s3
	s_ashr_i32 s26, s3, 31
	s_waitcnt lgkmcnt(0)
	s_abs_i32 s28, s17
	v_cvt_f32_u32_e32 v1, s28
	s_sub_i32 s29, 0, s28
	s_ashr_i32 s46, s17, 31
	s_xor_b32 s26, s26, s46
	v_rcp_iflag_f32_e32 v1, v1
	s_load_dwordx2 s[36:37], s[0:1], 0x20
	s_load_dwordx2 s[40:41], s[0:1], 0x30
	s_load_dwordx4 s[12:15], s[0:1], 0x40
	s_load_dwordx2 s[24:25], s[0:1], 0x50
	v_lshrrev_b32_e32 v77, 6, v0
	v_bfe_u32 v86, v0, 4, 2
	v_mul_f32_e32 v1, 0x4f7ffffe, v1
	v_cvt_u32_f32_e32 v1, v1
	v_lshlrev_b32_e32 v84, 4, v77
	v_lshlrev_b32_e32 v34, 2, v86
	v_and_b32_e32 v85, 63, v0
	v_readfirstlane_b32 s30, v1
	s_mul_i32 s29, s29, s30
	s_mul_hi_u32 s29, s30, s29
	s_add_i32 s30, s30, s29
	s_mul_hi_u32 s29, s27, s30
	s_mul_i32 s30, s29, s28
	s_sub_i32 s27, s27, s30
	s_add_i32 s30, s29, 1
	s_sub_i32 s31, s27, s28
	s_cmp_ge_u32 s27, s28
	s_cselect_b32 s29, s30, s29
	s_cselect_b32 s27, s31, s27
	s_add_i32 s30, s29, 1
	s_cmp_ge_u32 s27, s28
	s_cselect_b32 s27, s30, s29
	s_xor_b32 s27, s27, s26
	s_sub_i32 s34, s27, s26
	s_mul_i32 s26, s34, s17
	s_ashr_i32 s35, s34, 31
	s_sub_i32 s47, s3, s26
	s_lshl_b64 s[26:27], s[34:35], 2
	s_waitcnt lgkmcnt(0)
	s_add_u32 s14, s14, s26
	s_addc_u32 s15, s15, s27
	s_add_u32 s24, s24, s26
	s_addc_u32 s25, s25, s27
	s_abs_i32 s3, s18
	v_cvt_f32_u32_e32 v1, s3
	s_load_dwordx2 s[38:39], s[14:15], 0x0
	s_load_dword s52, s[24:25], 0x0
	v_mov_b32_e32 v25, 0
	v_rcp_iflag_f32_e32 v1, v1
	s_load_dwordx2 s[14:15], s[0:1], 0x80
	s_sub_i32 s1, 0, s3
	s_waitcnt lgkmcnt(0)
	s_sub_i32 s56, s39, s38
	v_mul_f32_e32 v1, 0x4f7ffffe, v1
	v_cvt_u32_f32_e32 v1, v1
	s_ashr_i32 s0, s56, 31
	s_lshr_b32 s0, s0, 26
	s_add_i32 s0, s56, s0
	v_readfirstlane_b32 s26, v1
	s_mul_i32 s1, s1, s26
	s_mul_hi_u32 s1, s26, s1
	s_add_i32 s26, s26, s1
	s_mul_hi_u32 s1, s28, s26
	s_mul_i32 s26, s1, s3
	s_ashr_i32 s51, s0, 6
	s_ashr_i32 s0, s18, 31
	s_sub_i32 s26, s28, s26
	s_xor_b32 s0, s46, s0
	s_add_i32 s27, s1, 1
	s_sub_i32 s28, s26, s3
	s_cmp_ge_u32 s26, s3
	s_cselect_b32 s1, s27, s1
	s_cselect_b32 s26, s28, s26
	s_add_i32 s27, s1, 1
	s_cmp_ge_u32 s26, s3
	s_cselect_b32 s1, s27, s1
	s_xor_b32 s1, s1, s0
	s_sub_i32 s1, s1, s0
	s_abs_i32 s3, s1
	v_cvt_f32_u32_e32 v1, s3
	s_sub_i32 s25, 0, s3
	s_abs_i32 s24, s47
	s_xor_b32 s1, s47, s1
	v_rcp_iflag_f32_e32 v1, v1
	s_ashr_i32 s1, s1, 31
	s_mov_b32 s0, 0
	s_mov_b32 s33, s17
	v_mul_f32_e32 v1, 0x4f7ffffe, v1
	v_cvt_u32_f32_e32 v1, v1
	v_and_b32_e32 v87, 15, v0
	s_mul_hi_i32 s53, s47, s16
	s_mul_i32 s55, s47, s16
	v_readfirstlane_b32 s26, v1
	s_mul_i32 s25, s25, s26
	s_mul_hi_u32 s25, s26, s25
	s_add_i32 s26, s26, s25
	s_mul_hi_u32 s25, s24, s26
	s_mul_i32 s26, s25, s3
	s_sub_i32 s24, s24, s26
	s_add_i32 s26, s25, 1
	s_sub_i32 s27, s24, s3
	s_cmp_ge_u32 s24, s3
	s_cselect_b32 s25, s26, s25
	s_cselect_b32 s24, s27, s24
	s_add_i32 s26, s25, 1
	s_cmp_ge_u32 s24, s3
	s_cselect_b32 s3, s26, s25
	s_xor_b32 s3, s3, s1
	s_sub_i32 s54, s3, s1
	v_or_b32_e32 v1, v34, v84
	s_lshl_b32 s2, s2, 6
	s_mov_b32 s1, s0
	v_or_b32_e32 v90, 64, v1
	s_cmp_lt_i32 s56, 64
	v_mov_b64_e32 v[2:3], s[0:1]
	v_lshrrev_b32_e32 v89, 3, v85
	v_lshlrev_b32_e32 v88, 3, v0
	s_mul_i32 s48, s34, s21
	s_mul_hi_u32 s49, s34, s20
	s_mul_i32 s50, s35, s20
	s_mul_i32 s20, s34, s20
	v_mov_b32_e32 v24, v25
	v_mov_b32_e32 v23, v25
	;; [unrolled: 1-line block ×23, first 2 shown]
	v_mov_b64_e32 v[4:5], s[0:1]
	v_mov_b64_e32 v[6:7], s[0:1]
	;; [unrolled: 1-line block ×3, first 2 shown]
	s_cbranch_scc1 .LBB198_18
; %bb.1:
	s_ashr_i32 s58, s47, 31
	s_ashr_i32 s1, s38, 31
	s_add_u32 s0, s55, s38
	s_addc_u32 s1, s53, s1
	s_lshl_b64 s[0:1], s[0:1], 8
	v_and_b32_e32 v92, 56, v88
	s_add_u32 s24, s6, s0
	v_lshl_or_b32 v91, v77, 3, v89
	v_lshlrev_b32_e32 v2, 1, v92
	s_addc_u32 s0, s7, s1
	v_lshl_or_b32 v93, v91, 8, v2
	s_and_b32 s25, s0, 0xffff
	s_mov_b32 s27, 0x20000
	s_movk_i32 s26, 0x4000
	s_movk_i32 s0, 0x80
	v_or_b32_e32 v94, 0x2000, v93
	buffer_load_dwordx4 v[4:7], v93, s[24:27], 0 offen
	buffer_load_dwordx4 v[8:11], v93, s[24:27], s0 offen
	;; [unrolled: 1-line block ×4, first 2 shown]
	v_lshlrev_b32_e32 v3, 3, v91
	v_and_or_b32 v21, v0, 7, v3
	v_and_b32_e32 v3, 0x78, v3
	v_lshlrev_b32_e32 v21, 4, v21
	v_xor_b32_e32 v95, v21, v3
	v_mul_lo_u32 v20, v91, s19
	v_or_b32_e32 v96, 0x1000, v95
	v_xor_b32_e32 v3, 8, v95
	s_cmpk_eq_i32 s19, 0x80
	s_mov_b32 s57, s38
	v_xor_b32_e32 v21, 8, v96
	s_cselect_b64 s[0:1], -1, 0
	s_cmpk_lg_i32 s19, 0x80
	s_waitcnt vmcnt(3)
	ds_write_b64 v95, v[4:5] offset:49152
	ds_write_b64 v3, v[6:7] offset:49152
	s_waitcnt vmcnt(2)
	ds_write_b64 v95, v[8:9] offset:57344
	ds_write_b64 v3, v[10:11] offset:57344
	;; [unrolled: 3-line block ×4, first 2 shown]
	v_lshl_add_u32 v3, v20, 1, v92
	s_cbranch_scc0 .LBB198_3
; %bb.2:
	v_lshlrev_b32_e32 v5, 1, v3
	v_add_lshl_u32 v4, v3, s19, 1
	s_lshl_b32 s26, s19, 7
	v_lshl_or_b32 v2, v91, 9, v2
	s_cbranch_execz .LBB198_4
	s_branch .LBB198_5
.LBB198_3:
                                        ; implicit-def: $vgpr4
                                        ; implicit-def: $vgpr5
                                        ; implicit-def: $sgpr26
	v_lshl_or_b32 v2, v91, 9, v2
.LBB198_4:
	v_or_b32_e32 v4, 0x100, v2
	s_movk_i32 s26, 0x4000
	v_mov_b32_e32 v5, v2
.LBB198_5:
	s_mul_i32 s21, s38, s18
	s_ashr_i32 s59, s54, 31
	s_mul_hi_i32 s3, s38, s18
	s_add_u32 s24, s21, s54
	s_addc_u32 s25, s3, s59
	s_lshl_b64 s[24:25], s[24:25], 8
	s_add_u32 s24, s4, s24
	s_addc_u32 s3, s5, s25
	s_and_b32 s25, s3, 0xffff
	s_movk_i32 s60, 0x80
	buffer_load_dwordx4 v[6:9], v5, s[24:27], 0 offen
	buffer_load_dwordx4 v[10:13], v5, s[24:27], s60 offen
	;; [unrolled: 1-line block ×4, first 2 shown]
	v_and_b32_e32 v5, 6, v0
	v_lshlrev_b32_e32 v4, 7, v1
	v_xor_b32_e32 v27, v91, v5
	v_and_b32_e32 v22, 1, v0
	v_lshl_or_b32 v30, v87, 3, v4
	v_lshlrev_b32_e32 v27, 2, v27
	v_lshlrev_b32_e32 v23, 2, v87
	v_or_b32_e32 v97, 0x4000, v30
	v_or_b32_e32 v98, 0x6000, v30
	v_xor_b32_e32 v30, 0x440, v27
	v_cmp_eq_u32_e32 vcc, 0, v22
	v_or_b32_e32 v25, 16, v87
	v_or_b32_e32 v26, 32, v87
	v_xor_b32_e32 v28, v1, v23
	v_xor_b32_e32 v29, v90, v23
	v_cndmask_b32_e32 v22, v30, v27, vcc
	s_add_i32 s3, s49, s48
	s_mov_b32 s61, 0x1000504
	v_lshl_or_b32 v31, v25, 3, v4
	v_lshlrev_b32_e32 v25, 8, v25
	v_lshl_or_b32 v32, v26, 3, v4
	v_lshlrev_b32_e32 v28, 1, v28
	v_lshlrev_b32_e32 v29, 1, v29
	v_lshl_or_b32 v5, v5, 10, v22
	s_add_i32 s21, s3, s50
	s_mul_i32 s3, s47, s23
	s_mul_hi_u32 s24, s47, s22
	s_mov_b32 s62, 0x3020706
	v_lshlrev_b32_e32 v24, 8, v87
	v_or_b32_e32 v101, 0x4000, v32
	v_or_b32_e32 v102, 0x6000, v32
	;; [unrolled: 1-line block ×4, first 2 shown]
	v_xor_b32_e32 v22, 8, v5
	v_xor_b32_e32 v25, 24, v5
	;; [unrolled: 1-line block ×4, first 2 shown]
	s_add_i32 s3, s24, s3
	s_mul_i32 s24, s58, s22
	v_or_b32_e32 v99, 0x4000, v31
	v_or_b32_e32 v100, 0x6000, v31
	;; [unrolled: 1-line block ×4, first 2 shown]
	v_xor_b32_e32 v24, 16, v5
	v_xor_b32_e32 v27, 32, v5
	;; [unrolled: 1-line block ×3, first 2 shown]
	v_add_u32_e32 v22, 0x80, v22
	v_add_u32_e32 v25, 0x80, v25
	v_add_u32_e32 v30, 0x80, v30
	v_add_u32_e32 v32, 0x80, v32
	s_add_i32 s25, s3, s24
	s_lshl_b64 s[28:29], s[20:21], 2
	s_mul_i32 s24, s47, s22
	s_add_u32 s3, s10, s28
	s_addc_u32 s21, s11, s29
	s_lshl_b64 s[24:25], s[24:25], 2
	s_add_u32 s42, s3, s24
	s_movk_i32 s3, 0xf8
	s_addc_u32 s43, s21, s25
	s_lshl_b32 s30, s19, 7
	s_movk_i32 s21, 0x100
	v_mov_b32_e32 v79, 0
	v_lshlrev_b32_e32 v78, 4, v87
	v_lshlrev_b32_e32 v26, 8, v26
	s_mov_b32 s64, 0
	s_movk_i32 s26, 0x4000
	v_or_b32_e32 v107, v26, v28
	v_or_b32_e32 v108, v26, v29
	v_add_u32_e32 v134, v84, v34
	s_movk_i32 s63, 0x3000
	v_mov_b32_e32 v144, 0x3fb8aa3b
	v_mov_b32_e32 v26, v79
	s_waitcnt vmcnt(1)
	v_perm_b32 v33, v6, v14, s61
	s_waitcnt vmcnt(0)
	v_perm_b32 v35, v10, v18, s61
	v_perm_b32 v6, v6, v14, s62
	;; [unrolled: 1-line block ×15, first 2 shown]
	ds_write2st64_b32 v5, v33, v35 offset0:128 offset1:160
	ds_write2st64_b32 v22, v6, v10 offset0:128 offset1:160
	;; [unrolled: 1-line block ×8, first 2 shown]
	v_or_b32_e32 v5, 48, v87
	v_lshl_or_b32 v6, v5, 3, v4
	v_lshlrev_b32_e32 v5, 8, v5
	v_or_b32_e32 v111, v5, v28
	v_or_b32_e32 v112, v5, v29
	;; [unrolled: 1-line block ×3, first 2 shown]
	v_lshlrev_b32_e32 v5, 3, v5
	v_lshrrev_b32_e32 v7, 5, v85
	v_and_or_b32 v7, v5, s3, v7
	v_lshlrev_b32_e32 v7, 4, v7
	v_or_b32_e32 v109, 0x4000, v6
	v_or_b32_e32 v110, 0x6000, v6
	v_lshrrev_b32_e32 v6, 2, v85
	v_lshlrev_b32_e32 v11, 11, v77
	v_and_b32_e32 v5, 0x78, v5
	v_or_b32_e32 v13, 32, v7
	v_and_b32_e32 v10, 12, v6
	v_and_b32_e32 v6, 0x1000, v11
	v_lshrrev_b32_e32 v9, 1, v85
	v_xor_b32_e32 v13, v13, v5
	v_xor_b32_e32 v8, v7, v5
	v_and_b32_e32 v9, 8, v9
	v_or_b32_e32 v13, v13, v6
	v_or_b32_e32 v8, v8, v6
	v_lshlrev_b32_e32 v12, 8, v86
	v_xor_b32_e32 v115, v13, v9
	v_or_b32_e32 v13, 64, v7
	v_or_b32_e32 v7, 0x60, v7
	v_xor_b32_e32 v113, v8, v9
	v_or_b32_e32 v8, v12, v23
	v_xor_b32_e32 v13, v13, v5
	v_xor_b32_e32 v5, v7, v5
	s_ashr_i32 s3, s2, 31
	v_lshlrev_b32_e32 v8, 1, v8
	v_or_b32_e32 v13, v13, v6
	v_or_b32_e32 v5, v5, v6
	s_lshl_b64 s[24:25], s[2:3], 8
	v_lshlrev_b32_e32 v17, 2, v0
	v_or_b32_e32 v114, 0x4000, v8
	v_or_b32_e32 v116, 0x4080, v8
	;; [unrolled: 1-line block ×4, first 2 shown]
	v_xor_b32_e32 v119, v13, v9
	v_xor_b32_e32 v120, v5, v9
	v_or_b32_e32 v121, 0x6000, v8
	v_or_b32_e32 v122, 0x6080, v8
	;; [unrolled: 1-line block ×4, first 2 shown]
	v_lshlrev_b32_e32 v5, 1, v3
	v_add_lshl_u32 v3, v3, s19, 1
	v_or_b32_e32 v13, 0x100, v2
	s_add_u32 s24, s40, s24
	v_lshlrev_b32_e32 v8, 1, v87
	v_lshrrev_b32_e32 v18, 1, v0
	v_and_or_b32 v12, v17, 60, v12
	v_lshrrev_b32_e32 v14, 4, v0
	s_addc_u32 s25, s41, s25
	v_or_b32_e32 v9, 1, v8
	v_and_b32_e32 v18, 24, v18
	v_lshlrev_b32_e32 v12, 1, v12
	v_cndmask_b32_e64 v131, v5, v2, s[0:1]
	v_cndmask_b32_e64 v132, v3, v13, s[0:1]
	v_mov_b32_e32 v3, 0xa000
	v_mov_b32_e32 v5, 0x8000
	v_cmp_gt_u32_e64 s[0:1], s21, v0
	v_xor_b32_e32 v15, v14, v8
	v_xor_b32_e32 v16, v9, v14
	v_lshl_add_u64 v[8:9], s[24:25], 0, v[78:79]
	v_lshlrev_b32_e32 v78, 8, v14
	v_or_b32_e32 v127, 0x6000, v12
	v_or_b32_e32 v17, 32, v18
	v_or_b32_e32 v128, 0x6080, v12
	v_or_b32_e32 v129, 0x6100, v12
	v_or_b32_e32 v130, 0x6180, v12
	v_or_b32_e32 v12, 0x60, v18
	v_cndmask_b32_e64 v3, v3, v5, s[0:1]
	v_lshlrev_b32_e32 v5, 3, v77
	v_lshl_or_b32 v125, v15, 3, v78
	v_and_b32_e32 v15, 8, v0
	v_xor_b32_e32 v13, v5, v18
	v_xor_b32_e32 v17, v5, v17
	;; [unrolled: 1-line block ×3, first 2 shown]
	v_mov_b32_e32 v19, 0x400
	v_cmp_eq_u32_e32 vcc, 0, v15
	v_or_b32_e32 v18, 0x440, v13
	v_or_b32_e32 v20, 0x440, v17
	v_xor_b32_e32 v12, 0x440, v5
	v_and_b32_e32 v14, 7, v0
	v_cndmask_b32_e64 v15, v19, 64, vcc
	v_cndmask_b32_e32 v18, v18, v13, vcc
	v_cndmask_b32_e32 v17, v20, v17, vcc
	;; [unrolled: 1-line block ×3, first 2 shown]
	v_lshl_or_b32 v126, v16, 3, v78
	v_lshlrev_b32_e32 v16, 3, v14
	v_or_b32_e32 v18, v18, v11
	v_or_b32_e32 v17, v17, v11
	v_or3_b32 v13, v11, v15, v13
	v_or_b32_e32 v5, v5, v11
	v_or_b32_e32 v6, s2, v87
	v_lshlrev_b32_e32 v14, 7, v14
	v_xor_b32_e32 v18, v18, v16
	v_xor_b32_e32 v17, v17, v16
	;; [unrolled: 1-line block ×4, first 2 shown]
	v_ashrrev_i32_e32 v7, 31, v6
	v_or_b32_e32 v2, v84, v10
	v_add_u32_e32 v19, v3, v18
	v_add_u32_e32 v20, v3, v17
	v_or_b32_e32 v133, v13, v14
	v_add_u32_e32 v11, v3, v5
	v_or3_b32 v10, v84, v10, 64
	v_add_u32_e32 v12, 0xa000, v18
	v_add_u32_e32 v13, 0xa000, v17
	;; [unrolled: 1-line block ×3, first 2 shown]
	v_lshl_add_u64 v[80:81], v[6:7], 1, s[8:9]
	v_lshl_add_u64 v[82:83], v[8:9], 0, v[78:79]
	s_mov_b32 s3, 0x7060302
	v_lshlrev_b32_e32 v78, 1, v4
	s_movk_i32 s21, 0x2000
	v_lshlrev_b32_e32 v135, 2, v2
	v_add_u32_e32 v136, v19, v14
	v_add_u32_e32 v137, v20, v14
	;; [unrolled: 1-line block ×4, first 2 shown]
	v_lshlrev_b32_e32 v140, 2, v10
	v_add_u32_e32 v141, v12, v14
	v_add_u32_e32 v142, v13, v14
	v_add_u32_e32 v143, v5, v14
	v_mov_b32_e32 v8, v79
	v_mov_b32_e32 v9, v79
	;; [unrolled: 1-line block ×31, first 2 shown]
	s_waitcnt lgkmcnt(0)
	s_barrier
.LBB198_6:                              ; =>This Inner Loop Header: Depth=1
	s_add_i32 s65, s64, 1
	s_cmp_lt_i32 s65, s51
	s_mov_b64 s[28:29], 0
	s_cselect_b64 s[44:45], -1, 0
	s_cmp_ge_i32 s65, s51
	s_mov_b64 s[24:25], 0
	s_cbranch_scc1 .LBB198_8
; %bb.7:                                ;   in Loop: Header=BB198_6 Depth=1
	s_add_i32 s0, s57, 64
	s_ashr_i32 s1, s0, 31
	s_add_u32 s0, s55, s0
	s_addc_u32 s1, s53, s1
	s_lshl_b64 s[0:1], s[0:1], 8
	s_add_u32 s24, s6, s0
	s_addc_u32 s25, s7, s1
.LBB198_8:                              ;   in Loop: Header=BB198_6 Depth=1
	v_cndmask_b32_e64 v34, 0, 1, s[44:45]
	v_cmp_ne_u32_e64 s[0:1], 1, v34
	s_andn2_b64 vcc, exec, s[44:45]
	s_cbranch_vccnz .LBB198_10
; %bb.9:                                ;   in Loop: Header=BB198_6 Depth=1
	s_add_i32 s28, s57, 64
	s_mul_hi_i32 s29, s28, s18
	s_mul_i32 s28, s28, s18
	s_add_u32 s28, s28, s54
	s_addc_u32 s29, s29, s59
	s_lshl_b64 s[28:29], s[28:29], 8
	s_add_u32 s28, s4, s28
	s_addc_u32 s29, s5, s29
.LBB198_10:                             ;   in Loop: Header=BB198_6 Depth=1
	v_perm_b32 v35, v33, v32, s3
	v_perm_b32 v34, v31, v30, s3
	v_perm_b32 v37, v21, v20, s3
	v_perm_b32 v36, v19, v18, s3
	ds_write_b64 v97, v[34:35]
	ds_write_b64 v98, v[36:37]
	ds_write_b64 v103, v[34:35]
	ds_write_b64 v104, v[36:37]
	v_perm_b32 v35, v29, v28, s3
	v_perm_b32 v34, v27, v26, s3
	v_perm_b32 v37, v17, v16, s3
	v_perm_b32 v36, v15, v14, s3
	ds_write_b64 v99, v[34:35]
	ds_write_b64 v100, v[36:37]
	ds_write_b64 v105, v[34:35]
	ds_write_b64 v106, v[36:37]
	;; [unrolled: 8-line block ×4, first 2 shown]
	s_waitcnt lgkmcnt(0)
	s_barrier
	ds_read_b64 v[38:39], v113 offset:49152
	ds_read2_b64 v[34:37], v114 offset1:16
	ds_read_b64 v[50:51], v116 offset:6144
	ds_read_b64 v[52:53], v114 offset:6144
	s_waitcnt lgkmcnt(2)
	v_mfma_f32_16x16x16_bf16 a[0:3], v[38:39], v[34:35], 0
	ds_read_b64 v[54:55], v115 offset:49152
	ds_read2st64_b64 v[42:45], v117 offset0:4 offset1:8
	ds_read2st64_b64 v[46:49], v118 offset0:4 offset1:8
	v_mfma_f32_16x16x16_bf16 a[4:7], v[38:39], v[36:37], 0
	ds_read2_b64 v[34:37], v114 offset0:32 offset1:48
	s_add_i32 s66, s57, 63
	s_ashr_i32 s31, s66, 31
	s_waitcnt lgkmcnt(0)
	v_mfma_f32_16x16x16_bf16 a[8:11], v[38:39], v[34:35], 0
	s_mul_i32 s44, s66, s15
	s_mul_hi_u32 s45, s66, s14
	s_add_i32 s44, s45, s44
	v_mfma_f32_16x16x16_bf16 a[12:15], v[38:39], v[36:37], 0
	ds_read2st64_b64 v[34:37], v114 offset0:4 offset1:8
	ds_read2st64_b64 v[38:41], v116 offset0:4 offset1:8
	s_mul_i32 s31, s31, s14
	s_waitcnt lgkmcnt(1)
	v_mfma_f32_16x16x16_bf16 a[0:3], v[54:55], v[34:35], a[0:3]
	s_add_i32 s45, s44, s31
	s_mul_i32 s44, s66, s14
	s_lshl_b64 s[44:45], s[44:45], 2
	s_waitcnt lgkmcnt(0)
	v_mfma_f32_16x16x16_bf16 a[4:7], v[54:55], v[38:39], a[4:7]
	s_add_u32 s44, s42, s44
	s_addc_u32 s45, s43, s45
	s_and_b64 vcc, exec, s[0:1]
	v_mfma_f32_16x16x16_bf16 a[8:11], v[54:55], v[42:43], a[8:11]
	ds_read_b64 v[34:35], v119 offset:49152
	ds_read_b64 v[38:39], v120 offset:49152
	;; [unrolled: 1-line block ×3, first 2 shown]
	v_mov_b32_e32 v147, 0
	v_mov_b32_e32 v146, 0
	v_mfma_f32_16x16x16_bf16 a[12:15], v[54:55], v[46:47], a[12:15]
	v_mov_b32_e32 v145, 0
	v_mov_b32_e32 v46, 0
	;; [unrolled: 1-line block ×3, first 2 shown]
	s_waitcnt lgkmcnt(2)
	v_mfma_f32_16x16x16_bf16 a[0:3], v[34:35], v[36:37], a[0:3]
	v_mov_b32_e32 v36, 0
	v_mov_b32_e32 v37, 0
	v_mfma_f32_16x16x16_bf16 a[16:19], v[34:35], v[40:41], a[4:7]
	v_mov_b32_e32 v40, 0
	v_mov_b32_e32 v41, 0
	;; [unrolled: 3-line block ×3, first 2 shown]
	v_mfma_f32_16x16x16_bf16 a[24:27], v[34:35], v[48:49], a[12:15]
	ds_read_b64 v[34:35], v117 offset:6144
	v_mov_b32_e32 v48, 0
	v_mov_b32_e32 v49, 0
	s_waitcnt lgkmcnt(2)
	v_mfma_f32_16x16x16_bf16 a[4:7], v[38:39], v[52:53], a[0:3]
	v_mfma_f32_16x16x16_bf16 a[8:11], v[38:39], v[50:51], a[16:19]
	s_waitcnt lgkmcnt(0)
	v_mfma_f32_16x16x16_bf16 a[12:15], v[38:39], v[34:35], a[20:23]
	v_mov_b32_e32 v34, 0
	v_mov_b32_e32 v35, 0
	v_mfma_f32_16x16x16_bf16 a[0:3], v[38:39], v[42:43], a[24:27]
	v_mov_b32_e32 v38, 0
	v_mov_b32_e32 v39, 0
	;; [unrolled: 1-line block ×4, first 2 shown]
	s_cbranch_vccnz .LBB198_12
; %bb.11:                               ;   in Loop: Header=BB198_6 Depth=1
	s_and_b32 s25, s25, 0xffff
	buffer_load_dwordx4 v[46:49], v93, s[24:27], 0 offen
	buffer_load_dwordx4 v[42:45], v93, s[24:27], s60 offen
	buffer_load_dwordx4 v[38:41], v94, s[24:27], 0 offen
	buffer_load_dwordx4 v[34:37], v94, s[24:27], s60 offen
	v_mov_b32_e32 v146, v95
	v_mov_b32_e32 v145, v96
.LBB198_12:                             ;   in Loop: Header=BB198_6 Depth=1
	ds_read_b64 v[66:67], v113 offset:57344
	ds_read2_b64 v[50:53], v121 offset1:16
	ds_read_b64 v[68:69], v115 offset:57344
	ds_read_b64 v[70:71], v119 offset:57344
	;; [unrolled: 1-line block ×3, first 2 shown]
	v_add_u32_e32 v74, s57, v134
	s_waitcnt lgkmcnt(3)
	v_mfma_f32_16x16x16_bf16 a[4:7], v[66:67], v[50:51], a[4:7]
	v_mfma_f32_16x16x16_bf16 a[8:11], v[66:67], v[52:53], a[8:11]
	ds_read2_b64 v[50:53], v121 offset0:32 offset1:48
	ds_read2st64_b64 v[54:57], v121 offset0:4 offset1:8
	ds_read2st64_b64 v[58:61], v122 offset0:4 offset1:8
	;; [unrolled: 1-line block ×3, first 2 shown]
	s_waitcnt lgkmcnt(3)
	v_mfma_f32_16x16x16_bf16 a[12:15], v[66:67], v[50:51], a[12:15]
	v_ashrrev_i32_e32 v50, 31, v74
	v_mfma_f32_16x16x16_bf16 a[0:3], v[66:67], v[52:53], a[0:3]
	v_mul_lo_u32 v52, v50, s14
	v_mul_lo_u32 v53, v74, s15
	v_mad_u64_u32 v[50:51], s[24:25], v74, s14, 0
	v_add3_u32 v51, v51, v53, v52
	v_add_u32_e32 v52, 1, v74
	v_ashrrev_i32_e32 v53, 31, v52
	s_waitcnt lgkmcnt(2)
	v_mfma_f32_16x16x16_bf16 a[4:7], v[68:69], v[54:55], a[4:7]
	v_mul_lo_u32 v54, v53, s14
	v_mul_lo_u32 v55, v52, s15
	v_mad_u64_u32 v[52:53], s[24:25], v52, s14, 0
	v_add3_u32 v53, v53, v55, v54
	v_add_u32_e32 v54, 2, v74
	v_ashrrev_i32_e32 v55, 31, v54
	s_waitcnt lgkmcnt(1)
	v_mfma_f32_16x16x16_bf16 a[8:11], v[68:69], v[58:59], a[8:11]
	v_mul_lo_u32 v58, v55, s14
	v_mul_lo_u32 v59, v54, s15
	v_mad_u64_u32 v[54:55], s[24:25], v54, s14, 0
	v_add3_u32 v55, v55, v59, v58
	v_add_u32_e32 v58, 3, v74
	v_ashrrev_i32_e32 v59, 31, v58
	v_mul_lo_u32 v66, v59, s14
	v_mul_lo_u32 v67, v58, s15
	v_mad_u64_u32 v[58:59], s[24:25], v58, s14, 0
	s_ashr_i32 s25, s57, 31
	s_add_u32 s24, s55, s57
	v_lshl_add_u64 v[50:51], v[50:51], 2, s[42:43]
	v_add3_u32 v59, v59, v67, v66
	s_addc_u32 s25, s53, s25
	v_lshl_add_u64 v[52:53], v[52:53], 2, s[42:43]
	global_load_dword v74, v[50:51], off
	v_lshl_add_u64 v[50:51], v[58:59], 2, s[42:43]
	s_lshl_b64 s[24:25], s[24:25], 8
	v_lshl_add_u64 v[54:55], v[54:55], 2, s[42:43]
	global_load_dword v66, v[52:53], off
	global_load_dword v67, v[54:55], off
	;; [unrolled: 1-line block ×3, first 2 shown]
	v_lshl_add_u64 v[50:51], v[80:81], 0, s[24:25]
	v_lshl_add_u64 v[54:55], v[50:51], 0, v[78:79]
	global_load_ushort v76, v[54:55], off offset:256
	global_load_ushort v148, v[54:55], off
	ds_read2st64_b64 v[50:53], v124 offset0:4 offset1:8
	global_load_ushort v149, v[54:55], off offset:768
	global_load_ushort v150, v[54:55], off offset:512
	s_waitcnt lgkmcnt(1)
	v_mfma_f32_16x16x16_bf16 a[12:15], v[68:69], v[62:63], a[12:15]
	s_and_b64 vcc, exec, s[0:1]
	s_waitcnt vmcnt(3)
	v_lshlrev_b32_e32 v63, 16, v76
	s_waitcnt lgkmcnt(0)
	v_mfma_f32_16x16x16_bf16 a[0:3], v[68:69], v[50:51], a[0:3]
	global_load_ushort v68, v[54:55], off offset:288
	global_load_ushort v69, v[54:55], off offset:32
	;; [unrolled: 1-line block ×8, first 2 shown]
	v_mfma_f32_16x16x16_bf16 a[4:7], v[70:71], v[56:57], a[4:7]
	ds_read_b64 v[50:51], v121 offset:6144
	s_waitcnt vmcnt(10)
	v_lshlrev_b32_e32 v62, 16, v148
	v_mov_b32_e32 v148, 0
	v_mfma_f32_16x16x16_bf16 a[8:11], v[70:71], v[60:61], a[8:11]
	v_mfma_f32_16x16x16_bf16 a[12:15], v[70:71], v[64:65], a[12:15]
	;; [unrolled: 1-line block ×3, first 2 shown]
	global_load_ushort v70, v[54:55], off offset:352
	global_load_ushort v71, v[54:55], off offset:96
	ds_read_b64 v[52:53], v122 offset:6144
	ds_read_b64 v[56:57], v123 offset:6144
	;; [unrolled: 1-line block ×3, first 2 shown]
	global_load_ushort v157, v[54:55], off offset:864
	global_load_ushort v158, v[54:55], off offset:608
	s_load_dword s24, s[44:45], 0x0
	s_waitcnt lgkmcnt(0)
	v_mfma_f32_16x16x16_bf16 a[4:7], v[72:73], v[50:51], a[4:7]
	v_sub_f32_e32 v60, s24, v67
	v_mfma_f32_16x16x16_bf16 a[0:3], v[72:73], v[58:59], a[0:3]
	v_sub_f32_e32 v58, s24, v74
	v_sub_f32_e32 v59, s24, v66
	v_sub_f32_e32 v61, s24, v75
	v_mul_f32_e32 v58, 0x3fb8aa3b, v58
	v_mul_f32_e32 v59, 0x3fb8aa3b, v59
	;; [unrolled: 1-line block ×4, first 2 shown]
	v_mfma_f32_16x16x16_bf16 a[8:11], v[72:73], v[52:53], a[8:11]
	v_exp_f32_e32 v58, v58
	v_exp_f32_e32 v59, v59
	;; [unrolled: 1-line block ×4, first 2 shown]
	v_accvgpr_read_b32 v65, a5
	v_accvgpr_read_b32 v64, a4
	;; [unrolled: 1-line block ×4, first 2 shown]
	v_pk_add_f32 v[62:63], v[62:63], v[64:65] neg_lo:[0,1] neg_hi:[0,1]
	s_waitcnt vmcnt(13)
	v_lshlrev_b32_e32 v65, 16, v149
	s_waitcnt vmcnt(12)
	v_lshlrev_b32_e32 v64, 16, v150
	v_pk_add_f32 v[50:51], v[64:65], v[50:51] neg_lo:[0,1] neg_hi:[0,1]
	v_pk_mul_f32 v[62:63], v[58:59], v[62:63]
	v_pk_mul_f32 v[50:51], v[60:61], v[50:51]
	v_accvgpr_read_b32 v65, a9
	v_perm_b32 v51, v51, v50, s3
	v_perm_b32 v50, v63, v62, s3
	v_accvgpr_read_b32 v64, a8
	v_accvgpr_read_b32 v53, a11
	v_mfma_f32_16x16x16_bf16 a[12:15], v[72:73], v[56:57], a[12:15]
	v_accvgpr_read_b32 v52, a10
	v_accvgpr_read_b32 v57, a3
	;; [unrolled: 1-line block ×3, first 2 shown]
	s_waitcnt vmcnt(11)
	v_lshlrev_b32_e32 v63, 16, v68
	s_waitcnt vmcnt(10)
	v_lshlrev_b32_e32 v62, 16, v69
	v_pk_add_f32 v[62:63], v[62:63], v[64:65] neg_lo:[0,1] neg_hi:[0,1]
	s_waitcnt vmcnt(9)
	v_lshlrev_b32_e32 v65, 16, v151
	s_waitcnt vmcnt(8)
	v_lshlrev_b32_e32 v64, 16, v152
	v_pk_add_f32 v[52:53], v[64:65], v[52:53] neg_lo:[0,1] neg_hi:[0,1]
	v_pk_mul_f32 v[62:63], v[58:59], v[62:63]
	v_pk_mul_f32 v[52:53], v[60:61], v[52:53]
	v_accvgpr_read_b32 v55, a15
	v_perm_b32 v53, v53, v52, s3
	v_perm_b32 v52, v63, v62, s3
	ds_write2_b64 v98, v[50:51], v[52:53] offset1:16
	v_accvgpr_read_b32 v53, a13
	s_waitcnt vmcnt(7)
	v_lshlrev_b32_e32 v51, 16, v153
	s_waitcnt vmcnt(6)
	v_lshlrev_b32_e32 v50, 16, v154
	v_accvgpr_read_b32 v52, a12
	v_accvgpr_read_b32 v54, a14
	v_pk_add_f32 v[50:51], v[50:51], v[52:53] neg_lo:[0,1] neg_hi:[0,1]
	s_waitcnt vmcnt(5)
	v_lshlrev_b32_e32 v53, 16, v155
	s_waitcnt vmcnt(4)
	v_lshlrev_b32_e32 v52, 16, v156
	v_pk_add_f32 v[52:53], v[52:53], v[54:55] neg_lo:[0,1] neg_hi:[0,1]
	v_pk_mul_f32 v[50:51], v[58:59], v[50:51]
	v_pk_mul_f32 v[52:53], v[60:61], v[52:53]
	v_accvgpr_read_b32 v55, a1
	v_perm_b32 v53, v53, v52, s3
	v_perm_b32 v52, v51, v50, s3
	s_waitcnt vmcnt(3)
	v_lshlrev_b32_e32 v51, 16, v70
	s_waitcnt vmcnt(2)
	v_lshlrev_b32_e32 v50, 16, v71
	v_accvgpr_read_b32 v54, a0
	v_pk_add_f32 v[50:51], v[50:51], v[54:55] neg_lo:[0,1] neg_hi:[0,1]
	s_waitcnt vmcnt(1)
	v_lshlrev_b32_e32 v55, 16, v157
	s_waitcnt vmcnt(0)
	v_lshlrev_b32_e32 v54, 16, v158
	v_pk_add_f32 v[54:55], v[54:55], v[56:57] neg_lo:[0,1] neg_hi:[0,1]
	v_pk_mul_f32 v[50:51], v[58:59], v[50:51]
	v_pk_mul_f32 v[54:55], v[60:61], v[54:55]
	v_mov_b32_e32 v56, 0
	v_perm_b32 v55, v55, v54, s3
	v_perm_b32 v54, v51, v50, s3
	ds_write2_b64 v98, v[52:53], v[54:55] offset0:32 offset1:48
	v_mov_b32_e32 v50, 0
	v_mov_b32_e32 v51, 0
	;; [unrolled: 1-line block ×15, first 2 shown]
	s_cbranch_vccnz .LBB198_14
; %bb.13:                               ;   in Loop: Header=BB198_6 Depth=1
	s_and_b32 s29, s29, 0xffff
	s_mov_b32 s31, s27
	buffer_load_dwordx4 v[62:65], v131, s[28:31], 0 offen
	buffer_load_dwordx4 v[54:57], v131, s[28:31], s60 offen
	;; [unrolled: 1-line block ×4, first 2 shown]
	v_mov_b32_e32 v147, v92
	v_mov_b32_e32 v148, v91
.LBB198_14:                             ;   in Loop: Header=BB198_6 Depth=1
	s_waitcnt lgkmcnt(0)
	s_barrier
	ds_read_b64 v[74:75], v136
	ds_read2_b64 v[66:69], v127 offset1:16
	ds_read_b64 v[166:167], v137
	ds_read_b64 v[168:169], v138
	;; [unrolled: 1-line block ×3, first 2 shown]
	ds_read2_b64 v[70:73], v127 offset0:32 offset1:48
	ds_read2st64_b64 v[150:153], v127 offset0:4 offset1:8
	ds_read2st64_b64 v[154:157], v128 offset0:4 offset1:8
	;; [unrolled: 1-line block ×4, first 2 shown]
	s_waitcnt lgkmcnt(8)
	v_mfma_f32_16x16x16_bf16 a[0:3], v[74:75], v[66:67], 0
	s_add_i32 s25, s52, s64
	s_mul_hi_i32 s29, s25, s33
	s_mul_i32 s25, s25, s33
	v_mfma_f32_16x16x16_bf16 a[4:7], v[74:75], v[68:69], 0
	s_add_u32 s28, s25, s47
	s_addc_u32 s29, s29, s58
	s_lshl_b64 s[28:29], s[28:29], 15
	s_waitcnt lgkmcnt(4)
	v_mfma_f32_16x16x16_bf16 a[8:11], v[74:75], v[70:71], 0
	s_mul_i32 s31, s66, s33
	s_mul_hi_i32 s25, s66, s33
	s_add_u32 s44, s31, s47
	v_mfma_f32_16x16x16_bf16 a[12:15], v[74:75], v[72:73], 0
	ds_read_b64 v[74:75], v127 offset:6144
	ds_read_b64 v[178:179], v128 offset:6144
	;; [unrolled: 1-line block ×4, first 2 shown]
	s_addc_u32 s45, s25, s58
	s_waitcnt lgkmcnt(7)
	v_mfma_f32_16x16x16_bf16 a[0:3], v[166:167], v[150:151], a[0:3]
	s_lshl_b64 s[44:45], s[44:45], 9
	s_add_u32 s44, s36, s44
	s_addc_u32 s45, s37, s45
	s_waitcnt lgkmcnt(6)
	v_mfma_f32_16x16x16_bf16 a[4:7], v[166:167], v[154:155], a[4:7]
	v_lshl_add_u64 v[188:189], v[82:83], 0, s[28:29]
	s_waitcnt lgkmcnt(5)
	v_mfma_f32_16x16x16_bf16 a[8:11], v[166:167], v[158:159], a[8:11]
	s_waitcnt lgkmcnt(4)
	v_mfma_f32_16x16x16_bf16 a[12:15], v[166:167], v[162:163], a[12:15]
	ds_read_b64 v[166:167], v141
	ds_read_b64 v[176:177], v142
	;; [unrolled: 1-line block ×3, first 2 shown]
	s_waitcnt lgkmcnt(2)
	v_mfma_f32_16x16x16_bf16 a[16:19], v[166:167], v[66:67], 0
	v_mfma_f32_16x16x16_bf16 a[20:23], v[166:167], v[68:69], 0
	global_load_dwordx4 v[66:69], v140, s[44:45]
	v_mfma_f32_16x16x16_bf16 a[24:27], v[166:167], v[70:71], 0
	v_mfma_f32_16x16x16_bf16 a[28:31], v[166:167], v[72:73], 0
	global_load_dwordx4 v[70:73], v135, s[44:45]
	v_mfma_f32_16x16x16_bf16 a[0:3], v[168:169], v[152:153], a[0:3]
	v_mfma_f32_16x16x16_bf16 a[4:7], v[168:169], v[156:157], a[4:7]
	;; [unrolled: 1-line block ×8, first 2 shown]
	ds_read2st64_b64 v[166:169], v125 offset1:8
	ds_read2st64_b64 v[170:173], v126 offset1:8
	ds_read_b64 v[186:187], v133 offset:40960
	s_waitcnt lgkmcnt(2)
	v_mov_b32_e32 v174, v166
	v_mfma_f32_16x16x16_bf16 a[16:19], v[176:177], v[150:151], a[16:19]
	v_mov_b32_e32 v175, v167
	v_mfma_f32_16x16x16_bf16 a[20:23], v[176:177], v[154:155], a[20:23]
	v_mfma_f32_16x16x16_bf16 a[24:27], v[176:177], v[158:159], a[24:27]
	;; [unrolled: 1-line block ×3, first 2 shown]
	v_add_co_u32_e32 v162, vcc, s21, v188
	s_waitcnt lgkmcnt(1)
	v_mov_b32_e32 v176, v170
	s_waitcnt lgkmcnt(0)
	v_mfma_f32_16x16x16_bf16 a[16:19], v[186:187], v[152:153], a[16:19]
	ds_read2st64_b64 v[150:153], v125 offset0:16 offset1:24
	v_addc_co_u32_e32 v163, vcc, 0, v189, vcc
	v_mfma_f32_16x16x16_bf16 a[20:23], v[186:187], v[156:157], a[20:23]
	ds_read2st64_b64 v[154:157], v126 offset0:16 offset1:24
	v_mov_b32_e32 v177, v171
	v_mov_b32_e32 v170, v168
	v_mfma_f32_16x16x16_bf16 a[32:35], v[186:187], v[160:161], a[24:27]
	v_mov_b32_e32 v171, v169
	s_waitcnt lgkmcnt(0)
	v_mov_b32_e32 v160, v154
	v_mov_b32_e32 v161, v155
	v_mfma_f32_16x16x16_bf16 a[36:39], v[186:187], v[164:165], a[28:31]
	v_mov_b32_e32 v154, v152
	v_mov_b32_e32 v155, v153
	;; [unrolled: 1-line block ×3, first 2 shown]
	v_mfma_f32_16x16x16_bf16 a[24:27], v[184:185], v[74:75], a[16:19]
	v_add_co_u32_e32 v74, vcc, s63, v188
	v_mov_b32_e32 v159, v151
	v_mfma_f32_16x16x16_bf16 a[28:31], v[184:185], v[178:179], a[20:23]
	v_addc_co_u32_e32 v75, vcc, 0, v189, vcc
	global_store_dwordx4 v[74:75], v[154:157], off
	v_mfma_f32_16x16x16_bf16 a[16:19], v[184:185], v[180:181], a[32:35]
	s_waitcnt vmcnt(2)
	v_mov_b32_e32 v76, v69
	v_mov_b32_e32 v75, v68
	;; [unrolled: 1-line block ×3, first 2 shown]
	v_mfma_f32_16x16x16_bf16 a[20:23], v[184:185], v[182:183], a[36:39]
	s_and_b64 vcc, exec, s[0:1]
	global_store_dwordx4 v[188:189], v[174:177], off
	global_store_dwordx4 v[162:163], v[170:173], off offset:-4096
	global_store_dwordx4 v[162:163], v[158:161], off
	s_cbranch_vccnz .LBB198_16
; %bb.15:                               ;   in Loop: Header=BB198_6 Depth=1
	v_lshrrev_b32_e32 v67, 3, v147
	v_and_b32_e32 v67, 6, v67
	v_xor_b32_e32 v68, v67, v148
	v_lshlrev_b32_e32 v68, 2, v68
	v_and_b32_e32 v69, 8, v147
	v_xor_b32_e32 v147, 0x440, v68
	v_cmp_eq_u32_e32 vcc, 0, v69
	v_perm_b32 v69, v54, v50, s61
	s_nop 0
	v_cndmask_b32_e32 v68, v147, v68, vcc
	v_lshl_or_b32 v67, v67, 10, v68
	v_perm_b32 v68, v62, v58, s61
	s_barrier
	ds_write2st64_b32 v67, v68, v69 offset0:128 offset1:160
	v_xor_b32_e32 v68, 8, v67
	v_perm_b32 v58, v62, v58, s62
	v_perm_b32 v50, v54, v50, s62
	v_add_u32_e32 v54, 0x80, v68
	ds_write2st64_b32 v54, v58, v50 offset0:128 offset1:160
	v_xor_b32_e32 v50, 16, v67
	v_perm_b32 v54, v63, v59, s61
	v_perm_b32 v58, v55, v51, s61
	ds_write2st64_b32 v50, v54, v58 offset0:129 offset1:161
	v_xor_b32_e32 v50, 24, v67
	v_perm_b32 v54, v63, v59, s62
	v_perm_b32 v51, v55, v51, s62
	v_add_u32_e32 v50, 0x80, v50
	ds_write2st64_b32 v50, v54, v51 offset0:129 offset1:161
	v_xor_b32_e32 v50, 32, v67
	v_perm_b32 v51, v64, v60, s61
	v_perm_b32 v54, v56, v52, s61
	ds_write2st64_b32 v50, v51, v54 offset0:130 offset1:162
	v_xor_b32_e32 v50, 40, v67
	v_perm_b32 v51, v64, v60, s62
	v_perm_b32 v52, v56, v52, s62
	v_add_u32_e32 v50, 0x80, v50
	ds_write2st64_b32 v50, v51, v52 offset0:130 offset1:162
	v_xor_b32_e32 v50, 48, v67
	v_perm_b32 v51, v65, v61, s61
	v_perm_b32 v52, v57, v53, s61
	ds_write2st64_b32 v50, v51, v52 offset0:131 offset1:163
	v_xor_b32_e32 v50, 56, v67
	v_perm_b32 v51, v65, v61, s62
	v_perm_b32 v52, v57, v53, s62
	v_add_u32_e32 v50, 0x80, v50
	ds_write2st64_b32 v50, v51, v52 offset0:131 offset1:163
	ds_write_b64 v146, v[46:47] offset:49152
	v_xor_b32_e32 v46, 8, v146
	ds_write_b64 v46, v[48:49] offset:49152
	ds_write_b64 v146, v[42:43] offset:57344
	;; [unrolled: 1-line block ×4, first 2 shown]
	v_xor_b32_e32 v38, 8, v145
	ds_write_b64 v38, v[40:41] offset:49152
	ds_write_b64 v145, v[34:35] offset:57344
	;; [unrolled: 1-line block ×3, first 2 shown]
.LBB198_16:                             ;   in Loop: Header=BB198_6 Depth=1
	v_mul_f32_e32 v58, s24, v144
	v_exp_f32_e32 v68, v58
	s_waitcnt vmcnt(4)
	v_mul_f32_e32 v58, 0x3fb8aa3b, v70
	v_exp_f32_e32 v70, v58
	v_mul_f32_e32 v58, 0x3fb8aa3b, v71
	v_exp_f32_e32 v71, v58
	;; [unrolled: 2-line block ×4, first 2 shown]
	v_accvgpr_read_b32 v37, a3
	v_accvgpr_read_b32 v36, a2
	v_accvgpr_read_b32 v35, a1
	v_accvgpr_read_b32 v34, a0
	v_pk_mul_f32 v[70:71], v[68:69], v[70:71] op_sel_hi:[0,1]
	v_pk_mul_f32 v[72:73], v[68:69], v[72:73] op_sel_hi:[0,1]
	v_pk_fma_f32 v[30:31], v[30:31], v[70:71], v[34:35]
	v_pk_fma_f32 v[32:33], v[32:33], v[72:73], v[36:37]
	v_mul_f32_e32 v34, 0x3fb8aa3b, v66
	v_mul_f32_e32 v35, 0x3fb8aa3b, v74
	;; [unrolled: 1-line block ×4, first 2 shown]
	v_exp_f32_e32 v34, v34
	v_exp_f32_e32 v35, v35
	;; [unrolled: 1-line block ×4, first 2 shown]
	v_accvgpr_read_b32 v41, a7
	v_accvgpr_read_b32 v45, a11
	;; [unrolled: 1-line block ×28, first 2 shown]
	v_pk_mul_f32 v[34:35], v[68:69], v[34:35] op_sel_hi:[0,1]
	v_pk_mul_f32 v[36:37], v[68:69], v[36:37] op_sel_hi:[0,1]
	s_add_i32 s57, s57, 64
	v_pk_fma_f32 v[26:27], v[70:71], v[26:27], v[38:39]
	v_pk_fma_f32 v[28:29], v[72:73], v[28:29], v[40:41]
	;; [unrolled: 1-line block ×13, first 2 shown]
	s_cmp_eq_u32 s51, s65
	v_pk_fma_f32 v[8:9], v[36:37], v[8:9], v[64:65]
	s_cbranch_scc1 .LBB198_18
; %bb.17:                               ;   in Loop: Header=BB198_6 Depth=1
	s_mov_b32 s64, s65
	s_branch .LBB198_6
.LBB198_18:
	s_lshl_b32 s3, s51, 6
	s_sub_i32 s56, s56, s3
	s_cmp_gt_i32 s56, 0
	v_or_b32_e32 v50, s2, v87
	s_cbranch_scc1 .LBB198_20
; %bb.19:
	s_ashr_i32 s29, s47, 31
	v_or_b32_e32 v34, s2, v87
	s_cbranch_execz .LBB198_21
	s_branch .LBB198_101
.LBB198_20:
                                        ; implicit-def: $vgpr34
                                        ; implicit-def: $sgpr28_sgpr29
.LBB198_21:
	s_add_i32 s28, s3, s38
	s_ashr_i32 s3, s28, 31
	s_cmpk_lg_i32 s19, 0x80
	s_cselect_b64 s[42:43], -1, 0
	s_and_b64 vcc, exec, s[42:43]
	s_cbranch_vccz .LBB198_23
; %bb.22:
	s_mul_hi_i32 s0, s28, s18
	s_mul_i32 s1, s28, s18
	s_ashr_i32 s18, s54, 31
	s_add_u32 s44, s1, s54
	s_addc_u32 s45, s0, s18
	s_cbranch_execz .LBB198_24
	s_branch .LBB198_25
.LBB198_23:
                                        ; implicit-def: $sgpr44_sgpr45
.LBB198_24:
	s_mul_i32 s1, s54, s16
	s_mul_hi_i32 s0, s54, s16
	s_add_u32 s44, s1, s28
	s_addc_u32 s45, s0, s3
.LBB198_25:
	s_add_i32 s16, s51, s52
	s_ashr_i32 s29, s47, 31
	s_add_u32 s0, s55, s28
	v_lshlrev_b32_e32 v38, 6, v1
	v_lshlrev_b32_e32 v59, 2, v87
	s_addc_u32 s1, s53, s3
	s_mov_b32 s3, 0x7060302
	v_or_b32_e32 v41, v38, v59
	v_xor_b32_e32 v39, v1, v59
	v_perm_b32 v35, v33, v32, s3
	v_perm_b32 v34, v31, v30, s3
	;; [unrolled: 1-line block ×4, first 2 shown]
	v_lshlrev_b32_e32 v41, 1, v41
	v_xor_b32_e32 v40, v90, v59
	ds_write2st64_b64 v41, v[34:35], v[36:37] offset0:32 offset1:48
	v_lshlrev_b32_e32 v39, 1, v39
	v_lshlrev_b32_e32 v41, 8, v87
	v_or_b32_e32 v42, v39, v41
	v_lshlrev_b32_e32 v40, 1, v40
	ds_write_b64 v42, v[34:35]
	v_or_b32_e32 v34, v40, v41
	v_or_b32_e32 v41, 16, v87
	v_lshlrev_b32_e32 v57, 2, v41
	v_or_b32_e32 v42, v38, v57
	ds_write_b64 v34, v[36:37]
	v_perm_b32 v35, v29, v28, s3
	v_perm_b32 v34, v27, v26, s3
	;; [unrolled: 1-line block ×4, first 2 shown]
	v_lshlrev_b32_e32 v42, 1, v42
	v_lshlrev_b32_e32 v41, 8, v41
	ds_write2st64_b64 v42, v[34:35], v[36:37] offset0:32 offset1:48
	v_or_b32_e32 v42, v39, v41
	ds_write_b64 v42, v[34:35]
	v_or_b32_e32 v34, v40, v41
	v_or_b32_e32 v41, 32, v87
	v_lshlrev_b32_e32 v56, 2, v41
	v_or_b32_e32 v42, v38, v56
	ds_write_b64 v34, v[36:37]
	v_perm_b32 v35, v25, v24, s3
	v_perm_b32 v34, v23, v22, s3
	;; [unrolled: 1-line block ×4, first 2 shown]
	v_lshlrev_b32_e32 v42, 1, v42
	v_lshlrev_b32_e32 v41, 8, v41
	s_lshl_b64 s[30:31], s[0:1], 8
	ds_write2st64_b64 v42, v[34:35], v[36:37] offset0:32 offset1:48
	v_or_b32_e32 v42, v39, v41
	s_add_u32 s0, s6, s30
	ds_write_b64 v42, v[34:35]
	v_or_b32_e32 v34, v40, v41
	s_addc_u32 s1, s7, s31
	ds_write_b64 v34, v[36:37]
	v_perm_b32 v35, v5, v4, s3
	v_perm_b32 v34, v3, v2, s3
	;; [unrolled: 1-line block ×4, first 2 shown]
	v_or_b32_e32 v41, 48, v87
	s_mul_hi_i32 s3, s16, s17
	s_mul_i32 s16, s16, s17
	v_lshlrev_b32_e32 v53, 2, v41
	s_add_u32 s6, s16, s47
	v_or_b32_e32 v38, v38, v53
	s_addc_u32 s7, s3, s29
	v_lshlrev_b32_e32 v38, 1, v38
	s_ashr_i32 s3, s2, 31
	s_lshl_b64 s[6:7], s[6:7], 15
	ds_write2st64_b64 v38, v[34:35], v[36:37] offset0:32 offset1:48
	v_lshlrev_b32_e32 v38, 8, v41
	s_add_u32 s6, s40, s6
	v_or_b32_e32 v39, v39, v38
	s_addc_u32 s7, s41, s7
	s_lshl_b64 s[2:3], s[2:3], 8
	ds_write_b64 v39, v[34:35]
	v_or_b32_e32 v34, v40, v38
	s_add_u32 s2, s6, s2
	v_lshlrev_b32_e32 v35, 1, v87
	ds_write_b64 v34, v[36:37]
	v_lshrrev_b32_e32 v34, 4, v0
	s_addc_u32 s3, s7, s3
	v_or_b32_e32 v36, 1, v35
	v_lshlrev_b32_e32 v42, 4, v87
	v_mov_b32_e32 v43, 0
	v_xor_b32_e32 v35, v34, v35
	v_xor_b32_e32 v38, v36, v34
	v_lshl_add_u64 v[44:45], s[2:3], 0, v[42:43]
	v_lshlrev_b32_e32 v42, 8, v34
	v_lshl_or_b32 v48, v35, 3, v42
	v_lshl_or_b32 v49, v38, 3, v42
	s_waitcnt lgkmcnt(0)
	s_barrier
	ds_read2st64_b64 v[34:37], v48 offset1:8
	ds_read2st64_b64 v[38:41], v49 offset1:8
	v_lshl_add_u64 v[46:47], v[44:45], 0, v[42:43]
	s_movk_i32 s2, 0x2000
	s_cmp_lg_u32 s56, 64
	s_waitcnt lgkmcnt(1)
	v_mov_b32_e32 v42, v34
	v_mov_b32_e32 v43, v35
	s_waitcnt lgkmcnt(0)
	v_mov_b32_e32 v44, v38
	v_mov_b32_e32 v45, v39
	global_store_dwordx4 v[46:47], v[42:45], off
	v_mov_b32_e32 v38, v36
	v_mov_b32_e32 v39, v37
	ds_read2st64_b64 v[34:37], v48 offset0:16 offset1:24
	ds_read2st64_b64 v[42:45], v49 offset0:16 offset1:24
	v_add_co_u32_e32 v48, vcc, s2, v46
	s_cselect_b64 s[6:7], -1, 0
	s_nop 0
	v_addc_co_u32_e32 v49, vcc, 0, v47, vcc
	global_store_dwordx4 v[48:49], v[38:41], off offset:-4096
	v_lshl_or_b32 v51, v77, 3, v89
	s_mov_b32 s24, 0
	s_waitcnt lgkmcnt(1)
	v_mov_b32_e32 v38, v34
	v_add_co_u32_e32 v34, vcc, 0x3000, v46
	v_mov_b32_e32 v39, v35
	s_nop 0
	v_addc_co_u32_e32 v35, vcc, 0, v47, vcc
	s_waitcnt lgkmcnt(0)
	v_mov_b32_e32 v40, v42
	v_mov_b32_e32 v41, v43
	;; [unrolled: 1-line block ×4, first 2 shown]
	v_or_b32_e32 v54, 32, v51
	v_and_b32_e32 v52, 56, v88
	s_and_b64 vcc, exec, s[6:7]
	global_store_dwordx4 v[48:49], v[38:41], off
	global_store_dwordx4 v[34:35], v[42:45], off
	s_cbranch_vccz .LBB198_31
; %bb.26:
	s_mov_b32 s26, s24
	s_mov_b32 s27, s24
	;; [unrolled: 1-line block ×3, first 2 shown]
	v_mov_b64_e32 v[40:41], s[26:27]
	v_mov_b64_e32 v[38:39], s[24:25]
	;; [unrolled: 1-line block ×3, first 2 shown]
	v_cmp_gt_i32_e32 vcc, s56, v51
	v_mov_b64_e32 v[36:37], v[40:41]
	s_and_saveexec_b64 s[2:3], vcc
	s_cbranch_execz .LBB198_28
; %bb.27:
	v_lshlrev_b32_e32 v34, 8, v51
	v_mov_b32_e32 v35, 0
	v_lshl_add_u64 v[36:37], s[0:1], 0, v[34:35]
	v_lshlrev_b32_e32 v34, 1, v52
	v_lshl_add_u64 v[42:43], v[36:37], 0, v[34:35]
	global_load_dwordx4 v[38:41], v[42:43], off
	global_load_dwordx4 v[34:37], v[42:43], off offset:128
.LBB198_28:
	s_or_b64 exec, exec, s[2:3]
	s_mov_b32 s26, s24
	s_mov_b32 s27, s24
	;; [unrolled: 1-line block ×3, first 2 shown]
	v_mov_b64_e32 v[48:49], s[26:27]
	v_mov_b64_e32 v[46:47], s[24:25]
	v_mov_b64_e32 v[42:43], v[46:47]
	v_cmp_gt_i32_e32 vcc, s56, v54
	v_lshlrev_b32_e32 v55, 7, v54
	v_mov_b64_e32 v[44:45], v[48:49]
	s_and_saveexec_b64 s[2:3], vcc
	s_cbranch_execz .LBB198_30
; %bb.29:
	v_lshlrev_b32_e32 v42, 1, v55
	v_mov_b32_e32 v43, 0
	v_lshl_add_u64 v[44:45], s[0:1], 0, v[42:43]
	v_lshlrev_b32_e32 v42, 1, v52
	v_lshl_add_u64 v[60:61], v[44:45], 0, v[42:43]
	global_load_dwordx4 v[46:49], v[60:61], off
	global_load_dwordx4 v[42:45], v[60:61], off offset:128
.LBB198_30:
	s_or_b64 exec, exec, s[2:3]
	v_lshrrev_b32_e32 v58, 3, v52
	v_lshlrev_b32_e32 v60, 3, v51
	v_or_b32_e32 v58, v60, v58
	v_lshlrev_b32_e32 v58, 4, v58
	v_and_b32_e32 v60, 0x78, v60
	v_xor_b32_e32 v58, v58, v60
	s_branch .LBB198_33
.LBB198_31:
                                        ; implicit-def: $vgpr58
                                        ; implicit-def: $vgpr55
                                        ; implicit-def: $vgpr38_vgpr39_vgpr40_vgpr41
                                        ; implicit-def: $vgpr34_vgpr35_vgpr36_vgpr37
                                        ; implicit-def: $vgpr46_vgpr47_vgpr48_vgpr49
                                        ; implicit-def: $vgpr42_vgpr43_vgpr44_vgpr45
	s_cbranch_execz .LBB198_33
; %bb.32:
	s_waitcnt vmcnt(0)
	v_lshlrev_b32_e32 v34, 1, v52
	v_lshl_or_b32 v55, v51, 8, v34
	s_and_b32 s1, s1, 0xffff
	s_mov_b32 s3, 0x20000
	s_movk_i32 s2, 0x4000
	v_lshl_or_b32 v58, v54, 8, v34
	s_movk_i32 s16, 0x80
	buffer_load_dwordx4 v[38:41], v55, s[0:3], 0 offen
	buffer_load_dwordx4 v[34:37], v55, s[0:3], s16 offen
	;; [unrolled: 1-line block ×4, first 2 shown]
	v_lshrrev_b32_e32 v55, 3, v52
	v_lshlrev_b32_e32 v58, 3, v51
	v_or_b32_e32 v55, v58, v55
	v_lshlrev_b32_e32 v55, 4, v55
	v_and_b32_e32 v58, 0x78, v58
	v_xor_b32_e32 v58, v55, v58
	v_lshlrev_b32_e32 v55, 7, v54
.LBB198_33:
	s_movk_i32 s0, 0x1000
	v_and_or_b32 v54, v55, s0, v58
	s_waitcnt vmcnt(1)
	ds_write_b64 v58, v[38:39] offset:49152
	v_xor_b32_e32 v38, 8, v58
	ds_write_b64 v38, v[40:41] offset:49152
	s_waitcnt vmcnt(0)
	ds_write_b64 v58, v[34:35] offset:57344
	ds_write_b64 v38, v[36:37] offset:57344
	;; [unrolled: 1-line block ×3, first 2 shown]
	v_xor_b32_e32 v34, 8, v54
	ds_write_b64 v34, v[48:49] offset:49152
	ds_write_b64 v54, v[42:43] offset:57344
	;; [unrolled: 1-line block ×3, first 2 shown]
	v_or_b32_e32 v34, v84, v87
	v_lshlrev_b32_e32 v34, 3, v34
	v_lshrrev_b32_e32 v35, 5, v85
	s_movk_i32 s0, 0xf8
	v_and_or_b32 v35, v34, s0, v35
	v_lshlrev_b32_e32 v39, 4, v35
	v_lshlrev_b32_e32 v58, 11, v77
	v_and_b32_e32 v40, 0x78, v34
	v_or_b32_e32 v42, 32, v39
	v_and_b32_e32 v38, 0x1000, v58
	v_lshrrev_b32_e32 v35, 1, v85
	v_xor_b32_e32 v42, v42, v40
	v_xor_b32_e32 v34, v39, v40
	v_and_b32_e32 v41, 8, v35
	v_or_b32_e32 v42, v42, v38
	v_or_b32_e32 v34, v34, v38
	v_xor_b32_e32 v65, v42, v41
	v_or_b32_e32 v42, 64, v39
	v_xor_b32_e32 v64, v34, v41
	v_xor_b32_e32 v42, v42, v40
	s_waitcnt lgkmcnt(0)
	s_barrier
	v_or_b32_e32 v45, v42, v38
	ds_read_b64 v[42:43], v64 offset:49152
	v_lshl_or_b32 v46, v86, 8, v59
	v_lshlrev_b32_e32 v60, 1, v46
	v_add_u32_e32 v44, 0x4000, v60
	ds_read2_b64 v[34:37], v44 offset1:16
	v_or_b32_e32 v39, 0x60, v39
	v_xor_b32_e32 v39, v39, v40
	v_or_b32_e32 v38, v39, v38
	v_xor_b32_e32 v66, v45, v41
	v_xor_b32_e32 v67, v38, v41
	ds_read_b64 v[54:55], v65 offset:49152
	ds_read_b64 v[68:69], v66 offset:49152
	ds_read_b64 v[70:71], v67 offset:49152
	s_waitcnt lgkmcnt(3)
	v_mfma_f32_16x16x16_bf16 a[0:3], v[42:43], v[34:35], 0
	ds_read2_b64 v[38:41], v44 offset0:32 offset1:48
	s_lshl_b64 s[0:1], s[44:45], 8
	s_add_u32 s4, s4, s0
	v_mfma_f32_16x16x16_bf16 a[4:7], v[42:43], v[36:37], 0
	ds_read2st64_b64 v[34:37], v60 offset0:36 offset1:40
	s_addc_u32 s5, s5, s1
	s_add_i32 s18, s39, -1
	s_waitcnt lgkmcnt(1)
	v_mfma_f32_16x16x16_bf16 a[8:11], v[42:43], v[38:39], 0
	v_or_b32_e32 v38, 64, v46
	v_lshlrev_b32_e32 v61, 1, v38
	s_add_i32 s0, s49, s48
	s_waitcnt lgkmcnt(0)
	v_mfma_f32_16x16x16_bf16 a[0:3], v[54:55], v[34:35], a[0:3]
	v_or_b32_e32 v34, 0x80, v46
	v_lshlrev_b32_e32 v62, 1, v34
	v_or_b32_e32 v34, 0xc0, v46
	v_mfma_f32_16x16x16_bf16 a[12:15], v[42:43], v[40:41], 0
	ds_read2st64_b64 v[38:41], v61 offset0:36 offset1:40
	v_lshlrev_b32_e32 v63, 1, v34
	ds_read2st64_b64 v[42:45], v62 offset0:36 offset1:40
	ds_read2st64_b64 v[46:49], v63 offset0:36 offset1:40
	s_add_i32 s21, s0, s50
	s_mul_i32 s0, s47, s23
	s_mul_hi_u32 s1, s47, s22
	s_ashr_i32 s2, s18, 31
	s_mul_i32 s3, s18, s15
	s_mul_hi_u32 s16, s18, s14
	s_waitcnt lgkmcnt(2)
	v_mfma_f32_16x16x16_bf16 a[4:7], v[54:55], v[38:39], a[4:7]
	s_add_i32 s0, s1, s0
	s_mul_i32 s1, s29, s22
	s_add_i32 s3, s16, s3
	s_mul_i32 s2, s2, s14
	s_waitcnt lgkmcnt(1)
	v_mfma_f32_16x16x16_bf16 a[8:11], v[54:55], v[42:43], a[8:11]
	s_add_i32 s1, s0, s1
	s_add_i32 s3, s3, s2
	s_lshl_b64 s[20:21], s[20:21], 2
	s_waitcnt lgkmcnt(0)
	v_mfma_f32_16x16x16_bf16 a[12:15], v[54:55], v[46:47], a[12:15]
	s_mul_i32 s0, s47, s22
	s_add_u32 s10, s10, s20
	s_addc_u32 s11, s11, s21
	s_lshl_b64 s[0:1], s[0:1], 2
	v_mfma_f32_16x16x16_bf16 a[0:3], v[68:69], v[36:37], a[0:3]
	s_mul_i32 s2, s18, s14
	ds_read_b64 v[34:35], v60 offset:22528
	s_add_u32 s10, s10, s0
	v_mfma_f32_16x16x16_bf16 a[4:7], v[68:69], v[40:41], a[4:7]
	ds_read_b64 v[36:37], v61 offset:22528
	ds_read_b64 v[38:39], v62 offset:22528
	;; [unrolled: 1-line block ×3, first 2 shown]
	s_addc_u32 s11, s11, s1
	s_lshl_b64 s[0:1], s[2:3], 2
	v_mfma_f32_16x16x16_bf16 a[8:11], v[68:69], v[44:45], a[8:11]
	s_add_u32 s0, s10, s0
	s_addc_u32 s1, s11, s1
	s_load_dword s16, s[0:1], 0x0
	v_mfma_f32_16x16x16_bf16 a[12:15], v[68:69], v[48:49], a[12:15]
	s_and_b64 vcc, exec, s[42:43]
	s_waitcnt lgkmcnt(0)
	v_mfma_f32_16x16x16_bf16 a[0:3], v[70:71], v[34:35], a[0:3]
	v_mfma_f32_16x16x16_bf16 a[4:7], v[70:71], v[36:37], a[4:7]
	;; [unrolled: 1-line block ×4, first 2 shown]
	s_cbranch_vccz .LBB198_44
; %bb.34:
	v_lshlrev_b32_e32 v54, 1, v51
	s_and_b64 vcc, exec, s[6:7]
	s_cbranch_vccz .LBB198_45
; %bb.35:
	v_cmp_gt_i32_e32 vcc, s56, v54
	v_mov_b32_e32 v38, 0
	v_mov_b32_e32 v34, 0
	;; [unrolled: 1-line block ×5, first 2 shown]
	s_and_saveexec_b64 s[0:1], vcc
	s_cbranch_execz .LBB198_37
; %bb.36:
	v_mad_i64_i32 v[34:35], s[2:3], s19, v54, 0
	v_lshl_add_u64 v[34:35], v[34:35], 1, s[4:5]
	v_lshlrev_b32_e32 v36, 1, v52
	v_mov_b32_e32 v37, 0
	v_lshl_add_u64 v[34:35], v[34:35], 0, v[36:37]
	global_load_dwordx4 v[34:37], v[34:35], off
.LBB198_37:
	s_or_b64 exec, exec, s[0:1]
	v_or_b32_e32 v55, 1, v54
	v_cmp_gt_i32_e64 s[0:1], s56, v55
	v_mov_b32_e32 v39, 0
	v_mov_b32_e32 v40, 0
	;; [unrolled: 1-line block ×3, first 2 shown]
	s_and_saveexec_b64 s[2:3], s[0:1]
	s_cbranch_execz .LBB198_39
; %bb.38:
	v_mad_i64_i32 v[38:39], s[20:21], s19, v55, 0
	v_lshl_add_u64 v[38:39], v[38:39], 1, s[4:5]
	v_lshlrev_b32_e32 v40, 1, v52
	v_mov_b32_e32 v41, 0
	v_lshl_add_u64 v[38:39], v[38:39], 0, v[40:41]
	global_load_dwordx4 v[38:41], v[38:39], off
.LBB198_39:
	s_or_b64 exec, exec, s[2:3]
	v_mov_b32_e32 v49, 0
	v_mov_b32_e32 v42, 0
	;; [unrolled: 1-line block ×5, first 2 shown]
	s_and_saveexec_b64 s[2:3], vcc
	s_cbranch_execz .LBB198_41
; %bb.40:
	v_mad_i64_i32 v[42:43], s[20:21], s19, v54, 0
	v_lshl_add_u64 v[42:43], v[42:43], 1, s[4:5]
	v_lshlrev_b32_e32 v44, 1, v52
	v_mov_b32_e32 v45, 0
	v_lshl_add_u64 v[42:43], v[42:43], 0, v[44:45]
	global_load_dwordx4 v[42:45], v[42:43], off offset:128
.LBB198_41:
	s_or_b64 exec, exec, s[2:3]
	v_mov_b32_e32 v48, 0
	v_mov_b32_e32 v47, 0
	;; [unrolled: 1-line block ×3, first 2 shown]
	s_and_saveexec_b64 s[2:3], s[0:1]
	s_cbranch_execz .LBB198_43
; %bb.42:
	v_mad_i64_i32 v[46:47], s[0:1], s19, v55, 0
	v_lshl_add_u64 v[46:47], v[46:47], 1, s[4:5]
	v_lshlrev_b32_e32 v48, 1, v52
	v_mov_b32_e32 v49, 0
	v_lshl_add_u64 v[46:47], v[46:47], 0, v[48:49]
	global_load_dwordx4 v[46:49], v[46:47], off offset:128
.LBB198_43:
	s_or_b64 exec, exec, s[2:3]
	s_branch .LBB198_47
.LBB198_44:
                                        ; implicit-def: $vgpr37
                                        ; implicit-def: $vgpr41
                                        ; implicit-def: $vgpr45
                                        ; implicit-def: $vgpr49
	v_lshrrev_b32_e32 v68, 2, v85
	s_branch .LBB198_48
.LBB198_45:
                                        ; implicit-def: $vgpr37
                                        ; implicit-def: $vgpr41
                                        ; implicit-def: $vgpr45
                                        ; implicit-def: $vgpr49
	s_cbranch_execz .LBB198_47
; %bb.46:
	s_waitcnt vmcnt(0)
	v_mad_u64_u32 v[34:35], s[0:1], v54, s19, v[52:53]
	v_lshlrev_b32_e32 v54, 1, v34
	s_lshl_b32 s2, s19, 7
	s_and_b32 s1, s5, 0xffff
	s_mov_b32 s3, 0x20000
	s_mov_b32 s0, s4
	v_add_lshl_u32 v55, v34, s19, 1
	s_movk_i32 s19, 0x80
	buffer_load_dwordx4 v[34:37], v54, s[0:3], 0 offen
	buffer_load_dwordx4 v[42:45], v54, s[0:3], s19 offen
	;; [unrolled: 1-line block ×4, first 2 shown]
.LBB198_47:
	v_lshrrev_b32_e32 v68, 2, v85
	s_cbranch_execnz .LBB198_60
.LBB198_48:
	s_and_b64 vcc, exec, s[6:7]
	s_cbranch_vccz .LBB198_58
; %bb.49:
	s_waitcnt vmcnt(0)
	v_lshlrev_b32_e32 v39, 1, v51
	v_cmp_gt_i32_e32 vcc, s56, v39
	v_mov_b32_e32 v38, 0
	v_lshlrev_b32_e32 v46, 9, v51
	v_mov_b32_e32 v34, 0
	v_mov_b32_e32 v35, 0
	;; [unrolled: 1-line block ×4, first 2 shown]
	s_and_saveexec_b64 s[0:1], vcc
	s_cbranch_execz .LBB198_51
; %bb.50:
	v_mov_b32_e32 v47, 0
	v_lshl_add_u64 v[34:35], s[4:5], 0, v[46:47]
	v_lshlrev_b32_e32 v36, 1, v52
	v_mov_b32_e32 v37, v47
	v_lshl_add_u64 v[34:35], v[34:35], 0, v[36:37]
	global_load_dwordx4 v[34:37], v[34:35], off
.LBB198_51:
	s_or_b64 exec, exec, s[0:1]
	v_or_b32_e32 v39, 1, v39
	v_cmp_gt_i32_e64 s[0:1], s56, v39
	v_lshlrev_b32_e32 v54, 8, v39
	v_mov_b32_e32 v39, 0
	v_mov_b32_e32 v40, 0
	;; [unrolled: 1-line block ×3, first 2 shown]
	s_and_saveexec_b64 s[2:3], s[0:1]
	s_cbranch_execz .LBB198_53
; %bb.52:
	v_mov_b32_e32 v55, 0
	v_lshl_add_u64 v[38:39], s[4:5], 0, v[54:55]
	v_lshlrev_b32_e32 v40, 1, v52
	v_mov_b32_e32 v41, v55
	v_lshl_add_u64 v[38:39], v[38:39], 0, v[40:41]
	global_load_dwordx4 v[38:41], v[38:39], off
.LBB198_53:
	s_or_b64 exec, exec, s[2:3]
	v_mov_b32_e32 v49, 0
	v_mov_b32_e32 v42, 0
	;; [unrolled: 1-line block ×5, first 2 shown]
	s_and_saveexec_b64 s[2:3], vcc
	s_cbranch_execz .LBB198_55
; %bb.54:
	v_mov_b32_e32 v47, 0
	v_lshl_add_u64 v[42:43], s[4:5], 0, v[46:47]
	v_lshlrev_b32_e32 v46, 1, v52
	v_lshl_add_u64 v[42:43], v[42:43], 0, v[46:47]
	global_load_dwordx4 v[42:45], v[42:43], off offset:128
.LBB198_55:
	s_or_b64 exec, exec, s[2:3]
	v_mov_b32_e32 v48, 0
	v_mov_b32_e32 v47, 0
	;; [unrolled: 1-line block ×3, first 2 shown]
	s_and_saveexec_b64 s[2:3], s[0:1]
	s_cbranch_execz .LBB198_57
; %bb.56:
	v_mov_b32_e32 v55, 0
	v_lshl_add_u64 v[46:47], s[4:5], 0, v[54:55]
	v_lshlrev_b32_e32 v54, 1, v52
	v_lshl_add_u64 v[46:47], v[46:47], 0, v[54:55]
	global_load_dwordx4 v[46:49], v[46:47], off offset:128
.LBB198_57:
	s_or_b64 exec, exec, s[2:3]
	s_branch .LBB198_60
.LBB198_58:
                                        ; implicit-def: $vgpr37
                                        ; implicit-def: $vgpr41
                                        ; implicit-def: $vgpr45
                                        ; implicit-def: $vgpr49
	s_cbranch_execz .LBB198_60
; %bb.59:
	s_waitcnt vmcnt(0)
	v_lshlrev_b32_e32 v34, 1, v52
	v_lshl_or_b32 v52, v51, 9, v34
	s_and_b32 s5, s5, 0xffff
	s_mov_b32 s7, 0x20000
	s_movk_i32 s6, 0x4000
	s_movk_i32 s0, 0x80
	buffer_load_dwordx4 v[34:37], v52, s[4:7], 0 offen
	buffer_load_dwordx4 v[38:41], v52, s[4:7], 0 offen offset:256
	buffer_load_dwordx4 v[42:45], v52, s[4:7], s0 offen
	buffer_load_dwordx4 v[46:49], v52, s[4:7], s0 offen offset:256
.LBB198_60:
	ds_read_b64 v[54:55], v64 offset:57344
	v_add_u32_e32 v52, 0x6000, v60
	ds_read2_b64 v[70:73], v52 offset1:16
	ds_read_b64 v[82:83], v65 offset:57344
	ds_read_b64 v[86:87], v66 offset:57344
	;; [unrolled: 1-line block ×3, first 2 shown]
	ds_read2_b64 v[64:67], v52 offset0:32 offset1:48
	v_and_b32_e32 v52, 12, v68
	v_and_b32_e32 v76, 6, v0
	v_xor_b32_e32 v51, v51, v76
	v_lshlrev_b32_e32 v51, 2, v51
	s_mov_b32 s0, 0x1000504
	s_waitcnt lgkmcnt(4)
	v_mfma_f32_16x16x16_bf16 a[4:7], v[54:55], v[72:73], a[4:7]
	s_mov_b32 s1, 0x3020706
	v_mfma_f32_16x16x16_bf16 a[0:3], v[54:55], v[70:71], a[0:3]
	ds_read2st64_b64 v[68:71], v60 offset0:52 offset1:56
	s_waitcnt lgkmcnt(1)
	v_mfma_f32_16x16x16_bf16 a[8:11], v[54:55], v[64:65], a[8:11]
	v_mfma_f32_16x16x16_bf16 a[12:15], v[54:55], v[66:67], a[12:15]
	ds_read2st64_b64 v[64:67], v61 offset0:52 offset1:56
	ds_read2st64_b64 v[72:75], v62 offset0:52 offset1:56
	ds_read2st64_b64 v[78:81], v63 offset0:52 offset1:56
	s_waitcnt lgkmcnt(2)
	v_mfma_f32_16x16x16_bf16 a[4:7], v[82:83], v[64:65], a[4:7]
	v_and_b32_e32 v64, 1, v0
	v_xor_b32_e32 v65, 0x440, v51
	v_cmp_eq_u32_e32 vcc, 0, v64
	v_mfma_f32_16x16x16_bf16 a[0:3], v[82:83], v[68:69], a[0:3]
	s_waitcnt vmcnt(0)
	v_perm_b32 v64, v34, v38, s0
	v_cndmask_b32_e32 v51, v65, v51, vcc
	v_lshl_or_b32 v51, v76, 10, v51
	s_waitcnt lgkmcnt(1)
	v_mfma_f32_16x16x16_bf16 a[8:11], v[82:83], v[72:73], a[8:11]
	v_perm_b32 v65, v42, v46, s0
	ds_read_b64 v[54:55], v60 offset:30720
	ds_read_b64 v[68:69], v61 offset:30720
	;; [unrolled: 1-line block ×4, first 2 shown]
	ds_write2st64_b32 v51, v64, v65 offset0:128 offset1:160
	s_waitcnt lgkmcnt(5)
	v_mfma_f32_16x16x16_bf16 a[12:15], v[82:83], v[78:79], a[12:15]
	v_xor_b32_e32 v64, 8, v51
	v_perm_b32 v34, v34, v38, s1
	v_perm_b32 v38, v42, v46, s1
	v_add_u32_e32 v42, 0x80, v64
	ds_write2st64_b32 v42, v34, v38 offset0:128 offset1:160
	v_xor_b32_e32 v34, 16, v51
	v_perm_b32 v38, v35, v39, s0
	v_perm_b32 v42, v43, v47, s0
	v_mfma_f32_16x16x16_bf16 a[0:3], v[86:87], v[70:71], a[0:3]
	ds_write2st64_b32 v34, v38, v42 offset0:129 offset1:161
	v_xor_b32_e32 v34, 24, v51
	v_perm_b32 v35, v35, v39, s1
	v_mfma_f32_16x16x16_bf16 a[4:7], v[86:87], v[66:67], a[4:7]
	v_perm_b32 v38, v43, v47, s1
	v_add_u32_e32 v34, 0x80, v34
	ds_write2st64_b32 v34, v35, v38 offset0:129 offset1:161
	v_mfma_f32_16x16x16_bf16 a[16:19], v[86:87], v[74:75], a[8:11]
	v_xor_b32_e32 v34, 32, v51
	v_perm_b32 v35, v36, v40, s0
	v_perm_b32 v38, v44, v48, s0
	v_mfma_f32_16x16x16_bf16 a[20:23], v[86:87], v[80:81], a[12:15]
	ds_write2st64_b32 v34, v35, v38 offset0:130 offset1:162
	v_xor_b32_e32 v34, 40, v51
	v_perm_b32 v35, v36, v40, s1
	s_waitcnt lgkmcnt(8)
	v_mfma_f32_16x16x16_bf16 a[12:15], v[88:89], v[54:55], a[0:3]
	v_perm_b32 v36, v44, v48, s1
	v_add_u32_e32 v34, 0x80, v34
	ds_write2st64_b32 v34, v35, v36 offset0:130 offset1:162
	s_waitcnt lgkmcnt(8)
	v_mfma_f32_16x16x16_bf16 a[8:11], v[88:89], v[68:69], a[4:7]
	v_xor_b32_e32 v34, 48, v51
	v_perm_b32 v35, v37, v41, s0
	v_perm_b32 v36, v45, v49, s0
	s_waitcnt lgkmcnt(7)
	v_mfma_f32_16x16x16_bf16 a[4:7], v[88:89], v[90:91], a[16:19]
	ds_write2st64_b32 v34, v35, v36 offset0:131 offset1:163
	v_xor_b32_e32 v34, 56, v51
	v_or_b32_e32 v48, v52, v84
	s_waitcnt lgkmcnt(7)
	v_mfma_f32_16x16x16_bf16 a[0:3], v[88:89], v[92:93], a[20:23]
	v_perm_b32 v35, v37, v41, s1
	v_perm_b32 v36, v45, v49, s1
	v_add_u32_e32 v34, 0x80, v34
	v_cmp_gt_i32_e64 s[0:1], s56, v48
	v_mov_b32_e32 v54, 0
	v_mov_b32_e32 v55, 0
	ds_write2st64_b32 v34, v35, v36 offset0:131 offset1:163
	s_and_saveexec_b64 s[2:3], s[0:1]
	s_cbranch_execz .LBB198_62
; %bb.61:
	v_add_u32_e32 v34, s28, v48
	v_ashrrev_i32_e32 v35, 31, v34
	v_mul_lo_u32 v36, v35, s14
	v_mul_lo_u32 v37, v34, s15
	v_mad_u64_u32 v[34:35], s[4:5], v34, s14, 0
	v_add3_u32 v35, v35, v37, v36
	v_lshl_add_u64 v[34:35], v[34:35], 2, s[10:11]
	global_load_dword v34, v[34:35], off
	s_waitcnt vmcnt(0)
	v_sub_f32_e32 v34, s16, v34
	v_mul_f32_e32 v34, 0x3fb8aa3b, v34
	v_exp_f32_e32 v55, v34
.LBB198_62:
	s_or_b64 exec, exec, s[2:3]
	v_or_b32_e32 v40, 1, v48
	v_cmp_gt_i32_e64 s[2:3], s56, v40
	s_and_saveexec_b64 s[4:5], s[2:3]
	s_cbranch_execz .LBB198_64
; %bb.63:
	v_add_u32_e32 v34, s28, v40
	v_ashrrev_i32_e32 v35, 31, v34
	v_mul_lo_u32 v36, v35, s14
	v_mul_lo_u32 v37, v34, s15
	v_mad_u64_u32 v[34:35], s[6:7], v34, s14, 0
	v_add3_u32 v35, v35, v37, v36
	v_lshl_add_u64 v[34:35], v[34:35], 2, s[10:11]
	global_load_dword v34, v[34:35], off
	s_waitcnt vmcnt(0)
	v_sub_f32_e32 v34, s16, v34
	v_mul_f32_e32 v34, 0x3fb8aa3b, v34
	v_exp_f32_e32 v54, v34
.LBB198_64:
	s_or_b64 exec, exec, s[4:5]
	v_or_b32_e32 v41, 2, v48
	v_cmp_gt_i32_e64 s[4:5], s56, v41
	v_mov_b32_e32 v49, 0
	v_mov_b32_e32 v64, 0
	s_and_saveexec_b64 s[6:7], s[4:5]
	s_cbranch_execz .LBB198_66
; %bb.65:
	v_add_u32_e32 v34, s28, v41
	v_ashrrev_i32_e32 v35, 31, v34
	v_mul_lo_u32 v36, v35, s14
	v_mul_lo_u32 v37, v34, s15
	v_mad_u64_u32 v[34:35], s[20:21], v34, s14, 0
	v_add3_u32 v35, v35, v37, v36
	v_lshl_add_u64 v[34:35], v[34:35], 2, s[10:11]
	global_load_dword v34, v[34:35], off
	s_waitcnt vmcnt(0)
	v_sub_f32_e32 v34, s16, v34
	v_mul_f32_e32 v34, 0x3fb8aa3b, v34
	v_exp_f32_e32 v64, v34
.LBB198_66:
	s_or_b64 exec, exec, s[6:7]
	v_or_b32_e32 v65, 3, v48
	v_cmp_gt_i32_e32 vcc, s56, v65
	s_and_saveexec_b64 s[6:7], vcc
	s_cbranch_execz .LBB198_68
; %bb.67:
	v_add_u32_e32 v34, s28, v65
	v_ashrrev_i32_e32 v35, 31, v34
	v_mul_lo_u32 v36, v35, s14
	v_mul_lo_u32 v37, v34, s15
	v_mad_u64_u32 v[34:35], s[14:15], v34, s14, 0
	v_add3_u32 v35, v35, v37, v36
	v_lshl_add_u64 v[34:35], v[34:35], 2, s[10:11]
	global_load_dword v34, v[34:35], off
	s_waitcnt vmcnt(0)
	v_sub_f32_e32 v34, s16, v34
	v_mul_f32_e32 v34, 0x3fb8aa3b, v34
	v_exp_f32_e32 v49, v34
.LBB198_68:
	s_or_b64 exec, exec, s[6:7]
	s_add_u32 s6, s8, s30
	v_accvgpr_read_b32 v37, a15
	s_addc_u32 s7, s9, s31
	v_ashrrev_i32_e32 v51, 31, v50
	v_accvgpr_read_b32 v36, a14
	v_accvgpr_read_b32 v35, a13
	;; [unrolled: 1-line block ×3, first 2 shown]
	v_lshl_add_u64 v[38:39], v[50:51], 1, s[6:7]
	v_mov_b32_e32 v45, 0
	v_lshlrev_b32_e32 v42, 8, v48
	v_mov_b32_e32 v43, 0
	s_and_saveexec_b64 s[6:7], s[0:1]
	s_cbranch_execz .LBB198_70
; %bb.69:
	v_mov_b32_e32 v43, 0
	v_lshl_add_u64 v[46:47], v[38:39], 0, v[42:43]
	global_load_ushort v43, v[46:47], off
	s_waitcnt vmcnt(0)
	v_lshlrev_b32_e32 v43, 16, v43
	v_sub_f32_e32 v34, v43, v34
	v_mul_f32_e32 v34, v55, v34
	v_lshrrev_b32_e32 v43, 16, v34
.LBB198_70:
	s_or_b64 exec, exec, s[6:7]
	v_lshlrev_b32_e32 v44, 8, v40
	s_and_saveexec_b64 s[6:7], s[2:3]
	s_cbranch_execz .LBB198_72
; %bb.71:
	v_mov_b32_e32 v45, 0
	v_lshl_add_u64 v[46:47], v[38:39], 0, v[44:45]
	global_load_ushort v34, v[46:47], off
	s_waitcnt vmcnt(0)
	v_lshlrev_b32_e32 v34, 16, v34
	v_sub_f32_e32 v34, v34, v35
	v_mul_f32_e32 v34, v54, v34
	v_lshrrev_b32_e32 v45, 16, v34
.LBB198_72:
	s_or_b64 exec, exec, s[6:7]
	v_mov_b32_e32 v66, 0
	v_lshlrev_b32_e32 v46, 8, v41
	v_mov_b32_e32 v47, 0
	s_and_saveexec_b64 s[6:7], s[4:5]
	s_cbranch_execz .LBB198_74
; %bb.73:
	v_mov_b32_e32 v47, 0
	v_lshl_add_u64 v[34:35], v[38:39], 0, v[46:47]
	global_load_ushort v34, v[34:35], off
	s_waitcnt vmcnt(0)
	v_lshlrev_b32_e32 v34, 16, v34
	v_sub_f32_e32 v34, v34, v36
	v_mul_f32_e32 v34, v64, v34
	v_lshrrev_b32_e32 v47, 16, v34
.LBB198_74:
	s_or_b64 exec, exec, s[6:7]
	v_lshlrev_b32_e32 v40, 8, v65
	s_and_saveexec_b64 s[6:7], vcc
	s_cbranch_execz .LBB198_76
; %bb.75:
	v_mov_b32_e32 v41, 0
	v_lshl_add_u64 v[34:35], v[38:39], 0, v[40:41]
	global_load_ushort v34, v[34:35], off
	s_waitcnt vmcnt(0)
	v_lshlrev_b32_e32 v34, 16, v34
	v_sub_f32_e32 v34, v34, v37
	v_mul_f32_e32 v34, v49, v34
	v_lshrrev_b32_e32 v66, 16, v34
.LBB198_76:
	s_or_b64 exec, exec, s[6:7]
	v_lshlrev_b32_e32 v51, 6, v48
	v_accvgpr_read_b32 v37, a11
	s_mov_b32 s6, 0x5040100
	v_or_b32_e32 v41, v51, v59
	v_accvgpr_read_b32 v36, a10
	v_accvgpr_read_b32 v35, a9
	;; [unrolled: 1-line block ×3, first 2 shown]
	v_perm_b32 v67, v66, v47, s6
	v_perm_b32 v66, v45, v43, s6
	v_lshlrev_b32_e32 v41, 1, v41
	v_mov_b32_e32 v45, 0
	v_mov_b32_e32 v43, 0
	ds_write_b64 v41, v[66:67] offset:24576
	s_and_saveexec_b64 s[6:7], s[0:1]
	s_cbranch_execz .LBB198_78
; %bb.77:
	v_mov_b32_e32 v43, 0
	v_lshl_add_u64 v[66:67], v[38:39], 0, v[42:43]
	global_load_ushort v41, v[66:67], off offset:32
	s_waitcnt vmcnt(0)
	v_lshlrev_b32_e32 v41, 16, v41
	v_sub_f32_e32 v34, v41, v34
	v_mul_f32_e32 v34, v55, v34
	v_lshrrev_b32_e32 v43, 16, v34
.LBB198_78:
	s_or_b64 exec, exec, s[6:7]
	s_and_saveexec_b64 s[6:7], s[2:3]
	s_cbranch_execz .LBB198_80
; %bb.79:
	v_mov_b32_e32 v45, 0
	v_lshl_add_u64 v[66:67], v[38:39], 0, v[44:45]
	global_load_ushort v34, v[66:67], off offset:32
	s_waitcnt vmcnt(0)
	v_lshlrev_b32_e32 v34, 16, v34
	v_sub_f32_e32 v34, v34, v35
	v_mul_f32_e32 v34, v54, v34
	v_lshrrev_b32_e32 v45, 16, v34
.LBB198_80:
	s_or_b64 exec, exec, s[6:7]
	v_mov_b32_e32 v41, 0
	v_mov_b32_e32 v47, 0
	s_and_saveexec_b64 s[6:7], s[4:5]
	s_cbranch_execz .LBB198_82
; %bb.81:
	v_mov_b32_e32 v47, 0
	v_lshl_add_u64 v[34:35], v[38:39], 0, v[46:47]
	global_load_ushort v34, v[34:35], off offset:32
	s_waitcnt vmcnt(0)
	v_lshlrev_b32_e32 v34, 16, v34
	v_sub_f32_e32 v34, v34, v36
	v_mul_f32_e32 v34, v64, v34
	v_lshrrev_b32_e32 v47, 16, v34
.LBB198_82:
	s_or_b64 exec, exec, s[6:7]
	s_and_saveexec_b64 s[6:7], vcc
	s_cbranch_execz .LBB198_84
; %bb.83:
	v_mov_b32_e32 v41, 0
	v_lshl_add_u64 v[34:35], v[38:39], 0, v[40:41]
	global_load_ushort v34, v[34:35], off offset:32
	s_waitcnt vmcnt(0)
	v_lshlrev_b32_e32 v34, 16, v34
	v_sub_f32_e32 v34, v34, v37
	v_mul_f32_e32 v34, v49, v34
	v_lshrrev_b32_e32 v41, 16, v34
.LBB198_84:
	s_or_b64 exec, exec, s[6:7]
	s_mov_b32 s6, 0x5040100
	v_accvgpr_read_b32 v37, a7
	v_perm_b32 v67, v41, v47, s6
	v_or_b32_e32 v41, v51, v57
	v_accvgpr_read_b32 v36, a6
	v_accvgpr_read_b32 v35, a5
	;; [unrolled: 1-line block ×3, first 2 shown]
	v_perm_b32 v66, v45, v43, s6
	v_lshlrev_b32_e32 v41, 1, v41
	v_mov_b32_e32 v45, 0
	v_mov_b32_e32 v43, 0
	ds_write_b64 v41, v[66:67] offset:24576
	s_and_saveexec_b64 s[6:7], s[0:1]
	s_cbranch_execz .LBB198_86
; %bb.85:
	v_mov_b32_e32 v43, 0
	v_lshl_add_u64 v[66:67], v[38:39], 0, v[42:43]
	global_load_ushort v41, v[66:67], off offset:64
	s_waitcnt vmcnt(0)
	v_lshlrev_b32_e32 v41, 16, v41
	v_sub_f32_e32 v34, v41, v34
	v_mul_f32_e32 v34, v55, v34
	v_lshrrev_b32_e32 v43, 16, v34
.LBB198_86:
	s_or_b64 exec, exec, s[6:7]
	s_and_saveexec_b64 s[6:7], s[2:3]
	s_cbranch_execz .LBB198_88
; %bb.87:
	v_mov_b32_e32 v45, 0
	v_lshl_add_u64 v[66:67], v[38:39], 0, v[44:45]
	global_load_ushort v34, v[66:67], off offset:64
	s_waitcnt vmcnt(0)
	v_lshlrev_b32_e32 v34, 16, v34
	v_sub_f32_e32 v34, v34, v35
	v_mul_f32_e32 v34, v54, v34
	v_lshrrev_b32_e32 v45, 16, v34
.LBB198_88:
	s_or_b64 exec, exec, s[6:7]
	v_mov_b32_e32 v41, 0
	v_mov_b32_e32 v47, 0
	s_and_saveexec_b64 s[6:7], s[4:5]
	s_cbranch_execz .LBB198_90
; %bb.89:
	v_mov_b32_e32 v47, 0
	v_lshl_add_u64 v[34:35], v[38:39], 0, v[46:47]
	global_load_ushort v34, v[34:35], off offset:64
	s_waitcnt vmcnt(0)
	v_lshlrev_b32_e32 v34, 16, v34
	v_sub_f32_e32 v34, v34, v36
	v_mul_f32_e32 v34, v64, v34
	v_lshrrev_b32_e32 v47, 16, v34
.LBB198_90:
	s_or_b64 exec, exec, s[6:7]
	s_and_saveexec_b64 s[6:7], vcc
	s_cbranch_execz .LBB198_92
; %bb.91:
	v_mov_b32_e32 v41, 0
	v_lshl_add_u64 v[34:35], v[38:39], 0, v[40:41]
	global_load_ushort v34, v[34:35], off offset:64
	s_waitcnt vmcnt(0)
	v_lshlrev_b32_e32 v34, 16, v34
	v_sub_f32_e32 v34, v34, v37
	v_mul_f32_e32 v34, v49, v34
	v_lshrrev_b32_e32 v41, 16, v34
.LBB198_92:
	s_or_b64 exec, exec, s[6:7]
	s_mov_b32 s6, 0x5040100
	v_accvgpr_read_b32 v37, a3
	v_perm_b32 v67, v41, v47, s6
	v_or_b32_e32 v41, v51, v56
	v_accvgpr_read_b32 v36, a2
	v_accvgpr_read_b32 v35, a1
	;; [unrolled: 1-line block ×3, first 2 shown]
	v_perm_b32 v66, v45, v43, s6
	v_lshlrev_b32_e32 v41, 1, v41
	v_mov_b32_e32 v45, 0
	v_mov_b32_e32 v43, 0
	ds_write_b64 v41, v[66:67] offset:24576
	s_and_saveexec_b64 s[6:7], s[0:1]
	s_cbranch_execz .LBB198_94
; %bb.93:
	v_mov_b32_e32 v43, 0
	v_lshl_add_u64 v[42:43], v[38:39], 0, v[42:43]
	global_load_ushort v41, v[42:43], off offset:96
	s_waitcnt vmcnt(0)
	v_lshlrev_b32_e32 v41, 16, v41
	v_sub_f32_e32 v34, v41, v34
	v_mul_f32_e32 v34, v55, v34
	v_lshrrev_b32_e32 v43, 16, v34
.LBB198_94:
	s_or_b64 exec, exec, s[6:7]
	s_and_saveexec_b64 s[0:1], s[2:3]
	s_cbranch_execz .LBB198_96
; %bb.95:
	v_mov_b32_e32 v45, 0
	v_lshl_add_u64 v[44:45], v[38:39], 0, v[44:45]
	global_load_ushort v34, v[44:45], off offset:96
	s_waitcnt vmcnt(0)
	v_lshlrev_b32_e32 v34, 16, v34
	v_sub_f32_e32 v34, v34, v35
	v_mul_f32_e32 v34, v54, v34
	v_lshrrev_b32_e32 v45, 16, v34
.LBB198_96:
	s_or_b64 exec, exec, s[0:1]
	v_mov_b32_e32 v41, 0
	v_mov_b32_e32 v44, 0
	s_and_saveexec_b64 s[0:1], s[4:5]
	s_cbranch_execz .LBB198_98
; %bb.97:
	v_mov_b32_e32 v47, 0
	v_lshl_add_u64 v[34:35], v[38:39], 0, v[46:47]
	global_load_ushort v34, v[34:35], off offset:96
	s_waitcnt vmcnt(0)
	v_lshlrev_b32_e32 v34, 16, v34
	v_sub_f32_e32 v34, v34, v36
	v_mul_f32_e32 v34, v64, v34
	v_lshrrev_b32_e32 v44, 16, v34
.LBB198_98:
	s_or_b64 exec, exec, s[0:1]
	v_or_b32_e32 v34, 0x6000, v60
	v_or_b32_e32 v35, 0x6000, v61
	;; [unrolled: 1-line block ×4, first 2 shown]
	s_and_saveexec_b64 s[0:1], vcc
	s_cbranch_execz .LBB198_100
; %bb.99:
	v_mov_b32_e32 v41, 0
	v_lshl_add_u64 v[38:39], v[38:39], 0, v[40:41]
	global_load_ushort v38, v[38:39], off offset:96
	s_waitcnt vmcnt(0)
	v_lshlrev_b32_e32 v38, 16, v38
	v_sub_f32_e32 v37, v38, v37
	v_mul_f32_e32 v37, v49, v37
	v_lshrrev_b32_e32 v41, 16, v37
.LBB198_100:
	s_or_b64 exec, exec, s[0:1]
	s_mov_b32 s0, 0x5040100
	v_or_b32_e32 v37, v51, v53
	v_perm_b32 v39, v41, v44, s0
	v_perm_b32 v38, v45, v43, s0
	v_lshlrev_b32_e32 v37, 1, v37
	ds_write_b64 v37, v[38:39] offset:24576
	v_and_b32_e32 v37, 7, v0
	v_lshlrev_b32_e32 v51, 3, v37
	v_lshlrev_b32_e32 v84, 7, v37
	v_lshrrev_b32_e32 v37, 1, v0
	v_and_b32_e32 v37, 24, v37
	v_lshlrev_b32_e32 v49, 3, v77
	s_mul_i32 s0, s18, s17
	v_and_b32_e32 v43, 8, v0
	s_movk_i32 s4, 0x100
	v_xor_b32_e32 v59, v49, v37
	s_add_u32 s2, s0, s47
	v_cmp_eq_u32_e32 vcc, 0, v43
	v_cmp_gt_u32_e64 s[0:1], s4, v0
	v_or_b32_e32 v0, 0x440, v59
	v_mov_b32_e32 v44, 0x400
	v_cndmask_b32_e32 v0, v0, v59, vcc
	v_cndmask_b32_e64 v43, v44, 64, vcc
	v_mov_b32_e32 v44, 0xa000
	v_mov_b32_e32 v45, 0x8000
	v_or_b32_e32 v0, v0, v58
	v_cndmask_b32_e64 v53, v44, v45, s[0:1]
	v_xor_b32_e32 v85, v0, v51
	v_add3_u32 v0, v53, v85, v84
	s_waitcnt lgkmcnt(0)
	s_barrier
	ds_read_b64 v[60:61], v0
	v_or_b32_e32 v0, 32, v37
	v_xor_b32_e32 v0, v49, v0
	v_or_b32_e32 v44, 0x440, v0
	s_mul_hi_i32 s3, s18, s17
	v_cndmask_b32_e32 v0, v44, v0, vcc
	v_or_b32_e32 v0, v0, v58
	s_addc_u32 s3, s3, s29
	v_xor_b32_e32 v86, v0, v51
	s_lshl_b64 s[0:1], s[2:3], 9
	v_add3_u32 v0, v53, v86, v84
	s_add_u32 s0, s36, s0
	ds_read_b64 v[78:79], v0
	s_addc_u32 s1, s37, s1
	v_lshlrev_b32_e32 v0, 2, v48
	global_load_dwordx4 v[54:57], v0, s[0:1]
	ds_read2_b64 v[38:41], v34 offset1:16
	ds_read2_b64 v[44:47], v34 offset0:32 offset1:48
	v_or_b32_e32 v37, 0x60, v37
	v_or3_b32 v43, v58, v43, v59
	v_xor_b32_e32 v37, v49, v37
	s_waitcnt lgkmcnt(1)
	v_mfma_f32_16x16x16_bf16 a[0:3], v[60:61], v[38:39], 0
	ds_read2st64_b64 v[64:67], v35 offset0:4 offset1:8
	ds_read2st64_b64 v[68:71], v36 offset0:4 offset1:8
	;; [unrolled: 1-line block ×3, first 2 shown]
	v_mfma_f32_16x16x16_bf16 a[4:7], v[60:61], v[40:41], 0
	v_xor_b32_e32 v43, v43, v51
	v_xor_b32_e32 v48, 0x440, v37
	v_or_b32_e32 v87, v43, v84
	s_waitcnt lgkmcnt(3)
	v_mfma_f32_16x16x16_bf16 a[8:11], v[60:61], v[44:45], 0
	v_cndmask_b32_e32 v37, v48, v37, vcc
	v_or_b32_e32 v43, v53, v87
	v_or_b32_e32 v37, v37, v58
	v_mfma_f32_16x16x16_bf16 a[12:15], v[60:61], v[46:47], 0
	ds_read2st64_b64 v[60:63], v34 offset0:4 offset1:8
	ds_read_b64 v[48:49], v43
	v_xor_b32_e32 v51, v37, v51
	v_lshlrev_b32_e32 v37, 6, v77
	v_lshlrev_b32_e32 v43, 2, v52
	v_or3_b32 v37, v37, v43, s4
	s_waitcnt lgkmcnt(1)
	v_mfma_f32_16x16x16_bf16 a[0:3], v[78:79], v[60:61], a[0:3]
	v_mov_b32_e32 v0, 0x3fb8aa3b
	v_mul_f32_e32 v0, s16, v0
	v_exp_f32_e32 v0, v0
	v_mfma_f32_16x16x16_bf16 a[4:7], v[78:79], v[64:65], a[4:7]
	v_mfma_f32_16x16x16_bf16 a[8:11], v[78:79], v[68:69], a[8:11]
	;; [unrolled: 1-line block ×3, first 2 shown]
	global_load_dwordx4 v[76:79], v37, s[0:1]
	v_add3_u32 v37, v53, v51, v84
	ds_read_b64 v[52:53], v37
	s_waitcnt lgkmcnt(1)
	v_mfma_f32_16x16x16_bf16 a[0:3], v[48:49], v[62:63], a[0:3]
	ds_read_b64 v[58:59], v34 offset:6144
	ds_read_b64 v[80:81], v35 offset:6144
	;; [unrolled: 1-line block ×4, first 2 shown]
	v_add_u32_e32 v51, v51, v84
	s_waitcnt vmcnt(1)
	v_mul_f32_e32 v34, 0x3fb8aa3b, v54
	v_mfma_f32_16x16x16_bf16 a[4:7], v[48:49], v[66:67], a[4:7]
	v_mul_f32_e32 v35, 0x3fb8aa3b, v55
	v_exp_f32_e32 v34, v34
	v_exp_f32_e32 v35, v35
	v_mfma_f32_16x16x16_bf16 a[8:11], v[48:49], v[70:71], a[8:11]
	v_mul_f32_e32 v36, 0x3fb8aa3b, v56
	v_mul_f32_e32 v37, 0x3fb8aa3b, v57
	v_exp_f32_e32 v36, v36
	v_mfma_f32_16x16x16_bf16 a[12:15], v[48:49], v[74:75], a[12:15]
	v_add_u32_e32 v48, v85, v84
	ds_read_b64 v[48:49], v48 offset:40960
	v_exp_f32_e32 v37, v37
	s_waitcnt lgkmcnt(4)
	v_mfma_f32_16x16x16_bf16 a[0:3], v[52:53], v[58:59], a[0:3]
	v_pk_mul_f32 v[34:35], v[0:1], v[34:35] op_sel_hi:[0,1]
	v_pk_mul_f32 v[30:31], v[30:31], v[34:35]
	v_pk_mul_f32 v[36:37], v[0:1], v[36:37] op_sel_hi:[0,1]
	s_waitcnt lgkmcnt(1)
	v_mfma_f32_16x16x16_bf16 a[12:15], v[52:53], v[42:43], a[12:15]
	v_pk_mul_f32 v[32:33], v[32:33], v[36:37]
	v_pk_mul_f32 v[26:27], v[34:35], v[26:27]
	;; [unrolled: 1-line block ×3, first 2 shown]
	v_mfma_f32_16x16x16_bf16 a[4:7], v[52:53], v[80:81], a[4:7]
	v_add_u32_e32 v54, v86, v84
	ds_read_b64 v[54:55], v54 offset:40960
	ds_read_b64 v[56:57], v51 offset:40960
	v_pk_mul_f32 v[22:23], v[34:35], v[22:23]
	v_mfma_f32_16x16x16_bf16 a[8:11], v[52:53], v[82:83], a[8:11]
	v_accvgpr_read_b32 v53, a15
	v_accvgpr_read_b32 v52, a14
	v_pk_mul_f32 v[24:25], v[36:37], v[24:25]
	s_waitcnt lgkmcnt(2)
	v_mfma_f32_16x16x16_bf16 a[14:17], v[48:49], v[38:39], 0
	v_accvgpr_read_b32 v38, a0
	v_add_f32_e32 v30, v30, v38
	v_accvgpr_read_b32 v38, a1
	v_add_f32_e32 v31, v31, v38
	;; [unrolled: 2-line block ×8, first 2 shown]
	ds_read_b64 v[38:39], v87 offset:40960
	v_mfma_f32_16x16x16_bf16 a[18:21], v[48:49], v[40:41], 0
	v_accvgpr_read_b32 v40, a8
	v_add_f32_e32 v22, v22, v40
	v_accvgpr_read_b32 v40, a9
	s_waitcnt lgkmcnt(2)
	v_mfma_f32_16x16x16_bf16 a[14:17], v[54:55], v[60:61], a[14:17]
	v_add_f32_e32 v23, v23, v40
	v_accvgpr_read_b32 v40, a10
	v_add_f32_e32 v24, v24, v40
	v_accvgpr_read_b32 v40, a11
	;; [unrolled: 2-line block ×3, first 2 shown]
	v_mfma_f32_16x16x16_bf16 a[22:25], v[48:49], v[44:45], 0
	v_accvgpr_read_b32 v40, a12
	v_pk_fma_f32 v[2:3], v[34:35], v[2:3], v[40:41]
	v_pk_fma_f32 v[4:5], v[36:37], v[4:5], v[52:53]
	v_mfma_f32_16x16x16_bf16 a[4:7], v[54:55], v[64:65], a[18:21]
	s_waitcnt vmcnt(0)
	v_mov_b32_e32 v34, v77
	v_mov_b32_e32 v35, v78
	;; [unrolled: 1-line block ×3, first 2 shown]
	s_waitcnt lgkmcnt(0)
	v_mfma_f32_16x16x16_bf16 a[8:11], v[38:39], v[62:63], a[14:17]
	v_mul_f32_e32 v37, 0x3fb8aa3b, v76
	v_mul_f32_e32 v34, 0x3fb8aa3b, v34
	v_exp_f32_e32 v40, v37
	v_mfma_f32_16x16x16_bf16 a[0:3], v[48:49], v[46:47], 0
	v_exp_f32_e32 v41, v34
	v_mul_f32_e32 v34, 0x3fb8aa3b, v35
	v_mul_f32_e32 v35, 0x3fb8aa3b, v36
	v_mfma_f32_16x16x16_bf16 a[18:21], v[54:55], v[68:69], a[22:25]
	v_exp_f32_e32 v34, v34
	v_exp_f32_e32 v35, v35
	v_pk_mul_f32 v[36:37], v[0:1], v[40:41] op_sel_hi:[0,1]
	v_mfma_f32_16x16x16_bf16 a[4:7], v[38:39], v[66:67], a[4:7]
	v_pk_mul_f32 v[18:19], v[18:19], v[36:37]
	v_pk_mul_f32 v[34:35], v[0:1], v[34:35] op_sel_hi:[0,1]
	v_pk_mul_f32 v[20:21], v[20:21], v[34:35]
	v_mfma_f32_16x16x16_bf16 a[8:11], v[56:57], v[58:59], a[8:11]
	v_pk_mul_f32 v[14:15], v[36:37], v[14:15]
	v_pk_mul_f32 v[16:17], v[34:35], v[16:17]
	;; [unrolled: 1-line block ×3, first 2 shown]
	v_mfma_f32_16x16x16_bf16 a[0:3], v[54:55], v[72:73], a[0:3]
	v_pk_mul_f32 v[12:13], v[34:35], v[12:13]
	v_mfma_f32_16x16x16_bf16 a[12:15], v[38:39], v[70:71], a[18:21]
	s_nop 0
	v_accvgpr_read_b32 v0, a8
	v_add_f32_e32 v18, v18, v0
	v_accvgpr_read_b32 v0, a9
	v_mfma_f32_16x16x16_bf16 a[4:7], v[56:57], v[80:81], a[4:7]
	v_add_f32_e32 v19, v19, v0
	v_accvgpr_read_b32 v0, a10
	v_add_f32_e32 v20, v20, v0
	v_mfma_f32_16x16x16_bf16 a[0:3], v[38:39], v[74:75], a[0:3]
	v_accvgpr_read_b32 v0, a11
	v_add_f32_e32 v21, v21, v0
	v_mfma_f32_16x16x16_bf16 a[12:15], v[56:57], v[82:83], a[12:15]
	v_accvgpr_read_b32 v0, a4
	v_add_f32_e32 v14, v14, v0
	v_accvgpr_read_b32 v0, a5
	v_mfma_f32_16x16x16_bf16 a[0:3], v[56:57], v[42:43], a[0:3]
	v_add_f32_e32 v15, v15, v0
	v_accvgpr_read_b32 v0, a6
	v_add_f32_e32 v16, v16, v0
	v_accvgpr_read_b32 v0, a7
	;; [unrolled: 2-line block ×5, first 2 shown]
	v_accvgpr_read_b32 v41, a1
	v_accvgpr_read_b32 v39, a3
	;; [unrolled: 1-line block ×3, first 2 shown]
	v_add_f32_e32 v12, v12, v0
	v_accvgpr_read_b32 v0, a15
	v_accvgpr_read_b32 v40, a0
	v_add_f32_e32 v13, v13, v0
	v_pk_fma_f32 v[6:7], v[36:37], v[6:7], v[40:41]
	v_pk_fma_f32 v[8:9], v[34:35], v[8:9], v[38:39]
	v_mov_b32_e32 v34, v50
.LBB198_101:
	s_mul_i32 s0, s33, s35
	s_mul_hi_u32 s1, s33, s34
	s_add_i32 s0, s1, s0
	s_mul_i32 s1, s46, s34
	s_add_i32 s1, s0, s1
	s_mul_i32 s0, s33, s34
	s_add_u32 s0, s0, s47
	s_addc_u32 s1, s1, s29
	s_lshl_b64 s[0:1], s[0:1], 16
	s_add_u32 s0, s12, s0
	v_lshlrev_b32_e32 v34, 7, v34
	s_addc_u32 s1, s13, s1
	v_ashrrev_i32_e32 v35, 31, v34
	v_lshl_add_u64 v[36:37], v[34:35], 2, s[0:1]
	v_lshlrev_b32_e32 v0, 2, v1
	v_mov_b32_e32 v1, 0
	v_lshl_add_u64 v[36:37], v[36:37], 0, v[0:1]
	global_store_dwordx4 v[36:37], v[30:33], off
	global_store_dwordx4 v[36:37], v[18:21], off offset:256
	s_nop 1
	v_or_b32_e32 v18, 0x800, v34
	v_ashrrev_i32_e32 v19, 31, v18
	v_lshl_add_u64 v[18:19], v[18:19], 2, s[0:1]
	v_lshl_add_u64 v[18:19], v[18:19], 0, v[0:1]
	global_store_dwordx4 v[18:19], v[26:29], off
	global_store_dwordx4 v[18:19], v[14:17], off offset:256
	s_nop 1
	v_or_b32_e32 v14, 0x1000, v34
	v_ashrrev_i32_e32 v15, 31, v14
	v_lshl_add_u64 v[14:15], v[14:15], 2, s[0:1]
	;; [unrolled: 7-line block ×3, first 2 shown]
	v_lshl_add_u64 v[0:1], v[10:11], 0, v[0:1]
	global_store_dwordx4 v[0:1], v[2:5], off
	global_store_dwordx4 v[0:1], v[6:9], off offset:256
	s_endpgm
	.section	.rodata,"a",@progbits
	.p2align	6, 0x0
	.amdhsa_kernel _ZN12_GLOBAL__N_139chunk_gated_delta_rule_fwd_h_hip_kernelILi64ELb0ELb1ELb0ELb1ELb0ELb1ELb1ELb0EEEvPK12hip_bfloat16S3_S3_PKfS5_PKvPS1_S8_PvPKiSB_iiiiilll
		.amdhsa_group_segment_fixed_size 65536
		.amdhsa_private_segment_fixed_size 0
		.amdhsa_kernarg_size 136
		.amdhsa_user_sgpr_count 2
		.amdhsa_user_sgpr_dispatch_ptr 0
		.amdhsa_user_sgpr_queue_ptr 0
		.amdhsa_user_sgpr_kernarg_segment_ptr 1
		.amdhsa_user_sgpr_dispatch_id 0
		.amdhsa_user_sgpr_kernarg_preload_length 0
		.amdhsa_user_sgpr_kernarg_preload_offset 0
		.amdhsa_user_sgpr_private_segment_size 0
		.amdhsa_uses_dynamic_stack 0
		.amdhsa_enable_private_segment 0
		.amdhsa_system_sgpr_workgroup_id_x 1
		.amdhsa_system_sgpr_workgroup_id_y 1
		.amdhsa_system_sgpr_workgroup_id_z 0
		.amdhsa_system_sgpr_workgroup_info 0
		.amdhsa_system_vgpr_workitem_id 0
		.amdhsa_next_free_vgpr 232
		.amdhsa_next_free_sgpr 67
		.amdhsa_accum_offset 192
		.amdhsa_reserve_vcc 1
		.amdhsa_float_round_mode_32 0
		.amdhsa_float_round_mode_16_64 0
		.amdhsa_float_denorm_mode_32 3
		.amdhsa_float_denorm_mode_16_64 3
		.amdhsa_dx10_clamp 1
		.amdhsa_ieee_mode 1
		.amdhsa_fp16_overflow 0
		.amdhsa_tg_split 0
		.amdhsa_exception_fp_ieee_invalid_op 0
		.amdhsa_exception_fp_denorm_src 0
		.amdhsa_exception_fp_ieee_div_zero 0
		.amdhsa_exception_fp_ieee_overflow 0
		.amdhsa_exception_fp_ieee_underflow 0
		.amdhsa_exception_fp_ieee_inexact 0
		.amdhsa_exception_int_div_zero 0
	.end_amdhsa_kernel
	.section	.text._ZN12_GLOBAL__N_139chunk_gated_delta_rule_fwd_h_hip_kernelILi64ELb0ELb1ELb0ELb1ELb0ELb1ELb1ELb0EEEvPK12hip_bfloat16S3_S3_PKfS5_PKvPS1_S8_PvPKiSB_iiiiilll,"axG",@progbits,_ZN12_GLOBAL__N_139chunk_gated_delta_rule_fwd_h_hip_kernelILi64ELb0ELb1ELb0ELb1ELb0ELb1ELb1ELb0EEEvPK12hip_bfloat16S3_S3_PKfS5_PKvPS1_S8_PvPKiSB_iiiiilll,comdat
.Lfunc_end198:
	.size	_ZN12_GLOBAL__N_139chunk_gated_delta_rule_fwd_h_hip_kernelILi64ELb0ELb1ELb0ELb1ELb0ELb1ELb1ELb0EEEvPK12hip_bfloat16S3_S3_PKfS5_PKvPS1_S8_PvPKiSB_iiiiilll, .Lfunc_end198-_ZN12_GLOBAL__N_139chunk_gated_delta_rule_fwd_h_hip_kernelILi64ELb0ELb1ELb0ELb1ELb0ELb1ELb1ELb0EEEvPK12hip_bfloat16S3_S3_PKfS5_PKvPS1_S8_PvPKiSB_iiiiilll
                                        ; -- End function
	.section	.AMDGPU.csdata,"",@progbits
; Kernel info:
; codeLenInByte = 12668
; NumSgprs: 73
; NumVgprs: 190
; NumAgprs: 40
; TotalNumVgprs: 232
; ScratchSize: 0
; MemoryBound: 0
; FloatMode: 240
; IeeeMode: 1
; LDSByteSize: 65536 bytes/workgroup (compile time only)
; SGPRBlocks: 9
; VGPRBlocks: 28
; NumSGPRsForWavesPerEU: 73
; NumVGPRsForWavesPerEU: 232
; AccumOffset: 192
; Occupancy: 1
; WaveLimiterHint : 1
; COMPUTE_PGM_RSRC2:SCRATCH_EN: 0
; COMPUTE_PGM_RSRC2:USER_SGPR: 2
; COMPUTE_PGM_RSRC2:TRAP_HANDLER: 0
; COMPUTE_PGM_RSRC2:TGID_X_EN: 1
; COMPUTE_PGM_RSRC2:TGID_Y_EN: 1
; COMPUTE_PGM_RSRC2:TGID_Z_EN: 0
; COMPUTE_PGM_RSRC2:TIDIG_COMP_CNT: 0
; COMPUTE_PGM_RSRC3_GFX90A:ACCUM_OFFSET: 47
; COMPUTE_PGM_RSRC3_GFX90A:TG_SPLIT: 0
	.section	.text._ZN12_GLOBAL__N_139chunk_gated_delta_rule_fwd_h_hip_kernelILi64ELb0ELb0ELb1ELb1ELb0ELb1ELb1ELb0EEEvPK12hip_bfloat16S3_S3_PKfS5_PKvPS1_S8_PvPKiSB_iiiiilll,"axG",@progbits,_ZN12_GLOBAL__N_139chunk_gated_delta_rule_fwd_h_hip_kernelILi64ELb0ELb0ELb1ELb1ELb0ELb1ELb1ELb0EEEvPK12hip_bfloat16S3_S3_PKfS5_PKvPS1_S8_PvPKiSB_iiiiilll,comdat
	.globl	_ZN12_GLOBAL__N_139chunk_gated_delta_rule_fwd_h_hip_kernelILi64ELb0ELb0ELb1ELb1ELb0ELb1ELb1ELb0EEEvPK12hip_bfloat16S3_S3_PKfS5_PKvPS1_S8_PvPKiSB_iiiiilll ; -- Begin function _ZN12_GLOBAL__N_139chunk_gated_delta_rule_fwd_h_hip_kernelILi64ELb0ELb0ELb1ELb1ELb0ELb1ELb1ELb0EEEvPK12hip_bfloat16S3_S3_PKfS5_PKvPS1_S8_PvPKiSB_iiiiilll
	.p2align	8
	.type	_ZN12_GLOBAL__N_139chunk_gated_delta_rule_fwd_h_hip_kernelILi64ELb0ELb0ELb1ELb1ELb0ELb1ELb1ELb0EEEvPK12hip_bfloat16S3_S3_PKfS5_PKvPS1_S8_PvPKiSB_iiiiilll,@function
_ZN12_GLOBAL__N_139chunk_gated_delta_rule_fwd_h_hip_kernelILi64ELb0ELb0ELb1ELb1ELb0ELb1ELb1ELb0EEEvPK12hip_bfloat16S3_S3_PKfS5_PKvPS1_S8_PvPKiSB_iiiiilll: ; @_ZN12_GLOBAL__N_139chunk_gated_delta_rule_fwd_h_hip_kernelILi64ELb0ELb0ELb1ELb1ELb0ELb1ELb1ELb0EEEvPK12hip_bfloat16S3_S3_PKfS5_PKvPS1_S8_PvPKiSB_iiiiilll
; %bb.0:
	s_load_dwordx4 s[16:19], s[0:1], 0x5c
	s_load_dwordx4 s[20:23], s[0:1], 0x70
	s_abs_i32 s25, s3
	s_ashr_i32 s24, s3, 31
	s_load_dwordx4 s[12:15], s[0:1], 0x30
	s_load_dwordx4 s[28:31], s[0:1], 0x48
	s_waitcnt lgkmcnt(0)
	s_abs_i32 s34, s17
	v_cvt_f32_u32_e32 v1, s34
	s_sub_i32 s26, 0, s34
	s_ashr_i32 s35, s17, 31
	s_xor_b32 s24, s24, s35
	v_rcp_iflag_f32_e32 v1, v1
	s_load_dwordx8 s[4:11], s[0:1], 0x0
	v_lshrrev_b32_e32 v87, 6, v0
	v_bfe_u32 v88, v0, 4, 2
	v_mul_f32_e32 v1, 0x4f7ffffe, v1
	v_cvt_u32_f32_e32 v1, v1
	v_lshlrev_b32_e32 v2, 2, v88
	v_and_b32_e32 v86, 63, v0
	v_mov_b32_e32 v47, 0
	v_readfirstlane_b32 s27, v1
	s_mul_i32 s26, s26, s27
	s_mul_hi_u32 s26, s27, s26
	s_add_i32 s27, s27, s26
	s_mul_hi_u32 s26, s25, s27
	s_mul_i32 s27, s26, s34
	s_sub_i32 s25, s25, s27
	s_add_i32 s33, s26, 1
	s_sub_i32 s27, s25, s34
	s_cmp_ge_u32 s25, s34
	s_cselect_b32 s26, s33, s26
	s_cselect_b32 s25, s27, s25
	s_add_i32 s27, s26, 1
	s_cmp_ge_u32 s25, s34
	s_cselect_b32 s25, s27, s26
	s_xor_b32 s25, s25, s24
	s_sub_i32 s24, s25, s24
	s_mul_i32 s25, s24, s17
	s_sub_i32 s33, s3, s25
	s_ashr_i32 s25, s24, 31
	s_lshl_b64 s[26:27], s[24:25], 2
	s_add_u32 s28, s28, s26
	s_addc_u32 s29, s29, s27
	s_add_u32 s26, s30, s26
	s_addc_u32 s27, s31, s27
	s_abs_i32 s3, s18
	v_cvt_f32_u32_e32 v1, s3
	s_load_dwordx2 s[38:39], s[28:29], 0x0
	s_sub_i32 s29, 0, s3
	s_load_dword s48, s[26:27], 0x0
	v_rcp_iflag_f32_e32 v1, v1
	v_and_b32_e32 v45, 15, v0
	s_waitcnt lgkmcnt(0)
	s_sub_i32 s49, s39, s38
	s_ashr_i32 s28, s49, 31
	v_mul_f32_e32 v1, 0x4f7ffffe, v1
	v_cvt_u32_f32_e32 v1, v1
	s_lshr_b32 s28, s28, 26
	s_add_i32 s28, s49, s28
	s_ashr_i32 s47, s28, 6
	v_readfirstlane_b32 s30, v1
	s_mul_i32 s29, s29, s30
	s_mul_hi_u32 s29, s30, s29
	s_add_i32 s30, s30, s29
	s_mul_hi_u32 s29, s34, s30
	s_mul_i32 s30, s29, s3
	s_ashr_i32 s28, s18, 31
	s_sub_i32 s30, s34, s30
	s_xor_b32 s28, s35, s28
	s_add_i32 s31, s29, 1
	s_sub_i32 s34, s30, s3
	s_cmp_ge_u32 s30, s3
	s_cselect_b32 s29, s31, s29
	s_cselect_b32 s30, s34, s30
	s_add_i32 s31, s29, 1
	s_cmp_ge_u32 s30, s3
	s_cselect_b32 s3, s31, s29
	s_xor_b32 s3, s3, s28
	s_sub_i32 s3, s3, s28
	s_abs_i32 s28, s3
	v_cvt_f32_u32_e32 v1, s28
	s_sub_i32 s27, 0, s28
	s_abs_i32 s26, s33
	s_xor_b32 s3, s33, s3
	v_rcp_iflag_f32_e32 v1, v1
	s_ashr_i32 s3, s3, 31
	s_load_dwordx2 s[34:35], s[0:1], 0x80
	s_mul_hi_i32 s50, s33, s16
	v_mul_f32_e32 v1, 0x4f7ffffe, v1
	v_cvt_u32_f32_e32 v1, v1
	s_mul_i32 s51, s33, s16
	v_lshrrev_b32_e32 v90, 3, v86
	v_lshlrev_b32_e32 v89, 3, v0
	v_readfirstlane_b32 s29, v1
	s_mul_i32 s27, s27, s29
	s_mul_hi_u32 s27, s29, s27
	s_add_i32 s29, s29, s27
	s_mul_hi_u32 s27, s26, s29
	s_mul_i32 s29, s27, s28
	s_sub_i32 s26, s26, s29
	s_add_i32 s29, s27, 1
	s_sub_i32 s30, s26, s28
	s_cmp_ge_u32 s26, s28
	s_cselect_b32 s27, s29, s27
	s_cselect_b32 s26, s30, s26
	s_add_i32 s29, s27, 1
	s_cmp_ge_u32 s26, s28
	s_cselect_b32 s26, s29, s27
	s_xor_b32 s26, s26, s3
	v_lshlrev_b32_e32 v1, 4, v87
	s_sub_i32 s52, s26, s3
	v_or_b32_e32 v91, v2, v1
	s_lshl_b32 s36, s2, 6
	v_or_b32_e32 v92, 64, v91
	s_cmp_lt_i32 s49, 64
	s_mul_i32 s44, s24, s21
	s_mul_hi_u32 s45, s24, s20
	s_mul_i32 s46, s25, s20
	s_mul_i32 s20, s24, s20
	v_mov_b32_e32 v46, v47
	v_mov_b32_e32 v53, v47
	;; [unrolled: 1-line block ×31, first 2 shown]
	s_cbranch_scc1 .LBB199_18
; %bb.1:
	s_ashr_i32 s55, s33, 31
	s_ashr_i32 s3, s38, 31
	s_add_u32 s2, s51, s38
	s_addc_u32 s3, s50, s3
	s_lshl_b64 s[2:3], s[2:3], 8
	v_and_b32_e32 v94, 56, v89
	s_add_u32 s24, s6, s2
	v_lshl_or_b32 v93, v87, 3, v90
	v_lshlrev_b32_e32 v3, 1, v94
	s_addc_u32 s2, s7, s3
	v_lshl_or_b32 v95, v93, 8, v3
	s_and_b32 s25, s2, 0xffff
	s_mov_b32 s27, 0x20000
	s_movk_i32 s26, 0x4000
	s_movk_i32 s2, 0x80
	v_or_b32_e32 v96, 0x2000, v95
	buffer_load_dwordx4 v[4:7], v95, s[24:27], 0 offen
	buffer_load_dwordx4 v[8:11], v95, s[24:27], s2 offen
	;; [unrolled: 1-line block ×4, first 2 shown]
	v_lshlrev_b32_e32 v20, 3, v93
	v_and_or_b32 v22, v0, 7, v20
	v_and_b32_e32 v20, 0x78, v20
	v_lshlrev_b32_e32 v22, 4, v22
	v_xor_b32_e32 v97, v22, v20
	v_mul_lo_u32 v21, v93, s19
	v_or_b32_e32 v98, 0x1000, v97
	s_cmpk_eq_i32 s19, 0x80
	s_mov_b32 s53, s17
	s_mov_b32 s54, s38
	v_xor_b32_e32 v20, 8, v97
	v_xor_b32_e32 v22, 8, v98
	s_cselect_b64 s[2:3], -1, 0
	s_cmpk_lg_i32 s19, 0x80
	s_waitcnt vmcnt(3)
	ds_write_b64 v97, v[4:5] offset:49152
	ds_write_b64 v20, v[6:7] offset:49152
	s_waitcnt vmcnt(2)
	ds_write_b64 v97, v[8:9] offset:57344
	ds_write_b64 v20, v[10:11] offset:57344
	;; [unrolled: 3-line block ×4, first 2 shown]
	v_lshl_add_u32 v4, v21, 1, v94
	s_cbranch_scc0 .LBB199_3
; %bb.2:
	v_lshlrev_b32_e32 v6, 1, v4
	v_add_lshl_u32 v5, v4, s19, 1
	s_lshl_b32 s26, s19, 7
	s_load_dwordx2 s[40:41], s[0:1], 0x20
	v_lshl_or_b32 v3, v93, 9, v3
	s_cbranch_execz .LBB199_4
	s_branch .LBB199_5
.LBB199_3:
                                        ; implicit-def: $vgpr5
                                        ; implicit-def: $vgpr6
                                        ; implicit-def: $sgpr26
	s_load_dwordx2 s[40:41], s[0:1], 0x20
	v_lshl_or_b32 v3, v93, 9, v3
.LBB199_4:
	v_or_b32_e32 v5, 0x100, v3
	s_movk_i32 s26, 0x4000
	v_mov_b32_e32 v6, v3
.LBB199_5:
	s_mul_i32 s0, s38, s18
	s_ashr_i32 s56, s52, 31
	s_mul_hi_i32 s1, s38, s18
	s_add_u32 s0, s0, s52
	s_addc_u32 s1, s1, s56
	s_lshl_b64 s[0:1], s[0:1], 8
	s_add_u32 s24, s4, s0
	s_addc_u32 s0, s5, s1
	s_and_b32 s25, s0, 0xffff
	s_movk_i32 s57, 0x80
	buffer_load_dwordx4 v[8:11], v6, s[24:27], 0 offen
	buffer_load_dwordx4 v[12:15], v6, s[24:27], s57 offen
	;; [unrolled: 1-line block ×4, first 2 shown]
	v_and_b32_e32 v5, 6, v0
	v_lshlrev_b32_e32 v6, 7, v91
	v_xor_b32_e32 v28, v93, v5
	v_and_b32_e32 v7, 1, v0
	v_lshl_or_b32 v31, v45, 3, v6
	v_lshlrev_b32_e32 v28, 2, v28
	v_lshlrev_b32_e32 v24, 2, v45
	v_or_b32_e32 v99, 0x4000, v31
	v_or_b32_e32 v100, 0x6000, v31
	v_xor_b32_e32 v31, 0x440, v28
	v_cmp_eq_u32_e32 vcc, 0, v7
	v_or_b32_e32 v26, 16, v45
	v_or_b32_e32 v27, 32, v45
	v_xor_b32_e32 v29, v91, v24
	v_xor_b32_e32 v30, v92, v24
	v_cndmask_b32_e32 v7, v31, v28, vcc
	s_add_i32 s0, s45, s44
	s_mov_b32 s58, 0x1000504
	v_lshl_or_b32 v32, v26, 3, v6
	v_lshlrev_b32_e32 v26, 8, v26
	v_lshl_or_b32 v33, v27, 3, v6
	v_lshlrev_b32_e32 v29, 1, v29
	v_lshlrev_b32_e32 v30, 1, v30
	v_lshl_or_b32 v5, v5, 10, v7
	s_add_i32 s21, s0, s46
	s_mul_i32 s0, s33, s23
	s_mul_hi_u32 s1, s33, s22
	s_mov_b32 s59, 0x3020706
	v_lshlrev_b32_e32 v25, 8, v45
	v_or_b32_e32 v103, 0x4000, v33
	v_or_b32_e32 v104, 0x6000, v33
	;; [unrolled: 1-line block ×4, first 2 shown]
	v_xor_b32_e32 v7, 8, v5
	v_xor_b32_e32 v26, 24, v5
	v_xor_b32_e32 v31, 40, v5
	v_xor_b32_e32 v33, 56, v5
	s_add_i32 s0, s1, s0
	s_mul_i32 s1, s55, s22
	v_or_b32_e32 v101, 0x4000, v32
	v_or_b32_e32 v102, 0x6000, v32
	;; [unrolled: 1-line block ×4, first 2 shown]
	v_xor_b32_e32 v25, 16, v5
	v_xor_b32_e32 v28, 32, v5
	;; [unrolled: 1-line block ×3, first 2 shown]
	v_add_u32_e32 v7, 0x80, v7
	v_add_u32_e32 v26, 0x80, v26
	;; [unrolled: 1-line block ×4, first 2 shown]
	s_add_i32 s1, s0, s1
	s_lshl_b64 s[24:25], s[20:21], 2
	s_mul_i32 s0, s33, s22
	s_add_u32 s21, s10, s24
	s_addc_u32 s24, s11, s25
	s_lshl_b64 s[0:1], s[0:1], 2
	s_add_u32 s42, s21, s0
	s_movk_i32 s0, 0xf8
	s_addc_u32 s43, s24, s1
	s_ashr_i32 s37, s36, 31
	s_lshl_b32 s30, s19, 7
	v_mov_b32_e32 v79, 0
	s_movk_i32 s21, 0x100
	v_lshlrev_b32_e32 v78, 4, v45
	v_lshlrev_b32_e32 v27, 8, v27
	s_mov_b32 s61, 0
	s_movk_i32 s26, 0x4000
	v_or_b32_e32 v109, v27, v29
	v_or_b32_e32 v110, v27, v30
	v_add_u32_e32 v136, v1, v2
	s_movk_i32 s60, 0x3000
	v_mov_b32_e32 v146, 0x3fb8aa3b
	v_mov_b32_e32 v70, v79
	;; [unrolled: 1-line block ×7, first 2 shown]
	s_waitcnt vmcnt(1)
	v_perm_b32 v34, v8, v16, s58
	s_waitcnt vmcnt(0)
	v_perm_b32 v35, v12, v20, s58
	v_perm_b32 v8, v8, v16, s59
	;; [unrolled: 1-line block ×15, first 2 shown]
	ds_write2st64_b32 v5, v34, v35 offset0:128 offset1:160
	ds_write2st64_b32 v7, v8, v12 offset0:128 offset1:160
	;; [unrolled: 1-line block ×8, first 2 shown]
	v_or_b32_e32 v5, 48, v45
	v_lshl_or_b32 v7, v5, 3, v6
	v_lshlrev_b32_e32 v5, 8, v5
	v_or_b32_e32 v113, v5, v29
	v_or_b32_e32 v114, v5, v30
	;; [unrolled: 1-line block ×3, first 2 shown]
	v_lshlrev_b32_e32 v5, 3, v5
	v_lshrrev_b32_e32 v9, 5, v86
	v_and_or_b32 v9, v5, s0, v9
	v_lshlrev_b32_e32 v9, 4, v9
	v_lshlrev_b32_e32 v11, 11, v87
	v_and_b32_e32 v5, 0x78, v5
	v_or_b32_e32 v14, 32, v9
	v_and_b32_e32 v8, 0x1000, v11
	v_xor_b32_e32 v10, v9, v5
	v_lshrrev_b32_e32 v12, 1, v86
	v_xor_b32_e32 v14, v14, v5
	v_or_b32_e32 v10, v10, v8
	v_and_b32_e32 v12, 8, v12
	v_or_b32_e32 v14, v14, v8
	v_xor_b32_e32 v115, v10, v12
	v_lshlrev_b32_e32 v10, 8, v88
	v_xor_b32_e32 v117, v14, v12
	v_or_b32_e32 v14, 64, v9
	v_or_b32_e32 v9, 0x60, v9
	;; [unrolled: 1-line block ×3, first 2 shown]
	v_xor_b32_e32 v14, v14, v5
	v_xor_b32_e32 v5, v9, v5
	v_lshlrev_b32_e32 v13, 1, v13
	v_or_b32_e32 v14, v14, v8
	v_or_b32_e32 v5, v5, v8
	s_lshl_b64 s[0:1], s[36:37], 8
	v_or_b32_e32 v116, 0x4000, v13
	v_or_b32_e32 v118, 0x4080, v13
	;; [unrolled: 1-line block ×4, first 2 shown]
	v_xor_b32_e32 v121, v14, v12
	v_xor_b32_e32 v122, v5, v12
	v_or_b32_e32 v123, 0x6000, v13
	v_or_b32_e32 v124, 0x6080, v13
	;; [unrolled: 1-line block ×4, first 2 shown]
	v_lshlrev_b32_e32 v12, 1, v4
	v_add_lshl_u32 v13, v4, s19, 1
	s_add_u32 s0, s12, s0
	v_lshlrev_b32_e32 v4, 1, v45
	v_lshrrev_b32_e32 v15, 4, v0
	s_addc_u32 s1, s13, s1
	v_or_b32_e32 v5, 1, v4
	v_lshlrev_b32_e32 v18, 2, v0
	v_or_b32_e32 v14, 0x100, v3
	v_xor_b32_e32 v16, v15, v4
	v_xor_b32_e32 v17, v5, v15
	v_lshl_add_u64 v[4:5], s[0:1], 0, v[78:79]
	v_lshlrev_b32_e32 v78, 8, v15
	v_lshrrev_b32_e32 v19, 1, v0
	v_and_or_b32 v10, v18, 60, v10
	v_cndmask_b32_e64 v133, v12, v3, s[2:3]
	v_mov_b32_e32 v3, 0xa000
	v_mov_b32_e32 v12, 0x8000
	v_cmp_gt_u32_e64 s[0:1], s21, v0
	v_lshl_or_b32 v127, v16, 3, v78
	v_and_b32_e32 v16, 8, v0
	v_and_b32_e32 v19, 24, v19
	v_lshlrev_b32_e32 v10, 1, v10
	v_cndmask_b32_e64 v3, v3, v12, s[0:1]
	v_lshlrev_b32_e32 v12, 3, v87
	v_or_b32_e32 v129, 0x6000, v10
	v_or_b32_e32 v130, 0x6080, v10
	;; [unrolled: 1-line block ×4, first 2 shown]
	v_mov_b32_e32 v10, 0x400
	v_cmp_eq_u32_e32 vcc, 0, v16
	v_cndmask_b32_e64 v134, v13, v14, s[2:3]
	v_xor_b32_e32 v13, v12, v19
	v_and_b32_e32 v15, 7, v0
	v_cndmask_b32_e64 v16, v10, 64, vcc
	v_or_b32_e32 v14, 0x440, v13
	v_lshl_or_b32 v128, v17, 3, v78
	v_lshlrev_b32_e32 v17, 3, v15
	v_or_b32_e32 v18, 32, v19
	v_or_b32_e32 v20, 0x60, v19
	v_cndmask_b32_e32 v14, v14, v13, vcc
	v_or3_b32 v13, v11, v16, v13
	v_lshlrev_b32_e32 v15, 7, v15
	v_xor_b32_e32 v18, v12, v18
	v_xor_b32_e32 v13, v13, v17
	;; [unrolled: 1-line block ×3, first 2 shown]
	v_or_b32_e32 v21, 0x440, v18
	v_or_b32_e32 v135, v13, v15
	v_xor_b32_e32 v13, 0x440, v12
	v_cndmask_b32_e32 v18, v21, v18, vcc
	v_cndmask_b32_e32 v12, v13, v12, vcc
	v_or_b32_e32 v111, 0x4000, v7
	v_or_b32_e32 v112, 0x6000, v7
	v_lshrrev_b32_e32 v7, 2, v86
	v_or_b32_e32 v8, s36, v45
	v_or_b32_e32 v14, v14, v11
	;; [unrolled: 1-line block ×4, first 2 shown]
	v_and_b32_e32 v7, 12, v7
	v_ashrrev_i32_e32 v9, 31, v8
	v_xor_b32_e32 v14, v14, v17
	v_xor_b32_e32 v18, v18, v17
	;; [unrolled: 1-line block ×3, first 2 shown]
	v_or_b32_e32 v10, v1, v7
	v_add_u32_e32 v19, v3, v14
	v_add_u32_e32 v21, v3, v18
	;; [unrolled: 1-line block ×3, first 2 shown]
	v_or3_b32 v12, v1, v7, 64
	v_add_u32_e32 v7, 0xa000, v14
	v_add_u32_e32 v14, 0xa000, v18
	;; [unrolled: 1-line block ×3, first 2 shown]
	v_lshlrev_b64 v[8:9], 1, v[8:9]
	v_lshl_add_u64 v[80:81], s[8:9], 0, v[8:9]
	v_lshl_add_u64 v[82:83], s[14:15], 0, v[8:9]
	;; [unrolled: 1-line block ×3, first 2 shown]
	s_mov_b32 s21, 0x7060302
	v_lshlrev_b32_e32 v78, 1, v6
	s_movk_i32 s37, 0x2000
	v_lshlrev_b32_e32 v137, 2, v10
	v_add_u32_e32 v138, v19, v15
	v_add_u32_e32 v139, v21, v15
	;; [unrolled: 1-line block ×4, first 2 shown]
	v_lshlrev_b32_e32 v142, 2, v12
	v_add_u32_e32 v143, v7, v15
	v_add_u32_e32 v144, v14, v15
	;; [unrolled: 1-line block ×3, first 2 shown]
	v_mov_b32_e32 v76, v79
	v_mov_b32_e32 v77, v79
	;; [unrolled: 1-line block ×26, first 2 shown]
	s_waitcnt lgkmcnt(0)
	s_barrier
.LBB199_6:                              ; =>This Inner Loop Header: Depth=1
	s_add_i32 s62, s61, 1
	s_cmp_lt_i32 s62, s47
	s_mov_b64 s[28:29], 0
	s_cselect_b64 s[2:3], -1, 0
	s_cmp_ge_i32 s62, s47
	s_mov_b64 s[24:25], 0
	s_cbranch_scc1 .LBB199_8
; %bb.7:                                ;   in Loop: Header=BB199_6 Depth=1
	s_add_i32 s0, s54, 64
	s_ashr_i32 s1, s0, 31
	s_add_u32 s0, s51, s0
	s_addc_u32 s1, s50, s1
	s_lshl_b64 s[0:1], s[0:1], 8
	s_add_u32 s24, s6, s0
	s_addc_u32 s25, s7, s1
.LBB199_8:                              ;   in Loop: Header=BB199_6 Depth=1
	v_cndmask_b32_e64 v2, 0, 1, s[2:3]
	v_cmp_ne_u32_e64 s[0:1], 1, v2
	s_andn2_b64 vcc, exec, s[2:3]
	s_cbranch_vccnz .LBB199_10
; %bb.9:                                ;   in Loop: Header=BB199_6 Depth=1
	s_add_i32 s2, s54, 64
	s_mul_hi_i32 s3, s2, s18
	s_mul_i32 s2, s2, s18
	s_add_u32 s2, s2, s52
	s_addc_u32 s3, s3, s56
	s_lshl_b64 s[2:3], s[2:3], 8
	s_add_u32 s28, s4, s2
	s_addc_u32 s29, s5, s3
.LBB199_10:                             ;   in Loop: Header=BB199_6 Depth=1
	v_perm_b32 v3, v77, v76, s21
	v_perm_b32 v2, v75, v74, s21
	v_perm_b32 v5, v73, v72, s21
	v_perm_b32 v4, v71, v70, s21
	ds_write_b64 v99, v[2:3]
	ds_write_b64 v100, v[4:5]
	ds_write_b64 v105, v[2:3]
	ds_write_b64 v106, v[4:5]
	v_perm_b32 v3, v69, v68, s21
	v_perm_b32 v2, v67, v66, s21
	v_perm_b32 v5, v65, v64, s21
	v_perm_b32 v4, v63, v62, s21
	ds_write_b64 v101, v[2:3]
	ds_write_b64 v102, v[4:5]
	ds_write_b64 v107, v[2:3]
	ds_write_b64 v108, v[4:5]
	;; [unrolled: 8-line block ×4, first 2 shown]
	s_waitcnt lgkmcnt(0)
	s_barrier
	ds_read_b64 v[6:7], v115 offset:49152
	ds_read2_b64 v[2:5], v116 offset1:16
	ds_read_b64 v[18:19], v118 offset:6144
	ds_read_b64 v[20:21], v116 offset:6144
	s_waitcnt lgkmcnt(2)
	v_mfma_f32_16x16x16_bf16 a[0:3], v[6:7], v[2:3], 0
	ds_read_b64 v[22:23], v117 offset:49152
	ds_read2st64_b64 v[10:13], v119 offset0:4 offset1:8
	ds_read2st64_b64 v[14:17], v120 offset0:4 offset1:8
	v_mfma_f32_16x16x16_bf16 a[4:7], v[6:7], v[4:5], 0
	ds_read2_b64 v[2:5], v116 offset0:32 offset1:48
	s_add_i32 s63, s54, 63
	s_ashr_i32 s2, s63, 31
	s_waitcnt lgkmcnt(0)
	v_mfma_f32_16x16x16_bf16 a[8:11], v[6:7], v[2:3], 0
	s_mul_i32 s3, s63, s35
	s_mul_hi_u32 s31, s63, s34
	s_add_i32 s3, s31, s3
	v_mfma_f32_16x16x16_bf16 a[12:15], v[6:7], v[4:5], 0
	ds_read2st64_b64 v[2:5], v116 offset0:4 offset1:8
	ds_read2st64_b64 v[6:9], v118 offset0:4 offset1:8
	s_mul_i32 s2, s2, s34
	s_waitcnt lgkmcnt(1)
	v_mfma_f32_16x16x16_bf16 a[0:3], v[22:23], v[2:3], a[0:3]
	s_add_i32 s3, s3, s2
	s_mul_i32 s2, s63, s34
	s_lshl_b64 s[2:3], s[2:3], 2
	s_waitcnt lgkmcnt(0)
	v_mfma_f32_16x16x16_bf16 a[4:7], v[22:23], v[6:7], a[4:7]
	s_add_u32 s2, s42, s2
	s_addc_u32 s3, s43, s3
	s_and_b64 vcc, exec, s[0:1]
	v_mfma_f32_16x16x16_bf16 a[8:11], v[22:23], v[10:11], a[8:11]
	ds_read_b64 v[2:3], v121 offset:49152
	ds_read_b64 v[6:7], v122 offset:49152
	ds_read_b64 v[10:11], v120 offset:6144
	v_mov_b32_e32 v149, 0
	v_mov_b32_e32 v148, 0
	v_mfma_f32_16x16x16_bf16 a[12:15], v[22:23], v[14:15], a[12:15]
	v_mov_b32_e32 v147, 0
	v_mov_b32_e32 v14, 0
	;; [unrolled: 1-line block ×3, first 2 shown]
	s_waitcnt lgkmcnt(2)
	v_mfma_f32_16x16x16_bf16 a[0:3], v[2:3], v[4:5], a[0:3]
	v_mov_b32_e32 v4, 0
	v_mov_b32_e32 v5, 0
	v_mfma_f32_16x16x16_bf16 a[4:7], v[2:3], v[8:9], a[4:7]
	v_mov_b32_e32 v8, 0
	v_mov_b32_e32 v9, 0
	;; [unrolled: 3-line block ×3, first 2 shown]
	v_mfma_f32_16x16x16_bf16 a[12:15], v[2:3], v[16:17], a[12:15]
	ds_read_b64 v[2:3], v119 offset:6144
	v_mov_b32_e32 v16, 0
	v_mov_b32_e32 v17, 0
	s_waitcnt lgkmcnt(2)
	v_mfma_f32_16x16x16_bf16 a[0:3], v[6:7], v[20:21], a[0:3]
	v_mfma_f32_16x16x16_bf16 a[4:7], v[6:7], v[18:19], a[4:7]
	s_waitcnt lgkmcnt(0)
	v_mfma_f32_16x16x16_bf16 a[8:11], v[6:7], v[2:3], a[8:11]
	v_mov_b32_e32 v2, 0
	v_mov_b32_e32 v3, 0
	v_mfma_f32_16x16x16_bf16 a[12:15], v[6:7], v[10:11], a[12:15]
	v_mov_b32_e32 v6, 0
	v_mov_b32_e32 v7, 0
	;; [unrolled: 1-line block ×4, first 2 shown]
	s_cbranch_vccnz .LBB199_12
; %bb.11:                               ;   in Loop: Header=BB199_6 Depth=1
	s_and_b32 s25, s25, 0xffff
	buffer_load_dwordx4 v[14:17], v95, s[24:27], 0 offen
	buffer_load_dwordx4 v[10:13], v95, s[24:27], s57 offen
	;; [unrolled: 1-line block ×4, first 2 shown]
	v_mov_b32_e32 v148, v97
	v_mov_b32_e32 v147, v98
.LBB199_12:                             ;   in Loop: Header=BB199_6 Depth=1
	ds_read_b64 v[38:39], v115 offset:57344
	ds_read2_b64 v[18:21], v123 offset1:16
	ds_read_b64 v[40:41], v117 offset:57344
	ds_read_b64 v[42:43], v121 offset:57344
	;; [unrolled: 1-line block ×3, first 2 shown]
	s_waitcnt lgkmcnt(3)
	v_mfma_f32_16x16x16_bf16 a[0:3], v[38:39], v[18:19], a[0:3]
	v_mfma_f32_16x16x16_bf16 a[4:7], v[38:39], v[20:21], a[4:7]
	ds_read2_b64 v[18:21], v123 offset0:32 offset1:48
	ds_read2st64_b64 v[22:25], v123 offset0:4 offset1:8
	ds_read2st64_b64 v[26:29], v124 offset0:4 offset1:8
	;; [unrolled: 1-line block ×4, first 2 shown]
	s_waitcnt lgkmcnt(4)
	v_mfma_f32_16x16x16_bf16 a[8:11], v[38:39], v[18:19], a[8:11]
	v_mfma_f32_16x16x16_bf16 a[12:15], v[38:39], v[20:21], a[12:15]
	v_add_u32_e32 v38, s54, v136
	v_ashrrev_i32_e32 v18, 31, v38
	v_mul_lo_u32 v20, v18, s34
	v_mul_lo_u32 v21, v38, s35
	v_mad_u64_u32 v[18:19], s[24:25], v38, s34, 0
	v_add3_u32 v19, v19, v21, v20
	v_add_u32_e32 v20, 1, v38
	v_ashrrev_i32_e32 v21, 31, v20
	s_waitcnt lgkmcnt(3)
	v_mfma_f32_16x16x16_bf16 a[0:3], v[40:41], v[22:23], a[0:3]
	v_mul_lo_u32 v22, v21, s34
	v_mul_lo_u32 v23, v20, s35
	v_mad_u64_u32 v[20:21], s[24:25], v20, s34, 0
	v_add3_u32 v21, v21, v23, v22
	v_add_u32_e32 v22, 2, v38
	v_ashrrev_i32_e32 v23, 31, v22
	s_waitcnt lgkmcnt(2)
	v_mfma_f32_16x16x16_bf16 a[4:7], v[40:41], v[26:27], a[4:7]
	v_mul_lo_u32 v26, v23, s34
	v_mul_lo_u32 v27, v22, s35
	v_mad_u64_u32 v[22:23], s[24:25], v22, s34, 0
	v_lshl_add_u64 v[18:19], v[18:19], 2, s[42:43]
	v_lshl_add_u64 v[20:21], v[20:21], 2, s[42:43]
	v_add3_u32 v23, v23, v27, v26
	v_add_u32_e32 v26, 3, v38
	s_waitcnt lgkmcnt(1)
	v_mfma_f32_16x16x16_bf16 a[8:11], v[40:41], v[30:31], a[8:11]
	global_load_dword v31, v[18:19], off
	v_ashrrev_i32_e32 v27, 31, v26
	v_mul_lo_u32 v27, v27, s34
	s_waitcnt lgkmcnt(0)
	v_mfma_f32_16x16x16_bf16 a[12:15], v[40:41], v[34:35], a[12:15]
	global_load_dword v34, v[20:21], off
	v_mad_u64_u32 v[18:19], s[24:25], v26, s34, 0
	s_ashr_i32 s25, s54, 31
	v_mul_lo_u32 v30, v26, s35
	s_add_u32 s24, s51, s54
	v_lshl_add_u64 v[22:23], v[22:23], 2, s[42:43]
	v_add3_u32 v19, v19, v30, v27
	s_addc_u32 s25, s50, s25
	v_lshl_add_u64 v[18:19], v[18:19], 2, s[42:43]
	global_load_dword v30, v[22:23], off
	global_load_dword v35, v[18:19], off
	s_lshl_b64 s[24:25], s[24:25], 8
	v_lshl_add_u64 v[18:19], v[80:81], 0, s[24:25]
	v_lshl_add_u64 v[18:19], v[18:19], 0, v[78:79]
	global_load_ushort v38, v[18:19], off offset:256
	global_load_ushort v39, v[18:19], off
	global_load_ushort v40, v[18:19], off offset:768
	global_load_ushort v41, v[18:19], off offset:512
	;; [unrolled: 1-line block ×6, first 2 shown]
	s_load_dword s2, s[2:3], 0x0
	v_mfma_f32_16x16x16_bf16 a[12:15], v[42:43], v[36:37], a[12:15]
	global_load_ushort v36, v[18:19], off offset:320
	global_load_ushort v37, v[18:19], off offset:64
	s_and_b64 vcc, exec, s[0:1]
	v_mfma_f32_16x16x16_bf16 a[0:3], v[42:43], v[24:25], a[0:3]
	ds_read_b64 v[20:21], v123 offset:6144
	ds_read_b64 v[22:23], v124 offset:6144
	;; [unrolled: 1-line block ×4, first 2 shown]
	v_mfma_f32_16x16x16_bf16 a[4:7], v[42:43], v[28:29], a[4:7]
	s_waitcnt vmcnt(11) lgkmcnt(0)
	v_sub_f32_e32 v28, s2, v30
	v_mfma_f32_16x16x16_bf16 a[8:11], v[42:43], v[32:33], a[8:11]
	global_load_ushort v42, v[18:19], off offset:832
	global_load_ushort v43, v[18:19], off offset:576
	;; [unrolled: 1-line block ×6, first 2 shown]
	v_mfma_f32_16x16x16_bf16 a[0:3], v[150:151], v[20:21], a[0:3]
	s_waitcnt vmcnt(16)
	v_sub_f32_e32 v29, s2, v35
	v_mul_f32_e32 v28, 0x3fb8aa3b, v28
	v_mul_f32_e32 v29, 0x3fb8aa3b, v29
	v_exp_f32_e32 v28, v28
	v_exp_f32_e32 v29, v29
	s_waitcnt vmcnt(15)
	v_lshlrev_b32_e32 v33, 16, v38
	s_waitcnt vmcnt(14)
	v_lshlrev_b32_e32 v32, 16, v39
	v_accvgpr_read_b32 v21, a3
	v_accvgpr_read_b32 v20, a2
	v_mfma_f32_16x16x16_bf16 a[2:5], v[150:151], v[22:23], a[4:7]
	v_mfma_f32_16x16x16_bf16 a[6:9], v[150:151], v[24:25], a[8:11]
	s_nop 5
	v_accvgpr_read_b32 v23, a5
	v_accvgpr_read_b32 v22, a4
	;; [unrolled: 1-line block ×4, first 2 shown]
	v_mfma_f32_16x16x16_bf16 a[8:11], v[150:151], v[26:27], a[12:15]
	v_sub_f32_e32 v26, s2, v31
	v_sub_f32_e32 v27, s2, v34
	v_mul_f32_e32 v26, 0x3fb8aa3b, v26
	v_mul_f32_e32 v27, 0x3fb8aa3b, v27
	v_exp_f32_e32 v26, v26
	v_exp_f32_e32 v27, v27
	v_accvgpr_read_b32 v35, a1
	v_accvgpr_read_b32 v34, a0
	v_lshl_add_u64 v[30:31], v[82:83], 0, s[24:25]
	v_pk_add_f32 v[32:33], v[32:33], v[34:35] neg_lo:[0,1] neg_hi:[0,1]
	s_waitcnt vmcnt(13)
	v_lshlrev_b32_e32 v35, 16, v40
	s_waitcnt vmcnt(12)
	v_lshlrev_b32_e32 v34, 16, v41
	v_lshl_add_u64 v[30:31], v[30:31], 0, v[78:79]
	v_pk_add_f32 v[20:21], v[34:35], v[20:21] neg_lo:[0,1] neg_hi:[0,1]
	global_store_short_d16_hi v[30:31], v32, off
	global_store_short_d16_hi v[30:31], v33, off offset:256
	global_store_short_d16_hi v[30:31], v20, off offset:512
	;; [unrolled: 1-line block ×3, first 2 shown]
	v_pk_mul_f32 v[32:33], v[26:27], v[32:33]
	v_pk_mul_f32 v[20:21], v[28:29], v[20:21]
	v_accvgpr_read_b32 v35, a3
	v_perm_b32 v21, v21, v20, s21
	v_perm_b32 v20, v33, v32, s21
	s_waitcnt vmcnt(15)
	v_lshlrev_b32_e32 v33, 16, v44
	s_waitcnt vmcnt(14)
	v_lshlrev_b32_e32 v32, 16, v152
	v_accvgpr_read_b32 v34, a2
	v_pk_add_f32 v[32:33], v[32:33], v[34:35] neg_lo:[0,1] neg_hi:[0,1]
	s_waitcnt vmcnt(13)
	v_lshlrev_b32_e32 v35, 16, v153
	s_waitcnt vmcnt(12)
	v_lshlrev_b32_e32 v34, 16, v154
	v_pk_add_f32 v[22:23], v[34:35], v[22:23] neg_lo:[0,1] neg_hi:[0,1]
	global_store_short_d16_hi v[30:31], v32, off offset:32
	global_store_short_d16_hi v[30:31], v33, off offset:288
	;; [unrolled: 1-line block ×4, first 2 shown]
	v_pk_mul_f32 v[32:33], v[26:27], v[32:33]
	v_pk_mul_f32 v[22:23], v[28:29], v[22:23]
	v_accvgpr_read_b32 v25, a11
	v_perm_b32 v23, v23, v22, s21
	v_perm_b32 v22, v33, v32, s21
	ds_write2_b64 v100, v[20:21], v[22:23] offset1:16
	v_accvgpr_read_b32 v23, a7
	s_waitcnt vmcnt(15)
	v_lshlrev_b32_e32 v21, 16, v36
	s_waitcnt vmcnt(14)
	v_lshlrev_b32_e32 v20, 16, v37
	v_accvgpr_read_b32 v22, a6
	v_pk_add_f32 v[20:21], v[20:21], v[22:23] neg_lo:[0,1] neg_hi:[0,1]
	global_store_short_d16_hi v[30:31], v20, off offset:64
	global_store_short_d16_hi v[30:31], v21, off offset:320
	v_pk_mul_f32 v[20:21], v[26:27], v[20:21]
	v_accvgpr_read_b32 v24, a10
	v_perm_b32 v20, v21, v20, s21
	v_mov_b32_e32 v150, 0
	v_mov_b32_e32 v32, 0
	;; [unrolled: 1-line block ×3, first 2 shown]
	s_waitcnt vmcnt(15)
	v_lshlrev_b32_e32 v23, 16, v42
	s_waitcnt vmcnt(14)
	v_lshlrev_b32_e32 v22, 16, v43
	v_pk_add_f32 v[18:19], v[22:23], v[18:19] neg_lo:[0,1] neg_hi:[0,1]
	global_store_short_d16_hi v[30:31], v18, off offset:576
	global_store_short_d16_hi v[30:31], v19, off offset:832
	v_pk_mul_f32 v[18:19], v[28:29], v[18:19]
	v_accvgpr_read_b32 v23, a9
	v_perm_b32 v21, v19, v18, s21
	s_waitcnt vmcnt(15)
	v_lshlrev_b32_e32 v19, 16, v155
	s_waitcnt vmcnt(14)
	v_lshlrev_b32_e32 v18, 16, v156
	v_accvgpr_read_b32 v22, a8
	v_pk_add_f32 v[18:19], v[18:19], v[22:23] neg_lo:[0,1] neg_hi:[0,1]
	s_waitcnt vmcnt(13)
	v_lshlrev_b32_e32 v23, 16, v157
	s_waitcnt vmcnt(12)
	v_lshlrev_b32_e32 v22, 16, v158
	v_pk_add_f32 v[22:23], v[22:23], v[24:25] neg_lo:[0,1] neg_hi:[0,1]
	global_store_short_d16_hi v[30:31], v18, off offset:96
	global_store_short_d16_hi v[30:31], v19, off offset:352
	;; [unrolled: 1-line block ×4, first 2 shown]
	v_pk_mul_f32 v[18:19], v[26:27], v[18:19]
	v_pk_mul_f32 v[22:23], v[28:29], v[22:23]
	v_mov_b32_e32 v24, 0
	v_perm_b32 v23, v23, v22, s21
	v_perm_b32 v22, v19, v18, s21
	ds_write2_b64 v100, v[20:21], v[22:23] offset0:32 offset1:48
	v_mov_b32_e32 v18, 0
	v_mov_b32_e32 v19, 0
	;; [unrolled: 1-line block ×13, first 2 shown]
	s_cbranch_vccnz .LBB199_14
; %bb.13:                               ;   in Loop: Header=BB199_6 Depth=1
	s_and_b32 s29, s29, 0xffff
	s_mov_b32 s31, s27
	buffer_load_dwordx4 v[30:33], v133, s[28:31], 0 offen
	buffer_load_dwordx4 v[22:25], v133, s[28:31], s57 offen
	;; [unrolled: 1-line block ×4, first 2 shown]
	v_mov_b32_e32 v149, v94
	v_mov_b32_e32 v150, v93
.LBB199_14:                             ;   in Loop: Header=BB199_6 Depth=1
	s_waitcnt lgkmcnt(0)
	s_barrier
	ds_read_b64 v[42:43], v138
	ds_read2_b64 v[34:37], v129 offset1:16
	ds_read_b64 v[168:169], v139
	ds_read_b64 v[170:171], v140
	ds_read_b64 v[172:173], v141
	ds_read2_b64 v[38:41], v129 offset0:32 offset1:48
	ds_read2st64_b64 v[152:155], v129 offset0:4 offset1:8
	ds_read2st64_b64 v[156:159], v130 offset0:4 offset1:8
	ds_read2st64_b64 v[160:163], v131 offset0:4 offset1:8
	ds_read2st64_b64 v[164:167], v132 offset0:4 offset1:8
	s_waitcnt lgkmcnt(8)
	v_mfma_f32_16x16x16_bf16 a[0:3], v[42:43], v[34:35], 0
	s_add_i32 s3, s48, s61
	s_mul_hi_i32 s25, s3, s53
	s_mul_i32 s3, s3, s53
	v_mfma_f32_16x16x16_bf16 a[4:7], v[42:43], v[36:37], 0
	s_add_u32 s24, s3, s33
	s_addc_u32 s25, s25, s55
	s_lshl_b64 s[24:25], s[24:25], 15
	s_waitcnt lgkmcnt(4)
	v_mfma_f32_16x16x16_bf16 a[8:11], v[42:43], v[38:39], 0
	s_mul_i32 s28, s63, s53
	s_mul_hi_i32 s3, s63, s53
	s_add_u32 s28, s28, s33
	v_mfma_f32_16x16x16_bf16 a[12:15], v[42:43], v[40:41], 0
	ds_read_b64 v[42:43], v129 offset:6144
	ds_read_b64 v[180:181], v130 offset:6144
	;; [unrolled: 1-line block ×4, first 2 shown]
	s_addc_u32 s29, s3, s55
	s_waitcnt lgkmcnt(7)
	v_mfma_f32_16x16x16_bf16 a[0:3], v[168:169], v[152:153], a[0:3]
	s_lshl_b64 s[28:29], s[28:29], 9
	s_add_u32 s28, s40, s28
	s_addc_u32 s29, s41, s29
	s_waitcnt lgkmcnt(6)
	v_mfma_f32_16x16x16_bf16 a[4:7], v[168:169], v[156:157], a[4:7]
	v_lshl_add_u64 v[190:191], v[84:85], 0, s[24:25]
	s_waitcnt lgkmcnt(5)
	v_mfma_f32_16x16x16_bf16 a[8:11], v[168:169], v[160:161], a[8:11]
	s_waitcnt lgkmcnt(4)
	v_mfma_f32_16x16x16_bf16 a[12:15], v[168:169], v[164:165], a[12:15]
	ds_read_b64 v[168:169], v143
	ds_read_b64 v[178:179], v144
	ds_read_b64 v[186:187], v145
	s_waitcnt lgkmcnt(2)
	v_mfma_f32_16x16x16_bf16 a[16:19], v[168:169], v[34:35], 0
	v_mfma_f32_16x16x16_bf16 a[20:23], v[168:169], v[36:37], 0
	global_load_dwordx4 v[34:37], v142, s[28:29]
	v_mfma_f32_16x16x16_bf16 a[24:27], v[168:169], v[38:39], 0
	v_mfma_f32_16x16x16_bf16 a[28:31], v[168:169], v[40:41], 0
	global_load_dwordx4 v[38:41], v137, s[28:29]
	v_mfma_f32_16x16x16_bf16 a[0:3], v[170:171], v[154:155], a[0:3]
	v_mfma_f32_16x16x16_bf16 a[4:7], v[170:171], v[158:159], a[4:7]
	;; [unrolled: 1-line block ×8, first 2 shown]
	ds_read2st64_b64 v[168:171], v127 offset1:8
	ds_read2st64_b64 v[172:175], v128 offset1:8
	ds_read_b64 v[188:189], v135 offset:40960
	s_waitcnt lgkmcnt(2)
	v_mov_b32_e32 v176, v168
	v_mfma_f32_16x16x16_bf16 a[16:19], v[178:179], v[152:153], a[16:19]
	v_mov_b32_e32 v177, v169
	v_mfma_f32_16x16x16_bf16 a[20:23], v[178:179], v[156:157], a[20:23]
	v_mfma_f32_16x16x16_bf16 a[24:27], v[178:179], v[160:161], a[24:27]
	;; [unrolled: 1-line block ×3, first 2 shown]
	v_add_co_u32_e32 v164, vcc, s37, v190
	s_waitcnt lgkmcnt(1)
	v_mov_b32_e32 v178, v172
	s_waitcnt lgkmcnt(0)
	v_mfma_f32_16x16x16_bf16 a[16:19], v[188:189], v[154:155], a[16:19]
	ds_read2st64_b64 v[152:155], v127 offset0:16 offset1:24
	v_addc_co_u32_e32 v165, vcc, 0, v191, vcc
	v_mfma_f32_16x16x16_bf16 a[20:23], v[188:189], v[158:159], a[20:23]
	ds_read2st64_b64 v[156:159], v128 offset0:16 offset1:24
	v_mov_b32_e32 v179, v173
	v_mov_b32_e32 v172, v170
	v_mfma_f32_16x16x16_bf16 a[32:35], v[188:189], v[162:163], a[24:27]
	v_mov_b32_e32 v173, v171
	s_waitcnt lgkmcnt(0)
	v_mov_b32_e32 v162, v156
	v_mov_b32_e32 v163, v157
	v_mfma_f32_16x16x16_bf16 a[36:39], v[188:189], v[166:167], a[28:31]
	v_mov_b32_e32 v156, v154
	v_mov_b32_e32 v157, v155
	;; [unrolled: 1-line block ×3, first 2 shown]
	v_mfma_f32_16x16x16_bf16 a[24:27], v[186:187], v[42:43], a[16:19]
	v_add_co_u32_e32 v42, vcc, s60, v190
	v_mov_b32_e32 v161, v153
	v_mfma_f32_16x16x16_bf16 a[28:31], v[186:187], v[180:181], a[20:23]
	v_addc_co_u32_e32 v43, vcc, 0, v191, vcc
	global_store_dwordx4 v[42:43], v[156:159], off
	v_mfma_f32_16x16x16_bf16 a[16:19], v[186:187], v[182:183], a[32:35]
	s_waitcnt vmcnt(2)
	v_mov_b32_e32 v44, v37
	v_mov_b32_e32 v43, v36
	;; [unrolled: 1-line block ×3, first 2 shown]
	v_mfma_f32_16x16x16_bf16 a[20:23], v[186:187], v[184:185], a[36:39]
	s_and_b64 vcc, exec, s[0:1]
	global_store_dwordx4 v[190:191], v[176:179], off
	global_store_dwordx4 v[164:165], v[172:175], off offset:-4096
	global_store_dwordx4 v[164:165], v[160:163], off
	s_cbranch_vccnz .LBB199_16
; %bb.15:                               ;   in Loop: Header=BB199_6 Depth=1
	v_lshrrev_b32_e32 v35, 3, v149
	v_and_b32_e32 v35, 6, v35
	v_xor_b32_e32 v36, v35, v150
	v_lshlrev_b32_e32 v36, 2, v36
	v_and_b32_e32 v37, 8, v149
	v_xor_b32_e32 v149, 0x440, v36
	v_cmp_eq_u32_e32 vcc, 0, v37
	v_perm_b32 v37, v22, v18, s58
	s_nop 0
	v_cndmask_b32_e32 v36, v149, v36, vcc
	v_lshl_or_b32 v35, v35, 10, v36
	v_perm_b32 v36, v30, v26, s58
	s_barrier
	ds_write2st64_b32 v35, v36, v37 offset0:128 offset1:160
	v_xor_b32_e32 v36, 8, v35
	v_perm_b32 v26, v30, v26, s59
	v_perm_b32 v18, v22, v18, s59
	v_add_u32_e32 v22, 0x80, v36
	ds_write2st64_b32 v22, v26, v18 offset0:128 offset1:160
	v_xor_b32_e32 v18, 16, v35
	v_perm_b32 v22, v31, v27, s58
	v_perm_b32 v26, v23, v19, s58
	ds_write2st64_b32 v18, v22, v26 offset0:129 offset1:161
	v_xor_b32_e32 v18, 24, v35
	v_perm_b32 v22, v31, v27, s59
	v_perm_b32 v19, v23, v19, s59
	v_add_u32_e32 v18, 0x80, v18
	ds_write2st64_b32 v18, v22, v19 offset0:129 offset1:161
	v_xor_b32_e32 v18, 32, v35
	v_perm_b32 v19, v32, v28, s58
	v_perm_b32 v22, v24, v20, s58
	ds_write2st64_b32 v18, v19, v22 offset0:130 offset1:162
	v_xor_b32_e32 v18, 40, v35
	v_perm_b32 v19, v32, v28, s59
	v_perm_b32 v20, v24, v20, s59
	v_add_u32_e32 v18, 0x80, v18
	ds_write2st64_b32 v18, v19, v20 offset0:130 offset1:162
	v_xor_b32_e32 v18, 48, v35
	v_perm_b32 v19, v33, v29, s58
	v_perm_b32 v20, v25, v21, s58
	ds_write2st64_b32 v18, v19, v20 offset0:131 offset1:163
	v_xor_b32_e32 v18, 56, v35
	v_perm_b32 v19, v33, v29, s59
	v_perm_b32 v20, v25, v21, s59
	v_add_u32_e32 v18, 0x80, v18
	ds_write2st64_b32 v18, v19, v20 offset0:131 offset1:163
	ds_write_b64 v148, v[14:15] offset:49152
	v_xor_b32_e32 v14, 8, v148
	ds_write_b64 v14, v[16:17] offset:49152
	ds_write_b64 v148, v[10:11] offset:57344
	;; [unrolled: 1-line block ×4, first 2 shown]
	v_xor_b32_e32 v6, 8, v147
	ds_write_b64 v6, v[8:9] offset:49152
	ds_write_b64 v147, v[2:3] offset:57344
	;; [unrolled: 1-line block ×3, first 2 shown]
.LBB199_16:                             ;   in Loop: Header=BB199_6 Depth=1
	v_mul_f32_e32 v26, s2, v146
	v_exp_f32_e32 v36, v26
	s_waitcnt vmcnt(4)
	v_mul_f32_e32 v26, 0x3fb8aa3b, v38
	v_exp_f32_e32 v38, v26
	v_mul_f32_e32 v26, 0x3fb8aa3b, v39
	v_exp_f32_e32 v39, v26
	;; [unrolled: 2-line block ×4, first 2 shown]
	v_accvgpr_read_b32 v5, a3
	v_accvgpr_read_b32 v4, a2
	v_accvgpr_read_b32 v3, a1
	v_accvgpr_read_b32 v2, a0
	v_pk_mul_f32 v[38:39], v[36:37], v[38:39] op_sel_hi:[0,1]
	v_pk_mul_f32 v[40:41], v[36:37], v[40:41] op_sel_hi:[0,1]
	v_pk_fma_f32 v[74:75], v[74:75], v[38:39], v[2:3]
	v_pk_fma_f32 v[76:77], v[76:77], v[40:41], v[4:5]
	v_mul_f32_e32 v2, 0x3fb8aa3b, v34
	v_mul_f32_e32 v3, 0x3fb8aa3b, v42
	;; [unrolled: 1-line block ×4, first 2 shown]
	v_exp_f32_e32 v2, v2
	v_exp_f32_e32 v3, v3
	;; [unrolled: 1-line block ×4, first 2 shown]
	v_accvgpr_read_b32 v9, a7
	v_accvgpr_read_b32 v13, a11
	;; [unrolled: 1-line block ×28, first 2 shown]
	v_pk_mul_f32 v[2:3], v[36:37], v[2:3] op_sel_hi:[0,1]
	v_pk_mul_f32 v[4:5], v[36:37], v[4:5] op_sel_hi:[0,1]
	s_add_i32 s54, s54, 64
	v_pk_fma_f32 v[66:67], v[38:39], v[66:67], v[6:7]
	v_pk_fma_f32 v[68:69], v[40:41], v[68:69], v[8:9]
	v_pk_fma_f32 v[58:59], v[38:39], v[58:59], v[10:11]
	v_pk_fma_f32 v[60:61], v[40:41], v[60:61], v[12:13]
	v_pk_fma_f32 v[52:53], v[38:39], v[52:53], v[14:15]
	v_pk_fma_f32 v[46:47], v[40:41], v[46:47], v[16:17]
	v_pk_fma_f32 v[70:71], v[70:71], v[2:3], v[18:19]
	v_pk_fma_f32 v[72:73], v[72:73], v[4:5], v[20:21]
	v_pk_fma_f32 v[62:63], v[2:3], v[62:63], v[22:23]
	v_pk_fma_f32 v[64:65], v[4:5], v[64:65], v[24:25]
	v_pk_fma_f32 v[54:55], v[2:3], v[54:55], v[26:27]
	v_pk_fma_f32 v[56:57], v[4:5], v[56:57], v[28:29]
	v_pk_fma_f32 v[48:49], v[2:3], v[48:49], v[30:31]
	s_cmp_eq_u32 s47, s62
	v_pk_fma_f32 v[50:51], v[4:5], v[50:51], v[32:33]
	s_cbranch_scc1 .LBB199_18
; %bb.17:                               ;   in Loop: Header=BB199_6 Depth=1
	s_mov_b32 s61, s62
	s_branch .LBB199_6
.LBB199_18:
	s_lshl_b32 s0, s47, 6
	s_sub_i32 s42, s49, s0
	s_cmp_gt_i32 s42, 0
	s_cbranch_scc0 .LBB199_99
; %bb.19:
	s_add_i32 s38, s0, s38
	s_ashr_i32 s2, s38, 31
	s_cmpk_lg_i32 s19, 0x80
	s_cselect_b64 s[30:31], -1, 0
	s_and_b64 vcc, exec, s[30:31]
	s_cbranch_vccz .LBB199_21
; %bb.20:
	s_mul_i32 s1, s38, s18
	s_ashr_i32 s3, s52, 31
	s_mul_hi_i32 s0, s38, s18
	s_add_u32 s40, s1, s52
	s_addc_u32 s41, s0, s3
	s_cbranch_execz .LBB199_22
	s_branch .LBB199_23
.LBB199_21:
                                        ; implicit-def: $sgpr40_sgpr41
.LBB199_22:
	s_mul_i32 s1, s52, s16
	s_mul_hi_i32 s0, s52, s16
	s_add_u32 s40, s1, s38
	s_addc_u32 s41, s0, s2
.LBB199_23:
	s_add_i32 s3, s47, s48
	s_ashr_i32 s16, s33, 31
	s_add_u32 s0, s51, s38
	v_lshlrev_b32_e32 v6, 6, v91
	v_lshlrev_b32_e32 v24, 2, v45
	s_addc_u32 s1, s50, s2
	s_mov_b32 s2, 0x7060302
	v_or_b32_e32 v9, v6, v24
	v_xor_b32_e32 v7, v91, v24
	v_perm_b32 v3, v77, v76, s2
	v_perm_b32 v2, v75, v74, s2
	v_perm_b32 v5, v73, v72, s2
	v_perm_b32 v4, v71, v70, s2
	v_lshlrev_b32_e32 v9, 1, v9
	v_xor_b32_e32 v8, v92, v24
	ds_write2st64_b64 v9, v[2:3], v[4:5] offset0:32 offset1:48
	v_lshlrev_b32_e32 v7, 1, v7
	v_lshlrev_b32_e32 v9, 8, v45
	v_or_b32_e32 v10, v7, v9
	v_lshlrev_b32_e32 v8, 1, v8
	ds_write_b64 v10, v[2:3]
	v_or_b32_e32 v2, v8, v9
	v_or_b32_e32 v9, 16, v45
	v_lshlrev_b32_e32 v23, 2, v9
	v_or_b32_e32 v10, v6, v23
	ds_write_b64 v2, v[4:5]
	v_perm_b32 v3, v69, v68, s2
	v_perm_b32 v2, v67, v66, s2
	;; [unrolled: 1-line block ×4, first 2 shown]
	v_lshlrev_b32_e32 v10, 1, v10
	v_lshlrev_b32_e32 v9, 8, v9
	ds_write2st64_b64 v10, v[2:3], v[4:5] offset0:32 offset1:48
	v_or_b32_e32 v10, v7, v9
	ds_write_b64 v10, v[2:3]
	v_or_b32_e32 v2, v8, v9
	v_or_b32_e32 v9, 32, v45
	v_lshlrev_b32_e32 v22, 2, v9
	v_or_b32_e32 v10, v6, v22
	s_lshl_b64 s[28:29], s[0:1], 8
	ds_write_b64 v2, v[4:5]
	v_perm_b32 v3, v61, v60, s2
	v_perm_b32 v2, v59, v58, s2
	;; [unrolled: 1-line block ×4, first 2 shown]
	v_lshlrev_b32_e32 v10, 1, v10
	v_lshlrev_b32_e32 v9, 8, v9
	s_add_u32 s0, s6, s28
	ds_write2st64_b64 v10, v[2:3], v[4:5] offset0:32 offset1:48
	v_or_b32_e32 v10, v7, v9
	s_addc_u32 s1, s7, s29
	ds_write_b64 v10, v[2:3]
	v_or_b32_e32 v2, v8, v9
	v_or_b32_e32 v9, 48, v45
	s_mul_hi_i32 s6, s3, s17
	s_mul_i32 s3, s3, s17
	ds_write_b64 v2, v[4:5]
	v_perm_b32 v3, v47, v46, s2
	v_perm_b32 v2, v53, v52, s2
	;; [unrolled: 1-line block ×4, first 2 shown]
	v_lshlrev_b32_e32 v19, 2, v9
	s_add_u32 s2, s3, s33
	v_or_b32_e32 v6, v6, v19
	s_addc_u32 s3, s6, s16
	v_lshlrev_b32_e32 v6, 1, v6
	s_ashr_i32 s37, s36, 31
	s_lshl_b64 s[2:3], s[2:3], 15
	ds_write2st64_b64 v6, v[2:3], v[4:5] offset0:32 offset1:48
	v_lshlrev_b32_e32 v6, 8, v9
	s_add_u32 s6, s12, s2
	v_or_b32_e32 v7, v7, v6
	s_addc_u32 s7, s13, s3
	s_lshl_b64 s[2:3], s[36:37], 8
	ds_write_b64 v7, v[2:3]
	v_or_b32_e32 v2, v8, v6
	s_add_u32 s2, s6, s2
	v_lshlrev_b32_e32 v3, 1, v45
	ds_write_b64 v2, v[4:5]
	v_lshrrev_b32_e32 v2, 4, v0
	s_addc_u32 s3, s7, s3
	v_or_b32_e32 v4, 1, v3
	v_lshlrev_b32_e32 v10, 4, v45
	v_mov_b32_e32 v11, 0
	v_xor_b32_e32 v3, v2, v3
	v_xor_b32_e32 v6, v4, v2
	v_lshl_add_u64 v[12:13], s[2:3], 0, v[10:11]
	v_lshlrev_b32_e32 v10, 8, v2
	v_lshl_or_b32 v16, v3, 3, v10
	v_lshl_or_b32 v17, v6, 3, v10
	s_waitcnt lgkmcnt(0)
	s_barrier
	ds_read2st64_b64 v[2:5], v16 offset1:8
	ds_read2st64_b64 v[6:9], v17 offset1:8
	v_lshl_add_u64 v[14:15], v[12:13], 0, v[10:11]
	s_movk_i32 s2, 0x2000
	s_cmp_lg_u32 s42, 64
	s_waitcnt lgkmcnt(1)
	v_mov_b32_e32 v10, v2
	v_mov_b32_e32 v11, v3
	s_waitcnt lgkmcnt(0)
	v_mov_b32_e32 v12, v6
	v_mov_b32_e32 v13, v7
	global_store_dwordx4 v[14:15], v[10:13], off
	v_mov_b32_e32 v6, v4
	v_mov_b32_e32 v7, v5
	ds_read2st64_b64 v[2:5], v16 offset0:16 offset1:24
	ds_read2st64_b64 v[10:13], v17 offset0:16 offset1:24
	v_add_co_u32_e32 v16, vcc, s2, v14
	s_cselect_b64 s[6:7], -1, 0
	s_nop 0
	v_addc_co_u32_e32 v17, vcc, 0, v15, vcc
	global_store_dwordx4 v[16:17], v[6:9], off offset:-4096
	v_lshl_or_b32 v25, v87, 3, v90
	s_mov_b32 s24, 0
	s_waitcnt lgkmcnt(1)
	v_mov_b32_e32 v6, v2
	v_add_co_u32_e32 v2, vcc, 0x3000, v14
	v_mov_b32_e32 v7, v3
	s_nop 0
	v_addc_co_u32_e32 v3, vcc, 0, v15, vcc
	s_waitcnt lgkmcnt(0)
	v_mov_b32_e32 v8, v10
	v_mov_b32_e32 v9, v11
	;; [unrolled: 1-line block ×4, first 2 shown]
	v_or_b32_e32 v20, 32, v25
	v_and_b32_e32 v18, 56, v89
	s_and_b64 vcc, exec, s[6:7]
	global_store_dwordx4 v[16:17], v[6:9], off
	global_store_dwordx4 v[2:3], v[10:13], off
	s_cbranch_vccz .LBB199_29
; %bb.24:
	s_mov_b32 s25, s24
	s_mov_b32 s26, s24
	;; [unrolled: 1-line block ×3, first 2 shown]
	v_mov_b64_e32 v[6:7], s[24:25]
	v_mov_b64_e32 v[8:9], s[26:27]
	;; [unrolled: 1-line block ×3, first 2 shown]
	v_cmp_gt_i32_e32 vcc, s42, v25
	v_mov_b64_e32 v[4:5], v[8:9]
	s_and_saveexec_b64 s[2:3], vcc
	s_cbranch_execz .LBB199_26
; %bb.25:
	v_lshlrev_b32_e32 v2, 8, v25
	v_mov_b32_e32 v3, 0
	v_lshl_add_u64 v[4:5], s[0:1], 0, v[2:3]
	v_lshlrev_b32_e32 v2, 1, v18
	v_lshl_add_u64 v[10:11], v[4:5], 0, v[2:3]
	global_load_dwordx4 v[6:9], v[10:11], off
	global_load_dwordx4 v[2:5], v[10:11], off offset:128
.LBB199_26:
	s_or_b64 exec, exec, s[2:3]
	s_mov_b32 s25, s24
	s_mov_b32 s26, s24
	;; [unrolled: 1-line block ×3, first 2 shown]
	v_mov_b64_e32 v[14:15], s[24:25]
	v_mov_b64_e32 v[16:17], s[26:27]
	;; [unrolled: 1-line block ×3, first 2 shown]
	v_cmp_gt_i32_e32 vcc, s42, v20
	v_lshlrev_b32_e32 v21, 7, v20
	v_mov_b64_e32 v[12:13], v[16:17]
	s_and_saveexec_b64 s[2:3], vcc
	s_cbranch_execz .LBB199_28
; %bb.27:
	v_lshlrev_b32_e32 v10, 1, v21
	v_mov_b32_e32 v11, 0
	v_lshl_add_u64 v[12:13], s[0:1], 0, v[10:11]
	v_lshlrev_b32_e32 v10, 1, v18
	v_lshl_add_u64 v[26:27], v[12:13], 0, v[10:11]
	global_load_dwordx4 v[14:17], v[26:27], off
	global_load_dwordx4 v[10:13], v[26:27], off offset:128
.LBB199_28:
	s_or_b64 exec, exec, s[2:3]
	v_lshrrev_b32_e32 v26, 3, v18
	v_lshlrev_b32_e32 v27, 3, v25
	v_or_b32_e32 v26, v27, v26
	v_lshlrev_b32_e32 v26, 4, v26
	v_and_b32_e32 v27, 0x78, v27
	v_xor_b32_e32 v26, v26, v27
	s_branch .LBB199_31
.LBB199_29:
                                        ; implicit-def: $vgpr26
                                        ; implicit-def: $vgpr21
                                        ; implicit-def: $vgpr6_vgpr7_vgpr8_vgpr9
                                        ; implicit-def: $vgpr2_vgpr3_vgpr4_vgpr5
                                        ; implicit-def: $vgpr14_vgpr15_vgpr16_vgpr17
                                        ; implicit-def: $vgpr10_vgpr11_vgpr12_vgpr13
	s_cbranch_execz .LBB199_31
; %bb.30:
	s_waitcnt vmcnt(0)
	v_lshlrev_b32_e32 v2, 1, v18
	v_lshl_or_b32 v21, v25, 8, v2
	s_and_b32 s1, s1, 0xffff
	s_mov_b32 s3, 0x20000
	s_movk_i32 s2, 0x4000
	v_lshl_or_b32 v26, v20, 8, v2
	s_movk_i32 s12, 0x80
	buffer_load_dwordx4 v[6:9], v21, s[0:3], 0 offen
	buffer_load_dwordx4 v[2:5], v21, s[0:3], s12 offen
	;; [unrolled: 1-line block ×4, first 2 shown]
	v_lshrrev_b32_e32 v21, 3, v18
	v_lshlrev_b32_e32 v26, 3, v25
	v_or_b32_e32 v21, v26, v21
	v_lshlrev_b32_e32 v21, 4, v21
	v_and_b32_e32 v26, 0x78, v26
	v_xor_b32_e32 v26, v21, v26
	v_lshlrev_b32_e32 v21, 7, v20
.LBB199_31:
	s_movk_i32 s0, 0x1000
	v_and_or_b32 v20, v21, s0, v26
	s_waitcnt vmcnt(1)
	ds_write_b64 v26, v[6:7] offset:49152
	v_xor_b32_e32 v6, 8, v26
	ds_write_b64 v6, v[8:9] offset:49152
	s_waitcnt vmcnt(0)
	ds_write_b64 v26, v[2:3] offset:57344
	ds_write_b64 v6, v[4:5] offset:57344
	;; [unrolled: 1-line block ×3, first 2 shown]
	v_xor_b32_e32 v2, 8, v20
	ds_write_b64 v2, v[16:17] offset:49152
	ds_write_b64 v20, v[10:11] offset:57344
	;; [unrolled: 1-line block ×3, first 2 shown]
	v_or_b32_e32 v2, v1, v45
	v_lshlrev_b32_e32 v3, 11, v87
	v_lshlrev_b32_e32 v2, 3, v2
	v_and_b32_e32 v6, 0x1000, v3
	v_lshrrev_b32_e32 v3, 5, v86
	s_movk_i32 s0, 0xf8
	v_and_or_b32 v3, v2, s0, v3
	v_lshlrev_b32_e32 v7, 4, v3
	v_and_b32_e32 v8, 0x78, v2
	v_or_b32_e32 v10, 32, v7
	v_lshrrev_b32_e32 v3, 1, v86
	v_xor_b32_e32 v10, v10, v8
	v_xor_b32_e32 v2, v7, v8
	v_and_b32_e32 v9, 8, v3
	v_or_b32_e32 v10, v10, v6
	v_or_b32_e32 v2, v2, v6
	v_xor_b32_e32 v28, v10, v9
	v_or_b32_e32 v10, 64, v7
	v_xor_b32_e32 v27, v2, v9
	v_xor_b32_e32 v10, v10, v8
	s_waitcnt lgkmcnt(0)
	s_barrier
	v_or_b32_e32 v13, v10, v6
	ds_read_b64 v[10:11], v27 offset:49152
	v_lshl_or_b32 v14, v88, 8, v24
	v_lshlrev_b32_e32 v26, 1, v14
	v_add_u32_e32 v12, 0x4000, v26
	ds_read2_b64 v[2:5], v12 offset1:16
	v_or_b32_e32 v7, 0x60, v7
	v_xor_b32_e32 v7, v7, v8
	v_or_b32_e32 v6, v7, v6
	v_xor_b32_e32 v29, v13, v9
	v_xor_b32_e32 v30, v6, v9
	ds_read_b64 v[20:21], v28 offset:49152
	ds_read_b64 v[34:35], v29 offset:49152
	;; [unrolled: 1-line block ×3, first 2 shown]
	s_waitcnt lgkmcnt(3)
	v_mfma_f32_16x16x16_bf16 a[0:3], v[10:11], v[2:3], 0
	ds_read2_b64 v[6:9], v12 offset0:32 offset1:48
	s_lshl_b64 s[0:1], s[40:41], 8
	s_add_u32 s4, s4, s0
	v_mfma_f32_16x16x16_bf16 a[4:7], v[10:11], v[4:5], 0
	ds_read2st64_b64 v[2:5], v26 offset0:36 offset1:40
	s_addc_u32 s5, s5, s1
	s_add_i32 s2, s39, -1
	s_waitcnt lgkmcnt(1)
	v_mfma_f32_16x16x16_bf16 a[8:11], v[10:11], v[6:7], 0
	v_or_b32_e32 v6, 64, v14
	v_lshlrev_b32_e32 v31, 1, v6
	s_add_i32 s0, s45, s44
	s_waitcnt lgkmcnt(0)
	v_mfma_f32_16x16x16_bf16 a[0:3], v[20:21], v[2:3], a[0:3]
	v_or_b32_e32 v2, 0x80, v14
	v_lshlrev_b32_e32 v32, 1, v2
	v_or_b32_e32 v2, 0xc0, v14
	v_mfma_f32_16x16x16_bf16 a[12:15], v[10:11], v[8:9], 0
	ds_read2st64_b64 v[6:9], v31 offset0:36 offset1:40
	v_lshlrev_b32_e32 v33, 1, v2
	ds_read2st64_b64 v[10:13], v32 offset0:36 offset1:40
	ds_read2st64_b64 v[14:17], v33 offset0:36 offset1:40
	s_add_i32 s21, s0, s46
	s_mul_i32 s0, s33, s23
	s_mul_hi_u32 s1, s33, s22
	s_ashr_i32 s3, s2, 31
	s_mul_i32 s12, s2, s35
	s_mul_hi_u32 s13, s2, s34
	s_waitcnt lgkmcnt(2)
	v_mfma_f32_16x16x16_bf16 a[4:7], v[20:21], v[6:7], a[4:7]
	s_add_i32 s0, s1, s0
	s_mul_i32 s1, s16, s22
	s_add_i32 s12, s13, s12
	s_mul_i32 s3, s3, s34
	s_waitcnt lgkmcnt(1)
	v_mfma_f32_16x16x16_bf16 a[8:11], v[20:21], v[10:11], a[8:11]
	s_add_i32 s1, s0, s1
	s_add_i32 s3, s12, s3
	s_lshl_b64 s[12:13], s[20:21], 2
	s_waitcnt lgkmcnt(0)
	v_mfma_f32_16x16x16_bf16 a[12:15], v[20:21], v[14:15], a[12:15]
	s_mul_i32 s0, s33, s22
	s_add_u32 s10, s10, s12
	s_addc_u32 s11, s11, s13
	s_lshl_b64 s[0:1], s[0:1], 2
	v_mfma_f32_16x16x16_bf16 a[0:3], v[34:35], v[4:5], a[0:3]
	s_mul_i32 s2, s2, s34
	ds_read_b64 v[2:3], v26 offset:22528
	s_add_u32 s10, s10, s0
	v_mfma_f32_16x16x16_bf16 a[4:7], v[34:35], v[8:9], a[4:7]
	ds_read_b64 v[4:5], v31 offset:22528
	ds_read_b64 v[6:7], v32 offset:22528
	;; [unrolled: 1-line block ×3, first 2 shown]
	s_addc_u32 s11, s11, s1
	s_lshl_b64 s[0:1], s[2:3], 2
	v_mfma_f32_16x16x16_bf16 a[8:11], v[34:35], v[12:13], a[8:11]
	s_add_u32 s0, s10, s0
	s_addc_u32 s1, s11, s1
	s_load_dword s12, s[0:1], 0x0
	v_mfma_f32_16x16x16_bf16 a[12:15], v[34:35], v[16:17], a[12:15]
	s_and_b64 vcc, exec, s[30:31]
	s_waitcnt lgkmcnt(0)
	v_mfma_f32_16x16x16_bf16 a[0:3], v[36:37], v[2:3], a[0:3]
	v_mfma_f32_16x16x16_bf16 a[4:7], v[36:37], v[4:5], a[4:7]
	;; [unrolled: 1-line block ×4, first 2 shown]
	s_cbranch_vccz .LBB199_42
; %bb.32:
	v_lshlrev_b32_e32 v20, 1, v25
	s_and_b64 vcc, exec, s[6:7]
	s_cbranch_vccz .LBB199_43
; %bb.33:
	v_cmp_gt_i32_e32 vcc, s42, v20
	v_mov_b32_e32 v6, 0
	v_mov_b32_e32 v2, 0
	v_mov_b32_e32 v3, 0
	v_mov_b32_e32 v4, 0
	v_mov_b32_e32 v5, 0
	s_and_saveexec_b64 s[0:1], vcc
	s_cbranch_execz .LBB199_35
; %bb.34:
	v_mad_i64_i32 v[2:3], s[2:3], s19, v20, 0
	v_lshl_add_u64 v[2:3], v[2:3], 1, s[4:5]
	v_lshlrev_b32_e32 v4, 1, v18
	v_mov_b32_e32 v5, 0
	v_lshl_add_u64 v[2:3], v[2:3], 0, v[4:5]
	global_load_dwordx4 v[2:5], v[2:3], off
.LBB199_35:
	s_or_b64 exec, exec, s[0:1]
	v_or_b32_e32 v21, 1, v20
	v_cmp_gt_i32_e64 s[0:1], s42, v21
	v_mov_b32_e32 v7, 0
	v_mov_b32_e32 v8, 0
	;; [unrolled: 1-line block ×3, first 2 shown]
	s_and_saveexec_b64 s[2:3], s[0:1]
	s_cbranch_execz .LBB199_37
; %bb.36:
	v_mad_i64_i32 v[6:7], s[16:17], s19, v21, 0
	v_lshl_add_u64 v[6:7], v[6:7], 1, s[4:5]
	v_lshlrev_b32_e32 v8, 1, v18
	v_mov_b32_e32 v9, 0
	v_lshl_add_u64 v[6:7], v[6:7], 0, v[8:9]
	global_load_dwordx4 v[6:9], v[6:7], off
.LBB199_37:
	s_or_b64 exec, exec, s[2:3]
	v_mov_b32_e32 v17, 0
	v_mov_b32_e32 v10, 0
	;; [unrolled: 1-line block ×5, first 2 shown]
	s_and_saveexec_b64 s[2:3], vcc
	s_cbranch_execz .LBB199_39
; %bb.38:
	v_mad_i64_i32 v[10:11], s[16:17], s19, v20, 0
	v_lshl_add_u64 v[10:11], v[10:11], 1, s[4:5]
	v_lshlrev_b32_e32 v12, 1, v18
	v_mov_b32_e32 v13, 0
	v_lshl_add_u64 v[10:11], v[10:11], 0, v[12:13]
	global_load_dwordx4 v[10:13], v[10:11], off offset:128
.LBB199_39:
	s_or_b64 exec, exec, s[2:3]
	v_mov_b32_e32 v16, 0
	v_mov_b32_e32 v15, 0
	;; [unrolled: 1-line block ×3, first 2 shown]
	s_and_saveexec_b64 s[2:3], s[0:1]
	s_cbranch_execz .LBB199_41
; %bb.40:
	v_mad_i64_i32 v[14:15], s[0:1], s19, v21, 0
	v_lshl_add_u64 v[14:15], v[14:15], 1, s[4:5]
	v_lshlrev_b32_e32 v16, 1, v18
	v_mov_b32_e32 v17, 0
	v_lshl_add_u64 v[14:15], v[14:15], 0, v[16:17]
	global_load_dwordx4 v[14:17], v[14:15], off offset:128
.LBB199_41:
	s_or_b64 exec, exec, s[2:3]
	s_branch .LBB199_45
.LBB199_42:
                                        ; implicit-def: $vgpr5
                                        ; implicit-def: $vgpr9
                                        ; implicit-def: $vgpr13
                                        ; implicit-def: $vgpr17
	v_lshrrev_b32_e32 v34, 2, v86
	s_branch .LBB199_46
.LBB199_43:
                                        ; implicit-def: $vgpr5
                                        ; implicit-def: $vgpr9
                                        ; implicit-def: $vgpr13
                                        ; implicit-def: $vgpr17
	s_cbranch_execz .LBB199_45
; %bb.44:
	s_waitcnt vmcnt(0)
	v_mad_u64_u32 v[2:3], s[0:1], v20, s19, v[18:19]
	v_lshlrev_b32_e32 v20, 1, v2
	s_lshl_b32 s2, s19, 7
	s_and_b32 s1, s5, 0xffff
	s_mov_b32 s3, 0x20000
	s_mov_b32 s0, s4
	v_add_lshl_u32 v21, v2, s19, 1
	s_movk_i32 s13, 0x80
	buffer_load_dwordx4 v[2:5], v20, s[0:3], 0 offen
	buffer_load_dwordx4 v[10:13], v20, s[0:3], s13 offen
	;; [unrolled: 1-line block ×4, first 2 shown]
.LBB199_45:
	v_lshrrev_b32_e32 v34, 2, v86
	s_cbranch_execnz .LBB199_58
.LBB199_46:
	s_and_b64 vcc, exec, s[6:7]
	s_cbranch_vccz .LBB199_56
; %bb.47:
	s_waitcnt vmcnt(0)
	v_lshlrev_b32_e32 v7, 1, v25
	v_cmp_gt_i32_e32 vcc, s42, v7
	v_mov_b32_e32 v6, 0
	v_lshlrev_b32_e32 v14, 9, v25
	v_mov_b32_e32 v2, 0
	v_mov_b32_e32 v3, 0
	;; [unrolled: 1-line block ×4, first 2 shown]
	s_and_saveexec_b64 s[0:1], vcc
	s_cbranch_execz .LBB199_49
; %bb.48:
	v_mov_b32_e32 v15, 0
	v_lshl_add_u64 v[2:3], s[4:5], 0, v[14:15]
	v_lshlrev_b32_e32 v4, 1, v18
	v_mov_b32_e32 v5, v15
	v_lshl_add_u64 v[2:3], v[2:3], 0, v[4:5]
	global_load_dwordx4 v[2:5], v[2:3], off
.LBB199_49:
	s_or_b64 exec, exec, s[0:1]
	v_or_b32_e32 v7, 1, v7
	v_cmp_gt_i32_e64 s[0:1], s42, v7
	v_lshlrev_b32_e32 v20, 8, v7
	v_mov_b32_e32 v7, 0
	v_mov_b32_e32 v8, 0
	;; [unrolled: 1-line block ×3, first 2 shown]
	s_and_saveexec_b64 s[2:3], s[0:1]
	s_cbranch_execz .LBB199_51
; %bb.50:
	v_mov_b32_e32 v21, 0
	v_lshl_add_u64 v[6:7], s[4:5], 0, v[20:21]
	v_lshlrev_b32_e32 v8, 1, v18
	v_mov_b32_e32 v9, v21
	v_lshl_add_u64 v[6:7], v[6:7], 0, v[8:9]
	global_load_dwordx4 v[6:9], v[6:7], off
.LBB199_51:
	s_or_b64 exec, exec, s[2:3]
	v_mov_b32_e32 v17, 0
	v_mov_b32_e32 v10, 0
	v_mov_b32_e32 v11, 0
	v_mov_b32_e32 v12, 0
	v_mov_b32_e32 v13, 0
	s_and_saveexec_b64 s[2:3], vcc
	s_cbranch_execz .LBB199_53
; %bb.52:
	v_mov_b32_e32 v15, 0
	v_lshl_add_u64 v[10:11], s[4:5], 0, v[14:15]
	v_lshlrev_b32_e32 v14, 1, v18
	v_lshl_add_u64 v[10:11], v[10:11], 0, v[14:15]
	global_load_dwordx4 v[10:13], v[10:11], off offset:128
.LBB199_53:
	s_or_b64 exec, exec, s[2:3]
	v_mov_b32_e32 v16, 0
	v_mov_b32_e32 v15, 0
	;; [unrolled: 1-line block ×3, first 2 shown]
	s_and_saveexec_b64 s[2:3], s[0:1]
	s_cbranch_execz .LBB199_55
; %bb.54:
	v_mov_b32_e32 v21, 0
	v_lshl_add_u64 v[14:15], s[4:5], 0, v[20:21]
	v_lshlrev_b32_e32 v20, 1, v18
	v_lshl_add_u64 v[14:15], v[14:15], 0, v[20:21]
	global_load_dwordx4 v[14:17], v[14:15], off offset:128
.LBB199_55:
	s_or_b64 exec, exec, s[2:3]
	s_branch .LBB199_58
.LBB199_56:
                                        ; implicit-def: $vgpr5
                                        ; implicit-def: $vgpr9
                                        ; implicit-def: $vgpr13
                                        ; implicit-def: $vgpr17
	s_cbranch_execz .LBB199_58
; %bb.57:
	s_waitcnt vmcnt(0)
	v_lshlrev_b32_e32 v2, 1, v18
	v_lshl_or_b32 v18, v25, 9, v2
	s_and_b32 s5, s5, 0xffff
	s_mov_b32 s7, 0x20000
	s_movk_i32 s6, 0x4000
	s_movk_i32 s0, 0x80
	buffer_load_dwordx4 v[2:5], v18, s[4:7], 0 offen
	buffer_load_dwordx4 v[6:9], v18, s[4:7], 0 offen offset:256
	buffer_load_dwordx4 v[10:13], v18, s[4:7], s0 offen
	buffer_load_dwordx4 v[14:17], v18, s[4:7], s0 offen offset:256
.LBB199_58:
	ds_read_b64 v[20:21], v27 offset:57344
	v_add_u32_e32 v18, 0x6000, v26
	ds_read2_b64 v[36:39], v18 offset1:16
	ds_read_b64 v[54:55], v28 offset:57344
	ds_read_b64 v[28:29], v29 offset:57344
	;; [unrolled: 1-line block ×3, first 2 shown]
	ds_read2st64_b64 v[40:43], v26 offset0:52 offset1:56
	s_mov_b32 s0, 0x1000504
	s_mov_b32 s1, 0x3020706
	s_waitcnt lgkmcnt(4)
	v_mfma_f32_16x16x16_bf16 a[0:3], v[20:21], v[36:37], a[0:3]
	v_mfma_f32_16x16x16_bf16 a[4:7], v[20:21], v[38:39], a[4:7]
	ds_read2_b64 v[36:39], v18 offset0:32 offset1:48
	v_and_b32_e32 v18, 6, v0
	v_xor_b32_e32 v25, v25, v18
	s_waitcnt lgkmcnt(0)
	v_mfma_f32_16x16x16_bf16 a[8:11], v[20:21], v[36:37], a[8:11]
	v_lshlrev_b32_e32 v25, 2, v25
	v_and_b32_e32 v0, 1, v0
	v_xor_b32_e32 v35, 0x440, v25
	v_mfma_f32_16x16x16_bf16 a[12:15], v[20:21], v[38:39], a[12:15]
	ds_read2st64_b64 v[36:39], v31 offset0:52 offset1:56
	ds_read2st64_b64 v[46:49], v32 offset0:52 offset1:56
	;; [unrolled: 1-line block ×3, first 2 shown]
	v_cmp_eq_u32_e32 vcc, 0, v0
	ds_read_b64 v[20:21], v26 offset:30720
	ds_read_b64 v[26:27], v31 offset:30720
	;; [unrolled: 1-line block ×4, first 2 shown]
	v_mfma_f32_16x16x16_bf16 a[0:3], v[54:55], v[40:41], a[0:3]
	v_cndmask_b32_e32 v0, v35, v25, vcc
	v_lshl_or_b32 v0, v18, 10, v0
	s_waitcnt vmcnt(0)
	v_perm_b32 v18, v2, v6, s0
	s_waitcnt lgkmcnt(6)
	v_mfma_f32_16x16x16_bf16 a[4:7], v[54:55], v[36:37], a[4:7]
	v_perm_b32 v25, v10, v14, s0
	ds_write2st64_b32 v0, v18, v25 offset0:128 offset1:160
	v_xor_b32_e32 v18, 8, v0
	s_waitcnt lgkmcnt(6)
	v_mfma_f32_16x16x16_bf16 a[8:11], v[54:55], v[46:47], a[8:11]
	v_perm_b32 v2, v2, v6, s1
	v_perm_b32 v6, v10, v14, s1
	v_add_u32_e32 v10, 0x80, v18
	s_waitcnt lgkmcnt(5)
	v_mfma_f32_16x16x16_bf16 a[12:15], v[54:55], v[50:51], a[12:15]
	ds_write2st64_b32 v10, v2, v6 offset0:128 offset1:160
	v_xor_b32_e32 v2, 16, v0
	v_perm_b32 v6, v3, v7, s0
	v_mfma_f32_16x16x16_bf16 a[0:3], v[28:29], v[42:43], a[0:3]
	v_perm_b32 v10, v11, v15, s0
	ds_write2st64_b32 v2, v6, v10 offset0:129 offset1:161
	v_xor_b32_e32 v2, 24, v0
	v_mfma_f32_16x16x16_bf16 a[4:7], v[28:29], v[38:39], a[4:7]
	v_perm_b32 v3, v3, v7, s1
	v_perm_b32 v6, v11, v15, s1
	v_add_u32_e32 v2, 0x80, v2
	v_mfma_f32_16x16x16_bf16 a[16:19], v[28:29], v[48:49], a[8:11]
	ds_write2st64_b32 v2, v3, v6 offset0:129 offset1:161
	v_xor_b32_e32 v2, 32, v0
	v_perm_b32 v3, v4, v8, s0
	v_mfma_f32_16x16x16_bf16 a[20:23], v[28:29], v[52:53], a[12:15]
	v_perm_b32 v6, v12, v16, s0
	ds_write2st64_b32 v2, v3, v6 offset0:130 offset1:162
	v_xor_b32_e32 v2, 40, v0
	s_waitcnt lgkmcnt(8)
	v_mfma_f32_16x16x16_bf16 a[12:15], v[56:57], v[20:21], a[0:3]
	v_perm_b32 v3, v4, v8, s1
	v_perm_b32 v4, v12, v16, s1
	v_add_u32_e32 v2, 0x80, v2
	s_waitcnt lgkmcnt(7)
	v_mfma_f32_16x16x16_bf16 a[8:11], v[56:57], v[26:27], a[4:7]
	ds_write2st64_b32 v2, v3, v4 offset0:130 offset1:162
	v_xor_b32_e32 v2, 48, v0
	v_perm_b32 v3, v5, v9, s0
	s_waitcnt lgkmcnt(7)
	v_mfma_f32_16x16x16_bf16 a[4:7], v[56:57], v[30:31], a[16:19]
	v_perm_b32 v4, v13, v17, s0
	v_xor_b32_e32 v0, 56, v0
	v_and_or_b32 v21, v34, 12, v1
	s_waitcnt lgkmcnt(6)
	v_mfma_f32_16x16x16_bf16 a[0:3], v[56:57], v[32:33], a[20:23]
	ds_write2st64_b32 v2, v3, v4 offset0:131 offset1:163
	v_perm_b32 v2, v5, v9, s1
	v_perm_b32 v3, v13, v17, s1
	v_add_u32_e32 v0, 0x80, v0
	v_cmp_gt_i32_e32 vcc, s42, v21
	v_mov_b32_e32 v16, 0
	v_mov_b32_e32 v18, 0
	ds_write2st64_b32 v0, v2, v3 offset0:131 offset1:163
	s_and_saveexec_b64 s[0:1], vcc
	s_cbranch_execz .LBB199_60
; %bb.59:
	v_add_u32_e32 v0, s38, v21
	v_ashrrev_i32_e32 v1, 31, v0
	v_mul_lo_u32 v2, v1, s34
	v_mul_lo_u32 v3, v0, s35
	v_mad_u64_u32 v[0:1], s[2:3], v0, s34, 0
	v_add3_u32 v1, v1, v3, v2
	v_lshl_add_u64 v[0:1], v[0:1], 2, s[10:11]
	global_load_dword v0, v[0:1], off
	s_waitcnt vmcnt(0)
	v_sub_f32_e32 v0, s12, v0
	v_mul_f32_e32 v0, 0x3fb8aa3b, v0
	v_exp_f32_e32 v18, v0
.LBB199_60:
	s_or_b64 exec, exec, s[0:1]
	v_or_b32_e32 v10, 1, v21
	v_cmp_gt_i32_e64 s[0:1], s42, v10
	s_and_saveexec_b64 s[2:3], s[0:1]
	s_cbranch_execz .LBB199_62
; %bb.61:
	v_add_u32_e32 v0, s38, v10
	v_ashrrev_i32_e32 v1, 31, v0
	v_mul_lo_u32 v2, v1, s34
	v_mul_lo_u32 v3, v0, s35
	v_mad_u64_u32 v[0:1], s[4:5], v0, s34, 0
	v_add3_u32 v1, v1, v3, v2
	v_lshl_add_u64 v[0:1], v[0:1], 2, s[10:11]
	global_load_dword v0, v[0:1], off
	s_waitcnt vmcnt(0)
	v_sub_f32_e32 v0, s12, v0
	v_mul_f32_e32 v0, 0x3fb8aa3b, v0
	v_exp_f32_e32 v16, v0
.LBB199_62:
	s_or_b64 exec, exec, s[2:3]
	v_or_b32_e32 v12, 2, v21
	v_cmp_gt_i32_e64 s[2:3], s42, v12
	v_mov_b32_e32 v17, 0
	v_mov_b32_e32 v20, 0
	s_and_saveexec_b64 s[4:5], s[2:3]
	s_cbranch_execz .LBB199_64
; %bb.63:
	v_add_u32_e32 v0, s38, v12
	v_ashrrev_i32_e32 v1, 31, v0
	v_mul_lo_u32 v2, v1, s34
	v_mul_lo_u32 v3, v0, s35
	v_mad_u64_u32 v[0:1], s[6:7], v0, s34, 0
	v_add3_u32 v1, v1, v3, v2
	v_lshl_add_u64 v[0:1], v[0:1], 2, s[10:11]
	global_load_dword v0, v[0:1], off
	s_waitcnt vmcnt(0)
	v_sub_f32_e32 v0, s12, v0
	v_mul_f32_e32 v0, 0x3fb8aa3b, v0
	v_exp_f32_e32 v20, v0
.LBB199_64:
	s_or_b64 exec, exec, s[4:5]
	v_or_b32_e32 v14, 3, v21
	v_cmp_gt_i32_e64 s[4:5], s42, v14
	s_and_saveexec_b64 s[6:7], s[4:5]
	s_cbranch_execz .LBB199_66
; %bb.65:
	v_add_u32_e32 v0, s38, v14
	v_ashrrev_i32_e32 v1, 31, v0
	v_mul_lo_u32 v2, v1, s34
	v_mul_lo_u32 v3, v0, s35
	v_mad_u64_u32 v[0:1], s[16:17], v0, s34, 0
	v_add3_u32 v1, v1, v3, v2
	v_lshl_add_u64 v[0:1], v[0:1], 2, s[10:11]
	global_load_dword v0, v[0:1], off
	s_waitcnt vmcnt(0)
	v_sub_f32_e32 v0, s12, v0
	v_mul_f32_e32 v0, 0x3fb8aa3b, v0
	v_exp_f32_e32 v17, v0
.LBB199_66:
	s_or_b64 exec, exec, s[6:7]
	s_add_u32 s6, s8, s28
	v_or_b32_e32 v4, s36, v45
	s_addc_u32 s7, s9, s29
	s_add_u32 s8, s14, s28
	v_ashrrev_i32_e32 v5, 31, v4
	v_accvgpr_read_b32 v0, a12
	s_addc_u32 s9, s15, s29
	v_lshlrev_b64 v[4:5], 1, v[4:5]
	v_accvgpr_read_b32 v1, a13
	v_accvgpr_read_b32 v2, a14
	;; [unrolled: 1-line block ×3, first 2 shown]
	v_lshl_add_u64 v[6:7], s[6:7], 0, v[4:5]
	v_lshl_add_u64 v[4:5], s[8:9], 0, v[4:5]
	v_mov_b32_e32 v11, 0
	v_lshlrev_b32_e32 v8, 8, v21
	v_mov_b32_e32 v9, 0
	s_and_saveexec_b64 s[6:7], vcc
	s_cbranch_execz .LBB199_68
; %bb.67:
	v_mov_b32_e32 v9, 0
	v_lshl_add_u64 v[26:27], v[6:7], 0, v[8:9]
	global_load_ushort v13, v[26:27], off
	v_lshl_add_u64 v[26:27], v[4:5], 0, v[8:9]
	s_waitcnt vmcnt(0)
	v_lshlrev_b32_e32 v9, 16, v13
	v_sub_f32_e32 v0, v9, v0
	global_store_short_d16_hi v[26:27], v0, off
	v_mul_f32_e32 v0, v18, v0
	v_lshrrev_b32_e32 v9, 16, v0
.LBB199_68:
	s_or_b64 exec, exec, s[6:7]
	v_lshlrev_b32_e32 v10, 8, v10
	s_and_saveexec_b64 s[6:7], s[0:1]
	s_cbranch_execz .LBB199_70
; %bb.69:
	v_mov_b32_e32 v11, 0
	v_lshl_add_u64 v[26:27], v[6:7], 0, v[10:11]
	global_load_ushort v0, v[26:27], off
	v_lshl_add_u64 v[26:27], v[4:5], 0, v[10:11]
	s_waitcnt vmcnt(0)
	v_lshlrev_b32_e32 v0, 16, v0
	v_sub_f32_e32 v0, v0, v1
	global_store_short_d16_hi v[26:27], v0, off
	v_mul_f32_e32 v0, v16, v0
	v_lshrrev_b32_e32 v11, 16, v0
.LBB199_70:
	s_or_b64 exec, exec, s[6:7]
	v_mov_b32_e32 v15, 0
	v_lshlrev_b32_e32 v12, 8, v12
	v_mov_b32_e32 v13, 0
	s_and_saveexec_b64 s[6:7], s[2:3]
	s_cbranch_execz .LBB199_72
; %bb.71:
	v_mov_b32_e32 v13, 0
	v_lshl_add_u64 v[0:1], v[6:7], 0, v[12:13]
	global_load_ushort v25, v[0:1], off
	v_lshl_add_u64 v[0:1], v[4:5], 0, v[12:13]
	s_waitcnt vmcnt(0)
	v_lshlrev_b32_e32 v13, 16, v25
	v_sub_f32_e32 v2, v13, v2
	global_store_short_d16_hi v[0:1], v2, off
	v_mul_f32_e32 v0, v20, v2
	v_lshrrev_b32_e32 v13, 16, v0
.LBB199_72:
	s_or_b64 exec, exec, s[6:7]
	v_lshlrev_b32_e32 v14, 8, v14
	s_and_saveexec_b64 s[6:7], s[4:5]
	s_cbranch_execz .LBB199_74
; %bb.73:
	v_mov_b32_e32 v15, 0
	v_lshl_add_u64 v[0:1], v[6:7], 0, v[14:15]
	global_load_ushort v2, v[0:1], off
	v_lshl_add_u64 v[0:1], v[4:5], 0, v[14:15]
	s_waitcnt vmcnt(0)
	v_lshlrev_b32_e32 v2, 16, v2
	v_sub_f32_e32 v2, v2, v3
	global_store_short_d16_hi v[0:1], v2, off
	v_mul_f32_e32 v0, v17, v2
	v_lshrrev_b32_e32 v15, 16, v0
.LBB199_74:
	s_or_b64 exec, exec, s[6:7]
	v_lshlrev_b32_e32 v21, 6, v21
	s_mov_b32 s6, 0x5040100
	v_perm_b32 v26, v11, v9, s6
	v_or_b32_e32 v9, v21, v24
	v_accvgpr_read_b32 v0, a8
	v_perm_b32 v27, v15, v13, s6
	v_lshlrev_b32_e32 v9, 1, v9
	v_accvgpr_read_b32 v1, a9
	v_accvgpr_read_b32 v2, a10
	;; [unrolled: 1-line block ×3, first 2 shown]
	ds_write_b64 v9, v[26:27] offset:24576
	v_mov_b32_e32 v11, 0
	v_mov_b32_e32 v9, 0
	s_and_saveexec_b64 s[6:7], vcc
	s_cbranch_execz .LBB199_76
; %bb.75:
	v_mov_b32_e32 v9, 0
	v_lshl_add_u64 v[24:25], v[6:7], 0, v[8:9]
	global_load_ushort v13, v[24:25], off offset:32
	v_lshl_add_u64 v[24:25], v[4:5], 0, v[8:9]
	s_waitcnt vmcnt(0)
	v_lshlrev_b32_e32 v9, 16, v13
	v_sub_f32_e32 v0, v9, v0
	global_store_short_d16_hi v[24:25], v0, off offset:32
	v_mul_f32_e32 v0, v18, v0
	v_lshrrev_b32_e32 v9, 16, v0
.LBB199_76:
	s_or_b64 exec, exec, s[6:7]
	s_and_saveexec_b64 s[6:7], s[0:1]
	s_cbranch_execz .LBB199_78
; %bb.77:
	v_mov_b32_e32 v11, 0
	v_lshl_add_u64 v[24:25], v[6:7], 0, v[10:11]
	global_load_ushort v0, v[24:25], off offset:32
	v_lshl_add_u64 v[24:25], v[4:5], 0, v[10:11]
	s_waitcnt vmcnt(0)
	v_lshlrev_b32_e32 v0, 16, v0
	v_sub_f32_e32 v0, v0, v1
	global_store_short_d16_hi v[24:25], v0, off offset:32
	v_mul_f32_e32 v0, v16, v0
	v_lshrrev_b32_e32 v11, 16, v0
.LBB199_78:
	s_or_b64 exec, exec, s[6:7]
	v_mov_b32_e32 v15, 0
	v_mov_b32_e32 v13, 0
	s_and_saveexec_b64 s[6:7], s[2:3]
	s_cbranch_execz .LBB199_80
; %bb.79:
	v_mov_b32_e32 v13, 0
	v_lshl_add_u64 v[0:1], v[6:7], 0, v[12:13]
	global_load_ushort v24, v[0:1], off offset:32
	v_lshl_add_u64 v[0:1], v[4:5], 0, v[12:13]
	s_waitcnt vmcnt(0)
	v_lshlrev_b32_e32 v13, 16, v24
	v_sub_f32_e32 v2, v13, v2
	global_store_short_d16_hi v[0:1], v2, off offset:32
	v_mul_f32_e32 v0, v20, v2
	v_lshrrev_b32_e32 v13, 16, v0
.LBB199_80:
	s_or_b64 exec, exec, s[6:7]
	s_and_saveexec_b64 s[6:7], s[4:5]
	s_cbranch_execz .LBB199_82
; %bb.81:
	v_mov_b32_e32 v15, 0
	v_lshl_add_u64 v[0:1], v[6:7], 0, v[14:15]
	global_load_ushort v2, v[0:1], off offset:32
	v_lshl_add_u64 v[0:1], v[4:5], 0, v[14:15]
	s_waitcnt vmcnt(0)
	v_lshlrev_b32_e32 v2, 16, v2
	v_sub_f32_e32 v2, v2, v3
	global_store_short_d16_hi v[0:1], v2, off offset:32
	v_mul_f32_e32 v0, v17, v2
	v_lshrrev_b32_e32 v15, 16, v0
.LBB199_82:
	s_or_b64 exec, exec, s[6:7]
	s_mov_b32 s6, 0x5040100
	v_perm_b32 v24, v11, v9, s6
	v_or_b32_e32 v9, v21, v23
	v_accvgpr_read_b32 v0, a4
	v_perm_b32 v25, v15, v13, s6
	v_lshlrev_b32_e32 v9, 1, v9
	v_accvgpr_read_b32 v1, a5
	v_accvgpr_read_b32 v2, a6
	v_accvgpr_read_b32 v3, a7
	ds_write_b64 v9, v[24:25] offset:24576
	v_mov_b32_e32 v11, 0
	v_mov_b32_e32 v9, 0
	s_and_saveexec_b64 s[6:7], vcc
	s_cbranch_execz .LBB199_84
; %bb.83:
	v_mov_b32_e32 v9, 0
	v_lshl_add_u64 v[24:25], v[6:7], 0, v[8:9]
	global_load_ushort v13, v[24:25], off offset:64
	v_lshl_add_u64 v[24:25], v[4:5], 0, v[8:9]
	s_waitcnt vmcnt(0)
	v_lshlrev_b32_e32 v9, 16, v13
	v_sub_f32_e32 v0, v9, v0
	global_store_short_d16_hi v[24:25], v0, off offset:64
	v_mul_f32_e32 v0, v18, v0
	v_lshrrev_b32_e32 v9, 16, v0
.LBB199_84:
	s_or_b64 exec, exec, s[6:7]
	s_and_saveexec_b64 s[6:7], s[0:1]
	s_cbranch_execz .LBB199_86
; %bb.85:
	v_mov_b32_e32 v11, 0
	v_lshl_add_u64 v[24:25], v[6:7], 0, v[10:11]
	global_load_ushort v0, v[24:25], off offset:64
	v_lshl_add_u64 v[24:25], v[4:5], 0, v[10:11]
	s_waitcnt vmcnt(0)
	v_lshlrev_b32_e32 v0, 16, v0
	v_sub_f32_e32 v0, v0, v1
	global_store_short_d16_hi v[24:25], v0, off offset:64
	v_mul_f32_e32 v0, v16, v0
	v_lshrrev_b32_e32 v11, 16, v0
.LBB199_86:
	s_or_b64 exec, exec, s[6:7]
	v_mov_b32_e32 v15, 0
	v_mov_b32_e32 v13, 0
	s_and_saveexec_b64 s[6:7], s[2:3]
	s_cbranch_execz .LBB199_88
; %bb.87:
	v_mov_b32_e32 v13, 0
	v_lshl_add_u64 v[0:1], v[6:7], 0, v[12:13]
	global_load_ushort v23, v[0:1], off offset:64
	v_lshl_add_u64 v[0:1], v[4:5], 0, v[12:13]
	s_waitcnt vmcnt(0)
	v_lshlrev_b32_e32 v13, 16, v23
	v_sub_f32_e32 v2, v13, v2
	global_store_short_d16_hi v[0:1], v2, off offset:64
	v_mul_f32_e32 v0, v20, v2
	v_lshrrev_b32_e32 v13, 16, v0
.LBB199_88:
	s_or_b64 exec, exec, s[6:7]
	s_and_saveexec_b64 s[6:7], s[4:5]
	s_cbranch_execz .LBB199_90
; %bb.89:
	v_mov_b32_e32 v15, 0
	v_lshl_add_u64 v[0:1], v[6:7], 0, v[14:15]
	global_load_ushort v2, v[0:1], off offset:64
	v_lshl_add_u64 v[0:1], v[4:5], 0, v[14:15]
	s_waitcnt vmcnt(0)
	v_lshlrev_b32_e32 v2, 16, v2
	v_sub_f32_e32 v2, v2, v3
	global_store_short_d16_hi v[0:1], v2, off offset:64
	v_mul_f32_e32 v0, v17, v2
	v_lshrrev_b32_e32 v15, 16, v0
.LBB199_90:
	s_or_b64 exec, exec, s[6:7]
	s_mov_b32 s6, 0x5040100
	v_perm_b32 v24, v11, v9, s6
	v_or_b32_e32 v9, v21, v22
	v_accvgpr_read_b32 v0, a0
	v_perm_b32 v25, v15, v13, s6
	v_lshlrev_b32_e32 v9, 1, v9
	v_accvgpr_read_b32 v1, a1
	v_accvgpr_read_b32 v2, a2
	;; [unrolled: 1-line block ×3, first 2 shown]
	ds_write_b64 v9, v[24:25] offset:24576
	v_mov_b32_e32 v11, 0
	v_mov_b32_e32 v9, 0
	s_and_saveexec_b64 s[6:7], vcc
	s_cbranch_execz .LBB199_92
; %bb.91:
	v_mov_b32_e32 v9, 0
	v_lshl_add_u64 v[22:23], v[6:7], 0, v[8:9]
	global_load_ushort v13, v[22:23], off offset:96
	v_lshl_add_u64 v[8:9], v[4:5], 0, v[8:9]
	s_waitcnt vmcnt(0)
	v_lshlrev_b32_e32 v13, 16, v13
	v_sub_f32_e32 v0, v13, v0
	global_store_short_d16_hi v[8:9], v0, off offset:96
	v_mul_f32_e32 v0, v18, v0
	v_lshrrev_b32_e32 v9, 16, v0
.LBB199_92:
	s_or_b64 exec, exec, s[6:7]
	s_and_saveexec_b64 s[6:7], s[0:1]
	s_cbranch_execz .LBB199_94
; %bb.93:
	v_mov_b32_e32 v11, 0
	v_lshl_add_u64 v[22:23], v[6:7], 0, v[10:11]
	global_load_ushort v0, v[22:23], off offset:96
	v_lshl_add_u64 v[10:11], v[4:5], 0, v[10:11]
	s_waitcnt vmcnt(0)
	v_lshlrev_b32_e32 v0, 16, v0
	v_sub_f32_e32 v0, v0, v1
	global_store_short_d16_hi v[10:11], v0, off offset:96
	v_mul_f32_e32 v0, v16, v0
	v_lshrrev_b32_e32 v11, 16, v0
.LBB199_94:
	s_or_b64 exec, exec, s[6:7]
	v_mov_b32_e32 v0, 0
	v_mov_b32_e32 v1, 0
	s_and_saveexec_b64 s[0:1], s[2:3]
	s_cbranch_execz .LBB199_96
; %bb.95:
	v_mov_b32_e32 v13, 0
	v_lshl_add_u64 v[22:23], v[6:7], 0, v[12:13]
	global_load_ushort v1, v[22:23], off offset:96
	v_lshl_add_u64 v[12:13], v[4:5], 0, v[12:13]
	s_waitcnt vmcnt(0)
	v_lshlrev_b32_e32 v1, 16, v1
	v_sub_f32_e32 v1, v1, v2
	global_store_short_d16_hi v[12:13], v1, off offset:96
	v_mul_f32_e32 v1, v20, v1
	v_lshrrev_b32_e32 v1, 16, v1
.LBB199_96:
	s_or_b64 exec, exec, s[0:1]
	s_and_saveexec_b64 s[0:1], s[4:5]
	s_cbranch_execz .LBB199_98
; %bb.97:
	v_mov_b32_e32 v15, 0
	v_lshl_add_u64 v[6:7], v[6:7], 0, v[14:15]
	global_load_ushort v0, v[6:7], off offset:96
	v_lshl_add_u64 v[4:5], v[4:5], 0, v[14:15]
	s_waitcnt vmcnt(0)
	v_lshlrev_b32_e32 v0, 16, v0
	v_sub_f32_e32 v0, v0, v3
	global_store_short_d16_hi v[4:5], v0, off offset:96
	v_mul_f32_e32 v0, v17, v0
	v_lshrrev_b32_e32 v0, 16, v0
.LBB199_98:
	s_or_b64 exec, exec, s[0:1]
	s_mov_b32 s0, 0x5040100
	v_or_b32_e32 v2, v21, v19
	v_perm_b32 v1, v0, v1, s0
	v_perm_b32 v0, v11, v9, s0
	v_lshlrev_b32_e32 v2, 1, v2
	ds_write_b64 v2, v[0:1] offset:24576
	s_waitcnt lgkmcnt(0)
	s_barrier
.LBB199_99:
	s_endpgm
	.section	.rodata,"a",@progbits
	.p2align	6, 0x0
	.amdhsa_kernel _ZN12_GLOBAL__N_139chunk_gated_delta_rule_fwd_h_hip_kernelILi64ELb0ELb0ELb1ELb1ELb0ELb1ELb1ELb0EEEvPK12hip_bfloat16S3_S3_PKfS5_PKvPS1_S8_PvPKiSB_iiiiilll
		.amdhsa_group_segment_fixed_size 65536
		.amdhsa_private_segment_fixed_size 0
		.amdhsa_kernarg_size 136
		.amdhsa_user_sgpr_count 2
		.amdhsa_user_sgpr_dispatch_ptr 0
		.amdhsa_user_sgpr_queue_ptr 0
		.amdhsa_user_sgpr_kernarg_segment_ptr 1
		.amdhsa_user_sgpr_dispatch_id 0
		.amdhsa_user_sgpr_kernarg_preload_length 0
		.amdhsa_user_sgpr_kernarg_preload_offset 0
		.amdhsa_user_sgpr_private_segment_size 0
		.amdhsa_uses_dynamic_stack 0
		.amdhsa_enable_private_segment 0
		.amdhsa_system_sgpr_workgroup_id_x 1
		.amdhsa_system_sgpr_workgroup_id_y 1
		.amdhsa_system_sgpr_workgroup_id_z 0
		.amdhsa_system_sgpr_workgroup_info 0
		.amdhsa_system_vgpr_workitem_id 0
		.amdhsa_next_free_vgpr 232
		.amdhsa_next_free_sgpr 64
		.amdhsa_accum_offset 192
		.amdhsa_reserve_vcc 1
		.amdhsa_float_round_mode_32 0
		.amdhsa_float_round_mode_16_64 0
		.amdhsa_float_denorm_mode_32 3
		.amdhsa_float_denorm_mode_16_64 3
		.amdhsa_dx10_clamp 1
		.amdhsa_ieee_mode 1
		.amdhsa_fp16_overflow 0
		.amdhsa_tg_split 0
		.amdhsa_exception_fp_ieee_invalid_op 0
		.amdhsa_exception_fp_denorm_src 0
		.amdhsa_exception_fp_ieee_div_zero 0
		.amdhsa_exception_fp_ieee_overflow 0
		.amdhsa_exception_fp_ieee_underflow 0
		.amdhsa_exception_fp_ieee_inexact 0
		.amdhsa_exception_int_div_zero 0
	.end_amdhsa_kernel
	.section	.text._ZN12_GLOBAL__N_139chunk_gated_delta_rule_fwd_h_hip_kernelILi64ELb0ELb0ELb1ELb1ELb0ELb1ELb1ELb0EEEvPK12hip_bfloat16S3_S3_PKfS5_PKvPS1_S8_PvPKiSB_iiiiilll,"axG",@progbits,_ZN12_GLOBAL__N_139chunk_gated_delta_rule_fwd_h_hip_kernelILi64ELb0ELb0ELb1ELb1ELb0ELb1ELb1ELb0EEEvPK12hip_bfloat16S3_S3_PKfS5_PKvPS1_S8_PvPKiSB_iiiiilll,comdat
.Lfunc_end199:
	.size	_ZN12_GLOBAL__N_139chunk_gated_delta_rule_fwd_h_hip_kernelILi64ELb0ELb0ELb1ELb1ELb0ELb1ELb1ELb0EEEvPK12hip_bfloat16S3_S3_PKfS5_PKvPS1_S8_PvPKiSB_iiiiilll, .Lfunc_end199-_ZN12_GLOBAL__N_139chunk_gated_delta_rule_fwd_h_hip_kernelILi64ELb0ELb0ELb1ELb1ELb0ELb1ELb1ELb0EEEvPK12hip_bfloat16S3_S3_PKfS5_PKvPS1_S8_PvPKiSB_iiiiilll
                                        ; -- End function
	.section	.AMDGPU.csdata,"",@progbits
; Kernel info:
; codeLenInByte = 11460
; NumSgprs: 70
; NumVgprs: 192
; NumAgprs: 40
; TotalNumVgprs: 232
; ScratchSize: 0
; MemoryBound: 0
; FloatMode: 240
; IeeeMode: 1
; LDSByteSize: 65536 bytes/workgroup (compile time only)
; SGPRBlocks: 8
; VGPRBlocks: 28
; NumSGPRsForWavesPerEU: 70
; NumVGPRsForWavesPerEU: 232
; AccumOffset: 192
; Occupancy: 1
; WaveLimiterHint : 1
; COMPUTE_PGM_RSRC2:SCRATCH_EN: 0
; COMPUTE_PGM_RSRC2:USER_SGPR: 2
; COMPUTE_PGM_RSRC2:TRAP_HANDLER: 0
; COMPUTE_PGM_RSRC2:TGID_X_EN: 1
; COMPUTE_PGM_RSRC2:TGID_Y_EN: 1
; COMPUTE_PGM_RSRC2:TGID_Z_EN: 0
; COMPUTE_PGM_RSRC2:TIDIG_COMP_CNT: 0
; COMPUTE_PGM_RSRC3_GFX90A:ACCUM_OFFSET: 47
; COMPUTE_PGM_RSRC3_GFX90A:TG_SPLIT: 0
	.section	.text._ZN12_GLOBAL__N_139chunk_gated_delta_rule_fwd_h_hip_kernelILi64ELb0ELb0ELb0ELb1ELb0ELb1ELb1ELb0EEEvPK12hip_bfloat16S3_S3_PKfS5_PKvPS1_S8_PvPKiSB_iiiiilll,"axG",@progbits,_ZN12_GLOBAL__N_139chunk_gated_delta_rule_fwd_h_hip_kernelILi64ELb0ELb0ELb0ELb1ELb0ELb1ELb1ELb0EEEvPK12hip_bfloat16S3_S3_PKfS5_PKvPS1_S8_PvPKiSB_iiiiilll,comdat
	.globl	_ZN12_GLOBAL__N_139chunk_gated_delta_rule_fwd_h_hip_kernelILi64ELb0ELb0ELb0ELb1ELb0ELb1ELb1ELb0EEEvPK12hip_bfloat16S3_S3_PKfS5_PKvPS1_S8_PvPKiSB_iiiiilll ; -- Begin function _ZN12_GLOBAL__N_139chunk_gated_delta_rule_fwd_h_hip_kernelILi64ELb0ELb0ELb0ELb1ELb0ELb1ELb1ELb0EEEvPK12hip_bfloat16S3_S3_PKfS5_PKvPS1_S8_PvPKiSB_iiiiilll
	.p2align	8
	.type	_ZN12_GLOBAL__N_139chunk_gated_delta_rule_fwd_h_hip_kernelILi64ELb0ELb0ELb0ELb1ELb0ELb1ELb1ELb0EEEvPK12hip_bfloat16S3_S3_PKfS5_PKvPS1_S8_PvPKiSB_iiiiilll,@function
_ZN12_GLOBAL__N_139chunk_gated_delta_rule_fwd_h_hip_kernelILi64ELb0ELb0ELb0ELb1ELb0ELb1ELb1ELb0EEEvPK12hip_bfloat16S3_S3_PKfS5_PKvPS1_S8_PvPKiSB_iiiiilll: ; @_ZN12_GLOBAL__N_139chunk_gated_delta_rule_fwd_h_hip_kernelILi64ELb0ELb0ELb0ELb1ELb0ELb1ELb1ELb0EEEvPK12hip_bfloat16S3_S3_PKfS5_PKvPS1_S8_PvPKiSB_iiiiilll
; %bb.0:
	s_load_dwordx4 s[12:15], s[0:1], 0x5c
	s_load_dwordx4 s[16:19], s[0:1], 0x70
	s_abs_i32 s21, s3
	s_ashr_i32 s20, s3, 31
	s_load_dwordx2 s[36:37], s[0:1], 0x30
	s_load_dwordx4 s[24:27], s[0:1], 0x48
	s_waitcnt lgkmcnt(0)
	s_abs_i32 s28, s13
	v_cvt_f32_u32_e32 v1, s28
	s_sub_i32 s22, 0, s28
	s_ashr_i32 s29, s13, 31
	s_xor_b32 s20, s20, s29
	v_rcp_iflag_f32_e32 v1, v1
	s_load_dwordx8 s[4:11], s[0:1], 0x0
	v_lshrrev_b32_e32 v85, 6, v0
	v_bfe_u32 v86, v0, 4, 2
	v_mul_f32_e32 v1, 0x4f7ffffe, v1
	v_cvt_u32_f32_e32 v1, v1
	v_lshlrev_b32_e32 v2, 2, v86
	v_and_b32_e32 v84, 63, v0
	v_mov_b32_e32 v47, 0
	v_readfirstlane_b32 s23, v1
	s_mul_i32 s22, s22, s23
	s_mul_hi_u32 s22, s23, s22
	s_add_i32 s23, s23, s22
	s_mul_hi_u32 s22, s21, s23
	s_mul_i32 s23, s22, s28
	s_sub_i32 s21, s21, s23
	s_add_i32 s30, s22, 1
	s_sub_i32 s23, s21, s28
	s_cmp_ge_u32 s21, s28
	s_cselect_b32 s22, s30, s22
	s_cselect_b32 s21, s23, s21
	s_add_i32 s23, s22, 1
	s_cmp_ge_u32 s21, s28
	s_cselect_b32 s21, s23, s22
	s_xor_b32 s21, s21, s20
	s_sub_i32 s20, s21, s20
	s_mul_i32 s21, s20, s13
	s_sub_i32 s33, s3, s21
	s_ashr_i32 s21, s20, 31
	s_lshl_b64 s[22:23], s[20:21], 2
	s_add_u32 s24, s24, s22
	s_addc_u32 s25, s25, s23
	s_add_u32 s22, s26, s22
	s_addc_u32 s23, s27, s23
	s_abs_i32 s3, s14
	v_cvt_f32_u32_e32 v1, s3
	s_load_dwordx2 s[34:35], s[24:25], 0x0
	s_sub_i32 s25, 0, s3
	s_load_dword s46, s[22:23], 0x0
	v_rcp_iflag_f32_e32 v1, v1
	v_and_b32_e32 v45, 15, v0
	s_waitcnt lgkmcnt(0)
	s_sub_i32 s47, s35, s34
	s_ashr_i32 s24, s47, 31
	v_mul_f32_e32 v1, 0x4f7ffffe, v1
	v_cvt_u32_f32_e32 v1, v1
	s_lshr_b32 s24, s24, 26
	s_add_i32 s24, s47, s24
	s_ashr_i32 s45, s24, 6
	v_readfirstlane_b32 s26, v1
	s_mul_i32 s25, s25, s26
	s_mul_hi_u32 s25, s26, s25
	s_add_i32 s26, s26, s25
	s_mul_hi_u32 s25, s28, s26
	s_mul_i32 s26, s25, s3
	s_ashr_i32 s24, s14, 31
	s_sub_i32 s26, s28, s26
	s_xor_b32 s24, s29, s24
	s_add_i32 s27, s25, 1
	s_sub_i32 s28, s26, s3
	s_cmp_ge_u32 s26, s3
	s_cselect_b32 s25, s27, s25
	s_cselect_b32 s26, s28, s26
	s_add_i32 s27, s25, 1
	s_cmp_ge_u32 s26, s3
	s_cselect_b32 s3, s27, s25
	s_xor_b32 s3, s3, s24
	s_sub_i32 s3, s3, s24
	s_abs_i32 s24, s3
	v_cvt_f32_u32_e32 v1, s24
	s_sub_i32 s23, 0, s24
	s_abs_i32 s22, s33
	s_xor_b32 s3, s33, s3
	v_rcp_iflag_f32_e32 v1, v1
	s_ashr_i32 s3, s3, 31
	s_load_dwordx2 s[28:29], s[0:1], 0x80
	s_mul_hi_i32 s48, s33, s12
	v_mul_f32_e32 v1, 0x4f7ffffe, v1
	v_cvt_u32_f32_e32 v1, v1
	s_mul_i32 s49, s33, s12
	v_lshrrev_b32_e32 v88, 3, v84
	v_lshlrev_b32_e32 v87, 3, v0
	v_readfirstlane_b32 s25, v1
	s_mul_i32 s23, s23, s25
	s_mul_hi_u32 s23, s25, s23
	s_add_i32 s25, s25, s23
	s_mul_hi_u32 s23, s22, s25
	s_mul_i32 s25, s23, s24
	s_sub_i32 s22, s22, s25
	s_add_i32 s25, s23, 1
	s_sub_i32 s26, s22, s24
	s_cmp_ge_u32 s22, s24
	s_cselect_b32 s23, s25, s23
	s_cselect_b32 s22, s26, s22
	s_add_i32 s25, s23, 1
	s_cmp_ge_u32 s22, s24
	s_cselect_b32 s22, s25, s23
	s_xor_b32 s22, s22, s3
	v_lshlrev_b32_e32 v1, 4, v85
	s_sub_i32 s50, s22, s3
	v_or_b32_e32 v89, v2, v1
	s_lshl_b32 s30, s2, 6
	v_or_b32_e32 v90, 64, v89
	s_cmp_lt_i32 s47, 64
	s_mul_i32 s42, s20, s17
	s_mul_hi_u32 s43, s20, s16
	s_mul_i32 s44, s21, s16
	s_mul_i32 s16, s20, s16
	v_mov_b32_e32 v46, v47
	v_mov_b32_e32 v53, v47
	v_mov_b32_e32 v52, v47
	v_mov_b32_e32 v51, v47
	v_mov_b32_e32 v50, v47
	v_mov_b32_e32 v49, v47
	v_mov_b32_e32 v48, v47
	v_mov_b32_e32 v61, v47
	v_mov_b32_e32 v60, v47
	v_mov_b32_e32 v59, v47
	v_mov_b32_e32 v58, v47
	v_mov_b32_e32 v57, v47
	v_mov_b32_e32 v56, v47
	v_mov_b32_e32 v55, v47
	v_mov_b32_e32 v54, v47
	v_mov_b32_e32 v69, v47
	v_mov_b32_e32 v68, v47
	v_mov_b32_e32 v67, v47
	v_mov_b32_e32 v66, v47
	v_mov_b32_e32 v65, v47
	v_mov_b32_e32 v64, v47
	v_mov_b32_e32 v63, v47
	v_mov_b32_e32 v62, v47
	v_mov_b32_e32 v77, v47
	v_mov_b32_e32 v76, v47
	v_mov_b32_e32 v75, v47
	v_mov_b32_e32 v74, v47
	v_mov_b32_e32 v73, v47
	v_mov_b32_e32 v72, v47
	v_mov_b32_e32 v71, v47
	v_mov_b32_e32 v70, v47
	s_cbranch_scc1 .LBB200_18
; %bb.1:
	s_ashr_i32 s53, s33, 31
	s_ashr_i32 s3, s34, 31
	s_add_u32 s2, s49, s34
	s_addc_u32 s3, s48, s3
	s_lshl_b64 s[2:3], s[2:3], 8
	v_and_b32_e32 v92, 56, v87
	s_add_u32 s20, s6, s2
	v_lshl_or_b32 v91, v85, 3, v88
	v_lshlrev_b32_e32 v3, 1, v92
	s_addc_u32 s2, s7, s3
	v_lshl_or_b32 v93, v91, 8, v3
	s_and_b32 s21, s2, 0xffff
	s_mov_b32 s23, 0x20000
	s_movk_i32 s22, 0x4000
	s_movk_i32 s2, 0x80
	v_or_b32_e32 v94, 0x2000, v93
	buffer_load_dwordx4 v[4:7], v93, s[20:23], 0 offen
	buffer_load_dwordx4 v[8:11], v93, s[20:23], s2 offen
	;; [unrolled: 1-line block ×4, first 2 shown]
	v_lshlrev_b32_e32 v20, 3, v91
	v_and_or_b32 v22, v0, 7, v20
	v_and_b32_e32 v20, 0x78, v20
	v_lshlrev_b32_e32 v22, 4, v22
	v_xor_b32_e32 v95, v22, v20
	v_mul_lo_u32 v21, v91, s15
	v_or_b32_e32 v96, 0x1000, v95
	s_cmpk_eq_i32 s15, 0x80
	s_mov_b32 s51, s13
	s_mov_b32 s52, s34
	v_xor_b32_e32 v20, 8, v95
	v_xor_b32_e32 v22, 8, v96
	s_cselect_b64 s[2:3], -1, 0
	s_cmpk_lg_i32 s15, 0x80
	s_waitcnt vmcnt(3)
	ds_write_b64 v95, v[4:5] offset:49152
	ds_write_b64 v20, v[6:7] offset:49152
	s_waitcnt vmcnt(2)
	ds_write_b64 v95, v[8:9] offset:57344
	ds_write_b64 v20, v[10:11] offset:57344
	;; [unrolled: 3-line block ×4, first 2 shown]
	v_lshl_add_u32 v4, v21, 1, v92
	s_cbranch_scc0 .LBB200_3
; %bb.2:
	v_lshlrev_b32_e32 v6, 1, v4
	v_add_lshl_u32 v5, v4, s15, 1
	s_lshl_b32 s22, s15, 7
	s_load_dwordx2 s[38:39], s[0:1], 0x20
	v_lshl_or_b32 v3, v91, 9, v3
	s_cbranch_execz .LBB200_4
	s_branch .LBB200_5
.LBB200_3:
                                        ; implicit-def: $vgpr5
                                        ; implicit-def: $vgpr6
                                        ; implicit-def: $sgpr22
	s_load_dwordx2 s[38:39], s[0:1], 0x20
	v_lshl_or_b32 v3, v91, 9, v3
.LBB200_4:
	v_or_b32_e32 v5, 0x100, v3
	s_movk_i32 s22, 0x4000
	v_mov_b32_e32 v6, v3
.LBB200_5:
	s_mul_i32 s0, s34, s14
	s_ashr_i32 s54, s50, 31
	s_mul_hi_i32 s1, s34, s14
	s_add_u32 s0, s0, s50
	s_addc_u32 s1, s1, s54
	s_lshl_b64 s[0:1], s[0:1], 8
	s_add_u32 s20, s4, s0
	s_addc_u32 s0, s5, s1
	s_and_b32 s21, s0, 0xffff
	s_movk_i32 s55, 0x80
	buffer_load_dwordx4 v[8:11], v6, s[20:23], 0 offen
	buffer_load_dwordx4 v[12:15], v6, s[20:23], s55 offen
	;; [unrolled: 1-line block ×4, first 2 shown]
	v_and_b32_e32 v5, 6, v0
	v_lshlrev_b32_e32 v6, 7, v89
	v_xor_b32_e32 v28, v91, v5
	v_and_b32_e32 v7, 1, v0
	v_lshl_or_b32 v31, v45, 3, v6
	v_lshlrev_b32_e32 v28, 2, v28
	v_lshlrev_b32_e32 v24, 2, v45
	v_or_b32_e32 v97, 0x4000, v31
	v_or_b32_e32 v98, 0x6000, v31
	v_xor_b32_e32 v31, 0x440, v28
	v_cmp_eq_u32_e32 vcc, 0, v7
	v_or_b32_e32 v26, 16, v45
	v_or_b32_e32 v27, 32, v45
	v_xor_b32_e32 v29, v89, v24
	v_xor_b32_e32 v30, v90, v24
	v_cndmask_b32_e32 v7, v31, v28, vcc
	s_add_i32 s0, s43, s42
	s_mov_b32 s56, 0x1000504
	v_lshl_or_b32 v32, v26, 3, v6
	v_lshlrev_b32_e32 v26, 8, v26
	v_lshl_or_b32 v33, v27, 3, v6
	v_lshlrev_b32_e32 v29, 1, v29
	v_lshlrev_b32_e32 v30, 1, v30
	v_lshl_or_b32 v5, v5, 10, v7
	s_add_i32 s17, s0, s44
	s_mul_i32 s0, s33, s19
	s_mul_hi_u32 s1, s33, s18
	s_mov_b32 s57, 0x3020706
	v_lshlrev_b32_e32 v25, 8, v45
	v_or_b32_e32 v101, 0x4000, v33
	v_or_b32_e32 v102, 0x6000, v33
	;; [unrolled: 1-line block ×4, first 2 shown]
	v_xor_b32_e32 v7, 8, v5
	v_xor_b32_e32 v26, 24, v5
	v_xor_b32_e32 v31, 40, v5
	v_xor_b32_e32 v33, 56, v5
	s_add_i32 s0, s1, s0
	s_mul_i32 s1, s53, s18
	v_or_b32_e32 v99, 0x4000, v32
	v_or_b32_e32 v100, 0x6000, v32
	;; [unrolled: 1-line block ×4, first 2 shown]
	v_xor_b32_e32 v25, 16, v5
	v_xor_b32_e32 v28, 32, v5
	;; [unrolled: 1-line block ×3, first 2 shown]
	v_add_u32_e32 v7, 0x80, v7
	v_add_u32_e32 v26, 0x80, v26
	;; [unrolled: 1-line block ×4, first 2 shown]
	s_add_i32 s1, s0, s1
	s_lshl_b64 s[20:21], s[16:17], 2
	s_mul_i32 s0, s33, s18
	s_add_u32 s17, s10, s20
	s_addc_u32 s20, s11, s21
	s_lshl_b64 s[0:1], s[0:1], 2
	s_add_u32 s40, s17, s0
	s_movk_i32 s0, 0xf8
	s_addc_u32 s41, s20, s1
	s_ashr_i32 s31, s30, 31
	s_lshl_b32 s26, s15, 7
	v_mov_b32_e32 v79, 0
	s_movk_i32 s17, 0x100
	v_lshlrev_b32_e32 v78, 4, v45
	v_lshlrev_b32_e32 v27, 8, v27
	s_mov_b32 s59, 0
	s_movk_i32 s22, 0x4000
	v_or_b32_e32 v107, v27, v29
	v_or_b32_e32 v108, v27, v30
	v_add_u32_e32 v134, v1, v2
	s_movk_i32 s58, 0x3000
	v_mov_b32_e32 v144, 0x3fb8aa3b
	v_mov_b32_e32 v70, v79
	;; [unrolled: 1-line block ×7, first 2 shown]
	s_waitcnt vmcnt(1)
	v_perm_b32 v34, v8, v16, s56
	s_waitcnt vmcnt(0)
	v_perm_b32 v35, v12, v20, s56
	v_perm_b32 v8, v8, v16, s57
	;; [unrolled: 1-line block ×15, first 2 shown]
	ds_write2st64_b32 v5, v34, v35 offset0:128 offset1:160
	ds_write2st64_b32 v7, v8, v12 offset0:128 offset1:160
	;; [unrolled: 1-line block ×8, first 2 shown]
	v_or_b32_e32 v5, 48, v45
	v_lshl_or_b32 v7, v5, 3, v6
	v_lshlrev_b32_e32 v5, 8, v5
	v_or_b32_e32 v111, v5, v29
	v_or_b32_e32 v112, v5, v30
	;; [unrolled: 1-line block ×3, first 2 shown]
	v_lshlrev_b32_e32 v5, 3, v5
	v_lshrrev_b32_e32 v9, 5, v84
	v_and_or_b32 v9, v5, s0, v9
	v_lshlrev_b32_e32 v9, 4, v9
	v_lshlrev_b32_e32 v11, 11, v85
	v_and_b32_e32 v5, 0x78, v5
	v_or_b32_e32 v14, 32, v9
	v_and_b32_e32 v8, 0x1000, v11
	v_xor_b32_e32 v10, v9, v5
	v_lshrrev_b32_e32 v12, 1, v84
	v_xor_b32_e32 v14, v14, v5
	v_or_b32_e32 v10, v10, v8
	v_and_b32_e32 v12, 8, v12
	v_or_b32_e32 v14, v14, v8
	v_xor_b32_e32 v113, v10, v12
	v_lshlrev_b32_e32 v10, 8, v86
	v_xor_b32_e32 v115, v14, v12
	v_or_b32_e32 v14, 64, v9
	v_or_b32_e32 v9, 0x60, v9
	;; [unrolled: 1-line block ×3, first 2 shown]
	v_xor_b32_e32 v14, v14, v5
	v_xor_b32_e32 v5, v9, v5
	v_lshlrev_b32_e32 v13, 1, v13
	v_or_b32_e32 v14, v14, v8
	v_or_b32_e32 v5, v5, v8
	s_lshl_b64 s[0:1], s[30:31], 8
	v_or_b32_e32 v114, 0x4000, v13
	v_or_b32_e32 v116, 0x4080, v13
	;; [unrolled: 1-line block ×4, first 2 shown]
	v_xor_b32_e32 v119, v14, v12
	v_xor_b32_e32 v120, v5, v12
	v_or_b32_e32 v121, 0x6000, v13
	v_or_b32_e32 v122, 0x6080, v13
	;; [unrolled: 1-line block ×4, first 2 shown]
	v_lshlrev_b32_e32 v12, 1, v4
	v_add_lshl_u32 v13, v4, s15, 1
	s_add_u32 s0, s36, s0
	v_lshlrev_b32_e32 v4, 1, v45
	v_lshrrev_b32_e32 v15, 4, v0
	s_addc_u32 s1, s37, s1
	v_or_b32_e32 v5, 1, v4
	v_lshlrev_b32_e32 v18, 2, v0
	v_or_b32_e32 v14, 0x100, v3
	v_xor_b32_e32 v16, v15, v4
	v_xor_b32_e32 v17, v5, v15
	v_lshl_add_u64 v[4:5], s[0:1], 0, v[78:79]
	v_lshlrev_b32_e32 v78, 8, v15
	v_lshrrev_b32_e32 v19, 1, v0
	v_and_or_b32 v10, v18, 60, v10
	v_cndmask_b32_e64 v131, v12, v3, s[2:3]
	v_mov_b32_e32 v3, 0xa000
	v_mov_b32_e32 v12, 0x8000
	v_cmp_gt_u32_e64 s[0:1], s17, v0
	v_lshl_or_b32 v125, v16, 3, v78
	v_and_b32_e32 v16, 8, v0
	v_and_b32_e32 v19, 24, v19
	v_lshlrev_b32_e32 v10, 1, v10
	v_cndmask_b32_e64 v3, v3, v12, s[0:1]
	v_lshlrev_b32_e32 v12, 3, v85
	v_or_b32_e32 v127, 0x6000, v10
	v_or_b32_e32 v128, 0x6080, v10
	;; [unrolled: 1-line block ×4, first 2 shown]
	v_mov_b32_e32 v10, 0x400
	v_cmp_eq_u32_e32 vcc, 0, v16
	v_cndmask_b32_e64 v132, v13, v14, s[2:3]
	v_xor_b32_e32 v13, v12, v19
	v_and_b32_e32 v15, 7, v0
	v_cndmask_b32_e64 v16, v10, 64, vcc
	v_or_b32_e32 v14, 0x440, v13
	v_lshl_or_b32 v126, v17, 3, v78
	v_lshlrev_b32_e32 v17, 3, v15
	v_or_b32_e32 v18, 32, v19
	v_or_b32_e32 v20, 0x60, v19
	v_cndmask_b32_e32 v14, v14, v13, vcc
	v_or3_b32 v13, v11, v16, v13
	v_lshlrev_b32_e32 v15, 7, v15
	v_xor_b32_e32 v18, v12, v18
	v_xor_b32_e32 v13, v13, v17
	;; [unrolled: 1-line block ×3, first 2 shown]
	v_or_b32_e32 v21, 0x440, v18
	v_or_b32_e32 v133, v13, v15
	v_xor_b32_e32 v13, 0x440, v12
	v_cndmask_b32_e32 v18, v21, v18, vcc
	v_cndmask_b32_e32 v12, v13, v12, vcc
	v_or_b32_e32 v109, 0x4000, v7
	v_or_b32_e32 v110, 0x6000, v7
	v_lshrrev_b32_e32 v7, 2, v84
	v_or_b32_e32 v14, v14, v11
	v_or_b32_e32 v18, v18, v11
	;; [unrolled: 1-line block ×3, first 2 shown]
	v_and_b32_e32 v7, 12, v7
	v_or_b32_e32 v8, s30, v45
	v_xor_b32_e32 v14, v14, v17
	v_xor_b32_e32 v18, v18, v17
	;; [unrolled: 1-line block ×3, first 2 shown]
	v_ashrrev_i32_e32 v9, 31, v8
	v_or_b32_e32 v10, v1, v7
	v_add_u32_e32 v19, v3, v14
	v_add_u32_e32 v21, v3, v18
	;; [unrolled: 1-line block ×3, first 2 shown]
	v_or3_b32 v12, v1, v7, 64
	v_add_u32_e32 v7, 0xa000, v14
	v_add_u32_e32 v14, 0xa000, v18
	;; [unrolled: 1-line block ×3, first 2 shown]
	v_lshl_add_u64 v[80:81], v[8:9], 1, s[8:9]
	v_lshl_add_u64 v[82:83], v[4:5], 0, v[78:79]
	s_mov_b32 s17, 0x7060302
	v_lshlrev_b32_e32 v78, 1, v6
	s_movk_i32 s31, 0x2000
	v_lshlrev_b32_e32 v135, 2, v10
	v_add_u32_e32 v136, v19, v15
	v_add_u32_e32 v137, v21, v15
	;; [unrolled: 1-line block ×4, first 2 shown]
	v_lshlrev_b32_e32 v140, 2, v12
	v_add_u32_e32 v141, v7, v15
	v_add_u32_e32 v142, v14, v15
	v_add_u32_e32 v143, v11, v15
	v_mov_b32_e32 v76, v79
	v_mov_b32_e32 v77, v79
	;; [unrolled: 1-line block ×26, first 2 shown]
	s_waitcnt lgkmcnt(0)
	s_barrier
.LBB200_6:                              ; =>This Inner Loop Header: Depth=1
	s_add_i32 s60, s59, 1
	s_cmp_lt_i32 s60, s45
	s_mov_b64 s[24:25], 0
	s_cselect_b64 s[2:3], -1, 0
	s_cmp_ge_i32 s60, s45
	s_mov_b64 s[20:21], 0
	s_cbranch_scc1 .LBB200_8
; %bb.7:                                ;   in Loop: Header=BB200_6 Depth=1
	s_add_i32 s0, s52, 64
	s_ashr_i32 s1, s0, 31
	s_add_u32 s0, s49, s0
	s_addc_u32 s1, s48, s1
	s_lshl_b64 s[0:1], s[0:1], 8
	s_add_u32 s20, s6, s0
	s_addc_u32 s21, s7, s1
.LBB200_8:                              ;   in Loop: Header=BB200_6 Depth=1
	v_cndmask_b32_e64 v2, 0, 1, s[2:3]
	v_cmp_ne_u32_e64 s[0:1], 1, v2
	s_andn2_b64 vcc, exec, s[2:3]
	s_cbranch_vccnz .LBB200_10
; %bb.9:                                ;   in Loop: Header=BB200_6 Depth=1
	s_add_i32 s2, s52, 64
	s_mul_hi_i32 s3, s2, s14
	s_mul_i32 s2, s2, s14
	s_add_u32 s2, s2, s50
	s_addc_u32 s3, s3, s54
	s_lshl_b64 s[2:3], s[2:3], 8
	s_add_u32 s24, s4, s2
	s_addc_u32 s25, s5, s3
.LBB200_10:                             ;   in Loop: Header=BB200_6 Depth=1
	v_perm_b32 v3, v77, v76, s17
	v_perm_b32 v2, v75, v74, s17
	v_perm_b32 v5, v73, v72, s17
	v_perm_b32 v4, v71, v70, s17
	ds_write_b64 v97, v[2:3]
	ds_write_b64 v98, v[4:5]
	ds_write_b64 v103, v[2:3]
	ds_write_b64 v104, v[4:5]
	v_perm_b32 v3, v69, v68, s17
	v_perm_b32 v2, v67, v66, s17
	v_perm_b32 v5, v65, v64, s17
	v_perm_b32 v4, v63, v62, s17
	ds_write_b64 v99, v[2:3]
	ds_write_b64 v100, v[4:5]
	ds_write_b64 v105, v[2:3]
	ds_write_b64 v106, v[4:5]
	;; [unrolled: 8-line block ×4, first 2 shown]
	s_waitcnt lgkmcnt(0)
	s_barrier
	ds_read_b64 v[6:7], v113 offset:49152
	ds_read2_b64 v[2:5], v114 offset1:16
	ds_read_b64 v[18:19], v116 offset:6144
	ds_read_b64 v[20:21], v114 offset:6144
	s_waitcnt lgkmcnt(2)
	v_mfma_f32_16x16x16_bf16 a[0:3], v[6:7], v[2:3], 0
	ds_read_b64 v[22:23], v115 offset:49152
	ds_read2st64_b64 v[10:13], v117 offset0:4 offset1:8
	ds_read2st64_b64 v[14:17], v118 offset0:4 offset1:8
	v_mfma_f32_16x16x16_bf16 a[4:7], v[6:7], v[4:5], 0
	ds_read2_b64 v[2:5], v114 offset0:32 offset1:48
	s_add_i32 s61, s52, 63
	s_ashr_i32 s2, s61, 31
	s_waitcnt lgkmcnt(0)
	v_mfma_f32_16x16x16_bf16 a[8:11], v[6:7], v[2:3], 0
	s_mul_i32 s3, s61, s29
	s_mul_hi_u32 s27, s61, s28
	s_add_i32 s3, s27, s3
	v_mfma_f32_16x16x16_bf16 a[12:15], v[6:7], v[4:5], 0
	ds_read2st64_b64 v[2:5], v114 offset0:4 offset1:8
	ds_read2st64_b64 v[6:9], v116 offset0:4 offset1:8
	s_mul_i32 s2, s2, s28
	s_waitcnt lgkmcnt(1)
	v_mfma_f32_16x16x16_bf16 a[0:3], v[22:23], v[2:3], a[0:3]
	s_add_i32 s3, s3, s2
	s_mul_i32 s2, s61, s28
	s_lshl_b64 s[2:3], s[2:3], 2
	s_waitcnt lgkmcnt(0)
	v_mfma_f32_16x16x16_bf16 a[4:7], v[22:23], v[6:7], a[4:7]
	s_add_u32 s2, s40, s2
	s_addc_u32 s3, s41, s3
	s_and_b64 vcc, exec, s[0:1]
	v_mfma_f32_16x16x16_bf16 a[8:11], v[22:23], v[10:11], a[8:11]
	ds_read_b64 v[2:3], v119 offset:49152
	ds_read_b64 v[6:7], v120 offset:49152
	;; [unrolled: 1-line block ×3, first 2 shown]
	v_mov_b32_e32 v147, 0
	v_mov_b32_e32 v146, 0
	v_mfma_f32_16x16x16_bf16 a[12:15], v[22:23], v[14:15], a[12:15]
	v_mov_b32_e32 v145, 0
	v_mov_b32_e32 v14, 0
	;; [unrolled: 1-line block ×3, first 2 shown]
	s_waitcnt lgkmcnt(2)
	v_mfma_f32_16x16x16_bf16 a[0:3], v[2:3], v[4:5], a[0:3]
	v_mov_b32_e32 v4, 0
	v_mov_b32_e32 v5, 0
	v_mfma_f32_16x16x16_bf16 a[16:19], v[2:3], v[8:9], a[4:7]
	v_mov_b32_e32 v8, 0
	v_mov_b32_e32 v9, 0
	v_mfma_f32_16x16x16_bf16 a[20:23], v[2:3], v[12:13], a[8:11]
	v_mov_b32_e32 v12, 0
	v_mov_b32_e32 v13, 0
	v_mfma_f32_16x16x16_bf16 a[24:27], v[2:3], v[16:17], a[12:15]
	ds_read_b64 v[2:3], v117 offset:6144
	v_mov_b32_e32 v16, 0
	v_mov_b32_e32 v17, 0
	s_waitcnt lgkmcnt(2)
	v_mfma_f32_16x16x16_bf16 a[4:7], v[6:7], v[20:21], a[0:3]
	v_mfma_f32_16x16x16_bf16 a[8:11], v[6:7], v[18:19], a[16:19]
	s_waitcnt lgkmcnt(0)
	v_mfma_f32_16x16x16_bf16 a[12:15], v[6:7], v[2:3], a[20:23]
	v_mov_b32_e32 v2, 0
	v_mov_b32_e32 v3, 0
	v_mfma_f32_16x16x16_bf16 a[0:3], v[6:7], v[10:11], a[24:27]
	v_mov_b32_e32 v6, 0
	v_mov_b32_e32 v7, 0
	;; [unrolled: 1-line block ×4, first 2 shown]
	s_cbranch_vccnz .LBB200_12
; %bb.11:                               ;   in Loop: Header=BB200_6 Depth=1
	s_and_b32 s21, s21, 0xffff
	buffer_load_dwordx4 v[14:17], v93, s[20:23], 0 offen
	buffer_load_dwordx4 v[10:13], v93, s[20:23], s55 offen
	;; [unrolled: 1-line block ×4, first 2 shown]
	v_mov_b32_e32 v146, v95
	v_mov_b32_e32 v145, v96
.LBB200_12:                             ;   in Loop: Header=BB200_6 Depth=1
	ds_read_b64 v[34:35], v113 offset:57344
	ds_read2_b64 v[18:21], v121 offset1:16
	ds_read_b64 v[36:37], v115 offset:57344
	ds_read_b64 v[38:39], v119 offset:57344
	ds_read_b64 v[40:41], v120 offset:57344
	v_add_u32_e32 v42, s52, v134
	s_waitcnt lgkmcnt(3)
	v_mfma_f32_16x16x16_bf16 a[4:7], v[34:35], v[18:19], a[4:7]
	v_mfma_f32_16x16x16_bf16 a[8:11], v[34:35], v[20:21], a[8:11]
	ds_read2_b64 v[18:21], v121 offset0:32 offset1:48
	ds_read2st64_b64 v[22:25], v121 offset0:4 offset1:8
	ds_read2st64_b64 v[26:29], v122 offset0:4 offset1:8
	ds_read2st64_b64 v[30:33], v123 offset0:4 offset1:8
	s_waitcnt lgkmcnt(3)
	v_mfma_f32_16x16x16_bf16 a[12:15], v[34:35], v[18:19], a[12:15]
	v_ashrrev_i32_e32 v18, 31, v42
	v_mfma_f32_16x16x16_bf16 a[0:3], v[34:35], v[20:21], a[0:3]
	v_mul_lo_u32 v20, v18, s28
	v_mul_lo_u32 v21, v42, s29
	v_mad_u64_u32 v[18:19], s[20:21], v42, s28, 0
	v_add3_u32 v19, v19, v21, v20
	v_add_u32_e32 v20, 1, v42
	v_ashrrev_i32_e32 v21, 31, v20
	s_waitcnt lgkmcnt(2)
	v_mfma_f32_16x16x16_bf16 a[4:7], v[36:37], v[22:23], a[4:7]
	v_mul_lo_u32 v22, v21, s28
	v_mul_lo_u32 v23, v20, s29
	v_mad_u64_u32 v[20:21], s[20:21], v20, s28, 0
	v_add3_u32 v21, v21, v23, v22
	v_add_u32_e32 v22, 2, v42
	v_ashrrev_i32_e32 v23, 31, v22
	s_waitcnt lgkmcnt(1)
	v_mfma_f32_16x16x16_bf16 a[8:11], v[36:37], v[26:27], a[8:11]
	v_mul_lo_u32 v26, v23, s28
	v_mul_lo_u32 v27, v22, s29
	v_mad_u64_u32 v[22:23], s[20:21], v22, s28, 0
	v_add3_u32 v23, v23, v27, v26
	v_add_u32_e32 v26, 3, v42
	v_ashrrev_i32_e32 v27, 31, v26
	v_mul_lo_u32 v34, v27, s28
	v_mul_lo_u32 v35, v26, s29
	v_mad_u64_u32 v[26:27], s[20:21], v26, s28, 0
	s_ashr_i32 s21, s52, 31
	s_add_u32 s20, s49, s52
	v_lshl_add_u64 v[18:19], v[18:19], 2, s[40:41]
	v_add3_u32 v27, v27, v35, v34
	s_addc_u32 s21, s48, s21
	v_lshl_add_u64 v[20:21], v[20:21], 2, s[40:41]
	global_load_dword v42, v[18:19], off
	v_lshl_add_u64 v[18:19], v[26:27], 2, s[40:41]
	s_lshl_b64 s[20:21], s[20:21], 8
	v_lshl_add_u64 v[22:23], v[22:23], 2, s[40:41]
	global_load_dword v34, v[20:21], off
	global_load_dword v35, v[22:23], off
	;; [unrolled: 1-line block ×3, first 2 shown]
	v_lshl_add_u64 v[18:19], v[80:81], 0, s[20:21]
	v_lshl_add_u64 v[22:23], v[18:19], 0, v[78:79]
	global_load_ushort v44, v[22:23], off offset:256
	global_load_ushort v148, v[22:23], off
	ds_read2st64_b64 v[18:21], v124 offset0:4 offset1:8
	global_load_ushort v149, v[22:23], off offset:768
	global_load_ushort v150, v[22:23], off offset:512
	s_waitcnt lgkmcnt(1)
	v_mfma_f32_16x16x16_bf16 a[12:15], v[36:37], v[30:31], a[12:15]
	s_and_b64 vcc, exec, s[0:1]
	s_waitcnt vmcnt(3)
	v_lshlrev_b32_e32 v31, 16, v44
	s_waitcnt lgkmcnt(0)
	v_mfma_f32_16x16x16_bf16 a[0:3], v[36:37], v[18:19], a[0:3]
	global_load_ushort v36, v[22:23], off offset:288
	global_load_ushort v37, v[22:23], off offset:32
	;; [unrolled: 1-line block ×8, first 2 shown]
	v_mfma_f32_16x16x16_bf16 a[4:7], v[38:39], v[24:25], a[4:7]
	ds_read_b64 v[18:19], v121 offset:6144
	s_waitcnt vmcnt(10)
	v_lshlrev_b32_e32 v30, 16, v148
	v_mov_b32_e32 v148, 0
	v_mfma_f32_16x16x16_bf16 a[8:11], v[38:39], v[28:29], a[8:11]
	v_mfma_f32_16x16x16_bf16 a[12:15], v[38:39], v[32:33], a[12:15]
	;; [unrolled: 1-line block ×3, first 2 shown]
	global_load_ushort v38, v[22:23], off offset:352
	global_load_ushort v39, v[22:23], off offset:96
	ds_read_b64 v[20:21], v122 offset:6144
	ds_read_b64 v[24:25], v123 offset:6144
	;; [unrolled: 1-line block ×3, first 2 shown]
	global_load_ushort v157, v[22:23], off offset:864
	global_load_ushort v158, v[22:23], off offset:608
	s_load_dword s2, s[2:3], 0x0
	s_waitcnt lgkmcnt(0)
	v_mfma_f32_16x16x16_bf16 a[4:7], v[40:41], v[18:19], a[4:7]
	v_sub_f32_e32 v28, s2, v35
	v_mfma_f32_16x16x16_bf16 a[0:3], v[40:41], v[26:27], a[0:3]
	v_sub_f32_e32 v26, s2, v42
	v_sub_f32_e32 v27, s2, v34
	;; [unrolled: 1-line block ×3, first 2 shown]
	v_mul_f32_e32 v26, 0x3fb8aa3b, v26
	v_mul_f32_e32 v27, 0x3fb8aa3b, v27
	;; [unrolled: 1-line block ×4, first 2 shown]
	v_mfma_f32_16x16x16_bf16 a[8:11], v[40:41], v[20:21], a[8:11]
	v_exp_f32_e32 v26, v26
	v_exp_f32_e32 v27, v27
	;; [unrolled: 1-line block ×4, first 2 shown]
	v_accvgpr_read_b32 v33, a5
	v_accvgpr_read_b32 v32, a4
	;; [unrolled: 1-line block ×4, first 2 shown]
	v_pk_add_f32 v[30:31], v[30:31], v[32:33] neg_lo:[0,1] neg_hi:[0,1]
	s_waitcnt vmcnt(13)
	v_lshlrev_b32_e32 v33, 16, v149
	s_waitcnt vmcnt(12)
	v_lshlrev_b32_e32 v32, 16, v150
	v_pk_add_f32 v[18:19], v[32:33], v[18:19] neg_lo:[0,1] neg_hi:[0,1]
	v_pk_mul_f32 v[30:31], v[26:27], v[30:31]
	v_pk_mul_f32 v[18:19], v[28:29], v[18:19]
	v_accvgpr_read_b32 v33, a9
	v_perm_b32 v19, v19, v18, s17
	v_perm_b32 v18, v31, v30, s17
	v_accvgpr_read_b32 v32, a8
	v_accvgpr_read_b32 v21, a11
	v_mfma_f32_16x16x16_bf16 a[12:15], v[40:41], v[24:25], a[12:15]
	v_accvgpr_read_b32 v20, a10
	v_accvgpr_read_b32 v25, a3
	;; [unrolled: 1-line block ×3, first 2 shown]
	s_waitcnt vmcnt(11)
	v_lshlrev_b32_e32 v31, 16, v36
	s_waitcnt vmcnt(10)
	v_lshlrev_b32_e32 v30, 16, v37
	v_pk_add_f32 v[30:31], v[30:31], v[32:33] neg_lo:[0,1] neg_hi:[0,1]
	s_waitcnt vmcnt(9)
	v_lshlrev_b32_e32 v33, 16, v151
	s_waitcnt vmcnt(8)
	v_lshlrev_b32_e32 v32, 16, v152
	v_pk_add_f32 v[20:21], v[32:33], v[20:21] neg_lo:[0,1] neg_hi:[0,1]
	v_pk_mul_f32 v[30:31], v[26:27], v[30:31]
	v_pk_mul_f32 v[20:21], v[28:29], v[20:21]
	v_accvgpr_read_b32 v23, a15
	v_perm_b32 v21, v21, v20, s17
	v_perm_b32 v20, v31, v30, s17
	ds_write2_b64 v98, v[18:19], v[20:21] offset1:16
	v_accvgpr_read_b32 v21, a13
	s_waitcnt vmcnt(7)
	v_lshlrev_b32_e32 v19, 16, v153
	s_waitcnt vmcnt(6)
	v_lshlrev_b32_e32 v18, 16, v154
	v_accvgpr_read_b32 v20, a12
	v_accvgpr_read_b32 v22, a14
	v_pk_add_f32 v[18:19], v[18:19], v[20:21] neg_lo:[0,1] neg_hi:[0,1]
	s_waitcnt vmcnt(5)
	v_lshlrev_b32_e32 v21, 16, v155
	s_waitcnt vmcnt(4)
	v_lshlrev_b32_e32 v20, 16, v156
	v_pk_add_f32 v[20:21], v[20:21], v[22:23] neg_lo:[0,1] neg_hi:[0,1]
	v_pk_mul_f32 v[18:19], v[26:27], v[18:19]
	v_pk_mul_f32 v[20:21], v[28:29], v[20:21]
	v_accvgpr_read_b32 v23, a1
	v_perm_b32 v21, v21, v20, s17
	v_perm_b32 v20, v19, v18, s17
	s_waitcnt vmcnt(3)
	v_lshlrev_b32_e32 v19, 16, v38
	s_waitcnt vmcnt(2)
	v_lshlrev_b32_e32 v18, 16, v39
	v_accvgpr_read_b32 v22, a0
	v_pk_add_f32 v[18:19], v[18:19], v[22:23] neg_lo:[0,1] neg_hi:[0,1]
	s_waitcnt vmcnt(1)
	v_lshlrev_b32_e32 v23, 16, v157
	s_waitcnt vmcnt(0)
	v_lshlrev_b32_e32 v22, 16, v158
	v_pk_add_f32 v[22:23], v[22:23], v[24:25] neg_lo:[0,1] neg_hi:[0,1]
	v_pk_mul_f32 v[18:19], v[26:27], v[18:19]
	v_pk_mul_f32 v[22:23], v[28:29], v[22:23]
	v_mov_b32_e32 v24, 0
	v_perm_b32 v23, v23, v22, s17
	v_perm_b32 v22, v19, v18, s17
	ds_write2_b64 v98, v[20:21], v[22:23] offset0:32 offset1:48
	v_mov_b32_e32 v18, 0
	v_mov_b32_e32 v19, 0
	;; [unrolled: 1-line block ×15, first 2 shown]
	s_cbranch_vccnz .LBB200_14
; %bb.13:                               ;   in Loop: Header=BB200_6 Depth=1
	s_and_b32 s25, s25, 0xffff
	s_mov_b32 s27, s23
	buffer_load_dwordx4 v[30:33], v131, s[24:27], 0 offen
	buffer_load_dwordx4 v[22:25], v131, s[24:27], s55 offen
	;; [unrolled: 1-line block ×4, first 2 shown]
	v_mov_b32_e32 v147, v92
	v_mov_b32_e32 v148, v91
.LBB200_14:                             ;   in Loop: Header=BB200_6 Depth=1
	s_waitcnt lgkmcnt(0)
	s_barrier
	ds_read_b64 v[42:43], v136
	ds_read2_b64 v[34:37], v127 offset1:16
	ds_read_b64 v[166:167], v137
	ds_read_b64 v[168:169], v138
	;; [unrolled: 1-line block ×3, first 2 shown]
	ds_read2_b64 v[38:41], v127 offset0:32 offset1:48
	ds_read2st64_b64 v[150:153], v127 offset0:4 offset1:8
	ds_read2st64_b64 v[154:157], v128 offset0:4 offset1:8
	ds_read2st64_b64 v[158:161], v129 offset0:4 offset1:8
	ds_read2st64_b64 v[162:165], v130 offset0:4 offset1:8
	s_waitcnt lgkmcnt(8)
	v_mfma_f32_16x16x16_bf16 a[0:3], v[42:43], v[34:35], 0
	s_add_i32 s3, s46, s59
	s_mul_hi_i32 s21, s3, s51
	s_mul_i32 s3, s3, s51
	v_mfma_f32_16x16x16_bf16 a[4:7], v[42:43], v[36:37], 0
	s_add_u32 s20, s3, s33
	s_addc_u32 s21, s21, s53
	s_lshl_b64 s[20:21], s[20:21], 15
	s_waitcnt lgkmcnt(4)
	v_mfma_f32_16x16x16_bf16 a[8:11], v[42:43], v[38:39], 0
	s_mul_i32 s24, s61, s51
	s_mul_hi_i32 s3, s61, s51
	s_add_u32 s24, s24, s33
	v_mfma_f32_16x16x16_bf16 a[12:15], v[42:43], v[40:41], 0
	ds_read_b64 v[42:43], v127 offset:6144
	ds_read_b64 v[178:179], v128 offset:6144
	ds_read_b64 v[180:181], v129 offset:6144
	ds_read_b64 v[182:183], v130 offset:6144
	s_addc_u32 s25, s3, s53
	s_waitcnt lgkmcnt(7)
	v_mfma_f32_16x16x16_bf16 a[0:3], v[166:167], v[150:151], a[0:3]
	s_lshl_b64 s[24:25], s[24:25], 9
	s_add_u32 s24, s38, s24
	s_addc_u32 s25, s39, s25
	s_waitcnt lgkmcnt(6)
	v_mfma_f32_16x16x16_bf16 a[4:7], v[166:167], v[154:155], a[4:7]
	v_lshl_add_u64 v[188:189], v[82:83], 0, s[20:21]
	s_waitcnt lgkmcnt(5)
	v_mfma_f32_16x16x16_bf16 a[8:11], v[166:167], v[158:159], a[8:11]
	s_waitcnt lgkmcnt(4)
	v_mfma_f32_16x16x16_bf16 a[12:15], v[166:167], v[162:163], a[12:15]
	ds_read_b64 v[166:167], v141
	ds_read_b64 v[176:177], v142
	;; [unrolled: 1-line block ×3, first 2 shown]
	s_waitcnt lgkmcnt(2)
	v_mfma_f32_16x16x16_bf16 a[16:19], v[166:167], v[34:35], 0
	v_mfma_f32_16x16x16_bf16 a[20:23], v[166:167], v[36:37], 0
	global_load_dwordx4 v[34:37], v140, s[24:25]
	v_mfma_f32_16x16x16_bf16 a[24:27], v[166:167], v[38:39], 0
	v_mfma_f32_16x16x16_bf16 a[28:31], v[166:167], v[40:41], 0
	global_load_dwordx4 v[38:41], v135, s[24:25]
	v_mfma_f32_16x16x16_bf16 a[0:3], v[168:169], v[152:153], a[0:3]
	v_mfma_f32_16x16x16_bf16 a[4:7], v[168:169], v[156:157], a[4:7]
	;; [unrolled: 1-line block ×8, first 2 shown]
	ds_read2st64_b64 v[166:169], v125 offset1:8
	ds_read2st64_b64 v[170:173], v126 offset1:8
	ds_read_b64 v[186:187], v133 offset:40960
	s_waitcnt lgkmcnt(2)
	v_mov_b32_e32 v174, v166
	v_mfma_f32_16x16x16_bf16 a[16:19], v[176:177], v[150:151], a[16:19]
	v_mov_b32_e32 v175, v167
	v_mfma_f32_16x16x16_bf16 a[20:23], v[176:177], v[154:155], a[20:23]
	v_mfma_f32_16x16x16_bf16 a[24:27], v[176:177], v[158:159], a[24:27]
	;; [unrolled: 1-line block ×3, first 2 shown]
	v_add_co_u32_e32 v162, vcc, s31, v188
	s_waitcnt lgkmcnt(1)
	v_mov_b32_e32 v176, v170
	s_waitcnt lgkmcnt(0)
	v_mfma_f32_16x16x16_bf16 a[16:19], v[186:187], v[152:153], a[16:19]
	ds_read2st64_b64 v[150:153], v125 offset0:16 offset1:24
	v_addc_co_u32_e32 v163, vcc, 0, v189, vcc
	v_mfma_f32_16x16x16_bf16 a[20:23], v[186:187], v[156:157], a[20:23]
	ds_read2st64_b64 v[154:157], v126 offset0:16 offset1:24
	v_mov_b32_e32 v177, v171
	v_mov_b32_e32 v170, v168
	v_mfma_f32_16x16x16_bf16 a[32:35], v[186:187], v[160:161], a[24:27]
	v_mov_b32_e32 v171, v169
	s_waitcnt lgkmcnt(0)
	v_mov_b32_e32 v160, v154
	v_mov_b32_e32 v161, v155
	v_mfma_f32_16x16x16_bf16 a[36:39], v[186:187], v[164:165], a[28:31]
	v_mov_b32_e32 v154, v152
	v_mov_b32_e32 v155, v153
	;; [unrolled: 1-line block ×3, first 2 shown]
	v_mfma_f32_16x16x16_bf16 a[24:27], v[184:185], v[42:43], a[16:19]
	v_add_co_u32_e32 v42, vcc, s58, v188
	v_mov_b32_e32 v159, v151
	v_mfma_f32_16x16x16_bf16 a[28:31], v[184:185], v[178:179], a[20:23]
	v_addc_co_u32_e32 v43, vcc, 0, v189, vcc
	global_store_dwordx4 v[42:43], v[154:157], off
	v_mfma_f32_16x16x16_bf16 a[16:19], v[184:185], v[180:181], a[32:35]
	s_waitcnt vmcnt(2)
	v_mov_b32_e32 v44, v37
	v_mov_b32_e32 v43, v36
	;; [unrolled: 1-line block ×3, first 2 shown]
	v_mfma_f32_16x16x16_bf16 a[20:23], v[184:185], v[182:183], a[36:39]
	s_and_b64 vcc, exec, s[0:1]
	global_store_dwordx4 v[188:189], v[174:177], off
	global_store_dwordx4 v[162:163], v[170:173], off offset:-4096
	global_store_dwordx4 v[162:163], v[158:161], off
	s_cbranch_vccnz .LBB200_16
; %bb.15:                               ;   in Loop: Header=BB200_6 Depth=1
	v_lshrrev_b32_e32 v35, 3, v147
	v_and_b32_e32 v35, 6, v35
	v_xor_b32_e32 v36, v35, v148
	v_lshlrev_b32_e32 v36, 2, v36
	v_and_b32_e32 v37, 8, v147
	v_xor_b32_e32 v147, 0x440, v36
	v_cmp_eq_u32_e32 vcc, 0, v37
	v_perm_b32 v37, v22, v18, s56
	s_nop 0
	v_cndmask_b32_e32 v36, v147, v36, vcc
	v_lshl_or_b32 v35, v35, 10, v36
	v_perm_b32 v36, v30, v26, s56
	s_barrier
	ds_write2st64_b32 v35, v36, v37 offset0:128 offset1:160
	v_xor_b32_e32 v36, 8, v35
	v_perm_b32 v26, v30, v26, s57
	v_perm_b32 v18, v22, v18, s57
	v_add_u32_e32 v22, 0x80, v36
	ds_write2st64_b32 v22, v26, v18 offset0:128 offset1:160
	v_xor_b32_e32 v18, 16, v35
	v_perm_b32 v22, v31, v27, s56
	v_perm_b32 v26, v23, v19, s56
	ds_write2st64_b32 v18, v22, v26 offset0:129 offset1:161
	v_xor_b32_e32 v18, 24, v35
	v_perm_b32 v22, v31, v27, s57
	v_perm_b32 v19, v23, v19, s57
	v_add_u32_e32 v18, 0x80, v18
	ds_write2st64_b32 v18, v22, v19 offset0:129 offset1:161
	v_xor_b32_e32 v18, 32, v35
	v_perm_b32 v19, v32, v28, s56
	v_perm_b32 v22, v24, v20, s56
	;; [unrolled: 9-line block ×3, first 2 shown]
	ds_write2st64_b32 v18, v19, v20 offset0:131 offset1:163
	v_xor_b32_e32 v18, 56, v35
	v_perm_b32 v19, v33, v29, s57
	v_perm_b32 v20, v25, v21, s57
	v_add_u32_e32 v18, 0x80, v18
	ds_write2st64_b32 v18, v19, v20 offset0:131 offset1:163
	ds_write_b64 v146, v[14:15] offset:49152
	v_xor_b32_e32 v14, 8, v146
	ds_write_b64 v14, v[16:17] offset:49152
	ds_write_b64 v146, v[10:11] offset:57344
	;; [unrolled: 1-line block ×4, first 2 shown]
	v_xor_b32_e32 v6, 8, v145
	ds_write_b64 v6, v[8:9] offset:49152
	ds_write_b64 v145, v[2:3] offset:57344
	;; [unrolled: 1-line block ×3, first 2 shown]
.LBB200_16:                             ;   in Loop: Header=BB200_6 Depth=1
	v_mul_f32_e32 v26, s2, v144
	v_exp_f32_e32 v36, v26
	s_waitcnt vmcnt(4)
	v_mul_f32_e32 v26, 0x3fb8aa3b, v38
	v_exp_f32_e32 v38, v26
	v_mul_f32_e32 v26, 0x3fb8aa3b, v39
	v_exp_f32_e32 v39, v26
	;; [unrolled: 2-line block ×4, first 2 shown]
	v_accvgpr_read_b32 v5, a3
	v_accvgpr_read_b32 v4, a2
	;; [unrolled: 1-line block ×4, first 2 shown]
	v_pk_mul_f32 v[38:39], v[36:37], v[38:39] op_sel_hi:[0,1]
	v_pk_mul_f32 v[40:41], v[36:37], v[40:41] op_sel_hi:[0,1]
	v_pk_fma_f32 v[74:75], v[74:75], v[38:39], v[2:3]
	v_pk_fma_f32 v[76:77], v[76:77], v[40:41], v[4:5]
	v_mul_f32_e32 v2, 0x3fb8aa3b, v34
	v_mul_f32_e32 v3, 0x3fb8aa3b, v42
	;; [unrolled: 1-line block ×4, first 2 shown]
	v_exp_f32_e32 v2, v2
	v_exp_f32_e32 v3, v3
	;; [unrolled: 1-line block ×4, first 2 shown]
	v_accvgpr_read_b32 v9, a7
	v_accvgpr_read_b32 v13, a11
	;; [unrolled: 1-line block ×28, first 2 shown]
	v_pk_mul_f32 v[2:3], v[36:37], v[2:3] op_sel_hi:[0,1]
	v_pk_mul_f32 v[4:5], v[36:37], v[4:5] op_sel_hi:[0,1]
	s_add_i32 s52, s52, 64
	v_pk_fma_f32 v[66:67], v[38:39], v[66:67], v[6:7]
	v_pk_fma_f32 v[68:69], v[40:41], v[68:69], v[8:9]
	;; [unrolled: 1-line block ×13, first 2 shown]
	s_cmp_eq_u32 s45, s60
	v_pk_fma_f32 v[50:51], v[4:5], v[50:51], v[32:33]
	s_cbranch_scc1 .LBB200_18
; %bb.17:                               ;   in Loop: Header=BB200_6 Depth=1
	s_mov_b32 s59, s60
	s_branch .LBB200_6
.LBB200_18:
	s_lshl_b32 s0, s45, 6
	s_sub_i32 s40, s47, s0
	s_cmp_gt_i32 s40, 0
	s_cbranch_scc0 .LBB200_99
; %bb.19:
	s_add_i32 s34, s0, s34
	s_ashr_i32 s2, s34, 31
	s_cmpk_lg_i32 s15, 0x80
	s_cselect_b64 s[26:27], -1, 0
	s_and_b64 vcc, exec, s[26:27]
	s_cbranch_vccz .LBB200_21
; %bb.20:
	s_mul_i32 s1, s34, s14
	s_ashr_i32 s3, s50, 31
	s_mul_hi_i32 s0, s34, s14
	s_add_u32 s38, s1, s50
	s_addc_u32 s39, s0, s3
	s_cbranch_execz .LBB200_22
	s_branch .LBB200_23
.LBB200_21:
                                        ; implicit-def: $sgpr38_sgpr39
.LBB200_22:
	s_mul_i32 s1, s50, s12
	s_mul_hi_i32 s0, s50, s12
	s_add_u32 s38, s1, s34
	s_addc_u32 s39, s0, s2
.LBB200_23:
	s_add_i32 s3, s45, s46
	s_ashr_i32 s12, s33, 31
	s_add_u32 s0, s49, s34
	v_lshlrev_b32_e32 v6, 6, v89
	v_lshlrev_b32_e32 v24, 2, v45
	s_addc_u32 s1, s48, s2
	s_mov_b32 s2, 0x7060302
	v_or_b32_e32 v9, v6, v24
	v_xor_b32_e32 v7, v89, v24
	v_perm_b32 v3, v77, v76, s2
	v_perm_b32 v2, v75, v74, s2
	;; [unrolled: 1-line block ×4, first 2 shown]
	v_lshlrev_b32_e32 v9, 1, v9
	v_xor_b32_e32 v8, v90, v24
	ds_write2st64_b64 v9, v[2:3], v[4:5] offset0:32 offset1:48
	v_lshlrev_b32_e32 v7, 1, v7
	v_lshlrev_b32_e32 v9, 8, v45
	v_or_b32_e32 v10, v7, v9
	v_lshlrev_b32_e32 v8, 1, v8
	ds_write_b64 v10, v[2:3]
	v_or_b32_e32 v2, v8, v9
	v_or_b32_e32 v9, 16, v45
	v_lshlrev_b32_e32 v23, 2, v9
	v_or_b32_e32 v10, v6, v23
	ds_write_b64 v2, v[4:5]
	v_perm_b32 v3, v69, v68, s2
	v_perm_b32 v2, v67, v66, s2
	;; [unrolled: 1-line block ×4, first 2 shown]
	v_lshlrev_b32_e32 v10, 1, v10
	v_lshlrev_b32_e32 v9, 8, v9
	ds_write2st64_b64 v10, v[2:3], v[4:5] offset0:32 offset1:48
	v_or_b32_e32 v10, v7, v9
	ds_write_b64 v10, v[2:3]
	v_or_b32_e32 v2, v8, v9
	v_or_b32_e32 v9, 32, v45
	v_lshlrev_b32_e32 v22, 2, v9
	v_or_b32_e32 v10, v6, v22
	s_lshl_b64 s[24:25], s[0:1], 8
	ds_write_b64 v2, v[4:5]
	v_perm_b32 v3, v61, v60, s2
	v_perm_b32 v2, v59, v58, s2
	;; [unrolled: 1-line block ×4, first 2 shown]
	v_lshlrev_b32_e32 v10, 1, v10
	v_lshlrev_b32_e32 v9, 8, v9
	s_add_u32 s0, s6, s24
	ds_write2st64_b64 v10, v[2:3], v[4:5] offset0:32 offset1:48
	v_or_b32_e32 v10, v7, v9
	s_addc_u32 s1, s7, s25
	ds_write_b64 v10, v[2:3]
	v_or_b32_e32 v2, v8, v9
	v_or_b32_e32 v9, 48, v45
	s_mul_hi_i32 s6, s3, s13
	s_mul_i32 s3, s3, s13
	ds_write_b64 v2, v[4:5]
	v_perm_b32 v3, v47, v46, s2
	v_perm_b32 v2, v53, v52, s2
	;; [unrolled: 1-line block ×4, first 2 shown]
	v_lshlrev_b32_e32 v19, 2, v9
	s_add_u32 s2, s3, s33
	v_or_b32_e32 v6, v6, v19
	s_addc_u32 s3, s6, s12
	v_lshlrev_b32_e32 v6, 1, v6
	s_ashr_i32 s31, s30, 31
	s_lshl_b64 s[2:3], s[2:3], 15
	ds_write2st64_b64 v6, v[2:3], v[4:5] offset0:32 offset1:48
	v_lshlrev_b32_e32 v6, 8, v9
	s_add_u32 s6, s36, s2
	v_or_b32_e32 v7, v7, v6
	s_addc_u32 s7, s37, s3
	s_lshl_b64 s[2:3], s[30:31], 8
	ds_write_b64 v7, v[2:3]
	v_or_b32_e32 v2, v8, v6
	s_add_u32 s2, s6, s2
	v_lshlrev_b32_e32 v3, 1, v45
	ds_write_b64 v2, v[4:5]
	v_lshrrev_b32_e32 v2, 4, v0
	s_addc_u32 s3, s7, s3
	v_or_b32_e32 v4, 1, v3
	v_lshlrev_b32_e32 v10, 4, v45
	v_mov_b32_e32 v11, 0
	v_xor_b32_e32 v3, v2, v3
	v_xor_b32_e32 v6, v4, v2
	v_lshl_add_u64 v[12:13], s[2:3], 0, v[10:11]
	v_lshlrev_b32_e32 v10, 8, v2
	v_lshl_or_b32 v16, v3, 3, v10
	v_lshl_or_b32 v17, v6, 3, v10
	s_waitcnt lgkmcnt(0)
	s_barrier
	ds_read2st64_b64 v[2:5], v16 offset1:8
	ds_read2st64_b64 v[6:9], v17 offset1:8
	v_lshl_add_u64 v[14:15], v[12:13], 0, v[10:11]
	s_movk_i32 s2, 0x2000
	s_cmp_lg_u32 s40, 64
	s_waitcnt lgkmcnt(1)
	v_mov_b32_e32 v10, v2
	v_mov_b32_e32 v11, v3
	s_waitcnt lgkmcnt(0)
	v_mov_b32_e32 v12, v6
	v_mov_b32_e32 v13, v7
	global_store_dwordx4 v[14:15], v[10:13], off
	v_mov_b32_e32 v6, v4
	v_mov_b32_e32 v7, v5
	ds_read2st64_b64 v[2:5], v16 offset0:16 offset1:24
	ds_read2st64_b64 v[10:13], v17 offset0:16 offset1:24
	v_add_co_u32_e32 v16, vcc, s2, v14
	s_cselect_b64 s[6:7], -1, 0
	s_nop 0
	v_addc_co_u32_e32 v17, vcc, 0, v15, vcc
	global_store_dwordx4 v[16:17], v[6:9], off offset:-4096
	v_lshl_or_b32 v25, v85, 3, v88
	s_mov_b32 s20, 0
	s_waitcnt lgkmcnt(1)
	v_mov_b32_e32 v6, v2
	v_add_co_u32_e32 v2, vcc, 0x3000, v14
	v_mov_b32_e32 v7, v3
	s_nop 0
	v_addc_co_u32_e32 v3, vcc, 0, v15, vcc
	s_waitcnt lgkmcnt(0)
	v_mov_b32_e32 v8, v10
	v_mov_b32_e32 v9, v11
	;; [unrolled: 1-line block ×4, first 2 shown]
	v_or_b32_e32 v20, 32, v25
	v_and_b32_e32 v18, 56, v87
	s_and_b64 vcc, exec, s[6:7]
	global_store_dwordx4 v[16:17], v[6:9], off
	global_store_dwordx4 v[2:3], v[10:13], off
	s_cbranch_vccz .LBB200_29
; %bb.24:
	s_mov_b32 s21, s20
	s_mov_b32 s22, s20
	s_mov_b32 s23, s20
	v_mov_b64_e32 v[6:7], s[20:21]
	v_mov_b64_e32 v[8:9], s[22:23]
	;; [unrolled: 1-line block ×3, first 2 shown]
	v_cmp_gt_i32_e32 vcc, s40, v25
	v_mov_b64_e32 v[4:5], v[8:9]
	s_and_saveexec_b64 s[2:3], vcc
	s_cbranch_execz .LBB200_26
; %bb.25:
	v_lshlrev_b32_e32 v2, 8, v25
	v_mov_b32_e32 v3, 0
	v_lshl_add_u64 v[4:5], s[0:1], 0, v[2:3]
	v_lshlrev_b32_e32 v2, 1, v18
	v_lshl_add_u64 v[10:11], v[4:5], 0, v[2:3]
	global_load_dwordx4 v[6:9], v[10:11], off
	global_load_dwordx4 v[2:5], v[10:11], off offset:128
.LBB200_26:
	s_or_b64 exec, exec, s[2:3]
	s_mov_b32 s21, s20
	s_mov_b32 s22, s20
	s_mov_b32 s23, s20
	v_mov_b64_e32 v[14:15], s[20:21]
	v_mov_b64_e32 v[16:17], s[22:23]
	;; [unrolled: 1-line block ×3, first 2 shown]
	v_cmp_gt_i32_e32 vcc, s40, v20
	v_lshlrev_b32_e32 v21, 7, v20
	v_mov_b64_e32 v[12:13], v[16:17]
	s_and_saveexec_b64 s[2:3], vcc
	s_cbranch_execz .LBB200_28
; %bb.27:
	v_lshlrev_b32_e32 v10, 1, v21
	v_mov_b32_e32 v11, 0
	v_lshl_add_u64 v[12:13], s[0:1], 0, v[10:11]
	v_lshlrev_b32_e32 v10, 1, v18
	v_lshl_add_u64 v[26:27], v[12:13], 0, v[10:11]
	global_load_dwordx4 v[14:17], v[26:27], off
	global_load_dwordx4 v[10:13], v[26:27], off offset:128
.LBB200_28:
	s_or_b64 exec, exec, s[2:3]
	v_lshrrev_b32_e32 v26, 3, v18
	v_lshlrev_b32_e32 v27, 3, v25
	v_or_b32_e32 v26, v27, v26
	v_lshlrev_b32_e32 v26, 4, v26
	v_and_b32_e32 v27, 0x78, v27
	v_xor_b32_e32 v26, v26, v27
	s_branch .LBB200_31
.LBB200_29:
                                        ; implicit-def: $vgpr26
                                        ; implicit-def: $vgpr21
                                        ; implicit-def: $vgpr6_vgpr7_vgpr8_vgpr9
                                        ; implicit-def: $vgpr2_vgpr3_vgpr4_vgpr5
                                        ; implicit-def: $vgpr14_vgpr15_vgpr16_vgpr17
                                        ; implicit-def: $vgpr10_vgpr11_vgpr12_vgpr13
	s_cbranch_execz .LBB200_31
; %bb.30:
	s_waitcnt vmcnt(0)
	v_lshlrev_b32_e32 v2, 1, v18
	v_lshl_or_b32 v21, v25, 8, v2
	s_and_b32 s1, s1, 0xffff
	s_mov_b32 s3, 0x20000
	s_movk_i32 s2, 0x4000
	v_lshl_or_b32 v26, v20, 8, v2
	s_movk_i32 s13, 0x80
	buffer_load_dwordx4 v[6:9], v21, s[0:3], 0 offen
	buffer_load_dwordx4 v[2:5], v21, s[0:3], s13 offen
	;; [unrolled: 1-line block ×4, first 2 shown]
	v_lshrrev_b32_e32 v21, 3, v18
	v_lshlrev_b32_e32 v26, 3, v25
	v_or_b32_e32 v21, v26, v21
	v_lshlrev_b32_e32 v21, 4, v21
	v_and_b32_e32 v26, 0x78, v26
	v_xor_b32_e32 v26, v21, v26
	v_lshlrev_b32_e32 v21, 7, v20
.LBB200_31:
	s_movk_i32 s0, 0x1000
	v_and_or_b32 v20, v21, s0, v26
	s_waitcnt vmcnt(1)
	ds_write_b64 v26, v[6:7] offset:49152
	v_xor_b32_e32 v6, 8, v26
	ds_write_b64 v6, v[8:9] offset:49152
	s_waitcnt vmcnt(0)
	ds_write_b64 v26, v[2:3] offset:57344
	ds_write_b64 v6, v[4:5] offset:57344
	;; [unrolled: 1-line block ×3, first 2 shown]
	v_xor_b32_e32 v2, 8, v20
	ds_write_b64 v2, v[16:17] offset:49152
	ds_write_b64 v20, v[10:11] offset:57344
	;; [unrolled: 1-line block ×3, first 2 shown]
	v_or_b32_e32 v2, v1, v45
	v_lshlrev_b32_e32 v3, 11, v85
	v_lshlrev_b32_e32 v2, 3, v2
	v_and_b32_e32 v6, 0x1000, v3
	v_lshrrev_b32_e32 v3, 5, v84
	s_movk_i32 s0, 0xf8
	v_and_or_b32 v3, v2, s0, v3
	v_lshlrev_b32_e32 v7, 4, v3
	v_and_b32_e32 v8, 0x78, v2
	v_or_b32_e32 v10, 32, v7
	v_lshrrev_b32_e32 v3, 1, v84
	v_xor_b32_e32 v10, v10, v8
	v_xor_b32_e32 v2, v7, v8
	v_and_b32_e32 v9, 8, v3
	v_or_b32_e32 v10, v10, v6
	v_or_b32_e32 v2, v2, v6
	v_xor_b32_e32 v28, v10, v9
	v_or_b32_e32 v10, 64, v7
	v_xor_b32_e32 v27, v2, v9
	v_xor_b32_e32 v10, v10, v8
	s_waitcnt lgkmcnt(0)
	s_barrier
	v_or_b32_e32 v13, v10, v6
	ds_read_b64 v[10:11], v27 offset:49152
	v_lshl_or_b32 v14, v86, 8, v24
	v_lshlrev_b32_e32 v26, 1, v14
	v_add_u32_e32 v12, 0x4000, v26
	ds_read2_b64 v[2:5], v12 offset1:16
	v_or_b32_e32 v7, 0x60, v7
	v_xor_b32_e32 v7, v7, v8
	v_or_b32_e32 v6, v7, v6
	v_xor_b32_e32 v29, v13, v9
	v_xor_b32_e32 v30, v6, v9
	ds_read_b64 v[20:21], v28 offset:49152
	ds_read_b64 v[34:35], v29 offset:49152
	ds_read_b64 v[36:37], v30 offset:49152
	s_waitcnt lgkmcnt(3)
	v_mfma_f32_16x16x16_bf16 a[0:3], v[10:11], v[2:3], 0
	ds_read2_b64 v[6:9], v12 offset0:32 offset1:48
	s_lshl_b64 s[0:1], s[38:39], 8
	s_add_u32 s4, s4, s0
	v_mfma_f32_16x16x16_bf16 a[4:7], v[10:11], v[4:5], 0
	ds_read2st64_b64 v[2:5], v26 offset0:36 offset1:40
	s_addc_u32 s5, s5, s1
	s_add_i32 s0, s43, s42
	s_waitcnt lgkmcnt(1)
	v_mfma_f32_16x16x16_bf16 a[8:11], v[10:11], v[6:7], 0
	v_or_b32_e32 v6, 64, v14
	v_lshlrev_b32_e32 v31, 1, v6
	s_add_i32 s2, s35, -1
	s_waitcnt lgkmcnt(0)
	v_mfma_f32_16x16x16_bf16 a[0:3], v[20:21], v[2:3], a[0:3]
	v_or_b32_e32 v2, 0x80, v14
	v_lshlrev_b32_e32 v32, 1, v2
	v_or_b32_e32 v2, 0xc0, v14
	v_mfma_f32_16x16x16_bf16 a[12:15], v[10:11], v[8:9], 0
	ds_read2st64_b64 v[6:9], v31 offset0:36 offset1:40
	v_lshlrev_b32_e32 v33, 1, v2
	ds_read2st64_b64 v[10:13], v32 offset0:36 offset1:40
	ds_read2st64_b64 v[14:17], v33 offset0:36 offset1:40
	s_add_i32 s17, s0, s44
	s_mul_i32 s0, s33, s19
	s_mul_hi_u32 s1, s33, s18
	s_add_i32 s0, s1, s0
	s_mul_i32 s1, s12, s18
	s_ashr_i32 s3, s2, 31
	s_mul_i32 s12, s2, s29
	s_mul_hi_u32 s13, s2, s28
	s_waitcnt lgkmcnt(2)
	v_mfma_f32_16x16x16_bf16 a[4:7], v[20:21], v[6:7], a[4:7]
	s_add_i32 s12, s13, s12
	s_mul_i32 s3, s3, s28
	s_add_i32 s1, s0, s1
	s_waitcnt lgkmcnt(1)
	v_mfma_f32_16x16x16_bf16 a[8:11], v[20:21], v[10:11], a[8:11]
	s_add_i32 s3, s12, s3
	s_lshl_b64 s[12:13], s[16:17], 2
	s_mul_i32 s0, s33, s18
	s_waitcnt lgkmcnt(0)
	v_mfma_f32_16x16x16_bf16 a[12:15], v[20:21], v[14:15], a[12:15]
	s_add_u32 s10, s10, s12
	s_addc_u32 s11, s11, s13
	s_lshl_b64 s[0:1], s[0:1], 2
	v_mfma_f32_16x16x16_bf16 a[0:3], v[34:35], v[4:5], a[0:3]
	s_mul_i32 s2, s2, s28
	ds_read_b64 v[2:3], v26 offset:22528
	s_add_u32 s10, s10, s0
	v_mfma_f32_16x16x16_bf16 a[4:7], v[34:35], v[8:9], a[4:7]
	ds_read_b64 v[4:5], v31 offset:22528
	ds_read_b64 v[6:7], v32 offset:22528
	;; [unrolled: 1-line block ×3, first 2 shown]
	s_addc_u32 s11, s11, s1
	s_lshl_b64 s[0:1], s[2:3], 2
	v_mfma_f32_16x16x16_bf16 a[8:11], v[34:35], v[12:13], a[8:11]
	s_add_u32 s0, s10, s0
	s_addc_u32 s1, s11, s1
	s_load_dword s12, s[0:1], 0x0
	v_mfma_f32_16x16x16_bf16 a[12:15], v[34:35], v[16:17], a[12:15]
	s_and_b64 vcc, exec, s[26:27]
	s_waitcnt lgkmcnt(0)
	v_mfma_f32_16x16x16_bf16 a[0:3], v[36:37], v[2:3], a[0:3]
	v_mfma_f32_16x16x16_bf16 a[4:7], v[36:37], v[4:5], a[4:7]
	;; [unrolled: 1-line block ×4, first 2 shown]
	s_cbranch_vccz .LBB200_42
; %bb.32:
	v_lshlrev_b32_e32 v20, 1, v25
	s_and_b64 vcc, exec, s[6:7]
	s_cbranch_vccz .LBB200_43
; %bb.33:
	v_cmp_gt_i32_e32 vcc, s40, v20
	v_mov_b32_e32 v6, 0
	v_mov_b32_e32 v2, 0
	;; [unrolled: 1-line block ×5, first 2 shown]
	s_and_saveexec_b64 s[0:1], vcc
	s_cbranch_execz .LBB200_35
; %bb.34:
	v_mad_i64_i32 v[2:3], s[2:3], s15, v20, 0
	v_lshl_add_u64 v[2:3], v[2:3], 1, s[4:5]
	v_lshlrev_b32_e32 v4, 1, v18
	v_mov_b32_e32 v5, 0
	v_lshl_add_u64 v[2:3], v[2:3], 0, v[4:5]
	global_load_dwordx4 v[2:5], v[2:3], off
.LBB200_35:
	s_or_b64 exec, exec, s[0:1]
	v_or_b32_e32 v21, 1, v20
	v_cmp_gt_i32_e64 s[0:1], s40, v21
	v_mov_b32_e32 v7, 0
	v_mov_b32_e32 v8, 0
	;; [unrolled: 1-line block ×3, first 2 shown]
	s_and_saveexec_b64 s[2:3], s[0:1]
	s_cbranch_execz .LBB200_37
; %bb.36:
	v_mad_i64_i32 v[6:7], s[16:17], s15, v21, 0
	v_lshl_add_u64 v[6:7], v[6:7], 1, s[4:5]
	v_lshlrev_b32_e32 v8, 1, v18
	v_mov_b32_e32 v9, 0
	v_lshl_add_u64 v[6:7], v[6:7], 0, v[8:9]
	global_load_dwordx4 v[6:9], v[6:7], off
.LBB200_37:
	s_or_b64 exec, exec, s[2:3]
	v_mov_b32_e32 v17, 0
	v_mov_b32_e32 v10, 0
	;; [unrolled: 1-line block ×5, first 2 shown]
	s_and_saveexec_b64 s[2:3], vcc
	s_cbranch_execz .LBB200_39
; %bb.38:
	v_mad_i64_i32 v[10:11], s[16:17], s15, v20, 0
	v_lshl_add_u64 v[10:11], v[10:11], 1, s[4:5]
	v_lshlrev_b32_e32 v12, 1, v18
	v_mov_b32_e32 v13, 0
	v_lshl_add_u64 v[10:11], v[10:11], 0, v[12:13]
	global_load_dwordx4 v[10:13], v[10:11], off offset:128
.LBB200_39:
	s_or_b64 exec, exec, s[2:3]
	v_mov_b32_e32 v16, 0
	v_mov_b32_e32 v15, 0
	v_mov_b32_e32 v14, 0
	s_and_saveexec_b64 s[2:3], s[0:1]
	s_cbranch_execz .LBB200_41
; %bb.40:
	v_mad_i64_i32 v[14:15], s[0:1], s15, v21, 0
	v_lshl_add_u64 v[14:15], v[14:15], 1, s[4:5]
	v_lshlrev_b32_e32 v16, 1, v18
	v_mov_b32_e32 v17, 0
	v_lshl_add_u64 v[14:15], v[14:15], 0, v[16:17]
	global_load_dwordx4 v[14:17], v[14:15], off offset:128
.LBB200_41:
	s_or_b64 exec, exec, s[2:3]
	s_branch .LBB200_45
.LBB200_42:
                                        ; implicit-def: $vgpr5
                                        ; implicit-def: $vgpr9
                                        ; implicit-def: $vgpr13
                                        ; implicit-def: $vgpr17
	v_lshrrev_b32_e32 v34, 2, v84
	s_branch .LBB200_46
.LBB200_43:
                                        ; implicit-def: $vgpr5
                                        ; implicit-def: $vgpr9
                                        ; implicit-def: $vgpr13
                                        ; implicit-def: $vgpr17
	s_cbranch_execz .LBB200_45
; %bb.44:
	s_waitcnt vmcnt(0)
	v_mad_u64_u32 v[2:3], s[0:1], v20, s15, v[18:19]
	v_lshlrev_b32_e32 v20, 1, v2
	s_lshl_b32 s2, s15, 7
	s_and_b32 s1, s5, 0xffff
	s_mov_b32 s3, 0x20000
	s_mov_b32 s0, s4
	v_add_lshl_u32 v21, v2, s15, 1
	s_movk_i32 s13, 0x80
	buffer_load_dwordx4 v[2:5], v20, s[0:3], 0 offen
	buffer_load_dwordx4 v[10:13], v20, s[0:3], s13 offen
	;; [unrolled: 1-line block ×4, first 2 shown]
.LBB200_45:
	v_lshrrev_b32_e32 v34, 2, v84
	s_cbranch_execnz .LBB200_58
.LBB200_46:
	s_and_b64 vcc, exec, s[6:7]
	s_cbranch_vccz .LBB200_56
; %bb.47:
	s_waitcnt vmcnt(0)
	v_lshlrev_b32_e32 v7, 1, v25
	v_cmp_gt_i32_e32 vcc, s40, v7
	v_mov_b32_e32 v6, 0
	v_lshlrev_b32_e32 v14, 9, v25
	v_mov_b32_e32 v2, 0
	v_mov_b32_e32 v3, 0
	;; [unrolled: 1-line block ×4, first 2 shown]
	s_and_saveexec_b64 s[0:1], vcc
	s_cbranch_execz .LBB200_49
; %bb.48:
	v_mov_b32_e32 v15, 0
	v_lshl_add_u64 v[2:3], s[4:5], 0, v[14:15]
	v_lshlrev_b32_e32 v4, 1, v18
	v_mov_b32_e32 v5, v15
	v_lshl_add_u64 v[2:3], v[2:3], 0, v[4:5]
	global_load_dwordx4 v[2:5], v[2:3], off
.LBB200_49:
	s_or_b64 exec, exec, s[0:1]
	v_or_b32_e32 v7, 1, v7
	v_cmp_gt_i32_e64 s[0:1], s40, v7
	v_lshlrev_b32_e32 v20, 8, v7
	v_mov_b32_e32 v7, 0
	v_mov_b32_e32 v8, 0
	;; [unrolled: 1-line block ×3, first 2 shown]
	s_and_saveexec_b64 s[2:3], s[0:1]
	s_cbranch_execz .LBB200_51
; %bb.50:
	v_mov_b32_e32 v21, 0
	v_lshl_add_u64 v[6:7], s[4:5], 0, v[20:21]
	v_lshlrev_b32_e32 v8, 1, v18
	v_mov_b32_e32 v9, v21
	v_lshl_add_u64 v[6:7], v[6:7], 0, v[8:9]
	global_load_dwordx4 v[6:9], v[6:7], off
.LBB200_51:
	s_or_b64 exec, exec, s[2:3]
	v_mov_b32_e32 v17, 0
	v_mov_b32_e32 v10, 0
	v_mov_b32_e32 v11, 0
	v_mov_b32_e32 v12, 0
	v_mov_b32_e32 v13, 0
	s_and_saveexec_b64 s[2:3], vcc
	s_cbranch_execz .LBB200_53
; %bb.52:
	v_mov_b32_e32 v15, 0
	v_lshl_add_u64 v[10:11], s[4:5], 0, v[14:15]
	v_lshlrev_b32_e32 v14, 1, v18
	v_lshl_add_u64 v[10:11], v[10:11], 0, v[14:15]
	global_load_dwordx4 v[10:13], v[10:11], off offset:128
.LBB200_53:
	s_or_b64 exec, exec, s[2:3]
	v_mov_b32_e32 v16, 0
	v_mov_b32_e32 v15, 0
	;; [unrolled: 1-line block ×3, first 2 shown]
	s_and_saveexec_b64 s[2:3], s[0:1]
	s_cbranch_execz .LBB200_55
; %bb.54:
	v_mov_b32_e32 v21, 0
	v_lshl_add_u64 v[14:15], s[4:5], 0, v[20:21]
	v_lshlrev_b32_e32 v20, 1, v18
	v_lshl_add_u64 v[14:15], v[14:15], 0, v[20:21]
	global_load_dwordx4 v[14:17], v[14:15], off offset:128
.LBB200_55:
	s_or_b64 exec, exec, s[2:3]
	s_branch .LBB200_58
.LBB200_56:
                                        ; implicit-def: $vgpr5
                                        ; implicit-def: $vgpr9
                                        ; implicit-def: $vgpr13
                                        ; implicit-def: $vgpr17
	s_cbranch_execz .LBB200_58
; %bb.57:
	s_waitcnt vmcnt(0)
	v_lshlrev_b32_e32 v2, 1, v18
	v_lshl_or_b32 v18, v25, 9, v2
	s_and_b32 s5, s5, 0xffff
	s_mov_b32 s7, 0x20000
	s_movk_i32 s6, 0x4000
	s_movk_i32 s0, 0x80
	buffer_load_dwordx4 v[2:5], v18, s[4:7], 0 offen
	buffer_load_dwordx4 v[6:9], v18, s[4:7], 0 offen offset:256
	buffer_load_dwordx4 v[10:13], v18, s[4:7], s0 offen
	buffer_load_dwordx4 v[14:17], v18, s[4:7], s0 offen offset:256
.LBB200_58:
	ds_read_b64 v[20:21], v27 offset:57344
	v_add_u32_e32 v18, 0x6000, v26
	ds_read2_b64 v[36:39], v18 offset1:16
	ds_read_b64 v[54:55], v28 offset:57344
	ds_read_b64 v[28:29], v29 offset:57344
	;; [unrolled: 1-line block ×3, first 2 shown]
	ds_read2st64_b64 v[40:43], v26 offset0:52 offset1:56
	s_mov_b32 s0, 0x1000504
	s_mov_b32 s1, 0x3020706
	s_waitcnt lgkmcnt(4)
	v_mfma_f32_16x16x16_bf16 a[0:3], v[20:21], v[36:37], a[0:3]
	v_mfma_f32_16x16x16_bf16 a[4:7], v[20:21], v[38:39], a[4:7]
	ds_read2_b64 v[36:39], v18 offset0:32 offset1:48
	v_and_b32_e32 v18, 6, v0
	v_xor_b32_e32 v25, v25, v18
	s_waitcnt lgkmcnt(0)
	v_mfma_f32_16x16x16_bf16 a[8:11], v[20:21], v[36:37], a[8:11]
	v_lshlrev_b32_e32 v25, 2, v25
	v_and_b32_e32 v0, 1, v0
	v_xor_b32_e32 v35, 0x440, v25
	v_mfma_f32_16x16x16_bf16 a[12:15], v[20:21], v[38:39], a[12:15]
	ds_read2st64_b64 v[36:39], v31 offset0:52 offset1:56
	ds_read2st64_b64 v[46:49], v32 offset0:52 offset1:56
	ds_read2st64_b64 v[50:53], v33 offset0:52 offset1:56
	v_cmp_eq_u32_e32 vcc, 0, v0
	ds_read_b64 v[20:21], v26 offset:30720
	ds_read_b64 v[26:27], v31 offset:30720
	;; [unrolled: 1-line block ×4, first 2 shown]
	v_mfma_f32_16x16x16_bf16 a[0:3], v[54:55], v[40:41], a[0:3]
	v_cndmask_b32_e32 v0, v35, v25, vcc
	v_lshl_or_b32 v0, v18, 10, v0
	s_waitcnt vmcnt(0)
	v_perm_b32 v18, v2, v6, s0
	s_waitcnt lgkmcnt(6)
	v_mfma_f32_16x16x16_bf16 a[4:7], v[54:55], v[36:37], a[4:7]
	v_perm_b32 v25, v10, v14, s0
	ds_write2st64_b32 v0, v18, v25 offset0:128 offset1:160
	v_xor_b32_e32 v18, 8, v0
	s_waitcnt lgkmcnt(6)
	v_mfma_f32_16x16x16_bf16 a[8:11], v[54:55], v[46:47], a[8:11]
	v_perm_b32 v2, v2, v6, s1
	v_perm_b32 v6, v10, v14, s1
	v_add_u32_e32 v10, 0x80, v18
	s_waitcnt lgkmcnt(5)
	v_mfma_f32_16x16x16_bf16 a[12:15], v[54:55], v[50:51], a[12:15]
	ds_write2st64_b32 v10, v2, v6 offset0:128 offset1:160
	v_xor_b32_e32 v2, 16, v0
	v_perm_b32 v6, v3, v7, s0
	v_mfma_f32_16x16x16_bf16 a[0:3], v[28:29], v[42:43], a[0:3]
	v_perm_b32 v10, v11, v15, s0
	ds_write2st64_b32 v2, v6, v10 offset0:129 offset1:161
	v_xor_b32_e32 v2, 24, v0
	v_mfma_f32_16x16x16_bf16 a[4:7], v[28:29], v[38:39], a[4:7]
	v_perm_b32 v3, v3, v7, s1
	v_perm_b32 v6, v11, v15, s1
	v_add_u32_e32 v2, 0x80, v2
	v_mfma_f32_16x16x16_bf16 a[16:19], v[28:29], v[48:49], a[8:11]
	ds_write2st64_b32 v2, v3, v6 offset0:129 offset1:161
	v_xor_b32_e32 v2, 32, v0
	v_perm_b32 v3, v4, v8, s0
	v_mfma_f32_16x16x16_bf16 a[20:23], v[28:29], v[52:53], a[12:15]
	v_perm_b32 v6, v12, v16, s0
	ds_write2st64_b32 v2, v3, v6 offset0:130 offset1:162
	v_xor_b32_e32 v2, 40, v0
	s_waitcnt lgkmcnt(8)
	v_mfma_f32_16x16x16_bf16 a[12:15], v[56:57], v[20:21], a[0:3]
	v_perm_b32 v3, v4, v8, s1
	v_perm_b32 v4, v12, v16, s1
	v_add_u32_e32 v2, 0x80, v2
	s_waitcnt lgkmcnt(7)
	v_mfma_f32_16x16x16_bf16 a[8:11], v[56:57], v[26:27], a[4:7]
	ds_write2st64_b32 v2, v3, v4 offset0:130 offset1:162
	v_xor_b32_e32 v2, 48, v0
	v_perm_b32 v3, v5, v9, s0
	s_waitcnt lgkmcnt(7)
	v_mfma_f32_16x16x16_bf16 a[4:7], v[56:57], v[30:31], a[16:19]
	v_perm_b32 v4, v13, v17, s0
	v_xor_b32_e32 v0, 56, v0
	v_and_or_b32 v18, v34, 12, v1
	s_waitcnt lgkmcnt(6)
	v_mfma_f32_16x16x16_bf16 a[0:3], v[56:57], v[32:33], a[20:23]
	ds_write2st64_b32 v2, v3, v4 offset0:131 offset1:163
	v_perm_b32 v2, v5, v9, s1
	v_perm_b32 v3, v13, v17, s1
	v_add_u32_e32 v0, 0x80, v0
	v_cmp_gt_i32_e32 vcc, s40, v18
	v_mov_b32_e32 v14, 0
	v_mov_b32_e32 v16, 0
	ds_write2st64_b32 v0, v2, v3 offset0:131 offset1:163
	s_and_saveexec_b64 s[0:1], vcc
	s_cbranch_execz .LBB200_60
; %bb.59:
	v_add_u32_e32 v0, s34, v18
	v_ashrrev_i32_e32 v1, 31, v0
	v_mul_lo_u32 v2, v1, s28
	v_mul_lo_u32 v3, v0, s29
	v_mad_u64_u32 v[0:1], s[2:3], v0, s28, 0
	v_add3_u32 v1, v1, v3, v2
	v_lshl_add_u64 v[0:1], v[0:1], 2, s[10:11]
	global_load_dword v0, v[0:1], off
	s_waitcnt vmcnt(0)
	v_sub_f32_e32 v0, s12, v0
	v_mul_f32_e32 v0, 0x3fb8aa3b, v0
	v_exp_f32_e32 v16, v0
.LBB200_60:
	s_or_b64 exec, exec, s[0:1]
	v_or_b32_e32 v8, 1, v18
	v_cmp_gt_i32_e64 s[0:1], s40, v8
	s_and_saveexec_b64 s[2:3], s[0:1]
	s_cbranch_execz .LBB200_62
; %bb.61:
	v_add_u32_e32 v0, s34, v8
	v_ashrrev_i32_e32 v1, 31, v0
	v_mul_lo_u32 v2, v1, s28
	v_mul_lo_u32 v3, v0, s29
	v_mad_u64_u32 v[0:1], s[4:5], v0, s28, 0
	v_add3_u32 v1, v1, v3, v2
	v_lshl_add_u64 v[0:1], v[0:1], 2, s[10:11]
	global_load_dword v0, v[0:1], off
	s_waitcnt vmcnt(0)
	v_sub_f32_e32 v0, s12, v0
	v_mul_f32_e32 v0, 0x3fb8aa3b, v0
	v_exp_f32_e32 v14, v0
.LBB200_62:
	s_or_b64 exec, exec, s[2:3]
	v_or_b32_e32 v10, 2, v18
	v_cmp_gt_i32_e64 s[2:3], s40, v10
	v_mov_b32_e32 v15, 0
	v_mov_b32_e32 v17, 0
	s_and_saveexec_b64 s[4:5], s[2:3]
	s_cbranch_execz .LBB200_64
; %bb.63:
	v_add_u32_e32 v0, s34, v10
	v_ashrrev_i32_e32 v1, 31, v0
	v_mul_lo_u32 v2, v1, s28
	v_mul_lo_u32 v3, v0, s29
	v_mad_u64_u32 v[0:1], s[6:7], v0, s28, 0
	v_add3_u32 v1, v1, v3, v2
	v_lshl_add_u64 v[0:1], v[0:1], 2, s[10:11]
	global_load_dword v0, v[0:1], off
	s_waitcnt vmcnt(0)
	v_sub_f32_e32 v0, s12, v0
	v_mul_f32_e32 v0, 0x3fb8aa3b, v0
	v_exp_f32_e32 v17, v0
.LBB200_64:
	s_or_b64 exec, exec, s[4:5]
	v_or_b32_e32 v12, 3, v18
	v_cmp_gt_i32_e64 s[4:5], s40, v12
	s_and_saveexec_b64 s[6:7], s[4:5]
	s_cbranch_execz .LBB200_66
; %bb.65:
	v_add_u32_e32 v0, s34, v12
	v_ashrrev_i32_e32 v1, 31, v0
	v_mul_lo_u32 v2, v1, s28
	v_mul_lo_u32 v3, v0, s29
	v_mad_u64_u32 v[0:1], s[14:15], v0, s28, 0
	v_add3_u32 v1, v1, v3, v2
	v_lshl_add_u64 v[0:1], v[0:1], 2, s[10:11]
	global_load_dword v0, v[0:1], off
	s_waitcnt vmcnt(0)
	v_sub_f32_e32 v0, s12, v0
	v_mul_f32_e32 v0, 0x3fb8aa3b, v0
	v_exp_f32_e32 v15, v0
.LBB200_66:
	s_or_b64 exec, exec, s[6:7]
	v_or_b32_e32 v4, s30, v45
	s_add_u32 s6, s8, s24
	v_accvgpr_read_b32 v0, a12
	s_addc_u32 s7, s9, s25
	v_ashrrev_i32_e32 v5, 31, v4
	v_accvgpr_read_b32 v1, a13
	v_accvgpr_read_b32 v2, a14
	;; [unrolled: 1-line block ×3, first 2 shown]
	v_lshl_add_u64 v[4:5], v[4:5], 1, s[6:7]
	v_mov_b32_e32 v9, 0
	v_lshlrev_b32_e32 v6, 8, v18
	v_mov_b32_e32 v7, 0
	s_and_saveexec_b64 s[6:7], vcc
	s_cbranch_execz .LBB200_68
; %bb.67:
	v_mov_b32_e32 v7, 0
	v_lshl_add_u64 v[20:21], v[4:5], 0, v[6:7]
	global_load_ushort v7, v[20:21], off
	s_waitcnt vmcnt(0)
	v_lshlrev_b32_e32 v7, 16, v7
	v_sub_f32_e32 v0, v7, v0
	v_mul_f32_e32 v0, v16, v0
	v_lshrrev_b32_e32 v7, 16, v0
.LBB200_68:
	s_or_b64 exec, exec, s[6:7]
	v_lshlrev_b32_e32 v8, 8, v8
	s_and_saveexec_b64 s[6:7], s[0:1]
	s_cbranch_execz .LBB200_70
; %bb.69:
	v_mov_b32_e32 v9, 0
	v_lshl_add_u64 v[20:21], v[4:5], 0, v[8:9]
	global_load_ushort v0, v[20:21], off
	s_waitcnt vmcnt(0)
	v_lshlrev_b32_e32 v0, 16, v0
	v_sub_f32_e32 v0, v0, v1
	v_mul_f32_e32 v0, v14, v0
	v_lshrrev_b32_e32 v9, 16, v0
.LBB200_70:
	s_or_b64 exec, exec, s[6:7]
	v_mov_b32_e32 v13, 0
	v_lshlrev_b32_e32 v10, 8, v10
	v_mov_b32_e32 v11, 0
	s_and_saveexec_b64 s[6:7], s[2:3]
	s_cbranch_execz .LBB200_72
; %bb.71:
	v_mov_b32_e32 v11, 0
	v_lshl_add_u64 v[0:1], v[4:5], 0, v[10:11]
	global_load_ushort v0, v[0:1], off
	s_waitcnt vmcnt(0)
	v_lshlrev_b32_e32 v0, 16, v0
	v_sub_f32_e32 v0, v0, v2
	v_mul_f32_e32 v0, v17, v0
	v_lshrrev_b32_e32 v11, 16, v0
.LBB200_72:
	s_or_b64 exec, exec, s[6:7]
	v_lshlrev_b32_e32 v12, 8, v12
	s_and_saveexec_b64 s[6:7], s[4:5]
	s_cbranch_execz .LBB200_74
; %bb.73:
	v_mov_b32_e32 v13, 0
	v_lshl_add_u64 v[0:1], v[4:5], 0, v[12:13]
	global_load_ushort v0, v[0:1], off
	s_waitcnt vmcnt(0)
	v_lshlrev_b32_e32 v0, 16, v0
	v_sub_f32_e32 v0, v0, v3
	v_mul_f32_e32 v0, v15, v0
	v_lshrrev_b32_e32 v13, 16, v0
.LBB200_74:
	s_or_b64 exec, exec, s[6:7]
	v_lshlrev_b32_e32 v18, 6, v18
	s_mov_b32 s6, 0x5040100
	v_perm_b32 v20, v9, v7, s6
	v_or_b32_e32 v7, v18, v24
	v_accvgpr_read_b32 v0, a8
	v_perm_b32 v21, v13, v11, s6
	v_lshlrev_b32_e32 v7, 1, v7
	v_accvgpr_read_b32 v1, a9
	v_accvgpr_read_b32 v2, a10
	v_accvgpr_read_b32 v3, a11
	ds_write_b64 v7, v[20:21] offset:24576
	v_mov_b32_e32 v9, 0
	v_mov_b32_e32 v7, 0
	s_and_saveexec_b64 s[6:7], vcc
	s_cbranch_execz .LBB200_76
; %bb.75:
	v_mov_b32_e32 v7, 0
	v_lshl_add_u64 v[20:21], v[4:5], 0, v[6:7]
	global_load_ushort v7, v[20:21], off offset:32
	s_waitcnt vmcnt(0)
	v_lshlrev_b32_e32 v7, 16, v7
	v_sub_f32_e32 v0, v7, v0
	v_mul_f32_e32 v0, v16, v0
	v_lshrrev_b32_e32 v7, 16, v0
.LBB200_76:
	s_or_b64 exec, exec, s[6:7]
	s_and_saveexec_b64 s[6:7], s[0:1]
	s_cbranch_execz .LBB200_78
; %bb.77:
	v_mov_b32_e32 v9, 0
	v_lshl_add_u64 v[20:21], v[4:5], 0, v[8:9]
	global_load_ushort v0, v[20:21], off offset:32
	s_waitcnt vmcnt(0)
	v_lshlrev_b32_e32 v0, 16, v0
	v_sub_f32_e32 v0, v0, v1
	v_mul_f32_e32 v0, v14, v0
	v_lshrrev_b32_e32 v9, 16, v0
.LBB200_78:
	s_or_b64 exec, exec, s[6:7]
	v_mov_b32_e32 v13, 0
	v_mov_b32_e32 v11, 0
	s_and_saveexec_b64 s[6:7], s[2:3]
	s_cbranch_execz .LBB200_80
; %bb.79:
	v_mov_b32_e32 v11, 0
	v_lshl_add_u64 v[0:1], v[4:5], 0, v[10:11]
	global_load_ushort v0, v[0:1], off offset:32
	s_waitcnt vmcnt(0)
	v_lshlrev_b32_e32 v0, 16, v0
	v_sub_f32_e32 v0, v0, v2
	v_mul_f32_e32 v0, v17, v0
	v_lshrrev_b32_e32 v11, 16, v0
.LBB200_80:
	s_or_b64 exec, exec, s[6:7]
	s_and_saveexec_b64 s[6:7], s[4:5]
	s_cbranch_execz .LBB200_82
; %bb.81:
	v_mov_b32_e32 v13, 0
	v_lshl_add_u64 v[0:1], v[4:5], 0, v[12:13]
	global_load_ushort v0, v[0:1], off offset:32
	s_waitcnt vmcnt(0)
	v_lshlrev_b32_e32 v0, 16, v0
	v_sub_f32_e32 v0, v0, v3
	v_mul_f32_e32 v0, v15, v0
	v_lshrrev_b32_e32 v13, 16, v0
.LBB200_82:
	s_or_b64 exec, exec, s[6:7]
	s_mov_b32 s6, 0x5040100
	v_perm_b32 v20, v9, v7, s6
	v_or_b32_e32 v7, v18, v23
	v_accvgpr_read_b32 v0, a4
	v_perm_b32 v21, v13, v11, s6
	v_lshlrev_b32_e32 v7, 1, v7
	v_accvgpr_read_b32 v1, a5
	v_accvgpr_read_b32 v2, a6
	;; [unrolled: 1-line block ×3, first 2 shown]
	ds_write_b64 v7, v[20:21] offset:24576
	v_mov_b32_e32 v9, 0
	v_mov_b32_e32 v7, 0
	s_and_saveexec_b64 s[6:7], vcc
	s_cbranch_execz .LBB200_84
; %bb.83:
	v_mov_b32_e32 v7, 0
	v_lshl_add_u64 v[20:21], v[4:5], 0, v[6:7]
	global_load_ushort v7, v[20:21], off offset:64
	s_waitcnt vmcnt(0)
	v_lshlrev_b32_e32 v7, 16, v7
	v_sub_f32_e32 v0, v7, v0
	v_mul_f32_e32 v0, v16, v0
	v_lshrrev_b32_e32 v7, 16, v0
.LBB200_84:
	s_or_b64 exec, exec, s[6:7]
	s_and_saveexec_b64 s[6:7], s[0:1]
	s_cbranch_execz .LBB200_86
; %bb.85:
	v_mov_b32_e32 v9, 0
	v_lshl_add_u64 v[20:21], v[4:5], 0, v[8:9]
	global_load_ushort v0, v[20:21], off offset:64
	s_waitcnt vmcnt(0)
	v_lshlrev_b32_e32 v0, 16, v0
	v_sub_f32_e32 v0, v0, v1
	v_mul_f32_e32 v0, v14, v0
	v_lshrrev_b32_e32 v9, 16, v0
.LBB200_86:
	s_or_b64 exec, exec, s[6:7]
	v_mov_b32_e32 v13, 0
	v_mov_b32_e32 v11, 0
	s_and_saveexec_b64 s[6:7], s[2:3]
	s_cbranch_execz .LBB200_88
; %bb.87:
	v_mov_b32_e32 v11, 0
	v_lshl_add_u64 v[0:1], v[4:5], 0, v[10:11]
	global_load_ushort v0, v[0:1], off offset:64
	s_waitcnt vmcnt(0)
	v_lshlrev_b32_e32 v0, 16, v0
	v_sub_f32_e32 v0, v0, v2
	v_mul_f32_e32 v0, v17, v0
	v_lshrrev_b32_e32 v11, 16, v0
.LBB200_88:
	s_or_b64 exec, exec, s[6:7]
	s_and_saveexec_b64 s[6:7], s[4:5]
	s_cbranch_execz .LBB200_90
; %bb.89:
	v_mov_b32_e32 v13, 0
	v_lshl_add_u64 v[0:1], v[4:5], 0, v[12:13]
	global_load_ushort v0, v[0:1], off offset:64
	s_waitcnt vmcnt(0)
	v_lshlrev_b32_e32 v0, 16, v0
	v_sub_f32_e32 v0, v0, v3
	v_mul_f32_e32 v0, v15, v0
	v_lshrrev_b32_e32 v13, 16, v0
.LBB200_90:
	s_or_b64 exec, exec, s[6:7]
	s_mov_b32 s6, 0x5040100
	v_perm_b32 v20, v9, v7, s6
	v_or_b32_e32 v7, v18, v22
	v_accvgpr_read_b32 v0, a0
	v_perm_b32 v21, v13, v11, s6
	v_lshlrev_b32_e32 v7, 1, v7
	v_accvgpr_read_b32 v1, a1
	v_accvgpr_read_b32 v2, a2
	;; [unrolled: 1-line block ×3, first 2 shown]
	ds_write_b64 v7, v[20:21] offset:24576
	v_mov_b32_e32 v9, 0
	v_mov_b32_e32 v7, 0
	s_and_saveexec_b64 s[6:7], vcc
	s_cbranch_execz .LBB200_92
; %bb.91:
	v_mov_b32_e32 v7, 0
	v_lshl_add_u64 v[6:7], v[4:5], 0, v[6:7]
	global_load_ushort v6, v[6:7], off offset:96
	s_waitcnt vmcnt(0)
	v_lshlrev_b32_e32 v6, 16, v6
	v_sub_f32_e32 v0, v6, v0
	v_mul_f32_e32 v0, v16, v0
	v_lshrrev_b32_e32 v7, 16, v0
.LBB200_92:
	s_or_b64 exec, exec, s[6:7]
	s_and_saveexec_b64 s[6:7], s[0:1]
	s_cbranch_execz .LBB200_94
; %bb.93:
	v_mov_b32_e32 v9, 0
	v_lshl_add_u64 v[8:9], v[4:5], 0, v[8:9]
	global_load_ushort v0, v[8:9], off offset:96
	s_waitcnt vmcnt(0)
	v_lshlrev_b32_e32 v0, 16, v0
	v_sub_f32_e32 v0, v0, v1
	v_mul_f32_e32 v0, v14, v0
	v_lshrrev_b32_e32 v9, 16, v0
.LBB200_94:
	s_or_b64 exec, exec, s[6:7]
	v_mov_b32_e32 v0, 0
	v_mov_b32_e32 v1, 0
	s_and_saveexec_b64 s[0:1], s[2:3]
	s_cbranch_execz .LBB200_96
; %bb.95:
	v_mov_b32_e32 v11, 0
	v_lshl_add_u64 v[10:11], v[4:5], 0, v[10:11]
	global_load_ushort v1, v[10:11], off offset:96
	s_waitcnt vmcnt(0)
	v_lshlrev_b32_e32 v1, 16, v1
	v_sub_f32_e32 v1, v1, v2
	v_mul_f32_e32 v1, v17, v1
	v_lshrrev_b32_e32 v1, 16, v1
.LBB200_96:
	s_or_b64 exec, exec, s[0:1]
	s_and_saveexec_b64 s[0:1], s[4:5]
	s_cbranch_execz .LBB200_98
; %bb.97:
	v_mov_b32_e32 v13, 0
	v_lshl_add_u64 v[4:5], v[4:5], 0, v[12:13]
	global_load_ushort v0, v[4:5], off offset:96
	s_waitcnt vmcnt(0)
	v_lshlrev_b32_e32 v0, 16, v0
	v_sub_f32_e32 v0, v0, v3
	v_mul_f32_e32 v0, v15, v0
	v_lshrrev_b32_e32 v0, 16, v0
.LBB200_98:
	s_or_b64 exec, exec, s[0:1]
	s_mov_b32 s0, 0x5040100
	v_or_b32_e32 v2, v18, v19
	v_perm_b32 v1, v0, v1, s0
	v_perm_b32 v0, v9, v7, s0
	v_lshlrev_b32_e32 v2, 1, v2
	ds_write_b64 v2, v[0:1] offset:24576
	s_waitcnt lgkmcnt(0)
	s_barrier
.LBB200_99:
	s_endpgm
	.section	.rodata,"a",@progbits
	.p2align	6, 0x0
	.amdhsa_kernel _ZN12_GLOBAL__N_139chunk_gated_delta_rule_fwd_h_hip_kernelILi64ELb0ELb0ELb0ELb1ELb0ELb1ELb1ELb0EEEvPK12hip_bfloat16S3_S3_PKfS5_PKvPS1_S8_PvPKiSB_iiiiilll
		.amdhsa_group_segment_fixed_size 65536
		.amdhsa_private_segment_fixed_size 0
		.amdhsa_kernarg_size 136
		.amdhsa_user_sgpr_count 2
		.amdhsa_user_sgpr_dispatch_ptr 0
		.amdhsa_user_sgpr_queue_ptr 0
		.amdhsa_user_sgpr_kernarg_segment_ptr 1
		.amdhsa_user_sgpr_dispatch_id 0
		.amdhsa_user_sgpr_kernarg_preload_length 0
		.amdhsa_user_sgpr_kernarg_preload_offset 0
		.amdhsa_user_sgpr_private_segment_size 0
		.amdhsa_uses_dynamic_stack 0
		.amdhsa_enable_private_segment 0
		.amdhsa_system_sgpr_workgroup_id_x 1
		.amdhsa_system_sgpr_workgroup_id_y 1
		.amdhsa_system_sgpr_workgroup_id_z 0
		.amdhsa_system_sgpr_workgroup_info 0
		.amdhsa_system_vgpr_workitem_id 0
		.amdhsa_next_free_vgpr 232
		.amdhsa_next_free_sgpr 62
		.amdhsa_accum_offset 192
		.amdhsa_reserve_vcc 1
		.amdhsa_float_round_mode_32 0
		.amdhsa_float_round_mode_16_64 0
		.amdhsa_float_denorm_mode_32 3
		.amdhsa_float_denorm_mode_16_64 3
		.amdhsa_dx10_clamp 1
		.amdhsa_ieee_mode 1
		.amdhsa_fp16_overflow 0
		.amdhsa_tg_split 0
		.amdhsa_exception_fp_ieee_invalid_op 0
		.amdhsa_exception_fp_denorm_src 0
		.amdhsa_exception_fp_ieee_div_zero 0
		.amdhsa_exception_fp_ieee_overflow 0
		.amdhsa_exception_fp_ieee_underflow 0
		.amdhsa_exception_fp_ieee_inexact 0
		.amdhsa_exception_int_div_zero 0
	.end_amdhsa_kernel
	.section	.text._ZN12_GLOBAL__N_139chunk_gated_delta_rule_fwd_h_hip_kernelILi64ELb0ELb0ELb0ELb1ELb0ELb1ELb1ELb0EEEvPK12hip_bfloat16S3_S3_PKfS5_PKvPS1_S8_PvPKiSB_iiiiilll,"axG",@progbits,_ZN12_GLOBAL__N_139chunk_gated_delta_rule_fwd_h_hip_kernelILi64ELb0ELb0ELb0ELb1ELb0ELb1ELb1ELb0EEEvPK12hip_bfloat16S3_S3_PKfS5_PKvPS1_S8_PvPKiSB_iiiiilll,comdat
.Lfunc_end200:
	.size	_ZN12_GLOBAL__N_139chunk_gated_delta_rule_fwd_h_hip_kernelILi64ELb0ELb0ELb0ELb1ELb0ELb1ELb1ELb0EEEvPK12hip_bfloat16S3_S3_PKfS5_PKvPS1_S8_PvPKiSB_iiiiilll, .Lfunc_end200-_ZN12_GLOBAL__N_139chunk_gated_delta_rule_fwd_h_hip_kernelILi64ELb0ELb0ELb0ELb1ELb0ELb1ELb1ELb0EEEvPK12hip_bfloat16S3_S3_PKfS5_PKvPS1_S8_PvPKiSB_iiiiilll
                                        ; -- End function
	.section	.AMDGPU.csdata,"",@progbits
; Kernel info:
; codeLenInByte = 11012
; NumSgprs: 68
; NumVgprs: 190
; NumAgprs: 40
; TotalNumVgprs: 232
; ScratchSize: 0
; MemoryBound: 0
; FloatMode: 240
; IeeeMode: 1
; LDSByteSize: 65536 bytes/workgroup (compile time only)
; SGPRBlocks: 8
; VGPRBlocks: 28
; NumSGPRsForWavesPerEU: 68
; NumVGPRsForWavesPerEU: 232
; AccumOffset: 192
; Occupancy: 1
; WaveLimiterHint : 1
; COMPUTE_PGM_RSRC2:SCRATCH_EN: 0
; COMPUTE_PGM_RSRC2:USER_SGPR: 2
; COMPUTE_PGM_RSRC2:TRAP_HANDLER: 0
; COMPUTE_PGM_RSRC2:TGID_X_EN: 1
; COMPUTE_PGM_RSRC2:TGID_Y_EN: 1
; COMPUTE_PGM_RSRC2:TGID_Z_EN: 0
; COMPUTE_PGM_RSRC2:TIDIG_COMP_CNT: 0
; COMPUTE_PGM_RSRC3_GFX90A:ACCUM_OFFSET: 47
; COMPUTE_PGM_RSRC3_GFX90A:TG_SPLIT: 0
	.section	.text._ZN12_GLOBAL__N_139chunk_gated_delta_rule_fwd_h_hip_kernelILi64ELb1ELb1ELb1ELb0ELb0ELb1ELb1ELb0EEEvPK12hip_bfloat16S3_S3_PKfS5_PKvPS1_S8_PvPKiSB_iiiiilll,"axG",@progbits,_ZN12_GLOBAL__N_139chunk_gated_delta_rule_fwd_h_hip_kernelILi64ELb1ELb1ELb1ELb0ELb0ELb1ELb1ELb0EEEvPK12hip_bfloat16S3_S3_PKfS5_PKvPS1_S8_PvPKiSB_iiiiilll,comdat
	.globl	_ZN12_GLOBAL__N_139chunk_gated_delta_rule_fwd_h_hip_kernelILi64ELb1ELb1ELb1ELb0ELb0ELb1ELb1ELb0EEEvPK12hip_bfloat16S3_S3_PKfS5_PKvPS1_S8_PvPKiSB_iiiiilll ; -- Begin function _ZN12_GLOBAL__N_139chunk_gated_delta_rule_fwd_h_hip_kernelILi64ELb1ELb1ELb1ELb0ELb0ELb1ELb1ELb0EEEvPK12hip_bfloat16S3_S3_PKfS5_PKvPS1_S8_PvPKiSB_iiiiilll
	.p2align	8
	.type	_ZN12_GLOBAL__N_139chunk_gated_delta_rule_fwd_h_hip_kernelILi64ELb1ELb1ELb1ELb0ELb0ELb1ELb1ELb0EEEvPK12hip_bfloat16S3_S3_PKfS5_PKvPS1_S8_PvPKiSB_iiiiilll,@function
_ZN12_GLOBAL__N_139chunk_gated_delta_rule_fwd_h_hip_kernelILi64ELb1ELb1ELb1ELb0ELb0ELb1ELb1ELb0EEEvPK12hip_bfloat16S3_S3_PKfS5_PKvPS1_S8_PvPKiSB_iiiiilll: ; @_ZN12_GLOBAL__N_139chunk_gated_delta_rule_fwd_h_hip_kernelILi64ELb1ELb1ELb1ELb0ELb0ELb1ELb1ELb0EEEvPK12hip_bfloat16S3_S3_PKfS5_PKvPS1_S8_PvPKiSB_iiiiilll
; %bb.0:
	s_load_dwordx4 s[24:27], s[0:1], 0x5c
	s_abs_i32 s6, s3
	s_ashr_i32 s5, s3, 31
	v_and_b32_e32 v99, 15, v0
	v_bfe_u32 v98, v0, 4, 2
	s_waitcnt lgkmcnt(0)
	s_abs_i32 s4, s25
	v_cvt_f32_u32_e32 v1, s4
	s_sub_i32 s8, 0, s4
	s_ashr_i32 s7, s25, 31
	s_xor_b32 s5, s5, s7
	v_rcp_iflag_f32_e32 v1, v1
	v_mov_b32_e32 v79, 0
	v_lshlrev_b32_e32 v100, 3, v0
	v_mul_f32_e32 v1, 0x4f7ffffe, v1
	v_cvt_u32_f32_e32 v1, v1
	s_nop 0
	v_readfirstlane_b32 s9, v1
	s_mul_i32 s8, s8, s9
	s_mul_hi_u32 s8, s9, s8
	s_add_i32 s9, s9, s8
	s_mul_hi_u32 s8, s6, s9
	s_mul_i32 s9, s8, s4
	s_sub_i32 s6, s6, s9
	s_add_i32 s10, s8, 1
	s_sub_i32 s9, s6, s4
	s_cmp_ge_u32 s6, s4
	s_cselect_b32 s8, s10, s8
	s_cselect_b32 s6, s9, s6
	s_add_i32 s9, s8, 1
	s_cmp_ge_u32 s6, s4
	s_cselect_b32 s6, s9, s8
	s_xor_b32 s6, s6, s5
	s_sub_i32 s58, s6, s5
	s_mul_i32 s6, s58, s25
	s_sub_i32 s33, s3, s6
	s_abs_i32 s3, s26
	v_cvt_f32_u32_e32 v1, s3
	s_add_i32 s8, s24, 63
	s_ashr_i32 s9, s8, 31
	s_lshr_b32 s5, s9, 26
	v_rcp_iflag_f32_e32 v1, v1
	s_ashr_i32 s57, s24, 31
	s_add_i32 s8, s8, s5
	s_lshr_b32 s5, s57, 26
	v_mul_f32_e32 v1, 0x4f7ffffe, v1
	v_cvt_u32_f32_e32 v1, v1
	s_add_i32 s5, s24, s5
	s_ashr_i32 s60, s26, 31
	s_ashr_i32 s28, s8, 6
	;; [unrolled: 1-line block ×3, first 2 shown]
	s_xor_b32 s5, s7, s60
	s_sub_i32 s7, 0, s3
	v_readfirstlane_b32 s8, v1
	s_mul_i32 s7, s7, s8
	s_mul_hi_u32 s7, s8, s7
	s_add_i32 s8, s8, s7
	s_mul_hi_u32 s7, s4, s8
	s_mul_i32 s8, s7, s3
	s_sub_i32 s4, s4, s8
	s_lshl_b32 s2, s2, 6
	s_add_i32 s8, s7, 1
	s_sub_i32 s9, s4, s3
	s_cmp_ge_u32 s4, s3
	s_cselect_b32 s7, s8, s7
	s_cselect_b32 s4, s9, s4
	s_add_i32 s8, s7, 1
	s_cmp_ge_u32 s4, s3
	s_cselect_b32 s3, s8, s7
	s_xor_b32 s3, s3, s5
	s_sub_i32 s3, s3, s5
	s_abs_i32 s4, s3
	v_cvt_f32_u32_e32 v1, s4
	s_sub_i32 s7, 0, s4
	s_abs_i32 s5, s33
	s_xor_b32 s3, s33, s3
	v_rcp_iflag_f32_e32 v2, v1
	s_ashr_i32 s3, s3, 31
	s_load_dwordx8 s[8:15], s[0:1], 0x20
	v_lshrrev_b32_e32 v1, 6, v0
	v_mul_f32_e32 v2, 0x4f7ffffe, v2
	v_cvt_u32_f32_e32 v2, v2
	v_or_b32_e32 v88, s2, v99
	v_lshlrev_b32_e32 v77, 4, v1
	v_lshlrev_b32_e32 v80, 7, v88
	v_readfirstlane_b32 s16, v2
	s_mul_i32 s7, s7, s16
	s_mul_hi_u32 s7, s16, s7
	s_add_i32 s16, s16, s7
	s_mul_hi_u32 s7, s5, s16
	s_mul_i32 s16, s7, s4
	s_sub_i32 s5, s5, s16
	s_add_i32 s16, s7, 1
	s_sub_i32 s17, s5, s4
	s_cmp_ge_u32 s5, s4
	s_cselect_b32 s7, s16, s7
	s_cselect_b32 s5, s17, s5
	s_add_i32 s16, s7, 1
	s_cmp_ge_u32 s5, s4
	s_cselect_b32 s4, s16, s7
	s_xor_b32 s4, s4, s3
	s_sub_i32 s61, s4, s3
	s_ashr_i32 s3, s58, 31
	s_ashr_i32 s50, s33, 31
	s_mul_hi_i32 s4, s58, s25
	s_add_u32 s42, s6, s33
	s_addc_u32 s43, s4, s50
	s_lshl_b64 s[34:35], s[42:43], 16
	s_waitcnt lgkmcnt(0)
	s_add_u32 s4, s10, s34
	v_lshl_or_b32 v102, v98, 2, v77
	s_addc_u32 s5, s11, s35
	v_ashrrev_i32_e32 v81, 31, v80
	v_lshl_add_u64 v[2:3], v[80:81], 2, s[4:5]
	v_lshlrev_b32_e32 v78, 2, v102
	v_or_b32_e32 v82, 0x800, v80
	v_lshl_add_u64 v[2:3], v[2:3], 0, v[78:79]
	v_ashrrev_i32_e32 v83, 31, v82
	global_load_dwordx4 v[22:25], v[2:3], off
	global_load_dwordx4 v[10:13], v[2:3], off offset:256
	v_lshl_add_u64 v[2:3], v[82:83], 2, s[4:5]
	v_or_b32_e32 v86, 0x1000, v80
	v_lshl_add_u64 v[2:3], v[2:3], 0, v[78:79]
	v_ashrrev_i32_e32 v87, 31, v86
	global_load_dwordx4 v[26:29], v[2:3], off
	global_load_dwordx4 v[14:17], v[2:3], off offset:256
	v_lshl_add_u64 v[2:3], v[86:87], 2, s[4:5]
	;; [unrolled: 6-line block ×3, first 2 shown]
	v_lshl_add_u64 v[34:35], v[2:3], 0, v[78:79]
	global_load_dwordx4 v[6:9], v[34:35], off
	global_load_dwordx4 v[2:5], v[34:35], off offset:256
	s_load_dwordx2 s[10:11], s[0:1], 0x40
	s_load_dwordx8 s[16:23], s[0:1], 0x0
	s_load_dwordx2 s[36:37], s[0:1], 0x80
	s_load_dwordx4 s[4:7], s[0:1], 0x70
	v_and_b32_e32 v79, 63, v0
	s_mul_i32 s51, s58, s24
	s_mul_i32 s62, s58, s28
	v_or_b32_e32 v103, 64, v102
	s_cmp_lt_i32 s24, 64
	v_lshrrev_b32_e32 v101, 3, v79
	s_mul_i32 s63, s43, s24
	s_mul_hi_u32 s64, s42, s24
	s_mul_i32 s44, s42, s24
	s_waitcnt lgkmcnt(0)
	s_mul_i32 s43, s58, s5
	s_mul_hi_u32 s53, s58, s4
	s_mul_i32 s52, s3, s4
	s_mul_i32 s40, s58, s4
	;; [unrolled: 1-line block ×3, first 2 shown]
	s_mul_hi_u32 s55, s33, s6
	s_mul_i32 s56, s50, s6
	s_mul_i32 s38, s33, s6
	s_cbranch_scc1 .LBB201_18
; %bb.1:
	s_add_i32 s45, s64, s63
	s_lshl_b64 s[0:1], s[44:45], 8
	v_and_b32_e32 v105, 56, v100
	s_add_u32 s4, s18, s0
	v_lshl_or_b32 v104, v1, 3, v101
	v_lshlrev_b32_e32 v34, 1, v105
	s_addc_u32 s0, s19, s1
	v_lshl_or_b32 v106, v104, 8, v34
	s_and_b32 s5, s0, 0xffff
	s_mov_b32 s7, 0x20000
	s_movk_i32 s6, 0x4000
	s_movk_i32 s0, 0x80
	v_or_b32_e32 v107, 0x2000, v106
	buffer_load_dwordx4 v[36:39], v106, s[4:7], 0 offen
	buffer_load_dwordx4 v[40:43], v106, s[4:7], s0 offen
	;; [unrolled: 1-line block ×4, first 2 shown]
	v_lshlrev_b32_e32 v35, 3, v104
	v_and_or_b32 v53, v0, 7, v35
	v_and_b32_e32 v35, 0x78, v35
	v_lshlrev_b32_e32 v53, 4, v53
	v_xor_b32_e32 v108, v53, v35
	v_mul_lo_u32 v52, v104, s27
	v_or_b32_e32 v109, 0x1000, v108
	v_xor_b32_e32 v35, 8, v108
	s_cmpk_eq_i32 s27, 0x80
	s_mov_b32 s65, s26
	v_xor_b32_e32 v53, 8, v109
	s_cselect_b64 s[0:1], -1, 0
	s_cmpk_lg_i32 s27, 0x80
	s_waitcnt vmcnt(3)
	ds_write_b64 v108, v[36:37] offset:49152
	ds_write_b64 v35, v[38:39] offset:49152
	s_waitcnt vmcnt(2)
	ds_write_b64 v108, v[40:41] offset:57344
	ds_write_b64 v35, v[42:43] offset:57344
	;; [unrolled: 3-line block ×4, first 2 shown]
	v_lshl_add_u32 v35, v52, 1, v105
	s_cbranch_scc0 .LBB201_3
; %bb.2:
	v_lshlrev_b32_e32 v37, 1, v35
	v_add_lshl_u32 v36, v35, s27, 1
	s_lshl_b32 s6, s27, 7
	v_lshl_or_b32 v34, v104, 9, v34
	s_cbranch_execz .LBB201_4
	s_branch .LBB201_5
.LBB201_3:
                                        ; implicit-def: $vgpr36
                                        ; implicit-def: $vgpr37
                                        ; implicit-def: $sgpr6
	v_lshl_or_b32 v34, v104, 9, v34
.LBB201_4:
	v_or_b32_e32 v36, 0x100, v34
	s_movk_i32 s6, 0x4000
	v_mov_b32_e32 v37, v34
.LBB201_5:
	s_mul_hi_u32 s4, s26, s24
	s_mul_i32 s5, s60, s24
	s_add_i32 s4, s4, s5
	s_mul_i32 s5, s26, s24
	s_mul_i32 s7, s5, s3
	s_mul_hi_u32 s28, s5, s58
	s_add_i32 s7, s28, s7
	s_mul_i32 s4, s4, s58
	s_add_i32 s7, s7, s4
	s_mul_i32 s5, s5, s58
	s_ashr_i32 s66, s61, 31
	s_add_u32 s4, s5, s61
	s_addc_u32 s5, s7, s66
	s_lshl_b64 s[4:5], s[4:5], 8
	s_add_u32 s4, s16, s4
	s_addc_u32 s5, s17, s5
	s_and_b32 s5, s5, 0xffff
	s_mov_b32 s7, 0x20000
	s_movk_i32 s67, 0x80
	buffer_load_dwordx4 v[38:41], v37, s[4:7], 0 offen
	buffer_load_dwordx4 v[42:45], v37, s[4:7], s67 offen
	;; [unrolled: 1-line block ×4, first 2 shown]
	v_and_b32_e32 v37, 6, v0
	v_lshlrev_b32_e32 v36, 7, v102
	v_xor_b32_e32 v58, v104, v37
	v_and_b32_e32 v54, 1, v0
	v_lshl_or_b32 v61, v99, 3, v36
	v_lshlrev_b32_e32 v58, 2, v58
	v_or_b32_e32 v110, 0x4000, v61
	v_or_b32_e32 v111, 0x6000, v61
	v_xor_b32_e32 v61, 0x440, v58
	v_cmp_eq_u32_e32 vcc, 0, v54
	v_lshlrev_b32_e32 v55, 2, v99
	v_or_b32_e32 v57, 16, v99
	v_cndmask_b32_e32 v54, v61, v58, vcc
	s_mov_b32 s69, 0x1000504
	v_xor_b32_e32 v59, v102, v55
	v_xor_b32_e32 v60, v103, v55
	v_lshl_or_b32 v62, v57, 3, v36
	v_lshl_or_b32 v37, v37, 10, v54
	s_mov_b32 s70, 0x3020706
	v_lshlrev_b32_e32 v56, 8, v99
	v_lshlrev_b32_e32 v59, 1, v59
	;; [unrolled: 1-line block ×3, first 2 shown]
	v_or_b32_e32 v112, 0x4000, v62
	v_or_b32_e32 v113, 0x6000, v62
	v_xor_b32_e32 v54, 8, v37
	v_xor_b32_e32 v58, 24, v37
	;; [unrolled: 1-line block ×4, first 2 shown]
	s_mul_i32 s3, s3, s24
	s_mul_hi_u32 s4, s58, s24
	v_or_b32_e32 v114, v56, v59
	v_or_b32_e32 v115, v56, v60
	v_xor_b32_e32 v56, 16, v37
	v_xor_b32_e32 v61, 32, v37
	v_xor_b32_e32 v63, 48, v37
	v_add_u32_e32 v54, 0x80, v54
	v_add_u32_e32 v58, 0x80, v58
	v_add_u32_e32 v62, 0x80, v62
	v_add_u32_e32 v64, 0x80, v64
	s_add_i32 s71, s4, s3
	s_add_i32 s3, s53, s43
	;; [unrolled: 1-line block ×5, first 2 shown]
	s_lshl_b64 s[4:5], s[40:41], 2
	s_add_u32 s3, s22, s4
	s_addc_u32 s28, s23, s5
	s_lshl_b64 s[4:5], s[38:39], 2
	s_add_u32 s46, s3, s4
	s_movk_i32 s3, 0xf8
	s_addc_u32 s47, s28, s5
	s_lshl_b32 s30, s27, 7
	s_movk_i32 s28, 0x100
	v_mov_b32_e32 v91, 0
	v_lshlrev_b32_e32 v90, 4, v99
	v_ashrrev_i32_e32 v89, 31, v88
	s_mov_b32 s68, 0
	s_movk_i32 s6, 0x4000
	s_mov_b32 s39, 0x7060302
	s_movk_i32 s41, 0x2000
	s_movk_i32 s72, 0x3000
	v_mov_b32_e32 v155, 0x3fb8aa3b
	s_mov_b32 s74, 0
	s_waitcnt vmcnt(1)
	v_perm_b32 v65, v38, v46, s69
	s_waitcnt vmcnt(0)
	v_perm_b32 v66, v42, v50, s69
	v_perm_b32 v38, v38, v46, s70
	;; [unrolled: 1-line block ×15, first 2 shown]
	ds_write2st64_b32 v37, v65, v66 offset0:128 offset1:160
	ds_write2st64_b32 v54, v38, v42 offset0:128 offset1:160
	;; [unrolled: 1-line block ×8, first 2 shown]
	v_lshlrev_b32_e32 v37, 8, v57
	v_or_b32_e32 v116, v37, v59
	v_or_b32_e32 v117, v37, v60
	;; [unrolled: 1-line block ×3, first 2 shown]
	v_lshl_or_b32 v38, v37, 3, v36
	v_lshlrev_b32_e32 v37, 8, v37
	v_or_b32_e32 v120, v37, v59
	v_or_b32_e32 v121, v37, v60
	;; [unrolled: 1-line block ×5, first 2 shown]
	v_lshl_or_b32 v38, v37, 3, v36
	v_lshlrev_b32_e32 v37, 8, v37
	v_or_b32_e32 v124, v37, v59
	v_or_b32_e32 v125, v37, v60
	v_or_b32_e32 v37, v77, v99
	v_lshlrev_b32_e32 v37, 3, v37
	v_lshrrev_b32_e32 v39, 5, v79
	v_and_or_b32 v39, v37, s3, v39
	v_lshlrev_b32_e32 v39, 4, v39
	v_or_b32_e32 v122, 0x4000, v38
	v_or_b32_e32 v123, 0x6000, v38
	v_lshrrev_b32_e32 v38, 2, v79
	v_lshlrev_b32_e32 v41, 11, v1
	v_and_b32_e32 v37, 0x78, v37
	v_or_b32_e32 v45, 32, v39
	v_and_b32_e32 v40, 12, v38
	v_and_b32_e32 v38, 0x1000, v41
	v_lshrrev_b32_e32 v43, 1, v79
	v_xor_b32_e32 v45, v45, v37
	v_xor_b32_e32 v42, v39, v37
	v_and_b32_e32 v43, 8, v43
	v_or_b32_e32 v45, v45, v38
	v_or_b32_e32 v42, v42, v38
	v_xor_b32_e32 v128, v45, v43
	v_or_b32_e32 v45, 64, v39
	v_or_b32_e32 v39, 0x60, v39
	v_xor_b32_e32 v126, v42, v43
	v_lshlrev_b32_e32 v42, 8, v98
	v_xor_b32_e32 v45, v45, v37
	v_xor_b32_e32 v37, v39, v37
	s_ashr_i32 s3, s2, 31
	v_or_b32_e32 v44, v42, v55
	v_or_b32_e32 v45, v45, v38
	;; [unrolled: 1-line block ×3, first 2 shown]
	s_lshl_b64 s[4:5], s[2:3], 8
	v_lshlrev_b32_e32 v47, 2, v0
	v_lshlrev_b32_e32 v44, 1, v44
	v_xor_b32_e32 v132, v45, v43
	v_xor_b32_e32 v133, v37, v43
	v_lshlrev_b32_e32 v37, 1, v35
	v_add_lshl_u32 v35, v35, s27, 1
	v_or_b32_e32 v43, 0x100, v34
	s_add_u32 s4, s12, s4
	v_lshlrev_b32_e32 v38, 1, v99
	v_lshrrev_b32_e32 v48, 1, v0
	v_and_or_b32 v42, v47, 60, v42
	v_or_b32_e32 v127, 0x4000, v44
	v_or_b32_e32 v129, 0x4080, v44
	;; [unrolled: 1-line block ×8, first 2 shown]
	v_lshrrev_b32_e32 v44, 4, v0
	s_addc_u32 s5, s13, s5
	v_or_b32_e32 v39, 1, v38
	v_and_b32_e32 v48, 24, v48
	v_lshlrev_b32_e32 v42, 1, v42
	v_cndmask_b32_e64 v144, v37, v34, s[0:1]
	v_cndmask_b32_e64 v145, v35, v43, s[0:1]
	v_mov_b32_e32 v35, 0xa000
	v_mov_b32_e32 v37, 0x8000
	v_cmp_gt_u32_e64 s[0:1], s28, v0
	v_xor_b32_e32 v45, v44, v38
	v_xor_b32_e32 v46, v39, v44
	v_lshl_add_u64 v[38:39], s[4:5], 0, v[90:91]
	v_lshlrev_b32_e32 v90, 8, v44
	v_or_b32_e32 v140, 0x6000, v42
	v_or_b32_e32 v47, 32, v48
	;; [unrolled: 1-line block ×6, first 2 shown]
	v_cndmask_b32_e64 v35, v35, v37, s[0:1]
	v_lshlrev_b32_e32 v37, 3, v1
	v_lshl_or_b32 v138, v45, 3, v90
	v_and_b32_e32 v45, 8, v0
	v_xor_b32_e32 v43, v37, v48
	v_xor_b32_e32 v47, v37, v47
	;; [unrolled: 1-line block ×3, first 2 shown]
	v_mov_b32_e32 v49, 0x400
	v_cmp_eq_u32_e32 vcc, 0, v45
	v_or_b32_e32 v48, 0x440, v43
	v_or_b32_e32 v50, 0x440, v47
	v_xor_b32_e32 v42, 0x440, v37
	v_and_b32_e32 v44, 7, v0
	v_cndmask_b32_e64 v45, v49, 64, vcc
	v_cndmask_b32_e32 v48, v48, v43, vcc
	v_cndmask_b32_e32 v47, v50, v47, vcc
	;; [unrolled: 1-line block ×3, first 2 shown]
	v_lshl_or_b32 v139, v46, 3, v90
	v_lshlrev_b32_e32 v46, 3, v44
	v_or_b32_e32 v48, v48, v41
	v_or_b32_e32 v47, v47, v41
	v_or3_b32 v43, v41, v45, v43
	v_or_b32_e32 v37, v37, v41
	v_lshlrev_b32_e32 v44, 7, v44
	v_xor_b32_e32 v48, v48, v46
	v_xor_b32_e32 v47, v47, v46
	;; [unrolled: 1-line block ×4, first 2 shown]
	v_or_b32_e32 v34, v77, v40
	v_add_u32_e32 v49, v35, v48
	v_add_u32_e32 v50, v35, v47
	v_or_b32_e32 v146, v43, v44
	v_add_u32_e32 v41, v35, v37
	v_or3_b32 v40, v77, v40, 64
	v_add_u32_e32 v45, 0xa000, v48
	v_add_u32_e32 v46, 0xa000, v47
	;; [unrolled: 1-line block ×3, first 2 shown]
	v_lshlrev_b64 v[42:43], 1, v[88:89]
	v_lshl_add_u64 v[92:93], s[20:21], 0, v[42:43]
	v_lshl_add_u64 v[94:95], s[14:15], 0, v[42:43]
	;; [unrolled: 1-line block ×3, first 2 shown]
	s_add_i32 s3, s51, 63
	v_lshlrev_b32_e32 v90, 1, v36
	v_lshlrev_b32_e32 v89, 2, v34
	v_add_u32_e32 v147, v49, v44
	v_add_u32_e32 v148, v50, v44
	;; [unrolled: 1-line block ×4, first 2 shown]
	v_lshlrev_b32_e32 v151, 2, v40
	v_add_u32_e32 v152, v45, v44
	v_add_u32_e32 v153, v46, v44
	;; [unrolled: 1-line block ×3, first 2 shown]
	s_waitcnt lgkmcnt(0)
	s_barrier
.LBB201_6:                              ; =>This Inner Loop Header: Depth=1
	s_add_i32 s73, s74, 1
	s_cmp_lt_i32 s73, s59
	s_mov_b64 s[28:29], 0
	s_cselect_b64 s[48:49], -1, 0
	s_cmp_ge_i32 s73, s59
	s_mov_b64 s[4:5], 0
	s_cbranch_scc1 .LBB201_8
; %bb.7:                                ;   in Loop: Header=BB201_6 Depth=1
	s_add_i32 s0, s68, 64
	s_add_u32 s0, s44, s0
	s_addc_u32 s1, s45, 0
	s_lshl_b64 s[0:1], s[0:1], 8
	s_add_u32 s4, s18, s0
	s_addc_u32 s5, s19, s1
.LBB201_8:                              ;   in Loop: Header=BB201_6 Depth=1
	v_cndmask_b32_e64 v34, 0, 1, s[48:49]
	v_cmp_ne_u32_e64 s[0:1], 1, v34
	s_andn2_b64 vcc, exec, s[48:49]
	s_cbranch_vccnz .LBB201_10
; %bb.9:                                ;   in Loop: Header=BB201_6 Depth=1
	s_add_i32 s28, s68, 64
	s_add_u32 s28, s51, s28
	s_addc_u32 s29, s71, 0
	s_mul_i32 s31, s28, s60
	s_mul_hi_u32 s48, s28, s65
	s_add_i32 s31, s48, s31
	s_mul_i32 s29, s29, s65
	s_add_i32 s31, s31, s29
	s_mul_i32 s28, s28, s65
	s_add_u32 s28, s28, s61
	s_addc_u32 s29, s31, s66
	s_lshl_b64 s[28:29], s[28:29], 8
	s_add_u32 s28, s16, s28
	s_addc_u32 s29, s17, s29
.LBB201_10:                             ;   in Loop: Header=BB201_6 Depth=1
	v_perm_b32 v35, v25, v24, s39
	v_perm_b32 v34, v23, v22, s39
	v_perm_b32 v37, v13, v12, s39
	v_perm_b32 v36, v11, v10, s39
	ds_write_b64 v110, v[34:35]
	ds_write_b64 v111, v[36:37]
	ds_write_b64 v114, v[34:35]
	ds_write_b64 v115, v[36:37]
	v_perm_b32 v35, v29, v28, s39
	v_perm_b32 v34, v27, v26, s39
	v_perm_b32 v37, v17, v16, s39
	v_perm_b32 v36, v15, v14, s39
	ds_write_b64 v112, v[34:35]
	ds_write_b64 v113, v[36:37]
	ds_write_b64 v116, v[34:35]
	ds_write_b64 v117, v[36:37]
	;; [unrolled: 8-line block ×4, first 2 shown]
	s_waitcnt lgkmcnt(0)
	s_barrier
	ds_read_b64 v[38:39], v126 offset:49152
	ds_read2_b64 v[34:37], v127 offset1:16
	ds_read_b64 v[50:51], v129 offset:6144
	ds_read_b64 v[52:53], v127 offset:6144
	s_waitcnt lgkmcnt(2)
	v_mfma_f32_16x16x16_bf16 a[0:3], v[38:39], v[34:35], 0
	ds_read_b64 v[54:55], v128 offset:49152
	ds_read2st64_b64 v[42:45], v130 offset0:4 offset1:8
	ds_read2st64_b64 v[46:49], v131 offset0:4 offset1:8
	v_mfma_f32_16x16x16_bf16 a[4:7], v[38:39], v[36:37], 0
	ds_read2_b64 v[34:37], v127 offset0:32 offset1:48
	s_add_i32 s31, s68, 63
	s_mul_i32 s48, s31, s37
	s_waitcnt lgkmcnt(0)
	v_mfma_f32_16x16x16_bf16 a[8:11], v[38:39], v[34:35], 0
	s_mul_hi_u32 s49, s31, s36
	s_add_i32 s49, s49, s48
	s_mul_i32 s48, s31, s36
	v_mfma_f32_16x16x16_bf16 a[12:15], v[38:39], v[36:37], 0
	ds_read2st64_b64 v[34:37], v127 offset0:4 offset1:8
	ds_read2st64_b64 v[38:41], v129 offset0:4 offset1:8
	s_lshl_b64 s[48:49], s[48:49], 2
	s_waitcnt lgkmcnt(1)
	v_mfma_f32_16x16x16_bf16 a[0:3], v[54:55], v[34:35], a[0:3]
	s_add_u32 s48, s46, s48
	s_addc_u32 s49, s47, s49
	s_and_b64 vcc, exec, s[0:1]
	s_waitcnt lgkmcnt(0)
	v_mfma_f32_16x16x16_bf16 a[4:7], v[54:55], v[38:39], a[4:7]
	v_mov_b32_e32 v158, 0
	v_mov_b32_e32 v157, 0
	;; [unrolled: 1-line block ×3, first 2 shown]
	v_mfma_f32_16x16x16_bf16 a[8:11], v[54:55], v[42:43], a[8:11]
	ds_read_b64 v[34:35], v132 offset:49152
	ds_read_b64 v[38:39], v133 offset:49152
	;; [unrolled: 1-line block ×3, first 2 shown]
	v_mfma_f32_16x16x16_bf16 a[12:15], v[54:55], v[46:47], a[12:15]
	v_mov_b32_e32 v46, 0
	v_mov_b32_e32 v47, 0
	s_waitcnt lgkmcnt(2)
	v_mfma_f32_16x16x16_bf16 a[0:3], v[34:35], v[36:37], a[0:3]
	v_mov_b32_e32 v36, 0
	v_mov_b32_e32 v37, 0
	v_mfma_f32_16x16x16_bf16 a[4:7], v[34:35], v[40:41], a[4:7]
	v_mov_b32_e32 v40, 0
	v_mov_b32_e32 v41, 0
	;; [unrolled: 3-line block ×3, first 2 shown]
	v_mfma_f32_16x16x16_bf16 a[12:15], v[34:35], v[48:49], a[12:15]
	ds_read_b64 v[34:35], v130 offset:6144
	v_mov_b32_e32 v48, 0
	v_mov_b32_e32 v49, 0
	s_waitcnt lgkmcnt(2)
	v_mfma_f32_16x16x16_bf16 a[0:3], v[38:39], v[52:53], a[0:3]
	v_mfma_f32_16x16x16_bf16 a[4:7], v[38:39], v[50:51], a[4:7]
	s_waitcnt lgkmcnt(0)
	v_mfma_f32_16x16x16_bf16 a[8:11], v[38:39], v[34:35], a[8:11]
	v_mov_b32_e32 v34, 0
	v_mov_b32_e32 v35, 0
	v_mfma_f32_16x16x16_bf16 a[12:15], v[38:39], v[42:43], a[12:15]
	v_mov_b32_e32 v38, 0
	v_mov_b32_e32 v39, 0
	;; [unrolled: 1-line block ×4, first 2 shown]
	s_cbranch_vccnz .LBB201_12
; %bb.11:                               ;   in Loop: Header=BB201_6 Depth=1
	s_and_b32 s5, s5, 0xffff
	buffer_load_dwordx4 v[46:49], v106, s[4:7], 0 offen
	buffer_load_dwordx4 v[42:45], v106, s[4:7], s67 offen
	;; [unrolled: 1-line block ×4, first 2 shown]
	v_mov_b32_e32 v157, v108
	v_mov_b32_e32 v156, v109
.LBB201_12:                             ;   in Loop: Header=BB201_6 Depth=1
	ds_read_b64 v[70:71], v126 offset:57344
	ds_read2_b64 v[50:53], v134 offset1:16
	ds_read_b64 v[72:73], v128 offset:57344
	ds_read_b64 v[74:75], v132 offset:57344
	;; [unrolled: 1-line block ×3, first 2 shown]
	s_waitcnt lgkmcnt(3)
	v_mfma_f32_16x16x16_bf16 a[0:3], v[70:71], v[50:51], a[0:3]
	v_mfma_f32_16x16x16_bf16 a[4:7], v[70:71], v[52:53], a[4:7]
	ds_read2_b64 v[50:53], v134 offset0:32 offset1:48
	ds_read2st64_b64 v[54:57], v134 offset0:4 offset1:8
	ds_read2st64_b64 v[58:61], v135 offset0:4 offset1:8
	;; [unrolled: 1-line block ×4, first 2 shown]
	s_waitcnt lgkmcnt(4)
	v_mfma_f32_16x16x16_bf16 a[8:11], v[70:71], v[50:51], a[8:11]
	v_mfma_f32_16x16x16_bf16 a[12:15], v[70:71], v[52:53], a[12:15]
	v_add_u32_e32 v70, s68, v102
	v_ashrrev_i32_e32 v50, 31, v70
	v_mul_lo_u32 v52, v50, s36
	v_mul_lo_u32 v53, v70, s37
	v_mad_u64_u32 v[50:51], s[4:5], v70, s36, 0
	v_add3_u32 v51, v51, v53, v52
	v_add_u32_e32 v52, 1, v70
	v_ashrrev_i32_e32 v53, 31, v52
	s_waitcnt lgkmcnt(3)
	v_mfma_f32_16x16x16_bf16 a[0:3], v[72:73], v[54:55], a[0:3]
	v_mul_lo_u32 v54, v53, s36
	v_mul_lo_u32 v55, v52, s37
	v_mad_u64_u32 v[52:53], s[4:5], v52, s36, 0
	v_add3_u32 v53, v53, v55, v54
	v_add_u32_e32 v54, 2, v70
	v_ashrrev_i32_e32 v55, 31, v54
	s_waitcnt lgkmcnt(2)
	v_mfma_f32_16x16x16_bf16 a[4:7], v[72:73], v[58:59], a[4:7]
	v_mul_lo_u32 v58, v55, s36
	v_mul_lo_u32 v59, v54, s37
	v_mad_u64_u32 v[54:55], s[4:5], v54, s36, 0
	v_add3_u32 v55, v55, v59, v58
	v_add_u32_e32 v58, 3, v70
	v_lshl_add_u64 v[50:51], v[50:51], 2, s[46:47]
	v_lshl_add_u64 v[52:53], v[52:53], 2, s[46:47]
	v_ashrrev_i32_e32 v59, 31, v58
	s_waitcnt lgkmcnt(1)
	v_mfma_f32_16x16x16_bf16 a[8:11], v[72:73], v[62:63], a[8:11]
	v_mul_lo_u32 v59, v59, s36
	global_load_dword v62, v[50:51], off
	v_mul_lo_u32 v63, v58, s37
	s_waitcnt lgkmcnt(0)
	v_mfma_f32_16x16x16_bf16 a[12:15], v[72:73], v[66:67], a[12:15]
	global_load_dword v66, v[52:53], off
	v_mad_u64_u32 v[50:51], s[4:5], v58, s36, 0
	v_add3_u32 v51, v51, v63, v59
	s_add_u32 s4, s44, s68
	v_lshl_add_u64 v[54:55], v[54:55], 2, s[46:47]
	v_lshl_add_u64 v[50:51], v[50:51], 2, s[46:47]
	s_addc_u32 s5, s45, 0
	global_load_dword v63, v[54:55], off
	global_load_dword v67, v[50:51], off
	s_lshl_b64 s[4:5], s[4:5], 8
	v_lshl_add_u64 v[50:51], v[92:93], 0, s[4:5]
	v_lshl_add_u64 v[50:51], v[50:51], 0, v[90:91]
	global_load_ushort v70, v[50:51], off offset:256
	global_load_ushort v71, v[50:51], off
	global_load_ushort v72, v[50:51], off offset:768
	global_load_ushort v73, v[50:51], off offset:512
	;; [unrolled: 1-line block ×6, first 2 shown]
	s_load_dword s48, s[48:49], 0x0
	v_mfma_f32_16x16x16_bf16 a[12:15], v[74:75], v[68:69], a[12:15]
	global_load_ushort v68, v[50:51], off offset:320
	global_load_ushort v69, v[50:51], off offset:64
	s_and_b64 vcc, exec, s[0:1]
	v_mfma_f32_16x16x16_bf16 a[0:3], v[74:75], v[56:57], a[0:3]
	ds_read_b64 v[52:53], v134 offset:6144
	ds_read_b64 v[54:55], v135 offset:6144
	;; [unrolled: 1-line block ×4, first 2 shown]
	v_mfma_f32_16x16x16_bf16 a[4:7], v[74:75], v[60:61], a[4:7]
	s_waitcnt vmcnt(11) lgkmcnt(0)
	v_sub_f32_e32 v60, s48, v63
	v_mfma_f32_16x16x16_bf16 a[8:11], v[74:75], v[64:65], a[8:11]
	global_load_ushort v74, v[50:51], off offset:832
	global_load_ushort v75, v[50:51], off offset:576
	;; [unrolled: 1-line block ×6, first 2 shown]
	v_mfma_f32_16x16x16_bf16 a[0:3], v[160:161], v[52:53], a[0:3]
	s_waitcnt vmcnt(16)
	v_sub_f32_e32 v61, s48, v67
	v_mul_f32_e32 v60, 0x3fb8aa3b, v60
	v_mul_f32_e32 v61, 0x3fb8aa3b, v61
	v_exp_f32_e32 v60, v60
	v_exp_f32_e32 v61, v61
	s_waitcnt vmcnt(15)
	v_lshlrev_b32_e32 v65, 16, v70
	s_waitcnt vmcnt(14)
	v_lshlrev_b32_e32 v64, 16, v71
	v_accvgpr_read_b32 v53, a3
	v_accvgpr_read_b32 v52, a2
	v_mfma_f32_16x16x16_bf16 a[2:5], v[160:161], v[54:55], a[4:7]
	v_mfma_f32_16x16x16_bf16 a[6:9], v[160:161], v[56:57], a[8:11]
	s_nop 5
	v_accvgpr_read_b32 v55, a5
	v_accvgpr_read_b32 v54, a4
	;; [unrolled: 1-line block ×4, first 2 shown]
	v_mfma_f32_16x16x16_bf16 a[8:11], v[160:161], v[58:59], a[12:15]
	v_sub_f32_e32 v58, s48, v62
	v_sub_f32_e32 v59, s48, v66
	v_mul_f32_e32 v58, 0x3fb8aa3b, v58
	v_mul_f32_e32 v59, 0x3fb8aa3b, v59
	v_exp_f32_e32 v58, v58
	v_exp_f32_e32 v59, v59
	v_accvgpr_read_b32 v67, a1
	v_accvgpr_read_b32 v66, a0
	v_lshl_add_u64 v[62:63], v[94:95], 0, s[4:5]
	v_pk_add_f32 v[64:65], v[64:65], v[66:67] neg_lo:[0,1] neg_hi:[0,1]
	s_waitcnt vmcnt(13)
	v_lshlrev_b32_e32 v67, 16, v72
	s_waitcnt vmcnt(12)
	v_lshlrev_b32_e32 v66, 16, v73
	v_lshl_add_u64 v[62:63], v[62:63], 0, v[90:91]
	v_pk_add_f32 v[52:53], v[66:67], v[52:53] neg_lo:[0,1] neg_hi:[0,1]
	global_store_short_d16_hi v[62:63], v64, off
	global_store_short_d16_hi v[62:63], v65, off offset:256
	global_store_short_d16_hi v[62:63], v52, off offset:512
	;; [unrolled: 1-line block ×3, first 2 shown]
	v_pk_mul_f32 v[64:65], v[58:59], v[64:65]
	v_pk_mul_f32 v[52:53], v[60:61], v[52:53]
	v_accvgpr_read_b32 v67, a3
	v_perm_b32 v53, v53, v52, s39
	v_perm_b32 v52, v65, v64, s39
	s_waitcnt vmcnt(15)
	v_lshlrev_b32_e32 v65, 16, v76
	s_waitcnt vmcnt(14)
	v_lshlrev_b32_e32 v64, 16, v159
	v_accvgpr_read_b32 v66, a2
	v_pk_add_f32 v[64:65], v[64:65], v[66:67] neg_lo:[0,1] neg_hi:[0,1]
	s_waitcnt vmcnt(13)
	v_lshlrev_b32_e32 v67, 16, v162
	s_waitcnt vmcnt(12)
	v_lshlrev_b32_e32 v66, 16, v163
	v_pk_add_f32 v[54:55], v[66:67], v[54:55] neg_lo:[0,1] neg_hi:[0,1]
	global_store_short_d16_hi v[62:63], v64, off offset:32
	global_store_short_d16_hi v[62:63], v65, off offset:288
	;; [unrolled: 1-line block ×4, first 2 shown]
	v_pk_mul_f32 v[64:65], v[58:59], v[64:65]
	v_pk_mul_f32 v[54:55], v[60:61], v[54:55]
	v_accvgpr_read_b32 v57, a11
	v_perm_b32 v55, v55, v54, s39
	v_perm_b32 v54, v65, v64, s39
	ds_write2_b64 v111, v[52:53], v[54:55] offset1:16
	v_accvgpr_read_b32 v55, a7
	s_waitcnt vmcnt(15)
	v_lshlrev_b32_e32 v53, 16, v68
	s_waitcnt vmcnt(14)
	v_lshlrev_b32_e32 v52, 16, v69
	v_accvgpr_read_b32 v54, a6
	v_pk_add_f32 v[52:53], v[52:53], v[54:55] neg_lo:[0,1] neg_hi:[0,1]
	global_store_short_d16_hi v[62:63], v52, off offset:64
	global_store_short_d16_hi v[62:63], v53, off offset:320
	v_pk_mul_f32 v[52:53], v[58:59], v[52:53]
	v_accvgpr_read_b32 v56, a10
	v_perm_b32 v52, v53, v52, s39
	v_mov_b32_e32 v159, 0
	v_mov_b32_e32 v64, 0
	;; [unrolled: 1-line block ×3, first 2 shown]
	s_waitcnt vmcnt(15)
	v_lshlrev_b32_e32 v55, 16, v74
	s_waitcnt vmcnt(14)
	v_lshlrev_b32_e32 v54, 16, v75
	v_pk_add_f32 v[50:51], v[54:55], v[50:51] neg_lo:[0,1] neg_hi:[0,1]
	global_store_short_d16_hi v[62:63], v50, off offset:576
	global_store_short_d16_hi v[62:63], v51, off offset:832
	v_pk_mul_f32 v[50:51], v[60:61], v[50:51]
	v_accvgpr_read_b32 v55, a9
	v_perm_b32 v53, v51, v50, s39
	s_waitcnt vmcnt(15)
	v_lshlrev_b32_e32 v51, 16, v164
	s_waitcnt vmcnt(14)
	v_lshlrev_b32_e32 v50, 16, v165
	v_accvgpr_read_b32 v54, a8
	v_pk_add_f32 v[50:51], v[50:51], v[54:55] neg_lo:[0,1] neg_hi:[0,1]
	s_waitcnt vmcnt(13)
	v_lshlrev_b32_e32 v55, 16, v166
	s_waitcnt vmcnt(12)
	v_lshlrev_b32_e32 v54, 16, v167
	v_pk_add_f32 v[54:55], v[54:55], v[56:57] neg_lo:[0,1] neg_hi:[0,1]
	global_store_short_d16_hi v[62:63], v50, off offset:96
	global_store_short_d16_hi v[62:63], v51, off offset:352
	;; [unrolled: 1-line block ×4, first 2 shown]
	v_pk_mul_f32 v[50:51], v[58:59], v[50:51]
	v_pk_mul_f32 v[54:55], v[60:61], v[54:55]
	v_mov_b32_e32 v56, 0
	v_perm_b32 v55, v55, v54, s39
	v_perm_b32 v54, v51, v50, s39
	ds_write2_b64 v111, v[52:53], v[54:55] offset0:32 offset1:48
	v_mov_b32_e32 v50, 0
	v_mov_b32_e32 v51, 0
	;; [unrolled: 1-line block ×13, first 2 shown]
	s_cbranch_vccnz .LBB201_14
; %bb.13:                               ;   in Loop: Header=BB201_6 Depth=1
	s_and_b32 s29, s29, 0xffff
	s_mov_b32 s31, s7
	buffer_load_dwordx4 v[62:65], v144, s[28:31], 0 offen
	buffer_load_dwordx4 v[54:57], v144, s[28:31], s67 offen
	;; [unrolled: 1-line block ×4, first 2 shown]
	v_mov_b32_e32 v158, v105
	v_mov_b32_e32 v159, v104
.LBB201_14:                             ;   in Loop: Header=BB201_6 Depth=1
	s_waitcnt lgkmcnt(0)
	s_barrier
	ds_read_b64 v[74:75], v147
	ds_read2_b64 v[66:69], v140 offset1:16
	ds_read_b64 v[176:177], v148
	ds_read_b64 v[178:179], v149
	;; [unrolled: 1-line block ×3, first 2 shown]
	ds_read2_b64 v[70:73], v140 offset0:32 offset1:48
	ds_read2st64_b64 v[160:163], v140 offset0:4 offset1:8
	ds_read2st64_b64 v[164:167], v141 offset0:4 offset1:8
	;; [unrolled: 1-line block ×4, first 2 shown]
	s_waitcnt lgkmcnt(8)
	v_mfma_f32_16x16x16_bf16 a[0:3], v[74:75], v[66:67], 0
	s_add_i32 s4, s62, s74
	s_mul_hi_i32 s5, s4, s25
	s_mul_i32 s4, s4, s25
	v_mfma_f32_16x16x16_bf16 a[4:7], v[74:75], v[68:69], 0
	s_add_u32 s4, s4, s33
	s_addc_u32 s5, s5, s50
	s_add_i32 s28, s3, s68
	s_waitcnt lgkmcnt(4)
	v_mfma_f32_16x16x16_bf16 a[8:11], v[74:75], v[70:71], 0
	s_lshl_b64 s[4:5], s[4:5], 15
	s_mul_hi_i32 s29, s28, s25
	s_mul_i32 s28, s28, s25
	v_mfma_f32_16x16x16_bf16 a[12:15], v[74:75], v[72:73], 0
	ds_read_b64 v[74:75], v140 offset:6144
	ds_read_b64 v[188:189], v141 offset:6144
	;; [unrolled: 1-line block ×4, first 2 shown]
	s_add_u32 s28, s28, s33
	s_waitcnt lgkmcnt(7)
	v_mfma_f32_16x16x16_bf16 a[0:3], v[176:177], v[160:161], a[0:3]
	s_addc_u32 s29, s29, s50
	s_lshl_b64 s[28:29], s[28:29], 9
	s_add_u32 s28, s8, s28
	s_waitcnt lgkmcnt(6)
	v_mfma_f32_16x16x16_bf16 a[4:7], v[176:177], v[164:165], a[4:7]
	s_addc_u32 s29, s9, s29
	v_lshl_add_u64 v[198:199], v[96:97], 0, s[4:5]
	s_waitcnt lgkmcnt(5)
	v_mfma_f32_16x16x16_bf16 a[8:11], v[176:177], v[168:169], a[8:11]
	s_waitcnt lgkmcnt(4)
	v_mfma_f32_16x16x16_bf16 a[12:15], v[176:177], v[172:173], a[12:15]
	ds_read_b64 v[176:177], v152
	ds_read_b64 v[186:187], v153
	;; [unrolled: 1-line block ×3, first 2 shown]
	s_waitcnt lgkmcnt(2)
	v_mfma_f32_16x16x16_bf16 a[16:19], v[176:177], v[66:67], 0
	v_mfma_f32_16x16x16_bf16 a[20:23], v[176:177], v[68:69], 0
	global_load_dwordx4 v[66:69], v151, s[28:29]
	v_mfma_f32_16x16x16_bf16 a[24:27], v[176:177], v[70:71], 0
	v_mfma_f32_16x16x16_bf16 a[28:31], v[176:177], v[72:73], 0
	global_load_dwordx4 v[70:73], v89, s[28:29]
	v_mfma_f32_16x16x16_bf16 a[0:3], v[178:179], v[162:163], a[0:3]
	v_mfma_f32_16x16x16_bf16 a[4:7], v[178:179], v[166:167], a[4:7]
	;; [unrolled: 1-line block ×8, first 2 shown]
	ds_read2st64_b64 v[176:179], v138 offset1:8
	ds_read2st64_b64 v[180:183], v139 offset1:8
	ds_read_b64 v[196:197], v146 offset:40960
	s_waitcnt lgkmcnt(2)
	v_mov_b32_e32 v184, v176
	v_mfma_f32_16x16x16_bf16 a[16:19], v[186:187], v[160:161], a[16:19]
	v_mov_b32_e32 v185, v177
	v_mfma_f32_16x16x16_bf16 a[20:23], v[186:187], v[164:165], a[20:23]
	v_mfma_f32_16x16x16_bf16 a[24:27], v[186:187], v[168:169], a[24:27]
	;; [unrolled: 1-line block ×3, first 2 shown]
	v_add_co_u32_e32 v172, vcc, s41, v198
	s_waitcnt lgkmcnt(1)
	v_mov_b32_e32 v186, v180
	s_waitcnt lgkmcnt(0)
	v_mfma_f32_16x16x16_bf16 a[16:19], v[196:197], v[162:163], a[16:19]
	ds_read2st64_b64 v[160:163], v138 offset0:16 offset1:24
	v_addc_co_u32_e32 v173, vcc, 0, v199, vcc
	v_mfma_f32_16x16x16_bf16 a[20:23], v[196:197], v[166:167], a[20:23]
	ds_read2st64_b64 v[164:167], v139 offset0:16 offset1:24
	v_mov_b32_e32 v187, v181
	v_mov_b32_e32 v180, v178
	v_mfma_f32_16x16x16_bf16 a[32:35], v[196:197], v[170:171], a[24:27]
	v_mov_b32_e32 v181, v179
	s_waitcnt lgkmcnt(0)
	v_mov_b32_e32 v170, v164
	v_mov_b32_e32 v171, v165
	v_mfma_f32_16x16x16_bf16 a[36:39], v[196:197], v[174:175], a[28:31]
	v_mov_b32_e32 v164, v162
	v_mov_b32_e32 v165, v163
	;; [unrolled: 1-line block ×3, first 2 shown]
	v_mfma_f32_16x16x16_bf16 a[24:27], v[194:195], v[74:75], a[16:19]
	v_add_co_u32_e32 v74, vcc, s72, v198
	v_mov_b32_e32 v169, v161
	v_mfma_f32_16x16x16_bf16 a[28:31], v[194:195], v[188:189], a[20:23]
	v_addc_co_u32_e32 v75, vcc, 0, v199, vcc
	global_store_dwordx4 v[74:75], v[164:167], off
	v_mfma_f32_16x16x16_bf16 a[16:19], v[194:195], v[190:191], a[32:35]
	s_waitcnt vmcnt(2)
	v_mov_b32_e32 v76, v69
	v_mov_b32_e32 v75, v68
	;; [unrolled: 1-line block ×3, first 2 shown]
	v_mfma_f32_16x16x16_bf16 a[20:23], v[194:195], v[192:193], a[36:39]
	s_and_b64 vcc, exec, s[0:1]
	global_store_dwordx4 v[198:199], v[184:187], off
	global_store_dwordx4 v[172:173], v[180:183], off offset:-4096
	global_store_dwordx4 v[172:173], v[168:171], off
	s_cbranch_vccnz .LBB201_16
; %bb.15:                               ;   in Loop: Header=BB201_6 Depth=1
	v_lshrrev_b32_e32 v67, 3, v158
	v_and_b32_e32 v67, 6, v67
	v_xor_b32_e32 v68, v67, v159
	v_lshlrev_b32_e32 v68, 2, v68
	v_and_b32_e32 v69, 8, v158
	v_xor_b32_e32 v158, 0x440, v68
	v_cmp_eq_u32_e32 vcc, 0, v69
	v_perm_b32 v69, v54, v50, s69
	s_nop 0
	v_cndmask_b32_e32 v68, v158, v68, vcc
	v_lshl_or_b32 v67, v67, 10, v68
	v_perm_b32 v68, v62, v58, s69
	s_barrier
	ds_write2st64_b32 v67, v68, v69 offset0:128 offset1:160
	v_xor_b32_e32 v68, 8, v67
	v_perm_b32 v58, v62, v58, s70
	v_perm_b32 v50, v54, v50, s70
	v_add_u32_e32 v54, 0x80, v68
	ds_write2st64_b32 v54, v58, v50 offset0:128 offset1:160
	v_xor_b32_e32 v50, 16, v67
	v_perm_b32 v54, v63, v59, s69
	v_perm_b32 v58, v55, v51, s69
	ds_write2st64_b32 v50, v54, v58 offset0:129 offset1:161
	v_xor_b32_e32 v50, 24, v67
	v_perm_b32 v54, v63, v59, s70
	v_perm_b32 v51, v55, v51, s70
	v_add_u32_e32 v50, 0x80, v50
	ds_write2st64_b32 v50, v54, v51 offset0:129 offset1:161
	v_xor_b32_e32 v50, 32, v67
	v_perm_b32 v51, v64, v60, s69
	v_perm_b32 v54, v56, v52, s69
	;; [unrolled: 9-line block ×3, first 2 shown]
	ds_write2st64_b32 v50, v51, v52 offset0:131 offset1:163
	v_xor_b32_e32 v50, 56, v67
	v_perm_b32 v51, v65, v61, s70
	v_perm_b32 v52, v57, v53, s70
	v_add_u32_e32 v50, 0x80, v50
	ds_write2st64_b32 v50, v51, v52 offset0:131 offset1:163
	ds_write_b64 v157, v[46:47] offset:49152
	v_xor_b32_e32 v46, 8, v157
	ds_write_b64 v46, v[48:49] offset:49152
	ds_write_b64 v157, v[42:43] offset:57344
	;; [unrolled: 1-line block ×4, first 2 shown]
	v_xor_b32_e32 v38, 8, v156
	ds_write_b64 v38, v[40:41] offset:49152
	ds_write_b64 v156, v[34:35] offset:57344
	ds_write_b64 v38, v[36:37] offset:57344
.LBB201_16:                             ;   in Loop: Header=BB201_6 Depth=1
	v_mul_f32_e32 v58, s48, v155
	v_exp_f32_e32 v68, v58
	s_waitcnt vmcnt(4)
	v_mul_f32_e32 v58, 0x3fb8aa3b, v70
	v_exp_f32_e32 v70, v58
	v_mul_f32_e32 v58, 0x3fb8aa3b, v71
	v_exp_f32_e32 v71, v58
	;; [unrolled: 2-line block ×4, first 2 shown]
	v_accvgpr_read_b32 v37, a3
	v_accvgpr_read_b32 v36, a2
	;; [unrolled: 1-line block ×4, first 2 shown]
	v_pk_mul_f32 v[70:71], v[68:69], v[70:71] op_sel_hi:[0,1]
	v_pk_mul_f32 v[72:73], v[68:69], v[72:73] op_sel_hi:[0,1]
	v_pk_fma_f32 v[22:23], v[22:23], v[70:71], v[34:35]
	v_pk_fma_f32 v[24:25], v[24:25], v[72:73], v[36:37]
	v_mul_f32_e32 v34, 0x3fb8aa3b, v66
	v_mul_f32_e32 v35, 0x3fb8aa3b, v74
	;; [unrolled: 1-line block ×4, first 2 shown]
	v_exp_f32_e32 v34, v34
	v_exp_f32_e32 v35, v35
	;; [unrolled: 1-line block ×4, first 2 shown]
	v_accvgpr_read_b32 v41, a7
	v_accvgpr_read_b32 v45, a11
	;; [unrolled: 1-line block ×28, first 2 shown]
	v_pk_mul_f32 v[34:35], v[68:69], v[34:35] op_sel_hi:[0,1]
	v_pk_mul_f32 v[36:37], v[68:69], v[36:37] op_sel_hi:[0,1]
	s_add_i32 s68, s68, 64
	v_pk_fma_f32 v[26:27], v[70:71], v[26:27], v[38:39]
	v_pk_fma_f32 v[28:29], v[72:73], v[28:29], v[40:41]
	;; [unrolled: 1-line block ×13, first 2 shown]
	s_cmp_eq_u32 s59, s73
	v_pk_fma_f32 v[4:5], v[36:37], v[4:5], v[64:65]
	s_cbranch_scc1 .LBB201_18
; %bb.17:                               ;   in Loop: Header=BB201_6 Depth=1
	s_mov_b32 s74, s73
	s_branch .LBB201_6
.LBB201_18:
	s_lshl_b32 s45, s59, 6
	s_sub_i32 s48, s24, s45
	s_cmp_gt_i32 s48, 0
	s_cbranch_scc0 .LBB201_99
; %bb.19:
	s_ashr_i32 s3, s45, 31
	s_cmpk_lg_i32 s27, 0x80
	s_cselect_b64 s[30:31], -1, 0
	s_and_b64 vcc, exec, s[30:31]
	s_cbranch_vccz .LBB201_21
; %bb.20:
	s_mul_hi_i32 s0, s58, s24
	s_add_u32 s1, s51, s45
	s_addc_u32 s0, s0, s3
	s_mul_i32 s4, s1, s60
	s_mul_hi_u32 s5, s1, s26
	s_add_i32 s4, s5, s4
	s_mul_i32 s0, s0, s26
	s_add_i32 s4, s4, s0
	s_mul_i32 s1, s1, s26
	s_ashr_i32 s0, s61, 31
	s_add_u32 s46, s1, s61
	s_addc_u32 s47, s4, s0
	s_cbranch_execz .LBB201_22
	s_branch .LBB201_23
.LBB201_21:
                                        ; implicit-def: $sgpr46_sgpr47
.LBB201_22:
	s_mul_hi_i32 s0, s58, s26
	s_mul_i32 s58, s58, s26
	s_ashr_i32 s1, s61, 31
	s_add_u32 s4, s58, s61
	s_addc_u32 s0, s0, s1
	s_mul_i32 s1, s4, s57
	s_mul_hi_u32 s5, s4, s24
	s_add_i32 s1, s5, s1
	s_mul_i32 s0, s0, s24
	s_add_i32 s1, s1, s0
	s_mul_i32 s4, s4, s24
	s_add_u32 s46, s4, s45
	s_addc_u32 s47, s1, s3
.LBB201_23:
	s_mul_i32 s0, s42, s57
	s_add_i32 s0, s64, s0
	s_add_i32 s4, s62, s59
	;; [unrolled: 1-line block ×3, first 2 shown]
	s_add_u32 s0, s44, s45
	v_lshlrev_b32_e32 v38, 6, v102
	v_lshlrev_b32_e32 v57, 2, v99
	s_addc_u32 s1, s1, s3
	s_mov_b32 s3, 0x7060302
	v_or_b32_e32 v41, v38, v57
	v_xor_b32_e32 v39, v102, v57
	s_waitcnt vmcnt(7)
	v_perm_b32 v35, v25, v24, s3
	v_perm_b32 v34, v23, v22, s3
	s_waitcnt vmcnt(6)
	v_perm_b32 v37, v13, v12, s3
	v_perm_b32 v36, v11, v10, s3
	v_lshlrev_b32_e32 v41, 1, v41
	v_xor_b32_e32 v40, v103, v57
	ds_write2st64_b64 v41, v[34:35], v[36:37] offset0:32 offset1:48
	v_lshlrev_b32_e32 v39, 1, v39
	v_lshlrev_b32_e32 v41, 8, v99
	v_or_b32_e32 v42, v39, v41
	v_lshlrev_b32_e32 v40, 1, v40
	ds_write_b64 v42, v[34:35]
	v_or_b32_e32 v34, v40, v41
	v_or_b32_e32 v41, 16, v99
	v_lshlrev_b32_e32 v55, 2, v41
	v_or_b32_e32 v42, v38, v55
	ds_write_b64 v34, v[36:37]
	s_waitcnt vmcnt(5)
	v_perm_b32 v35, v29, v28, s3
	v_perm_b32 v34, v27, v26, s3
	s_waitcnt vmcnt(4)
	v_perm_b32 v37, v17, v16, s3
	v_perm_b32 v36, v15, v14, s3
	v_lshlrev_b32_e32 v42, 1, v42
	v_lshlrev_b32_e32 v41, 8, v41
	ds_write2st64_b64 v42, v[34:35], v[36:37] offset0:32 offset1:48
	v_or_b32_e32 v42, v39, v41
	ds_write_b64 v42, v[34:35]
	v_or_b32_e32 v34, v40, v41
	v_or_b32_e32 v41, 32, v99
	v_lshlrev_b32_e32 v54, 2, v41
	v_or_b32_e32 v42, v38, v54
	ds_write_b64 v34, v[36:37]
	s_waitcnt vmcnt(3)
	v_perm_b32 v35, v33, v32, s3
	v_perm_b32 v34, v31, v30, s3
	s_waitcnt vmcnt(2)
	v_perm_b32 v37, v21, v20, s3
	v_perm_b32 v36, v19, v18, s3
	v_lshlrev_b32_e32 v42, 1, v42
	v_lshlrev_b32_e32 v41, 8, v41
	s_lshl_b64 s[28:29], s[0:1], 8
	ds_write2st64_b64 v42, v[34:35], v[36:37] offset0:32 offset1:48
	v_or_b32_e32 v42, v39, v41
	s_add_u32 s0, s18, s28
	ds_write_b64 v42, v[34:35]
	v_or_b32_e32 v34, v40, v41
	s_addc_u32 s1, s19, s29
	ds_write_b64 v34, v[36:37]
	s_waitcnt vmcnt(1)
	v_perm_b32 v35, v9, v8, s3
	v_perm_b32 v34, v7, v6, s3
	s_waitcnt vmcnt(0)
	v_perm_b32 v37, v5, v4, s3
	v_perm_b32 v36, v3, v2, s3
	v_or_b32_e32 v41, 48, v99
	s_mul_hi_i32 s3, s4, s25
	s_mul_i32 s4, s4, s25
	v_lshlrev_b32_e32 v51, 2, v41
	s_add_u32 s4, s4, s33
	v_or_b32_e32 v38, v38, v51
	s_addc_u32 s5, s3, s50
	v_lshlrev_b32_e32 v38, 1, v38
	s_ashr_i32 s3, s2, 31
	s_lshl_b64 s[4:5], s[4:5], 15
	ds_write2st64_b64 v38, v[34:35], v[36:37] offset0:32 offset1:48
	v_lshlrev_b32_e32 v38, 8, v41
	s_add_u32 s4, s12, s4
	v_or_b32_e32 v39, v39, v38
	s_addc_u32 s5, s13, s5
	s_lshl_b64 s[2:3], s[2:3], 8
	ds_write_b64 v39, v[34:35]
	v_or_b32_e32 v34, v40, v38
	s_add_u32 s2, s4, s2
	v_lshlrev_b32_e32 v35, 1, v99
	ds_write_b64 v34, v[36:37]
	v_lshrrev_b32_e32 v34, 4, v0
	s_addc_u32 s3, s5, s3
	v_or_b32_e32 v36, 1, v35
	v_lshlrev_b32_e32 v42, 4, v99
	v_mov_b32_e32 v43, 0
	v_xor_b32_e32 v35, v34, v35
	v_xor_b32_e32 v38, v36, v34
	v_lshl_add_u64 v[44:45], s[2:3], 0, v[42:43]
	v_lshlrev_b32_e32 v42, 8, v34
	v_lshl_or_b32 v48, v35, 3, v42
	v_lshl_or_b32 v49, v38, 3, v42
	s_waitcnt lgkmcnt(0)
	s_barrier
	ds_read2st64_b64 v[34:37], v48 offset1:8
	ds_read2st64_b64 v[38:41], v49 offset1:8
	v_lshl_add_u64 v[46:47], v[44:45], 0, v[42:43]
	s_movk_i32 s2, 0x2000
	s_cmp_lg_u32 s48, 64
	s_waitcnt lgkmcnt(1)
	v_mov_b32_e32 v42, v34
	v_mov_b32_e32 v43, v35
	s_waitcnt lgkmcnt(0)
	v_mov_b32_e32 v44, v38
	v_mov_b32_e32 v45, v39
	global_store_dwordx4 v[46:47], v[42:45], off
	v_mov_b32_e32 v38, v36
	v_mov_b32_e32 v39, v37
	ds_read2st64_b64 v[34:37], v48 offset0:16 offset1:24
	ds_read2st64_b64 v[42:45], v49 offset0:16 offset1:24
	v_add_co_u32_e32 v48, vcc, s2, v46
	s_cselect_b64 s[18:19], -1, 0
	s_nop 0
	v_addc_co_u32_e32 v49, vcc, 0, v47, vcc
	global_store_dwordx4 v[48:49], v[38:41], off offset:-4096
	v_lshl_or_b32 v62, v1, 3, v101
	s_mov_b32 s4, 0
	s_waitcnt lgkmcnt(1)
	v_mov_b32_e32 v38, v34
	v_add_co_u32_e32 v34, vcc, 0x3000, v46
	v_mov_b32_e32 v39, v35
	s_nop 0
	v_addc_co_u32_e32 v35, vcc, 0, v47, vcc
	s_waitcnt lgkmcnt(0)
	v_mov_b32_e32 v40, v42
	v_mov_b32_e32 v41, v43
	v_mov_b32_e32 v42, v36
	v_mov_b32_e32 v43, v37
	v_or_b32_e32 v52, 32, v62
	v_and_b32_e32 v50, 56, v100
	s_and_b64 vcc, exec, s[18:19]
	global_store_dwordx4 v[48:49], v[38:41], off
	global_store_dwordx4 v[34:35], v[42:45], off
	s_cbranch_vccz .LBB201_29
; %bb.24:
	s_mov_b32 s6, s4
	s_mov_b32 s7, s4
	;; [unrolled: 1-line block ×3, first 2 shown]
	v_mov_b64_e32 v[40:41], s[6:7]
	v_mov_b64_e32 v[38:39], s[4:5]
	;; [unrolled: 1-line block ×3, first 2 shown]
	v_cmp_gt_i32_e32 vcc, s48, v62
	v_mov_b64_e32 v[36:37], v[40:41]
	s_and_saveexec_b64 s[2:3], vcc
	s_cbranch_execz .LBB201_26
; %bb.25:
	v_lshlrev_b32_e32 v34, 8, v62
	v_mov_b32_e32 v35, 0
	v_lshl_add_u64 v[36:37], s[0:1], 0, v[34:35]
	v_lshlrev_b32_e32 v34, 1, v50
	v_lshl_add_u64 v[42:43], v[36:37], 0, v[34:35]
	global_load_dwordx4 v[38:41], v[42:43], off
	global_load_dwordx4 v[34:37], v[42:43], off offset:128
.LBB201_26:
	s_or_b64 exec, exec, s[2:3]
	s_mov_b32 s6, s4
	s_mov_b32 s7, s4
	;; [unrolled: 1-line block ×3, first 2 shown]
	v_mov_b64_e32 v[48:49], s[6:7]
	v_mov_b64_e32 v[46:47], s[4:5]
	;; [unrolled: 1-line block ×3, first 2 shown]
	v_cmp_gt_i32_e32 vcc, s48, v52
	v_lshlrev_b32_e32 v53, 7, v52
	v_mov_b64_e32 v[44:45], v[48:49]
	s_and_saveexec_b64 s[2:3], vcc
	s_cbranch_execz .LBB201_28
; %bb.27:
	v_lshlrev_b32_e32 v42, 1, v53
	v_mov_b32_e32 v43, 0
	v_lshl_add_u64 v[44:45], s[0:1], 0, v[42:43]
	v_lshlrev_b32_e32 v42, 1, v50
	v_lshl_add_u64 v[58:59], v[44:45], 0, v[42:43]
	global_load_dwordx4 v[46:49], v[58:59], off
	global_load_dwordx4 v[42:45], v[58:59], off offset:128
.LBB201_28:
	s_or_b64 exec, exec, s[2:3]
	v_lshrrev_b32_e32 v56, 3, v50
	v_lshlrev_b32_e32 v58, 3, v62
	v_or_b32_e32 v56, v58, v56
	v_lshlrev_b32_e32 v56, 4, v56
	v_and_b32_e32 v58, 0x78, v58
	v_xor_b32_e32 v56, v56, v58
	s_branch .LBB201_31
.LBB201_29:
                                        ; implicit-def: $vgpr56
                                        ; implicit-def: $vgpr53
                                        ; implicit-def: $vgpr38_vgpr39_vgpr40_vgpr41
                                        ; implicit-def: $vgpr34_vgpr35_vgpr36_vgpr37
                                        ; implicit-def: $vgpr46_vgpr47_vgpr48_vgpr49
                                        ; implicit-def: $vgpr42_vgpr43_vgpr44_vgpr45
	s_cbranch_execz .LBB201_31
; %bb.30:
	s_waitcnt vmcnt(0)
	v_lshlrev_b32_e32 v34, 1, v50
	v_lshl_or_b32 v53, v62, 8, v34
	s_and_b32 s1, s1, 0xffff
	s_mov_b32 s3, 0x20000
	s_movk_i32 s2, 0x4000
	v_lshl_or_b32 v56, v52, 8, v34
	s_movk_i32 s4, 0x80
	buffer_load_dwordx4 v[38:41], v53, s[0:3], 0 offen
	buffer_load_dwordx4 v[34:37], v53, s[0:3], s4 offen
	;; [unrolled: 1-line block ×4, first 2 shown]
	v_lshrrev_b32_e32 v53, 3, v50
	v_lshlrev_b32_e32 v56, 3, v62
	v_or_b32_e32 v53, v56, v53
	v_lshlrev_b32_e32 v53, 4, v53
	v_and_b32_e32 v56, 0x78, v56
	v_xor_b32_e32 v56, v53, v56
	v_lshlrev_b32_e32 v53, 7, v52
.LBB201_31:
	s_movk_i32 s0, 0x1000
	v_and_or_b32 v52, v53, s0, v56
	s_waitcnt vmcnt(1)
	ds_write_b64 v56, v[38:39] offset:49152
	v_xor_b32_e32 v38, 8, v56
	ds_write_b64 v38, v[40:41] offset:49152
	s_waitcnt vmcnt(0)
	ds_write_b64 v56, v[34:35] offset:57344
	ds_write_b64 v38, v[36:37] offset:57344
	;; [unrolled: 1-line block ×3, first 2 shown]
	v_xor_b32_e32 v34, 8, v52
	ds_write_b64 v34, v[48:49] offset:49152
	ds_write_b64 v52, v[42:43] offset:57344
	;; [unrolled: 1-line block ×3, first 2 shown]
	v_or_b32_e32 v34, v77, v99
	v_lshlrev_b32_e32 v34, 3, v34
	v_lshrrev_b32_e32 v35, 5, v79
	s_movk_i32 s0, 0xf8
	v_and_or_b32 v35, v34, s0, v35
	v_lshlrev_b32_e32 v39, 4, v35
	v_lshlrev_b32_e32 v56, 11, v1
	v_and_b32_e32 v40, 0x78, v34
	v_or_b32_e32 v42, 32, v39
	v_and_b32_e32 v38, 0x1000, v56
	v_lshrrev_b32_e32 v35, 1, v79
	v_xor_b32_e32 v42, v42, v40
	v_xor_b32_e32 v34, v39, v40
	v_and_b32_e32 v41, 8, v35
	v_or_b32_e32 v42, v42, v38
	v_or_b32_e32 v34, v34, v38
	v_xor_b32_e32 v64, v42, v41
	v_or_b32_e32 v42, 64, v39
	v_xor_b32_e32 v63, v34, v41
	v_xor_b32_e32 v42, v42, v40
	s_waitcnt lgkmcnt(0)
	s_barrier
	v_or_b32_e32 v45, v42, v38
	ds_read_b64 v[42:43], v63 offset:49152
	v_lshl_or_b32 v46, v98, 8, v57
	v_lshlrev_b32_e32 v58, 1, v46
	v_add_u32_e32 v44, 0x4000, v58
	ds_read2_b64 v[34:37], v44 offset1:16
	v_or_b32_e32 v39, 0x60, v39
	v_xor_b32_e32 v39, v39, v40
	v_or_b32_e32 v38, v39, v38
	v_xor_b32_e32 v65, v45, v41
	v_xor_b32_e32 v66, v38, v41
	ds_read_b64 v[52:53], v64 offset:49152
	ds_read_b64 v[68:69], v65 offset:49152
	;; [unrolled: 1-line block ×3, first 2 shown]
	s_waitcnt lgkmcnt(3)
	v_mfma_f32_16x16x16_bf16 a[0:3], v[42:43], v[34:35], 0
	ds_read2st64_b64 v[38:41], v58 offset0:36 offset1:40
	s_lshl_b64 s[0:1], s[46:47], 8
	s_add_u32 s4, s16, s0
	v_mfma_f32_16x16x16_bf16 a[4:7], v[42:43], v[36:37], 0
	ds_read2_b64 v[34:37], v44 offset0:32 offset1:48
	s_addc_u32 s5, s17, s1
	s_add_i32 s0, s53, s43
	s_waitcnt lgkmcnt(0)
	v_mfma_f32_16x16x16_bf16 a[8:11], v[42:43], v[34:35], 0
	v_or_b32_e32 v34, 64, v46
	v_lshlrev_b32_e32 v59, 1, v34
	s_add_i32 s17, s24, -1
	v_mfma_f32_16x16x16_bf16 a[12:15], v[42:43], v[36:37], 0
	ds_read2st64_b64 v[34:37], v59 offset0:36 offset1:40
	s_add_i32 s41, s0, s52
	s_add_i32 s0, s55, s54
	v_mfma_f32_16x16x16_bf16 a[0:3], v[52:53], v[38:39], a[0:3]
	v_or_b32_e32 v38, 0x80, v46
	v_lshlrev_b32_e32 v60, 1, v38
	ds_read2st64_b64 v[42:45], v60 offset0:36 offset1:40
	s_waitcnt lgkmcnt(1)
	v_mfma_f32_16x16x16_bf16 a[4:7], v[52:53], v[34:35], a[4:7]
	v_or_b32_e32 v34, 0xc0, v46
	v_lshlrev_b32_e32 v61, 1, v34
	ds_read2st64_b64 v[46:49], v61 offset0:36 offset1:40
	s_add_i32 s39, s0, s56
	s_ashr_i32 s0, s17, 31
	s_mul_i32 s1, s17, s37
	s_mul_hi_u32 s2, s17, s36
	s_add_i32 s1, s2, s1
	s_mul_i32 s0, s0, s36
	s_waitcnt lgkmcnt(1)
	v_mfma_f32_16x16x16_bf16 a[8:11], v[52:53], v[42:43], a[8:11]
	s_add_i32 s1, s1, s0
	s_lshl_b64 s[2:3], s[40:41], 2
	s_add_u32 s6, s22, s2
	s_waitcnt lgkmcnt(0)
	v_mfma_f32_16x16x16_bf16 a[12:15], v[52:53], v[46:47], a[12:15]
	s_addc_u32 s7, s23, s3
	s_lshl_b64 s[2:3], s[38:39], 2
	s_mul_i32 s0, s17, s36
	v_mfma_f32_16x16x16_bf16 a[0:3], v[68:69], v[40:41], a[0:3]
	ds_read_b64 v[34:35], v58 offset:22528
	s_add_u32 s12, s6, s2
	s_addc_u32 s13, s7, s3
	v_mfma_f32_16x16x16_bf16 a[4:7], v[68:69], v[36:37], a[4:7]
	ds_read_b64 v[36:37], v59 offset:22528
	ds_read_b64 v[38:39], v60 offset:22528
	;; [unrolled: 1-line block ×3, first 2 shown]
	s_lshl_b64 s[0:1], s[0:1], 2
	s_add_u32 s0, s12, s0
	v_mfma_f32_16x16x16_bf16 a[8:11], v[68:69], v[44:45], a[8:11]
	s_addc_u32 s1, s13, s1
	s_load_dword s16, s[0:1], 0x0
	s_and_b64 vcc, exec, s[30:31]
	v_mfma_f32_16x16x16_bf16 a[12:15], v[68:69], v[48:49], a[12:15]
	s_waitcnt lgkmcnt(0)
	v_mfma_f32_16x16x16_bf16 a[0:3], v[70:71], v[34:35], a[0:3]
	v_mfma_f32_16x16x16_bf16 a[4:7], v[70:71], v[36:37], a[4:7]
	;; [unrolled: 1-line block ×4, first 2 shown]
	s_cbranch_vccz .LBB201_42
; %bb.32:
	v_lshlrev_b32_e32 v52, 1, v62
	s_and_b64 vcc, exec, s[18:19]
	s_cbranch_vccz .LBB201_43
; %bb.33:
	v_cmp_gt_i32_e32 vcc, s48, v52
	v_mov_b32_e32 v38, 0
	v_mov_b32_e32 v34, 0
	;; [unrolled: 1-line block ×5, first 2 shown]
	s_and_saveexec_b64 s[0:1], vcc
	s_cbranch_execz .LBB201_35
; %bb.34:
	v_mad_i64_i32 v[34:35], s[2:3], s27, v52, 0
	v_lshl_add_u64 v[34:35], v[34:35], 1, s[4:5]
	v_lshlrev_b32_e32 v36, 1, v50
	v_mov_b32_e32 v37, 0
	v_lshl_add_u64 v[34:35], v[34:35], 0, v[36:37]
	global_load_dwordx4 v[34:37], v[34:35], off
.LBB201_35:
	s_or_b64 exec, exec, s[0:1]
	v_or_b32_e32 v53, 1, v52
	v_cmp_gt_i32_e64 s[0:1], s48, v53
	v_mov_b32_e32 v39, 0
	v_mov_b32_e32 v40, 0
	;; [unrolled: 1-line block ×3, first 2 shown]
	s_and_saveexec_b64 s[2:3], s[0:1]
	s_cbranch_execz .LBB201_37
; %bb.36:
	v_mad_i64_i32 v[38:39], s[6:7], s27, v53, 0
	v_lshl_add_u64 v[38:39], v[38:39], 1, s[4:5]
	v_lshlrev_b32_e32 v40, 1, v50
	v_mov_b32_e32 v41, 0
	v_lshl_add_u64 v[38:39], v[38:39], 0, v[40:41]
	global_load_dwordx4 v[38:41], v[38:39], off
.LBB201_37:
	s_or_b64 exec, exec, s[2:3]
	v_mov_b32_e32 v49, 0
	v_mov_b32_e32 v42, 0
	;; [unrolled: 1-line block ×5, first 2 shown]
	s_and_saveexec_b64 s[2:3], vcc
	s_cbranch_execz .LBB201_39
; %bb.38:
	v_mad_i64_i32 v[42:43], s[6:7], s27, v52, 0
	v_lshl_add_u64 v[42:43], v[42:43], 1, s[4:5]
	v_lshlrev_b32_e32 v44, 1, v50
	v_mov_b32_e32 v45, 0
	v_lshl_add_u64 v[42:43], v[42:43], 0, v[44:45]
	global_load_dwordx4 v[42:45], v[42:43], off offset:128
.LBB201_39:
	s_or_b64 exec, exec, s[2:3]
	v_mov_b32_e32 v48, 0
	v_mov_b32_e32 v47, 0
	;; [unrolled: 1-line block ×3, first 2 shown]
	s_and_saveexec_b64 s[2:3], s[0:1]
	s_cbranch_execz .LBB201_41
; %bb.40:
	v_mad_i64_i32 v[46:47], s[0:1], s27, v53, 0
	v_lshl_add_u64 v[46:47], v[46:47], 1, s[4:5]
	v_lshlrev_b32_e32 v48, 1, v50
	v_mov_b32_e32 v49, 0
	v_lshl_add_u64 v[46:47], v[46:47], 0, v[48:49]
	global_load_dwordx4 v[46:49], v[46:47], off offset:128
.LBB201_41:
	s_or_b64 exec, exec, s[2:3]
	s_branch .LBB201_45
.LBB201_42:
                                        ; implicit-def: $vgpr37
                                        ; implicit-def: $vgpr41
                                        ; implicit-def: $vgpr45
                                        ; implicit-def: $vgpr49
	v_lshrrev_b32_e32 v67, 2, v79
	s_branch .LBB201_46
.LBB201_43:
                                        ; implicit-def: $vgpr37
                                        ; implicit-def: $vgpr41
                                        ; implicit-def: $vgpr45
                                        ; implicit-def: $vgpr49
	s_cbranch_execz .LBB201_45
; %bb.44:
	s_waitcnt vmcnt(0)
	v_mad_u64_u32 v[34:35], s[0:1], v52, s27, v[50:51]
	v_lshlrev_b32_e32 v52, 1, v34
	s_lshl_b32 s2, s27, 7
	s_and_b32 s1, s5, 0xffff
	s_mov_b32 s3, 0x20000
	s_mov_b32 s0, s4
	v_add_lshl_u32 v53, v34, s27, 1
	s_movk_i32 s6, 0x80
	buffer_load_dwordx4 v[34:37], v52, s[0:3], 0 offen
	buffer_load_dwordx4 v[42:45], v52, s[0:3], s6 offen
	;; [unrolled: 1-line block ×4, first 2 shown]
.LBB201_45:
	v_lshrrev_b32_e32 v67, 2, v79
	s_cbranch_execnz .LBB201_58
.LBB201_46:
	s_and_b64 vcc, exec, s[18:19]
	s_cbranch_vccz .LBB201_56
; %bb.47:
	s_waitcnt vmcnt(0)
	v_lshlrev_b32_e32 v39, 1, v62
	v_cmp_gt_i32_e32 vcc, s48, v39
	v_mov_b32_e32 v38, 0
	v_lshlrev_b32_e32 v46, 9, v62
	v_mov_b32_e32 v34, 0
	v_mov_b32_e32 v35, 0
	v_mov_b32_e32 v36, 0
	v_mov_b32_e32 v37, 0
	s_and_saveexec_b64 s[0:1], vcc
	s_cbranch_execz .LBB201_49
; %bb.48:
	v_mov_b32_e32 v47, 0
	v_lshl_add_u64 v[34:35], s[4:5], 0, v[46:47]
	v_lshlrev_b32_e32 v36, 1, v50
	v_mov_b32_e32 v37, v47
	v_lshl_add_u64 v[34:35], v[34:35], 0, v[36:37]
	global_load_dwordx4 v[34:37], v[34:35], off
.LBB201_49:
	s_or_b64 exec, exec, s[0:1]
	v_or_b32_e32 v39, 1, v39
	v_cmp_gt_i32_e64 s[0:1], s48, v39
	v_lshlrev_b32_e32 v52, 8, v39
	v_mov_b32_e32 v39, 0
	v_mov_b32_e32 v40, 0
	;; [unrolled: 1-line block ×3, first 2 shown]
	s_and_saveexec_b64 s[2:3], s[0:1]
	s_cbranch_execz .LBB201_51
; %bb.50:
	v_mov_b32_e32 v53, 0
	v_lshl_add_u64 v[38:39], s[4:5], 0, v[52:53]
	v_lshlrev_b32_e32 v40, 1, v50
	v_mov_b32_e32 v41, v53
	v_lshl_add_u64 v[38:39], v[38:39], 0, v[40:41]
	global_load_dwordx4 v[38:41], v[38:39], off
.LBB201_51:
	s_or_b64 exec, exec, s[2:3]
	v_mov_b32_e32 v49, 0
	v_mov_b32_e32 v42, 0
	;; [unrolled: 1-line block ×5, first 2 shown]
	s_and_saveexec_b64 s[2:3], vcc
	s_cbranch_execz .LBB201_53
; %bb.52:
	v_mov_b32_e32 v47, 0
	v_lshl_add_u64 v[42:43], s[4:5], 0, v[46:47]
	v_lshlrev_b32_e32 v46, 1, v50
	v_lshl_add_u64 v[42:43], v[42:43], 0, v[46:47]
	global_load_dwordx4 v[42:45], v[42:43], off offset:128
.LBB201_53:
	s_or_b64 exec, exec, s[2:3]
	v_mov_b32_e32 v48, 0
	v_mov_b32_e32 v47, 0
	;; [unrolled: 1-line block ×3, first 2 shown]
	s_and_saveexec_b64 s[2:3], s[0:1]
	s_cbranch_execz .LBB201_55
; %bb.54:
	v_mov_b32_e32 v53, 0
	v_lshl_add_u64 v[46:47], s[4:5], 0, v[52:53]
	v_lshlrev_b32_e32 v52, 1, v50
	v_lshl_add_u64 v[46:47], v[46:47], 0, v[52:53]
	global_load_dwordx4 v[46:49], v[46:47], off offset:128
.LBB201_55:
	s_or_b64 exec, exec, s[2:3]
	s_branch .LBB201_58
.LBB201_56:
                                        ; implicit-def: $vgpr37
                                        ; implicit-def: $vgpr41
                                        ; implicit-def: $vgpr45
                                        ; implicit-def: $vgpr49
	s_cbranch_execz .LBB201_58
; %bb.57:
	s_waitcnt vmcnt(0)
	v_lshlrev_b32_e32 v34, 1, v50
	v_lshl_or_b32 v50, v62, 9, v34
	s_and_b32 s5, s5, 0xffff
	s_mov_b32 s7, 0x20000
	s_movk_i32 s6, 0x4000
	s_movk_i32 s0, 0x80
	buffer_load_dwordx4 v[34:37], v50, s[4:7], 0 offen
	buffer_load_dwordx4 v[38:41], v50, s[4:7], 0 offen offset:256
	buffer_load_dwordx4 v[42:45], v50, s[4:7], s0 offen
	buffer_load_dwordx4 v[46:49], v50, s[4:7], s0 offen offset:256
.LBB201_58:
	ds_read_b64 v[52:53], v63 offset:57344
	v_add_u32_e32 v50, 0x6000, v58
	ds_read2_b64 v[68:71], v50 offset1:16
	ds_read_b64 v[94:95], v64 offset:57344
	ds_read_b64 v[96:97], v65 offset:57344
	;; [unrolled: 1-line block ×3, first 2 shown]
	v_and_b32_e32 v63, 6, v0
	v_xor_b32_e32 v62, v62, v63
	v_lshlrev_b32_e32 v62, 2, v62
	s_mov_b32 s0, 0x1000504
	s_mov_b32 s1, 0x3020706
	s_waitcnt lgkmcnt(3)
	v_mfma_f32_16x16x16_bf16 a[0:3], v[52:53], v[68:69], a[0:3]
	v_mfma_f32_16x16x16_bf16 a[4:7], v[52:53], v[70:71], a[4:7]
	ds_read2_b64 v[68:71], v50 offset0:32 offset1:48
	v_and_b32_e32 v50, 12, v67
	ds_read2st64_b64 v[64:67], v58 offset0:52 offset1:56
	s_waitcnt lgkmcnt(1)
	v_mfma_f32_16x16x16_bf16 a[8:11], v[52:53], v[68:69], a[8:11]
	v_mfma_f32_16x16x16_bf16 a[12:15], v[52:53], v[70:71], a[12:15]
	ds_read2st64_b64 v[68:71], v59 offset0:52 offset1:56
	ds_read2st64_b64 v[72:75], v60 offset0:52 offset1:56
	;; [unrolled: 1-line block ×3, first 2 shown]
	s_waitcnt lgkmcnt(3)
	v_mfma_f32_16x16x16_bf16 a[0:3], v[94:95], v[64:65], a[0:3]
	ds_read_b64 v[52:53], v58 offset:30720
	ds_read_b64 v[64:65], v59 offset:30720
	;; [unrolled: 1-line block ×4, first 2 shown]
	s_waitcnt lgkmcnt(6)
	v_mfma_f32_16x16x16_bf16 a[4:7], v[94:95], v[68:69], a[4:7]
	v_and_b32_e32 v68, 1, v0
	v_xor_b32_e32 v69, 0x440, v62
	v_cmp_eq_u32_e32 vcc, 0, v68
	s_waitcnt lgkmcnt(5)
	v_mfma_f32_16x16x16_bf16 a[8:11], v[94:95], v[72:73], a[8:11]
	v_cndmask_b32_e32 v62, v69, v62, vcc
	v_lshl_or_b32 v62, v63, 10, v62
	s_waitcnt lgkmcnt(4)
	v_mfma_f32_16x16x16_bf16 a[12:15], v[94:95], v[90:91], a[12:15]
	s_waitcnt vmcnt(0)
	v_perm_b32 v63, v34, v38, s0
	v_perm_b32 v34, v34, v38, s1
	;; [unrolled: 1-line block ×3, first 2 shown]
	v_mfma_f32_16x16x16_bf16 a[0:3], v[96:97], v[66:67], a[0:3]
	v_perm_b32 v66, v42, v46, s0
	ds_write2st64_b32 v62, v63, v66 offset0:128 offset1:160
	v_xor_b32_e32 v63, 8, v62
	v_add_u32_e32 v42, 0x80, v63
	ds_write2st64_b32 v42, v34, v38 offset0:128 offset1:160
	v_xor_b32_e32 v34, 16, v62
	v_perm_b32 v38, v35, v39, s0
	v_perm_b32 v42, v43, v47, s0
	v_mfma_f32_16x16x16_bf16 a[4:7], v[96:97], v[70:71], a[4:7]
	ds_write2st64_b32 v34, v38, v42 offset0:129 offset1:161
	v_xor_b32_e32 v34, 24, v62
	v_perm_b32 v35, v35, v39, s1
	v_mfma_f32_16x16x16_bf16 a[16:19], v[96:97], v[74:75], a[8:11]
	v_perm_b32 v38, v43, v47, s1
	v_add_u32_e32 v34, 0x80, v34
	ds_write2st64_b32 v34, v35, v38 offset0:129 offset1:161
	v_mfma_f32_16x16x16_bf16 a[20:23], v[96:97], v[92:93], a[12:15]
	v_xor_b32_e32 v34, 32, v62
	v_perm_b32 v35, v36, v40, s0
	v_perm_b32 v38, v44, v48, s0
	ds_write2st64_b32 v34, v35, v38 offset0:130 offset1:162
	v_xor_b32_e32 v34, 40, v62
	s_waitcnt lgkmcnt(8)
	v_mfma_f32_16x16x16_bf16 a[12:15], v[98:99], v[52:53], a[0:3]
	v_perm_b32 v35, v36, v40, s1
	v_perm_b32 v36, v44, v48, s1
	v_add_u32_e32 v34, 0x80, v34
	s_waitcnt lgkmcnt(7)
	v_mfma_f32_16x16x16_bf16 a[8:11], v[98:99], v[64:65], a[4:7]
	ds_write2st64_b32 v34, v35, v36 offset0:130 offset1:162
	v_xor_b32_e32 v34, 48, v62
	v_perm_b32 v35, v37, v41, s0
	s_waitcnt lgkmcnt(7)
	v_mfma_f32_16x16x16_bf16 a[4:7], v[98:99], v[100:101], a[16:19]
	v_perm_b32 v36, v45, v49, s0
	ds_write2st64_b32 v34, v35, v36 offset0:131 offset1:163
	v_xor_b32_e32 v34, 56, v62
	s_waitcnt lgkmcnt(7)
	v_mfma_f32_16x16x16_bf16 a[0:3], v[98:99], v[102:103], a[20:23]
	v_or_b32_e32 v52, v50, v77
	v_perm_b32 v35, v37, v41, s1
	v_perm_b32 v36, v45, v49, s1
	v_add_u32_e32 v34, 0x80, v34
	v_cmp_gt_i32_e64 s[0:1], s48, v52
	v_mov_b32_e32 v62, 0
	v_mov_b32_e32 v63, 0
	ds_write2st64_b32 v34, v35, v36 offset0:131 offset1:163
	s_and_saveexec_b64 s[2:3], s[0:1]
	s_cbranch_execz .LBB201_60
; %bb.59:
	v_add_u32_e32 v34, s45, v52
	v_ashrrev_i32_e32 v35, 31, v34
	v_mul_lo_u32 v36, v35, s36
	v_mul_lo_u32 v37, v34, s37
	v_mad_u64_u32 v[34:35], s[4:5], v34, s36, 0
	v_add3_u32 v35, v35, v37, v36
	v_lshl_add_u64 v[34:35], v[34:35], 2, s[12:13]
	global_load_dword v34, v[34:35], off
	s_waitcnt vmcnt(0)
	v_sub_f32_e32 v34, s16, v34
	v_mul_f32_e32 v34, 0x3fb8aa3b, v34
	v_exp_f32_e32 v63, v34
.LBB201_60:
	s_or_b64 exec, exec, s[2:3]
	v_or_b32_e32 v43, 1, v52
	v_cmp_gt_i32_e64 s[2:3], s48, v43
	s_and_saveexec_b64 s[4:5], s[2:3]
	s_cbranch_execz .LBB201_62
; %bb.61:
	v_add_u32_e32 v34, s45, v43
	v_ashrrev_i32_e32 v35, 31, v34
	v_mul_lo_u32 v36, v35, s36
	v_mul_lo_u32 v37, v34, s37
	v_mad_u64_u32 v[34:35], s[6:7], v34, s36, 0
	v_add3_u32 v35, v35, v37, v36
	v_lshl_add_u64 v[34:35], v[34:35], 2, s[12:13]
	global_load_dword v34, v[34:35], off
	s_waitcnt vmcnt(0)
	v_sub_f32_e32 v34, s16, v34
	v_mul_f32_e32 v34, 0x3fb8aa3b, v34
	v_exp_f32_e32 v62, v34
.LBB201_62:
	s_or_b64 exec, exec, s[4:5]
	v_or_b32_e32 v42, 2, v52
	v_cmp_gt_i32_e64 s[4:5], s48, v42
	v_mov_b32_e32 v53, 0
	v_mov_b32_e32 v64, 0
	s_and_saveexec_b64 s[6:7], s[4:5]
	s_cbranch_execz .LBB201_64
; %bb.63:
	v_add_u32_e32 v34, s45, v42
	v_ashrrev_i32_e32 v35, 31, v34
	v_mul_lo_u32 v36, v35, s36
	v_mul_lo_u32 v37, v34, s37
	v_mad_u64_u32 v[34:35], s[18:19], v34, s36, 0
	v_add3_u32 v35, v35, v37, v36
	v_lshl_add_u64 v[34:35], v[34:35], 2, s[12:13]
	global_load_dword v34, v[34:35], off
	s_waitcnt vmcnt(0)
	v_sub_f32_e32 v34, s16, v34
	v_mul_f32_e32 v34, 0x3fb8aa3b, v34
	v_exp_f32_e32 v64, v34
.LBB201_64:
	s_or_b64 exec, exec, s[6:7]
	v_or_b32_e32 v65, 3, v52
	v_cmp_gt_i32_e32 vcc, s48, v65
	s_and_saveexec_b64 s[6:7], vcc
	s_cbranch_execz .LBB201_66
; %bb.65:
	v_add_u32_e32 v34, s45, v65
	v_ashrrev_i32_e32 v35, 31, v34
	v_mul_lo_u32 v36, v35, s36
	v_mul_lo_u32 v37, v34, s37
	v_mad_u64_u32 v[34:35], s[18:19], v34, s36, 0
	v_add3_u32 v35, v35, v37, v36
	v_lshl_add_u64 v[34:35], v[34:35], 2, s[12:13]
	global_load_dword v34, v[34:35], off
	s_waitcnt vmcnt(0)
	v_sub_f32_e32 v34, s16, v34
	v_mul_f32_e32 v34, 0x3fb8aa3b, v34
	v_exp_f32_e32 v53, v34
.LBB201_66:
	s_or_b64 exec, exec, s[6:7]
	s_add_u32 s6, s20, s28
	s_addc_u32 s7, s21, s29
	s_add_u32 s12, s14, s28
	v_ashrrev_i32_e32 v89, 31, v88
	v_accvgpr_read_b32 v37, a15
	s_addc_u32 s13, s15, s29
	v_lshlrev_b64 v[38:39], 1, v[88:89]
	v_accvgpr_read_b32 v36, a14
	v_accvgpr_read_b32 v35, a13
	;; [unrolled: 1-line block ×3, first 2 shown]
	v_lshl_add_u64 v[40:41], s[6:7], 0, v[38:39]
	v_lshl_add_u64 v[38:39], s[12:13], 0, v[38:39]
	v_mov_b32_e32 v47, 0
	v_lshlrev_b32_e32 v44, 8, v52
	v_mov_b32_e32 v45, 0
	s_and_saveexec_b64 s[6:7], s[0:1]
	s_cbranch_execz .LBB201_68
; %bb.67:
	v_mov_b32_e32 v45, 0
	v_lshl_add_u64 v[48:49], v[40:41], 0, v[44:45]
	global_load_ushort v46, v[48:49], off
	v_lshl_add_u64 v[48:49], v[38:39], 0, v[44:45]
	s_waitcnt vmcnt(0)
	v_lshlrev_b32_e32 v45, 16, v46
	v_sub_f32_e32 v34, v45, v34
	global_store_short_d16_hi v[48:49], v34, off
	v_mul_f32_e32 v34, v63, v34
	v_lshrrev_b32_e32 v45, 16, v34
.LBB201_68:
	s_or_b64 exec, exec, s[6:7]
	v_lshlrev_b32_e32 v46, 8, v43
	s_and_saveexec_b64 s[6:7], s[2:3]
	s_cbranch_execz .LBB201_70
; %bb.69:
	v_mov_b32_e32 v47, 0
	v_lshl_add_u64 v[48:49], v[40:41], 0, v[46:47]
	global_load_ushort v34, v[48:49], off
	v_lshl_add_u64 v[48:49], v[38:39], 0, v[46:47]
	s_waitcnt vmcnt(0)
	v_lshlrev_b32_e32 v34, 16, v34
	v_sub_f32_e32 v34, v34, v35
	global_store_short_d16_hi v[48:49], v34, off
	v_mul_f32_e32 v34, v62, v34
	v_lshrrev_b32_e32 v47, 16, v34
.LBB201_70:
	s_or_b64 exec, exec, s[6:7]
	v_mov_b32_e32 v43, 0
	v_lshlrev_b32_e32 v48, 8, v42
	v_mov_b32_e32 v49, 0
	s_and_saveexec_b64 s[6:7], s[4:5]
	s_cbranch_execz .LBB201_72
; %bb.71:
	v_mov_b32_e32 v49, 0
	v_lshl_add_u64 v[34:35], v[40:41], 0, v[48:49]
	global_load_ushort v42, v[34:35], off
	v_lshl_add_u64 v[34:35], v[38:39], 0, v[48:49]
	s_waitcnt vmcnt(0)
	v_lshlrev_b32_e32 v42, 16, v42
	v_sub_f32_e32 v36, v42, v36
	global_store_short_d16_hi v[34:35], v36, off
	v_mul_f32_e32 v34, v64, v36
	v_lshrrev_b32_e32 v49, 16, v34
.LBB201_72:
	s_or_b64 exec, exec, s[6:7]
	v_lshlrev_b32_e32 v42, 8, v65
	s_and_saveexec_b64 s[6:7], vcc
	s_cbranch_execz .LBB201_74
; %bb.73:
	v_mov_b32_e32 v43, 0
	v_lshl_add_u64 v[34:35], v[40:41], 0, v[42:43]
	global_load_ushort v36, v[34:35], off
	v_lshl_add_u64 v[34:35], v[38:39], 0, v[42:43]
	s_waitcnt vmcnt(0)
	v_lshlrev_b32_e32 v36, 16, v36
	v_sub_f32_e32 v36, v36, v37
	global_store_short_d16_hi v[34:35], v36, off
	v_mul_f32_e32 v34, v53, v36
	v_lshrrev_b32_e32 v43, 16, v34
.LBB201_74:
	s_or_b64 exec, exec, s[6:7]
	v_lshlrev_b32_e32 v65, 6, v52
	s_mov_b32 s6, 0x5040100
	v_accvgpr_read_b32 v37, a11
	v_perm_b32 v67, v43, v49, s6
	v_or_b32_e32 v43, v65, v57
	v_accvgpr_read_b32 v36, a10
	v_accvgpr_read_b32 v35, a9
	;; [unrolled: 1-line block ×3, first 2 shown]
	v_perm_b32 v66, v47, v45, s6
	v_lshlrev_b32_e32 v43, 1, v43
	v_mov_b32_e32 v47, 0
	v_mov_b32_e32 v45, 0
	ds_write_b64 v43, v[66:67] offset:24576
	s_and_saveexec_b64 s[6:7], s[0:1]
	s_cbranch_execz .LBB201_76
; %bb.75:
	v_mov_b32_e32 v45, 0
	v_lshl_add_u64 v[66:67], v[40:41], 0, v[44:45]
	global_load_ushort v43, v[66:67], off offset:32
	v_lshl_add_u64 v[66:67], v[38:39], 0, v[44:45]
	s_waitcnt vmcnt(0)
	v_lshlrev_b32_e32 v43, 16, v43
	v_sub_f32_e32 v34, v43, v34
	global_store_short_d16_hi v[66:67], v34, off offset:32
	v_mul_f32_e32 v34, v63, v34
	v_lshrrev_b32_e32 v45, 16, v34
.LBB201_76:
	s_or_b64 exec, exec, s[6:7]
	s_and_saveexec_b64 s[6:7], s[2:3]
	s_cbranch_execz .LBB201_78
; %bb.77:
	v_mov_b32_e32 v47, 0
	v_lshl_add_u64 v[66:67], v[40:41], 0, v[46:47]
	global_load_ushort v34, v[66:67], off offset:32
	v_lshl_add_u64 v[66:67], v[38:39], 0, v[46:47]
	s_waitcnt vmcnt(0)
	v_lshlrev_b32_e32 v34, 16, v34
	v_sub_f32_e32 v34, v34, v35
	global_store_short_d16_hi v[66:67], v34, off offset:32
	v_mul_f32_e32 v34, v62, v34
	v_lshrrev_b32_e32 v47, 16, v34
.LBB201_78:
	s_or_b64 exec, exec, s[6:7]
	v_mov_b32_e32 v43, 0
	v_mov_b32_e32 v49, 0
	s_and_saveexec_b64 s[6:7], s[4:5]
	s_cbranch_execz .LBB201_80
; %bb.79:
	v_mov_b32_e32 v49, 0
	v_lshl_add_u64 v[34:35], v[40:41], 0, v[48:49]
	global_load_ushort v57, v[34:35], off offset:32
	v_lshl_add_u64 v[34:35], v[38:39], 0, v[48:49]
	s_waitcnt vmcnt(0)
	v_lshlrev_b32_e32 v49, 16, v57
	v_sub_f32_e32 v36, v49, v36
	global_store_short_d16_hi v[34:35], v36, off offset:32
	v_mul_f32_e32 v34, v64, v36
	v_lshrrev_b32_e32 v49, 16, v34
.LBB201_80:
	s_or_b64 exec, exec, s[6:7]
	s_and_saveexec_b64 s[6:7], vcc
	s_cbranch_execz .LBB201_82
; %bb.81:
	v_mov_b32_e32 v43, 0
	v_lshl_add_u64 v[34:35], v[40:41], 0, v[42:43]
	global_load_ushort v36, v[34:35], off offset:32
	v_lshl_add_u64 v[34:35], v[38:39], 0, v[42:43]
	s_waitcnt vmcnt(0)
	v_lshlrev_b32_e32 v36, 16, v36
	v_sub_f32_e32 v36, v36, v37
	global_store_short_d16_hi v[34:35], v36, off offset:32
	v_mul_f32_e32 v34, v53, v36
	v_lshrrev_b32_e32 v43, 16, v34
.LBB201_82:
	s_or_b64 exec, exec, s[6:7]
	s_mov_b32 s6, 0x5040100
	v_accvgpr_read_b32 v37, a7
	v_perm_b32 v67, v43, v49, s6
	v_or_b32_e32 v43, v65, v55
	v_accvgpr_read_b32 v36, a6
	v_accvgpr_read_b32 v35, a5
	;; [unrolled: 1-line block ×3, first 2 shown]
	v_perm_b32 v66, v47, v45, s6
	v_lshlrev_b32_e32 v43, 1, v43
	v_mov_b32_e32 v47, 0
	v_mov_b32_e32 v45, 0
	ds_write_b64 v43, v[66:67] offset:24576
	s_and_saveexec_b64 s[6:7], s[0:1]
	s_cbranch_execz .LBB201_84
; %bb.83:
	v_mov_b32_e32 v45, 0
	v_lshl_add_u64 v[66:67], v[40:41], 0, v[44:45]
	global_load_ushort v43, v[66:67], off offset:64
	v_lshl_add_u64 v[66:67], v[38:39], 0, v[44:45]
	s_waitcnt vmcnt(0)
	v_lshlrev_b32_e32 v43, 16, v43
	v_sub_f32_e32 v34, v43, v34
	global_store_short_d16_hi v[66:67], v34, off offset:64
	v_mul_f32_e32 v34, v63, v34
	v_lshrrev_b32_e32 v45, 16, v34
.LBB201_84:
	s_or_b64 exec, exec, s[6:7]
	s_and_saveexec_b64 s[6:7], s[2:3]
	s_cbranch_execz .LBB201_86
; %bb.85:
	v_mov_b32_e32 v47, 0
	v_lshl_add_u64 v[66:67], v[40:41], 0, v[46:47]
	global_load_ushort v34, v[66:67], off offset:64
	v_lshl_add_u64 v[66:67], v[38:39], 0, v[46:47]
	s_waitcnt vmcnt(0)
	v_lshlrev_b32_e32 v34, 16, v34
	v_sub_f32_e32 v34, v34, v35
	global_store_short_d16_hi v[66:67], v34, off offset:64
	v_mul_f32_e32 v34, v62, v34
	v_lshrrev_b32_e32 v47, 16, v34
.LBB201_86:
	s_or_b64 exec, exec, s[6:7]
	v_mov_b32_e32 v43, 0
	v_mov_b32_e32 v49, 0
	s_and_saveexec_b64 s[6:7], s[4:5]
	s_cbranch_execz .LBB201_88
; %bb.87:
	v_mov_b32_e32 v49, 0
	v_lshl_add_u64 v[34:35], v[40:41], 0, v[48:49]
	global_load_ushort v55, v[34:35], off offset:64
	v_lshl_add_u64 v[34:35], v[38:39], 0, v[48:49]
	s_waitcnt vmcnt(0)
	v_lshlrev_b32_e32 v49, 16, v55
	v_sub_f32_e32 v36, v49, v36
	global_store_short_d16_hi v[34:35], v36, off offset:64
	v_mul_f32_e32 v34, v64, v36
	v_lshrrev_b32_e32 v49, 16, v34
.LBB201_88:
	s_or_b64 exec, exec, s[6:7]
	s_and_saveexec_b64 s[6:7], vcc
	s_cbranch_execz .LBB201_90
; %bb.89:
	v_mov_b32_e32 v43, 0
	v_lshl_add_u64 v[34:35], v[40:41], 0, v[42:43]
	global_load_ushort v36, v[34:35], off offset:64
	v_lshl_add_u64 v[34:35], v[38:39], 0, v[42:43]
	s_waitcnt vmcnt(0)
	v_lshlrev_b32_e32 v36, 16, v36
	v_sub_f32_e32 v36, v36, v37
	global_store_short_d16_hi v[34:35], v36, off offset:64
	v_mul_f32_e32 v34, v53, v36
	v_lshrrev_b32_e32 v43, 16, v34
.LBB201_90:
	s_or_b64 exec, exec, s[6:7]
	s_mov_b32 s6, 0x5040100
	v_accvgpr_read_b32 v37, a3
	v_perm_b32 v67, v43, v49, s6
	v_or_b32_e32 v43, v65, v54
	v_accvgpr_read_b32 v36, a2
	v_accvgpr_read_b32 v35, a1
	;; [unrolled: 1-line block ×3, first 2 shown]
	v_perm_b32 v66, v47, v45, s6
	v_lshlrev_b32_e32 v43, 1, v43
	v_mov_b32_e32 v47, 0
	v_mov_b32_e32 v45, 0
	ds_write_b64 v43, v[66:67] offset:24576
	s_and_saveexec_b64 s[6:7], s[0:1]
	s_cbranch_execz .LBB201_92
; %bb.91:
	v_mov_b32_e32 v45, 0
	v_lshl_add_u64 v[54:55], v[40:41], 0, v[44:45]
	global_load_ushort v43, v[54:55], off offset:96
	v_lshl_add_u64 v[44:45], v[38:39], 0, v[44:45]
	s_waitcnt vmcnt(0)
	v_lshlrev_b32_e32 v43, 16, v43
	v_sub_f32_e32 v34, v43, v34
	global_store_short_d16_hi v[44:45], v34, off offset:96
	v_mul_f32_e32 v34, v63, v34
	v_lshrrev_b32_e32 v45, 16, v34
.LBB201_92:
	s_or_b64 exec, exec, s[6:7]
	s_and_saveexec_b64 s[0:1], s[2:3]
	s_cbranch_execz .LBB201_94
; %bb.93:
	v_mov_b32_e32 v47, 0
	v_lshl_add_u64 v[54:55], v[40:41], 0, v[46:47]
	global_load_ushort v34, v[54:55], off offset:96
	v_lshl_add_u64 v[46:47], v[38:39], 0, v[46:47]
	s_waitcnt vmcnt(0)
	v_lshlrev_b32_e32 v34, 16, v34
	v_sub_f32_e32 v34, v34, v35
	global_store_short_d16_hi v[46:47], v34, off offset:96
	v_mul_f32_e32 v34, v62, v34
	v_lshrrev_b32_e32 v47, 16, v34
.LBB201_94:
	s_or_b64 exec, exec, s[0:1]
	v_mov_b32_e32 v43, 0
	v_mov_b32_e32 v46, 0
	s_and_saveexec_b64 s[0:1], s[4:5]
	s_cbranch_execz .LBB201_96
; %bb.95:
	v_mov_b32_e32 v49, 0
	v_lshl_add_u64 v[34:35], v[40:41], 0, v[48:49]
	global_load_ushort v44, v[34:35], off offset:96
	v_lshl_add_u64 v[34:35], v[38:39], 0, v[48:49]
	s_waitcnt vmcnt(0)
	v_lshlrev_b32_e32 v44, 16, v44
	v_sub_f32_e32 v36, v44, v36
	global_store_short_d16_hi v[34:35], v36, off offset:96
	v_mul_f32_e32 v34, v64, v36
	v_lshrrev_b32_e32 v46, 16, v34
.LBB201_96:
	s_or_b64 exec, exec, s[0:1]
	v_or_b32_e32 v34, 0x6000, v58
	v_or_b32_e32 v35, 0x6000, v59
	;; [unrolled: 1-line block ×4, first 2 shown]
	s_and_saveexec_b64 s[0:1], vcc
	s_cbranch_execz .LBB201_98
; %bb.97:
	v_mov_b32_e32 v43, 0
	v_lshl_add_u64 v[40:41], v[40:41], 0, v[42:43]
	global_load_ushort v40, v[40:41], off offset:96
	v_lshl_add_u64 v[38:39], v[38:39], 0, v[42:43]
	s_waitcnt vmcnt(0)
	v_lshlrev_b32_e32 v40, 16, v40
	v_sub_f32_e32 v37, v40, v37
	global_store_short_d16_hi v[38:39], v37, off offset:96
	v_mul_f32_e32 v37, v53, v37
	v_lshrrev_b32_e32 v43, 16, v37
.LBB201_98:
	s_or_b64 exec, exec, s[0:1]
	s_mov_b32 s0, 0x5040100
	v_or_b32_e32 v37, v65, v51
	v_perm_b32 v39, v43, v46, s0
	v_perm_b32 v38, v47, v45, s0
	v_lshlrev_b32_e32 v37, 1, v37
	ds_write_b64 v37, v[38:39] offset:24576
	v_and_b32_e32 v37, 7, v0
	v_lshlrev_b32_e32 v45, 3, v37
	v_lshlrev_b32_e32 v79, 7, v37
	v_lshrrev_b32_e32 v37, 1, v0
	s_add_i32 s0, s17, s51
	v_and_b32_e32 v37, 24, v37
	v_lshlrev_b32_e32 v76, 3, v1
	s_mul_hi_i32 s3, s0, s25
	s_mul_i32 s0, s0, s25
	v_and_b32_e32 v42, 8, v0
	s_movk_i32 s4, 0x100
	v_xor_b32_e32 v77, v76, v37
	s_add_u32 s2, s0, s33
	v_cmp_eq_u32_e32 vcc, 0, v42
	v_cmp_gt_u32_e64 s[0:1], s4, v0
	v_or_b32_e32 v0, 0x440, v77
	v_mov_b32_e32 v43, 0x400
	v_cndmask_b32_e32 v0, v0, v77, vcc
	v_cndmask_b32_e64 v51, v43, 64, vcc
	v_mov_b32_e32 v42, 0xa000
	v_mov_b32_e32 v43, 0x8000
	v_or_b32_e32 v0, v0, v56
	v_cndmask_b32_e64 v57, v42, v43, s[0:1]
	v_xor_b32_e32 v92, v0, v45
	v_add3_u32 v0, v57, v92, v79
	s_waitcnt lgkmcnt(0)
	s_barrier
	ds_read_b64 v[42:43], v0
	v_or_b32_e32 v0, 32, v37
	v_xor_b32_e32 v0, v76, v0
	v_or_b32_e32 v46, 0x440, v0
	ds_read2_b64 v[38:41], v34 offset1:16
	v_cndmask_b32_e32 v0, v46, v0, vcc
	ds_read2_b64 v[46:49], v34 offset0:32 offset1:48
	s_waitcnt lgkmcnt(1)
	v_mfma_f32_16x16x16_bf16 a[0:3], v[42:43], v[38:39], 0
	v_or_b32_e32 v0, v0, v56
	s_addc_u32 s3, s3, s50
	v_or_b32_e32 v37, 0x60, v37
	v_mfma_f32_16x16x16_bf16 a[4:7], v[42:43], v[40:41], 0
	v_xor_b32_e32 v93, v0, v45
	s_lshl_b64 s[0:1], s[2:3], 9
	v_xor_b32_e32 v37, v76, v37
	s_waitcnt lgkmcnt(0)
	v_mfma_f32_16x16x16_bf16 a[8:11], v[42:43], v[46:47], 0
	v_add3_u32 v0, v57, v93, v79
	s_add_u32 s0, s8, s0
	ds_read_b64 v[74:75], v0
	v_mfma_f32_16x16x16_bf16 a[12:15], v[42:43], v[48:49], 0
	v_or3_b32 v42, v56, v51, v77
	v_xor_b32_e32 v42, v42, v45
	v_or_b32_e32 v94, v42, v79
	v_or_b32_e32 v42, v57, v94
	v_xor_b32_e32 v43, 0x440, v37
	s_addc_u32 s1, s9, s1
	v_cndmask_b32_e32 v37, v43, v37, vcc
	ds_read_b64 v[42:43], v42
	v_lshlrev_b32_e32 v0, 2, v52
	global_load_dwordx4 v[52:55], v0, s[0:1]
	ds_read2st64_b64 v[58:61], v34 offset0:4 offset1:8
	ds_read2st64_b64 v[62:65], v35 offset0:4 offset1:8
	;; [unrolled: 1-line block ×4, first 2 shown]
	v_or_b32_e32 v37, v37, v56
	v_xor_b32_e32 v95, v37, v45
	v_lshlrev_b32_e32 v1, 6, v1
	v_lshlrev_b32_e32 v37, 2, v50
	v_or3_b32 v1, v1, v37, s4
	s_waitcnt lgkmcnt(3)
	v_mfma_f32_16x16x16_bf16 a[0:3], v[74:75], v[58:59], a[0:3]
	v_mov_b32_e32 v0, 0x3fb8aa3b
	v_mul_f32_e32 v0, s16, v0
	v_exp_f32_e32 v0, v0
	s_waitcnt lgkmcnt(2)
	v_mfma_f32_16x16x16_bf16 a[4:7], v[74:75], v[62:63], a[4:7]
	s_waitcnt lgkmcnt(1)
	v_mfma_f32_16x16x16_bf16 a[8:11], v[74:75], v[66:67], a[8:11]
	;; [unrolled: 2-line block ×3, first 2 shown]
	global_load_dwordx4 v[74:77], v1, s[0:1]
	v_add3_u32 v1, v57, v95, v79
	ds_read_b64 v[50:51], v1
	ds_read_b64 v[56:57], v34 offset:6144
	ds_read_b64 v[88:89], v35 offset:6144
	ds_read_b64 v[90:91], v36 offset:6144
	ds_read_b64 v[44:45], v44 offset:6144
	v_mfma_f32_16x16x16_bf16 a[0:3], v[42:43], v[60:61], a[0:3]
	s_waitcnt vmcnt(1)
	v_mul_f32_e32 v1, 0x3fb8aa3b, v52
	v_exp_f32_e32 v34, v1
	v_mul_f32_e32 v1, 0x3fb8aa3b, v53
	v_exp_f32_e32 v35, v1
	;; [unrolled: 2-line block ×4, first 2 shown]
	v_pk_mul_f32 v[34:35], v[0:1], v[34:35] op_sel_hi:[0,1]
	v_mfma_f32_16x16x16_bf16 a[4:7], v[42:43], v[64:65], a[4:7]
	v_add_u32_e32 v54, v95, v79
	v_pk_mul_f32 v[36:37], v[0:1], v[36:37] op_sel_hi:[0,1]
	v_add_u32_e32 v1, v92, v79
	v_mfma_f32_16x16x16_bf16 a[8:11], v[42:43], v[68:69], a[8:11]
	v_pk_mul_f32 v[22:23], v[22:23], v[34:35]
	v_pk_mul_f32 v[24:25], v[24:25], v[36:37]
	;; [unrolled: 1-line block ×3, first 2 shown]
	v_mfma_f32_16x16x16_bf16 a[12:15], v[42:43], v[72:73], a[12:15]
	ds_read_b64 v[42:43], v1 offset:40960
	v_add_u32_e32 v1, v93, v79
	ds_read_b64 v[52:53], v1 offset:40960
	ds_read_b64 v[54:55], v54 offset:40960
	s_waitcnt lgkmcnt(6)
	v_mfma_f32_16x16x16_bf16 a[0:3], v[50:51], v[56:57], a[0:3]
	v_pk_mul_f32 v[28:29], v[36:37], v[28:29]
	v_pk_mul_f32 v[30:31], v[34:35], v[30:31]
	;; [unrolled: 1-line block ×3, first 2 shown]
	s_waitcnt lgkmcnt(3)
	v_mfma_f32_16x16x16_bf16 a[12:15], v[50:51], v[44:45], a[12:15]
	v_mfma_f32_16x16x16_bf16 a[4:7], v[50:51], v[88:89], a[4:7]
	s_nop 0
	v_accvgpr_read_b32 v1, a0
	v_add_f32_e32 v22, v22, v1
	v_accvgpr_read_b32 v1, a1
	v_mfma_f32_16x16x16_bf16 a[8:11], v[50:51], v[90:91], a[8:11]
	s_nop 0
	v_accvgpr_read_b32 v51, a15
	v_accvgpr_read_b32 v50, a14
	v_add_f32_e32 v23, v23, v1
	s_waitcnt lgkmcnt(2)
	v_mfma_f32_16x16x16_bf16 a[14:17], v[42:43], v[38:39], 0
	v_accvgpr_read_b32 v1, a2
	ds_read_b64 v[38:39], v94 offset:40960
	v_add_f32_e32 v24, v24, v1
	v_accvgpr_read_b32 v1, a3
	v_add_f32_e32 v25, v25, v1
	v_accvgpr_read_b32 v1, a4
	;; [unrolled: 2-line block ×4, first 2 shown]
	v_mfma_f32_16x16x16_bf16 a[18:21], v[42:43], v[40:41], 0
	v_add_f32_e32 v28, v28, v1
	v_accvgpr_read_b32 v1, a7
	v_add_f32_e32 v29, v29, v1
	s_waitcnt lgkmcnt(2)
	v_mfma_f32_16x16x16_bf16 a[14:17], v[52:53], v[58:59], a[14:17]
	v_accvgpr_read_b32 v1, a8
	v_add_f32_e32 v30, v30, v1
	v_accvgpr_read_b32 v1, a9
	v_add_f32_e32 v31, v31, v1
	v_accvgpr_read_b32 v1, a10
	v_accvgpr_read_b32 v41, a13
	v_mfma_f32_16x16x16_bf16 a[22:25], v[42:43], v[46:47], 0
	v_add_f32_e32 v32, v32, v1
	v_accvgpr_read_b32 v1, a11
	v_accvgpr_read_b32 v40, a12
	v_mfma_f32_16x16x16_bf16 a[0:3], v[42:43], v[48:49], 0
	v_add_f32_e32 v33, v33, v1
	v_pk_fma_f32 v[6:7], v[34:35], v[6:7], v[40:41]
	v_pk_fma_f32 v[8:9], v[36:37], v[8:9], v[50:51]
	v_mfma_f32_16x16x16_bf16 a[4:7], v[52:53], v[62:63], a[18:21]
	s_waitcnt vmcnt(0)
	v_mov_b32_e32 v34, v75
	v_mul_f32_e32 v1, 0x3fb8aa3b, v74
	v_mov_b32_e32 v35, v76
	s_waitcnt lgkmcnt(0)
	v_mfma_f32_16x16x16_bf16 a[8:11], v[38:39], v[60:61], a[14:17]
	v_exp_f32_e32 v40, v1
	v_mul_f32_e32 v1, 0x3fb8aa3b, v34
	v_mov_b32_e32 v36, v77
	v_exp_f32_e32 v41, v1
	v_mul_f32_e32 v1, 0x3fb8aa3b, v35
	v_mfma_f32_16x16x16_bf16 a[18:21], v[52:53], v[66:67], a[22:25]
	v_exp_f32_e32 v34, v1
	v_mul_f32_e32 v1, 0x3fb8aa3b, v36
	v_exp_f32_e32 v35, v1
	v_mfma_f32_16x16x16_bf16 a[0:3], v[52:53], v[70:71], a[0:3]
	v_pk_mul_f32 v[36:37], v[0:1], v[40:41] op_sel_hi:[0,1]
	v_pk_mul_f32 v[10:11], v[10:11], v[36:37]
	v_pk_mul_f32 v[0:1], v[0:1], v[34:35] op_sel_hi:[0,1]
	v_mfma_f32_16x16x16_bf16 a[4:7], v[38:39], v[64:65], a[4:7]
	v_pk_mul_f32 v[12:13], v[12:13], v[0:1]
	v_pk_mul_f32 v[14:15], v[36:37], v[14:15]
	;; [unrolled: 1-line block ×3, first 2 shown]
	v_mfma_f32_16x16x16_bf16 a[8:11], v[54:55], v[56:57], a[8:11]
	v_pk_mul_f32 v[18:19], v[36:37], v[18:19]
	v_pk_mul_f32 v[20:21], v[0:1], v[20:21]
	v_mfma_f32_16x16x16_bf16 a[12:15], v[38:39], v[68:69], a[18:21]
	v_mfma_f32_16x16x16_bf16 a[0:3], v[38:39], v[72:73], a[0:3]
	s_nop 2
	v_accvgpr_read_b32 v38, a8
	v_add_f32_e32 v10, v10, v38
	v_accvgpr_read_b32 v38, a9
	v_mfma_f32_16x16x16_bf16 a[4:7], v[54:55], v[88:89], a[4:7]
	v_add_f32_e32 v11, v11, v38
	v_accvgpr_read_b32 v38, a10
	v_add_f32_e32 v12, v12, v38
	v_accvgpr_read_b32 v38, a11
	v_mfma_f32_16x16x16_bf16 a[12:15], v[54:55], v[90:91], a[12:15]
	v_add_f32_e32 v13, v13, v38
	s_nop 0
	v_accvgpr_read_b32 v38, a4
	v_add_f32_e32 v14, v14, v38
	v_accvgpr_read_b32 v38, a5
	v_add_f32_e32 v15, v15, v38
	;; [unrolled: 2-line block ×3, first 2 shown]
	v_accvgpr_read_b32 v38, a7
	v_mfma_f32_16x16x16_bf16 a[0:3], v[54:55], v[44:45], a[0:3]
	v_add_f32_e32 v17, v17, v38
	v_accvgpr_read_b32 v38, a12
	v_add_f32_e32 v18, v18, v38
	v_accvgpr_read_b32 v38, a13
	;; [unrolled: 2-line block ×5, first 2 shown]
	v_accvgpr_read_b32 v35, a3
	v_accvgpr_read_b32 v34, a2
	;; [unrolled: 1-line block ×3, first 2 shown]
	v_pk_fma_f32 v[2:3], v[36:37], v[2:3], v[38:39]
	v_pk_fma_f32 v[4:5], v[0:1], v[4:5], v[34:35]
.LBB201_99:
	s_add_u32 s0, s10, s34
	s_addc_u32 s1, s11, s35
	v_lshl_add_u64 v[0:1], v[80:81], 2, s[0:1]
	v_mov_b32_e32 v79, 0
	v_lshl_add_u64 v[0:1], v[0:1], 0, v[78:79]
	s_waitcnt vmcnt(7)
	global_store_dwordx4 v[0:1], v[22:25], off
	s_waitcnt vmcnt(7)
	global_store_dwordx4 v[0:1], v[10:13], off offset:256
	v_lshl_add_u64 v[0:1], v[82:83], 2, s[0:1]
	v_lshl_add_u64 v[0:1], v[0:1], 0, v[78:79]
	s_waitcnt vmcnt(7)
	global_store_dwordx4 v[0:1], v[26:29], off
	s_waitcnt vmcnt(7)
	global_store_dwordx4 v[0:1], v[14:17], off offset:256
	v_lshl_add_u64 v[0:1], v[86:87], 2, s[0:1]
	;; [unrolled: 6-line block ×3, first 2 shown]
	v_lshl_add_u64 v[0:1], v[0:1], 0, v[78:79]
	s_waitcnt vmcnt(7)
	global_store_dwordx4 v[0:1], v[6:9], off
	s_waitcnt vmcnt(7)
	global_store_dwordx4 v[0:1], v[2:5], off offset:256
	s_endpgm
	.section	.rodata,"a",@progbits
	.p2align	6, 0x0
	.amdhsa_kernel _ZN12_GLOBAL__N_139chunk_gated_delta_rule_fwd_h_hip_kernelILi64ELb1ELb1ELb1ELb0ELb0ELb1ELb1ELb0EEEvPK12hip_bfloat16S3_S3_PKfS5_PKvPS1_S8_PvPKiSB_iiiiilll
		.amdhsa_group_segment_fixed_size 65536
		.amdhsa_private_segment_fixed_size 0
		.amdhsa_kernarg_size 136
		.amdhsa_user_sgpr_count 2
		.amdhsa_user_sgpr_dispatch_ptr 0
		.amdhsa_user_sgpr_queue_ptr 0
		.amdhsa_user_sgpr_kernarg_segment_ptr 1
		.amdhsa_user_sgpr_dispatch_id 0
		.amdhsa_user_sgpr_kernarg_preload_length 0
		.amdhsa_user_sgpr_kernarg_preload_offset 0
		.amdhsa_user_sgpr_private_segment_size 0
		.amdhsa_uses_dynamic_stack 0
		.amdhsa_enable_private_segment 0
		.amdhsa_system_sgpr_workgroup_id_x 1
		.amdhsa_system_sgpr_workgroup_id_y 1
		.amdhsa_system_sgpr_workgroup_id_z 0
		.amdhsa_system_sgpr_workgroup_info 0
		.amdhsa_system_vgpr_workitem_id 0
		.amdhsa_next_free_vgpr 240
		.amdhsa_next_free_sgpr 75
		.amdhsa_accum_offset 200
		.amdhsa_reserve_vcc 1
		.amdhsa_float_round_mode_32 0
		.amdhsa_float_round_mode_16_64 0
		.amdhsa_float_denorm_mode_32 3
		.amdhsa_float_denorm_mode_16_64 3
		.amdhsa_dx10_clamp 1
		.amdhsa_ieee_mode 1
		.amdhsa_fp16_overflow 0
		.amdhsa_tg_split 0
		.amdhsa_exception_fp_ieee_invalid_op 0
		.amdhsa_exception_fp_denorm_src 0
		.amdhsa_exception_fp_ieee_div_zero 0
		.amdhsa_exception_fp_ieee_overflow 0
		.amdhsa_exception_fp_ieee_underflow 0
		.amdhsa_exception_fp_ieee_inexact 0
		.amdhsa_exception_int_div_zero 0
	.end_amdhsa_kernel
	.section	.text._ZN12_GLOBAL__N_139chunk_gated_delta_rule_fwd_h_hip_kernelILi64ELb1ELb1ELb1ELb0ELb0ELb1ELb1ELb0EEEvPK12hip_bfloat16S3_S3_PKfS5_PKvPS1_S8_PvPKiSB_iiiiilll,"axG",@progbits,_ZN12_GLOBAL__N_139chunk_gated_delta_rule_fwd_h_hip_kernelILi64ELb1ELb1ELb1ELb0ELb0ELb1ELb1ELb0EEEvPK12hip_bfloat16S3_S3_PKfS5_PKvPS1_S8_PvPKiSB_iiiiilll,comdat
.Lfunc_end201:
	.size	_ZN12_GLOBAL__N_139chunk_gated_delta_rule_fwd_h_hip_kernelILi64ELb1ELb1ELb1ELb0ELb0ELb1ELb1ELb0EEEvPK12hip_bfloat16S3_S3_PKfS5_PKvPS1_S8_PvPKiSB_iiiiilll, .Lfunc_end201-_ZN12_GLOBAL__N_139chunk_gated_delta_rule_fwd_h_hip_kernelILi64ELb1ELb1ELb1ELb0ELb0ELb1ELb1ELb0EEEvPK12hip_bfloat16S3_S3_PKfS5_PKvPS1_S8_PvPKiSB_iiiiilll
                                        ; -- End function
	.section	.AMDGPU.csdata,"",@progbits
; Kernel info:
; codeLenInByte = 13124
; NumSgprs: 81
; NumVgprs: 200
; NumAgprs: 40
; TotalNumVgprs: 240
; ScratchSize: 0
; MemoryBound: 0
; FloatMode: 240
; IeeeMode: 1
; LDSByteSize: 65536 bytes/workgroup (compile time only)
; SGPRBlocks: 10
; VGPRBlocks: 29
; NumSGPRsForWavesPerEU: 81
; NumVGPRsForWavesPerEU: 240
; AccumOffset: 200
; Occupancy: 1
; WaveLimiterHint : 1
; COMPUTE_PGM_RSRC2:SCRATCH_EN: 0
; COMPUTE_PGM_RSRC2:USER_SGPR: 2
; COMPUTE_PGM_RSRC2:TRAP_HANDLER: 0
; COMPUTE_PGM_RSRC2:TGID_X_EN: 1
; COMPUTE_PGM_RSRC2:TGID_Y_EN: 1
; COMPUTE_PGM_RSRC2:TGID_Z_EN: 0
; COMPUTE_PGM_RSRC2:TIDIG_COMP_CNT: 0
; COMPUTE_PGM_RSRC3_GFX90A:ACCUM_OFFSET: 49
; COMPUTE_PGM_RSRC3_GFX90A:TG_SPLIT: 0
	.section	.text._ZN12_GLOBAL__N_139chunk_gated_delta_rule_fwd_h_hip_kernelILi64ELb1ELb1ELb0ELb0ELb0ELb1ELb1ELb0EEEvPK12hip_bfloat16S3_S3_PKfS5_PKvPS1_S8_PvPKiSB_iiiiilll,"axG",@progbits,_ZN12_GLOBAL__N_139chunk_gated_delta_rule_fwd_h_hip_kernelILi64ELb1ELb1ELb0ELb0ELb0ELb1ELb1ELb0EEEvPK12hip_bfloat16S3_S3_PKfS5_PKvPS1_S8_PvPKiSB_iiiiilll,comdat
	.globl	_ZN12_GLOBAL__N_139chunk_gated_delta_rule_fwd_h_hip_kernelILi64ELb1ELb1ELb0ELb0ELb0ELb1ELb1ELb0EEEvPK12hip_bfloat16S3_S3_PKfS5_PKvPS1_S8_PvPKiSB_iiiiilll ; -- Begin function _ZN12_GLOBAL__N_139chunk_gated_delta_rule_fwd_h_hip_kernelILi64ELb1ELb1ELb0ELb0ELb0ELb1ELb1ELb0EEEvPK12hip_bfloat16S3_S3_PKfS5_PKvPS1_S8_PvPKiSB_iiiiilll
	.p2align	8
	.type	_ZN12_GLOBAL__N_139chunk_gated_delta_rule_fwd_h_hip_kernelILi64ELb1ELb1ELb0ELb0ELb0ELb1ELb1ELb0EEEvPK12hip_bfloat16S3_S3_PKfS5_PKvPS1_S8_PvPKiSB_iiiiilll,@function
_ZN12_GLOBAL__N_139chunk_gated_delta_rule_fwd_h_hip_kernelILi64ELb1ELb1ELb0ELb0ELb0ELb1ELb1ELb0EEEvPK12hip_bfloat16S3_S3_PKfS5_PKvPS1_S8_PvPKiSB_iiiiilll: ; @_ZN12_GLOBAL__N_139chunk_gated_delta_rule_fwd_h_hip_kernelILi64ELb1ELb1ELb0ELb0ELb0ELb1ELb1ELb0EEEvPK12hip_bfloat16S3_S3_PKfS5_PKvPS1_S8_PvPKiSB_iiiiilll
; %bb.0:
	s_load_dwordx4 s[12:15], s[0:1], 0x5c
	s_abs_i32 s6, s3
	s_ashr_i32 s5, s3, 31
	s_load_dwordx4 s[16:19], s[0:1], 0x20
	s_load_dwordx2 s[38:39], s[0:1], 0x30
	v_and_b32_e32 v97, 15, v0
	s_waitcnt lgkmcnt(0)
	s_abs_i32 s4, s13
	v_cvt_f32_u32_e32 v1, s4
	s_sub_i32 s8, 0, s4
	s_ashr_i32 s7, s13, 31
	s_xor_b32 s5, s5, s7
	v_rcp_iflag_f32_e32 v1, v1
	v_bfe_u32 v96, v0, 4, 2
	v_mov_b32_e32 v79, 0
	v_lshlrev_b32_e32 v98, 3, v0
	v_mul_f32_e32 v1, 0x4f7ffffe, v1
	v_cvt_u32_f32_e32 v1, v1
	s_nop 0
	v_readfirstlane_b32 s9, v1
	s_mul_i32 s8, s8, s9
	s_mul_hi_u32 s8, s9, s8
	s_add_i32 s9, s9, s8
	s_mul_hi_u32 s8, s6, s9
	s_mul_i32 s9, s8, s4
	s_sub_i32 s6, s6, s9
	s_add_i32 s10, s8, 1
	s_sub_i32 s9, s6, s4
	s_cmp_ge_u32 s6, s4
	s_cselect_b32 s8, s10, s8
	s_cselect_b32 s6, s9, s6
	s_add_i32 s9, s8, 1
	s_cmp_ge_u32 s6, s4
	s_cselect_b32 s6, s9, s8
	s_xor_b32 s6, s6, s5
	s_sub_i32 s56, s6, s5
	s_mul_i32 s6, s56, s13
	s_sub_i32 s33, s3, s6
	s_abs_i32 s3, s14
	v_cvt_f32_u32_e32 v1, s3
	s_add_i32 s8, s12, 63
	s_ashr_i32 s9, s8, 31
	s_lshr_b32 s5, s9, 26
	v_rcp_iflag_f32_e32 v1, v1
	s_ashr_i32 s55, s12, 31
	s_add_i32 s8, s8, s5
	s_lshr_b32 s5, s55, 26
	v_mul_f32_e32 v1, 0x4f7ffffe, v1
	v_cvt_u32_f32_e32 v1, v1
	s_add_i32 s5, s12, s5
	s_ashr_i32 s58, s14, 31
	s_ashr_i32 s24, s8, 6
	;; [unrolled: 1-line block ×3, first 2 shown]
	s_xor_b32 s5, s7, s58
	s_sub_i32 s7, 0, s3
	v_readfirstlane_b32 s8, v1
	s_mul_i32 s7, s7, s8
	s_mul_hi_u32 s7, s8, s7
	s_add_i32 s8, s8, s7
	s_mul_hi_u32 s7, s4, s8
	s_mul_i32 s8, s7, s3
	s_sub_i32 s4, s4, s8
	s_lshl_b32 s2, s2, 6
	s_add_i32 s8, s7, 1
	s_sub_i32 s9, s4, s3
	s_cmp_ge_u32 s4, s3
	s_cselect_b32 s7, s8, s7
	s_cselect_b32 s4, s9, s4
	s_add_i32 s8, s7, 1
	s_cmp_ge_u32 s4, s3
	s_cselect_b32 s3, s8, s7
	s_xor_b32 s3, s3, s5
	s_sub_i32 s3, s3, s5
	s_abs_i32 s4, s3
	v_cvt_f32_u32_e32 v1, s4
	s_sub_i32 s7, 0, s4
	s_abs_i32 s5, s33
	s_xor_b32 s3, s33, s3
	v_rcp_iflag_f32_e32 v2, v1
	s_ashr_i32 s3, s3, 31
	v_lshrrev_b32_e32 v1, 6, v0
	v_or_b32_e32 v88, s2, v97
	v_mul_f32_e32 v2, 0x4f7ffffe, v2
	v_cvt_u32_f32_e32 v2, v2
	v_lshlrev_b32_e32 v77, 4, v1
	v_lshlrev_b32_e32 v80, 7, v88
	v_lshl_or_b32 v100, v96, 2, v77
	v_readfirstlane_b32 s8, v2
	s_mul_i32 s7, s7, s8
	s_mul_hi_u32 s7, s8, s7
	s_add_i32 s8, s8, s7
	s_mul_hi_u32 s7, s5, s8
	s_mul_i32 s8, s7, s4
	s_sub_i32 s5, s5, s8
	s_add_i32 s8, s7, 1
	s_sub_i32 s9, s5, s4
	s_cmp_ge_u32 s5, s4
	s_cselect_b32 s7, s8, s7
	s_cselect_b32 s5, s9, s5
	s_add_i32 s8, s7, 1
	s_cmp_ge_u32 s5, s4
	s_cselect_b32 s4, s8, s7
	s_xor_b32 s4, s4, s3
	s_sub_i32 s59, s4, s3
	s_ashr_i32 s3, s56, 31
	s_ashr_i32 s48, s33, 31
	s_mul_hi_i32 s4, s56, s13
	s_add_u32 s40, s6, s33
	s_addc_u32 s41, s4, s48
	s_lshl_b64 s[28:29], s[40:41], 16
	s_add_u32 s4, s18, s28
	s_addc_u32 s5, s19, s29
	v_ashrrev_i32_e32 v81, 31, v80
	v_lshl_add_u64 v[2:3], v[80:81], 2, s[4:5]
	v_lshlrev_b32_e32 v78, 2, v100
	v_or_b32_e32 v82, 0x800, v80
	v_lshl_add_u64 v[2:3], v[2:3], 0, v[78:79]
	v_ashrrev_i32_e32 v83, 31, v82
	global_load_dwordx4 v[22:25], v[2:3], off
	global_load_dwordx4 v[10:13], v[2:3], off offset:256
	v_lshl_add_u64 v[2:3], v[82:83], 2, s[4:5]
	v_or_b32_e32 v86, 0x1000, v80
	v_lshl_add_u64 v[2:3], v[2:3], 0, v[78:79]
	v_ashrrev_i32_e32 v87, 31, v86
	global_load_dwordx4 v[26:29], v[2:3], off
	global_load_dwordx4 v[14:17], v[2:3], off offset:256
	v_lshl_add_u64 v[2:3], v[86:87], 2, s[4:5]
	v_or_b32_e32 v84, 0x1800, v80
	v_lshl_add_u64 v[2:3], v[2:3], 0, v[78:79]
	v_ashrrev_i32_e32 v85, 31, v84
	global_load_dwordx4 v[30:33], v[2:3], off
	global_load_dwordx4 v[18:21], v[2:3], off offset:256
	v_lshl_add_u64 v[2:3], v[84:85], 2, s[4:5]
	v_lshl_add_u64 v[34:35], v[2:3], 0, v[78:79]
	global_load_dwordx4 v[6:9], v[34:35], off
	global_load_dwordx4 v[2:5], v[34:35], off offset:256
	s_load_dwordx2 s[18:19], s[0:1], 0x40
	s_load_dwordx8 s[4:11], s[0:1], 0x0
	s_load_dwordx2 s[30:31], s[0:1], 0x80
	s_load_dwordx4 s[20:23], s[0:1], 0x70
	v_and_b32_e32 v79, 63, v0
	s_mul_i32 s49, s56, s12
	s_mul_i32 s60, s56, s24
	v_or_b32_e32 v101, 64, v100
	s_cmp_lt_i32 s12, 64
	v_lshrrev_b32_e32 v99, 3, v79
	s_mul_i32 s61, s41, s12
	s_mul_hi_u32 s62, s40, s12
	s_mul_i32 s42, s40, s12
	s_waitcnt lgkmcnt(0)
	s_mul_i32 s41, s56, s21
	s_mul_hi_u32 s51, s56, s20
	s_mul_i32 s50, s3, s20
	s_mul_i32 s36, s56, s20
	;; [unrolled: 1-line block ×3, first 2 shown]
	s_mul_hi_u32 s53, s33, s22
	s_mul_i32 s54, s48, s22
	s_mul_i32 s34, s33, s22
	s_cbranch_scc1 .LBB202_18
; %bb.1:
	s_add_i32 s43, s62, s61
	s_lshl_b64 s[0:1], s[42:43], 8
	v_and_b32_e32 v103, 56, v98
	s_add_u32 s20, s6, s0
	v_lshl_or_b32 v102, v1, 3, v99
	v_lshlrev_b32_e32 v34, 1, v103
	s_addc_u32 s0, s7, s1
	v_lshl_or_b32 v104, v102, 8, v34
	s_and_b32 s21, s0, 0xffff
	s_mov_b32 s23, 0x20000
	s_movk_i32 s22, 0x4000
	s_movk_i32 s0, 0x80
	v_or_b32_e32 v105, 0x2000, v104
	buffer_load_dwordx4 v[36:39], v104, s[20:23], 0 offen
	buffer_load_dwordx4 v[40:43], v104, s[20:23], s0 offen
	;; [unrolled: 1-line block ×4, first 2 shown]
	v_lshlrev_b32_e32 v35, 3, v102
	v_and_or_b32 v53, v0, 7, v35
	v_and_b32_e32 v35, 0x78, v35
	v_lshlrev_b32_e32 v53, 4, v53
	v_xor_b32_e32 v106, v53, v35
	v_mul_lo_u32 v52, v102, s15
	v_or_b32_e32 v107, 0x1000, v106
	v_xor_b32_e32 v35, 8, v106
	s_cmpk_eq_i32 s15, 0x80
	s_mov_b32 s63, s14
	v_xor_b32_e32 v53, 8, v107
	s_cselect_b64 s[0:1], -1, 0
	s_cmpk_lg_i32 s15, 0x80
	s_waitcnt vmcnt(3)
	ds_write_b64 v106, v[36:37] offset:49152
	ds_write_b64 v35, v[38:39] offset:49152
	s_waitcnt vmcnt(2)
	ds_write_b64 v106, v[40:41] offset:57344
	ds_write_b64 v35, v[42:43] offset:57344
	;; [unrolled: 3-line block ×4, first 2 shown]
	v_lshl_add_u32 v35, v52, 1, v103
	s_cbranch_scc0 .LBB202_3
; %bb.2:
	v_lshlrev_b32_e32 v37, 1, v35
	v_add_lshl_u32 v36, v35, s15, 1
	s_lshl_b32 s22, s15, 7
	v_lshl_or_b32 v34, v102, 9, v34
	s_cbranch_execz .LBB202_4
	s_branch .LBB202_5
.LBB202_3:
                                        ; implicit-def: $vgpr36
                                        ; implicit-def: $vgpr37
                                        ; implicit-def: $sgpr22
	v_lshl_or_b32 v34, v102, 9, v34
.LBB202_4:
	v_or_b32_e32 v36, 0x100, v34
	s_movk_i32 s22, 0x4000
	v_mov_b32_e32 v37, v34
.LBB202_5:
	s_mul_hi_u32 s20, s14, s12
	s_mul_i32 s21, s58, s12
	s_add_i32 s20, s20, s21
	s_mul_i32 s21, s14, s12
	s_mul_i32 s23, s21, s3
	s_mul_hi_u32 s24, s21, s56
	s_add_i32 s23, s24, s23
	s_mul_i32 s20, s20, s56
	s_add_i32 s23, s23, s20
	s_mul_i32 s21, s21, s56
	s_ashr_i32 s64, s59, 31
	s_add_u32 s20, s21, s59
	s_addc_u32 s21, s23, s64
	s_lshl_b64 s[20:21], s[20:21], 8
	s_add_u32 s20, s4, s20
	s_addc_u32 s21, s5, s21
	s_and_b32 s21, s21, 0xffff
	s_mov_b32 s23, 0x20000
	s_movk_i32 s65, 0x80
	buffer_load_dwordx4 v[38:41], v37, s[20:23], 0 offen
	buffer_load_dwordx4 v[42:45], v37, s[20:23], s65 offen
	;; [unrolled: 1-line block ×4, first 2 shown]
	v_and_b32_e32 v37, 6, v0
	v_lshlrev_b32_e32 v36, 7, v100
	v_xor_b32_e32 v58, v102, v37
	v_and_b32_e32 v54, 1, v0
	v_lshl_or_b32 v61, v97, 3, v36
	v_lshlrev_b32_e32 v58, 2, v58
	v_or_b32_e32 v108, 0x4000, v61
	v_or_b32_e32 v109, 0x6000, v61
	v_xor_b32_e32 v61, 0x440, v58
	v_cmp_eq_u32_e32 vcc, 0, v54
	v_lshlrev_b32_e32 v55, 2, v97
	v_or_b32_e32 v57, 16, v97
	v_cndmask_b32_e32 v54, v61, v58, vcc
	s_mov_b32 s67, 0x1000504
	v_xor_b32_e32 v59, v100, v55
	v_xor_b32_e32 v60, v101, v55
	v_lshl_or_b32 v62, v57, 3, v36
	v_lshl_or_b32 v37, v37, 10, v54
	s_mov_b32 s68, 0x3020706
	v_lshlrev_b32_e32 v56, 8, v97
	v_lshlrev_b32_e32 v59, 1, v59
	;; [unrolled: 1-line block ×3, first 2 shown]
	v_or_b32_e32 v110, 0x4000, v62
	v_or_b32_e32 v111, 0x6000, v62
	v_xor_b32_e32 v54, 8, v37
	v_xor_b32_e32 v58, 24, v37
	;; [unrolled: 1-line block ×4, first 2 shown]
	s_mul_i32 s3, s3, s12
	s_mul_hi_u32 s20, s56, s12
	v_or_b32_e32 v112, v56, v59
	v_or_b32_e32 v113, v56, v60
	v_xor_b32_e32 v56, 16, v37
	v_xor_b32_e32 v61, 32, v37
	;; [unrolled: 1-line block ×3, first 2 shown]
	v_add_u32_e32 v54, 0x80, v54
	v_add_u32_e32 v58, 0x80, v58
	;; [unrolled: 1-line block ×4, first 2 shown]
	s_add_i32 s69, s20, s3
	s_add_i32 s3, s51, s41
	;; [unrolled: 1-line block ×5, first 2 shown]
	s_lshl_b64 s[20:21], s[36:37], 2
	s_add_u32 s3, s10, s20
	s_addc_u32 s24, s11, s21
	s_lshl_b64 s[20:21], s[34:35], 2
	s_add_u32 s44, s3, s20
	s_movk_i32 s3, 0xf8
	s_addc_u32 s45, s24, s21
	s_lshl_b32 s26, s15, 7
	s_movk_i32 s24, 0x100
	v_mov_b32_e32 v91, 0
	v_lshlrev_b32_e32 v90, 4, v97
	v_ashrrev_i32_e32 v89, 31, v88
	s_mov_b32 s66, 0
	s_movk_i32 s22, 0x4000
	v_lshl_add_u64 v[92:93], v[88:89], 1, s[8:9]
	s_mov_b32 s35, 0x7060302
	s_movk_i32 s37, 0x2000
	s_movk_i32 s70, 0x3000
	v_mov_b32_e32 v153, 0x3fb8aa3b
	s_mov_b32 s72, 0
	s_waitcnt vmcnt(1)
	v_perm_b32 v65, v38, v46, s67
	s_waitcnt vmcnt(0)
	v_perm_b32 v66, v42, v50, s67
	v_perm_b32 v38, v38, v46, s68
	v_perm_b32 v42, v42, v50, s68
	v_perm_b32 v46, v39, v47, s67
	v_perm_b32 v50, v43, v51, s67
	v_perm_b32 v39, v39, v47, s68
	v_perm_b32 v43, v43, v51, s68
	v_perm_b32 v47, v40, v48, s67
	v_perm_b32 v51, v44, v52, s67
	v_perm_b32 v40, v40, v48, s68
	v_perm_b32 v44, v44, v52, s68
	v_perm_b32 v48, v41, v49, s67
	v_perm_b32 v52, v45, v53, s67
	v_perm_b32 v41, v41, v49, s68
	v_perm_b32 v45, v45, v53, s68
	ds_write2st64_b32 v37, v65, v66 offset0:128 offset1:160
	ds_write2st64_b32 v54, v38, v42 offset0:128 offset1:160
	;; [unrolled: 1-line block ×8, first 2 shown]
	v_lshlrev_b32_e32 v37, 8, v57
	v_or_b32_e32 v114, v37, v59
	v_or_b32_e32 v115, v37, v60
	;; [unrolled: 1-line block ×3, first 2 shown]
	v_lshl_or_b32 v38, v37, 3, v36
	v_lshlrev_b32_e32 v37, 8, v37
	v_or_b32_e32 v118, v37, v59
	v_or_b32_e32 v119, v37, v60
	;; [unrolled: 1-line block ×5, first 2 shown]
	v_lshl_or_b32 v38, v37, 3, v36
	v_lshlrev_b32_e32 v37, 8, v37
	v_or_b32_e32 v122, v37, v59
	v_or_b32_e32 v123, v37, v60
	;; [unrolled: 1-line block ×3, first 2 shown]
	v_lshlrev_b32_e32 v37, 3, v37
	v_lshrrev_b32_e32 v39, 5, v79
	v_and_or_b32 v39, v37, s3, v39
	v_lshlrev_b32_e32 v39, 4, v39
	v_or_b32_e32 v120, 0x4000, v38
	v_or_b32_e32 v121, 0x6000, v38
	v_lshrrev_b32_e32 v38, 2, v79
	v_lshlrev_b32_e32 v41, 11, v1
	v_and_b32_e32 v37, 0x78, v37
	v_or_b32_e32 v45, 32, v39
	v_and_b32_e32 v40, 12, v38
	v_and_b32_e32 v38, 0x1000, v41
	v_lshrrev_b32_e32 v43, 1, v79
	v_xor_b32_e32 v45, v45, v37
	v_xor_b32_e32 v42, v39, v37
	v_and_b32_e32 v43, 8, v43
	v_or_b32_e32 v45, v45, v38
	v_or_b32_e32 v42, v42, v38
	v_xor_b32_e32 v126, v45, v43
	v_or_b32_e32 v45, 64, v39
	v_or_b32_e32 v39, 0x60, v39
	v_xor_b32_e32 v124, v42, v43
	v_lshlrev_b32_e32 v42, 8, v96
	v_xor_b32_e32 v45, v45, v37
	v_xor_b32_e32 v37, v39, v37
	s_ashr_i32 s3, s2, 31
	v_or_b32_e32 v44, v42, v55
	v_or_b32_e32 v45, v45, v38
	;; [unrolled: 1-line block ×3, first 2 shown]
	s_lshl_b64 s[20:21], s[2:3], 8
	v_lshlrev_b32_e32 v47, 2, v0
	v_lshlrev_b32_e32 v44, 1, v44
	v_xor_b32_e32 v130, v45, v43
	v_xor_b32_e32 v131, v37, v43
	v_lshlrev_b32_e32 v37, 1, v35
	v_add_lshl_u32 v35, v35, s15, 1
	v_or_b32_e32 v43, 0x100, v34
	s_add_u32 s20, s38, s20
	v_lshlrev_b32_e32 v38, 1, v97
	v_lshrrev_b32_e32 v48, 1, v0
	v_and_or_b32 v42, v47, 60, v42
	v_or_b32_e32 v125, 0x4000, v44
	v_or_b32_e32 v127, 0x4080, v44
	;; [unrolled: 1-line block ×8, first 2 shown]
	v_lshrrev_b32_e32 v44, 4, v0
	s_addc_u32 s21, s39, s21
	v_or_b32_e32 v39, 1, v38
	v_and_b32_e32 v48, 24, v48
	v_lshlrev_b32_e32 v42, 1, v42
	v_cndmask_b32_e64 v142, v37, v34, s[0:1]
	v_cndmask_b32_e64 v143, v35, v43, s[0:1]
	v_mov_b32_e32 v35, 0xa000
	v_mov_b32_e32 v37, 0x8000
	v_cmp_gt_u32_e64 s[0:1], s24, v0
	v_xor_b32_e32 v45, v44, v38
	v_xor_b32_e32 v46, v39, v44
	v_lshl_add_u64 v[38:39], s[20:21], 0, v[90:91]
	v_lshlrev_b32_e32 v90, 8, v44
	v_or_b32_e32 v138, 0x6000, v42
	v_or_b32_e32 v47, 32, v48
	;; [unrolled: 1-line block ×6, first 2 shown]
	v_cndmask_b32_e64 v35, v35, v37, s[0:1]
	v_lshlrev_b32_e32 v37, 3, v1
	v_lshl_or_b32 v136, v45, 3, v90
	v_and_b32_e32 v45, 8, v0
	v_xor_b32_e32 v43, v37, v48
	v_xor_b32_e32 v47, v37, v47
	;; [unrolled: 1-line block ×3, first 2 shown]
	v_mov_b32_e32 v49, 0x400
	v_cmp_eq_u32_e32 vcc, 0, v45
	v_or_b32_e32 v48, 0x440, v43
	v_or_b32_e32 v50, 0x440, v47
	v_xor_b32_e32 v42, 0x440, v37
	v_and_b32_e32 v44, 7, v0
	v_cndmask_b32_e64 v45, v49, 64, vcc
	v_cndmask_b32_e32 v48, v48, v43, vcc
	v_cndmask_b32_e32 v47, v50, v47, vcc
	v_cndmask_b32_e32 v37, v42, v37, vcc
	v_lshl_or_b32 v137, v46, 3, v90
	v_lshlrev_b32_e32 v46, 3, v44
	v_or_b32_e32 v48, v48, v41
	v_or_b32_e32 v47, v47, v41
	v_or3_b32 v43, v41, v45, v43
	v_or_b32_e32 v37, v37, v41
	v_lshlrev_b32_e32 v44, 7, v44
	v_xor_b32_e32 v48, v48, v46
	v_xor_b32_e32 v47, v47, v46
	;; [unrolled: 1-line block ×4, first 2 shown]
	v_or_b32_e32 v34, v77, v40
	v_add_u32_e32 v49, v35, v48
	v_add_u32_e32 v50, v35, v47
	v_or_b32_e32 v144, v43, v44
	v_add_u32_e32 v41, v35, v37
	v_or3_b32 v40, v77, v40, 64
	v_add_u32_e32 v42, 0xa000, v48
	v_add_u32_e32 v43, 0xa000, v47
	;; [unrolled: 1-line block ×3, first 2 shown]
	v_lshl_add_u64 v[94:95], v[38:39], 0, v[90:91]
	s_add_i32 s3, s49, 63
	v_lshlrev_b32_e32 v90, 1, v36
	v_lshlrev_b32_e32 v89, 2, v34
	v_add_u32_e32 v145, v49, v44
	v_add_u32_e32 v146, v50, v44
	;; [unrolled: 1-line block ×4, first 2 shown]
	v_lshlrev_b32_e32 v149, 2, v40
	v_add_u32_e32 v150, v42, v44
	v_add_u32_e32 v151, v43, v44
	v_add_u32_e32 v152, v37, v44
	s_waitcnt lgkmcnt(0)
	s_barrier
.LBB202_6:                              ; =>This Inner Loop Header: Depth=1
	s_add_i32 s71, s72, 1
	s_cmp_lt_i32 s71, s57
	s_mov_b64 s[24:25], 0
	s_cselect_b64 s[46:47], -1, 0
	s_cmp_ge_i32 s71, s57
	s_mov_b64 s[20:21], 0
	s_cbranch_scc1 .LBB202_8
; %bb.7:                                ;   in Loop: Header=BB202_6 Depth=1
	s_add_i32 s0, s66, 64
	s_add_u32 s0, s42, s0
	s_addc_u32 s1, s43, 0
	s_lshl_b64 s[0:1], s[0:1], 8
	s_add_u32 s20, s6, s0
	s_addc_u32 s21, s7, s1
.LBB202_8:                              ;   in Loop: Header=BB202_6 Depth=1
	v_cndmask_b32_e64 v34, 0, 1, s[46:47]
	v_cmp_ne_u32_e64 s[0:1], 1, v34
	s_andn2_b64 vcc, exec, s[46:47]
	s_cbranch_vccnz .LBB202_10
; %bb.9:                                ;   in Loop: Header=BB202_6 Depth=1
	s_add_i32 s24, s66, 64
	s_add_u32 s24, s49, s24
	s_addc_u32 s25, s69, 0
	s_mul_i32 s27, s24, s58
	s_mul_hi_u32 s46, s24, s63
	s_add_i32 s27, s46, s27
	s_mul_i32 s25, s25, s63
	s_add_i32 s27, s27, s25
	s_mul_i32 s24, s24, s63
	s_add_u32 s24, s24, s59
	s_addc_u32 s25, s27, s64
	s_lshl_b64 s[24:25], s[24:25], 8
	s_add_u32 s24, s4, s24
	s_addc_u32 s25, s5, s25
.LBB202_10:                             ;   in Loop: Header=BB202_6 Depth=1
	v_perm_b32 v35, v25, v24, s35
	v_perm_b32 v34, v23, v22, s35
	v_perm_b32 v37, v13, v12, s35
	v_perm_b32 v36, v11, v10, s35
	ds_write_b64 v108, v[34:35]
	ds_write_b64 v109, v[36:37]
	ds_write_b64 v112, v[34:35]
	ds_write_b64 v113, v[36:37]
	v_perm_b32 v35, v29, v28, s35
	v_perm_b32 v34, v27, v26, s35
	v_perm_b32 v37, v17, v16, s35
	v_perm_b32 v36, v15, v14, s35
	ds_write_b64 v110, v[34:35]
	ds_write_b64 v111, v[36:37]
	ds_write_b64 v114, v[34:35]
	ds_write_b64 v115, v[36:37]
	;; [unrolled: 8-line block ×4, first 2 shown]
	s_waitcnt lgkmcnt(0)
	s_barrier
	ds_read_b64 v[38:39], v124 offset:49152
	ds_read2_b64 v[34:37], v125 offset1:16
	ds_read_b64 v[50:51], v127 offset:6144
	ds_read_b64 v[52:53], v125 offset:6144
	s_waitcnt lgkmcnt(2)
	v_mfma_f32_16x16x16_bf16 a[0:3], v[38:39], v[34:35], 0
	ds_read_b64 v[54:55], v126 offset:49152
	ds_read2st64_b64 v[42:45], v128 offset0:4 offset1:8
	ds_read2st64_b64 v[46:49], v129 offset0:4 offset1:8
	v_mfma_f32_16x16x16_bf16 a[4:7], v[38:39], v[36:37], 0
	ds_read2_b64 v[34:37], v125 offset0:32 offset1:48
	s_add_i32 s27, s66, 63
	s_mul_i32 s46, s27, s31
	s_waitcnt lgkmcnt(0)
	v_mfma_f32_16x16x16_bf16 a[8:11], v[38:39], v[34:35], 0
	s_mul_hi_u32 s47, s27, s30
	s_add_i32 s47, s47, s46
	s_mul_i32 s46, s27, s30
	v_mfma_f32_16x16x16_bf16 a[12:15], v[38:39], v[36:37], 0
	ds_read2st64_b64 v[34:37], v125 offset0:4 offset1:8
	ds_read2st64_b64 v[38:41], v127 offset0:4 offset1:8
	s_lshl_b64 s[46:47], s[46:47], 2
	s_waitcnt lgkmcnt(1)
	v_mfma_f32_16x16x16_bf16 a[0:3], v[54:55], v[34:35], a[0:3]
	s_add_u32 s46, s44, s46
	s_addc_u32 s47, s45, s47
	s_and_b64 vcc, exec, s[0:1]
	s_waitcnt lgkmcnt(0)
	v_mfma_f32_16x16x16_bf16 a[4:7], v[54:55], v[38:39], a[4:7]
	v_mov_b32_e32 v156, 0
	v_mov_b32_e32 v155, 0
	;; [unrolled: 1-line block ×3, first 2 shown]
	v_mfma_f32_16x16x16_bf16 a[8:11], v[54:55], v[42:43], a[8:11]
	ds_read_b64 v[34:35], v130 offset:49152
	ds_read_b64 v[38:39], v131 offset:49152
	;; [unrolled: 1-line block ×3, first 2 shown]
	v_mfma_f32_16x16x16_bf16 a[12:15], v[54:55], v[46:47], a[12:15]
	v_mov_b32_e32 v46, 0
	v_mov_b32_e32 v47, 0
	s_waitcnt lgkmcnt(2)
	v_mfma_f32_16x16x16_bf16 a[0:3], v[34:35], v[36:37], a[0:3]
	v_mov_b32_e32 v36, 0
	v_mov_b32_e32 v37, 0
	v_mfma_f32_16x16x16_bf16 a[16:19], v[34:35], v[40:41], a[4:7]
	v_mov_b32_e32 v40, 0
	v_mov_b32_e32 v41, 0
	;; [unrolled: 3-line block ×3, first 2 shown]
	v_mfma_f32_16x16x16_bf16 a[24:27], v[34:35], v[48:49], a[12:15]
	ds_read_b64 v[34:35], v128 offset:6144
	v_mov_b32_e32 v48, 0
	v_mov_b32_e32 v49, 0
	s_waitcnt lgkmcnt(2)
	v_mfma_f32_16x16x16_bf16 a[4:7], v[38:39], v[52:53], a[0:3]
	v_mfma_f32_16x16x16_bf16 a[8:11], v[38:39], v[50:51], a[16:19]
	s_waitcnt lgkmcnt(0)
	v_mfma_f32_16x16x16_bf16 a[12:15], v[38:39], v[34:35], a[20:23]
	v_mov_b32_e32 v34, 0
	v_mov_b32_e32 v35, 0
	v_mfma_f32_16x16x16_bf16 a[0:3], v[38:39], v[42:43], a[24:27]
	v_mov_b32_e32 v38, 0
	v_mov_b32_e32 v39, 0
	v_mov_b32_e32 v42, 0
	v_mov_b32_e32 v43, 0
	s_cbranch_vccnz .LBB202_12
; %bb.11:                               ;   in Loop: Header=BB202_6 Depth=1
	s_and_b32 s21, s21, 0xffff
	buffer_load_dwordx4 v[46:49], v104, s[20:23], 0 offen
	buffer_load_dwordx4 v[42:45], v104, s[20:23], s65 offen
	;; [unrolled: 1-line block ×4, first 2 shown]
	v_mov_b32_e32 v155, v106
	v_mov_b32_e32 v154, v107
.LBB202_12:                             ;   in Loop: Header=BB202_6 Depth=1
	ds_read_b64 v[66:67], v124 offset:57344
	ds_read2_b64 v[50:53], v132 offset1:16
	ds_read_b64 v[68:69], v126 offset:57344
	ds_read_b64 v[70:71], v130 offset:57344
	ds_read_b64 v[72:73], v131 offset:57344
	v_add_u32_e32 v74, s66, v100
	s_waitcnt lgkmcnt(3)
	v_mfma_f32_16x16x16_bf16 a[4:7], v[66:67], v[50:51], a[4:7]
	v_mfma_f32_16x16x16_bf16 a[8:11], v[66:67], v[52:53], a[8:11]
	ds_read2_b64 v[50:53], v132 offset0:32 offset1:48
	ds_read2st64_b64 v[54:57], v132 offset0:4 offset1:8
	ds_read2st64_b64 v[58:61], v133 offset0:4 offset1:8
	;; [unrolled: 1-line block ×3, first 2 shown]
	s_waitcnt lgkmcnt(3)
	v_mfma_f32_16x16x16_bf16 a[12:15], v[66:67], v[50:51], a[12:15]
	v_ashrrev_i32_e32 v50, 31, v74
	v_mfma_f32_16x16x16_bf16 a[0:3], v[66:67], v[52:53], a[0:3]
	v_mul_lo_u32 v52, v50, s30
	v_mul_lo_u32 v53, v74, s31
	v_mad_u64_u32 v[50:51], s[20:21], v74, s30, 0
	v_add3_u32 v51, v51, v53, v52
	v_add_u32_e32 v52, 1, v74
	v_ashrrev_i32_e32 v53, 31, v52
	s_waitcnt lgkmcnt(2)
	v_mfma_f32_16x16x16_bf16 a[4:7], v[68:69], v[54:55], a[4:7]
	v_mul_lo_u32 v54, v53, s30
	v_mul_lo_u32 v55, v52, s31
	v_mad_u64_u32 v[52:53], s[20:21], v52, s30, 0
	v_add3_u32 v53, v53, v55, v54
	v_add_u32_e32 v54, 2, v74
	v_ashrrev_i32_e32 v55, 31, v54
	s_waitcnt lgkmcnt(1)
	v_mfma_f32_16x16x16_bf16 a[8:11], v[68:69], v[58:59], a[8:11]
	v_mul_lo_u32 v58, v55, s30
	v_mul_lo_u32 v59, v54, s31
	v_mad_u64_u32 v[54:55], s[20:21], v54, s30, 0
	v_lshl_add_u64 v[50:51], v[50:51], 2, s[44:45]
	v_add3_u32 v55, v55, v59, v58
	v_add_u32_e32 v58, 3, v74
	v_ashrrev_i32_e32 v59, 31, v58
	global_load_dword v67, v[50:51], off
	v_mad_u64_u32 v[50:51], s[20:21], v58, s30, 0
	v_mul_lo_u32 v59, v59, s30
	v_mul_lo_u32 v66, v58, s31
	s_add_u32 s20, s42, s66
	v_add3_u32 v51, v51, v66, v59
	s_addc_u32 s21, s43, 0
	v_lshl_add_u64 v[52:53], v[52:53], 2, s[44:45]
	v_lshl_add_u64 v[54:55], v[54:55], 2, s[44:45]
	;; [unrolled: 1-line block ×3, first 2 shown]
	s_lshl_b64 s[20:21], s[20:21], 8
	global_load_dword v66, v[52:53], off
	global_load_dword v74, v[54:55], off
	;; [unrolled: 1-line block ×3, first 2 shown]
	v_lshl_add_u64 v[50:51], v[92:93], 0, s[20:21]
	v_lshl_add_u64 v[54:55], v[50:51], 0, v[90:91]
	global_load_ushort v76, v[54:55], off offset:256
	global_load_ushort v157, v[54:55], off
	ds_read2st64_b64 v[50:53], v135 offset0:4 offset1:8
	global_load_ushort v158, v[54:55], off offset:768
	global_load_ushort v159, v[54:55], off offset:512
	s_waitcnt lgkmcnt(1)
	v_mfma_f32_16x16x16_bf16 a[12:15], v[68:69], v[62:63], a[12:15]
	s_and_b64 vcc, exec, s[0:1]
	s_waitcnt vmcnt(3)
	v_lshlrev_b32_e32 v63, 16, v76
	s_waitcnt lgkmcnt(0)
	v_mfma_f32_16x16x16_bf16 a[0:3], v[68:69], v[50:51], a[0:3]
	global_load_ushort v68, v[54:55], off offset:288
	global_load_ushort v69, v[54:55], off offset:32
	;; [unrolled: 1-line block ×8, first 2 shown]
	v_mfma_f32_16x16x16_bf16 a[4:7], v[70:71], v[56:57], a[4:7]
	ds_read_b64 v[50:51], v132 offset:6144
	s_waitcnt vmcnt(10)
	v_lshlrev_b32_e32 v62, 16, v157
	v_mov_b32_e32 v157, 0
	v_mfma_f32_16x16x16_bf16 a[8:11], v[70:71], v[60:61], a[8:11]
	v_mfma_f32_16x16x16_bf16 a[12:15], v[70:71], v[64:65], a[12:15]
	;; [unrolled: 1-line block ×3, first 2 shown]
	global_load_ushort v70, v[54:55], off offset:352
	global_load_ushort v71, v[54:55], off offset:96
	ds_read_b64 v[52:53], v133 offset:6144
	ds_read_b64 v[56:57], v134 offset:6144
	;; [unrolled: 1-line block ×3, first 2 shown]
	global_load_ushort v166, v[54:55], off offset:864
	global_load_ushort v167, v[54:55], off offset:608
	s_load_dword s20, s[46:47], 0x0
	s_waitcnt lgkmcnt(0)
	v_mfma_f32_16x16x16_bf16 a[4:7], v[72:73], v[50:51], a[4:7]
	v_sub_f32_e32 v60, s20, v74
	v_mfma_f32_16x16x16_bf16 a[0:3], v[72:73], v[58:59], a[0:3]
	v_sub_f32_e32 v58, s20, v67
	v_sub_f32_e32 v59, s20, v66
	;; [unrolled: 1-line block ×3, first 2 shown]
	v_mul_f32_e32 v58, 0x3fb8aa3b, v58
	v_mul_f32_e32 v59, 0x3fb8aa3b, v59
	;; [unrolled: 1-line block ×4, first 2 shown]
	v_mfma_f32_16x16x16_bf16 a[8:11], v[72:73], v[52:53], a[8:11]
	v_exp_f32_e32 v58, v58
	v_exp_f32_e32 v59, v59
	;; [unrolled: 1-line block ×4, first 2 shown]
	v_accvgpr_read_b32 v65, a5
	v_accvgpr_read_b32 v64, a4
	;; [unrolled: 1-line block ×4, first 2 shown]
	v_pk_add_f32 v[62:63], v[62:63], v[64:65] neg_lo:[0,1] neg_hi:[0,1]
	s_waitcnt vmcnt(13)
	v_lshlrev_b32_e32 v65, 16, v158
	s_waitcnt vmcnt(12)
	v_lshlrev_b32_e32 v64, 16, v159
	v_pk_add_f32 v[50:51], v[64:65], v[50:51] neg_lo:[0,1] neg_hi:[0,1]
	v_pk_mul_f32 v[62:63], v[58:59], v[62:63]
	v_pk_mul_f32 v[50:51], v[60:61], v[50:51]
	v_accvgpr_read_b32 v65, a9
	v_perm_b32 v51, v51, v50, s35
	v_perm_b32 v50, v63, v62, s35
	v_accvgpr_read_b32 v64, a8
	v_accvgpr_read_b32 v53, a11
	v_mfma_f32_16x16x16_bf16 a[12:15], v[72:73], v[56:57], a[12:15]
	v_accvgpr_read_b32 v52, a10
	v_accvgpr_read_b32 v57, a3
	;; [unrolled: 1-line block ×3, first 2 shown]
	s_waitcnt vmcnt(11)
	v_lshlrev_b32_e32 v63, 16, v68
	s_waitcnt vmcnt(10)
	v_lshlrev_b32_e32 v62, 16, v69
	v_pk_add_f32 v[62:63], v[62:63], v[64:65] neg_lo:[0,1] neg_hi:[0,1]
	s_waitcnt vmcnt(9)
	v_lshlrev_b32_e32 v65, 16, v160
	s_waitcnt vmcnt(8)
	v_lshlrev_b32_e32 v64, 16, v161
	v_pk_add_f32 v[52:53], v[64:65], v[52:53] neg_lo:[0,1] neg_hi:[0,1]
	v_pk_mul_f32 v[62:63], v[58:59], v[62:63]
	v_pk_mul_f32 v[52:53], v[60:61], v[52:53]
	v_accvgpr_read_b32 v55, a15
	v_perm_b32 v53, v53, v52, s35
	v_perm_b32 v52, v63, v62, s35
	ds_write2_b64 v109, v[50:51], v[52:53] offset1:16
	v_accvgpr_read_b32 v53, a13
	s_waitcnt vmcnt(7)
	v_lshlrev_b32_e32 v51, 16, v162
	s_waitcnt vmcnt(6)
	v_lshlrev_b32_e32 v50, 16, v163
	v_accvgpr_read_b32 v52, a12
	v_accvgpr_read_b32 v54, a14
	v_pk_add_f32 v[50:51], v[50:51], v[52:53] neg_lo:[0,1] neg_hi:[0,1]
	s_waitcnt vmcnt(5)
	v_lshlrev_b32_e32 v53, 16, v164
	s_waitcnt vmcnt(4)
	v_lshlrev_b32_e32 v52, 16, v165
	v_pk_add_f32 v[52:53], v[52:53], v[54:55] neg_lo:[0,1] neg_hi:[0,1]
	v_pk_mul_f32 v[50:51], v[58:59], v[50:51]
	v_pk_mul_f32 v[52:53], v[60:61], v[52:53]
	v_accvgpr_read_b32 v55, a1
	v_perm_b32 v53, v53, v52, s35
	v_perm_b32 v52, v51, v50, s35
	s_waitcnt vmcnt(3)
	v_lshlrev_b32_e32 v51, 16, v70
	s_waitcnt vmcnt(2)
	v_lshlrev_b32_e32 v50, 16, v71
	v_accvgpr_read_b32 v54, a0
	v_pk_add_f32 v[50:51], v[50:51], v[54:55] neg_lo:[0,1] neg_hi:[0,1]
	s_waitcnt vmcnt(1)
	v_lshlrev_b32_e32 v55, 16, v166
	s_waitcnt vmcnt(0)
	v_lshlrev_b32_e32 v54, 16, v167
	v_pk_add_f32 v[54:55], v[54:55], v[56:57] neg_lo:[0,1] neg_hi:[0,1]
	v_pk_mul_f32 v[50:51], v[58:59], v[50:51]
	v_pk_mul_f32 v[54:55], v[60:61], v[54:55]
	v_mov_b32_e32 v56, 0
	v_perm_b32 v55, v55, v54, s35
	v_perm_b32 v54, v51, v50, s35
	ds_write2_b64 v109, v[52:53], v[54:55] offset0:32 offset1:48
	v_mov_b32_e32 v50, 0
	v_mov_b32_e32 v51, 0
	;; [unrolled: 1-line block ×15, first 2 shown]
	s_cbranch_vccnz .LBB202_14
; %bb.13:                               ;   in Loop: Header=BB202_6 Depth=1
	s_and_b32 s25, s25, 0xffff
	s_mov_b32 s27, s23
	buffer_load_dwordx4 v[62:65], v142, s[24:27], 0 offen
	buffer_load_dwordx4 v[54:57], v142, s[24:27], s65 offen
	;; [unrolled: 1-line block ×4, first 2 shown]
	v_mov_b32_e32 v156, v103
	v_mov_b32_e32 v157, v102
.LBB202_14:                             ;   in Loop: Header=BB202_6 Depth=1
	s_waitcnt lgkmcnt(0)
	s_barrier
	ds_read_b64 v[74:75], v145
	ds_read2_b64 v[66:69], v138 offset1:16
	ds_read_b64 v[174:175], v146
	ds_read_b64 v[176:177], v147
	;; [unrolled: 1-line block ×3, first 2 shown]
	ds_read2_b64 v[70:73], v138 offset0:32 offset1:48
	ds_read2st64_b64 v[158:161], v138 offset0:4 offset1:8
	ds_read2st64_b64 v[162:165], v139 offset0:4 offset1:8
	;; [unrolled: 1-line block ×4, first 2 shown]
	s_waitcnt lgkmcnt(8)
	v_mfma_f32_16x16x16_bf16 a[0:3], v[74:75], v[66:67], 0
	s_add_i32 s21, s60, s72
	s_mul_hi_i32 s25, s21, s13
	s_mul_i32 s21, s21, s13
	v_mfma_f32_16x16x16_bf16 a[4:7], v[74:75], v[68:69], 0
	s_add_u32 s24, s21, s33
	s_addc_u32 s25, s25, s48
	s_add_i32 s21, s3, s66
	s_waitcnt lgkmcnt(4)
	v_mfma_f32_16x16x16_bf16 a[8:11], v[74:75], v[70:71], 0
	s_lshl_b64 s[24:25], s[24:25], 15
	s_mul_hi_i32 s27, s21, s13
	s_mul_i32 s21, s21, s13
	v_mfma_f32_16x16x16_bf16 a[12:15], v[74:75], v[72:73], 0
	ds_read_b64 v[74:75], v138 offset:6144
	ds_read_b64 v[186:187], v139 offset:6144
	;; [unrolled: 1-line block ×4, first 2 shown]
	s_add_u32 s46, s21, s33
	s_waitcnt lgkmcnt(7)
	v_mfma_f32_16x16x16_bf16 a[0:3], v[174:175], v[158:159], a[0:3]
	s_addc_u32 s47, s27, s48
	s_lshl_b64 s[46:47], s[46:47], 9
	s_add_u32 s46, s16, s46
	s_waitcnt lgkmcnt(6)
	v_mfma_f32_16x16x16_bf16 a[4:7], v[174:175], v[162:163], a[4:7]
	s_addc_u32 s47, s17, s47
	v_lshl_add_u64 v[196:197], v[94:95], 0, s[24:25]
	s_waitcnt lgkmcnt(5)
	v_mfma_f32_16x16x16_bf16 a[8:11], v[174:175], v[166:167], a[8:11]
	s_waitcnt lgkmcnt(4)
	v_mfma_f32_16x16x16_bf16 a[12:15], v[174:175], v[170:171], a[12:15]
	ds_read_b64 v[174:175], v150
	ds_read_b64 v[184:185], v151
	;; [unrolled: 1-line block ×3, first 2 shown]
	s_waitcnt lgkmcnt(2)
	v_mfma_f32_16x16x16_bf16 a[16:19], v[174:175], v[66:67], 0
	v_mfma_f32_16x16x16_bf16 a[20:23], v[174:175], v[68:69], 0
	global_load_dwordx4 v[66:69], v149, s[46:47]
	v_mfma_f32_16x16x16_bf16 a[24:27], v[174:175], v[70:71], 0
	v_mfma_f32_16x16x16_bf16 a[28:31], v[174:175], v[72:73], 0
	global_load_dwordx4 v[70:73], v89, s[46:47]
	v_mfma_f32_16x16x16_bf16 a[0:3], v[176:177], v[160:161], a[0:3]
	v_mfma_f32_16x16x16_bf16 a[4:7], v[176:177], v[164:165], a[4:7]
	;; [unrolled: 1-line block ×8, first 2 shown]
	ds_read2st64_b64 v[174:177], v136 offset1:8
	ds_read2st64_b64 v[178:181], v137 offset1:8
	ds_read_b64 v[194:195], v144 offset:40960
	s_waitcnt lgkmcnt(2)
	v_mov_b32_e32 v182, v174
	v_mfma_f32_16x16x16_bf16 a[16:19], v[184:185], v[158:159], a[16:19]
	v_mov_b32_e32 v183, v175
	v_mfma_f32_16x16x16_bf16 a[20:23], v[184:185], v[162:163], a[20:23]
	v_mfma_f32_16x16x16_bf16 a[24:27], v[184:185], v[166:167], a[24:27]
	;; [unrolled: 1-line block ×3, first 2 shown]
	v_add_co_u32_e32 v170, vcc, s37, v196
	s_waitcnt lgkmcnt(1)
	v_mov_b32_e32 v184, v178
	s_waitcnt lgkmcnt(0)
	v_mfma_f32_16x16x16_bf16 a[16:19], v[194:195], v[160:161], a[16:19]
	ds_read2st64_b64 v[158:161], v136 offset0:16 offset1:24
	v_addc_co_u32_e32 v171, vcc, 0, v197, vcc
	v_mfma_f32_16x16x16_bf16 a[20:23], v[194:195], v[164:165], a[20:23]
	ds_read2st64_b64 v[162:165], v137 offset0:16 offset1:24
	v_mov_b32_e32 v185, v179
	v_mov_b32_e32 v178, v176
	v_mfma_f32_16x16x16_bf16 a[32:35], v[194:195], v[168:169], a[24:27]
	v_mov_b32_e32 v179, v177
	s_waitcnt lgkmcnt(0)
	v_mov_b32_e32 v168, v162
	v_mov_b32_e32 v169, v163
	v_mfma_f32_16x16x16_bf16 a[36:39], v[194:195], v[172:173], a[28:31]
	v_mov_b32_e32 v162, v160
	v_mov_b32_e32 v163, v161
	;; [unrolled: 1-line block ×3, first 2 shown]
	v_mfma_f32_16x16x16_bf16 a[24:27], v[192:193], v[74:75], a[16:19]
	v_add_co_u32_e32 v74, vcc, s70, v196
	v_mov_b32_e32 v167, v159
	v_mfma_f32_16x16x16_bf16 a[28:31], v[192:193], v[186:187], a[20:23]
	v_addc_co_u32_e32 v75, vcc, 0, v197, vcc
	global_store_dwordx4 v[74:75], v[162:165], off
	v_mfma_f32_16x16x16_bf16 a[16:19], v[192:193], v[188:189], a[32:35]
	s_waitcnt vmcnt(2)
	v_mov_b32_e32 v76, v69
	v_mov_b32_e32 v75, v68
	;; [unrolled: 1-line block ×3, first 2 shown]
	v_mfma_f32_16x16x16_bf16 a[20:23], v[192:193], v[190:191], a[36:39]
	s_and_b64 vcc, exec, s[0:1]
	global_store_dwordx4 v[196:197], v[182:185], off
	global_store_dwordx4 v[170:171], v[178:181], off offset:-4096
	global_store_dwordx4 v[170:171], v[166:169], off
	s_cbranch_vccnz .LBB202_16
; %bb.15:                               ;   in Loop: Header=BB202_6 Depth=1
	v_lshrrev_b32_e32 v67, 3, v156
	v_and_b32_e32 v67, 6, v67
	v_xor_b32_e32 v68, v67, v157
	v_lshlrev_b32_e32 v68, 2, v68
	v_and_b32_e32 v69, 8, v156
	v_xor_b32_e32 v156, 0x440, v68
	v_cmp_eq_u32_e32 vcc, 0, v69
	v_perm_b32 v69, v54, v50, s67
	s_nop 0
	v_cndmask_b32_e32 v68, v156, v68, vcc
	v_lshl_or_b32 v67, v67, 10, v68
	v_perm_b32 v68, v62, v58, s67
	s_barrier
	ds_write2st64_b32 v67, v68, v69 offset0:128 offset1:160
	v_xor_b32_e32 v68, 8, v67
	v_perm_b32 v58, v62, v58, s68
	v_perm_b32 v50, v54, v50, s68
	v_add_u32_e32 v54, 0x80, v68
	ds_write2st64_b32 v54, v58, v50 offset0:128 offset1:160
	v_xor_b32_e32 v50, 16, v67
	v_perm_b32 v54, v63, v59, s67
	v_perm_b32 v58, v55, v51, s67
	ds_write2st64_b32 v50, v54, v58 offset0:129 offset1:161
	v_xor_b32_e32 v50, 24, v67
	v_perm_b32 v54, v63, v59, s68
	v_perm_b32 v51, v55, v51, s68
	v_add_u32_e32 v50, 0x80, v50
	ds_write2st64_b32 v50, v54, v51 offset0:129 offset1:161
	v_xor_b32_e32 v50, 32, v67
	v_perm_b32 v51, v64, v60, s67
	v_perm_b32 v54, v56, v52, s67
	;; [unrolled: 9-line block ×3, first 2 shown]
	ds_write2st64_b32 v50, v51, v52 offset0:131 offset1:163
	v_xor_b32_e32 v50, 56, v67
	v_perm_b32 v51, v65, v61, s68
	v_perm_b32 v52, v57, v53, s68
	v_add_u32_e32 v50, 0x80, v50
	ds_write2st64_b32 v50, v51, v52 offset0:131 offset1:163
	ds_write_b64 v155, v[46:47] offset:49152
	v_xor_b32_e32 v46, 8, v155
	ds_write_b64 v46, v[48:49] offset:49152
	ds_write_b64 v155, v[42:43] offset:57344
	;; [unrolled: 1-line block ×4, first 2 shown]
	v_xor_b32_e32 v38, 8, v154
	ds_write_b64 v38, v[40:41] offset:49152
	ds_write_b64 v154, v[34:35] offset:57344
	;; [unrolled: 1-line block ×3, first 2 shown]
.LBB202_16:                             ;   in Loop: Header=BB202_6 Depth=1
	v_mul_f32_e32 v58, s20, v153
	v_exp_f32_e32 v68, v58
	s_waitcnt vmcnt(4)
	v_mul_f32_e32 v58, 0x3fb8aa3b, v70
	v_exp_f32_e32 v70, v58
	v_mul_f32_e32 v58, 0x3fb8aa3b, v71
	v_exp_f32_e32 v71, v58
	;; [unrolled: 2-line block ×4, first 2 shown]
	v_accvgpr_read_b32 v37, a3
	v_accvgpr_read_b32 v36, a2
	;; [unrolled: 1-line block ×4, first 2 shown]
	v_pk_mul_f32 v[70:71], v[68:69], v[70:71] op_sel_hi:[0,1]
	v_pk_mul_f32 v[72:73], v[68:69], v[72:73] op_sel_hi:[0,1]
	v_pk_fma_f32 v[22:23], v[22:23], v[70:71], v[34:35]
	v_pk_fma_f32 v[24:25], v[24:25], v[72:73], v[36:37]
	v_mul_f32_e32 v34, 0x3fb8aa3b, v66
	v_mul_f32_e32 v35, 0x3fb8aa3b, v74
	;; [unrolled: 1-line block ×4, first 2 shown]
	v_exp_f32_e32 v34, v34
	v_exp_f32_e32 v35, v35
	;; [unrolled: 1-line block ×4, first 2 shown]
	v_accvgpr_read_b32 v41, a7
	v_accvgpr_read_b32 v45, a11
	v_accvgpr_read_b32 v49, a15
	v_accvgpr_read_b32 v53, a27
	v_accvgpr_read_b32 v57, a31
	v_accvgpr_read_b32 v61, a19
	v_accvgpr_read_b32 v65, a23
	v_accvgpr_read_b32 v40, a6
	v_accvgpr_read_b32 v39, a5
	v_accvgpr_read_b32 v38, a4
	v_accvgpr_read_b32 v44, a10
	v_accvgpr_read_b32 v43, a9
	v_accvgpr_read_b32 v42, a8
	v_accvgpr_read_b32 v48, a14
	v_accvgpr_read_b32 v47, a13
	v_accvgpr_read_b32 v46, a12
	v_accvgpr_read_b32 v52, a26
	v_accvgpr_read_b32 v51, a25
	v_accvgpr_read_b32 v50, a24
	v_accvgpr_read_b32 v56, a30
	v_accvgpr_read_b32 v55, a29
	v_accvgpr_read_b32 v54, a28
	v_accvgpr_read_b32 v60, a18
	v_accvgpr_read_b32 v59, a17
	v_accvgpr_read_b32 v58, a16
	v_accvgpr_read_b32 v64, a22
	v_accvgpr_read_b32 v63, a21
	v_accvgpr_read_b32 v62, a20
	v_pk_mul_f32 v[34:35], v[68:69], v[34:35] op_sel_hi:[0,1]
	v_pk_mul_f32 v[36:37], v[68:69], v[36:37] op_sel_hi:[0,1]
	s_add_i32 s66, s66, 64
	v_pk_fma_f32 v[26:27], v[70:71], v[26:27], v[38:39]
	v_pk_fma_f32 v[28:29], v[72:73], v[28:29], v[40:41]
	;; [unrolled: 1-line block ×13, first 2 shown]
	s_cmp_eq_u32 s57, s71
	v_pk_fma_f32 v[4:5], v[36:37], v[4:5], v[64:65]
	s_cbranch_scc1 .LBB202_18
; %bb.17:                               ;   in Loop: Header=BB202_6 Depth=1
	s_mov_b32 s72, s71
	s_branch .LBB202_6
.LBB202_18:
	s_lshl_b32 s43, s57, 6
	s_sub_i32 s46, s12, s43
	s_cmp_gt_i32 s46, 0
	s_cbranch_scc0 .LBB202_99
; %bb.19:
	s_ashr_i32 s3, s43, 31
	s_cmpk_lg_i32 s15, 0x80
	s_cselect_b64 s[26:27], -1, 0
	s_and_b64 vcc, exec, s[26:27]
	s_cbranch_vccz .LBB202_21
; %bb.20:
	s_mul_hi_i32 s0, s56, s12
	s_add_u32 s1, s49, s43
	s_addc_u32 s0, s0, s3
	s_mul_i32 s20, s1, s58
	s_mul_hi_u32 s21, s1, s14
	s_add_i32 s20, s21, s20
	s_mul_i32 s0, s0, s14
	s_add_i32 s20, s20, s0
	s_mul_i32 s1, s1, s14
	s_ashr_i32 s0, s59, 31
	s_add_u32 s44, s1, s59
	s_addc_u32 s45, s20, s0
	s_cbranch_execz .LBB202_22
	s_branch .LBB202_23
.LBB202_21:
                                        ; implicit-def: $sgpr44_sgpr45
.LBB202_22:
	s_mul_hi_i32 s0, s56, s14
	s_mul_i32 s56, s56, s14
	s_ashr_i32 s1, s59, 31
	s_add_u32 s14, s56, s59
	s_addc_u32 s0, s0, s1
	s_mul_i32 s1, s14, s55
	s_mul_hi_u32 s20, s14, s12
	s_add_i32 s1, s20, s1
	s_mul_i32 s0, s0, s12
	s_add_i32 s1, s1, s0
	s_mul_i32 s14, s14, s12
	s_add_u32 s44, s14, s43
	s_addc_u32 s45, s1, s3
.LBB202_23:
	s_mul_i32 s0, s40, s55
	s_add_i32 s0, s62, s0
	s_add_i32 s14, s60, s57
	;; [unrolled: 1-line block ×3, first 2 shown]
	s_add_u32 s0, s42, s43
	v_lshlrev_b32_e32 v38, 6, v100
	v_lshlrev_b32_e32 v57, 2, v97
	s_addc_u32 s1, s1, s3
	s_mov_b32 s3, 0x7060302
	v_or_b32_e32 v41, v38, v57
	v_xor_b32_e32 v39, v100, v57
	s_waitcnt vmcnt(7)
	v_perm_b32 v35, v25, v24, s3
	v_perm_b32 v34, v23, v22, s3
	s_waitcnt vmcnt(6)
	v_perm_b32 v37, v13, v12, s3
	v_perm_b32 v36, v11, v10, s3
	v_lshlrev_b32_e32 v41, 1, v41
	v_xor_b32_e32 v40, v101, v57
	ds_write2st64_b64 v41, v[34:35], v[36:37] offset0:32 offset1:48
	v_lshlrev_b32_e32 v39, 1, v39
	v_lshlrev_b32_e32 v41, 8, v97
	v_or_b32_e32 v42, v39, v41
	v_lshlrev_b32_e32 v40, 1, v40
	ds_write_b64 v42, v[34:35]
	v_or_b32_e32 v34, v40, v41
	v_or_b32_e32 v41, 16, v97
	v_lshlrev_b32_e32 v55, 2, v41
	v_or_b32_e32 v42, v38, v55
	ds_write_b64 v34, v[36:37]
	s_waitcnt vmcnt(5)
	v_perm_b32 v35, v29, v28, s3
	v_perm_b32 v34, v27, v26, s3
	s_waitcnt vmcnt(4)
	v_perm_b32 v37, v17, v16, s3
	v_perm_b32 v36, v15, v14, s3
	v_lshlrev_b32_e32 v42, 1, v42
	v_lshlrev_b32_e32 v41, 8, v41
	ds_write2st64_b64 v42, v[34:35], v[36:37] offset0:32 offset1:48
	v_or_b32_e32 v42, v39, v41
	ds_write_b64 v42, v[34:35]
	v_or_b32_e32 v34, v40, v41
	v_or_b32_e32 v41, 32, v97
	v_lshlrev_b32_e32 v54, 2, v41
	v_or_b32_e32 v42, v38, v54
	ds_write_b64 v34, v[36:37]
	s_waitcnt vmcnt(3)
	v_perm_b32 v35, v33, v32, s3
	v_perm_b32 v34, v31, v30, s3
	s_waitcnt vmcnt(2)
	v_perm_b32 v37, v21, v20, s3
	v_perm_b32 v36, v19, v18, s3
	v_lshlrev_b32_e32 v42, 1, v42
	v_lshlrev_b32_e32 v41, 8, v41
	s_lshl_b64 s[24:25], s[0:1], 8
	ds_write2st64_b64 v42, v[34:35], v[36:37] offset0:32 offset1:48
	v_or_b32_e32 v42, v39, v41
	s_add_u32 s0, s6, s24
	ds_write_b64 v42, v[34:35]
	v_or_b32_e32 v34, v40, v41
	s_addc_u32 s1, s7, s25
	ds_write_b64 v34, v[36:37]
	s_waitcnt vmcnt(1)
	v_perm_b32 v35, v9, v8, s3
	v_perm_b32 v34, v7, v6, s3
	s_waitcnt vmcnt(0)
	v_perm_b32 v37, v5, v4, s3
	v_perm_b32 v36, v3, v2, s3
	v_or_b32_e32 v41, 48, v97
	s_mul_hi_i32 s3, s14, s13
	s_mul_i32 s14, s14, s13
	v_lshlrev_b32_e32 v51, 2, v41
	s_add_u32 s6, s14, s33
	v_or_b32_e32 v38, v38, v51
	s_addc_u32 s7, s3, s48
	v_lshlrev_b32_e32 v38, 1, v38
	s_ashr_i32 s3, s2, 31
	s_lshl_b64 s[6:7], s[6:7], 15
	ds_write2st64_b64 v38, v[34:35], v[36:37] offset0:32 offset1:48
	v_lshlrev_b32_e32 v38, 8, v41
	s_add_u32 s6, s38, s6
	v_or_b32_e32 v39, v39, v38
	s_addc_u32 s7, s39, s7
	s_lshl_b64 s[2:3], s[2:3], 8
	ds_write_b64 v39, v[34:35]
	v_or_b32_e32 v34, v40, v38
	s_add_u32 s2, s6, s2
	v_lshlrev_b32_e32 v35, 1, v97
	ds_write_b64 v34, v[36:37]
	v_lshrrev_b32_e32 v34, 4, v0
	s_addc_u32 s3, s7, s3
	v_or_b32_e32 v36, 1, v35
	v_lshlrev_b32_e32 v42, 4, v97
	v_mov_b32_e32 v43, 0
	v_xor_b32_e32 v35, v34, v35
	v_xor_b32_e32 v38, v36, v34
	v_lshl_add_u64 v[44:45], s[2:3], 0, v[42:43]
	v_lshlrev_b32_e32 v42, 8, v34
	v_lshl_or_b32 v48, v35, 3, v42
	v_lshl_or_b32 v49, v38, 3, v42
	s_waitcnt lgkmcnt(0)
	s_barrier
	ds_read2st64_b64 v[34:37], v48 offset1:8
	ds_read2st64_b64 v[38:41], v49 offset1:8
	v_lshl_add_u64 v[46:47], v[44:45], 0, v[42:43]
	s_movk_i32 s2, 0x2000
	s_cmp_lg_u32 s46, 64
	s_waitcnt lgkmcnt(1)
	v_mov_b32_e32 v42, v34
	v_mov_b32_e32 v43, v35
	s_waitcnt lgkmcnt(0)
	v_mov_b32_e32 v44, v38
	v_mov_b32_e32 v45, v39
	global_store_dwordx4 v[46:47], v[42:45], off
	v_mov_b32_e32 v38, v36
	v_mov_b32_e32 v39, v37
	ds_read2st64_b64 v[34:37], v48 offset0:16 offset1:24
	ds_read2st64_b64 v[42:45], v49 offset0:16 offset1:24
	v_add_co_u32_e32 v48, vcc, s2, v46
	s_cselect_b64 s[6:7], -1, 0
	s_nop 0
	v_addc_co_u32_e32 v49, vcc, 0, v47, vcc
	global_store_dwordx4 v[48:49], v[38:41], off offset:-4096
	v_lshl_or_b32 v62, v1, 3, v99
	s_mov_b32 s20, 0
	s_waitcnt lgkmcnt(1)
	v_mov_b32_e32 v38, v34
	v_add_co_u32_e32 v34, vcc, 0x3000, v46
	v_mov_b32_e32 v39, v35
	s_nop 0
	v_addc_co_u32_e32 v35, vcc, 0, v47, vcc
	s_waitcnt lgkmcnt(0)
	v_mov_b32_e32 v40, v42
	v_mov_b32_e32 v41, v43
	;; [unrolled: 1-line block ×4, first 2 shown]
	v_or_b32_e32 v52, 32, v62
	v_and_b32_e32 v50, 56, v98
	s_and_b64 vcc, exec, s[6:7]
	global_store_dwordx4 v[48:49], v[38:41], off
	global_store_dwordx4 v[34:35], v[42:45], off
	s_cbranch_vccz .LBB202_29
; %bb.24:
	s_mov_b32 s22, s20
	s_mov_b32 s23, s20
	;; [unrolled: 1-line block ×3, first 2 shown]
	v_mov_b64_e32 v[40:41], s[22:23]
	v_mov_b64_e32 v[38:39], s[20:21]
	;; [unrolled: 1-line block ×3, first 2 shown]
	v_cmp_gt_i32_e32 vcc, s46, v62
	v_mov_b64_e32 v[36:37], v[40:41]
	s_and_saveexec_b64 s[2:3], vcc
	s_cbranch_execz .LBB202_26
; %bb.25:
	v_lshlrev_b32_e32 v34, 8, v62
	v_mov_b32_e32 v35, 0
	v_lshl_add_u64 v[36:37], s[0:1], 0, v[34:35]
	v_lshlrev_b32_e32 v34, 1, v50
	v_lshl_add_u64 v[42:43], v[36:37], 0, v[34:35]
	global_load_dwordx4 v[38:41], v[42:43], off
	global_load_dwordx4 v[34:37], v[42:43], off offset:128
.LBB202_26:
	s_or_b64 exec, exec, s[2:3]
	s_mov_b32 s22, s20
	s_mov_b32 s23, s20
	;; [unrolled: 1-line block ×3, first 2 shown]
	v_mov_b64_e32 v[48:49], s[22:23]
	v_mov_b64_e32 v[46:47], s[20:21]
	;; [unrolled: 1-line block ×3, first 2 shown]
	v_cmp_gt_i32_e32 vcc, s46, v52
	v_lshlrev_b32_e32 v53, 7, v52
	v_mov_b64_e32 v[44:45], v[48:49]
	s_and_saveexec_b64 s[2:3], vcc
	s_cbranch_execz .LBB202_28
; %bb.27:
	v_lshlrev_b32_e32 v42, 1, v53
	v_mov_b32_e32 v43, 0
	v_lshl_add_u64 v[44:45], s[0:1], 0, v[42:43]
	v_lshlrev_b32_e32 v42, 1, v50
	v_lshl_add_u64 v[58:59], v[44:45], 0, v[42:43]
	global_load_dwordx4 v[46:49], v[58:59], off
	global_load_dwordx4 v[42:45], v[58:59], off offset:128
.LBB202_28:
	s_or_b64 exec, exec, s[2:3]
	v_lshrrev_b32_e32 v56, 3, v50
	v_lshlrev_b32_e32 v58, 3, v62
	v_or_b32_e32 v56, v58, v56
	v_lshlrev_b32_e32 v56, 4, v56
	v_and_b32_e32 v58, 0x78, v58
	v_xor_b32_e32 v56, v56, v58
	s_branch .LBB202_31
.LBB202_29:
                                        ; implicit-def: $vgpr56
                                        ; implicit-def: $vgpr53
                                        ; implicit-def: $vgpr38_vgpr39_vgpr40_vgpr41
                                        ; implicit-def: $vgpr34_vgpr35_vgpr36_vgpr37
                                        ; implicit-def: $vgpr46_vgpr47_vgpr48_vgpr49
                                        ; implicit-def: $vgpr42_vgpr43_vgpr44_vgpr45
	s_cbranch_execz .LBB202_31
; %bb.30:
	s_waitcnt vmcnt(0)
	v_lshlrev_b32_e32 v34, 1, v50
	v_lshl_or_b32 v53, v62, 8, v34
	s_and_b32 s1, s1, 0xffff
	s_mov_b32 s3, 0x20000
	s_movk_i32 s2, 0x4000
	v_lshl_or_b32 v56, v52, 8, v34
	s_movk_i32 s14, 0x80
	buffer_load_dwordx4 v[38:41], v53, s[0:3], 0 offen
	buffer_load_dwordx4 v[34:37], v53, s[0:3], s14 offen
	;; [unrolled: 1-line block ×4, first 2 shown]
	v_lshrrev_b32_e32 v53, 3, v50
	v_lshlrev_b32_e32 v56, 3, v62
	v_or_b32_e32 v53, v56, v53
	v_lshlrev_b32_e32 v53, 4, v53
	v_and_b32_e32 v56, 0x78, v56
	v_xor_b32_e32 v56, v53, v56
	v_lshlrev_b32_e32 v53, 7, v52
.LBB202_31:
	s_movk_i32 s0, 0x1000
	v_and_or_b32 v52, v53, s0, v56
	s_waitcnt vmcnt(1)
	ds_write_b64 v56, v[38:39] offset:49152
	v_xor_b32_e32 v38, 8, v56
	ds_write_b64 v38, v[40:41] offset:49152
	s_waitcnt vmcnt(0)
	ds_write_b64 v56, v[34:35] offset:57344
	ds_write_b64 v38, v[36:37] offset:57344
	;; [unrolled: 1-line block ×3, first 2 shown]
	v_xor_b32_e32 v34, 8, v52
	ds_write_b64 v34, v[48:49] offset:49152
	ds_write_b64 v52, v[42:43] offset:57344
	;; [unrolled: 1-line block ×3, first 2 shown]
	v_or_b32_e32 v34, v77, v97
	v_lshlrev_b32_e32 v34, 3, v34
	v_lshrrev_b32_e32 v35, 5, v79
	s_movk_i32 s0, 0xf8
	v_and_or_b32 v35, v34, s0, v35
	v_lshlrev_b32_e32 v39, 4, v35
	v_lshlrev_b32_e32 v56, 11, v1
	v_and_b32_e32 v40, 0x78, v34
	v_or_b32_e32 v42, 32, v39
	v_and_b32_e32 v38, 0x1000, v56
	v_lshrrev_b32_e32 v35, 1, v79
	v_xor_b32_e32 v42, v42, v40
	v_xor_b32_e32 v34, v39, v40
	v_and_b32_e32 v41, 8, v35
	v_or_b32_e32 v42, v42, v38
	v_or_b32_e32 v34, v34, v38
	v_xor_b32_e32 v64, v42, v41
	v_or_b32_e32 v42, 64, v39
	v_xor_b32_e32 v63, v34, v41
	v_xor_b32_e32 v42, v42, v40
	s_waitcnt lgkmcnt(0)
	s_barrier
	v_or_b32_e32 v45, v42, v38
	ds_read_b64 v[42:43], v63 offset:49152
	v_lshl_or_b32 v46, v96, 8, v57
	v_lshlrev_b32_e32 v58, 1, v46
	v_add_u32_e32 v44, 0x4000, v58
	ds_read2_b64 v[34:37], v44 offset1:16
	v_or_b32_e32 v39, 0x60, v39
	v_xor_b32_e32 v39, v39, v40
	v_or_b32_e32 v38, v39, v38
	v_xor_b32_e32 v65, v45, v41
	v_xor_b32_e32 v66, v38, v41
	ds_read_b64 v[52:53], v64 offset:49152
	ds_read_b64 v[68:69], v65 offset:49152
	;; [unrolled: 1-line block ×3, first 2 shown]
	s_waitcnt lgkmcnt(3)
	v_mfma_f32_16x16x16_bf16 a[0:3], v[42:43], v[34:35], 0
	ds_read2st64_b64 v[38:41], v58 offset0:36 offset1:40
	s_lshl_b64 s[0:1], s[44:45], 8
	s_add_u32 s4, s4, s0
	v_mfma_f32_16x16x16_bf16 a[4:7], v[42:43], v[36:37], 0
	ds_read2_b64 v[34:37], v44 offset0:32 offset1:48
	s_addc_u32 s5, s5, s1
	s_add_i32 s0, s51, s41
	s_waitcnt lgkmcnt(0)
	v_mfma_f32_16x16x16_bf16 a[8:11], v[42:43], v[34:35], 0
	v_or_b32_e32 v34, 64, v46
	v_lshlrev_b32_e32 v59, 1, v34
	s_add_i32 s14, s12, -1
	v_mfma_f32_16x16x16_bf16 a[12:15], v[42:43], v[36:37], 0
	ds_read2st64_b64 v[34:37], v59 offset0:36 offset1:40
	s_add_i32 s37, s0, s50
	s_add_i32 s0, s53, s52
	v_mfma_f32_16x16x16_bf16 a[0:3], v[52:53], v[38:39], a[0:3]
	v_or_b32_e32 v38, 0x80, v46
	v_lshlrev_b32_e32 v60, 1, v38
	ds_read2st64_b64 v[42:45], v60 offset0:36 offset1:40
	s_waitcnt lgkmcnt(1)
	v_mfma_f32_16x16x16_bf16 a[4:7], v[52:53], v[34:35], a[4:7]
	v_or_b32_e32 v34, 0xc0, v46
	v_lshlrev_b32_e32 v61, 1, v34
	ds_read2st64_b64 v[46:49], v61 offset0:36 offset1:40
	s_add_i32 s35, s0, s54
	s_ashr_i32 s0, s14, 31
	s_mul_i32 s1, s14, s31
	s_mul_hi_u32 s2, s14, s30
	s_add_i32 s1, s2, s1
	s_mul_i32 s0, s0, s30
	s_waitcnt lgkmcnt(1)
	v_mfma_f32_16x16x16_bf16 a[8:11], v[52:53], v[42:43], a[8:11]
	s_add_i32 s1, s1, s0
	s_lshl_b64 s[2:3], s[36:37], 2
	s_add_u32 s10, s10, s2
	s_waitcnt lgkmcnt(0)
	v_mfma_f32_16x16x16_bf16 a[12:15], v[52:53], v[46:47], a[12:15]
	s_addc_u32 s11, s11, s3
	s_lshl_b64 s[2:3], s[34:35], 2
	s_mul_i32 s0, s14, s30
	v_mfma_f32_16x16x16_bf16 a[0:3], v[68:69], v[40:41], a[0:3]
	ds_read_b64 v[34:35], v58 offset:22528
	s_add_u32 s10, s10, s2
	s_addc_u32 s11, s11, s3
	v_mfma_f32_16x16x16_bf16 a[4:7], v[68:69], v[36:37], a[4:7]
	ds_read_b64 v[36:37], v59 offset:22528
	ds_read_b64 v[38:39], v60 offset:22528
	;; [unrolled: 1-line block ×3, first 2 shown]
	s_lshl_b64 s[0:1], s[0:1], 2
	s_add_u32 s0, s10, s0
	v_mfma_f32_16x16x16_bf16 a[8:11], v[68:69], v[44:45], a[8:11]
	s_addc_u32 s1, s11, s1
	s_load_dword s12, s[0:1], 0x0
	s_and_b64 vcc, exec, s[26:27]
	v_mfma_f32_16x16x16_bf16 a[12:15], v[68:69], v[48:49], a[12:15]
	s_waitcnt lgkmcnt(0)
	v_mfma_f32_16x16x16_bf16 a[0:3], v[70:71], v[34:35], a[0:3]
	v_mfma_f32_16x16x16_bf16 a[4:7], v[70:71], v[36:37], a[4:7]
	;; [unrolled: 1-line block ×4, first 2 shown]
	s_cbranch_vccz .LBB202_42
; %bb.32:
	v_lshlrev_b32_e32 v52, 1, v62
	s_and_b64 vcc, exec, s[6:7]
	s_cbranch_vccz .LBB202_43
; %bb.33:
	v_cmp_gt_i32_e32 vcc, s46, v52
	v_mov_b32_e32 v38, 0
	v_mov_b32_e32 v34, 0
	;; [unrolled: 1-line block ×5, first 2 shown]
	s_and_saveexec_b64 s[0:1], vcc
	s_cbranch_execz .LBB202_35
; %bb.34:
	v_mad_i64_i32 v[34:35], s[2:3], s15, v52, 0
	v_lshl_add_u64 v[34:35], v[34:35], 1, s[4:5]
	v_lshlrev_b32_e32 v36, 1, v50
	v_mov_b32_e32 v37, 0
	v_lshl_add_u64 v[34:35], v[34:35], 0, v[36:37]
	global_load_dwordx4 v[34:37], v[34:35], off
.LBB202_35:
	s_or_b64 exec, exec, s[0:1]
	v_or_b32_e32 v53, 1, v52
	v_cmp_gt_i32_e64 s[0:1], s46, v53
	v_mov_b32_e32 v39, 0
	v_mov_b32_e32 v40, 0
	;; [unrolled: 1-line block ×3, first 2 shown]
	s_and_saveexec_b64 s[2:3], s[0:1]
	s_cbranch_execz .LBB202_37
; %bb.36:
	v_mad_i64_i32 v[38:39], s[20:21], s15, v53, 0
	v_lshl_add_u64 v[38:39], v[38:39], 1, s[4:5]
	v_lshlrev_b32_e32 v40, 1, v50
	v_mov_b32_e32 v41, 0
	v_lshl_add_u64 v[38:39], v[38:39], 0, v[40:41]
	global_load_dwordx4 v[38:41], v[38:39], off
.LBB202_37:
	s_or_b64 exec, exec, s[2:3]
	v_mov_b32_e32 v49, 0
	v_mov_b32_e32 v42, 0
	;; [unrolled: 1-line block ×5, first 2 shown]
	s_and_saveexec_b64 s[2:3], vcc
	s_cbranch_execz .LBB202_39
; %bb.38:
	v_mad_i64_i32 v[42:43], s[20:21], s15, v52, 0
	v_lshl_add_u64 v[42:43], v[42:43], 1, s[4:5]
	v_lshlrev_b32_e32 v44, 1, v50
	v_mov_b32_e32 v45, 0
	v_lshl_add_u64 v[42:43], v[42:43], 0, v[44:45]
	global_load_dwordx4 v[42:45], v[42:43], off offset:128
.LBB202_39:
	s_or_b64 exec, exec, s[2:3]
	v_mov_b32_e32 v48, 0
	v_mov_b32_e32 v47, 0
	;; [unrolled: 1-line block ×3, first 2 shown]
	s_and_saveexec_b64 s[2:3], s[0:1]
	s_cbranch_execz .LBB202_41
; %bb.40:
	v_mad_i64_i32 v[46:47], s[0:1], s15, v53, 0
	v_lshl_add_u64 v[46:47], v[46:47], 1, s[4:5]
	v_lshlrev_b32_e32 v48, 1, v50
	v_mov_b32_e32 v49, 0
	v_lshl_add_u64 v[46:47], v[46:47], 0, v[48:49]
	global_load_dwordx4 v[46:49], v[46:47], off offset:128
.LBB202_41:
	s_or_b64 exec, exec, s[2:3]
	s_branch .LBB202_45
.LBB202_42:
                                        ; implicit-def: $vgpr37
                                        ; implicit-def: $vgpr41
                                        ; implicit-def: $vgpr45
                                        ; implicit-def: $vgpr49
	v_lshrrev_b32_e32 v67, 2, v79
	s_branch .LBB202_46
.LBB202_43:
                                        ; implicit-def: $vgpr37
                                        ; implicit-def: $vgpr41
                                        ; implicit-def: $vgpr45
                                        ; implicit-def: $vgpr49
	s_cbranch_execz .LBB202_45
; %bb.44:
	s_waitcnt vmcnt(0)
	v_mad_u64_u32 v[34:35], s[0:1], v52, s15, v[50:51]
	v_lshlrev_b32_e32 v52, 1, v34
	s_lshl_b32 s2, s15, 7
	s_and_b32 s1, s5, 0xffff
	s_mov_b32 s3, 0x20000
	s_mov_b32 s0, s4
	v_add_lshl_u32 v53, v34, s15, 1
	s_movk_i32 s15, 0x80
	buffer_load_dwordx4 v[34:37], v52, s[0:3], 0 offen
	buffer_load_dwordx4 v[42:45], v52, s[0:3], s15 offen
	;; [unrolled: 1-line block ×4, first 2 shown]
.LBB202_45:
	v_lshrrev_b32_e32 v67, 2, v79
	s_cbranch_execnz .LBB202_58
.LBB202_46:
	s_and_b64 vcc, exec, s[6:7]
	s_cbranch_vccz .LBB202_56
; %bb.47:
	s_waitcnt vmcnt(0)
	v_lshlrev_b32_e32 v39, 1, v62
	v_cmp_gt_i32_e32 vcc, s46, v39
	v_mov_b32_e32 v38, 0
	v_lshlrev_b32_e32 v46, 9, v62
	v_mov_b32_e32 v34, 0
	v_mov_b32_e32 v35, 0
	;; [unrolled: 1-line block ×4, first 2 shown]
	s_and_saveexec_b64 s[0:1], vcc
	s_cbranch_execz .LBB202_49
; %bb.48:
	v_mov_b32_e32 v47, 0
	v_lshl_add_u64 v[34:35], s[4:5], 0, v[46:47]
	v_lshlrev_b32_e32 v36, 1, v50
	v_mov_b32_e32 v37, v47
	v_lshl_add_u64 v[34:35], v[34:35], 0, v[36:37]
	global_load_dwordx4 v[34:37], v[34:35], off
.LBB202_49:
	s_or_b64 exec, exec, s[0:1]
	v_or_b32_e32 v39, 1, v39
	v_cmp_gt_i32_e64 s[0:1], s46, v39
	v_lshlrev_b32_e32 v52, 8, v39
	v_mov_b32_e32 v39, 0
	v_mov_b32_e32 v40, 0
	;; [unrolled: 1-line block ×3, first 2 shown]
	s_and_saveexec_b64 s[2:3], s[0:1]
	s_cbranch_execz .LBB202_51
; %bb.50:
	v_mov_b32_e32 v53, 0
	v_lshl_add_u64 v[38:39], s[4:5], 0, v[52:53]
	v_lshlrev_b32_e32 v40, 1, v50
	v_mov_b32_e32 v41, v53
	v_lshl_add_u64 v[38:39], v[38:39], 0, v[40:41]
	global_load_dwordx4 v[38:41], v[38:39], off
.LBB202_51:
	s_or_b64 exec, exec, s[2:3]
	v_mov_b32_e32 v49, 0
	v_mov_b32_e32 v42, 0
	v_mov_b32_e32 v43, 0
	v_mov_b32_e32 v44, 0
	v_mov_b32_e32 v45, 0
	s_and_saveexec_b64 s[2:3], vcc
	s_cbranch_execz .LBB202_53
; %bb.52:
	v_mov_b32_e32 v47, 0
	v_lshl_add_u64 v[42:43], s[4:5], 0, v[46:47]
	v_lshlrev_b32_e32 v46, 1, v50
	v_lshl_add_u64 v[42:43], v[42:43], 0, v[46:47]
	global_load_dwordx4 v[42:45], v[42:43], off offset:128
.LBB202_53:
	s_or_b64 exec, exec, s[2:3]
	v_mov_b32_e32 v48, 0
	v_mov_b32_e32 v47, 0
	;; [unrolled: 1-line block ×3, first 2 shown]
	s_and_saveexec_b64 s[2:3], s[0:1]
	s_cbranch_execz .LBB202_55
; %bb.54:
	v_mov_b32_e32 v53, 0
	v_lshl_add_u64 v[46:47], s[4:5], 0, v[52:53]
	v_lshlrev_b32_e32 v52, 1, v50
	v_lshl_add_u64 v[46:47], v[46:47], 0, v[52:53]
	global_load_dwordx4 v[46:49], v[46:47], off offset:128
.LBB202_55:
	s_or_b64 exec, exec, s[2:3]
	s_branch .LBB202_58
.LBB202_56:
                                        ; implicit-def: $vgpr37
                                        ; implicit-def: $vgpr41
                                        ; implicit-def: $vgpr45
                                        ; implicit-def: $vgpr49
	s_cbranch_execz .LBB202_58
; %bb.57:
	s_waitcnt vmcnt(0)
	v_lshlrev_b32_e32 v34, 1, v50
	v_lshl_or_b32 v50, v62, 9, v34
	s_and_b32 s5, s5, 0xffff
	s_mov_b32 s7, 0x20000
	s_movk_i32 s6, 0x4000
	s_movk_i32 s0, 0x80
	buffer_load_dwordx4 v[34:37], v50, s[4:7], 0 offen
	buffer_load_dwordx4 v[38:41], v50, s[4:7], 0 offen offset:256
	buffer_load_dwordx4 v[42:45], v50, s[4:7], s0 offen
	buffer_load_dwordx4 v[46:49], v50, s[4:7], s0 offen offset:256
.LBB202_58:
	ds_read_b64 v[52:53], v63 offset:57344
	v_add_u32_e32 v50, 0x6000, v58
	ds_read2_b64 v[68:71], v50 offset1:16
	ds_read_b64 v[94:95], v64 offset:57344
	ds_read_b64 v[96:97], v65 offset:57344
	;; [unrolled: 1-line block ×3, first 2 shown]
	v_and_b32_e32 v63, 6, v0
	v_xor_b32_e32 v62, v62, v63
	v_lshlrev_b32_e32 v62, 2, v62
	s_mov_b32 s0, 0x1000504
	s_mov_b32 s1, 0x3020706
	s_waitcnt lgkmcnt(3)
	v_mfma_f32_16x16x16_bf16 a[0:3], v[52:53], v[68:69], a[0:3]
	v_mfma_f32_16x16x16_bf16 a[4:7], v[52:53], v[70:71], a[4:7]
	ds_read2_b64 v[68:71], v50 offset0:32 offset1:48
	v_and_b32_e32 v50, 12, v67
	ds_read2st64_b64 v[64:67], v58 offset0:52 offset1:56
	s_waitcnt lgkmcnt(1)
	v_mfma_f32_16x16x16_bf16 a[8:11], v[52:53], v[68:69], a[8:11]
	v_mfma_f32_16x16x16_bf16 a[12:15], v[52:53], v[70:71], a[12:15]
	ds_read2st64_b64 v[68:71], v59 offset0:52 offset1:56
	ds_read2st64_b64 v[72:75], v60 offset0:52 offset1:56
	;; [unrolled: 1-line block ×3, first 2 shown]
	s_waitcnt lgkmcnt(3)
	v_mfma_f32_16x16x16_bf16 a[0:3], v[94:95], v[64:65], a[0:3]
	ds_read_b64 v[52:53], v58 offset:30720
	ds_read_b64 v[64:65], v59 offset:30720
	;; [unrolled: 1-line block ×4, first 2 shown]
	s_waitcnt lgkmcnt(6)
	v_mfma_f32_16x16x16_bf16 a[4:7], v[94:95], v[68:69], a[4:7]
	v_and_b32_e32 v68, 1, v0
	v_xor_b32_e32 v69, 0x440, v62
	v_cmp_eq_u32_e32 vcc, 0, v68
	s_waitcnt lgkmcnt(5)
	v_mfma_f32_16x16x16_bf16 a[8:11], v[94:95], v[72:73], a[8:11]
	v_cndmask_b32_e32 v62, v69, v62, vcc
	v_lshl_or_b32 v62, v63, 10, v62
	s_waitcnt lgkmcnt(4)
	v_mfma_f32_16x16x16_bf16 a[12:15], v[94:95], v[90:91], a[12:15]
	s_waitcnt vmcnt(0)
	v_perm_b32 v63, v34, v38, s0
	v_perm_b32 v34, v34, v38, s1
	;; [unrolled: 1-line block ×3, first 2 shown]
	v_mfma_f32_16x16x16_bf16 a[0:3], v[96:97], v[66:67], a[0:3]
	v_perm_b32 v66, v42, v46, s0
	ds_write2st64_b32 v62, v63, v66 offset0:128 offset1:160
	v_xor_b32_e32 v63, 8, v62
	v_add_u32_e32 v42, 0x80, v63
	ds_write2st64_b32 v42, v34, v38 offset0:128 offset1:160
	v_xor_b32_e32 v34, 16, v62
	v_perm_b32 v38, v35, v39, s0
	v_perm_b32 v42, v43, v47, s0
	v_mfma_f32_16x16x16_bf16 a[4:7], v[96:97], v[70:71], a[4:7]
	ds_write2st64_b32 v34, v38, v42 offset0:129 offset1:161
	v_xor_b32_e32 v34, 24, v62
	v_perm_b32 v35, v35, v39, s1
	v_mfma_f32_16x16x16_bf16 a[16:19], v[96:97], v[74:75], a[8:11]
	v_perm_b32 v38, v43, v47, s1
	v_add_u32_e32 v34, 0x80, v34
	ds_write2st64_b32 v34, v35, v38 offset0:129 offset1:161
	v_mfma_f32_16x16x16_bf16 a[20:23], v[96:97], v[92:93], a[12:15]
	v_xor_b32_e32 v34, 32, v62
	v_perm_b32 v35, v36, v40, s0
	v_perm_b32 v38, v44, v48, s0
	ds_write2st64_b32 v34, v35, v38 offset0:130 offset1:162
	v_xor_b32_e32 v34, 40, v62
	s_waitcnt lgkmcnt(8)
	v_mfma_f32_16x16x16_bf16 a[12:15], v[98:99], v[52:53], a[0:3]
	v_perm_b32 v35, v36, v40, s1
	v_perm_b32 v36, v44, v48, s1
	v_add_u32_e32 v34, 0x80, v34
	s_waitcnt lgkmcnt(7)
	v_mfma_f32_16x16x16_bf16 a[8:11], v[98:99], v[64:65], a[4:7]
	ds_write2st64_b32 v34, v35, v36 offset0:130 offset1:162
	v_xor_b32_e32 v34, 48, v62
	v_perm_b32 v35, v37, v41, s0
	s_waitcnt lgkmcnt(7)
	v_mfma_f32_16x16x16_bf16 a[4:7], v[98:99], v[100:101], a[16:19]
	v_perm_b32 v36, v45, v49, s0
	ds_write2st64_b32 v34, v35, v36 offset0:131 offset1:163
	v_xor_b32_e32 v34, 56, v62
	s_waitcnt lgkmcnt(7)
	v_mfma_f32_16x16x16_bf16 a[0:3], v[98:99], v[102:103], a[20:23]
	v_or_b32_e32 v48, v50, v77
	v_perm_b32 v35, v37, v41, s1
	v_perm_b32 v36, v45, v49, s1
	v_add_u32_e32 v34, 0x80, v34
	v_cmp_gt_i32_e64 s[0:1], s46, v48
	v_mov_b32_e32 v52, 0
	v_mov_b32_e32 v53, 0
	ds_write2st64_b32 v34, v35, v36 offset0:131 offset1:163
	s_and_saveexec_b64 s[2:3], s[0:1]
	s_cbranch_execz .LBB202_60
; %bb.59:
	v_add_u32_e32 v34, s43, v48
	v_ashrrev_i32_e32 v35, 31, v34
	v_mul_lo_u32 v36, v35, s30
	v_mul_lo_u32 v37, v34, s31
	v_mad_u64_u32 v[34:35], s[4:5], v34, s30, 0
	v_add3_u32 v35, v35, v37, v36
	v_lshl_add_u64 v[34:35], v[34:35], 2, s[10:11]
	global_load_dword v34, v[34:35], off
	s_waitcnt vmcnt(0)
	v_sub_f32_e32 v34, s12, v34
	v_mul_f32_e32 v34, 0x3fb8aa3b, v34
	v_exp_f32_e32 v53, v34
.LBB202_60:
	s_or_b64 exec, exec, s[2:3]
	v_or_b32_e32 v40, 1, v48
	v_cmp_gt_i32_e64 s[2:3], s46, v40
	s_and_saveexec_b64 s[4:5], s[2:3]
	s_cbranch_execz .LBB202_62
; %bb.61:
	v_add_u32_e32 v34, s43, v40
	v_ashrrev_i32_e32 v35, 31, v34
	v_mul_lo_u32 v36, v35, s30
	v_mul_lo_u32 v37, v34, s31
	v_mad_u64_u32 v[34:35], s[6:7], v34, s30, 0
	v_add3_u32 v35, v35, v37, v36
	v_lshl_add_u64 v[34:35], v[34:35], 2, s[10:11]
	global_load_dword v34, v[34:35], off
	s_waitcnt vmcnt(0)
	v_sub_f32_e32 v34, s12, v34
	v_mul_f32_e32 v34, 0x3fb8aa3b, v34
	v_exp_f32_e32 v52, v34
.LBB202_62:
	s_or_b64 exec, exec, s[4:5]
	v_or_b32_e32 v41, 2, v48
	v_cmp_gt_i32_e64 s[4:5], s46, v41
	v_mov_b32_e32 v49, 0
	v_mov_b32_e32 v62, 0
	s_and_saveexec_b64 s[6:7], s[4:5]
	s_cbranch_execz .LBB202_64
; %bb.63:
	v_add_u32_e32 v34, s43, v41
	v_ashrrev_i32_e32 v35, 31, v34
	v_mul_lo_u32 v36, v35, s30
	v_mul_lo_u32 v37, v34, s31
	v_mad_u64_u32 v[34:35], s[20:21], v34, s30, 0
	v_add3_u32 v35, v35, v37, v36
	v_lshl_add_u64 v[34:35], v[34:35], 2, s[10:11]
	global_load_dword v34, v[34:35], off
	s_waitcnt vmcnt(0)
	v_sub_f32_e32 v34, s12, v34
	v_mul_f32_e32 v34, 0x3fb8aa3b, v34
	v_exp_f32_e32 v62, v34
.LBB202_64:
	s_or_b64 exec, exec, s[6:7]
	v_or_b32_e32 v63, 3, v48
	v_cmp_gt_i32_e32 vcc, s46, v63
	s_and_saveexec_b64 s[6:7], vcc
	s_cbranch_execz .LBB202_66
; %bb.65:
	v_add_u32_e32 v34, s43, v63
	v_ashrrev_i32_e32 v35, 31, v34
	v_mul_lo_u32 v36, v35, s30
	v_mul_lo_u32 v37, v34, s31
	v_mad_u64_u32 v[34:35], s[20:21], v34, s30, 0
	v_add3_u32 v35, v35, v37, v36
	v_lshl_add_u64 v[34:35], v[34:35], 2, s[10:11]
	global_load_dword v34, v[34:35], off
	s_waitcnt vmcnt(0)
	v_sub_f32_e32 v34, s12, v34
	v_mul_f32_e32 v34, 0x3fb8aa3b, v34
	v_exp_f32_e32 v49, v34
.LBB202_66:
	s_or_b64 exec, exec, s[6:7]
	s_add_u32 s6, s8, s24
	v_accvgpr_read_b32 v37, a15
	s_addc_u32 s7, s9, s25
	v_ashrrev_i32_e32 v89, 31, v88
	v_accvgpr_read_b32 v36, a14
	v_accvgpr_read_b32 v35, a13
	;; [unrolled: 1-line block ×3, first 2 shown]
	v_lshl_add_u64 v[38:39], v[88:89], 1, s[6:7]
	v_mov_b32_e32 v45, 0
	v_lshlrev_b32_e32 v42, 8, v48
	v_mov_b32_e32 v43, 0
	s_and_saveexec_b64 s[6:7], s[0:1]
	s_cbranch_execz .LBB202_68
; %bb.67:
	v_mov_b32_e32 v43, 0
	v_lshl_add_u64 v[46:47], v[38:39], 0, v[42:43]
	global_load_ushort v43, v[46:47], off
	s_waitcnt vmcnt(0)
	v_lshlrev_b32_e32 v43, 16, v43
	v_sub_f32_e32 v34, v43, v34
	v_mul_f32_e32 v34, v53, v34
	v_lshrrev_b32_e32 v43, 16, v34
.LBB202_68:
	s_or_b64 exec, exec, s[6:7]
	v_lshlrev_b32_e32 v44, 8, v40
	s_and_saveexec_b64 s[6:7], s[2:3]
	s_cbranch_execz .LBB202_70
; %bb.69:
	v_mov_b32_e32 v45, 0
	v_lshl_add_u64 v[46:47], v[38:39], 0, v[44:45]
	global_load_ushort v34, v[46:47], off
	s_waitcnt vmcnt(0)
	v_lshlrev_b32_e32 v34, 16, v34
	v_sub_f32_e32 v34, v34, v35
	v_mul_f32_e32 v34, v52, v34
	v_lshrrev_b32_e32 v45, 16, v34
.LBB202_70:
	s_or_b64 exec, exec, s[6:7]
	v_mov_b32_e32 v64, 0
	v_lshlrev_b32_e32 v46, 8, v41
	v_mov_b32_e32 v47, 0
	s_and_saveexec_b64 s[6:7], s[4:5]
	s_cbranch_execz .LBB202_72
; %bb.71:
	v_mov_b32_e32 v47, 0
	v_lshl_add_u64 v[34:35], v[38:39], 0, v[46:47]
	global_load_ushort v34, v[34:35], off
	s_waitcnt vmcnt(0)
	v_lshlrev_b32_e32 v34, 16, v34
	v_sub_f32_e32 v34, v34, v36
	v_mul_f32_e32 v34, v62, v34
	v_lshrrev_b32_e32 v47, 16, v34
.LBB202_72:
	s_or_b64 exec, exec, s[6:7]
	v_lshlrev_b32_e32 v40, 8, v63
	s_and_saveexec_b64 s[6:7], vcc
	s_cbranch_execz .LBB202_74
; %bb.73:
	v_mov_b32_e32 v41, 0
	v_lshl_add_u64 v[34:35], v[38:39], 0, v[40:41]
	global_load_ushort v34, v[34:35], off
	s_waitcnt vmcnt(0)
	v_lshlrev_b32_e32 v34, 16, v34
	v_sub_f32_e32 v34, v34, v37
	v_mul_f32_e32 v34, v49, v34
	v_lshrrev_b32_e32 v64, 16, v34
.LBB202_74:
	s_or_b64 exec, exec, s[6:7]
	v_lshlrev_b32_e32 v63, 6, v48
	v_accvgpr_read_b32 v37, a11
	s_mov_b32 s6, 0x5040100
	v_or_b32_e32 v41, v63, v57
	v_accvgpr_read_b32 v36, a10
	v_accvgpr_read_b32 v35, a9
	;; [unrolled: 1-line block ×3, first 2 shown]
	v_perm_b32 v65, v64, v47, s6
	v_perm_b32 v64, v45, v43, s6
	v_lshlrev_b32_e32 v41, 1, v41
	v_mov_b32_e32 v45, 0
	v_mov_b32_e32 v43, 0
	ds_write_b64 v41, v[64:65] offset:24576
	s_and_saveexec_b64 s[6:7], s[0:1]
	s_cbranch_execz .LBB202_76
; %bb.75:
	v_mov_b32_e32 v43, 0
	v_lshl_add_u64 v[64:65], v[38:39], 0, v[42:43]
	global_load_ushort v41, v[64:65], off offset:32
	s_waitcnt vmcnt(0)
	v_lshlrev_b32_e32 v41, 16, v41
	v_sub_f32_e32 v34, v41, v34
	v_mul_f32_e32 v34, v53, v34
	v_lshrrev_b32_e32 v43, 16, v34
.LBB202_76:
	s_or_b64 exec, exec, s[6:7]
	s_and_saveexec_b64 s[6:7], s[2:3]
	s_cbranch_execz .LBB202_78
; %bb.77:
	v_mov_b32_e32 v45, 0
	v_lshl_add_u64 v[64:65], v[38:39], 0, v[44:45]
	global_load_ushort v34, v[64:65], off offset:32
	s_waitcnt vmcnt(0)
	v_lshlrev_b32_e32 v34, 16, v34
	v_sub_f32_e32 v34, v34, v35
	v_mul_f32_e32 v34, v52, v34
	v_lshrrev_b32_e32 v45, 16, v34
.LBB202_78:
	s_or_b64 exec, exec, s[6:7]
	v_mov_b32_e32 v41, 0
	v_mov_b32_e32 v47, 0
	s_and_saveexec_b64 s[6:7], s[4:5]
	s_cbranch_execz .LBB202_80
; %bb.79:
	v_mov_b32_e32 v47, 0
	v_lshl_add_u64 v[34:35], v[38:39], 0, v[46:47]
	global_load_ushort v34, v[34:35], off offset:32
	s_waitcnt vmcnt(0)
	v_lshlrev_b32_e32 v34, 16, v34
	v_sub_f32_e32 v34, v34, v36
	v_mul_f32_e32 v34, v62, v34
	v_lshrrev_b32_e32 v47, 16, v34
.LBB202_80:
	s_or_b64 exec, exec, s[6:7]
	s_and_saveexec_b64 s[6:7], vcc
	s_cbranch_execz .LBB202_82
; %bb.81:
	v_mov_b32_e32 v41, 0
	v_lshl_add_u64 v[34:35], v[38:39], 0, v[40:41]
	global_load_ushort v34, v[34:35], off offset:32
	s_waitcnt vmcnt(0)
	v_lshlrev_b32_e32 v34, 16, v34
	v_sub_f32_e32 v34, v34, v37
	v_mul_f32_e32 v34, v49, v34
	v_lshrrev_b32_e32 v41, 16, v34
.LBB202_82:
	s_or_b64 exec, exec, s[6:7]
	s_mov_b32 s6, 0x5040100
	v_accvgpr_read_b32 v37, a7
	v_perm_b32 v65, v41, v47, s6
	v_or_b32_e32 v41, v63, v55
	v_accvgpr_read_b32 v36, a6
	v_accvgpr_read_b32 v35, a5
	;; [unrolled: 1-line block ×3, first 2 shown]
	v_perm_b32 v64, v45, v43, s6
	v_lshlrev_b32_e32 v41, 1, v41
	v_mov_b32_e32 v45, 0
	v_mov_b32_e32 v43, 0
	ds_write_b64 v41, v[64:65] offset:24576
	s_and_saveexec_b64 s[6:7], s[0:1]
	s_cbranch_execz .LBB202_84
; %bb.83:
	v_mov_b32_e32 v43, 0
	v_lshl_add_u64 v[64:65], v[38:39], 0, v[42:43]
	global_load_ushort v41, v[64:65], off offset:64
	s_waitcnt vmcnt(0)
	v_lshlrev_b32_e32 v41, 16, v41
	v_sub_f32_e32 v34, v41, v34
	v_mul_f32_e32 v34, v53, v34
	v_lshrrev_b32_e32 v43, 16, v34
.LBB202_84:
	s_or_b64 exec, exec, s[6:7]
	s_and_saveexec_b64 s[6:7], s[2:3]
	s_cbranch_execz .LBB202_86
; %bb.85:
	v_mov_b32_e32 v45, 0
	v_lshl_add_u64 v[64:65], v[38:39], 0, v[44:45]
	global_load_ushort v34, v[64:65], off offset:64
	s_waitcnt vmcnt(0)
	v_lshlrev_b32_e32 v34, 16, v34
	v_sub_f32_e32 v34, v34, v35
	v_mul_f32_e32 v34, v52, v34
	v_lshrrev_b32_e32 v45, 16, v34
.LBB202_86:
	s_or_b64 exec, exec, s[6:7]
	v_mov_b32_e32 v41, 0
	v_mov_b32_e32 v47, 0
	s_and_saveexec_b64 s[6:7], s[4:5]
	s_cbranch_execz .LBB202_88
; %bb.87:
	v_mov_b32_e32 v47, 0
	v_lshl_add_u64 v[34:35], v[38:39], 0, v[46:47]
	global_load_ushort v34, v[34:35], off offset:64
	s_waitcnt vmcnt(0)
	v_lshlrev_b32_e32 v34, 16, v34
	v_sub_f32_e32 v34, v34, v36
	v_mul_f32_e32 v34, v62, v34
	v_lshrrev_b32_e32 v47, 16, v34
.LBB202_88:
	s_or_b64 exec, exec, s[6:7]
	s_and_saveexec_b64 s[6:7], vcc
	s_cbranch_execz .LBB202_90
; %bb.89:
	v_mov_b32_e32 v41, 0
	v_lshl_add_u64 v[34:35], v[38:39], 0, v[40:41]
	global_load_ushort v34, v[34:35], off offset:64
	s_waitcnt vmcnt(0)
	v_lshlrev_b32_e32 v34, 16, v34
	v_sub_f32_e32 v34, v34, v37
	v_mul_f32_e32 v34, v49, v34
	v_lshrrev_b32_e32 v41, 16, v34
.LBB202_90:
	s_or_b64 exec, exec, s[6:7]
	s_mov_b32 s6, 0x5040100
	v_accvgpr_read_b32 v37, a3
	v_perm_b32 v65, v41, v47, s6
	v_or_b32_e32 v41, v63, v54
	v_accvgpr_read_b32 v36, a2
	v_accvgpr_read_b32 v35, a1
	;; [unrolled: 1-line block ×3, first 2 shown]
	v_perm_b32 v64, v45, v43, s6
	v_lshlrev_b32_e32 v41, 1, v41
	v_mov_b32_e32 v45, 0
	v_mov_b32_e32 v43, 0
	ds_write_b64 v41, v[64:65] offset:24576
	s_and_saveexec_b64 s[6:7], s[0:1]
	s_cbranch_execz .LBB202_92
; %bb.91:
	v_mov_b32_e32 v43, 0
	v_lshl_add_u64 v[42:43], v[38:39], 0, v[42:43]
	global_load_ushort v41, v[42:43], off offset:96
	s_waitcnt vmcnt(0)
	v_lshlrev_b32_e32 v41, 16, v41
	v_sub_f32_e32 v34, v41, v34
	v_mul_f32_e32 v34, v53, v34
	v_lshrrev_b32_e32 v43, 16, v34
.LBB202_92:
	s_or_b64 exec, exec, s[6:7]
	s_and_saveexec_b64 s[0:1], s[2:3]
	s_cbranch_execz .LBB202_94
; %bb.93:
	v_mov_b32_e32 v45, 0
	v_lshl_add_u64 v[44:45], v[38:39], 0, v[44:45]
	global_load_ushort v34, v[44:45], off offset:96
	s_waitcnt vmcnt(0)
	v_lshlrev_b32_e32 v34, 16, v34
	v_sub_f32_e32 v34, v34, v35
	v_mul_f32_e32 v34, v52, v34
	v_lshrrev_b32_e32 v45, 16, v34
.LBB202_94:
	s_or_b64 exec, exec, s[0:1]
	v_mov_b32_e32 v41, 0
	v_mov_b32_e32 v44, 0
	s_and_saveexec_b64 s[0:1], s[4:5]
	s_cbranch_execz .LBB202_96
; %bb.95:
	v_mov_b32_e32 v47, 0
	v_lshl_add_u64 v[34:35], v[38:39], 0, v[46:47]
	global_load_ushort v34, v[34:35], off offset:96
	s_waitcnt vmcnt(0)
	v_lshlrev_b32_e32 v34, 16, v34
	v_sub_f32_e32 v34, v34, v36
	v_mul_f32_e32 v34, v62, v34
	v_lshrrev_b32_e32 v44, 16, v34
.LBB202_96:
	s_or_b64 exec, exec, s[0:1]
	v_or_b32_e32 v34, 0x6000, v58
	v_or_b32_e32 v35, 0x6000, v59
	;; [unrolled: 1-line block ×4, first 2 shown]
	s_and_saveexec_b64 s[0:1], vcc
	s_cbranch_execz .LBB202_98
; %bb.97:
	v_mov_b32_e32 v41, 0
	v_lshl_add_u64 v[38:39], v[38:39], 0, v[40:41]
	global_load_ushort v38, v[38:39], off offset:96
	s_waitcnt vmcnt(0)
	v_lshlrev_b32_e32 v38, 16, v38
	v_sub_f32_e32 v37, v38, v37
	v_mul_f32_e32 v37, v49, v37
	v_lshrrev_b32_e32 v41, 16, v37
.LBB202_98:
	s_or_b64 exec, exec, s[0:1]
	s_mov_b32 s0, 0x5040100
	v_or_b32_e32 v37, v63, v51
	v_perm_b32 v39, v41, v44, s0
	v_perm_b32 v38, v45, v43, s0
	v_lshlrev_b32_e32 v37, 1, v37
	ds_write_b64 v37, v[38:39] offset:24576
	v_and_b32_e32 v37, 7, v0
	v_lshlrev_b32_e32 v49, 3, v37
	v_lshlrev_b32_e32 v79, 7, v37
	v_lshrrev_b32_e32 v37, 1, v0
	s_add_i32 s0, s14, s49
	v_and_b32_e32 v37, 24, v37
	v_lshlrev_b32_e32 v51, 3, v1
	s_mul_hi_i32 s3, s0, s13
	s_mul_i32 s0, s0, s13
	v_and_b32_e32 v43, 8, v0
	s_movk_i32 s4, 0x100
	v_xor_b32_e32 v76, v51, v37
	s_add_u32 s2, s0, s33
	v_cmp_eq_u32_e32 vcc, 0, v43
	v_cmp_gt_u32_e64 s[0:1], s4, v0
	v_or_b32_e32 v0, 0x440, v76
	v_mov_b32_e32 v44, 0x400
	v_cndmask_b32_e32 v0, v0, v76, vcc
	v_cndmask_b32_e64 v43, v44, 64, vcc
	v_mov_b32_e32 v44, 0xa000
	v_mov_b32_e32 v45, 0x8000
	v_or_b32_e32 v0, v0, v56
	v_cndmask_b32_e64 v57, v44, v45, s[0:1]
	v_xor_b32_e32 v92, v0, v49
	v_add3_u32 v0, v57, v92, v79
	s_waitcnt lgkmcnt(0)
	s_barrier
	ds_read_b64 v[58:59], v0
	v_or_b32_e32 v0, 32, v37
	v_xor_b32_e32 v0, v51, v0
	v_or_b32_e32 v44, 0x440, v0
	v_cndmask_b32_e32 v0, v44, v0, vcc
	v_or_b32_e32 v0, v0, v56
	s_addc_u32 s3, s3, s48
	v_xor_b32_e32 v93, v0, v49
	s_lshl_b64 s[0:1], s[2:3], 9
	v_add3_u32 v0, v57, v93, v79
	s_add_u32 s0, s16, s0
	ds_read_b64 v[74:75], v0
	s_addc_u32 s1, s17, s1
	v_lshlrev_b32_e32 v0, 2, v48
	global_load_dwordx4 v[52:55], v0, s[0:1]
	v_or_b32_e32 v37, 0x60, v37
	v_xor_b32_e32 v37, v51, v37
	v_xor_b32_e32 v48, 0x440, v37
	v_cndmask_b32_e32 v37, v48, v37, vcc
	v_or_b32_e32 v37, v37, v56
	v_xor_b32_e32 v95, v37, v49
	v_lshlrev_b32_e32 v1, 6, v1
	v_lshlrev_b32_e32 v37, 2, v50
	v_or3_b32 v43, v56, v43, v76
	v_or3_b32 v1, v1, v37, s4
	v_xor_b32_e32 v43, v43, v49
	global_load_dwordx4 v[48:51], v1, s[0:1]
	ds_read2_b64 v[38:41], v34 offset1:16
	ds_read2_b64 v[44:47], v34 offset0:32 offset1:48
	s_waitcnt lgkmcnt(1)
	v_mfma_f32_16x16x16_bf16 a[0:3], v[58:59], v[38:39], 0
	ds_read2st64_b64 v[62:65], v35 offset0:4 offset1:8
	ds_read2st64_b64 v[66:69], v36 offset0:4 offset1:8
	;; [unrolled: 1-line block ×3, first 2 shown]
	v_mfma_f32_16x16x16_bf16 a[4:7], v[58:59], v[40:41], 0
	v_or_b32_e32 v94, v43, v79
	v_or_b32_e32 v43, v57, v94
	v_add3_u32 v1, v57, v95, v79
	s_waitcnt lgkmcnt(3)
	v_mfma_f32_16x16x16_bf16 a[8:11], v[58:59], v[44:45], 0
	ds_read_b64 v[56:57], v1
	v_mov_b32_e32 v0, 0x3fb8aa3b
	v_mul_f32_e32 v0, s12, v0
	v_mfma_f32_16x16x16_bf16 a[12:15], v[58:59], v[46:47], 0
	ds_read2st64_b64 v[58:61], v34 offset0:4 offset1:8
	v_exp_f32_e32 v0, v0
	s_waitcnt vmcnt(1)
	v_mul_f32_e32 v1, 0x3fb8aa3b, v52
	s_waitcnt lgkmcnt(0)
	v_mfma_f32_16x16x16_bf16 a[0:3], v[74:75], v[58:59], a[0:3]
	v_mfma_f32_16x16x16_bf16 a[4:7], v[74:75], v[62:63], a[4:7]
	;; [unrolled: 1-line block ×4, first 2 shown]
	ds_read_b64 v[74:75], v43
	ds_read_b64 v[76:77], v34 offset:6144
	ds_read_b64 v[88:89], v35 offset:6144
	;; [unrolled: 1-line block ×4, first 2 shown]
	v_exp_f32_e32 v34, v1
	v_mul_f32_e32 v1, 0x3fb8aa3b, v53
	v_exp_f32_e32 v35, v1
	v_mul_f32_e32 v1, 0x3fb8aa3b, v54
	;; [unrolled: 2-line block ×3, first 2 shown]
	v_exp_f32_e32 v37, v1
	s_waitcnt lgkmcnt(4)
	v_mfma_f32_16x16x16_bf16 a[0:3], v[74:75], v[60:61], a[0:3]
	v_pk_mul_f32 v[34:35], v[0:1], v[34:35] op_sel_hi:[0,1]
	v_pk_mul_f32 v[22:23], v[22:23], v[34:35]
	v_pk_mul_f32 v[36:37], v[0:1], v[36:37] op_sel_hi:[0,1]
	v_add_u32_e32 v1, v92, v79
	ds_read_b64 v[52:53], v1 offset:40960
	v_mfma_f32_16x16x16_bf16 a[12:15], v[74:75], v[72:73], a[12:15]
	v_add_u32_e32 v1, v93, v79
	v_pk_mul_f32 v[24:25], v[24:25], v[36:37]
	v_pk_mul_f32 v[26:27], v[34:35], v[26:27]
	v_mfma_f32_16x16x16_bf16 a[4:7], v[74:75], v[64:65], a[4:7]
	v_pk_mul_f32 v[28:29], v[36:37], v[28:29]
	v_pk_mul_f32 v[30:31], v[34:35], v[30:31]
	;; [unrolled: 1-line block ×3, first 2 shown]
	v_mfma_f32_16x16x16_bf16 a[8:11], v[74:75], v[68:69], a[8:11]
	v_add_u32_e32 v74, v95, v79
	s_waitcnt lgkmcnt(4)
	v_mfma_f32_16x16x16_bf16 a[0:3], v[56:57], v[76:77], a[0:3]
	s_waitcnt lgkmcnt(1)
	v_mfma_f32_16x16x16_bf16 a[12:15], v[56:57], v[42:43], a[12:15]
	v_mfma_f32_16x16x16_bf16 a[4:7], v[56:57], v[88:89], a[4:7]
	;; [unrolled: 1-line block ×3, first 2 shown]
	ds_read_b64 v[56:57], v1 offset:40960
	ds_read_b64 v[74:75], v74 offset:40960
	s_nop 0
	v_accvgpr_read_b32 v1, a0
	v_add_f32_e32 v22, v22, v1
	v_accvgpr_read_b32 v1, a1
	v_accvgpr_read_b32 v55, a15
	;; [unrolled: 1-line block ×3, first 2 shown]
	s_waitcnt lgkmcnt(2)
	v_mfma_f32_16x16x16_bf16 a[14:17], v[52:53], v[38:39], 0
	v_add_f32_e32 v23, v23, v1
	v_accvgpr_read_b32 v1, a2
	ds_read_b64 v[38:39], v94 offset:40960
	v_add_f32_e32 v24, v24, v1
	v_accvgpr_read_b32 v1, a3
	v_add_f32_e32 v25, v25, v1
	v_accvgpr_read_b32 v1, a4
	v_add_f32_e32 v26, v26, v1
	v_accvgpr_read_b32 v1, a5
	v_add_f32_e32 v27, v27, v1
	v_accvgpr_read_b32 v1, a6
	v_mfma_f32_16x16x16_bf16 a[18:21], v[52:53], v[40:41], 0
	v_add_f32_e32 v28, v28, v1
	v_accvgpr_read_b32 v1, a7
	v_add_f32_e32 v29, v29, v1
	s_waitcnt lgkmcnt(2)
	v_mfma_f32_16x16x16_bf16 a[14:17], v[56:57], v[58:59], a[14:17]
	v_accvgpr_read_b32 v1, a8
	v_add_f32_e32 v30, v30, v1
	v_accvgpr_read_b32 v1, a9
	v_add_f32_e32 v31, v31, v1
	v_accvgpr_read_b32 v1, a10
	v_accvgpr_read_b32 v41, a13
	v_mfma_f32_16x16x16_bf16 a[22:25], v[52:53], v[44:45], 0
	v_add_f32_e32 v32, v32, v1
	v_accvgpr_read_b32 v1, a11
	v_accvgpr_read_b32 v40, a12
	v_mfma_f32_16x16x16_bf16 a[0:3], v[52:53], v[46:47], 0
	v_add_f32_e32 v33, v33, v1
	v_pk_fma_f32 v[6:7], v[34:35], v[6:7], v[40:41]
	v_pk_fma_f32 v[8:9], v[36:37], v[8:9], v[54:55]
	v_mfma_f32_16x16x16_bf16 a[4:7], v[56:57], v[62:63], a[18:21]
	s_waitcnt vmcnt(0)
	v_mov_b32_e32 v34, v49
	v_mul_f32_e32 v1, 0x3fb8aa3b, v48
	v_mov_b32_e32 v35, v50
	s_waitcnt lgkmcnt(0)
	v_mfma_f32_16x16x16_bf16 a[8:11], v[38:39], v[60:61], a[14:17]
	v_exp_f32_e32 v40, v1
	v_mul_f32_e32 v1, 0x3fb8aa3b, v34
	v_mov_b32_e32 v36, v51
	v_exp_f32_e32 v41, v1
	v_mul_f32_e32 v1, 0x3fb8aa3b, v35
	v_mfma_f32_16x16x16_bf16 a[18:21], v[56:57], v[66:67], a[22:25]
	v_exp_f32_e32 v34, v1
	v_mul_f32_e32 v1, 0x3fb8aa3b, v36
	v_exp_f32_e32 v35, v1
	v_mfma_f32_16x16x16_bf16 a[0:3], v[56:57], v[70:71], a[0:3]
	v_pk_mul_f32 v[36:37], v[0:1], v[40:41] op_sel_hi:[0,1]
	v_pk_mul_f32 v[10:11], v[10:11], v[36:37]
	v_pk_mul_f32 v[0:1], v[0:1], v[34:35] op_sel_hi:[0,1]
	v_mfma_f32_16x16x16_bf16 a[4:7], v[38:39], v[64:65], a[4:7]
	v_pk_mul_f32 v[12:13], v[12:13], v[0:1]
	v_pk_mul_f32 v[14:15], v[36:37], v[14:15]
	;; [unrolled: 1-line block ×3, first 2 shown]
	v_mfma_f32_16x16x16_bf16 a[8:11], v[74:75], v[76:77], a[8:11]
	v_pk_mul_f32 v[18:19], v[36:37], v[18:19]
	v_pk_mul_f32 v[20:21], v[0:1], v[20:21]
	v_mfma_f32_16x16x16_bf16 a[12:15], v[38:39], v[68:69], a[18:21]
	v_mfma_f32_16x16x16_bf16 a[0:3], v[38:39], v[72:73], a[0:3]
	s_nop 2
	v_accvgpr_read_b32 v38, a8
	v_add_f32_e32 v10, v10, v38
	v_accvgpr_read_b32 v38, a9
	v_mfma_f32_16x16x16_bf16 a[4:7], v[74:75], v[88:89], a[4:7]
	v_add_f32_e32 v11, v11, v38
	v_accvgpr_read_b32 v38, a10
	v_add_f32_e32 v12, v12, v38
	v_accvgpr_read_b32 v38, a11
	v_mfma_f32_16x16x16_bf16 a[12:15], v[74:75], v[90:91], a[12:15]
	v_add_f32_e32 v13, v13, v38
	s_nop 0
	v_accvgpr_read_b32 v38, a4
	v_add_f32_e32 v14, v14, v38
	v_accvgpr_read_b32 v38, a5
	v_add_f32_e32 v15, v15, v38
	;; [unrolled: 2-line block ×3, first 2 shown]
	v_accvgpr_read_b32 v38, a7
	v_mfma_f32_16x16x16_bf16 a[0:3], v[74:75], v[42:43], a[0:3]
	v_add_f32_e32 v17, v17, v38
	v_accvgpr_read_b32 v38, a12
	v_add_f32_e32 v18, v18, v38
	v_accvgpr_read_b32 v38, a13
	;; [unrolled: 2-line block ×5, first 2 shown]
	v_accvgpr_read_b32 v35, a3
	v_accvgpr_read_b32 v34, a2
	;; [unrolled: 1-line block ×3, first 2 shown]
	v_pk_fma_f32 v[2:3], v[36:37], v[2:3], v[38:39]
	v_pk_fma_f32 v[4:5], v[0:1], v[4:5], v[34:35]
.LBB202_99:
	s_add_u32 s0, s18, s28
	s_addc_u32 s1, s19, s29
	v_lshl_add_u64 v[0:1], v[80:81], 2, s[0:1]
	v_mov_b32_e32 v79, 0
	v_lshl_add_u64 v[0:1], v[0:1], 0, v[78:79]
	s_waitcnt vmcnt(7)
	global_store_dwordx4 v[0:1], v[22:25], off
	s_waitcnt vmcnt(7)
	global_store_dwordx4 v[0:1], v[10:13], off offset:256
	v_lshl_add_u64 v[0:1], v[82:83], 2, s[0:1]
	v_lshl_add_u64 v[0:1], v[0:1], 0, v[78:79]
	s_waitcnt vmcnt(7)
	global_store_dwordx4 v[0:1], v[26:29], off
	s_waitcnt vmcnt(7)
	global_store_dwordx4 v[0:1], v[14:17], off offset:256
	v_lshl_add_u64 v[0:1], v[86:87], 2, s[0:1]
	;; [unrolled: 6-line block ×3, first 2 shown]
	v_lshl_add_u64 v[0:1], v[0:1], 0, v[78:79]
	s_waitcnt vmcnt(7)
	global_store_dwordx4 v[0:1], v[6:9], off
	s_waitcnt vmcnt(7)
	global_store_dwordx4 v[0:1], v[2:5], off offset:256
	s_endpgm
	.section	.rodata,"a",@progbits
	.p2align	6, 0x0
	.amdhsa_kernel _ZN12_GLOBAL__N_139chunk_gated_delta_rule_fwd_h_hip_kernelILi64ELb1ELb1ELb0ELb0ELb0ELb1ELb1ELb0EEEvPK12hip_bfloat16S3_S3_PKfS5_PKvPS1_S8_PvPKiSB_iiiiilll
		.amdhsa_group_segment_fixed_size 65536
		.amdhsa_private_segment_fixed_size 0
		.amdhsa_kernarg_size 136
		.amdhsa_user_sgpr_count 2
		.amdhsa_user_sgpr_dispatch_ptr 0
		.amdhsa_user_sgpr_queue_ptr 0
		.amdhsa_user_sgpr_kernarg_segment_ptr 1
		.amdhsa_user_sgpr_dispatch_id 0
		.amdhsa_user_sgpr_kernarg_preload_length 0
		.amdhsa_user_sgpr_kernarg_preload_offset 0
		.amdhsa_user_sgpr_private_segment_size 0
		.amdhsa_uses_dynamic_stack 0
		.amdhsa_enable_private_segment 0
		.amdhsa_system_sgpr_workgroup_id_x 1
		.amdhsa_system_sgpr_workgroup_id_y 1
		.amdhsa_system_sgpr_workgroup_id_z 0
		.amdhsa_system_sgpr_workgroup_info 0
		.amdhsa_system_vgpr_workitem_id 0
		.amdhsa_next_free_vgpr 240
		.amdhsa_next_free_sgpr 73
		.amdhsa_accum_offset 200
		.amdhsa_reserve_vcc 1
		.amdhsa_float_round_mode_32 0
		.amdhsa_float_round_mode_16_64 0
		.amdhsa_float_denorm_mode_32 3
		.amdhsa_float_denorm_mode_16_64 3
		.amdhsa_dx10_clamp 1
		.amdhsa_ieee_mode 1
		.amdhsa_fp16_overflow 0
		.amdhsa_tg_split 0
		.amdhsa_exception_fp_ieee_invalid_op 0
		.amdhsa_exception_fp_denorm_src 0
		.amdhsa_exception_fp_ieee_div_zero 0
		.amdhsa_exception_fp_ieee_overflow 0
		.amdhsa_exception_fp_ieee_underflow 0
		.amdhsa_exception_fp_ieee_inexact 0
		.amdhsa_exception_int_div_zero 0
	.end_amdhsa_kernel
	.section	.text._ZN12_GLOBAL__N_139chunk_gated_delta_rule_fwd_h_hip_kernelILi64ELb1ELb1ELb0ELb0ELb0ELb1ELb1ELb0EEEvPK12hip_bfloat16S3_S3_PKfS5_PKvPS1_S8_PvPKiSB_iiiiilll,"axG",@progbits,_ZN12_GLOBAL__N_139chunk_gated_delta_rule_fwd_h_hip_kernelILi64ELb1ELb1ELb0ELb0ELb0ELb1ELb1ELb0EEEvPK12hip_bfloat16S3_S3_PKfS5_PKvPS1_S8_PvPKiSB_iiiiilll,comdat
.Lfunc_end202:
	.size	_ZN12_GLOBAL__N_139chunk_gated_delta_rule_fwd_h_hip_kernelILi64ELb1ELb1ELb0ELb0ELb0ELb1ELb1ELb0EEEvPK12hip_bfloat16S3_S3_PKfS5_PKvPS1_S8_PvPKiSB_iiiiilll, .Lfunc_end202-_ZN12_GLOBAL__N_139chunk_gated_delta_rule_fwd_h_hip_kernelILi64ELb1ELb1ELb0ELb0ELb0ELb1ELb1ELb0EEEvPK12hip_bfloat16S3_S3_PKfS5_PKvPS1_S8_PvPKiSB_iiiiilll
                                        ; -- End function
	.section	.AMDGPU.csdata,"",@progbits
; Kernel info:
; codeLenInByte = 12668
; NumSgprs: 79
; NumVgprs: 198
; NumAgprs: 40
; TotalNumVgprs: 240
; ScratchSize: 0
; MemoryBound: 0
; FloatMode: 240
; IeeeMode: 1
; LDSByteSize: 65536 bytes/workgroup (compile time only)
; SGPRBlocks: 9
; VGPRBlocks: 29
; NumSGPRsForWavesPerEU: 79
; NumVGPRsForWavesPerEU: 240
; AccumOffset: 200
; Occupancy: 1
; WaveLimiterHint : 1
; COMPUTE_PGM_RSRC2:SCRATCH_EN: 0
; COMPUTE_PGM_RSRC2:USER_SGPR: 2
; COMPUTE_PGM_RSRC2:TRAP_HANDLER: 0
; COMPUTE_PGM_RSRC2:TGID_X_EN: 1
; COMPUTE_PGM_RSRC2:TGID_Y_EN: 1
; COMPUTE_PGM_RSRC2:TGID_Z_EN: 0
; COMPUTE_PGM_RSRC2:TIDIG_COMP_CNT: 0
; COMPUTE_PGM_RSRC3_GFX90A:ACCUM_OFFSET: 49
; COMPUTE_PGM_RSRC3_GFX90A:TG_SPLIT: 0
	.section	.text._ZN12_GLOBAL__N_139chunk_gated_delta_rule_fwd_h_hip_kernelILi64ELb1ELb0ELb1ELb0ELb0ELb1ELb1ELb0EEEvPK12hip_bfloat16S3_S3_PKfS5_PKvPS1_S8_PvPKiSB_iiiiilll,"axG",@progbits,_ZN12_GLOBAL__N_139chunk_gated_delta_rule_fwd_h_hip_kernelILi64ELb1ELb0ELb1ELb0ELb0ELb1ELb1ELb0EEEvPK12hip_bfloat16S3_S3_PKfS5_PKvPS1_S8_PvPKiSB_iiiiilll,comdat
	.globl	_ZN12_GLOBAL__N_139chunk_gated_delta_rule_fwd_h_hip_kernelILi64ELb1ELb0ELb1ELb0ELb0ELb1ELb1ELb0EEEvPK12hip_bfloat16S3_S3_PKfS5_PKvPS1_S8_PvPKiSB_iiiiilll ; -- Begin function _ZN12_GLOBAL__N_139chunk_gated_delta_rule_fwd_h_hip_kernelILi64ELb1ELb0ELb1ELb0ELb0ELb1ELb1ELb0EEEvPK12hip_bfloat16S3_S3_PKfS5_PKvPS1_S8_PvPKiSB_iiiiilll
	.p2align	8
	.type	_ZN12_GLOBAL__N_139chunk_gated_delta_rule_fwd_h_hip_kernelILi64ELb1ELb0ELb1ELb0ELb0ELb1ELb1ELb0EEEvPK12hip_bfloat16S3_S3_PKfS5_PKvPS1_S8_PvPKiSB_iiiiilll,@function
_ZN12_GLOBAL__N_139chunk_gated_delta_rule_fwd_h_hip_kernelILi64ELb1ELb0ELb1ELb0ELb0ELb1ELb1ELb0EEEvPK12hip_bfloat16S3_S3_PKfS5_PKvPS1_S8_PvPKiSB_iiiiilll: ; @_ZN12_GLOBAL__N_139chunk_gated_delta_rule_fwd_h_hip_kernelILi64ELb1ELb0ELb1ELb0ELb0ELb1ELb1ELb0EEEvPK12hip_bfloat16S3_S3_PKfS5_PKvPS1_S8_PvPKiSB_iiiiilll
; %bb.0:
	s_load_dwordx4 s[12:15], s[0:1], 0x5c
	s_load_dwordx4 s[20:23], s[0:1], 0x70
	s_abs_i32 s6, s3
	s_ashr_i32 s5, s3, 31
	s_load_dwordx4 s[16:19], s[0:1], 0x28
	s_load_dwordx2 s[28:29], s[0:1], 0x38
	s_waitcnt lgkmcnt(0)
	s_abs_i32 s4, s13
	v_cvt_f32_u32_e32 v1, s4
	s_sub_i32 s8, 0, s4
	s_ashr_i32 s7, s13, 31
	s_xor_b32 s5, s5, s7
	v_rcp_iflag_f32_e32 v1, v1
	v_and_b32_e32 v90, 15, v0
	v_lshrrev_b32_e32 v88, 6, v0
	v_bfe_u32 v89, v0, 4, 2
	v_mul_f32_e32 v1, 0x4f7ffffe, v1
	v_cvt_u32_f32_e32 v1, v1
	v_mov_b32_e32 v11, 0
	v_and_b32_e32 v77, 63, v0
	v_lshrrev_b32_e32 v92, 3, v77
	v_readfirstlane_b32 s9, v1
	s_mul_i32 s8, s8, s9
	s_mul_hi_u32 s8, s9, s8
	s_add_i32 s9, s9, s8
	s_mul_hi_u32 s8, s6, s9
	s_mul_i32 s9, s8, s4
	s_sub_i32 s6, s6, s9
	s_add_i32 s10, s8, 1
	s_sub_i32 s9, s6, s4
	s_cmp_ge_u32 s6, s4
	s_cselect_b32 s8, s10, s8
	s_cselect_b32 s6, s9, s6
	s_add_i32 s9, s8, 1
	s_cmp_ge_u32 s6, s4
	s_cselect_b32 s6, s9, s8
	s_xor_b32 s6, s6, s5
	s_add_i32 s8, s12, 63
	s_sub_i32 s53, s6, s5
	s_ashr_i32 s9, s8, 31
	s_mul_i32 s5, s53, s13
	s_sub_i32 s50, s3, s5
	s_lshr_b32 s3, s9, 26
	s_add_i32 s8, s8, s3
	s_abs_i32 s3, s14
	v_cvt_f32_u32_e32 v1, s3
	s_ashr_i32 s52, s12, 31
	s_lshr_b32 s6, s52, 26
	s_add_i32 s6, s12, s6
	v_rcp_iflag_f32_e32 v1, v1
	s_ashr_i32 s55, s14, 31
	s_ashr_i32 s54, s6, 6
	s_lshl_b32 s38, s2, 6
	v_mul_f32_e32 v1, 0x4f7ffffe, v1
	v_cvt_u32_f32_e32 v1, v1
	s_xor_b32 s2, s7, s55
	s_sub_i32 s6, 0, s3
	s_ashr_i32 s25, s8, 6
	v_readfirstlane_b32 s7, v1
	s_mul_i32 s6, s6, s7
	s_mul_hi_u32 s6, s7, s6
	s_add_i32 s7, s7, s6
	s_mul_hi_u32 s6, s4, s7
	s_mul_i32 s7, s6, s3
	s_sub_i32 s4, s4, s7
	s_add_i32 s7, s6, 1
	s_sub_i32 s8, s4, s3
	s_cmp_ge_u32 s4, s3
	s_cselect_b32 s6, s7, s6
	s_cselect_b32 s4, s8, s4
	s_add_i32 s7, s6, 1
	s_cmp_ge_u32 s4, s3
	s_cselect_b32 s3, s7, s6
	s_xor_b32 s3, s3, s2
	s_sub_i32 s2, s3, s2
	s_abs_i32 s3, s2
	v_cvt_f32_u32_e32 v1, s3
	s_sub_i32 s6, 0, s3
	s_abs_i32 s4, s50
	s_xor_b32 s2, s50, s2
	v_rcp_iflag_f32_e32 v1, v1
	s_ashr_i32 s2, s2, 31
	v_or_b32_e32 v78, s38, v90
	v_lshlrev_b32_e32 v2, 7, v78
	v_mul_f32_e32 v1, 0x4f7ffffe, v1
	v_cvt_u32_f32_e32 v1, v1
	v_ashrrev_i32_e32 v3, 31, v2
	s_mul_i32 s57, s53, s25
	v_lshlrev_b32_e32 v91, 3, v0
	v_readfirstlane_b32 s7, v1
	s_mul_i32 s6, s6, s7
	s_mul_hi_u32 s6, s7, s6
	s_add_i32 s7, s7, s6
	s_mul_hi_u32 s6, s4, s7
	s_mul_i32 s7, s6, s3
	s_sub_i32 s4, s4, s7
	s_add_i32 s7, s6, 1
	s_sub_i32 s8, s4, s3
	s_cmp_ge_u32 s4, s3
	s_cselect_b32 s6, s7, s6
	s_cselect_b32 s4, s8, s4
	s_add_i32 s7, s6, 1
	s_cmp_ge_u32 s4, s3
	s_cselect_b32 s3, s7, s6
	s_xor_b32 s3, s3, s2
	s_sub_i32 s56, s3, s2
	s_ashr_i32 s24, s53, 31
	s_ashr_i32 s51, s50, 31
	s_mul_hi_i32 s2, s53, s13
	s_add_u32 s40, s5, s50
	s_addc_u32 s41, s2, s51
	s_lshl_b64 s[2:3], s[40:41], 16
	v_lshlrev_b32_e32 v1, 4, v88
	s_add_u32 s2, s16, s2
	v_lshl_or_b32 v93, v89, 2, v1
	s_addc_u32 s3, s17, s3
	v_lshl_add_u64 v[4:5], v[2:3], 2, s[2:3]
	v_lshlrev_b32_e32 v10, 2, v93
	v_lshl_add_u64 v[4:5], v[4:5], 0, v[10:11]
	global_load_dwordx4 v[22:25], v[4:5], off
	global_load_dwordx4 v[30:33], v[4:5], off offset:256
	v_or_b32_e32 v4, 0x800, v2
	v_ashrrev_i32_e32 v5, 31, v4
	v_lshl_add_u64 v[4:5], v[4:5], 2, s[2:3]
	v_lshl_add_u64 v[4:5], v[4:5], 0, v[10:11]
	global_load_dwordx4 v[14:17], v[4:5], off
	global_load_dwordx4 v[26:29], v[4:5], off offset:256
	v_or_b32_e32 v4, 0x1000, v2
	v_or_b32_e32 v2, 0x1800, v2
	v_ashrrev_i32_e32 v5, 31, v4
	v_ashrrev_i32_e32 v3, 31, v2
	v_lshl_add_u64 v[4:5], v[4:5], 2, s[2:3]
	v_lshl_add_u64 v[2:3], v[2:3], 2, s[2:3]
	;; [unrolled: 1-line block ×4, first 2 shown]
	global_load_dwordx4 v[6:9], v[4:5], off
	global_load_dwordx4 v[18:21], v[4:5], off offset:256
	s_nop 0
	global_load_dwordx4 v[2:5], v[34:35], off
	global_load_dwordx4 v[10:13], v[34:35], off offset:256
	s_load_dwordx8 s[4:11], s[0:1], 0x0
	s_load_dwordx2 s[30:31], s[0:1], 0x80
	v_or_b32_e32 v94, 64, v93
	s_cmp_lt_i32 s12, 64
	s_mul_i32 s58, s41, s12
	s_mul_hi_u32 s59, s40, s12
	s_mul_i32 s16, s40, s12
	s_mul_i32 s33, s53, s21
	s_mul_hi_u32 s46, s53, s20
	s_mul_i32 s41, s24, s20
	s_mul_i32 s36, s53, s20
	;; [unrolled: 1-line block ×3, first 2 shown]
	s_mul_hi_u32 s48, s50, s22
	s_mul_i32 s49, s51, s22
	s_mul_i32 s34, s50, s22
	s_cbranch_scc1 .LBB203_18
; %bb.1:
	s_add_i32 s17, s59, s58
	s_lshl_b64 s[2:3], s[16:17], 8
	v_and_b32_e32 v96, 56, v91
	s_waitcnt lgkmcnt(0)
	s_add_u32 s20, s6, s2
	v_lshl_or_b32 v95, v88, 3, v92
	v_lshlrev_b32_e32 v34, 1, v96
	s_addc_u32 s2, s7, s3
	v_lshl_or_b32 v97, v95, 8, v34
	s_and_b32 s21, s2, 0xffff
	s_mov_b32 s23, 0x20000
	s_movk_i32 s22, 0x4000
	s_movk_i32 s2, 0x80
	v_or_b32_e32 v98, 0x2000, v97
	buffer_load_dwordx4 v[36:39], v97, s[20:23], 0 offen
	buffer_load_dwordx4 v[40:43], v97, s[20:23], s2 offen
	;; [unrolled: 1-line block ×4, first 2 shown]
	v_lshlrev_b32_e32 v35, 3, v95
	v_and_or_b32 v53, v0, 7, v35
	v_and_b32_e32 v35, 0x78, v35
	v_lshlrev_b32_e32 v53, 4, v53
	v_xor_b32_e32 v99, v53, v35
	v_mul_lo_u32 v52, v95, s15
	v_or_b32_e32 v100, 0x1000, v99
	v_xor_b32_e32 v35, 8, v99
	s_cmpk_eq_i32 s15, 0x80
	s_mov_b32 s60, s14
	v_xor_b32_e32 v53, 8, v100
	s_cselect_b64 s[2:3], -1, 0
	s_cmpk_lg_i32 s15, 0x80
	s_waitcnt vmcnt(3)
	ds_write_b64 v99, v[36:37] offset:49152
	ds_write_b64 v35, v[38:39] offset:49152
	s_waitcnt vmcnt(2)
	ds_write_b64 v99, v[40:41] offset:57344
	ds_write_b64 v35, v[42:43] offset:57344
	;; [unrolled: 3-line block ×4, first 2 shown]
	v_lshl_add_u32 v35, v52, 1, v96
	s_cbranch_scc0 .LBB203_3
; %bb.2:
	v_lshlrev_b32_e32 v37, 1, v35
	v_add_lshl_u32 v36, v35, s15, 1
	s_lshl_b32 s22, s15, 7
	s_load_dwordx2 s[42:43], s[0:1], 0x20
	v_lshl_or_b32 v34, v95, 9, v34
	s_cbranch_execz .LBB203_4
	s_branch .LBB203_5
.LBB203_3:
                                        ; implicit-def: $vgpr36
                                        ; implicit-def: $vgpr37
                                        ; implicit-def: $sgpr22
	s_load_dwordx2 s[42:43], s[0:1], 0x20
	v_lshl_or_b32 v34, v95, 9, v34
.LBB203_4:
	v_or_b32_e32 v36, 0x100, v34
	s_movk_i32 s22, 0x4000
	v_mov_b32_e32 v37, v34
.LBB203_5:
	s_mul_hi_u32 s0, s14, s12
	s_mul_i32 s1, s55, s12
	s_add_i32 s0, s0, s1
	s_mul_i32 s1, s14, s12
	s_mul_i32 s20, s1, s24
	s_mul_hi_u32 s21, s1, s53
	s_add_i32 s20, s21, s20
	s_mul_i32 s0, s0, s53
	s_add_i32 s20, s20, s0
	s_mul_i32 s1, s1, s53
	s_ashr_i32 s61, s56, 31
	s_add_u32 s0, s1, s56
	s_addc_u32 s1, s20, s61
	s_lshl_b64 s[0:1], s[0:1], 8
	s_add_u32 s20, s4, s0
	s_addc_u32 s0, s5, s1
	s_and_b32 s21, s0, 0xffff
	s_movk_i32 s62, 0x80
	buffer_load_dwordx4 v[38:41], v37, s[20:23], 0 offen
	buffer_load_dwordx4 v[42:45], v37, s[20:23], s62 offen
	;; [unrolled: 1-line block ×4, first 2 shown]
	v_and_b32_e32 v37, 6, v0
	v_lshlrev_b32_e32 v36, 7, v93
	v_xor_b32_e32 v58, v95, v37
	v_and_b32_e32 v54, 1, v0
	v_lshl_or_b32 v61, v90, 3, v36
	v_lshlrev_b32_e32 v58, 2, v58
	v_or_b32_e32 v101, 0x4000, v61
	v_or_b32_e32 v102, 0x6000, v61
	v_xor_b32_e32 v61, 0x440, v58
	v_cmp_eq_u32_e32 vcc, 0, v54
	v_lshlrev_b32_e32 v55, 2, v90
	s_mov_b32 s65, 0x1000504
	v_cndmask_b32_e32 v54, v61, v58, vcc
	v_xor_b32_e32 v59, v93, v55
	v_xor_b32_e32 v60, v94, v55
	v_lshl_or_b32 v37, v37, 10, v54
	s_mov_b32 s66, 0x3020706
	v_lshlrev_b32_e32 v56, 8, v90
	v_or_b32_e32 v57, 16, v90
	v_lshlrev_b32_e32 v59, 1, v59
	v_lshlrev_b32_e32 v60, 1, v60
	v_xor_b32_e32 v54, 8, v37
	v_xor_b32_e32 v58, 24, v37
	v_xor_b32_e32 v63, 40, v37
	v_xor_b32_e32 v65, 56, v37
	s_mul_i32 s24, s24, s12
	s_mul_hi_u32 s0, s53, s12
	v_or_b32_e32 v104, v56, v59
	v_or_b32_e32 v105, v56, v60
	v_xor_b32_e32 v56, 16, v37
	v_xor_b32_e32 v61, 32, v37
	;; [unrolled: 1-line block ×3, first 2 shown]
	v_add_u32_e32 v54, 0x80, v54
	v_add_u32_e32 v58, 0x80, v58
	;; [unrolled: 1-line block ×4, first 2 shown]
	s_add_i32 s67, s0, s24
	s_add_i32 s0, s46, s33
	;; [unrolled: 1-line block ×5, first 2 shown]
	s_lshl_b64 s[0:1], s[36:37], 2
	s_add_u32 s20, s10, s0
	s_addc_u32 s21, s11, s1
	s_lshl_b64 s[0:1], s[34:35], 2
	s_add_u32 s44, s20, s0
	s_movk_i32 s0, 0xf8
	s_addc_u32 s45, s21, s1
	s_ashr_i32 s39, s38, 31
	s_lshl_b32 s26, s15, 7
	v_mov_b32_e32 v81, 0
	s_movk_i32 s20, 0x100
	v_lshlrev_b32_e32 v80, 4, v90
	v_ashrrev_i32_e32 v79, 31, v78
	s_mul_i32 s63, s53, s12
	v_lshl_or_b32 v62, v57, 3, v36
	s_mov_b32 s64, 0
	v_or_b32_e32 v103, 0x4000, v62
	s_movk_i32 s22, 0x4000
	v_or_b32_e32 v106, 0x6000, v62
	s_mov_b32 s37, 0x7060302
	s_movk_i32 s68, 0x3000
	v_mov_b32_e32 v146, 0x3fb8aa3b
	s_mov_b32 s70, 0
	s_waitcnt vmcnt(1)
	v_perm_b32 v66, v38, v46, s65
	s_waitcnt vmcnt(0)
	v_perm_b32 v67, v42, v50, s65
	v_perm_b32 v38, v38, v46, s66
	;; [unrolled: 1-line block ×15, first 2 shown]
	ds_write2st64_b32 v37, v66, v67 offset0:128 offset1:160
	ds_write2st64_b32 v54, v38, v42 offset0:128 offset1:160
	;; [unrolled: 1-line block ×8, first 2 shown]
	v_lshlrev_b32_e32 v37, 8, v57
	v_or_b32_e32 v107, v37, v59
	v_or_b32_e32 v108, v37, v60
	;; [unrolled: 1-line block ×3, first 2 shown]
	v_lshl_or_b32 v38, v37, 3, v36
	v_lshlrev_b32_e32 v37, 8, v37
	v_or_b32_e32 v111, v37, v59
	v_or_b32_e32 v112, v37, v60
	;; [unrolled: 1-line block ×5, first 2 shown]
	v_lshl_or_b32 v38, v37, 3, v36
	v_lshlrev_b32_e32 v37, 8, v37
	v_or_b32_e32 v115, v37, v59
	v_or_b32_e32 v116, v37, v60
	;; [unrolled: 1-line block ×3, first 2 shown]
	v_lshlrev_b32_e32 v37, 3, v37
	v_lshrrev_b32_e32 v39, 5, v77
	v_and_or_b32 v39, v37, s0, v39
	v_lshlrev_b32_e32 v39, 4, v39
	v_or_b32_e32 v113, 0x4000, v38
	v_or_b32_e32 v114, 0x6000, v38
	v_lshrrev_b32_e32 v38, 2, v77
	v_lshlrev_b32_e32 v41, 11, v88
	v_and_b32_e32 v37, 0x78, v37
	v_or_b32_e32 v45, 32, v39
	v_and_b32_e32 v40, 12, v38
	v_and_b32_e32 v38, 0x1000, v41
	v_xor_b32_e32 v42, v39, v37
	v_lshrrev_b32_e32 v43, 1, v77
	v_xor_b32_e32 v45, v45, v37
	v_or_b32_e32 v42, v42, v38
	v_and_b32_e32 v43, 8, v43
	v_or_b32_e32 v45, v45, v38
	v_xor_b32_e32 v117, v42, v43
	v_lshlrev_b32_e32 v42, 8, v89
	v_xor_b32_e32 v119, v45, v43
	v_or_b32_e32 v45, 64, v39
	v_or_b32_e32 v39, 0x60, v39
	;; [unrolled: 1-line block ×3, first 2 shown]
	v_xor_b32_e32 v45, v45, v37
	v_xor_b32_e32 v37, v39, v37
	s_lshl_b64 s[0:1], s[38:39], 8
	v_lshlrev_b32_e32 v44, 1, v44
	v_or_b32_e32 v45, v45, v38
	v_or_b32_e32 v37, v37, v38
	s_add_u32 s0, s18, s0
	v_lshlrev_b32_e32 v38, 1, v90
	v_lshlrev_b32_e32 v47, 2, v0
	v_or_b32_e32 v118, 0x4000, v44
	v_or_b32_e32 v120, 0x4080, v44
	;; [unrolled: 1-line block ×4, first 2 shown]
	v_xor_b32_e32 v123, v45, v43
	v_xor_b32_e32 v124, v37, v43
	v_or_b32_e32 v125, 0x6000, v44
	v_or_b32_e32 v126, 0x6080, v44
	;; [unrolled: 1-line block ×4, first 2 shown]
	v_lshlrev_b32_e32 v37, 1, v35
	v_add_lshl_u32 v35, v35, s15, 1
	v_or_b32_e32 v43, 0x100, v34
	v_lshrrev_b32_e32 v44, 4, v0
	s_addc_u32 s1, s19, s1
	v_or_b32_e32 v39, 1, v38
	v_lshrrev_b32_e32 v48, 1, v0
	v_and_or_b32 v42, v47, 60, v42
	v_xor_b32_e32 v45, v44, v38
	v_xor_b32_e32 v46, v39, v44
	v_lshl_add_u64 v[38:39], s[0:1], 0, v[80:81]
	v_and_b32_e32 v48, 24, v48
	v_lshlrev_b32_e32 v42, 1, v42
	v_cndmask_b32_e64 v135, v37, v34, s[2:3]
	v_cndmask_b32_e64 v136, v35, v43, s[2:3]
	v_mov_b32_e32 v35, 0xa000
	v_mov_b32_e32 v37, 0x8000
	v_cmp_gt_u32_e64 s[0:1], s20, v0
	v_lshlrev_b32_e32 v80, 8, v44
	v_or_b32_e32 v131, 0x6000, v42
	v_or_b32_e32 v47, 32, v48
	;; [unrolled: 1-line block ×6, first 2 shown]
	v_cndmask_b32_e64 v35, v35, v37, s[0:1]
	v_lshlrev_b32_e32 v37, 3, v88
	v_lshl_or_b32 v129, v45, 3, v80
	v_and_b32_e32 v45, 8, v0
	v_xor_b32_e32 v43, v37, v48
	v_xor_b32_e32 v47, v37, v47
	v_xor_b32_e32 v37, v37, v42
	v_mov_b32_e32 v49, 0x400
	v_cmp_eq_u32_e32 vcc, 0, v45
	v_or_b32_e32 v48, 0x440, v43
	v_or_b32_e32 v50, 0x440, v47
	v_xor_b32_e32 v42, 0x440, v37
	v_and_b32_e32 v44, 7, v0
	v_cndmask_b32_e64 v45, v49, 64, vcc
	v_cndmask_b32_e32 v48, v48, v43, vcc
	v_cndmask_b32_e32 v47, v50, v47, vcc
	;; [unrolled: 1-line block ×3, first 2 shown]
	v_lshl_or_b32 v130, v46, 3, v80
	v_lshlrev_b32_e32 v46, 3, v44
	v_or_b32_e32 v48, v48, v41
	v_or_b32_e32 v47, v47, v41
	v_or3_b32 v43, v41, v45, v43
	v_or_b32_e32 v37, v37, v41
	v_lshlrev_b32_e32 v44, 7, v44
	v_xor_b32_e32 v48, v48, v46
	v_xor_b32_e32 v47, v47, v46
	;; [unrolled: 1-line block ×4, first 2 shown]
	v_or_b32_e32 v34, v1, v40
	v_add_u32_e32 v49, v35, v48
	v_add_u32_e32 v50, v35, v47
	v_or_b32_e32 v137, v43, v44
	v_add_u32_e32 v41, v35, v37
	v_or3_b32 v40, v1, v40, 64
	v_add_u32_e32 v45, 0xa000, v48
	v_add_u32_e32 v46, 0xa000, v47
	;; [unrolled: 1-line block ×3, first 2 shown]
	v_lshlrev_b64 v[42:43], 1, v[78:79]
	v_lshl_add_u64 v[82:83], s[8:9], 0, v[42:43]
	v_lshl_add_u64 v[84:85], s[28:29], 0, v[42:43]
	;; [unrolled: 1-line block ×3, first 2 shown]
	s_add_i32 s35, s63, 63
	v_lshlrev_b32_e32 v80, 1, v36
	s_movk_i32 s39, 0x2000
	v_lshlrev_b32_e32 v79, 2, v34
	v_add_u32_e32 v138, v49, v44
	v_add_u32_e32 v139, v50, v44
	;; [unrolled: 1-line block ×4, first 2 shown]
	v_lshlrev_b32_e32 v142, 2, v40
	v_add_u32_e32 v143, v45, v44
	v_add_u32_e32 v144, v46, v44
	;; [unrolled: 1-line block ×3, first 2 shown]
	s_waitcnt lgkmcnt(0)
	s_barrier
.LBB203_6:                              ; =>This Inner Loop Header: Depth=1
	s_add_i32 s69, s70, 1
	s_cmp_lt_i32 s69, s54
	s_mov_b64 s[24:25], 0
	s_cselect_b64 s[2:3], -1, 0
	s_cmp_ge_i32 s69, s54
	s_mov_b64 s[20:21], 0
	s_cbranch_scc1 .LBB203_8
; %bb.7:                                ;   in Loop: Header=BB203_6 Depth=1
	s_add_i32 s0, s64, 64
	s_add_u32 s0, s16, s0
	s_addc_u32 s1, s17, 0
	s_lshl_b64 s[0:1], s[0:1], 8
	s_add_u32 s20, s6, s0
	s_addc_u32 s21, s7, s1
.LBB203_8:                              ;   in Loop: Header=BB203_6 Depth=1
	v_cndmask_b32_e64 v34, 0, 1, s[2:3]
	v_cmp_ne_u32_e64 s[0:1], 1, v34
	s_andn2_b64 vcc, exec, s[2:3]
	s_cbranch_vccnz .LBB203_10
; %bb.9:                                ;   in Loop: Header=BB203_6 Depth=1
	s_add_i32 s2, s64, 64
	s_add_u32 s2, s63, s2
	s_addc_u32 s3, s67, 0
	s_mul_i32 s24, s2, s55
	s_mul_hi_u32 s25, s2, s60
	s_add_i32 s24, s25, s24
	s_mul_i32 s3, s3, s60
	s_add_i32 s24, s24, s3
	s_mul_i32 s2, s2, s60
	s_add_u32 s2, s2, s56
	s_addc_u32 s3, s24, s61
	s_lshl_b64 s[2:3], s[2:3], 8
	s_add_u32 s24, s4, s2
	s_addc_u32 s25, s5, s3
.LBB203_10:                             ;   in Loop: Header=BB203_6 Depth=1
	v_perm_b32 v35, v25, v24, s37
	v_perm_b32 v34, v23, v22, s37
	v_perm_b32 v37, v33, v32, s37
	v_perm_b32 v36, v31, v30, s37
	ds_write_b64 v101, v[34:35]
	ds_write_b64 v102, v[36:37]
	ds_write_b64 v104, v[34:35]
	ds_write_b64 v105, v[36:37]
	v_perm_b32 v35, v17, v16, s37
	v_perm_b32 v34, v15, v14, s37
	v_perm_b32 v37, v29, v28, s37
	v_perm_b32 v36, v27, v26, s37
	ds_write_b64 v103, v[34:35]
	ds_write_b64 v106, v[36:37]
	ds_write_b64 v107, v[34:35]
	ds_write_b64 v108, v[36:37]
	;; [unrolled: 8-line block ×4, first 2 shown]
	s_waitcnt lgkmcnt(0)
	s_barrier
	ds_read_b64 v[38:39], v117 offset:49152
	ds_read2_b64 v[34:37], v118 offset1:16
	ds_read_b64 v[50:51], v120 offset:6144
	ds_read_b64 v[52:53], v118 offset:6144
	s_waitcnt lgkmcnt(2)
	v_mfma_f32_16x16x16_bf16 a[0:3], v[38:39], v[34:35], 0
	ds_read_b64 v[54:55], v119 offset:49152
	ds_read2st64_b64 v[42:45], v121 offset0:4 offset1:8
	ds_read2st64_b64 v[46:49], v122 offset0:4 offset1:8
	v_mfma_f32_16x16x16_bf16 a[4:7], v[38:39], v[36:37], 0
	ds_read2_b64 v[34:37], v118 offset0:32 offset1:48
	s_add_i32 s2, s64, 63
	s_mul_i32 s3, s2, s31
	s_waitcnt lgkmcnt(0)
	v_mfma_f32_16x16x16_bf16 a[8:11], v[38:39], v[34:35], 0
	s_mul_hi_u32 s27, s2, s30
	s_add_i32 s3, s27, s3
	s_mul_i32 s2, s2, s30
	v_mfma_f32_16x16x16_bf16 a[12:15], v[38:39], v[36:37], 0
	ds_read2st64_b64 v[34:37], v118 offset0:4 offset1:8
	ds_read2st64_b64 v[38:41], v120 offset0:4 offset1:8
	s_lshl_b64 s[2:3], s[2:3], 2
	s_waitcnt lgkmcnt(1)
	v_mfma_f32_16x16x16_bf16 a[0:3], v[54:55], v[34:35], a[0:3]
	s_add_u32 s2, s44, s2
	s_addc_u32 s3, s45, s3
	s_and_b64 vcc, exec, s[0:1]
	s_waitcnt lgkmcnt(0)
	v_mfma_f32_16x16x16_bf16 a[4:7], v[54:55], v[38:39], a[4:7]
	v_mov_b32_e32 v149, 0
	v_mov_b32_e32 v148, 0
	;; [unrolled: 1-line block ×3, first 2 shown]
	v_mfma_f32_16x16x16_bf16 a[8:11], v[54:55], v[42:43], a[8:11]
	ds_read_b64 v[34:35], v123 offset:49152
	ds_read_b64 v[38:39], v124 offset:49152
	;; [unrolled: 1-line block ×3, first 2 shown]
	v_mfma_f32_16x16x16_bf16 a[12:15], v[54:55], v[46:47], a[12:15]
	v_mov_b32_e32 v46, 0
	v_mov_b32_e32 v47, 0
	s_waitcnt lgkmcnt(2)
	v_mfma_f32_16x16x16_bf16 a[0:3], v[34:35], v[36:37], a[0:3]
	v_mov_b32_e32 v36, 0
	v_mov_b32_e32 v37, 0
	v_mfma_f32_16x16x16_bf16 a[4:7], v[34:35], v[40:41], a[4:7]
	v_mov_b32_e32 v40, 0
	v_mov_b32_e32 v41, 0
	;; [unrolled: 3-line block ×3, first 2 shown]
	v_mfma_f32_16x16x16_bf16 a[12:15], v[34:35], v[48:49], a[12:15]
	ds_read_b64 v[34:35], v121 offset:6144
	v_mov_b32_e32 v48, 0
	v_mov_b32_e32 v49, 0
	s_waitcnt lgkmcnt(2)
	v_mfma_f32_16x16x16_bf16 a[0:3], v[38:39], v[52:53], a[0:3]
	v_mfma_f32_16x16x16_bf16 a[4:7], v[38:39], v[50:51], a[4:7]
	s_waitcnt lgkmcnt(0)
	v_mfma_f32_16x16x16_bf16 a[8:11], v[38:39], v[34:35], a[8:11]
	v_mov_b32_e32 v34, 0
	v_mov_b32_e32 v35, 0
	v_mfma_f32_16x16x16_bf16 a[12:15], v[38:39], v[42:43], a[12:15]
	v_mov_b32_e32 v38, 0
	v_mov_b32_e32 v39, 0
	;; [unrolled: 1-line block ×4, first 2 shown]
	s_cbranch_vccnz .LBB203_12
; %bb.11:                               ;   in Loop: Header=BB203_6 Depth=1
	s_and_b32 s21, s21, 0xffff
	buffer_load_dwordx4 v[46:49], v97, s[20:23], 0 offen
	buffer_load_dwordx4 v[42:45], v97, s[20:23], s62 offen
	buffer_load_dwordx4 v[38:41], v98, s[20:23], 0 offen
	buffer_load_dwordx4 v[34:37], v98, s[20:23], s62 offen
	v_mov_b32_e32 v148, v99
	v_mov_b32_e32 v147, v100
.LBB203_12:                             ;   in Loop: Header=BB203_6 Depth=1
	ds_read_b64 v[70:71], v117 offset:57344
	ds_read2_b64 v[50:53], v125 offset1:16
	ds_read_b64 v[72:73], v119 offset:57344
	ds_read_b64 v[74:75], v123 offset:57344
	;; [unrolled: 1-line block ×3, first 2 shown]
	s_waitcnt lgkmcnt(3)
	v_mfma_f32_16x16x16_bf16 a[0:3], v[70:71], v[50:51], a[0:3]
	v_mfma_f32_16x16x16_bf16 a[4:7], v[70:71], v[52:53], a[4:7]
	ds_read2_b64 v[50:53], v125 offset0:32 offset1:48
	ds_read2st64_b64 v[54:57], v125 offset0:4 offset1:8
	ds_read2st64_b64 v[58:61], v126 offset0:4 offset1:8
	;; [unrolled: 1-line block ×4, first 2 shown]
	s_waitcnt lgkmcnt(4)
	v_mfma_f32_16x16x16_bf16 a[8:11], v[70:71], v[50:51], a[8:11]
	v_mfma_f32_16x16x16_bf16 a[12:15], v[70:71], v[52:53], a[12:15]
	v_add_u32_e32 v70, s64, v93
	v_ashrrev_i32_e32 v50, 31, v70
	v_mul_lo_u32 v52, v50, s30
	v_mul_lo_u32 v53, v70, s31
	v_mad_u64_u32 v[50:51], s[20:21], v70, s30, 0
	v_add3_u32 v51, v51, v53, v52
	v_add_u32_e32 v52, 1, v70
	v_ashrrev_i32_e32 v53, 31, v52
	s_waitcnt lgkmcnt(3)
	v_mfma_f32_16x16x16_bf16 a[0:3], v[72:73], v[54:55], a[0:3]
	v_mul_lo_u32 v54, v53, s30
	v_mul_lo_u32 v55, v52, s31
	v_mad_u64_u32 v[52:53], s[20:21], v52, s30, 0
	v_add3_u32 v53, v53, v55, v54
	v_add_u32_e32 v54, 2, v70
	v_ashrrev_i32_e32 v55, 31, v54
	s_waitcnt lgkmcnt(2)
	v_mfma_f32_16x16x16_bf16 a[4:7], v[72:73], v[58:59], a[4:7]
	v_mul_lo_u32 v58, v55, s30
	v_mul_lo_u32 v59, v54, s31
	v_mad_u64_u32 v[54:55], s[20:21], v54, s30, 0
	v_add3_u32 v55, v55, v59, v58
	v_add_u32_e32 v58, 3, v70
	v_lshl_add_u64 v[50:51], v[50:51], 2, s[44:45]
	v_lshl_add_u64 v[52:53], v[52:53], 2, s[44:45]
	v_ashrrev_i32_e32 v59, 31, v58
	s_waitcnt lgkmcnt(1)
	v_mfma_f32_16x16x16_bf16 a[8:11], v[72:73], v[62:63], a[8:11]
	v_mul_lo_u32 v59, v59, s30
	global_load_dword v62, v[50:51], off
	v_mul_lo_u32 v63, v58, s31
	s_waitcnt lgkmcnt(0)
	v_mfma_f32_16x16x16_bf16 a[12:15], v[72:73], v[66:67], a[12:15]
	global_load_dword v66, v[52:53], off
	v_mad_u64_u32 v[50:51], s[20:21], v58, s30, 0
	v_add3_u32 v51, v51, v63, v59
	s_add_u32 s20, s16, s64
	v_lshl_add_u64 v[54:55], v[54:55], 2, s[44:45]
	v_lshl_add_u64 v[50:51], v[50:51], 2, s[44:45]
	s_addc_u32 s21, s17, 0
	global_load_dword v63, v[54:55], off
	global_load_dword v67, v[50:51], off
	s_lshl_b64 s[20:21], s[20:21], 8
	v_lshl_add_u64 v[50:51], v[82:83], 0, s[20:21]
	v_lshl_add_u64 v[50:51], v[50:51], 0, v[80:81]
	global_load_ushort v70, v[50:51], off offset:256
	global_load_ushort v71, v[50:51], off
	global_load_ushort v72, v[50:51], off offset:768
	global_load_ushort v73, v[50:51], off offset:512
	;; [unrolled: 1-line block ×6, first 2 shown]
	s_load_dword s2, s[2:3], 0x0
	v_mfma_f32_16x16x16_bf16 a[12:15], v[74:75], v[68:69], a[12:15]
	global_load_ushort v68, v[50:51], off offset:320
	global_load_ushort v69, v[50:51], off offset:64
	s_and_b64 vcc, exec, s[0:1]
	v_mfma_f32_16x16x16_bf16 a[0:3], v[74:75], v[56:57], a[0:3]
	ds_read_b64 v[52:53], v125 offset:6144
	ds_read_b64 v[54:55], v126 offset:6144
	ds_read_b64 v[56:57], v127 offset:6144
	ds_read_b64 v[58:59], v128 offset:6144
	v_mfma_f32_16x16x16_bf16 a[4:7], v[74:75], v[60:61], a[4:7]
	s_waitcnt vmcnt(11) lgkmcnt(0)
	v_sub_f32_e32 v60, s2, v63
	v_mfma_f32_16x16x16_bf16 a[8:11], v[74:75], v[64:65], a[8:11]
	global_load_ushort v74, v[50:51], off offset:832
	global_load_ushort v75, v[50:51], off offset:576
	global_load_ushort v155, v[50:51], off offset:352
	global_load_ushort v156, v[50:51], off offset:96
	global_load_ushort v157, v[50:51], off offset:864
	global_load_ushort v158, v[50:51], off offset:608
	v_mfma_f32_16x16x16_bf16 a[0:3], v[150:151], v[52:53], a[0:3]
	s_waitcnt vmcnt(16)
	v_sub_f32_e32 v61, s2, v67
	v_mul_f32_e32 v60, 0x3fb8aa3b, v60
	v_mul_f32_e32 v61, 0x3fb8aa3b, v61
	v_exp_f32_e32 v60, v60
	v_exp_f32_e32 v61, v61
	s_waitcnt vmcnt(15)
	v_lshlrev_b32_e32 v65, 16, v70
	s_waitcnt vmcnt(14)
	v_lshlrev_b32_e32 v64, 16, v71
	v_accvgpr_read_b32 v53, a3
	v_accvgpr_read_b32 v52, a2
	v_mfma_f32_16x16x16_bf16 a[2:5], v[150:151], v[54:55], a[4:7]
	v_mfma_f32_16x16x16_bf16 a[6:9], v[150:151], v[56:57], a[8:11]
	s_nop 5
	v_accvgpr_read_b32 v55, a5
	v_accvgpr_read_b32 v54, a4
	;; [unrolled: 1-line block ×4, first 2 shown]
	v_mfma_f32_16x16x16_bf16 a[8:11], v[150:151], v[58:59], a[12:15]
	v_sub_f32_e32 v58, s2, v62
	v_sub_f32_e32 v59, s2, v66
	v_mul_f32_e32 v58, 0x3fb8aa3b, v58
	v_mul_f32_e32 v59, 0x3fb8aa3b, v59
	v_exp_f32_e32 v58, v58
	v_exp_f32_e32 v59, v59
	v_accvgpr_read_b32 v67, a1
	v_accvgpr_read_b32 v66, a0
	v_lshl_add_u64 v[62:63], v[84:85], 0, s[20:21]
	v_pk_add_f32 v[64:65], v[64:65], v[66:67] neg_lo:[0,1] neg_hi:[0,1]
	s_waitcnt vmcnt(13)
	v_lshlrev_b32_e32 v67, 16, v72
	s_waitcnt vmcnt(12)
	v_lshlrev_b32_e32 v66, 16, v73
	v_lshl_add_u64 v[62:63], v[62:63], 0, v[80:81]
	v_pk_add_f32 v[52:53], v[66:67], v[52:53] neg_lo:[0,1] neg_hi:[0,1]
	global_store_short_d16_hi v[62:63], v64, off
	global_store_short_d16_hi v[62:63], v65, off offset:256
	global_store_short_d16_hi v[62:63], v52, off offset:512
	;; [unrolled: 1-line block ×3, first 2 shown]
	v_pk_mul_f32 v[64:65], v[58:59], v[64:65]
	v_pk_mul_f32 v[52:53], v[60:61], v[52:53]
	v_accvgpr_read_b32 v67, a3
	v_perm_b32 v53, v53, v52, s37
	v_perm_b32 v52, v65, v64, s37
	s_waitcnt vmcnt(15)
	v_lshlrev_b32_e32 v65, 16, v76
	s_waitcnt vmcnt(14)
	v_lshlrev_b32_e32 v64, 16, v152
	v_accvgpr_read_b32 v66, a2
	v_pk_add_f32 v[64:65], v[64:65], v[66:67] neg_lo:[0,1] neg_hi:[0,1]
	s_waitcnt vmcnt(13)
	v_lshlrev_b32_e32 v67, 16, v153
	s_waitcnt vmcnt(12)
	v_lshlrev_b32_e32 v66, 16, v154
	v_pk_add_f32 v[54:55], v[66:67], v[54:55] neg_lo:[0,1] neg_hi:[0,1]
	global_store_short_d16_hi v[62:63], v64, off offset:32
	global_store_short_d16_hi v[62:63], v65, off offset:288
	;; [unrolled: 1-line block ×4, first 2 shown]
	v_pk_mul_f32 v[64:65], v[58:59], v[64:65]
	v_pk_mul_f32 v[54:55], v[60:61], v[54:55]
	v_accvgpr_read_b32 v57, a11
	v_perm_b32 v55, v55, v54, s37
	v_perm_b32 v54, v65, v64, s37
	ds_write2_b64 v102, v[52:53], v[54:55] offset1:16
	v_accvgpr_read_b32 v55, a7
	s_waitcnt vmcnt(15)
	v_lshlrev_b32_e32 v53, 16, v68
	s_waitcnt vmcnt(14)
	v_lshlrev_b32_e32 v52, 16, v69
	v_accvgpr_read_b32 v54, a6
	v_pk_add_f32 v[52:53], v[52:53], v[54:55] neg_lo:[0,1] neg_hi:[0,1]
	global_store_short_d16_hi v[62:63], v52, off offset:64
	global_store_short_d16_hi v[62:63], v53, off offset:320
	v_pk_mul_f32 v[52:53], v[58:59], v[52:53]
	v_accvgpr_read_b32 v56, a10
	v_perm_b32 v52, v53, v52, s37
	v_mov_b32_e32 v150, 0
	v_mov_b32_e32 v64, 0
	;; [unrolled: 1-line block ×3, first 2 shown]
	s_waitcnt vmcnt(15)
	v_lshlrev_b32_e32 v55, 16, v74
	s_waitcnt vmcnt(14)
	v_lshlrev_b32_e32 v54, 16, v75
	v_pk_add_f32 v[50:51], v[54:55], v[50:51] neg_lo:[0,1] neg_hi:[0,1]
	global_store_short_d16_hi v[62:63], v50, off offset:576
	global_store_short_d16_hi v[62:63], v51, off offset:832
	v_pk_mul_f32 v[50:51], v[60:61], v[50:51]
	v_accvgpr_read_b32 v55, a9
	v_perm_b32 v53, v51, v50, s37
	s_waitcnt vmcnt(15)
	v_lshlrev_b32_e32 v51, 16, v155
	s_waitcnt vmcnt(14)
	v_lshlrev_b32_e32 v50, 16, v156
	v_accvgpr_read_b32 v54, a8
	v_pk_add_f32 v[50:51], v[50:51], v[54:55] neg_lo:[0,1] neg_hi:[0,1]
	s_waitcnt vmcnt(13)
	v_lshlrev_b32_e32 v55, 16, v157
	s_waitcnt vmcnt(12)
	v_lshlrev_b32_e32 v54, 16, v158
	v_pk_add_f32 v[54:55], v[54:55], v[56:57] neg_lo:[0,1] neg_hi:[0,1]
	global_store_short_d16_hi v[62:63], v50, off offset:96
	global_store_short_d16_hi v[62:63], v51, off offset:352
	global_store_short_d16_hi v[62:63], v54, off offset:608
	global_store_short_d16_hi v[62:63], v55, off offset:864
	v_pk_mul_f32 v[50:51], v[58:59], v[50:51]
	v_pk_mul_f32 v[54:55], v[60:61], v[54:55]
	v_mov_b32_e32 v56, 0
	v_perm_b32 v55, v55, v54, s37
	v_perm_b32 v54, v51, v50, s37
	ds_write2_b64 v102, v[52:53], v[54:55] offset0:32 offset1:48
	v_mov_b32_e32 v50, 0
	v_mov_b32_e32 v51, 0
	;; [unrolled: 1-line block ×13, first 2 shown]
	s_cbranch_vccnz .LBB203_14
; %bb.13:                               ;   in Loop: Header=BB203_6 Depth=1
	s_and_b32 s25, s25, 0xffff
	s_mov_b32 s27, s23
	buffer_load_dwordx4 v[62:65], v135, s[24:27], 0 offen
	buffer_load_dwordx4 v[54:57], v135, s[24:27], s62 offen
	;; [unrolled: 1-line block ×4, first 2 shown]
	v_mov_b32_e32 v149, v96
	v_mov_b32_e32 v150, v95
.LBB203_14:                             ;   in Loop: Header=BB203_6 Depth=1
	s_waitcnt lgkmcnt(0)
	s_barrier
	ds_read_b64 v[74:75], v138
	ds_read2_b64 v[66:69], v131 offset1:16
	ds_read_b64 v[168:169], v139
	ds_read_b64 v[170:171], v140
	;; [unrolled: 1-line block ×3, first 2 shown]
	ds_read2_b64 v[70:73], v131 offset0:32 offset1:48
	ds_read2st64_b64 v[152:155], v131 offset0:4 offset1:8
	ds_read2st64_b64 v[156:159], v132 offset0:4 offset1:8
	;; [unrolled: 1-line block ×4, first 2 shown]
	s_waitcnt lgkmcnt(8)
	v_mfma_f32_16x16x16_bf16 a[0:3], v[74:75], v[66:67], 0
	s_add_i32 s3, s57, s70
	s_mul_hi_i32 s21, s3, s13
	s_mul_i32 s3, s3, s13
	v_mfma_f32_16x16x16_bf16 a[4:7], v[74:75], v[68:69], 0
	s_add_u32 s20, s3, s50
	s_addc_u32 s21, s21, s51
	s_add_i32 s3, s35, s64
	s_waitcnt lgkmcnt(4)
	v_mfma_f32_16x16x16_bf16 a[8:11], v[74:75], v[70:71], 0
	s_lshl_b64 s[20:21], s[20:21], 15
	s_mul_hi_i32 s25, s3, s13
	s_mul_i32 s3, s3, s13
	v_mfma_f32_16x16x16_bf16 a[12:15], v[74:75], v[72:73], 0
	ds_read_b64 v[74:75], v131 offset:6144
	ds_read_b64 v[180:181], v132 offset:6144
	;; [unrolled: 1-line block ×4, first 2 shown]
	s_add_u32 s24, s3, s50
	s_waitcnt lgkmcnt(7)
	v_mfma_f32_16x16x16_bf16 a[0:3], v[168:169], v[152:153], a[0:3]
	s_addc_u32 s25, s25, s51
	s_lshl_b64 s[24:25], s[24:25], 9
	s_add_u32 s24, s42, s24
	s_waitcnt lgkmcnt(6)
	v_mfma_f32_16x16x16_bf16 a[4:7], v[168:169], v[156:157], a[4:7]
	s_addc_u32 s25, s43, s25
	v_lshl_add_u64 v[190:191], v[86:87], 0, s[20:21]
	s_waitcnt lgkmcnt(5)
	v_mfma_f32_16x16x16_bf16 a[8:11], v[168:169], v[160:161], a[8:11]
	s_waitcnt lgkmcnt(4)
	v_mfma_f32_16x16x16_bf16 a[12:15], v[168:169], v[164:165], a[12:15]
	ds_read_b64 v[168:169], v143
	ds_read_b64 v[178:179], v144
	;; [unrolled: 1-line block ×3, first 2 shown]
	s_waitcnt lgkmcnt(2)
	v_mfma_f32_16x16x16_bf16 a[16:19], v[168:169], v[66:67], 0
	v_mfma_f32_16x16x16_bf16 a[20:23], v[168:169], v[68:69], 0
	global_load_dwordx4 v[66:69], v142, s[24:25]
	v_mfma_f32_16x16x16_bf16 a[24:27], v[168:169], v[70:71], 0
	v_mfma_f32_16x16x16_bf16 a[28:31], v[168:169], v[72:73], 0
	global_load_dwordx4 v[70:73], v79, s[24:25]
	v_mfma_f32_16x16x16_bf16 a[0:3], v[170:171], v[154:155], a[0:3]
	v_mfma_f32_16x16x16_bf16 a[4:7], v[170:171], v[158:159], a[4:7]
	;; [unrolled: 1-line block ×8, first 2 shown]
	ds_read2st64_b64 v[168:171], v129 offset1:8
	ds_read2st64_b64 v[172:175], v130 offset1:8
	ds_read_b64 v[188:189], v137 offset:40960
	s_waitcnt lgkmcnt(2)
	v_mov_b32_e32 v176, v168
	v_mfma_f32_16x16x16_bf16 a[16:19], v[178:179], v[152:153], a[16:19]
	v_mov_b32_e32 v177, v169
	v_mfma_f32_16x16x16_bf16 a[20:23], v[178:179], v[156:157], a[20:23]
	v_mfma_f32_16x16x16_bf16 a[24:27], v[178:179], v[160:161], a[24:27]
	;; [unrolled: 1-line block ×3, first 2 shown]
	v_add_co_u32_e32 v164, vcc, s39, v190
	s_waitcnt lgkmcnt(1)
	v_mov_b32_e32 v178, v172
	s_waitcnt lgkmcnt(0)
	v_mfma_f32_16x16x16_bf16 a[16:19], v[188:189], v[154:155], a[16:19]
	ds_read2st64_b64 v[152:155], v129 offset0:16 offset1:24
	v_addc_co_u32_e32 v165, vcc, 0, v191, vcc
	v_mfma_f32_16x16x16_bf16 a[20:23], v[188:189], v[158:159], a[20:23]
	ds_read2st64_b64 v[156:159], v130 offset0:16 offset1:24
	v_mov_b32_e32 v179, v173
	v_mov_b32_e32 v172, v170
	v_mfma_f32_16x16x16_bf16 a[32:35], v[188:189], v[162:163], a[24:27]
	v_mov_b32_e32 v173, v171
	s_waitcnt lgkmcnt(0)
	v_mov_b32_e32 v162, v156
	v_mov_b32_e32 v163, v157
	v_mfma_f32_16x16x16_bf16 a[36:39], v[188:189], v[166:167], a[28:31]
	v_mov_b32_e32 v156, v154
	v_mov_b32_e32 v157, v155
	;; [unrolled: 1-line block ×3, first 2 shown]
	v_mfma_f32_16x16x16_bf16 a[24:27], v[186:187], v[74:75], a[16:19]
	v_add_co_u32_e32 v74, vcc, s68, v190
	v_mov_b32_e32 v161, v153
	v_mfma_f32_16x16x16_bf16 a[28:31], v[186:187], v[180:181], a[20:23]
	v_addc_co_u32_e32 v75, vcc, 0, v191, vcc
	global_store_dwordx4 v[74:75], v[156:159], off
	v_mfma_f32_16x16x16_bf16 a[16:19], v[186:187], v[182:183], a[32:35]
	s_waitcnt vmcnt(2)
	v_mov_b32_e32 v76, v69
	v_mov_b32_e32 v75, v68
	;; [unrolled: 1-line block ×3, first 2 shown]
	v_mfma_f32_16x16x16_bf16 a[20:23], v[186:187], v[184:185], a[36:39]
	s_and_b64 vcc, exec, s[0:1]
	global_store_dwordx4 v[190:191], v[176:179], off
	global_store_dwordx4 v[164:165], v[172:175], off offset:-4096
	global_store_dwordx4 v[164:165], v[160:163], off
	s_cbranch_vccnz .LBB203_16
; %bb.15:                               ;   in Loop: Header=BB203_6 Depth=1
	v_lshrrev_b32_e32 v67, 3, v149
	v_and_b32_e32 v67, 6, v67
	v_xor_b32_e32 v68, v67, v150
	v_lshlrev_b32_e32 v68, 2, v68
	v_and_b32_e32 v69, 8, v149
	v_xor_b32_e32 v149, 0x440, v68
	v_cmp_eq_u32_e32 vcc, 0, v69
	v_perm_b32 v69, v54, v50, s65
	s_nop 0
	v_cndmask_b32_e32 v68, v149, v68, vcc
	v_lshl_or_b32 v67, v67, 10, v68
	v_perm_b32 v68, v62, v58, s65
	s_barrier
	ds_write2st64_b32 v67, v68, v69 offset0:128 offset1:160
	v_xor_b32_e32 v68, 8, v67
	v_perm_b32 v58, v62, v58, s66
	v_perm_b32 v50, v54, v50, s66
	v_add_u32_e32 v54, 0x80, v68
	ds_write2st64_b32 v54, v58, v50 offset0:128 offset1:160
	v_xor_b32_e32 v50, 16, v67
	v_perm_b32 v54, v63, v59, s65
	v_perm_b32 v58, v55, v51, s65
	ds_write2st64_b32 v50, v54, v58 offset0:129 offset1:161
	v_xor_b32_e32 v50, 24, v67
	v_perm_b32 v54, v63, v59, s66
	v_perm_b32 v51, v55, v51, s66
	v_add_u32_e32 v50, 0x80, v50
	ds_write2st64_b32 v50, v54, v51 offset0:129 offset1:161
	v_xor_b32_e32 v50, 32, v67
	v_perm_b32 v51, v64, v60, s65
	v_perm_b32 v54, v56, v52, s65
	ds_write2st64_b32 v50, v51, v54 offset0:130 offset1:162
	v_xor_b32_e32 v50, 40, v67
	v_perm_b32 v51, v64, v60, s66
	v_perm_b32 v52, v56, v52, s66
	v_add_u32_e32 v50, 0x80, v50
	ds_write2st64_b32 v50, v51, v52 offset0:130 offset1:162
	v_xor_b32_e32 v50, 48, v67
	v_perm_b32 v51, v65, v61, s65
	v_perm_b32 v52, v57, v53, s65
	ds_write2st64_b32 v50, v51, v52 offset0:131 offset1:163
	v_xor_b32_e32 v50, 56, v67
	v_perm_b32 v51, v65, v61, s66
	v_perm_b32 v52, v57, v53, s66
	v_add_u32_e32 v50, 0x80, v50
	ds_write2st64_b32 v50, v51, v52 offset0:131 offset1:163
	ds_write_b64 v148, v[46:47] offset:49152
	v_xor_b32_e32 v46, 8, v148
	ds_write_b64 v46, v[48:49] offset:49152
	ds_write_b64 v148, v[42:43] offset:57344
	;; [unrolled: 1-line block ×4, first 2 shown]
	v_xor_b32_e32 v38, 8, v147
	ds_write_b64 v38, v[40:41] offset:49152
	ds_write_b64 v147, v[34:35] offset:57344
	;; [unrolled: 1-line block ×3, first 2 shown]
.LBB203_16:                             ;   in Loop: Header=BB203_6 Depth=1
	v_mul_f32_e32 v58, s2, v146
	v_exp_f32_e32 v68, v58
	s_waitcnt vmcnt(4)
	v_mul_f32_e32 v58, 0x3fb8aa3b, v70
	v_exp_f32_e32 v70, v58
	v_mul_f32_e32 v58, 0x3fb8aa3b, v71
	v_exp_f32_e32 v71, v58
	;; [unrolled: 2-line block ×4, first 2 shown]
	v_accvgpr_read_b32 v37, a3
	v_accvgpr_read_b32 v36, a2
	;; [unrolled: 1-line block ×4, first 2 shown]
	v_pk_mul_f32 v[70:71], v[68:69], v[70:71] op_sel_hi:[0,1]
	v_pk_mul_f32 v[72:73], v[68:69], v[72:73] op_sel_hi:[0,1]
	v_pk_fma_f32 v[22:23], v[22:23], v[70:71], v[34:35]
	v_pk_fma_f32 v[24:25], v[24:25], v[72:73], v[36:37]
	v_mul_f32_e32 v34, 0x3fb8aa3b, v66
	v_mul_f32_e32 v35, 0x3fb8aa3b, v74
	v_mul_f32_e32 v36, 0x3fb8aa3b, v75
	v_mul_f32_e32 v37, 0x3fb8aa3b, v76
	v_exp_f32_e32 v34, v34
	v_exp_f32_e32 v35, v35
	;; [unrolled: 1-line block ×4, first 2 shown]
	v_accvgpr_read_b32 v41, a7
	v_accvgpr_read_b32 v45, a11
	v_accvgpr_read_b32 v49, a15
	v_accvgpr_read_b32 v53, a27
	v_accvgpr_read_b32 v57, a31
	v_accvgpr_read_b32 v61, a19
	v_accvgpr_read_b32 v65, a23
	v_accvgpr_read_b32 v40, a6
	v_accvgpr_read_b32 v39, a5
	v_accvgpr_read_b32 v38, a4
	v_accvgpr_read_b32 v44, a10
	v_accvgpr_read_b32 v43, a9
	v_accvgpr_read_b32 v42, a8
	v_accvgpr_read_b32 v48, a14
	v_accvgpr_read_b32 v47, a13
	v_accvgpr_read_b32 v46, a12
	v_accvgpr_read_b32 v52, a26
	v_accvgpr_read_b32 v51, a25
	v_accvgpr_read_b32 v50, a24
	v_accvgpr_read_b32 v56, a30
	v_accvgpr_read_b32 v55, a29
	v_accvgpr_read_b32 v54, a28
	v_accvgpr_read_b32 v60, a18
	v_accvgpr_read_b32 v59, a17
	v_accvgpr_read_b32 v58, a16
	v_accvgpr_read_b32 v64, a22
	v_accvgpr_read_b32 v63, a21
	v_accvgpr_read_b32 v62, a20
	v_pk_mul_f32 v[34:35], v[68:69], v[34:35] op_sel_hi:[0,1]
	v_pk_mul_f32 v[36:37], v[68:69], v[36:37] op_sel_hi:[0,1]
	s_add_i32 s64, s64, 64
	v_pk_fma_f32 v[14:15], v[70:71], v[14:15], v[38:39]
	v_pk_fma_f32 v[16:17], v[72:73], v[16:17], v[40:41]
	;; [unrolled: 1-line block ×13, first 2 shown]
	s_cmp_eq_u32 s54, s69
	v_pk_fma_f32 v[12:13], v[36:37], v[12:13], v[64:65]
	s_cbranch_scc1 .LBB203_18
; %bb.17:                               ;   in Loop: Header=BB203_6 Depth=1
	s_mov_b32 s70, s69
	s_branch .LBB203_6
.LBB203_18:
	s_lshl_b32 s26, s54, 6
	s_sub_i32 s27, s12, s26
	s_cmp_gt_i32 s27, 0
	s_cbranch_scc0 .LBB203_99
; %bb.19:
	s_ashr_i32 s2, s26, 31
	s_cmpk_lg_i32 s15, 0x80
	s_cselect_b64 s[22:23], -1, 0
	s_and_b64 vcc, exec, s[22:23]
	s_cbranch_vccz .LBB203_21
; %bb.20:
	s_mul_i32 s1, s53, s12
	s_mul_hi_i32 s0, s53, s12
	s_add_u32 s1, s1, s26
	s_addc_u32 s0, s0, s2
	s_mul_i32 s3, s1, s55
	s_mul_hi_u32 s17, s1, s14
	s_add_i32 s3, s17, s3
	s_mul_i32 s0, s0, s14
	s_add_i32 s3, s3, s0
	s_mul_i32 s1, s1, s14
	s_ashr_i32 s0, s56, 31
	s_add_u32 s24, s1, s56
	s_addc_u32 s25, s3, s0
	s_cbranch_execz .LBB203_22
	s_branch .LBB203_23
.LBB203_21:
                                        ; implicit-def: $sgpr24_sgpr25
.LBB203_22:
	s_mul_hi_i32 s0, s53, s14
	s_mul_i32 s53, s53, s14
	s_ashr_i32 s1, s56, 31
	s_add_u32 s3, s53, s56
	s_addc_u32 s0, s0, s1
	s_mul_i32 s1, s3, s52
	s_mul_hi_u32 s14, s3, s12
	s_add_i32 s1, s14, s1
	s_mul_i32 s0, s0, s12
	s_add_i32 s1, s1, s0
	s_mul_i32 s3, s3, s12
	s_add_u32 s24, s3, s26
	s_addc_u32 s25, s1, s2
.LBB203_23:
	s_mul_i32 s0, s40, s52
	s_add_i32 s0, s59, s0
	s_add_i32 s3, s57, s54
	;; [unrolled: 1-line block ×3, first 2 shown]
	s_add_u32 s0, s16, s26
	s_addc_u32 s1, s1, s2
	v_lshlrev_b32_e32 v35, 6, v93
	v_lshlrev_b32_e32 v34, 2, v90
	s_mov_b32 s2, 0x7060302
	s_waitcnt vmcnt(7)
	v_perm_b32 v25, v25, v24, s2
	v_perm_b32 v24, v23, v22, s2
	s_waitcnt vmcnt(6)
	v_perm_b32 v22, v31, v30, s2
	v_or_b32_e32 v30, v35, v34
	v_xor_b32_e32 v36, v93, v34
	v_perm_b32 v23, v33, v32, s2
	v_lshlrev_b32_e32 v30, 1, v30
	ds_write2st64_b64 v30, v[24:25], v[22:23] offset0:32 offset1:48
	v_lshlrev_b32_e32 v30, 1, v36
	v_lshlrev_b32_e32 v31, 8, v90
	v_xor_b32_e32 v37, v94, v34
	v_or_b32_e32 v32, v30, v31
	ds_write_b64 v32, v[24:25]
	v_lshlrev_b32_e32 v24, 1, v37
	v_or_b32_e32 v25, v24, v31
	ds_write_b64 v25, v[22:23]
	v_or_b32_e32 v22, 16, v90
	v_lshlrev_b32_e32 v23, 2, v22
	v_or_b32_e32 v25, v35, v23
	s_waitcnt vmcnt(5)
	v_perm_b32 v17, v17, v16, s2
	v_perm_b32 v16, v15, v14, s2
	s_waitcnt vmcnt(4)
	v_perm_b32 v15, v29, v28, s2
	v_perm_b32 v14, v27, v26, s2
	v_lshlrev_b32_e32 v25, 1, v25
	v_lshlrev_b32_e32 v22, 8, v22
	ds_write2st64_b64 v25, v[16:17], v[14:15] offset0:32 offset1:48
	v_or_b32_e32 v25, v30, v22
	ds_write_b64 v25, v[16:17]
	v_or_b32_e32 v16, v24, v22
	ds_write_b64 v16, v[14:15]
	v_or_b32_e32 v14, 32, v90
	v_lshlrev_b32_e32 v22, 2, v14
	v_or_b32_e32 v15, v35, v22
	s_waitcnt vmcnt(3)
	v_perm_b32 v9, v9, v8, s2
	v_perm_b32 v8, v7, v6, s2
	s_waitcnt vmcnt(2)
	v_perm_b32 v7, v21, v20, s2
	v_perm_b32 v6, v19, v18, s2
	v_lshlrev_b32_e32 v15, 1, v15
	v_lshlrev_b32_e32 v14, 8, v14
	s_lshl_b64 s[20:21], s[0:1], 8
	ds_write2st64_b64 v15, v[8:9], v[6:7] offset0:32 offset1:48
	v_or_b32_e32 v15, v30, v14
	s_waitcnt lgkmcnt(0)
	s_add_u32 s0, s6, s20
	ds_write_b64 v15, v[8:9]
	v_or_b32_e32 v8, v24, v14
	s_addc_u32 s1, s7, s21
	ds_write_b64 v8, v[6:7]
	v_or_b32_e32 v6, 48, v90
	s_mul_hi_i32 s6, s3, s13
	s_mul_i32 s3, s3, s13
	s_waitcnt vmcnt(1)
	v_perm_b32 v5, v5, v4, s2
	v_perm_b32 v4, v3, v2, s2
	s_waitcnt vmcnt(0)
	v_perm_b32 v3, v13, v12, s2
	v_perm_b32 v2, v11, v10, s2
	v_lshlrev_b32_e32 v19, 2, v6
	s_add_u32 s2, s3, s50
	v_or_b32_e32 v7, v35, v19
	s_addc_u32 s3, s6, s51
	v_lshlrev_b32_e32 v7, 1, v7
	v_lshlrev_b32_e32 v6, 8, v6
	s_ashr_i32 s39, s38, 31
	s_lshl_b64 s[2:3], s[2:3], 15
	ds_write2st64_b64 v7, v[4:5], v[2:3] offset0:32 offset1:48
	v_or_b32_e32 v7, v30, v6
	s_add_u32 s6, s18, s2
	ds_write_b64 v7, v[4:5]
	v_or_b32_e32 v4, v24, v6
	s_addc_u32 s7, s19, s3
	s_lshl_b64 s[2:3], s[38:39], 8
	ds_write_b64 v4, v[2:3]
	s_add_u32 s2, s6, s2
	v_lshlrev_b32_e32 v3, 1, v90
	v_lshrrev_b32_e32 v2, 4, v0
	s_addc_u32 s3, s7, s3
	v_or_b32_e32 v4, 1, v3
	v_lshlrev_b32_e32 v10, 4, v90
	v_mov_b32_e32 v11, 0
	v_xor_b32_e32 v3, v2, v3
	v_xor_b32_e32 v6, v4, v2
	v_lshl_add_u64 v[12:13], s[2:3], 0, v[10:11]
	v_lshlrev_b32_e32 v10, 8, v2
	v_lshl_or_b32 v16, v3, 3, v10
	v_lshl_or_b32 v17, v6, 3, v10
	s_waitcnt lgkmcnt(0)
	s_barrier
	ds_read2st64_b64 v[2:5], v16 offset1:8
	ds_read2st64_b64 v[6:9], v17 offset1:8
	v_lshl_add_u64 v[14:15], v[12:13], 0, v[10:11]
	s_movk_i32 s2, 0x2000
	s_cmp_lg_u32 s27, 64
	s_waitcnt lgkmcnt(1)
	v_mov_b32_e32 v10, v2
	v_mov_b32_e32 v11, v3
	s_waitcnt lgkmcnt(0)
	v_mov_b32_e32 v12, v6
	v_mov_b32_e32 v13, v7
	global_store_dwordx4 v[14:15], v[10:13], off
	v_mov_b32_e32 v6, v4
	v_mov_b32_e32 v7, v5
	ds_read2st64_b64 v[2:5], v16 offset0:16 offset1:24
	ds_read2st64_b64 v[10:13], v17 offset0:16 offset1:24
	v_add_co_u32_e32 v16, vcc, s2, v14
	s_cselect_b64 s[6:7], -1, 0
	s_nop 0
	v_addc_co_u32_e32 v17, vcc, 0, v15, vcc
	global_store_dwordx4 v[16:17], v[6:9], off offset:-4096
	v_lshl_or_b32 v24, v88, 3, v92
	s_mov_b32 s16, 0
	s_waitcnt lgkmcnt(1)
	v_mov_b32_e32 v6, v2
	v_add_co_u32_e32 v2, vcc, 0x3000, v14
	v_mov_b32_e32 v7, v3
	s_nop 0
	v_addc_co_u32_e32 v3, vcc, 0, v15, vcc
	s_waitcnt lgkmcnt(0)
	v_mov_b32_e32 v8, v10
	v_mov_b32_e32 v9, v11
	;; [unrolled: 1-line block ×4, first 2 shown]
	v_or_b32_e32 v20, 32, v24
	v_and_b32_e32 v18, 56, v91
	s_and_b64 vcc, exec, s[6:7]
	global_store_dwordx4 v[16:17], v[6:9], off
	global_store_dwordx4 v[2:3], v[10:13], off
	s_cbranch_vccz .LBB203_29
; %bb.24:
	s_mov_b32 s17, s16
	s_mov_b32 s18, s16
	;; [unrolled: 1-line block ×3, first 2 shown]
	v_mov_b64_e32 v[6:7], s[16:17]
	v_mov_b64_e32 v[8:9], s[18:19]
	;; [unrolled: 1-line block ×3, first 2 shown]
	v_cmp_gt_i32_e32 vcc, s27, v24
	v_mov_b64_e32 v[4:5], v[8:9]
	s_and_saveexec_b64 s[2:3], vcc
	s_cbranch_execz .LBB203_26
; %bb.25:
	v_lshlrev_b32_e32 v2, 8, v24
	v_mov_b32_e32 v3, 0
	v_lshl_add_u64 v[4:5], s[0:1], 0, v[2:3]
	v_lshlrev_b32_e32 v2, 1, v18
	v_lshl_add_u64 v[10:11], v[4:5], 0, v[2:3]
	global_load_dwordx4 v[6:9], v[10:11], off
	global_load_dwordx4 v[2:5], v[10:11], off offset:128
.LBB203_26:
	s_or_b64 exec, exec, s[2:3]
	s_mov_b32 s17, s16
	s_mov_b32 s18, s16
	;; [unrolled: 1-line block ×3, first 2 shown]
	v_mov_b64_e32 v[14:15], s[16:17]
	v_mov_b64_e32 v[16:17], s[18:19]
	;; [unrolled: 1-line block ×3, first 2 shown]
	v_cmp_gt_i32_e32 vcc, s27, v20
	v_lshlrev_b32_e32 v21, 7, v20
	v_mov_b64_e32 v[12:13], v[16:17]
	s_and_saveexec_b64 s[2:3], vcc
	s_cbranch_execz .LBB203_28
; %bb.27:
	v_lshlrev_b32_e32 v10, 1, v21
	v_mov_b32_e32 v11, 0
	v_lshl_add_u64 v[12:13], s[0:1], 0, v[10:11]
	v_lshlrev_b32_e32 v10, 1, v18
	v_lshl_add_u64 v[26:27], v[12:13], 0, v[10:11]
	global_load_dwordx4 v[14:17], v[26:27], off
	global_load_dwordx4 v[10:13], v[26:27], off offset:128
.LBB203_28:
	s_or_b64 exec, exec, s[2:3]
	v_lshrrev_b32_e32 v25, 3, v18
	v_lshlrev_b32_e32 v26, 3, v24
	v_or_b32_e32 v25, v26, v25
	v_lshlrev_b32_e32 v25, 4, v25
	v_and_b32_e32 v26, 0x78, v26
	v_xor_b32_e32 v25, v25, v26
	s_branch .LBB203_31
.LBB203_29:
                                        ; implicit-def: $vgpr25
                                        ; implicit-def: $vgpr21
                                        ; implicit-def: $vgpr6_vgpr7_vgpr8_vgpr9
                                        ; implicit-def: $vgpr2_vgpr3_vgpr4_vgpr5
                                        ; implicit-def: $vgpr14_vgpr15_vgpr16_vgpr17
                                        ; implicit-def: $vgpr10_vgpr11_vgpr12_vgpr13
	s_cbranch_execz .LBB203_31
; %bb.30:
	s_waitcnt vmcnt(0)
	v_lshlrev_b32_e32 v2, 1, v18
	v_lshl_or_b32 v21, v24, 8, v2
	s_and_b32 s1, s1, 0xffff
	s_mov_b32 s3, 0x20000
	s_movk_i32 s2, 0x4000
	v_lshl_or_b32 v25, v20, 8, v2
	s_movk_i32 s13, 0x80
	buffer_load_dwordx4 v[6:9], v21, s[0:3], 0 offen
	buffer_load_dwordx4 v[2:5], v21, s[0:3], s13 offen
	;; [unrolled: 1-line block ×4, first 2 shown]
	v_lshrrev_b32_e32 v21, 3, v18
	v_lshlrev_b32_e32 v25, 3, v24
	v_or_b32_e32 v21, v25, v21
	v_lshlrev_b32_e32 v21, 4, v21
	v_and_b32_e32 v25, 0x78, v25
	v_xor_b32_e32 v25, v21, v25
	v_lshlrev_b32_e32 v21, 7, v20
.LBB203_31:
	s_movk_i32 s0, 0x1000
	v_and_or_b32 v20, v21, s0, v25
	s_waitcnt vmcnt(1)
	ds_write_b64 v25, v[6:7] offset:49152
	v_xor_b32_e32 v6, 8, v25
	ds_write_b64 v6, v[8:9] offset:49152
	s_waitcnt vmcnt(0)
	ds_write_b64 v25, v[2:3] offset:57344
	ds_write_b64 v6, v[4:5] offset:57344
	;; [unrolled: 1-line block ×3, first 2 shown]
	v_xor_b32_e32 v2, 8, v20
	ds_write_b64 v2, v[16:17] offset:49152
	ds_write_b64 v20, v[10:11] offset:57344
	;; [unrolled: 1-line block ×3, first 2 shown]
	v_or_b32_e32 v2, v1, v90
	v_lshlrev_b32_e32 v3, 11, v88
	v_lshlrev_b32_e32 v2, 3, v2
	v_and_b32_e32 v6, 0x1000, v3
	v_lshrrev_b32_e32 v3, 5, v77
	s_movk_i32 s0, 0xf8
	v_and_or_b32 v3, v2, s0, v3
	v_lshlrev_b32_e32 v7, 4, v3
	v_and_b32_e32 v8, 0x78, v2
	v_or_b32_e32 v10, 32, v7
	v_lshrrev_b32_e32 v3, 1, v77
	v_xor_b32_e32 v10, v10, v8
	v_xor_b32_e32 v2, v7, v8
	v_and_b32_e32 v9, 8, v3
	v_or_b32_e32 v10, v10, v6
	v_or_b32_e32 v2, v2, v6
	v_xor_b32_e32 v27, v10, v9
	v_or_b32_e32 v10, 64, v7
	v_xor_b32_e32 v26, v2, v9
	v_xor_b32_e32 v10, v10, v8
	s_waitcnt lgkmcnt(0)
	s_barrier
	v_or_b32_e32 v13, v10, v6
	ds_read_b64 v[10:11], v26 offset:49152
	v_lshl_or_b32 v14, v89, 8, v34
	v_lshlrev_b32_e32 v25, 1, v14
	v_add_u32_e32 v12, 0x4000, v25
	ds_read2_b64 v[2:5], v12 offset1:16
	v_or_b32_e32 v7, 0x60, v7
	v_xor_b32_e32 v7, v7, v8
	v_or_b32_e32 v6, v7, v6
	v_xor_b32_e32 v28, v13, v9
	v_xor_b32_e32 v29, v6, v9
	ds_read_b64 v[20:21], v27 offset:49152
	ds_read_b64 v[36:37], v28 offset:49152
	;; [unrolled: 1-line block ×3, first 2 shown]
	s_waitcnt lgkmcnt(3)
	v_mfma_f32_16x16x16_bf16 a[0:3], v[10:11], v[2:3], 0
	ds_read2st64_b64 v[6:9], v25 offset0:36 offset1:40
	s_lshl_b64 s[0:1], s[24:25], 8
	s_add_u32 s4, s4, s0
	v_mfma_f32_16x16x16_bf16 a[4:7], v[10:11], v[4:5], 0
	ds_read2_b64 v[2:5], v12 offset0:32 offset1:48
	s_addc_u32 s5, s5, s1
	s_add_i32 s1, s46, s33
	s_waitcnt lgkmcnt(0)
	v_mfma_f32_16x16x16_bf16 a[8:11], v[10:11], v[2:3], 0
	v_or_b32_e32 v2, 64, v14
	v_lshlrev_b32_e32 v30, 1, v2
	s_add_i32 s0, s12, -1
	v_mfma_f32_16x16x16_bf16 a[12:15], v[10:11], v[4:5], 0
	ds_read2st64_b64 v[2:5], v30 offset0:36 offset1:40
	s_add_i32 s37, s1, s41
	s_add_i32 s1, s48, s47
	v_mfma_f32_16x16x16_bf16 a[0:3], v[20:21], v[6:7], a[0:3]
	v_or_b32_e32 v6, 0x80, v14
	v_lshlrev_b32_e32 v31, 1, v6
	ds_read2st64_b64 v[10:13], v31 offset0:36 offset1:40
	s_waitcnt lgkmcnt(1)
	v_mfma_f32_16x16x16_bf16 a[4:7], v[20:21], v[2:3], a[4:7]
	v_or_b32_e32 v2, 0xc0, v14
	v_lshlrev_b32_e32 v32, 1, v2
	ds_read2st64_b64 v[14:17], v32 offset0:36 offset1:40
	s_add_i32 s35, s1, s49
	s_ashr_i32 s1, s0, 31
	s_mul_i32 s2, s0, s31
	s_mul_hi_u32 s3, s0, s30
	s_add_i32 s2, s3, s2
	s_mul_i32 s1, s1, s30
	s_waitcnt lgkmcnt(1)
	v_mfma_f32_16x16x16_bf16 a[8:11], v[20:21], v[10:11], a[8:11]
	s_add_i32 s1, s2, s1
	s_lshl_b64 s[2:3], s[36:37], 2
	s_add_u32 s10, s10, s2
	s_waitcnt lgkmcnt(0)
	v_mfma_f32_16x16x16_bf16 a[12:15], v[20:21], v[14:15], a[12:15]
	s_addc_u32 s11, s11, s3
	s_lshl_b64 s[2:3], s[34:35], 2
	s_mul_i32 s0, s0, s30
	v_mfma_f32_16x16x16_bf16 a[0:3], v[36:37], v[8:9], a[0:3]
	ds_read_b64 v[2:3], v25 offset:22528
	s_add_u32 s10, s10, s2
	s_addc_u32 s11, s11, s3
	v_mfma_f32_16x16x16_bf16 a[4:7], v[36:37], v[4:5], a[4:7]
	ds_read_b64 v[4:5], v30 offset:22528
	ds_read_b64 v[6:7], v31 offset:22528
	;; [unrolled: 1-line block ×3, first 2 shown]
	s_lshl_b64 s[0:1], s[0:1], 2
	s_add_u32 s0, s10, s0
	v_mfma_f32_16x16x16_bf16 a[8:11], v[36:37], v[12:13], a[8:11]
	s_addc_u32 s1, s11, s1
	s_load_dword s12, s[0:1], 0x0
	s_and_b64 vcc, exec, s[22:23]
	v_mfma_f32_16x16x16_bf16 a[12:15], v[36:37], v[16:17], a[12:15]
	s_waitcnt lgkmcnt(0)
	v_mfma_f32_16x16x16_bf16 a[0:3], v[38:39], v[2:3], a[0:3]
	v_mfma_f32_16x16x16_bf16 a[4:7], v[38:39], v[4:5], a[4:7]
	;; [unrolled: 1-line block ×4, first 2 shown]
	s_cbranch_vccz .LBB203_42
; %bb.32:
	v_lshlrev_b32_e32 v20, 1, v24
	s_and_b64 vcc, exec, s[6:7]
	s_cbranch_vccz .LBB203_43
; %bb.33:
	v_cmp_gt_i32_e32 vcc, s27, v20
	v_mov_b32_e32 v6, 0
	v_mov_b32_e32 v2, 0
	;; [unrolled: 1-line block ×5, first 2 shown]
	s_and_saveexec_b64 s[0:1], vcc
	s_cbranch_execz .LBB203_35
; %bb.34:
	v_mad_i64_i32 v[2:3], s[2:3], s15, v20, 0
	v_lshl_add_u64 v[2:3], v[2:3], 1, s[4:5]
	v_lshlrev_b32_e32 v4, 1, v18
	v_mov_b32_e32 v5, 0
	v_lshl_add_u64 v[2:3], v[2:3], 0, v[4:5]
	global_load_dwordx4 v[2:5], v[2:3], off
.LBB203_35:
	s_or_b64 exec, exec, s[0:1]
	v_or_b32_e32 v21, 1, v20
	v_cmp_gt_i32_e64 s[0:1], s27, v21
	v_mov_b32_e32 v7, 0
	v_mov_b32_e32 v8, 0
	;; [unrolled: 1-line block ×3, first 2 shown]
	s_and_saveexec_b64 s[2:3], s[0:1]
	s_cbranch_execz .LBB203_37
; %bb.36:
	v_mad_i64_i32 v[6:7], s[16:17], s15, v21, 0
	v_lshl_add_u64 v[6:7], v[6:7], 1, s[4:5]
	v_lshlrev_b32_e32 v8, 1, v18
	v_mov_b32_e32 v9, 0
	v_lshl_add_u64 v[6:7], v[6:7], 0, v[8:9]
	global_load_dwordx4 v[6:9], v[6:7], off
.LBB203_37:
	s_or_b64 exec, exec, s[2:3]
	v_mov_b32_e32 v17, 0
	v_mov_b32_e32 v10, 0
	;; [unrolled: 1-line block ×5, first 2 shown]
	s_and_saveexec_b64 s[2:3], vcc
	s_cbranch_execz .LBB203_39
; %bb.38:
	v_mad_i64_i32 v[10:11], s[16:17], s15, v20, 0
	v_lshl_add_u64 v[10:11], v[10:11], 1, s[4:5]
	v_lshlrev_b32_e32 v12, 1, v18
	v_mov_b32_e32 v13, 0
	v_lshl_add_u64 v[10:11], v[10:11], 0, v[12:13]
	global_load_dwordx4 v[10:13], v[10:11], off offset:128
.LBB203_39:
	s_or_b64 exec, exec, s[2:3]
	v_mov_b32_e32 v16, 0
	v_mov_b32_e32 v15, 0
	;; [unrolled: 1-line block ×3, first 2 shown]
	s_and_saveexec_b64 s[2:3], s[0:1]
	s_cbranch_execz .LBB203_41
; %bb.40:
	v_mad_i64_i32 v[14:15], s[0:1], s15, v21, 0
	v_lshl_add_u64 v[14:15], v[14:15], 1, s[4:5]
	v_lshlrev_b32_e32 v16, 1, v18
	v_mov_b32_e32 v17, 0
	v_lshl_add_u64 v[14:15], v[14:15], 0, v[16:17]
	global_load_dwordx4 v[14:17], v[14:15], off offset:128
.LBB203_41:
	s_or_b64 exec, exec, s[2:3]
	s_branch .LBB203_45
.LBB203_42:
                                        ; implicit-def: $vgpr5
                                        ; implicit-def: $vgpr9
                                        ; implicit-def: $vgpr13
                                        ; implicit-def: $vgpr17
	v_lshrrev_b32_e32 v33, 2, v77
	s_branch .LBB203_46
.LBB203_43:
                                        ; implicit-def: $vgpr5
                                        ; implicit-def: $vgpr9
                                        ; implicit-def: $vgpr13
                                        ; implicit-def: $vgpr17
	s_cbranch_execz .LBB203_45
; %bb.44:
	s_waitcnt vmcnt(0)
	v_mad_u64_u32 v[2:3], s[0:1], v20, s15, v[18:19]
	v_lshlrev_b32_e32 v20, 1, v2
	s_lshl_b32 s2, s15, 7
	s_and_b32 s1, s5, 0xffff
	s_mov_b32 s3, 0x20000
	s_mov_b32 s0, s4
	v_add_lshl_u32 v21, v2, s15, 1
	s_movk_i32 s13, 0x80
	buffer_load_dwordx4 v[2:5], v20, s[0:3], 0 offen
	buffer_load_dwordx4 v[10:13], v20, s[0:3], s13 offen
	;; [unrolled: 1-line block ×4, first 2 shown]
.LBB203_45:
	v_lshrrev_b32_e32 v33, 2, v77
	s_cbranch_execnz .LBB203_58
.LBB203_46:
	s_and_b64 vcc, exec, s[6:7]
	s_cbranch_vccz .LBB203_56
; %bb.47:
	s_waitcnt vmcnt(0)
	v_lshlrev_b32_e32 v7, 1, v24
	v_cmp_gt_i32_e32 vcc, s27, v7
	v_mov_b32_e32 v6, 0
	v_lshlrev_b32_e32 v14, 9, v24
	v_mov_b32_e32 v2, 0
	v_mov_b32_e32 v3, 0
	;; [unrolled: 1-line block ×4, first 2 shown]
	s_and_saveexec_b64 s[0:1], vcc
	s_cbranch_execz .LBB203_49
; %bb.48:
	v_mov_b32_e32 v15, 0
	v_lshl_add_u64 v[2:3], s[4:5], 0, v[14:15]
	v_lshlrev_b32_e32 v4, 1, v18
	v_mov_b32_e32 v5, v15
	v_lshl_add_u64 v[2:3], v[2:3], 0, v[4:5]
	global_load_dwordx4 v[2:5], v[2:3], off
.LBB203_49:
	s_or_b64 exec, exec, s[0:1]
	v_or_b32_e32 v7, 1, v7
	v_cmp_gt_i32_e64 s[0:1], s27, v7
	v_lshlrev_b32_e32 v20, 8, v7
	v_mov_b32_e32 v7, 0
	v_mov_b32_e32 v8, 0
	;; [unrolled: 1-line block ×3, first 2 shown]
	s_and_saveexec_b64 s[2:3], s[0:1]
	s_cbranch_execz .LBB203_51
; %bb.50:
	v_mov_b32_e32 v21, 0
	v_lshl_add_u64 v[6:7], s[4:5], 0, v[20:21]
	v_lshlrev_b32_e32 v8, 1, v18
	v_mov_b32_e32 v9, v21
	v_lshl_add_u64 v[6:7], v[6:7], 0, v[8:9]
	global_load_dwordx4 v[6:9], v[6:7], off
.LBB203_51:
	s_or_b64 exec, exec, s[2:3]
	v_mov_b32_e32 v17, 0
	v_mov_b32_e32 v10, 0
	;; [unrolled: 1-line block ×5, first 2 shown]
	s_and_saveexec_b64 s[2:3], vcc
	s_cbranch_execz .LBB203_53
; %bb.52:
	v_mov_b32_e32 v15, 0
	v_lshl_add_u64 v[10:11], s[4:5], 0, v[14:15]
	v_lshlrev_b32_e32 v14, 1, v18
	v_lshl_add_u64 v[10:11], v[10:11], 0, v[14:15]
	global_load_dwordx4 v[10:13], v[10:11], off offset:128
.LBB203_53:
	s_or_b64 exec, exec, s[2:3]
	v_mov_b32_e32 v16, 0
	v_mov_b32_e32 v15, 0
	;; [unrolled: 1-line block ×3, first 2 shown]
	s_and_saveexec_b64 s[2:3], s[0:1]
	s_cbranch_execz .LBB203_55
; %bb.54:
	v_mov_b32_e32 v21, 0
	v_lshl_add_u64 v[14:15], s[4:5], 0, v[20:21]
	v_lshlrev_b32_e32 v20, 1, v18
	v_lshl_add_u64 v[14:15], v[14:15], 0, v[20:21]
	global_load_dwordx4 v[14:17], v[14:15], off offset:128
.LBB203_55:
	s_or_b64 exec, exec, s[2:3]
	s_branch .LBB203_58
.LBB203_56:
                                        ; implicit-def: $vgpr5
                                        ; implicit-def: $vgpr9
                                        ; implicit-def: $vgpr13
                                        ; implicit-def: $vgpr17
	s_cbranch_execz .LBB203_58
; %bb.57:
	s_waitcnt vmcnt(0)
	v_lshlrev_b32_e32 v2, 1, v18
	v_lshl_or_b32 v18, v24, 9, v2
	s_and_b32 s5, s5, 0xffff
	s_mov_b32 s7, 0x20000
	s_movk_i32 s6, 0x4000
	s_movk_i32 s0, 0x80
	buffer_load_dwordx4 v[2:5], v18, s[4:7], 0 offen
	buffer_load_dwordx4 v[6:9], v18, s[4:7], 0 offen offset:256
	buffer_load_dwordx4 v[10:13], v18, s[4:7], s0 offen
	buffer_load_dwordx4 v[14:17], v18, s[4:7], s0 offen offset:256
.LBB203_58:
	ds_read_b64 v[20:21], v26 offset:57344
	v_add_u32_e32 v18, 0x6000, v25
	ds_read2_b64 v[36:39], v18 offset1:16
	ds_read_b64 v[48:49], v27 offset:57344
	ds_read_b64 v[50:51], v28 offset:57344
	;; [unrolled: 1-line block ×3, first 2 shown]
	ds_read2_b64 v[26:29], v18 offset0:32 offset1:48
	v_and_b32_e32 v18, 6, v0
	v_xor_b32_e32 v24, v24, v18
	v_lshlrev_b32_e32 v24, 2, v24
	v_and_b32_e32 v0, 1, v0
	v_cmp_eq_u32_e32 vcc, 0, v0
	s_waitcnt lgkmcnt(4)
	v_mfma_f32_16x16x16_bf16 a[0:3], v[20:21], v[36:37], a[0:3]
	s_mov_b32 s0, 0x1000504
	s_mov_b32 s1, 0x3020706
	v_mfma_f32_16x16x16_bf16 a[4:7], v[20:21], v[38:39], a[4:7]
	ds_read2st64_b64 v[36:39], v25 offset0:52 offset1:56
	s_waitcnt lgkmcnt(1)
	v_mfma_f32_16x16x16_bf16 a[8:11], v[20:21], v[26:27], a[8:11]
	v_mfma_f32_16x16x16_bf16 a[12:15], v[20:21], v[28:29], a[12:15]
	ds_read2st64_b64 v[26:29], v30 offset0:52 offset1:56
	ds_read2st64_b64 v[40:43], v31 offset0:52 offset1:56
	;; [unrolled: 1-line block ×3, first 2 shown]
	s_waitcnt lgkmcnt(3)
	v_mfma_f32_16x16x16_bf16 a[0:3], v[48:49], v[36:37], a[0:3]
	ds_read_b64 v[20:21], v25 offset:30720
	ds_read_b64 v[36:37], v30 offset:30720
	;; [unrolled: 1-line block ×4, first 2 shown]
	v_xor_b32_e32 v25, 0x440, v24
	v_cndmask_b32_e32 v0, v25, v24, vcc
	s_waitcnt lgkmcnt(6)
	v_mfma_f32_16x16x16_bf16 a[4:7], v[48:49], v[26:27], a[4:7]
	v_lshl_or_b32 v0, v18, 10, v0
	s_waitcnt vmcnt(0)
	v_perm_b32 v18, v2, v6, s0
	v_perm_b32 v24, v10, v14, s0
	s_waitcnt lgkmcnt(5)
	v_mfma_f32_16x16x16_bf16 a[8:11], v[48:49], v[40:41], a[8:11]
	ds_write2st64_b32 v0, v18, v24 offset0:128 offset1:160
	v_xor_b32_e32 v18, 8, v0
	v_perm_b32 v2, v2, v6, s1
	s_waitcnt lgkmcnt(5)
	v_mfma_f32_16x16x16_bf16 a[12:15], v[48:49], v[44:45], a[12:15]
	v_perm_b32 v6, v10, v14, s1
	v_add_u32_e32 v10, 0x80, v18
	ds_write2st64_b32 v10, v2, v6 offset0:128 offset1:160
	v_mfma_f32_16x16x16_bf16 a[0:3], v[50:51], v[38:39], a[0:3]
	v_xor_b32_e32 v2, 16, v0
	v_perm_b32 v6, v3, v7, s0
	v_perm_b32 v10, v11, v15, s0
	v_mfma_f32_16x16x16_bf16 a[4:7], v[50:51], v[28:29], a[4:7]
	ds_write2st64_b32 v2, v6, v10 offset0:129 offset1:161
	v_xor_b32_e32 v2, 24, v0
	v_perm_b32 v3, v3, v7, s1
	v_mfma_f32_16x16x16_bf16 a[16:19], v[50:51], v[42:43], a[8:11]
	v_perm_b32 v6, v11, v15, s1
	v_add_u32_e32 v2, 0x80, v2
	ds_write2st64_b32 v2, v3, v6 offset0:129 offset1:161
	v_mfma_f32_16x16x16_bf16 a[20:23], v[50:51], v[46:47], a[12:15]
	v_xor_b32_e32 v2, 32, v0
	v_perm_b32 v3, v4, v8, s0
	v_perm_b32 v6, v12, v16, s0
	s_waitcnt lgkmcnt(7)
	v_mfma_f32_16x16x16_bf16 a[12:15], v[52:53], v[20:21], a[0:3]
	ds_write2st64_b32 v2, v3, v6 offset0:130 offset1:162
	v_xor_b32_e32 v2, 40, v0
	v_perm_b32 v3, v4, v8, s1
	s_waitcnt lgkmcnt(7)
	v_mfma_f32_16x16x16_bf16 a[8:11], v[52:53], v[36:37], a[4:7]
	v_perm_b32 v4, v12, v16, s1
	v_add_u32_e32 v2, 0x80, v2
	ds_write2st64_b32 v2, v3, v4 offset0:130 offset1:162
	s_waitcnt lgkmcnt(7)
	v_mfma_f32_16x16x16_bf16 a[4:7], v[52:53], v[30:31], a[16:19]
	v_xor_b32_e32 v2, 48, v0
	v_perm_b32 v3, v5, v9, s0
	v_perm_b32 v4, v13, v17, s0
	s_waitcnt lgkmcnt(6)
	v_mfma_f32_16x16x16_bf16 a[0:3], v[52:53], v[54:55], a[20:23]
	v_xor_b32_e32 v0, 56, v0
	v_and_or_b32 v21, v33, 12, v1
	ds_write2st64_b32 v2, v3, v4 offset0:131 offset1:163
	v_perm_b32 v2, v5, v9, s1
	v_perm_b32 v3, v13, v17, s1
	v_add_u32_e32 v0, 0x80, v0
	v_cmp_gt_i32_e32 vcc, s27, v21
	v_mov_b32_e32 v16, 0
	v_mov_b32_e32 v18, 0
	ds_write2st64_b32 v0, v2, v3 offset0:131 offset1:163
	s_and_saveexec_b64 s[0:1], vcc
	s_cbranch_execz .LBB203_60
; %bb.59:
	v_add_u32_e32 v0, s26, v21
	v_ashrrev_i32_e32 v1, 31, v0
	v_mul_lo_u32 v2, v1, s30
	v_mul_lo_u32 v3, v0, s31
	v_mad_u64_u32 v[0:1], s[2:3], v0, s30, 0
	v_add3_u32 v1, v1, v3, v2
	v_lshl_add_u64 v[0:1], v[0:1], 2, s[10:11]
	global_load_dword v0, v[0:1], off
	s_waitcnt vmcnt(0)
	v_sub_f32_e32 v0, s12, v0
	v_mul_f32_e32 v0, 0x3fb8aa3b, v0
	v_exp_f32_e32 v18, v0
.LBB203_60:
	s_or_b64 exec, exec, s[0:1]
	v_or_b32_e32 v10, 1, v21
	v_cmp_gt_i32_e64 s[0:1], s27, v10
	s_and_saveexec_b64 s[2:3], s[0:1]
	s_cbranch_execz .LBB203_62
; %bb.61:
	v_add_u32_e32 v0, s26, v10
	v_ashrrev_i32_e32 v1, 31, v0
	v_mul_lo_u32 v2, v1, s30
	v_mul_lo_u32 v3, v0, s31
	v_mad_u64_u32 v[0:1], s[4:5], v0, s30, 0
	v_add3_u32 v1, v1, v3, v2
	v_lshl_add_u64 v[0:1], v[0:1], 2, s[10:11]
	global_load_dword v0, v[0:1], off
	s_waitcnt vmcnt(0)
	v_sub_f32_e32 v0, s12, v0
	v_mul_f32_e32 v0, 0x3fb8aa3b, v0
	v_exp_f32_e32 v16, v0
.LBB203_62:
	s_or_b64 exec, exec, s[2:3]
	v_or_b32_e32 v12, 2, v21
	v_cmp_gt_i32_e64 s[2:3], s27, v12
	v_mov_b32_e32 v17, 0
	v_mov_b32_e32 v20, 0
	s_and_saveexec_b64 s[4:5], s[2:3]
	s_cbranch_execz .LBB203_64
; %bb.63:
	v_add_u32_e32 v0, s26, v12
	v_ashrrev_i32_e32 v1, 31, v0
	v_mul_lo_u32 v2, v1, s30
	v_mul_lo_u32 v3, v0, s31
	v_mad_u64_u32 v[0:1], s[6:7], v0, s30, 0
	v_add3_u32 v1, v1, v3, v2
	v_lshl_add_u64 v[0:1], v[0:1], 2, s[10:11]
	global_load_dword v0, v[0:1], off
	s_waitcnt vmcnt(0)
	v_sub_f32_e32 v0, s12, v0
	v_mul_f32_e32 v0, 0x3fb8aa3b, v0
	v_exp_f32_e32 v20, v0
.LBB203_64:
	s_or_b64 exec, exec, s[4:5]
	v_or_b32_e32 v14, 3, v21
	v_cmp_gt_i32_e64 s[4:5], s27, v14
	s_and_saveexec_b64 s[6:7], s[4:5]
	s_cbranch_execz .LBB203_66
; %bb.65:
	v_add_u32_e32 v0, s26, v14
	v_ashrrev_i32_e32 v1, 31, v0
	v_mul_lo_u32 v2, v1, s30
	v_mul_lo_u32 v3, v0, s31
	v_mad_u64_u32 v[0:1], s[14:15], v0, s30, 0
	v_add3_u32 v1, v1, v3, v2
	v_lshl_add_u64 v[0:1], v[0:1], 2, s[10:11]
	global_load_dword v0, v[0:1], off
	s_waitcnt vmcnt(0)
	v_sub_f32_e32 v0, s12, v0
	v_mul_f32_e32 v0, 0x3fb8aa3b, v0
	v_exp_f32_e32 v17, v0
.LBB203_66:
	s_or_b64 exec, exec, s[6:7]
	s_add_u32 s6, s8, s20
	s_addc_u32 s7, s9, s21
	s_add_u32 s8, s28, s20
	v_ashrrev_i32_e32 v79, 31, v78
	v_accvgpr_read_b32 v0, a12
	s_addc_u32 s9, s29, s21
	v_lshlrev_b64 v[4:5], 1, v[78:79]
	v_accvgpr_read_b32 v1, a13
	v_accvgpr_read_b32 v2, a14
	;; [unrolled: 1-line block ×3, first 2 shown]
	v_lshl_add_u64 v[6:7], s[6:7], 0, v[4:5]
	v_lshl_add_u64 v[4:5], s[8:9], 0, v[4:5]
	v_mov_b32_e32 v11, 0
	v_lshlrev_b32_e32 v8, 8, v21
	v_mov_b32_e32 v9, 0
	s_and_saveexec_b64 s[6:7], vcc
	s_cbranch_execz .LBB203_68
; %bb.67:
	v_mov_b32_e32 v9, 0
	v_lshl_add_u64 v[24:25], v[6:7], 0, v[8:9]
	global_load_ushort v13, v[24:25], off
	v_lshl_add_u64 v[24:25], v[4:5], 0, v[8:9]
	s_waitcnt vmcnt(0)
	v_lshlrev_b32_e32 v9, 16, v13
	v_sub_f32_e32 v0, v9, v0
	global_store_short_d16_hi v[24:25], v0, off
	v_mul_f32_e32 v0, v18, v0
	v_lshrrev_b32_e32 v9, 16, v0
.LBB203_68:
	s_or_b64 exec, exec, s[6:7]
	v_lshlrev_b32_e32 v10, 8, v10
	s_and_saveexec_b64 s[6:7], s[0:1]
	s_cbranch_execz .LBB203_70
; %bb.69:
	v_mov_b32_e32 v11, 0
	v_lshl_add_u64 v[24:25], v[6:7], 0, v[10:11]
	global_load_ushort v0, v[24:25], off
	v_lshl_add_u64 v[24:25], v[4:5], 0, v[10:11]
	s_waitcnt vmcnt(0)
	v_lshlrev_b32_e32 v0, 16, v0
	v_sub_f32_e32 v0, v0, v1
	global_store_short_d16_hi v[24:25], v0, off
	v_mul_f32_e32 v0, v16, v0
	v_lshrrev_b32_e32 v11, 16, v0
.LBB203_70:
	s_or_b64 exec, exec, s[6:7]
	v_mov_b32_e32 v15, 0
	v_lshlrev_b32_e32 v12, 8, v12
	v_mov_b32_e32 v13, 0
	s_and_saveexec_b64 s[6:7], s[2:3]
	s_cbranch_execz .LBB203_72
; %bb.71:
	v_mov_b32_e32 v13, 0
	v_lshl_add_u64 v[0:1], v[6:7], 0, v[12:13]
	global_load_ushort v24, v[0:1], off
	v_lshl_add_u64 v[0:1], v[4:5], 0, v[12:13]
	s_waitcnt vmcnt(0)
	v_lshlrev_b32_e32 v13, 16, v24
	v_sub_f32_e32 v2, v13, v2
	global_store_short_d16_hi v[0:1], v2, off
	v_mul_f32_e32 v0, v20, v2
	v_lshrrev_b32_e32 v13, 16, v0
.LBB203_72:
	s_or_b64 exec, exec, s[6:7]
	v_lshlrev_b32_e32 v14, 8, v14
	s_and_saveexec_b64 s[6:7], s[4:5]
	s_cbranch_execz .LBB203_74
; %bb.73:
	v_mov_b32_e32 v15, 0
	v_lshl_add_u64 v[0:1], v[6:7], 0, v[14:15]
	global_load_ushort v2, v[0:1], off
	v_lshl_add_u64 v[0:1], v[4:5], 0, v[14:15]
	s_waitcnt vmcnt(0)
	v_lshlrev_b32_e32 v2, 16, v2
	v_sub_f32_e32 v2, v2, v3
	global_store_short_d16_hi v[0:1], v2, off
	v_mul_f32_e32 v0, v17, v2
	v_lshrrev_b32_e32 v15, 16, v0
.LBB203_74:
	s_or_b64 exec, exec, s[6:7]
	v_lshlrev_b32_e32 v21, 6, v21
	s_mov_b32 s6, 0x5040100
	v_perm_b32 v24, v11, v9, s6
	v_or_b32_e32 v9, v21, v34
	v_accvgpr_read_b32 v0, a8
	v_perm_b32 v25, v15, v13, s6
	v_lshlrev_b32_e32 v9, 1, v9
	v_accvgpr_read_b32 v1, a9
	v_accvgpr_read_b32 v2, a10
	;; [unrolled: 1-line block ×3, first 2 shown]
	ds_write_b64 v9, v[24:25] offset:24576
	v_mov_b32_e32 v11, 0
	v_mov_b32_e32 v9, 0
	s_and_saveexec_b64 s[6:7], vcc
	s_cbranch_execz .LBB203_76
; %bb.75:
	v_mov_b32_e32 v9, 0
	v_lshl_add_u64 v[24:25], v[6:7], 0, v[8:9]
	global_load_ushort v13, v[24:25], off offset:32
	v_lshl_add_u64 v[24:25], v[4:5], 0, v[8:9]
	s_waitcnt vmcnt(0)
	v_lshlrev_b32_e32 v9, 16, v13
	v_sub_f32_e32 v0, v9, v0
	global_store_short_d16_hi v[24:25], v0, off offset:32
	v_mul_f32_e32 v0, v18, v0
	v_lshrrev_b32_e32 v9, 16, v0
.LBB203_76:
	s_or_b64 exec, exec, s[6:7]
	s_and_saveexec_b64 s[6:7], s[0:1]
	s_cbranch_execz .LBB203_78
; %bb.77:
	v_mov_b32_e32 v11, 0
	v_lshl_add_u64 v[24:25], v[6:7], 0, v[10:11]
	global_load_ushort v0, v[24:25], off offset:32
	v_lshl_add_u64 v[24:25], v[4:5], 0, v[10:11]
	s_waitcnt vmcnt(0)
	v_lshlrev_b32_e32 v0, 16, v0
	v_sub_f32_e32 v0, v0, v1
	global_store_short_d16_hi v[24:25], v0, off offset:32
	v_mul_f32_e32 v0, v16, v0
	v_lshrrev_b32_e32 v11, 16, v0
.LBB203_78:
	s_or_b64 exec, exec, s[6:7]
	v_mov_b32_e32 v15, 0
	v_mov_b32_e32 v13, 0
	s_and_saveexec_b64 s[6:7], s[2:3]
	s_cbranch_execz .LBB203_80
; %bb.79:
	v_mov_b32_e32 v13, 0
	v_lshl_add_u64 v[0:1], v[6:7], 0, v[12:13]
	global_load_ushort v24, v[0:1], off offset:32
	v_lshl_add_u64 v[0:1], v[4:5], 0, v[12:13]
	s_waitcnt vmcnt(0)
	v_lshlrev_b32_e32 v13, 16, v24
	v_sub_f32_e32 v2, v13, v2
	global_store_short_d16_hi v[0:1], v2, off offset:32
	v_mul_f32_e32 v0, v20, v2
	v_lshrrev_b32_e32 v13, 16, v0
.LBB203_80:
	s_or_b64 exec, exec, s[6:7]
	s_and_saveexec_b64 s[6:7], s[4:5]
	s_cbranch_execz .LBB203_82
; %bb.81:
	v_mov_b32_e32 v15, 0
	v_lshl_add_u64 v[0:1], v[6:7], 0, v[14:15]
	global_load_ushort v2, v[0:1], off offset:32
	v_lshl_add_u64 v[0:1], v[4:5], 0, v[14:15]
	s_waitcnt vmcnt(0)
	v_lshlrev_b32_e32 v2, 16, v2
	v_sub_f32_e32 v2, v2, v3
	global_store_short_d16_hi v[0:1], v2, off offset:32
	v_mul_f32_e32 v0, v17, v2
	v_lshrrev_b32_e32 v15, 16, v0
.LBB203_82:
	s_or_b64 exec, exec, s[6:7]
	s_mov_b32 s6, 0x5040100
	v_perm_b32 v24, v11, v9, s6
	v_or_b32_e32 v9, v21, v23
	v_accvgpr_read_b32 v0, a4
	v_perm_b32 v25, v15, v13, s6
	v_lshlrev_b32_e32 v9, 1, v9
	v_accvgpr_read_b32 v1, a5
	v_accvgpr_read_b32 v2, a6
	v_accvgpr_read_b32 v3, a7
	ds_write_b64 v9, v[24:25] offset:24576
	v_mov_b32_e32 v11, 0
	v_mov_b32_e32 v9, 0
	s_and_saveexec_b64 s[6:7], vcc
	s_cbranch_execz .LBB203_84
; %bb.83:
	v_mov_b32_e32 v9, 0
	v_lshl_add_u64 v[24:25], v[6:7], 0, v[8:9]
	global_load_ushort v13, v[24:25], off offset:64
	v_lshl_add_u64 v[24:25], v[4:5], 0, v[8:9]
	s_waitcnt vmcnt(0)
	v_lshlrev_b32_e32 v9, 16, v13
	v_sub_f32_e32 v0, v9, v0
	global_store_short_d16_hi v[24:25], v0, off offset:64
	v_mul_f32_e32 v0, v18, v0
	v_lshrrev_b32_e32 v9, 16, v0
.LBB203_84:
	s_or_b64 exec, exec, s[6:7]
	s_and_saveexec_b64 s[6:7], s[0:1]
	s_cbranch_execz .LBB203_86
; %bb.85:
	v_mov_b32_e32 v11, 0
	v_lshl_add_u64 v[24:25], v[6:7], 0, v[10:11]
	global_load_ushort v0, v[24:25], off offset:64
	v_lshl_add_u64 v[24:25], v[4:5], 0, v[10:11]
	s_waitcnt vmcnt(0)
	v_lshlrev_b32_e32 v0, 16, v0
	v_sub_f32_e32 v0, v0, v1
	global_store_short_d16_hi v[24:25], v0, off offset:64
	v_mul_f32_e32 v0, v16, v0
	v_lshrrev_b32_e32 v11, 16, v0
.LBB203_86:
	s_or_b64 exec, exec, s[6:7]
	v_mov_b32_e32 v15, 0
	v_mov_b32_e32 v13, 0
	s_and_saveexec_b64 s[6:7], s[2:3]
	s_cbranch_execz .LBB203_88
; %bb.87:
	v_mov_b32_e32 v13, 0
	v_lshl_add_u64 v[0:1], v[6:7], 0, v[12:13]
	global_load_ushort v23, v[0:1], off offset:64
	v_lshl_add_u64 v[0:1], v[4:5], 0, v[12:13]
	s_waitcnt vmcnt(0)
	v_lshlrev_b32_e32 v13, 16, v23
	v_sub_f32_e32 v2, v13, v2
	global_store_short_d16_hi v[0:1], v2, off offset:64
	v_mul_f32_e32 v0, v20, v2
	v_lshrrev_b32_e32 v13, 16, v0
.LBB203_88:
	s_or_b64 exec, exec, s[6:7]
	s_and_saveexec_b64 s[6:7], s[4:5]
	s_cbranch_execz .LBB203_90
; %bb.89:
	v_mov_b32_e32 v15, 0
	v_lshl_add_u64 v[0:1], v[6:7], 0, v[14:15]
	global_load_ushort v2, v[0:1], off offset:64
	v_lshl_add_u64 v[0:1], v[4:5], 0, v[14:15]
	s_waitcnt vmcnt(0)
	v_lshlrev_b32_e32 v2, 16, v2
	v_sub_f32_e32 v2, v2, v3
	global_store_short_d16_hi v[0:1], v2, off offset:64
	v_mul_f32_e32 v0, v17, v2
	v_lshrrev_b32_e32 v15, 16, v0
.LBB203_90:
	s_or_b64 exec, exec, s[6:7]
	s_mov_b32 s6, 0x5040100
	v_perm_b32 v24, v11, v9, s6
	v_or_b32_e32 v9, v21, v22
	v_accvgpr_read_b32 v0, a0
	v_perm_b32 v25, v15, v13, s6
	v_lshlrev_b32_e32 v9, 1, v9
	v_accvgpr_read_b32 v1, a1
	v_accvgpr_read_b32 v2, a2
	;; [unrolled: 1-line block ×3, first 2 shown]
	ds_write_b64 v9, v[24:25] offset:24576
	v_mov_b32_e32 v11, 0
	v_mov_b32_e32 v9, 0
	s_and_saveexec_b64 s[6:7], vcc
	s_cbranch_execz .LBB203_92
; %bb.91:
	v_mov_b32_e32 v9, 0
	v_lshl_add_u64 v[22:23], v[6:7], 0, v[8:9]
	global_load_ushort v13, v[22:23], off offset:96
	v_lshl_add_u64 v[8:9], v[4:5], 0, v[8:9]
	s_waitcnt vmcnt(0)
	v_lshlrev_b32_e32 v13, 16, v13
	v_sub_f32_e32 v0, v13, v0
	global_store_short_d16_hi v[8:9], v0, off offset:96
	v_mul_f32_e32 v0, v18, v0
	v_lshrrev_b32_e32 v9, 16, v0
.LBB203_92:
	s_or_b64 exec, exec, s[6:7]
	s_and_saveexec_b64 s[6:7], s[0:1]
	s_cbranch_execz .LBB203_94
; %bb.93:
	v_mov_b32_e32 v11, 0
	v_lshl_add_u64 v[22:23], v[6:7], 0, v[10:11]
	global_load_ushort v0, v[22:23], off offset:96
	v_lshl_add_u64 v[10:11], v[4:5], 0, v[10:11]
	s_waitcnt vmcnt(0)
	v_lshlrev_b32_e32 v0, 16, v0
	v_sub_f32_e32 v0, v0, v1
	global_store_short_d16_hi v[10:11], v0, off offset:96
	v_mul_f32_e32 v0, v16, v0
	v_lshrrev_b32_e32 v11, 16, v0
.LBB203_94:
	s_or_b64 exec, exec, s[6:7]
	v_mov_b32_e32 v0, 0
	v_mov_b32_e32 v1, 0
	s_and_saveexec_b64 s[0:1], s[2:3]
	s_cbranch_execz .LBB203_96
; %bb.95:
	v_mov_b32_e32 v13, 0
	v_lshl_add_u64 v[22:23], v[6:7], 0, v[12:13]
	global_load_ushort v1, v[22:23], off offset:96
	v_lshl_add_u64 v[12:13], v[4:5], 0, v[12:13]
	s_waitcnt vmcnt(0)
	v_lshlrev_b32_e32 v1, 16, v1
	v_sub_f32_e32 v1, v1, v2
	global_store_short_d16_hi v[12:13], v1, off offset:96
	v_mul_f32_e32 v1, v20, v1
	v_lshrrev_b32_e32 v1, 16, v1
.LBB203_96:
	s_or_b64 exec, exec, s[0:1]
	s_and_saveexec_b64 s[0:1], s[4:5]
	s_cbranch_execz .LBB203_98
; %bb.97:
	v_mov_b32_e32 v15, 0
	v_lshl_add_u64 v[6:7], v[6:7], 0, v[14:15]
	global_load_ushort v0, v[6:7], off offset:96
	v_lshl_add_u64 v[4:5], v[4:5], 0, v[14:15]
	s_waitcnt vmcnt(0)
	v_lshlrev_b32_e32 v0, 16, v0
	v_sub_f32_e32 v0, v0, v3
	global_store_short_d16_hi v[4:5], v0, off offset:96
	v_mul_f32_e32 v0, v17, v0
	v_lshrrev_b32_e32 v0, 16, v0
.LBB203_98:
	s_or_b64 exec, exec, s[0:1]
	s_mov_b32 s0, 0x5040100
	v_or_b32_e32 v2, v21, v19
	v_perm_b32 v1, v0, v1, s0
	v_perm_b32 v0, v11, v9, s0
	v_lshlrev_b32_e32 v2, 1, v2
	ds_write_b64 v2, v[0:1] offset:24576
	s_waitcnt lgkmcnt(0)
	s_barrier
.LBB203_99:
	s_endpgm
	.section	.rodata,"a",@progbits
	.p2align	6, 0x0
	.amdhsa_kernel _ZN12_GLOBAL__N_139chunk_gated_delta_rule_fwd_h_hip_kernelILi64ELb1ELb0ELb1ELb0ELb0ELb1ELb1ELb0EEEvPK12hip_bfloat16S3_S3_PKfS5_PKvPS1_S8_PvPKiSB_iiiiilll
		.amdhsa_group_segment_fixed_size 65536
		.amdhsa_private_segment_fixed_size 0
		.amdhsa_kernarg_size 136
		.amdhsa_user_sgpr_count 2
		.amdhsa_user_sgpr_dispatch_ptr 0
		.amdhsa_user_sgpr_queue_ptr 0
		.amdhsa_user_sgpr_kernarg_segment_ptr 1
		.amdhsa_user_sgpr_dispatch_id 0
		.amdhsa_user_sgpr_kernarg_preload_length 0
		.amdhsa_user_sgpr_kernarg_preload_offset 0
		.amdhsa_user_sgpr_private_segment_size 0
		.amdhsa_uses_dynamic_stack 0
		.amdhsa_enable_private_segment 0
		.amdhsa_system_sgpr_workgroup_id_x 1
		.amdhsa_system_sgpr_workgroup_id_y 1
		.amdhsa_system_sgpr_workgroup_id_z 0
		.amdhsa_system_sgpr_workgroup_info 0
		.amdhsa_system_vgpr_workitem_id 0
		.amdhsa_next_free_vgpr 232
		.amdhsa_next_free_sgpr 71
		.amdhsa_accum_offset 192
		.amdhsa_reserve_vcc 1
		.amdhsa_float_round_mode_32 0
		.amdhsa_float_round_mode_16_64 0
		.amdhsa_float_denorm_mode_32 3
		.amdhsa_float_denorm_mode_16_64 3
		.amdhsa_dx10_clamp 1
		.amdhsa_ieee_mode 1
		.amdhsa_fp16_overflow 0
		.amdhsa_tg_split 0
		.amdhsa_exception_fp_ieee_invalid_op 0
		.amdhsa_exception_fp_denorm_src 0
		.amdhsa_exception_fp_ieee_div_zero 0
		.amdhsa_exception_fp_ieee_overflow 0
		.amdhsa_exception_fp_ieee_underflow 0
		.amdhsa_exception_fp_ieee_inexact 0
		.amdhsa_exception_int_div_zero 0
	.end_amdhsa_kernel
	.section	.text._ZN12_GLOBAL__N_139chunk_gated_delta_rule_fwd_h_hip_kernelILi64ELb1ELb0ELb1ELb0ELb0ELb1ELb1ELb0EEEvPK12hip_bfloat16S3_S3_PKfS5_PKvPS1_S8_PvPKiSB_iiiiilll,"axG",@progbits,_ZN12_GLOBAL__N_139chunk_gated_delta_rule_fwd_h_hip_kernelILi64ELb1ELb0ELb1ELb0ELb0ELb1ELb1ELb0EEEvPK12hip_bfloat16S3_S3_PKfS5_PKvPS1_S8_PvPKiSB_iiiiilll,comdat
.Lfunc_end203:
	.size	_ZN12_GLOBAL__N_139chunk_gated_delta_rule_fwd_h_hip_kernelILi64ELb1ELb0ELb1ELb0ELb0ELb1ELb1ELb0EEEvPK12hip_bfloat16S3_S3_PKfS5_PKvPS1_S8_PvPKiSB_iiiiilll, .Lfunc_end203-_ZN12_GLOBAL__N_139chunk_gated_delta_rule_fwd_h_hip_kernelILi64ELb1ELb0ELb1ELb0ELb0ELb1ELb1ELb0EEEvPK12hip_bfloat16S3_S3_PKfS5_PKvPS1_S8_PvPKiSB_iiiiilll
                                        ; -- End function
	.section	.AMDGPU.csdata,"",@progbits
; Kernel info:
; codeLenInByte = 11536
; NumSgprs: 77
; NumVgprs: 192
; NumAgprs: 40
; TotalNumVgprs: 232
; ScratchSize: 0
; MemoryBound: 0
; FloatMode: 240
; IeeeMode: 1
; LDSByteSize: 65536 bytes/workgroup (compile time only)
; SGPRBlocks: 9
; VGPRBlocks: 28
; NumSGPRsForWavesPerEU: 77
; NumVGPRsForWavesPerEU: 232
; AccumOffset: 192
; Occupancy: 1
; WaveLimiterHint : 1
; COMPUTE_PGM_RSRC2:SCRATCH_EN: 0
; COMPUTE_PGM_RSRC2:USER_SGPR: 2
; COMPUTE_PGM_RSRC2:TRAP_HANDLER: 0
; COMPUTE_PGM_RSRC2:TGID_X_EN: 1
; COMPUTE_PGM_RSRC2:TGID_Y_EN: 1
; COMPUTE_PGM_RSRC2:TGID_Z_EN: 0
; COMPUTE_PGM_RSRC2:TIDIG_COMP_CNT: 0
; COMPUTE_PGM_RSRC3_GFX90A:ACCUM_OFFSET: 47
; COMPUTE_PGM_RSRC3_GFX90A:TG_SPLIT: 0
	.section	.text._ZN12_GLOBAL__N_139chunk_gated_delta_rule_fwd_h_hip_kernelILi64ELb1ELb0ELb0ELb0ELb0ELb1ELb1ELb0EEEvPK12hip_bfloat16S3_S3_PKfS5_PKvPS1_S8_PvPKiSB_iiiiilll,"axG",@progbits,_ZN12_GLOBAL__N_139chunk_gated_delta_rule_fwd_h_hip_kernelILi64ELb1ELb0ELb0ELb0ELb0ELb1ELb1ELb0EEEvPK12hip_bfloat16S3_S3_PKfS5_PKvPS1_S8_PvPKiSB_iiiiilll,comdat
	.globl	_ZN12_GLOBAL__N_139chunk_gated_delta_rule_fwd_h_hip_kernelILi64ELb1ELb0ELb0ELb0ELb0ELb1ELb1ELb0EEEvPK12hip_bfloat16S3_S3_PKfS5_PKvPS1_S8_PvPKiSB_iiiiilll ; -- Begin function _ZN12_GLOBAL__N_139chunk_gated_delta_rule_fwd_h_hip_kernelILi64ELb1ELb0ELb0ELb0ELb0ELb1ELb1ELb0EEEvPK12hip_bfloat16S3_S3_PKfS5_PKvPS1_S8_PvPKiSB_iiiiilll
	.p2align	8
	.type	_ZN12_GLOBAL__N_139chunk_gated_delta_rule_fwd_h_hip_kernelILi64ELb1ELb0ELb0ELb0ELb0ELb1ELb1ELb0EEEvPK12hip_bfloat16S3_S3_PKfS5_PKvPS1_S8_PvPKiSB_iiiiilll,@function
_ZN12_GLOBAL__N_139chunk_gated_delta_rule_fwd_h_hip_kernelILi64ELb1ELb0ELb0ELb0ELb0ELb1ELb1ELb0EEEvPK12hip_bfloat16S3_S3_PKfS5_PKvPS1_S8_PvPKiSB_iiiiilll: ; @_ZN12_GLOBAL__N_139chunk_gated_delta_rule_fwd_h_hip_kernelILi64ELb1ELb0ELb0ELb0ELb0ELb1ELb1ELb0EEEvPK12hip_bfloat16S3_S3_PKfS5_PKvPS1_S8_PvPKiSB_iiiiilll
; %bb.0:
	s_load_dwordx4 s[12:15], s[0:1], 0x5c
	s_load_dwordx4 s[16:19], s[0:1], 0x28
	s_abs_i32 s6, s3
	s_ashr_i32 s5, s3, 31
	v_and_b32_e32 v88, 15, v0
	s_waitcnt lgkmcnt(0)
	s_abs_i32 s4, s13
	v_cvt_f32_u32_e32 v1, s4
	s_sub_i32 s8, 0, s4
	s_ashr_i32 s7, s13, 31
	s_xor_b32 s5, s5, s7
	v_rcp_iflag_f32_e32 v1, v1
	v_lshrrev_b32_e32 v86, 6, v0
	v_bfe_u32 v87, v0, 4, 2
	v_mov_b32_e32 v11, 0
	v_mul_f32_e32 v1, 0x4f7ffffe, v1
	v_cvt_u32_f32_e32 v1, v1
	v_and_b32_e32 v77, 63, v0
	v_lshrrev_b32_e32 v90, 3, v77
	v_lshlrev_b32_e32 v89, 3, v0
	v_readfirstlane_b32 s9, v1
	s_mul_i32 s8, s8, s9
	s_mul_hi_u32 s8, s9, s8
	s_add_i32 s9, s9, s8
	s_mul_hi_u32 s8, s6, s9
	s_mul_i32 s9, s8, s4
	s_sub_i32 s6, s6, s9
	s_add_i32 s10, s8, 1
	s_sub_i32 s9, s6, s4
	s_cmp_ge_u32 s6, s4
	s_cselect_b32 s8, s10, s8
	s_cselect_b32 s6, s9, s6
	s_add_i32 s9, s8, 1
	s_cmp_ge_u32 s6, s4
	s_cselect_b32 s6, s9, s8
	s_xor_b32 s6, s6, s5
	s_sub_i32 s51, s6, s5
	s_mul_i32 s6, s51, s13
	s_sub_i32 s48, s3, s6
	s_abs_i32 s3, s14
	v_cvt_f32_u32_e32 v1, s3
	s_add_i32 s8, s12, 63
	s_ashr_i32 s9, s8, 31
	s_lshr_b32 s5, s9, 26
	v_rcp_iflag_f32_e32 v1, v1
	s_ashr_i32 s50, s12, 31
	s_add_i32 s8, s8, s5
	s_lshr_b32 s5, s50, 26
	v_mul_f32_e32 v1, 0x4f7ffffe, v1
	v_cvt_u32_f32_e32 v1, v1
	s_add_i32 s5, s12, s5
	s_ashr_i32 s53, s14, 31
	s_ashr_i32 s52, s5, 6
	s_lshl_b32 s36, s2, 6
	s_xor_b32 s2, s7, s53
	s_sub_i32 s5, 0, s3
	v_readfirstlane_b32 s7, v1
	s_mul_i32 s5, s5, s7
	s_mul_hi_u32 s5, s7, s5
	s_add_i32 s7, s7, s5
	s_mul_hi_u32 s5, s4, s7
	s_mul_i32 s7, s5, s3
	s_sub_i32 s4, s4, s7
	s_ashr_i32 s25, s8, 6
	s_add_i32 s7, s5, 1
	s_sub_i32 s8, s4, s3
	s_cmp_ge_u32 s4, s3
	s_cselect_b32 s5, s7, s5
	s_cselect_b32 s4, s8, s4
	s_add_i32 s7, s5, 1
	s_cmp_ge_u32 s4, s3
	s_cselect_b32 s3, s7, s5
	s_xor_b32 s3, s3, s2
	s_sub_i32 s2, s3, s2
	s_abs_i32 s3, s2
	v_cvt_f32_u32_e32 v1, s3
	s_sub_i32 s5, 0, s3
	s_abs_i32 s4, s48
	s_xor_b32 s2, s48, s2
	v_rcp_iflag_f32_e32 v1, v1
	s_ashr_i32 s2, s2, 31
	v_or_b32_e32 v78, s36, v88
	v_lshlrev_b32_e32 v2, 7, v78
	v_mul_f32_e32 v1, 0x4f7ffffe, v1
	v_cvt_u32_f32_e32 v1, v1
	v_ashrrev_i32_e32 v3, 31, v2
	s_mul_i32 s55, s51, s25
	v_readfirstlane_b32 s7, v1
	s_mul_i32 s5, s5, s7
	s_mul_hi_u32 s5, s7, s5
	s_add_i32 s7, s7, s5
	s_mul_hi_u32 s5, s4, s7
	s_mul_i32 s7, s5, s3
	s_sub_i32 s4, s4, s7
	s_add_i32 s7, s5, 1
	s_sub_i32 s8, s4, s3
	s_cmp_ge_u32 s4, s3
	s_cselect_b32 s5, s7, s5
	s_cselect_b32 s4, s8, s4
	s_add_i32 s7, s5, 1
	s_cmp_ge_u32 s4, s3
	s_cselect_b32 s3, s7, s5
	s_xor_b32 s3, s3, s2
	s_sub_i32 s54, s3, s2
	s_ashr_i32 s24, s51, 31
	s_ashr_i32 s49, s48, 31
	s_mul_hi_i32 s2, s51, s13
	s_add_u32 s38, s6, s48
	s_addc_u32 s39, s2, s49
	s_lshl_b64 s[2:3], s[38:39], 16
	v_lshlrev_b32_e32 v1, 4, v86
	s_add_u32 s2, s16, s2
	v_lshl_or_b32 v91, v87, 2, v1
	s_addc_u32 s3, s17, s3
	v_lshl_add_u64 v[4:5], v[2:3], 2, s[2:3]
	v_lshlrev_b32_e32 v10, 2, v91
	v_lshl_add_u64 v[4:5], v[4:5], 0, v[10:11]
	global_load_dwordx4 v[22:25], v[4:5], off
	global_load_dwordx4 v[30:33], v[4:5], off offset:256
	v_or_b32_e32 v4, 0x800, v2
	v_ashrrev_i32_e32 v5, 31, v4
	v_lshl_add_u64 v[4:5], v[4:5], 2, s[2:3]
	v_lshl_add_u64 v[4:5], v[4:5], 0, v[10:11]
	global_load_dwordx4 v[14:17], v[4:5], off
	global_load_dwordx4 v[26:29], v[4:5], off offset:256
	v_or_b32_e32 v4, 0x1000, v2
	v_or_b32_e32 v2, 0x1800, v2
	v_ashrrev_i32_e32 v5, 31, v4
	v_ashrrev_i32_e32 v3, 31, v2
	v_lshl_add_u64 v[4:5], v[4:5], 2, s[2:3]
	v_lshl_add_u64 v[2:3], v[2:3], 2, s[2:3]
	;; [unrolled: 1-line block ×4, first 2 shown]
	global_load_dwordx4 v[6:9], v[4:5], off
	global_load_dwordx4 v[18:21], v[4:5], off offset:256
	s_nop 0
	global_load_dwordx4 v[2:5], v[34:35], off
	global_load_dwordx4 v[10:13], v[34:35], off offset:256
	s_load_dwordx8 s[4:11], s[0:1], 0x0
	s_load_dwordx2 s[28:29], s[0:1], 0x80
	s_load_dwordx4 s[20:23], s[0:1], 0x70
	v_or_b32_e32 v92, 64, v91
	s_cmp_lt_i32 s12, 64
	s_mul_i32 s56, s39, s12
	s_mul_hi_u32 s57, s38, s12
	s_mul_i32 s16, s38, s12
	s_waitcnt lgkmcnt(0)
	s_mul_i32 s33, s51, s21
	s_mul_hi_u32 s44, s51, s20
	s_mul_i32 s39, s24, s20
	s_mul_i32 s34, s51, s20
	;; [unrolled: 1-line block ×3, first 2 shown]
	s_mul_hi_u32 s46, s48, s22
	s_mul_i32 s47, s49, s22
	s_mul_i32 s30, s48, s22
	s_cbranch_scc1 .LBB204_18
; %bb.1:
	s_add_i32 s17, s57, s56
	s_lshl_b64 s[2:3], s[16:17], 8
	v_and_b32_e32 v94, 56, v89
	s_add_u32 s20, s6, s2
	v_lshl_or_b32 v93, v86, 3, v90
	v_lshlrev_b32_e32 v34, 1, v94
	s_addc_u32 s2, s7, s3
	v_lshl_or_b32 v95, v93, 8, v34
	s_and_b32 s21, s2, 0xffff
	s_mov_b32 s23, 0x20000
	s_movk_i32 s22, 0x4000
	s_movk_i32 s2, 0x80
	v_or_b32_e32 v96, 0x2000, v95
	buffer_load_dwordx4 v[36:39], v95, s[20:23], 0 offen
	buffer_load_dwordx4 v[40:43], v95, s[20:23], s2 offen
	;; [unrolled: 1-line block ×4, first 2 shown]
	v_lshlrev_b32_e32 v35, 3, v93
	v_and_or_b32 v53, v0, 7, v35
	v_and_b32_e32 v35, 0x78, v35
	v_lshlrev_b32_e32 v53, 4, v53
	v_xor_b32_e32 v97, v53, v35
	v_mul_lo_u32 v52, v93, s15
	v_or_b32_e32 v98, 0x1000, v97
	v_xor_b32_e32 v35, 8, v97
	s_cmpk_eq_i32 s15, 0x80
	s_mov_b32 s58, s14
	v_xor_b32_e32 v53, 8, v98
	s_cselect_b64 s[2:3], -1, 0
	s_cmpk_lg_i32 s15, 0x80
	s_waitcnt vmcnt(3)
	ds_write_b64 v97, v[36:37] offset:49152
	ds_write_b64 v35, v[38:39] offset:49152
	s_waitcnt vmcnt(2)
	ds_write_b64 v97, v[40:41] offset:57344
	ds_write_b64 v35, v[42:43] offset:57344
	s_waitcnt vmcnt(1)
	ds_write_b64 v97, v[44:45] offset:53248
	ds_write_b64 v53, v[46:47] offset:49152
	s_waitcnt vmcnt(0)
	ds_write_b64 v97, v[48:49] offset:61440
	ds_write_b64 v53, v[50:51] offset:57344
	v_lshl_add_u32 v35, v52, 1, v94
	s_cbranch_scc0 .LBB204_3
; %bb.2:
	v_lshlrev_b32_e32 v37, 1, v35
	v_add_lshl_u32 v36, v35, s15, 1
	s_lshl_b32 s22, s15, 7
	s_load_dwordx2 s[40:41], s[0:1], 0x20
	v_lshl_or_b32 v34, v93, 9, v34
	s_cbranch_execz .LBB204_4
	s_branch .LBB204_5
.LBB204_3:
                                        ; implicit-def: $vgpr36
                                        ; implicit-def: $vgpr37
                                        ; implicit-def: $sgpr22
	s_load_dwordx2 s[40:41], s[0:1], 0x20
	v_lshl_or_b32 v34, v93, 9, v34
.LBB204_4:
	v_or_b32_e32 v36, 0x100, v34
	s_movk_i32 s22, 0x4000
	v_mov_b32_e32 v37, v34
.LBB204_5:
	s_mul_hi_u32 s0, s14, s12
	s_mul_i32 s1, s53, s12
	s_add_i32 s0, s0, s1
	s_mul_i32 s1, s14, s12
	s_mul_i32 s20, s1, s24
	s_mul_hi_u32 s21, s1, s51
	s_add_i32 s20, s21, s20
	s_mul_i32 s0, s0, s51
	s_add_i32 s20, s20, s0
	s_mul_i32 s1, s1, s51
	s_ashr_i32 s59, s54, 31
	s_add_u32 s0, s1, s54
	s_addc_u32 s1, s20, s59
	s_lshl_b64 s[0:1], s[0:1], 8
	s_add_u32 s20, s4, s0
	s_addc_u32 s0, s5, s1
	s_and_b32 s21, s0, 0xffff
	s_movk_i32 s60, 0x80
	buffer_load_dwordx4 v[38:41], v37, s[20:23], 0 offen
	buffer_load_dwordx4 v[42:45], v37, s[20:23], s60 offen
	;; [unrolled: 1-line block ×4, first 2 shown]
	v_and_b32_e32 v37, 6, v0
	v_lshlrev_b32_e32 v36, 7, v91
	v_xor_b32_e32 v58, v93, v37
	v_and_b32_e32 v54, 1, v0
	v_lshl_or_b32 v61, v88, 3, v36
	v_lshlrev_b32_e32 v58, 2, v58
	v_or_b32_e32 v99, 0x4000, v61
	v_or_b32_e32 v100, 0x6000, v61
	v_xor_b32_e32 v61, 0x440, v58
	v_cmp_eq_u32_e32 vcc, 0, v54
	v_lshlrev_b32_e32 v55, 2, v88
	s_mov_b32 s63, 0x1000504
	v_cndmask_b32_e32 v54, v61, v58, vcc
	v_xor_b32_e32 v59, v91, v55
	v_xor_b32_e32 v60, v92, v55
	v_lshl_or_b32 v37, v37, 10, v54
	s_mov_b32 s64, 0x3020706
	v_lshlrev_b32_e32 v56, 8, v88
	v_or_b32_e32 v57, 16, v88
	v_lshlrev_b32_e32 v59, 1, v59
	v_lshlrev_b32_e32 v60, 1, v60
	v_xor_b32_e32 v54, 8, v37
	v_xor_b32_e32 v58, 24, v37
	;; [unrolled: 1-line block ×4, first 2 shown]
	s_mul_i32 s24, s24, s12
	s_mul_hi_u32 s0, s51, s12
	v_or_b32_e32 v102, v56, v59
	v_or_b32_e32 v103, v56, v60
	v_xor_b32_e32 v56, 16, v37
	v_xor_b32_e32 v61, 32, v37
	;; [unrolled: 1-line block ×3, first 2 shown]
	v_add_u32_e32 v54, 0x80, v54
	v_add_u32_e32 v58, 0x80, v58
	;; [unrolled: 1-line block ×4, first 2 shown]
	s_add_i32 s65, s0, s24
	s_add_i32 s0, s44, s33
	s_add_i32 s35, s0, s39
	s_add_i32 s0, s46, s45
	s_add_i32 s31, s0, s47
	s_lshl_b64 s[0:1], s[34:35], 2
	s_add_u32 s20, s10, s0
	s_addc_u32 s21, s11, s1
	s_lshl_b64 s[0:1], s[30:31], 2
	s_add_u32 s42, s20, s0
	s_movk_i32 s0, 0xf8
	s_addc_u32 s43, s21, s1
	s_ashr_i32 s37, s36, 31
	s_lshl_b32 s26, s15, 7
	v_mov_b32_e32 v81, 0
	s_movk_i32 s20, 0x100
	v_lshlrev_b32_e32 v80, 4, v88
	s_mul_i32 s61, s51, s12
	v_lshl_or_b32 v62, v57, 3, v36
	v_ashrrev_i32_e32 v79, 31, v78
	s_mov_b32 s62, 0
	v_or_b32_e32 v101, 0x4000, v62
	s_movk_i32 s22, 0x4000
	v_or_b32_e32 v104, 0x6000, v62
	v_lshl_add_u64 v[82:83], v[78:79], 1, s[8:9]
	s_mov_b32 s35, 0x7060302
	s_movk_i32 s66, 0x3000
	v_mov_b32_e32 v144, 0x3fb8aa3b
	s_mov_b32 s68, 0
	s_waitcnt vmcnt(1)
	v_perm_b32 v66, v38, v46, s63
	s_waitcnt vmcnt(0)
	v_perm_b32 v67, v42, v50, s63
	v_perm_b32 v38, v38, v46, s64
	;; [unrolled: 1-line block ×15, first 2 shown]
	ds_write2st64_b32 v37, v66, v67 offset0:128 offset1:160
	ds_write2st64_b32 v54, v38, v42 offset0:128 offset1:160
	;; [unrolled: 1-line block ×8, first 2 shown]
	v_lshlrev_b32_e32 v37, 8, v57
	v_or_b32_e32 v105, v37, v59
	v_or_b32_e32 v106, v37, v60
	;; [unrolled: 1-line block ×3, first 2 shown]
	v_lshl_or_b32 v38, v37, 3, v36
	v_lshlrev_b32_e32 v37, 8, v37
	v_or_b32_e32 v109, v37, v59
	v_or_b32_e32 v110, v37, v60
	;; [unrolled: 1-line block ×5, first 2 shown]
	v_lshl_or_b32 v38, v37, 3, v36
	v_lshlrev_b32_e32 v37, 8, v37
	v_or_b32_e32 v113, v37, v59
	v_or_b32_e32 v114, v37, v60
	;; [unrolled: 1-line block ×3, first 2 shown]
	v_lshlrev_b32_e32 v37, 3, v37
	v_lshrrev_b32_e32 v39, 5, v77
	v_and_or_b32 v39, v37, s0, v39
	v_lshlrev_b32_e32 v39, 4, v39
	v_or_b32_e32 v111, 0x4000, v38
	v_or_b32_e32 v112, 0x6000, v38
	v_lshrrev_b32_e32 v38, 2, v77
	v_lshlrev_b32_e32 v41, 11, v86
	v_and_b32_e32 v37, 0x78, v37
	v_or_b32_e32 v45, 32, v39
	v_and_b32_e32 v40, 12, v38
	v_and_b32_e32 v38, 0x1000, v41
	v_xor_b32_e32 v42, v39, v37
	v_lshrrev_b32_e32 v43, 1, v77
	v_xor_b32_e32 v45, v45, v37
	v_or_b32_e32 v42, v42, v38
	v_and_b32_e32 v43, 8, v43
	v_or_b32_e32 v45, v45, v38
	v_xor_b32_e32 v115, v42, v43
	v_lshlrev_b32_e32 v42, 8, v87
	v_xor_b32_e32 v117, v45, v43
	v_or_b32_e32 v45, 64, v39
	v_or_b32_e32 v39, 0x60, v39
	;; [unrolled: 1-line block ×3, first 2 shown]
	v_xor_b32_e32 v45, v45, v37
	v_xor_b32_e32 v37, v39, v37
	s_lshl_b64 s[0:1], s[36:37], 8
	v_lshlrev_b32_e32 v44, 1, v44
	v_or_b32_e32 v45, v45, v38
	v_or_b32_e32 v37, v37, v38
	s_add_u32 s0, s18, s0
	v_lshlrev_b32_e32 v38, 1, v88
	v_lshlrev_b32_e32 v47, 2, v0
	v_or_b32_e32 v116, 0x4000, v44
	v_or_b32_e32 v118, 0x4080, v44
	;; [unrolled: 1-line block ×4, first 2 shown]
	v_xor_b32_e32 v121, v45, v43
	v_xor_b32_e32 v122, v37, v43
	v_or_b32_e32 v123, 0x6000, v44
	v_or_b32_e32 v124, 0x6080, v44
	;; [unrolled: 1-line block ×4, first 2 shown]
	v_lshlrev_b32_e32 v37, 1, v35
	v_add_lshl_u32 v35, v35, s15, 1
	v_or_b32_e32 v43, 0x100, v34
	v_lshrrev_b32_e32 v44, 4, v0
	s_addc_u32 s1, s19, s1
	v_or_b32_e32 v39, 1, v38
	v_lshrrev_b32_e32 v48, 1, v0
	v_and_or_b32 v42, v47, 60, v42
	v_xor_b32_e32 v45, v44, v38
	v_xor_b32_e32 v46, v39, v44
	v_lshl_add_u64 v[38:39], s[0:1], 0, v[80:81]
	v_and_b32_e32 v48, 24, v48
	v_lshlrev_b32_e32 v42, 1, v42
	v_cndmask_b32_e64 v133, v37, v34, s[2:3]
	v_cndmask_b32_e64 v134, v35, v43, s[2:3]
	v_mov_b32_e32 v35, 0xa000
	v_mov_b32_e32 v37, 0x8000
	v_cmp_gt_u32_e64 s[0:1], s20, v0
	v_lshlrev_b32_e32 v80, 8, v44
	v_or_b32_e32 v129, 0x6000, v42
	v_or_b32_e32 v47, 32, v48
	;; [unrolled: 1-line block ×6, first 2 shown]
	v_cndmask_b32_e64 v35, v35, v37, s[0:1]
	v_lshlrev_b32_e32 v37, 3, v86
	v_lshl_or_b32 v127, v45, 3, v80
	v_and_b32_e32 v45, 8, v0
	v_xor_b32_e32 v43, v37, v48
	v_xor_b32_e32 v47, v37, v47
	v_xor_b32_e32 v37, v37, v42
	v_mov_b32_e32 v49, 0x400
	v_cmp_eq_u32_e32 vcc, 0, v45
	v_or_b32_e32 v48, 0x440, v43
	v_or_b32_e32 v50, 0x440, v47
	v_xor_b32_e32 v42, 0x440, v37
	v_and_b32_e32 v44, 7, v0
	v_cndmask_b32_e64 v45, v49, 64, vcc
	v_cndmask_b32_e32 v48, v48, v43, vcc
	v_cndmask_b32_e32 v47, v50, v47, vcc
	;; [unrolled: 1-line block ×3, first 2 shown]
	v_lshl_or_b32 v128, v46, 3, v80
	v_lshlrev_b32_e32 v46, 3, v44
	v_or_b32_e32 v48, v48, v41
	v_or_b32_e32 v47, v47, v41
	v_or3_b32 v43, v41, v45, v43
	v_or_b32_e32 v37, v37, v41
	v_lshlrev_b32_e32 v44, 7, v44
	v_xor_b32_e32 v48, v48, v46
	v_xor_b32_e32 v47, v47, v46
	;; [unrolled: 1-line block ×4, first 2 shown]
	v_or_b32_e32 v34, v1, v40
	v_add_u32_e32 v49, v35, v48
	v_add_u32_e32 v50, v35, v47
	v_or_b32_e32 v135, v43, v44
	v_add_u32_e32 v41, v35, v37
	v_or3_b32 v40, v1, v40, 64
	v_add_u32_e32 v42, 0xa000, v48
	v_add_u32_e32 v43, 0xa000, v47
	;; [unrolled: 1-line block ×3, first 2 shown]
	v_lshl_add_u64 v[84:85], v[38:39], 0, v[80:81]
	s_add_i32 s31, s61, 63
	v_lshlrev_b32_e32 v80, 1, v36
	s_movk_i32 s37, 0x2000
	v_lshlrev_b32_e32 v79, 2, v34
	v_add_u32_e32 v136, v49, v44
	v_add_u32_e32 v137, v50, v44
	;; [unrolled: 1-line block ×4, first 2 shown]
	v_lshlrev_b32_e32 v140, 2, v40
	v_add_u32_e32 v141, v42, v44
	v_add_u32_e32 v142, v43, v44
	;; [unrolled: 1-line block ×3, first 2 shown]
	s_waitcnt lgkmcnt(0)
	s_barrier
.LBB204_6:                              ; =>This Inner Loop Header: Depth=1
	s_add_i32 s67, s68, 1
	s_cmp_lt_i32 s67, s52
	s_mov_b64 s[24:25], 0
	s_cselect_b64 s[2:3], -1, 0
	s_cmp_ge_i32 s67, s52
	s_mov_b64 s[20:21], 0
	s_cbranch_scc1 .LBB204_8
; %bb.7:                                ;   in Loop: Header=BB204_6 Depth=1
	s_add_i32 s0, s62, 64
	s_add_u32 s0, s16, s0
	s_addc_u32 s1, s17, 0
	s_lshl_b64 s[0:1], s[0:1], 8
	s_add_u32 s20, s6, s0
	s_addc_u32 s21, s7, s1
.LBB204_8:                              ;   in Loop: Header=BB204_6 Depth=1
	v_cndmask_b32_e64 v34, 0, 1, s[2:3]
	v_cmp_ne_u32_e64 s[0:1], 1, v34
	s_andn2_b64 vcc, exec, s[2:3]
	s_cbranch_vccnz .LBB204_10
; %bb.9:                                ;   in Loop: Header=BB204_6 Depth=1
	s_add_i32 s2, s62, 64
	s_add_u32 s2, s61, s2
	s_addc_u32 s3, s65, 0
	s_mul_i32 s24, s2, s53
	s_mul_hi_u32 s25, s2, s58
	s_add_i32 s24, s25, s24
	s_mul_i32 s3, s3, s58
	s_add_i32 s24, s24, s3
	s_mul_i32 s2, s2, s58
	s_add_u32 s2, s2, s54
	s_addc_u32 s3, s24, s59
	s_lshl_b64 s[2:3], s[2:3], 8
	s_add_u32 s24, s4, s2
	s_addc_u32 s25, s5, s3
.LBB204_10:                             ;   in Loop: Header=BB204_6 Depth=1
	v_perm_b32 v35, v25, v24, s35
	v_perm_b32 v34, v23, v22, s35
	v_perm_b32 v37, v33, v32, s35
	v_perm_b32 v36, v31, v30, s35
	ds_write_b64 v99, v[34:35]
	ds_write_b64 v100, v[36:37]
	ds_write_b64 v102, v[34:35]
	ds_write_b64 v103, v[36:37]
	v_perm_b32 v35, v17, v16, s35
	v_perm_b32 v34, v15, v14, s35
	v_perm_b32 v37, v29, v28, s35
	v_perm_b32 v36, v27, v26, s35
	ds_write_b64 v101, v[34:35]
	ds_write_b64 v104, v[36:37]
	ds_write_b64 v105, v[34:35]
	ds_write_b64 v106, v[36:37]
	;; [unrolled: 8-line block ×4, first 2 shown]
	s_waitcnt lgkmcnt(0)
	s_barrier
	ds_read_b64 v[38:39], v115 offset:49152
	ds_read2_b64 v[34:37], v116 offset1:16
	ds_read_b64 v[50:51], v118 offset:6144
	ds_read_b64 v[52:53], v116 offset:6144
	s_waitcnt lgkmcnt(2)
	v_mfma_f32_16x16x16_bf16 a[0:3], v[38:39], v[34:35], 0
	ds_read_b64 v[54:55], v117 offset:49152
	ds_read2st64_b64 v[42:45], v119 offset0:4 offset1:8
	ds_read2st64_b64 v[46:49], v120 offset0:4 offset1:8
	v_mfma_f32_16x16x16_bf16 a[4:7], v[38:39], v[36:37], 0
	ds_read2_b64 v[34:37], v116 offset0:32 offset1:48
	s_add_i32 s2, s62, 63
	s_mul_i32 s3, s2, s29
	s_waitcnt lgkmcnt(0)
	v_mfma_f32_16x16x16_bf16 a[8:11], v[38:39], v[34:35], 0
	s_mul_hi_u32 s27, s2, s28
	s_add_i32 s3, s27, s3
	s_mul_i32 s2, s2, s28
	v_mfma_f32_16x16x16_bf16 a[12:15], v[38:39], v[36:37], 0
	ds_read2st64_b64 v[34:37], v116 offset0:4 offset1:8
	ds_read2st64_b64 v[38:41], v118 offset0:4 offset1:8
	s_lshl_b64 s[2:3], s[2:3], 2
	s_waitcnt lgkmcnt(1)
	v_mfma_f32_16x16x16_bf16 a[0:3], v[54:55], v[34:35], a[0:3]
	s_add_u32 s2, s42, s2
	s_addc_u32 s3, s43, s3
	s_and_b64 vcc, exec, s[0:1]
	s_waitcnt lgkmcnt(0)
	v_mfma_f32_16x16x16_bf16 a[4:7], v[54:55], v[38:39], a[4:7]
	v_mov_b32_e32 v147, 0
	v_mov_b32_e32 v146, 0
	;; [unrolled: 1-line block ×3, first 2 shown]
	v_mfma_f32_16x16x16_bf16 a[8:11], v[54:55], v[42:43], a[8:11]
	ds_read_b64 v[34:35], v121 offset:49152
	ds_read_b64 v[38:39], v122 offset:49152
	;; [unrolled: 1-line block ×3, first 2 shown]
	v_mfma_f32_16x16x16_bf16 a[12:15], v[54:55], v[46:47], a[12:15]
	v_mov_b32_e32 v46, 0
	v_mov_b32_e32 v47, 0
	s_waitcnt lgkmcnt(2)
	v_mfma_f32_16x16x16_bf16 a[0:3], v[34:35], v[36:37], a[0:3]
	v_mov_b32_e32 v36, 0
	v_mov_b32_e32 v37, 0
	v_mfma_f32_16x16x16_bf16 a[16:19], v[34:35], v[40:41], a[4:7]
	v_mov_b32_e32 v40, 0
	v_mov_b32_e32 v41, 0
	;; [unrolled: 3-line block ×3, first 2 shown]
	v_mfma_f32_16x16x16_bf16 a[24:27], v[34:35], v[48:49], a[12:15]
	ds_read_b64 v[34:35], v119 offset:6144
	v_mov_b32_e32 v48, 0
	v_mov_b32_e32 v49, 0
	s_waitcnt lgkmcnt(2)
	v_mfma_f32_16x16x16_bf16 a[4:7], v[38:39], v[52:53], a[0:3]
	v_mfma_f32_16x16x16_bf16 a[8:11], v[38:39], v[50:51], a[16:19]
	s_waitcnt lgkmcnt(0)
	v_mfma_f32_16x16x16_bf16 a[12:15], v[38:39], v[34:35], a[20:23]
	v_mov_b32_e32 v34, 0
	v_mov_b32_e32 v35, 0
	v_mfma_f32_16x16x16_bf16 a[0:3], v[38:39], v[42:43], a[24:27]
	v_mov_b32_e32 v38, 0
	v_mov_b32_e32 v39, 0
	;; [unrolled: 1-line block ×4, first 2 shown]
	s_cbranch_vccnz .LBB204_12
; %bb.11:                               ;   in Loop: Header=BB204_6 Depth=1
	s_and_b32 s21, s21, 0xffff
	buffer_load_dwordx4 v[46:49], v95, s[20:23], 0 offen
	buffer_load_dwordx4 v[42:45], v95, s[20:23], s60 offen
	;; [unrolled: 1-line block ×4, first 2 shown]
	v_mov_b32_e32 v146, v97
	v_mov_b32_e32 v145, v98
.LBB204_12:                             ;   in Loop: Header=BB204_6 Depth=1
	ds_read_b64 v[66:67], v115 offset:57344
	ds_read2_b64 v[50:53], v123 offset1:16
	ds_read_b64 v[68:69], v117 offset:57344
	ds_read_b64 v[70:71], v121 offset:57344
	;; [unrolled: 1-line block ×3, first 2 shown]
	v_add_u32_e32 v74, s62, v91
	s_waitcnt lgkmcnt(3)
	v_mfma_f32_16x16x16_bf16 a[4:7], v[66:67], v[50:51], a[4:7]
	v_mfma_f32_16x16x16_bf16 a[8:11], v[66:67], v[52:53], a[8:11]
	ds_read2_b64 v[50:53], v123 offset0:32 offset1:48
	ds_read2st64_b64 v[54:57], v123 offset0:4 offset1:8
	ds_read2st64_b64 v[58:61], v124 offset0:4 offset1:8
	;; [unrolled: 1-line block ×3, first 2 shown]
	s_waitcnt lgkmcnt(3)
	v_mfma_f32_16x16x16_bf16 a[12:15], v[66:67], v[50:51], a[12:15]
	v_ashrrev_i32_e32 v50, 31, v74
	v_mfma_f32_16x16x16_bf16 a[0:3], v[66:67], v[52:53], a[0:3]
	v_mul_lo_u32 v52, v50, s28
	v_mul_lo_u32 v53, v74, s29
	v_mad_u64_u32 v[50:51], s[20:21], v74, s28, 0
	v_add3_u32 v51, v51, v53, v52
	v_add_u32_e32 v52, 1, v74
	v_ashrrev_i32_e32 v53, 31, v52
	s_waitcnt lgkmcnt(2)
	v_mfma_f32_16x16x16_bf16 a[4:7], v[68:69], v[54:55], a[4:7]
	v_mul_lo_u32 v54, v53, s28
	v_mul_lo_u32 v55, v52, s29
	v_mad_u64_u32 v[52:53], s[20:21], v52, s28, 0
	v_add3_u32 v53, v53, v55, v54
	v_add_u32_e32 v54, 2, v74
	v_ashrrev_i32_e32 v55, 31, v54
	s_waitcnt lgkmcnt(1)
	v_mfma_f32_16x16x16_bf16 a[8:11], v[68:69], v[58:59], a[8:11]
	v_mul_lo_u32 v58, v55, s28
	v_mul_lo_u32 v59, v54, s29
	v_mad_u64_u32 v[54:55], s[20:21], v54, s28, 0
	v_lshl_add_u64 v[50:51], v[50:51], 2, s[42:43]
	v_add3_u32 v55, v55, v59, v58
	v_add_u32_e32 v58, 3, v74
	v_ashrrev_i32_e32 v59, 31, v58
	global_load_dword v67, v[50:51], off
	v_mad_u64_u32 v[50:51], s[20:21], v58, s28, 0
	v_mul_lo_u32 v59, v59, s28
	v_mul_lo_u32 v66, v58, s29
	s_add_u32 s20, s16, s62
	v_add3_u32 v51, v51, v66, v59
	s_addc_u32 s21, s17, 0
	v_lshl_add_u64 v[52:53], v[52:53], 2, s[42:43]
	v_lshl_add_u64 v[54:55], v[54:55], 2, s[42:43]
	;; [unrolled: 1-line block ×3, first 2 shown]
	s_lshl_b64 s[20:21], s[20:21], 8
	global_load_dword v66, v[52:53], off
	global_load_dword v74, v[54:55], off
	;; [unrolled: 1-line block ×3, first 2 shown]
	v_lshl_add_u64 v[50:51], v[82:83], 0, s[20:21]
	v_lshl_add_u64 v[54:55], v[50:51], 0, v[80:81]
	global_load_ushort v76, v[54:55], off offset:256
	global_load_ushort v148, v[54:55], off
	ds_read2st64_b64 v[50:53], v126 offset0:4 offset1:8
	global_load_ushort v149, v[54:55], off offset:768
	global_load_ushort v150, v[54:55], off offset:512
	s_waitcnt lgkmcnt(1)
	v_mfma_f32_16x16x16_bf16 a[12:15], v[68:69], v[62:63], a[12:15]
	s_and_b64 vcc, exec, s[0:1]
	s_waitcnt vmcnt(3)
	v_lshlrev_b32_e32 v63, 16, v76
	s_waitcnt lgkmcnt(0)
	v_mfma_f32_16x16x16_bf16 a[0:3], v[68:69], v[50:51], a[0:3]
	global_load_ushort v68, v[54:55], off offset:288
	global_load_ushort v69, v[54:55], off offset:32
	global_load_ushort v151, v[54:55], off offset:800
	global_load_ushort v152, v[54:55], off offset:544
	global_load_ushort v153, v[54:55], off offset:320
	global_load_ushort v154, v[54:55], off offset:64
	global_load_ushort v155, v[54:55], off offset:832
	global_load_ushort v156, v[54:55], off offset:576
	v_mfma_f32_16x16x16_bf16 a[4:7], v[70:71], v[56:57], a[4:7]
	ds_read_b64 v[50:51], v123 offset:6144
	s_waitcnt vmcnt(10)
	v_lshlrev_b32_e32 v62, 16, v148
	v_mov_b32_e32 v148, 0
	v_mfma_f32_16x16x16_bf16 a[8:11], v[70:71], v[60:61], a[8:11]
	v_mfma_f32_16x16x16_bf16 a[12:15], v[70:71], v[64:65], a[12:15]
	;; [unrolled: 1-line block ×3, first 2 shown]
	global_load_ushort v70, v[54:55], off offset:352
	global_load_ushort v71, v[54:55], off offset:96
	ds_read_b64 v[52:53], v124 offset:6144
	ds_read_b64 v[56:57], v125 offset:6144
	;; [unrolled: 1-line block ×3, first 2 shown]
	global_load_ushort v157, v[54:55], off offset:864
	global_load_ushort v158, v[54:55], off offset:608
	s_load_dword s2, s[2:3], 0x0
	s_waitcnt lgkmcnt(0)
	v_mfma_f32_16x16x16_bf16 a[4:7], v[72:73], v[50:51], a[4:7]
	v_sub_f32_e32 v60, s2, v74
	v_mfma_f32_16x16x16_bf16 a[0:3], v[72:73], v[58:59], a[0:3]
	v_sub_f32_e32 v58, s2, v67
	v_sub_f32_e32 v59, s2, v66
	;; [unrolled: 1-line block ×3, first 2 shown]
	v_mul_f32_e32 v58, 0x3fb8aa3b, v58
	v_mul_f32_e32 v59, 0x3fb8aa3b, v59
	;; [unrolled: 1-line block ×4, first 2 shown]
	v_mfma_f32_16x16x16_bf16 a[8:11], v[72:73], v[52:53], a[8:11]
	v_exp_f32_e32 v58, v58
	v_exp_f32_e32 v59, v59
	;; [unrolled: 1-line block ×4, first 2 shown]
	v_accvgpr_read_b32 v65, a5
	v_accvgpr_read_b32 v64, a4
	;; [unrolled: 1-line block ×4, first 2 shown]
	v_pk_add_f32 v[62:63], v[62:63], v[64:65] neg_lo:[0,1] neg_hi:[0,1]
	s_waitcnt vmcnt(13)
	v_lshlrev_b32_e32 v65, 16, v149
	s_waitcnt vmcnt(12)
	v_lshlrev_b32_e32 v64, 16, v150
	v_pk_add_f32 v[50:51], v[64:65], v[50:51] neg_lo:[0,1] neg_hi:[0,1]
	v_pk_mul_f32 v[62:63], v[58:59], v[62:63]
	v_pk_mul_f32 v[50:51], v[60:61], v[50:51]
	v_accvgpr_read_b32 v65, a9
	v_perm_b32 v51, v51, v50, s35
	v_perm_b32 v50, v63, v62, s35
	v_accvgpr_read_b32 v64, a8
	v_accvgpr_read_b32 v53, a11
	v_mfma_f32_16x16x16_bf16 a[12:15], v[72:73], v[56:57], a[12:15]
	v_accvgpr_read_b32 v52, a10
	v_accvgpr_read_b32 v57, a3
	;; [unrolled: 1-line block ×3, first 2 shown]
	s_waitcnt vmcnt(11)
	v_lshlrev_b32_e32 v63, 16, v68
	s_waitcnt vmcnt(10)
	v_lshlrev_b32_e32 v62, 16, v69
	v_pk_add_f32 v[62:63], v[62:63], v[64:65] neg_lo:[0,1] neg_hi:[0,1]
	s_waitcnt vmcnt(9)
	v_lshlrev_b32_e32 v65, 16, v151
	s_waitcnt vmcnt(8)
	v_lshlrev_b32_e32 v64, 16, v152
	v_pk_add_f32 v[52:53], v[64:65], v[52:53] neg_lo:[0,1] neg_hi:[0,1]
	v_pk_mul_f32 v[62:63], v[58:59], v[62:63]
	v_pk_mul_f32 v[52:53], v[60:61], v[52:53]
	v_accvgpr_read_b32 v55, a15
	v_perm_b32 v53, v53, v52, s35
	v_perm_b32 v52, v63, v62, s35
	ds_write2_b64 v100, v[50:51], v[52:53] offset1:16
	v_accvgpr_read_b32 v53, a13
	s_waitcnt vmcnt(7)
	v_lshlrev_b32_e32 v51, 16, v153
	s_waitcnt vmcnt(6)
	v_lshlrev_b32_e32 v50, 16, v154
	v_accvgpr_read_b32 v52, a12
	v_accvgpr_read_b32 v54, a14
	v_pk_add_f32 v[50:51], v[50:51], v[52:53] neg_lo:[0,1] neg_hi:[0,1]
	s_waitcnt vmcnt(5)
	v_lshlrev_b32_e32 v53, 16, v155
	s_waitcnt vmcnt(4)
	v_lshlrev_b32_e32 v52, 16, v156
	v_pk_add_f32 v[52:53], v[52:53], v[54:55] neg_lo:[0,1] neg_hi:[0,1]
	v_pk_mul_f32 v[50:51], v[58:59], v[50:51]
	v_pk_mul_f32 v[52:53], v[60:61], v[52:53]
	v_accvgpr_read_b32 v55, a1
	v_perm_b32 v53, v53, v52, s35
	v_perm_b32 v52, v51, v50, s35
	s_waitcnt vmcnt(3)
	v_lshlrev_b32_e32 v51, 16, v70
	s_waitcnt vmcnt(2)
	v_lshlrev_b32_e32 v50, 16, v71
	v_accvgpr_read_b32 v54, a0
	v_pk_add_f32 v[50:51], v[50:51], v[54:55] neg_lo:[0,1] neg_hi:[0,1]
	s_waitcnt vmcnt(1)
	v_lshlrev_b32_e32 v55, 16, v157
	s_waitcnt vmcnt(0)
	v_lshlrev_b32_e32 v54, 16, v158
	v_pk_add_f32 v[54:55], v[54:55], v[56:57] neg_lo:[0,1] neg_hi:[0,1]
	v_pk_mul_f32 v[50:51], v[58:59], v[50:51]
	v_pk_mul_f32 v[54:55], v[60:61], v[54:55]
	v_mov_b32_e32 v56, 0
	v_perm_b32 v55, v55, v54, s35
	v_perm_b32 v54, v51, v50, s35
	ds_write2_b64 v100, v[52:53], v[54:55] offset0:32 offset1:48
	v_mov_b32_e32 v50, 0
	v_mov_b32_e32 v51, 0
	;; [unrolled: 1-line block ×15, first 2 shown]
	s_cbranch_vccnz .LBB204_14
; %bb.13:                               ;   in Loop: Header=BB204_6 Depth=1
	s_and_b32 s25, s25, 0xffff
	s_mov_b32 s27, s23
	buffer_load_dwordx4 v[62:65], v133, s[24:27], 0 offen
	buffer_load_dwordx4 v[54:57], v133, s[24:27], s60 offen
	;; [unrolled: 1-line block ×4, first 2 shown]
	v_mov_b32_e32 v147, v94
	v_mov_b32_e32 v148, v93
.LBB204_14:                             ;   in Loop: Header=BB204_6 Depth=1
	s_waitcnt lgkmcnt(0)
	s_barrier
	ds_read_b64 v[74:75], v136
	ds_read2_b64 v[66:69], v129 offset1:16
	ds_read_b64 v[166:167], v137
	ds_read_b64 v[168:169], v138
	ds_read_b64 v[170:171], v139
	ds_read2_b64 v[70:73], v129 offset0:32 offset1:48
	ds_read2st64_b64 v[150:153], v129 offset0:4 offset1:8
	ds_read2st64_b64 v[154:157], v130 offset0:4 offset1:8
	;; [unrolled: 1-line block ×4, first 2 shown]
	s_waitcnt lgkmcnt(8)
	v_mfma_f32_16x16x16_bf16 a[0:3], v[74:75], v[66:67], 0
	s_add_i32 s3, s55, s68
	s_mul_hi_i32 s21, s3, s13
	s_mul_i32 s3, s3, s13
	v_mfma_f32_16x16x16_bf16 a[4:7], v[74:75], v[68:69], 0
	s_add_u32 s20, s3, s48
	s_addc_u32 s21, s21, s49
	s_add_i32 s3, s31, s62
	s_waitcnt lgkmcnt(4)
	v_mfma_f32_16x16x16_bf16 a[8:11], v[74:75], v[70:71], 0
	s_lshl_b64 s[20:21], s[20:21], 15
	s_mul_hi_i32 s25, s3, s13
	s_mul_i32 s3, s3, s13
	v_mfma_f32_16x16x16_bf16 a[12:15], v[74:75], v[72:73], 0
	ds_read_b64 v[74:75], v129 offset:6144
	ds_read_b64 v[178:179], v130 offset:6144
	;; [unrolled: 1-line block ×4, first 2 shown]
	s_add_u32 s24, s3, s48
	s_waitcnt lgkmcnt(7)
	v_mfma_f32_16x16x16_bf16 a[0:3], v[166:167], v[150:151], a[0:3]
	s_addc_u32 s25, s25, s49
	s_lshl_b64 s[24:25], s[24:25], 9
	s_add_u32 s24, s40, s24
	s_waitcnt lgkmcnt(6)
	v_mfma_f32_16x16x16_bf16 a[4:7], v[166:167], v[154:155], a[4:7]
	s_addc_u32 s25, s41, s25
	v_lshl_add_u64 v[188:189], v[84:85], 0, s[20:21]
	s_waitcnt lgkmcnt(5)
	v_mfma_f32_16x16x16_bf16 a[8:11], v[166:167], v[158:159], a[8:11]
	s_waitcnt lgkmcnt(4)
	v_mfma_f32_16x16x16_bf16 a[12:15], v[166:167], v[162:163], a[12:15]
	ds_read_b64 v[166:167], v141
	ds_read_b64 v[176:177], v142
	;; [unrolled: 1-line block ×3, first 2 shown]
	s_waitcnt lgkmcnt(2)
	v_mfma_f32_16x16x16_bf16 a[16:19], v[166:167], v[66:67], 0
	v_mfma_f32_16x16x16_bf16 a[20:23], v[166:167], v[68:69], 0
	global_load_dwordx4 v[66:69], v140, s[24:25]
	v_mfma_f32_16x16x16_bf16 a[24:27], v[166:167], v[70:71], 0
	v_mfma_f32_16x16x16_bf16 a[28:31], v[166:167], v[72:73], 0
	global_load_dwordx4 v[70:73], v79, s[24:25]
	v_mfma_f32_16x16x16_bf16 a[0:3], v[168:169], v[152:153], a[0:3]
	v_mfma_f32_16x16x16_bf16 a[4:7], v[168:169], v[156:157], a[4:7]
	;; [unrolled: 1-line block ×8, first 2 shown]
	ds_read2st64_b64 v[166:169], v127 offset1:8
	ds_read2st64_b64 v[170:173], v128 offset1:8
	ds_read_b64 v[186:187], v135 offset:40960
	s_waitcnt lgkmcnt(2)
	v_mov_b32_e32 v174, v166
	v_mfma_f32_16x16x16_bf16 a[16:19], v[176:177], v[150:151], a[16:19]
	v_mov_b32_e32 v175, v167
	v_mfma_f32_16x16x16_bf16 a[20:23], v[176:177], v[154:155], a[20:23]
	v_mfma_f32_16x16x16_bf16 a[24:27], v[176:177], v[158:159], a[24:27]
	;; [unrolled: 1-line block ×3, first 2 shown]
	v_add_co_u32_e32 v162, vcc, s37, v188
	s_waitcnt lgkmcnt(1)
	v_mov_b32_e32 v176, v170
	s_waitcnt lgkmcnt(0)
	v_mfma_f32_16x16x16_bf16 a[16:19], v[186:187], v[152:153], a[16:19]
	ds_read2st64_b64 v[150:153], v127 offset0:16 offset1:24
	v_addc_co_u32_e32 v163, vcc, 0, v189, vcc
	v_mfma_f32_16x16x16_bf16 a[20:23], v[186:187], v[156:157], a[20:23]
	ds_read2st64_b64 v[154:157], v128 offset0:16 offset1:24
	v_mov_b32_e32 v177, v171
	v_mov_b32_e32 v170, v168
	v_mfma_f32_16x16x16_bf16 a[32:35], v[186:187], v[160:161], a[24:27]
	v_mov_b32_e32 v171, v169
	s_waitcnt lgkmcnt(0)
	v_mov_b32_e32 v160, v154
	v_mov_b32_e32 v161, v155
	v_mfma_f32_16x16x16_bf16 a[36:39], v[186:187], v[164:165], a[28:31]
	v_mov_b32_e32 v154, v152
	v_mov_b32_e32 v155, v153
	;; [unrolled: 1-line block ×3, first 2 shown]
	v_mfma_f32_16x16x16_bf16 a[24:27], v[184:185], v[74:75], a[16:19]
	v_add_co_u32_e32 v74, vcc, s66, v188
	v_mov_b32_e32 v159, v151
	v_mfma_f32_16x16x16_bf16 a[28:31], v[184:185], v[178:179], a[20:23]
	v_addc_co_u32_e32 v75, vcc, 0, v189, vcc
	global_store_dwordx4 v[74:75], v[154:157], off
	v_mfma_f32_16x16x16_bf16 a[16:19], v[184:185], v[180:181], a[32:35]
	s_waitcnt vmcnt(2)
	v_mov_b32_e32 v76, v69
	v_mov_b32_e32 v75, v68
	;; [unrolled: 1-line block ×3, first 2 shown]
	v_mfma_f32_16x16x16_bf16 a[20:23], v[184:185], v[182:183], a[36:39]
	s_and_b64 vcc, exec, s[0:1]
	global_store_dwordx4 v[188:189], v[174:177], off
	global_store_dwordx4 v[162:163], v[170:173], off offset:-4096
	global_store_dwordx4 v[162:163], v[158:161], off
	s_cbranch_vccnz .LBB204_16
; %bb.15:                               ;   in Loop: Header=BB204_6 Depth=1
	v_lshrrev_b32_e32 v67, 3, v147
	v_and_b32_e32 v67, 6, v67
	v_xor_b32_e32 v68, v67, v148
	v_lshlrev_b32_e32 v68, 2, v68
	v_and_b32_e32 v69, 8, v147
	v_xor_b32_e32 v147, 0x440, v68
	v_cmp_eq_u32_e32 vcc, 0, v69
	v_perm_b32 v69, v54, v50, s63
	s_nop 0
	v_cndmask_b32_e32 v68, v147, v68, vcc
	v_lshl_or_b32 v67, v67, 10, v68
	v_perm_b32 v68, v62, v58, s63
	s_barrier
	ds_write2st64_b32 v67, v68, v69 offset0:128 offset1:160
	v_xor_b32_e32 v68, 8, v67
	v_perm_b32 v58, v62, v58, s64
	v_perm_b32 v50, v54, v50, s64
	v_add_u32_e32 v54, 0x80, v68
	ds_write2st64_b32 v54, v58, v50 offset0:128 offset1:160
	v_xor_b32_e32 v50, 16, v67
	v_perm_b32 v54, v63, v59, s63
	v_perm_b32 v58, v55, v51, s63
	ds_write2st64_b32 v50, v54, v58 offset0:129 offset1:161
	v_xor_b32_e32 v50, 24, v67
	v_perm_b32 v54, v63, v59, s64
	v_perm_b32 v51, v55, v51, s64
	v_add_u32_e32 v50, 0x80, v50
	ds_write2st64_b32 v50, v54, v51 offset0:129 offset1:161
	v_xor_b32_e32 v50, 32, v67
	v_perm_b32 v51, v64, v60, s63
	v_perm_b32 v54, v56, v52, s63
	;; [unrolled: 9-line block ×3, first 2 shown]
	ds_write2st64_b32 v50, v51, v52 offset0:131 offset1:163
	v_xor_b32_e32 v50, 56, v67
	v_perm_b32 v51, v65, v61, s64
	v_perm_b32 v52, v57, v53, s64
	v_add_u32_e32 v50, 0x80, v50
	ds_write2st64_b32 v50, v51, v52 offset0:131 offset1:163
	ds_write_b64 v146, v[46:47] offset:49152
	v_xor_b32_e32 v46, 8, v146
	ds_write_b64 v46, v[48:49] offset:49152
	ds_write_b64 v146, v[42:43] offset:57344
	;; [unrolled: 1-line block ×4, first 2 shown]
	v_xor_b32_e32 v38, 8, v145
	ds_write_b64 v38, v[40:41] offset:49152
	ds_write_b64 v145, v[34:35] offset:57344
	;; [unrolled: 1-line block ×3, first 2 shown]
.LBB204_16:                             ;   in Loop: Header=BB204_6 Depth=1
	v_mul_f32_e32 v58, s2, v144
	v_exp_f32_e32 v68, v58
	s_waitcnt vmcnt(4)
	v_mul_f32_e32 v58, 0x3fb8aa3b, v70
	v_exp_f32_e32 v70, v58
	v_mul_f32_e32 v58, 0x3fb8aa3b, v71
	v_exp_f32_e32 v71, v58
	;; [unrolled: 2-line block ×4, first 2 shown]
	v_accvgpr_read_b32 v37, a3
	v_accvgpr_read_b32 v36, a2
	;; [unrolled: 1-line block ×4, first 2 shown]
	v_pk_mul_f32 v[70:71], v[68:69], v[70:71] op_sel_hi:[0,1]
	v_pk_mul_f32 v[72:73], v[68:69], v[72:73] op_sel_hi:[0,1]
	v_pk_fma_f32 v[22:23], v[22:23], v[70:71], v[34:35]
	v_pk_fma_f32 v[24:25], v[24:25], v[72:73], v[36:37]
	v_mul_f32_e32 v34, 0x3fb8aa3b, v66
	v_mul_f32_e32 v35, 0x3fb8aa3b, v74
	;; [unrolled: 1-line block ×4, first 2 shown]
	v_exp_f32_e32 v34, v34
	v_exp_f32_e32 v35, v35
	;; [unrolled: 1-line block ×4, first 2 shown]
	v_accvgpr_read_b32 v41, a7
	v_accvgpr_read_b32 v45, a11
	;; [unrolled: 1-line block ×28, first 2 shown]
	v_pk_mul_f32 v[34:35], v[68:69], v[34:35] op_sel_hi:[0,1]
	v_pk_mul_f32 v[36:37], v[68:69], v[36:37] op_sel_hi:[0,1]
	s_add_i32 s62, s62, 64
	v_pk_fma_f32 v[14:15], v[70:71], v[14:15], v[38:39]
	v_pk_fma_f32 v[16:17], v[72:73], v[16:17], v[40:41]
	;; [unrolled: 1-line block ×13, first 2 shown]
	s_cmp_eq_u32 s52, s67
	v_pk_fma_f32 v[12:13], v[36:37], v[12:13], v[64:65]
	s_cbranch_scc1 .LBB204_18
; %bb.17:                               ;   in Loop: Header=BB204_6 Depth=1
	s_mov_b32 s68, s67
	s_branch .LBB204_6
.LBB204_18:
	s_lshl_b32 s26, s52, 6
	s_sub_i32 s27, s12, s26
	s_cmp_gt_i32 s27, 0
	s_cbranch_scc0 .LBB204_99
; %bb.19:
	s_ashr_i32 s2, s26, 31
	s_cmpk_lg_i32 s15, 0x80
	s_cselect_b64 s[22:23], -1, 0
	s_and_b64 vcc, exec, s[22:23]
	s_cbranch_vccz .LBB204_21
; %bb.20:
	s_mul_i32 s1, s51, s12
	s_mul_hi_i32 s0, s51, s12
	s_add_u32 s1, s1, s26
	s_addc_u32 s0, s0, s2
	s_mul_i32 s3, s1, s53
	s_mul_hi_u32 s17, s1, s14
	s_add_i32 s3, s17, s3
	s_mul_i32 s0, s0, s14
	s_add_i32 s3, s3, s0
	s_mul_i32 s1, s1, s14
	s_ashr_i32 s0, s54, 31
	s_add_u32 s24, s1, s54
	s_addc_u32 s25, s3, s0
	s_cbranch_execz .LBB204_22
	s_branch .LBB204_23
.LBB204_21:
                                        ; implicit-def: $sgpr24_sgpr25
.LBB204_22:
	s_mul_hi_i32 s0, s51, s14
	s_mul_i32 s51, s51, s14
	s_ashr_i32 s1, s54, 31
	s_add_u32 s3, s51, s54
	s_addc_u32 s0, s0, s1
	s_mul_i32 s1, s3, s50
	s_mul_hi_u32 s14, s3, s12
	s_add_i32 s1, s14, s1
	s_mul_i32 s0, s0, s12
	s_add_i32 s1, s1, s0
	s_mul_i32 s3, s3, s12
	s_add_u32 s24, s3, s26
	s_addc_u32 s25, s1, s2
.LBB204_23:
	s_mul_i32 s0, s38, s50
	s_add_i32 s0, s57, s0
	s_add_i32 s3, s55, s52
	;; [unrolled: 1-line block ×3, first 2 shown]
	s_add_u32 s0, s16, s26
	s_addc_u32 s1, s1, s2
	v_lshlrev_b32_e32 v35, 6, v91
	v_lshlrev_b32_e32 v34, 2, v88
	s_mov_b32 s2, 0x7060302
	s_waitcnt vmcnt(7)
	v_perm_b32 v25, v25, v24, s2
	v_perm_b32 v24, v23, v22, s2
	s_waitcnt vmcnt(6)
	v_perm_b32 v22, v31, v30, s2
	v_or_b32_e32 v30, v35, v34
	v_xor_b32_e32 v36, v91, v34
	v_perm_b32 v23, v33, v32, s2
	v_lshlrev_b32_e32 v30, 1, v30
	ds_write2st64_b64 v30, v[24:25], v[22:23] offset0:32 offset1:48
	v_lshlrev_b32_e32 v30, 1, v36
	v_lshlrev_b32_e32 v31, 8, v88
	v_xor_b32_e32 v37, v92, v34
	v_or_b32_e32 v32, v30, v31
	ds_write_b64 v32, v[24:25]
	v_lshlrev_b32_e32 v24, 1, v37
	v_or_b32_e32 v25, v24, v31
	ds_write_b64 v25, v[22:23]
	v_or_b32_e32 v22, 16, v88
	v_lshlrev_b32_e32 v23, 2, v22
	v_or_b32_e32 v25, v35, v23
	s_waitcnt vmcnt(5)
	v_perm_b32 v17, v17, v16, s2
	v_perm_b32 v16, v15, v14, s2
	s_waitcnt vmcnt(4)
	v_perm_b32 v15, v29, v28, s2
	v_perm_b32 v14, v27, v26, s2
	v_lshlrev_b32_e32 v25, 1, v25
	v_lshlrev_b32_e32 v22, 8, v22
	ds_write2st64_b64 v25, v[16:17], v[14:15] offset0:32 offset1:48
	v_or_b32_e32 v25, v30, v22
	ds_write_b64 v25, v[16:17]
	v_or_b32_e32 v16, v24, v22
	ds_write_b64 v16, v[14:15]
	v_or_b32_e32 v14, 32, v88
	v_lshlrev_b32_e32 v22, 2, v14
	v_or_b32_e32 v15, v35, v22
	s_waitcnt vmcnt(3)
	v_perm_b32 v9, v9, v8, s2
	v_perm_b32 v8, v7, v6, s2
	s_waitcnt vmcnt(2)
	v_perm_b32 v7, v21, v20, s2
	v_perm_b32 v6, v19, v18, s2
	v_lshlrev_b32_e32 v15, 1, v15
	v_lshlrev_b32_e32 v14, 8, v14
	s_lshl_b64 s[20:21], s[0:1], 8
	ds_write2st64_b64 v15, v[8:9], v[6:7] offset0:32 offset1:48
	v_or_b32_e32 v15, v30, v14
	s_add_u32 s0, s6, s20
	ds_write_b64 v15, v[8:9]
	v_or_b32_e32 v8, v24, v14
	s_addc_u32 s1, s7, s21
	ds_write_b64 v8, v[6:7]
	v_or_b32_e32 v6, 48, v88
	s_mul_hi_i32 s6, s3, s13
	s_mul_i32 s3, s3, s13
	s_waitcnt vmcnt(1)
	v_perm_b32 v5, v5, v4, s2
	v_perm_b32 v4, v3, v2, s2
	s_waitcnt vmcnt(0)
	v_perm_b32 v3, v13, v12, s2
	v_perm_b32 v2, v11, v10, s2
	v_lshlrev_b32_e32 v19, 2, v6
	s_add_u32 s2, s3, s48
	v_or_b32_e32 v7, v35, v19
	s_addc_u32 s3, s6, s49
	v_lshlrev_b32_e32 v7, 1, v7
	v_lshlrev_b32_e32 v6, 8, v6
	s_ashr_i32 s37, s36, 31
	s_lshl_b64 s[2:3], s[2:3], 15
	ds_write2st64_b64 v7, v[4:5], v[2:3] offset0:32 offset1:48
	v_or_b32_e32 v7, v30, v6
	s_add_u32 s6, s18, s2
	ds_write_b64 v7, v[4:5]
	v_or_b32_e32 v4, v24, v6
	s_addc_u32 s7, s19, s3
	s_lshl_b64 s[2:3], s[36:37], 8
	ds_write_b64 v4, v[2:3]
	s_add_u32 s2, s6, s2
	v_lshlrev_b32_e32 v3, 1, v88
	v_lshrrev_b32_e32 v2, 4, v0
	s_addc_u32 s3, s7, s3
	v_or_b32_e32 v4, 1, v3
	v_lshlrev_b32_e32 v10, 4, v88
	v_mov_b32_e32 v11, 0
	v_xor_b32_e32 v3, v2, v3
	v_xor_b32_e32 v6, v4, v2
	v_lshl_add_u64 v[12:13], s[2:3], 0, v[10:11]
	v_lshlrev_b32_e32 v10, 8, v2
	v_lshl_or_b32 v16, v3, 3, v10
	v_lshl_or_b32 v17, v6, 3, v10
	s_waitcnt lgkmcnt(0)
	s_barrier
	ds_read2st64_b64 v[2:5], v16 offset1:8
	ds_read2st64_b64 v[6:9], v17 offset1:8
	v_lshl_add_u64 v[14:15], v[12:13], 0, v[10:11]
	s_movk_i32 s2, 0x2000
	s_cmp_lg_u32 s27, 64
	s_waitcnt lgkmcnt(1)
	v_mov_b32_e32 v10, v2
	v_mov_b32_e32 v11, v3
	s_waitcnt lgkmcnt(0)
	v_mov_b32_e32 v12, v6
	v_mov_b32_e32 v13, v7
	global_store_dwordx4 v[14:15], v[10:13], off
	v_mov_b32_e32 v6, v4
	v_mov_b32_e32 v7, v5
	ds_read2st64_b64 v[2:5], v16 offset0:16 offset1:24
	ds_read2st64_b64 v[10:13], v17 offset0:16 offset1:24
	v_add_co_u32_e32 v16, vcc, s2, v14
	s_cselect_b64 s[6:7], -1, 0
	s_nop 0
	v_addc_co_u32_e32 v17, vcc, 0, v15, vcc
	global_store_dwordx4 v[16:17], v[6:9], off offset:-4096
	v_lshl_or_b32 v24, v86, 3, v90
	s_mov_b32 s16, 0
	s_waitcnt lgkmcnt(1)
	v_mov_b32_e32 v6, v2
	v_add_co_u32_e32 v2, vcc, 0x3000, v14
	v_mov_b32_e32 v7, v3
	s_nop 0
	v_addc_co_u32_e32 v3, vcc, 0, v15, vcc
	s_waitcnt lgkmcnt(0)
	v_mov_b32_e32 v8, v10
	v_mov_b32_e32 v9, v11
	v_mov_b32_e32 v10, v4
	v_mov_b32_e32 v11, v5
	v_or_b32_e32 v20, 32, v24
	v_and_b32_e32 v18, 56, v89
	s_and_b64 vcc, exec, s[6:7]
	global_store_dwordx4 v[16:17], v[6:9], off
	global_store_dwordx4 v[2:3], v[10:13], off
	s_cbranch_vccz .LBB204_29
; %bb.24:
	s_mov_b32 s17, s16
	s_mov_b32 s18, s16
	;; [unrolled: 1-line block ×3, first 2 shown]
	v_mov_b64_e32 v[6:7], s[16:17]
	v_mov_b64_e32 v[8:9], s[18:19]
	;; [unrolled: 1-line block ×3, first 2 shown]
	v_cmp_gt_i32_e32 vcc, s27, v24
	v_mov_b64_e32 v[4:5], v[8:9]
	s_and_saveexec_b64 s[2:3], vcc
	s_cbranch_execz .LBB204_26
; %bb.25:
	v_lshlrev_b32_e32 v2, 8, v24
	v_mov_b32_e32 v3, 0
	v_lshl_add_u64 v[4:5], s[0:1], 0, v[2:3]
	v_lshlrev_b32_e32 v2, 1, v18
	v_lshl_add_u64 v[10:11], v[4:5], 0, v[2:3]
	global_load_dwordx4 v[6:9], v[10:11], off
	global_load_dwordx4 v[2:5], v[10:11], off offset:128
.LBB204_26:
	s_or_b64 exec, exec, s[2:3]
	s_mov_b32 s17, s16
	s_mov_b32 s18, s16
	;; [unrolled: 1-line block ×3, first 2 shown]
	v_mov_b64_e32 v[14:15], s[16:17]
	v_mov_b64_e32 v[16:17], s[18:19]
	;; [unrolled: 1-line block ×3, first 2 shown]
	v_cmp_gt_i32_e32 vcc, s27, v20
	v_lshlrev_b32_e32 v21, 7, v20
	v_mov_b64_e32 v[12:13], v[16:17]
	s_and_saveexec_b64 s[2:3], vcc
	s_cbranch_execz .LBB204_28
; %bb.27:
	v_lshlrev_b32_e32 v10, 1, v21
	v_mov_b32_e32 v11, 0
	v_lshl_add_u64 v[12:13], s[0:1], 0, v[10:11]
	v_lshlrev_b32_e32 v10, 1, v18
	v_lshl_add_u64 v[26:27], v[12:13], 0, v[10:11]
	global_load_dwordx4 v[14:17], v[26:27], off
	global_load_dwordx4 v[10:13], v[26:27], off offset:128
.LBB204_28:
	s_or_b64 exec, exec, s[2:3]
	v_lshrrev_b32_e32 v25, 3, v18
	v_lshlrev_b32_e32 v26, 3, v24
	v_or_b32_e32 v25, v26, v25
	v_lshlrev_b32_e32 v25, 4, v25
	v_and_b32_e32 v26, 0x78, v26
	v_xor_b32_e32 v25, v25, v26
	s_branch .LBB204_31
.LBB204_29:
                                        ; implicit-def: $vgpr25
                                        ; implicit-def: $vgpr21
                                        ; implicit-def: $vgpr6_vgpr7_vgpr8_vgpr9
                                        ; implicit-def: $vgpr2_vgpr3_vgpr4_vgpr5
                                        ; implicit-def: $vgpr14_vgpr15_vgpr16_vgpr17
                                        ; implicit-def: $vgpr10_vgpr11_vgpr12_vgpr13
	s_cbranch_execz .LBB204_31
; %bb.30:
	s_waitcnt vmcnt(0)
	v_lshlrev_b32_e32 v2, 1, v18
	v_lshl_or_b32 v21, v24, 8, v2
	s_and_b32 s1, s1, 0xffff
	s_mov_b32 s3, 0x20000
	s_movk_i32 s2, 0x4000
	v_lshl_or_b32 v25, v20, 8, v2
	s_movk_i32 s13, 0x80
	buffer_load_dwordx4 v[6:9], v21, s[0:3], 0 offen
	buffer_load_dwordx4 v[2:5], v21, s[0:3], s13 offen
	;; [unrolled: 1-line block ×4, first 2 shown]
	v_lshrrev_b32_e32 v21, 3, v18
	v_lshlrev_b32_e32 v25, 3, v24
	v_or_b32_e32 v21, v25, v21
	v_lshlrev_b32_e32 v21, 4, v21
	v_and_b32_e32 v25, 0x78, v25
	v_xor_b32_e32 v25, v21, v25
	v_lshlrev_b32_e32 v21, 7, v20
.LBB204_31:
	s_movk_i32 s0, 0x1000
	v_and_or_b32 v20, v21, s0, v25
	s_waitcnt vmcnt(1)
	ds_write_b64 v25, v[6:7] offset:49152
	v_xor_b32_e32 v6, 8, v25
	ds_write_b64 v6, v[8:9] offset:49152
	s_waitcnt vmcnt(0)
	ds_write_b64 v25, v[2:3] offset:57344
	ds_write_b64 v6, v[4:5] offset:57344
	;; [unrolled: 1-line block ×3, first 2 shown]
	v_xor_b32_e32 v2, 8, v20
	ds_write_b64 v2, v[16:17] offset:49152
	ds_write_b64 v20, v[10:11] offset:57344
	;; [unrolled: 1-line block ×3, first 2 shown]
	v_or_b32_e32 v2, v1, v88
	v_lshlrev_b32_e32 v3, 11, v86
	v_lshlrev_b32_e32 v2, 3, v2
	v_and_b32_e32 v6, 0x1000, v3
	v_lshrrev_b32_e32 v3, 5, v77
	s_movk_i32 s0, 0xf8
	v_and_or_b32 v3, v2, s0, v3
	v_lshlrev_b32_e32 v7, 4, v3
	v_and_b32_e32 v8, 0x78, v2
	v_or_b32_e32 v10, 32, v7
	v_lshrrev_b32_e32 v3, 1, v77
	v_xor_b32_e32 v10, v10, v8
	v_xor_b32_e32 v2, v7, v8
	v_and_b32_e32 v9, 8, v3
	v_or_b32_e32 v10, v10, v6
	v_or_b32_e32 v2, v2, v6
	v_xor_b32_e32 v27, v10, v9
	v_or_b32_e32 v10, 64, v7
	v_xor_b32_e32 v26, v2, v9
	v_xor_b32_e32 v10, v10, v8
	s_waitcnt lgkmcnt(0)
	s_barrier
	v_or_b32_e32 v13, v10, v6
	ds_read_b64 v[10:11], v26 offset:49152
	v_lshl_or_b32 v14, v87, 8, v34
	v_lshlrev_b32_e32 v25, 1, v14
	v_add_u32_e32 v12, 0x4000, v25
	ds_read2_b64 v[2:5], v12 offset1:16
	v_or_b32_e32 v7, 0x60, v7
	v_xor_b32_e32 v7, v7, v8
	v_or_b32_e32 v6, v7, v6
	v_xor_b32_e32 v28, v13, v9
	v_xor_b32_e32 v29, v6, v9
	ds_read_b64 v[20:21], v27 offset:49152
	ds_read_b64 v[36:37], v28 offset:49152
	ds_read_b64 v[38:39], v29 offset:49152
	s_waitcnt lgkmcnt(3)
	v_mfma_f32_16x16x16_bf16 a[0:3], v[10:11], v[2:3], 0
	ds_read2st64_b64 v[6:9], v25 offset0:36 offset1:40
	s_lshl_b64 s[0:1], s[24:25], 8
	s_add_u32 s4, s4, s0
	v_mfma_f32_16x16x16_bf16 a[4:7], v[10:11], v[4:5], 0
	ds_read2_b64 v[2:5], v12 offset0:32 offset1:48
	s_addc_u32 s5, s5, s1
	s_add_i32 s1, s44, s33
	s_waitcnt lgkmcnt(0)
	v_mfma_f32_16x16x16_bf16 a[8:11], v[10:11], v[2:3], 0
	v_or_b32_e32 v2, 64, v14
	v_lshlrev_b32_e32 v30, 1, v2
	s_add_i32 s0, s12, -1
	v_mfma_f32_16x16x16_bf16 a[12:15], v[10:11], v[4:5], 0
	ds_read2st64_b64 v[2:5], v30 offset0:36 offset1:40
	s_add_i32 s35, s1, s39
	s_add_i32 s1, s46, s45
	v_mfma_f32_16x16x16_bf16 a[0:3], v[20:21], v[6:7], a[0:3]
	v_or_b32_e32 v6, 0x80, v14
	v_lshlrev_b32_e32 v31, 1, v6
	ds_read2st64_b64 v[10:13], v31 offset0:36 offset1:40
	s_waitcnt lgkmcnt(1)
	v_mfma_f32_16x16x16_bf16 a[4:7], v[20:21], v[2:3], a[4:7]
	v_or_b32_e32 v2, 0xc0, v14
	v_lshlrev_b32_e32 v32, 1, v2
	ds_read2st64_b64 v[14:17], v32 offset0:36 offset1:40
	s_add_i32 s31, s1, s47
	s_ashr_i32 s1, s0, 31
	s_mul_i32 s2, s0, s29
	s_mul_hi_u32 s3, s0, s28
	s_add_i32 s2, s3, s2
	s_mul_i32 s1, s1, s28
	s_waitcnt lgkmcnt(1)
	v_mfma_f32_16x16x16_bf16 a[8:11], v[20:21], v[10:11], a[8:11]
	s_add_i32 s1, s2, s1
	s_lshl_b64 s[2:3], s[34:35], 2
	s_add_u32 s10, s10, s2
	s_waitcnt lgkmcnt(0)
	v_mfma_f32_16x16x16_bf16 a[12:15], v[20:21], v[14:15], a[12:15]
	s_addc_u32 s11, s11, s3
	s_lshl_b64 s[2:3], s[30:31], 2
	s_mul_i32 s0, s0, s28
	v_mfma_f32_16x16x16_bf16 a[0:3], v[36:37], v[8:9], a[0:3]
	ds_read_b64 v[2:3], v25 offset:22528
	s_add_u32 s10, s10, s2
	s_addc_u32 s11, s11, s3
	v_mfma_f32_16x16x16_bf16 a[4:7], v[36:37], v[4:5], a[4:7]
	ds_read_b64 v[4:5], v30 offset:22528
	ds_read_b64 v[6:7], v31 offset:22528
	;; [unrolled: 1-line block ×3, first 2 shown]
	s_lshl_b64 s[0:1], s[0:1], 2
	s_add_u32 s0, s10, s0
	v_mfma_f32_16x16x16_bf16 a[8:11], v[36:37], v[12:13], a[8:11]
	s_addc_u32 s1, s11, s1
	s_load_dword s12, s[0:1], 0x0
	s_and_b64 vcc, exec, s[22:23]
	v_mfma_f32_16x16x16_bf16 a[12:15], v[36:37], v[16:17], a[12:15]
	s_waitcnt lgkmcnt(0)
	v_mfma_f32_16x16x16_bf16 a[0:3], v[38:39], v[2:3], a[0:3]
	v_mfma_f32_16x16x16_bf16 a[4:7], v[38:39], v[4:5], a[4:7]
	;; [unrolled: 1-line block ×4, first 2 shown]
	s_cbranch_vccz .LBB204_42
; %bb.32:
	v_lshlrev_b32_e32 v20, 1, v24
	s_and_b64 vcc, exec, s[6:7]
	s_cbranch_vccz .LBB204_43
; %bb.33:
	v_cmp_gt_i32_e32 vcc, s27, v20
	v_mov_b32_e32 v6, 0
	v_mov_b32_e32 v2, 0
	;; [unrolled: 1-line block ×5, first 2 shown]
	s_and_saveexec_b64 s[0:1], vcc
	s_cbranch_execz .LBB204_35
; %bb.34:
	v_mad_i64_i32 v[2:3], s[2:3], s15, v20, 0
	v_lshl_add_u64 v[2:3], v[2:3], 1, s[4:5]
	v_lshlrev_b32_e32 v4, 1, v18
	v_mov_b32_e32 v5, 0
	v_lshl_add_u64 v[2:3], v[2:3], 0, v[4:5]
	global_load_dwordx4 v[2:5], v[2:3], off
.LBB204_35:
	s_or_b64 exec, exec, s[0:1]
	v_or_b32_e32 v21, 1, v20
	v_cmp_gt_i32_e64 s[0:1], s27, v21
	v_mov_b32_e32 v7, 0
	v_mov_b32_e32 v8, 0
	;; [unrolled: 1-line block ×3, first 2 shown]
	s_and_saveexec_b64 s[2:3], s[0:1]
	s_cbranch_execz .LBB204_37
; %bb.36:
	v_mad_i64_i32 v[6:7], s[16:17], s15, v21, 0
	v_lshl_add_u64 v[6:7], v[6:7], 1, s[4:5]
	v_lshlrev_b32_e32 v8, 1, v18
	v_mov_b32_e32 v9, 0
	v_lshl_add_u64 v[6:7], v[6:7], 0, v[8:9]
	global_load_dwordx4 v[6:9], v[6:7], off
.LBB204_37:
	s_or_b64 exec, exec, s[2:3]
	v_mov_b32_e32 v17, 0
	v_mov_b32_e32 v10, 0
	v_mov_b32_e32 v11, 0
	v_mov_b32_e32 v12, 0
	v_mov_b32_e32 v13, 0
	s_and_saveexec_b64 s[2:3], vcc
	s_cbranch_execz .LBB204_39
; %bb.38:
	v_mad_i64_i32 v[10:11], s[16:17], s15, v20, 0
	v_lshl_add_u64 v[10:11], v[10:11], 1, s[4:5]
	v_lshlrev_b32_e32 v12, 1, v18
	v_mov_b32_e32 v13, 0
	v_lshl_add_u64 v[10:11], v[10:11], 0, v[12:13]
	global_load_dwordx4 v[10:13], v[10:11], off offset:128
.LBB204_39:
	s_or_b64 exec, exec, s[2:3]
	v_mov_b32_e32 v16, 0
	v_mov_b32_e32 v15, 0
	;; [unrolled: 1-line block ×3, first 2 shown]
	s_and_saveexec_b64 s[2:3], s[0:1]
	s_cbranch_execz .LBB204_41
; %bb.40:
	v_mad_i64_i32 v[14:15], s[0:1], s15, v21, 0
	v_lshl_add_u64 v[14:15], v[14:15], 1, s[4:5]
	v_lshlrev_b32_e32 v16, 1, v18
	v_mov_b32_e32 v17, 0
	v_lshl_add_u64 v[14:15], v[14:15], 0, v[16:17]
	global_load_dwordx4 v[14:17], v[14:15], off offset:128
.LBB204_41:
	s_or_b64 exec, exec, s[2:3]
	s_branch .LBB204_45
.LBB204_42:
                                        ; implicit-def: $vgpr5
                                        ; implicit-def: $vgpr9
                                        ; implicit-def: $vgpr13
                                        ; implicit-def: $vgpr17
	v_lshrrev_b32_e32 v33, 2, v77
	s_branch .LBB204_46
.LBB204_43:
                                        ; implicit-def: $vgpr5
                                        ; implicit-def: $vgpr9
                                        ; implicit-def: $vgpr13
                                        ; implicit-def: $vgpr17
	s_cbranch_execz .LBB204_45
; %bb.44:
	s_waitcnt vmcnt(0)
	v_mad_u64_u32 v[2:3], s[0:1], v20, s15, v[18:19]
	v_lshlrev_b32_e32 v20, 1, v2
	s_lshl_b32 s2, s15, 7
	s_and_b32 s1, s5, 0xffff
	s_mov_b32 s3, 0x20000
	s_mov_b32 s0, s4
	v_add_lshl_u32 v21, v2, s15, 1
	s_movk_i32 s13, 0x80
	buffer_load_dwordx4 v[2:5], v20, s[0:3], 0 offen
	buffer_load_dwordx4 v[10:13], v20, s[0:3], s13 offen
	;; [unrolled: 1-line block ×4, first 2 shown]
.LBB204_45:
	v_lshrrev_b32_e32 v33, 2, v77
	s_cbranch_execnz .LBB204_58
.LBB204_46:
	s_and_b64 vcc, exec, s[6:7]
	s_cbranch_vccz .LBB204_56
; %bb.47:
	s_waitcnt vmcnt(0)
	v_lshlrev_b32_e32 v7, 1, v24
	v_cmp_gt_i32_e32 vcc, s27, v7
	v_mov_b32_e32 v6, 0
	v_lshlrev_b32_e32 v14, 9, v24
	v_mov_b32_e32 v2, 0
	v_mov_b32_e32 v3, 0
	;; [unrolled: 1-line block ×4, first 2 shown]
	s_and_saveexec_b64 s[0:1], vcc
	s_cbranch_execz .LBB204_49
; %bb.48:
	v_mov_b32_e32 v15, 0
	v_lshl_add_u64 v[2:3], s[4:5], 0, v[14:15]
	v_lshlrev_b32_e32 v4, 1, v18
	v_mov_b32_e32 v5, v15
	v_lshl_add_u64 v[2:3], v[2:3], 0, v[4:5]
	global_load_dwordx4 v[2:5], v[2:3], off
.LBB204_49:
	s_or_b64 exec, exec, s[0:1]
	v_or_b32_e32 v7, 1, v7
	v_cmp_gt_i32_e64 s[0:1], s27, v7
	v_lshlrev_b32_e32 v20, 8, v7
	v_mov_b32_e32 v7, 0
	v_mov_b32_e32 v8, 0
	;; [unrolled: 1-line block ×3, first 2 shown]
	s_and_saveexec_b64 s[2:3], s[0:1]
	s_cbranch_execz .LBB204_51
; %bb.50:
	v_mov_b32_e32 v21, 0
	v_lshl_add_u64 v[6:7], s[4:5], 0, v[20:21]
	v_lshlrev_b32_e32 v8, 1, v18
	v_mov_b32_e32 v9, v21
	v_lshl_add_u64 v[6:7], v[6:7], 0, v[8:9]
	global_load_dwordx4 v[6:9], v[6:7], off
.LBB204_51:
	s_or_b64 exec, exec, s[2:3]
	v_mov_b32_e32 v17, 0
	v_mov_b32_e32 v10, 0
	;; [unrolled: 1-line block ×5, first 2 shown]
	s_and_saveexec_b64 s[2:3], vcc
	s_cbranch_execz .LBB204_53
; %bb.52:
	v_mov_b32_e32 v15, 0
	v_lshl_add_u64 v[10:11], s[4:5], 0, v[14:15]
	v_lshlrev_b32_e32 v14, 1, v18
	v_lshl_add_u64 v[10:11], v[10:11], 0, v[14:15]
	global_load_dwordx4 v[10:13], v[10:11], off offset:128
.LBB204_53:
	s_or_b64 exec, exec, s[2:3]
	v_mov_b32_e32 v16, 0
	v_mov_b32_e32 v15, 0
	;; [unrolled: 1-line block ×3, first 2 shown]
	s_and_saveexec_b64 s[2:3], s[0:1]
	s_cbranch_execz .LBB204_55
; %bb.54:
	v_mov_b32_e32 v21, 0
	v_lshl_add_u64 v[14:15], s[4:5], 0, v[20:21]
	v_lshlrev_b32_e32 v20, 1, v18
	v_lshl_add_u64 v[14:15], v[14:15], 0, v[20:21]
	global_load_dwordx4 v[14:17], v[14:15], off offset:128
.LBB204_55:
	s_or_b64 exec, exec, s[2:3]
	s_branch .LBB204_58
.LBB204_56:
                                        ; implicit-def: $vgpr5
                                        ; implicit-def: $vgpr9
                                        ; implicit-def: $vgpr13
                                        ; implicit-def: $vgpr17
	s_cbranch_execz .LBB204_58
; %bb.57:
	s_waitcnt vmcnt(0)
	v_lshlrev_b32_e32 v2, 1, v18
	v_lshl_or_b32 v18, v24, 9, v2
	s_and_b32 s5, s5, 0xffff
	s_mov_b32 s7, 0x20000
	s_movk_i32 s6, 0x4000
	s_movk_i32 s0, 0x80
	buffer_load_dwordx4 v[2:5], v18, s[4:7], 0 offen
	buffer_load_dwordx4 v[6:9], v18, s[4:7], 0 offen offset:256
	buffer_load_dwordx4 v[10:13], v18, s[4:7], s0 offen
	buffer_load_dwordx4 v[14:17], v18, s[4:7], s0 offen offset:256
.LBB204_58:
	ds_read_b64 v[20:21], v26 offset:57344
	v_add_u32_e32 v18, 0x6000, v25
	ds_read2_b64 v[36:39], v18 offset1:16
	ds_read_b64 v[48:49], v27 offset:57344
	ds_read_b64 v[50:51], v28 offset:57344
	;; [unrolled: 1-line block ×3, first 2 shown]
	ds_read2_b64 v[26:29], v18 offset0:32 offset1:48
	v_and_b32_e32 v18, 6, v0
	v_xor_b32_e32 v24, v24, v18
	v_lshlrev_b32_e32 v24, 2, v24
	v_and_b32_e32 v0, 1, v0
	v_cmp_eq_u32_e32 vcc, 0, v0
	s_waitcnt lgkmcnt(4)
	v_mfma_f32_16x16x16_bf16 a[0:3], v[20:21], v[36:37], a[0:3]
	s_mov_b32 s0, 0x1000504
	s_mov_b32 s1, 0x3020706
	v_mfma_f32_16x16x16_bf16 a[4:7], v[20:21], v[38:39], a[4:7]
	ds_read2st64_b64 v[36:39], v25 offset0:52 offset1:56
	s_waitcnt lgkmcnt(1)
	v_mfma_f32_16x16x16_bf16 a[8:11], v[20:21], v[26:27], a[8:11]
	v_mfma_f32_16x16x16_bf16 a[12:15], v[20:21], v[28:29], a[12:15]
	ds_read2st64_b64 v[26:29], v30 offset0:52 offset1:56
	ds_read2st64_b64 v[40:43], v31 offset0:52 offset1:56
	;; [unrolled: 1-line block ×3, first 2 shown]
	s_waitcnt lgkmcnt(3)
	v_mfma_f32_16x16x16_bf16 a[0:3], v[48:49], v[36:37], a[0:3]
	ds_read_b64 v[20:21], v25 offset:30720
	ds_read_b64 v[36:37], v30 offset:30720
	;; [unrolled: 1-line block ×4, first 2 shown]
	v_xor_b32_e32 v25, 0x440, v24
	v_cndmask_b32_e32 v0, v25, v24, vcc
	s_waitcnt lgkmcnt(6)
	v_mfma_f32_16x16x16_bf16 a[4:7], v[48:49], v[26:27], a[4:7]
	v_lshl_or_b32 v0, v18, 10, v0
	s_waitcnt vmcnt(0)
	v_perm_b32 v18, v2, v6, s0
	v_perm_b32 v24, v10, v14, s0
	s_waitcnt lgkmcnt(5)
	v_mfma_f32_16x16x16_bf16 a[8:11], v[48:49], v[40:41], a[8:11]
	ds_write2st64_b32 v0, v18, v24 offset0:128 offset1:160
	v_xor_b32_e32 v18, 8, v0
	v_perm_b32 v2, v2, v6, s1
	s_waitcnt lgkmcnt(5)
	v_mfma_f32_16x16x16_bf16 a[12:15], v[48:49], v[44:45], a[12:15]
	v_perm_b32 v6, v10, v14, s1
	v_add_u32_e32 v10, 0x80, v18
	ds_write2st64_b32 v10, v2, v6 offset0:128 offset1:160
	v_mfma_f32_16x16x16_bf16 a[0:3], v[50:51], v[38:39], a[0:3]
	v_xor_b32_e32 v2, 16, v0
	v_perm_b32 v6, v3, v7, s0
	v_perm_b32 v10, v11, v15, s0
	v_mfma_f32_16x16x16_bf16 a[4:7], v[50:51], v[28:29], a[4:7]
	ds_write2st64_b32 v2, v6, v10 offset0:129 offset1:161
	v_xor_b32_e32 v2, 24, v0
	v_perm_b32 v3, v3, v7, s1
	v_mfma_f32_16x16x16_bf16 a[16:19], v[50:51], v[42:43], a[8:11]
	v_perm_b32 v6, v11, v15, s1
	v_add_u32_e32 v2, 0x80, v2
	ds_write2st64_b32 v2, v3, v6 offset0:129 offset1:161
	v_mfma_f32_16x16x16_bf16 a[20:23], v[50:51], v[46:47], a[12:15]
	v_xor_b32_e32 v2, 32, v0
	v_perm_b32 v3, v4, v8, s0
	v_perm_b32 v6, v12, v16, s0
	s_waitcnt lgkmcnt(7)
	v_mfma_f32_16x16x16_bf16 a[12:15], v[52:53], v[20:21], a[0:3]
	ds_write2st64_b32 v2, v3, v6 offset0:130 offset1:162
	v_xor_b32_e32 v2, 40, v0
	v_perm_b32 v3, v4, v8, s1
	s_waitcnt lgkmcnt(7)
	v_mfma_f32_16x16x16_bf16 a[8:11], v[52:53], v[36:37], a[4:7]
	v_perm_b32 v4, v12, v16, s1
	v_add_u32_e32 v2, 0x80, v2
	ds_write2st64_b32 v2, v3, v4 offset0:130 offset1:162
	s_waitcnt lgkmcnt(7)
	v_mfma_f32_16x16x16_bf16 a[4:7], v[52:53], v[30:31], a[16:19]
	v_xor_b32_e32 v2, 48, v0
	v_perm_b32 v3, v5, v9, s0
	v_perm_b32 v4, v13, v17, s0
	s_waitcnt lgkmcnt(6)
	v_mfma_f32_16x16x16_bf16 a[0:3], v[52:53], v[54:55], a[20:23]
	v_xor_b32_e32 v0, 56, v0
	v_and_or_b32 v18, v33, 12, v1
	ds_write2st64_b32 v2, v3, v4 offset0:131 offset1:163
	v_perm_b32 v2, v5, v9, s1
	v_perm_b32 v3, v13, v17, s1
	v_add_u32_e32 v0, 0x80, v0
	v_cmp_gt_i32_e32 vcc, s27, v18
	v_mov_b32_e32 v14, 0
	v_mov_b32_e32 v16, 0
	ds_write2st64_b32 v0, v2, v3 offset0:131 offset1:163
	s_and_saveexec_b64 s[0:1], vcc
	s_cbranch_execz .LBB204_60
; %bb.59:
	v_add_u32_e32 v0, s26, v18
	v_ashrrev_i32_e32 v1, 31, v0
	v_mul_lo_u32 v2, v1, s28
	v_mul_lo_u32 v3, v0, s29
	v_mad_u64_u32 v[0:1], s[2:3], v0, s28, 0
	v_add3_u32 v1, v1, v3, v2
	v_lshl_add_u64 v[0:1], v[0:1], 2, s[10:11]
	global_load_dword v0, v[0:1], off
	s_waitcnt vmcnt(0)
	v_sub_f32_e32 v0, s12, v0
	v_mul_f32_e32 v0, 0x3fb8aa3b, v0
	v_exp_f32_e32 v16, v0
.LBB204_60:
	s_or_b64 exec, exec, s[0:1]
	v_or_b32_e32 v8, 1, v18
	v_cmp_gt_i32_e64 s[0:1], s27, v8
	s_and_saveexec_b64 s[2:3], s[0:1]
	s_cbranch_execz .LBB204_62
; %bb.61:
	v_add_u32_e32 v0, s26, v8
	v_ashrrev_i32_e32 v1, 31, v0
	v_mul_lo_u32 v2, v1, s28
	v_mul_lo_u32 v3, v0, s29
	v_mad_u64_u32 v[0:1], s[4:5], v0, s28, 0
	v_add3_u32 v1, v1, v3, v2
	v_lshl_add_u64 v[0:1], v[0:1], 2, s[10:11]
	global_load_dword v0, v[0:1], off
	s_waitcnt vmcnt(0)
	v_sub_f32_e32 v0, s12, v0
	v_mul_f32_e32 v0, 0x3fb8aa3b, v0
	v_exp_f32_e32 v14, v0
.LBB204_62:
	s_or_b64 exec, exec, s[2:3]
	v_or_b32_e32 v10, 2, v18
	v_cmp_gt_i32_e64 s[2:3], s27, v10
	v_mov_b32_e32 v15, 0
	v_mov_b32_e32 v17, 0
	s_and_saveexec_b64 s[4:5], s[2:3]
	s_cbranch_execz .LBB204_64
; %bb.63:
	v_add_u32_e32 v0, s26, v10
	v_ashrrev_i32_e32 v1, 31, v0
	v_mul_lo_u32 v2, v1, s28
	v_mul_lo_u32 v3, v0, s29
	v_mad_u64_u32 v[0:1], s[6:7], v0, s28, 0
	v_add3_u32 v1, v1, v3, v2
	v_lshl_add_u64 v[0:1], v[0:1], 2, s[10:11]
	global_load_dword v0, v[0:1], off
	s_waitcnt vmcnt(0)
	v_sub_f32_e32 v0, s12, v0
	v_mul_f32_e32 v0, 0x3fb8aa3b, v0
	v_exp_f32_e32 v17, v0
.LBB204_64:
	s_or_b64 exec, exec, s[4:5]
	v_or_b32_e32 v12, 3, v18
	v_cmp_gt_i32_e64 s[4:5], s27, v12
	s_and_saveexec_b64 s[6:7], s[4:5]
	s_cbranch_execz .LBB204_66
; %bb.65:
	v_add_u32_e32 v0, s26, v12
	v_ashrrev_i32_e32 v1, 31, v0
	v_mul_lo_u32 v2, v1, s28
	v_mul_lo_u32 v3, v0, s29
	v_mad_u64_u32 v[0:1], s[14:15], v0, s28, 0
	v_add3_u32 v1, v1, v3, v2
	v_lshl_add_u64 v[0:1], v[0:1], 2, s[10:11]
	global_load_dword v0, v[0:1], off
	s_waitcnt vmcnt(0)
	v_sub_f32_e32 v0, s12, v0
	v_mul_f32_e32 v0, 0x3fb8aa3b, v0
	v_exp_f32_e32 v15, v0
.LBB204_66:
	s_or_b64 exec, exec, s[6:7]
	s_add_u32 s6, s8, s20
	v_accvgpr_read_b32 v0, a12
	s_addc_u32 s7, s9, s21
	v_ashrrev_i32_e32 v79, 31, v78
	v_accvgpr_read_b32 v1, a13
	v_accvgpr_read_b32 v2, a14
	;; [unrolled: 1-line block ×3, first 2 shown]
	v_lshl_add_u64 v[4:5], v[78:79], 1, s[6:7]
	v_mov_b32_e32 v9, 0
	v_lshlrev_b32_e32 v6, 8, v18
	v_mov_b32_e32 v7, 0
	s_and_saveexec_b64 s[6:7], vcc
	s_cbranch_execz .LBB204_68
; %bb.67:
	v_mov_b32_e32 v7, 0
	v_lshl_add_u64 v[20:21], v[4:5], 0, v[6:7]
	global_load_ushort v7, v[20:21], off
	s_waitcnt vmcnt(0)
	v_lshlrev_b32_e32 v7, 16, v7
	v_sub_f32_e32 v0, v7, v0
	v_mul_f32_e32 v0, v16, v0
	v_lshrrev_b32_e32 v7, 16, v0
.LBB204_68:
	s_or_b64 exec, exec, s[6:7]
	v_lshlrev_b32_e32 v8, 8, v8
	s_and_saveexec_b64 s[6:7], s[0:1]
	s_cbranch_execz .LBB204_70
; %bb.69:
	v_mov_b32_e32 v9, 0
	v_lshl_add_u64 v[20:21], v[4:5], 0, v[8:9]
	global_load_ushort v0, v[20:21], off
	s_waitcnt vmcnt(0)
	v_lshlrev_b32_e32 v0, 16, v0
	v_sub_f32_e32 v0, v0, v1
	v_mul_f32_e32 v0, v14, v0
	v_lshrrev_b32_e32 v9, 16, v0
.LBB204_70:
	s_or_b64 exec, exec, s[6:7]
	v_mov_b32_e32 v13, 0
	v_lshlrev_b32_e32 v10, 8, v10
	v_mov_b32_e32 v11, 0
	s_and_saveexec_b64 s[6:7], s[2:3]
	s_cbranch_execz .LBB204_72
; %bb.71:
	v_mov_b32_e32 v11, 0
	v_lshl_add_u64 v[0:1], v[4:5], 0, v[10:11]
	global_load_ushort v0, v[0:1], off
	s_waitcnt vmcnt(0)
	v_lshlrev_b32_e32 v0, 16, v0
	v_sub_f32_e32 v0, v0, v2
	v_mul_f32_e32 v0, v17, v0
	v_lshrrev_b32_e32 v11, 16, v0
.LBB204_72:
	s_or_b64 exec, exec, s[6:7]
	v_lshlrev_b32_e32 v12, 8, v12
	s_and_saveexec_b64 s[6:7], s[4:5]
	s_cbranch_execz .LBB204_74
; %bb.73:
	v_mov_b32_e32 v13, 0
	v_lshl_add_u64 v[0:1], v[4:5], 0, v[12:13]
	global_load_ushort v0, v[0:1], off
	s_waitcnt vmcnt(0)
	v_lshlrev_b32_e32 v0, 16, v0
	v_sub_f32_e32 v0, v0, v3
	v_mul_f32_e32 v0, v15, v0
	v_lshrrev_b32_e32 v13, 16, v0
.LBB204_74:
	s_or_b64 exec, exec, s[6:7]
	v_lshlrev_b32_e32 v18, 6, v18
	s_mov_b32 s6, 0x5040100
	v_perm_b32 v20, v9, v7, s6
	v_or_b32_e32 v7, v18, v34
	v_accvgpr_read_b32 v0, a8
	v_perm_b32 v21, v13, v11, s6
	v_lshlrev_b32_e32 v7, 1, v7
	v_accvgpr_read_b32 v1, a9
	v_accvgpr_read_b32 v2, a10
	;; [unrolled: 1-line block ×3, first 2 shown]
	ds_write_b64 v7, v[20:21] offset:24576
	v_mov_b32_e32 v9, 0
	v_mov_b32_e32 v7, 0
	s_and_saveexec_b64 s[6:7], vcc
	s_cbranch_execz .LBB204_76
; %bb.75:
	v_mov_b32_e32 v7, 0
	v_lshl_add_u64 v[20:21], v[4:5], 0, v[6:7]
	global_load_ushort v7, v[20:21], off offset:32
	s_waitcnt vmcnt(0)
	v_lshlrev_b32_e32 v7, 16, v7
	v_sub_f32_e32 v0, v7, v0
	v_mul_f32_e32 v0, v16, v0
	v_lshrrev_b32_e32 v7, 16, v0
.LBB204_76:
	s_or_b64 exec, exec, s[6:7]
	s_and_saveexec_b64 s[6:7], s[0:1]
	s_cbranch_execz .LBB204_78
; %bb.77:
	v_mov_b32_e32 v9, 0
	v_lshl_add_u64 v[20:21], v[4:5], 0, v[8:9]
	global_load_ushort v0, v[20:21], off offset:32
	s_waitcnt vmcnt(0)
	v_lshlrev_b32_e32 v0, 16, v0
	v_sub_f32_e32 v0, v0, v1
	v_mul_f32_e32 v0, v14, v0
	v_lshrrev_b32_e32 v9, 16, v0
.LBB204_78:
	s_or_b64 exec, exec, s[6:7]
	v_mov_b32_e32 v13, 0
	v_mov_b32_e32 v11, 0
	s_and_saveexec_b64 s[6:7], s[2:3]
	s_cbranch_execz .LBB204_80
; %bb.79:
	v_mov_b32_e32 v11, 0
	v_lshl_add_u64 v[0:1], v[4:5], 0, v[10:11]
	global_load_ushort v0, v[0:1], off offset:32
	s_waitcnt vmcnt(0)
	v_lshlrev_b32_e32 v0, 16, v0
	v_sub_f32_e32 v0, v0, v2
	v_mul_f32_e32 v0, v17, v0
	v_lshrrev_b32_e32 v11, 16, v0
.LBB204_80:
	s_or_b64 exec, exec, s[6:7]
	s_and_saveexec_b64 s[6:7], s[4:5]
	s_cbranch_execz .LBB204_82
; %bb.81:
	v_mov_b32_e32 v13, 0
	v_lshl_add_u64 v[0:1], v[4:5], 0, v[12:13]
	global_load_ushort v0, v[0:1], off offset:32
	s_waitcnt vmcnt(0)
	v_lshlrev_b32_e32 v0, 16, v0
	v_sub_f32_e32 v0, v0, v3
	v_mul_f32_e32 v0, v15, v0
	v_lshrrev_b32_e32 v13, 16, v0
.LBB204_82:
	s_or_b64 exec, exec, s[6:7]
	s_mov_b32 s6, 0x5040100
	v_perm_b32 v20, v9, v7, s6
	v_or_b32_e32 v7, v18, v23
	v_accvgpr_read_b32 v0, a4
	v_perm_b32 v21, v13, v11, s6
	v_lshlrev_b32_e32 v7, 1, v7
	v_accvgpr_read_b32 v1, a5
	v_accvgpr_read_b32 v2, a6
	;; [unrolled: 1-line block ×3, first 2 shown]
	ds_write_b64 v7, v[20:21] offset:24576
	v_mov_b32_e32 v9, 0
	v_mov_b32_e32 v7, 0
	s_and_saveexec_b64 s[6:7], vcc
	s_cbranch_execz .LBB204_84
; %bb.83:
	v_mov_b32_e32 v7, 0
	v_lshl_add_u64 v[20:21], v[4:5], 0, v[6:7]
	global_load_ushort v7, v[20:21], off offset:64
	s_waitcnt vmcnt(0)
	v_lshlrev_b32_e32 v7, 16, v7
	v_sub_f32_e32 v0, v7, v0
	v_mul_f32_e32 v0, v16, v0
	v_lshrrev_b32_e32 v7, 16, v0
.LBB204_84:
	s_or_b64 exec, exec, s[6:7]
	s_and_saveexec_b64 s[6:7], s[0:1]
	s_cbranch_execz .LBB204_86
; %bb.85:
	v_mov_b32_e32 v9, 0
	v_lshl_add_u64 v[20:21], v[4:5], 0, v[8:9]
	global_load_ushort v0, v[20:21], off offset:64
	s_waitcnt vmcnt(0)
	v_lshlrev_b32_e32 v0, 16, v0
	v_sub_f32_e32 v0, v0, v1
	v_mul_f32_e32 v0, v14, v0
	v_lshrrev_b32_e32 v9, 16, v0
.LBB204_86:
	s_or_b64 exec, exec, s[6:7]
	v_mov_b32_e32 v13, 0
	v_mov_b32_e32 v11, 0
	s_and_saveexec_b64 s[6:7], s[2:3]
	s_cbranch_execz .LBB204_88
; %bb.87:
	v_mov_b32_e32 v11, 0
	v_lshl_add_u64 v[0:1], v[4:5], 0, v[10:11]
	global_load_ushort v0, v[0:1], off offset:64
	s_waitcnt vmcnt(0)
	v_lshlrev_b32_e32 v0, 16, v0
	v_sub_f32_e32 v0, v0, v2
	v_mul_f32_e32 v0, v17, v0
	v_lshrrev_b32_e32 v11, 16, v0
.LBB204_88:
	s_or_b64 exec, exec, s[6:7]
	s_and_saveexec_b64 s[6:7], s[4:5]
	s_cbranch_execz .LBB204_90
; %bb.89:
	v_mov_b32_e32 v13, 0
	v_lshl_add_u64 v[0:1], v[4:5], 0, v[12:13]
	global_load_ushort v0, v[0:1], off offset:64
	s_waitcnt vmcnt(0)
	v_lshlrev_b32_e32 v0, 16, v0
	v_sub_f32_e32 v0, v0, v3
	v_mul_f32_e32 v0, v15, v0
	v_lshrrev_b32_e32 v13, 16, v0
.LBB204_90:
	s_or_b64 exec, exec, s[6:7]
	s_mov_b32 s6, 0x5040100
	v_perm_b32 v20, v9, v7, s6
	v_or_b32_e32 v7, v18, v22
	v_accvgpr_read_b32 v0, a0
	v_perm_b32 v21, v13, v11, s6
	v_lshlrev_b32_e32 v7, 1, v7
	v_accvgpr_read_b32 v1, a1
	v_accvgpr_read_b32 v2, a2
	;; [unrolled: 1-line block ×3, first 2 shown]
	ds_write_b64 v7, v[20:21] offset:24576
	v_mov_b32_e32 v9, 0
	v_mov_b32_e32 v7, 0
	s_and_saveexec_b64 s[6:7], vcc
	s_cbranch_execz .LBB204_92
; %bb.91:
	v_mov_b32_e32 v7, 0
	v_lshl_add_u64 v[6:7], v[4:5], 0, v[6:7]
	global_load_ushort v6, v[6:7], off offset:96
	s_waitcnt vmcnt(0)
	v_lshlrev_b32_e32 v6, 16, v6
	v_sub_f32_e32 v0, v6, v0
	v_mul_f32_e32 v0, v16, v0
	v_lshrrev_b32_e32 v7, 16, v0
.LBB204_92:
	s_or_b64 exec, exec, s[6:7]
	s_and_saveexec_b64 s[6:7], s[0:1]
	s_cbranch_execz .LBB204_94
; %bb.93:
	v_mov_b32_e32 v9, 0
	v_lshl_add_u64 v[8:9], v[4:5], 0, v[8:9]
	global_load_ushort v0, v[8:9], off offset:96
	s_waitcnt vmcnt(0)
	v_lshlrev_b32_e32 v0, 16, v0
	v_sub_f32_e32 v0, v0, v1
	v_mul_f32_e32 v0, v14, v0
	v_lshrrev_b32_e32 v9, 16, v0
.LBB204_94:
	s_or_b64 exec, exec, s[6:7]
	v_mov_b32_e32 v0, 0
	v_mov_b32_e32 v1, 0
	s_and_saveexec_b64 s[0:1], s[2:3]
	s_cbranch_execz .LBB204_96
; %bb.95:
	v_mov_b32_e32 v11, 0
	v_lshl_add_u64 v[10:11], v[4:5], 0, v[10:11]
	global_load_ushort v1, v[10:11], off offset:96
	s_waitcnt vmcnt(0)
	v_lshlrev_b32_e32 v1, 16, v1
	v_sub_f32_e32 v1, v1, v2
	v_mul_f32_e32 v1, v17, v1
	v_lshrrev_b32_e32 v1, 16, v1
.LBB204_96:
	s_or_b64 exec, exec, s[0:1]
	s_and_saveexec_b64 s[0:1], s[4:5]
	s_cbranch_execz .LBB204_98
; %bb.97:
	v_mov_b32_e32 v13, 0
	v_lshl_add_u64 v[4:5], v[4:5], 0, v[12:13]
	global_load_ushort v0, v[4:5], off offset:96
	s_waitcnt vmcnt(0)
	v_lshlrev_b32_e32 v0, 16, v0
	v_sub_f32_e32 v0, v0, v3
	v_mul_f32_e32 v0, v15, v0
	v_lshrrev_b32_e32 v0, 16, v0
.LBB204_98:
	s_or_b64 exec, exec, s[0:1]
	s_mov_b32 s0, 0x5040100
	v_or_b32_e32 v2, v18, v19
	v_perm_b32 v1, v0, v1, s0
	v_perm_b32 v0, v9, v7, s0
	v_lshlrev_b32_e32 v2, 1, v2
	ds_write_b64 v2, v[0:1] offset:24576
	s_waitcnt lgkmcnt(0)
	s_barrier
.LBB204_99:
	s_endpgm
	.section	.rodata,"a",@progbits
	.p2align	6, 0x0
	.amdhsa_kernel _ZN12_GLOBAL__N_139chunk_gated_delta_rule_fwd_h_hip_kernelILi64ELb1ELb0ELb0ELb0ELb0ELb1ELb1ELb0EEEvPK12hip_bfloat16S3_S3_PKfS5_PKvPS1_S8_PvPKiSB_iiiiilll
		.amdhsa_group_segment_fixed_size 65536
		.amdhsa_private_segment_fixed_size 0
		.amdhsa_kernarg_size 136
		.amdhsa_user_sgpr_count 2
		.amdhsa_user_sgpr_dispatch_ptr 0
		.amdhsa_user_sgpr_queue_ptr 0
		.amdhsa_user_sgpr_kernarg_segment_ptr 1
		.amdhsa_user_sgpr_dispatch_id 0
		.amdhsa_user_sgpr_kernarg_preload_length 0
		.amdhsa_user_sgpr_kernarg_preload_offset 0
		.amdhsa_user_sgpr_private_segment_size 0
		.amdhsa_uses_dynamic_stack 0
		.amdhsa_enable_private_segment 0
		.amdhsa_system_sgpr_workgroup_id_x 1
		.amdhsa_system_sgpr_workgroup_id_y 1
		.amdhsa_system_sgpr_workgroup_id_z 0
		.amdhsa_system_sgpr_workgroup_info 0
		.amdhsa_system_vgpr_workitem_id 0
		.amdhsa_next_free_vgpr 232
		.amdhsa_next_free_sgpr 69
		.amdhsa_accum_offset 192
		.amdhsa_reserve_vcc 1
		.amdhsa_float_round_mode_32 0
		.amdhsa_float_round_mode_16_64 0
		.amdhsa_float_denorm_mode_32 3
		.amdhsa_float_denorm_mode_16_64 3
		.amdhsa_dx10_clamp 1
		.amdhsa_ieee_mode 1
		.amdhsa_fp16_overflow 0
		.amdhsa_tg_split 0
		.amdhsa_exception_fp_ieee_invalid_op 0
		.amdhsa_exception_fp_denorm_src 0
		.amdhsa_exception_fp_ieee_div_zero 0
		.amdhsa_exception_fp_ieee_overflow 0
		.amdhsa_exception_fp_ieee_underflow 0
		.amdhsa_exception_fp_ieee_inexact 0
		.amdhsa_exception_int_div_zero 0
	.end_amdhsa_kernel
	.section	.text._ZN12_GLOBAL__N_139chunk_gated_delta_rule_fwd_h_hip_kernelILi64ELb1ELb0ELb0ELb0ELb0ELb1ELb1ELb0EEEvPK12hip_bfloat16S3_S3_PKfS5_PKvPS1_S8_PvPKiSB_iiiiilll,"axG",@progbits,_ZN12_GLOBAL__N_139chunk_gated_delta_rule_fwd_h_hip_kernelILi64ELb1ELb0ELb0ELb0ELb0ELb1ELb1ELb0EEEvPK12hip_bfloat16S3_S3_PKfS5_PKvPS1_S8_PvPKiSB_iiiiilll,comdat
.Lfunc_end204:
	.size	_ZN12_GLOBAL__N_139chunk_gated_delta_rule_fwd_h_hip_kernelILi64ELb1ELb0ELb0ELb0ELb0ELb1ELb1ELb0EEEvPK12hip_bfloat16S3_S3_PKfS5_PKvPS1_S8_PvPKiSB_iiiiilll, .Lfunc_end204-_ZN12_GLOBAL__N_139chunk_gated_delta_rule_fwd_h_hip_kernelILi64ELb1ELb0ELb0ELb0ELb0ELb1ELb1ELb0EEEvPK12hip_bfloat16S3_S3_PKfS5_PKvPS1_S8_PvPKiSB_iiiiilll
                                        ; -- End function
	.section	.AMDGPU.csdata,"",@progbits
; Kernel info:
; codeLenInByte = 11076
; NumSgprs: 75
; NumVgprs: 190
; NumAgprs: 40
; TotalNumVgprs: 232
; ScratchSize: 0
; MemoryBound: 0
; FloatMode: 240
; IeeeMode: 1
; LDSByteSize: 65536 bytes/workgroup (compile time only)
; SGPRBlocks: 9
; VGPRBlocks: 28
; NumSGPRsForWavesPerEU: 75
; NumVGPRsForWavesPerEU: 232
; AccumOffset: 192
; Occupancy: 1
; WaveLimiterHint : 1
; COMPUTE_PGM_RSRC2:SCRATCH_EN: 0
; COMPUTE_PGM_RSRC2:USER_SGPR: 2
; COMPUTE_PGM_RSRC2:TRAP_HANDLER: 0
; COMPUTE_PGM_RSRC2:TGID_X_EN: 1
; COMPUTE_PGM_RSRC2:TGID_Y_EN: 1
; COMPUTE_PGM_RSRC2:TGID_Z_EN: 0
; COMPUTE_PGM_RSRC2:TIDIG_COMP_CNT: 0
; COMPUTE_PGM_RSRC3_GFX90A:ACCUM_OFFSET: 47
; COMPUTE_PGM_RSRC3_GFX90A:TG_SPLIT: 0
	.section	.text._ZN12_GLOBAL__N_139chunk_gated_delta_rule_fwd_h_hip_kernelILi64ELb0ELb1ELb1ELb0ELb0ELb1ELb1ELb0EEEvPK12hip_bfloat16S3_S3_PKfS5_PKvPS1_S8_PvPKiSB_iiiiilll,"axG",@progbits,_ZN12_GLOBAL__N_139chunk_gated_delta_rule_fwd_h_hip_kernelILi64ELb0ELb1ELb1ELb0ELb0ELb1ELb1ELb0EEEvPK12hip_bfloat16S3_S3_PKfS5_PKvPS1_S8_PvPKiSB_iiiiilll,comdat
	.globl	_ZN12_GLOBAL__N_139chunk_gated_delta_rule_fwd_h_hip_kernelILi64ELb0ELb1ELb1ELb0ELb0ELb1ELb1ELb0EEEvPK12hip_bfloat16S3_S3_PKfS5_PKvPS1_S8_PvPKiSB_iiiiilll ; -- Begin function _ZN12_GLOBAL__N_139chunk_gated_delta_rule_fwd_h_hip_kernelILi64ELb0ELb1ELb1ELb0ELb0ELb1ELb1ELb0EEEvPK12hip_bfloat16S3_S3_PKfS5_PKvPS1_S8_PvPKiSB_iiiiilll
	.p2align	8
	.type	_ZN12_GLOBAL__N_139chunk_gated_delta_rule_fwd_h_hip_kernelILi64ELb0ELb1ELb1ELb0ELb0ELb1ELb1ELb0EEEvPK12hip_bfloat16S3_S3_PKfS5_PKvPS1_S8_PvPKiSB_iiiiilll,@function
_ZN12_GLOBAL__N_139chunk_gated_delta_rule_fwd_h_hip_kernelILi64ELb0ELb1ELb1ELb0ELb0ELb1ELb1ELb0EEEvPK12hip_bfloat16S3_S3_PKfS5_PKvPS1_S8_PvPKiSB_iiiiilll: ; @_ZN12_GLOBAL__N_139chunk_gated_delta_rule_fwd_h_hip_kernelILi64ELb0ELb1ELb1ELb0ELb0ELb1ELb1ELb0EEEvPK12hip_bfloat16S3_S3_PKfS5_PKvPS1_S8_PvPKiSB_iiiiilll
; %bb.0:
	s_load_dwordx4 s[12:15], s[0:1], 0x5c
	s_load_dwordx2 s[34:35], s[0:1], 0x40
	s_abs_i32 s22, s3
	s_ashr_i32 s21, s3, 31
	s_load_dwordx8 s[4:11], s[0:1], 0x0
	s_load_dwordx2 s[36:37], s[0:1], 0x20
	s_load_dwordx4 s[16:19], s[0:1], 0x30
	s_waitcnt lgkmcnt(0)
	s_abs_i32 s20, s13
	v_cvt_f32_u32_e32 v1, s20
	s_sub_i32 s24, 0, s20
	s_ashr_i32 s23, s13, 31
	s_xor_b32 s21, s21, s23
	v_rcp_iflag_f32_e32 v1, v1
	v_lshrrev_b32_e32 v77, 6, v0
	v_bfe_u32 v88, v0, 4, 2
	v_lshlrev_b32_e32 v86, 4, v77
	v_mul_f32_e32 v1, 0x4f7ffffe, v1
	v_cvt_u32_f32_e32 v1, v1
	v_lshlrev_b32_e32 v34, 2, v88
	v_and_b32_e32 v87, 63, v0
	v_mov_b32_e32 v25, 0
	v_readfirstlane_b32 s25, v1
	s_mul_i32 s24, s24, s25
	s_mul_hi_u32 s24, s25, s24
	s_add_i32 s25, s25, s24
	s_mul_hi_u32 s24, s22, s25
	s_mul_i32 s25, s24, s20
	s_sub_i32 s22, s22, s25
	s_add_i32 s25, s24, 1
	s_sub_i32 s26, s22, s20
	s_cmp_ge_u32 s22, s20
	s_cselect_b32 s24, s25, s24
	s_cselect_b32 s22, s26, s22
	s_add_i32 s25, s24, 1
	s_cmp_ge_u32 s22, s20
	s_cselect_b32 s22, s25, s24
	s_xor_b32 s22, s22, s21
	s_sub_i32 s52, s22, s21
	s_abs_i32 s21, s14
	v_cvt_f32_u32_e32 v1, s21
	s_ashr_i32 s51, s12, 31
	s_lshr_b32 s22, s51, 26
	s_add_i32 s22, s12, s22
	v_rcp_iflag_f32_e32 v1, v1
	s_ashr_i32 s54, s14, 31
	s_ashr_i32 s53, s22, 6
	s_xor_b32 s22, s23, s54
	v_mul_f32_e32 v1, 0x4f7ffffe, v1
	v_cvt_u32_f32_e32 v1, v1
	s_sub_i32 s23, 0, s21
	s_mul_i32 s50, s52, s13
	s_sub_i32 s33, s3, s50
	v_readfirstlane_b32 s24, v1
	s_mul_i32 s23, s23, s24
	s_mul_hi_u32 s23, s24, s23
	s_add_i32 s24, s24, s23
	s_mul_hi_u32 s23, s20, s24
	s_mul_i32 s24, s23, s21
	s_sub_i32 s20, s20, s24
	s_add_i32 s3, s12, 63
	s_add_i32 s24, s23, 1
	s_sub_i32 s25, s20, s21
	s_cmp_ge_u32 s20, s21
	s_cselect_b32 s23, s24, s23
	s_cselect_b32 s20, s25, s20
	s_add_i32 s24, s23, 1
	s_cmp_ge_u32 s20, s21
	s_cselect_b32 s20, s24, s23
	s_xor_b32 s20, s20, s22
	s_sub_i32 s24, s20, s22
	s_abs_i32 s25, s24
	v_cvt_f32_u32_e32 v1, s25
	s_sub_i32 s26, 0, s25
	s_load_dwordx2 s[38:39], s[0:1], 0x80
	s_load_dwordx4 s[20:23], s[0:1], 0x70
	s_xor_b32 s1, s33, s24
	v_rcp_iflag_f32_e32 v1, v1
	s_abs_i32 s24, s33
	s_ashr_i32 s1, s1, 31
	s_mov_b32 s0, 0
	v_mul_f32_e32 v1, 0x4f7ffffe, v1
	v_cvt_u32_f32_e32 v1, v1
	s_mul_i32 s48, s52, s12
	v_and_b32_e32 v89, 15, v0
	s_mul_hi_i32 s56, s52, s13
	v_readfirstlane_b32 s27, v1
	s_mul_i32 s26, s26, s27
	s_mul_hi_u32 s26, s27, s26
	s_add_i32 s27, s27, s26
	s_mul_hi_u32 s26, s24, s27
	s_mul_i32 s27, s26, s25
	s_sub_i32 s24, s24, s27
	s_add_i32 s27, s26, 1
	s_sub_i32 s28, s24, s25
	s_cmp_ge_u32 s24, s25
	s_cselect_b32 s26, s27, s26
	s_cselect_b32 s24, s28, s24
	s_add_i32 s27, s26, 1
	s_cmp_ge_u32 s24, s25
	s_cselect_b32 s24, s27, s26
	s_xor_b32 s24, s24, s1
	s_sub_i32 s57, s24, s1
	s_ashr_i32 s1, s3, 31
	s_lshr_b32 s1, s1, 26
	s_add_i32 s3, s3, s1
	s_ashr_i32 s1, s3, 6
	v_or_b32_e32 v1, v34, v86
	s_mul_i32 s55, s52, s1
	s_lshl_b32 s2, s2, 6
	s_mov_b32 s1, s0
	v_or_b32_e32 v92, 64, v1
	s_cmp_lt_i32 s12, 64
	v_mov_b64_e32 v[2:3], s[0:1]
	v_lshrrev_b32_e32 v91, 3, v87
	v_lshlrev_b32_e32 v90, 3, v0
	s_waitcnt lgkmcnt(0)
	s_mul_i32 s21, s52, s21
	s_mul_hi_u32 s49, s52, s20
	s_mul_i32 s40, s52, s20
	v_mov_b32_e32 v24, v25
	v_mov_b32_e32 v23, v25
	;; [unrolled: 1-line block ×23, first 2 shown]
	v_mov_b64_e32 v[4:5], s[0:1]
	v_mov_b64_e32 v[6:7], s[0:1]
	;; [unrolled: 1-line block ×3, first 2 shown]
	s_cbranch_scc1 .LBB205_18
; %bb.1:
	s_ashr_i32 s3, s52, 31
	s_ashr_i32 s59, s33, 31
	s_add_u32 s0, s50, s33
	s_addc_u32 s1, s56, s59
	s_mul_i32 s1, s12, s1
	s_mul_hi_u32 s24, s12, s0
	s_add_i32 s43, s24, s1
	s_mul_i32 s42, s12, s0
	s_lshl_b64 s[0:1], s[42:43], 8
	v_and_b32_e32 v94, 56, v90
	s_add_u32 s24, s6, s0
	v_lshl_or_b32 v93, v77, 3, v91
	v_lshlrev_b32_e32 v2, 1, v94
	s_addc_u32 s0, s7, s1
	v_lshl_or_b32 v95, v93, 8, v2
	s_and_b32 s25, s0, 0xffff
	s_mov_b32 s27, 0x20000
	s_movk_i32 s26, 0x4000
	s_movk_i32 s0, 0x80
	v_or_b32_e32 v96, 0x2000, v95
	buffer_load_dwordx4 v[4:7], v95, s[24:27], 0 offen
	buffer_load_dwordx4 v[8:11], v95, s[24:27], s0 offen
	;; [unrolled: 1-line block ×4, first 2 shown]
	v_lshlrev_b32_e32 v3, 3, v93
	v_and_or_b32 v21, v0, 7, v3
	v_and_b32_e32 v3, 0x78, v3
	v_lshlrev_b32_e32 v21, 4, v21
	v_xor_b32_e32 v97, v21, v3
	v_mul_lo_u32 v20, v93, s15
	v_or_b32_e32 v98, 0x1000, v97
	v_xor_b32_e32 v3, 8, v97
	s_cmpk_eq_i32 s15, 0x80
	s_mov_b32 s58, s14
	v_xor_b32_e32 v21, 8, v98
	s_cselect_b64 s[0:1], -1, 0
	s_cmpk_lg_i32 s15, 0x80
	s_waitcnt vmcnt(3)
	ds_write_b64 v97, v[4:5] offset:49152
	ds_write_b64 v3, v[6:7] offset:49152
	s_waitcnt vmcnt(2)
	ds_write_b64 v97, v[8:9] offset:57344
	ds_write_b64 v3, v[10:11] offset:57344
	;; [unrolled: 3-line block ×4, first 2 shown]
	v_lshl_add_u32 v3, v20, 1, v94
	s_cbranch_scc0 .LBB205_3
; %bb.2:
	v_lshlrev_b32_e32 v5, 1, v3
	v_add_lshl_u32 v4, v3, s15, 1
	s_lshl_b32 s26, s15, 7
	v_lshl_or_b32 v2, v93, 9, v2
	s_cbranch_execz .LBB205_4
	s_branch .LBB205_5
.LBB205_3:
                                        ; implicit-def: $vgpr4
                                        ; implicit-def: $vgpr5
                                        ; implicit-def: $sgpr26
	v_lshl_or_b32 v2, v93, 9, v2
.LBB205_4:
	v_or_b32_e32 v4, 0x100, v2
	s_movk_i32 s26, 0x4000
	v_mov_b32_e32 v5, v2
.LBB205_5:
	s_mul_hi_u32 s24, s14, s12
	s_mul_i32 s25, s54, s12
	s_add_i32 s24, s24, s25
	s_mul_i32 s25, s14, s12
	s_mul_i32 s27, s25, s3
	s_mul_hi_u32 s28, s25, s52
	s_add_i32 s27, s28, s27
	s_mul_i32 s24, s24, s52
	s_add_i32 s27, s27, s24
	s_mul_i32 s25, s25, s52
	s_ashr_i32 s60, s57, 31
	s_add_u32 s24, s25, s57
	s_addc_u32 s25, s27, s60
	s_lshl_b64 s[24:25], s[24:25], 8
	s_add_u32 s24, s4, s24
	s_addc_u32 s25, s5, s25
	s_and_b32 s25, s25, 0xffff
	s_mov_b32 s27, 0x20000
	s_movk_i32 s61, 0x80
	buffer_load_dwordx4 v[6:9], v5, s[24:27], 0 offen
	buffer_load_dwordx4 v[10:13], v5, s[24:27], s61 offen
	;; [unrolled: 1-line block ×4, first 2 shown]
	v_and_b32_e32 v5, 6, v0
	v_lshlrev_b32_e32 v4, 7, v1
	v_xor_b32_e32 v26, v93, v5
	v_and_b32_e32 v22, 1, v0
	v_lshl_or_b32 v29, v89, 3, v4
	v_lshlrev_b32_e32 v26, 2, v26
	v_or_b32_e32 v99, 0x4000, v29
	v_or_b32_e32 v100, 0x6000, v29
	v_xor_b32_e32 v29, 0x440, v26
	v_cmp_eq_u32_e32 vcc, 0, v22
	v_lshlrev_b32_e32 v23, 2, v89
	v_or_b32_e32 v25, 16, v89
	v_cndmask_b32_e32 v22, v29, v26, vcc
	s_mov_b32 s63, 0x1000504
	v_xor_b32_e32 v27, v1, v23
	v_xor_b32_e32 v28, v92, v23
	v_lshl_or_b32 v30, v25, 3, v4
	v_lshl_or_b32 v5, v5, 10, v22
	s_mov_b32 s64, 0x3020706
	s_mul_i32 s24, s3, s12
	s_mul_hi_u32 s25, s52, s12
	v_lshlrev_b32_e32 v24, 8, v89
	v_lshlrev_b32_e32 v27, 1, v27
	;; [unrolled: 1-line block ×3, first 2 shown]
	v_or_b32_e32 v101, 0x4000, v30
	v_or_b32_e32 v102, 0x6000, v30
	v_xor_b32_e32 v22, 8, v5
	v_xor_b32_e32 v26, 24, v5
	;; [unrolled: 1-line block ×4, first 2 shown]
	v_or_b32_e32 v103, v24, v27
	v_or_b32_e32 v104, v24, v28
	v_xor_b32_e32 v24, 16, v5
	v_xor_b32_e32 v29, 32, v5
	;; [unrolled: 1-line block ×3, first 2 shown]
	v_add_u32_e32 v22, 0x80, v22
	v_add_u32_e32 v26, 0x80, v26
	;; [unrolled: 1-line block ×4, first 2 shown]
	s_add_i32 s65, s25, s24
	s_add_i32 s24, s49, s21
	s_mul_i32 s3, s3, s20
	s_add_i32 s41, s24, s3
	s_mul_i32 s3, s33, s23
	s_mul_hi_u32 s24, s33, s22
	s_add_i32 s3, s24, s3
	s_mul_i32 s24, s59, s22
	s_add_i32 s25, s3, s24
	s_lshl_b64 s[28:29], s[40:41], 2
	s_mul_i32 s24, s33, s22
	s_add_u32 s3, s10, s28
	s_addc_u32 s28, s11, s29
	s_lshl_b64 s[24:25], s[24:25], 2
	s_add_u32 s44, s3, s24
	s_movk_i32 s3, 0xf8
	s_addc_u32 s45, s28, s25
	s_lshl_b32 s30, s15, 7
	s_movk_i32 s28, 0x100
	v_mov_b32_e32 v79, 0
	v_lshlrev_b32_e32 v78, 4, v89
	s_mov_b32 s62, 0
	s_movk_i32 s26, 0x4000
	v_add_u32_e32 v136, v86, v34
	s_mov_b32 s41, 0x7060302
	s_movk_i32 s66, 0x2000
	s_movk_i32 s67, 0x3000
	v_mov_b32_e32 v146, 0x3fb8aa3b
	s_mov_b32 s69, 0
	s_waitcnt vmcnt(1)
	v_perm_b32 v33, v6, v14, s63
	s_waitcnt vmcnt(0)
	v_perm_b32 v35, v10, v18, s63
	v_perm_b32 v6, v6, v14, s64
	;; [unrolled: 1-line block ×15, first 2 shown]
	ds_write2st64_b32 v5, v33, v35 offset0:128 offset1:160
	ds_write2st64_b32 v22, v6, v10 offset0:128 offset1:160
	;; [unrolled: 1-line block ×8, first 2 shown]
	v_lshlrev_b32_e32 v5, 8, v25
	v_or_b32_e32 v105, v5, v27
	v_or_b32_e32 v106, v5, v28
	;; [unrolled: 1-line block ×3, first 2 shown]
	v_lshl_or_b32 v6, v5, 3, v4
	v_lshlrev_b32_e32 v5, 8, v5
	v_or_b32_e32 v109, v5, v27
	v_or_b32_e32 v110, v5, v28
	;; [unrolled: 1-line block ×5, first 2 shown]
	v_lshl_or_b32 v6, v5, 3, v4
	v_lshlrev_b32_e32 v5, 8, v5
	v_or_b32_e32 v113, v5, v27
	v_or_b32_e32 v114, v5, v28
	;; [unrolled: 1-line block ×3, first 2 shown]
	v_lshlrev_b32_e32 v5, 3, v5
	v_lshrrev_b32_e32 v7, 5, v87
	v_and_or_b32 v7, v5, s3, v7
	v_lshlrev_b32_e32 v7, 4, v7
	v_or_b32_e32 v111, 0x4000, v6
	v_or_b32_e32 v112, 0x6000, v6
	v_lshrrev_b32_e32 v6, 2, v87
	v_lshlrev_b32_e32 v11, 11, v77
	v_and_b32_e32 v5, 0x78, v5
	v_or_b32_e32 v13, 32, v7
	v_and_b32_e32 v10, 12, v6
	v_and_b32_e32 v6, 0x1000, v11
	v_lshrrev_b32_e32 v9, 1, v87
	v_xor_b32_e32 v13, v13, v5
	v_xor_b32_e32 v8, v7, v5
	v_and_b32_e32 v9, 8, v9
	v_or_b32_e32 v13, v13, v6
	v_or_b32_e32 v8, v8, v6
	v_lshlrev_b32_e32 v12, 8, v88
	v_xor_b32_e32 v117, v13, v9
	v_or_b32_e32 v13, 64, v7
	v_or_b32_e32 v7, 0x60, v7
	v_xor_b32_e32 v115, v8, v9
	v_or_b32_e32 v8, v12, v23
	v_xor_b32_e32 v13, v13, v5
	v_xor_b32_e32 v5, v7, v5
	s_ashr_i32 s3, s2, 31
	v_lshlrev_b32_e32 v8, 1, v8
	v_or_b32_e32 v13, v13, v6
	v_or_b32_e32 v5, v5, v6
	s_lshl_b64 s[24:25], s[2:3], 8
	v_lshlrev_b32_e32 v17, 2, v0
	v_or_b32_e32 v116, 0x4000, v8
	v_or_b32_e32 v118, 0x4080, v8
	;; [unrolled: 1-line block ×4, first 2 shown]
	v_xor_b32_e32 v121, v13, v9
	v_xor_b32_e32 v122, v5, v9
	v_or_b32_e32 v123, 0x6000, v8
	v_or_b32_e32 v124, 0x6080, v8
	;; [unrolled: 1-line block ×4, first 2 shown]
	v_lshlrev_b32_e32 v5, 1, v3
	v_add_lshl_u32 v3, v3, s15, 1
	v_or_b32_e32 v13, 0x100, v2
	s_add_u32 s24, s16, s24
	v_lshlrev_b32_e32 v8, 1, v89
	v_lshrrev_b32_e32 v18, 1, v0
	v_and_or_b32 v12, v17, 60, v12
	v_lshrrev_b32_e32 v14, 4, v0
	s_addc_u32 s25, s17, s25
	v_or_b32_e32 v9, 1, v8
	v_and_b32_e32 v18, 24, v18
	v_lshlrev_b32_e32 v12, 1, v12
	v_cndmask_b32_e64 v133, v5, v2, s[0:1]
	v_cndmask_b32_e64 v134, v3, v13, s[0:1]
	v_mov_b32_e32 v3, 0xa000
	v_mov_b32_e32 v5, 0x8000
	v_cmp_gt_u32_e64 s[0:1], s28, v0
	v_xor_b32_e32 v15, v14, v8
	v_xor_b32_e32 v16, v9, v14
	v_lshl_add_u64 v[8:9], s[24:25], 0, v[78:79]
	v_lshlrev_b32_e32 v78, 8, v14
	v_or_b32_e32 v129, 0x6000, v12
	v_or_b32_e32 v17, 32, v18
	;; [unrolled: 1-line block ×6, first 2 shown]
	v_cndmask_b32_e64 v3, v3, v5, s[0:1]
	v_lshlrev_b32_e32 v5, 3, v77
	v_lshl_or_b32 v127, v15, 3, v78
	v_and_b32_e32 v15, 8, v0
	v_xor_b32_e32 v13, v5, v18
	v_xor_b32_e32 v17, v5, v17
	;; [unrolled: 1-line block ×3, first 2 shown]
	v_mov_b32_e32 v19, 0x400
	v_cmp_eq_u32_e32 vcc, 0, v15
	v_or_b32_e32 v18, 0x440, v13
	v_or_b32_e32 v20, 0x440, v17
	v_xor_b32_e32 v12, 0x440, v5
	v_and_b32_e32 v14, 7, v0
	v_cndmask_b32_e64 v15, v19, 64, vcc
	v_cndmask_b32_e32 v18, v18, v13, vcc
	v_cndmask_b32_e32 v17, v20, v17, vcc
	;; [unrolled: 1-line block ×3, first 2 shown]
	v_or_b32_e32 v6, s2, v89
	v_lshl_or_b32 v128, v16, 3, v78
	v_lshlrev_b32_e32 v16, 3, v14
	v_or_b32_e32 v18, v18, v11
	v_or_b32_e32 v17, v17, v11
	v_or3_b32 v13, v11, v15, v13
	v_or_b32_e32 v5, v5, v11
	v_ashrrev_i32_e32 v7, 31, v6
	v_lshlrev_b32_e32 v14, 7, v14
	v_xor_b32_e32 v18, v18, v16
	v_xor_b32_e32 v17, v17, v16
	v_xor_b32_e32 v13, v13, v16
	v_xor_b32_e32 v5, v5, v16
	v_or_b32_e32 v2, v86, v10
	v_add_u32_e32 v19, v3, v18
	v_add_u32_e32 v20, v3, v17
	v_or_b32_e32 v135, v13, v14
	v_add_u32_e32 v11, v3, v5
	v_or3_b32 v10, v86, v10, 64
	v_add_u32_e32 v12, 0xa000, v18
	v_add_u32_e32 v13, 0xa000, v17
	;; [unrolled: 1-line block ×3, first 2 shown]
	v_lshlrev_b64 v[6:7], 1, v[6:7]
	v_lshl_add_u64 v[80:81], s[8:9], 0, v[6:7]
	v_lshl_add_u64 v[82:83], s[18:19], 0, v[6:7]
	v_lshl_add_u64 v[84:85], v[8:9], 0, v[78:79]
	s_add_i32 s3, s48, 63
	v_lshlrev_b32_e32 v78, 1, v4
	v_lshlrev_b32_e32 v137, 2, v2
	v_add_u32_e32 v138, v19, v14
	v_add_u32_e32 v139, v20, v14
	v_add_u32_e32 v140, v3, v135
	v_add_u32_e32 v141, v11, v14
	v_lshlrev_b32_e32 v142, 2, v10
	v_add_u32_e32 v143, v12, v14
	v_add_u32_e32 v144, v13, v14
	;; [unrolled: 1-line block ×3, first 2 shown]
	v_mov_b32_e32 v8, v79
	v_mov_b32_e32 v9, v79
	;; [unrolled: 1-line block ×32, first 2 shown]
	s_waitcnt lgkmcnt(0)
	s_barrier
.LBB205_6:                              ; =>This Inner Loop Header: Depth=1
	s_add_i32 s68, s69, 1
	s_cmp_lt_i32 s68, s53
	s_mov_b64 s[28:29], 0
	s_cselect_b64 s[46:47], -1, 0
	s_cmp_ge_i32 s68, s53
	s_mov_b64 s[24:25], 0
	s_cbranch_scc1 .LBB205_8
; %bb.7:                                ;   in Loop: Header=BB205_6 Depth=1
	s_add_i32 s0, s62, 64
	s_add_u32 s0, s42, s0
	s_addc_u32 s1, s43, 0
	s_lshl_b64 s[0:1], s[0:1], 8
	s_add_u32 s24, s6, s0
	s_addc_u32 s25, s7, s1
.LBB205_8:                              ;   in Loop: Header=BB205_6 Depth=1
	v_cndmask_b32_e64 v34, 0, 1, s[46:47]
	v_cmp_ne_u32_e64 s[0:1], 1, v34
	s_andn2_b64 vcc, exec, s[46:47]
	s_cbranch_vccnz .LBB205_10
; %bb.9:                                ;   in Loop: Header=BB205_6 Depth=1
	s_add_i32 s28, s62, 64
	s_add_u32 s28, s48, s28
	s_addc_u32 s29, s65, 0
	s_mul_i32 s31, s28, s54
	s_mul_hi_u32 s46, s28, s58
	s_add_i32 s31, s46, s31
	s_mul_i32 s29, s29, s58
	s_add_i32 s31, s31, s29
	s_mul_i32 s28, s28, s58
	s_add_u32 s28, s28, s57
	s_addc_u32 s29, s31, s60
	s_lshl_b64 s[28:29], s[28:29], 8
	s_add_u32 s28, s4, s28
	s_addc_u32 s29, s5, s29
.LBB205_10:                             ;   in Loop: Header=BB205_6 Depth=1
	v_perm_b32 v35, v33, v32, s41
	v_perm_b32 v34, v31, v30, s41
	v_perm_b32 v37, v21, v20, s41
	v_perm_b32 v36, v19, v18, s41
	ds_write_b64 v99, v[34:35]
	ds_write_b64 v100, v[36:37]
	ds_write_b64 v103, v[34:35]
	ds_write_b64 v104, v[36:37]
	v_perm_b32 v35, v29, v28, s41
	v_perm_b32 v34, v27, v26, s41
	v_perm_b32 v37, v17, v16, s41
	v_perm_b32 v36, v15, v14, s41
	ds_write_b64 v101, v[34:35]
	ds_write_b64 v102, v[36:37]
	ds_write_b64 v105, v[34:35]
	ds_write_b64 v106, v[36:37]
	;; [unrolled: 8-line block ×4, first 2 shown]
	s_waitcnt lgkmcnt(0)
	s_barrier
	ds_read_b64 v[38:39], v115 offset:49152
	ds_read2_b64 v[34:37], v116 offset1:16
	ds_read_b64 v[50:51], v118 offset:6144
	ds_read_b64 v[52:53], v116 offset:6144
	s_waitcnt lgkmcnt(2)
	v_mfma_f32_16x16x16_bf16 a[0:3], v[38:39], v[34:35], 0
	ds_read_b64 v[54:55], v117 offset:49152
	ds_read2st64_b64 v[42:45], v119 offset0:4 offset1:8
	ds_read2st64_b64 v[46:49], v120 offset0:4 offset1:8
	v_mfma_f32_16x16x16_bf16 a[4:7], v[38:39], v[36:37], 0
	ds_read2_b64 v[34:37], v116 offset0:32 offset1:48
	s_add_i32 s31, s62, 63
	s_mul_i32 s46, s31, s39
	s_waitcnt lgkmcnt(0)
	v_mfma_f32_16x16x16_bf16 a[8:11], v[38:39], v[34:35], 0
	s_mul_hi_u32 s47, s31, s38
	s_add_i32 s47, s47, s46
	s_mul_i32 s46, s31, s38
	v_mfma_f32_16x16x16_bf16 a[12:15], v[38:39], v[36:37], 0
	ds_read2st64_b64 v[34:37], v116 offset0:4 offset1:8
	ds_read2st64_b64 v[38:41], v118 offset0:4 offset1:8
	s_lshl_b64 s[46:47], s[46:47], 2
	s_waitcnt lgkmcnt(1)
	v_mfma_f32_16x16x16_bf16 a[0:3], v[54:55], v[34:35], a[0:3]
	s_add_u32 s46, s44, s46
	s_addc_u32 s47, s45, s47
	s_and_b64 vcc, exec, s[0:1]
	s_waitcnt lgkmcnt(0)
	v_mfma_f32_16x16x16_bf16 a[4:7], v[54:55], v[38:39], a[4:7]
	v_mov_b32_e32 v149, 0
	v_mov_b32_e32 v148, 0
	;; [unrolled: 1-line block ×3, first 2 shown]
	v_mfma_f32_16x16x16_bf16 a[8:11], v[54:55], v[42:43], a[8:11]
	ds_read_b64 v[34:35], v121 offset:49152
	ds_read_b64 v[38:39], v122 offset:49152
	;; [unrolled: 1-line block ×3, first 2 shown]
	v_mfma_f32_16x16x16_bf16 a[12:15], v[54:55], v[46:47], a[12:15]
	v_mov_b32_e32 v46, 0
	v_mov_b32_e32 v47, 0
	s_waitcnt lgkmcnt(2)
	v_mfma_f32_16x16x16_bf16 a[0:3], v[34:35], v[36:37], a[0:3]
	v_mov_b32_e32 v36, 0
	v_mov_b32_e32 v37, 0
	v_mfma_f32_16x16x16_bf16 a[4:7], v[34:35], v[40:41], a[4:7]
	v_mov_b32_e32 v40, 0
	v_mov_b32_e32 v41, 0
	;; [unrolled: 3-line block ×3, first 2 shown]
	v_mfma_f32_16x16x16_bf16 a[12:15], v[34:35], v[48:49], a[12:15]
	ds_read_b64 v[34:35], v119 offset:6144
	v_mov_b32_e32 v48, 0
	v_mov_b32_e32 v49, 0
	s_waitcnt lgkmcnt(2)
	v_mfma_f32_16x16x16_bf16 a[0:3], v[38:39], v[52:53], a[0:3]
	v_mfma_f32_16x16x16_bf16 a[4:7], v[38:39], v[50:51], a[4:7]
	s_waitcnt lgkmcnt(0)
	v_mfma_f32_16x16x16_bf16 a[8:11], v[38:39], v[34:35], a[8:11]
	v_mov_b32_e32 v34, 0
	v_mov_b32_e32 v35, 0
	v_mfma_f32_16x16x16_bf16 a[12:15], v[38:39], v[42:43], a[12:15]
	v_mov_b32_e32 v38, 0
	v_mov_b32_e32 v39, 0
	;; [unrolled: 1-line block ×4, first 2 shown]
	s_cbranch_vccnz .LBB205_12
; %bb.11:                               ;   in Loop: Header=BB205_6 Depth=1
	s_and_b32 s25, s25, 0xffff
	buffer_load_dwordx4 v[46:49], v95, s[24:27], 0 offen
	buffer_load_dwordx4 v[42:45], v95, s[24:27], s61 offen
	;; [unrolled: 1-line block ×4, first 2 shown]
	v_mov_b32_e32 v148, v97
	v_mov_b32_e32 v147, v98
.LBB205_12:                             ;   in Loop: Header=BB205_6 Depth=1
	ds_read_b64 v[70:71], v115 offset:57344
	ds_read2_b64 v[50:53], v123 offset1:16
	ds_read_b64 v[72:73], v117 offset:57344
	ds_read_b64 v[74:75], v121 offset:57344
	;; [unrolled: 1-line block ×3, first 2 shown]
	s_waitcnt lgkmcnt(3)
	v_mfma_f32_16x16x16_bf16 a[0:3], v[70:71], v[50:51], a[0:3]
	v_mfma_f32_16x16x16_bf16 a[4:7], v[70:71], v[52:53], a[4:7]
	ds_read2_b64 v[50:53], v123 offset0:32 offset1:48
	ds_read2st64_b64 v[54:57], v123 offset0:4 offset1:8
	ds_read2st64_b64 v[58:61], v124 offset0:4 offset1:8
	;; [unrolled: 1-line block ×4, first 2 shown]
	s_waitcnt lgkmcnt(4)
	v_mfma_f32_16x16x16_bf16 a[8:11], v[70:71], v[50:51], a[8:11]
	v_mfma_f32_16x16x16_bf16 a[12:15], v[70:71], v[52:53], a[12:15]
	v_add_u32_e32 v70, s62, v136
	v_ashrrev_i32_e32 v50, 31, v70
	v_mul_lo_u32 v52, v50, s38
	v_mul_lo_u32 v53, v70, s39
	v_mad_u64_u32 v[50:51], s[24:25], v70, s38, 0
	v_add3_u32 v51, v51, v53, v52
	v_add_u32_e32 v52, 1, v70
	v_ashrrev_i32_e32 v53, 31, v52
	s_waitcnt lgkmcnt(3)
	v_mfma_f32_16x16x16_bf16 a[0:3], v[72:73], v[54:55], a[0:3]
	v_mul_lo_u32 v54, v53, s38
	v_mul_lo_u32 v55, v52, s39
	v_mad_u64_u32 v[52:53], s[24:25], v52, s38, 0
	v_add3_u32 v53, v53, v55, v54
	v_add_u32_e32 v54, 2, v70
	v_ashrrev_i32_e32 v55, 31, v54
	s_waitcnt lgkmcnt(2)
	v_mfma_f32_16x16x16_bf16 a[4:7], v[72:73], v[58:59], a[4:7]
	v_mul_lo_u32 v58, v55, s38
	v_mul_lo_u32 v59, v54, s39
	v_mad_u64_u32 v[54:55], s[24:25], v54, s38, 0
	v_add3_u32 v55, v55, v59, v58
	v_add_u32_e32 v58, 3, v70
	v_lshl_add_u64 v[50:51], v[50:51], 2, s[44:45]
	v_lshl_add_u64 v[52:53], v[52:53], 2, s[44:45]
	v_ashrrev_i32_e32 v59, 31, v58
	s_waitcnt lgkmcnt(1)
	v_mfma_f32_16x16x16_bf16 a[8:11], v[72:73], v[62:63], a[8:11]
	v_mul_lo_u32 v59, v59, s38
	global_load_dword v62, v[50:51], off
	v_mul_lo_u32 v63, v58, s39
	s_waitcnt lgkmcnt(0)
	v_mfma_f32_16x16x16_bf16 a[12:15], v[72:73], v[66:67], a[12:15]
	global_load_dword v66, v[52:53], off
	v_mad_u64_u32 v[50:51], s[24:25], v58, s38, 0
	v_add3_u32 v51, v51, v63, v59
	s_add_u32 s24, s42, s62
	v_lshl_add_u64 v[54:55], v[54:55], 2, s[44:45]
	v_lshl_add_u64 v[50:51], v[50:51], 2, s[44:45]
	s_addc_u32 s25, s43, 0
	global_load_dword v63, v[54:55], off
	global_load_dword v67, v[50:51], off
	s_lshl_b64 s[24:25], s[24:25], 8
	v_lshl_add_u64 v[50:51], v[80:81], 0, s[24:25]
	v_lshl_add_u64 v[50:51], v[50:51], 0, v[78:79]
	global_load_ushort v70, v[50:51], off offset:256
	global_load_ushort v71, v[50:51], off
	global_load_ushort v72, v[50:51], off offset:768
	global_load_ushort v73, v[50:51], off offset:512
	;; [unrolled: 1-line block ×6, first 2 shown]
	s_load_dword s46, s[46:47], 0x0
	v_mfma_f32_16x16x16_bf16 a[12:15], v[74:75], v[68:69], a[12:15]
	global_load_ushort v68, v[50:51], off offset:320
	global_load_ushort v69, v[50:51], off offset:64
	s_and_b64 vcc, exec, s[0:1]
	v_mfma_f32_16x16x16_bf16 a[0:3], v[74:75], v[56:57], a[0:3]
	ds_read_b64 v[52:53], v123 offset:6144
	ds_read_b64 v[54:55], v124 offset:6144
	;; [unrolled: 1-line block ×4, first 2 shown]
	v_mfma_f32_16x16x16_bf16 a[4:7], v[74:75], v[60:61], a[4:7]
	s_waitcnt vmcnt(11) lgkmcnt(0)
	v_sub_f32_e32 v60, s46, v63
	v_mfma_f32_16x16x16_bf16 a[8:11], v[74:75], v[64:65], a[8:11]
	global_load_ushort v74, v[50:51], off offset:832
	global_load_ushort v75, v[50:51], off offset:576
	global_load_ushort v155, v[50:51], off offset:352
	global_load_ushort v156, v[50:51], off offset:96
	global_load_ushort v157, v[50:51], off offset:864
	global_load_ushort v158, v[50:51], off offset:608
	v_mfma_f32_16x16x16_bf16 a[0:3], v[150:151], v[52:53], a[0:3]
	s_waitcnt vmcnt(16)
	v_sub_f32_e32 v61, s46, v67
	v_mul_f32_e32 v60, 0x3fb8aa3b, v60
	v_mul_f32_e32 v61, 0x3fb8aa3b, v61
	v_exp_f32_e32 v60, v60
	v_exp_f32_e32 v61, v61
	s_waitcnt vmcnt(15)
	v_lshlrev_b32_e32 v65, 16, v70
	s_waitcnt vmcnt(14)
	v_lshlrev_b32_e32 v64, 16, v71
	v_accvgpr_read_b32 v53, a3
	v_accvgpr_read_b32 v52, a2
	v_mfma_f32_16x16x16_bf16 a[2:5], v[150:151], v[54:55], a[4:7]
	v_mfma_f32_16x16x16_bf16 a[6:9], v[150:151], v[56:57], a[8:11]
	s_nop 5
	v_accvgpr_read_b32 v55, a5
	v_accvgpr_read_b32 v54, a4
	;; [unrolled: 1-line block ×4, first 2 shown]
	v_mfma_f32_16x16x16_bf16 a[8:11], v[150:151], v[58:59], a[12:15]
	v_sub_f32_e32 v58, s46, v62
	v_sub_f32_e32 v59, s46, v66
	v_mul_f32_e32 v58, 0x3fb8aa3b, v58
	v_mul_f32_e32 v59, 0x3fb8aa3b, v59
	v_exp_f32_e32 v58, v58
	v_exp_f32_e32 v59, v59
	v_accvgpr_read_b32 v67, a1
	v_accvgpr_read_b32 v66, a0
	v_lshl_add_u64 v[62:63], v[82:83], 0, s[24:25]
	v_pk_add_f32 v[64:65], v[64:65], v[66:67] neg_lo:[0,1] neg_hi:[0,1]
	s_waitcnt vmcnt(13)
	v_lshlrev_b32_e32 v67, 16, v72
	s_waitcnt vmcnt(12)
	v_lshlrev_b32_e32 v66, 16, v73
	v_lshl_add_u64 v[62:63], v[62:63], 0, v[78:79]
	v_pk_add_f32 v[52:53], v[66:67], v[52:53] neg_lo:[0,1] neg_hi:[0,1]
	global_store_short_d16_hi v[62:63], v64, off
	global_store_short_d16_hi v[62:63], v65, off offset:256
	global_store_short_d16_hi v[62:63], v52, off offset:512
	;; [unrolled: 1-line block ×3, first 2 shown]
	v_pk_mul_f32 v[64:65], v[58:59], v[64:65]
	v_pk_mul_f32 v[52:53], v[60:61], v[52:53]
	v_accvgpr_read_b32 v67, a3
	v_perm_b32 v53, v53, v52, s41
	v_perm_b32 v52, v65, v64, s41
	s_waitcnt vmcnt(15)
	v_lshlrev_b32_e32 v65, 16, v76
	s_waitcnt vmcnt(14)
	v_lshlrev_b32_e32 v64, 16, v152
	v_accvgpr_read_b32 v66, a2
	v_pk_add_f32 v[64:65], v[64:65], v[66:67] neg_lo:[0,1] neg_hi:[0,1]
	s_waitcnt vmcnt(13)
	v_lshlrev_b32_e32 v67, 16, v153
	s_waitcnt vmcnt(12)
	v_lshlrev_b32_e32 v66, 16, v154
	v_pk_add_f32 v[54:55], v[66:67], v[54:55] neg_lo:[0,1] neg_hi:[0,1]
	global_store_short_d16_hi v[62:63], v64, off offset:32
	global_store_short_d16_hi v[62:63], v65, off offset:288
	;; [unrolled: 1-line block ×4, first 2 shown]
	v_pk_mul_f32 v[64:65], v[58:59], v[64:65]
	v_pk_mul_f32 v[54:55], v[60:61], v[54:55]
	v_accvgpr_read_b32 v57, a11
	v_perm_b32 v55, v55, v54, s41
	v_perm_b32 v54, v65, v64, s41
	ds_write2_b64 v100, v[52:53], v[54:55] offset1:16
	v_accvgpr_read_b32 v55, a7
	s_waitcnt vmcnt(15)
	v_lshlrev_b32_e32 v53, 16, v68
	s_waitcnt vmcnt(14)
	v_lshlrev_b32_e32 v52, 16, v69
	v_accvgpr_read_b32 v54, a6
	v_pk_add_f32 v[52:53], v[52:53], v[54:55] neg_lo:[0,1] neg_hi:[0,1]
	global_store_short_d16_hi v[62:63], v52, off offset:64
	global_store_short_d16_hi v[62:63], v53, off offset:320
	v_pk_mul_f32 v[52:53], v[58:59], v[52:53]
	v_accvgpr_read_b32 v56, a10
	v_perm_b32 v52, v53, v52, s41
	v_mov_b32_e32 v150, 0
	v_mov_b32_e32 v64, 0
	;; [unrolled: 1-line block ×3, first 2 shown]
	s_waitcnt vmcnt(15)
	v_lshlrev_b32_e32 v55, 16, v74
	s_waitcnt vmcnt(14)
	v_lshlrev_b32_e32 v54, 16, v75
	v_pk_add_f32 v[50:51], v[54:55], v[50:51] neg_lo:[0,1] neg_hi:[0,1]
	global_store_short_d16_hi v[62:63], v50, off offset:576
	global_store_short_d16_hi v[62:63], v51, off offset:832
	v_pk_mul_f32 v[50:51], v[60:61], v[50:51]
	v_accvgpr_read_b32 v55, a9
	v_perm_b32 v53, v51, v50, s41
	s_waitcnt vmcnt(15)
	v_lshlrev_b32_e32 v51, 16, v155
	s_waitcnt vmcnt(14)
	v_lshlrev_b32_e32 v50, 16, v156
	v_accvgpr_read_b32 v54, a8
	v_pk_add_f32 v[50:51], v[50:51], v[54:55] neg_lo:[0,1] neg_hi:[0,1]
	s_waitcnt vmcnt(13)
	v_lshlrev_b32_e32 v55, 16, v157
	s_waitcnt vmcnt(12)
	v_lshlrev_b32_e32 v54, 16, v158
	v_pk_add_f32 v[54:55], v[54:55], v[56:57] neg_lo:[0,1] neg_hi:[0,1]
	global_store_short_d16_hi v[62:63], v50, off offset:96
	global_store_short_d16_hi v[62:63], v51, off offset:352
	;; [unrolled: 1-line block ×4, first 2 shown]
	v_pk_mul_f32 v[50:51], v[58:59], v[50:51]
	v_pk_mul_f32 v[54:55], v[60:61], v[54:55]
	v_mov_b32_e32 v56, 0
	v_perm_b32 v55, v55, v54, s41
	v_perm_b32 v54, v51, v50, s41
	ds_write2_b64 v100, v[52:53], v[54:55] offset0:32 offset1:48
	v_mov_b32_e32 v50, 0
	v_mov_b32_e32 v51, 0
	;; [unrolled: 1-line block ×13, first 2 shown]
	s_cbranch_vccnz .LBB205_14
; %bb.13:                               ;   in Loop: Header=BB205_6 Depth=1
	s_and_b32 s29, s29, 0xffff
	s_mov_b32 s31, s27
	buffer_load_dwordx4 v[62:65], v133, s[28:31], 0 offen
	buffer_load_dwordx4 v[54:57], v133, s[28:31], s61 offen
	;; [unrolled: 1-line block ×4, first 2 shown]
	v_mov_b32_e32 v149, v94
	v_mov_b32_e32 v150, v93
.LBB205_14:                             ;   in Loop: Header=BB205_6 Depth=1
	s_waitcnt lgkmcnt(0)
	s_barrier
	ds_read_b64 v[74:75], v138
	ds_read2_b64 v[66:69], v129 offset1:16
	ds_read_b64 v[168:169], v139
	ds_read_b64 v[170:171], v140
	;; [unrolled: 1-line block ×3, first 2 shown]
	ds_read2_b64 v[70:73], v129 offset0:32 offset1:48
	ds_read2st64_b64 v[152:155], v129 offset0:4 offset1:8
	ds_read2st64_b64 v[156:159], v130 offset0:4 offset1:8
	;; [unrolled: 1-line block ×4, first 2 shown]
	s_waitcnt lgkmcnt(8)
	v_mfma_f32_16x16x16_bf16 a[0:3], v[74:75], v[66:67], 0
	s_add_i32 s24, s55, s69
	s_mul_hi_i32 s25, s24, s13
	s_mul_i32 s24, s24, s13
	v_mfma_f32_16x16x16_bf16 a[4:7], v[74:75], v[68:69], 0
	s_add_u32 s24, s24, s33
	s_addc_u32 s25, s25, s59
	s_add_i32 s28, s3, s62
	s_waitcnt lgkmcnt(4)
	v_mfma_f32_16x16x16_bf16 a[8:11], v[74:75], v[70:71], 0
	s_lshl_b64 s[24:25], s[24:25], 15
	s_mul_hi_i32 s29, s28, s13
	s_mul_i32 s28, s28, s13
	v_mfma_f32_16x16x16_bf16 a[12:15], v[74:75], v[72:73], 0
	ds_read_b64 v[74:75], v129 offset:6144
	ds_read_b64 v[180:181], v130 offset:6144
	;; [unrolled: 1-line block ×4, first 2 shown]
	s_add_u32 s28, s28, s33
	s_waitcnt lgkmcnt(7)
	v_mfma_f32_16x16x16_bf16 a[0:3], v[168:169], v[152:153], a[0:3]
	s_addc_u32 s29, s29, s59
	s_lshl_b64 s[28:29], s[28:29], 9
	s_add_u32 s28, s36, s28
	s_waitcnt lgkmcnt(6)
	v_mfma_f32_16x16x16_bf16 a[4:7], v[168:169], v[156:157], a[4:7]
	s_addc_u32 s29, s37, s29
	v_lshl_add_u64 v[190:191], v[84:85], 0, s[24:25]
	s_waitcnt lgkmcnt(5)
	v_mfma_f32_16x16x16_bf16 a[8:11], v[168:169], v[160:161], a[8:11]
	s_waitcnt lgkmcnt(4)
	v_mfma_f32_16x16x16_bf16 a[12:15], v[168:169], v[164:165], a[12:15]
	ds_read_b64 v[168:169], v143
	ds_read_b64 v[178:179], v144
	;; [unrolled: 1-line block ×3, first 2 shown]
	s_waitcnt lgkmcnt(2)
	v_mfma_f32_16x16x16_bf16 a[16:19], v[168:169], v[66:67], 0
	v_mfma_f32_16x16x16_bf16 a[20:23], v[168:169], v[68:69], 0
	global_load_dwordx4 v[66:69], v142, s[28:29]
	v_mfma_f32_16x16x16_bf16 a[24:27], v[168:169], v[70:71], 0
	v_mfma_f32_16x16x16_bf16 a[28:31], v[168:169], v[72:73], 0
	global_load_dwordx4 v[70:73], v137, s[28:29]
	v_mfma_f32_16x16x16_bf16 a[0:3], v[170:171], v[154:155], a[0:3]
	v_mfma_f32_16x16x16_bf16 a[4:7], v[170:171], v[158:159], a[4:7]
	;; [unrolled: 1-line block ×8, first 2 shown]
	ds_read2st64_b64 v[168:171], v127 offset1:8
	ds_read2st64_b64 v[172:175], v128 offset1:8
	ds_read_b64 v[188:189], v135 offset:40960
	s_waitcnt lgkmcnt(2)
	v_mov_b32_e32 v176, v168
	v_mfma_f32_16x16x16_bf16 a[16:19], v[178:179], v[152:153], a[16:19]
	v_mov_b32_e32 v177, v169
	v_mfma_f32_16x16x16_bf16 a[20:23], v[178:179], v[156:157], a[20:23]
	v_mfma_f32_16x16x16_bf16 a[24:27], v[178:179], v[160:161], a[24:27]
	;; [unrolled: 1-line block ×3, first 2 shown]
	v_add_co_u32_e32 v164, vcc, s66, v190
	s_waitcnt lgkmcnt(1)
	v_mov_b32_e32 v178, v172
	s_waitcnt lgkmcnt(0)
	v_mfma_f32_16x16x16_bf16 a[16:19], v[188:189], v[154:155], a[16:19]
	ds_read2st64_b64 v[152:155], v127 offset0:16 offset1:24
	v_addc_co_u32_e32 v165, vcc, 0, v191, vcc
	v_mfma_f32_16x16x16_bf16 a[20:23], v[188:189], v[158:159], a[20:23]
	ds_read2st64_b64 v[156:159], v128 offset0:16 offset1:24
	v_mov_b32_e32 v179, v173
	v_mov_b32_e32 v172, v170
	v_mfma_f32_16x16x16_bf16 a[32:35], v[188:189], v[162:163], a[24:27]
	v_mov_b32_e32 v173, v171
	s_waitcnt lgkmcnt(0)
	v_mov_b32_e32 v162, v156
	v_mov_b32_e32 v163, v157
	v_mfma_f32_16x16x16_bf16 a[36:39], v[188:189], v[166:167], a[28:31]
	v_mov_b32_e32 v156, v154
	v_mov_b32_e32 v157, v155
	;; [unrolled: 1-line block ×3, first 2 shown]
	v_mfma_f32_16x16x16_bf16 a[24:27], v[186:187], v[74:75], a[16:19]
	v_add_co_u32_e32 v74, vcc, s67, v190
	v_mov_b32_e32 v161, v153
	v_mfma_f32_16x16x16_bf16 a[28:31], v[186:187], v[180:181], a[20:23]
	v_addc_co_u32_e32 v75, vcc, 0, v191, vcc
	global_store_dwordx4 v[74:75], v[156:159], off
	v_mfma_f32_16x16x16_bf16 a[16:19], v[186:187], v[182:183], a[32:35]
	s_waitcnt vmcnt(2)
	v_mov_b32_e32 v76, v69
	v_mov_b32_e32 v75, v68
	;; [unrolled: 1-line block ×3, first 2 shown]
	v_mfma_f32_16x16x16_bf16 a[20:23], v[186:187], v[184:185], a[36:39]
	s_and_b64 vcc, exec, s[0:1]
	global_store_dwordx4 v[190:191], v[176:179], off
	global_store_dwordx4 v[164:165], v[172:175], off offset:-4096
	global_store_dwordx4 v[164:165], v[160:163], off
	s_cbranch_vccnz .LBB205_16
; %bb.15:                               ;   in Loop: Header=BB205_6 Depth=1
	v_lshrrev_b32_e32 v67, 3, v149
	v_and_b32_e32 v67, 6, v67
	v_xor_b32_e32 v68, v67, v150
	v_lshlrev_b32_e32 v68, 2, v68
	v_and_b32_e32 v69, 8, v149
	v_xor_b32_e32 v149, 0x440, v68
	v_cmp_eq_u32_e32 vcc, 0, v69
	v_perm_b32 v69, v54, v50, s63
	s_nop 0
	v_cndmask_b32_e32 v68, v149, v68, vcc
	v_lshl_or_b32 v67, v67, 10, v68
	v_perm_b32 v68, v62, v58, s63
	s_barrier
	ds_write2st64_b32 v67, v68, v69 offset0:128 offset1:160
	v_xor_b32_e32 v68, 8, v67
	v_perm_b32 v58, v62, v58, s64
	v_perm_b32 v50, v54, v50, s64
	v_add_u32_e32 v54, 0x80, v68
	ds_write2st64_b32 v54, v58, v50 offset0:128 offset1:160
	v_xor_b32_e32 v50, 16, v67
	v_perm_b32 v54, v63, v59, s63
	v_perm_b32 v58, v55, v51, s63
	ds_write2st64_b32 v50, v54, v58 offset0:129 offset1:161
	v_xor_b32_e32 v50, 24, v67
	v_perm_b32 v54, v63, v59, s64
	v_perm_b32 v51, v55, v51, s64
	v_add_u32_e32 v50, 0x80, v50
	ds_write2st64_b32 v50, v54, v51 offset0:129 offset1:161
	v_xor_b32_e32 v50, 32, v67
	v_perm_b32 v51, v64, v60, s63
	v_perm_b32 v54, v56, v52, s63
	;; [unrolled: 9-line block ×3, first 2 shown]
	ds_write2st64_b32 v50, v51, v52 offset0:131 offset1:163
	v_xor_b32_e32 v50, 56, v67
	v_perm_b32 v51, v65, v61, s64
	v_perm_b32 v52, v57, v53, s64
	v_add_u32_e32 v50, 0x80, v50
	ds_write2st64_b32 v50, v51, v52 offset0:131 offset1:163
	ds_write_b64 v148, v[46:47] offset:49152
	v_xor_b32_e32 v46, 8, v148
	ds_write_b64 v46, v[48:49] offset:49152
	ds_write_b64 v148, v[42:43] offset:57344
	ds_write_b64 v46, v[44:45] offset:57344
	ds_write_b64 v147, v[38:39] offset:49152
	v_xor_b32_e32 v38, 8, v147
	ds_write_b64 v38, v[40:41] offset:49152
	ds_write_b64 v147, v[34:35] offset:57344
	;; [unrolled: 1-line block ×3, first 2 shown]
.LBB205_16:                             ;   in Loop: Header=BB205_6 Depth=1
	v_mul_f32_e32 v58, s46, v146
	v_exp_f32_e32 v68, v58
	s_waitcnt vmcnt(4)
	v_mul_f32_e32 v58, 0x3fb8aa3b, v70
	v_exp_f32_e32 v70, v58
	v_mul_f32_e32 v58, 0x3fb8aa3b, v71
	v_exp_f32_e32 v71, v58
	;; [unrolled: 2-line block ×4, first 2 shown]
	v_accvgpr_read_b32 v37, a3
	v_accvgpr_read_b32 v36, a2
	;; [unrolled: 1-line block ×4, first 2 shown]
	v_pk_mul_f32 v[70:71], v[68:69], v[70:71] op_sel_hi:[0,1]
	v_pk_mul_f32 v[72:73], v[68:69], v[72:73] op_sel_hi:[0,1]
	v_pk_fma_f32 v[30:31], v[30:31], v[70:71], v[34:35]
	v_pk_fma_f32 v[32:33], v[32:33], v[72:73], v[36:37]
	v_mul_f32_e32 v34, 0x3fb8aa3b, v66
	v_mul_f32_e32 v35, 0x3fb8aa3b, v74
	;; [unrolled: 1-line block ×4, first 2 shown]
	v_exp_f32_e32 v34, v34
	v_exp_f32_e32 v35, v35
	;; [unrolled: 1-line block ×4, first 2 shown]
	v_accvgpr_read_b32 v41, a7
	v_accvgpr_read_b32 v45, a11
	;; [unrolled: 1-line block ×28, first 2 shown]
	v_pk_mul_f32 v[34:35], v[68:69], v[34:35] op_sel_hi:[0,1]
	v_pk_mul_f32 v[36:37], v[68:69], v[36:37] op_sel_hi:[0,1]
	s_add_i32 s62, s62, 64
	v_pk_fma_f32 v[26:27], v[70:71], v[26:27], v[38:39]
	v_pk_fma_f32 v[28:29], v[72:73], v[28:29], v[40:41]
	;; [unrolled: 1-line block ×13, first 2 shown]
	s_cmp_eq_u32 s53, s68
	v_pk_fma_f32 v[8:9], v[36:37], v[8:9], v[64:65]
	s_cbranch_scc1 .LBB205_18
; %bb.17:                               ;   in Loop: Header=BB205_6 Depth=1
	s_mov_b32 s69, s68
	s_branch .LBB205_6
.LBB205_18:
	s_lshl_b32 s46, s53, 6
	s_sub_i32 s47, s12, s46
	s_cmp_gt_i32 s47, 0
	v_or_b32_e32 v50, s2, v89
	s_cbranch_scc1 .LBB205_20
; %bb.19:
	s_ashr_i32 s0, s33, 31
	s_add_u32 s28, s50, s33
	s_addc_u32 s29, s56, s0
	v_or_b32_e32 v34, s2, v89
	s_cbranch_execz .LBB205_21
	s_branch .LBB205_101
.LBB205_20:
                                        ; implicit-def: $sgpr28_sgpr29
                                        ; implicit-def: $vgpr34
.LBB205_21:
	s_ashr_i32 s41, s52, 31
	s_ashr_i32 s3, s46, 31
	s_cmpk_lg_i32 s15, 0x80
	s_cselect_b64 s[42:43], -1, 0
	s_and_b64 vcc, exec, s[42:43]
	s_cbranch_vccz .LBB205_23
; %bb.22:
	s_mul_hi_i32 s0, s52, s12
	s_add_u32 s1, s48, s46
	s_addc_u32 s0, s0, s3
	s_mul_i32 s24, s1, s54
	s_mul_hi_u32 s25, s1, s14
	s_add_i32 s24, s25, s24
	s_mul_i32 s0, s0, s14
	s_add_i32 s24, s24, s0
	s_mul_i32 s1, s1, s14
	s_ashr_i32 s0, s57, 31
	s_add_u32 s44, s1, s57
	s_addc_u32 s45, s24, s0
	s_cbranch_execz .LBB205_24
	s_branch .LBB205_25
.LBB205_23:
                                        ; implicit-def: $sgpr44_sgpr45
.LBB205_24:
	s_mul_hi_i32 s0, s52, s14
	s_mul_i32 s52, s52, s14
	s_ashr_i32 s1, s57, 31
	s_add_u32 s14, s52, s57
	s_addc_u32 s0, s0, s1
	s_mul_i32 s1, s14, s51
	s_mul_hi_u32 s24, s14, s12
	s_add_i32 s1, s24, s1
	s_mul_i32 s0, s0, s12
	s_add_i32 s1, s1, s0
	s_mul_i32 s14, s14, s12
	s_add_u32 s44, s14, s46
	s_addc_u32 s45, s1, s3
.LBB205_25:
	s_add_i32 s24, s55, s53
	s_ashr_i32 s14, s33, 31
	s_add_u32 s28, s50, s33
	s_addc_u32 s29, s56, s14
	s_mul_i32 s0, s28, s51
	s_mul_hi_u32 s1, s28, s12
	s_add_i32 s0, s1, s0
	s_mul_i32 s1, s29, s12
	s_add_i32 s1, s0, s1
	s_mul_i32 s0, s28, s12
	s_add_u32 s0, s0, s46
	v_lshlrev_b32_e32 v38, 6, v1
	v_lshlrev_b32_e32 v59, 2, v89
	s_addc_u32 s1, s1, s3
	s_mov_b32 s3, 0x7060302
	v_or_b32_e32 v41, v38, v59
	v_xor_b32_e32 v39, v1, v59
	v_perm_b32 v35, v33, v32, s3
	v_perm_b32 v34, v31, v30, s3
	;; [unrolled: 1-line block ×4, first 2 shown]
	v_lshlrev_b32_e32 v41, 1, v41
	v_xor_b32_e32 v40, v92, v59
	ds_write2st64_b64 v41, v[34:35], v[36:37] offset0:32 offset1:48
	v_lshlrev_b32_e32 v39, 1, v39
	v_lshlrev_b32_e32 v41, 8, v89
	v_or_b32_e32 v42, v39, v41
	v_lshlrev_b32_e32 v40, 1, v40
	ds_write_b64 v42, v[34:35]
	v_or_b32_e32 v34, v40, v41
	v_or_b32_e32 v41, 16, v89
	v_lshlrev_b32_e32 v57, 2, v41
	v_or_b32_e32 v42, v38, v57
	ds_write_b64 v34, v[36:37]
	v_perm_b32 v35, v29, v28, s3
	v_perm_b32 v34, v27, v26, s3
	;; [unrolled: 1-line block ×4, first 2 shown]
	v_lshlrev_b32_e32 v42, 1, v42
	v_lshlrev_b32_e32 v41, 8, v41
	ds_write2st64_b64 v42, v[34:35], v[36:37] offset0:32 offset1:48
	v_or_b32_e32 v42, v39, v41
	ds_write_b64 v42, v[34:35]
	v_or_b32_e32 v34, v40, v41
	v_or_b32_e32 v41, 32, v89
	v_lshlrev_b32_e32 v56, 2, v41
	v_or_b32_e32 v42, v38, v56
	ds_write_b64 v34, v[36:37]
	v_perm_b32 v35, v25, v24, s3
	v_perm_b32 v34, v23, v22, s3
	;; [unrolled: 1-line block ×4, first 2 shown]
	v_lshlrev_b32_e32 v42, 1, v42
	v_lshlrev_b32_e32 v41, 8, v41
	s_lshl_b64 s[30:31], s[0:1], 8
	ds_write2st64_b64 v42, v[34:35], v[36:37] offset0:32 offset1:48
	v_or_b32_e32 v42, v39, v41
	s_add_u32 s0, s6, s30
	ds_write_b64 v42, v[34:35]
	v_or_b32_e32 v34, v40, v41
	s_addc_u32 s1, s7, s31
	ds_write_b64 v34, v[36:37]
	v_perm_b32 v35, v5, v4, s3
	v_perm_b32 v34, v3, v2, s3
	;; [unrolled: 1-line block ×4, first 2 shown]
	v_or_b32_e32 v41, 48, v89
	s_mul_hi_i32 s3, s24, s13
	s_mul_i32 s24, s24, s13
	v_lshlrev_b32_e32 v53, 2, v41
	s_add_u32 s6, s24, s33
	v_or_b32_e32 v38, v38, v53
	s_addc_u32 s7, s3, s14
	v_lshlrev_b32_e32 v38, 1, v38
	s_ashr_i32 s3, s2, 31
	s_lshl_b64 s[6:7], s[6:7], 15
	ds_write2st64_b64 v38, v[34:35], v[36:37] offset0:32 offset1:48
	v_lshlrev_b32_e32 v38, 8, v41
	s_add_u32 s6, s16, s6
	v_or_b32_e32 v39, v39, v38
	s_addc_u32 s7, s17, s7
	s_lshl_b64 s[2:3], s[2:3], 8
	ds_write_b64 v39, v[34:35]
	v_or_b32_e32 v34, v40, v38
	s_add_u32 s2, s6, s2
	v_lshlrev_b32_e32 v35, 1, v89
	ds_write_b64 v34, v[36:37]
	v_lshrrev_b32_e32 v34, 4, v0
	s_addc_u32 s3, s7, s3
	v_or_b32_e32 v36, 1, v35
	v_lshlrev_b32_e32 v42, 4, v89
	v_mov_b32_e32 v43, 0
	v_xor_b32_e32 v35, v34, v35
	v_xor_b32_e32 v38, v36, v34
	v_lshl_add_u64 v[44:45], s[2:3], 0, v[42:43]
	v_lshlrev_b32_e32 v42, 8, v34
	v_lshl_or_b32 v48, v35, 3, v42
	v_lshl_or_b32 v49, v38, 3, v42
	s_waitcnt lgkmcnt(0)
	s_barrier
	ds_read2st64_b64 v[34:37], v48 offset1:8
	ds_read2st64_b64 v[38:41], v49 offset1:8
	v_lshl_add_u64 v[46:47], v[44:45], 0, v[42:43]
	s_movk_i32 s2, 0x2000
	s_cmp_lg_u32 s47, 64
	s_waitcnt lgkmcnt(1)
	v_mov_b32_e32 v42, v34
	v_mov_b32_e32 v43, v35
	s_waitcnt lgkmcnt(0)
	v_mov_b32_e32 v44, v38
	v_mov_b32_e32 v45, v39
	global_store_dwordx4 v[46:47], v[42:45], off
	v_mov_b32_e32 v38, v36
	v_mov_b32_e32 v39, v37
	ds_read2st64_b64 v[34:37], v48 offset0:16 offset1:24
	ds_read2st64_b64 v[42:45], v49 offset0:16 offset1:24
	v_add_co_u32_e32 v48, vcc, s2, v46
	s_cselect_b64 s[6:7], -1, 0
	s_nop 0
	v_addc_co_u32_e32 v49, vcc, 0, v47, vcc
	global_store_dwordx4 v[48:49], v[38:41], off offset:-4096
	v_lshl_or_b32 v51, v77, 3, v91
	s_mov_b32 s24, 0
	s_waitcnt lgkmcnt(1)
	v_mov_b32_e32 v38, v34
	v_add_co_u32_e32 v34, vcc, 0x3000, v46
	v_mov_b32_e32 v39, v35
	s_nop 0
	v_addc_co_u32_e32 v35, vcc, 0, v47, vcc
	s_waitcnt lgkmcnt(0)
	v_mov_b32_e32 v40, v42
	v_mov_b32_e32 v41, v43
	;; [unrolled: 1-line block ×4, first 2 shown]
	v_or_b32_e32 v54, 32, v51
	v_and_b32_e32 v52, 56, v90
	s_and_b64 vcc, exec, s[6:7]
	global_store_dwordx4 v[48:49], v[38:41], off
	global_store_dwordx4 v[34:35], v[42:45], off
	s_cbranch_vccz .LBB205_31
; %bb.26:
	s_mov_b32 s26, s24
	s_mov_b32 s27, s24
	;; [unrolled: 1-line block ×3, first 2 shown]
	v_mov_b64_e32 v[40:41], s[26:27]
	v_mov_b64_e32 v[38:39], s[24:25]
	;; [unrolled: 1-line block ×3, first 2 shown]
	v_cmp_gt_i32_e32 vcc, s47, v51
	v_mov_b64_e32 v[36:37], v[40:41]
	s_and_saveexec_b64 s[2:3], vcc
	s_cbranch_execz .LBB205_28
; %bb.27:
	v_lshlrev_b32_e32 v34, 8, v51
	v_mov_b32_e32 v35, 0
	v_lshl_add_u64 v[36:37], s[0:1], 0, v[34:35]
	v_lshlrev_b32_e32 v34, 1, v52
	v_lshl_add_u64 v[42:43], v[36:37], 0, v[34:35]
	global_load_dwordx4 v[38:41], v[42:43], off
	global_load_dwordx4 v[34:37], v[42:43], off offset:128
.LBB205_28:
	s_or_b64 exec, exec, s[2:3]
	s_mov_b32 s26, s24
	s_mov_b32 s27, s24
	;; [unrolled: 1-line block ×3, first 2 shown]
	v_mov_b64_e32 v[48:49], s[26:27]
	v_mov_b64_e32 v[46:47], s[24:25]
	v_mov_b64_e32 v[42:43], v[46:47]
	v_cmp_gt_i32_e32 vcc, s47, v54
	v_lshlrev_b32_e32 v55, 7, v54
	v_mov_b64_e32 v[44:45], v[48:49]
	s_and_saveexec_b64 s[2:3], vcc
	s_cbranch_execz .LBB205_30
; %bb.29:
	v_lshlrev_b32_e32 v42, 1, v55
	v_mov_b32_e32 v43, 0
	v_lshl_add_u64 v[44:45], s[0:1], 0, v[42:43]
	v_lshlrev_b32_e32 v42, 1, v52
	v_lshl_add_u64 v[60:61], v[44:45], 0, v[42:43]
	global_load_dwordx4 v[46:49], v[60:61], off
	global_load_dwordx4 v[42:45], v[60:61], off offset:128
.LBB205_30:
	s_or_b64 exec, exec, s[2:3]
	v_lshrrev_b32_e32 v58, 3, v52
	v_lshlrev_b32_e32 v60, 3, v51
	v_or_b32_e32 v58, v60, v58
	v_lshlrev_b32_e32 v58, 4, v58
	v_and_b32_e32 v60, 0x78, v60
	v_xor_b32_e32 v58, v58, v60
	s_branch .LBB205_33
.LBB205_31:
                                        ; implicit-def: $vgpr58
                                        ; implicit-def: $vgpr55
                                        ; implicit-def: $vgpr38_vgpr39_vgpr40_vgpr41
                                        ; implicit-def: $vgpr34_vgpr35_vgpr36_vgpr37
                                        ; implicit-def: $vgpr46_vgpr47_vgpr48_vgpr49
                                        ; implicit-def: $vgpr42_vgpr43_vgpr44_vgpr45
	s_cbranch_execz .LBB205_33
; %bb.32:
	s_waitcnt vmcnt(0)
	v_lshlrev_b32_e32 v34, 1, v52
	v_lshl_or_b32 v55, v51, 8, v34
	s_and_b32 s1, s1, 0xffff
	s_mov_b32 s3, 0x20000
	s_movk_i32 s2, 0x4000
	v_lshl_or_b32 v58, v54, 8, v34
	s_movk_i32 s16, 0x80
	buffer_load_dwordx4 v[38:41], v55, s[0:3], 0 offen
	buffer_load_dwordx4 v[34:37], v55, s[0:3], s16 offen
	;; [unrolled: 1-line block ×4, first 2 shown]
	v_lshrrev_b32_e32 v55, 3, v52
	v_lshlrev_b32_e32 v58, 3, v51
	v_or_b32_e32 v55, v58, v55
	v_lshlrev_b32_e32 v55, 4, v55
	v_and_b32_e32 v58, 0x78, v58
	v_xor_b32_e32 v58, v55, v58
	v_lshlrev_b32_e32 v55, 7, v54
.LBB205_33:
	s_movk_i32 s0, 0x1000
	v_and_or_b32 v54, v55, s0, v58
	s_waitcnt vmcnt(1)
	ds_write_b64 v58, v[38:39] offset:49152
	v_xor_b32_e32 v38, 8, v58
	ds_write_b64 v38, v[40:41] offset:49152
	s_waitcnt vmcnt(0)
	ds_write_b64 v58, v[34:35] offset:57344
	ds_write_b64 v38, v[36:37] offset:57344
	;; [unrolled: 1-line block ×3, first 2 shown]
	v_xor_b32_e32 v34, 8, v54
	ds_write_b64 v34, v[48:49] offset:49152
	ds_write_b64 v54, v[42:43] offset:57344
	ds_write_b64 v34, v[44:45] offset:57344
	v_or_b32_e32 v34, v86, v89
	v_lshlrev_b32_e32 v34, 3, v34
	v_lshrrev_b32_e32 v35, 5, v87
	s_movk_i32 s0, 0xf8
	v_and_or_b32 v35, v34, s0, v35
	v_lshlrev_b32_e32 v39, 4, v35
	v_lshlrev_b32_e32 v58, 11, v77
	v_and_b32_e32 v40, 0x78, v34
	v_or_b32_e32 v42, 32, v39
	v_and_b32_e32 v38, 0x1000, v58
	v_lshrrev_b32_e32 v35, 1, v87
	v_xor_b32_e32 v42, v42, v40
	v_xor_b32_e32 v34, v39, v40
	v_and_b32_e32 v41, 8, v35
	v_or_b32_e32 v42, v42, v38
	v_or_b32_e32 v34, v34, v38
	v_xor_b32_e32 v65, v42, v41
	v_or_b32_e32 v42, 64, v39
	v_xor_b32_e32 v64, v34, v41
	v_xor_b32_e32 v42, v42, v40
	s_waitcnt lgkmcnt(0)
	s_barrier
	v_or_b32_e32 v45, v42, v38
	ds_read_b64 v[42:43], v64 offset:49152
	v_lshl_or_b32 v46, v88, 8, v59
	v_lshlrev_b32_e32 v60, 1, v46
	v_add_u32_e32 v44, 0x4000, v60
	ds_read2_b64 v[34:37], v44 offset1:16
	v_or_b32_e32 v39, 0x60, v39
	v_xor_b32_e32 v39, v39, v40
	v_or_b32_e32 v38, v39, v38
	v_xor_b32_e32 v66, v45, v41
	v_xor_b32_e32 v67, v38, v41
	ds_read_b64 v[54:55], v65 offset:49152
	ds_read_b64 v[68:69], v66 offset:49152
	;; [unrolled: 1-line block ×3, first 2 shown]
	s_waitcnt lgkmcnt(3)
	v_mfma_f32_16x16x16_bf16 a[0:3], v[42:43], v[34:35], 0
	ds_read2_b64 v[38:41], v44 offset0:32 offset1:48
	s_lshl_b64 s[0:1], s[44:45], 8
	s_add_u32 s4, s4, s0
	v_mfma_f32_16x16x16_bf16 a[4:7], v[42:43], v[36:37], 0
	ds_read2st64_b64 v[34:37], v60 offset0:36 offset1:40
	s_addc_u32 s5, s5, s1
	s_add_i32 s16, s12, -1
	s_waitcnt lgkmcnt(1)
	v_mfma_f32_16x16x16_bf16 a[8:11], v[42:43], v[38:39], 0
	v_or_b32_e32 v38, 64, v46
	v_lshlrev_b32_e32 v61, 1, v38
	s_add_i32 s0, s49, s21
	s_waitcnt lgkmcnt(0)
	v_mfma_f32_16x16x16_bf16 a[0:3], v[54:55], v[34:35], a[0:3]
	v_or_b32_e32 v34, 0x80, v46
	v_lshlrev_b32_e32 v62, 1, v34
	v_or_b32_e32 v34, 0xc0, v46
	v_mfma_f32_16x16x16_bf16 a[12:15], v[42:43], v[40:41], 0
	ds_read2st64_b64 v[38:41], v61 offset0:36 offset1:40
	v_lshlrev_b32_e32 v63, 1, v34
	ds_read2st64_b64 v[42:45], v62 offset0:36 offset1:40
	ds_read2st64_b64 v[46:49], v63 offset0:36 offset1:40
	s_mul_i32 s41, s41, s20
	s_add_i32 s41, s0, s41
	s_mul_i32 s0, s33, s23
	s_mul_hi_u32 s1, s33, s22
	s_ashr_i32 s2, s16, 31
	s_mul_i32 s3, s16, s39
	s_mul_hi_u32 s12, s16, s38
	s_waitcnt lgkmcnt(2)
	v_mfma_f32_16x16x16_bf16 a[4:7], v[54:55], v[38:39], a[4:7]
	s_add_i32 s0, s1, s0
	s_mul_i32 s1, s14, s22
	s_add_i32 s3, s12, s3
	s_mul_i32 s2, s2, s38
	s_waitcnt lgkmcnt(1)
	v_mfma_f32_16x16x16_bf16 a[8:11], v[54:55], v[42:43], a[8:11]
	s_add_i32 s1, s0, s1
	s_add_i32 s3, s3, s2
	s_lshl_b64 s[20:21], s[40:41], 2
	s_waitcnt lgkmcnt(0)
	v_mfma_f32_16x16x16_bf16 a[12:15], v[54:55], v[46:47], a[12:15]
	s_mul_i32 s0, s33, s22
	s_add_u32 s10, s10, s20
	s_addc_u32 s11, s11, s21
	s_lshl_b64 s[0:1], s[0:1], 2
	v_mfma_f32_16x16x16_bf16 a[0:3], v[68:69], v[36:37], a[0:3]
	s_mul_i32 s2, s16, s38
	ds_read_b64 v[34:35], v60 offset:22528
	s_add_u32 s10, s10, s0
	v_mfma_f32_16x16x16_bf16 a[4:7], v[68:69], v[40:41], a[4:7]
	ds_read_b64 v[36:37], v61 offset:22528
	ds_read_b64 v[38:39], v62 offset:22528
	ds_read_b64 v[40:41], v63 offset:22528
	s_addc_u32 s11, s11, s1
	s_lshl_b64 s[0:1], s[2:3], 2
	v_mfma_f32_16x16x16_bf16 a[8:11], v[68:69], v[44:45], a[8:11]
	s_add_u32 s0, s10, s0
	s_addc_u32 s1, s11, s1
	s_load_dword s12, s[0:1], 0x0
	v_mfma_f32_16x16x16_bf16 a[12:15], v[68:69], v[48:49], a[12:15]
	s_and_b64 vcc, exec, s[42:43]
	s_waitcnt lgkmcnt(0)
	v_mfma_f32_16x16x16_bf16 a[0:3], v[70:71], v[34:35], a[0:3]
	v_mfma_f32_16x16x16_bf16 a[4:7], v[70:71], v[36:37], a[4:7]
	;; [unrolled: 1-line block ×4, first 2 shown]
	s_cbranch_vccz .LBB205_44
; %bb.34:
	v_lshlrev_b32_e32 v54, 1, v51
	s_and_b64 vcc, exec, s[6:7]
	s_cbranch_vccz .LBB205_45
; %bb.35:
	v_cmp_gt_i32_e32 vcc, s47, v54
	v_mov_b32_e32 v38, 0
	v_mov_b32_e32 v34, 0
	;; [unrolled: 1-line block ×5, first 2 shown]
	s_and_saveexec_b64 s[0:1], vcc
	s_cbranch_execz .LBB205_37
; %bb.36:
	v_mad_i64_i32 v[34:35], s[2:3], s15, v54, 0
	v_lshl_add_u64 v[34:35], v[34:35], 1, s[4:5]
	v_lshlrev_b32_e32 v36, 1, v52
	v_mov_b32_e32 v37, 0
	v_lshl_add_u64 v[34:35], v[34:35], 0, v[36:37]
	global_load_dwordx4 v[34:37], v[34:35], off
.LBB205_37:
	s_or_b64 exec, exec, s[0:1]
	v_or_b32_e32 v55, 1, v54
	v_cmp_gt_i32_e64 s[0:1], s47, v55
	v_mov_b32_e32 v39, 0
	v_mov_b32_e32 v40, 0
	;; [unrolled: 1-line block ×3, first 2 shown]
	s_and_saveexec_b64 s[2:3], s[0:1]
	s_cbranch_execz .LBB205_39
; %bb.38:
	v_mad_i64_i32 v[38:39], s[20:21], s15, v55, 0
	v_lshl_add_u64 v[38:39], v[38:39], 1, s[4:5]
	v_lshlrev_b32_e32 v40, 1, v52
	v_mov_b32_e32 v41, 0
	v_lshl_add_u64 v[38:39], v[38:39], 0, v[40:41]
	global_load_dwordx4 v[38:41], v[38:39], off
.LBB205_39:
	s_or_b64 exec, exec, s[2:3]
	v_mov_b32_e32 v49, 0
	v_mov_b32_e32 v42, 0
	;; [unrolled: 1-line block ×5, first 2 shown]
	s_and_saveexec_b64 s[2:3], vcc
	s_cbranch_execz .LBB205_41
; %bb.40:
	v_mad_i64_i32 v[42:43], s[20:21], s15, v54, 0
	v_lshl_add_u64 v[42:43], v[42:43], 1, s[4:5]
	v_lshlrev_b32_e32 v44, 1, v52
	v_mov_b32_e32 v45, 0
	v_lshl_add_u64 v[42:43], v[42:43], 0, v[44:45]
	global_load_dwordx4 v[42:45], v[42:43], off offset:128
.LBB205_41:
	s_or_b64 exec, exec, s[2:3]
	v_mov_b32_e32 v48, 0
	v_mov_b32_e32 v47, 0
	;; [unrolled: 1-line block ×3, first 2 shown]
	s_and_saveexec_b64 s[2:3], s[0:1]
	s_cbranch_execz .LBB205_43
; %bb.42:
	v_mad_i64_i32 v[46:47], s[0:1], s15, v55, 0
	v_lshl_add_u64 v[46:47], v[46:47], 1, s[4:5]
	v_lshlrev_b32_e32 v48, 1, v52
	v_mov_b32_e32 v49, 0
	v_lshl_add_u64 v[46:47], v[46:47], 0, v[48:49]
	global_load_dwordx4 v[46:49], v[46:47], off offset:128
.LBB205_43:
	s_or_b64 exec, exec, s[2:3]
	s_branch .LBB205_47
.LBB205_44:
                                        ; implicit-def: $vgpr37
                                        ; implicit-def: $vgpr41
                                        ; implicit-def: $vgpr45
                                        ; implicit-def: $vgpr49
	v_lshrrev_b32_e32 v68, 2, v87
	s_branch .LBB205_48
.LBB205_45:
                                        ; implicit-def: $vgpr37
                                        ; implicit-def: $vgpr41
                                        ; implicit-def: $vgpr45
                                        ; implicit-def: $vgpr49
	s_cbranch_execz .LBB205_47
; %bb.46:
	s_waitcnt vmcnt(0)
	v_mad_u64_u32 v[34:35], s[0:1], v54, s15, v[52:53]
	v_lshlrev_b32_e32 v54, 1, v34
	s_lshl_b32 s2, s15, 7
	s_and_b32 s1, s5, 0xffff
	s_mov_b32 s3, 0x20000
	s_mov_b32 s0, s4
	v_add_lshl_u32 v55, v34, s15, 1
	s_movk_i32 s15, 0x80
	buffer_load_dwordx4 v[34:37], v54, s[0:3], 0 offen
	buffer_load_dwordx4 v[42:45], v54, s[0:3], s15 offen
	;; [unrolled: 1-line block ×4, first 2 shown]
.LBB205_47:
	v_lshrrev_b32_e32 v68, 2, v87
	s_cbranch_execnz .LBB205_60
.LBB205_48:
	s_and_b64 vcc, exec, s[6:7]
	s_cbranch_vccz .LBB205_58
; %bb.49:
	s_waitcnt vmcnt(0)
	v_lshlrev_b32_e32 v39, 1, v51
	v_cmp_gt_i32_e32 vcc, s47, v39
	v_mov_b32_e32 v38, 0
	v_lshlrev_b32_e32 v46, 9, v51
	v_mov_b32_e32 v34, 0
	v_mov_b32_e32 v35, 0
	;; [unrolled: 1-line block ×4, first 2 shown]
	s_and_saveexec_b64 s[0:1], vcc
	s_cbranch_execz .LBB205_51
; %bb.50:
	v_mov_b32_e32 v47, 0
	v_lshl_add_u64 v[34:35], s[4:5], 0, v[46:47]
	v_lshlrev_b32_e32 v36, 1, v52
	v_mov_b32_e32 v37, v47
	v_lshl_add_u64 v[34:35], v[34:35], 0, v[36:37]
	global_load_dwordx4 v[34:37], v[34:35], off
.LBB205_51:
	s_or_b64 exec, exec, s[0:1]
	v_or_b32_e32 v39, 1, v39
	v_cmp_gt_i32_e64 s[0:1], s47, v39
	v_lshlrev_b32_e32 v54, 8, v39
	v_mov_b32_e32 v39, 0
	v_mov_b32_e32 v40, 0
	;; [unrolled: 1-line block ×3, first 2 shown]
	s_and_saveexec_b64 s[2:3], s[0:1]
	s_cbranch_execz .LBB205_53
; %bb.52:
	v_mov_b32_e32 v55, 0
	v_lshl_add_u64 v[38:39], s[4:5], 0, v[54:55]
	v_lshlrev_b32_e32 v40, 1, v52
	v_mov_b32_e32 v41, v55
	v_lshl_add_u64 v[38:39], v[38:39], 0, v[40:41]
	global_load_dwordx4 v[38:41], v[38:39], off
.LBB205_53:
	s_or_b64 exec, exec, s[2:3]
	v_mov_b32_e32 v49, 0
	v_mov_b32_e32 v42, 0
	;; [unrolled: 1-line block ×5, first 2 shown]
	s_and_saveexec_b64 s[2:3], vcc
	s_cbranch_execz .LBB205_55
; %bb.54:
	v_mov_b32_e32 v47, 0
	v_lshl_add_u64 v[42:43], s[4:5], 0, v[46:47]
	v_lshlrev_b32_e32 v46, 1, v52
	v_lshl_add_u64 v[42:43], v[42:43], 0, v[46:47]
	global_load_dwordx4 v[42:45], v[42:43], off offset:128
.LBB205_55:
	s_or_b64 exec, exec, s[2:3]
	v_mov_b32_e32 v48, 0
	v_mov_b32_e32 v47, 0
	;; [unrolled: 1-line block ×3, first 2 shown]
	s_and_saveexec_b64 s[2:3], s[0:1]
	s_cbranch_execz .LBB205_57
; %bb.56:
	v_mov_b32_e32 v55, 0
	v_lshl_add_u64 v[46:47], s[4:5], 0, v[54:55]
	v_lshlrev_b32_e32 v54, 1, v52
	v_lshl_add_u64 v[46:47], v[46:47], 0, v[54:55]
	global_load_dwordx4 v[46:49], v[46:47], off offset:128
.LBB205_57:
	s_or_b64 exec, exec, s[2:3]
	s_branch .LBB205_60
.LBB205_58:
                                        ; implicit-def: $vgpr37
                                        ; implicit-def: $vgpr41
                                        ; implicit-def: $vgpr45
                                        ; implicit-def: $vgpr49
	s_cbranch_execz .LBB205_60
; %bb.59:
	s_waitcnt vmcnt(0)
	v_lshlrev_b32_e32 v34, 1, v52
	v_lshl_or_b32 v52, v51, 9, v34
	s_and_b32 s5, s5, 0xffff
	s_mov_b32 s7, 0x20000
	s_movk_i32 s6, 0x4000
	s_movk_i32 s0, 0x80
	buffer_load_dwordx4 v[34:37], v52, s[4:7], 0 offen
	buffer_load_dwordx4 v[38:41], v52, s[4:7], 0 offen offset:256
	buffer_load_dwordx4 v[42:45], v52, s[4:7], s0 offen
	buffer_load_dwordx4 v[46:49], v52, s[4:7], s0 offen offset:256
.LBB205_60:
	ds_read_b64 v[54:55], v64 offset:57344
	v_add_u32_e32 v52, 0x6000, v60
	ds_read2_b64 v[70:73], v52 offset1:16
	ds_read_b64 v[82:83], v65 offset:57344
	ds_read_b64 v[84:85], v66 offset:57344
	ds_read_b64 v[88:89], v67 offset:57344
	ds_read2_b64 v[64:67], v52 offset0:32 offset1:48
	v_and_b32_e32 v52, 12, v68
	v_and_b32_e32 v76, 6, v0
	v_xor_b32_e32 v51, v51, v76
	v_lshlrev_b32_e32 v51, 2, v51
	s_mov_b32 s0, 0x1000504
	s_waitcnt lgkmcnt(4)
	v_mfma_f32_16x16x16_bf16 a[4:7], v[54:55], v[72:73], a[4:7]
	s_mov_b32 s1, 0x3020706
	v_mfma_f32_16x16x16_bf16 a[0:3], v[54:55], v[70:71], a[0:3]
	ds_read2st64_b64 v[68:71], v60 offset0:52 offset1:56
	s_waitcnt lgkmcnt(1)
	v_mfma_f32_16x16x16_bf16 a[8:11], v[54:55], v[64:65], a[8:11]
	v_mfma_f32_16x16x16_bf16 a[12:15], v[54:55], v[66:67], a[12:15]
	ds_read2st64_b64 v[64:67], v61 offset0:52 offset1:56
	ds_read2st64_b64 v[72:75], v62 offset0:52 offset1:56
	;; [unrolled: 1-line block ×3, first 2 shown]
	s_waitcnt lgkmcnt(2)
	v_mfma_f32_16x16x16_bf16 a[4:7], v[82:83], v[64:65], a[4:7]
	v_and_b32_e32 v64, 1, v0
	v_xor_b32_e32 v65, 0x440, v51
	v_cmp_eq_u32_e32 vcc, 0, v64
	v_mfma_f32_16x16x16_bf16 a[0:3], v[82:83], v[68:69], a[0:3]
	s_waitcnt vmcnt(0)
	v_perm_b32 v64, v34, v38, s0
	v_cndmask_b32_e32 v51, v65, v51, vcc
	v_lshl_or_b32 v51, v76, 10, v51
	s_waitcnt lgkmcnt(1)
	v_mfma_f32_16x16x16_bf16 a[8:11], v[82:83], v[72:73], a[8:11]
	v_perm_b32 v65, v42, v46, s0
	ds_read_b64 v[54:55], v60 offset:30720
	ds_read_b64 v[68:69], v61 offset:30720
	;; [unrolled: 1-line block ×4, first 2 shown]
	ds_write2st64_b32 v51, v64, v65 offset0:128 offset1:160
	s_waitcnt lgkmcnt(5)
	v_mfma_f32_16x16x16_bf16 a[12:15], v[82:83], v[78:79], a[12:15]
	v_xor_b32_e32 v64, 8, v51
	v_perm_b32 v34, v34, v38, s1
	v_perm_b32 v38, v42, v46, s1
	v_add_u32_e32 v42, 0x80, v64
	ds_write2st64_b32 v42, v34, v38 offset0:128 offset1:160
	v_xor_b32_e32 v34, 16, v51
	v_perm_b32 v38, v35, v39, s0
	v_perm_b32 v42, v43, v47, s0
	v_mfma_f32_16x16x16_bf16 a[0:3], v[84:85], v[70:71], a[0:3]
	ds_write2st64_b32 v34, v38, v42 offset0:129 offset1:161
	v_xor_b32_e32 v34, 24, v51
	v_perm_b32 v35, v35, v39, s1
	v_mfma_f32_16x16x16_bf16 a[4:7], v[84:85], v[66:67], a[4:7]
	v_perm_b32 v38, v43, v47, s1
	v_add_u32_e32 v34, 0x80, v34
	ds_write2st64_b32 v34, v35, v38 offset0:129 offset1:161
	v_mfma_f32_16x16x16_bf16 a[16:19], v[84:85], v[74:75], a[8:11]
	v_xor_b32_e32 v34, 32, v51
	v_perm_b32 v35, v36, v40, s0
	v_perm_b32 v38, v44, v48, s0
	v_mfma_f32_16x16x16_bf16 a[20:23], v[84:85], v[80:81], a[12:15]
	ds_write2st64_b32 v34, v35, v38 offset0:130 offset1:162
	v_xor_b32_e32 v34, 40, v51
	v_perm_b32 v35, v36, v40, s1
	s_waitcnt lgkmcnt(8)
	v_mfma_f32_16x16x16_bf16 a[12:15], v[88:89], v[54:55], a[0:3]
	v_perm_b32 v36, v44, v48, s1
	v_add_u32_e32 v34, 0x80, v34
	ds_write2st64_b32 v34, v35, v36 offset0:130 offset1:162
	s_waitcnt lgkmcnt(8)
	v_mfma_f32_16x16x16_bf16 a[8:11], v[88:89], v[68:69], a[4:7]
	v_xor_b32_e32 v34, 48, v51
	v_perm_b32 v35, v37, v41, s0
	v_perm_b32 v36, v45, v49, s0
	s_waitcnt lgkmcnt(7)
	v_mfma_f32_16x16x16_bf16 a[4:7], v[88:89], v[90:91], a[16:19]
	ds_write2st64_b32 v34, v35, v36 offset0:131 offset1:163
	v_xor_b32_e32 v34, 56, v51
	v_or_b32_e32 v54, v52, v86
	s_waitcnt lgkmcnt(7)
	v_mfma_f32_16x16x16_bf16 a[0:3], v[88:89], v[92:93], a[20:23]
	v_perm_b32 v35, v37, v41, s1
	v_perm_b32 v36, v45, v49, s1
	v_add_u32_e32 v34, 0x80, v34
	v_cmp_gt_i32_e64 s[0:1], s47, v54
	v_mov_b32_e32 v64, 0
	v_mov_b32_e32 v65, 0
	ds_write2st64_b32 v34, v35, v36 offset0:131 offset1:163
	s_and_saveexec_b64 s[2:3], s[0:1]
	s_cbranch_execz .LBB205_62
; %bb.61:
	v_add_u32_e32 v34, s46, v54
	v_ashrrev_i32_e32 v35, 31, v34
	v_mul_lo_u32 v36, v35, s38
	v_mul_lo_u32 v37, v34, s39
	v_mad_u64_u32 v[34:35], s[4:5], v34, s38, 0
	v_add3_u32 v35, v35, v37, v36
	v_lshl_add_u64 v[34:35], v[34:35], 2, s[10:11]
	global_load_dword v34, v[34:35], off
	s_waitcnt vmcnt(0)
	v_sub_f32_e32 v34, s12, v34
	v_mul_f32_e32 v34, 0x3fb8aa3b, v34
	v_exp_f32_e32 v65, v34
.LBB205_62:
	s_or_b64 exec, exec, s[2:3]
	v_or_b32_e32 v43, 1, v54
	v_cmp_gt_i32_e64 s[2:3], s47, v43
	s_and_saveexec_b64 s[4:5], s[2:3]
	s_cbranch_execz .LBB205_64
; %bb.63:
	v_add_u32_e32 v34, s46, v43
	v_ashrrev_i32_e32 v35, 31, v34
	v_mul_lo_u32 v36, v35, s38
	v_mul_lo_u32 v37, v34, s39
	v_mad_u64_u32 v[34:35], s[6:7], v34, s38, 0
	v_add3_u32 v35, v35, v37, v36
	v_lshl_add_u64 v[34:35], v[34:35], 2, s[10:11]
	global_load_dword v34, v[34:35], off
	s_waitcnt vmcnt(0)
	v_sub_f32_e32 v34, s12, v34
	v_mul_f32_e32 v34, 0x3fb8aa3b, v34
	v_exp_f32_e32 v64, v34
.LBB205_64:
	s_or_b64 exec, exec, s[4:5]
	v_or_b32_e32 v42, 2, v54
	v_cmp_gt_i32_e64 s[4:5], s47, v42
	v_mov_b32_e32 v55, 0
	v_mov_b32_e32 v66, 0
	s_and_saveexec_b64 s[6:7], s[4:5]
	s_cbranch_execz .LBB205_66
; %bb.65:
	v_add_u32_e32 v34, s46, v42
	v_ashrrev_i32_e32 v35, 31, v34
	v_mul_lo_u32 v36, v35, s38
	v_mul_lo_u32 v37, v34, s39
	v_mad_u64_u32 v[34:35], s[20:21], v34, s38, 0
	v_add3_u32 v35, v35, v37, v36
	v_lshl_add_u64 v[34:35], v[34:35], 2, s[10:11]
	global_load_dword v34, v[34:35], off
	s_waitcnt vmcnt(0)
	v_sub_f32_e32 v34, s12, v34
	v_mul_f32_e32 v34, 0x3fb8aa3b, v34
	v_exp_f32_e32 v66, v34
.LBB205_66:
	s_or_b64 exec, exec, s[6:7]
	v_or_b32_e32 v67, 3, v54
	v_cmp_gt_i32_e32 vcc, s47, v67
	s_and_saveexec_b64 s[6:7], vcc
	s_cbranch_execz .LBB205_68
; %bb.67:
	v_add_u32_e32 v34, s46, v67
	v_ashrrev_i32_e32 v35, 31, v34
	v_mul_lo_u32 v36, v35, s38
	v_mul_lo_u32 v37, v34, s39
	v_mad_u64_u32 v[34:35], s[20:21], v34, s38, 0
	v_add3_u32 v35, v35, v37, v36
	v_lshl_add_u64 v[34:35], v[34:35], 2, s[10:11]
	global_load_dword v34, v[34:35], off
	s_waitcnt vmcnt(0)
	v_sub_f32_e32 v34, s12, v34
	v_mul_f32_e32 v34, 0x3fb8aa3b, v34
	v_exp_f32_e32 v55, v34
.LBB205_68:
	s_or_b64 exec, exec, s[6:7]
	s_add_u32 s6, s8, s30
	s_addc_u32 s7, s9, s31
	s_add_u32 s8, s18, s30
	v_ashrrev_i32_e32 v51, 31, v50
	v_accvgpr_read_b32 v37, a15
	s_addc_u32 s9, s19, s31
	v_lshlrev_b64 v[38:39], 1, v[50:51]
	v_accvgpr_read_b32 v36, a14
	v_accvgpr_read_b32 v35, a13
	;; [unrolled: 1-line block ×3, first 2 shown]
	v_lshl_add_u64 v[40:41], s[6:7], 0, v[38:39]
	v_lshl_add_u64 v[38:39], s[8:9], 0, v[38:39]
	v_mov_b32_e32 v47, 0
	v_lshlrev_b32_e32 v44, 8, v54
	v_mov_b32_e32 v45, 0
	s_and_saveexec_b64 s[6:7], s[0:1]
	s_cbranch_execz .LBB205_70
; %bb.69:
	v_mov_b32_e32 v45, 0
	v_lshl_add_u64 v[48:49], v[40:41], 0, v[44:45]
	global_load_ushort v46, v[48:49], off
	v_lshl_add_u64 v[48:49], v[38:39], 0, v[44:45]
	s_waitcnt vmcnt(0)
	v_lshlrev_b32_e32 v45, 16, v46
	v_sub_f32_e32 v34, v45, v34
	global_store_short_d16_hi v[48:49], v34, off
	v_mul_f32_e32 v34, v65, v34
	v_lshrrev_b32_e32 v45, 16, v34
.LBB205_70:
	s_or_b64 exec, exec, s[6:7]
	v_lshlrev_b32_e32 v46, 8, v43
	s_and_saveexec_b64 s[6:7], s[2:3]
	s_cbranch_execz .LBB205_72
; %bb.71:
	v_mov_b32_e32 v47, 0
	v_lshl_add_u64 v[48:49], v[40:41], 0, v[46:47]
	global_load_ushort v34, v[48:49], off
	v_lshl_add_u64 v[48:49], v[38:39], 0, v[46:47]
	s_waitcnt vmcnt(0)
	v_lshlrev_b32_e32 v34, 16, v34
	v_sub_f32_e32 v34, v34, v35
	global_store_short_d16_hi v[48:49], v34, off
	v_mul_f32_e32 v34, v64, v34
	v_lshrrev_b32_e32 v47, 16, v34
.LBB205_72:
	s_or_b64 exec, exec, s[6:7]
	v_mov_b32_e32 v43, 0
	v_lshlrev_b32_e32 v48, 8, v42
	v_mov_b32_e32 v49, 0
	s_and_saveexec_b64 s[6:7], s[4:5]
	s_cbranch_execz .LBB205_74
; %bb.73:
	v_mov_b32_e32 v49, 0
	v_lshl_add_u64 v[34:35], v[40:41], 0, v[48:49]
	global_load_ushort v42, v[34:35], off
	v_lshl_add_u64 v[34:35], v[38:39], 0, v[48:49]
	s_waitcnt vmcnt(0)
	v_lshlrev_b32_e32 v42, 16, v42
	v_sub_f32_e32 v36, v42, v36
	global_store_short_d16_hi v[34:35], v36, off
	v_mul_f32_e32 v34, v66, v36
	v_lshrrev_b32_e32 v49, 16, v34
.LBB205_74:
	s_or_b64 exec, exec, s[6:7]
	v_lshlrev_b32_e32 v42, 8, v67
	s_and_saveexec_b64 s[6:7], vcc
	s_cbranch_execz .LBB205_76
; %bb.75:
	v_mov_b32_e32 v43, 0
	v_lshl_add_u64 v[34:35], v[40:41], 0, v[42:43]
	global_load_ushort v36, v[34:35], off
	v_lshl_add_u64 v[34:35], v[38:39], 0, v[42:43]
	s_waitcnt vmcnt(0)
	v_lshlrev_b32_e32 v36, 16, v36
	v_sub_f32_e32 v36, v36, v37
	global_store_short_d16_hi v[34:35], v36, off
	v_mul_f32_e32 v34, v55, v36
	v_lshrrev_b32_e32 v43, 16, v34
.LBB205_76:
	s_or_b64 exec, exec, s[6:7]
	v_lshlrev_b32_e32 v51, 6, v54
	s_mov_b32 s6, 0x5040100
	v_accvgpr_read_b32 v37, a11
	v_perm_b32 v69, v43, v49, s6
	v_or_b32_e32 v43, v51, v59
	v_accvgpr_read_b32 v36, a10
	v_accvgpr_read_b32 v35, a9
	v_accvgpr_read_b32 v34, a8
	v_perm_b32 v68, v47, v45, s6
	v_lshlrev_b32_e32 v43, 1, v43
	v_mov_b32_e32 v47, 0
	v_mov_b32_e32 v45, 0
	ds_write_b64 v43, v[68:69] offset:24576
	s_and_saveexec_b64 s[6:7], s[0:1]
	s_cbranch_execz .LBB205_78
; %bb.77:
	v_mov_b32_e32 v45, 0
	v_lshl_add_u64 v[68:69], v[40:41], 0, v[44:45]
	global_load_ushort v43, v[68:69], off offset:32
	v_lshl_add_u64 v[68:69], v[38:39], 0, v[44:45]
	s_waitcnt vmcnt(0)
	v_lshlrev_b32_e32 v43, 16, v43
	v_sub_f32_e32 v34, v43, v34
	global_store_short_d16_hi v[68:69], v34, off offset:32
	v_mul_f32_e32 v34, v65, v34
	v_lshrrev_b32_e32 v45, 16, v34
.LBB205_78:
	s_or_b64 exec, exec, s[6:7]
	s_and_saveexec_b64 s[6:7], s[2:3]
	s_cbranch_execz .LBB205_80
; %bb.79:
	v_mov_b32_e32 v47, 0
	v_lshl_add_u64 v[68:69], v[40:41], 0, v[46:47]
	global_load_ushort v34, v[68:69], off offset:32
	v_lshl_add_u64 v[68:69], v[38:39], 0, v[46:47]
	s_waitcnt vmcnt(0)
	v_lshlrev_b32_e32 v34, 16, v34
	v_sub_f32_e32 v34, v34, v35
	global_store_short_d16_hi v[68:69], v34, off offset:32
	v_mul_f32_e32 v34, v64, v34
	v_lshrrev_b32_e32 v47, 16, v34
.LBB205_80:
	s_or_b64 exec, exec, s[6:7]
	v_mov_b32_e32 v43, 0
	v_mov_b32_e32 v49, 0
	s_and_saveexec_b64 s[6:7], s[4:5]
	s_cbranch_execz .LBB205_82
; %bb.81:
	v_mov_b32_e32 v49, 0
	v_lshl_add_u64 v[34:35], v[40:41], 0, v[48:49]
	global_load_ushort v59, v[34:35], off offset:32
	v_lshl_add_u64 v[34:35], v[38:39], 0, v[48:49]
	s_waitcnt vmcnt(0)
	v_lshlrev_b32_e32 v49, 16, v59
	v_sub_f32_e32 v36, v49, v36
	global_store_short_d16_hi v[34:35], v36, off offset:32
	v_mul_f32_e32 v34, v66, v36
	v_lshrrev_b32_e32 v49, 16, v34
.LBB205_82:
	s_or_b64 exec, exec, s[6:7]
	s_and_saveexec_b64 s[6:7], vcc
	s_cbranch_execz .LBB205_84
; %bb.83:
	v_mov_b32_e32 v43, 0
	v_lshl_add_u64 v[34:35], v[40:41], 0, v[42:43]
	global_load_ushort v36, v[34:35], off offset:32
	v_lshl_add_u64 v[34:35], v[38:39], 0, v[42:43]
	s_waitcnt vmcnt(0)
	v_lshlrev_b32_e32 v36, 16, v36
	v_sub_f32_e32 v36, v36, v37
	global_store_short_d16_hi v[34:35], v36, off offset:32
	v_mul_f32_e32 v34, v55, v36
	v_lshrrev_b32_e32 v43, 16, v34
.LBB205_84:
	s_or_b64 exec, exec, s[6:7]
	s_mov_b32 s6, 0x5040100
	v_accvgpr_read_b32 v37, a7
	v_perm_b32 v69, v43, v49, s6
	v_or_b32_e32 v43, v51, v57
	v_accvgpr_read_b32 v36, a6
	v_accvgpr_read_b32 v35, a5
	;; [unrolled: 1-line block ×3, first 2 shown]
	v_perm_b32 v68, v47, v45, s6
	v_lshlrev_b32_e32 v43, 1, v43
	v_mov_b32_e32 v47, 0
	v_mov_b32_e32 v45, 0
	ds_write_b64 v43, v[68:69] offset:24576
	s_and_saveexec_b64 s[6:7], s[0:1]
	s_cbranch_execz .LBB205_86
; %bb.85:
	v_mov_b32_e32 v45, 0
	v_lshl_add_u64 v[68:69], v[40:41], 0, v[44:45]
	global_load_ushort v43, v[68:69], off offset:64
	v_lshl_add_u64 v[68:69], v[38:39], 0, v[44:45]
	s_waitcnt vmcnt(0)
	v_lshlrev_b32_e32 v43, 16, v43
	v_sub_f32_e32 v34, v43, v34
	global_store_short_d16_hi v[68:69], v34, off offset:64
	v_mul_f32_e32 v34, v65, v34
	v_lshrrev_b32_e32 v45, 16, v34
.LBB205_86:
	s_or_b64 exec, exec, s[6:7]
	s_and_saveexec_b64 s[6:7], s[2:3]
	s_cbranch_execz .LBB205_88
; %bb.87:
	v_mov_b32_e32 v47, 0
	v_lshl_add_u64 v[68:69], v[40:41], 0, v[46:47]
	global_load_ushort v34, v[68:69], off offset:64
	v_lshl_add_u64 v[68:69], v[38:39], 0, v[46:47]
	s_waitcnt vmcnt(0)
	v_lshlrev_b32_e32 v34, 16, v34
	v_sub_f32_e32 v34, v34, v35
	global_store_short_d16_hi v[68:69], v34, off offset:64
	v_mul_f32_e32 v34, v64, v34
	v_lshrrev_b32_e32 v47, 16, v34
.LBB205_88:
	s_or_b64 exec, exec, s[6:7]
	v_mov_b32_e32 v43, 0
	v_mov_b32_e32 v49, 0
	s_and_saveexec_b64 s[6:7], s[4:5]
	s_cbranch_execz .LBB205_90
; %bb.89:
	v_mov_b32_e32 v49, 0
	v_lshl_add_u64 v[34:35], v[40:41], 0, v[48:49]
	global_load_ushort v57, v[34:35], off offset:64
	v_lshl_add_u64 v[34:35], v[38:39], 0, v[48:49]
	s_waitcnt vmcnt(0)
	v_lshlrev_b32_e32 v49, 16, v57
	v_sub_f32_e32 v36, v49, v36
	global_store_short_d16_hi v[34:35], v36, off offset:64
	v_mul_f32_e32 v34, v66, v36
	v_lshrrev_b32_e32 v49, 16, v34
.LBB205_90:
	s_or_b64 exec, exec, s[6:7]
	s_and_saveexec_b64 s[6:7], vcc
	s_cbranch_execz .LBB205_92
; %bb.91:
	v_mov_b32_e32 v43, 0
	v_lshl_add_u64 v[34:35], v[40:41], 0, v[42:43]
	global_load_ushort v36, v[34:35], off offset:64
	v_lshl_add_u64 v[34:35], v[38:39], 0, v[42:43]
	s_waitcnt vmcnt(0)
	v_lshlrev_b32_e32 v36, 16, v36
	v_sub_f32_e32 v36, v36, v37
	global_store_short_d16_hi v[34:35], v36, off offset:64
	v_mul_f32_e32 v34, v55, v36
	v_lshrrev_b32_e32 v43, 16, v34
.LBB205_92:
	s_or_b64 exec, exec, s[6:7]
	s_mov_b32 s6, 0x5040100
	v_accvgpr_read_b32 v37, a3
	v_perm_b32 v69, v43, v49, s6
	v_or_b32_e32 v43, v51, v56
	v_accvgpr_read_b32 v36, a2
	v_accvgpr_read_b32 v35, a1
	;; [unrolled: 1-line block ×3, first 2 shown]
	v_perm_b32 v68, v47, v45, s6
	v_lshlrev_b32_e32 v43, 1, v43
	v_mov_b32_e32 v47, 0
	v_mov_b32_e32 v45, 0
	ds_write_b64 v43, v[68:69] offset:24576
	s_and_saveexec_b64 s[6:7], s[0:1]
	s_cbranch_execz .LBB205_94
; %bb.93:
	v_mov_b32_e32 v45, 0
	v_lshl_add_u64 v[56:57], v[40:41], 0, v[44:45]
	global_load_ushort v43, v[56:57], off offset:96
	v_lshl_add_u64 v[44:45], v[38:39], 0, v[44:45]
	s_waitcnt vmcnt(0)
	v_lshlrev_b32_e32 v43, 16, v43
	v_sub_f32_e32 v34, v43, v34
	global_store_short_d16_hi v[44:45], v34, off offset:96
	v_mul_f32_e32 v34, v65, v34
	v_lshrrev_b32_e32 v45, 16, v34
.LBB205_94:
	s_or_b64 exec, exec, s[6:7]
	s_and_saveexec_b64 s[0:1], s[2:3]
	s_cbranch_execz .LBB205_96
; %bb.95:
	v_mov_b32_e32 v47, 0
	v_lshl_add_u64 v[56:57], v[40:41], 0, v[46:47]
	global_load_ushort v34, v[56:57], off offset:96
	v_lshl_add_u64 v[46:47], v[38:39], 0, v[46:47]
	s_waitcnt vmcnt(0)
	v_lshlrev_b32_e32 v34, 16, v34
	v_sub_f32_e32 v34, v34, v35
	global_store_short_d16_hi v[46:47], v34, off offset:96
	v_mul_f32_e32 v34, v64, v34
	v_lshrrev_b32_e32 v47, 16, v34
.LBB205_96:
	s_or_b64 exec, exec, s[0:1]
	v_mov_b32_e32 v43, 0
	v_mov_b32_e32 v46, 0
	s_and_saveexec_b64 s[0:1], s[4:5]
	s_cbranch_execz .LBB205_98
; %bb.97:
	v_mov_b32_e32 v49, 0
	v_lshl_add_u64 v[34:35], v[40:41], 0, v[48:49]
	global_load_ushort v44, v[34:35], off offset:96
	v_lshl_add_u64 v[34:35], v[38:39], 0, v[48:49]
	s_waitcnt vmcnt(0)
	v_lshlrev_b32_e32 v44, 16, v44
	v_sub_f32_e32 v36, v44, v36
	global_store_short_d16_hi v[34:35], v36, off offset:96
	v_mul_f32_e32 v34, v66, v36
	v_lshrrev_b32_e32 v46, 16, v34
.LBB205_98:
	s_or_b64 exec, exec, s[0:1]
	v_or_b32_e32 v34, 0x6000, v60
	v_or_b32_e32 v35, 0x6000, v61
	;; [unrolled: 1-line block ×4, first 2 shown]
	s_and_saveexec_b64 s[0:1], vcc
	s_cbranch_execz .LBB205_100
; %bb.99:
	v_mov_b32_e32 v43, 0
	v_lshl_add_u64 v[40:41], v[40:41], 0, v[42:43]
	global_load_ushort v40, v[40:41], off offset:96
	v_lshl_add_u64 v[38:39], v[38:39], 0, v[42:43]
	s_waitcnt vmcnt(0)
	v_lshlrev_b32_e32 v40, 16, v40
	v_sub_f32_e32 v37, v40, v37
	global_store_short_d16_hi v[38:39], v37, off offset:96
	v_mul_f32_e32 v37, v55, v37
	v_lshrrev_b32_e32 v43, 16, v37
.LBB205_100:
	s_or_b64 exec, exec, s[0:1]
	s_mov_b32 s0, 0x5040100
	v_or_b32_e32 v37, v51, v53
	v_perm_b32 v39, v43, v46, s0
	v_perm_b32 v38, v47, v45, s0
	v_lshlrev_b32_e32 v37, 1, v37
	ds_write_b64 v37, v[38:39] offset:24576
	v_and_b32_e32 v37, 7, v0
	v_lshlrev_b32_e32 v45, 3, v37
	v_lshlrev_b32_e32 v51, 7, v37
	v_lshrrev_b32_e32 v37, 1, v0
	s_add_i32 s0, s16, s48
	v_and_b32_e32 v37, 24, v37
	v_lshlrev_b32_e32 v76, 3, v77
	s_mul_hi_i32 s3, s0, s13
	s_mul_i32 s0, s0, s13
	v_and_b32_e32 v42, 8, v0
	s_movk_i32 s4, 0x100
	v_xor_b32_e32 v80, v76, v37
	s_add_u32 s2, s0, s33
	v_cmp_eq_u32_e32 vcc, 0, v42
	v_cmp_gt_u32_e64 s[0:1], s4, v0
	v_or_b32_e32 v0, 0x440, v80
	v_mov_b32_e32 v43, 0x400
	v_cndmask_b32_e32 v0, v0, v80, vcc
	v_cndmask_b32_e64 v53, v43, 64, vcc
	v_mov_b32_e32 v42, 0xa000
	v_mov_b32_e32 v43, 0x8000
	v_or_b32_e32 v0, v0, v58
	v_cndmask_b32_e64 v59, v42, v43, s[0:1]
	v_xor_b32_e32 v84, v0, v45
	v_add3_u32 v0, v59, v84, v51
	s_waitcnt lgkmcnt(0)
	s_barrier
	ds_read_b64 v[42:43], v0
	v_or_b32_e32 v0, 32, v37
	v_xor_b32_e32 v0, v76, v0
	v_or_b32_e32 v46, 0x440, v0
	ds_read2_b64 v[38:41], v34 offset1:16
	v_cndmask_b32_e32 v0, v46, v0, vcc
	ds_read2_b64 v[46:49], v34 offset0:32 offset1:48
	s_waitcnt lgkmcnt(1)
	v_mfma_f32_16x16x16_bf16 a[0:3], v[42:43], v[38:39], 0
	v_or_b32_e32 v0, v0, v58
	s_addc_u32 s3, s3, s14
	v_or_b32_e32 v37, 0x60, v37
	v_mfma_f32_16x16x16_bf16 a[4:7], v[42:43], v[40:41], 0
	v_xor_b32_e32 v85, v0, v45
	s_lshl_b64 s[0:1], s[2:3], 9
	v_xor_b32_e32 v37, v76, v37
	s_waitcnt lgkmcnt(0)
	v_mfma_f32_16x16x16_bf16 a[8:11], v[42:43], v[46:47], 0
	v_add3_u32 v0, v59, v85, v51
	s_add_u32 s0, s36, s0
	ds_read_b64 v[78:79], v0
	v_mfma_f32_16x16x16_bf16 a[12:15], v[42:43], v[48:49], 0
	v_or3_b32 v42, v58, v53, v80
	v_xor_b32_e32 v42, v42, v45
	v_or_b32_e32 v86, v42, v51
	v_or_b32_e32 v42, v59, v86
	v_xor_b32_e32 v43, 0x440, v37
	s_addc_u32 s1, s37, s1
	v_cndmask_b32_e32 v37, v43, v37, vcc
	ds_read_b64 v[42:43], v42
	v_lshlrev_b32_e32 v0, 2, v54
	global_load_dwordx4 v[54:57], v0, s[0:1]
	ds_read2st64_b64 v[60:63], v34 offset0:4 offset1:8
	ds_read2st64_b64 v[64:67], v35 offset0:4 offset1:8
	;; [unrolled: 1-line block ×4, first 2 shown]
	v_or_b32_e32 v37, v37, v58
	v_xor_b32_e32 v87, v37, v45
	v_lshlrev_b32_e32 v37, 6, v77
	v_lshlrev_b32_e32 v45, 2, v52
	v_or3_b32 v37, v37, v45, s4
	s_waitcnt lgkmcnt(3)
	v_mfma_f32_16x16x16_bf16 a[0:3], v[78:79], v[60:61], a[0:3]
	v_mov_b32_e32 v0, 0x3fb8aa3b
	v_mul_f32_e32 v0, s12, v0
	v_exp_f32_e32 v0, v0
	s_waitcnt lgkmcnt(2)
	v_mfma_f32_16x16x16_bf16 a[4:7], v[78:79], v[64:65], a[4:7]
	s_waitcnt lgkmcnt(1)
	v_mfma_f32_16x16x16_bf16 a[8:11], v[78:79], v[68:69], a[8:11]
	;; [unrolled: 2-line block ×3, first 2 shown]
	global_load_dwordx4 v[76:79], v37, s[0:1]
	v_add3_u32 v37, v59, v87, v51
	ds_read_b64 v[52:53], v37
	v_mfma_f32_16x16x16_bf16 a[0:3], v[42:43], v[62:63], a[0:3]
	ds_read_b64 v[58:59], v34 offset:6144
	ds_read_b64 v[80:81], v35 offset:6144
	ds_read_b64 v[82:83], v36 offset:6144
	ds_read_b64 v[44:45], v44 offset:6144
	s_waitcnt vmcnt(1)
	v_mul_f32_e32 v34, 0x3fb8aa3b, v54
	v_mfma_f32_16x16x16_bf16 a[4:7], v[42:43], v[66:67], a[4:7]
	v_mul_f32_e32 v35, 0x3fb8aa3b, v55
	v_exp_f32_e32 v34, v34
	v_exp_f32_e32 v35, v35
	v_mfma_f32_16x16x16_bf16 a[8:11], v[42:43], v[70:71], a[8:11]
	v_mul_f32_e32 v36, 0x3fb8aa3b, v56
	v_mul_f32_e32 v37, 0x3fb8aa3b, v57
	v_exp_f32_e32 v36, v36
	v_mfma_f32_16x16x16_bf16 a[12:15], v[42:43], v[74:75], a[12:15]
	v_add_u32_e32 v42, v84, v51
	ds_read_b64 v[42:43], v42 offset:40960
	v_exp_f32_e32 v37, v37
	s_waitcnt lgkmcnt(4)
	v_mfma_f32_16x16x16_bf16 a[0:3], v[52:53], v[58:59], a[0:3]
	v_pk_mul_f32 v[34:35], v[0:1], v[34:35] op_sel_hi:[0,1]
	v_pk_mul_f32 v[30:31], v[30:31], v[34:35]
	v_pk_mul_f32 v[36:37], v[0:1], v[36:37] op_sel_hi:[0,1]
	s_waitcnt lgkmcnt(1)
	v_mfma_f32_16x16x16_bf16 a[12:15], v[52:53], v[44:45], a[12:15]
	v_pk_mul_f32 v[32:33], v[32:33], v[36:37]
	v_pk_mul_f32 v[26:27], v[34:35], v[26:27]
	;; [unrolled: 1-line block ×3, first 2 shown]
	v_mfma_f32_16x16x16_bf16 a[4:7], v[52:53], v[80:81], a[4:7]
	v_add_u32_e32 v54, v85, v51
	v_add_u32_e32 v51, v87, v51
	ds_read_b64 v[54:55], v54 offset:40960
	ds_read_b64 v[56:57], v51 offset:40960
	v_mfma_f32_16x16x16_bf16 a[8:11], v[52:53], v[82:83], a[8:11]
	v_accvgpr_read_b32 v53, a15
	v_accvgpr_read_b32 v52, a14
	v_pk_mul_f32 v[22:23], v[34:35], v[22:23]
	s_waitcnt lgkmcnt(2)
	v_mfma_f32_16x16x16_bf16 a[14:17], v[42:43], v[38:39], 0
	v_accvgpr_read_b32 v38, a0
	v_add_f32_e32 v30, v30, v38
	v_accvgpr_read_b32 v38, a1
	v_add_f32_e32 v31, v31, v38
	;; [unrolled: 2-line block ×8, first 2 shown]
	ds_read_b64 v[38:39], v86 offset:40960
	v_mfma_f32_16x16x16_bf16 a[18:21], v[42:43], v[40:41], 0
	v_accvgpr_read_b32 v40, a8
	v_add_f32_e32 v22, v22, v40
	v_accvgpr_read_b32 v40, a9
	s_waitcnt lgkmcnt(2)
	v_mfma_f32_16x16x16_bf16 a[14:17], v[54:55], v[60:61], a[14:17]
	v_pk_mul_f32 v[24:25], v[36:37], v[24:25]
	v_add_f32_e32 v23, v23, v40
	v_accvgpr_read_b32 v40, a10
	v_add_f32_e32 v24, v24, v40
	v_accvgpr_read_b32 v40, a11
	;; [unrolled: 2-line block ×3, first 2 shown]
	v_mfma_f32_16x16x16_bf16 a[22:25], v[42:43], v[46:47], 0
	v_accvgpr_read_b32 v40, a12
	v_pk_fma_f32 v[2:3], v[34:35], v[2:3], v[40:41]
	v_pk_fma_f32 v[4:5], v[36:37], v[4:5], v[52:53]
	v_mfma_f32_16x16x16_bf16 a[4:7], v[54:55], v[64:65], a[18:21]
	s_waitcnt vmcnt(0)
	v_mov_b32_e32 v34, v77
	v_mov_b32_e32 v35, v78
	;; [unrolled: 1-line block ×3, first 2 shown]
	s_waitcnt lgkmcnt(0)
	v_mfma_f32_16x16x16_bf16 a[8:11], v[38:39], v[62:63], a[14:17]
	v_mul_f32_e32 v37, 0x3fb8aa3b, v76
	v_mul_f32_e32 v34, 0x3fb8aa3b, v34
	v_exp_f32_e32 v40, v37
	v_mfma_f32_16x16x16_bf16 a[0:3], v[42:43], v[48:49], 0
	v_exp_f32_e32 v41, v34
	v_mul_f32_e32 v34, 0x3fb8aa3b, v35
	v_mul_f32_e32 v35, 0x3fb8aa3b, v36
	v_mfma_f32_16x16x16_bf16 a[18:21], v[54:55], v[68:69], a[22:25]
	v_exp_f32_e32 v34, v34
	v_exp_f32_e32 v35, v35
	v_pk_mul_f32 v[36:37], v[0:1], v[40:41] op_sel_hi:[0,1]
	v_mfma_f32_16x16x16_bf16 a[4:7], v[38:39], v[66:67], a[4:7]
	v_pk_mul_f32 v[18:19], v[18:19], v[36:37]
	v_pk_mul_f32 v[34:35], v[0:1], v[34:35] op_sel_hi:[0,1]
	v_pk_mul_f32 v[20:21], v[20:21], v[34:35]
	v_mfma_f32_16x16x16_bf16 a[8:11], v[56:57], v[58:59], a[8:11]
	v_pk_mul_f32 v[14:15], v[36:37], v[14:15]
	v_pk_mul_f32 v[16:17], v[34:35], v[16:17]
	;; [unrolled: 1-line block ×3, first 2 shown]
	v_mfma_f32_16x16x16_bf16 a[0:3], v[54:55], v[72:73], a[0:3]
	v_pk_mul_f32 v[12:13], v[34:35], v[12:13]
	v_mfma_f32_16x16x16_bf16 a[12:15], v[38:39], v[70:71], a[18:21]
	s_nop 0
	v_accvgpr_read_b32 v0, a8
	v_add_f32_e32 v18, v18, v0
	v_accvgpr_read_b32 v0, a9
	v_mfma_f32_16x16x16_bf16 a[4:7], v[56:57], v[80:81], a[4:7]
	v_add_f32_e32 v19, v19, v0
	v_accvgpr_read_b32 v0, a10
	v_add_f32_e32 v20, v20, v0
	v_mfma_f32_16x16x16_bf16 a[0:3], v[38:39], v[74:75], a[0:3]
	v_accvgpr_read_b32 v0, a11
	v_add_f32_e32 v21, v21, v0
	v_mfma_f32_16x16x16_bf16 a[12:15], v[56:57], v[82:83], a[12:15]
	v_accvgpr_read_b32 v0, a4
	v_add_f32_e32 v14, v14, v0
	v_accvgpr_read_b32 v0, a5
	v_mfma_f32_16x16x16_bf16 a[0:3], v[56:57], v[44:45], a[0:3]
	v_add_f32_e32 v15, v15, v0
	v_accvgpr_read_b32 v0, a6
	v_add_f32_e32 v16, v16, v0
	v_accvgpr_read_b32 v0, a7
	;; [unrolled: 2-line block ×5, first 2 shown]
	v_accvgpr_read_b32 v41, a1
	v_accvgpr_read_b32 v39, a3
	;; [unrolled: 1-line block ×3, first 2 shown]
	v_add_f32_e32 v12, v12, v0
	v_accvgpr_read_b32 v0, a15
	v_accvgpr_read_b32 v40, a0
	v_add_f32_e32 v13, v13, v0
	v_pk_fma_f32 v[6:7], v[36:37], v[6:7], v[40:41]
	v_pk_fma_f32 v[8:9], v[34:35], v[8:9], v[38:39]
	v_mov_b32_e32 v34, v50
.LBB205_101:
	s_lshl_b64 s[0:1], s[28:29], 16
	s_add_u32 s0, s34, s0
	v_lshlrev_b32_e32 v34, 7, v34
	s_addc_u32 s1, s35, s1
	v_ashrrev_i32_e32 v35, 31, v34
	v_lshl_add_u64 v[36:37], v[34:35], 2, s[0:1]
	v_lshlrev_b32_e32 v0, 2, v1
	v_mov_b32_e32 v1, 0
	v_lshl_add_u64 v[36:37], v[36:37], 0, v[0:1]
	global_store_dwordx4 v[36:37], v[30:33], off
	global_store_dwordx4 v[36:37], v[18:21], off offset:256
	s_nop 1
	v_or_b32_e32 v18, 0x800, v34
	v_ashrrev_i32_e32 v19, 31, v18
	v_lshl_add_u64 v[18:19], v[18:19], 2, s[0:1]
	v_lshl_add_u64 v[18:19], v[18:19], 0, v[0:1]
	global_store_dwordx4 v[18:19], v[26:29], off
	global_store_dwordx4 v[18:19], v[14:17], off offset:256
	s_nop 1
	v_or_b32_e32 v14, 0x1000, v34
	v_ashrrev_i32_e32 v15, 31, v14
	v_lshl_add_u64 v[14:15], v[14:15], 2, s[0:1]
	;; [unrolled: 7-line block ×3, first 2 shown]
	v_lshl_add_u64 v[0:1], v[10:11], 0, v[0:1]
	global_store_dwordx4 v[0:1], v[2:5], off
	global_store_dwordx4 v[0:1], v[6:9], off offset:256
	s_endpgm
	.section	.rodata,"a",@progbits
	.p2align	6, 0x0
	.amdhsa_kernel _ZN12_GLOBAL__N_139chunk_gated_delta_rule_fwd_h_hip_kernelILi64ELb0ELb1ELb1ELb0ELb0ELb1ELb1ELb0EEEvPK12hip_bfloat16S3_S3_PKfS5_PKvPS1_S8_PvPKiSB_iiiiilll
		.amdhsa_group_segment_fixed_size 65536
		.amdhsa_private_segment_fixed_size 0
		.amdhsa_kernarg_size 136
		.amdhsa_user_sgpr_count 2
		.amdhsa_user_sgpr_dispatch_ptr 0
		.amdhsa_user_sgpr_queue_ptr 0
		.amdhsa_user_sgpr_kernarg_segment_ptr 1
		.amdhsa_user_sgpr_dispatch_id 0
		.amdhsa_user_sgpr_kernarg_preload_length 0
		.amdhsa_user_sgpr_kernarg_preload_offset 0
		.amdhsa_user_sgpr_private_segment_size 0
		.amdhsa_uses_dynamic_stack 0
		.amdhsa_enable_private_segment 0
		.amdhsa_system_sgpr_workgroup_id_x 1
		.amdhsa_system_sgpr_workgroup_id_y 1
		.amdhsa_system_sgpr_workgroup_id_z 0
		.amdhsa_system_sgpr_workgroup_info 0
		.amdhsa_system_vgpr_workitem_id 0
		.amdhsa_next_free_vgpr 232
		.amdhsa_next_free_sgpr 70
		.amdhsa_accum_offset 192
		.amdhsa_reserve_vcc 1
		.amdhsa_float_round_mode_32 0
		.amdhsa_float_round_mode_16_64 0
		.amdhsa_float_denorm_mode_32 3
		.amdhsa_float_denorm_mode_16_64 3
		.amdhsa_dx10_clamp 1
		.amdhsa_ieee_mode 1
		.amdhsa_fp16_overflow 0
		.amdhsa_tg_split 0
		.amdhsa_exception_fp_ieee_invalid_op 0
		.amdhsa_exception_fp_denorm_src 0
		.amdhsa_exception_fp_ieee_div_zero 0
		.amdhsa_exception_fp_ieee_overflow 0
		.amdhsa_exception_fp_ieee_underflow 0
		.amdhsa_exception_fp_ieee_inexact 0
		.amdhsa_exception_int_div_zero 0
	.end_amdhsa_kernel
	.section	.text._ZN12_GLOBAL__N_139chunk_gated_delta_rule_fwd_h_hip_kernelILi64ELb0ELb1ELb1ELb0ELb0ELb1ELb1ELb0EEEvPK12hip_bfloat16S3_S3_PKfS5_PKvPS1_S8_PvPKiSB_iiiiilll,"axG",@progbits,_ZN12_GLOBAL__N_139chunk_gated_delta_rule_fwd_h_hip_kernelILi64ELb0ELb1ELb1ELb0ELb0ELb1ELb1ELb0EEEvPK12hip_bfloat16S3_S3_PKfS5_PKvPS1_S8_PvPKiSB_iiiiilll,comdat
.Lfunc_end205:
	.size	_ZN12_GLOBAL__N_139chunk_gated_delta_rule_fwd_h_hip_kernelILi64ELb0ELb1ELb1ELb0ELb0ELb1ELb1ELb0EEEvPK12hip_bfloat16S3_S3_PKfS5_PKvPS1_S8_PvPKiSB_iiiiilll, .Lfunc_end205-_ZN12_GLOBAL__N_139chunk_gated_delta_rule_fwd_h_hip_kernelILi64ELb0ELb1ELb1ELb0ELb0ELb1ELb1ELb0EEEvPK12hip_bfloat16S3_S3_PKfS5_PKvPS1_S8_PvPKiSB_iiiiilll
                                        ; -- End function
	.section	.AMDGPU.csdata,"",@progbits
; Kernel info:
; codeLenInByte = 13252
; NumSgprs: 76
; NumVgprs: 192
; NumAgprs: 40
; TotalNumVgprs: 232
; ScratchSize: 0
; MemoryBound: 0
; FloatMode: 240
; IeeeMode: 1
; LDSByteSize: 65536 bytes/workgroup (compile time only)
; SGPRBlocks: 9
; VGPRBlocks: 28
; NumSGPRsForWavesPerEU: 76
; NumVGPRsForWavesPerEU: 232
; AccumOffset: 192
; Occupancy: 1
; WaveLimiterHint : 1
; COMPUTE_PGM_RSRC2:SCRATCH_EN: 0
; COMPUTE_PGM_RSRC2:USER_SGPR: 2
; COMPUTE_PGM_RSRC2:TRAP_HANDLER: 0
; COMPUTE_PGM_RSRC2:TGID_X_EN: 1
; COMPUTE_PGM_RSRC2:TGID_Y_EN: 1
; COMPUTE_PGM_RSRC2:TGID_Z_EN: 0
; COMPUTE_PGM_RSRC2:TIDIG_COMP_CNT: 0
; COMPUTE_PGM_RSRC3_GFX90A:ACCUM_OFFSET: 47
; COMPUTE_PGM_RSRC3_GFX90A:TG_SPLIT: 0
	.section	.text._ZN12_GLOBAL__N_139chunk_gated_delta_rule_fwd_h_hip_kernelILi64ELb0ELb1ELb0ELb0ELb0ELb1ELb1ELb0EEEvPK12hip_bfloat16S3_S3_PKfS5_PKvPS1_S8_PvPKiSB_iiiiilll,"axG",@progbits,_ZN12_GLOBAL__N_139chunk_gated_delta_rule_fwd_h_hip_kernelILi64ELb0ELb1ELb0ELb0ELb0ELb1ELb1ELb0EEEvPK12hip_bfloat16S3_S3_PKfS5_PKvPS1_S8_PvPKiSB_iiiiilll,comdat
	.globl	_ZN12_GLOBAL__N_139chunk_gated_delta_rule_fwd_h_hip_kernelILi64ELb0ELb1ELb0ELb0ELb0ELb1ELb1ELb0EEEvPK12hip_bfloat16S3_S3_PKfS5_PKvPS1_S8_PvPKiSB_iiiiilll ; -- Begin function _ZN12_GLOBAL__N_139chunk_gated_delta_rule_fwd_h_hip_kernelILi64ELb0ELb1ELb0ELb0ELb0ELb1ELb1ELb0EEEvPK12hip_bfloat16S3_S3_PKfS5_PKvPS1_S8_PvPKiSB_iiiiilll
	.p2align	8
	.type	_ZN12_GLOBAL__N_139chunk_gated_delta_rule_fwd_h_hip_kernelILi64ELb0ELb1ELb0ELb0ELb0ELb1ELb1ELb0EEEvPK12hip_bfloat16S3_S3_PKfS5_PKvPS1_S8_PvPKiSB_iiiiilll,@function
_ZN12_GLOBAL__N_139chunk_gated_delta_rule_fwd_h_hip_kernelILi64ELb0ELb1ELb0ELb0ELb0ELb1ELb1ELb0EEEvPK12hip_bfloat16S3_S3_PKfS5_PKvPS1_S8_PvPKiSB_iiiiilll: ; @_ZN12_GLOBAL__N_139chunk_gated_delta_rule_fwd_h_hip_kernelILi64ELb0ELb1ELb0ELb0ELb0ELb1ELb1ELb0EEEvPK12hip_bfloat16S3_S3_PKfS5_PKvPS1_S8_PvPKiSB_iiiiilll
; %bb.0:
	s_load_dwordx4 s[12:15], s[0:1], 0x5c
	s_load_dwordx8 s[4:11], s[0:1], 0x0
	s_load_dwordx4 s[16:19], s[0:1], 0x70
	s_abs_i32 s23, s3
	s_ashr_i32 s21, s3, 31
	s_waitcnt lgkmcnt(0)
	s_abs_i32 s20, s13
	v_cvt_f32_u32_e32 v1, s20
	s_sub_i32 s24, 0, s20
	s_ashr_i32 s22, s13, 31
	s_xor_b32 s21, s21, s22
	v_rcp_iflag_f32_e32 v1, v1
	s_load_dwordx2 s[30:31], s[0:1], 0x20
	s_load_dwordx2 s[28:29], s[0:1], 0x40
	;; [unrolled: 1-line block ×4, first 2 shown]
	v_lshrrev_b32_e32 v77, 6, v0
	v_mul_f32_e32 v1, 0x4f7ffffe, v1
	v_cvt_u32_f32_e32 v1, v1
	v_bfe_u32 v86, v0, 4, 2
	s_mov_b32 s0, 0
	v_lshlrev_b32_e32 v84, 4, v77
	v_readfirstlane_b32 s25, v1
	s_mul_i32 s24, s24, s25
	s_mul_hi_u32 s24, s25, s24
	s_add_i32 s25, s25, s24
	s_mul_hi_u32 s24, s23, s25
	s_mul_i32 s25, s24, s20
	s_sub_i32 s23, s23, s25
	s_add_i32 s25, s24, 1
	s_sub_i32 s26, s23, s20
	s_cmp_ge_u32 s23, s20
	s_cselect_b32 s24, s25, s24
	s_cselect_b32 s23, s26, s23
	s_add_i32 s25, s24, 1
	s_cmp_ge_u32 s23, s20
	s_cselect_b32 s23, s25, s24
	s_xor_b32 s23, s23, s21
	s_sub_i32 s50, s23, s21
	s_abs_i32 s21, s14
	v_cvt_f32_u32_e32 v1, s21
	s_ashr_i32 s49, s12, 31
	s_lshr_b32 s23, s49, 26
	s_add_i32 s23, s12, s23
	v_rcp_iflag_f32_e32 v1, v1
	s_ashr_i32 s51, s23, 6
	s_sub_i32 s23, 0, s21
	s_mul_i32 s48, s50, s13
	v_mul_f32_e32 v1, 0x4f7ffffe, v1
	v_cvt_u32_f32_e32 v1, v1
	s_ashr_i32 s52, s14, 31
	s_sub_i32 s33, s3, s48
	s_add_i32 s3, s12, 63
	v_readfirstlane_b32 s24, v1
	s_mul_i32 s23, s23, s24
	s_mul_hi_u32 s23, s24, s23
	s_add_i32 s24, s24, s23
	s_mul_hi_u32 s23, s20, s24
	s_mul_i32 s24, s23, s21
	s_sub_i32 s20, s20, s24
	s_xor_b32 s22, s22, s52
	s_add_i32 s24, s23, 1
	s_sub_i32 s25, s20, s21
	s_cmp_ge_u32 s20, s21
	s_cselect_b32 s23, s24, s23
	s_cselect_b32 s20, s25, s20
	s_add_i32 s24, s23, 1
	s_cmp_ge_u32 s20, s21
	s_cselect_b32 s20, s24, s23
	s_xor_b32 s20, s20, s22
	s_sub_i32 s20, s20, s22
	s_abs_i32 s21, s20
	v_cvt_f32_u32_e32 v1, s21
	s_sub_i32 s22, 0, s21
	s_xor_b32 s1, s33, s20
	s_abs_i32 s20, s33
	v_rcp_iflag_f32_e32 v1, v1
	s_ashr_i32 s1, s1, 31
	v_lshlrev_b32_e32 v34, 2, v86
	v_and_b32_e32 v85, 63, v0
	v_mul_f32_e32 v1, 0x4f7ffffe, v1
	v_cvt_u32_f32_e32 v1, v1
	v_mov_b32_e32 v25, 0
	s_mul_i32 s46, s50, s12
	v_and_b32_e32 v87, 15, v0
	v_readfirstlane_b32 s23, v1
	s_mul_i32 s22, s22, s23
	s_mul_hi_u32 s22, s23, s22
	s_add_i32 s23, s23, s22
	s_mul_hi_u32 s22, s20, s23
	s_mul_i32 s23, s22, s21
	s_sub_i32 s20, s20, s23
	s_add_i32 s23, s22, 1
	s_sub_i32 s24, s20, s21
	s_cmp_ge_u32 s20, s21
	s_cselect_b32 s22, s23, s22
	s_cselect_b32 s20, s24, s20
	s_add_i32 s23, s22, 1
	s_cmp_ge_u32 s20, s21
	s_cselect_b32 s20, s23, s22
	s_xor_b32 s20, s20, s1
	s_sub_i32 s55, s20, s1
	s_ashr_i32 s1, s3, 31
	s_lshr_b32 s1, s1, 26
	s_add_i32 s3, s3, s1
	s_ashr_i32 s1, s3, 6
	v_or_b32_e32 v1, v34, v84
	s_mul_i32 s53, s50, s1
	s_lshl_b32 s2, s2, 6
	s_mov_b32 s1, s0
	v_or_b32_e32 v90, 64, v1
	s_cmp_lt_i32 s12, 64
	v_mov_b64_e32 v[2:3], s[0:1]
	s_mul_hi_i32 s54, s50, s13
	v_lshrrev_b32_e32 v89, 3, v85
	v_lshlrev_b32_e32 v88, 3, v0
	s_mul_i32 s17, s50, s17
	s_mul_hi_u32 s47, s50, s16
	s_mul_i32 s36, s50, s16
	v_mov_b32_e32 v24, v25
	v_mov_b32_e32 v23, v25
	;; [unrolled: 1-line block ×23, first 2 shown]
	v_mov_b64_e32 v[4:5], s[0:1]
	v_mov_b64_e32 v[6:7], s[0:1]
	;; [unrolled: 1-line block ×3, first 2 shown]
	s_cbranch_scc1 .LBB206_18
; %bb.1:
	s_ashr_i32 s3, s50, 31
	s_ashr_i32 s57, s33, 31
	s_add_u32 s0, s48, s33
	s_addc_u32 s1, s54, s57
	s_mul_i32 s1, s12, s1
	s_mul_hi_u32 s20, s12, s0
	s_add_i32 s41, s20, s1
	s_mul_i32 s40, s12, s0
	s_lshl_b64 s[0:1], s[40:41], 8
	v_and_b32_e32 v92, 56, v88
	s_add_u32 s20, s6, s0
	v_lshl_or_b32 v91, v77, 3, v89
	v_lshlrev_b32_e32 v2, 1, v92
	s_addc_u32 s0, s7, s1
	v_lshl_or_b32 v93, v91, 8, v2
	s_and_b32 s21, s0, 0xffff
	s_mov_b32 s23, 0x20000
	s_movk_i32 s22, 0x4000
	s_movk_i32 s0, 0x80
	v_or_b32_e32 v94, 0x2000, v93
	buffer_load_dwordx4 v[4:7], v93, s[20:23], 0 offen
	buffer_load_dwordx4 v[8:11], v93, s[20:23], s0 offen
	;; [unrolled: 1-line block ×4, first 2 shown]
	v_lshlrev_b32_e32 v3, 3, v91
	v_and_or_b32 v21, v0, 7, v3
	v_and_b32_e32 v3, 0x78, v3
	v_lshlrev_b32_e32 v21, 4, v21
	v_xor_b32_e32 v95, v21, v3
	v_mul_lo_u32 v20, v91, s15
	v_or_b32_e32 v96, 0x1000, v95
	v_xor_b32_e32 v3, 8, v95
	s_cmpk_eq_i32 s15, 0x80
	s_mov_b32 s56, s14
	v_xor_b32_e32 v21, 8, v96
	s_cselect_b64 s[0:1], -1, 0
	s_cmpk_lg_i32 s15, 0x80
	s_waitcnt vmcnt(3)
	ds_write_b64 v95, v[4:5] offset:49152
	ds_write_b64 v3, v[6:7] offset:49152
	s_waitcnt vmcnt(2)
	ds_write_b64 v95, v[8:9] offset:57344
	ds_write_b64 v3, v[10:11] offset:57344
	;; [unrolled: 3-line block ×4, first 2 shown]
	v_lshl_add_u32 v3, v20, 1, v92
	s_cbranch_scc0 .LBB206_3
; %bb.2:
	v_lshlrev_b32_e32 v5, 1, v3
	v_add_lshl_u32 v4, v3, s15, 1
	s_lshl_b32 s22, s15, 7
	v_lshl_or_b32 v2, v91, 9, v2
	s_cbranch_execz .LBB206_4
	s_branch .LBB206_5
.LBB206_3:
                                        ; implicit-def: $vgpr4
                                        ; implicit-def: $vgpr5
                                        ; implicit-def: $sgpr22
	v_lshl_or_b32 v2, v91, 9, v2
.LBB206_4:
	v_or_b32_e32 v4, 0x100, v2
	s_movk_i32 s22, 0x4000
	v_mov_b32_e32 v5, v2
.LBB206_5:
	s_mul_hi_u32 s20, s14, s12
	s_mul_i32 s21, s52, s12
	s_add_i32 s20, s20, s21
	s_mul_i32 s21, s14, s12
	s_mul_i32 s23, s21, s3
	s_mul_hi_u32 s24, s21, s50
	s_add_i32 s23, s24, s23
	s_mul_i32 s20, s20, s50
	s_add_i32 s23, s23, s20
	s_mul_i32 s21, s21, s50
	s_ashr_i32 s58, s55, 31
	s_add_u32 s20, s21, s55
	s_addc_u32 s21, s23, s58
	s_lshl_b64 s[20:21], s[20:21], 8
	s_add_u32 s20, s4, s20
	s_addc_u32 s21, s5, s21
	s_and_b32 s21, s21, 0xffff
	s_mov_b32 s23, 0x20000
	s_movk_i32 s59, 0x80
	buffer_load_dwordx4 v[6:9], v5, s[20:23], 0 offen
	buffer_load_dwordx4 v[10:13], v5, s[20:23], s59 offen
	;; [unrolled: 1-line block ×4, first 2 shown]
	v_and_b32_e32 v5, 6, v0
	v_lshlrev_b32_e32 v4, 7, v1
	v_xor_b32_e32 v26, v91, v5
	v_and_b32_e32 v22, 1, v0
	v_lshl_or_b32 v29, v87, 3, v4
	v_lshlrev_b32_e32 v26, 2, v26
	v_or_b32_e32 v97, 0x4000, v29
	v_or_b32_e32 v98, 0x6000, v29
	v_xor_b32_e32 v29, 0x440, v26
	v_cmp_eq_u32_e32 vcc, 0, v22
	v_lshlrev_b32_e32 v23, 2, v87
	v_or_b32_e32 v25, 16, v87
	v_cndmask_b32_e32 v22, v29, v26, vcc
	s_mov_b32 s61, 0x1000504
	v_xor_b32_e32 v27, v1, v23
	v_xor_b32_e32 v28, v90, v23
	v_lshl_or_b32 v30, v25, 3, v4
	v_lshl_or_b32 v5, v5, 10, v22
	s_mov_b32 s62, 0x3020706
	s_mul_i32 s20, s3, s12
	s_mul_hi_u32 s21, s50, s12
	v_lshlrev_b32_e32 v24, 8, v87
	v_lshlrev_b32_e32 v27, 1, v27
	;; [unrolled: 1-line block ×3, first 2 shown]
	v_or_b32_e32 v99, 0x4000, v30
	v_or_b32_e32 v100, 0x6000, v30
	v_xor_b32_e32 v22, 8, v5
	v_xor_b32_e32 v26, 24, v5
	;; [unrolled: 1-line block ×4, first 2 shown]
	v_or_b32_e32 v101, v24, v27
	v_or_b32_e32 v102, v24, v28
	v_xor_b32_e32 v24, 16, v5
	v_xor_b32_e32 v29, 32, v5
	;; [unrolled: 1-line block ×3, first 2 shown]
	v_add_u32_e32 v22, 0x80, v22
	v_add_u32_e32 v26, 0x80, v26
	;; [unrolled: 1-line block ×4, first 2 shown]
	s_add_i32 s63, s21, s20
	s_add_i32 s20, s47, s17
	s_mul_i32 s3, s3, s16
	s_add_i32 s37, s20, s3
	s_mul_i32 s3, s33, s19
	s_mul_hi_u32 s20, s33, s18
	s_add_i32 s3, s20, s3
	s_mul_i32 s20, s57, s18
	s_add_i32 s21, s3, s20
	s_lshl_b64 s[24:25], s[36:37], 2
	s_mul_i32 s20, s33, s18
	s_add_u32 s3, s10, s24
	s_addc_u32 s24, s11, s25
	s_lshl_b64 s[20:21], s[20:21], 2
	s_add_u32 s42, s3, s20
	s_movk_i32 s3, 0xf8
	s_addc_u32 s43, s24, s21
	s_lshl_b32 s26, s15, 7
	s_movk_i32 s24, 0x100
	v_mov_b32_e32 v79, 0
	v_lshlrev_b32_e32 v78, 4, v87
	s_mov_b32 s60, 0
	s_movk_i32 s22, 0x4000
	v_add_u32_e32 v134, v84, v34
	s_mov_b32 s37, 0x7060302
	s_movk_i32 s64, 0x2000
	s_movk_i32 s65, 0x3000
	v_mov_b32_e32 v144, 0x3fb8aa3b
	s_mov_b32 s67, 0
	s_waitcnt vmcnt(1)
	v_perm_b32 v33, v6, v14, s61
	s_waitcnt vmcnt(0)
	v_perm_b32 v35, v10, v18, s61
	v_perm_b32 v6, v6, v14, s62
	;; [unrolled: 1-line block ×15, first 2 shown]
	ds_write2st64_b32 v5, v33, v35 offset0:128 offset1:160
	ds_write2st64_b32 v22, v6, v10 offset0:128 offset1:160
	;; [unrolled: 1-line block ×8, first 2 shown]
	v_lshlrev_b32_e32 v5, 8, v25
	v_or_b32_e32 v103, v5, v27
	v_or_b32_e32 v104, v5, v28
	;; [unrolled: 1-line block ×3, first 2 shown]
	v_lshl_or_b32 v6, v5, 3, v4
	v_lshlrev_b32_e32 v5, 8, v5
	v_or_b32_e32 v107, v5, v27
	v_or_b32_e32 v108, v5, v28
	;; [unrolled: 1-line block ×5, first 2 shown]
	v_lshl_or_b32 v6, v5, 3, v4
	v_lshlrev_b32_e32 v5, 8, v5
	v_or_b32_e32 v111, v5, v27
	v_or_b32_e32 v112, v5, v28
	;; [unrolled: 1-line block ×3, first 2 shown]
	v_lshlrev_b32_e32 v5, 3, v5
	v_lshrrev_b32_e32 v7, 5, v85
	v_and_or_b32 v7, v5, s3, v7
	v_lshlrev_b32_e32 v7, 4, v7
	v_or_b32_e32 v109, 0x4000, v6
	v_or_b32_e32 v110, 0x6000, v6
	v_lshrrev_b32_e32 v6, 2, v85
	v_lshlrev_b32_e32 v11, 11, v77
	v_and_b32_e32 v5, 0x78, v5
	v_or_b32_e32 v13, 32, v7
	v_and_b32_e32 v10, 12, v6
	v_and_b32_e32 v6, 0x1000, v11
	v_lshrrev_b32_e32 v9, 1, v85
	v_xor_b32_e32 v13, v13, v5
	v_xor_b32_e32 v8, v7, v5
	v_and_b32_e32 v9, 8, v9
	v_or_b32_e32 v13, v13, v6
	v_or_b32_e32 v8, v8, v6
	v_lshlrev_b32_e32 v12, 8, v86
	v_xor_b32_e32 v115, v13, v9
	v_or_b32_e32 v13, 64, v7
	v_or_b32_e32 v7, 0x60, v7
	v_xor_b32_e32 v113, v8, v9
	v_or_b32_e32 v8, v12, v23
	v_xor_b32_e32 v13, v13, v5
	v_xor_b32_e32 v5, v7, v5
	s_ashr_i32 s3, s2, 31
	v_lshlrev_b32_e32 v8, 1, v8
	v_or_b32_e32 v13, v13, v6
	v_or_b32_e32 v5, v5, v6
	s_lshl_b64 s[20:21], s[2:3], 8
	v_lshlrev_b32_e32 v17, 2, v0
	v_or_b32_e32 v114, 0x4000, v8
	v_or_b32_e32 v116, 0x4080, v8
	;; [unrolled: 1-line block ×4, first 2 shown]
	v_xor_b32_e32 v119, v13, v9
	v_xor_b32_e32 v120, v5, v9
	v_or_b32_e32 v121, 0x6000, v8
	v_or_b32_e32 v122, 0x6080, v8
	;; [unrolled: 1-line block ×4, first 2 shown]
	v_lshlrev_b32_e32 v5, 1, v3
	v_add_lshl_u32 v3, v3, s15, 1
	v_or_b32_e32 v13, 0x100, v2
	s_waitcnt lgkmcnt(0)
	s_add_u32 s20, s38, s20
	v_lshlrev_b32_e32 v8, 1, v87
	v_lshrrev_b32_e32 v18, 1, v0
	v_and_or_b32 v12, v17, 60, v12
	v_lshrrev_b32_e32 v14, 4, v0
	s_addc_u32 s21, s39, s21
	v_or_b32_e32 v9, 1, v8
	v_and_b32_e32 v18, 24, v18
	v_lshlrev_b32_e32 v12, 1, v12
	v_cndmask_b32_e64 v131, v5, v2, s[0:1]
	v_cndmask_b32_e64 v132, v3, v13, s[0:1]
	v_mov_b32_e32 v3, 0xa000
	v_mov_b32_e32 v5, 0x8000
	v_cmp_gt_u32_e64 s[0:1], s24, v0
	v_xor_b32_e32 v15, v14, v8
	v_xor_b32_e32 v16, v9, v14
	v_lshl_add_u64 v[8:9], s[20:21], 0, v[78:79]
	v_lshlrev_b32_e32 v78, 8, v14
	v_or_b32_e32 v127, 0x6000, v12
	v_or_b32_e32 v17, 32, v18
	;; [unrolled: 1-line block ×6, first 2 shown]
	v_cndmask_b32_e64 v3, v3, v5, s[0:1]
	v_lshlrev_b32_e32 v5, 3, v77
	v_lshl_or_b32 v125, v15, 3, v78
	v_and_b32_e32 v15, 8, v0
	v_xor_b32_e32 v13, v5, v18
	v_xor_b32_e32 v17, v5, v17
	;; [unrolled: 1-line block ×3, first 2 shown]
	v_mov_b32_e32 v19, 0x400
	v_cmp_eq_u32_e32 vcc, 0, v15
	v_or_b32_e32 v18, 0x440, v13
	v_or_b32_e32 v20, 0x440, v17
	v_xor_b32_e32 v12, 0x440, v5
	v_and_b32_e32 v14, 7, v0
	v_cndmask_b32_e64 v15, v19, 64, vcc
	v_cndmask_b32_e32 v18, v18, v13, vcc
	v_cndmask_b32_e32 v17, v20, v17, vcc
	v_cndmask_b32_e32 v5, v12, v5, vcc
	v_lshl_or_b32 v126, v16, 3, v78
	v_lshlrev_b32_e32 v16, 3, v14
	v_or_b32_e32 v18, v18, v11
	v_or_b32_e32 v17, v17, v11
	v_or3_b32 v13, v11, v15, v13
	v_or_b32_e32 v5, v5, v11
	v_or_b32_e32 v6, s2, v87
	v_lshlrev_b32_e32 v14, 7, v14
	v_xor_b32_e32 v18, v18, v16
	v_xor_b32_e32 v17, v17, v16
	;; [unrolled: 1-line block ×4, first 2 shown]
	v_ashrrev_i32_e32 v7, 31, v6
	v_or_b32_e32 v2, v84, v10
	v_add_u32_e32 v19, v3, v18
	v_add_u32_e32 v20, v3, v17
	v_or_b32_e32 v133, v13, v14
	v_add_u32_e32 v11, v3, v5
	v_or3_b32 v10, v84, v10, 64
	v_add_u32_e32 v12, 0xa000, v18
	v_add_u32_e32 v13, 0xa000, v17
	;; [unrolled: 1-line block ×3, first 2 shown]
	v_lshl_add_u64 v[80:81], v[6:7], 1, s[8:9]
	v_lshl_add_u64 v[82:83], v[8:9], 0, v[78:79]
	s_add_i32 s3, s46, 63
	v_lshlrev_b32_e32 v78, 1, v4
	v_lshlrev_b32_e32 v135, 2, v2
	v_add_u32_e32 v136, v19, v14
	v_add_u32_e32 v137, v20, v14
	;; [unrolled: 1-line block ×4, first 2 shown]
	v_lshlrev_b32_e32 v140, 2, v10
	v_add_u32_e32 v141, v12, v14
	v_add_u32_e32 v142, v13, v14
	;; [unrolled: 1-line block ×3, first 2 shown]
	v_mov_b32_e32 v8, v79
	v_mov_b32_e32 v9, v79
	;; [unrolled: 1-line block ×32, first 2 shown]
	s_barrier
.LBB206_6:                              ; =>This Inner Loop Header: Depth=1
	s_add_i32 s66, s67, 1
	s_cmp_lt_i32 s66, s51
	s_mov_b64 s[24:25], 0
	s_cselect_b64 s[44:45], -1, 0
	s_cmp_ge_i32 s66, s51
	s_mov_b64 s[20:21], 0
	s_cbranch_scc1 .LBB206_8
; %bb.7:                                ;   in Loop: Header=BB206_6 Depth=1
	s_add_i32 s0, s60, 64
	s_add_u32 s0, s40, s0
	s_addc_u32 s1, s41, 0
	s_lshl_b64 s[0:1], s[0:1], 8
	s_add_u32 s20, s6, s0
	s_addc_u32 s21, s7, s1
.LBB206_8:                              ;   in Loop: Header=BB206_6 Depth=1
	v_cndmask_b32_e64 v34, 0, 1, s[44:45]
	v_cmp_ne_u32_e64 s[0:1], 1, v34
	s_andn2_b64 vcc, exec, s[44:45]
	s_cbranch_vccnz .LBB206_10
; %bb.9:                                ;   in Loop: Header=BB206_6 Depth=1
	s_add_i32 s24, s60, 64
	s_add_u32 s24, s46, s24
	s_addc_u32 s25, s63, 0
	s_mul_i32 s27, s24, s52
	s_mul_hi_u32 s44, s24, s56
	s_add_i32 s27, s44, s27
	s_mul_i32 s25, s25, s56
	s_add_i32 s27, s27, s25
	s_mul_i32 s24, s24, s56
	s_add_u32 s24, s24, s55
	s_addc_u32 s25, s27, s58
	s_lshl_b64 s[24:25], s[24:25], 8
	s_add_u32 s24, s4, s24
	s_addc_u32 s25, s5, s25
.LBB206_10:                             ;   in Loop: Header=BB206_6 Depth=1
	v_perm_b32 v35, v33, v32, s37
	v_perm_b32 v34, v31, v30, s37
	v_perm_b32 v37, v21, v20, s37
	v_perm_b32 v36, v19, v18, s37
	ds_write_b64 v97, v[34:35]
	ds_write_b64 v98, v[36:37]
	ds_write_b64 v101, v[34:35]
	ds_write_b64 v102, v[36:37]
	v_perm_b32 v35, v29, v28, s37
	v_perm_b32 v34, v27, v26, s37
	v_perm_b32 v37, v17, v16, s37
	v_perm_b32 v36, v15, v14, s37
	ds_write_b64 v99, v[34:35]
	ds_write_b64 v100, v[36:37]
	ds_write_b64 v103, v[34:35]
	ds_write_b64 v104, v[36:37]
	;; [unrolled: 8-line block ×4, first 2 shown]
	s_waitcnt lgkmcnt(0)
	s_barrier
	ds_read_b64 v[38:39], v113 offset:49152
	ds_read2_b64 v[34:37], v114 offset1:16
	ds_read_b64 v[50:51], v116 offset:6144
	ds_read_b64 v[52:53], v114 offset:6144
	s_waitcnt lgkmcnt(2)
	v_mfma_f32_16x16x16_bf16 a[0:3], v[38:39], v[34:35], 0
	ds_read_b64 v[54:55], v115 offset:49152
	ds_read2st64_b64 v[42:45], v117 offset0:4 offset1:8
	ds_read2st64_b64 v[46:49], v118 offset0:4 offset1:8
	v_mfma_f32_16x16x16_bf16 a[4:7], v[38:39], v[36:37], 0
	ds_read2_b64 v[34:37], v114 offset0:32 offset1:48
	s_add_i32 s27, s60, 63
	s_mul_i32 s44, s27, s35
	s_waitcnt lgkmcnt(0)
	v_mfma_f32_16x16x16_bf16 a[8:11], v[38:39], v[34:35], 0
	s_mul_hi_u32 s45, s27, s34
	s_add_i32 s45, s45, s44
	s_mul_i32 s44, s27, s34
	v_mfma_f32_16x16x16_bf16 a[12:15], v[38:39], v[36:37], 0
	ds_read2st64_b64 v[34:37], v114 offset0:4 offset1:8
	ds_read2st64_b64 v[38:41], v116 offset0:4 offset1:8
	s_lshl_b64 s[44:45], s[44:45], 2
	s_waitcnt lgkmcnt(1)
	v_mfma_f32_16x16x16_bf16 a[0:3], v[54:55], v[34:35], a[0:3]
	s_add_u32 s44, s42, s44
	s_addc_u32 s45, s43, s45
	s_and_b64 vcc, exec, s[0:1]
	s_waitcnt lgkmcnt(0)
	v_mfma_f32_16x16x16_bf16 a[4:7], v[54:55], v[38:39], a[4:7]
	v_mov_b32_e32 v147, 0
	v_mov_b32_e32 v146, 0
	;; [unrolled: 1-line block ×3, first 2 shown]
	v_mfma_f32_16x16x16_bf16 a[8:11], v[54:55], v[42:43], a[8:11]
	ds_read_b64 v[34:35], v119 offset:49152
	ds_read_b64 v[38:39], v120 offset:49152
	;; [unrolled: 1-line block ×3, first 2 shown]
	v_mfma_f32_16x16x16_bf16 a[12:15], v[54:55], v[46:47], a[12:15]
	v_mov_b32_e32 v46, 0
	v_mov_b32_e32 v47, 0
	s_waitcnt lgkmcnt(2)
	v_mfma_f32_16x16x16_bf16 a[0:3], v[34:35], v[36:37], a[0:3]
	v_mov_b32_e32 v36, 0
	v_mov_b32_e32 v37, 0
	v_mfma_f32_16x16x16_bf16 a[16:19], v[34:35], v[40:41], a[4:7]
	v_mov_b32_e32 v40, 0
	v_mov_b32_e32 v41, 0
	;; [unrolled: 3-line block ×3, first 2 shown]
	v_mfma_f32_16x16x16_bf16 a[24:27], v[34:35], v[48:49], a[12:15]
	ds_read_b64 v[34:35], v117 offset:6144
	v_mov_b32_e32 v48, 0
	v_mov_b32_e32 v49, 0
	s_waitcnt lgkmcnt(2)
	v_mfma_f32_16x16x16_bf16 a[4:7], v[38:39], v[52:53], a[0:3]
	v_mfma_f32_16x16x16_bf16 a[8:11], v[38:39], v[50:51], a[16:19]
	s_waitcnt lgkmcnt(0)
	v_mfma_f32_16x16x16_bf16 a[12:15], v[38:39], v[34:35], a[20:23]
	v_mov_b32_e32 v34, 0
	v_mov_b32_e32 v35, 0
	v_mfma_f32_16x16x16_bf16 a[0:3], v[38:39], v[42:43], a[24:27]
	v_mov_b32_e32 v38, 0
	v_mov_b32_e32 v39, 0
	;; [unrolled: 1-line block ×4, first 2 shown]
	s_cbranch_vccnz .LBB206_12
; %bb.11:                               ;   in Loop: Header=BB206_6 Depth=1
	s_and_b32 s21, s21, 0xffff
	buffer_load_dwordx4 v[46:49], v93, s[20:23], 0 offen
	buffer_load_dwordx4 v[42:45], v93, s[20:23], s59 offen
	buffer_load_dwordx4 v[38:41], v94, s[20:23], 0 offen
	buffer_load_dwordx4 v[34:37], v94, s[20:23], s59 offen
	v_mov_b32_e32 v146, v95
	v_mov_b32_e32 v145, v96
.LBB206_12:                             ;   in Loop: Header=BB206_6 Depth=1
	ds_read_b64 v[66:67], v113 offset:57344
	ds_read2_b64 v[50:53], v121 offset1:16
	ds_read_b64 v[68:69], v115 offset:57344
	ds_read_b64 v[70:71], v119 offset:57344
	;; [unrolled: 1-line block ×3, first 2 shown]
	v_add_u32_e32 v74, s60, v134
	s_waitcnt lgkmcnt(3)
	v_mfma_f32_16x16x16_bf16 a[4:7], v[66:67], v[50:51], a[4:7]
	v_mfma_f32_16x16x16_bf16 a[8:11], v[66:67], v[52:53], a[8:11]
	ds_read2_b64 v[50:53], v121 offset0:32 offset1:48
	ds_read2st64_b64 v[54:57], v121 offset0:4 offset1:8
	ds_read2st64_b64 v[58:61], v122 offset0:4 offset1:8
	;; [unrolled: 1-line block ×3, first 2 shown]
	s_waitcnt lgkmcnt(3)
	v_mfma_f32_16x16x16_bf16 a[12:15], v[66:67], v[50:51], a[12:15]
	v_ashrrev_i32_e32 v50, 31, v74
	v_mfma_f32_16x16x16_bf16 a[0:3], v[66:67], v[52:53], a[0:3]
	v_mul_lo_u32 v52, v50, s34
	v_mul_lo_u32 v53, v74, s35
	v_mad_u64_u32 v[50:51], s[20:21], v74, s34, 0
	v_add3_u32 v51, v51, v53, v52
	v_add_u32_e32 v52, 1, v74
	v_ashrrev_i32_e32 v53, 31, v52
	s_waitcnt lgkmcnt(2)
	v_mfma_f32_16x16x16_bf16 a[4:7], v[68:69], v[54:55], a[4:7]
	v_mul_lo_u32 v54, v53, s34
	v_mul_lo_u32 v55, v52, s35
	v_mad_u64_u32 v[52:53], s[20:21], v52, s34, 0
	v_add3_u32 v53, v53, v55, v54
	v_add_u32_e32 v54, 2, v74
	v_ashrrev_i32_e32 v55, 31, v54
	s_waitcnt lgkmcnt(1)
	v_mfma_f32_16x16x16_bf16 a[8:11], v[68:69], v[58:59], a[8:11]
	v_mul_lo_u32 v58, v55, s34
	v_mul_lo_u32 v59, v54, s35
	v_mad_u64_u32 v[54:55], s[20:21], v54, s34, 0
	v_lshl_add_u64 v[50:51], v[50:51], 2, s[42:43]
	v_add3_u32 v55, v55, v59, v58
	v_add_u32_e32 v58, 3, v74
	v_ashrrev_i32_e32 v59, 31, v58
	global_load_dword v67, v[50:51], off
	v_mad_u64_u32 v[50:51], s[20:21], v58, s34, 0
	v_mul_lo_u32 v59, v59, s34
	v_mul_lo_u32 v66, v58, s35
	s_add_u32 s20, s40, s60
	v_add3_u32 v51, v51, v66, v59
	s_addc_u32 s21, s41, 0
	v_lshl_add_u64 v[52:53], v[52:53], 2, s[42:43]
	v_lshl_add_u64 v[54:55], v[54:55], 2, s[42:43]
	;; [unrolled: 1-line block ×3, first 2 shown]
	s_lshl_b64 s[20:21], s[20:21], 8
	global_load_dword v66, v[52:53], off
	global_load_dword v74, v[54:55], off
	;; [unrolled: 1-line block ×3, first 2 shown]
	v_lshl_add_u64 v[50:51], v[80:81], 0, s[20:21]
	v_lshl_add_u64 v[54:55], v[50:51], 0, v[78:79]
	global_load_ushort v76, v[54:55], off offset:256
	global_load_ushort v148, v[54:55], off
	ds_read2st64_b64 v[50:53], v124 offset0:4 offset1:8
	global_load_ushort v149, v[54:55], off offset:768
	global_load_ushort v150, v[54:55], off offset:512
	s_waitcnt lgkmcnt(1)
	v_mfma_f32_16x16x16_bf16 a[12:15], v[68:69], v[62:63], a[12:15]
	s_and_b64 vcc, exec, s[0:1]
	s_waitcnt vmcnt(3)
	v_lshlrev_b32_e32 v63, 16, v76
	s_waitcnt lgkmcnt(0)
	v_mfma_f32_16x16x16_bf16 a[0:3], v[68:69], v[50:51], a[0:3]
	global_load_ushort v68, v[54:55], off offset:288
	global_load_ushort v69, v[54:55], off offset:32
	;; [unrolled: 1-line block ×8, first 2 shown]
	v_mfma_f32_16x16x16_bf16 a[4:7], v[70:71], v[56:57], a[4:7]
	ds_read_b64 v[50:51], v121 offset:6144
	s_waitcnt vmcnt(10)
	v_lshlrev_b32_e32 v62, 16, v148
	v_mov_b32_e32 v148, 0
	v_mfma_f32_16x16x16_bf16 a[8:11], v[70:71], v[60:61], a[8:11]
	v_mfma_f32_16x16x16_bf16 a[12:15], v[70:71], v[64:65], a[12:15]
	;; [unrolled: 1-line block ×3, first 2 shown]
	global_load_ushort v70, v[54:55], off offset:352
	global_load_ushort v71, v[54:55], off offset:96
	ds_read_b64 v[52:53], v122 offset:6144
	ds_read_b64 v[56:57], v123 offset:6144
	;; [unrolled: 1-line block ×3, first 2 shown]
	global_load_ushort v157, v[54:55], off offset:864
	global_load_ushort v158, v[54:55], off offset:608
	s_load_dword s20, s[44:45], 0x0
	s_waitcnt lgkmcnt(0)
	v_mfma_f32_16x16x16_bf16 a[4:7], v[72:73], v[50:51], a[4:7]
	v_sub_f32_e32 v60, s20, v74
	v_mfma_f32_16x16x16_bf16 a[0:3], v[72:73], v[58:59], a[0:3]
	v_sub_f32_e32 v58, s20, v67
	v_sub_f32_e32 v59, s20, v66
	v_sub_f32_e32 v61, s20, v75
	v_mul_f32_e32 v58, 0x3fb8aa3b, v58
	v_mul_f32_e32 v59, 0x3fb8aa3b, v59
	;; [unrolled: 1-line block ×4, first 2 shown]
	v_mfma_f32_16x16x16_bf16 a[8:11], v[72:73], v[52:53], a[8:11]
	v_exp_f32_e32 v58, v58
	v_exp_f32_e32 v59, v59
	;; [unrolled: 1-line block ×4, first 2 shown]
	v_accvgpr_read_b32 v65, a5
	v_accvgpr_read_b32 v64, a4
	;; [unrolled: 1-line block ×4, first 2 shown]
	v_pk_add_f32 v[62:63], v[62:63], v[64:65] neg_lo:[0,1] neg_hi:[0,1]
	s_waitcnt vmcnt(13)
	v_lshlrev_b32_e32 v65, 16, v149
	s_waitcnt vmcnt(12)
	v_lshlrev_b32_e32 v64, 16, v150
	v_pk_add_f32 v[50:51], v[64:65], v[50:51] neg_lo:[0,1] neg_hi:[0,1]
	v_pk_mul_f32 v[62:63], v[58:59], v[62:63]
	v_pk_mul_f32 v[50:51], v[60:61], v[50:51]
	v_accvgpr_read_b32 v65, a9
	v_perm_b32 v51, v51, v50, s37
	v_perm_b32 v50, v63, v62, s37
	v_accvgpr_read_b32 v64, a8
	v_accvgpr_read_b32 v53, a11
	v_mfma_f32_16x16x16_bf16 a[12:15], v[72:73], v[56:57], a[12:15]
	v_accvgpr_read_b32 v52, a10
	v_accvgpr_read_b32 v57, a3
	v_accvgpr_read_b32 v56, a2
	s_waitcnt vmcnt(11)
	v_lshlrev_b32_e32 v63, 16, v68
	s_waitcnt vmcnt(10)
	v_lshlrev_b32_e32 v62, 16, v69
	v_pk_add_f32 v[62:63], v[62:63], v[64:65] neg_lo:[0,1] neg_hi:[0,1]
	s_waitcnt vmcnt(9)
	v_lshlrev_b32_e32 v65, 16, v151
	s_waitcnt vmcnt(8)
	v_lshlrev_b32_e32 v64, 16, v152
	v_pk_add_f32 v[52:53], v[64:65], v[52:53] neg_lo:[0,1] neg_hi:[0,1]
	v_pk_mul_f32 v[62:63], v[58:59], v[62:63]
	v_pk_mul_f32 v[52:53], v[60:61], v[52:53]
	v_accvgpr_read_b32 v55, a15
	v_perm_b32 v53, v53, v52, s37
	v_perm_b32 v52, v63, v62, s37
	ds_write2_b64 v98, v[50:51], v[52:53] offset1:16
	v_accvgpr_read_b32 v53, a13
	s_waitcnt vmcnt(7)
	v_lshlrev_b32_e32 v51, 16, v153
	s_waitcnt vmcnt(6)
	v_lshlrev_b32_e32 v50, 16, v154
	v_accvgpr_read_b32 v52, a12
	v_accvgpr_read_b32 v54, a14
	v_pk_add_f32 v[50:51], v[50:51], v[52:53] neg_lo:[0,1] neg_hi:[0,1]
	s_waitcnt vmcnt(5)
	v_lshlrev_b32_e32 v53, 16, v155
	s_waitcnt vmcnt(4)
	v_lshlrev_b32_e32 v52, 16, v156
	v_pk_add_f32 v[52:53], v[52:53], v[54:55] neg_lo:[0,1] neg_hi:[0,1]
	v_pk_mul_f32 v[50:51], v[58:59], v[50:51]
	v_pk_mul_f32 v[52:53], v[60:61], v[52:53]
	v_accvgpr_read_b32 v55, a1
	v_perm_b32 v53, v53, v52, s37
	v_perm_b32 v52, v51, v50, s37
	s_waitcnt vmcnt(3)
	v_lshlrev_b32_e32 v51, 16, v70
	s_waitcnt vmcnt(2)
	v_lshlrev_b32_e32 v50, 16, v71
	v_accvgpr_read_b32 v54, a0
	v_pk_add_f32 v[50:51], v[50:51], v[54:55] neg_lo:[0,1] neg_hi:[0,1]
	s_waitcnt vmcnt(1)
	v_lshlrev_b32_e32 v55, 16, v157
	s_waitcnt vmcnt(0)
	v_lshlrev_b32_e32 v54, 16, v158
	v_pk_add_f32 v[54:55], v[54:55], v[56:57] neg_lo:[0,1] neg_hi:[0,1]
	v_pk_mul_f32 v[50:51], v[58:59], v[50:51]
	v_pk_mul_f32 v[54:55], v[60:61], v[54:55]
	v_mov_b32_e32 v56, 0
	v_perm_b32 v55, v55, v54, s37
	v_perm_b32 v54, v51, v50, s37
	ds_write2_b64 v98, v[52:53], v[54:55] offset0:32 offset1:48
	v_mov_b32_e32 v50, 0
	v_mov_b32_e32 v51, 0
	;; [unrolled: 1-line block ×15, first 2 shown]
	s_cbranch_vccnz .LBB206_14
; %bb.13:                               ;   in Loop: Header=BB206_6 Depth=1
	s_and_b32 s25, s25, 0xffff
	s_mov_b32 s27, s23
	buffer_load_dwordx4 v[62:65], v131, s[24:27], 0 offen
	buffer_load_dwordx4 v[54:57], v131, s[24:27], s59 offen
	;; [unrolled: 1-line block ×4, first 2 shown]
	v_mov_b32_e32 v147, v92
	v_mov_b32_e32 v148, v91
.LBB206_14:                             ;   in Loop: Header=BB206_6 Depth=1
	s_waitcnt lgkmcnt(0)
	s_barrier
	ds_read_b64 v[74:75], v136
	ds_read2_b64 v[66:69], v127 offset1:16
	ds_read_b64 v[166:167], v137
	ds_read_b64 v[168:169], v138
	;; [unrolled: 1-line block ×3, first 2 shown]
	ds_read2_b64 v[70:73], v127 offset0:32 offset1:48
	ds_read2st64_b64 v[150:153], v127 offset0:4 offset1:8
	ds_read2st64_b64 v[154:157], v128 offset0:4 offset1:8
	;; [unrolled: 1-line block ×4, first 2 shown]
	s_waitcnt lgkmcnt(8)
	v_mfma_f32_16x16x16_bf16 a[0:3], v[74:75], v[66:67], 0
	s_add_i32 s21, s53, s67
	s_mul_hi_i32 s25, s21, s13
	s_mul_i32 s21, s21, s13
	v_mfma_f32_16x16x16_bf16 a[4:7], v[74:75], v[68:69], 0
	s_add_u32 s24, s21, s33
	s_addc_u32 s25, s25, s57
	s_add_i32 s21, s3, s60
	s_waitcnt lgkmcnt(4)
	v_mfma_f32_16x16x16_bf16 a[8:11], v[74:75], v[70:71], 0
	s_lshl_b64 s[24:25], s[24:25], 15
	s_mul_hi_i32 s27, s21, s13
	s_mul_i32 s21, s21, s13
	v_mfma_f32_16x16x16_bf16 a[12:15], v[74:75], v[72:73], 0
	ds_read_b64 v[74:75], v127 offset:6144
	ds_read_b64 v[178:179], v128 offset:6144
	;; [unrolled: 1-line block ×4, first 2 shown]
	s_add_u32 s44, s21, s33
	s_waitcnt lgkmcnt(7)
	v_mfma_f32_16x16x16_bf16 a[0:3], v[166:167], v[150:151], a[0:3]
	s_addc_u32 s45, s27, s57
	s_lshl_b64 s[44:45], s[44:45], 9
	s_add_u32 s44, s30, s44
	s_waitcnt lgkmcnt(6)
	v_mfma_f32_16x16x16_bf16 a[4:7], v[166:167], v[154:155], a[4:7]
	s_addc_u32 s45, s31, s45
	v_lshl_add_u64 v[188:189], v[82:83], 0, s[24:25]
	s_waitcnt lgkmcnt(5)
	v_mfma_f32_16x16x16_bf16 a[8:11], v[166:167], v[158:159], a[8:11]
	s_waitcnt lgkmcnt(4)
	v_mfma_f32_16x16x16_bf16 a[12:15], v[166:167], v[162:163], a[12:15]
	ds_read_b64 v[166:167], v141
	ds_read_b64 v[176:177], v142
	;; [unrolled: 1-line block ×3, first 2 shown]
	s_waitcnt lgkmcnt(2)
	v_mfma_f32_16x16x16_bf16 a[16:19], v[166:167], v[66:67], 0
	v_mfma_f32_16x16x16_bf16 a[20:23], v[166:167], v[68:69], 0
	global_load_dwordx4 v[66:69], v140, s[44:45]
	v_mfma_f32_16x16x16_bf16 a[24:27], v[166:167], v[70:71], 0
	v_mfma_f32_16x16x16_bf16 a[28:31], v[166:167], v[72:73], 0
	global_load_dwordx4 v[70:73], v135, s[44:45]
	v_mfma_f32_16x16x16_bf16 a[0:3], v[168:169], v[152:153], a[0:3]
	v_mfma_f32_16x16x16_bf16 a[4:7], v[168:169], v[156:157], a[4:7]
	;; [unrolled: 1-line block ×8, first 2 shown]
	ds_read2st64_b64 v[166:169], v125 offset1:8
	ds_read2st64_b64 v[170:173], v126 offset1:8
	ds_read_b64 v[186:187], v133 offset:40960
	s_waitcnt lgkmcnt(2)
	v_mov_b32_e32 v174, v166
	v_mfma_f32_16x16x16_bf16 a[16:19], v[176:177], v[150:151], a[16:19]
	v_mov_b32_e32 v175, v167
	v_mfma_f32_16x16x16_bf16 a[20:23], v[176:177], v[154:155], a[20:23]
	v_mfma_f32_16x16x16_bf16 a[24:27], v[176:177], v[158:159], a[24:27]
	;; [unrolled: 1-line block ×3, first 2 shown]
	v_add_co_u32_e32 v162, vcc, s64, v188
	s_waitcnt lgkmcnt(1)
	v_mov_b32_e32 v176, v170
	s_waitcnt lgkmcnt(0)
	v_mfma_f32_16x16x16_bf16 a[16:19], v[186:187], v[152:153], a[16:19]
	ds_read2st64_b64 v[150:153], v125 offset0:16 offset1:24
	v_addc_co_u32_e32 v163, vcc, 0, v189, vcc
	v_mfma_f32_16x16x16_bf16 a[20:23], v[186:187], v[156:157], a[20:23]
	ds_read2st64_b64 v[154:157], v126 offset0:16 offset1:24
	v_mov_b32_e32 v177, v171
	v_mov_b32_e32 v170, v168
	v_mfma_f32_16x16x16_bf16 a[32:35], v[186:187], v[160:161], a[24:27]
	v_mov_b32_e32 v171, v169
	s_waitcnt lgkmcnt(0)
	v_mov_b32_e32 v160, v154
	v_mov_b32_e32 v161, v155
	v_mfma_f32_16x16x16_bf16 a[36:39], v[186:187], v[164:165], a[28:31]
	v_mov_b32_e32 v154, v152
	v_mov_b32_e32 v155, v153
	;; [unrolled: 1-line block ×3, first 2 shown]
	v_mfma_f32_16x16x16_bf16 a[24:27], v[184:185], v[74:75], a[16:19]
	v_add_co_u32_e32 v74, vcc, s65, v188
	v_mov_b32_e32 v159, v151
	v_mfma_f32_16x16x16_bf16 a[28:31], v[184:185], v[178:179], a[20:23]
	v_addc_co_u32_e32 v75, vcc, 0, v189, vcc
	global_store_dwordx4 v[74:75], v[154:157], off
	v_mfma_f32_16x16x16_bf16 a[16:19], v[184:185], v[180:181], a[32:35]
	s_waitcnt vmcnt(2)
	v_mov_b32_e32 v76, v69
	v_mov_b32_e32 v75, v68
	;; [unrolled: 1-line block ×3, first 2 shown]
	v_mfma_f32_16x16x16_bf16 a[20:23], v[184:185], v[182:183], a[36:39]
	s_and_b64 vcc, exec, s[0:1]
	global_store_dwordx4 v[188:189], v[174:177], off
	global_store_dwordx4 v[162:163], v[170:173], off offset:-4096
	global_store_dwordx4 v[162:163], v[158:161], off
	s_cbranch_vccnz .LBB206_16
; %bb.15:                               ;   in Loop: Header=BB206_6 Depth=1
	v_lshrrev_b32_e32 v67, 3, v147
	v_and_b32_e32 v67, 6, v67
	v_xor_b32_e32 v68, v67, v148
	v_lshlrev_b32_e32 v68, 2, v68
	v_and_b32_e32 v69, 8, v147
	v_xor_b32_e32 v147, 0x440, v68
	v_cmp_eq_u32_e32 vcc, 0, v69
	v_perm_b32 v69, v54, v50, s61
	s_nop 0
	v_cndmask_b32_e32 v68, v147, v68, vcc
	v_lshl_or_b32 v67, v67, 10, v68
	v_perm_b32 v68, v62, v58, s61
	s_barrier
	ds_write2st64_b32 v67, v68, v69 offset0:128 offset1:160
	v_xor_b32_e32 v68, 8, v67
	v_perm_b32 v58, v62, v58, s62
	v_perm_b32 v50, v54, v50, s62
	v_add_u32_e32 v54, 0x80, v68
	ds_write2st64_b32 v54, v58, v50 offset0:128 offset1:160
	v_xor_b32_e32 v50, 16, v67
	v_perm_b32 v54, v63, v59, s61
	v_perm_b32 v58, v55, v51, s61
	ds_write2st64_b32 v50, v54, v58 offset0:129 offset1:161
	v_xor_b32_e32 v50, 24, v67
	v_perm_b32 v54, v63, v59, s62
	v_perm_b32 v51, v55, v51, s62
	v_add_u32_e32 v50, 0x80, v50
	ds_write2st64_b32 v50, v54, v51 offset0:129 offset1:161
	v_xor_b32_e32 v50, 32, v67
	v_perm_b32 v51, v64, v60, s61
	v_perm_b32 v54, v56, v52, s61
	;; [unrolled: 9-line block ×3, first 2 shown]
	ds_write2st64_b32 v50, v51, v52 offset0:131 offset1:163
	v_xor_b32_e32 v50, 56, v67
	v_perm_b32 v51, v65, v61, s62
	v_perm_b32 v52, v57, v53, s62
	v_add_u32_e32 v50, 0x80, v50
	ds_write2st64_b32 v50, v51, v52 offset0:131 offset1:163
	ds_write_b64 v146, v[46:47] offset:49152
	v_xor_b32_e32 v46, 8, v146
	ds_write_b64 v46, v[48:49] offset:49152
	ds_write_b64 v146, v[42:43] offset:57344
	;; [unrolled: 1-line block ×4, first 2 shown]
	v_xor_b32_e32 v38, 8, v145
	ds_write_b64 v38, v[40:41] offset:49152
	ds_write_b64 v145, v[34:35] offset:57344
	;; [unrolled: 1-line block ×3, first 2 shown]
.LBB206_16:                             ;   in Loop: Header=BB206_6 Depth=1
	v_mul_f32_e32 v58, s20, v144
	v_exp_f32_e32 v68, v58
	s_waitcnt vmcnt(4)
	v_mul_f32_e32 v58, 0x3fb8aa3b, v70
	v_exp_f32_e32 v70, v58
	v_mul_f32_e32 v58, 0x3fb8aa3b, v71
	v_exp_f32_e32 v71, v58
	;; [unrolled: 2-line block ×4, first 2 shown]
	v_accvgpr_read_b32 v37, a3
	v_accvgpr_read_b32 v36, a2
	;; [unrolled: 1-line block ×4, first 2 shown]
	v_pk_mul_f32 v[70:71], v[68:69], v[70:71] op_sel_hi:[0,1]
	v_pk_mul_f32 v[72:73], v[68:69], v[72:73] op_sel_hi:[0,1]
	v_pk_fma_f32 v[30:31], v[30:31], v[70:71], v[34:35]
	v_pk_fma_f32 v[32:33], v[32:33], v[72:73], v[36:37]
	v_mul_f32_e32 v34, 0x3fb8aa3b, v66
	v_mul_f32_e32 v35, 0x3fb8aa3b, v74
	;; [unrolled: 1-line block ×4, first 2 shown]
	v_exp_f32_e32 v34, v34
	v_exp_f32_e32 v35, v35
	;; [unrolled: 1-line block ×4, first 2 shown]
	v_accvgpr_read_b32 v41, a7
	v_accvgpr_read_b32 v45, a11
	v_accvgpr_read_b32 v49, a15
	v_accvgpr_read_b32 v53, a27
	v_accvgpr_read_b32 v57, a31
	v_accvgpr_read_b32 v61, a19
	v_accvgpr_read_b32 v65, a23
	v_accvgpr_read_b32 v40, a6
	v_accvgpr_read_b32 v39, a5
	v_accvgpr_read_b32 v38, a4
	v_accvgpr_read_b32 v44, a10
	v_accvgpr_read_b32 v43, a9
	v_accvgpr_read_b32 v42, a8
	v_accvgpr_read_b32 v48, a14
	v_accvgpr_read_b32 v47, a13
	v_accvgpr_read_b32 v46, a12
	v_accvgpr_read_b32 v52, a26
	v_accvgpr_read_b32 v51, a25
	v_accvgpr_read_b32 v50, a24
	v_accvgpr_read_b32 v56, a30
	v_accvgpr_read_b32 v55, a29
	v_accvgpr_read_b32 v54, a28
	v_accvgpr_read_b32 v60, a18
	v_accvgpr_read_b32 v59, a17
	v_accvgpr_read_b32 v58, a16
	v_accvgpr_read_b32 v64, a22
	v_accvgpr_read_b32 v63, a21
	v_accvgpr_read_b32 v62, a20
	v_pk_mul_f32 v[34:35], v[68:69], v[34:35] op_sel_hi:[0,1]
	v_pk_mul_f32 v[36:37], v[68:69], v[36:37] op_sel_hi:[0,1]
	s_add_i32 s60, s60, 64
	v_pk_fma_f32 v[26:27], v[70:71], v[26:27], v[38:39]
	v_pk_fma_f32 v[28:29], v[72:73], v[28:29], v[40:41]
	;; [unrolled: 1-line block ×13, first 2 shown]
	s_cmp_eq_u32 s51, s66
	v_pk_fma_f32 v[8:9], v[36:37], v[8:9], v[64:65]
	s_cbranch_scc1 .LBB206_18
; %bb.17:                               ;   in Loop: Header=BB206_6 Depth=1
	s_mov_b32 s67, s66
	s_branch .LBB206_6
.LBB206_18:
	s_lshl_b32 s44, s51, 6
	s_sub_i32 s45, s12, s44
	s_cmp_gt_i32 s45, 0
	v_or_b32_e32 v50, s2, v87
	s_cbranch_scc1 .LBB206_20
; %bb.19:
	s_ashr_i32 s0, s33, 31
	s_add_u32 s24, s48, s33
	s_addc_u32 s25, s54, s0
	v_or_b32_e32 v34, s2, v87
	s_cbranch_execz .LBB206_21
	s_branch .LBB206_101
.LBB206_20:
                                        ; implicit-def: $sgpr24_sgpr25
                                        ; implicit-def: $vgpr34
.LBB206_21:
	s_ashr_i32 s37, s50, 31
	s_ashr_i32 s3, s44, 31
	s_cmpk_lg_i32 s15, 0x80
	s_cselect_b64 s[40:41], -1, 0
	s_and_b64 vcc, exec, s[40:41]
	s_cbranch_vccz .LBB206_23
; %bb.22:
	s_mul_hi_i32 s0, s50, s12
	s_add_u32 s1, s46, s44
	s_addc_u32 s0, s0, s3
	s_mul_i32 s20, s1, s52
	s_mul_hi_u32 s21, s1, s14
	s_add_i32 s20, s21, s20
	s_mul_i32 s0, s0, s14
	s_add_i32 s20, s20, s0
	s_mul_i32 s1, s1, s14
	s_ashr_i32 s0, s55, 31
	s_add_u32 s42, s1, s55
	s_addc_u32 s43, s20, s0
	s_cbranch_execz .LBB206_24
	s_branch .LBB206_25
.LBB206_23:
                                        ; implicit-def: $sgpr42_sgpr43
.LBB206_24:
	s_mul_hi_i32 s0, s50, s14
	s_mul_i32 s50, s50, s14
	s_ashr_i32 s1, s55, 31
	s_add_u32 s14, s50, s55
	s_addc_u32 s0, s0, s1
	s_mul_i32 s1, s14, s49
	s_mul_hi_u32 s20, s14, s12
	s_add_i32 s1, s20, s1
	s_mul_i32 s0, s0, s12
	s_add_i32 s1, s1, s0
	s_mul_i32 s14, s14, s12
	s_add_u32 s42, s14, s44
	s_addc_u32 s43, s1, s3
.LBB206_25:
	s_add_i32 s20, s53, s51
	s_ashr_i32 s14, s33, 31
	s_add_u32 s24, s48, s33
	s_addc_u32 s25, s54, s14
	s_mul_i32 s0, s24, s49
	s_mul_hi_u32 s1, s24, s12
	s_add_i32 s0, s1, s0
	s_mul_i32 s1, s25, s12
	s_add_i32 s1, s0, s1
	s_mul_i32 s0, s24, s12
	s_add_u32 s0, s0, s44
	v_lshlrev_b32_e32 v38, 6, v1
	v_lshlrev_b32_e32 v59, 2, v87
	s_addc_u32 s1, s1, s3
	s_mov_b32 s3, 0x7060302
	v_or_b32_e32 v41, v38, v59
	v_xor_b32_e32 v39, v1, v59
	v_perm_b32 v35, v33, v32, s3
	v_perm_b32 v34, v31, v30, s3
	;; [unrolled: 1-line block ×4, first 2 shown]
	v_lshlrev_b32_e32 v41, 1, v41
	v_xor_b32_e32 v40, v90, v59
	ds_write2st64_b64 v41, v[34:35], v[36:37] offset0:32 offset1:48
	v_lshlrev_b32_e32 v39, 1, v39
	v_lshlrev_b32_e32 v41, 8, v87
	v_or_b32_e32 v42, v39, v41
	v_lshlrev_b32_e32 v40, 1, v40
	ds_write_b64 v42, v[34:35]
	v_or_b32_e32 v34, v40, v41
	v_or_b32_e32 v41, 16, v87
	v_lshlrev_b32_e32 v57, 2, v41
	v_or_b32_e32 v42, v38, v57
	ds_write_b64 v34, v[36:37]
	v_perm_b32 v35, v29, v28, s3
	v_perm_b32 v34, v27, v26, s3
	;; [unrolled: 1-line block ×4, first 2 shown]
	v_lshlrev_b32_e32 v42, 1, v42
	v_lshlrev_b32_e32 v41, 8, v41
	ds_write2st64_b64 v42, v[34:35], v[36:37] offset0:32 offset1:48
	v_or_b32_e32 v42, v39, v41
	ds_write_b64 v42, v[34:35]
	v_or_b32_e32 v34, v40, v41
	v_or_b32_e32 v41, 32, v87
	v_lshlrev_b32_e32 v56, 2, v41
	v_or_b32_e32 v42, v38, v56
	ds_write_b64 v34, v[36:37]
	v_perm_b32 v35, v25, v24, s3
	v_perm_b32 v34, v23, v22, s3
	;; [unrolled: 1-line block ×4, first 2 shown]
	v_lshlrev_b32_e32 v42, 1, v42
	v_lshlrev_b32_e32 v41, 8, v41
	s_lshl_b64 s[26:27], s[0:1], 8
	ds_write2st64_b64 v42, v[34:35], v[36:37] offset0:32 offset1:48
	v_or_b32_e32 v42, v39, v41
	s_add_u32 s0, s6, s26
	ds_write_b64 v42, v[34:35]
	v_or_b32_e32 v34, v40, v41
	s_addc_u32 s1, s7, s27
	ds_write_b64 v34, v[36:37]
	v_perm_b32 v35, v5, v4, s3
	v_perm_b32 v34, v3, v2, s3
	;; [unrolled: 1-line block ×4, first 2 shown]
	v_or_b32_e32 v41, 48, v87
	s_mul_hi_i32 s3, s20, s13
	s_mul_i32 s20, s20, s13
	v_lshlrev_b32_e32 v53, 2, v41
	s_add_u32 s6, s20, s33
	v_or_b32_e32 v38, v38, v53
	s_addc_u32 s7, s3, s14
	v_lshlrev_b32_e32 v38, 1, v38
	s_ashr_i32 s3, s2, 31
	s_lshl_b64 s[6:7], s[6:7], 15
	ds_write2st64_b64 v38, v[34:35], v[36:37] offset0:32 offset1:48
	v_lshlrev_b32_e32 v38, 8, v41
	s_waitcnt lgkmcnt(0)
	s_add_u32 s6, s38, s6
	v_or_b32_e32 v39, v39, v38
	s_addc_u32 s7, s39, s7
	s_lshl_b64 s[2:3], s[2:3], 8
	ds_write_b64 v39, v[34:35]
	v_or_b32_e32 v34, v40, v38
	s_add_u32 s2, s6, s2
	v_lshlrev_b32_e32 v35, 1, v87
	ds_write_b64 v34, v[36:37]
	v_lshrrev_b32_e32 v34, 4, v0
	s_addc_u32 s3, s7, s3
	v_or_b32_e32 v36, 1, v35
	v_lshlrev_b32_e32 v42, 4, v87
	v_mov_b32_e32 v43, 0
	v_xor_b32_e32 v35, v34, v35
	v_xor_b32_e32 v38, v36, v34
	v_lshl_add_u64 v[44:45], s[2:3], 0, v[42:43]
	v_lshlrev_b32_e32 v42, 8, v34
	v_lshl_or_b32 v48, v35, 3, v42
	v_lshl_or_b32 v49, v38, 3, v42
	s_waitcnt lgkmcnt(0)
	s_barrier
	ds_read2st64_b64 v[34:37], v48 offset1:8
	ds_read2st64_b64 v[38:41], v49 offset1:8
	v_lshl_add_u64 v[46:47], v[44:45], 0, v[42:43]
	s_movk_i32 s2, 0x2000
	s_cmp_lg_u32 s45, 64
	s_waitcnt lgkmcnt(1)
	v_mov_b32_e32 v42, v34
	v_mov_b32_e32 v43, v35
	s_waitcnt lgkmcnt(0)
	v_mov_b32_e32 v44, v38
	v_mov_b32_e32 v45, v39
	global_store_dwordx4 v[46:47], v[42:45], off
	v_mov_b32_e32 v38, v36
	v_mov_b32_e32 v39, v37
	ds_read2st64_b64 v[34:37], v48 offset0:16 offset1:24
	ds_read2st64_b64 v[42:45], v49 offset0:16 offset1:24
	v_add_co_u32_e32 v48, vcc, s2, v46
	s_cselect_b64 s[6:7], -1, 0
	s_nop 0
	v_addc_co_u32_e32 v49, vcc, 0, v47, vcc
	global_store_dwordx4 v[48:49], v[38:41], off offset:-4096
	v_lshl_or_b32 v51, v77, 3, v89
	s_mov_b32 s20, 0
	s_waitcnt lgkmcnt(1)
	v_mov_b32_e32 v38, v34
	v_add_co_u32_e32 v34, vcc, 0x3000, v46
	v_mov_b32_e32 v39, v35
	s_nop 0
	v_addc_co_u32_e32 v35, vcc, 0, v47, vcc
	s_waitcnt lgkmcnt(0)
	v_mov_b32_e32 v40, v42
	v_mov_b32_e32 v41, v43
	;; [unrolled: 1-line block ×4, first 2 shown]
	v_or_b32_e32 v54, 32, v51
	v_and_b32_e32 v52, 56, v88
	s_and_b64 vcc, exec, s[6:7]
	global_store_dwordx4 v[48:49], v[38:41], off
	global_store_dwordx4 v[34:35], v[42:45], off
	s_cbranch_vccz .LBB206_31
; %bb.26:
	s_mov_b32 s22, s20
	s_mov_b32 s23, s20
	s_mov_b32 s21, s20
	v_mov_b64_e32 v[40:41], s[22:23]
	v_mov_b64_e32 v[38:39], s[20:21]
	;; [unrolled: 1-line block ×3, first 2 shown]
	v_cmp_gt_i32_e32 vcc, s45, v51
	v_mov_b64_e32 v[36:37], v[40:41]
	s_and_saveexec_b64 s[2:3], vcc
	s_cbranch_execz .LBB206_28
; %bb.27:
	v_lshlrev_b32_e32 v34, 8, v51
	v_mov_b32_e32 v35, 0
	v_lshl_add_u64 v[36:37], s[0:1], 0, v[34:35]
	v_lshlrev_b32_e32 v34, 1, v52
	v_lshl_add_u64 v[42:43], v[36:37], 0, v[34:35]
	global_load_dwordx4 v[38:41], v[42:43], off
	global_load_dwordx4 v[34:37], v[42:43], off offset:128
.LBB206_28:
	s_or_b64 exec, exec, s[2:3]
	s_mov_b32 s22, s20
	s_mov_b32 s23, s20
	;; [unrolled: 1-line block ×3, first 2 shown]
	v_mov_b64_e32 v[48:49], s[22:23]
	v_mov_b64_e32 v[46:47], s[20:21]
	;; [unrolled: 1-line block ×3, first 2 shown]
	v_cmp_gt_i32_e32 vcc, s45, v54
	v_lshlrev_b32_e32 v55, 7, v54
	v_mov_b64_e32 v[44:45], v[48:49]
	s_and_saveexec_b64 s[2:3], vcc
	s_cbranch_execz .LBB206_30
; %bb.29:
	v_lshlrev_b32_e32 v42, 1, v55
	v_mov_b32_e32 v43, 0
	v_lshl_add_u64 v[44:45], s[0:1], 0, v[42:43]
	v_lshlrev_b32_e32 v42, 1, v52
	v_lshl_add_u64 v[60:61], v[44:45], 0, v[42:43]
	global_load_dwordx4 v[46:49], v[60:61], off
	global_load_dwordx4 v[42:45], v[60:61], off offset:128
.LBB206_30:
	s_or_b64 exec, exec, s[2:3]
	v_lshrrev_b32_e32 v58, 3, v52
	v_lshlrev_b32_e32 v60, 3, v51
	v_or_b32_e32 v58, v60, v58
	v_lshlrev_b32_e32 v58, 4, v58
	v_and_b32_e32 v60, 0x78, v60
	v_xor_b32_e32 v58, v58, v60
	s_branch .LBB206_33
.LBB206_31:
                                        ; implicit-def: $vgpr58
                                        ; implicit-def: $vgpr55
                                        ; implicit-def: $vgpr38_vgpr39_vgpr40_vgpr41
                                        ; implicit-def: $vgpr34_vgpr35_vgpr36_vgpr37
                                        ; implicit-def: $vgpr46_vgpr47_vgpr48_vgpr49
                                        ; implicit-def: $vgpr42_vgpr43_vgpr44_vgpr45
	s_cbranch_execz .LBB206_33
; %bb.32:
	s_waitcnt vmcnt(0)
	v_lshlrev_b32_e32 v34, 1, v52
	v_lshl_or_b32 v55, v51, 8, v34
	s_and_b32 s1, s1, 0xffff
	s_mov_b32 s3, 0x20000
	s_movk_i32 s2, 0x4000
	v_lshl_or_b32 v58, v54, 8, v34
	s_movk_i32 s20, 0x80
	buffer_load_dwordx4 v[38:41], v55, s[0:3], 0 offen
	buffer_load_dwordx4 v[34:37], v55, s[0:3], s20 offen
	;; [unrolled: 1-line block ×4, first 2 shown]
	v_lshrrev_b32_e32 v55, 3, v52
	v_lshlrev_b32_e32 v58, 3, v51
	v_or_b32_e32 v55, v58, v55
	v_lshlrev_b32_e32 v55, 4, v55
	v_and_b32_e32 v58, 0x78, v58
	v_xor_b32_e32 v58, v55, v58
	v_lshlrev_b32_e32 v55, 7, v54
.LBB206_33:
	s_movk_i32 s0, 0x1000
	v_and_or_b32 v54, v55, s0, v58
	s_waitcnt vmcnt(1)
	ds_write_b64 v58, v[38:39] offset:49152
	v_xor_b32_e32 v38, 8, v58
	ds_write_b64 v38, v[40:41] offset:49152
	s_waitcnt vmcnt(0)
	ds_write_b64 v58, v[34:35] offset:57344
	ds_write_b64 v38, v[36:37] offset:57344
	;; [unrolled: 1-line block ×3, first 2 shown]
	v_xor_b32_e32 v34, 8, v54
	ds_write_b64 v34, v[48:49] offset:49152
	ds_write_b64 v54, v[42:43] offset:57344
	;; [unrolled: 1-line block ×3, first 2 shown]
	v_or_b32_e32 v34, v84, v87
	v_lshlrev_b32_e32 v34, 3, v34
	v_lshrrev_b32_e32 v35, 5, v85
	s_movk_i32 s0, 0xf8
	v_and_or_b32 v35, v34, s0, v35
	v_lshlrev_b32_e32 v39, 4, v35
	v_lshlrev_b32_e32 v58, 11, v77
	v_and_b32_e32 v40, 0x78, v34
	v_or_b32_e32 v42, 32, v39
	v_and_b32_e32 v38, 0x1000, v58
	v_lshrrev_b32_e32 v35, 1, v85
	v_xor_b32_e32 v42, v42, v40
	v_xor_b32_e32 v34, v39, v40
	v_and_b32_e32 v41, 8, v35
	v_or_b32_e32 v42, v42, v38
	v_or_b32_e32 v34, v34, v38
	v_xor_b32_e32 v65, v42, v41
	v_or_b32_e32 v42, 64, v39
	v_xor_b32_e32 v64, v34, v41
	v_xor_b32_e32 v42, v42, v40
	s_waitcnt lgkmcnt(0)
	s_barrier
	v_or_b32_e32 v45, v42, v38
	ds_read_b64 v[42:43], v64 offset:49152
	v_lshl_or_b32 v46, v86, 8, v59
	v_lshlrev_b32_e32 v60, 1, v46
	v_add_u32_e32 v44, 0x4000, v60
	ds_read2_b64 v[34:37], v44 offset1:16
	v_or_b32_e32 v39, 0x60, v39
	v_xor_b32_e32 v39, v39, v40
	v_or_b32_e32 v38, v39, v38
	v_xor_b32_e32 v66, v45, v41
	v_xor_b32_e32 v67, v38, v41
	ds_read_b64 v[54:55], v65 offset:49152
	ds_read_b64 v[68:69], v66 offset:49152
	;; [unrolled: 1-line block ×3, first 2 shown]
	s_waitcnt lgkmcnt(3)
	v_mfma_f32_16x16x16_bf16 a[0:3], v[42:43], v[34:35], 0
	ds_read2_b64 v[38:41], v44 offset0:32 offset1:48
	s_lshl_b64 s[0:1], s[42:43], 8
	s_add_u32 s4, s4, s0
	v_mfma_f32_16x16x16_bf16 a[4:7], v[42:43], v[36:37], 0
	ds_read2st64_b64 v[34:37], v60 offset0:36 offset1:40
	s_addc_u32 s5, s5, s1
	s_add_i32 s20, s12, -1
	s_waitcnt lgkmcnt(1)
	v_mfma_f32_16x16x16_bf16 a[8:11], v[42:43], v[38:39], 0
	v_or_b32_e32 v38, 64, v46
	v_lshlrev_b32_e32 v61, 1, v38
	s_add_i32 s0, s47, s17
	s_waitcnt lgkmcnt(0)
	v_mfma_f32_16x16x16_bf16 a[0:3], v[54:55], v[34:35], a[0:3]
	v_or_b32_e32 v34, 0x80, v46
	v_lshlrev_b32_e32 v62, 1, v34
	v_or_b32_e32 v34, 0xc0, v46
	v_mfma_f32_16x16x16_bf16 a[12:15], v[42:43], v[40:41], 0
	ds_read2st64_b64 v[38:41], v61 offset0:36 offset1:40
	v_lshlrev_b32_e32 v63, 1, v34
	ds_read2st64_b64 v[42:45], v62 offset0:36 offset1:40
	ds_read2st64_b64 v[46:49], v63 offset0:36 offset1:40
	s_mul_i32 s37, s37, s16
	s_add_i32 s37, s0, s37
	s_mul_i32 s0, s33, s19
	s_mul_hi_u32 s1, s33, s18
	s_ashr_i32 s2, s20, 31
	s_mul_i32 s3, s20, s35
	s_mul_hi_u32 s12, s20, s34
	s_waitcnt lgkmcnt(2)
	v_mfma_f32_16x16x16_bf16 a[4:7], v[54:55], v[38:39], a[4:7]
	s_add_i32 s0, s1, s0
	s_mul_i32 s1, s14, s18
	s_add_i32 s3, s12, s3
	s_mul_i32 s2, s2, s34
	s_waitcnt lgkmcnt(1)
	v_mfma_f32_16x16x16_bf16 a[8:11], v[54:55], v[42:43], a[8:11]
	s_add_i32 s1, s0, s1
	s_add_i32 s3, s3, s2
	s_lshl_b64 s[16:17], s[36:37], 2
	s_waitcnt lgkmcnt(0)
	v_mfma_f32_16x16x16_bf16 a[12:15], v[54:55], v[46:47], a[12:15]
	s_mul_i32 s0, s33, s18
	s_add_u32 s10, s10, s16
	s_addc_u32 s11, s11, s17
	s_lshl_b64 s[0:1], s[0:1], 2
	v_mfma_f32_16x16x16_bf16 a[0:3], v[68:69], v[36:37], a[0:3]
	s_mul_i32 s2, s20, s34
	ds_read_b64 v[34:35], v60 offset:22528
	s_add_u32 s10, s10, s0
	v_mfma_f32_16x16x16_bf16 a[4:7], v[68:69], v[40:41], a[4:7]
	ds_read_b64 v[36:37], v61 offset:22528
	ds_read_b64 v[38:39], v62 offset:22528
	;; [unrolled: 1-line block ×3, first 2 shown]
	s_addc_u32 s11, s11, s1
	s_lshl_b64 s[0:1], s[2:3], 2
	v_mfma_f32_16x16x16_bf16 a[8:11], v[68:69], v[44:45], a[8:11]
	s_add_u32 s0, s10, s0
	s_addc_u32 s1, s11, s1
	s_load_dword s12, s[0:1], 0x0
	v_mfma_f32_16x16x16_bf16 a[12:15], v[68:69], v[48:49], a[12:15]
	s_and_b64 vcc, exec, s[40:41]
	s_waitcnt lgkmcnt(0)
	v_mfma_f32_16x16x16_bf16 a[0:3], v[70:71], v[34:35], a[0:3]
	v_mfma_f32_16x16x16_bf16 a[4:7], v[70:71], v[36:37], a[4:7]
	;; [unrolled: 1-line block ×4, first 2 shown]
	s_cbranch_vccz .LBB206_44
; %bb.34:
	v_lshlrev_b32_e32 v54, 1, v51
	s_and_b64 vcc, exec, s[6:7]
	s_cbranch_vccz .LBB206_45
; %bb.35:
	v_cmp_gt_i32_e32 vcc, s45, v54
	v_mov_b32_e32 v38, 0
	v_mov_b32_e32 v34, 0
	;; [unrolled: 1-line block ×5, first 2 shown]
	s_and_saveexec_b64 s[0:1], vcc
	s_cbranch_execz .LBB206_37
; %bb.36:
	v_mad_i64_i32 v[34:35], s[2:3], s15, v54, 0
	v_lshl_add_u64 v[34:35], v[34:35], 1, s[4:5]
	v_lshlrev_b32_e32 v36, 1, v52
	v_mov_b32_e32 v37, 0
	v_lshl_add_u64 v[34:35], v[34:35], 0, v[36:37]
	global_load_dwordx4 v[34:37], v[34:35], off
.LBB206_37:
	s_or_b64 exec, exec, s[0:1]
	v_or_b32_e32 v55, 1, v54
	v_cmp_gt_i32_e64 s[0:1], s45, v55
	v_mov_b32_e32 v39, 0
	v_mov_b32_e32 v40, 0
	;; [unrolled: 1-line block ×3, first 2 shown]
	s_and_saveexec_b64 s[2:3], s[0:1]
	s_cbranch_execz .LBB206_39
; %bb.38:
	v_mad_i64_i32 v[38:39], s[16:17], s15, v55, 0
	v_lshl_add_u64 v[38:39], v[38:39], 1, s[4:5]
	v_lshlrev_b32_e32 v40, 1, v52
	v_mov_b32_e32 v41, 0
	v_lshl_add_u64 v[38:39], v[38:39], 0, v[40:41]
	global_load_dwordx4 v[38:41], v[38:39], off
.LBB206_39:
	s_or_b64 exec, exec, s[2:3]
	v_mov_b32_e32 v49, 0
	v_mov_b32_e32 v42, 0
	;; [unrolled: 1-line block ×5, first 2 shown]
	s_and_saveexec_b64 s[2:3], vcc
	s_cbranch_execz .LBB206_41
; %bb.40:
	v_mad_i64_i32 v[42:43], s[16:17], s15, v54, 0
	v_lshl_add_u64 v[42:43], v[42:43], 1, s[4:5]
	v_lshlrev_b32_e32 v44, 1, v52
	v_mov_b32_e32 v45, 0
	v_lshl_add_u64 v[42:43], v[42:43], 0, v[44:45]
	global_load_dwordx4 v[42:45], v[42:43], off offset:128
.LBB206_41:
	s_or_b64 exec, exec, s[2:3]
	v_mov_b32_e32 v48, 0
	v_mov_b32_e32 v47, 0
	;; [unrolled: 1-line block ×3, first 2 shown]
	s_and_saveexec_b64 s[2:3], s[0:1]
	s_cbranch_execz .LBB206_43
; %bb.42:
	v_mad_i64_i32 v[46:47], s[0:1], s15, v55, 0
	v_lshl_add_u64 v[46:47], v[46:47], 1, s[4:5]
	v_lshlrev_b32_e32 v48, 1, v52
	v_mov_b32_e32 v49, 0
	v_lshl_add_u64 v[46:47], v[46:47], 0, v[48:49]
	global_load_dwordx4 v[46:49], v[46:47], off offset:128
.LBB206_43:
	s_or_b64 exec, exec, s[2:3]
	s_branch .LBB206_47
.LBB206_44:
                                        ; implicit-def: $vgpr37
                                        ; implicit-def: $vgpr41
                                        ; implicit-def: $vgpr45
                                        ; implicit-def: $vgpr49
	v_lshrrev_b32_e32 v68, 2, v85
	s_branch .LBB206_48
.LBB206_45:
                                        ; implicit-def: $vgpr37
                                        ; implicit-def: $vgpr41
                                        ; implicit-def: $vgpr45
                                        ; implicit-def: $vgpr49
	s_cbranch_execz .LBB206_47
; %bb.46:
	s_waitcnt vmcnt(0)
	v_mad_u64_u32 v[34:35], s[0:1], v54, s15, v[52:53]
	v_lshlrev_b32_e32 v54, 1, v34
	s_lshl_b32 s2, s15, 7
	s_and_b32 s1, s5, 0xffff
	s_mov_b32 s3, 0x20000
	s_mov_b32 s0, s4
	v_add_lshl_u32 v55, v34, s15, 1
	s_movk_i32 s15, 0x80
	buffer_load_dwordx4 v[34:37], v54, s[0:3], 0 offen
	buffer_load_dwordx4 v[42:45], v54, s[0:3], s15 offen
	;; [unrolled: 1-line block ×4, first 2 shown]
.LBB206_47:
	v_lshrrev_b32_e32 v68, 2, v85
	s_cbranch_execnz .LBB206_60
.LBB206_48:
	s_and_b64 vcc, exec, s[6:7]
	s_cbranch_vccz .LBB206_58
; %bb.49:
	s_waitcnt vmcnt(0)
	v_lshlrev_b32_e32 v39, 1, v51
	v_cmp_gt_i32_e32 vcc, s45, v39
	v_mov_b32_e32 v38, 0
	v_lshlrev_b32_e32 v46, 9, v51
	v_mov_b32_e32 v34, 0
	v_mov_b32_e32 v35, 0
	;; [unrolled: 1-line block ×4, first 2 shown]
	s_and_saveexec_b64 s[0:1], vcc
	s_cbranch_execz .LBB206_51
; %bb.50:
	v_mov_b32_e32 v47, 0
	v_lshl_add_u64 v[34:35], s[4:5], 0, v[46:47]
	v_lshlrev_b32_e32 v36, 1, v52
	v_mov_b32_e32 v37, v47
	v_lshl_add_u64 v[34:35], v[34:35], 0, v[36:37]
	global_load_dwordx4 v[34:37], v[34:35], off
.LBB206_51:
	s_or_b64 exec, exec, s[0:1]
	v_or_b32_e32 v39, 1, v39
	v_cmp_gt_i32_e64 s[0:1], s45, v39
	v_lshlrev_b32_e32 v54, 8, v39
	v_mov_b32_e32 v39, 0
	v_mov_b32_e32 v40, 0
	;; [unrolled: 1-line block ×3, first 2 shown]
	s_and_saveexec_b64 s[2:3], s[0:1]
	s_cbranch_execz .LBB206_53
; %bb.52:
	v_mov_b32_e32 v55, 0
	v_lshl_add_u64 v[38:39], s[4:5], 0, v[54:55]
	v_lshlrev_b32_e32 v40, 1, v52
	v_mov_b32_e32 v41, v55
	v_lshl_add_u64 v[38:39], v[38:39], 0, v[40:41]
	global_load_dwordx4 v[38:41], v[38:39], off
.LBB206_53:
	s_or_b64 exec, exec, s[2:3]
	v_mov_b32_e32 v49, 0
	v_mov_b32_e32 v42, 0
	;; [unrolled: 1-line block ×5, first 2 shown]
	s_and_saveexec_b64 s[2:3], vcc
	s_cbranch_execz .LBB206_55
; %bb.54:
	v_mov_b32_e32 v47, 0
	v_lshl_add_u64 v[42:43], s[4:5], 0, v[46:47]
	v_lshlrev_b32_e32 v46, 1, v52
	v_lshl_add_u64 v[42:43], v[42:43], 0, v[46:47]
	global_load_dwordx4 v[42:45], v[42:43], off offset:128
.LBB206_55:
	s_or_b64 exec, exec, s[2:3]
	v_mov_b32_e32 v48, 0
	v_mov_b32_e32 v47, 0
	v_mov_b32_e32 v46, 0
	s_and_saveexec_b64 s[2:3], s[0:1]
	s_cbranch_execz .LBB206_57
; %bb.56:
	v_mov_b32_e32 v55, 0
	v_lshl_add_u64 v[46:47], s[4:5], 0, v[54:55]
	v_lshlrev_b32_e32 v54, 1, v52
	v_lshl_add_u64 v[46:47], v[46:47], 0, v[54:55]
	global_load_dwordx4 v[46:49], v[46:47], off offset:128
.LBB206_57:
	s_or_b64 exec, exec, s[2:3]
	s_branch .LBB206_60
.LBB206_58:
                                        ; implicit-def: $vgpr37
                                        ; implicit-def: $vgpr41
                                        ; implicit-def: $vgpr45
                                        ; implicit-def: $vgpr49
	s_cbranch_execz .LBB206_60
; %bb.59:
	s_waitcnt vmcnt(0)
	v_lshlrev_b32_e32 v34, 1, v52
	v_lshl_or_b32 v52, v51, 9, v34
	s_and_b32 s5, s5, 0xffff
	s_mov_b32 s7, 0x20000
	s_movk_i32 s6, 0x4000
	s_movk_i32 s0, 0x80
	buffer_load_dwordx4 v[34:37], v52, s[4:7], 0 offen
	buffer_load_dwordx4 v[38:41], v52, s[4:7], 0 offen offset:256
	buffer_load_dwordx4 v[42:45], v52, s[4:7], s0 offen
	buffer_load_dwordx4 v[46:49], v52, s[4:7], s0 offen offset:256
.LBB206_60:
	ds_read_b64 v[54:55], v64 offset:57344
	v_add_u32_e32 v52, 0x6000, v60
	ds_read2_b64 v[70:73], v52 offset1:16
	ds_read_b64 v[82:83], v65 offset:57344
	ds_read_b64 v[86:87], v66 offset:57344
	ds_read_b64 v[88:89], v67 offset:57344
	ds_read2_b64 v[64:67], v52 offset0:32 offset1:48
	v_and_b32_e32 v52, 12, v68
	v_and_b32_e32 v76, 6, v0
	v_xor_b32_e32 v51, v51, v76
	v_lshlrev_b32_e32 v51, 2, v51
	s_mov_b32 s0, 0x1000504
	s_waitcnt lgkmcnt(4)
	v_mfma_f32_16x16x16_bf16 a[4:7], v[54:55], v[72:73], a[4:7]
	s_mov_b32 s1, 0x3020706
	v_mfma_f32_16x16x16_bf16 a[0:3], v[54:55], v[70:71], a[0:3]
	ds_read2st64_b64 v[68:71], v60 offset0:52 offset1:56
	s_waitcnt lgkmcnt(1)
	v_mfma_f32_16x16x16_bf16 a[8:11], v[54:55], v[64:65], a[8:11]
	v_mfma_f32_16x16x16_bf16 a[12:15], v[54:55], v[66:67], a[12:15]
	ds_read2st64_b64 v[64:67], v61 offset0:52 offset1:56
	ds_read2st64_b64 v[72:75], v62 offset0:52 offset1:56
	;; [unrolled: 1-line block ×3, first 2 shown]
	s_waitcnt lgkmcnt(2)
	v_mfma_f32_16x16x16_bf16 a[4:7], v[82:83], v[64:65], a[4:7]
	v_and_b32_e32 v64, 1, v0
	v_xor_b32_e32 v65, 0x440, v51
	v_cmp_eq_u32_e32 vcc, 0, v64
	v_mfma_f32_16x16x16_bf16 a[0:3], v[82:83], v[68:69], a[0:3]
	s_waitcnt vmcnt(0)
	v_perm_b32 v64, v34, v38, s0
	v_cndmask_b32_e32 v51, v65, v51, vcc
	v_lshl_or_b32 v51, v76, 10, v51
	s_waitcnt lgkmcnt(1)
	v_mfma_f32_16x16x16_bf16 a[8:11], v[82:83], v[72:73], a[8:11]
	v_perm_b32 v65, v42, v46, s0
	ds_read_b64 v[54:55], v60 offset:30720
	ds_read_b64 v[68:69], v61 offset:30720
	;; [unrolled: 1-line block ×4, first 2 shown]
	ds_write2st64_b32 v51, v64, v65 offset0:128 offset1:160
	s_waitcnt lgkmcnt(5)
	v_mfma_f32_16x16x16_bf16 a[12:15], v[82:83], v[78:79], a[12:15]
	v_xor_b32_e32 v64, 8, v51
	v_perm_b32 v34, v34, v38, s1
	v_perm_b32 v38, v42, v46, s1
	v_add_u32_e32 v42, 0x80, v64
	ds_write2st64_b32 v42, v34, v38 offset0:128 offset1:160
	v_xor_b32_e32 v34, 16, v51
	v_perm_b32 v38, v35, v39, s0
	v_perm_b32 v42, v43, v47, s0
	v_mfma_f32_16x16x16_bf16 a[0:3], v[86:87], v[70:71], a[0:3]
	ds_write2st64_b32 v34, v38, v42 offset0:129 offset1:161
	v_xor_b32_e32 v34, 24, v51
	v_perm_b32 v35, v35, v39, s1
	v_mfma_f32_16x16x16_bf16 a[4:7], v[86:87], v[66:67], a[4:7]
	v_perm_b32 v38, v43, v47, s1
	v_add_u32_e32 v34, 0x80, v34
	ds_write2st64_b32 v34, v35, v38 offset0:129 offset1:161
	v_mfma_f32_16x16x16_bf16 a[16:19], v[86:87], v[74:75], a[8:11]
	v_xor_b32_e32 v34, 32, v51
	v_perm_b32 v35, v36, v40, s0
	v_perm_b32 v38, v44, v48, s0
	v_mfma_f32_16x16x16_bf16 a[20:23], v[86:87], v[80:81], a[12:15]
	ds_write2st64_b32 v34, v35, v38 offset0:130 offset1:162
	v_xor_b32_e32 v34, 40, v51
	v_perm_b32 v35, v36, v40, s1
	s_waitcnt lgkmcnt(8)
	v_mfma_f32_16x16x16_bf16 a[12:15], v[88:89], v[54:55], a[0:3]
	v_perm_b32 v36, v44, v48, s1
	v_add_u32_e32 v34, 0x80, v34
	ds_write2st64_b32 v34, v35, v36 offset0:130 offset1:162
	s_waitcnt lgkmcnt(8)
	v_mfma_f32_16x16x16_bf16 a[8:11], v[88:89], v[68:69], a[4:7]
	v_xor_b32_e32 v34, 48, v51
	v_perm_b32 v35, v37, v41, s0
	v_perm_b32 v36, v45, v49, s0
	s_waitcnt lgkmcnt(7)
	v_mfma_f32_16x16x16_bf16 a[4:7], v[88:89], v[90:91], a[16:19]
	ds_write2st64_b32 v34, v35, v36 offset0:131 offset1:163
	v_xor_b32_e32 v34, 56, v51
	v_or_b32_e32 v48, v52, v84
	s_waitcnt lgkmcnt(7)
	v_mfma_f32_16x16x16_bf16 a[0:3], v[88:89], v[92:93], a[20:23]
	v_perm_b32 v35, v37, v41, s1
	v_perm_b32 v36, v45, v49, s1
	v_add_u32_e32 v34, 0x80, v34
	v_cmp_gt_i32_e64 s[0:1], s45, v48
	v_mov_b32_e32 v54, 0
	v_mov_b32_e32 v55, 0
	ds_write2st64_b32 v34, v35, v36 offset0:131 offset1:163
	s_and_saveexec_b64 s[2:3], s[0:1]
	s_cbranch_execz .LBB206_62
; %bb.61:
	v_add_u32_e32 v34, s44, v48
	v_ashrrev_i32_e32 v35, 31, v34
	v_mul_lo_u32 v36, v35, s34
	v_mul_lo_u32 v37, v34, s35
	v_mad_u64_u32 v[34:35], s[4:5], v34, s34, 0
	v_add3_u32 v35, v35, v37, v36
	v_lshl_add_u64 v[34:35], v[34:35], 2, s[10:11]
	global_load_dword v34, v[34:35], off
	s_waitcnt vmcnt(0)
	v_sub_f32_e32 v34, s12, v34
	v_mul_f32_e32 v34, 0x3fb8aa3b, v34
	v_exp_f32_e32 v55, v34
.LBB206_62:
	s_or_b64 exec, exec, s[2:3]
	v_or_b32_e32 v40, 1, v48
	v_cmp_gt_i32_e64 s[2:3], s45, v40
	s_and_saveexec_b64 s[4:5], s[2:3]
	s_cbranch_execz .LBB206_64
; %bb.63:
	v_add_u32_e32 v34, s44, v40
	v_ashrrev_i32_e32 v35, 31, v34
	v_mul_lo_u32 v36, v35, s34
	v_mul_lo_u32 v37, v34, s35
	v_mad_u64_u32 v[34:35], s[6:7], v34, s34, 0
	v_add3_u32 v35, v35, v37, v36
	v_lshl_add_u64 v[34:35], v[34:35], 2, s[10:11]
	global_load_dword v34, v[34:35], off
	s_waitcnt vmcnt(0)
	v_sub_f32_e32 v34, s12, v34
	v_mul_f32_e32 v34, 0x3fb8aa3b, v34
	v_exp_f32_e32 v54, v34
.LBB206_64:
	s_or_b64 exec, exec, s[4:5]
	v_or_b32_e32 v41, 2, v48
	v_cmp_gt_i32_e64 s[4:5], s45, v41
	v_mov_b32_e32 v49, 0
	v_mov_b32_e32 v64, 0
	s_and_saveexec_b64 s[6:7], s[4:5]
	s_cbranch_execz .LBB206_66
; %bb.65:
	v_add_u32_e32 v34, s44, v41
	v_ashrrev_i32_e32 v35, 31, v34
	v_mul_lo_u32 v36, v35, s34
	v_mul_lo_u32 v37, v34, s35
	v_mad_u64_u32 v[34:35], s[16:17], v34, s34, 0
	v_add3_u32 v35, v35, v37, v36
	v_lshl_add_u64 v[34:35], v[34:35], 2, s[10:11]
	global_load_dword v34, v[34:35], off
	s_waitcnt vmcnt(0)
	v_sub_f32_e32 v34, s12, v34
	v_mul_f32_e32 v34, 0x3fb8aa3b, v34
	v_exp_f32_e32 v64, v34
.LBB206_66:
	s_or_b64 exec, exec, s[6:7]
	v_or_b32_e32 v65, 3, v48
	v_cmp_gt_i32_e32 vcc, s45, v65
	s_and_saveexec_b64 s[6:7], vcc
	s_cbranch_execz .LBB206_68
; %bb.67:
	v_add_u32_e32 v34, s44, v65
	v_ashrrev_i32_e32 v35, 31, v34
	v_mul_lo_u32 v36, v35, s34
	v_mul_lo_u32 v37, v34, s35
	v_mad_u64_u32 v[34:35], s[16:17], v34, s34, 0
	v_add3_u32 v35, v35, v37, v36
	v_lshl_add_u64 v[34:35], v[34:35], 2, s[10:11]
	global_load_dword v34, v[34:35], off
	s_waitcnt vmcnt(0)
	v_sub_f32_e32 v34, s12, v34
	v_mul_f32_e32 v34, 0x3fb8aa3b, v34
	v_exp_f32_e32 v49, v34
.LBB206_68:
	s_or_b64 exec, exec, s[6:7]
	s_add_u32 s6, s8, s26
	v_accvgpr_read_b32 v37, a15
	s_addc_u32 s7, s9, s27
	v_ashrrev_i32_e32 v51, 31, v50
	v_accvgpr_read_b32 v36, a14
	v_accvgpr_read_b32 v35, a13
	;; [unrolled: 1-line block ×3, first 2 shown]
	v_lshl_add_u64 v[38:39], v[50:51], 1, s[6:7]
	v_mov_b32_e32 v45, 0
	v_lshlrev_b32_e32 v42, 8, v48
	v_mov_b32_e32 v43, 0
	s_and_saveexec_b64 s[6:7], s[0:1]
	s_cbranch_execz .LBB206_70
; %bb.69:
	v_mov_b32_e32 v43, 0
	v_lshl_add_u64 v[46:47], v[38:39], 0, v[42:43]
	global_load_ushort v43, v[46:47], off
	s_waitcnt vmcnt(0)
	v_lshlrev_b32_e32 v43, 16, v43
	v_sub_f32_e32 v34, v43, v34
	v_mul_f32_e32 v34, v55, v34
	v_lshrrev_b32_e32 v43, 16, v34
.LBB206_70:
	s_or_b64 exec, exec, s[6:7]
	v_lshlrev_b32_e32 v44, 8, v40
	s_and_saveexec_b64 s[6:7], s[2:3]
	s_cbranch_execz .LBB206_72
; %bb.71:
	v_mov_b32_e32 v45, 0
	v_lshl_add_u64 v[46:47], v[38:39], 0, v[44:45]
	global_load_ushort v34, v[46:47], off
	s_waitcnt vmcnt(0)
	v_lshlrev_b32_e32 v34, 16, v34
	v_sub_f32_e32 v34, v34, v35
	v_mul_f32_e32 v34, v54, v34
	v_lshrrev_b32_e32 v45, 16, v34
.LBB206_72:
	s_or_b64 exec, exec, s[6:7]
	v_mov_b32_e32 v66, 0
	v_lshlrev_b32_e32 v46, 8, v41
	v_mov_b32_e32 v47, 0
	s_and_saveexec_b64 s[6:7], s[4:5]
	s_cbranch_execz .LBB206_74
; %bb.73:
	v_mov_b32_e32 v47, 0
	v_lshl_add_u64 v[34:35], v[38:39], 0, v[46:47]
	global_load_ushort v34, v[34:35], off
	s_waitcnt vmcnt(0)
	v_lshlrev_b32_e32 v34, 16, v34
	v_sub_f32_e32 v34, v34, v36
	v_mul_f32_e32 v34, v64, v34
	v_lshrrev_b32_e32 v47, 16, v34
.LBB206_74:
	s_or_b64 exec, exec, s[6:7]
	v_lshlrev_b32_e32 v40, 8, v65
	s_and_saveexec_b64 s[6:7], vcc
	s_cbranch_execz .LBB206_76
; %bb.75:
	v_mov_b32_e32 v41, 0
	v_lshl_add_u64 v[34:35], v[38:39], 0, v[40:41]
	global_load_ushort v34, v[34:35], off
	s_waitcnt vmcnt(0)
	v_lshlrev_b32_e32 v34, 16, v34
	v_sub_f32_e32 v34, v34, v37
	v_mul_f32_e32 v34, v49, v34
	v_lshrrev_b32_e32 v66, 16, v34
.LBB206_76:
	s_or_b64 exec, exec, s[6:7]
	v_lshlrev_b32_e32 v51, 6, v48
	v_accvgpr_read_b32 v37, a11
	s_mov_b32 s6, 0x5040100
	v_or_b32_e32 v41, v51, v59
	v_accvgpr_read_b32 v36, a10
	v_accvgpr_read_b32 v35, a9
	v_accvgpr_read_b32 v34, a8
	v_perm_b32 v67, v66, v47, s6
	v_perm_b32 v66, v45, v43, s6
	v_lshlrev_b32_e32 v41, 1, v41
	v_mov_b32_e32 v45, 0
	v_mov_b32_e32 v43, 0
	ds_write_b64 v41, v[66:67] offset:24576
	s_and_saveexec_b64 s[6:7], s[0:1]
	s_cbranch_execz .LBB206_78
; %bb.77:
	v_mov_b32_e32 v43, 0
	v_lshl_add_u64 v[66:67], v[38:39], 0, v[42:43]
	global_load_ushort v41, v[66:67], off offset:32
	s_waitcnt vmcnt(0)
	v_lshlrev_b32_e32 v41, 16, v41
	v_sub_f32_e32 v34, v41, v34
	v_mul_f32_e32 v34, v55, v34
	v_lshrrev_b32_e32 v43, 16, v34
.LBB206_78:
	s_or_b64 exec, exec, s[6:7]
	s_and_saveexec_b64 s[6:7], s[2:3]
	s_cbranch_execz .LBB206_80
; %bb.79:
	v_mov_b32_e32 v45, 0
	v_lshl_add_u64 v[66:67], v[38:39], 0, v[44:45]
	global_load_ushort v34, v[66:67], off offset:32
	s_waitcnt vmcnt(0)
	v_lshlrev_b32_e32 v34, 16, v34
	v_sub_f32_e32 v34, v34, v35
	v_mul_f32_e32 v34, v54, v34
	v_lshrrev_b32_e32 v45, 16, v34
.LBB206_80:
	s_or_b64 exec, exec, s[6:7]
	v_mov_b32_e32 v41, 0
	v_mov_b32_e32 v47, 0
	s_and_saveexec_b64 s[6:7], s[4:5]
	s_cbranch_execz .LBB206_82
; %bb.81:
	v_mov_b32_e32 v47, 0
	v_lshl_add_u64 v[34:35], v[38:39], 0, v[46:47]
	global_load_ushort v34, v[34:35], off offset:32
	s_waitcnt vmcnt(0)
	v_lshlrev_b32_e32 v34, 16, v34
	v_sub_f32_e32 v34, v34, v36
	v_mul_f32_e32 v34, v64, v34
	v_lshrrev_b32_e32 v47, 16, v34
.LBB206_82:
	s_or_b64 exec, exec, s[6:7]
	s_and_saveexec_b64 s[6:7], vcc
	s_cbranch_execz .LBB206_84
; %bb.83:
	v_mov_b32_e32 v41, 0
	v_lshl_add_u64 v[34:35], v[38:39], 0, v[40:41]
	global_load_ushort v34, v[34:35], off offset:32
	s_waitcnt vmcnt(0)
	v_lshlrev_b32_e32 v34, 16, v34
	v_sub_f32_e32 v34, v34, v37
	v_mul_f32_e32 v34, v49, v34
	v_lshrrev_b32_e32 v41, 16, v34
.LBB206_84:
	s_or_b64 exec, exec, s[6:7]
	s_mov_b32 s6, 0x5040100
	v_accvgpr_read_b32 v37, a7
	v_perm_b32 v67, v41, v47, s6
	v_or_b32_e32 v41, v51, v57
	v_accvgpr_read_b32 v36, a6
	v_accvgpr_read_b32 v35, a5
	v_accvgpr_read_b32 v34, a4
	v_perm_b32 v66, v45, v43, s6
	v_lshlrev_b32_e32 v41, 1, v41
	v_mov_b32_e32 v45, 0
	v_mov_b32_e32 v43, 0
	ds_write_b64 v41, v[66:67] offset:24576
	s_and_saveexec_b64 s[6:7], s[0:1]
	s_cbranch_execz .LBB206_86
; %bb.85:
	v_mov_b32_e32 v43, 0
	v_lshl_add_u64 v[66:67], v[38:39], 0, v[42:43]
	global_load_ushort v41, v[66:67], off offset:64
	s_waitcnt vmcnt(0)
	v_lshlrev_b32_e32 v41, 16, v41
	v_sub_f32_e32 v34, v41, v34
	v_mul_f32_e32 v34, v55, v34
	v_lshrrev_b32_e32 v43, 16, v34
.LBB206_86:
	s_or_b64 exec, exec, s[6:7]
	s_and_saveexec_b64 s[6:7], s[2:3]
	s_cbranch_execz .LBB206_88
; %bb.87:
	v_mov_b32_e32 v45, 0
	v_lshl_add_u64 v[66:67], v[38:39], 0, v[44:45]
	global_load_ushort v34, v[66:67], off offset:64
	s_waitcnt vmcnt(0)
	v_lshlrev_b32_e32 v34, 16, v34
	v_sub_f32_e32 v34, v34, v35
	v_mul_f32_e32 v34, v54, v34
	v_lshrrev_b32_e32 v45, 16, v34
.LBB206_88:
	s_or_b64 exec, exec, s[6:7]
	v_mov_b32_e32 v41, 0
	v_mov_b32_e32 v47, 0
	s_and_saveexec_b64 s[6:7], s[4:5]
	s_cbranch_execz .LBB206_90
; %bb.89:
	v_mov_b32_e32 v47, 0
	v_lshl_add_u64 v[34:35], v[38:39], 0, v[46:47]
	global_load_ushort v34, v[34:35], off offset:64
	s_waitcnt vmcnt(0)
	v_lshlrev_b32_e32 v34, 16, v34
	v_sub_f32_e32 v34, v34, v36
	v_mul_f32_e32 v34, v64, v34
	v_lshrrev_b32_e32 v47, 16, v34
.LBB206_90:
	s_or_b64 exec, exec, s[6:7]
	s_and_saveexec_b64 s[6:7], vcc
	s_cbranch_execz .LBB206_92
; %bb.91:
	v_mov_b32_e32 v41, 0
	v_lshl_add_u64 v[34:35], v[38:39], 0, v[40:41]
	global_load_ushort v34, v[34:35], off offset:64
	s_waitcnt vmcnt(0)
	v_lshlrev_b32_e32 v34, 16, v34
	v_sub_f32_e32 v34, v34, v37
	v_mul_f32_e32 v34, v49, v34
	v_lshrrev_b32_e32 v41, 16, v34
.LBB206_92:
	s_or_b64 exec, exec, s[6:7]
	s_mov_b32 s6, 0x5040100
	v_accvgpr_read_b32 v37, a3
	v_perm_b32 v67, v41, v47, s6
	v_or_b32_e32 v41, v51, v56
	v_accvgpr_read_b32 v36, a2
	v_accvgpr_read_b32 v35, a1
	;; [unrolled: 1-line block ×3, first 2 shown]
	v_perm_b32 v66, v45, v43, s6
	v_lshlrev_b32_e32 v41, 1, v41
	v_mov_b32_e32 v45, 0
	v_mov_b32_e32 v43, 0
	ds_write_b64 v41, v[66:67] offset:24576
	s_and_saveexec_b64 s[6:7], s[0:1]
	s_cbranch_execz .LBB206_94
; %bb.93:
	v_mov_b32_e32 v43, 0
	v_lshl_add_u64 v[42:43], v[38:39], 0, v[42:43]
	global_load_ushort v41, v[42:43], off offset:96
	s_waitcnt vmcnt(0)
	v_lshlrev_b32_e32 v41, 16, v41
	v_sub_f32_e32 v34, v41, v34
	v_mul_f32_e32 v34, v55, v34
	v_lshrrev_b32_e32 v43, 16, v34
.LBB206_94:
	s_or_b64 exec, exec, s[6:7]
	s_and_saveexec_b64 s[0:1], s[2:3]
	s_cbranch_execz .LBB206_96
; %bb.95:
	v_mov_b32_e32 v45, 0
	v_lshl_add_u64 v[44:45], v[38:39], 0, v[44:45]
	global_load_ushort v34, v[44:45], off offset:96
	s_waitcnt vmcnt(0)
	v_lshlrev_b32_e32 v34, 16, v34
	v_sub_f32_e32 v34, v34, v35
	v_mul_f32_e32 v34, v54, v34
	v_lshrrev_b32_e32 v45, 16, v34
.LBB206_96:
	s_or_b64 exec, exec, s[0:1]
	v_mov_b32_e32 v41, 0
	v_mov_b32_e32 v44, 0
	s_and_saveexec_b64 s[0:1], s[4:5]
	s_cbranch_execz .LBB206_98
; %bb.97:
	v_mov_b32_e32 v47, 0
	v_lshl_add_u64 v[34:35], v[38:39], 0, v[46:47]
	global_load_ushort v34, v[34:35], off offset:96
	s_waitcnt vmcnt(0)
	v_lshlrev_b32_e32 v34, 16, v34
	v_sub_f32_e32 v34, v34, v36
	v_mul_f32_e32 v34, v64, v34
	v_lshrrev_b32_e32 v44, 16, v34
.LBB206_98:
	s_or_b64 exec, exec, s[0:1]
	v_or_b32_e32 v34, 0x6000, v60
	v_or_b32_e32 v35, 0x6000, v61
	;; [unrolled: 1-line block ×4, first 2 shown]
	s_and_saveexec_b64 s[0:1], vcc
	s_cbranch_execz .LBB206_100
; %bb.99:
	v_mov_b32_e32 v41, 0
	v_lshl_add_u64 v[38:39], v[38:39], 0, v[40:41]
	global_load_ushort v38, v[38:39], off offset:96
	s_waitcnt vmcnt(0)
	v_lshlrev_b32_e32 v38, 16, v38
	v_sub_f32_e32 v37, v38, v37
	v_mul_f32_e32 v37, v49, v37
	v_lshrrev_b32_e32 v41, 16, v37
.LBB206_100:
	s_or_b64 exec, exec, s[0:1]
	s_mov_b32 s0, 0x5040100
	v_or_b32_e32 v37, v51, v53
	v_perm_b32 v39, v41, v44, s0
	v_perm_b32 v38, v45, v43, s0
	v_lshlrev_b32_e32 v37, 1, v37
	ds_write_b64 v37, v[38:39] offset:24576
	v_and_b32_e32 v37, 7, v0
	v_lshlrev_b32_e32 v51, 3, v37
	v_lshlrev_b32_e32 v84, 7, v37
	v_lshrrev_b32_e32 v37, 1, v0
	s_add_i32 s0, s20, s46
	v_and_b32_e32 v37, 24, v37
	v_lshlrev_b32_e32 v49, 3, v77
	s_mul_hi_i32 s3, s0, s13
	s_mul_i32 s0, s0, s13
	v_and_b32_e32 v43, 8, v0
	s_movk_i32 s4, 0x100
	v_xor_b32_e32 v59, v49, v37
	s_add_u32 s2, s0, s33
	v_cmp_eq_u32_e32 vcc, 0, v43
	v_cmp_gt_u32_e64 s[0:1], s4, v0
	v_or_b32_e32 v0, 0x440, v59
	v_mov_b32_e32 v44, 0x400
	v_cndmask_b32_e32 v0, v0, v59, vcc
	v_cndmask_b32_e64 v43, v44, 64, vcc
	v_mov_b32_e32 v44, 0xa000
	v_mov_b32_e32 v45, 0x8000
	v_or_b32_e32 v0, v0, v58
	v_cndmask_b32_e64 v53, v44, v45, s[0:1]
	v_xor_b32_e32 v85, v0, v51
	v_add3_u32 v0, v53, v85, v84
	s_waitcnt lgkmcnt(0)
	s_barrier
	ds_read_b64 v[60:61], v0
	v_or_b32_e32 v0, 32, v37
	v_xor_b32_e32 v0, v49, v0
	v_or_b32_e32 v44, 0x440, v0
	v_cndmask_b32_e32 v0, v44, v0, vcc
	v_or_b32_e32 v0, v0, v58
	s_addc_u32 s3, s3, s14
	v_xor_b32_e32 v86, v0, v51
	s_lshl_b64 s[0:1], s[2:3], 9
	v_add3_u32 v0, v53, v86, v84
	s_add_u32 s0, s30, s0
	ds_read_b64 v[78:79], v0
	s_addc_u32 s1, s31, s1
	v_lshlrev_b32_e32 v0, 2, v48
	global_load_dwordx4 v[54:57], v0, s[0:1]
	ds_read2_b64 v[38:41], v34 offset1:16
	ds_read2_b64 v[44:47], v34 offset0:32 offset1:48
	v_or_b32_e32 v37, 0x60, v37
	v_or3_b32 v43, v58, v43, v59
	v_xor_b32_e32 v37, v49, v37
	s_waitcnt lgkmcnt(1)
	v_mfma_f32_16x16x16_bf16 a[0:3], v[60:61], v[38:39], 0
	ds_read2st64_b64 v[64:67], v35 offset0:4 offset1:8
	ds_read2st64_b64 v[68:71], v36 offset0:4 offset1:8
	;; [unrolled: 1-line block ×3, first 2 shown]
	v_mfma_f32_16x16x16_bf16 a[4:7], v[60:61], v[40:41], 0
	v_xor_b32_e32 v43, v43, v51
	v_xor_b32_e32 v48, 0x440, v37
	v_or_b32_e32 v87, v43, v84
	s_waitcnt lgkmcnt(3)
	v_mfma_f32_16x16x16_bf16 a[8:11], v[60:61], v[44:45], 0
	v_cndmask_b32_e32 v37, v48, v37, vcc
	v_or_b32_e32 v43, v53, v87
	v_or_b32_e32 v37, v37, v58
	v_mfma_f32_16x16x16_bf16 a[12:15], v[60:61], v[46:47], 0
	ds_read2st64_b64 v[60:63], v34 offset0:4 offset1:8
	ds_read_b64 v[48:49], v43
	v_xor_b32_e32 v51, v37, v51
	v_lshlrev_b32_e32 v37, 6, v77
	v_lshlrev_b32_e32 v43, 2, v52
	v_or3_b32 v37, v37, v43, s4
	s_waitcnt lgkmcnt(1)
	v_mfma_f32_16x16x16_bf16 a[0:3], v[78:79], v[60:61], a[0:3]
	v_mov_b32_e32 v0, 0x3fb8aa3b
	v_mul_f32_e32 v0, s12, v0
	v_exp_f32_e32 v0, v0
	v_mfma_f32_16x16x16_bf16 a[4:7], v[78:79], v[64:65], a[4:7]
	v_mfma_f32_16x16x16_bf16 a[8:11], v[78:79], v[68:69], a[8:11]
	;; [unrolled: 1-line block ×3, first 2 shown]
	global_load_dwordx4 v[76:79], v37, s[0:1]
	v_add3_u32 v37, v53, v51, v84
	ds_read_b64 v[52:53], v37
	s_waitcnt lgkmcnt(1)
	v_mfma_f32_16x16x16_bf16 a[0:3], v[48:49], v[62:63], a[0:3]
	ds_read_b64 v[58:59], v34 offset:6144
	ds_read_b64 v[80:81], v35 offset:6144
	;; [unrolled: 1-line block ×4, first 2 shown]
	v_add_u32_e32 v51, v51, v84
	s_waitcnt vmcnt(1)
	v_mul_f32_e32 v34, 0x3fb8aa3b, v54
	v_mfma_f32_16x16x16_bf16 a[4:7], v[48:49], v[66:67], a[4:7]
	v_mul_f32_e32 v35, 0x3fb8aa3b, v55
	v_exp_f32_e32 v34, v34
	v_exp_f32_e32 v35, v35
	v_mfma_f32_16x16x16_bf16 a[8:11], v[48:49], v[70:71], a[8:11]
	v_mul_f32_e32 v36, 0x3fb8aa3b, v56
	v_mul_f32_e32 v37, 0x3fb8aa3b, v57
	v_exp_f32_e32 v36, v36
	v_mfma_f32_16x16x16_bf16 a[12:15], v[48:49], v[74:75], a[12:15]
	v_add_u32_e32 v48, v85, v84
	ds_read_b64 v[48:49], v48 offset:40960
	v_exp_f32_e32 v37, v37
	s_waitcnt lgkmcnt(4)
	v_mfma_f32_16x16x16_bf16 a[0:3], v[52:53], v[58:59], a[0:3]
	v_pk_mul_f32 v[34:35], v[0:1], v[34:35] op_sel_hi:[0,1]
	v_pk_mul_f32 v[30:31], v[30:31], v[34:35]
	v_pk_mul_f32 v[36:37], v[0:1], v[36:37] op_sel_hi:[0,1]
	s_waitcnt lgkmcnt(1)
	v_mfma_f32_16x16x16_bf16 a[12:15], v[52:53], v[42:43], a[12:15]
	v_pk_mul_f32 v[32:33], v[32:33], v[36:37]
	v_pk_mul_f32 v[26:27], v[34:35], v[26:27]
	;; [unrolled: 1-line block ×3, first 2 shown]
	v_mfma_f32_16x16x16_bf16 a[4:7], v[52:53], v[80:81], a[4:7]
	v_add_u32_e32 v54, v86, v84
	ds_read_b64 v[54:55], v54 offset:40960
	ds_read_b64 v[56:57], v51 offset:40960
	v_pk_mul_f32 v[22:23], v[34:35], v[22:23]
	v_mfma_f32_16x16x16_bf16 a[8:11], v[52:53], v[82:83], a[8:11]
	v_accvgpr_read_b32 v53, a15
	v_accvgpr_read_b32 v52, a14
	v_pk_mul_f32 v[24:25], v[36:37], v[24:25]
	s_waitcnt lgkmcnt(2)
	v_mfma_f32_16x16x16_bf16 a[14:17], v[48:49], v[38:39], 0
	v_accvgpr_read_b32 v38, a0
	v_add_f32_e32 v30, v30, v38
	v_accvgpr_read_b32 v38, a1
	v_add_f32_e32 v31, v31, v38
	;; [unrolled: 2-line block ×8, first 2 shown]
	ds_read_b64 v[38:39], v87 offset:40960
	v_mfma_f32_16x16x16_bf16 a[18:21], v[48:49], v[40:41], 0
	v_accvgpr_read_b32 v40, a8
	v_add_f32_e32 v22, v22, v40
	v_accvgpr_read_b32 v40, a9
	s_waitcnt lgkmcnt(2)
	v_mfma_f32_16x16x16_bf16 a[14:17], v[54:55], v[60:61], a[14:17]
	v_add_f32_e32 v23, v23, v40
	v_accvgpr_read_b32 v40, a10
	v_add_f32_e32 v24, v24, v40
	v_accvgpr_read_b32 v40, a11
	;; [unrolled: 2-line block ×3, first 2 shown]
	v_mfma_f32_16x16x16_bf16 a[22:25], v[48:49], v[44:45], 0
	v_accvgpr_read_b32 v40, a12
	v_pk_fma_f32 v[2:3], v[34:35], v[2:3], v[40:41]
	v_pk_fma_f32 v[4:5], v[36:37], v[4:5], v[52:53]
	v_mfma_f32_16x16x16_bf16 a[4:7], v[54:55], v[64:65], a[18:21]
	s_waitcnt vmcnt(0)
	v_mov_b32_e32 v34, v77
	v_mov_b32_e32 v35, v78
	;; [unrolled: 1-line block ×3, first 2 shown]
	s_waitcnt lgkmcnt(0)
	v_mfma_f32_16x16x16_bf16 a[8:11], v[38:39], v[62:63], a[14:17]
	v_mul_f32_e32 v37, 0x3fb8aa3b, v76
	v_mul_f32_e32 v34, 0x3fb8aa3b, v34
	v_exp_f32_e32 v40, v37
	v_mfma_f32_16x16x16_bf16 a[0:3], v[48:49], v[46:47], 0
	v_exp_f32_e32 v41, v34
	v_mul_f32_e32 v34, 0x3fb8aa3b, v35
	v_mul_f32_e32 v35, 0x3fb8aa3b, v36
	v_mfma_f32_16x16x16_bf16 a[18:21], v[54:55], v[68:69], a[22:25]
	v_exp_f32_e32 v34, v34
	v_exp_f32_e32 v35, v35
	v_pk_mul_f32 v[36:37], v[0:1], v[40:41] op_sel_hi:[0,1]
	v_mfma_f32_16x16x16_bf16 a[4:7], v[38:39], v[66:67], a[4:7]
	v_pk_mul_f32 v[18:19], v[18:19], v[36:37]
	v_pk_mul_f32 v[34:35], v[0:1], v[34:35] op_sel_hi:[0,1]
	v_pk_mul_f32 v[20:21], v[20:21], v[34:35]
	v_mfma_f32_16x16x16_bf16 a[8:11], v[56:57], v[58:59], a[8:11]
	v_pk_mul_f32 v[14:15], v[36:37], v[14:15]
	v_pk_mul_f32 v[16:17], v[34:35], v[16:17]
	;; [unrolled: 1-line block ×3, first 2 shown]
	v_mfma_f32_16x16x16_bf16 a[0:3], v[54:55], v[72:73], a[0:3]
	v_pk_mul_f32 v[12:13], v[34:35], v[12:13]
	v_mfma_f32_16x16x16_bf16 a[12:15], v[38:39], v[70:71], a[18:21]
	s_nop 0
	v_accvgpr_read_b32 v0, a8
	v_add_f32_e32 v18, v18, v0
	v_accvgpr_read_b32 v0, a9
	v_mfma_f32_16x16x16_bf16 a[4:7], v[56:57], v[80:81], a[4:7]
	v_add_f32_e32 v19, v19, v0
	v_accvgpr_read_b32 v0, a10
	v_add_f32_e32 v20, v20, v0
	v_mfma_f32_16x16x16_bf16 a[0:3], v[38:39], v[74:75], a[0:3]
	v_accvgpr_read_b32 v0, a11
	v_add_f32_e32 v21, v21, v0
	v_mfma_f32_16x16x16_bf16 a[12:15], v[56:57], v[82:83], a[12:15]
	v_accvgpr_read_b32 v0, a4
	v_add_f32_e32 v14, v14, v0
	v_accvgpr_read_b32 v0, a5
	v_mfma_f32_16x16x16_bf16 a[0:3], v[56:57], v[42:43], a[0:3]
	v_add_f32_e32 v15, v15, v0
	v_accvgpr_read_b32 v0, a6
	v_add_f32_e32 v16, v16, v0
	v_accvgpr_read_b32 v0, a7
	;; [unrolled: 2-line block ×5, first 2 shown]
	v_accvgpr_read_b32 v41, a1
	v_accvgpr_read_b32 v39, a3
	;; [unrolled: 1-line block ×3, first 2 shown]
	v_add_f32_e32 v12, v12, v0
	v_accvgpr_read_b32 v0, a15
	v_accvgpr_read_b32 v40, a0
	v_add_f32_e32 v13, v13, v0
	v_pk_fma_f32 v[6:7], v[36:37], v[6:7], v[40:41]
	v_pk_fma_f32 v[8:9], v[34:35], v[8:9], v[38:39]
	v_mov_b32_e32 v34, v50
.LBB206_101:
	s_lshl_b64 s[0:1], s[24:25], 16
	s_waitcnt lgkmcnt(0)
	s_add_u32 s0, s28, s0
	v_lshlrev_b32_e32 v34, 7, v34
	s_addc_u32 s1, s29, s1
	v_ashrrev_i32_e32 v35, 31, v34
	v_lshl_add_u64 v[36:37], v[34:35], 2, s[0:1]
	v_lshlrev_b32_e32 v0, 2, v1
	v_mov_b32_e32 v1, 0
	v_lshl_add_u64 v[36:37], v[36:37], 0, v[0:1]
	global_store_dwordx4 v[36:37], v[30:33], off
	global_store_dwordx4 v[36:37], v[18:21], off offset:256
	s_nop 1
	v_or_b32_e32 v18, 0x800, v34
	v_ashrrev_i32_e32 v19, 31, v18
	v_lshl_add_u64 v[18:19], v[18:19], 2, s[0:1]
	v_lshl_add_u64 v[18:19], v[18:19], 0, v[0:1]
	global_store_dwordx4 v[18:19], v[26:29], off
	global_store_dwordx4 v[18:19], v[14:17], off offset:256
	s_nop 1
	v_or_b32_e32 v14, 0x1000, v34
	v_ashrrev_i32_e32 v15, 31, v14
	v_lshl_add_u64 v[14:15], v[14:15], 2, s[0:1]
	;; [unrolled: 7-line block ×3, first 2 shown]
	v_lshl_add_u64 v[0:1], v[10:11], 0, v[0:1]
	global_store_dwordx4 v[0:1], v[2:5], off
	global_store_dwordx4 v[0:1], v[6:9], off offset:256
	s_endpgm
	.section	.rodata,"a",@progbits
	.p2align	6, 0x0
	.amdhsa_kernel _ZN12_GLOBAL__N_139chunk_gated_delta_rule_fwd_h_hip_kernelILi64ELb0ELb1ELb0ELb0ELb0ELb1ELb1ELb0EEEvPK12hip_bfloat16S3_S3_PKfS5_PKvPS1_S8_PvPKiSB_iiiiilll
		.amdhsa_group_segment_fixed_size 65536
		.amdhsa_private_segment_fixed_size 0
		.amdhsa_kernarg_size 136
		.amdhsa_user_sgpr_count 2
		.amdhsa_user_sgpr_dispatch_ptr 0
		.amdhsa_user_sgpr_queue_ptr 0
		.amdhsa_user_sgpr_kernarg_segment_ptr 1
		.amdhsa_user_sgpr_dispatch_id 0
		.amdhsa_user_sgpr_kernarg_preload_length 0
		.amdhsa_user_sgpr_kernarg_preload_offset 0
		.amdhsa_user_sgpr_private_segment_size 0
		.amdhsa_uses_dynamic_stack 0
		.amdhsa_enable_private_segment 0
		.amdhsa_system_sgpr_workgroup_id_x 1
		.amdhsa_system_sgpr_workgroup_id_y 1
		.amdhsa_system_sgpr_workgroup_id_z 0
		.amdhsa_system_sgpr_workgroup_info 0
		.amdhsa_system_vgpr_workitem_id 0
		.amdhsa_next_free_vgpr 232
		.amdhsa_next_free_sgpr 68
		.amdhsa_accum_offset 192
		.amdhsa_reserve_vcc 1
		.amdhsa_float_round_mode_32 0
		.amdhsa_float_round_mode_16_64 0
		.amdhsa_float_denorm_mode_32 3
		.amdhsa_float_denorm_mode_16_64 3
		.amdhsa_dx10_clamp 1
		.amdhsa_ieee_mode 1
		.amdhsa_fp16_overflow 0
		.amdhsa_tg_split 0
		.amdhsa_exception_fp_ieee_invalid_op 0
		.amdhsa_exception_fp_denorm_src 0
		.amdhsa_exception_fp_ieee_div_zero 0
		.amdhsa_exception_fp_ieee_overflow 0
		.amdhsa_exception_fp_ieee_underflow 0
		.amdhsa_exception_fp_ieee_inexact 0
		.amdhsa_exception_int_div_zero 0
	.end_amdhsa_kernel
	.section	.text._ZN12_GLOBAL__N_139chunk_gated_delta_rule_fwd_h_hip_kernelILi64ELb0ELb1ELb0ELb0ELb0ELb1ELb1ELb0EEEvPK12hip_bfloat16S3_S3_PKfS5_PKvPS1_S8_PvPKiSB_iiiiilll,"axG",@progbits,_ZN12_GLOBAL__N_139chunk_gated_delta_rule_fwd_h_hip_kernelILi64ELb0ELb1ELb0ELb0ELb0ELb1ELb1ELb0EEEvPK12hip_bfloat16S3_S3_PKfS5_PKvPS1_S8_PvPKiSB_iiiiilll,comdat
.Lfunc_end206:
	.size	_ZN12_GLOBAL__N_139chunk_gated_delta_rule_fwd_h_hip_kernelILi64ELb0ELb1ELb0ELb0ELb0ELb1ELb1ELb0EEEvPK12hip_bfloat16S3_S3_PKfS5_PKvPS1_S8_PvPKiSB_iiiiilll, .Lfunc_end206-_ZN12_GLOBAL__N_139chunk_gated_delta_rule_fwd_h_hip_kernelILi64ELb0ELb1ELb0ELb0ELb0ELb1ELb1ELb0EEEvPK12hip_bfloat16S3_S3_PKfS5_PKvPS1_S8_PvPKiSB_iiiiilll
                                        ; -- End function
	.section	.AMDGPU.csdata,"",@progbits
; Kernel info:
; codeLenInByte = 12800
; NumSgprs: 74
; NumVgprs: 190
; NumAgprs: 40
; TotalNumVgprs: 232
; ScratchSize: 0
; MemoryBound: 0
; FloatMode: 240
; IeeeMode: 1
; LDSByteSize: 65536 bytes/workgroup (compile time only)
; SGPRBlocks: 9
; VGPRBlocks: 28
; NumSGPRsForWavesPerEU: 74
; NumVGPRsForWavesPerEU: 232
; AccumOffset: 192
; Occupancy: 1
; WaveLimiterHint : 1
; COMPUTE_PGM_RSRC2:SCRATCH_EN: 0
; COMPUTE_PGM_RSRC2:USER_SGPR: 2
; COMPUTE_PGM_RSRC2:TRAP_HANDLER: 0
; COMPUTE_PGM_RSRC2:TGID_X_EN: 1
; COMPUTE_PGM_RSRC2:TGID_Y_EN: 1
; COMPUTE_PGM_RSRC2:TGID_Z_EN: 0
; COMPUTE_PGM_RSRC2:TIDIG_COMP_CNT: 0
; COMPUTE_PGM_RSRC3_GFX90A:ACCUM_OFFSET: 47
; COMPUTE_PGM_RSRC3_GFX90A:TG_SPLIT: 0
	.section	.text._ZN12_GLOBAL__N_139chunk_gated_delta_rule_fwd_h_hip_kernelILi64ELb0ELb0ELb1ELb0ELb0ELb1ELb1ELb0EEEvPK12hip_bfloat16S3_S3_PKfS5_PKvPS1_S8_PvPKiSB_iiiiilll,"axG",@progbits,_ZN12_GLOBAL__N_139chunk_gated_delta_rule_fwd_h_hip_kernelILi64ELb0ELb0ELb1ELb0ELb0ELb1ELb1ELb0EEEvPK12hip_bfloat16S3_S3_PKfS5_PKvPS1_S8_PvPKiSB_iiiiilll,comdat
	.globl	_ZN12_GLOBAL__N_139chunk_gated_delta_rule_fwd_h_hip_kernelILi64ELb0ELb0ELb1ELb0ELb0ELb1ELb1ELb0EEEvPK12hip_bfloat16S3_S3_PKfS5_PKvPS1_S8_PvPKiSB_iiiiilll ; -- Begin function _ZN12_GLOBAL__N_139chunk_gated_delta_rule_fwd_h_hip_kernelILi64ELb0ELb0ELb1ELb0ELb0ELb1ELb1ELb0EEEvPK12hip_bfloat16S3_S3_PKfS5_PKvPS1_S8_PvPKiSB_iiiiilll
	.p2align	8
	.type	_ZN12_GLOBAL__N_139chunk_gated_delta_rule_fwd_h_hip_kernelILi64ELb0ELb0ELb1ELb0ELb0ELb1ELb1ELb0EEEvPK12hip_bfloat16S3_S3_PKfS5_PKvPS1_S8_PvPKiSB_iiiiilll,@function
_ZN12_GLOBAL__N_139chunk_gated_delta_rule_fwd_h_hip_kernelILi64ELb0ELb0ELb1ELb0ELb0ELb1ELb1ELb0EEEvPK12hip_bfloat16S3_S3_PKfS5_PKvPS1_S8_PvPKiSB_iiiiilll: ; @_ZN12_GLOBAL__N_139chunk_gated_delta_rule_fwd_h_hip_kernelILi64ELb0ELb0ELb1ELb0ELb0ELb1ELb1ELb0EEEvPK12hip_bfloat16S3_S3_PKfS5_PKvPS1_S8_PvPKiSB_iiiiilll
; %bb.0:
	s_load_dwordx4 s[16:19], s[0:1], 0x5c
	s_load_dwordx4 s[12:15], s[0:1], 0x30
	s_abs_i32 s22, s3
	s_ashr_i32 s21, s3, 31
	s_load_dwordx8 s[4:11], s[0:1], 0x0
	s_waitcnt lgkmcnt(0)
	s_abs_i32 s20, s17
	v_cvt_f32_u32_e32 v1, s20
	s_sub_i32 s24, 0, s20
	s_ashr_i32 s23, s17, 31
	s_xor_b32 s21, s21, s23
	v_rcp_iflag_f32_e32 v1, v1
	v_lshrrev_b32_e32 v87, 6, v0
	v_bfe_u32 v88, v0, 4, 2
	v_lshlrev_b32_e32 v2, 2, v88
	v_mul_f32_e32 v1, 0x4f7ffffe, v1
	v_cvt_u32_f32_e32 v1, v1
	v_and_b32_e32 v86, 63, v0
	v_mov_b32_e32 v47, 0
	v_and_b32_e32 v45, 15, v0
	v_readfirstlane_b32 s25, v1
	s_mul_i32 s24, s24, s25
	s_mul_hi_u32 s24, s25, s24
	s_add_i32 s25, s25, s24
	s_mul_hi_u32 s24, s22, s25
	s_mul_i32 s25, s24, s20
	s_sub_i32 s22, s22, s25
	s_add_i32 s26, s24, 1
	s_sub_i32 s25, s22, s20
	s_cmp_ge_u32 s22, s20
	s_cselect_b32 s24, s26, s24
	s_cselect_b32 s22, s25, s22
	s_add_i32 s25, s24, 1
	s_cmp_ge_u32 s22, s20
	s_cselect_b32 s22, s25, s24
	s_abs_i32 s24, s18
	v_cvt_f32_u32_e32 v1, s24
	s_xor_b32 s22, s22, s21
	s_ashr_i32 s48, s16, 31
	s_sub_i32 s50, s22, s21
	v_rcp_iflag_f32_e32 v1, v1
	s_lshr_b32 s21, s48, 26
	s_add_i32 s21, s16, s21
	s_ashr_i32 s51, s18, 31
	v_mul_f32_e32 v1, 0x4f7ffffe, v1
	v_cvt_u32_f32_e32 v1, v1
	s_ashr_i32 s49, s21, 6
	s_xor_b32 s21, s23, s51
	s_sub_i32 s22, 0, s24
	v_readfirstlane_b32 s23, v1
	s_mul_i32 s22, s22, s23
	s_mul_hi_u32 s22, s23, s22
	s_add_i32 s23, s23, s22
	s_mul_hi_u32 s22, s20, s23
	s_mul_i32 s23, s22, s24
	s_mul_i32 s47, s50, s17
	s_sub_i32 s20, s20, s23
	s_sub_i32 s33, s3, s47
	s_add_i32 s3, s16, 63
	s_add_i32 s23, s22, 1
	s_sub_i32 s25, s20, s24
	s_cmp_ge_u32 s20, s24
	s_cselect_b32 s22, s23, s22
	s_cselect_b32 s20, s25, s20
	s_add_i32 s23, s22, 1
	s_cmp_ge_u32 s20, s24
	s_cselect_b32 s20, s23, s22
	s_xor_b32 s20, s20, s21
	s_sub_i32 s24, s20, s21
	s_abs_i32 s25, s24
	v_cvt_f32_u32_e32 v1, s25
	s_sub_i32 s27, 0, s25
	s_abs_i32 s26, s33
	s_xor_b32 s24, s33, s24
	v_rcp_iflag_f32_e32 v1, v1
	s_ashr_i32 s24, s24, 31
	s_load_dwordx2 s[34:35], s[0:1], 0x80
	s_load_dwordx4 s[20:23], s[0:1], 0x70
	s_mul_hi_i32 s53, s50, s17
	v_mul_f32_e32 v1, 0x4f7ffffe, v1
	v_cvt_u32_f32_e32 v1, v1
	v_lshrrev_b32_e32 v90, 3, v86
	v_lshlrev_b32_e32 v89, 3, v0
	s_waitcnt lgkmcnt(0)
	s_mul_i32 s21, s50, s21
	v_readfirstlane_b32 s28, v1
	s_mul_i32 s27, s27, s28
	s_mul_hi_u32 s27, s28, s27
	s_add_i32 s28, s28, s27
	s_mul_hi_u32 s27, s26, s28
	s_mul_i32 s28, s27, s25
	s_sub_i32 s26, s26, s28
	s_add_i32 s28, s27, 1
	s_sub_i32 s29, s26, s25
	s_cmp_ge_u32 s26, s25
	s_cselect_b32 s27, s28, s27
	s_cselect_b32 s26, s29, s26
	s_add_i32 s28, s27, 1
	s_cmp_ge_u32 s26, s25
	s_cselect_b32 s25, s28, s27
	s_xor_b32 s25, s25, s24
	s_sub_i32 s54, s25, s24
	s_ashr_i32 s24, s3, 31
	s_lshr_b32 s24, s24, 26
	v_lshlrev_b32_e32 v1, 4, v87
	s_add_i32 s3, s3, s24
	v_or_b32_e32 v91, v2, v1
	s_ashr_i32 s3, s3, 6
	s_lshl_b32 s36, s2, 6
	s_mul_i32 s52, s50, s3
	v_or_b32_e32 v92, 64, v91
	s_cmp_lt_i32 s16, 64
	s_mul_hi_u32 s46, s50, s20
	s_mul_i32 s38, s50, s20
	v_mov_b32_e32 v46, v47
	v_mov_b32_e32 v53, v47
	;; [unrolled: 1-line block ×31, first 2 shown]
	s_cbranch_scc1 .LBB207_18
; %bb.1:
	s_ashr_i32 s28, s50, 31
	s_ashr_i32 s56, s33, 31
	s_add_u32 s2, s47, s33
	s_addc_u32 s3, s53, s56
	s_mul_i32 s3, s16, s3
	s_mul_hi_u32 s24, s16, s2
	s_add_i32 s41, s24, s3
	s_mul_i32 s40, s16, s2
	s_lshl_b64 s[2:3], s[40:41], 8
	v_and_b32_e32 v94, 56, v89
	s_add_u32 s24, s6, s2
	v_lshl_or_b32 v93, v87, 3, v90
	v_lshlrev_b32_e32 v3, 1, v94
	s_addc_u32 s2, s7, s3
	v_lshl_or_b32 v95, v93, 8, v3
	s_and_b32 s25, s2, 0xffff
	s_mov_b32 s27, 0x20000
	s_movk_i32 s26, 0x4000
	s_movk_i32 s2, 0x80
	v_or_b32_e32 v96, 0x2000, v95
	buffer_load_dwordx4 v[4:7], v95, s[24:27], 0 offen
	buffer_load_dwordx4 v[8:11], v95, s[24:27], s2 offen
	;; [unrolled: 1-line block ×4, first 2 shown]
	v_lshlrev_b32_e32 v20, 3, v93
	v_and_or_b32 v22, v0, 7, v20
	v_and_b32_e32 v20, 0x78, v20
	v_lshlrev_b32_e32 v22, 4, v22
	v_xor_b32_e32 v97, v22, v20
	v_mul_lo_u32 v21, v93, s19
	v_or_b32_e32 v98, 0x1000, v97
	s_cmpk_eq_i32 s19, 0x80
	s_mov_b32 s55, s18
	v_xor_b32_e32 v20, 8, v97
	v_xor_b32_e32 v22, 8, v98
	s_cselect_b64 s[2:3], -1, 0
	s_cmpk_lg_i32 s19, 0x80
	s_waitcnt vmcnt(3)
	ds_write_b64 v97, v[4:5] offset:49152
	ds_write_b64 v20, v[6:7] offset:49152
	s_waitcnt vmcnt(2)
	ds_write_b64 v97, v[8:9] offset:57344
	ds_write_b64 v20, v[10:11] offset:57344
	;; [unrolled: 3-line block ×4, first 2 shown]
	v_lshl_add_u32 v4, v21, 1, v94
	s_cbranch_scc0 .LBB207_3
; %bb.2:
	v_lshlrev_b32_e32 v6, 1, v4
	v_add_lshl_u32 v5, v4, s19, 1
	s_lshl_b32 s26, s19, 7
	s_load_dwordx2 s[42:43], s[0:1], 0x20
	v_lshl_or_b32 v3, v93, 9, v3
	s_cbranch_execz .LBB207_4
	s_branch .LBB207_5
.LBB207_3:
                                        ; implicit-def: $vgpr5
                                        ; implicit-def: $vgpr6
                                        ; implicit-def: $sgpr26
	s_load_dwordx2 s[42:43], s[0:1], 0x20
	v_lshl_or_b32 v3, v93, 9, v3
.LBB207_4:
	v_or_b32_e32 v5, 0x100, v3
	s_movk_i32 s26, 0x4000
	v_mov_b32_e32 v6, v3
.LBB207_5:
	s_mul_hi_u32 s0, s18, s16
	s_mul_i32 s1, s51, s16
	s_add_i32 s0, s0, s1
	s_mul_i32 s1, s18, s16
	s_mul_i32 s24, s1, s28
	s_mul_hi_u32 s25, s1, s50
	s_add_i32 s24, s25, s24
	s_mul_i32 s0, s0, s50
	s_add_i32 s24, s24, s0
	s_mul_i32 s1, s1, s50
	s_ashr_i32 s57, s54, 31
	s_add_u32 s0, s1, s54
	s_addc_u32 s1, s24, s57
	s_lshl_b64 s[0:1], s[0:1], 8
	s_add_u32 s24, s4, s0
	s_addc_u32 s0, s5, s1
	s_and_b32 s25, s0, 0xffff
	s_movk_i32 s58, 0x80
	buffer_load_dwordx4 v[8:11], v6, s[24:27], 0 offen
	buffer_load_dwordx4 v[12:15], v6, s[24:27], s58 offen
	;; [unrolled: 1-line block ×4, first 2 shown]
	v_and_b32_e32 v5, 6, v0
	v_lshlrev_b32_e32 v6, 7, v91
	v_xor_b32_e32 v27, v93, v5
	v_and_b32_e32 v7, 1, v0
	v_lshl_or_b32 v30, v45, 3, v6
	v_lshlrev_b32_e32 v27, 2, v27
	v_or_b32_e32 v99, 0x4000, v30
	v_or_b32_e32 v100, 0x6000, v30
	v_xor_b32_e32 v30, 0x440, v27
	v_cmp_eq_u32_e32 vcc, 0, v7
	v_lshlrev_b32_e32 v24, 2, v45
	s_mov_b32 s61, 0x1000504
	v_cndmask_b32_e32 v7, v30, v27, vcc
	v_xor_b32_e32 v28, v91, v24
	v_xor_b32_e32 v29, v92, v24
	v_lshl_or_b32 v5, v5, 10, v7
	s_mov_b32 s62, 0x3020706
	s_mul_i32 s0, s28, s16
	s_mul_hi_u32 s1, s50, s16
	v_lshlrev_b32_e32 v25, 8, v45
	v_or_b32_e32 v26, 16, v45
	v_lshlrev_b32_e32 v28, 1, v28
	v_lshlrev_b32_e32 v29, 1, v29
	v_xor_b32_e32 v7, 8, v5
	v_xor_b32_e32 v27, 24, v5
	;; [unrolled: 1-line block ×4, first 2 shown]
	v_or_b32_e32 v102, v25, v28
	v_or_b32_e32 v103, v25, v29
	v_xor_b32_e32 v25, 16, v5
	v_xor_b32_e32 v30, 32, v5
	;; [unrolled: 1-line block ×3, first 2 shown]
	v_add_u32_e32 v7, 0x80, v7
	v_add_u32_e32 v27, 0x80, v27
	;; [unrolled: 1-line block ×4, first 2 shown]
	s_add_i32 s63, s1, s0
	s_add_i32 s0, s46, s21
	s_mul_i32 s28, s28, s20
	s_add_i32 s39, s0, s28
	s_mul_i32 s0, s33, s23
	s_mul_hi_u32 s1, s33, s22
	s_add_i32 s0, s1, s0
	s_mul_i32 s1, s56, s22
	s_add_i32 s1, s0, s1
	s_lshl_b64 s[24:25], s[38:39], 2
	s_mul_i32 s0, s33, s22
	s_add_u32 s24, s10, s24
	s_addc_u32 s25, s11, s25
	s_lshl_b64 s[0:1], s[0:1], 2
	s_add_u32 s44, s24, s0
	s_movk_i32 s0, 0xf8
	s_addc_u32 s45, s25, s1
	s_ashr_i32 s37, s36, 31
	s_lshl_b32 s30, s19, 7
	v_mov_b32_e32 v79, 0
	s_movk_i32 s24, 0x100
	v_lshlrev_b32_e32 v78, 4, v45
	s_mul_i32 s59, s50, s16
	v_lshl_or_b32 v31, v26, 3, v6
	s_mov_b32 s60, 0
	v_or_b32_e32 v101, 0x4000, v31
	s_movk_i32 s26, 0x4000
	v_or_b32_e32 v104, 0x6000, v31
	v_add_u32_e32 v136, v1, v2
	s_mov_b32 s39, 0x7060302
	s_movk_i32 s64, 0x2000
	s_movk_i32 s65, 0x3000
	v_mov_b32_e32 v146, 0x3fb8aa3b
	s_mov_b32 s67, 0
	v_mov_b32_e32 v70, v79
	v_mov_b32_e32 v71, v79
	;; [unrolled: 1-line block ×8, first 2 shown]
	s_waitcnt vmcnt(1)
	v_perm_b32 v35, v8, v16, s61
	s_waitcnt vmcnt(0)
	v_perm_b32 v36, v12, v20, s61
	v_perm_b32 v8, v8, v16, s62
	;; [unrolled: 1-line block ×15, first 2 shown]
	ds_write2st64_b32 v5, v35, v36 offset0:128 offset1:160
	ds_write2st64_b32 v7, v8, v12 offset0:128 offset1:160
	;; [unrolled: 1-line block ×8, first 2 shown]
	v_lshlrev_b32_e32 v5, 8, v26
	v_or_b32_e32 v105, v5, v28
	v_or_b32_e32 v106, v5, v29
	;; [unrolled: 1-line block ×3, first 2 shown]
	v_lshl_or_b32 v7, v5, 3, v6
	v_lshlrev_b32_e32 v5, 8, v5
	v_or_b32_e32 v109, v5, v28
	v_or_b32_e32 v110, v5, v29
	;; [unrolled: 1-line block ×5, first 2 shown]
	v_lshl_or_b32 v7, v5, 3, v6
	v_lshlrev_b32_e32 v5, 8, v5
	v_or_b32_e32 v113, v5, v28
	v_or_b32_e32 v114, v5, v29
	;; [unrolled: 1-line block ×3, first 2 shown]
	v_lshlrev_b32_e32 v5, 3, v5
	v_lshrrev_b32_e32 v9, 5, v86
	v_and_or_b32 v9, v5, s0, v9
	v_lshlrev_b32_e32 v9, 4, v9
	v_lshlrev_b32_e32 v11, 11, v87
	v_and_b32_e32 v5, 0x78, v5
	v_or_b32_e32 v14, 32, v9
	v_and_b32_e32 v8, 0x1000, v11
	v_xor_b32_e32 v10, v9, v5
	v_lshrrev_b32_e32 v12, 1, v86
	v_xor_b32_e32 v14, v14, v5
	v_or_b32_e32 v10, v10, v8
	v_and_b32_e32 v12, 8, v12
	v_or_b32_e32 v14, v14, v8
	v_xor_b32_e32 v115, v10, v12
	v_lshlrev_b32_e32 v10, 8, v88
	v_xor_b32_e32 v117, v14, v12
	v_or_b32_e32 v14, 64, v9
	v_or_b32_e32 v9, 0x60, v9
	v_or_b32_e32 v13, v10, v24
	v_xor_b32_e32 v14, v14, v5
	v_xor_b32_e32 v5, v9, v5
	v_lshlrev_b32_e32 v13, 1, v13
	v_or_b32_e32 v14, v14, v8
	v_or_b32_e32 v5, v5, v8
	s_lshl_b64 s[0:1], s[36:37], 8
	v_or_b32_e32 v116, 0x4000, v13
	v_or_b32_e32 v118, 0x4080, v13
	;; [unrolled: 1-line block ×4, first 2 shown]
	v_xor_b32_e32 v121, v14, v12
	v_xor_b32_e32 v122, v5, v12
	v_or_b32_e32 v123, 0x6000, v13
	v_or_b32_e32 v124, 0x6080, v13
	;; [unrolled: 1-line block ×4, first 2 shown]
	v_lshlrev_b32_e32 v12, 1, v4
	v_add_lshl_u32 v13, v4, s19, 1
	s_add_u32 s0, s12, s0
	v_lshlrev_b32_e32 v4, 1, v45
	v_lshrrev_b32_e32 v15, 4, v0
	s_addc_u32 s1, s13, s1
	v_or_b32_e32 v5, 1, v4
	v_lshlrev_b32_e32 v18, 2, v0
	v_or_b32_e32 v14, 0x100, v3
	v_xor_b32_e32 v16, v15, v4
	v_xor_b32_e32 v17, v5, v15
	v_lshl_add_u64 v[4:5], s[0:1], 0, v[78:79]
	v_lshlrev_b32_e32 v78, 8, v15
	v_lshrrev_b32_e32 v19, 1, v0
	v_and_or_b32 v10, v18, 60, v10
	v_cndmask_b32_e64 v133, v12, v3, s[2:3]
	v_mov_b32_e32 v3, 0xa000
	v_mov_b32_e32 v12, 0x8000
	v_cmp_gt_u32_e64 s[0:1], s24, v0
	v_lshl_or_b32 v127, v16, 3, v78
	v_and_b32_e32 v16, 8, v0
	v_and_b32_e32 v19, 24, v19
	v_lshlrev_b32_e32 v10, 1, v10
	v_cndmask_b32_e64 v3, v3, v12, s[0:1]
	v_lshlrev_b32_e32 v12, 3, v87
	v_or_b32_e32 v129, 0x6000, v10
	v_or_b32_e32 v130, 0x6080, v10
	;; [unrolled: 1-line block ×4, first 2 shown]
	v_mov_b32_e32 v10, 0x400
	v_cmp_eq_u32_e32 vcc, 0, v16
	v_cndmask_b32_e64 v134, v13, v14, s[2:3]
	v_xor_b32_e32 v13, v12, v19
	v_and_b32_e32 v15, 7, v0
	v_cndmask_b32_e64 v16, v10, 64, vcc
	v_or_b32_e32 v14, 0x440, v13
	v_lshl_or_b32 v128, v17, 3, v78
	v_lshlrev_b32_e32 v17, 3, v15
	v_or_b32_e32 v18, 32, v19
	v_or_b32_e32 v20, 0x60, v19
	v_cndmask_b32_e32 v14, v14, v13, vcc
	v_or3_b32 v13, v11, v16, v13
	v_lshlrev_b32_e32 v15, 7, v15
	v_xor_b32_e32 v18, v12, v18
	v_xor_b32_e32 v13, v13, v17
	;; [unrolled: 1-line block ×3, first 2 shown]
	v_or_b32_e32 v21, 0x440, v18
	v_or_b32_e32 v135, v13, v15
	v_xor_b32_e32 v13, 0x440, v12
	v_cndmask_b32_e32 v18, v21, v18, vcc
	v_cndmask_b32_e32 v12, v13, v12, vcc
	v_or_b32_e32 v111, 0x4000, v7
	v_or_b32_e32 v112, 0x6000, v7
	v_lshrrev_b32_e32 v7, 2, v86
	v_or_b32_e32 v8, s36, v45
	v_or_b32_e32 v14, v14, v11
	;; [unrolled: 1-line block ×4, first 2 shown]
	v_and_b32_e32 v7, 12, v7
	v_ashrrev_i32_e32 v9, 31, v8
	v_xor_b32_e32 v14, v14, v17
	v_xor_b32_e32 v18, v18, v17
	;; [unrolled: 1-line block ×3, first 2 shown]
	v_or_b32_e32 v10, v1, v7
	v_add_u32_e32 v19, v3, v14
	v_add_u32_e32 v21, v3, v18
	;; [unrolled: 1-line block ×3, first 2 shown]
	v_or3_b32 v12, v1, v7, 64
	v_add_u32_e32 v7, 0xa000, v14
	v_add_u32_e32 v14, 0xa000, v18
	;; [unrolled: 1-line block ×3, first 2 shown]
	v_lshlrev_b64 v[8:9], 1, v[8:9]
	v_lshl_add_u64 v[80:81], s[8:9], 0, v[8:9]
	v_lshl_add_u64 v[82:83], s[14:15], 0, v[8:9]
	;; [unrolled: 1-line block ×3, first 2 shown]
	s_add_i32 s37, s59, 63
	v_lshlrev_b32_e32 v78, 1, v6
	v_lshlrev_b32_e32 v137, 2, v10
	v_add_u32_e32 v138, v19, v15
	v_add_u32_e32 v139, v21, v15
	;; [unrolled: 1-line block ×4, first 2 shown]
	v_lshlrev_b32_e32 v142, 2, v12
	v_add_u32_e32 v143, v7, v15
	v_add_u32_e32 v144, v14, v15
	;; [unrolled: 1-line block ×3, first 2 shown]
	v_mov_b32_e32 v62, v79
	v_mov_b32_e32 v63, v79
	;; [unrolled: 1-line block ×24, first 2 shown]
	s_waitcnt lgkmcnt(0)
	s_barrier
.LBB207_6:                              ; =>This Inner Loop Header: Depth=1
	s_add_i32 s66, s67, 1
	s_cmp_lt_i32 s66, s49
	s_mov_b64 s[28:29], 0
	s_cselect_b64 s[2:3], -1, 0
	s_cmp_ge_i32 s66, s49
	s_mov_b64 s[24:25], 0
	s_cbranch_scc1 .LBB207_8
; %bb.7:                                ;   in Loop: Header=BB207_6 Depth=1
	s_add_i32 s0, s60, 64
	s_add_u32 s0, s40, s0
	s_addc_u32 s1, s41, 0
	s_lshl_b64 s[0:1], s[0:1], 8
	s_add_u32 s24, s6, s0
	s_addc_u32 s25, s7, s1
.LBB207_8:                              ;   in Loop: Header=BB207_6 Depth=1
	v_cndmask_b32_e64 v2, 0, 1, s[2:3]
	v_cmp_ne_u32_e64 s[0:1], 1, v2
	s_andn2_b64 vcc, exec, s[2:3]
	s_cbranch_vccnz .LBB207_10
; %bb.9:                                ;   in Loop: Header=BB207_6 Depth=1
	s_add_i32 s2, s60, 64
	s_add_u32 s2, s59, s2
	s_addc_u32 s3, s63, 0
	s_mul_i32 s28, s2, s51
	s_mul_hi_u32 s29, s2, s55
	s_add_i32 s28, s29, s28
	s_mul_i32 s3, s3, s55
	s_add_i32 s28, s28, s3
	s_mul_i32 s2, s2, s55
	s_add_u32 s2, s2, s54
	s_addc_u32 s3, s28, s57
	s_lshl_b64 s[2:3], s[2:3], 8
	s_add_u32 s28, s4, s2
	s_addc_u32 s29, s5, s3
.LBB207_10:                             ;   in Loop: Header=BB207_6 Depth=1
	v_perm_b32 v3, v77, v76, s39
	v_perm_b32 v2, v75, v74, s39
	v_perm_b32 v5, v73, v72, s39
	v_perm_b32 v4, v71, v70, s39
	ds_write_b64 v99, v[2:3]
	ds_write_b64 v100, v[4:5]
	ds_write_b64 v102, v[2:3]
	ds_write_b64 v103, v[4:5]
	v_perm_b32 v3, v69, v68, s39
	v_perm_b32 v2, v67, v66, s39
	v_perm_b32 v5, v65, v64, s39
	v_perm_b32 v4, v63, v62, s39
	ds_write_b64 v101, v[2:3]
	ds_write_b64 v104, v[4:5]
	ds_write_b64 v105, v[2:3]
	ds_write_b64 v106, v[4:5]
	;; [unrolled: 8-line block ×4, first 2 shown]
	s_waitcnt lgkmcnt(0)
	s_barrier
	ds_read_b64 v[6:7], v115 offset:49152
	ds_read2_b64 v[2:5], v116 offset1:16
	ds_read_b64 v[18:19], v118 offset:6144
	ds_read_b64 v[20:21], v116 offset:6144
	s_waitcnt lgkmcnt(2)
	v_mfma_f32_16x16x16_bf16 a[0:3], v[6:7], v[2:3], 0
	ds_read_b64 v[22:23], v117 offset:49152
	ds_read2st64_b64 v[10:13], v119 offset0:4 offset1:8
	ds_read2st64_b64 v[14:17], v120 offset0:4 offset1:8
	v_mfma_f32_16x16x16_bf16 a[4:7], v[6:7], v[4:5], 0
	ds_read2_b64 v[2:5], v116 offset0:32 offset1:48
	s_add_i32 s2, s60, 63
	s_mul_i32 s3, s2, s35
	s_waitcnt lgkmcnt(0)
	v_mfma_f32_16x16x16_bf16 a[8:11], v[6:7], v[2:3], 0
	s_mul_hi_u32 s31, s2, s34
	s_add_i32 s3, s31, s3
	s_mul_i32 s2, s2, s34
	v_mfma_f32_16x16x16_bf16 a[12:15], v[6:7], v[4:5], 0
	ds_read2st64_b64 v[2:5], v116 offset0:4 offset1:8
	ds_read2st64_b64 v[6:9], v118 offset0:4 offset1:8
	s_lshl_b64 s[2:3], s[2:3], 2
	s_waitcnt lgkmcnt(1)
	v_mfma_f32_16x16x16_bf16 a[0:3], v[22:23], v[2:3], a[0:3]
	s_add_u32 s2, s44, s2
	s_addc_u32 s3, s45, s3
	s_and_b64 vcc, exec, s[0:1]
	s_waitcnt lgkmcnt(0)
	v_mfma_f32_16x16x16_bf16 a[4:7], v[22:23], v[6:7], a[4:7]
	v_mov_b32_e32 v149, 0
	v_mov_b32_e32 v148, 0
	v_mov_b32_e32 v147, 0
	v_mfma_f32_16x16x16_bf16 a[8:11], v[22:23], v[10:11], a[8:11]
	ds_read_b64 v[2:3], v121 offset:49152
	ds_read_b64 v[6:7], v122 offset:49152
	;; [unrolled: 1-line block ×3, first 2 shown]
	v_mfma_f32_16x16x16_bf16 a[12:15], v[22:23], v[14:15], a[12:15]
	v_mov_b32_e32 v14, 0
	v_mov_b32_e32 v15, 0
	s_waitcnt lgkmcnt(2)
	v_mfma_f32_16x16x16_bf16 a[0:3], v[2:3], v[4:5], a[0:3]
	v_mov_b32_e32 v4, 0
	v_mov_b32_e32 v5, 0
	v_mfma_f32_16x16x16_bf16 a[4:7], v[2:3], v[8:9], a[4:7]
	v_mov_b32_e32 v8, 0
	v_mov_b32_e32 v9, 0
	;; [unrolled: 3-line block ×3, first 2 shown]
	v_mfma_f32_16x16x16_bf16 a[12:15], v[2:3], v[16:17], a[12:15]
	ds_read_b64 v[2:3], v119 offset:6144
	v_mov_b32_e32 v16, 0
	v_mov_b32_e32 v17, 0
	s_waitcnt lgkmcnt(2)
	v_mfma_f32_16x16x16_bf16 a[0:3], v[6:7], v[20:21], a[0:3]
	v_mfma_f32_16x16x16_bf16 a[4:7], v[6:7], v[18:19], a[4:7]
	s_waitcnt lgkmcnt(0)
	v_mfma_f32_16x16x16_bf16 a[8:11], v[6:7], v[2:3], a[8:11]
	v_mov_b32_e32 v2, 0
	v_mov_b32_e32 v3, 0
	v_mfma_f32_16x16x16_bf16 a[12:15], v[6:7], v[10:11], a[12:15]
	v_mov_b32_e32 v6, 0
	v_mov_b32_e32 v7, 0
	;; [unrolled: 1-line block ×4, first 2 shown]
	s_cbranch_vccnz .LBB207_12
; %bb.11:                               ;   in Loop: Header=BB207_6 Depth=1
	s_and_b32 s25, s25, 0xffff
	buffer_load_dwordx4 v[14:17], v95, s[24:27], 0 offen
	buffer_load_dwordx4 v[10:13], v95, s[24:27], s58 offen
	;; [unrolled: 1-line block ×4, first 2 shown]
	v_mov_b32_e32 v148, v97
	v_mov_b32_e32 v147, v98
.LBB207_12:                             ;   in Loop: Header=BB207_6 Depth=1
	ds_read_b64 v[38:39], v115 offset:57344
	ds_read2_b64 v[18:21], v123 offset1:16
	ds_read_b64 v[40:41], v117 offset:57344
	ds_read_b64 v[42:43], v121 offset:57344
	;; [unrolled: 1-line block ×3, first 2 shown]
	s_waitcnt lgkmcnt(3)
	v_mfma_f32_16x16x16_bf16 a[0:3], v[38:39], v[18:19], a[0:3]
	v_mfma_f32_16x16x16_bf16 a[4:7], v[38:39], v[20:21], a[4:7]
	ds_read2_b64 v[18:21], v123 offset0:32 offset1:48
	ds_read2st64_b64 v[22:25], v123 offset0:4 offset1:8
	ds_read2st64_b64 v[26:29], v124 offset0:4 offset1:8
	;; [unrolled: 1-line block ×4, first 2 shown]
	s_waitcnt lgkmcnt(4)
	v_mfma_f32_16x16x16_bf16 a[8:11], v[38:39], v[18:19], a[8:11]
	v_mfma_f32_16x16x16_bf16 a[12:15], v[38:39], v[20:21], a[12:15]
	v_add_u32_e32 v38, s60, v136
	v_ashrrev_i32_e32 v18, 31, v38
	v_mul_lo_u32 v20, v18, s34
	v_mul_lo_u32 v21, v38, s35
	v_mad_u64_u32 v[18:19], s[24:25], v38, s34, 0
	v_add3_u32 v19, v19, v21, v20
	v_add_u32_e32 v20, 1, v38
	v_ashrrev_i32_e32 v21, 31, v20
	s_waitcnt lgkmcnt(3)
	v_mfma_f32_16x16x16_bf16 a[0:3], v[40:41], v[22:23], a[0:3]
	v_mul_lo_u32 v22, v21, s34
	v_mul_lo_u32 v23, v20, s35
	v_mad_u64_u32 v[20:21], s[24:25], v20, s34, 0
	v_add3_u32 v21, v21, v23, v22
	v_add_u32_e32 v22, 2, v38
	v_ashrrev_i32_e32 v23, 31, v22
	s_waitcnt lgkmcnt(2)
	v_mfma_f32_16x16x16_bf16 a[4:7], v[40:41], v[26:27], a[4:7]
	v_mul_lo_u32 v26, v23, s34
	v_mul_lo_u32 v27, v22, s35
	v_mad_u64_u32 v[22:23], s[24:25], v22, s34, 0
	v_add3_u32 v23, v23, v27, v26
	v_add_u32_e32 v26, 3, v38
	v_lshl_add_u64 v[18:19], v[18:19], 2, s[44:45]
	v_lshl_add_u64 v[20:21], v[20:21], 2, s[44:45]
	v_ashrrev_i32_e32 v27, 31, v26
	s_waitcnt lgkmcnt(1)
	v_mfma_f32_16x16x16_bf16 a[8:11], v[40:41], v[30:31], a[8:11]
	v_mul_lo_u32 v27, v27, s34
	global_load_dword v30, v[18:19], off
	v_mul_lo_u32 v31, v26, s35
	s_waitcnt lgkmcnt(0)
	v_mfma_f32_16x16x16_bf16 a[12:15], v[40:41], v[34:35], a[12:15]
	global_load_dword v34, v[20:21], off
	v_mad_u64_u32 v[18:19], s[24:25], v26, s34, 0
	v_add3_u32 v19, v19, v31, v27
	s_add_u32 s24, s40, s60
	v_lshl_add_u64 v[22:23], v[22:23], 2, s[44:45]
	v_lshl_add_u64 v[18:19], v[18:19], 2, s[44:45]
	s_addc_u32 s25, s41, 0
	global_load_dword v31, v[22:23], off
	global_load_dword v35, v[18:19], off
	s_lshl_b64 s[24:25], s[24:25], 8
	v_lshl_add_u64 v[18:19], v[80:81], 0, s[24:25]
	v_lshl_add_u64 v[18:19], v[18:19], 0, v[78:79]
	global_load_ushort v38, v[18:19], off offset:256
	global_load_ushort v39, v[18:19], off
	global_load_ushort v40, v[18:19], off offset:768
	global_load_ushort v41, v[18:19], off offset:512
	;; [unrolled: 1-line block ×6, first 2 shown]
	s_load_dword s2, s[2:3], 0x0
	v_mfma_f32_16x16x16_bf16 a[12:15], v[42:43], v[36:37], a[12:15]
	global_load_ushort v36, v[18:19], off offset:320
	global_load_ushort v37, v[18:19], off offset:64
	s_and_b64 vcc, exec, s[0:1]
	v_mfma_f32_16x16x16_bf16 a[0:3], v[42:43], v[24:25], a[0:3]
	ds_read_b64 v[20:21], v123 offset:6144
	ds_read_b64 v[22:23], v124 offset:6144
	;; [unrolled: 1-line block ×4, first 2 shown]
	v_mfma_f32_16x16x16_bf16 a[4:7], v[42:43], v[28:29], a[4:7]
	s_waitcnt vmcnt(11) lgkmcnt(0)
	v_sub_f32_e32 v28, s2, v31
	v_mfma_f32_16x16x16_bf16 a[8:11], v[42:43], v[32:33], a[8:11]
	global_load_ushort v42, v[18:19], off offset:832
	global_load_ushort v43, v[18:19], off offset:576
	;; [unrolled: 1-line block ×6, first 2 shown]
	v_mfma_f32_16x16x16_bf16 a[0:3], v[150:151], v[20:21], a[0:3]
	s_waitcnt vmcnt(16)
	v_sub_f32_e32 v29, s2, v35
	v_mul_f32_e32 v28, 0x3fb8aa3b, v28
	v_mul_f32_e32 v29, 0x3fb8aa3b, v29
	v_exp_f32_e32 v28, v28
	v_exp_f32_e32 v29, v29
	s_waitcnt vmcnt(15)
	v_lshlrev_b32_e32 v33, 16, v38
	s_waitcnt vmcnt(14)
	v_lshlrev_b32_e32 v32, 16, v39
	v_accvgpr_read_b32 v21, a3
	v_accvgpr_read_b32 v20, a2
	v_mfma_f32_16x16x16_bf16 a[2:5], v[150:151], v[22:23], a[4:7]
	v_mfma_f32_16x16x16_bf16 a[6:9], v[150:151], v[24:25], a[8:11]
	s_nop 5
	v_accvgpr_read_b32 v23, a5
	v_accvgpr_read_b32 v22, a4
	;; [unrolled: 1-line block ×4, first 2 shown]
	v_mfma_f32_16x16x16_bf16 a[8:11], v[150:151], v[26:27], a[12:15]
	v_sub_f32_e32 v26, s2, v30
	v_sub_f32_e32 v27, s2, v34
	v_mul_f32_e32 v26, 0x3fb8aa3b, v26
	v_mul_f32_e32 v27, 0x3fb8aa3b, v27
	v_exp_f32_e32 v26, v26
	v_exp_f32_e32 v27, v27
	v_accvgpr_read_b32 v35, a1
	v_accvgpr_read_b32 v34, a0
	v_lshl_add_u64 v[30:31], v[82:83], 0, s[24:25]
	v_pk_add_f32 v[32:33], v[32:33], v[34:35] neg_lo:[0,1] neg_hi:[0,1]
	s_waitcnt vmcnt(13)
	v_lshlrev_b32_e32 v35, 16, v40
	s_waitcnt vmcnt(12)
	v_lshlrev_b32_e32 v34, 16, v41
	v_lshl_add_u64 v[30:31], v[30:31], 0, v[78:79]
	v_pk_add_f32 v[20:21], v[34:35], v[20:21] neg_lo:[0,1] neg_hi:[0,1]
	global_store_short_d16_hi v[30:31], v32, off
	global_store_short_d16_hi v[30:31], v33, off offset:256
	global_store_short_d16_hi v[30:31], v20, off offset:512
	;; [unrolled: 1-line block ×3, first 2 shown]
	v_pk_mul_f32 v[32:33], v[26:27], v[32:33]
	v_pk_mul_f32 v[20:21], v[28:29], v[20:21]
	v_accvgpr_read_b32 v35, a3
	v_perm_b32 v21, v21, v20, s39
	v_perm_b32 v20, v33, v32, s39
	s_waitcnt vmcnt(15)
	v_lshlrev_b32_e32 v33, 16, v44
	s_waitcnt vmcnt(14)
	v_lshlrev_b32_e32 v32, 16, v152
	v_accvgpr_read_b32 v34, a2
	v_pk_add_f32 v[32:33], v[32:33], v[34:35] neg_lo:[0,1] neg_hi:[0,1]
	s_waitcnt vmcnt(13)
	v_lshlrev_b32_e32 v35, 16, v153
	s_waitcnt vmcnt(12)
	v_lshlrev_b32_e32 v34, 16, v154
	v_pk_add_f32 v[22:23], v[34:35], v[22:23] neg_lo:[0,1] neg_hi:[0,1]
	global_store_short_d16_hi v[30:31], v32, off offset:32
	global_store_short_d16_hi v[30:31], v33, off offset:288
	;; [unrolled: 1-line block ×4, first 2 shown]
	v_pk_mul_f32 v[32:33], v[26:27], v[32:33]
	v_pk_mul_f32 v[22:23], v[28:29], v[22:23]
	v_accvgpr_read_b32 v25, a11
	v_perm_b32 v23, v23, v22, s39
	v_perm_b32 v22, v33, v32, s39
	ds_write2_b64 v100, v[20:21], v[22:23] offset1:16
	v_accvgpr_read_b32 v23, a7
	s_waitcnt vmcnt(15)
	v_lshlrev_b32_e32 v21, 16, v36
	s_waitcnt vmcnt(14)
	v_lshlrev_b32_e32 v20, 16, v37
	v_accvgpr_read_b32 v22, a6
	v_pk_add_f32 v[20:21], v[20:21], v[22:23] neg_lo:[0,1] neg_hi:[0,1]
	global_store_short_d16_hi v[30:31], v20, off offset:64
	global_store_short_d16_hi v[30:31], v21, off offset:320
	v_pk_mul_f32 v[20:21], v[26:27], v[20:21]
	v_accvgpr_read_b32 v24, a10
	v_perm_b32 v20, v21, v20, s39
	v_mov_b32_e32 v150, 0
	v_mov_b32_e32 v32, 0
	;; [unrolled: 1-line block ×3, first 2 shown]
	s_waitcnt vmcnt(15)
	v_lshlrev_b32_e32 v23, 16, v42
	s_waitcnt vmcnt(14)
	v_lshlrev_b32_e32 v22, 16, v43
	v_pk_add_f32 v[18:19], v[22:23], v[18:19] neg_lo:[0,1] neg_hi:[0,1]
	global_store_short_d16_hi v[30:31], v18, off offset:576
	global_store_short_d16_hi v[30:31], v19, off offset:832
	v_pk_mul_f32 v[18:19], v[28:29], v[18:19]
	v_accvgpr_read_b32 v23, a9
	v_perm_b32 v21, v19, v18, s39
	s_waitcnt vmcnt(15)
	v_lshlrev_b32_e32 v19, 16, v155
	s_waitcnt vmcnt(14)
	v_lshlrev_b32_e32 v18, 16, v156
	v_accvgpr_read_b32 v22, a8
	v_pk_add_f32 v[18:19], v[18:19], v[22:23] neg_lo:[0,1] neg_hi:[0,1]
	s_waitcnt vmcnt(13)
	v_lshlrev_b32_e32 v23, 16, v157
	s_waitcnt vmcnt(12)
	v_lshlrev_b32_e32 v22, 16, v158
	v_pk_add_f32 v[22:23], v[22:23], v[24:25] neg_lo:[0,1] neg_hi:[0,1]
	global_store_short_d16_hi v[30:31], v18, off offset:96
	global_store_short_d16_hi v[30:31], v19, off offset:352
	;; [unrolled: 1-line block ×4, first 2 shown]
	v_pk_mul_f32 v[18:19], v[26:27], v[18:19]
	v_pk_mul_f32 v[22:23], v[28:29], v[22:23]
	v_mov_b32_e32 v24, 0
	v_perm_b32 v23, v23, v22, s39
	v_perm_b32 v22, v19, v18, s39
	ds_write2_b64 v100, v[20:21], v[22:23] offset0:32 offset1:48
	v_mov_b32_e32 v18, 0
	v_mov_b32_e32 v19, 0
	;; [unrolled: 1-line block ×13, first 2 shown]
	s_cbranch_vccnz .LBB207_14
; %bb.13:                               ;   in Loop: Header=BB207_6 Depth=1
	s_and_b32 s29, s29, 0xffff
	s_mov_b32 s31, s27
	buffer_load_dwordx4 v[30:33], v133, s[28:31], 0 offen
	buffer_load_dwordx4 v[22:25], v133, s[28:31], s58 offen
	;; [unrolled: 1-line block ×4, first 2 shown]
	v_mov_b32_e32 v149, v94
	v_mov_b32_e32 v150, v93
.LBB207_14:                             ;   in Loop: Header=BB207_6 Depth=1
	s_waitcnt lgkmcnt(0)
	s_barrier
	ds_read_b64 v[42:43], v138
	ds_read2_b64 v[34:37], v129 offset1:16
	ds_read_b64 v[168:169], v139
	ds_read_b64 v[170:171], v140
	;; [unrolled: 1-line block ×3, first 2 shown]
	ds_read2_b64 v[38:41], v129 offset0:32 offset1:48
	ds_read2st64_b64 v[152:155], v129 offset0:4 offset1:8
	ds_read2st64_b64 v[156:159], v130 offset0:4 offset1:8
	ds_read2st64_b64 v[160:163], v131 offset0:4 offset1:8
	ds_read2st64_b64 v[164:167], v132 offset0:4 offset1:8
	s_waitcnt lgkmcnt(8)
	v_mfma_f32_16x16x16_bf16 a[0:3], v[42:43], v[34:35], 0
	s_add_i32 s3, s52, s67
	s_mul_hi_i32 s25, s3, s17
	s_mul_i32 s3, s3, s17
	v_mfma_f32_16x16x16_bf16 a[4:7], v[42:43], v[36:37], 0
	s_add_u32 s24, s3, s33
	s_addc_u32 s25, s25, s56
	s_add_i32 s3, s37, s60
	s_waitcnt lgkmcnt(4)
	v_mfma_f32_16x16x16_bf16 a[8:11], v[42:43], v[38:39], 0
	s_lshl_b64 s[24:25], s[24:25], 15
	s_mul_hi_i32 s29, s3, s17
	s_mul_i32 s3, s3, s17
	v_mfma_f32_16x16x16_bf16 a[12:15], v[42:43], v[40:41], 0
	ds_read_b64 v[42:43], v129 offset:6144
	ds_read_b64 v[180:181], v130 offset:6144
	ds_read_b64 v[182:183], v131 offset:6144
	ds_read_b64 v[184:185], v132 offset:6144
	s_add_u32 s28, s3, s33
	s_waitcnt lgkmcnt(7)
	v_mfma_f32_16x16x16_bf16 a[0:3], v[168:169], v[152:153], a[0:3]
	s_addc_u32 s29, s29, s56
	s_lshl_b64 s[28:29], s[28:29], 9
	s_add_u32 s28, s42, s28
	s_waitcnt lgkmcnt(6)
	v_mfma_f32_16x16x16_bf16 a[4:7], v[168:169], v[156:157], a[4:7]
	s_addc_u32 s29, s43, s29
	v_lshl_add_u64 v[190:191], v[84:85], 0, s[24:25]
	s_waitcnt lgkmcnt(5)
	v_mfma_f32_16x16x16_bf16 a[8:11], v[168:169], v[160:161], a[8:11]
	s_waitcnt lgkmcnt(4)
	v_mfma_f32_16x16x16_bf16 a[12:15], v[168:169], v[164:165], a[12:15]
	ds_read_b64 v[168:169], v143
	ds_read_b64 v[178:179], v144
	;; [unrolled: 1-line block ×3, first 2 shown]
	s_waitcnt lgkmcnt(2)
	v_mfma_f32_16x16x16_bf16 a[16:19], v[168:169], v[34:35], 0
	v_mfma_f32_16x16x16_bf16 a[20:23], v[168:169], v[36:37], 0
	global_load_dwordx4 v[34:37], v142, s[28:29]
	v_mfma_f32_16x16x16_bf16 a[24:27], v[168:169], v[38:39], 0
	v_mfma_f32_16x16x16_bf16 a[28:31], v[168:169], v[40:41], 0
	global_load_dwordx4 v[38:41], v137, s[28:29]
	v_mfma_f32_16x16x16_bf16 a[0:3], v[170:171], v[154:155], a[0:3]
	v_mfma_f32_16x16x16_bf16 a[4:7], v[170:171], v[158:159], a[4:7]
	;; [unrolled: 1-line block ×8, first 2 shown]
	ds_read2st64_b64 v[168:171], v127 offset1:8
	ds_read2st64_b64 v[172:175], v128 offset1:8
	ds_read_b64 v[188:189], v135 offset:40960
	s_waitcnt lgkmcnt(2)
	v_mov_b32_e32 v176, v168
	v_mfma_f32_16x16x16_bf16 a[16:19], v[178:179], v[152:153], a[16:19]
	v_mov_b32_e32 v177, v169
	v_mfma_f32_16x16x16_bf16 a[20:23], v[178:179], v[156:157], a[20:23]
	v_mfma_f32_16x16x16_bf16 a[24:27], v[178:179], v[160:161], a[24:27]
	;; [unrolled: 1-line block ×3, first 2 shown]
	v_add_co_u32_e32 v164, vcc, s64, v190
	s_waitcnt lgkmcnt(1)
	v_mov_b32_e32 v178, v172
	s_waitcnt lgkmcnt(0)
	v_mfma_f32_16x16x16_bf16 a[16:19], v[188:189], v[154:155], a[16:19]
	ds_read2st64_b64 v[152:155], v127 offset0:16 offset1:24
	v_addc_co_u32_e32 v165, vcc, 0, v191, vcc
	v_mfma_f32_16x16x16_bf16 a[20:23], v[188:189], v[158:159], a[20:23]
	ds_read2st64_b64 v[156:159], v128 offset0:16 offset1:24
	v_mov_b32_e32 v179, v173
	v_mov_b32_e32 v172, v170
	v_mfma_f32_16x16x16_bf16 a[32:35], v[188:189], v[162:163], a[24:27]
	v_mov_b32_e32 v173, v171
	s_waitcnt lgkmcnt(0)
	v_mov_b32_e32 v162, v156
	v_mov_b32_e32 v163, v157
	v_mfma_f32_16x16x16_bf16 a[36:39], v[188:189], v[166:167], a[28:31]
	v_mov_b32_e32 v156, v154
	v_mov_b32_e32 v157, v155
	;; [unrolled: 1-line block ×3, first 2 shown]
	v_mfma_f32_16x16x16_bf16 a[24:27], v[186:187], v[42:43], a[16:19]
	v_add_co_u32_e32 v42, vcc, s65, v190
	v_mov_b32_e32 v161, v153
	v_mfma_f32_16x16x16_bf16 a[28:31], v[186:187], v[180:181], a[20:23]
	v_addc_co_u32_e32 v43, vcc, 0, v191, vcc
	global_store_dwordx4 v[42:43], v[156:159], off
	v_mfma_f32_16x16x16_bf16 a[16:19], v[186:187], v[182:183], a[32:35]
	s_waitcnt vmcnt(2)
	v_mov_b32_e32 v44, v37
	v_mov_b32_e32 v43, v36
	;; [unrolled: 1-line block ×3, first 2 shown]
	v_mfma_f32_16x16x16_bf16 a[20:23], v[186:187], v[184:185], a[36:39]
	s_and_b64 vcc, exec, s[0:1]
	global_store_dwordx4 v[190:191], v[176:179], off
	global_store_dwordx4 v[164:165], v[172:175], off offset:-4096
	global_store_dwordx4 v[164:165], v[160:163], off
	s_cbranch_vccnz .LBB207_16
; %bb.15:                               ;   in Loop: Header=BB207_6 Depth=1
	v_lshrrev_b32_e32 v35, 3, v149
	v_and_b32_e32 v35, 6, v35
	v_xor_b32_e32 v36, v35, v150
	v_lshlrev_b32_e32 v36, 2, v36
	v_and_b32_e32 v37, 8, v149
	v_xor_b32_e32 v149, 0x440, v36
	v_cmp_eq_u32_e32 vcc, 0, v37
	v_perm_b32 v37, v22, v18, s61
	s_nop 0
	v_cndmask_b32_e32 v36, v149, v36, vcc
	v_lshl_or_b32 v35, v35, 10, v36
	v_perm_b32 v36, v30, v26, s61
	s_barrier
	ds_write2st64_b32 v35, v36, v37 offset0:128 offset1:160
	v_xor_b32_e32 v36, 8, v35
	v_perm_b32 v26, v30, v26, s62
	v_perm_b32 v18, v22, v18, s62
	v_add_u32_e32 v22, 0x80, v36
	ds_write2st64_b32 v22, v26, v18 offset0:128 offset1:160
	v_xor_b32_e32 v18, 16, v35
	v_perm_b32 v22, v31, v27, s61
	v_perm_b32 v26, v23, v19, s61
	ds_write2st64_b32 v18, v22, v26 offset0:129 offset1:161
	v_xor_b32_e32 v18, 24, v35
	v_perm_b32 v22, v31, v27, s62
	v_perm_b32 v19, v23, v19, s62
	v_add_u32_e32 v18, 0x80, v18
	ds_write2st64_b32 v18, v22, v19 offset0:129 offset1:161
	v_xor_b32_e32 v18, 32, v35
	v_perm_b32 v19, v32, v28, s61
	v_perm_b32 v22, v24, v20, s61
	;; [unrolled: 9-line block ×3, first 2 shown]
	ds_write2st64_b32 v18, v19, v20 offset0:131 offset1:163
	v_xor_b32_e32 v18, 56, v35
	v_perm_b32 v19, v33, v29, s62
	v_perm_b32 v20, v25, v21, s62
	v_add_u32_e32 v18, 0x80, v18
	ds_write2st64_b32 v18, v19, v20 offset0:131 offset1:163
	ds_write_b64 v148, v[14:15] offset:49152
	v_xor_b32_e32 v14, 8, v148
	ds_write_b64 v14, v[16:17] offset:49152
	ds_write_b64 v148, v[10:11] offset:57344
	;; [unrolled: 1-line block ×4, first 2 shown]
	v_xor_b32_e32 v6, 8, v147
	ds_write_b64 v6, v[8:9] offset:49152
	ds_write_b64 v147, v[2:3] offset:57344
	;; [unrolled: 1-line block ×3, first 2 shown]
.LBB207_16:                             ;   in Loop: Header=BB207_6 Depth=1
	v_mul_f32_e32 v26, s2, v146
	v_exp_f32_e32 v36, v26
	s_waitcnt vmcnt(4)
	v_mul_f32_e32 v26, 0x3fb8aa3b, v38
	v_exp_f32_e32 v38, v26
	v_mul_f32_e32 v26, 0x3fb8aa3b, v39
	v_exp_f32_e32 v39, v26
	;; [unrolled: 2-line block ×4, first 2 shown]
	v_accvgpr_read_b32 v5, a3
	v_accvgpr_read_b32 v4, a2
	;; [unrolled: 1-line block ×4, first 2 shown]
	v_pk_mul_f32 v[38:39], v[36:37], v[38:39] op_sel_hi:[0,1]
	v_pk_mul_f32 v[40:41], v[36:37], v[40:41] op_sel_hi:[0,1]
	v_pk_fma_f32 v[74:75], v[74:75], v[38:39], v[2:3]
	v_pk_fma_f32 v[76:77], v[76:77], v[40:41], v[4:5]
	v_mul_f32_e32 v2, 0x3fb8aa3b, v34
	v_mul_f32_e32 v3, 0x3fb8aa3b, v42
	;; [unrolled: 1-line block ×4, first 2 shown]
	v_exp_f32_e32 v2, v2
	v_exp_f32_e32 v3, v3
	;; [unrolled: 1-line block ×4, first 2 shown]
	v_accvgpr_read_b32 v9, a7
	v_accvgpr_read_b32 v13, a11
	;; [unrolled: 1-line block ×28, first 2 shown]
	v_pk_mul_f32 v[2:3], v[36:37], v[2:3] op_sel_hi:[0,1]
	v_pk_mul_f32 v[4:5], v[36:37], v[4:5] op_sel_hi:[0,1]
	s_add_i32 s60, s60, 64
	v_pk_fma_f32 v[66:67], v[38:39], v[66:67], v[6:7]
	v_pk_fma_f32 v[68:69], v[40:41], v[68:69], v[8:9]
	;; [unrolled: 1-line block ×13, first 2 shown]
	s_cmp_eq_u32 s49, s66
	v_pk_fma_f32 v[50:51], v[4:5], v[50:51], v[32:33]
	s_cbranch_scc1 .LBB207_18
; %bb.17:                               ;   in Loop: Header=BB207_6 Depth=1
	s_mov_b32 s67, s66
	s_branch .LBB207_6
.LBB207_18:
	s_lshl_b32 s42, s49, 6
	s_sub_i32 s43, s16, s42
	s_cmp_gt_i32 s43, 0
	s_cbranch_scc0 .LBB207_99
; %bb.19:
	s_ashr_i32 s39, s50, 31
	s_ashr_i32 s2, s42, 31
	s_cmpk_lg_i32 s19, 0x80
	s_cselect_b64 s[30:31], -1, 0
	s_and_b64 vcc, exec, s[30:31]
	s_cbranch_vccz .LBB207_21
; %bb.20:
	s_mul_i32 s1, s50, s16
	s_mul_hi_i32 s0, s50, s16
	s_add_u32 s1, s1, s42
	s_addc_u32 s0, s0, s2
	s_mul_i32 s3, s1, s51
	s_mul_hi_u32 s24, s1, s18
	s_add_i32 s3, s24, s3
	s_mul_i32 s0, s0, s18
	s_add_i32 s3, s3, s0
	s_mul_i32 s1, s1, s18
	s_ashr_i32 s0, s54, 31
	s_add_u32 s40, s1, s54
	s_addc_u32 s41, s3, s0
	s_cbranch_execz .LBB207_22
	s_branch .LBB207_23
.LBB207_21:
                                        ; implicit-def: $sgpr40_sgpr41
.LBB207_22:
	s_mul_hi_i32 s0, s50, s18
	s_mul_i32 s50, s50, s18
	s_ashr_i32 s1, s54, 31
	s_add_u32 s3, s50, s54
	s_addc_u32 s0, s0, s1
	s_mul_i32 s1, s3, s48
	s_mul_hi_u32 s18, s3, s16
	s_add_i32 s1, s18, s1
	s_mul_i32 s0, s0, s16
	s_add_i32 s1, s1, s0
	s_mul_i32 s3, s3, s16
	s_add_u32 s40, s3, s42
	s_addc_u32 s41, s1, s2
.LBB207_23:
	s_add_i32 s3, s52, s49
	s_ashr_i32 s18, s33, 31
	s_add_u32 s0, s47, s33
	s_addc_u32 s1, s53, s18
	s_mul_i32 s24, s0, s48
	s_mul_hi_u32 s25, s0, s16
	s_add_i32 s24, s25, s24
	s_mul_i32 s1, s1, s16
	s_add_i32 s24, s24, s1
	s_mul_i32 s0, s0, s16
	s_add_u32 s0, s0, s42
	v_lshlrev_b32_e32 v6, 6, v91
	v_lshlrev_b32_e32 v24, 2, v45
	s_addc_u32 s1, s24, s2
	s_mov_b32 s2, 0x7060302
	v_or_b32_e32 v9, v6, v24
	v_xor_b32_e32 v7, v91, v24
	v_perm_b32 v3, v77, v76, s2
	v_perm_b32 v2, v75, v74, s2
	v_perm_b32 v5, v73, v72, s2
	v_perm_b32 v4, v71, v70, s2
	v_lshlrev_b32_e32 v9, 1, v9
	v_xor_b32_e32 v8, v92, v24
	ds_write2st64_b64 v9, v[2:3], v[4:5] offset0:32 offset1:48
	v_lshlrev_b32_e32 v7, 1, v7
	v_lshlrev_b32_e32 v9, 8, v45
	v_or_b32_e32 v10, v7, v9
	v_lshlrev_b32_e32 v8, 1, v8
	ds_write_b64 v10, v[2:3]
	v_or_b32_e32 v2, v8, v9
	v_or_b32_e32 v9, 16, v45
	v_lshlrev_b32_e32 v23, 2, v9
	v_or_b32_e32 v10, v6, v23
	ds_write_b64 v2, v[4:5]
	v_perm_b32 v3, v69, v68, s2
	v_perm_b32 v2, v67, v66, s2
	;; [unrolled: 1-line block ×4, first 2 shown]
	v_lshlrev_b32_e32 v10, 1, v10
	v_lshlrev_b32_e32 v9, 8, v9
	ds_write2st64_b64 v10, v[2:3], v[4:5] offset0:32 offset1:48
	v_or_b32_e32 v10, v7, v9
	ds_write_b64 v10, v[2:3]
	v_or_b32_e32 v2, v8, v9
	v_or_b32_e32 v9, 32, v45
	v_lshlrev_b32_e32 v22, 2, v9
	v_or_b32_e32 v10, v6, v22
	s_lshl_b64 s[28:29], s[0:1], 8
	ds_write_b64 v2, v[4:5]
	v_perm_b32 v3, v61, v60, s2
	v_perm_b32 v2, v59, v58, s2
	;; [unrolled: 1-line block ×4, first 2 shown]
	v_lshlrev_b32_e32 v10, 1, v10
	v_lshlrev_b32_e32 v9, 8, v9
	s_add_u32 s0, s6, s28
	ds_write2st64_b64 v10, v[2:3], v[4:5] offset0:32 offset1:48
	v_or_b32_e32 v10, v7, v9
	s_addc_u32 s1, s7, s29
	ds_write_b64 v10, v[2:3]
	v_or_b32_e32 v2, v8, v9
	v_or_b32_e32 v9, 48, v45
	s_mul_hi_i32 s6, s3, s17
	s_mul_i32 s3, s3, s17
	ds_write_b64 v2, v[4:5]
	v_perm_b32 v3, v47, v46, s2
	v_perm_b32 v2, v53, v52, s2
	;; [unrolled: 1-line block ×4, first 2 shown]
	v_lshlrev_b32_e32 v19, 2, v9
	s_add_u32 s2, s3, s33
	v_or_b32_e32 v6, v6, v19
	s_addc_u32 s3, s6, s18
	v_lshlrev_b32_e32 v6, 1, v6
	s_ashr_i32 s37, s36, 31
	s_lshl_b64 s[2:3], s[2:3], 15
	ds_write2st64_b64 v6, v[2:3], v[4:5] offset0:32 offset1:48
	v_lshlrev_b32_e32 v6, 8, v9
	s_add_u32 s6, s12, s2
	v_or_b32_e32 v7, v7, v6
	s_addc_u32 s7, s13, s3
	s_lshl_b64 s[2:3], s[36:37], 8
	ds_write_b64 v7, v[2:3]
	v_or_b32_e32 v2, v8, v6
	s_add_u32 s2, s6, s2
	v_lshlrev_b32_e32 v3, 1, v45
	ds_write_b64 v2, v[4:5]
	v_lshrrev_b32_e32 v2, 4, v0
	s_addc_u32 s3, s7, s3
	v_or_b32_e32 v4, 1, v3
	v_lshlrev_b32_e32 v10, 4, v45
	v_mov_b32_e32 v11, 0
	v_xor_b32_e32 v3, v2, v3
	v_xor_b32_e32 v6, v4, v2
	v_lshl_add_u64 v[12:13], s[2:3], 0, v[10:11]
	v_lshlrev_b32_e32 v10, 8, v2
	v_lshl_or_b32 v16, v3, 3, v10
	v_lshl_or_b32 v17, v6, 3, v10
	s_waitcnt lgkmcnt(0)
	s_barrier
	ds_read2st64_b64 v[2:5], v16 offset1:8
	ds_read2st64_b64 v[6:9], v17 offset1:8
	v_lshl_add_u64 v[14:15], v[12:13], 0, v[10:11]
	s_movk_i32 s2, 0x2000
	s_cmp_lg_u32 s43, 64
	s_waitcnt lgkmcnt(1)
	v_mov_b32_e32 v10, v2
	v_mov_b32_e32 v11, v3
	s_waitcnt lgkmcnt(0)
	v_mov_b32_e32 v12, v6
	v_mov_b32_e32 v13, v7
	global_store_dwordx4 v[14:15], v[10:13], off
	v_mov_b32_e32 v6, v4
	v_mov_b32_e32 v7, v5
	ds_read2st64_b64 v[2:5], v16 offset0:16 offset1:24
	ds_read2st64_b64 v[10:13], v17 offset0:16 offset1:24
	v_add_co_u32_e32 v16, vcc, s2, v14
	s_cselect_b64 s[6:7], -1, 0
	s_nop 0
	v_addc_co_u32_e32 v17, vcc, 0, v15, vcc
	global_store_dwordx4 v[16:17], v[6:9], off offset:-4096
	v_lshl_or_b32 v25, v87, 3, v90
	s_mov_b32 s24, 0
	s_waitcnt lgkmcnt(1)
	v_mov_b32_e32 v6, v2
	v_add_co_u32_e32 v2, vcc, 0x3000, v14
	v_mov_b32_e32 v7, v3
	s_nop 0
	v_addc_co_u32_e32 v3, vcc, 0, v15, vcc
	s_waitcnt lgkmcnt(0)
	v_mov_b32_e32 v8, v10
	v_mov_b32_e32 v9, v11
	;; [unrolled: 1-line block ×4, first 2 shown]
	v_or_b32_e32 v20, 32, v25
	v_and_b32_e32 v18, 56, v89
	s_and_b64 vcc, exec, s[6:7]
	global_store_dwordx4 v[16:17], v[6:9], off
	global_store_dwordx4 v[2:3], v[10:13], off
	s_cbranch_vccz .LBB207_29
; %bb.24:
	s_mov_b32 s25, s24
	s_mov_b32 s26, s24
	;; [unrolled: 1-line block ×3, first 2 shown]
	v_mov_b64_e32 v[6:7], s[24:25]
	v_mov_b64_e32 v[8:9], s[26:27]
	;; [unrolled: 1-line block ×3, first 2 shown]
	v_cmp_gt_i32_e32 vcc, s43, v25
	v_mov_b64_e32 v[4:5], v[8:9]
	s_and_saveexec_b64 s[2:3], vcc
	s_cbranch_execz .LBB207_26
; %bb.25:
	v_lshlrev_b32_e32 v2, 8, v25
	v_mov_b32_e32 v3, 0
	v_lshl_add_u64 v[4:5], s[0:1], 0, v[2:3]
	v_lshlrev_b32_e32 v2, 1, v18
	v_lshl_add_u64 v[10:11], v[4:5], 0, v[2:3]
	global_load_dwordx4 v[6:9], v[10:11], off
	global_load_dwordx4 v[2:5], v[10:11], off offset:128
.LBB207_26:
	s_or_b64 exec, exec, s[2:3]
	s_mov_b32 s25, s24
	s_mov_b32 s26, s24
	;; [unrolled: 1-line block ×3, first 2 shown]
	v_mov_b64_e32 v[14:15], s[24:25]
	v_mov_b64_e32 v[16:17], s[26:27]
	;; [unrolled: 1-line block ×3, first 2 shown]
	v_cmp_gt_i32_e32 vcc, s43, v20
	v_lshlrev_b32_e32 v21, 7, v20
	v_mov_b64_e32 v[12:13], v[16:17]
	s_and_saveexec_b64 s[2:3], vcc
	s_cbranch_execz .LBB207_28
; %bb.27:
	v_lshlrev_b32_e32 v10, 1, v21
	v_mov_b32_e32 v11, 0
	v_lshl_add_u64 v[12:13], s[0:1], 0, v[10:11]
	v_lshlrev_b32_e32 v10, 1, v18
	v_lshl_add_u64 v[26:27], v[12:13], 0, v[10:11]
	global_load_dwordx4 v[14:17], v[26:27], off
	global_load_dwordx4 v[10:13], v[26:27], off offset:128
.LBB207_28:
	s_or_b64 exec, exec, s[2:3]
	v_lshrrev_b32_e32 v26, 3, v18
	v_lshlrev_b32_e32 v27, 3, v25
	v_or_b32_e32 v26, v27, v26
	v_lshlrev_b32_e32 v26, 4, v26
	v_and_b32_e32 v27, 0x78, v27
	v_xor_b32_e32 v26, v26, v27
	s_branch .LBB207_31
.LBB207_29:
                                        ; implicit-def: $vgpr26
                                        ; implicit-def: $vgpr21
                                        ; implicit-def: $vgpr6_vgpr7_vgpr8_vgpr9
                                        ; implicit-def: $vgpr2_vgpr3_vgpr4_vgpr5
                                        ; implicit-def: $vgpr14_vgpr15_vgpr16_vgpr17
                                        ; implicit-def: $vgpr10_vgpr11_vgpr12_vgpr13
	s_cbranch_execz .LBB207_31
; %bb.30:
	s_waitcnt vmcnt(0)
	v_lshlrev_b32_e32 v2, 1, v18
	v_lshl_or_b32 v21, v25, 8, v2
	s_and_b32 s1, s1, 0xffff
	s_mov_b32 s3, 0x20000
	s_movk_i32 s2, 0x4000
	v_lshl_or_b32 v26, v20, 8, v2
	s_movk_i32 s12, 0x80
	buffer_load_dwordx4 v[6:9], v21, s[0:3], 0 offen
	buffer_load_dwordx4 v[2:5], v21, s[0:3], s12 offen
	;; [unrolled: 1-line block ×4, first 2 shown]
	v_lshrrev_b32_e32 v21, 3, v18
	v_lshlrev_b32_e32 v26, 3, v25
	v_or_b32_e32 v21, v26, v21
	v_lshlrev_b32_e32 v21, 4, v21
	v_and_b32_e32 v26, 0x78, v26
	v_xor_b32_e32 v26, v21, v26
	v_lshlrev_b32_e32 v21, 7, v20
.LBB207_31:
	s_movk_i32 s0, 0x1000
	v_and_or_b32 v20, v21, s0, v26
	s_waitcnt vmcnt(1)
	ds_write_b64 v26, v[6:7] offset:49152
	v_xor_b32_e32 v6, 8, v26
	ds_write_b64 v6, v[8:9] offset:49152
	s_waitcnt vmcnt(0)
	ds_write_b64 v26, v[2:3] offset:57344
	ds_write_b64 v6, v[4:5] offset:57344
	;; [unrolled: 1-line block ×3, first 2 shown]
	v_xor_b32_e32 v2, 8, v20
	ds_write_b64 v2, v[16:17] offset:49152
	ds_write_b64 v20, v[10:11] offset:57344
	;; [unrolled: 1-line block ×3, first 2 shown]
	v_or_b32_e32 v2, v1, v45
	v_lshlrev_b32_e32 v3, 11, v87
	v_lshlrev_b32_e32 v2, 3, v2
	v_and_b32_e32 v6, 0x1000, v3
	v_lshrrev_b32_e32 v3, 5, v86
	s_movk_i32 s0, 0xf8
	v_and_or_b32 v3, v2, s0, v3
	v_lshlrev_b32_e32 v7, 4, v3
	v_and_b32_e32 v8, 0x78, v2
	v_or_b32_e32 v10, 32, v7
	v_lshrrev_b32_e32 v3, 1, v86
	v_xor_b32_e32 v10, v10, v8
	v_xor_b32_e32 v2, v7, v8
	v_and_b32_e32 v9, 8, v3
	v_or_b32_e32 v10, v10, v6
	v_or_b32_e32 v2, v2, v6
	v_xor_b32_e32 v28, v10, v9
	v_or_b32_e32 v10, 64, v7
	v_xor_b32_e32 v27, v2, v9
	v_xor_b32_e32 v10, v10, v8
	s_waitcnt lgkmcnt(0)
	s_barrier
	v_or_b32_e32 v13, v10, v6
	ds_read_b64 v[10:11], v27 offset:49152
	v_lshl_or_b32 v14, v88, 8, v24
	v_lshlrev_b32_e32 v26, 1, v14
	v_add_u32_e32 v12, 0x4000, v26
	ds_read2_b64 v[2:5], v12 offset1:16
	v_or_b32_e32 v7, 0x60, v7
	v_xor_b32_e32 v7, v7, v8
	v_or_b32_e32 v6, v7, v6
	v_xor_b32_e32 v29, v13, v9
	v_xor_b32_e32 v30, v6, v9
	ds_read_b64 v[20:21], v28 offset:49152
	ds_read_b64 v[34:35], v29 offset:49152
	;; [unrolled: 1-line block ×3, first 2 shown]
	s_waitcnt lgkmcnt(3)
	v_mfma_f32_16x16x16_bf16 a[0:3], v[10:11], v[2:3], 0
	ds_read2_b64 v[6:9], v12 offset0:32 offset1:48
	s_lshl_b64 s[0:1], s[40:41], 8
	s_add_u32 s4, s4, s0
	v_mfma_f32_16x16x16_bf16 a[4:7], v[10:11], v[4:5], 0
	ds_read2st64_b64 v[2:5], v26 offset0:36 offset1:40
	s_addc_u32 s5, s5, s1
	s_add_i32 s2, s16, -1
	s_waitcnt lgkmcnt(1)
	v_mfma_f32_16x16x16_bf16 a[8:11], v[10:11], v[6:7], 0
	v_or_b32_e32 v6, 64, v14
	v_lshlrev_b32_e32 v31, 1, v6
	s_add_i32 s0, s46, s21
	s_waitcnt lgkmcnt(0)
	v_mfma_f32_16x16x16_bf16 a[0:3], v[20:21], v[2:3], a[0:3]
	v_or_b32_e32 v2, 0x80, v14
	v_lshlrev_b32_e32 v32, 1, v2
	v_or_b32_e32 v2, 0xc0, v14
	v_mfma_f32_16x16x16_bf16 a[12:15], v[10:11], v[8:9], 0
	ds_read2st64_b64 v[6:9], v31 offset0:36 offset1:40
	v_lshlrev_b32_e32 v33, 1, v2
	ds_read2st64_b64 v[10:13], v32 offset0:36 offset1:40
	ds_read2st64_b64 v[14:17], v33 offset0:36 offset1:40
	s_mul_i32 s39, s39, s20
	s_add_i32 s39, s0, s39
	s_mul_i32 s0, s33, s23
	s_mul_hi_u32 s1, s33, s22
	s_ashr_i32 s3, s2, 31
	s_mul_i32 s12, s2, s35
	s_mul_hi_u32 s13, s2, s34
	s_waitcnt lgkmcnt(2)
	v_mfma_f32_16x16x16_bf16 a[4:7], v[20:21], v[6:7], a[4:7]
	s_add_i32 s0, s1, s0
	s_mul_i32 s1, s18, s22
	s_add_i32 s12, s13, s12
	s_mul_i32 s3, s3, s34
	s_waitcnt lgkmcnt(1)
	v_mfma_f32_16x16x16_bf16 a[8:11], v[20:21], v[10:11], a[8:11]
	s_add_i32 s1, s0, s1
	s_add_i32 s3, s12, s3
	s_lshl_b64 s[12:13], s[38:39], 2
	s_waitcnt lgkmcnt(0)
	v_mfma_f32_16x16x16_bf16 a[12:15], v[20:21], v[14:15], a[12:15]
	s_mul_i32 s0, s33, s22
	s_add_u32 s10, s10, s12
	s_addc_u32 s11, s11, s13
	s_lshl_b64 s[0:1], s[0:1], 2
	v_mfma_f32_16x16x16_bf16 a[0:3], v[34:35], v[4:5], a[0:3]
	s_mul_i32 s2, s2, s34
	ds_read_b64 v[2:3], v26 offset:22528
	s_add_u32 s10, s10, s0
	v_mfma_f32_16x16x16_bf16 a[4:7], v[34:35], v[8:9], a[4:7]
	ds_read_b64 v[4:5], v31 offset:22528
	ds_read_b64 v[6:7], v32 offset:22528
	;; [unrolled: 1-line block ×3, first 2 shown]
	s_addc_u32 s11, s11, s1
	s_lshl_b64 s[0:1], s[2:3], 2
	v_mfma_f32_16x16x16_bf16 a[8:11], v[34:35], v[12:13], a[8:11]
	s_add_u32 s0, s10, s0
	s_addc_u32 s1, s11, s1
	s_load_dword s12, s[0:1], 0x0
	v_mfma_f32_16x16x16_bf16 a[12:15], v[34:35], v[16:17], a[12:15]
	s_and_b64 vcc, exec, s[30:31]
	s_waitcnt lgkmcnt(0)
	v_mfma_f32_16x16x16_bf16 a[0:3], v[36:37], v[2:3], a[0:3]
	v_mfma_f32_16x16x16_bf16 a[4:7], v[36:37], v[4:5], a[4:7]
	;; [unrolled: 1-line block ×4, first 2 shown]
	s_cbranch_vccz .LBB207_42
; %bb.32:
	v_lshlrev_b32_e32 v20, 1, v25
	s_and_b64 vcc, exec, s[6:7]
	s_cbranch_vccz .LBB207_43
; %bb.33:
	v_cmp_gt_i32_e32 vcc, s43, v20
	v_mov_b32_e32 v6, 0
	v_mov_b32_e32 v2, 0
	;; [unrolled: 1-line block ×5, first 2 shown]
	s_and_saveexec_b64 s[0:1], vcc
	s_cbranch_execz .LBB207_35
; %bb.34:
	v_mad_i64_i32 v[2:3], s[2:3], s19, v20, 0
	v_lshl_add_u64 v[2:3], v[2:3], 1, s[4:5]
	v_lshlrev_b32_e32 v4, 1, v18
	v_mov_b32_e32 v5, 0
	v_lshl_add_u64 v[2:3], v[2:3], 0, v[4:5]
	global_load_dwordx4 v[2:5], v[2:3], off
.LBB207_35:
	s_or_b64 exec, exec, s[0:1]
	v_or_b32_e32 v21, 1, v20
	v_cmp_gt_i32_e64 s[0:1], s43, v21
	v_mov_b32_e32 v7, 0
	v_mov_b32_e32 v8, 0
	;; [unrolled: 1-line block ×3, first 2 shown]
	s_and_saveexec_b64 s[2:3], s[0:1]
	s_cbranch_execz .LBB207_37
; %bb.36:
	v_mad_i64_i32 v[6:7], s[16:17], s19, v21, 0
	v_lshl_add_u64 v[6:7], v[6:7], 1, s[4:5]
	v_lshlrev_b32_e32 v8, 1, v18
	v_mov_b32_e32 v9, 0
	v_lshl_add_u64 v[6:7], v[6:7], 0, v[8:9]
	global_load_dwordx4 v[6:9], v[6:7], off
.LBB207_37:
	s_or_b64 exec, exec, s[2:3]
	v_mov_b32_e32 v17, 0
	v_mov_b32_e32 v10, 0
	;; [unrolled: 1-line block ×5, first 2 shown]
	s_and_saveexec_b64 s[2:3], vcc
	s_cbranch_execz .LBB207_39
; %bb.38:
	v_mad_i64_i32 v[10:11], s[16:17], s19, v20, 0
	v_lshl_add_u64 v[10:11], v[10:11], 1, s[4:5]
	v_lshlrev_b32_e32 v12, 1, v18
	v_mov_b32_e32 v13, 0
	v_lshl_add_u64 v[10:11], v[10:11], 0, v[12:13]
	global_load_dwordx4 v[10:13], v[10:11], off offset:128
.LBB207_39:
	s_or_b64 exec, exec, s[2:3]
	v_mov_b32_e32 v16, 0
	v_mov_b32_e32 v15, 0
	;; [unrolled: 1-line block ×3, first 2 shown]
	s_and_saveexec_b64 s[2:3], s[0:1]
	s_cbranch_execz .LBB207_41
; %bb.40:
	v_mad_i64_i32 v[14:15], s[0:1], s19, v21, 0
	v_lshl_add_u64 v[14:15], v[14:15], 1, s[4:5]
	v_lshlrev_b32_e32 v16, 1, v18
	v_mov_b32_e32 v17, 0
	v_lshl_add_u64 v[14:15], v[14:15], 0, v[16:17]
	global_load_dwordx4 v[14:17], v[14:15], off offset:128
.LBB207_41:
	s_or_b64 exec, exec, s[2:3]
	s_branch .LBB207_45
.LBB207_42:
                                        ; implicit-def: $vgpr5
                                        ; implicit-def: $vgpr9
                                        ; implicit-def: $vgpr13
                                        ; implicit-def: $vgpr17
	v_lshrrev_b32_e32 v34, 2, v86
	s_branch .LBB207_46
.LBB207_43:
                                        ; implicit-def: $vgpr5
                                        ; implicit-def: $vgpr9
                                        ; implicit-def: $vgpr13
                                        ; implicit-def: $vgpr17
	s_cbranch_execz .LBB207_45
; %bb.44:
	s_waitcnt vmcnt(0)
	v_mad_u64_u32 v[2:3], s[0:1], v20, s19, v[18:19]
	v_lshlrev_b32_e32 v20, 1, v2
	s_lshl_b32 s2, s19, 7
	s_and_b32 s1, s5, 0xffff
	s_mov_b32 s3, 0x20000
	s_mov_b32 s0, s4
	v_add_lshl_u32 v21, v2, s19, 1
	s_movk_i32 s13, 0x80
	buffer_load_dwordx4 v[2:5], v20, s[0:3], 0 offen
	buffer_load_dwordx4 v[10:13], v20, s[0:3], s13 offen
	;; [unrolled: 1-line block ×4, first 2 shown]
.LBB207_45:
	v_lshrrev_b32_e32 v34, 2, v86
	s_cbranch_execnz .LBB207_58
.LBB207_46:
	s_and_b64 vcc, exec, s[6:7]
	s_cbranch_vccz .LBB207_56
; %bb.47:
	s_waitcnt vmcnt(0)
	v_lshlrev_b32_e32 v7, 1, v25
	v_cmp_gt_i32_e32 vcc, s43, v7
	v_mov_b32_e32 v6, 0
	v_lshlrev_b32_e32 v14, 9, v25
	v_mov_b32_e32 v2, 0
	v_mov_b32_e32 v3, 0
	;; [unrolled: 1-line block ×4, first 2 shown]
	s_and_saveexec_b64 s[0:1], vcc
	s_cbranch_execz .LBB207_49
; %bb.48:
	v_mov_b32_e32 v15, 0
	v_lshl_add_u64 v[2:3], s[4:5], 0, v[14:15]
	v_lshlrev_b32_e32 v4, 1, v18
	v_mov_b32_e32 v5, v15
	v_lshl_add_u64 v[2:3], v[2:3], 0, v[4:5]
	global_load_dwordx4 v[2:5], v[2:3], off
.LBB207_49:
	s_or_b64 exec, exec, s[0:1]
	v_or_b32_e32 v7, 1, v7
	v_cmp_gt_i32_e64 s[0:1], s43, v7
	v_lshlrev_b32_e32 v20, 8, v7
	v_mov_b32_e32 v7, 0
	v_mov_b32_e32 v8, 0
	;; [unrolled: 1-line block ×3, first 2 shown]
	s_and_saveexec_b64 s[2:3], s[0:1]
	s_cbranch_execz .LBB207_51
; %bb.50:
	v_mov_b32_e32 v21, 0
	v_lshl_add_u64 v[6:7], s[4:5], 0, v[20:21]
	v_lshlrev_b32_e32 v8, 1, v18
	v_mov_b32_e32 v9, v21
	v_lshl_add_u64 v[6:7], v[6:7], 0, v[8:9]
	global_load_dwordx4 v[6:9], v[6:7], off
.LBB207_51:
	s_or_b64 exec, exec, s[2:3]
	v_mov_b32_e32 v17, 0
	v_mov_b32_e32 v10, 0
	;; [unrolled: 1-line block ×5, first 2 shown]
	s_and_saveexec_b64 s[2:3], vcc
	s_cbranch_execz .LBB207_53
; %bb.52:
	v_mov_b32_e32 v15, 0
	v_lshl_add_u64 v[10:11], s[4:5], 0, v[14:15]
	v_lshlrev_b32_e32 v14, 1, v18
	v_lshl_add_u64 v[10:11], v[10:11], 0, v[14:15]
	global_load_dwordx4 v[10:13], v[10:11], off offset:128
.LBB207_53:
	s_or_b64 exec, exec, s[2:3]
	v_mov_b32_e32 v16, 0
	v_mov_b32_e32 v15, 0
	;; [unrolled: 1-line block ×3, first 2 shown]
	s_and_saveexec_b64 s[2:3], s[0:1]
	s_cbranch_execz .LBB207_55
; %bb.54:
	v_mov_b32_e32 v21, 0
	v_lshl_add_u64 v[14:15], s[4:5], 0, v[20:21]
	v_lshlrev_b32_e32 v20, 1, v18
	v_lshl_add_u64 v[14:15], v[14:15], 0, v[20:21]
	global_load_dwordx4 v[14:17], v[14:15], off offset:128
.LBB207_55:
	s_or_b64 exec, exec, s[2:3]
	s_branch .LBB207_58
.LBB207_56:
                                        ; implicit-def: $vgpr5
                                        ; implicit-def: $vgpr9
                                        ; implicit-def: $vgpr13
                                        ; implicit-def: $vgpr17
	s_cbranch_execz .LBB207_58
; %bb.57:
	s_waitcnt vmcnt(0)
	v_lshlrev_b32_e32 v2, 1, v18
	v_lshl_or_b32 v18, v25, 9, v2
	s_and_b32 s5, s5, 0xffff
	s_mov_b32 s7, 0x20000
	s_movk_i32 s6, 0x4000
	s_movk_i32 s0, 0x80
	buffer_load_dwordx4 v[2:5], v18, s[4:7], 0 offen
	buffer_load_dwordx4 v[6:9], v18, s[4:7], 0 offen offset:256
	buffer_load_dwordx4 v[10:13], v18, s[4:7], s0 offen
	buffer_load_dwordx4 v[14:17], v18, s[4:7], s0 offen offset:256
.LBB207_58:
	ds_read_b64 v[20:21], v27 offset:57344
	v_add_u32_e32 v18, 0x6000, v26
	ds_read2_b64 v[36:39], v18 offset1:16
	ds_read_b64 v[54:55], v28 offset:57344
	ds_read_b64 v[28:29], v29 offset:57344
	;; [unrolled: 1-line block ×3, first 2 shown]
	ds_read2st64_b64 v[40:43], v26 offset0:52 offset1:56
	s_mov_b32 s0, 0x1000504
	s_mov_b32 s1, 0x3020706
	s_waitcnt lgkmcnt(4)
	v_mfma_f32_16x16x16_bf16 a[0:3], v[20:21], v[36:37], a[0:3]
	v_mfma_f32_16x16x16_bf16 a[4:7], v[20:21], v[38:39], a[4:7]
	ds_read2_b64 v[36:39], v18 offset0:32 offset1:48
	v_and_b32_e32 v18, 6, v0
	v_xor_b32_e32 v25, v25, v18
	s_waitcnt lgkmcnt(0)
	v_mfma_f32_16x16x16_bf16 a[8:11], v[20:21], v[36:37], a[8:11]
	v_lshlrev_b32_e32 v25, 2, v25
	v_and_b32_e32 v0, 1, v0
	v_xor_b32_e32 v35, 0x440, v25
	v_mfma_f32_16x16x16_bf16 a[12:15], v[20:21], v[38:39], a[12:15]
	ds_read2st64_b64 v[36:39], v31 offset0:52 offset1:56
	ds_read2st64_b64 v[46:49], v32 offset0:52 offset1:56
	;; [unrolled: 1-line block ×3, first 2 shown]
	v_cmp_eq_u32_e32 vcc, 0, v0
	ds_read_b64 v[20:21], v26 offset:30720
	ds_read_b64 v[26:27], v31 offset:30720
	;; [unrolled: 1-line block ×4, first 2 shown]
	v_mfma_f32_16x16x16_bf16 a[0:3], v[54:55], v[40:41], a[0:3]
	v_cndmask_b32_e32 v0, v35, v25, vcc
	v_lshl_or_b32 v0, v18, 10, v0
	s_waitcnt vmcnt(0)
	v_perm_b32 v18, v2, v6, s0
	s_waitcnt lgkmcnt(6)
	v_mfma_f32_16x16x16_bf16 a[4:7], v[54:55], v[36:37], a[4:7]
	v_perm_b32 v25, v10, v14, s0
	ds_write2st64_b32 v0, v18, v25 offset0:128 offset1:160
	v_xor_b32_e32 v18, 8, v0
	s_waitcnt lgkmcnt(6)
	v_mfma_f32_16x16x16_bf16 a[8:11], v[54:55], v[46:47], a[8:11]
	v_perm_b32 v2, v2, v6, s1
	v_perm_b32 v6, v10, v14, s1
	v_add_u32_e32 v10, 0x80, v18
	s_waitcnt lgkmcnt(5)
	v_mfma_f32_16x16x16_bf16 a[12:15], v[54:55], v[50:51], a[12:15]
	ds_write2st64_b32 v10, v2, v6 offset0:128 offset1:160
	v_xor_b32_e32 v2, 16, v0
	v_perm_b32 v6, v3, v7, s0
	v_mfma_f32_16x16x16_bf16 a[0:3], v[28:29], v[42:43], a[0:3]
	v_perm_b32 v10, v11, v15, s0
	ds_write2st64_b32 v2, v6, v10 offset0:129 offset1:161
	v_xor_b32_e32 v2, 24, v0
	v_mfma_f32_16x16x16_bf16 a[4:7], v[28:29], v[38:39], a[4:7]
	v_perm_b32 v3, v3, v7, s1
	v_perm_b32 v6, v11, v15, s1
	v_add_u32_e32 v2, 0x80, v2
	v_mfma_f32_16x16x16_bf16 a[16:19], v[28:29], v[48:49], a[8:11]
	ds_write2st64_b32 v2, v3, v6 offset0:129 offset1:161
	v_xor_b32_e32 v2, 32, v0
	v_perm_b32 v3, v4, v8, s0
	v_mfma_f32_16x16x16_bf16 a[20:23], v[28:29], v[52:53], a[12:15]
	v_perm_b32 v6, v12, v16, s0
	ds_write2st64_b32 v2, v3, v6 offset0:130 offset1:162
	v_xor_b32_e32 v2, 40, v0
	s_waitcnt lgkmcnt(8)
	v_mfma_f32_16x16x16_bf16 a[12:15], v[56:57], v[20:21], a[0:3]
	v_perm_b32 v3, v4, v8, s1
	v_perm_b32 v4, v12, v16, s1
	v_add_u32_e32 v2, 0x80, v2
	s_waitcnt lgkmcnt(7)
	v_mfma_f32_16x16x16_bf16 a[8:11], v[56:57], v[26:27], a[4:7]
	ds_write2st64_b32 v2, v3, v4 offset0:130 offset1:162
	v_xor_b32_e32 v2, 48, v0
	v_perm_b32 v3, v5, v9, s0
	s_waitcnt lgkmcnt(7)
	v_mfma_f32_16x16x16_bf16 a[4:7], v[56:57], v[30:31], a[16:19]
	v_perm_b32 v4, v13, v17, s0
	v_xor_b32_e32 v0, 56, v0
	v_and_or_b32 v21, v34, 12, v1
	s_waitcnt lgkmcnt(6)
	v_mfma_f32_16x16x16_bf16 a[0:3], v[56:57], v[32:33], a[20:23]
	ds_write2st64_b32 v2, v3, v4 offset0:131 offset1:163
	v_perm_b32 v2, v5, v9, s1
	v_perm_b32 v3, v13, v17, s1
	v_add_u32_e32 v0, 0x80, v0
	v_cmp_gt_i32_e32 vcc, s43, v21
	v_mov_b32_e32 v16, 0
	v_mov_b32_e32 v18, 0
	ds_write2st64_b32 v0, v2, v3 offset0:131 offset1:163
	s_and_saveexec_b64 s[0:1], vcc
	s_cbranch_execz .LBB207_60
; %bb.59:
	v_add_u32_e32 v0, s42, v21
	v_ashrrev_i32_e32 v1, 31, v0
	v_mul_lo_u32 v2, v1, s34
	v_mul_lo_u32 v3, v0, s35
	v_mad_u64_u32 v[0:1], s[2:3], v0, s34, 0
	v_add3_u32 v1, v1, v3, v2
	v_lshl_add_u64 v[0:1], v[0:1], 2, s[10:11]
	global_load_dword v0, v[0:1], off
	s_waitcnt vmcnt(0)
	v_sub_f32_e32 v0, s12, v0
	v_mul_f32_e32 v0, 0x3fb8aa3b, v0
	v_exp_f32_e32 v18, v0
.LBB207_60:
	s_or_b64 exec, exec, s[0:1]
	v_or_b32_e32 v10, 1, v21
	v_cmp_gt_i32_e64 s[0:1], s43, v10
	s_and_saveexec_b64 s[2:3], s[0:1]
	s_cbranch_execz .LBB207_62
; %bb.61:
	v_add_u32_e32 v0, s42, v10
	v_ashrrev_i32_e32 v1, 31, v0
	v_mul_lo_u32 v2, v1, s34
	v_mul_lo_u32 v3, v0, s35
	v_mad_u64_u32 v[0:1], s[4:5], v0, s34, 0
	v_add3_u32 v1, v1, v3, v2
	v_lshl_add_u64 v[0:1], v[0:1], 2, s[10:11]
	global_load_dword v0, v[0:1], off
	s_waitcnt vmcnt(0)
	v_sub_f32_e32 v0, s12, v0
	v_mul_f32_e32 v0, 0x3fb8aa3b, v0
	v_exp_f32_e32 v16, v0
.LBB207_62:
	s_or_b64 exec, exec, s[2:3]
	v_or_b32_e32 v12, 2, v21
	v_cmp_gt_i32_e64 s[2:3], s43, v12
	v_mov_b32_e32 v17, 0
	v_mov_b32_e32 v20, 0
	s_and_saveexec_b64 s[4:5], s[2:3]
	s_cbranch_execz .LBB207_64
; %bb.63:
	v_add_u32_e32 v0, s42, v12
	v_ashrrev_i32_e32 v1, 31, v0
	v_mul_lo_u32 v2, v1, s34
	v_mul_lo_u32 v3, v0, s35
	v_mad_u64_u32 v[0:1], s[6:7], v0, s34, 0
	v_add3_u32 v1, v1, v3, v2
	v_lshl_add_u64 v[0:1], v[0:1], 2, s[10:11]
	global_load_dword v0, v[0:1], off
	s_waitcnt vmcnt(0)
	v_sub_f32_e32 v0, s12, v0
	v_mul_f32_e32 v0, 0x3fb8aa3b, v0
	v_exp_f32_e32 v20, v0
.LBB207_64:
	s_or_b64 exec, exec, s[4:5]
	v_or_b32_e32 v14, 3, v21
	v_cmp_gt_i32_e64 s[4:5], s43, v14
	s_and_saveexec_b64 s[6:7], s[4:5]
	s_cbranch_execz .LBB207_66
; %bb.65:
	v_add_u32_e32 v0, s42, v14
	v_ashrrev_i32_e32 v1, 31, v0
	v_mul_lo_u32 v2, v1, s34
	v_mul_lo_u32 v3, v0, s35
	v_mad_u64_u32 v[0:1], s[16:17], v0, s34, 0
	v_add3_u32 v1, v1, v3, v2
	v_lshl_add_u64 v[0:1], v[0:1], 2, s[10:11]
	global_load_dword v0, v[0:1], off
	s_waitcnt vmcnt(0)
	v_sub_f32_e32 v0, s12, v0
	v_mul_f32_e32 v0, 0x3fb8aa3b, v0
	v_exp_f32_e32 v17, v0
.LBB207_66:
	s_or_b64 exec, exec, s[6:7]
	s_add_u32 s6, s8, s28
	v_or_b32_e32 v4, s36, v45
	s_addc_u32 s7, s9, s29
	s_add_u32 s8, s14, s28
	v_ashrrev_i32_e32 v5, 31, v4
	v_accvgpr_read_b32 v0, a12
	s_addc_u32 s9, s15, s29
	v_lshlrev_b64 v[4:5], 1, v[4:5]
	v_accvgpr_read_b32 v1, a13
	v_accvgpr_read_b32 v2, a14
	;; [unrolled: 1-line block ×3, first 2 shown]
	v_lshl_add_u64 v[6:7], s[6:7], 0, v[4:5]
	v_lshl_add_u64 v[4:5], s[8:9], 0, v[4:5]
	v_mov_b32_e32 v11, 0
	v_lshlrev_b32_e32 v8, 8, v21
	v_mov_b32_e32 v9, 0
	s_and_saveexec_b64 s[6:7], vcc
	s_cbranch_execz .LBB207_68
; %bb.67:
	v_mov_b32_e32 v9, 0
	v_lshl_add_u64 v[26:27], v[6:7], 0, v[8:9]
	global_load_ushort v13, v[26:27], off
	v_lshl_add_u64 v[26:27], v[4:5], 0, v[8:9]
	s_waitcnt vmcnt(0)
	v_lshlrev_b32_e32 v9, 16, v13
	v_sub_f32_e32 v0, v9, v0
	global_store_short_d16_hi v[26:27], v0, off
	v_mul_f32_e32 v0, v18, v0
	v_lshrrev_b32_e32 v9, 16, v0
.LBB207_68:
	s_or_b64 exec, exec, s[6:7]
	v_lshlrev_b32_e32 v10, 8, v10
	s_and_saveexec_b64 s[6:7], s[0:1]
	s_cbranch_execz .LBB207_70
; %bb.69:
	v_mov_b32_e32 v11, 0
	v_lshl_add_u64 v[26:27], v[6:7], 0, v[10:11]
	global_load_ushort v0, v[26:27], off
	v_lshl_add_u64 v[26:27], v[4:5], 0, v[10:11]
	s_waitcnt vmcnt(0)
	v_lshlrev_b32_e32 v0, 16, v0
	v_sub_f32_e32 v0, v0, v1
	global_store_short_d16_hi v[26:27], v0, off
	v_mul_f32_e32 v0, v16, v0
	v_lshrrev_b32_e32 v11, 16, v0
.LBB207_70:
	s_or_b64 exec, exec, s[6:7]
	v_mov_b32_e32 v15, 0
	v_lshlrev_b32_e32 v12, 8, v12
	v_mov_b32_e32 v13, 0
	s_and_saveexec_b64 s[6:7], s[2:3]
	s_cbranch_execz .LBB207_72
; %bb.71:
	v_mov_b32_e32 v13, 0
	v_lshl_add_u64 v[0:1], v[6:7], 0, v[12:13]
	global_load_ushort v25, v[0:1], off
	v_lshl_add_u64 v[0:1], v[4:5], 0, v[12:13]
	s_waitcnt vmcnt(0)
	v_lshlrev_b32_e32 v13, 16, v25
	v_sub_f32_e32 v2, v13, v2
	global_store_short_d16_hi v[0:1], v2, off
	v_mul_f32_e32 v0, v20, v2
	v_lshrrev_b32_e32 v13, 16, v0
.LBB207_72:
	s_or_b64 exec, exec, s[6:7]
	v_lshlrev_b32_e32 v14, 8, v14
	s_and_saveexec_b64 s[6:7], s[4:5]
	s_cbranch_execz .LBB207_74
; %bb.73:
	v_mov_b32_e32 v15, 0
	v_lshl_add_u64 v[0:1], v[6:7], 0, v[14:15]
	global_load_ushort v2, v[0:1], off
	v_lshl_add_u64 v[0:1], v[4:5], 0, v[14:15]
	s_waitcnt vmcnt(0)
	v_lshlrev_b32_e32 v2, 16, v2
	v_sub_f32_e32 v2, v2, v3
	global_store_short_d16_hi v[0:1], v2, off
	v_mul_f32_e32 v0, v17, v2
	v_lshrrev_b32_e32 v15, 16, v0
.LBB207_74:
	s_or_b64 exec, exec, s[6:7]
	v_lshlrev_b32_e32 v21, 6, v21
	s_mov_b32 s6, 0x5040100
	v_perm_b32 v26, v11, v9, s6
	v_or_b32_e32 v9, v21, v24
	v_accvgpr_read_b32 v0, a8
	v_perm_b32 v27, v15, v13, s6
	v_lshlrev_b32_e32 v9, 1, v9
	v_accvgpr_read_b32 v1, a9
	v_accvgpr_read_b32 v2, a10
	;; [unrolled: 1-line block ×3, first 2 shown]
	ds_write_b64 v9, v[26:27] offset:24576
	v_mov_b32_e32 v11, 0
	v_mov_b32_e32 v9, 0
	s_and_saveexec_b64 s[6:7], vcc
	s_cbranch_execz .LBB207_76
; %bb.75:
	v_mov_b32_e32 v9, 0
	v_lshl_add_u64 v[24:25], v[6:7], 0, v[8:9]
	global_load_ushort v13, v[24:25], off offset:32
	v_lshl_add_u64 v[24:25], v[4:5], 0, v[8:9]
	s_waitcnt vmcnt(0)
	v_lshlrev_b32_e32 v9, 16, v13
	v_sub_f32_e32 v0, v9, v0
	global_store_short_d16_hi v[24:25], v0, off offset:32
	v_mul_f32_e32 v0, v18, v0
	v_lshrrev_b32_e32 v9, 16, v0
.LBB207_76:
	s_or_b64 exec, exec, s[6:7]
	s_and_saveexec_b64 s[6:7], s[0:1]
	s_cbranch_execz .LBB207_78
; %bb.77:
	v_mov_b32_e32 v11, 0
	v_lshl_add_u64 v[24:25], v[6:7], 0, v[10:11]
	global_load_ushort v0, v[24:25], off offset:32
	v_lshl_add_u64 v[24:25], v[4:5], 0, v[10:11]
	s_waitcnt vmcnt(0)
	v_lshlrev_b32_e32 v0, 16, v0
	v_sub_f32_e32 v0, v0, v1
	global_store_short_d16_hi v[24:25], v0, off offset:32
	v_mul_f32_e32 v0, v16, v0
	v_lshrrev_b32_e32 v11, 16, v0
.LBB207_78:
	s_or_b64 exec, exec, s[6:7]
	v_mov_b32_e32 v15, 0
	v_mov_b32_e32 v13, 0
	s_and_saveexec_b64 s[6:7], s[2:3]
	s_cbranch_execz .LBB207_80
; %bb.79:
	v_mov_b32_e32 v13, 0
	v_lshl_add_u64 v[0:1], v[6:7], 0, v[12:13]
	global_load_ushort v24, v[0:1], off offset:32
	v_lshl_add_u64 v[0:1], v[4:5], 0, v[12:13]
	s_waitcnt vmcnt(0)
	v_lshlrev_b32_e32 v13, 16, v24
	v_sub_f32_e32 v2, v13, v2
	global_store_short_d16_hi v[0:1], v2, off offset:32
	v_mul_f32_e32 v0, v20, v2
	v_lshrrev_b32_e32 v13, 16, v0
.LBB207_80:
	s_or_b64 exec, exec, s[6:7]
	s_and_saveexec_b64 s[6:7], s[4:5]
	s_cbranch_execz .LBB207_82
; %bb.81:
	v_mov_b32_e32 v15, 0
	v_lshl_add_u64 v[0:1], v[6:7], 0, v[14:15]
	global_load_ushort v2, v[0:1], off offset:32
	v_lshl_add_u64 v[0:1], v[4:5], 0, v[14:15]
	s_waitcnt vmcnt(0)
	v_lshlrev_b32_e32 v2, 16, v2
	v_sub_f32_e32 v2, v2, v3
	global_store_short_d16_hi v[0:1], v2, off offset:32
	v_mul_f32_e32 v0, v17, v2
	v_lshrrev_b32_e32 v15, 16, v0
.LBB207_82:
	s_or_b64 exec, exec, s[6:7]
	s_mov_b32 s6, 0x5040100
	v_perm_b32 v24, v11, v9, s6
	v_or_b32_e32 v9, v21, v23
	v_accvgpr_read_b32 v0, a4
	v_perm_b32 v25, v15, v13, s6
	v_lshlrev_b32_e32 v9, 1, v9
	v_accvgpr_read_b32 v1, a5
	v_accvgpr_read_b32 v2, a6
	;; [unrolled: 1-line block ×3, first 2 shown]
	ds_write_b64 v9, v[24:25] offset:24576
	v_mov_b32_e32 v11, 0
	v_mov_b32_e32 v9, 0
	s_and_saveexec_b64 s[6:7], vcc
	s_cbranch_execz .LBB207_84
; %bb.83:
	v_mov_b32_e32 v9, 0
	v_lshl_add_u64 v[24:25], v[6:7], 0, v[8:9]
	global_load_ushort v13, v[24:25], off offset:64
	v_lshl_add_u64 v[24:25], v[4:5], 0, v[8:9]
	s_waitcnt vmcnt(0)
	v_lshlrev_b32_e32 v9, 16, v13
	v_sub_f32_e32 v0, v9, v0
	global_store_short_d16_hi v[24:25], v0, off offset:64
	v_mul_f32_e32 v0, v18, v0
	v_lshrrev_b32_e32 v9, 16, v0
.LBB207_84:
	s_or_b64 exec, exec, s[6:7]
	s_and_saveexec_b64 s[6:7], s[0:1]
	s_cbranch_execz .LBB207_86
; %bb.85:
	v_mov_b32_e32 v11, 0
	v_lshl_add_u64 v[24:25], v[6:7], 0, v[10:11]
	global_load_ushort v0, v[24:25], off offset:64
	v_lshl_add_u64 v[24:25], v[4:5], 0, v[10:11]
	s_waitcnt vmcnt(0)
	v_lshlrev_b32_e32 v0, 16, v0
	v_sub_f32_e32 v0, v0, v1
	global_store_short_d16_hi v[24:25], v0, off offset:64
	v_mul_f32_e32 v0, v16, v0
	v_lshrrev_b32_e32 v11, 16, v0
.LBB207_86:
	s_or_b64 exec, exec, s[6:7]
	v_mov_b32_e32 v15, 0
	v_mov_b32_e32 v13, 0
	s_and_saveexec_b64 s[6:7], s[2:3]
	s_cbranch_execz .LBB207_88
; %bb.87:
	v_mov_b32_e32 v13, 0
	v_lshl_add_u64 v[0:1], v[6:7], 0, v[12:13]
	global_load_ushort v23, v[0:1], off offset:64
	v_lshl_add_u64 v[0:1], v[4:5], 0, v[12:13]
	s_waitcnt vmcnt(0)
	v_lshlrev_b32_e32 v13, 16, v23
	v_sub_f32_e32 v2, v13, v2
	global_store_short_d16_hi v[0:1], v2, off offset:64
	v_mul_f32_e32 v0, v20, v2
	v_lshrrev_b32_e32 v13, 16, v0
.LBB207_88:
	s_or_b64 exec, exec, s[6:7]
	s_and_saveexec_b64 s[6:7], s[4:5]
	s_cbranch_execz .LBB207_90
; %bb.89:
	v_mov_b32_e32 v15, 0
	v_lshl_add_u64 v[0:1], v[6:7], 0, v[14:15]
	global_load_ushort v2, v[0:1], off offset:64
	v_lshl_add_u64 v[0:1], v[4:5], 0, v[14:15]
	s_waitcnt vmcnt(0)
	v_lshlrev_b32_e32 v2, 16, v2
	v_sub_f32_e32 v2, v2, v3
	global_store_short_d16_hi v[0:1], v2, off offset:64
	v_mul_f32_e32 v0, v17, v2
	v_lshrrev_b32_e32 v15, 16, v0
.LBB207_90:
	s_or_b64 exec, exec, s[6:7]
	s_mov_b32 s6, 0x5040100
	v_perm_b32 v24, v11, v9, s6
	v_or_b32_e32 v9, v21, v22
	v_accvgpr_read_b32 v0, a0
	v_perm_b32 v25, v15, v13, s6
	v_lshlrev_b32_e32 v9, 1, v9
	v_accvgpr_read_b32 v1, a1
	v_accvgpr_read_b32 v2, a2
	;; [unrolled: 1-line block ×3, first 2 shown]
	ds_write_b64 v9, v[24:25] offset:24576
	v_mov_b32_e32 v11, 0
	v_mov_b32_e32 v9, 0
	s_and_saveexec_b64 s[6:7], vcc
	s_cbranch_execz .LBB207_92
; %bb.91:
	v_mov_b32_e32 v9, 0
	v_lshl_add_u64 v[22:23], v[6:7], 0, v[8:9]
	global_load_ushort v13, v[22:23], off offset:96
	v_lshl_add_u64 v[8:9], v[4:5], 0, v[8:9]
	s_waitcnt vmcnt(0)
	v_lshlrev_b32_e32 v13, 16, v13
	v_sub_f32_e32 v0, v13, v0
	global_store_short_d16_hi v[8:9], v0, off offset:96
	v_mul_f32_e32 v0, v18, v0
	v_lshrrev_b32_e32 v9, 16, v0
.LBB207_92:
	s_or_b64 exec, exec, s[6:7]
	s_and_saveexec_b64 s[6:7], s[0:1]
	s_cbranch_execz .LBB207_94
; %bb.93:
	v_mov_b32_e32 v11, 0
	v_lshl_add_u64 v[22:23], v[6:7], 0, v[10:11]
	global_load_ushort v0, v[22:23], off offset:96
	v_lshl_add_u64 v[10:11], v[4:5], 0, v[10:11]
	s_waitcnt vmcnt(0)
	v_lshlrev_b32_e32 v0, 16, v0
	v_sub_f32_e32 v0, v0, v1
	global_store_short_d16_hi v[10:11], v0, off offset:96
	v_mul_f32_e32 v0, v16, v0
	v_lshrrev_b32_e32 v11, 16, v0
.LBB207_94:
	s_or_b64 exec, exec, s[6:7]
	v_mov_b32_e32 v0, 0
	v_mov_b32_e32 v1, 0
	s_and_saveexec_b64 s[0:1], s[2:3]
	s_cbranch_execz .LBB207_96
; %bb.95:
	v_mov_b32_e32 v13, 0
	v_lshl_add_u64 v[22:23], v[6:7], 0, v[12:13]
	global_load_ushort v1, v[22:23], off offset:96
	v_lshl_add_u64 v[12:13], v[4:5], 0, v[12:13]
	s_waitcnt vmcnt(0)
	v_lshlrev_b32_e32 v1, 16, v1
	v_sub_f32_e32 v1, v1, v2
	global_store_short_d16_hi v[12:13], v1, off offset:96
	v_mul_f32_e32 v1, v20, v1
	v_lshrrev_b32_e32 v1, 16, v1
.LBB207_96:
	s_or_b64 exec, exec, s[0:1]
	s_and_saveexec_b64 s[0:1], s[4:5]
	s_cbranch_execz .LBB207_98
; %bb.97:
	v_mov_b32_e32 v15, 0
	v_lshl_add_u64 v[6:7], v[6:7], 0, v[14:15]
	global_load_ushort v0, v[6:7], off offset:96
	v_lshl_add_u64 v[4:5], v[4:5], 0, v[14:15]
	s_waitcnt vmcnt(0)
	v_lshlrev_b32_e32 v0, 16, v0
	v_sub_f32_e32 v0, v0, v3
	global_store_short_d16_hi v[4:5], v0, off offset:96
	v_mul_f32_e32 v0, v17, v0
	v_lshrrev_b32_e32 v0, 16, v0
.LBB207_98:
	s_or_b64 exec, exec, s[0:1]
	s_mov_b32 s0, 0x5040100
	v_or_b32_e32 v2, v21, v19
	v_perm_b32 v1, v0, v1, s0
	v_perm_b32 v0, v11, v9, s0
	v_lshlrev_b32_e32 v2, 1, v2
	ds_write_b64 v2, v[0:1] offset:24576
	s_waitcnt lgkmcnt(0)
	s_barrier
.LBB207_99:
	s_endpgm
	.section	.rodata,"a",@progbits
	.p2align	6, 0x0
	.amdhsa_kernel _ZN12_GLOBAL__N_139chunk_gated_delta_rule_fwd_h_hip_kernelILi64ELb0ELb0ELb1ELb0ELb0ELb1ELb1ELb0EEEvPK12hip_bfloat16S3_S3_PKfS5_PKvPS1_S8_PvPKiSB_iiiiilll
		.amdhsa_group_segment_fixed_size 65536
		.amdhsa_private_segment_fixed_size 0
		.amdhsa_kernarg_size 136
		.amdhsa_user_sgpr_count 2
		.amdhsa_user_sgpr_dispatch_ptr 0
		.amdhsa_user_sgpr_queue_ptr 0
		.amdhsa_user_sgpr_kernarg_segment_ptr 1
		.amdhsa_user_sgpr_dispatch_id 0
		.amdhsa_user_sgpr_kernarg_preload_length 0
		.amdhsa_user_sgpr_kernarg_preload_offset 0
		.amdhsa_user_sgpr_private_segment_size 0
		.amdhsa_uses_dynamic_stack 0
		.amdhsa_enable_private_segment 0
		.amdhsa_system_sgpr_workgroup_id_x 1
		.amdhsa_system_sgpr_workgroup_id_y 1
		.amdhsa_system_sgpr_workgroup_id_z 0
		.amdhsa_system_sgpr_workgroup_info 0
		.amdhsa_system_vgpr_workitem_id 0
		.amdhsa_next_free_vgpr 232
		.amdhsa_next_free_sgpr 68
		.amdhsa_accum_offset 192
		.amdhsa_reserve_vcc 1
		.amdhsa_float_round_mode_32 0
		.amdhsa_float_round_mode_16_64 0
		.amdhsa_float_denorm_mode_32 3
		.amdhsa_float_denorm_mode_16_64 3
		.amdhsa_dx10_clamp 1
		.amdhsa_ieee_mode 1
		.amdhsa_fp16_overflow 0
		.amdhsa_tg_split 0
		.amdhsa_exception_fp_ieee_invalid_op 0
		.amdhsa_exception_fp_denorm_src 0
		.amdhsa_exception_fp_ieee_div_zero 0
		.amdhsa_exception_fp_ieee_overflow 0
		.amdhsa_exception_fp_ieee_underflow 0
		.amdhsa_exception_fp_ieee_inexact 0
		.amdhsa_exception_int_div_zero 0
	.end_amdhsa_kernel
	.section	.text._ZN12_GLOBAL__N_139chunk_gated_delta_rule_fwd_h_hip_kernelILi64ELb0ELb0ELb1ELb0ELb0ELb1ELb1ELb0EEEvPK12hip_bfloat16S3_S3_PKfS5_PKvPS1_S8_PvPKiSB_iiiiilll,"axG",@progbits,_ZN12_GLOBAL__N_139chunk_gated_delta_rule_fwd_h_hip_kernelILi64ELb0ELb0ELb1ELb0ELb0ELb1ELb1ELb0EEEvPK12hip_bfloat16S3_S3_PKfS5_PKvPS1_S8_PvPKiSB_iiiiilll,comdat
.Lfunc_end207:
	.size	_ZN12_GLOBAL__N_139chunk_gated_delta_rule_fwd_h_hip_kernelILi64ELb0ELb0ELb1ELb0ELb0ELb1ELb1ELb0EEEvPK12hip_bfloat16S3_S3_PKfS5_PKvPS1_S8_PvPKiSB_iiiiilll, .Lfunc_end207-_ZN12_GLOBAL__N_139chunk_gated_delta_rule_fwd_h_hip_kernelILi64ELb0ELb0ELb1ELb0ELb0ELb1ELb1ELb0EEEvPK12hip_bfloat16S3_S3_PKfS5_PKvPS1_S8_PvPKiSB_iiiiilll
                                        ; -- End function
	.section	.AMDGPU.csdata,"",@progbits
; Kernel info:
; codeLenInByte = 11608
; NumSgprs: 74
; NumVgprs: 192
; NumAgprs: 40
; TotalNumVgprs: 232
; ScratchSize: 0
; MemoryBound: 0
; FloatMode: 240
; IeeeMode: 1
; LDSByteSize: 65536 bytes/workgroup (compile time only)
; SGPRBlocks: 9
; VGPRBlocks: 28
; NumSGPRsForWavesPerEU: 74
; NumVGPRsForWavesPerEU: 232
; AccumOffset: 192
; Occupancy: 1
; WaveLimiterHint : 1
; COMPUTE_PGM_RSRC2:SCRATCH_EN: 0
; COMPUTE_PGM_RSRC2:USER_SGPR: 2
; COMPUTE_PGM_RSRC2:TRAP_HANDLER: 0
; COMPUTE_PGM_RSRC2:TGID_X_EN: 1
; COMPUTE_PGM_RSRC2:TGID_Y_EN: 1
; COMPUTE_PGM_RSRC2:TGID_Z_EN: 0
; COMPUTE_PGM_RSRC2:TIDIG_COMP_CNT: 0
; COMPUTE_PGM_RSRC3_GFX90A:ACCUM_OFFSET: 47
; COMPUTE_PGM_RSRC3_GFX90A:TG_SPLIT: 0
	.section	.text._ZN12_GLOBAL__N_139chunk_gated_delta_rule_fwd_h_hip_kernelILi64ELb0ELb0ELb0ELb0ELb0ELb1ELb1ELb0EEEvPK12hip_bfloat16S3_S3_PKfS5_PKvPS1_S8_PvPKiSB_iiiiilll,"axG",@progbits,_ZN12_GLOBAL__N_139chunk_gated_delta_rule_fwd_h_hip_kernelILi64ELb0ELb0ELb0ELb0ELb0ELb1ELb1ELb0EEEvPK12hip_bfloat16S3_S3_PKfS5_PKvPS1_S8_PvPKiSB_iiiiilll,comdat
	.globl	_ZN12_GLOBAL__N_139chunk_gated_delta_rule_fwd_h_hip_kernelILi64ELb0ELb0ELb0ELb0ELb0ELb1ELb1ELb0EEEvPK12hip_bfloat16S3_S3_PKfS5_PKvPS1_S8_PvPKiSB_iiiiilll ; -- Begin function _ZN12_GLOBAL__N_139chunk_gated_delta_rule_fwd_h_hip_kernelILi64ELb0ELb0ELb0ELb0ELb0ELb1ELb1ELb0EEEvPK12hip_bfloat16S3_S3_PKfS5_PKvPS1_S8_PvPKiSB_iiiiilll
	.p2align	8
	.type	_ZN12_GLOBAL__N_139chunk_gated_delta_rule_fwd_h_hip_kernelILi64ELb0ELb0ELb0ELb0ELb0ELb1ELb1ELb0EEEvPK12hip_bfloat16S3_S3_PKfS5_PKvPS1_S8_PvPKiSB_iiiiilll,@function
_ZN12_GLOBAL__N_139chunk_gated_delta_rule_fwd_h_hip_kernelILi64ELb0ELb0ELb0ELb0ELb0ELb1ELb1ELb0EEEvPK12hip_bfloat16S3_S3_PKfS5_PKvPS1_S8_PvPKiSB_iiiiilll: ; @_ZN12_GLOBAL__N_139chunk_gated_delta_rule_fwd_h_hip_kernelILi64ELb0ELb0ELb0ELb0ELb0ELb1ELb1ELb0EEEvPK12hip_bfloat16S3_S3_PKfS5_PKvPS1_S8_PvPKiSB_iiiiilll
; %bb.0:
	s_load_dwordx4 s[12:15], s[0:1], 0x5c
	s_load_dwordx2 s[36:37], s[0:1], 0x30
	s_abs_i32 s18, s3
	s_ashr_i32 s17, s3, 31
	s_load_dwordx8 s[4:11], s[0:1], 0x0
	s_waitcnt lgkmcnt(0)
	s_abs_i32 s16, s13
	v_cvt_f32_u32_e32 v1, s16
	s_sub_i32 s20, 0, s16
	s_ashr_i32 s19, s13, 31
	s_xor_b32 s17, s17, s19
	v_rcp_iflag_f32_e32 v1, v1
	v_lshrrev_b32_e32 v85, 6, v0
	v_bfe_u32 v86, v0, 4, 2
	v_lshlrev_b32_e32 v2, 2, v86
	v_mul_f32_e32 v1, 0x4f7ffffe, v1
	v_cvt_u32_f32_e32 v1, v1
	v_and_b32_e32 v84, 63, v0
	v_mov_b32_e32 v47, 0
	v_and_b32_e32 v45, 15, v0
	v_readfirstlane_b32 s21, v1
	s_mul_i32 s20, s20, s21
	s_mul_hi_u32 s20, s21, s20
	s_add_i32 s21, s21, s20
	s_mul_hi_u32 s20, s18, s21
	s_mul_i32 s21, s20, s16
	s_sub_i32 s18, s18, s21
	s_add_i32 s22, s20, 1
	s_sub_i32 s21, s18, s16
	s_cmp_ge_u32 s18, s16
	s_cselect_b32 s20, s22, s20
	s_cselect_b32 s18, s21, s18
	s_add_i32 s21, s20, 1
	s_cmp_ge_u32 s18, s16
	s_cselect_b32 s18, s21, s20
	s_abs_i32 s20, s14
	v_cvt_f32_u32_e32 v1, s20
	s_xor_b32 s18, s18, s17
	s_ashr_i32 s46, s12, 31
	s_sub_i32 s48, s18, s17
	v_rcp_iflag_f32_e32 v1, v1
	s_lshr_b32 s17, s46, 26
	s_add_i32 s17, s12, s17
	s_ashr_i32 s49, s14, 31
	v_mul_f32_e32 v1, 0x4f7ffffe, v1
	v_cvt_u32_f32_e32 v1, v1
	s_ashr_i32 s47, s17, 6
	s_xor_b32 s17, s19, s49
	s_sub_i32 s18, 0, s20
	v_readfirstlane_b32 s19, v1
	s_mul_i32 s18, s18, s19
	s_mul_hi_u32 s18, s19, s18
	s_add_i32 s19, s19, s18
	s_mul_hi_u32 s18, s16, s19
	s_mul_i32 s19, s18, s20
	s_mul_i32 s45, s48, s13
	s_sub_i32 s16, s16, s19
	s_sub_i32 s33, s3, s45
	s_add_i32 s3, s12, 63
	s_add_i32 s19, s18, 1
	s_sub_i32 s21, s16, s20
	s_cmp_ge_u32 s16, s20
	s_cselect_b32 s18, s19, s18
	s_cselect_b32 s16, s21, s16
	s_add_i32 s19, s18, 1
	s_cmp_ge_u32 s16, s20
	s_cselect_b32 s16, s19, s18
	s_xor_b32 s16, s16, s17
	s_sub_i32 s20, s16, s17
	s_abs_i32 s21, s20
	v_cvt_f32_u32_e32 v1, s21
	s_sub_i32 s23, 0, s21
	s_abs_i32 s22, s33
	s_xor_b32 s20, s33, s20
	v_rcp_iflag_f32_e32 v1, v1
	s_ashr_i32 s20, s20, 31
	s_load_dwordx2 s[28:29], s[0:1], 0x80
	s_load_dwordx4 s[16:19], s[0:1], 0x70
	s_mul_hi_i32 s51, s48, s13
	v_mul_f32_e32 v1, 0x4f7ffffe, v1
	v_cvt_u32_f32_e32 v1, v1
	v_lshrrev_b32_e32 v88, 3, v84
	v_lshlrev_b32_e32 v87, 3, v0
	s_waitcnt lgkmcnt(0)
	s_mul_i32 s17, s48, s17
	v_readfirstlane_b32 s24, v1
	s_mul_i32 s23, s23, s24
	s_mul_hi_u32 s23, s24, s23
	s_add_i32 s24, s24, s23
	s_mul_hi_u32 s23, s22, s24
	s_mul_i32 s24, s23, s21
	s_sub_i32 s22, s22, s24
	s_add_i32 s24, s23, 1
	s_sub_i32 s25, s22, s21
	s_cmp_ge_u32 s22, s21
	s_cselect_b32 s23, s24, s23
	s_cselect_b32 s22, s25, s22
	s_add_i32 s24, s23, 1
	s_cmp_ge_u32 s22, s21
	s_cselect_b32 s21, s24, s23
	s_xor_b32 s21, s21, s20
	s_sub_i32 s52, s21, s20
	s_ashr_i32 s20, s3, 31
	s_lshr_b32 s20, s20, 26
	v_lshlrev_b32_e32 v1, 4, v85
	s_add_i32 s3, s3, s20
	v_or_b32_e32 v89, v2, v1
	s_ashr_i32 s3, s3, 6
	s_lshl_b32 s30, s2, 6
	s_mul_i32 s50, s48, s3
	v_or_b32_e32 v90, 64, v89
	s_cmp_lt_i32 s12, 64
	s_mul_hi_u32 s44, s48, s16
	s_mul_i32 s34, s48, s16
	v_mov_b32_e32 v46, v47
	v_mov_b32_e32 v53, v47
	;; [unrolled: 1-line block ×31, first 2 shown]
	s_cbranch_scc1 .LBB208_18
; %bb.1:
	s_ashr_i32 s24, s48, 31
	s_ashr_i32 s54, s33, 31
	s_add_u32 s2, s45, s33
	s_addc_u32 s3, s51, s54
	s_mul_i32 s3, s12, s3
	s_mul_hi_u32 s20, s12, s2
	s_add_i32 s39, s20, s3
	s_mul_i32 s38, s12, s2
	s_lshl_b64 s[2:3], s[38:39], 8
	v_and_b32_e32 v92, 56, v87
	s_add_u32 s20, s6, s2
	v_lshl_or_b32 v91, v85, 3, v88
	v_lshlrev_b32_e32 v3, 1, v92
	s_addc_u32 s2, s7, s3
	v_lshl_or_b32 v93, v91, 8, v3
	s_and_b32 s21, s2, 0xffff
	s_mov_b32 s23, 0x20000
	s_movk_i32 s22, 0x4000
	s_movk_i32 s2, 0x80
	v_or_b32_e32 v94, 0x2000, v93
	buffer_load_dwordx4 v[4:7], v93, s[20:23], 0 offen
	buffer_load_dwordx4 v[8:11], v93, s[20:23], s2 offen
	;; [unrolled: 1-line block ×4, first 2 shown]
	v_lshlrev_b32_e32 v20, 3, v91
	v_and_or_b32 v22, v0, 7, v20
	v_and_b32_e32 v20, 0x78, v20
	v_lshlrev_b32_e32 v22, 4, v22
	v_xor_b32_e32 v95, v22, v20
	v_mul_lo_u32 v21, v91, s15
	v_or_b32_e32 v96, 0x1000, v95
	s_cmpk_eq_i32 s15, 0x80
	s_mov_b32 s53, s14
	v_xor_b32_e32 v20, 8, v95
	v_xor_b32_e32 v22, 8, v96
	s_cselect_b64 s[2:3], -1, 0
	s_cmpk_lg_i32 s15, 0x80
	s_waitcnt vmcnt(3)
	ds_write_b64 v95, v[4:5] offset:49152
	ds_write_b64 v20, v[6:7] offset:49152
	s_waitcnt vmcnt(2)
	ds_write_b64 v95, v[8:9] offset:57344
	ds_write_b64 v20, v[10:11] offset:57344
	;; [unrolled: 3-line block ×4, first 2 shown]
	v_lshl_add_u32 v4, v21, 1, v92
	s_cbranch_scc0 .LBB208_3
; %bb.2:
	v_lshlrev_b32_e32 v6, 1, v4
	v_add_lshl_u32 v5, v4, s15, 1
	s_lshl_b32 s22, s15, 7
	s_load_dwordx2 s[40:41], s[0:1], 0x20
	v_lshl_or_b32 v3, v91, 9, v3
	s_cbranch_execz .LBB208_4
	s_branch .LBB208_5
.LBB208_3:
                                        ; implicit-def: $vgpr5
                                        ; implicit-def: $vgpr6
                                        ; implicit-def: $sgpr22
	s_load_dwordx2 s[40:41], s[0:1], 0x20
	v_lshl_or_b32 v3, v91, 9, v3
.LBB208_4:
	v_or_b32_e32 v5, 0x100, v3
	s_movk_i32 s22, 0x4000
	v_mov_b32_e32 v6, v3
.LBB208_5:
	s_mul_hi_u32 s0, s14, s12
	s_mul_i32 s1, s49, s12
	s_add_i32 s0, s0, s1
	s_mul_i32 s1, s14, s12
	s_mul_i32 s20, s1, s24
	s_mul_hi_u32 s21, s1, s48
	s_add_i32 s20, s21, s20
	s_mul_i32 s0, s0, s48
	s_add_i32 s20, s20, s0
	s_mul_i32 s1, s1, s48
	s_ashr_i32 s55, s52, 31
	s_add_u32 s0, s1, s52
	s_addc_u32 s1, s20, s55
	s_lshl_b64 s[0:1], s[0:1], 8
	s_add_u32 s20, s4, s0
	s_addc_u32 s0, s5, s1
	s_and_b32 s21, s0, 0xffff
	s_movk_i32 s56, 0x80
	buffer_load_dwordx4 v[8:11], v6, s[20:23], 0 offen
	buffer_load_dwordx4 v[12:15], v6, s[20:23], s56 offen
	;; [unrolled: 1-line block ×4, first 2 shown]
	v_and_b32_e32 v5, 6, v0
	v_lshlrev_b32_e32 v6, 7, v89
	v_xor_b32_e32 v27, v91, v5
	v_and_b32_e32 v7, 1, v0
	v_lshl_or_b32 v30, v45, 3, v6
	v_lshlrev_b32_e32 v27, 2, v27
	v_or_b32_e32 v97, 0x4000, v30
	v_or_b32_e32 v98, 0x6000, v30
	v_xor_b32_e32 v30, 0x440, v27
	v_cmp_eq_u32_e32 vcc, 0, v7
	v_lshlrev_b32_e32 v24, 2, v45
	s_mov_b32 s59, 0x1000504
	v_cndmask_b32_e32 v7, v30, v27, vcc
	v_xor_b32_e32 v28, v89, v24
	v_xor_b32_e32 v29, v90, v24
	v_lshl_or_b32 v5, v5, 10, v7
	s_mov_b32 s60, 0x3020706
	s_mul_i32 s0, s24, s12
	s_mul_hi_u32 s1, s48, s12
	v_lshlrev_b32_e32 v25, 8, v45
	v_or_b32_e32 v26, 16, v45
	v_lshlrev_b32_e32 v28, 1, v28
	v_lshlrev_b32_e32 v29, 1, v29
	v_xor_b32_e32 v7, 8, v5
	v_xor_b32_e32 v27, 24, v5
	;; [unrolled: 1-line block ×4, first 2 shown]
	v_or_b32_e32 v100, v25, v28
	v_or_b32_e32 v101, v25, v29
	v_xor_b32_e32 v25, 16, v5
	v_xor_b32_e32 v30, 32, v5
	;; [unrolled: 1-line block ×3, first 2 shown]
	v_add_u32_e32 v7, 0x80, v7
	v_add_u32_e32 v27, 0x80, v27
	;; [unrolled: 1-line block ×4, first 2 shown]
	s_add_i32 s61, s1, s0
	s_add_i32 s0, s44, s17
	s_mul_i32 s24, s24, s16
	s_add_i32 s35, s0, s24
	s_mul_i32 s0, s33, s19
	s_mul_hi_u32 s1, s33, s18
	s_add_i32 s0, s1, s0
	s_mul_i32 s1, s54, s18
	s_add_i32 s1, s0, s1
	s_lshl_b64 s[20:21], s[34:35], 2
	s_mul_i32 s0, s33, s18
	s_add_u32 s20, s10, s20
	s_addc_u32 s21, s11, s21
	s_lshl_b64 s[0:1], s[0:1], 2
	s_add_u32 s42, s20, s0
	s_movk_i32 s0, 0xf8
	s_addc_u32 s43, s21, s1
	s_ashr_i32 s31, s30, 31
	s_lshl_b32 s26, s15, 7
	v_mov_b32_e32 v79, 0
	s_movk_i32 s20, 0x100
	v_lshlrev_b32_e32 v78, 4, v45
	s_mul_i32 s57, s48, s12
	v_lshl_or_b32 v31, v26, 3, v6
	s_mov_b32 s58, 0
	v_or_b32_e32 v99, 0x4000, v31
	s_movk_i32 s22, 0x4000
	v_or_b32_e32 v102, 0x6000, v31
	v_add_u32_e32 v134, v1, v2
	s_mov_b32 s35, 0x7060302
	s_movk_i32 s62, 0x2000
	s_movk_i32 s63, 0x3000
	v_mov_b32_e32 v144, 0x3fb8aa3b
	s_mov_b32 s65, 0
	v_mov_b32_e32 v70, v79
	v_mov_b32_e32 v71, v79
	;; [unrolled: 1-line block ×8, first 2 shown]
	s_waitcnt vmcnt(1)
	v_perm_b32 v35, v8, v16, s59
	s_waitcnt vmcnt(0)
	v_perm_b32 v36, v12, v20, s59
	v_perm_b32 v8, v8, v16, s60
	;; [unrolled: 1-line block ×15, first 2 shown]
	ds_write2st64_b32 v5, v35, v36 offset0:128 offset1:160
	ds_write2st64_b32 v7, v8, v12 offset0:128 offset1:160
	;; [unrolled: 1-line block ×8, first 2 shown]
	v_lshlrev_b32_e32 v5, 8, v26
	v_or_b32_e32 v103, v5, v28
	v_or_b32_e32 v104, v5, v29
	;; [unrolled: 1-line block ×3, first 2 shown]
	v_lshl_or_b32 v7, v5, 3, v6
	v_lshlrev_b32_e32 v5, 8, v5
	v_or_b32_e32 v107, v5, v28
	v_or_b32_e32 v108, v5, v29
	;; [unrolled: 1-line block ×5, first 2 shown]
	v_lshl_or_b32 v7, v5, 3, v6
	v_lshlrev_b32_e32 v5, 8, v5
	v_or_b32_e32 v111, v5, v28
	v_or_b32_e32 v112, v5, v29
	;; [unrolled: 1-line block ×3, first 2 shown]
	v_lshlrev_b32_e32 v5, 3, v5
	v_lshrrev_b32_e32 v9, 5, v84
	v_and_or_b32 v9, v5, s0, v9
	v_lshlrev_b32_e32 v9, 4, v9
	v_lshlrev_b32_e32 v11, 11, v85
	v_and_b32_e32 v5, 0x78, v5
	v_or_b32_e32 v14, 32, v9
	v_and_b32_e32 v8, 0x1000, v11
	v_xor_b32_e32 v10, v9, v5
	v_lshrrev_b32_e32 v12, 1, v84
	v_xor_b32_e32 v14, v14, v5
	v_or_b32_e32 v10, v10, v8
	v_and_b32_e32 v12, 8, v12
	v_or_b32_e32 v14, v14, v8
	v_xor_b32_e32 v113, v10, v12
	v_lshlrev_b32_e32 v10, 8, v86
	v_xor_b32_e32 v115, v14, v12
	v_or_b32_e32 v14, 64, v9
	v_or_b32_e32 v9, 0x60, v9
	;; [unrolled: 1-line block ×3, first 2 shown]
	v_xor_b32_e32 v14, v14, v5
	v_xor_b32_e32 v5, v9, v5
	v_lshlrev_b32_e32 v13, 1, v13
	v_or_b32_e32 v14, v14, v8
	v_or_b32_e32 v5, v5, v8
	s_lshl_b64 s[0:1], s[30:31], 8
	v_or_b32_e32 v114, 0x4000, v13
	v_or_b32_e32 v116, 0x4080, v13
	;; [unrolled: 1-line block ×4, first 2 shown]
	v_xor_b32_e32 v119, v14, v12
	v_xor_b32_e32 v120, v5, v12
	v_or_b32_e32 v121, 0x6000, v13
	v_or_b32_e32 v122, 0x6080, v13
	;; [unrolled: 1-line block ×4, first 2 shown]
	v_lshlrev_b32_e32 v12, 1, v4
	v_add_lshl_u32 v13, v4, s15, 1
	s_add_u32 s0, s36, s0
	v_lshlrev_b32_e32 v4, 1, v45
	v_lshrrev_b32_e32 v15, 4, v0
	s_addc_u32 s1, s37, s1
	v_or_b32_e32 v5, 1, v4
	v_lshlrev_b32_e32 v18, 2, v0
	v_or_b32_e32 v14, 0x100, v3
	v_xor_b32_e32 v16, v15, v4
	v_xor_b32_e32 v17, v5, v15
	v_lshl_add_u64 v[4:5], s[0:1], 0, v[78:79]
	v_lshlrev_b32_e32 v78, 8, v15
	v_lshrrev_b32_e32 v19, 1, v0
	v_and_or_b32 v10, v18, 60, v10
	v_cndmask_b32_e64 v131, v12, v3, s[2:3]
	v_mov_b32_e32 v3, 0xa000
	v_mov_b32_e32 v12, 0x8000
	v_cmp_gt_u32_e64 s[0:1], s20, v0
	v_lshl_or_b32 v125, v16, 3, v78
	v_and_b32_e32 v16, 8, v0
	v_and_b32_e32 v19, 24, v19
	v_lshlrev_b32_e32 v10, 1, v10
	v_cndmask_b32_e64 v3, v3, v12, s[0:1]
	v_lshlrev_b32_e32 v12, 3, v85
	v_or_b32_e32 v127, 0x6000, v10
	v_or_b32_e32 v128, 0x6080, v10
	;; [unrolled: 1-line block ×4, first 2 shown]
	v_mov_b32_e32 v10, 0x400
	v_cmp_eq_u32_e32 vcc, 0, v16
	v_cndmask_b32_e64 v132, v13, v14, s[2:3]
	v_xor_b32_e32 v13, v12, v19
	v_and_b32_e32 v15, 7, v0
	v_cndmask_b32_e64 v16, v10, 64, vcc
	v_or_b32_e32 v14, 0x440, v13
	v_lshl_or_b32 v126, v17, 3, v78
	v_lshlrev_b32_e32 v17, 3, v15
	v_or_b32_e32 v18, 32, v19
	v_or_b32_e32 v20, 0x60, v19
	v_cndmask_b32_e32 v14, v14, v13, vcc
	v_or3_b32 v13, v11, v16, v13
	v_lshlrev_b32_e32 v15, 7, v15
	v_xor_b32_e32 v18, v12, v18
	v_xor_b32_e32 v13, v13, v17
	;; [unrolled: 1-line block ×3, first 2 shown]
	v_or_b32_e32 v21, 0x440, v18
	v_or_b32_e32 v133, v13, v15
	v_xor_b32_e32 v13, 0x440, v12
	v_cndmask_b32_e32 v18, v21, v18, vcc
	v_cndmask_b32_e32 v12, v13, v12, vcc
	v_or_b32_e32 v109, 0x4000, v7
	v_or_b32_e32 v110, 0x6000, v7
	v_lshrrev_b32_e32 v7, 2, v84
	v_or_b32_e32 v14, v14, v11
	v_or_b32_e32 v18, v18, v11
	;; [unrolled: 1-line block ×3, first 2 shown]
	v_and_b32_e32 v7, 12, v7
	v_or_b32_e32 v8, s30, v45
	v_xor_b32_e32 v14, v14, v17
	v_xor_b32_e32 v18, v18, v17
	;; [unrolled: 1-line block ×3, first 2 shown]
	v_ashrrev_i32_e32 v9, 31, v8
	v_or_b32_e32 v10, v1, v7
	v_add_u32_e32 v19, v3, v14
	v_add_u32_e32 v21, v3, v18
	;; [unrolled: 1-line block ×3, first 2 shown]
	v_or3_b32 v12, v1, v7, 64
	v_add_u32_e32 v7, 0xa000, v14
	v_add_u32_e32 v14, 0xa000, v18
	;; [unrolled: 1-line block ×3, first 2 shown]
	v_lshl_add_u64 v[80:81], v[8:9], 1, s[8:9]
	v_lshl_add_u64 v[82:83], v[4:5], 0, v[78:79]
	s_add_i32 s31, s57, 63
	v_lshlrev_b32_e32 v78, 1, v6
	v_lshlrev_b32_e32 v135, 2, v10
	v_add_u32_e32 v136, v19, v15
	v_add_u32_e32 v137, v21, v15
	;; [unrolled: 1-line block ×4, first 2 shown]
	v_lshlrev_b32_e32 v140, 2, v12
	v_add_u32_e32 v141, v7, v15
	v_add_u32_e32 v142, v14, v15
	;; [unrolled: 1-line block ×3, first 2 shown]
	v_mov_b32_e32 v62, v79
	v_mov_b32_e32 v63, v79
	;; [unrolled: 1-line block ×24, first 2 shown]
	s_waitcnt lgkmcnt(0)
	s_barrier
.LBB208_6:                              ; =>This Inner Loop Header: Depth=1
	s_add_i32 s64, s65, 1
	s_cmp_lt_i32 s64, s47
	s_mov_b64 s[24:25], 0
	s_cselect_b64 s[2:3], -1, 0
	s_cmp_ge_i32 s64, s47
	s_mov_b64 s[20:21], 0
	s_cbranch_scc1 .LBB208_8
; %bb.7:                                ;   in Loop: Header=BB208_6 Depth=1
	s_add_i32 s0, s58, 64
	s_add_u32 s0, s38, s0
	s_addc_u32 s1, s39, 0
	s_lshl_b64 s[0:1], s[0:1], 8
	s_add_u32 s20, s6, s0
	s_addc_u32 s21, s7, s1
.LBB208_8:                              ;   in Loop: Header=BB208_6 Depth=1
	v_cndmask_b32_e64 v2, 0, 1, s[2:3]
	v_cmp_ne_u32_e64 s[0:1], 1, v2
	s_andn2_b64 vcc, exec, s[2:3]
	s_cbranch_vccnz .LBB208_10
; %bb.9:                                ;   in Loop: Header=BB208_6 Depth=1
	s_add_i32 s2, s58, 64
	s_add_u32 s2, s57, s2
	s_addc_u32 s3, s61, 0
	s_mul_i32 s24, s2, s49
	s_mul_hi_u32 s25, s2, s53
	s_add_i32 s24, s25, s24
	s_mul_i32 s3, s3, s53
	s_add_i32 s24, s24, s3
	s_mul_i32 s2, s2, s53
	s_add_u32 s2, s2, s52
	s_addc_u32 s3, s24, s55
	s_lshl_b64 s[2:3], s[2:3], 8
	s_add_u32 s24, s4, s2
	s_addc_u32 s25, s5, s3
.LBB208_10:                             ;   in Loop: Header=BB208_6 Depth=1
	v_perm_b32 v3, v77, v76, s35
	v_perm_b32 v2, v75, v74, s35
	v_perm_b32 v5, v73, v72, s35
	v_perm_b32 v4, v71, v70, s35
	ds_write_b64 v97, v[2:3]
	ds_write_b64 v98, v[4:5]
	ds_write_b64 v100, v[2:3]
	ds_write_b64 v101, v[4:5]
	v_perm_b32 v3, v69, v68, s35
	v_perm_b32 v2, v67, v66, s35
	v_perm_b32 v5, v65, v64, s35
	v_perm_b32 v4, v63, v62, s35
	ds_write_b64 v99, v[2:3]
	ds_write_b64 v102, v[4:5]
	ds_write_b64 v103, v[2:3]
	ds_write_b64 v104, v[4:5]
	;; [unrolled: 8-line block ×4, first 2 shown]
	s_waitcnt lgkmcnt(0)
	s_barrier
	ds_read_b64 v[6:7], v113 offset:49152
	ds_read2_b64 v[2:5], v114 offset1:16
	ds_read_b64 v[18:19], v116 offset:6144
	ds_read_b64 v[20:21], v114 offset:6144
	s_waitcnt lgkmcnt(2)
	v_mfma_f32_16x16x16_bf16 a[0:3], v[6:7], v[2:3], 0
	ds_read_b64 v[22:23], v115 offset:49152
	ds_read2st64_b64 v[10:13], v117 offset0:4 offset1:8
	ds_read2st64_b64 v[14:17], v118 offset0:4 offset1:8
	v_mfma_f32_16x16x16_bf16 a[4:7], v[6:7], v[4:5], 0
	ds_read2_b64 v[2:5], v114 offset0:32 offset1:48
	s_add_i32 s2, s58, 63
	s_mul_i32 s3, s2, s29
	s_waitcnt lgkmcnt(0)
	v_mfma_f32_16x16x16_bf16 a[8:11], v[6:7], v[2:3], 0
	s_mul_hi_u32 s27, s2, s28
	s_add_i32 s3, s27, s3
	s_mul_i32 s2, s2, s28
	v_mfma_f32_16x16x16_bf16 a[12:15], v[6:7], v[4:5], 0
	ds_read2st64_b64 v[2:5], v114 offset0:4 offset1:8
	ds_read2st64_b64 v[6:9], v116 offset0:4 offset1:8
	s_lshl_b64 s[2:3], s[2:3], 2
	s_waitcnt lgkmcnt(1)
	v_mfma_f32_16x16x16_bf16 a[0:3], v[22:23], v[2:3], a[0:3]
	s_add_u32 s2, s42, s2
	s_addc_u32 s3, s43, s3
	s_and_b64 vcc, exec, s[0:1]
	s_waitcnt lgkmcnt(0)
	v_mfma_f32_16x16x16_bf16 a[4:7], v[22:23], v[6:7], a[4:7]
	v_mov_b32_e32 v147, 0
	v_mov_b32_e32 v146, 0
	;; [unrolled: 1-line block ×3, first 2 shown]
	v_mfma_f32_16x16x16_bf16 a[8:11], v[22:23], v[10:11], a[8:11]
	ds_read_b64 v[2:3], v119 offset:49152
	ds_read_b64 v[6:7], v120 offset:49152
	ds_read_b64 v[10:11], v118 offset:6144
	v_mfma_f32_16x16x16_bf16 a[12:15], v[22:23], v[14:15], a[12:15]
	v_mov_b32_e32 v14, 0
	v_mov_b32_e32 v15, 0
	s_waitcnt lgkmcnt(2)
	v_mfma_f32_16x16x16_bf16 a[0:3], v[2:3], v[4:5], a[0:3]
	v_mov_b32_e32 v4, 0
	v_mov_b32_e32 v5, 0
	v_mfma_f32_16x16x16_bf16 a[16:19], v[2:3], v[8:9], a[4:7]
	v_mov_b32_e32 v8, 0
	v_mov_b32_e32 v9, 0
	;; [unrolled: 3-line block ×3, first 2 shown]
	v_mfma_f32_16x16x16_bf16 a[24:27], v[2:3], v[16:17], a[12:15]
	ds_read_b64 v[2:3], v117 offset:6144
	v_mov_b32_e32 v16, 0
	v_mov_b32_e32 v17, 0
	s_waitcnt lgkmcnt(2)
	v_mfma_f32_16x16x16_bf16 a[4:7], v[6:7], v[20:21], a[0:3]
	v_mfma_f32_16x16x16_bf16 a[8:11], v[6:7], v[18:19], a[16:19]
	s_waitcnt lgkmcnt(0)
	v_mfma_f32_16x16x16_bf16 a[12:15], v[6:7], v[2:3], a[20:23]
	v_mov_b32_e32 v2, 0
	v_mov_b32_e32 v3, 0
	v_mfma_f32_16x16x16_bf16 a[0:3], v[6:7], v[10:11], a[24:27]
	v_mov_b32_e32 v6, 0
	v_mov_b32_e32 v7, 0
	;; [unrolled: 1-line block ×4, first 2 shown]
	s_cbranch_vccnz .LBB208_12
; %bb.11:                               ;   in Loop: Header=BB208_6 Depth=1
	s_and_b32 s21, s21, 0xffff
	buffer_load_dwordx4 v[14:17], v93, s[20:23], 0 offen
	buffer_load_dwordx4 v[10:13], v93, s[20:23], s56 offen
	;; [unrolled: 1-line block ×4, first 2 shown]
	v_mov_b32_e32 v146, v95
	v_mov_b32_e32 v145, v96
.LBB208_12:                             ;   in Loop: Header=BB208_6 Depth=1
	ds_read_b64 v[34:35], v113 offset:57344
	ds_read2_b64 v[18:21], v121 offset1:16
	ds_read_b64 v[36:37], v115 offset:57344
	ds_read_b64 v[38:39], v119 offset:57344
	;; [unrolled: 1-line block ×3, first 2 shown]
	v_add_u32_e32 v42, s58, v134
	s_waitcnt lgkmcnt(3)
	v_mfma_f32_16x16x16_bf16 a[4:7], v[34:35], v[18:19], a[4:7]
	v_mfma_f32_16x16x16_bf16 a[8:11], v[34:35], v[20:21], a[8:11]
	ds_read2_b64 v[18:21], v121 offset0:32 offset1:48
	ds_read2st64_b64 v[22:25], v121 offset0:4 offset1:8
	ds_read2st64_b64 v[26:29], v122 offset0:4 offset1:8
	;; [unrolled: 1-line block ×3, first 2 shown]
	s_waitcnt lgkmcnt(3)
	v_mfma_f32_16x16x16_bf16 a[12:15], v[34:35], v[18:19], a[12:15]
	v_ashrrev_i32_e32 v18, 31, v42
	v_mfma_f32_16x16x16_bf16 a[0:3], v[34:35], v[20:21], a[0:3]
	v_mul_lo_u32 v20, v18, s28
	v_mul_lo_u32 v21, v42, s29
	v_mad_u64_u32 v[18:19], s[20:21], v42, s28, 0
	v_add3_u32 v19, v19, v21, v20
	v_add_u32_e32 v20, 1, v42
	v_ashrrev_i32_e32 v21, 31, v20
	s_waitcnt lgkmcnt(2)
	v_mfma_f32_16x16x16_bf16 a[4:7], v[36:37], v[22:23], a[4:7]
	v_mul_lo_u32 v22, v21, s28
	v_mul_lo_u32 v23, v20, s29
	v_mad_u64_u32 v[20:21], s[20:21], v20, s28, 0
	v_add3_u32 v21, v21, v23, v22
	v_add_u32_e32 v22, 2, v42
	v_ashrrev_i32_e32 v23, 31, v22
	s_waitcnt lgkmcnt(1)
	v_mfma_f32_16x16x16_bf16 a[8:11], v[36:37], v[26:27], a[8:11]
	v_mul_lo_u32 v26, v23, s28
	v_mul_lo_u32 v27, v22, s29
	v_mad_u64_u32 v[22:23], s[20:21], v22, s28, 0
	v_lshl_add_u64 v[18:19], v[18:19], 2, s[42:43]
	v_add3_u32 v23, v23, v27, v26
	v_add_u32_e32 v26, 3, v42
	v_ashrrev_i32_e32 v27, 31, v26
	global_load_dword v35, v[18:19], off
	v_mad_u64_u32 v[18:19], s[20:21], v26, s28, 0
	v_mul_lo_u32 v27, v27, s28
	v_mul_lo_u32 v34, v26, s29
	s_add_u32 s20, s38, s58
	v_add3_u32 v19, v19, v34, v27
	s_addc_u32 s21, s39, 0
	v_lshl_add_u64 v[20:21], v[20:21], 2, s[42:43]
	v_lshl_add_u64 v[22:23], v[22:23], 2, s[42:43]
	;; [unrolled: 1-line block ×3, first 2 shown]
	s_lshl_b64 s[20:21], s[20:21], 8
	global_load_dword v34, v[20:21], off
	global_load_dword v42, v[22:23], off
	;; [unrolled: 1-line block ×3, first 2 shown]
	v_lshl_add_u64 v[18:19], v[80:81], 0, s[20:21]
	v_lshl_add_u64 v[22:23], v[18:19], 0, v[78:79]
	global_load_ushort v44, v[22:23], off offset:256
	global_load_ushort v148, v[22:23], off
	ds_read2st64_b64 v[18:21], v124 offset0:4 offset1:8
	global_load_ushort v149, v[22:23], off offset:768
	global_load_ushort v150, v[22:23], off offset:512
	s_waitcnt lgkmcnt(1)
	v_mfma_f32_16x16x16_bf16 a[12:15], v[36:37], v[30:31], a[12:15]
	s_and_b64 vcc, exec, s[0:1]
	s_waitcnt vmcnt(3)
	v_lshlrev_b32_e32 v31, 16, v44
	s_waitcnt lgkmcnt(0)
	v_mfma_f32_16x16x16_bf16 a[0:3], v[36:37], v[18:19], a[0:3]
	global_load_ushort v36, v[22:23], off offset:288
	global_load_ushort v37, v[22:23], off offset:32
	;; [unrolled: 1-line block ×8, first 2 shown]
	v_mfma_f32_16x16x16_bf16 a[4:7], v[38:39], v[24:25], a[4:7]
	ds_read_b64 v[18:19], v121 offset:6144
	s_waitcnt vmcnt(10)
	v_lshlrev_b32_e32 v30, 16, v148
	v_mov_b32_e32 v148, 0
	v_mfma_f32_16x16x16_bf16 a[8:11], v[38:39], v[28:29], a[8:11]
	v_mfma_f32_16x16x16_bf16 a[12:15], v[38:39], v[32:33], a[12:15]
	;; [unrolled: 1-line block ×3, first 2 shown]
	global_load_ushort v38, v[22:23], off offset:352
	global_load_ushort v39, v[22:23], off offset:96
	ds_read_b64 v[20:21], v122 offset:6144
	ds_read_b64 v[24:25], v123 offset:6144
	ds_read_b64 v[26:27], v124 offset:6144
	global_load_ushort v157, v[22:23], off offset:864
	global_load_ushort v158, v[22:23], off offset:608
	s_load_dword s2, s[2:3], 0x0
	s_waitcnt lgkmcnt(0)
	v_mfma_f32_16x16x16_bf16 a[4:7], v[40:41], v[18:19], a[4:7]
	v_sub_f32_e32 v28, s2, v42
	v_mfma_f32_16x16x16_bf16 a[0:3], v[40:41], v[26:27], a[0:3]
	v_sub_f32_e32 v26, s2, v35
	v_sub_f32_e32 v27, s2, v34
	;; [unrolled: 1-line block ×3, first 2 shown]
	v_mul_f32_e32 v26, 0x3fb8aa3b, v26
	v_mul_f32_e32 v27, 0x3fb8aa3b, v27
	;; [unrolled: 1-line block ×4, first 2 shown]
	v_mfma_f32_16x16x16_bf16 a[8:11], v[40:41], v[20:21], a[8:11]
	v_exp_f32_e32 v26, v26
	v_exp_f32_e32 v27, v27
	;; [unrolled: 1-line block ×4, first 2 shown]
	v_accvgpr_read_b32 v33, a5
	v_accvgpr_read_b32 v32, a4
	v_accvgpr_read_b32 v19, a7
	v_accvgpr_read_b32 v18, a6
	v_pk_add_f32 v[30:31], v[30:31], v[32:33] neg_lo:[0,1] neg_hi:[0,1]
	s_waitcnt vmcnt(13)
	v_lshlrev_b32_e32 v33, 16, v149
	s_waitcnt vmcnt(12)
	v_lshlrev_b32_e32 v32, 16, v150
	v_pk_add_f32 v[18:19], v[32:33], v[18:19] neg_lo:[0,1] neg_hi:[0,1]
	v_pk_mul_f32 v[30:31], v[26:27], v[30:31]
	v_pk_mul_f32 v[18:19], v[28:29], v[18:19]
	v_accvgpr_read_b32 v33, a9
	v_perm_b32 v19, v19, v18, s35
	v_perm_b32 v18, v31, v30, s35
	v_accvgpr_read_b32 v32, a8
	v_accvgpr_read_b32 v21, a11
	v_mfma_f32_16x16x16_bf16 a[12:15], v[40:41], v[24:25], a[12:15]
	v_accvgpr_read_b32 v20, a10
	v_accvgpr_read_b32 v25, a3
	;; [unrolled: 1-line block ×3, first 2 shown]
	s_waitcnt vmcnt(11)
	v_lshlrev_b32_e32 v31, 16, v36
	s_waitcnt vmcnt(10)
	v_lshlrev_b32_e32 v30, 16, v37
	v_pk_add_f32 v[30:31], v[30:31], v[32:33] neg_lo:[0,1] neg_hi:[0,1]
	s_waitcnt vmcnt(9)
	v_lshlrev_b32_e32 v33, 16, v151
	s_waitcnt vmcnt(8)
	v_lshlrev_b32_e32 v32, 16, v152
	v_pk_add_f32 v[20:21], v[32:33], v[20:21] neg_lo:[0,1] neg_hi:[0,1]
	v_pk_mul_f32 v[30:31], v[26:27], v[30:31]
	v_pk_mul_f32 v[20:21], v[28:29], v[20:21]
	v_accvgpr_read_b32 v23, a15
	v_perm_b32 v21, v21, v20, s35
	v_perm_b32 v20, v31, v30, s35
	ds_write2_b64 v98, v[18:19], v[20:21] offset1:16
	v_accvgpr_read_b32 v21, a13
	s_waitcnt vmcnt(7)
	v_lshlrev_b32_e32 v19, 16, v153
	s_waitcnt vmcnt(6)
	v_lshlrev_b32_e32 v18, 16, v154
	v_accvgpr_read_b32 v20, a12
	v_accvgpr_read_b32 v22, a14
	v_pk_add_f32 v[18:19], v[18:19], v[20:21] neg_lo:[0,1] neg_hi:[0,1]
	s_waitcnt vmcnt(5)
	v_lshlrev_b32_e32 v21, 16, v155
	s_waitcnt vmcnt(4)
	v_lshlrev_b32_e32 v20, 16, v156
	v_pk_add_f32 v[20:21], v[20:21], v[22:23] neg_lo:[0,1] neg_hi:[0,1]
	v_pk_mul_f32 v[18:19], v[26:27], v[18:19]
	v_pk_mul_f32 v[20:21], v[28:29], v[20:21]
	v_accvgpr_read_b32 v23, a1
	v_perm_b32 v21, v21, v20, s35
	v_perm_b32 v20, v19, v18, s35
	s_waitcnt vmcnt(3)
	v_lshlrev_b32_e32 v19, 16, v38
	s_waitcnt vmcnt(2)
	v_lshlrev_b32_e32 v18, 16, v39
	v_accvgpr_read_b32 v22, a0
	v_pk_add_f32 v[18:19], v[18:19], v[22:23] neg_lo:[0,1] neg_hi:[0,1]
	s_waitcnt vmcnt(1)
	v_lshlrev_b32_e32 v23, 16, v157
	s_waitcnt vmcnt(0)
	v_lshlrev_b32_e32 v22, 16, v158
	v_pk_add_f32 v[22:23], v[22:23], v[24:25] neg_lo:[0,1] neg_hi:[0,1]
	v_pk_mul_f32 v[18:19], v[26:27], v[18:19]
	v_pk_mul_f32 v[22:23], v[28:29], v[22:23]
	v_mov_b32_e32 v24, 0
	v_perm_b32 v23, v23, v22, s35
	v_perm_b32 v22, v19, v18, s35
	ds_write2_b64 v98, v[20:21], v[22:23] offset0:32 offset1:48
	v_mov_b32_e32 v18, 0
	v_mov_b32_e32 v19, 0
	;; [unrolled: 1-line block ×15, first 2 shown]
	s_cbranch_vccnz .LBB208_14
; %bb.13:                               ;   in Loop: Header=BB208_6 Depth=1
	s_and_b32 s25, s25, 0xffff
	s_mov_b32 s27, s23
	buffer_load_dwordx4 v[30:33], v131, s[24:27], 0 offen
	buffer_load_dwordx4 v[22:25], v131, s[24:27], s56 offen
	;; [unrolled: 1-line block ×4, first 2 shown]
	v_mov_b32_e32 v147, v92
	v_mov_b32_e32 v148, v91
.LBB208_14:                             ;   in Loop: Header=BB208_6 Depth=1
	s_waitcnt lgkmcnt(0)
	s_barrier
	ds_read_b64 v[42:43], v136
	ds_read2_b64 v[34:37], v127 offset1:16
	ds_read_b64 v[166:167], v137
	ds_read_b64 v[168:169], v138
	;; [unrolled: 1-line block ×3, first 2 shown]
	ds_read2_b64 v[38:41], v127 offset0:32 offset1:48
	ds_read2st64_b64 v[150:153], v127 offset0:4 offset1:8
	ds_read2st64_b64 v[154:157], v128 offset0:4 offset1:8
	;; [unrolled: 1-line block ×4, first 2 shown]
	s_waitcnt lgkmcnt(8)
	v_mfma_f32_16x16x16_bf16 a[0:3], v[42:43], v[34:35], 0
	s_add_i32 s3, s50, s65
	s_mul_hi_i32 s21, s3, s13
	s_mul_i32 s3, s3, s13
	v_mfma_f32_16x16x16_bf16 a[4:7], v[42:43], v[36:37], 0
	s_add_u32 s20, s3, s33
	s_addc_u32 s21, s21, s54
	s_add_i32 s3, s31, s58
	s_waitcnt lgkmcnt(4)
	v_mfma_f32_16x16x16_bf16 a[8:11], v[42:43], v[38:39], 0
	s_lshl_b64 s[20:21], s[20:21], 15
	s_mul_hi_i32 s25, s3, s13
	s_mul_i32 s3, s3, s13
	v_mfma_f32_16x16x16_bf16 a[12:15], v[42:43], v[40:41], 0
	ds_read_b64 v[42:43], v127 offset:6144
	ds_read_b64 v[178:179], v128 offset:6144
	;; [unrolled: 1-line block ×4, first 2 shown]
	s_add_u32 s24, s3, s33
	s_waitcnt lgkmcnt(7)
	v_mfma_f32_16x16x16_bf16 a[0:3], v[166:167], v[150:151], a[0:3]
	s_addc_u32 s25, s25, s54
	s_lshl_b64 s[24:25], s[24:25], 9
	s_add_u32 s24, s40, s24
	s_waitcnt lgkmcnt(6)
	v_mfma_f32_16x16x16_bf16 a[4:7], v[166:167], v[154:155], a[4:7]
	s_addc_u32 s25, s41, s25
	v_lshl_add_u64 v[188:189], v[82:83], 0, s[20:21]
	s_waitcnt lgkmcnt(5)
	v_mfma_f32_16x16x16_bf16 a[8:11], v[166:167], v[158:159], a[8:11]
	s_waitcnt lgkmcnt(4)
	v_mfma_f32_16x16x16_bf16 a[12:15], v[166:167], v[162:163], a[12:15]
	ds_read_b64 v[166:167], v141
	ds_read_b64 v[176:177], v142
	;; [unrolled: 1-line block ×3, first 2 shown]
	s_waitcnt lgkmcnt(2)
	v_mfma_f32_16x16x16_bf16 a[16:19], v[166:167], v[34:35], 0
	v_mfma_f32_16x16x16_bf16 a[20:23], v[166:167], v[36:37], 0
	global_load_dwordx4 v[34:37], v140, s[24:25]
	v_mfma_f32_16x16x16_bf16 a[24:27], v[166:167], v[38:39], 0
	v_mfma_f32_16x16x16_bf16 a[28:31], v[166:167], v[40:41], 0
	global_load_dwordx4 v[38:41], v135, s[24:25]
	v_mfma_f32_16x16x16_bf16 a[0:3], v[168:169], v[152:153], a[0:3]
	v_mfma_f32_16x16x16_bf16 a[4:7], v[168:169], v[156:157], a[4:7]
	;; [unrolled: 1-line block ×8, first 2 shown]
	ds_read2st64_b64 v[166:169], v125 offset1:8
	ds_read2st64_b64 v[170:173], v126 offset1:8
	ds_read_b64 v[186:187], v133 offset:40960
	s_waitcnt lgkmcnt(2)
	v_mov_b32_e32 v174, v166
	v_mfma_f32_16x16x16_bf16 a[16:19], v[176:177], v[150:151], a[16:19]
	v_mov_b32_e32 v175, v167
	v_mfma_f32_16x16x16_bf16 a[20:23], v[176:177], v[154:155], a[20:23]
	v_mfma_f32_16x16x16_bf16 a[24:27], v[176:177], v[158:159], a[24:27]
	v_mfma_f32_16x16x16_bf16 a[28:31], v[176:177], v[162:163], a[28:31]
	v_add_co_u32_e32 v162, vcc, s62, v188
	s_waitcnt lgkmcnt(1)
	v_mov_b32_e32 v176, v170
	s_waitcnt lgkmcnt(0)
	v_mfma_f32_16x16x16_bf16 a[16:19], v[186:187], v[152:153], a[16:19]
	ds_read2st64_b64 v[150:153], v125 offset0:16 offset1:24
	v_addc_co_u32_e32 v163, vcc, 0, v189, vcc
	v_mfma_f32_16x16x16_bf16 a[20:23], v[186:187], v[156:157], a[20:23]
	ds_read2st64_b64 v[154:157], v126 offset0:16 offset1:24
	v_mov_b32_e32 v177, v171
	v_mov_b32_e32 v170, v168
	v_mfma_f32_16x16x16_bf16 a[32:35], v[186:187], v[160:161], a[24:27]
	v_mov_b32_e32 v171, v169
	s_waitcnt lgkmcnt(0)
	v_mov_b32_e32 v160, v154
	v_mov_b32_e32 v161, v155
	v_mfma_f32_16x16x16_bf16 a[36:39], v[186:187], v[164:165], a[28:31]
	v_mov_b32_e32 v154, v152
	v_mov_b32_e32 v155, v153
	;; [unrolled: 1-line block ×3, first 2 shown]
	v_mfma_f32_16x16x16_bf16 a[24:27], v[184:185], v[42:43], a[16:19]
	v_add_co_u32_e32 v42, vcc, s63, v188
	v_mov_b32_e32 v159, v151
	v_mfma_f32_16x16x16_bf16 a[28:31], v[184:185], v[178:179], a[20:23]
	v_addc_co_u32_e32 v43, vcc, 0, v189, vcc
	global_store_dwordx4 v[42:43], v[154:157], off
	v_mfma_f32_16x16x16_bf16 a[16:19], v[184:185], v[180:181], a[32:35]
	s_waitcnt vmcnt(2)
	v_mov_b32_e32 v44, v37
	v_mov_b32_e32 v43, v36
	;; [unrolled: 1-line block ×3, first 2 shown]
	v_mfma_f32_16x16x16_bf16 a[20:23], v[184:185], v[182:183], a[36:39]
	s_and_b64 vcc, exec, s[0:1]
	global_store_dwordx4 v[188:189], v[174:177], off
	global_store_dwordx4 v[162:163], v[170:173], off offset:-4096
	global_store_dwordx4 v[162:163], v[158:161], off
	s_cbranch_vccnz .LBB208_16
; %bb.15:                               ;   in Loop: Header=BB208_6 Depth=1
	v_lshrrev_b32_e32 v35, 3, v147
	v_and_b32_e32 v35, 6, v35
	v_xor_b32_e32 v36, v35, v148
	v_lshlrev_b32_e32 v36, 2, v36
	v_and_b32_e32 v37, 8, v147
	v_xor_b32_e32 v147, 0x440, v36
	v_cmp_eq_u32_e32 vcc, 0, v37
	v_perm_b32 v37, v22, v18, s59
	s_nop 0
	v_cndmask_b32_e32 v36, v147, v36, vcc
	v_lshl_or_b32 v35, v35, 10, v36
	v_perm_b32 v36, v30, v26, s59
	s_barrier
	ds_write2st64_b32 v35, v36, v37 offset0:128 offset1:160
	v_xor_b32_e32 v36, 8, v35
	v_perm_b32 v26, v30, v26, s60
	v_perm_b32 v18, v22, v18, s60
	v_add_u32_e32 v22, 0x80, v36
	ds_write2st64_b32 v22, v26, v18 offset0:128 offset1:160
	v_xor_b32_e32 v18, 16, v35
	v_perm_b32 v22, v31, v27, s59
	v_perm_b32 v26, v23, v19, s59
	ds_write2st64_b32 v18, v22, v26 offset0:129 offset1:161
	v_xor_b32_e32 v18, 24, v35
	v_perm_b32 v22, v31, v27, s60
	v_perm_b32 v19, v23, v19, s60
	v_add_u32_e32 v18, 0x80, v18
	ds_write2st64_b32 v18, v22, v19 offset0:129 offset1:161
	v_xor_b32_e32 v18, 32, v35
	v_perm_b32 v19, v32, v28, s59
	v_perm_b32 v22, v24, v20, s59
	;; [unrolled: 9-line block ×3, first 2 shown]
	ds_write2st64_b32 v18, v19, v20 offset0:131 offset1:163
	v_xor_b32_e32 v18, 56, v35
	v_perm_b32 v19, v33, v29, s60
	v_perm_b32 v20, v25, v21, s60
	v_add_u32_e32 v18, 0x80, v18
	ds_write2st64_b32 v18, v19, v20 offset0:131 offset1:163
	ds_write_b64 v146, v[14:15] offset:49152
	v_xor_b32_e32 v14, 8, v146
	ds_write_b64 v14, v[16:17] offset:49152
	ds_write_b64 v146, v[10:11] offset:57344
	;; [unrolled: 1-line block ×4, first 2 shown]
	v_xor_b32_e32 v6, 8, v145
	ds_write_b64 v6, v[8:9] offset:49152
	ds_write_b64 v145, v[2:3] offset:57344
	;; [unrolled: 1-line block ×3, first 2 shown]
.LBB208_16:                             ;   in Loop: Header=BB208_6 Depth=1
	v_mul_f32_e32 v26, s2, v144
	v_exp_f32_e32 v36, v26
	s_waitcnt vmcnt(4)
	v_mul_f32_e32 v26, 0x3fb8aa3b, v38
	v_exp_f32_e32 v38, v26
	v_mul_f32_e32 v26, 0x3fb8aa3b, v39
	v_exp_f32_e32 v39, v26
	;; [unrolled: 2-line block ×4, first 2 shown]
	v_accvgpr_read_b32 v5, a3
	v_accvgpr_read_b32 v4, a2
	;; [unrolled: 1-line block ×4, first 2 shown]
	v_pk_mul_f32 v[38:39], v[36:37], v[38:39] op_sel_hi:[0,1]
	v_pk_mul_f32 v[40:41], v[36:37], v[40:41] op_sel_hi:[0,1]
	v_pk_fma_f32 v[74:75], v[74:75], v[38:39], v[2:3]
	v_pk_fma_f32 v[76:77], v[76:77], v[40:41], v[4:5]
	v_mul_f32_e32 v2, 0x3fb8aa3b, v34
	v_mul_f32_e32 v3, 0x3fb8aa3b, v42
	;; [unrolled: 1-line block ×4, first 2 shown]
	v_exp_f32_e32 v2, v2
	v_exp_f32_e32 v3, v3
	;; [unrolled: 1-line block ×4, first 2 shown]
	v_accvgpr_read_b32 v9, a7
	v_accvgpr_read_b32 v13, a11
	;; [unrolled: 1-line block ×28, first 2 shown]
	v_pk_mul_f32 v[2:3], v[36:37], v[2:3] op_sel_hi:[0,1]
	v_pk_mul_f32 v[4:5], v[36:37], v[4:5] op_sel_hi:[0,1]
	s_add_i32 s58, s58, 64
	v_pk_fma_f32 v[66:67], v[38:39], v[66:67], v[6:7]
	v_pk_fma_f32 v[68:69], v[40:41], v[68:69], v[8:9]
	;; [unrolled: 1-line block ×13, first 2 shown]
	s_cmp_eq_u32 s47, s64
	v_pk_fma_f32 v[50:51], v[4:5], v[50:51], v[32:33]
	s_cbranch_scc1 .LBB208_18
; %bb.17:                               ;   in Loop: Header=BB208_6 Depth=1
	s_mov_b32 s65, s64
	s_branch .LBB208_6
.LBB208_18:
	s_lshl_b32 s40, s47, 6
	s_sub_i32 s41, s12, s40
	s_cmp_gt_i32 s41, 0
	s_cbranch_scc0 .LBB208_99
; %bb.19:
	s_ashr_i32 s35, s48, 31
	s_ashr_i32 s2, s40, 31
	s_cmpk_lg_i32 s15, 0x80
	s_cselect_b64 s[26:27], -1, 0
	s_and_b64 vcc, exec, s[26:27]
	s_cbranch_vccz .LBB208_21
; %bb.20:
	s_mul_i32 s1, s48, s12
	s_mul_hi_i32 s0, s48, s12
	s_add_u32 s1, s1, s40
	s_addc_u32 s0, s0, s2
	s_mul_i32 s3, s1, s49
	s_mul_hi_u32 s20, s1, s14
	s_add_i32 s3, s20, s3
	s_mul_i32 s0, s0, s14
	s_add_i32 s3, s3, s0
	s_mul_i32 s1, s1, s14
	s_ashr_i32 s0, s52, 31
	s_add_u32 s38, s1, s52
	s_addc_u32 s39, s3, s0
	s_cbranch_execz .LBB208_22
	s_branch .LBB208_23
.LBB208_21:
                                        ; implicit-def: $sgpr38_sgpr39
.LBB208_22:
	s_mul_hi_i32 s0, s48, s14
	s_mul_i32 s48, s48, s14
	s_ashr_i32 s1, s52, 31
	s_add_u32 s3, s48, s52
	s_addc_u32 s0, s0, s1
	s_mul_i32 s1, s3, s46
	s_mul_hi_u32 s14, s3, s12
	s_add_i32 s1, s14, s1
	s_mul_i32 s0, s0, s12
	s_add_i32 s1, s1, s0
	s_mul_i32 s3, s3, s12
	s_add_u32 s38, s3, s40
	s_addc_u32 s39, s1, s2
.LBB208_23:
	s_add_i32 s3, s50, s47
	s_ashr_i32 s14, s33, 31
	s_add_u32 s0, s45, s33
	s_addc_u32 s1, s51, s14
	s_mul_i32 s20, s0, s46
	s_mul_hi_u32 s21, s0, s12
	s_add_i32 s20, s21, s20
	s_mul_i32 s1, s1, s12
	s_add_i32 s20, s20, s1
	s_mul_i32 s0, s0, s12
	s_add_u32 s0, s0, s40
	v_lshlrev_b32_e32 v6, 6, v89
	v_lshlrev_b32_e32 v24, 2, v45
	s_addc_u32 s1, s20, s2
	s_mov_b32 s2, 0x7060302
	v_or_b32_e32 v9, v6, v24
	v_xor_b32_e32 v7, v89, v24
	v_perm_b32 v3, v77, v76, s2
	v_perm_b32 v2, v75, v74, s2
	;; [unrolled: 1-line block ×4, first 2 shown]
	v_lshlrev_b32_e32 v9, 1, v9
	v_xor_b32_e32 v8, v90, v24
	ds_write2st64_b64 v9, v[2:3], v[4:5] offset0:32 offset1:48
	v_lshlrev_b32_e32 v7, 1, v7
	v_lshlrev_b32_e32 v9, 8, v45
	v_or_b32_e32 v10, v7, v9
	v_lshlrev_b32_e32 v8, 1, v8
	ds_write_b64 v10, v[2:3]
	v_or_b32_e32 v2, v8, v9
	v_or_b32_e32 v9, 16, v45
	v_lshlrev_b32_e32 v23, 2, v9
	v_or_b32_e32 v10, v6, v23
	ds_write_b64 v2, v[4:5]
	v_perm_b32 v3, v69, v68, s2
	v_perm_b32 v2, v67, v66, s2
	;; [unrolled: 1-line block ×4, first 2 shown]
	v_lshlrev_b32_e32 v10, 1, v10
	v_lshlrev_b32_e32 v9, 8, v9
	ds_write2st64_b64 v10, v[2:3], v[4:5] offset0:32 offset1:48
	v_or_b32_e32 v10, v7, v9
	ds_write_b64 v10, v[2:3]
	v_or_b32_e32 v2, v8, v9
	v_or_b32_e32 v9, 32, v45
	v_lshlrev_b32_e32 v22, 2, v9
	v_or_b32_e32 v10, v6, v22
	s_lshl_b64 s[24:25], s[0:1], 8
	ds_write_b64 v2, v[4:5]
	v_perm_b32 v3, v61, v60, s2
	v_perm_b32 v2, v59, v58, s2
	;; [unrolled: 1-line block ×4, first 2 shown]
	v_lshlrev_b32_e32 v10, 1, v10
	v_lshlrev_b32_e32 v9, 8, v9
	s_add_u32 s0, s6, s24
	ds_write2st64_b64 v10, v[2:3], v[4:5] offset0:32 offset1:48
	v_or_b32_e32 v10, v7, v9
	s_addc_u32 s1, s7, s25
	ds_write_b64 v10, v[2:3]
	v_or_b32_e32 v2, v8, v9
	v_or_b32_e32 v9, 48, v45
	s_mul_hi_i32 s6, s3, s13
	s_mul_i32 s3, s3, s13
	ds_write_b64 v2, v[4:5]
	v_perm_b32 v3, v47, v46, s2
	v_perm_b32 v2, v53, v52, s2
	;; [unrolled: 1-line block ×4, first 2 shown]
	v_lshlrev_b32_e32 v19, 2, v9
	s_add_u32 s2, s3, s33
	v_or_b32_e32 v6, v6, v19
	s_addc_u32 s3, s6, s14
	v_lshlrev_b32_e32 v6, 1, v6
	s_ashr_i32 s31, s30, 31
	s_lshl_b64 s[2:3], s[2:3], 15
	ds_write2st64_b64 v6, v[2:3], v[4:5] offset0:32 offset1:48
	v_lshlrev_b32_e32 v6, 8, v9
	s_add_u32 s6, s36, s2
	v_or_b32_e32 v7, v7, v6
	s_addc_u32 s7, s37, s3
	s_lshl_b64 s[2:3], s[30:31], 8
	ds_write_b64 v7, v[2:3]
	v_or_b32_e32 v2, v8, v6
	s_add_u32 s2, s6, s2
	v_lshlrev_b32_e32 v3, 1, v45
	ds_write_b64 v2, v[4:5]
	v_lshrrev_b32_e32 v2, 4, v0
	s_addc_u32 s3, s7, s3
	v_or_b32_e32 v4, 1, v3
	v_lshlrev_b32_e32 v10, 4, v45
	v_mov_b32_e32 v11, 0
	v_xor_b32_e32 v3, v2, v3
	v_xor_b32_e32 v6, v4, v2
	v_lshl_add_u64 v[12:13], s[2:3], 0, v[10:11]
	v_lshlrev_b32_e32 v10, 8, v2
	v_lshl_or_b32 v16, v3, 3, v10
	v_lshl_or_b32 v17, v6, 3, v10
	s_waitcnt lgkmcnt(0)
	s_barrier
	ds_read2st64_b64 v[2:5], v16 offset1:8
	ds_read2st64_b64 v[6:9], v17 offset1:8
	v_lshl_add_u64 v[14:15], v[12:13], 0, v[10:11]
	s_movk_i32 s2, 0x2000
	s_cmp_lg_u32 s41, 64
	s_waitcnt lgkmcnt(1)
	v_mov_b32_e32 v10, v2
	v_mov_b32_e32 v11, v3
	s_waitcnt lgkmcnt(0)
	v_mov_b32_e32 v12, v6
	v_mov_b32_e32 v13, v7
	global_store_dwordx4 v[14:15], v[10:13], off
	v_mov_b32_e32 v6, v4
	v_mov_b32_e32 v7, v5
	ds_read2st64_b64 v[2:5], v16 offset0:16 offset1:24
	ds_read2st64_b64 v[10:13], v17 offset0:16 offset1:24
	v_add_co_u32_e32 v16, vcc, s2, v14
	s_cselect_b64 s[6:7], -1, 0
	s_nop 0
	v_addc_co_u32_e32 v17, vcc, 0, v15, vcc
	global_store_dwordx4 v[16:17], v[6:9], off offset:-4096
	v_lshl_or_b32 v25, v85, 3, v88
	s_mov_b32 s20, 0
	s_waitcnt lgkmcnt(1)
	v_mov_b32_e32 v6, v2
	v_add_co_u32_e32 v2, vcc, 0x3000, v14
	v_mov_b32_e32 v7, v3
	s_nop 0
	v_addc_co_u32_e32 v3, vcc, 0, v15, vcc
	s_waitcnt lgkmcnt(0)
	v_mov_b32_e32 v8, v10
	v_mov_b32_e32 v9, v11
	;; [unrolled: 1-line block ×4, first 2 shown]
	v_or_b32_e32 v20, 32, v25
	v_and_b32_e32 v18, 56, v87
	s_and_b64 vcc, exec, s[6:7]
	global_store_dwordx4 v[16:17], v[6:9], off
	global_store_dwordx4 v[2:3], v[10:13], off
	s_cbranch_vccz .LBB208_29
; %bb.24:
	s_mov_b32 s21, s20
	s_mov_b32 s22, s20
	;; [unrolled: 1-line block ×3, first 2 shown]
	v_mov_b64_e32 v[6:7], s[20:21]
	v_mov_b64_e32 v[8:9], s[22:23]
	;; [unrolled: 1-line block ×3, first 2 shown]
	v_cmp_gt_i32_e32 vcc, s41, v25
	v_mov_b64_e32 v[4:5], v[8:9]
	s_and_saveexec_b64 s[2:3], vcc
	s_cbranch_execz .LBB208_26
; %bb.25:
	v_lshlrev_b32_e32 v2, 8, v25
	v_mov_b32_e32 v3, 0
	v_lshl_add_u64 v[4:5], s[0:1], 0, v[2:3]
	v_lshlrev_b32_e32 v2, 1, v18
	v_lshl_add_u64 v[10:11], v[4:5], 0, v[2:3]
	global_load_dwordx4 v[6:9], v[10:11], off
	global_load_dwordx4 v[2:5], v[10:11], off offset:128
.LBB208_26:
	s_or_b64 exec, exec, s[2:3]
	s_mov_b32 s21, s20
	s_mov_b32 s22, s20
	s_mov_b32 s23, s20
	v_mov_b64_e32 v[14:15], s[20:21]
	v_mov_b64_e32 v[16:17], s[22:23]
	;; [unrolled: 1-line block ×3, first 2 shown]
	v_cmp_gt_i32_e32 vcc, s41, v20
	v_lshlrev_b32_e32 v21, 7, v20
	v_mov_b64_e32 v[12:13], v[16:17]
	s_and_saveexec_b64 s[2:3], vcc
	s_cbranch_execz .LBB208_28
; %bb.27:
	v_lshlrev_b32_e32 v10, 1, v21
	v_mov_b32_e32 v11, 0
	v_lshl_add_u64 v[12:13], s[0:1], 0, v[10:11]
	v_lshlrev_b32_e32 v10, 1, v18
	v_lshl_add_u64 v[26:27], v[12:13], 0, v[10:11]
	global_load_dwordx4 v[14:17], v[26:27], off
	global_load_dwordx4 v[10:13], v[26:27], off offset:128
.LBB208_28:
	s_or_b64 exec, exec, s[2:3]
	v_lshrrev_b32_e32 v26, 3, v18
	v_lshlrev_b32_e32 v27, 3, v25
	v_or_b32_e32 v26, v27, v26
	v_lshlrev_b32_e32 v26, 4, v26
	v_and_b32_e32 v27, 0x78, v27
	v_xor_b32_e32 v26, v26, v27
	s_branch .LBB208_31
.LBB208_29:
                                        ; implicit-def: $vgpr26
                                        ; implicit-def: $vgpr21
                                        ; implicit-def: $vgpr6_vgpr7_vgpr8_vgpr9
                                        ; implicit-def: $vgpr2_vgpr3_vgpr4_vgpr5
                                        ; implicit-def: $vgpr14_vgpr15_vgpr16_vgpr17
                                        ; implicit-def: $vgpr10_vgpr11_vgpr12_vgpr13
	s_cbranch_execz .LBB208_31
; %bb.30:
	s_waitcnt vmcnt(0)
	v_lshlrev_b32_e32 v2, 1, v18
	v_lshl_or_b32 v21, v25, 8, v2
	s_and_b32 s1, s1, 0xffff
	s_mov_b32 s3, 0x20000
	s_movk_i32 s2, 0x4000
	v_lshl_or_b32 v26, v20, 8, v2
	s_movk_i32 s13, 0x80
	buffer_load_dwordx4 v[6:9], v21, s[0:3], 0 offen
	buffer_load_dwordx4 v[2:5], v21, s[0:3], s13 offen
	;; [unrolled: 1-line block ×4, first 2 shown]
	v_lshrrev_b32_e32 v21, 3, v18
	v_lshlrev_b32_e32 v26, 3, v25
	v_or_b32_e32 v21, v26, v21
	v_lshlrev_b32_e32 v21, 4, v21
	v_and_b32_e32 v26, 0x78, v26
	v_xor_b32_e32 v26, v21, v26
	v_lshlrev_b32_e32 v21, 7, v20
.LBB208_31:
	s_movk_i32 s0, 0x1000
	v_and_or_b32 v20, v21, s0, v26
	s_waitcnt vmcnt(1)
	ds_write_b64 v26, v[6:7] offset:49152
	v_xor_b32_e32 v6, 8, v26
	ds_write_b64 v6, v[8:9] offset:49152
	s_waitcnt vmcnt(0)
	ds_write_b64 v26, v[2:3] offset:57344
	ds_write_b64 v6, v[4:5] offset:57344
	;; [unrolled: 1-line block ×3, first 2 shown]
	v_xor_b32_e32 v2, 8, v20
	ds_write_b64 v2, v[16:17] offset:49152
	ds_write_b64 v20, v[10:11] offset:57344
	;; [unrolled: 1-line block ×3, first 2 shown]
	v_or_b32_e32 v2, v1, v45
	v_lshlrev_b32_e32 v3, 11, v85
	v_lshlrev_b32_e32 v2, 3, v2
	v_and_b32_e32 v6, 0x1000, v3
	v_lshrrev_b32_e32 v3, 5, v84
	s_movk_i32 s0, 0xf8
	v_and_or_b32 v3, v2, s0, v3
	v_lshlrev_b32_e32 v7, 4, v3
	v_and_b32_e32 v8, 0x78, v2
	v_or_b32_e32 v10, 32, v7
	v_lshrrev_b32_e32 v3, 1, v84
	v_xor_b32_e32 v10, v10, v8
	v_xor_b32_e32 v2, v7, v8
	v_and_b32_e32 v9, 8, v3
	v_or_b32_e32 v10, v10, v6
	v_or_b32_e32 v2, v2, v6
	v_xor_b32_e32 v28, v10, v9
	v_or_b32_e32 v10, 64, v7
	v_xor_b32_e32 v27, v2, v9
	v_xor_b32_e32 v10, v10, v8
	s_waitcnt lgkmcnt(0)
	s_barrier
	v_or_b32_e32 v13, v10, v6
	ds_read_b64 v[10:11], v27 offset:49152
	v_lshl_or_b32 v14, v86, 8, v24
	v_lshlrev_b32_e32 v26, 1, v14
	v_add_u32_e32 v12, 0x4000, v26
	ds_read2_b64 v[2:5], v12 offset1:16
	v_or_b32_e32 v7, 0x60, v7
	v_xor_b32_e32 v7, v7, v8
	v_or_b32_e32 v6, v7, v6
	v_xor_b32_e32 v29, v13, v9
	v_xor_b32_e32 v30, v6, v9
	ds_read_b64 v[20:21], v28 offset:49152
	ds_read_b64 v[34:35], v29 offset:49152
	;; [unrolled: 1-line block ×3, first 2 shown]
	s_waitcnt lgkmcnt(3)
	v_mfma_f32_16x16x16_bf16 a[0:3], v[10:11], v[2:3], 0
	ds_read2_b64 v[6:9], v12 offset0:32 offset1:48
	s_lshl_b64 s[0:1], s[38:39], 8
	s_add_u32 s4, s4, s0
	v_mfma_f32_16x16x16_bf16 a[4:7], v[10:11], v[4:5], 0
	ds_read2st64_b64 v[2:5], v26 offset0:36 offset1:40
	s_addc_u32 s5, s5, s1
	s_add_i32 s2, s12, -1
	s_waitcnt lgkmcnt(1)
	v_mfma_f32_16x16x16_bf16 a[8:11], v[10:11], v[6:7], 0
	v_or_b32_e32 v6, 64, v14
	v_lshlrev_b32_e32 v31, 1, v6
	s_add_i32 s0, s44, s17
	s_waitcnt lgkmcnt(0)
	v_mfma_f32_16x16x16_bf16 a[0:3], v[20:21], v[2:3], a[0:3]
	v_or_b32_e32 v2, 0x80, v14
	v_lshlrev_b32_e32 v32, 1, v2
	v_or_b32_e32 v2, 0xc0, v14
	v_mfma_f32_16x16x16_bf16 a[12:15], v[10:11], v[8:9], 0
	ds_read2st64_b64 v[6:9], v31 offset0:36 offset1:40
	v_lshlrev_b32_e32 v33, 1, v2
	ds_read2st64_b64 v[10:13], v32 offset0:36 offset1:40
	ds_read2st64_b64 v[14:17], v33 offset0:36 offset1:40
	s_mul_i32 s35, s35, s16
	s_add_i32 s35, s0, s35
	s_mul_i32 s0, s33, s19
	s_mul_hi_u32 s1, s33, s18
	s_ashr_i32 s3, s2, 31
	s_mul_i32 s12, s2, s29
	s_mul_hi_u32 s13, s2, s28
	s_waitcnt lgkmcnt(2)
	v_mfma_f32_16x16x16_bf16 a[4:7], v[20:21], v[6:7], a[4:7]
	s_add_i32 s0, s1, s0
	s_mul_i32 s1, s14, s18
	s_add_i32 s12, s13, s12
	s_mul_i32 s3, s3, s28
	s_waitcnt lgkmcnt(1)
	v_mfma_f32_16x16x16_bf16 a[8:11], v[20:21], v[10:11], a[8:11]
	s_add_i32 s1, s0, s1
	s_add_i32 s3, s12, s3
	s_lshl_b64 s[12:13], s[34:35], 2
	s_waitcnt lgkmcnt(0)
	v_mfma_f32_16x16x16_bf16 a[12:15], v[20:21], v[14:15], a[12:15]
	s_mul_i32 s0, s33, s18
	s_add_u32 s10, s10, s12
	s_addc_u32 s11, s11, s13
	s_lshl_b64 s[0:1], s[0:1], 2
	v_mfma_f32_16x16x16_bf16 a[0:3], v[34:35], v[4:5], a[0:3]
	s_mul_i32 s2, s2, s28
	ds_read_b64 v[2:3], v26 offset:22528
	s_add_u32 s10, s10, s0
	v_mfma_f32_16x16x16_bf16 a[4:7], v[34:35], v[8:9], a[4:7]
	ds_read_b64 v[4:5], v31 offset:22528
	ds_read_b64 v[6:7], v32 offset:22528
	;; [unrolled: 1-line block ×3, first 2 shown]
	s_addc_u32 s11, s11, s1
	s_lshl_b64 s[0:1], s[2:3], 2
	v_mfma_f32_16x16x16_bf16 a[8:11], v[34:35], v[12:13], a[8:11]
	s_add_u32 s0, s10, s0
	s_addc_u32 s1, s11, s1
	s_load_dword s12, s[0:1], 0x0
	v_mfma_f32_16x16x16_bf16 a[12:15], v[34:35], v[16:17], a[12:15]
	s_and_b64 vcc, exec, s[26:27]
	s_waitcnt lgkmcnt(0)
	v_mfma_f32_16x16x16_bf16 a[0:3], v[36:37], v[2:3], a[0:3]
	v_mfma_f32_16x16x16_bf16 a[4:7], v[36:37], v[4:5], a[4:7]
	;; [unrolled: 1-line block ×4, first 2 shown]
	s_cbranch_vccz .LBB208_42
; %bb.32:
	v_lshlrev_b32_e32 v20, 1, v25
	s_and_b64 vcc, exec, s[6:7]
	s_cbranch_vccz .LBB208_43
; %bb.33:
	v_cmp_gt_i32_e32 vcc, s41, v20
	v_mov_b32_e32 v6, 0
	v_mov_b32_e32 v2, 0
	;; [unrolled: 1-line block ×5, first 2 shown]
	s_and_saveexec_b64 s[0:1], vcc
	s_cbranch_execz .LBB208_35
; %bb.34:
	v_mad_i64_i32 v[2:3], s[2:3], s15, v20, 0
	v_lshl_add_u64 v[2:3], v[2:3], 1, s[4:5]
	v_lshlrev_b32_e32 v4, 1, v18
	v_mov_b32_e32 v5, 0
	v_lshl_add_u64 v[2:3], v[2:3], 0, v[4:5]
	global_load_dwordx4 v[2:5], v[2:3], off
.LBB208_35:
	s_or_b64 exec, exec, s[0:1]
	v_or_b32_e32 v21, 1, v20
	v_cmp_gt_i32_e64 s[0:1], s41, v21
	v_mov_b32_e32 v7, 0
	v_mov_b32_e32 v8, 0
	;; [unrolled: 1-line block ×3, first 2 shown]
	s_and_saveexec_b64 s[2:3], s[0:1]
	s_cbranch_execz .LBB208_37
; %bb.36:
	v_mad_i64_i32 v[6:7], s[16:17], s15, v21, 0
	v_lshl_add_u64 v[6:7], v[6:7], 1, s[4:5]
	v_lshlrev_b32_e32 v8, 1, v18
	v_mov_b32_e32 v9, 0
	v_lshl_add_u64 v[6:7], v[6:7], 0, v[8:9]
	global_load_dwordx4 v[6:9], v[6:7], off
.LBB208_37:
	s_or_b64 exec, exec, s[2:3]
	v_mov_b32_e32 v17, 0
	v_mov_b32_e32 v10, 0
	;; [unrolled: 1-line block ×5, first 2 shown]
	s_and_saveexec_b64 s[2:3], vcc
	s_cbranch_execz .LBB208_39
; %bb.38:
	v_mad_i64_i32 v[10:11], s[16:17], s15, v20, 0
	v_lshl_add_u64 v[10:11], v[10:11], 1, s[4:5]
	v_lshlrev_b32_e32 v12, 1, v18
	v_mov_b32_e32 v13, 0
	v_lshl_add_u64 v[10:11], v[10:11], 0, v[12:13]
	global_load_dwordx4 v[10:13], v[10:11], off offset:128
.LBB208_39:
	s_or_b64 exec, exec, s[2:3]
	v_mov_b32_e32 v16, 0
	v_mov_b32_e32 v15, 0
	;; [unrolled: 1-line block ×3, first 2 shown]
	s_and_saveexec_b64 s[2:3], s[0:1]
	s_cbranch_execz .LBB208_41
; %bb.40:
	v_mad_i64_i32 v[14:15], s[0:1], s15, v21, 0
	v_lshl_add_u64 v[14:15], v[14:15], 1, s[4:5]
	v_lshlrev_b32_e32 v16, 1, v18
	v_mov_b32_e32 v17, 0
	v_lshl_add_u64 v[14:15], v[14:15], 0, v[16:17]
	global_load_dwordx4 v[14:17], v[14:15], off offset:128
.LBB208_41:
	s_or_b64 exec, exec, s[2:3]
	s_branch .LBB208_45
.LBB208_42:
                                        ; implicit-def: $vgpr5
                                        ; implicit-def: $vgpr9
                                        ; implicit-def: $vgpr13
                                        ; implicit-def: $vgpr17
	v_lshrrev_b32_e32 v34, 2, v84
	s_branch .LBB208_46
.LBB208_43:
                                        ; implicit-def: $vgpr5
                                        ; implicit-def: $vgpr9
                                        ; implicit-def: $vgpr13
                                        ; implicit-def: $vgpr17
	s_cbranch_execz .LBB208_45
; %bb.44:
	s_waitcnt vmcnt(0)
	v_mad_u64_u32 v[2:3], s[0:1], v20, s15, v[18:19]
	v_lshlrev_b32_e32 v20, 1, v2
	s_lshl_b32 s2, s15, 7
	s_and_b32 s1, s5, 0xffff
	s_mov_b32 s3, 0x20000
	s_mov_b32 s0, s4
	v_add_lshl_u32 v21, v2, s15, 1
	s_movk_i32 s13, 0x80
	buffer_load_dwordx4 v[2:5], v20, s[0:3], 0 offen
	buffer_load_dwordx4 v[10:13], v20, s[0:3], s13 offen
	;; [unrolled: 1-line block ×4, first 2 shown]
.LBB208_45:
	v_lshrrev_b32_e32 v34, 2, v84
	s_cbranch_execnz .LBB208_58
.LBB208_46:
	s_and_b64 vcc, exec, s[6:7]
	s_cbranch_vccz .LBB208_56
; %bb.47:
	s_waitcnt vmcnt(0)
	v_lshlrev_b32_e32 v7, 1, v25
	v_cmp_gt_i32_e32 vcc, s41, v7
	v_mov_b32_e32 v6, 0
	v_lshlrev_b32_e32 v14, 9, v25
	v_mov_b32_e32 v2, 0
	v_mov_b32_e32 v3, 0
	;; [unrolled: 1-line block ×4, first 2 shown]
	s_and_saveexec_b64 s[0:1], vcc
	s_cbranch_execz .LBB208_49
; %bb.48:
	v_mov_b32_e32 v15, 0
	v_lshl_add_u64 v[2:3], s[4:5], 0, v[14:15]
	v_lshlrev_b32_e32 v4, 1, v18
	v_mov_b32_e32 v5, v15
	v_lshl_add_u64 v[2:3], v[2:3], 0, v[4:5]
	global_load_dwordx4 v[2:5], v[2:3], off
.LBB208_49:
	s_or_b64 exec, exec, s[0:1]
	v_or_b32_e32 v7, 1, v7
	v_cmp_gt_i32_e64 s[0:1], s41, v7
	v_lshlrev_b32_e32 v20, 8, v7
	v_mov_b32_e32 v7, 0
	v_mov_b32_e32 v8, 0
	;; [unrolled: 1-line block ×3, first 2 shown]
	s_and_saveexec_b64 s[2:3], s[0:1]
	s_cbranch_execz .LBB208_51
; %bb.50:
	v_mov_b32_e32 v21, 0
	v_lshl_add_u64 v[6:7], s[4:5], 0, v[20:21]
	v_lshlrev_b32_e32 v8, 1, v18
	v_mov_b32_e32 v9, v21
	v_lshl_add_u64 v[6:7], v[6:7], 0, v[8:9]
	global_load_dwordx4 v[6:9], v[6:7], off
.LBB208_51:
	s_or_b64 exec, exec, s[2:3]
	v_mov_b32_e32 v17, 0
	v_mov_b32_e32 v10, 0
	;; [unrolled: 1-line block ×5, first 2 shown]
	s_and_saveexec_b64 s[2:3], vcc
	s_cbranch_execz .LBB208_53
; %bb.52:
	v_mov_b32_e32 v15, 0
	v_lshl_add_u64 v[10:11], s[4:5], 0, v[14:15]
	v_lshlrev_b32_e32 v14, 1, v18
	v_lshl_add_u64 v[10:11], v[10:11], 0, v[14:15]
	global_load_dwordx4 v[10:13], v[10:11], off offset:128
.LBB208_53:
	s_or_b64 exec, exec, s[2:3]
	v_mov_b32_e32 v16, 0
	v_mov_b32_e32 v15, 0
	;; [unrolled: 1-line block ×3, first 2 shown]
	s_and_saveexec_b64 s[2:3], s[0:1]
	s_cbranch_execz .LBB208_55
; %bb.54:
	v_mov_b32_e32 v21, 0
	v_lshl_add_u64 v[14:15], s[4:5], 0, v[20:21]
	v_lshlrev_b32_e32 v20, 1, v18
	v_lshl_add_u64 v[14:15], v[14:15], 0, v[20:21]
	global_load_dwordx4 v[14:17], v[14:15], off offset:128
.LBB208_55:
	s_or_b64 exec, exec, s[2:3]
	s_branch .LBB208_58
.LBB208_56:
                                        ; implicit-def: $vgpr5
                                        ; implicit-def: $vgpr9
                                        ; implicit-def: $vgpr13
                                        ; implicit-def: $vgpr17
	s_cbranch_execz .LBB208_58
; %bb.57:
	s_waitcnt vmcnt(0)
	v_lshlrev_b32_e32 v2, 1, v18
	v_lshl_or_b32 v18, v25, 9, v2
	s_and_b32 s5, s5, 0xffff
	s_mov_b32 s7, 0x20000
	s_movk_i32 s6, 0x4000
	s_movk_i32 s0, 0x80
	buffer_load_dwordx4 v[2:5], v18, s[4:7], 0 offen
	buffer_load_dwordx4 v[6:9], v18, s[4:7], 0 offen offset:256
	buffer_load_dwordx4 v[10:13], v18, s[4:7], s0 offen
	buffer_load_dwordx4 v[14:17], v18, s[4:7], s0 offen offset:256
.LBB208_58:
	ds_read_b64 v[20:21], v27 offset:57344
	v_add_u32_e32 v18, 0x6000, v26
	ds_read2_b64 v[36:39], v18 offset1:16
	ds_read_b64 v[54:55], v28 offset:57344
	ds_read_b64 v[28:29], v29 offset:57344
	;; [unrolled: 1-line block ×3, first 2 shown]
	ds_read2st64_b64 v[40:43], v26 offset0:52 offset1:56
	s_mov_b32 s0, 0x1000504
	s_mov_b32 s1, 0x3020706
	s_waitcnt lgkmcnt(4)
	v_mfma_f32_16x16x16_bf16 a[0:3], v[20:21], v[36:37], a[0:3]
	v_mfma_f32_16x16x16_bf16 a[4:7], v[20:21], v[38:39], a[4:7]
	ds_read2_b64 v[36:39], v18 offset0:32 offset1:48
	v_and_b32_e32 v18, 6, v0
	v_xor_b32_e32 v25, v25, v18
	s_waitcnt lgkmcnt(0)
	v_mfma_f32_16x16x16_bf16 a[8:11], v[20:21], v[36:37], a[8:11]
	v_lshlrev_b32_e32 v25, 2, v25
	v_and_b32_e32 v0, 1, v0
	v_xor_b32_e32 v35, 0x440, v25
	v_mfma_f32_16x16x16_bf16 a[12:15], v[20:21], v[38:39], a[12:15]
	ds_read2st64_b64 v[36:39], v31 offset0:52 offset1:56
	ds_read2st64_b64 v[46:49], v32 offset0:52 offset1:56
	;; [unrolled: 1-line block ×3, first 2 shown]
	v_cmp_eq_u32_e32 vcc, 0, v0
	ds_read_b64 v[20:21], v26 offset:30720
	ds_read_b64 v[26:27], v31 offset:30720
	;; [unrolled: 1-line block ×4, first 2 shown]
	v_mfma_f32_16x16x16_bf16 a[0:3], v[54:55], v[40:41], a[0:3]
	v_cndmask_b32_e32 v0, v35, v25, vcc
	v_lshl_or_b32 v0, v18, 10, v0
	s_waitcnt vmcnt(0)
	v_perm_b32 v18, v2, v6, s0
	s_waitcnt lgkmcnt(6)
	v_mfma_f32_16x16x16_bf16 a[4:7], v[54:55], v[36:37], a[4:7]
	v_perm_b32 v25, v10, v14, s0
	ds_write2st64_b32 v0, v18, v25 offset0:128 offset1:160
	v_xor_b32_e32 v18, 8, v0
	s_waitcnt lgkmcnt(6)
	v_mfma_f32_16x16x16_bf16 a[8:11], v[54:55], v[46:47], a[8:11]
	v_perm_b32 v2, v2, v6, s1
	v_perm_b32 v6, v10, v14, s1
	v_add_u32_e32 v10, 0x80, v18
	s_waitcnt lgkmcnt(5)
	v_mfma_f32_16x16x16_bf16 a[12:15], v[54:55], v[50:51], a[12:15]
	ds_write2st64_b32 v10, v2, v6 offset0:128 offset1:160
	v_xor_b32_e32 v2, 16, v0
	v_perm_b32 v6, v3, v7, s0
	v_mfma_f32_16x16x16_bf16 a[0:3], v[28:29], v[42:43], a[0:3]
	v_perm_b32 v10, v11, v15, s0
	ds_write2st64_b32 v2, v6, v10 offset0:129 offset1:161
	v_xor_b32_e32 v2, 24, v0
	v_mfma_f32_16x16x16_bf16 a[4:7], v[28:29], v[38:39], a[4:7]
	v_perm_b32 v3, v3, v7, s1
	v_perm_b32 v6, v11, v15, s1
	v_add_u32_e32 v2, 0x80, v2
	v_mfma_f32_16x16x16_bf16 a[16:19], v[28:29], v[48:49], a[8:11]
	ds_write2st64_b32 v2, v3, v6 offset0:129 offset1:161
	v_xor_b32_e32 v2, 32, v0
	v_perm_b32 v3, v4, v8, s0
	v_mfma_f32_16x16x16_bf16 a[20:23], v[28:29], v[52:53], a[12:15]
	v_perm_b32 v6, v12, v16, s0
	ds_write2st64_b32 v2, v3, v6 offset0:130 offset1:162
	v_xor_b32_e32 v2, 40, v0
	s_waitcnt lgkmcnt(8)
	v_mfma_f32_16x16x16_bf16 a[12:15], v[56:57], v[20:21], a[0:3]
	v_perm_b32 v3, v4, v8, s1
	v_perm_b32 v4, v12, v16, s1
	v_add_u32_e32 v2, 0x80, v2
	s_waitcnt lgkmcnt(7)
	v_mfma_f32_16x16x16_bf16 a[8:11], v[56:57], v[26:27], a[4:7]
	ds_write2st64_b32 v2, v3, v4 offset0:130 offset1:162
	v_xor_b32_e32 v2, 48, v0
	v_perm_b32 v3, v5, v9, s0
	s_waitcnt lgkmcnt(7)
	v_mfma_f32_16x16x16_bf16 a[4:7], v[56:57], v[30:31], a[16:19]
	v_perm_b32 v4, v13, v17, s0
	v_xor_b32_e32 v0, 56, v0
	v_and_or_b32 v18, v34, 12, v1
	s_waitcnt lgkmcnt(6)
	v_mfma_f32_16x16x16_bf16 a[0:3], v[56:57], v[32:33], a[20:23]
	ds_write2st64_b32 v2, v3, v4 offset0:131 offset1:163
	v_perm_b32 v2, v5, v9, s1
	v_perm_b32 v3, v13, v17, s1
	v_add_u32_e32 v0, 0x80, v0
	v_cmp_gt_i32_e32 vcc, s41, v18
	v_mov_b32_e32 v14, 0
	v_mov_b32_e32 v16, 0
	ds_write2st64_b32 v0, v2, v3 offset0:131 offset1:163
	s_and_saveexec_b64 s[0:1], vcc
	s_cbranch_execz .LBB208_60
; %bb.59:
	v_add_u32_e32 v0, s40, v18
	v_ashrrev_i32_e32 v1, 31, v0
	v_mul_lo_u32 v2, v1, s28
	v_mul_lo_u32 v3, v0, s29
	v_mad_u64_u32 v[0:1], s[2:3], v0, s28, 0
	v_add3_u32 v1, v1, v3, v2
	v_lshl_add_u64 v[0:1], v[0:1], 2, s[10:11]
	global_load_dword v0, v[0:1], off
	s_waitcnt vmcnt(0)
	v_sub_f32_e32 v0, s12, v0
	v_mul_f32_e32 v0, 0x3fb8aa3b, v0
	v_exp_f32_e32 v16, v0
.LBB208_60:
	s_or_b64 exec, exec, s[0:1]
	v_or_b32_e32 v8, 1, v18
	v_cmp_gt_i32_e64 s[0:1], s41, v8
	s_and_saveexec_b64 s[2:3], s[0:1]
	s_cbranch_execz .LBB208_62
; %bb.61:
	v_add_u32_e32 v0, s40, v8
	v_ashrrev_i32_e32 v1, 31, v0
	v_mul_lo_u32 v2, v1, s28
	v_mul_lo_u32 v3, v0, s29
	v_mad_u64_u32 v[0:1], s[4:5], v0, s28, 0
	v_add3_u32 v1, v1, v3, v2
	v_lshl_add_u64 v[0:1], v[0:1], 2, s[10:11]
	global_load_dword v0, v[0:1], off
	s_waitcnt vmcnt(0)
	v_sub_f32_e32 v0, s12, v0
	v_mul_f32_e32 v0, 0x3fb8aa3b, v0
	v_exp_f32_e32 v14, v0
.LBB208_62:
	s_or_b64 exec, exec, s[2:3]
	v_or_b32_e32 v10, 2, v18
	v_cmp_gt_i32_e64 s[2:3], s41, v10
	v_mov_b32_e32 v15, 0
	v_mov_b32_e32 v17, 0
	s_and_saveexec_b64 s[4:5], s[2:3]
	s_cbranch_execz .LBB208_64
; %bb.63:
	v_add_u32_e32 v0, s40, v10
	v_ashrrev_i32_e32 v1, 31, v0
	v_mul_lo_u32 v2, v1, s28
	v_mul_lo_u32 v3, v0, s29
	v_mad_u64_u32 v[0:1], s[6:7], v0, s28, 0
	v_add3_u32 v1, v1, v3, v2
	v_lshl_add_u64 v[0:1], v[0:1], 2, s[10:11]
	global_load_dword v0, v[0:1], off
	s_waitcnt vmcnt(0)
	v_sub_f32_e32 v0, s12, v0
	v_mul_f32_e32 v0, 0x3fb8aa3b, v0
	v_exp_f32_e32 v17, v0
.LBB208_64:
	s_or_b64 exec, exec, s[4:5]
	v_or_b32_e32 v12, 3, v18
	v_cmp_gt_i32_e64 s[4:5], s41, v12
	s_and_saveexec_b64 s[6:7], s[4:5]
	s_cbranch_execz .LBB208_66
; %bb.65:
	v_add_u32_e32 v0, s40, v12
	v_ashrrev_i32_e32 v1, 31, v0
	v_mul_lo_u32 v2, v1, s28
	v_mul_lo_u32 v3, v0, s29
	v_mad_u64_u32 v[0:1], s[14:15], v0, s28, 0
	v_add3_u32 v1, v1, v3, v2
	v_lshl_add_u64 v[0:1], v[0:1], 2, s[10:11]
	global_load_dword v0, v[0:1], off
	s_waitcnt vmcnt(0)
	v_sub_f32_e32 v0, s12, v0
	v_mul_f32_e32 v0, 0x3fb8aa3b, v0
	v_exp_f32_e32 v15, v0
.LBB208_66:
	s_or_b64 exec, exec, s[6:7]
	v_or_b32_e32 v4, s30, v45
	s_add_u32 s6, s8, s24
	v_accvgpr_read_b32 v0, a12
	s_addc_u32 s7, s9, s25
	v_ashrrev_i32_e32 v5, 31, v4
	v_accvgpr_read_b32 v1, a13
	v_accvgpr_read_b32 v2, a14
	;; [unrolled: 1-line block ×3, first 2 shown]
	v_lshl_add_u64 v[4:5], v[4:5], 1, s[6:7]
	v_mov_b32_e32 v9, 0
	v_lshlrev_b32_e32 v6, 8, v18
	v_mov_b32_e32 v7, 0
	s_and_saveexec_b64 s[6:7], vcc
	s_cbranch_execz .LBB208_68
; %bb.67:
	v_mov_b32_e32 v7, 0
	v_lshl_add_u64 v[20:21], v[4:5], 0, v[6:7]
	global_load_ushort v7, v[20:21], off
	s_waitcnt vmcnt(0)
	v_lshlrev_b32_e32 v7, 16, v7
	v_sub_f32_e32 v0, v7, v0
	v_mul_f32_e32 v0, v16, v0
	v_lshrrev_b32_e32 v7, 16, v0
.LBB208_68:
	s_or_b64 exec, exec, s[6:7]
	v_lshlrev_b32_e32 v8, 8, v8
	s_and_saveexec_b64 s[6:7], s[0:1]
	s_cbranch_execz .LBB208_70
; %bb.69:
	v_mov_b32_e32 v9, 0
	v_lshl_add_u64 v[20:21], v[4:5], 0, v[8:9]
	global_load_ushort v0, v[20:21], off
	s_waitcnt vmcnt(0)
	v_lshlrev_b32_e32 v0, 16, v0
	v_sub_f32_e32 v0, v0, v1
	v_mul_f32_e32 v0, v14, v0
	v_lshrrev_b32_e32 v9, 16, v0
.LBB208_70:
	s_or_b64 exec, exec, s[6:7]
	v_mov_b32_e32 v13, 0
	v_lshlrev_b32_e32 v10, 8, v10
	v_mov_b32_e32 v11, 0
	s_and_saveexec_b64 s[6:7], s[2:3]
	s_cbranch_execz .LBB208_72
; %bb.71:
	v_mov_b32_e32 v11, 0
	v_lshl_add_u64 v[0:1], v[4:5], 0, v[10:11]
	global_load_ushort v0, v[0:1], off
	s_waitcnt vmcnt(0)
	v_lshlrev_b32_e32 v0, 16, v0
	v_sub_f32_e32 v0, v0, v2
	v_mul_f32_e32 v0, v17, v0
	v_lshrrev_b32_e32 v11, 16, v0
.LBB208_72:
	s_or_b64 exec, exec, s[6:7]
	v_lshlrev_b32_e32 v12, 8, v12
	s_and_saveexec_b64 s[6:7], s[4:5]
	s_cbranch_execz .LBB208_74
; %bb.73:
	v_mov_b32_e32 v13, 0
	v_lshl_add_u64 v[0:1], v[4:5], 0, v[12:13]
	global_load_ushort v0, v[0:1], off
	s_waitcnt vmcnt(0)
	v_lshlrev_b32_e32 v0, 16, v0
	v_sub_f32_e32 v0, v0, v3
	v_mul_f32_e32 v0, v15, v0
	v_lshrrev_b32_e32 v13, 16, v0
.LBB208_74:
	s_or_b64 exec, exec, s[6:7]
	v_lshlrev_b32_e32 v18, 6, v18
	s_mov_b32 s6, 0x5040100
	v_perm_b32 v20, v9, v7, s6
	v_or_b32_e32 v7, v18, v24
	v_accvgpr_read_b32 v0, a8
	v_perm_b32 v21, v13, v11, s6
	v_lshlrev_b32_e32 v7, 1, v7
	v_accvgpr_read_b32 v1, a9
	v_accvgpr_read_b32 v2, a10
	;; [unrolled: 1-line block ×3, first 2 shown]
	ds_write_b64 v7, v[20:21] offset:24576
	v_mov_b32_e32 v9, 0
	v_mov_b32_e32 v7, 0
	s_and_saveexec_b64 s[6:7], vcc
	s_cbranch_execz .LBB208_76
; %bb.75:
	v_mov_b32_e32 v7, 0
	v_lshl_add_u64 v[20:21], v[4:5], 0, v[6:7]
	global_load_ushort v7, v[20:21], off offset:32
	s_waitcnt vmcnt(0)
	v_lshlrev_b32_e32 v7, 16, v7
	v_sub_f32_e32 v0, v7, v0
	v_mul_f32_e32 v0, v16, v0
	v_lshrrev_b32_e32 v7, 16, v0
.LBB208_76:
	s_or_b64 exec, exec, s[6:7]
	s_and_saveexec_b64 s[6:7], s[0:1]
	s_cbranch_execz .LBB208_78
; %bb.77:
	v_mov_b32_e32 v9, 0
	v_lshl_add_u64 v[20:21], v[4:5], 0, v[8:9]
	global_load_ushort v0, v[20:21], off offset:32
	s_waitcnt vmcnt(0)
	v_lshlrev_b32_e32 v0, 16, v0
	v_sub_f32_e32 v0, v0, v1
	v_mul_f32_e32 v0, v14, v0
	v_lshrrev_b32_e32 v9, 16, v0
.LBB208_78:
	s_or_b64 exec, exec, s[6:7]
	v_mov_b32_e32 v13, 0
	v_mov_b32_e32 v11, 0
	s_and_saveexec_b64 s[6:7], s[2:3]
	s_cbranch_execz .LBB208_80
; %bb.79:
	v_mov_b32_e32 v11, 0
	v_lshl_add_u64 v[0:1], v[4:5], 0, v[10:11]
	global_load_ushort v0, v[0:1], off offset:32
	s_waitcnt vmcnt(0)
	v_lshlrev_b32_e32 v0, 16, v0
	v_sub_f32_e32 v0, v0, v2
	v_mul_f32_e32 v0, v17, v0
	v_lshrrev_b32_e32 v11, 16, v0
.LBB208_80:
	s_or_b64 exec, exec, s[6:7]
	s_and_saveexec_b64 s[6:7], s[4:5]
	s_cbranch_execz .LBB208_82
; %bb.81:
	v_mov_b32_e32 v13, 0
	v_lshl_add_u64 v[0:1], v[4:5], 0, v[12:13]
	global_load_ushort v0, v[0:1], off offset:32
	s_waitcnt vmcnt(0)
	v_lshlrev_b32_e32 v0, 16, v0
	v_sub_f32_e32 v0, v0, v3
	v_mul_f32_e32 v0, v15, v0
	v_lshrrev_b32_e32 v13, 16, v0
.LBB208_82:
	s_or_b64 exec, exec, s[6:7]
	s_mov_b32 s6, 0x5040100
	v_perm_b32 v20, v9, v7, s6
	v_or_b32_e32 v7, v18, v23
	v_accvgpr_read_b32 v0, a4
	v_perm_b32 v21, v13, v11, s6
	v_lshlrev_b32_e32 v7, 1, v7
	v_accvgpr_read_b32 v1, a5
	v_accvgpr_read_b32 v2, a6
	;; [unrolled: 1-line block ×3, first 2 shown]
	ds_write_b64 v7, v[20:21] offset:24576
	v_mov_b32_e32 v9, 0
	v_mov_b32_e32 v7, 0
	s_and_saveexec_b64 s[6:7], vcc
	s_cbranch_execz .LBB208_84
; %bb.83:
	v_mov_b32_e32 v7, 0
	v_lshl_add_u64 v[20:21], v[4:5], 0, v[6:7]
	global_load_ushort v7, v[20:21], off offset:64
	s_waitcnt vmcnt(0)
	v_lshlrev_b32_e32 v7, 16, v7
	v_sub_f32_e32 v0, v7, v0
	v_mul_f32_e32 v0, v16, v0
	v_lshrrev_b32_e32 v7, 16, v0
.LBB208_84:
	s_or_b64 exec, exec, s[6:7]
	s_and_saveexec_b64 s[6:7], s[0:1]
	s_cbranch_execz .LBB208_86
; %bb.85:
	v_mov_b32_e32 v9, 0
	v_lshl_add_u64 v[20:21], v[4:5], 0, v[8:9]
	global_load_ushort v0, v[20:21], off offset:64
	s_waitcnt vmcnt(0)
	v_lshlrev_b32_e32 v0, 16, v0
	v_sub_f32_e32 v0, v0, v1
	v_mul_f32_e32 v0, v14, v0
	v_lshrrev_b32_e32 v9, 16, v0
.LBB208_86:
	s_or_b64 exec, exec, s[6:7]
	v_mov_b32_e32 v13, 0
	v_mov_b32_e32 v11, 0
	s_and_saveexec_b64 s[6:7], s[2:3]
	s_cbranch_execz .LBB208_88
; %bb.87:
	v_mov_b32_e32 v11, 0
	v_lshl_add_u64 v[0:1], v[4:5], 0, v[10:11]
	global_load_ushort v0, v[0:1], off offset:64
	s_waitcnt vmcnt(0)
	v_lshlrev_b32_e32 v0, 16, v0
	v_sub_f32_e32 v0, v0, v2
	v_mul_f32_e32 v0, v17, v0
	v_lshrrev_b32_e32 v11, 16, v0
.LBB208_88:
	s_or_b64 exec, exec, s[6:7]
	s_and_saveexec_b64 s[6:7], s[4:5]
	s_cbranch_execz .LBB208_90
; %bb.89:
	v_mov_b32_e32 v13, 0
	v_lshl_add_u64 v[0:1], v[4:5], 0, v[12:13]
	global_load_ushort v0, v[0:1], off offset:64
	s_waitcnt vmcnt(0)
	v_lshlrev_b32_e32 v0, 16, v0
	v_sub_f32_e32 v0, v0, v3
	v_mul_f32_e32 v0, v15, v0
	v_lshrrev_b32_e32 v13, 16, v0
.LBB208_90:
	s_or_b64 exec, exec, s[6:7]
	s_mov_b32 s6, 0x5040100
	v_perm_b32 v20, v9, v7, s6
	v_or_b32_e32 v7, v18, v22
	v_accvgpr_read_b32 v0, a0
	v_perm_b32 v21, v13, v11, s6
	v_lshlrev_b32_e32 v7, 1, v7
	v_accvgpr_read_b32 v1, a1
	v_accvgpr_read_b32 v2, a2
	;; [unrolled: 1-line block ×3, first 2 shown]
	ds_write_b64 v7, v[20:21] offset:24576
	v_mov_b32_e32 v9, 0
	v_mov_b32_e32 v7, 0
	s_and_saveexec_b64 s[6:7], vcc
	s_cbranch_execz .LBB208_92
; %bb.91:
	v_mov_b32_e32 v7, 0
	v_lshl_add_u64 v[6:7], v[4:5], 0, v[6:7]
	global_load_ushort v6, v[6:7], off offset:96
	s_waitcnt vmcnt(0)
	v_lshlrev_b32_e32 v6, 16, v6
	v_sub_f32_e32 v0, v6, v0
	v_mul_f32_e32 v0, v16, v0
	v_lshrrev_b32_e32 v7, 16, v0
.LBB208_92:
	s_or_b64 exec, exec, s[6:7]
	s_and_saveexec_b64 s[6:7], s[0:1]
	s_cbranch_execz .LBB208_94
; %bb.93:
	v_mov_b32_e32 v9, 0
	v_lshl_add_u64 v[8:9], v[4:5], 0, v[8:9]
	global_load_ushort v0, v[8:9], off offset:96
	s_waitcnt vmcnt(0)
	v_lshlrev_b32_e32 v0, 16, v0
	v_sub_f32_e32 v0, v0, v1
	v_mul_f32_e32 v0, v14, v0
	v_lshrrev_b32_e32 v9, 16, v0
.LBB208_94:
	s_or_b64 exec, exec, s[6:7]
	v_mov_b32_e32 v0, 0
	v_mov_b32_e32 v1, 0
	s_and_saveexec_b64 s[0:1], s[2:3]
	s_cbranch_execz .LBB208_96
; %bb.95:
	v_mov_b32_e32 v11, 0
	v_lshl_add_u64 v[10:11], v[4:5], 0, v[10:11]
	global_load_ushort v1, v[10:11], off offset:96
	s_waitcnt vmcnt(0)
	v_lshlrev_b32_e32 v1, 16, v1
	v_sub_f32_e32 v1, v1, v2
	v_mul_f32_e32 v1, v17, v1
	v_lshrrev_b32_e32 v1, 16, v1
.LBB208_96:
	s_or_b64 exec, exec, s[0:1]
	s_and_saveexec_b64 s[0:1], s[4:5]
	s_cbranch_execz .LBB208_98
; %bb.97:
	v_mov_b32_e32 v13, 0
	v_lshl_add_u64 v[4:5], v[4:5], 0, v[12:13]
	global_load_ushort v0, v[4:5], off offset:96
	s_waitcnt vmcnt(0)
	v_lshlrev_b32_e32 v0, 16, v0
	v_sub_f32_e32 v0, v0, v3
	v_mul_f32_e32 v0, v15, v0
	v_lshrrev_b32_e32 v0, 16, v0
.LBB208_98:
	s_or_b64 exec, exec, s[0:1]
	s_mov_b32 s0, 0x5040100
	v_or_b32_e32 v2, v18, v19
	v_perm_b32 v1, v0, v1, s0
	v_perm_b32 v0, v9, v7, s0
	v_lshlrev_b32_e32 v2, 1, v2
	ds_write_b64 v2, v[0:1] offset:24576
	s_waitcnt lgkmcnt(0)
	s_barrier
.LBB208_99:
	s_endpgm
	.section	.rodata,"a",@progbits
	.p2align	6, 0x0
	.amdhsa_kernel _ZN12_GLOBAL__N_139chunk_gated_delta_rule_fwd_h_hip_kernelILi64ELb0ELb0ELb0ELb0ELb0ELb1ELb1ELb0EEEvPK12hip_bfloat16S3_S3_PKfS5_PKvPS1_S8_PvPKiSB_iiiiilll
		.amdhsa_group_segment_fixed_size 65536
		.amdhsa_private_segment_fixed_size 0
		.amdhsa_kernarg_size 136
		.amdhsa_user_sgpr_count 2
		.amdhsa_user_sgpr_dispatch_ptr 0
		.amdhsa_user_sgpr_queue_ptr 0
		.amdhsa_user_sgpr_kernarg_segment_ptr 1
		.amdhsa_user_sgpr_dispatch_id 0
		.amdhsa_user_sgpr_kernarg_preload_length 0
		.amdhsa_user_sgpr_kernarg_preload_offset 0
		.amdhsa_user_sgpr_private_segment_size 0
		.amdhsa_uses_dynamic_stack 0
		.amdhsa_enable_private_segment 0
		.amdhsa_system_sgpr_workgroup_id_x 1
		.amdhsa_system_sgpr_workgroup_id_y 1
		.amdhsa_system_sgpr_workgroup_id_z 0
		.amdhsa_system_sgpr_workgroup_info 0
		.amdhsa_system_vgpr_workitem_id 0
		.amdhsa_next_free_vgpr 232
		.amdhsa_next_free_sgpr 66
		.amdhsa_accum_offset 192
		.amdhsa_reserve_vcc 1
		.amdhsa_float_round_mode_32 0
		.amdhsa_float_round_mode_16_64 0
		.amdhsa_float_denorm_mode_32 3
		.amdhsa_float_denorm_mode_16_64 3
		.amdhsa_dx10_clamp 1
		.amdhsa_ieee_mode 1
		.amdhsa_fp16_overflow 0
		.amdhsa_tg_split 0
		.amdhsa_exception_fp_ieee_invalid_op 0
		.amdhsa_exception_fp_denorm_src 0
		.amdhsa_exception_fp_ieee_div_zero 0
		.amdhsa_exception_fp_ieee_overflow 0
		.amdhsa_exception_fp_ieee_underflow 0
		.amdhsa_exception_fp_ieee_inexact 0
		.amdhsa_exception_int_div_zero 0
	.end_amdhsa_kernel
	.section	.text._ZN12_GLOBAL__N_139chunk_gated_delta_rule_fwd_h_hip_kernelILi64ELb0ELb0ELb0ELb0ELb0ELb1ELb1ELb0EEEvPK12hip_bfloat16S3_S3_PKfS5_PKvPS1_S8_PvPKiSB_iiiiilll,"axG",@progbits,_ZN12_GLOBAL__N_139chunk_gated_delta_rule_fwd_h_hip_kernelILi64ELb0ELb0ELb0ELb0ELb0ELb1ELb1ELb0EEEvPK12hip_bfloat16S3_S3_PKfS5_PKvPS1_S8_PvPKiSB_iiiiilll,comdat
.Lfunc_end208:
	.size	_ZN12_GLOBAL__N_139chunk_gated_delta_rule_fwd_h_hip_kernelILi64ELb0ELb0ELb0ELb0ELb0ELb1ELb1ELb0EEEvPK12hip_bfloat16S3_S3_PKfS5_PKvPS1_S8_PvPKiSB_iiiiilll, .Lfunc_end208-_ZN12_GLOBAL__N_139chunk_gated_delta_rule_fwd_h_hip_kernelILi64ELb0ELb0ELb0ELb0ELb0ELb1ELb1ELb0EEEvPK12hip_bfloat16S3_S3_PKfS5_PKvPS1_S8_PvPKiSB_iiiiilll
                                        ; -- End function
	.section	.AMDGPU.csdata,"",@progbits
; Kernel info:
; codeLenInByte = 11160
; NumSgprs: 72
; NumVgprs: 190
; NumAgprs: 40
; TotalNumVgprs: 232
; ScratchSize: 0
; MemoryBound: 0
; FloatMode: 240
; IeeeMode: 1
; LDSByteSize: 65536 bytes/workgroup (compile time only)
; SGPRBlocks: 8
; VGPRBlocks: 28
; NumSGPRsForWavesPerEU: 72
; NumVGPRsForWavesPerEU: 232
; AccumOffset: 192
; Occupancy: 1
; WaveLimiterHint : 1
; COMPUTE_PGM_RSRC2:SCRATCH_EN: 0
; COMPUTE_PGM_RSRC2:USER_SGPR: 2
; COMPUTE_PGM_RSRC2:TRAP_HANDLER: 0
; COMPUTE_PGM_RSRC2:TGID_X_EN: 1
; COMPUTE_PGM_RSRC2:TGID_Y_EN: 1
; COMPUTE_PGM_RSRC2:TGID_Z_EN: 0
; COMPUTE_PGM_RSRC2:TIDIG_COMP_CNT: 0
; COMPUTE_PGM_RSRC3_GFX90A:ACCUM_OFFSET: 47
; COMPUTE_PGM_RSRC3_GFX90A:TG_SPLIT: 0
	.section	.text._ZN12_GLOBAL__N_139chunk_gated_delta_rule_fwd_h_hip_kernelILi64ELb1ELb1ELb1ELb1ELb0ELb1ELb0ELb0EEEvPK12hip_bfloat16S3_S3_PKfS5_PKvPS1_S8_PvPKiSB_iiiiilll,"axG",@progbits,_ZN12_GLOBAL__N_139chunk_gated_delta_rule_fwd_h_hip_kernelILi64ELb1ELb1ELb1ELb1ELb0ELb1ELb0ELb0EEEvPK12hip_bfloat16S3_S3_PKfS5_PKvPS1_S8_PvPKiSB_iiiiilll,comdat
	.globl	_ZN12_GLOBAL__N_139chunk_gated_delta_rule_fwd_h_hip_kernelILi64ELb1ELb1ELb1ELb1ELb0ELb1ELb0ELb0EEEvPK12hip_bfloat16S3_S3_PKfS5_PKvPS1_S8_PvPKiSB_iiiiilll ; -- Begin function _ZN12_GLOBAL__N_139chunk_gated_delta_rule_fwd_h_hip_kernelILi64ELb1ELb1ELb1ELb1ELb0ELb1ELb0ELb0EEEvPK12hip_bfloat16S3_S3_PKfS5_PKvPS1_S8_PvPKiSB_iiiiilll
	.p2align	8
	.type	_ZN12_GLOBAL__N_139chunk_gated_delta_rule_fwd_h_hip_kernelILi64ELb1ELb1ELb1ELb1ELb0ELb1ELb0ELb0EEEvPK12hip_bfloat16S3_S3_PKfS5_PKvPS1_S8_PvPKiSB_iiiiilll,@function
_ZN12_GLOBAL__N_139chunk_gated_delta_rule_fwd_h_hip_kernelILi64ELb1ELb1ELb1ELb1ELb0ELb1ELb0ELb0EEEvPK12hip_bfloat16S3_S3_PKfS5_PKvPS1_S8_PvPKiSB_iiiiilll: ; @_ZN12_GLOBAL__N_139chunk_gated_delta_rule_fwd_h_hip_kernelILi64ELb1ELb1ELb1ELb1ELb0ELb1ELb0ELb0EEEvPK12hip_bfloat16S3_S3_PKfS5_PKvPS1_S8_PvPKiSB_iiiiilll
; %bb.0:
	s_load_dwordx4 s[28:31], s[0:1], 0x5c
	s_load_dwordx4 s[4:7], s[0:1], 0x70
	s_abs_i32 s11, s3
	s_ashr_i32 s10, s3, 31
	s_load_dwordx4 s[24:27], s[0:1], 0x40
	s_load_dwordx2 s[8:9], s[0:1], 0x50
	s_waitcnt lgkmcnt(0)
	s_abs_i32 s14, s29
	v_cvt_f32_u32_e32 v1, s14
	s_sub_i32 s12, 0, s14
	s_ashr_i32 s15, s29, 31
	s_xor_b32 s10, s10, s15
	v_rcp_iflag_f32_e32 v1, v1
	v_and_b32_e32 v99, 15, v0
	v_bfe_u32 v98, v0, 4, 2
	v_mov_b32_e32 v79, 0
	v_mul_f32_e32 v1, 0x4f7ffffe, v1
	v_cvt_u32_f32_e32 v1, v1
	v_lshlrev_b32_e32 v100, 3, v0
	v_readfirstlane_b32 s13, v1
	s_mul_i32 s12, s12, s13
	s_mul_hi_u32 s12, s13, s12
	s_add_i32 s13, s13, s12
	s_mul_hi_u32 s12, s11, s13
	s_mul_i32 s13, s12, s14
	s_sub_i32 s11, s11, s13
	s_add_i32 s16, s12, 1
	s_sub_i32 s13, s11, s14
	s_cmp_ge_u32 s11, s14
	s_cselect_b32 s12, s16, s12
	s_cselect_b32 s11, s13, s11
	s_add_i32 s13, s12, 1
	s_cmp_ge_u32 s11, s14
	s_cselect_b32 s11, s13, s12
	s_xor_b32 s11, s11, s10
	s_sub_i32 s36, s11, s10
	s_mul_i32 s16, s36, s29
	s_ashr_i32 s37, s36, 31
	s_sub_i32 s33, s3, s16
	s_lshl_b64 s[10:11], s[36:37], 2
	s_add_u32 s12, s26, s10
	s_addc_u32 s13, s27, s11
	s_add_u32 s38, s8, s10
	s_addc_u32 s39, s9, s11
	s_abs_i32 s3, s30
	v_cvt_f32_u32_e32 v1, s3
	s_load_dwordx2 s[34:35], s[12:13], 0x0
	s_sub_i32 s9, 0, s3
	s_lshl_b32 s2, s2, 6
	v_rcp_iflag_f32_e32 v1, v1
	v_or_b32_e32 v88, s2, v99
	s_waitcnt lgkmcnt(0)
	s_sub_i32 s56, s35, s34
	s_ashr_i32 s8, s56, 31
	v_mul_f32_e32 v1, 0x4f7ffffe, v1
	v_cvt_u32_f32_e32 v1, v1
	s_lshr_b32 s8, s8, 26
	s_add_i32 s8, s56, s8
	s_ashr_i32 s55, s8, 6
	v_readfirstlane_b32 s10, v1
	s_mul_i32 s9, s9, s10
	s_mul_hi_u32 s9, s10, s9
	s_add_i32 s10, s10, s9
	s_mul_hi_u32 s9, s14, s10
	s_mul_i32 s10, s9, s3
	s_ashr_i32 s8, s30, 31
	s_sub_i32 s10, s14, s10
	s_xor_b32 s8, s15, s8
	s_add_i32 s11, s9, 1
	s_sub_i32 s12, s10, s3
	s_cmp_ge_u32 s10, s3
	s_cselect_b32 s9, s11, s9
	s_cselect_b32 s10, s12, s10
	s_add_i32 s11, s9, 1
	s_cmp_ge_u32 s10, s3
	s_cselect_b32 s3, s11, s9
	s_xor_b32 s3, s3, s8
	s_sub_i32 s3, s3, s8
	s_abs_i32 s17, s3
	v_cvt_f32_u32_e32 v1, s17
	s_sub_i32 s19, 0, s17
	s_abs_i32 s18, s33
	s_xor_b32 s3, s33, s3
	v_rcp_iflag_f32_e32 v2, v1
	s_ashr_i32 s3, s3, 31
	s_load_dwordx8 s[8:15], s[0:1], 0x20
	v_lshrrev_b32_e32 v1, 6, v0
	v_mul_f32_e32 v2, 0x4f7ffffe, v2
	v_cvt_u32_f32_e32 v2, v2
	v_lshlrev_b32_e32 v77, 4, v1
	v_lshlrev_b32_e32 v80, 7, v88
	v_lshl_or_b32 v102, v98, 2, v77
	v_readfirstlane_b32 s20, v2
	s_mul_i32 s19, s19, s20
	s_mul_hi_u32 s19, s20, s19
	s_add_i32 s20, s20, s19
	s_mul_hi_u32 s19, s18, s20
	s_mul_i32 s20, s19, s17
	s_sub_i32 s18, s18, s20
	s_add_i32 s20, s19, 1
	s_sub_i32 s21, s18, s17
	s_cmp_ge_u32 s18, s17
	s_cselect_b32 s19, s20, s19
	s_cselect_b32 s18, s21, s18
	s_add_i32 s20, s19, 1
	s_cmp_ge_u32 s18, s17
	s_cselect_b32 s17, s20, s19
	s_xor_b32 s17, s17, s3
	s_sub_i32 s57, s17, s3
	s_ashr_i32 s48, s33, 31
	s_mul_hi_i32 s3, s36, s29
	s_add_u32 s16, s16, s33
	s_addc_u32 s17, s3, s48
	s_lshl_b64 s[26:27], s[16:17], 16
	s_waitcnt lgkmcnt(0)
	s_add_u32 s10, s10, s26
	s_addc_u32 s11, s11, s27
	v_ashrrev_i32_e32 v81, 31, v80
	v_lshl_add_u64 v[2:3], v[80:81], 2, s[10:11]
	v_lshlrev_b32_e32 v78, 2, v102
	v_or_b32_e32 v82, 0x800, v80
	v_lshl_add_u64 v[2:3], v[2:3], 0, v[78:79]
	v_ashrrev_i32_e32 v83, 31, v82
	global_load_dwordx4 v[22:25], v[2:3], off
	global_load_dwordx4 v[10:13], v[2:3], off offset:256
	v_lshl_add_u64 v[2:3], v[82:83], 2, s[10:11]
	v_or_b32_e32 v86, 0x1000, v80
	v_lshl_add_u64 v[2:3], v[2:3], 0, v[78:79]
	v_ashrrev_i32_e32 v87, 31, v86
	global_load_dwordx4 v[26:29], v[2:3], off
	global_load_dwordx4 v[14:17], v[2:3], off offset:256
	v_lshl_add_u64 v[2:3], v[86:87], 2, s[10:11]
	;; [unrolled: 6-line block ×3, first 2 shown]
	v_lshl_add_u64 v[34:35], v[2:3], 0, v[78:79]
	global_load_dwordx4 v[6:9], v[34:35], off
	global_load_dwordx4 v[2:5], v[34:35], off offset:256
	s_load_dwordx8 s[16:23], s[0:1], 0x0
	s_load_dwordx2 s[10:11], s[0:1], 0x80
	s_load_dword s58, s[38:39], 0x0
	v_and_b32_e32 v79, 63, v0
	v_or_b32_e32 v103, 64, v102
	s_cmp_lt_i32 s56, 64
	s_mul_hi_i32 s59, s33, s28
	s_mul_i32 s60, s33, s28
	v_lshrrev_b32_e32 v101, 3, v79
	s_mul_i32 s49, s36, s5
	s_mul_hi_u32 s51, s36, s4
	s_mul_i32 s50, s37, s4
	s_mul_i32 s42, s36, s4
	;; [unrolled: 1-line block ×3, first 2 shown]
	s_mul_hi_u32 s53, s33, s6
	s_mul_i32 s54, s48, s6
	s_mul_i32 s40, s33, s6
	s_cbranch_scc1 .LBB209_18
; %bb.1:
	s_ashr_i32 s1, s34, 31
	s_add_u32 s0, s60, s34
	s_addc_u32 s1, s59, s1
	s_lshl_b64 s[0:1], s[0:1], 8
	v_and_b32_e32 v105, 56, v100
	s_waitcnt lgkmcnt(0)
	s_add_u32 s4, s18, s0
	v_lshl_or_b32 v104, v1, 3, v101
	v_lshlrev_b32_e32 v34, 1, v105
	s_addc_u32 s0, s19, s1
	v_lshl_or_b32 v106, v104, 8, v34
	s_and_b32 s5, s0, 0xffff
	s_mov_b32 s7, 0x20000
	s_movk_i32 s6, 0x4000
	s_movk_i32 s0, 0x80
	v_or_b32_e32 v107, 0x2000, v106
	buffer_load_dwordx4 v[36:39], v106, s[4:7], 0 offen
	buffer_load_dwordx4 v[40:43], v106, s[4:7], s0 offen
	;; [unrolled: 1-line block ×4, first 2 shown]
	v_lshlrev_b32_e32 v35, 3, v104
	v_and_or_b32 v53, v0, 7, v35
	v_and_b32_e32 v35, 0x78, v35
	v_lshlrev_b32_e32 v53, 4, v53
	v_xor_b32_e32 v108, v53, v35
	v_mul_lo_u32 v52, v104, s31
	v_or_b32_e32 v109, 0x1000, v108
	v_xor_b32_e32 v35, 8, v108
	s_cmpk_eq_i32 s31, 0x80
	s_mov_b32 s61, s34
	v_xor_b32_e32 v53, 8, v109
	s_cselect_b64 s[0:1], -1, 0
	s_cmpk_lg_i32 s31, 0x80
	s_waitcnt vmcnt(3)
	ds_write_b64 v108, v[36:37] offset:49152
	ds_write_b64 v35, v[38:39] offset:49152
	s_waitcnt vmcnt(2)
	ds_write_b64 v108, v[40:41] offset:57344
	ds_write_b64 v35, v[42:43] offset:57344
	;; [unrolled: 3-line block ×4, first 2 shown]
	v_lshl_add_u32 v35, v52, 1, v105
	s_cbranch_scc0 .LBB209_3
; %bb.2:
	v_lshlrev_b32_e32 v37, 1, v35
	v_add_lshl_u32 v36, v35, s31, 1
	s_lshl_b32 s6, s31, 7
	v_lshl_or_b32 v34, v104, 9, v34
	s_cbranch_execz .LBB209_4
	s_branch .LBB209_5
.LBB209_3:
                                        ; implicit-def: $vgpr36
                                        ; implicit-def: $vgpr37
                                        ; implicit-def: $sgpr6
	v_lshl_or_b32 v34, v104, 9, v34
.LBB209_4:
	v_or_b32_e32 v36, 0x100, v34
	s_movk_i32 s6, 0x4000
	v_mov_b32_e32 v37, v34
.LBB209_5:
	s_mul_i32 s4, s34, s30
	s_ashr_i32 s62, s57, 31
	s_mul_hi_i32 s3, s34, s30
	s_add_u32 s4, s4, s57
	s_addc_u32 s5, s3, s62
	s_lshl_b64 s[4:5], s[4:5], 8
	s_add_u32 s4, s16, s4
	s_addc_u32 s3, s17, s5
	s_and_b32 s5, s3, 0xffff
	s_movk_i32 s63, 0x80
	buffer_load_dwordx4 v[38:41], v37, s[4:7], 0 offen
	buffer_load_dwordx4 v[42:45], v37, s[4:7], s63 offen
	;; [unrolled: 1-line block ×4, first 2 shown]
	v_and_b32_e32 v37, 6, v0
	v_lshlrev_b32_e32 v36, 7, v102
	v_xor_b32_e32 v59, v104, v37
	v_and_b32_e32 v54, 1, v0
	v_lshl_or_b32 v62, v99, 3, v36
	v_lshlrev_b32_e32 v59, 2, v59
	v_lshlrev_b32_e32 v55, 2, v99
	v_or_b32_e32 v110, 0x4000, v62
	v_or_b32_e32 v111, 0x6000, v62
	v_xor_b32_e32 v62, 0x440, v59
	v_cmp_eq_u32_e32 vcc, 0, v54
	v_or_b32_e32 v57, 16, v99
	v_or_b32_e32 v58, 32, v99
	v_xor_b32_e32 v60, v102, v55
	v_xor_b32_e32 v61, v103, v55
	v_cndmask_b32_e32 v54, v62, v59, vcc
	s_mov_b32 s64, 0x1000504
	v_lshl_or_b32 v63, v57, 3, v36
	v_lshlrev_b32_e32 v57, 8, v57
	v_lshl_or_b32 v64, v58, 3, v36
	v_lshlrev_b32_e32 v60, 1, v60
	v_lshlrev_b32_e32 v61, 1, v61
	v_lshl_or_b32 v37, v37, 10, v54
	s_add_i32 s3, s51, s49
	s_mov_b32 s65, 0x3020706
	v_lshlrev_b32_e32 v56, 8, v99
	v_or_b32_e32 v114, 0x4000, v64
	v_or_b32_e32 v115, 0x6000, v64
	;; [unrolled: 1-line block ×4, first 2 shown]
	v_xor_b32_e32 v54, 8, v37
	v_xor_b32_e32 v57, 24, v37
	;; [unrolled: 1-line block ×4, first 2 shown]
	s_add_i32 s43, s3, s50
	s_add_i32 s3, s53, s52
	v_or_b32_e32 v112, 0x4000, v63
	v_or_b32_e32 v113, 0x6000, v63
	;; [unrolled: 1-line block ×4, first 2 shown]
	v_xor_b32_e32 v56, 16, v37
	v_xor_b32_e32 v59, 32, v37
	;; [unrolled: 1-line block ×3, first 2 shown]
	v_add_u32_e32 v54, 0x80, v54
	v_add_u32_e32 v57, 0x80, v57
	;; [unrolled: 1-line block ×4, first 2 shown]
	s_add_i32 s41, s3, s54
	s_lshl_b64 s[4:5], s[42:43], 2
	s_add_u32 s3, s22, s4
	s_addc_u32 s36, s23, s5
	s_lshl_b64 s[4:5], s[40:41], 2
	s_add_u32 s44, s3, s4
	s_movk_i32 s3, 0xf8
	s_addc_u32 s45, s36, s5
	s_lshl_b32 s38, s31, 7
	s_movk_i32 s36, 0x100
	v_mov_b32_e32 v91, 0
	v_lshlrev_b32_e32 v90, 4, v99
	v_ashrrev_i32_e32 v89, 31, v88
	v_lshlrev_b32_e32 v58, 8, v58
	s_mov_b32 s66, 0
	s_movk_i32 s6, 0x4000
	v_or_b32_e32 v120, v58, v60
	v_or_b32_e32 v121, v58, v61
	s_movk_i32 s41, 0x2000
	s_movk_i32 s43, 0x3000
	v_mov_b32_e32 v155, 0x3fb8aa3b
	s_waitcnt vmcnt(1)
	v_perm_b32 v65, v38, v46, s64
	s_waitcnt vmcnt(0)
	v_perm_b32 v66, v42, v50, s64
	v_perm_b32 v38, v38, v46, s65
	;; [unrolled: 1-line block ×15, first 2 shown]
	ds_write2st64_b32 v37, v65, v66 offset0:128 offset1:160
	ds_write2st64_b32 v54, v38, v42 offset0:128 offset1:160
	;; [unrolled: 1-line block ×8, first 2 shown]
	v_or_b32_e32 v37, 48, v99
	v_lshl_or_b32 v38, v37, 3, v36
	v_lshlrev_b32_e32 v37, 8, v37
	v_or_b32_e32 v124, v37, v60
	v_or_b32_e32 v125, v37, v61
	v_or_b32_e32 v37, v77, v99
	v_lshlrev_b32_e32 v37, 3, v37
	v_lshrrev_b32_e32 v39, 5, v79
	v_and_or_b32 v39, v37, s3, v39
	v_lshlrev_b32_e32 v39, 4, v39
	v_or_b32_e32 v122, 0x4000, v38
	v_or_b32_e32 v123, 0x6000, v38
	v_lshrrev_b32_e32 v38, 2, v79
	v_lshlrev_b32_e32 v41, 11, v1
	v_and_b32_e32 v37, 0x78, v37
	v_or_b32_e32 v45, 32, v39
	v_and_b32_e32 v40, 12, v38
	v_and_b32_e32 v38, 0x1000, v41
	v_lshrrev_b32_e32 v43, 1, v79
	v_xor_b32_e32 v45, v45, v37
	v_xor_b32_e32 v42, v39, v37
	v_and_b32_e32 v43, 8, v43
	v_or_b32_e32 v45, v45, v38
	v_or_b32_e32 v42, v42, v38
	v_xor_b32_e32 v128, v45, v43
	v_or_b32_e32 v45, 64, v39
	v_or_b32_e32 v39, 0x60, v39
	v_xor_b32_e32 v126, v42, v43
	v_lshlrev_b32_e32 v42, 8, v98
	v_xor_b32_e32 v45, v45, v37
	v_xor_b32_e32 v37, v39, v37
	s_ashr_i32 s3, s2, 31
	v_or_b32_e32 v44, v42, v55
	v_or_b32_e32 v45, v45, v38
	;; [unrolled: 1-line block ×3, first 2 shown]
	s_lshl_b64 s[4:5], s[2:3], 8
	v_lshlrev_b32_e32 v47, 2, v0
	v_lshlrev_b32_e32 v44, 1, v44
	v_xor_b32_e32 v132, v45, v43
	v_xor_b32_e32 v133, v37, v43
	v_lshlrev_b32_e32 v37, 1, v35
	v_add_lshl_u32 v35, v35, s31, 1
	v_or_b32_e32 v43, 0x100, v34
	s_add_u32 s4, s12, s4
	v_lshlrev_b32_e32 v38, 1, v99
	v_lshrrev_b32_e32 v48, 1, v0
	v_and_or_b32 v42, v47, 60, v42
	v_or_b32_e32 v127, 0x4000, v44
	v_or_b32_e32 v129, 0x4080, v44
	;; [unrolled: 1-line block ×8, first 2 shown]
	v_lshrrev_b32_e32 v44, 4, v0
	s_addc_u32 s5, s13, s5
	v_or_b32_e32 v39, 1, v38
	v_and_b32_e32 v48, 24, v48
	v_lshlrev_b32_e32 v42, 1, v42
	v_cndmask_b32_e64 v144, v37, v34, s[0:1]
	v_cndmask_b32_e64 v145, v35, v43, s[0:1]
	v_mov_b32_e32 v35, 0xa000
	v_mov_b32_e32 v37, 0x8000
	v_cmp_gt_u32_e64 s[0:1], s36, v0
	v_xor_b32_e32 v45, v44, v38
	v_xor_b32_e32 v46, v39, v44
	v_lshl_add_u64 v[38:39], s[4:5], 0, v[90:91]
	v_lshlrev_b32_e32 v90, 8, v44
	v_or_b32_e32 v140, 0x6000, v42
	v_or_b32_e32 v47, 32, v48
	;; [unrolled: 1-line block ×6, first 2 shown]
	v_cndmask_b32_e64 v35, v35, v37, s[0:1]
	v_lshlrev_b32_e32 v37, 3, v1
	v_lshl_or_b32 v138, v45, 3, v90
	v_and_b32_e32 v45, 8, v0
	v_xor_b32_e32 v43, v37, v48
	v_xor_b32_e32 v47, v37, v47
	;; [unrolled: 1-line block ×3, first 2 shown]
	v_mov_b32_e32 v49, 0x400
	v_cmp_eq_u32_e32 vcc, 0, v45
	v_or_b32_e32 v48, 0x440, v43
	v_or_b32_e32 v50, 0x440, v47
	v_xor_b32_e32 v42, 0x440, v37
	v_and_b32_e32 v44, 7, v0
	v_cndmask_b32_e64 v45, v49, 64, vcc
	v_cndmask_b32_e32 v48, v48, v43, vcc
	v_cndmask_b32_e32 v47, v50, v47, vcc
	;; [unrolled: 1-line block ×3, first 2 shown]
	v_lshl_or_b32 v139, v46, 3, v90
	v_lshlrev_b32_e32 v46, 3, v44
	v_or_b32_e32 v48, v48, v41
	v_or_b32_e32 v47, v47, v41
	v_or3_b32 v43, v41, v45, v43
	v_or_b32_e32 v37, v37, v41
	v_lshlrev_b32_e32 v44, 7, v44
	v_xor_b32_e32 v48, v48, v46
	v_xor_b32_e32 v47, v47, v46
	;; [unrolled: 1-line block ×4, first 2 shown]
	v_or_b32_e32 v34, v77, v40
	v_add_u32_e32 v49, v35, v48
	v_add_u32_e32 v50, v35, v47
	v_or_b32_e32 v146, v43, v44
	v_add_u32_e32 v41, v35, v37
	v_or3_b32 v40, v77, v40, 64
	v_add_u32_e32 v45, 0xa000, v48
	v_add_u32_e32 v46, 0xa000, v47
	;; [unrolled: 1-line block ×3, first 2 shown]
	v_lshlrev_b64 v[42:43], 1, v[88:89]
	v_lshl_add_u64 v[92:93], s[20:21], 0, v[42:43]
	v_lshl_add_u64 v[94:95], s[14:15], 0, v[42:43]
	;; [unrolled: 1-line block ×3, first 2 shown]
	s_mov_b32 s3, 0x7060302
	v_lshlrev_b32_e32 v90, 1, v36
	v_lshlrev_b32_e32 v89, 2, v34
	v_add_u32_e32 v147, v49, v44
	v_add_u32_e32 v148, v50, v44
	;; [unrolled: 1-line block ×4, first 2 shown]
	v_lshlrev_b32_e32 v151, 2, v40
	v_add_u32_e32 v152, v45, v44
	v_add_u32_e32 v153, v46, v44
	;; [unrolled: 1-line block ×3, first 2 shown]
	s_waitcnt lgkmcnt(0)
	s_barrier
.LBB209_6:                              ; =>This Inner Loop Header: Depth=1
	s_add_i32 s67, s66, 1
	s_cmp_lt_i32 s67, s55
	s_mov_b64 s[36:37], 0
	s_cselect_b64 s[46:47], -1, 0
	s_cmp_ge_i32 s67, s55
	s_mov_b64 s[4:5], 0
	s_cbranch_scc1 .LBB209_8
; %bb.7:                                ;   in Loop: Header=BB209_6 Depth=1
	s_add_i32 s0, s61, 64
	s_ashr_i32 s1, s0, 31
	s_add_u32 s0, s60, s0
	s_addc_u32 s1, s59, s1
	s_lshl_b64 s[0:1], s[0:1], 8
	s_add_u32 s4, s18, s0
	s_addc_u32 s5, s19, s1
.LBB209_8:                              ;   in Loop: Header=BB209_6 Depth=1
	v_cndmask_b32_e64 v34, 0, 1, s[46:47]
	v_cmp_ne_u32_e64 s[0:1], 1, v34
	s_andn2_b64 vcc, exec, s[46:47]
	s_cbranch_vccnz .LBB209_10
; %bb.9:                                ;   in Loop: Header=BB209_6 Depth=1
	s_add_i32 s36, s61, 64
	s_mul_hi_i32 s37, s36, s30
	s_mul_i32 s36, s36, s30
	s_add_u32 s36, s36, s57
	s_addc_u32 s37, s37, s62
	s_lshl_b64 s[36:37], s[36:37], 8
	s_add_u32 s36, s16, s36
	s_addc_u32 s37, s17, s37
.LBB209_10:                             ;   in Loop: Header=BB209_6 Depth=1
	v_perm_b32 v35, v25, v24, s3
	v_perm_b32 v34, v23, v22, s3
	v_perm_b32 v37, v13, v12, s3
	v_perm_b32 v36, v11, v10, s3
	ds_write_b64 v110, v[34:35]
	ds_write_b64 v111, v[36:37]
	ds_write_b64 v116, v[34:35]
	ds_write_b64 v117, v[36:37]
	v_perm_b32 v35, v29, v28, s3
	v_perm_b32 v34, v27, v26, s3
	v_perm_b32 v37, v17, v16, s3
	v_perm_b32 v36, v15, v14, s3
	ds_write_b64 v112, v[34:35]
	ds_write_b64 v113, v[36:37]
	ds_write_b64 v118, v[34:35]
	ds_write_b64 v119, v[36:37]
	;; [unrolled: 8-line block ×4, first 2 shown]
	s_waitcnt lgkmcnt(0)
	s_barrier
	ds_read_b64 v[38:39], v126 offset:49152
	ds_read2_b64 v[34:37], v127 offset1:16
	ds_read_b64 v[50:51], v129 offset:6144
	ds_read_b64 v[52:53], v127 offset:6144
	s_waitcnt lgkmcnt(2)
	v_mfma_f32_16x16x16_bf16 a[0:3], v[38:39], v[34:35], 0
	ds_read_b64 v[54:55], v128 offset:49152
	ds_read2st64_b64 v[42:45], v130 offset0:4 offset1:8
	ds_read2st64_b64 v[46:49], v131 offset0:4 offset1:8
	v_mfma_f32_16x16x16_bf16 a[4:7], v[38:39], v[36:37], 0
	ds_read2_b64 v[34:37], v127 offset0:32 offset1:48
	s_add_i32 s68, s61, 63
	s_ashr_i32 s39, s68, 31
	s_waitcnt lgkmcnt(0)
	v_mfma_f32_16x16x16_bf16 a[8:11], v[38:39], v[34:35], 0
	s_mul_i32 s46, s68, s11
	s_mul_hi_u32 s47, s68, s10
	s_add_i32 s46, s47, s46
	v_mfma_f32_16x16x16_bf16 a[12:15], v[38:39], v[36:37], 0
	ds_read2st64_b64 v[34:37], v127 offset0:4 offset1:8
	ds_read2st64_b64 v[38:41], v129 offset0:4 offset1:8
	s_mul_i32 s39, s39, s10
	s_waitcnt lgkmcnt(1)
	v_mfma_f32_16x16x16_bf16 a[0:3], v[54:55], v[34:35], a[0:3]
	s_add_i32 s47, s46, s39
	s_mul_i32 s46, s68, s10
	s_lshl_b64 s[46:47], s[46:47], 2
	s_waitcnt lgkmcnt(0)
	v_mfma_f32_16x16x16_bf16 a[4:7], v[54:55], v[38:39], a[4:7]
	s_add_u32 s46, s44, s46
	s_addc_u32 s47, s45, s47
	s_and_b64 vcc, exec, s[0:1]
	v_mfma_f32_16x16x16_bf16 a[8:11], v[54:55], v[42:43], a[8:11]
	ds_read_b64 v[34:35], v132 offset:49152
	ds_read_b64 v[38:39], v133 offset:49152
	;; [unrolled: 1-line block ×3, first 2 shown]
	v_mov_b32_e32 v158, 0
	v_mov_b32_e32 v157, 0
	v_mfma_f32_16x16x16_bf16 a[12:15], v[54:55], v[46:47], a[12:15]
	v_mov_b32_e32 v156, 0
	v_mov_b32_e32 v46, 0
	v_mov_b32_e32 v47, 0
	s_waitcnt lgkmcnt(2)
	v_mfma_f32_16x16x16_bf16 a[0:3], v[34:35], v[36:37], a[0:3]
	v_mov_b32_e32 v36, 0
	v_mov_b32_e32 v37, 0
	v_mfma_f32_16x16x16_bf16 a[4:7], v[34:35], v[40:41], a[4:7]
	v_mov_b32_e32 v40, 0
	v_mov_b32_e32 v41, 0
	;; [unrolled: 3-line block ×3, first 2 shown]
	v_mfma_f32_16x16x16_bf16 a[12:15], v[34:35], v[48:49], a[12:15]
	ds_read_b64 v[34:35], v130 offset:6144
	v_mov_b32_e32 v48, 0
	v_mov_b32_e32 v49, 0
	s_waitcnt lgkmcnt(2)
	v_mfma_f32_16x16x16_bf16 a[0:3], v[38:39], v[52:53], a[0:3]
	v_mfma_f32_16x16x16_bf16 a[4:7], v[38:39], v[50:51], a[4:7]
	s_waitcnt lgkmcnt(0)
	v_mfma_f32_16x16x16_bf16 a[8:11], v[38:39], v[34:35], a[8:11]
	v_mov_b32_e32 v34, 0
	v_mov_b32_e32 v35, 0
	v_mfma_f32_16x16x16_bf16 a[12:15], v[38:39], v[42:43], a[12:15]
	v_mov_b32_e32 v38, 0
	v_mov_b32_e32 v39, 0
	;; [unrolled: 1-line block ×4, first 2 shown]
	s_cbranch_vccnz .LBB209_12
; %bb.11:                               ;   in Loop: Header=BB209_6 Depth=1
	s_and_b32 s5, s5, 0xffff
	buffer_load_dwordx4 v[46:49], v106, s[4:7], 0 offen
	buffer_load_dwordx4 v[42:45], v106, s[4:7], s63 offen
	;; [unrolled: 1-line block ×4, first 2 shown]
	v_mov_b32_e32 v157, v108
	v_mov_b32_e32 v156, v109
.LBB209_12:                             ;   in Loop: Header=BB209_6 Depth=1
	ds_read_b64 v[70:71], v126 offset:57344
	ds_read2_b64 v[50:53], v134 offset1:16
	ds_read_b64 v[72:73], v128 offset:57344
	ds_read_b64 v[74:75], v132 offset:57344
	;; [unrolled: 1-line block ×3, first 2 shown]
	s_waitcnt lgkmcnt(3)
	v_mfma_f32_16x16x16_bf16 a[0:3], v[70:71], v[50:51], a[0:3]
	v_mfma_f32_16x16x16_bf16 a[4:7], v[70:71], v[52:53], a[4:7]
	ds_read2_b64 v[50:53], v134 offset0:32 offset1:48
	ds_read2st64_b64 v[54:57], v134 offset0:4 offset1:8
	ds_read2st64_b64 v[58:61], v135 offset0:4 offset1:8
	;; [unrolled: 1-line block ×4, first 2 shown]
	s_waitcnt lgkmcnt(4)
	v_mfma_f32_16x16x16_bf16 a[8:11], v[70:71], v[50:51], a[8:11]
	v_mfma_f32_16x16x16_bf16 a[12:15], v[70:71], v[52:53], a[12:15]
	v_add_u32_e32 v70, s61, v102
	v_ashrrev_i32_e32 v50, 31, v70
	v_mul_lo_u32 v52, v50, s10
	v_mul_lo_u32 v53, v70, s11
	v_mad_u64_u32 v[50:51], s[4:5], v70, s10, 0
	v_add3_u32 v51, v51, v53, v52
	v_add_u32_e32 v52, 1, v70
	v_ashrrev_i32_e32 v53, 31, v52
	s_waitcnt lgkmcnt(3)
	v_mfma_f32_16x16x16_bf16 a[0:3], v[72:73], v[54:55], a[0:3]
	v_mul_lo_u32 v54, v53, s10
	v_mul_lo_u32 v55, v52, s11
	v_mad_u64_u32 v[52:53], s[4:5], v52, s10, 0
	v_add3_u32 v53, v53, v55, v54
	v_add_u32_e32 v54, 2, v70
	v_ashrrev_i32_e32 v55, 31, v54
	s_waitcnt lgkmcnt(2)
	v_mfma_f32_16x16x16_bf16 a[4:7], v[72:73], v[58:59], a[4:7]
	v_mul_lo_u32 v58, v55, s10
	v_mul_lo_u32 v59, v54, s11
	v_mad_u64_u32 v[54:55], s[4:5], v54, s10, 0
	v_lshl_add_u64 v[50:51], v[50:51], 2, s[44:45]
	v_lshl_add_u64 v[52:53], v[52:53], 2, s[44:45]
	v_add3_u32 v55, v55, v59, v58
	v_add_u32_e32 v58, 3, v70
	s_waitcnt lgkmcnt(1)
	v_mfma_f32_16x16x16_bf16 a[8:11], v[72:73], v[62:63], a[8:11]
	global_load_dword v63, v[50:51], off
	v_ashrrev_i32_e32 v59, 31, v58
	v_mul_lo_u32 v59, v59, s10
	s_waitcnt lgkmcnt(0)
	v_mfma_f32_16x16x16_bf16 a[12:15], v[72:73], v[66:67], a[12:15]
	global_load_dword v66, v[52:53], off
	v_mad_u64_u32 v[50:51], s[4:5], v58, s10, 0
	s_ashr_i32 s5, s61, 31
	v_mul_lo_u32 v62, v58, s11
	s_add_u32 s4, s60, s61
	v_lshl_add_u64 v[54:55], v[54:55], 2, s[44:45]
	v_add3_u32 v51, v51, v62, v59
	s_addc_u32 s5, s59, s5
	v_lshl_add_u64 v[50:51], v[50:51], 2, s[44:45]
	global_load_dword v62, v[54:55], off
	global_load_dword v67, v[50:51], off
	s_lshl_b64 s[4:5], s[4:5], 8
	v_lshl_add_u64 v[50:51], v[92:93], 0, s[4:5]
	v_lshl_add_u64 v[50:51], v[50:51], 0, v[90:91]
	global_load_ushort v70, v[50:51], off offset:256
	global_load_ushort v71, v[50:51], off
	global_load_ushort v72, v[50:51], off offset:768
	global_load_ushort v73, v[50:51], off offset:512
	;; [unrolled: 1-line block ×6, first 2 shown]
	s_load_dword s46, s[46:47], 0x0
	v_mfma_f32_16x16x16_bf16 a[12:15], v[74:75], v[68:69], a[12:15]
	global_load_ushort v68, v[50:51], off offset:320
	global_load_ushort v69, v[50:51], off offset:64
	s_and_b64 vcc, exec, s[0:1]
	v_mfma_f32_16x16x16_bf16 a[0:3], v[74:75], v[56:57], a[0:3]
	ds_read_b64 v[52:53], v134 offset:6144
	ds_read_b64 v[54:55], v135 offset:6144
	;; [unrolled: 1-line block ×4, first 2 shown]
	v_mfma_f32_16x16x16_bf16 a[4:7], v[74:75], v[60:61], a[4:7]
	s_waitcnt vmcnt(11) lgkmcnt(0)
	v_sub_f32_e32 v60, s46, v62
	v_mfma_f32_16x16x16_bf16 a[8:11], v[74:75], v[64:65], a[8:11]
	global_load_ushort v74, v[50:51], off offset:832
	global_load_ushort v75, v[50:51], off offset:576
	;; [unrolled: 1-line block ×6, first 2 shown]
	v_mfma_f32_16x16x16_bf16 a[0:3], v[160:161], v[52:53], a[0:3]
	s_waitcnt vmcnt(16)
	v_sub_f32_e32 v61, s46, v67
	v_mul_f32_e32 v60, 0x3fb8aa3b, v60
	v_mul_f32_e32 v61, 0x3fb8aa3b, v61
	v_exp_f32_e32 v60, v60
	v_exp_f32_e32 v61, v61
	s_waitcnt vmcnt(15)
	v_lshlrev_b32_e32 v65, 16, v70
	s_waitcnt vmcnt(14)
	v_lshlrev_b32_e32 v64, 16, v71
	v_accvgpr_read_b32 v53, a3
	v_accvgpr_read_b32 v52, a2
	v_mfma_f32_16x16x16_bf16 a[2:5], v[160:161], v[54:55], a[4:7]
	v_mfma_f32_16x16x16_bf16 a[6:9], v[160:161], v[56:57], a[8:11]
	s_nop 5
	v_accvgpr_read_b32 v55, a5
	v_accvgpr_read_b32 v54, a4
	;; [unrolled: 1-line block ×4, first 2 shown]
	v_mfma_f32_16x16x16_bf16 a[8:11], v[160:161], v[58:59], a[12:15]
	v_sub_f32_e32 v58, s46, v63
	v_sub_f32_e32 v59, s46, v66
	v_mul_f32_e32 v58, 0x3fb8aa3b, v58
	v_mul_f32_e32 v59, 0x3fb8aa3b, v59
	v_exp_f32_e32 v58, v58
	v_exp_f32_e32 v59, v59
	v_accvgpr_read_b32 v67, a1
	v_accvgpr_read_b32 v66, a0
	v_lshl_add_u64 v[62:63], v[94:95], 0, s[4:5]
	v_pk_add_f32 v[64:65], v[64:65], v[66:67] neg_lo:[0,1] neg_hi:[0,1]
	s_waitcnt vmcnt(13)
	v_lshlrev_b32_e32 v67, 16, v72
	s_waitcnt vmcnt(12)
	v_lshlrev_b32_e32 v66, 16, v73
	v_lshl_add_u64 v[62:63], v[62:63], 0, v[90:91]
	v_pk_add_f32 v[52:53], v[66:67], v[52:53] neg_lo:[0,1] neg_hi:[0,1]
	global_store_short_d16_hi v[62:63], v64, off
	global_store_short_d16_hi v[62:63], v65, off offset:256
	global_store_short_d16_hi v[62:63], v52, off offset:512
	;; [unrolled: 1-line block ×3, first 2 shown]
	v_pk_mul_f32 v[64:65], v[58:59], v[64:65]
	v_pk_mul_f32 v[52:53], v[60:61], v[52:53]
	v_accvgpr_read_b32 v67, a3
	v_perm_b32 v53, v53, v52, s3
	v_perm_b32 v52, v65, v64, s3
	s_waitcnt vmcnt(15)
	v_lshlrev_b32_e32 v65, 16, v76
	s_waitcnt vmcnt(14)
	v_lshlrev_b32_e32 v64, 16, v159
	v_accvgpr_read_b32 v66, a2
	v_pk_add_f32 v[64:65], v[64:65], v[66:67] neg_lo:[0,1] neg_hi:[0,1]
	s_waitcnt vmcnt(13)
	v_lshlrev_b32_e32 v67, 16, v162
	s_waitcnt vmcnt(12)
	v_lshlrev_b32_e32 v66, 16, v163
	v_pk_add_f32 v[54:55], v[66:67], v[54:55] neg_lo:[0,1] neg_hi:[0,1]
	global_store_short_d16_hi v[62:63], v64, off offset:32
	global_store_short_d16_hi v[62:63], v65, off offset:288
	;; [unrolled: 1-line block ×4, first 2 shown]
	v_pk_mul_f32 v[64:65], v[58:59], v[64:65]
	v_pk_mul_f32 v[54:55], v[60:61], v[54:55]
	v_accvgpr_read_b32 v57, a11
	v_perm_b32 v55, v55, v54, s3
	v_perm_b32 v54, v65, v64, s3
	ds_write2_b64 v111, v[52:53], v[54:55] offset1:16
	v_accvgpr_read_b32 v55, a7
	s_waitcnt vmcnt(15)
	v_lshlrev_b32_e32 v53, 16, v68
	s_waitcnt vmcnt(14)
	v_lshlrev_b32_e32 v52, 16, v69
	v_accvgpr_read_b32 v54, a6
	v_pk_add_f32 v[52:53], v[52:53], v[54:55] neg_lo:[0,1] neg_hi:[0,1]
	global_store_short_d16_hi v[62:63], v52, off offset:64
	global_store_short_d16_hi v[62:63], v53, off offset:320
	v_pk_mul_f32 v[52:53], v[58:59], v[52:53]
	v_accvgpr_read_b32 v56, a10
	v_perm_b32 v52, v53, v52, s3
	v_mov_b32_e32 v159, 0
	v_mov_b32_e32 v64, 0
	v_mov_b32_e32 v65, 0
	s_waitcnt vmcnt(15)
	v_lshlrev_b32_e32 v55, 16, v74
	s_waitcnt vmcnt(14)
	v_lshlrev_b32_e32 v54, 16, v75
	v_pk_add_f32 v[50:51], v[54:55], v[50:51] neg_lo:[0,1] neg_hi:[0,1]
	global_store_short_d16_hi v[62:63], v50, off offset:576
	global_store_short_d16_hi v[62:63], v51, off offset:832
	v_pk_mul_f32 v[50:51], v[60:61], v[50:51]
	v_accvgpr_read_b32 v55, a9
	v_perm_b32 v53, v51, v50, s3
	s_waitcnt vmcnt(15)
	v_lshlrev_b32_e32 v51, 16, v164
	s_waitcnt vmcnt(14)
	v_lshlrev_b32_e32 v50, 16, v165
	v_accvgpr_read_b32 v54, a8
	v_pk_add_f32 v[50:51], v[50:51], v[54:55] neg_lo:[0,1] neg_hi:[0,1]
	s_waitcnt vmcnt(13)
	v_lshlrev_b32_e32 v55, 16, v166
	s_waitcnt vmcnt(12)
	v_lshlrev_b32_e32 v54, 16, v167
	v_pk_add_f32 v[54:55], v[54:55], v[56:57] neg_lo:[0,1] neg_hi:[0,1]
	global_store_short_d16_hi v[62:63], v50, off offset:96
	global_store_short_d16_hi v[62:63], v51, off offset:352
	;; [unrolled: 1-line block ×4, first 2 shown]
	v_pk_mul_f32 v[50:51], v[58:59], v[50:51]
	v_pk_mul_f32 v[54:55], v[60:61], v[54:55]
	v_mov_b32_e32 v56, 0
	v_perm_b32 v55, v55, v54, s3
	v_perm_b32 v54, v51, v50, s3
	ds_write2_b64 v111, v[52:53], v[54:55] offset0:32 offset1:48
	v_mov_b32_e32 v50, 0
	v_mov_b32_e32 v51, 0
	;; [unrolled: 1-line block ×13, first 2 shown]
	s_cbranch_vccnz .LBB209_14
; %bb.13:                               ;   in Loop: Header=BB209_6 Depth=1
	s_and_b32 s37, s37, 0xffff
	s_mov_b32 s39, s7
	buffer_load_dwordx4 v[62:65], v144, s[36:39], 0 offen
	buffer_load_dwordx4 v[54:57], v144, s[36:39], s63 offen
	;; [unrolled: 1-line block ×4, first 2 shown]
	v_mov_b32_e32 v158, v105
	v_mov_b32_e32 v159, v104
.LBB209_14:                             ;   in Loop: Header=BB209_6 Depth=1
	s_waitcnt lgkmcnt(0)
	s_barrier
	ds_read_b64 v[74:75], v147
	ds_read2_b64 v[66:69], v140 offset1:16
	ds_read_b64 v[176:177], v148
	ds_read_b64 v[178:179], v149
	;; [unrolled: 1-line block ×3, first 2 shown]
	ds_read2_b64 v[70:73], v140 offset0:32 offset1:48
	ds_read2st64_b64 v[160:163], v140 offset0:4 offset1:8
	ds_read2st64_b64 v[164:167], v141 offset0:4 offset1:8
	;; [unrolled: 1-line block ×4, first 2 shown]
	s_waitcnt lgkmcnt(8)
	v_mfma_f32_16x16x16_bf16 a[0:3], v[74:75], v[66:67], 0
	s_add_i32 s4, s58, s66
	s_mul_hi_i32 s5, s4, s29
	s_mul_i32 s4, s4, s29
	v_mfma_f32_16x16x16_bf16 a[4:7], v[74:75], v[68:69], 0
	s_add_u32 s4, s4, s33
	s_addc_u32 s5, s5, s48
	s_lshl_b64 s[4:5], s[4:5], 15
	s_waitcnt lgkmcnt(4)
	v_mfma_f32_16x16x16_bf16 a[8:11], v[74:75], v[70:71], 0
	s_mul_i32 s36, s68, s29
	s_mul_hi_i32 s37, s68, s29
	s_add_u32 s36, s36, s33
	v_mfma_f32_16x16x16_bf16 a[12:15], v[74:75], v[72:73], 0
	ds_read_b64 v[74:75], v140 offset:6144
	ds_read_b64 v[188:189], v141 offset:6144
	ds_read_b64 v[190:191], v142 offset:6144
	ds_read_b64 v[192:193], v143 offset:6144
	s_addc_u32 s37, s37, s48
	s_waitcnt lgkmcnt(7)
	v_mfma_f32_16x16x16_bf16 a[0:3], v[176:177], v[160:161], a[0:3]
	s_lshl_b64 s[36:37], s[36:37], 9
	s_add_u32 s36, s8, s36
	s_addc_u32 s37, s9, s37
	s_waitcnt lgkmcnt(6)
	v_mfma_f32_16x16x16_bf16 a[4:7], v[176:177], v[164:165], a[4:7]
	v_lshl_add_u64 v[198:199], v[96:97], 0, s[4:5]
	s_waitcnt lgkmcnt(5)
	v_mfma_f32_16x16x16_bf16 a[8:11], v[176:177], v[168:169], a[8:11]
	s_waitcnt lgkmcnt(4)
	v_mfma_f32_16x16x16_bf16 a[12:15], v[176:177], v[172:173], a[12:15]
	ds_read_b64 v[176:177], v152
	ds_read_b64 v[186:187], v153
	;; [unrolled: 1-line block ×3, first 2 shown]
	s_waitcnt lgkmcnt(2)
	v_mfma_f32_16x16x16_bf16 a[16:19], v[176:177], v[66:67], 0
	v_mfma_f32_16x16x16_bf16 a[20:23], v[176:177], v[68:69], 0
	global_load_dwordx4 v[66:69], v151, s[36:37]
	v_mfma_f32_16x16x16_bf16 a[24:27], v[176:177], v[70:71], 0
	v_mfma_f32_16x16x16_bf16 a[28:31], v[176:177], v[72:73], 0
	global_load_dwordx4 v[70:73], v89, s[36:37]
	v_mfma_f32_16x16x16_bf16 a[0:3], v[178:179], v[162:163], a[0:3]
	v_mfma_f32_16x16x16_bf16 a[4:7], v[178:179], v[166:167], a[4:7]
	;; [unrolled: 1-line block ×8, first 2 shown]
	ds_read2st64_b64 v[176:179], v138 offset1:8
	ds_read2st64_b64 v[180:183], v139 offset1:8
	ds_read_b64 v[196:197], v146 offset:40960
	s_waitcnt lgkmcnt(2)
	v_mov_b32_e32 v184, v176
	v_mfma_f32_16x16x16_bf16 a[16:19], v[186:187], v[160:161], a[16:19]
	v_mov_b32_e32 v185, v177
	v_mfma_f32_16x16x16_bf16 a[20:23], v[186:187], v[164:165], a[20:23]
	v_mfma_f32_16x16x16_bf16 a[24:27], v[186:187], v[168:169], a[24:27]
	;; [unrolled: 1-line block ×3, first 2 shown]
	v_add_co_u32_e32 v172, vcc, s41, v198
	s_waitcnt lgkmcnt(1)
	v_mov_b32_e32 v186, v180
	s_waitcnt lgkmcnt(0)
	v_mfma_f32_16x16x16_bf16 a[16:19], v[196:197], v[162:163], a[16:19]
	ds_read2st64_b64 v[160:163], v138 offset0:16 offset1:24
	v_addc_co_u32_e32 v173, vcc, 0, v199, vcc
	v_mfma_f32_16x16x16_bf16 a[20:23], v[196:197], v[166:167], a[20:23]
	ds_read2st64_b64 v[164:167], v139 offset0:16 offset1:24
	v_mov_b32_e32 v187, v181
	v_mov_b32_e32 v180, v178
	v_mfma_f32_16x16x16_bf16 a[32:35], v[196:197], v[170:171], a[24:27]
	v_mov_b32_e32 v181, v179
	s_waitcnt lgkmcnt(0)
	v_mov_b32_e32 v170, v164
	v_mov_b32_e32 v171, v165
	v_mfma_f32_16x16x16_bf16 a[36:39], v[196:197], v[174:175], a[28:31]
	v_mov_b32_e32 v164, v162
	v_mov_b32_e32 v165, v163
	;; [unrolled: 1-line block ×3, first 2 shown]
	v_mfma_f32_16x16x16_bf16 a[24:27], v[194:195], v[74:75], a[16:19]
	v_add_co_u32_e32 v74, vcc, s43, v198
	v_mov_b32_e32 v169, v161
	v_mfma_f32_16x16x16_bf16 a[28:31], v[194:195], v[188:189], a[20:23]
	v_addc_co_u32_e32 v75, vcc, 0, v199, vcc
	global_store_dwordx4 v[74:75], v[164:167], off
	v_mfma_f32_16x16x16_bf16 a[16:19], v[194:195], v[190:191], a[32:35]
	s_waitcnt vmcnt(2)
	v_mov_b32_e32 v76, v69
	v_mov_b32_e32 v75, v68
	;; [unrolled: 1-line block ×3, first 2 shown]
	v_mfma_f32_16x16x16_bf16 a[20:23], v[194:195], v[192:193], a[36:39]
	s_and_b64 vcc, exec, s[0:1]
	global_store_dwordx4 v[198:199], v[184:187], off
	global_store_dwordx4 v[172:173], v[180:183], off offset:-4096
	global_store_dwordx4 v[172:173], v[168:171], off
	s_cbranch_vccnz .LBB209_16
; %bb.15:                               ;   in Loop: Header=BB209_6 Depth=1
	v_lshrrev_b32_e32 v67, 3, v158
	v_and_b32_e32 v67, 6, v67
	v_xor_b32_e32 v68, v67, v159
	v_lshlrev_b32_e32 v68, 2, v68
	v_and_b32_e32 v69, 8, v158
	v_xor_b32_e32 v158, 0x440, v68
	v_cmp_eq_u32_e32 vcc, 0, v69
	v_perm_b32 v69, v54, v50, s64
	s_nop 0
	v_cndmask_b32_e32 v68, v158, v68, vcc
	v_lshl_or_b32 v67, v67, 10, v68
	v_perm_b32 v68, v62, v58, s64
	s_barrier
	ds_write2st64_b32 v67, v68, v69 offset0:128 offset1:160
	v_xor_b32_e32 v68, 8, v67
	v_perm_b32 v58, v62, v58, s65
	v_perm_b32 v50, v54, v50, s65
	v_add_u32_e32 v54, 0x80, v68
	ds_write2st64_b32 v54, v58, v50 offset0:128 offset1:160
	v_xor_b32_e32 v50, 16, v67
	v_perm_b32 v54, v63, v59, s64
	v_perm_b32 v58, v55, v51, s64
	ds_write2st64_b32 v50, v54, v58 offset0:129 offset1:161
	v_xor_b32_e32 v50, 24, v67
	v_perm_b32 v54, v63, v59, s65
	v_perm_b32 v51, v55, v51, s65
	v_add_u32_e32 v50, 0x80, v50
	ds_write2st64_b32 v50, v54, v51 offset0:129 offset1:161
	v_xor_b32_e32 v50, 32, v67
	v_perm_b32 v51, v64, v60, s64
	v_perm_b32 v54, v56, v52, s64
	ds_write2st64_b32 v50, v51, v54 offset0:130 offset1:162
	v_xor_b32_e32 v50, 40, v67
	v_perm_b32 v51, v64, v60, s65
	v_perm_b32 v52, v56, v52, s65
	v_add_u32_e32 v50, 0x80, v50
	ds_write2st64_b32 v50, v51, v52 offset0:130 offset1:162
	v_xor_b32_e32 v50, 48, v67
	v_perm_b32 v51, v65, v61, s64
	v_perm_b32 v52, v57, v53, s64
	ds_write2st64_b32 v50, v51, v52 offset0:131 offset1:163
	v_xor_b32_e32 v50, 56, v67
	v_perm_b32 v51, v65, v61, s65
	v_perm_b32 v52, v57, v53, s65
	v_add_u32_e32 v50, 0x80, v50
	ds_write2st64_b32 v50, v51, v52 offset0:131 offset1:163
	ds_write_b64 v157, v[46:47] offset:49152
	v_xor_b32_e32 v46, 8, v157
	ds_write_b64 v46, v[48:49] offset:49152
	ds_write_b64 v157, v[42:43] offset:57344
	ds_write_b64 v46, v[44:45] offset:57344
	ds_write_b64 v156, v[38:39] offset:49152
	v_xor_b32_e32 v38, 8, v156
	ds_write_b64 v38, v[40:41] offset:49152
	ds_write_b64 v156, v[34:35] offset:57344
	;; [unrolled: 1-line block ×3, first 2 shown]
.LBB209_16:                             ;   in Loop: Header=BB209_6 Depth=1
	v_mul_f32_e32 v58, s46, v155
	v_exp_f32_e32 v68, v58
	s_waitcnt vmcnt(4)
	v_mul_f32_e32 v58, 0x3fb8aa3b, v70
	v_exp_f32_e32 v70, v58
	v_mul_f32_e32 v58, 0x3fb8aa3b, v71
	v_exp_f32_e32 v71, v58
	;; [unrolled: 2-line block ×4, first 2 shown]
	v_accvgpr_read_b32 v37, a3
	v_accvgpr_read_b32 v36, a2
	;; [unrolled: 1-line block ×4, first 2 shown]
	v_pk_mul_f32 v[70:71], v[68:69], v[70:71] op_sel_hi:[0,1]
	v_pk_mul_f32 v[72:73], v[68:69], v[72:73] op_sel_hi:[0,1]
	v_pk_fma_f32 v[22:23], v[22:23], v[70:71], v[34:35]
	v_pk_fma_f32 v[24:25], v[24:25], v[72:73], v[36:37]
	v_mul_f32_e32 v34, 0x3fb8aa3b, v66
	v_mul_f32_e32 v35, 0x3fb8aa3b, v74
	;; [unrolled: 1-line block ×4, first 2 shown]
	v_exp_f32_e32 v34, v34
	v_exp_f32_e32 v35, v35
	v_exp_f32_e32 v36, v36
	v_exp_f32_e32 v37, v37
	v_accvgpr_read_b32 v41, a7
	v_accvgpr_read_b32 v45, a11
	v_accvgpr_read_b32 v49, a15
	v_accvgpr_read_b32 v53, a27
	v_accvgpr_read_b32 v57, a31
	v_accvgpr_read_b32 v61, a19
	v_accvgpr_read_b32 v65, a23
	v_accvgpr_read_b32 v40, a6
	v_accvgpr_read_b32 v39, a5
	v_accvgpr_read_b32 v38, a4
	v_accvgpr_read_b32 v44, a10
	v_accvgpr_read_b32 v43, a9
	v_accvgpr_read_b32 v42, a8
	v_accvgpr_read_b32 v48, a14
	v_accvgpr_read_b32 v47, a13
	v_accvgpr_read_b32 v46, a12
	v_accvgpr_read_b32 v52, a26
	v_accvgpr_read_b32 v51, a25
	v_accvgpr_read_b32 v50, a24
	v_accvgpr_read_b32 v56, a30
	v_accvgpr_read_b32 v55, a29
	v_accvgpr_read_b32 v54, a28
	v_accvgpr_read_b32 v60, a18
	v_accvgpr_read_b32 v59, a17
	v_accvgpr_read_b32 v58, a16
	v_accvgpr_read_b32 v64, a22
	v_accvgpr_read_b32 v63, a21
	v_accvgpr_read_b32 v62, a20
	v_pk_mul_f32 v[34:35], v[68:69], v[34:35] op_sel_hi:[0,1]
	v_pk_mul_f32 v[36:37], v[68:69], v[36:37] op_sel_hi:[0,1]
	s_add_i32 s61, s61, 64
	v_pk_fma_f32 v[26:27], v[70:71], v[26:27], v[38:39]
	v_pk_fma_f32 v[28:29], v[72:73], v[28:29], v[40:41]
	;; [unrolled: 1-line block ×13, first 2 shown]
	s_cmp_eq_u32 s55, s67
	v_pk_fma_f32 v[4:5], v[36:37], v[4:5], v[64:65]
	s_cbranch_scc1 .LBB209_18
; %bb.17:                               ;   in Loop: Header=BB209_6 Depth=1
	s_mov_b32 s66, s67
	s_branch .LBB209_6
.LBB209_18:
	s_lshl_b32 s0, s55, 6
	s_sub_i32 s46, s56, s0
	s_cmp_gt_i32 s46, 0
	s_cbranch_scc0 .LBB209_99
; %bb.19:
	s_add_i32 s34, s0, s34
	s_ashr_i32 s3, s34, 31
	s_cmpk_lg_i32 s31, 0x80
	s_cselect_b64 s[38:39], -1, 0
	s_and_b64 vcc, exec, s[38:39]
	s_cbranch_vccz .LBB209_21
; %bb.20:
	s_mul_i32 s1, s34, s30
	s_ashr_i32 s4, s57, 31
	s_mul_hi_i32 s0, s34, s30
	s_add_u32 s44, s1, s57
	s_addc_u32 s45, s0, s4
	s_cbranch_execz .LBB209_22
	s_branch .LBB209_23
.LBB209_21:
                                        ; implicit-def: $sgpr44_sgpr45
.LBB209_22:
	s_mul_i32 s1, s57, s28
	s_mul_hi_i32 s0, s57, s28
	s_add_u32 s44, s1, s34
	s_addc_u32 s45, s0, s3
.LBB209_23:
	s_waitcnt lgkmcnt(0)
	s_add_i32 s4, s55, s58
	s_add_u32 s0, s60, s34
	v_lshlrev_b32_e32 v38, 6, v102
	v_lshlrev_b32_e32 v57, 2, v99
	s_addc_u32 s1, s59, s3
	s_mov_b32 s3, 0x7060302
	v_or_b32_e32 v41, v38, v57
	v_xor_b32_e32 v39, v102, v57
	s_waitcnt vmcnt(7)
	v_perm_b32 v35, v25, v24, s3
	v_perm_b32 v34, v23, v22, s3
	s_waitcnt vmcnt(6)
	v_perm_b32 v37, v13, v12, s3
	v_perm_b32 v36, v11, v10, s3
	v_lshlrev_b32_e32 v41, 1, v41
	v_xor_b32_e32 v40, v103, v57
	ds_write2st64_b64 v41, v[34:35], v[36:37] offset0:32 offset1:48
	v_lshlrev_b32_e32 v39, 1, v39
	v_lshlrev_b32_e32 v41, 8, v99
	v_or_b32_e32 v42, v39, v41
	v_lshlrev_b32_e32 v40, 1, v40
	ds_write_b64 v42, v[34:35]
	v_or_b32_e32 v34, v40, v41
	v_or_b32_e32 v41, 16, v99
	v_lshlrev_b32_e32 v55, 2, v41
	v_or_b32_e32 v42, v38, v55
	ds_write_b64 v34, v[36:37]
	s_waitcnt vmcnt(5)
	v_perm_b32 v35, v29, v28, s3
	v_perm_b32 v34, v27, v26, s3
	s_waitcnt vmcnt(4)
	v_perm_b32 v37, v17, v16, s3
	v_perm_b32 v36, v15, v14, s3
	v_lshlrev_b32_e32 v42, 1, v42
	v_lshlrev_b32_e32 v41, 8, v41
	ds_write2st64_b64 v42, v[34:35], v[36:37] offset0:32 offset1:48
	v_or_b32_e32 v42, v39, v41
	ds_write_b64 v42, v[34:35]
	v_or_b32_e32 v34, v40, v41
	v_or_b32_e32 v41, 32, v99
	v_lshlrev_b32_e32 v54, 2, v41
	v_or_b32_e32 v42, v38, v54
	ds_write_b64 v34, v[36:37]
	s_waitcnt vmcnt(3)
	v_perm_b32 v35, v33, v32, s3
	v_perm_b32 v34, v31, v30, s3
	s_waitcnt vmcnt(2)
	v_perm_b32 v37, v21, v20, s3
	v_perm_b32 v36, v19, v18, s3
	v_lshlrev_b32_e32 v42, 1, v42
	v_lshlrev_b32_e32 v41, 8, v41
	s_lshl_b64 s[36:37], s[0:1], 8
	ds_write2st64_b64 v42, v[34:35], v[36:37] offset0:32 offset1:48
	v_or_b32_e32 v42, v39, v41
	s_add_u32 s0, s18, s36
	ds_write_b64 v42, v[34:35]
	v_or_b32_e32 v34, v40, v41
	s_addc_u32 s1, s19, s37
	ds_write_b64 v34, v[36:37]
	s_waitcnt vmcnt(1)
	v_perm_b32 v35, v9, v8, s3
	v_perm_b32 v34, v7, v6, s3
	s_waitcnt vmcnt(0)
	v_perm_b32 v37, v5, v4, s3
	v_perm_b32 v36, v3, v2, s3
	v_or_b32_e32 v41, 48, v99
	s_mul_hi_i32 s3, s4, s29
	s_mul_i32 s4, s4, s29
	v_lshlrev_b32_e32 v51, 2, v41
	s_add_u32 s4, s4, s33
	v_or_b32_e32 v38, v38, v51
	s_addc_u32 s5, s3, s48
	v_lshlrev_b32_e32 v38, 1, v38
	s_ashr_i32 s3, s2, 31
	s_lshl_b64 s[4:5], s[4:5], 15
	ds_write2st64_b64 v38, v[34:35], v[36:37] offset0:32 offset1:48
	v_lshlrev_b32_e32 v38, 8, v41
	s_add_u32 s4, s12, s4
	v_or_b32_e32 v39, v39, v38
	s_addc_u32 s5, s13, s5
	s_lshl_b64 s[2:3], s[2:3], 8
	ds_write_b64 v39, v[34:35]
	v_or_b32_e32 v34, v40, v38
	s_add_u32 s2, s4, s2
	v_lshlrev_b32_e32 v35, 1, v99
	ds_write_b64 v34, v[36:37]
	v_lshrrev_b32_e32 v34, 4, v0
	s_addc_u32 s3, s5, s3
	v_or_b32_e32 v36, 1, v35
	v_lshlrev_b32_e32 v42, 4, v99
	v_mov_b32_e32 v43, 0
	v_xor_b32_e32 v35, v34, v35
	v_xor_b32_e32 v38, v36, v34
	v_lshl_add_u64 v[44:45], s[2:3], 0, v[42:43]
	v_lshlrev_b32_e32 v42, 8, v34
	v_lshl_or_b32 v48, v35, 3, v42
	v_lshl_or_b32 v49, v38, 3, v42
	s_waitcnt lgkmcnt(0)
	s_barrier
	ds_read2st64_b64 v[34:37], v48 offset1:8
	ds_read2st64_b64 v[38:41], v49 offset1:8
	v_lshl_add_u64 v[46:47], v[44:45], 0, v[42:43]
	s_movk_i32 s2, 0x2000
	s_cmp_lg_u32 s46, 64
	s_waitcnt lgkmcnt(1)
	v_mov_b32_e32 v42, v34
	v_mov_b32_e32 v43, v35
	s_waitcnt lgkmcnt(0)
	v_mov_b32_e32 v44, v38
	v_mov_b32_e32 v45, v39
	global_store_dwordx4 v[46:47], v[42:45], off
	v_mov_b32_e32 v38, v36
	v_mov_b32_e32 v39, v37
	ds_read2st64_b64 v[34:37], v48 offset0:16 offset1:24
	ds_read2st64_b64 v[42:45], v49 offset0:16 offset1:24
	v_add_co_u32_e32 v48, vcc, s2, v46
	s_cselect_b64 s[18:19], -1, 0
	s_nop 0
	v_addc_co_u32_e32 v49, vcc, 0, v47, vcc
	global_store_dwordx4 v[48:49], v[38:41], off offset:-4096
	v_lshl_or_b32 v62, v1, 3, v101
	s_mov_b32 s4, 0
	s_waitcnt lgkmcnt(1)
	v_mov_b32_e32 v38, v34
	v_add_co_u32_e32 v34, vcc, 0x3000, v46
	v_mov_b32_e32 v39, v35
	s_nop 0
	v_addc_co_u32_e32 v35, vcc, 0, v47, vcc
	s_waitcnt lgkmcnt(0)
	v_mov_b32_e32 v40, v42
	v_mov_b32_e32 v41, v43
	v_mov_b32_e32 v42, v36
	v_mov_b32_e32 v43, v37
	v_or_b32_e32 v52, 32, v62
	v_and_b32_e32 v50, 56, v100
	s_and_b64 vcc, exec, s[18:19]
	global_store_dwordx4 v[48:49], v[38:41], off
	global_store_dwordx4 v[34:35], v[42:45], off
	s_cbranch_vccz .LBB209_29
; %bb.24:
	s_mov_b32 s6, s4
	s_mov_b32 s7, s4
	;; [unrolled: 1-line block ×3, first 2 shown]
	v_mov_b64_e32 v[40:41], s[6:7]
	v_mov_b64_e32 v[38:39], s[4:5]
	;; [unrolled: 1-line block ×3, first 2 shown]
	v_cmp_gt_i32_e32 vcc, s46, v62
	v_mov_b64_e32 v[36:37], v[40:41]
	s_and_saveexec_b64 s[2:3], vcc
	s_cbranch_execz .LBB209_26
; %bb.25:
	v_lshlrev_b32_e32 v34, 8, v62
	v_mov_b32_e32 v35, 0
	v_lshl_add_u64 v[36:37], s[0:1], 0, v[34:35]
	v_lshlrev_b32_e32 v34, 1, v50
	v_lshl_add_u64 v[42:43], v[36:37], 0, v[34:35]
	global_load_dwordx4 v[38:41], v[42:43], off
	global_load_dwordx4 v[34:37], v[42:43], off offset:128
.LBB209_26:
	s_or_b64 exec, exec, s[2:3]
	s_mov_b32 s6, s4
	s_mov_b32 s7, s4
	;; [unrolled: 1-line block ×3, first 2 shown]
	v_mov_b64_e32 v[48:49], s[6:7]
	v_mov_b64_e32 v[46:47], s[4:5]
	;; [unrolled: 1-line block ×3, first 2 shown]
	v_cmp_gt_i32_e32 vcc, s46, v52
	v_lshlrev_b32_e32 v53, 7, v52
	v_mov_b64_e32 v[44:45], v[48:49]
	s_and_saveexec_b64 s[2:3], vcc
	s_cbranch_execz .LBB209_28
; %bb.27:
	v_lshlrev_b32_e32 v42, 1, v53
	v_mov_b32_e32 v43, 0
	v_lshl_add_u64 v[44:45], s[0:1], 0, v[42:43]
	v_lshlrev_b32_e32 v42, 1, v50
	v_lshl_add_u64 v[58:59], v[44:45], 0, v[42:43]
	global_load_dwordx4 v[46:49], v[58:59], off
	global_load_dwordx4 v[42:45], v[58:59], off offset:128
.LBB209_28:
	s_or_b64 exec, exec, s[2:3]
	v_lshrrev_b32_e32 v56, 3, v50
	v_lshlrev_b32_e32 v58, 3, v62
	v_or_b32_e32 v56, v58, v56
	v_lshlrev_b32_e32 v56, 4, v56
	v_and_b32_e32 v58, 0x78, v58
	v_xor_b32_e32 v56, v56, v58
	s_branch .LBB209_31
.LBB209_29:
                                        ; implicit-def: $vgpr56
                                        ; implicit-def: $vgpr53
                                        ; implicit-def: $vgpr38_vgpr39_vgpr40_vgpr41
                                        ; implicit-def: $vgpr34_vgpr35_vgpr36_vgpr37
                                        ; implicit-def: $vgpr46_vgpr47_vgpr48_vgpr49
                                        ; implicit-def: $vgpr42_vgpr43_vgpr44_vgpr45
	s_cbranch_execz .LBB209_31
; %bb.30:
	s_waitcnt vmcnt(0)
	v_lshlrev_b32_e32 v34, 1, v50
	v_lshl_or_b32 v53, v62, 8, v34
	s_and_b32 s1, s1, 0xffff
	s_mov_b32 s3, 0x20000
	s_movk_i32 s2, 0x4000
	v_lshl_or_b32 v56, v52, 8, v34
	s_movk_i32 s4, 0x80
	buffer_load_dwordx4 v[38:41], v53, s[0:3], 0 offen
	buffer_load_dwordx4 v[34:37], v53, s[0:3], s4 offen
	buffer_load_dwordx4 v[46:49], v56, s[0:3], 0 offen
	buffer_load_dwordx4 v[42:45], v56, s[0:3], s4 offen
	v_lshrrev_b32_e32 v53, 3, v50
	v_lshlrev_b32_e32 v56, 3, v62
	v_or_b32_e32 v53, v56, v53
	v_lshlrev_b32_e32 v53, 4, v53
	v_and_b32_e32 v56, 0x78, v56
	v_xor_b32_e32 v56, v53, v56
	v_lshlrev_b32_e32 v53, 7, v52
.LBB209_31:
	s_movk_i32 s0, 0x1000
	v_and_or_b32 v52, v53, s0, v56
	s_waitcnt vmcnt(1)
	ds_write_b64 v56, v[38:39] offset:49152
	v_xor_b32_e32 v38, 8, v56
	ds_write_b64 v38, v[40:41] offset:49152
	s_waitcnt vmcnt(0)
	ds_write_b64 v56, v[34:35] offset:57344
	ds_write_b64 v38, v[36:37] offset:57344
	ds_write_b64 v52, v[46:47] offset:49152
	v_xor_b32_e32 v34, 8, v52
	ds_write_b64 v34, v[48:49] offset:49152
	ds_write_b64 v52, v[42:43] offset:57344
	;; [unrolled: 1-line block ×3, first 2 shown]
	v_or_b32_e32 v34, v77, v99
	v_lshlrev_b32_e32 v34, 3, v34
	v_lshrrev_b32_e32 v35, 5, v79
	s_movk_i32 s0, 0xf8
	v_and_or_b32 v35, v34, s0, v35
	v_lshlrev_b32_e32 v39, 4, v35
	v_lshlrev_b32_e32 v56, 11, v1
	v_and_b32_e32 v40, 0x78, v34
	v_or_b32_e32 v42, 32, v39
	v_and_b32_e32 v38, 0x1000, v56
	v_lshrrev_b32_e32 v35, 1, v79
	v_xor_b32_e32 v42, v42, v40
	v_xor_b32_e32 v34, v39, v40
	v_and_b32_e32 v41, 8, v35
	v_or_b32_e32 v42, v42, v38
	v_or_b32_e32 v34, v34, v38
	v_xor_b32_e32 v64, v42, v41
	v_or_b32_e32 v42, 64, v39
	v_xor_b32_e32 v63, v34, v41
	v_xor_b32_e32 v42, v42, v40
	s_waitcnt lgkmcnt(0)
	s_barrier
	v_or_b32_e32 v45, v42, v38
	ds_read_b64 v[42:43], v63 offset:49152
	v_lshl_or_b32 v46, v98, 8, v57
	v_lshlrev_b32_e32 v58, 1, v46
	v_add_u32_e32 v44, 0x4000, v58
	ds_read2_b64 v[34:37], v44 offset1:16
	v_or_b32_e32 v39, 0x60, v39
	v_xor_b32_e32 v39, v39, v40
	v_or_b32_e32 v38, v39, v38
	v_xor_b32_e32 v65, v45, v41
	v_xor_b32_e32 v66, v38, v41
	ds_read_b64 v[52:53], v64 offset:49152
	ds_read_b64 v[68:69], v65 offset:49152
	;; [unrolled: 1-line block ×3, first 2 shown]
	s_waitcnt lgkmcnt(3)
	v_mfma_f32_16x16x16_bf16 a[0:3], v[42:43], v[34:35], 0
	ds_read2st64_b64 v[38:41], v58 offset0:36 offset1:40
	s_lshl_b64 s[0:1], s[44:45], 8
	s_add_u32 s4, s16, s0
	v_mfma_f32_16x16x16_bf16 a[4:7], v[42:43], v[36:37], 0
	ds_read2_b64 v[34:37], v44 offset0:32 offset1:48
	s_addc_u32 s5, s17, s1
	s_add_i32 s0, s51, s49
	s_waitcnt lgkmcnt(0)
	v_mfma_f32_16x16x16_bf16 a[8:11], v[42:43], v[34:35], 0
	v_or_b32_e32 v34, 64, v46
	v_lshlrev_b32_e32 v59, 1, v34
	s_add_i32 s17, s35, -1
	v_mfma_f32_16x16x16_bf16 a[12:15], v[42:43], v[36:37], 0
	ds_read2st64_b64 v[34:37], v59 offset0:36 offset1:40
	s_add_i32 s43, s0, s50
	s_add_i32 s0, s53, s52
	v_mfma_f32_16x16x16_bf16 a[0:3], v[52:53], v[38:39], a[0:3]
	v_or_b32_e32 v38, 0x80, v46
	v_lshlrev_b32_e32 v60, 1, v38
	ds_read2st64_b64 v[42:45], v60 offset0:36 offset1:40
	s_waitcnt lgkmcnt(1)
	v_mfma_f32_16x16x16_bf16 a[4:7], v[52:53], v[34:35], a[4:7]
	v_or_b32_e32 v34, 0xc0, v46
	v_lshlrev_b32_e32 v61, 1, v34
	ds_read2st64_b64 v[46:49], v61 offset0:36 offset1:40
	s_add_i32 s41, s0, s54
	s_ashr_i32 s0, s17, 31
	s_mul_i32 s1, s17, s11
	s_mul_hi_u32 s2, s17, s10
	s_add_i32 s1, s2, s1
	s_mul_i32 s0, s0, s10
	s_waitcnt lgkmcnt(1)
	v_mfma_f32_16x16x16_bf16 a[8:11], v[52:53], v[42:43], a[8:11]
	s_add_i32 s1, s1, s0
	s_lshl_b64 s[2:3], s[42:43], 2
	s_add_u32 s6, s22, s2
	s_waitcnt lgkmcnt(0)
	v_mfma_f32_16x16x16_bf16 a[12:15], v[52:53], v[46:47], a[12:15]
	s_addc_u32 s7, s23, s3
	s_lshl_b64 s[2:3], s[40:41], 2
	s_mul_i32 s0, s17, s10
	v_mfma_f32_16x16x16_bf16 a[0:3], v[68:69], v[40:41], a[0:3]
	ds_read_b64 v[34:35], v58 offset:22528
	s_add_u32 s12, s6, s2
	s_addc_u32 s13, s7, s3
	v_mfma_f32_16x16x16_bf16 a[4:7], v[68:69], v[36:37], a[4:7]
	ds_read_b64 v[36:37], v59 offset:22528
	ds_read_b64 v[38:39], v60 offset:22528
	;; [unrolled: 1-line block ×3, first 2 shown]
	s_lshl_b64 s[0:1], s[0:1], 2
	s_add_u32 s0, s12, s0
	v_mfma_f32_16x16x16_bf16 a[8:11], v[68:69], v[44:45], a[8:11]
	s_addc_u32 s1, s13, s1
	s_load_dword s16, s[0:1], 0x0
	s_and_b64 vcc, exec, s[38:39]
	v_mfma_f32_16x16x16_bf16 a[12:15], v[68:69], v[48:49], a[12:15]
	s_waitcnt lgkmcnt(0)
	v_mfma_f32_16x16x16_bf16 a[0:3], v[70:71], v[34:35], a[0:3]
	v_mfma_f32_16x16x16_bf16 a[4:7], v[70:71], v[36:37], a[4:7]
	;; [unrolled: 1-line block ×4, first 2 shown]
	s_cbranch_vccz .LBB209_42
; %bb.32:
	v_lshlrev_b32_e32 v52, 1, v62
	s_and_b64 vcc, exec, s[18:19]
	s_cbranch_vccz .LBB209_43
; %bb.33:
	v_cmp_gt_i32_e32 vcc, s46, v52
	v_mov_b32_e32 v38, 0
	v_mov_b32_e32 v34, 0
	;; [unrolled: 1-line block ×5, first 2 shown]
	s_and_saveexec_b64 s[0:1], vcc
	s_cbranch_execz .LBB209_35
; %bb.34:
	v_mad_i64_i32 v[34:35], s[2:3], s31, v52, 0
	v_lshl_add_u64 v[34:35], v[34:35], 1, s[4:5]
	v_lshlrev_b32_e32 v36, 1, v50
	v_mov_b32_e32 v37, 0
	v_lshl_add_u64 v[34:35], v[34:35], 0, v[36:37]
	global_load_dwordx4 v[34:37], v[34:35], off
.LBB209_35:
	s_or_b64 exec, exec, s[0:1]
	v_or_b32_e32 v53, 1, v52
	v_cmp_gt_i32_e64 s[0:1], s46, v53
	v_mov_b32_e32 v39, 0
	v_mov_b32_e32 v40, 0
	v_mov_b32_e32 v41, 0
	s_and_saveexec_b64 s[2:3], s[0:1]
	s_cbranch_execz .LBB209_37
; %bb.36:
	v_mad_i64_i32 v[38:39], s[6:7], s31, v53, 0
	v_lshl_add_u64 v[38:39], v[38:39], 1, s[4:5]
	v_lshlrev_b32_e32 v40, 1, v50
	v_mov_b32_e32 v41, 0
	v_lshl_add_u64 v[38:39], v[38:39], 0, v[40:41]
	global_load_dwordx4 v[38:41], v[38:39], off
.LBB209_37:
	s_or_b64 exec, exec, s[2:3]
	v_mov_b32_e32 v49, 0
	v_mov_b32_e32 v42, 0
	;; [unrolled: 1-line block ×5, first 2 shown]
	s_and_saveexec_b64 s[2:3], vcc
	s_cbranch_execz .LBB209_39
; %bb.38:
	v_mad_i64_i32 v[42:43], s[6:7], s31, v52, 0
	v_lshl_add_u64 v[42:43], v[42:43], 1, s[4:5]
	v_lshlrev_b32_e32 v44, 1, v50
	v_mov_b32_e32 v45, 0
	v_lshl_add_u64 v[42:43], v[42:43], 0, v[44:45]
	global_load_dwordx4 v[42:45], v[42:43], off offset:128
.LBB209_39:
	s_or_b64 exec, exec, s[2:3]
	v_mov_b32_e32 v48, 0
	v_mov_b32_e32 v47, 0
	;; [unrolled: 1-line block ×3, first 2 shown]
	s_and_saveexec_b64 s[2:3], s[0:1]
	s_cbranch_execz .LBB209_41
; %bb.40:
	v_mad_i64_i32 v[46:47], s[0:1], s31, v53, 0
	v_lshl_add_u64 v[46:47], v[46:47], 1, s[4:5]
	v_lshlrev_b32_e32 v48, 1, v50
	v_mov_b32_e32 v49, 0
	v_lshl_add_u64 v[46:47], v[46:47], 0, v[48:49]
	global_load_dwordx4 v[46:49], v[46:47], off offset:128
.LBB209_41:
	s_or_b64 exec, exec, s[2:3]
	s_branch .LBB209_45
.LBB209_42:
                                        ; implicit-def: $vgpr37
                                        ; implicit-def: $vgpr41
                                        ; implicit-def: $vgpr45
                                        ; implicit-def: $vgpr49
	v_lshrrev_b32_e32 v67, 2, v79
	s_branch .LBB209_46
.LBB209_43:
                                        ; implicit-def: $vgpr37
                                        ; implicit-def: $vgpr41
                                        ; implicit-def: $vgpr45
                                        ; implicit-def: $vgpr49
	s_cbranch_execz .LBB209_45
; %bb.44:
	s_waitcnt vmcnt(0)
	v_mad_u64_u32 v[34:35], s[0:1], v52, s31, v[50:51]
	v_lshlrev_b32_e32 v52, 1, v34
	s_lshl_b32 s2, s31, 7
	s_and_b32 s1, s5, 0xffff
	s_mov_b32 s3, 0x20000
	s_mov_b32 s0, s4
	v_add_lshl_u32 v53, v34, s31, 1
	s_movk_i32 s6, 0x80
	buffer_load_dwordx4 v[34:37], v52, s[0:3], 0 offen
	buffer_load_dwordx4 v[42:45], v52, s[0:3], s6 offen
	buffer_load_dwordx4 v[38:41], v53, s[0:3], 0 offen
	buffer_load_dwordx4 v[46:49], v53, s[0:3], s6 offen
.LBB209_45:
	v_lshrrev_b32_e32 v67, 2, v79
	s_cbranch_execnz .LBB209_58
.LBB209_46:
	s_and_b64 vcc, exec, s[18:19]
	s_cbranch_vccz .LBB209_56
; %bb.47:
	s_waitcnt vmcnt(0)
	v_lshlrev_b32_e32 v39, 1, v62
	v_cmp_gt_i32_e32 vcc, s46, v39
	v_mov_b32_e32 v38, 0
	v_lshlrev_b32_e32 v46, 9, v62
	v_mov_b32_e32 v34, 0
	v_mov_b32_e32 v35, 0
	;; [unrolled: 1-line block ×4, first 2 shown]
	s_and_saveexec_b64 s[0:1], vcc
	s_cbranch_execz .LBB209_49
; %bb.48:
	v_mov_b32_e32 v47, 0
	v_lshl_add_u64 v[34:35], s[4:5], 0, v[46:47]
	v_lshlrev_b32_e32 v36, 1, v50
	v_mov_b32_e32 v37, v47
	v_lshl_add_u64 v[34:35], v[34:35], 0, v[36:37]
	global_load_dwordx4 v[34:37], v[34:35], off
.LBB209_49:
	s_or_b64 exec, exec, s[0:1]
	v_or_b32_e32 v39, 1, v39
	v_cmp_gt_i32_e64 s[0:1], s46, v39
	v_lshlrev_b32_e32 v52, 8, v39
	v_mov_b32_e32 v39, 0
	v_mov_b32_e32 v40, 0
	v_mov_b32_e32 v41, 0
	s_and_saveexec_b64 s[2:3], s[0:1]
	s_cbranch_execz .LBB209_51
; %bb.50:
	v_mov_b32_e32 v53, 0
	v_lshl_add_u64 v[38:39], s[4:5], 0, v[52:53]
	v_lshlrev_b32_e32 v40, 1, v50
	v_mov_b32_e32 v41, v53
	v_lshl_add_u64 v[38:39], v[38:39], 0, v[40:41]
	global_load_dwordx4 v[38:41], v[38:39], off
.LBB209_51:
	s_or_b64 exec, exec, s[2:3]
	v_mov_b32_e32 v49, 0
	v_mov_b32_e32 v42, 0
	;; [unrolled: 1-line block ×5, first 2 shown]
	s_and_saveexec_b64 s[2:3], vcc
	s_cbranch_execz .LBB209_53
; %bb.52:
	v_mov_b32_e32 v47, 0
	v_lshl_add_u64 v[42:43], s[4:5], 0, v[46:47]
	v_lshlrev_b32_e32 v46, 1, v50
	v_lshl_add_u64 v[42:43], v[42:43], 0, v[46:47]
	global_load_dwordx4 v[42:45], v[42:43], off offset:128
.LBB209_53:
	s_or_b64 exec, exec, s[2:3]
	v_mov_b32_e32 v48, 0
	v_mov_b32_e32 v47, 0
	;; [unrolled: 1-line block ×3, first 2 shown]
	s_and_saveexec_b64 s[2:3], s[0:1]
	s_cbranch_execz .LBB209_55
; %bb.54:
	v_mov_b32_e32 v53, 0
	v_lshl_add_u64 v[46:47], s[4:5], 0, v[52:53]
	v_lshlrev_b32_e32 v52, 1, v50
	v_lshl_add_u64 v[46:47], v[46:47], 0, v[52:53]
	global_load_dwordx4 v[46:49], v[46:47], off offset:128
.LBB209_55:
	s_or_b64 exec, exec, s[2:3]
	s_branch .LBB209_58
.LBB209_56:
                                        ; implicit-def: $vgpr37
                                        ; implicit-def: $vgpr41
                                        ; implicit-def: $vgpr45
                                        ; implicit-def: $vgpr49
	s_cbranch_execz .LBB209_58
; %bb.57:
	s_waitcnt vmcnt(0)
	v_lshlrev_b32_e32 v34, 1, v50
	v_lshl_or_b32 v50, v62, 9, v34
	s_and_b32 s5, s5, 0xffff
	s_mov_b32 s7, 0x20000
	s_movk_i32 s6, 0x4000
	s_movk_i32 s0, 0x80
	buffer_load_dwordx4 v[34:37], v50, s[4:7], 0 offen
	buffer_load_dwordx4 v[38:41], v50, s[4:7], 0 offen offset:256
	buffer_load_dwordx4 v[42:45], v50, s[4:7], s0 offen
	buffer_load_dwordx4 v[46:49], v50, s[4:7], s0 offen offset:256
.LBB209_58:
	ds_read_b64 v[52:53], v63 offset:57344
	v_add_u32_e32 v50, 0x6000, v58
	ds_read2_b64 v[68:71], v50 offset1:16
	ds_read_b64 v[94:95], v64 offset:57344
	ds_read_b64 v[96:97], v65 offset:57344
	;; [unrolled: 1-line block ×3, first 2 shown]
	v_and_b32_e32 v63, 6, v0
	v_xor_b32_e32 v62, v62, v63
	v_lshlrev_b32_e32 v62, 2, v62
	s_mov_b32 s0, 0x1000504
	s_mov_b32 s1, 0x3020706
	s_waitcnt lgkmcnt(3)
	v_mfma_f32_16x16x16_bf16 a[0:3], v[52:53], v[68:69], a[0:3]
	v_mfma_f32_16x16x16_bf16 a[4:7], v[52:53], v[70:71], a[4:7]
	ds_read2_b64 v[68:71], v50 offset0:32 offset1:48
	v_and_b32_e32 v50, 12, v67
	ds_read2st64_b64 v[64:67], v58 offset0:52 offset1:56
	s_waitcnt lgkmcnt(1)
	v_mfma_f32_16x16x16_bf16 a[8:11], v[52:53], v[68:69], a[8:11]
	v_mfma_f32_16x16x16_bf16 a[12:15], v[52:53], v[70:71], a[12:15]
	ds_read2st64_b64 v[68:71], v59 offset0:52 offset1:56
	ds_read2st64_b64 v[72:75], v60 offset0:52 offset1:56
	ds_read2st64_b64 v[90:93], v61 offset0:52 offset1:56
	s_waitcnt lgkmcnt(3)
	v_mfma_f32_16x16x16_bf16 a[0:3], v[94:95], v[64:65], a[0:3]
	ds_read_b64 v[52:53], v58 offset:30720
	ds_read_b64 v[64:65], v59 offset:30720
	;; [unrolled: 1-line block ×4, first 2 shown]
	s_waitcnt lgkmcnt(6)
	v_mfma_f32_16x16x16_bf16 a[4:7], v[94:95], v[68:69], a[4:7]
	v_and_b32_e32 v68, 1, v0
	v_xor_b32_e32 v69, 0x440, v62
	v_cmp_eq_u32_e32 vcc, 0, v68
	s_waitcnt lgkmcnt(5)
	v_mfma_f32_16x16x16_bf16 a[8:11], v[94:95], v[72:73], a[8:11]
	v_cndmask_b32_e32 v62, v69, v62, vcc
	v_lshl_or_b32 v62, v63, 10, v62
	s_waitcnt lgkmcnt(4)
	v_mfma_f32_16x16x16_bf16 a[12:15], v[94:95], v[90:91], a[12:15]
	s_waitcnt vmcnt(0)
	v_perm_b32 v63, v34, v38, s0
	v_perm_b32 v34, v34, v38, s1
	;; [unrolled: 1-line block ×3, first 2 shown]
	v_mfma_f32_16x16x16_bf16 a[0:3], v[96:97], v[66:67], a[0:3]
	v_perm_b32 v66, v42, v46, s0
	ds_write2st64_b32 v62, v63, v66 offset0:128 offset1:160
	v_xor_b32_e32 v63, 8, v62
	v_add_u32_e32 v42, 0x80, v63
	ds_write2st64_b32 v42, v34, v38 offset0:128 offset1:160
	v_xor_b32_e32 v34, 16, v62
	v_perm_b32 v38, v35, v39, s0
	v_perm_b32 v42, v43, v47, s0
	v_mfma_f32_16x16x16_bf16 a[4:7], v[96:97], v[70:71], a[4:7]
	ds_write2st64_b32 v34, v38, v42 offset0:129 offset1:161
	v_xor_b32_e32 v34, 24, v62
	v_perm_b32 v35, v35, v39, s1
	v_mfma_f32_16x16x16_bf16 a[16:19], v[96:97], v[74:75], a[8:11]
	v_perm_b32 v38, v43, v47, s1
	v_add_u32_e32 v34, 0x80, v34
	ds_write2st64_b32 v34, v35, v38 offset0:129 offset1:161
	v_mfma_f32_16x16x16_bf16 a[20:23], v[96:97], v[92:93], a[12:15]
	v_xor_b32_e32 v34, 32, v62
	v_perm_b32 v35, v36, v40, s0
	v_perm_b32 v38, v44, v48, s0
	ds_write2st64_b32 v34, v35, v38 offset0:130 offset1:162
	v_xor_b32_e32 v34, 40, v62
	s_waitcnt lgkmcnt(8)
	v_mfma_f32_16x16x16_bf16 a[12:15], v[98:99], v[52:53], a[0:3]
	v_perm_b32 v35, v36, v40, s1
	v_perm_b32 v36, v44, v48, s1
	v_add_u32_e32 v34, 0x80, v34
	s_waitcnt lgkmcnt(7)
	v_mfma_f32_16x16x16_bf16 a[8:11], v[98:99], v[64:65], a[4:7]
	ds_write2st64_b32 v34, v35, v36 offset0:130 offset1:162
	v_xor_b32_e32 v34, 48, v62
	v_perm_b32 v35, v37, v41, s0
	s_waitcnt lgkmcnt(7)
	v_mfma_f32_16x16x16_bf16 a[4:7], v[98:99], v[100:101], a[16:19]
	v_perm_b32 v36, v45, v49, s0
	ds_write2st64_b32 v34, v35, v36 offset0:131 offset1:163
	v_xor_b32_e32 v34, 56, v62
	s_waitcnt lgkmcnt(7)
	v_mfma_f32_16x16x16_bf16 a[0:3], v[98:99], v[102:103], a[20:23]
	v_or_b32_e32 v52, v50, v77
	v_perm_b32 v35, v37, v41, s1
	v_perm_b32 v36, v45, v49, s1
	v_add_u32_e32 v34, 0x80, v34
	v_cmp_gt_i32_e64 s[0:1], s46, v52
	v_mov_b32_e32 v62, 0
	v_mov_b32_e32 v63, 0
	ds_write2st64_b32 v34, v35, v36 offset0:131 offset1:163
	s_and_saveexec_b64 s[2:3], s[0:1]
	s_cbranch_execz .LBB209_60
; %bb.59:
	v_add_u32_e32 v34, s34, v52
	v_ashrrev_i32_e32 v35, 31, v34
	v_mul_lo_u32 v36, v35, s10
	v_mul_lo_u32 v37, v34, s11
	v_mad_u64_u32 v[34:35], s[4:5], v34, s10, 0
	v_add3_u32 v35, v35, v37, v36
	v_lshl_add_u64 v[34:35], v[34:35], 2, s[12:13]
	global_load_dword v34, v[34:35], off
	s_waitcnt vmcnt(0)
	v_sub_f32_e32 v34, s16, v34
	v_mul_f32_e32 v34, 0x3fb8aa3b, v34
	v_exp_f32_e32 v63, v34
.LBB209_60:
	s_or_b64 exec, exec, s[2:3]
	v_or_b32_e32 v43, 1, v52
	v_cmp_gt_i32_e64 s[2:3], s46, v43
	s_and_saveexec_b64 s[4:5], s[2:3]
	s_cbranch_execz .LBB209_62
; %bb.61:
	v_add_u32_e32 v34, s34, v43
	v_ashrrev_i32_e32 v35, 31, v34
	v_mul_lo_u32 v36, v35, s10
	v_mul_lo_u32 v37, v34, s11
	v_mad_u64_u32 v[34:35], s[6:7], v34, s10, 0
	v_add3_u32 v35, v35, v37, v36
	v_lshl_add_u64 v[34:35], v[34:35], 2, s[12:13]
	global_load_dword v34, v[34:35], off
	s_waitcnt vmcnt(0)
	v_sub_f32_e32 v34, s16, v34
	v_mul_f32_e32 v34, 0x3fb8aa3b, v34
	v_exp_f32_e32 v62, v34
.LBB209_62:
	s_or_b64 exec, exec, s[4:5]
	v_or_b32_e32 v42, 2, v52
	v_cmp_gt_i32_e64 s[4:5], s46, v42
	v_mov_b32_e32 v53, 0
	v_mov_b32_e32 v64, 0
	s_and_saveexec_b64 s[6:7], s[4:5]
	s_cbranch_execz .LBB209_64
; %bb.63:
	v_add_u32_e32 v34, s34, v42
	v_ashrrev_i32_e32 v35, 31, v34
	v_mul_lo_u32 v36, v35, s10
	v_mul_lo_u32 v37, v34, s11
	v_mad_u64_u32 v[34:35], s[18:19], v34, s10, 0
	v_add3_u32 v35, v35, v37, v36
	v_lshl_add_u64 v[34:35], v[34:35], 2, s[12:13]
	global_load_dword v34, v[34:35], off
	s_waitcnt vmcnt(0)
	v_sub_f32_e32 v34, s16, v34
	v_mul_f32_e32 v34, 0x3fb8aa3b, v34
	v_exp_f32_e32 v64, v34
.LBB209_64:
	s_or_b64 exec, exec, s[6:7]
	v_or_b32_e32 v65, 3, v52
	v_cmp_gt_i32_e32 vcc, s46, v65
	s_and_saveexec_b64 s[6:7], vcc
	s_cbranch_execz .LBB209_66
; %bb.65:
	v_add_u32_e32 v34, s34, v65
	v_ashrrev_i32_e32 v35, 31, v34
	v_mul_lo_u32 v36, v35, s10
	v_mul_lo_u32 v37, v34, s11
	v_mad_u64_u32 v[34:35], s[10:11], v34, s10, 0
	v_add3_u32 v35, v35, v37, v36
	v_lshl_add_u64 v[34:35], v[34:35], 2, s[12:13]
	global_load_dword v34, v[34:35], off
	s_waitcnt vmcnt(0)
	v_sub_f32_e32 v34, s16, v34
	v_mul_f32_e32 v34, 0x3fb8aa3b, v34
	v_exp_f32_e32 v53, v34
.LBB209_66:
	s_or_b64 exec, exec, s[6:7]
	s_add_u32 s6, s20, s36
	s_addc_u32 s7, s21, s37
	s_add_u32 s10, s14, s36
	v_ashrrev_i32_e32 v89, 31, v88
	v_accvgpr_read_b32 v37, a15
	s_addc_u32 s11, s15, s37
	v_lshlrev_b64 v[38:39], 1, v[88:89]
	v_accvgpr_read_b32 v36, a14
	v_accvgpr_read_b32 v35, a13
	;; [unrolled: 1-line block ×3, first 2 shown]
	v_lshl_add_u64 v[40:41], s[6:7], 0, v[38:39]
	v_lshl_add_u64 v[38:39], s[10:11], 0, v[38:39]
	v_mov_b32_e32 v47, 0
	v_lshlrev_b32_e32 v44, 8, v52
	v_mov_b32_e32 v45, 0
	s_and_saveexec_b64 s[6:7], s[0:1]
	s_cbranch_execz .LBB209_68
; %bb.67:
	v_mov_b32_e32 v45, 0
	v_lshl_add_u64 v[48:49], v[40:41], 0, v[44:45]
	global_load_ushort v46, v[48:49], off
	v_lshl_add_u64 v[48:49], v[38:39], 0, v[44:45]
	s_waitcnt vmcnt(0)
	v_lshlrev_b32_e32 v45, 16, v46
	v_sub_f32_e32 v34, v45, v34
	global_store_short_d16_hi v[48:49], v34, off
	v_mul_f32_e32 v34, v63, v34
	v_lshrrev_b32_e32 v45, 16, v34
.LBB209_68:
	s_or_b64 exec, exec, s[6:7]
	v_lshlrev_b32_e32 v46, 8, v43
	s_and_saveexec_b64 s[6:7], s[2:3]
	s_cbranch_execz .LBB209_70
; %bb.69:
	v_mov_b32_e32 v47, 0
	v_lshl_add_u64 v[48:49], v[40:41], 0, v[46:47]
	global_load_ushort v34, v[48:49], off
	v_lshl_add_u64 v[48:49], v[38:39], 0, v[46:47]
	s_waitcnt vmcnt(0)
	v_lshlrev_b32_e32 v34, 16, v34
	v_sub_f32_e32 v34, v34, v35
	global_store_short_d16_hi v[48:49], v34, off
	v_mul_f32_e32 v34, v62, v34
	v_lshrrev_b32_e32 v47, 16, v34
.LBB209_70:
	s_or_b64 exec, exec, s[6:7]
	v_mov_b32_e32 v43, 0
	v_lshlrev_b32_e32 v48, 8, v42
	v_mov_b32_e32 v49, 0
	s_and_saveexec_b64 s[6:7], s[4:5]
	s_cbranch_execz .LBB209_72
; %bb.71:
	v_mov_b32_e32 v49, 0
	v_lshl_add_u64 v[34:35], v[40:41], 0, v[48:49]
	global_load_ushort v42, v[34:35], off
	v_lshl_add_u64 v[34:35], v[38:39], 0, v[48:49]
	s_waitcnt vmcnt(0)
	v_lshlrev_b32_e32 v42, 16, v42
	v_sub_f32_e32 v36, v42, v36
	global_store_short_d16_hi v[34:35], v36, off
	v_mul_f32_e32 v34, v64, v36
	v_lshrrev_b32_e32 v49, 16, v34
.LBB209_72:
	s_or_b64 exec, exec, s[6:7]
	v_lshlrev_b32_e32 v42, 8, v65
	s_and_saveexec_b64 s[6:7], vcc
	s_cbranch_execz .LBB209_74
; %bb.73:
	v_mov_b32_e32 v43, 0
	v_lshl_add_u64 v[34:35], v[40:41], 0, v[42:43]
	global_load_ushort v36, v[34:35], off
	v_lshl_add_u64 v[34:35], v[38:39], 0, v[42:43]
	s_waitcnt vmcnt(0)
	v_lshlrev_b32_e32 v36, 16, v36
	v_sub_f32_e32 v36, v36, v37
	global_store_short_d16_hi v[34:35], v36, off
	v_mul_f32_e32 v34, v53, v36
	v_lshrrev_b32_e32 v43, 16, v34
.LBB209_74:
	s_or_b64 exec, exec, s[6:7]
	v_lshlrev_b32_e32 v65, 6, v52
	s_mov_b32 s6, 0x5040100
	v_accvgpr_read_b32 v37, a11
	v_perm_b32 v67, v43, v49, s6
	v_or_b32_e32 v43, v65, v57
	v_accvgpr_read_b32 v36, a10
	v_accvgpr_read_b32 v35, a9
	;; [unrolled: 1-line block ×3, first 2 shown]
	v_perm_b32 v66, v47, v45, s6
	v_lshlrev_b32_e32 v43, 1, v43
	v_mov_b32_e32 v47, 0
	v_mov_b32_e32 v45, 0
	ds_write_b64 v43, v[66:67] offset:24576
	s_and_saveexec_b64 s[6:7], s[0:1]
	s_cbranch_execz .LBB209_76
; %bb.75:
	v_mov_b32_e32 v45, 0
	v_lshl_add_u64 v[66:67], v[40:41], 0, v[44:45]
	global_load_ushort v43, v[66:67], off offset:32
	v_lshl_add_u64 v[66:67], v[38:39], 0, v[44:45]
	s_waitcnt vmcnt(0)
	v_lshlrev_b32_e32 v43, 16, v43
	v_sub_f32_e32 v34, v43, v34
	global_store_short_d16_hi v[66:67], v34, off offset:32
	v_mul_f32_e32 v34, v63, v34
	v_lshrrev_b32_e32 v45, 16, v34
.LBB209_76:
	s_or_b64 exec, exec, s[6:7]
	s_and_saveexec_b64 s[6:7], s[2:3]
	s_cbranch_execz .LBB209_78
; %bb.77:
	v_mov_b32_e32 v47, 0
	v_lshl_add_u64 v[66:67], v[40:41], 0, v[46:47]
	global_load_ushort v34, v[66:67], off offset:32
	v_lshl_add_u64 v[66:67], v[38:39], 0, v[46:47]
	s_waitcnt vmcnt(0)
	v_lshlrev_b32_e32 v34, 16, v34
	v_sub_f32_e32 v34, v34, v35
	global_store_short_d16_hi v[66:67], v34, off offset:32
	v_mul_f32_e32 v34, v62, v34
	v_lshrrev_b32_e32 v47, 16, v34
.LBB209_78:
	s_or_b64 exec, exec, s[6:7]
	v_mov_b32_e32 v43, 0
	v_mov_b32_e32 v49, 0
	s_and_saveexec_b64 s[6:7], s[4:5]
	s_cbranch_execz .LBB209_80
; %bb.79:
	v_mov_b32_e32 v49, 0
	v_lshl_add_u64 v[34:35], v[40:41], 0, v[48:49]
	global_load_ushort v57, v[34:35], off offset:32
	v_lshl_add_u64 v[34:35], v[38:39], 0, v[48:49]
	s_waitcnt vmcnt(0)
	v_lshlrev_b32_e32 v49, 16, v57
	v_sub_f32_e32 v36, v49, v36
	global_store_short_d16_hi v[34:35], v36, off offset:32
	v_mul_f32_e32 v34, v64, v36
	v_lshrrev_b32_e32 v49, 16, v34
.LBB209_80:
	s_or_b64 exec, exec, s[6:7]
	s_and_saveexec_b64 s[6:7], vcc
	s_cbranch_execz .LBB209_82
; %bb.81:
	v_mov_b32_e32 v43, 0
	v_lshl_add_u64 v[34:35], v[40:41], 0, v[42:43]
	global_load_ushort v36, v[34:35], off offset:32
	v_lshl_add_u64 v[34:35], v[38:39], 0, v[42:43]
	s_waitcnt vmcnt(0)
	v_lshlrev_b32_e32 v36, 16, v36
	v_sub_f32_e32 v36, v36, v37
	global_store_short_d16_hi v[34:35], v36, off offset:32
	v_mul_f32_e32 v34, v53, v36
	v_lshrrev_b32_e32 v43, 16, v34
.LBB209_82:
	s_or_b64 exec, exec, s[6:7]
	s_mov_b32 s6, 0x5040100
	v_accvgpr_read_b32 v37, a7
	v_perm_b32 v67, v43, v49, s6
	v_or_b32_e32 v43, v65, v55
	v_accvgpr_read_b32 v36, a6
	v_accvgpr_read_b32 v35, a5
	;; [unrolled: 1-line block ×3, first 2 shown]
	v_perm_b32 v66, v47, v45, s6
	v_lshlrev_b32_e32 v43, 1, v43
	v_mov_b32_e32 v47, 0
	v_mov_b32_e32 v45, 0
	ds_write_b64 v43, v[66:67] offset:24576
	s_and_saveexec_b64 s[6:7], s[0:1]
	s_cbranch_execz .LBB209_84
; %bb.83:
	v_mov_b32_e32 v45, 0
	v_lshl_add_u64 v[66:67], v[40:41], 0, v[44:45]
	global_load_ushort v43, v[66:67], off offset:64
	v_lshl_add_u64 v[66:67], v[38:39], 0, v[44:45]
	s_waitcnt vmcnt(0)
	v_lshlrev_b32_e32 v43, 16, v43
	v_sub_f32_e32 v34, v43, v34
	global_store_short_d16_hi v[66:67], v34, off offset:64
	v_mul_f32_e32 v34, v63, v34
	v_lshrrev_b32_e32 v45, 16, v34
.LBB209_84:
	s_or_b64 exec, exec, s[6:7]
	s_and_saveexec_b64 s[6:7], s[2:3]
	s_cbranch_execz .LBB209_86
; %bb.85:
	v_mov_b32_e32 v47, 0
	v_lshl_add_u64 v[66:67], v[40:41], 0, v[46:47]
	global_load_ushort v34, v[66:67], off offset:64
	v_lshl_add_u64 v[66:67], v[38:39], 0, v[46:47]
	s_waitcnt vmcnt(0)
	v_lshlrev_b32_e32 v34, 16, v34
	v_sub_f32_e32 v34, v34, v35
	global_store_short_d16_hi v[66:67], v34, off offset:64
	v_mul_f32_e32 v34, v62, v34
	v_lshrrev_b32_e32 v47, 16, v34
.LBB209_86:
	s_or_b64 exec, exec, s[6:7]
	v_mov_b32_e32 v43, 0
	v_mov_b32_e32 v49, 0
	s_and_saveexec_b64 s[6:7], s[4:5]
	s_cbranch_execz .LBB209_88
; %bb.87:
	v_mov_b32_e32 v49, 0
	v_lshl_add_u64 v[34:35], v[40:41], 0, v[48:49]
	global_load_ushort v55, v[34:35], off offset:64
	v_lshl_add_u64 v[34:35], v[38:39], 0, v[48:49]
	s_waitcnt vmcnt(0)
	v_lshlrev_b32_e32 v49, 16, v55
	v_sub_f32_e32 v36, v49, v36
	global_store_short_d16_hi v[34:35], v36, off offset:64
	v_mul_f32_e32 v34, v64, v36
	v_lshrrev_b32_e32 v49, 16, v34
.LBB209_88:
	s_or_b64 exec, exec, s[6:7]
	s_and_saveexec_b64 s[6:7], vcc
	s_cbranch_execz .LBB209_90
; %bb.89:
	v_mov_b32_e32 v43, 0
	v_lshl_add_u64 v[34:35], v[40:41], 0, v[42:43]
	global_load_ushort v36, v[34:35], off offset:64
	v_lshl_add_u64 v[34:35], v[38:39], 0, v[42:43]
	s_waitcnt vmcnt(0)
	v_lshlrev_b32_e32 v36, 16, v36
	v_sub_f32_e32 v36, v36, v37
	global_store_short_d16_hi v[34:35], v36, off offset:64
	v_mul_f32_e32 v34, v53, v36
	v_lshrrev_b32_e32 v43, 16, v34
.LBB209_90:
	s_or_b64 exec, exec, s[6:7]
	s_mov_b32 s6, 0x5040100
	v_accvgpr_read_b32 v37, a3
	v_perm_b32 v67, v43, v49, s6
	v_or_b32_e32 v43, v65, v54
	v_accvgpr_read_b32 v36, a2
	v_accvgpr_read_b32 v35, a1
	;; [unrolled: 1-line block ×3, first 2 shown]
	v_perm_b32 v66, v47, v45, s6
	v_lshlrev_b32_e32 v43, 1, v43
	v_mov_b32_e32 v47, 0
	v_mov_b32_e32 v45, 0
	ds_write_b64 v43, v[66:67] offset:24576
	s_and_saveexec_b64 s[6:7], s[0:1]
	s_cbranch_execz .LBB209_92
; %bb.91:
	v_mov_b32_e32 v45, 0
	v_lshl_add_u64 v[54:55], v[40:41], 0, v[44:45]
	global_load_ushort v43, v[54:55], off offset:96
	v_lshl_add_u64 v[44:45], v[38:39], 0, v[44:45]
	s_waitcnt vmcnt(0)
	v_lshlrev_b32_e32 v43, 16, v43
	v_sub_f32_e32 v34, v43, v34
	global_store_short_d16_hi v[44:45], v34, off offset:96
	v_mul_f32_e32 v34, v63, v34
	v_lshrrev_b32_e32 v45, 16, v34
.LBB209_92:
	s_or_b64 exec, exec, s[6:7]
	s_and_saveexec_b64 s[0:1], s[2:3]
	s_cbranch_execz .LBB209_94
; %bb.93:
	v_mov_b32_e32 v47, 0
	v_lshl_add_u64 v[54:55], v[40:41], 0, v[46:47]
	global_load_ushort v34, v[54:55], off offset:96
	v_lshl_add_u64 v[46:47], v[38:39], 0, v[46:47]
	s_waitcnt vmcnt(0)
	v_lshlrev_b32_e32 v34, 16, v34
	v_sub_f32_e32 v34, v34, v35
	global_store_short_d16_hi v[46:47], v34, off offset:96
	v_mul_f32_e32 v34, v62, v34
	v_lshrrev_b32_e32 v47, 16, v34
.LBB209_94:
	s_or_b64 exec, exec, s[0:1]
	v_mov_b32_e32 v43, 0
	v_mov_b32_e32 v46, 0
	s_and_saveexec_b64 s[0:1], s[4:5]
	s_cbranch_execz .LBB209_96
; %bb.95:
	v_mov_b32_e32 v49, 0
	v_lshl_add_u64 v[34:35], v[40:41], 0, v[48:49]
	global_load_ushort v44, v[34:35], off offset:96
	v_lshl_add_u64 v[34:35], v[38:39], 0, v[48:49]
	s_waitcnt vmcnt(0)
	v_lshlrev_b32_e32 v44, 16, v44
	v_sub_f32_e32 v36, v44, v36
	global_store_short_d16_hi v[34:35], v36, off offset:96
	v_mul_f32_e32 v34, v64, v36
	v_lshrrev_b32_e32 v46, 16, v34
.LBB209_96:
	s_or_b64 exec, exec, s[0:1]
	v_or_b32_e32 v34, 0x6000, v58
	v_or_b32_e32 v35, 0x6000, v59
	;; [unrolled: 1-line block ×4, first 2 shown]
	s_and_saveexec_b64 s[0:1], vcc
	s_cbranch_execz .LBB209_98
; %bb.97:
	v_mov_b32_e32 v43, 0
	v_lshl_add_u64 v[40:41], v[40:41], 0, v[42:43]
	global_load_ushort v40, v[40:41], off offset:96
	v_lshl_add_u64 v[38:39], v[38:39], 0, v[42:43]
	s_waitcnt vmcnt(0)
	v_lshlrev_b32_e32 v40, 16, v40
	v_sub_f32_e32 v37, v40, v37
	global_store_short_d16_hi v[38:39], v37, off offset:96
	v_mul_f32_e32 v37, v53, v37
	v_lshrrev_b32_e32 v43, 16, v37
.LBB209_98:
	s_or_b64 exec, exec, s[0:1]
	s_mov_b32 s0, 0x5040100
	v_or_b32_e32 v37, v65, v51
	v_perm_b32 v39, v43, v46, s0
	v_perm_b32 v38, v47, v45, s0
	v_lshlrev_b32_e32 v37, 1, v37
	ds_write_b64 v37, v[38:39] offset:24576
	v_and_b32_e32 v37, 7, v0
	v_lshlrev_b32_e32 v45, 3, v37
	v_lshlrev_b32_e32 v79, 7, v37
	v_lshrrev_b32_e32 v37, 1, v0
	v_and_b32_e32 v37, 24, v37
	v_lshlrev_b32_e32 v76, 3, v1
	s_mul_i32 s0, s17, s29
	v_and_b32_e32 v42, 8, v0
	s_movk_i32 s4, 0x100
	v_xor_b32_e32 v77, v76, v37
	s_add_u32 s2, s0, s33
	v_cmp_eq_u32_e32 vcc, 0, v42
	v_cmp_gt_u32_e64 s[0:1], s4, v0
	v_or_b32_e32 v0, 0x440, v77
	v_mov_b32_e32 v43, 0x400
	v_cndmask_b32_e32 v0, v0, v77, vcc
	v_cndmask_b32_e64 v51, v43, 64, vcc
	v_mov_b32_e32 v42, 0xa000
	v_mov_b32_e32 v43, 0x8000
	v_or_b32_e32 v0, v0, v56
	v_cndmask_b32_e64 v57, v42, v43, s[0:1]
	v_xor_b32_e32 v92, v0, v45
	v_add3_u32 v0, v57, v92, v79
	s_waitcnt lgkmcnt(0)
	s_barrier
	ds_read_b64 v[42:43], v0
	v_or_b32_e32 v0, 32, v37
	v_xor_b32_e32 v0, v76, v0
	v_or_b32_e32 v46, 0x440, v0
	ds_read2_b64 v[38:41], v34 offset1:16
	v_cndmask_b32_e32 v0, v46, v0, vcc
	ds_read2_b64 v[46:49], v34 offset0:32 offset1:48
	s_mul_hi_i32 s3, s17, s29
	s_waitcnt lgkmcnt(1)
	v_mfma_f32_16x16x16_bf16 a[0:3], v[42:43], v[38:39], 0
	v_or_b32_e32 v0, v0, v56
	s_addc_u32 s3, s3, s48
	v_or_b32_e32 v37, 0x60, v37
	v_mfma_f32_16x16x16_bf16 a[4:7], v[42:43], v[40:41], 0
	v_xor_b32_e32 v93, v0, v45
	s_lshl_b64 s[0:1], s[2:3], 9
	v_xor_b32_e32 v37, v76, v37
	s_waitcnt lgkmcnt(0)
	v_mfma_f32_16x16x16_bf16 a[8:11], v[42:43], v[46:47], 0
	v_add3_u32 v0, v57, v93, v79
	s_add_u32 s0, s8, s0
	ds_read_b64 v[74:75], v0
	v_mfma_f32_16x16x16_bf16 a[12:15], v[42:43], v[48:49], 0
	v_or3_b32 v42, v56, v51, v77
	v_xor_b32_e32 v42, v42, v45
	v_or_b32_e32 v94, v42, v79
	v_or_b32_e32 v42, v57, v94
	v_xor_b32_e32 v43, 0x440, v37
	s_addc_u32 s1, s9, s1
	v_cndmask_b32_e32 v37, v43, v37, vcc
	ds_read_b64 v[42:43], v42
	v_lshlrev_b32_e32 v0, 2, v52
	global_load_dwordx4 v[52:55], v0, s[0:1]
	ds_read2st64_b64 v[58:61], v34 offset0:4 offset1:8
	ds_read2st64_b64 v[62:65], v35 offset0:4 offset1:8
	;; [unrolled: 1-line block ×4, first 2 shown]
	v_or_b32_e32 v37, v37, v56
	v_xor_b32_e32 v95, v37, v45
	v_lshlrev_b32_e32 v1, 6, v1
	v_lshlrev_b32_e32 v37, 2, v50
	v_or3_b32 v1, v1, v37, s4
	s_waitcnt lgkmcnt(3)
	v_mfma_f32_16x16x16_bf16 a[0:3], v[74:75], v[58:59], a[0:3]
	v_mov_b32_e32 v0, 0x3fb8aa3b
	v_mul_f32_e32 v0, s16, v0
	v_exp_f32_e32 v0, v0
	s_waitcnt lgkmcnt(2)
	v_mfma_f32_16x16x16_bf16 a[4:7], v[74:75], v[62:63], a[4:7]
	s_waitcnt lgkmcnt(1)
	v_mfma_f32_16x16x16_bf16 a[8:11], v[74:75], v[66:67], a[8:11]
	;; [unrolled: 2-line block ×3, first 2 shown]
	global_load_dwordx4 v[74:77], v1, s[0:1]
	v_add3_u32 v1, v57, v95, v79
	ds_read_b64 v[50:51], v1
	ds_read_b64 v[56:57], v34 offset:6144
	ds_read_b64 v[88:89], v35 offset:6144
	;; [unrolled: 1-line block ×4, first 2 shown]
	v_mfma_f32_16x16x16_bf16 a[0:3], v[42:43], v[60:61], a[0:3]
	s_waitcnt vmcnt(1)
	v_mul_f32_e32 v1, 0x3fb8aa3b, v52
	v_exp_f32_e32 v34, v1
	v_mul_f32_e32 v1, 0x3fb8aa3b, v53
	v_exp_f32_e32 v35, v1
	;; [unrolled: 2-line block ×4, first 2 shown]
	v_pk_mul_f32 v[34:35], v[0:1], v[34:35] op_sel_hi:[0,1]
	v_mfma_f32_16x16x16_bf16 a[4:7], v[42:43], v[64:65], a[4:7]
	v_add_u32_e32 v54, v95, v79
	v_pk_mul_f32 v[36:37], v[0:1], v[36:37] op_sel_hi:[0,1]
	v_add_u32_e32 v1, v92, v79
	v_mfma_f32_16x16x16_bf16 a[8:11], v[42:43], v[68:69], a[8:11]
	v_pk_mul_f32 v[22:23], v[22:23], v[34:35]
	v_pk_mul_f32 v[24:25], v[24:25], v[36:37]
	;; [unrolled: 1-line block ×3, first 2 shown]
	v_mfma_f32_16x16x16_bf16 a[12:15], v[42:43], v[72:73], a[12:15]
	ds_read_b64 v[42:43], v1 offset:40960
	v_add_u32_e32 v1, v93, v79
	ds_read_b64 v[52:53], v1 offset:40960
	ds_read_b64 v[54:55], v54 offset:40960
	s_waitcnt lgkmcnt(6)
	v_mfma_f32_16x16x16_bf16 a[0:3], v[50:51], v[56:57], a[0:3]
	v_pk_mul_f32 v[28:29], v[36:37], v[28:29]
	v_pk_mul_f32 v[30:31], v[34:35], v[30:31]
	;; [unrolled: 1-line block ×3, first 2 shown]
	s_waitcnt lgkmcnt(3)
	v_mfma_f32_16x16x16_bf16 a[12:15], v[50:51], v[44:45], a[12:15]
	v_mfma_f32_16x16x16_bf16 a[4:7], v[50:51], v[88:89], a[4:7]
	s_nop 0
	v_accvgpr_read_b32 v1, a0
	v_add_f32_e32 v22, v22, v1
	v_accvgpr_read_b32 v1, a1
	v_mfma_f32_16x16x16_bf16 a[8:11], v[50:51], v[90:91], a[8:11]
	s_nop 0
	v_accvgpr_read_b32 v51, a15
	v_accvgpr_read_b32 v50, a14
	v_add_f32_e32 v23, v23, v1
	s_waitcnt lgkmcnt(2)
	v_mfma_f32_16x16x16_bf16 a[14:17], v[42:43], v[38:39], 0
	v_accvgpr_read_b32 v1, a2
	ds_read_b64 v[38:39], v94 offset:40960
	v_add_f32_e32 v24, v24, v1
	v_accvgpr_read_b32 v1, a3
	v_add_f32_e32 v25, v25, v1
	v_accvgpr_read_b32 v1, a4
	;; [unrolled: 2-line block ×4, first 2 shown]
	v_mfma_f32_16x16x16_bf16 a[18:21], v[42:43], v[40:41], 0
	v_add_f32_e32 v28, v28, v1
	v_accvgpr_read_b32 v1, a7
	v_add_f32_e32 v29, v29, v1
	s_waitcnt lgkmcnt(2)
	v_mfma_f32_16x16x16_bf16 a[14:17], v[52:53], v[58:59], a[14:17]
	v_accvgpr_read_b32 v1, a8
	v_add_f32_e32 v30, v30, v1
	v_accvgpr_read_b32 v1, a9
	v_add_f32_e32 v31, v31, v1
	v_accvgpr_read_b32 v1, a10
	v_accvgpr_read_b32 v41, a13
	v_mfma_f32_16x16x16_bf16 a[22:25], v[42:43], v[46:47], 0
	v_add_f32_e32 v32, v32, v1
	v_accvgpr_read_b32 v1, a11
	v_accvgpr_read_b32 v40, a12
	v_mfma_f32_16x16x16_bf16 a[0:3], v[42:43], v[48:49], 0
	v_add_f32_e32 v33, v33, v1
	v_pk_fma_f32 v[6:7], v[34:35], v[6:7], v[40:41]
	v_pk_fma_f32 v[8:9], v[36:37], v[8:9], v[50:51]
	v_mfma_f32_16x16x16_bf16 a[4:7], v[52:53], v[62:63], a[18:21]
	s_waitcnt vmcnt(0)
	v_mov_b32_e32 v34, v75
	v_mul_f32_e32 v1, 0x3fb8aa3b, v74
	v_mov_b32_e32 v35, v76
	s_waitcnt lgkmcnt(0)
	v_mfma_f32_16x16x16_bf16 a[8:11], v[38:39], v[60:61], a[14:17]
	v_exp_f32_e32 v40, v1
	v_mul_f32_e32 v1, 0x3fb8aa3b, v34
	v_mov_b32_e32 v36, v77
	v_exp_f32_e32 v41, v1
	v_mul_f32_e32 v1, 0x3fb8aa3b, v35
	v_mfma_f32_16x16x16_bf16 a[18:21], v[52:53], v[66:67], a[22:25]
	v_exp_f32_e32 v34, v1
	v_mul_f32_e32 v1, 0x3fb8aa3b, v36
	v_exp_f32_e32 v35, v1
	v_mfma_f32_16x16x16_bf16 a[0:3], v[52:53], v[70:71], a[0:3]
	v_pk_mul_f32 v[36:37], v[0:1], v[40:41] op_sel_hi:[0,1]
	v_pk_mul_f32 v[10:11], v[10:11], v[36:37]
	v_pk_mul_f32 v[0:1], v[0:1], v[34:35] op_sel_hi:[0,1]
	v_mfma_f32_16x16x16_bf16 a[4:7], v[38:39], v[64:65], a[4:7]
	v_pk_mul_f32 v[12:13], v[12:13], v[0:1]
	v_pk_mul_f32 v[14:15], v[36:37], v[14:15]
	v_pk_mul_f32 v[16:17], v[0:1], v[16:17]
	v_mfma_f32_16x16x16_bf16 a[8:11], v[54:55], v[56:57], a[8:11]
	v_pk_mul_f32 v[18:19], v[36:37], v[18:19]
	v_pk_mul_f32 v[20:21], v[0:1], v[20:21]
	v_mfma_f32_16x16x16_bf16 a[12:15], v[38:39], v[68:69], a[18:21]
	v_mfma_f32_16x16x16_bf16 a[0:3], v[38:39], v[72:73], a[0:3]
	s_nop 2
	v_accvgpr_read_b32 v38, a8
	v_add_f32_e32 v10, v10, v38
	v_accvgpr_read_b32 v38, a9
	v_mfma_f32_16x16x16_bf16 a[4:7], v[54:55], v[88:89], a[4:7]
	v_add_f32_e32 v11, v11, v38
	v_accvgpr_read_b32 v38, a10
	v_add_f32_e32 v12, v12, v38
	v_accvgpr_read_b32 v38, a11
	v_mfma_f32_16x16x16_bf16 a[12:15], v[54:55], v[90:91], a[12:15]
	v_add_f32_e32 v13, v13, v38
	s_nop 0
	v_accvgpr_read_b32 v38, a4
	v_add_f32_e32 v14, v14, v38
	v_accvgpr_read_b32 v38, a5
	v_add_f32_e32 v15, v15, v38
	;; [unrolled: 2-line block ×3, first 2 shown]
	v_accvgpr_read_b32 v38, a7
	v_mfma_f32_16x16x16_bf16 a[0:3], v[54:55], v[44:45], a[0:3]
	v_add_f32_e32 v17, v17, v38
	v_accvgpr_read_b32 v38, a12
	v_add_f32_e32 v18, v18, v38
	v_accvgpr_read_b32 v38, a13
	;; [unrolled: 2-line block ×5, first 2 shown]
	v_accvgpr_read_b32 v35, a3
	v_accvgpr_read_b32 v34, a2
	;; [unrolled: 1-line block ×3, first 2 shown]
	v_pk_fma_f32 v[2:3], v[36:37], v[2:3], v[38:39]
	v_pk_fma_f32 v[4:5], v[0:1], v[4:5], v[34:35]
.LBB209_99:
	s_add_u32 s0, s24, s26
	s_addc_u32 s1, s25, s27
	v_lshl_add_u64 v[0:1], v[80:81], 2, s[0:1]
	v_mov_b32_e32 v79, 0
	v_lshl_add_u64 v[0:1], v[0:1], 0, v[78:79]
	s_waitcnt vmcnt(7)
	global_store_dwordx4 v[0:1], v[22:25], off
	s_waitcnt vmcnt(7)
	global_store_dwordx4 v[0:1], v[10:13], off offset:256
	v_lshl_add_u64 v[0:1], v[82:83], 2, s[0:1]
	v_lshl_add_u64 v[0:1], v[0:1], 0, v[78:79]
	s_waitcnt vmcnt(7)
	global_store_dwordx4 v[0:1], v[26:29], off
	s_waitcnt vmcnt(7)
	global_store_dwordx4 v[0:1], v[14:17], off offset:256
	v_lshl_add_u64 v[0:1], v[86:87], 2, s[0:1]
	v_lshl_add_u64 v[0:1], v[0:1], 0, v[78:79]
	s_waitcnt vmcnt(7)
	global_store_dwordx4 v[0:1], v[30:33], off
	s_waitcnt vmcnt(7)
	global_store_dwordx4 v[0:1], v[18:21], off offset:256
	v_lshl_add_u64 v[0:1], v[84:85], 2, s[0:1]
	v_lshl_add_u64 v[0:1], v[0:1], 0, v[78:79]
	s_waitcnt vmcnt(7)
	global_store_dwordx4 v[0:1], v[6:9], off
	s_waitcnt vmcnt(7)
	global_store_dwordx4 v[0:1], v[2:5], off offset:256
	s_endpgm
	.section	.rodata,"a",@progbits
	.p2align	6, 0x0
	.amdhsa_kernel _ZN12_GLOBAL__N_139chunk_gated_delta_rule_fwd_h_hip_kernelILi64ELb1ELb1ELb1ELb1ELb0ELb1ELb0ELb0EEEvPK12hip_bfloat16S3_S3_PKfS5_PKvPS1_S8_PvPKiSB_iiiiilll
		.amdhsa_group_segment_fixed_size 65536
		.amdhsa_private_segment_fixed_size 0
		.amdhsa_kernarg_size 136
		.amdhsa_user_sgpr_count 2
		.amdhsa_user_sgpr_dispatch_ptr 0
		.amdhsa_user_sgpr_queue_ptr 0
		.amdhsa_user_sgpr_kernarg_segment_ptr 1
		.amdhsa_user_sgpr_dispatch_id 0
		.amdhsa_user_sgpr_kernarg_preload_length 0
		.amdhsa_user_sgpr_kernarg_preload_offset 0
		.amdhsa_user_sgpr_private_segment_size 0
		.amdhsa_uses_dynamic_stack 0
		.amdhsa_enable_private_segment 0
		.amdhsa_system_sgpr_workgroup_id_x 1
		.amdhsa_system_sgpr_workgroup_id_y 1
		.amdhsa_system_sgpr_workgroup_id_z 0
		.amdhsa_system_sgpr_workgroup_info 0
		.amdhsa_system_vgpr_workitem_id 0
		.amdhsa_next_free_vgpr 240
		.amdhsa_next_free_sgpr 69
		.amdhsa_accum_offset 200
		.amdhsa_reserve_vcc 1
		.amdhsa_float_round_mode_32 0
		.amdhsa_float_round_mode_16_64 0
		.amdhsa_float_denorm_mode_32 3
		.amdhsa_float_denorm_mode_16_64 3
		.amdhsa_dx10_clamp 1
		.amdhsa_ieee_mode 1
		.amdhsa_fp16_overflow 0
		.amdhsa_tg_split 0
		.amdhsa_exception_fp_ieee_invalid_op 0
		.amdhsa_exception_fp_denorm_src 0
		.amdhsa_exception_fp_ieee_div_zero 0
		.amdhsa_exception_fp_ieee_overflow 0
		.amdhsa_exception_fp_ieee_underflow 0
		.amdhsa_exception_fp_ieee_inexact 0
		.amdhsa_exception_int_div_zero 0
	.end_amdhsa_kernel
	.section	.text._ZN12_GLOBAL__N_139chunk_gated_delta_rule_fwd_h_hip_kernelILi64ELb1ELb1ELb1ELb1ELb0ELb1ELb0ELb0EEEvPK12hip_bfloat16S3_S3_PKfS5_PKvPS1_S8_PvPKiSB_iiiiilll,"axG",@progbits,_ZN12_GLOBAL__N_139chunk_gated_delta_rule_fwd_h_hip_kernelILi64ELb1ELb1ELb1ELb1ELb0ELb1ELb0ELb0EEEvPK12hip_bfloat16S3_S3_PKfS5_PKvPS1_S8_PvPKiSB_iiiiilll,comdat
.Lfunc_end209:
	.size	_ZN12_GLOBAL__N_139chunk_gated_delta_rule_fwd_h_hip_kernelILi64ELb1ELb1ELb1ELb1ELb0ELb1ELb0ELb0EEEvPK12hip_bfloat16S3_S3_PKfS5_PKvPS1_S8_PvPKiSB_iiiiilll, .Lfunc_end209-_ZN12_GLOBAL__N_139chunk_gated_delta_rule_fwd_h_hip_kernelILi64ELb1ELb1ELb1ELb1ELb0ELb1ELb0ELb0EEEvPK12hip_bfloat16S3_S3_PKfS5_PKvPS1_S8_PvPKiSB_iiiiilll
                                        ; -- End function
	.section	.AMDGPU.csdata,"",@progbits
; Kernel info:
; codeLenInByte = 13008
; NumSgprs: 75
; NumVgprs: 200
; NumAgprs: 40
; TotalNumVgprs: 240
; ScratchSize: 0
; MemoryBound: 0
; FloatMode: 240
; IeeeMode: 1
; LDSByteSize: 65536 bytes/workgroup (compile time only)
; SGPRBlocks: 9
; VGPRBlocks: 29
; NumSGPRsForWavesPerEU: 75
; NumVGPRsForWavesPerEU: 240
; AccumOffset: 200
; Occupancy: 1
; WaveLimiterHint : 1
; COMPUTE_PGM_RSRC2:SCRATCH_EN: 0
; COMPUTE_PGM_RSRC2:USER_SGPR: 2
; COMPUTE_PGM_RSRC2:TRAP_HANDLER: 0
; COMPUTE_PGM_RSRC2:TGID_X_EN: 1
; COMPUTE_PGM_RSRC2:TGID_Y_EN: 1
; COMPUTE_PGM_RSRC2:TGID_Z_EN: 0
; COMPUTE_PGM_RSRC2:TIDIG_COMP_CNT: 0
; COMPUTE_PGM_RSRC3_GFX90A:ACCUM_OFFSET: 49
; COMPUTE_PGM_RSRC3_GFX90A:TG_SPLIT: 0
	.section	.text._ZN12_GLOBAL__N_139chunk_gated_delta_rule_fwd_h_hip_kernelILi64ELb1ELb1ELb0ELb1ELb0ELb1ELb0ELb0EEEvPK12hip_bfloat16S3_S3_PKfS5_PKvPS1_S8_PvPKiSB_iiiiilll,"axG",@progbits,_ZN12_GLOBAL__N_139chunk_gated_delta_rule_fwd_h_hip_kernelILi64ELb1ELb1ELb0ELb1ELb0ELb1ELb0ELb0EEEvPK12hip_bfloat16S3_S3_PKfS5_PKvPS1_S8_PvPKiSB_iiiiilll,comdat
	.globl	_ZN12_GLOBAL__N_139chunk_gated_delta_rule_fwd_h_hip_kernelILi64ELb1ELb1ELb0ELb1ELb0ELb1ELb0ELb0EEEvPK12hip_bfloat16S3_S3_PKfS5_PKvPS1_S8_PvPKiSB_iiiiilll ; -- Begin function _ZN12_GLOBAL__N_139chunk_gated_delta_rule_fwd_h_hip_kernelILi64ELb1ELb1ELb0ELb1ELb0ELb1ELb0ELb0EEEvPK12hip_bfloat16S3_S3_PKfS5_PKvPS1_S8_PvPKiSB_iiiiilll
	.p2align	8
	.type	_ZN12_GLOBAL__N_139chunk_gated_delta_rule_fwd_h_hip_kernelILi64ELb1ELb1ELb0ELb1ELb0ELb1ELb0ELb0EEEvPK12hip_bfloat16S3_S3_PKfS5_PKvPS1_S8_PvPKiSB_iiiiilll,@function
_ZN12_GLOBAL__N_139chunk_gated_delta_rule_fwd_h_hip_kernelILi64ELb1ELb1ELb0ELb1ELb0ELb1ELb0ELb0EEEvPK12hip_bfloat16S3_S3_PKfS5_PKvPS1_S8_PvPKiSB_iiiiilll: ; @_ZN12_GLOBAL__N_139chunk_gated_delta_rule_fwd_h_hip_kernelILi64ELb1ELb1ELb0ELb1ELb0ELb1ELb0ELb0EEEvPK12hip_bfloat16S3_S3_PKfS5_PKvPS1_S8_PvPKiSB_iiiiilll
; %bb.0:
	s_load_dwordx4 s[16:19], s[0:1], 0x5c
	s_load_dwordx4 s[24:27], s[0:1], 0x70
	s_abs_i32 s7, s3
	s_ashr_i32 s6, s3, 31
	s_load_dwordx4 s[12:15], s[0:1], 0x40
	s_load_dwordx2 s[4:5], s[0:1], 0x50
	s_waitcnt lgkmcnt(0)
	s_abs_i32 s10, s17
	v_cvt_f32_u32_e32 v1, s10
	s_sub_i32 s8, 0, s10
	s_ashr_i32 s11, s17, 31
	s_xor_b32 s6, s6, s11
	v_rcp_iflag_f32_e32 v1, v1
	v_and_b32_e32 v97, 15, v0
	v_bfe_u32 v96, v0, 4, 2
	v_mov_b32_e32 v79, 0
	v_mul_f32_e32 v1, 0x4f7ffffe, v1
	v_cvt_u32_f32_e32 v1, v1
	v_lshlrev_b32_e32 v98, 3, v0
	v_readfirstlane_b32 s9, v1
	s_mul_i32 s8, s8, s9
	s_mul_hi_u32 s8, s9, s8
	s_add_i32 s9, s9, s8
	s_mul_hi_u32 s8, s7, s9
	s_mul_i32 s9, s8, s10
	s_sub_i32 s7, s7, s9
	s_add_i32 s20, s8, 1
	s_sub_i32 s9, s7, s10
	s_cmp_ge_u32 s7, s10
	s_cselect_b32 s8, s20, s8
	s_cselect_b32 s7, s9, s7
	s_add_i32 s9, s8, 1
	s_cmp_ge_u32 s7, s10
	s_cselect_b32 s7, s9, s8
	s_xor_b32 s7, s7, s6
	s_sub_i32 s28, s7, s6
	s_mul_i32 s36, s28, s17
	s_ashr_i32 s29, s28, 31
	s_sub_i32 s33, s3, s36
	s_lshl_b64 s[6:7], s[28:29], 2
	s_add_u32 s8, s14, s6
	s_addc_u32 s9, s15, s7
	s_add_u32 s30, s4, s6
	s_addc_u32 s31, s5, s7
	s_abs_i32 s3, s18
	v_cvt_f32_u32_e32 v1, s3
	s_load_dwordx2 s[34:35], s[8:9], 0x0
	s_sub_i32 s5, 0, s3
	s_lshl_b32 s2, s2, 6
	v_rcp_iflag_f32_e32 v1, v1
	s_load_dwordx4 s[20:23], s[0:1], 0x20
	s_load_dwordx2 s[40:41], s[0:1], 0x30
	s_waitcnt lgkmcnt(0)
	s_sub_i32 s54, s35, s34
	s_ashr_i32 s4, s54, 31
	v_mul_f32_e32 v1, 0x4f7ffffe, v1
	v_cvt_u32_f32_e32 v1, v1
	s_lshr_b32 s4, s4, 26
	s_add_i32 s4, s54, s4
	s_ashr_i32 s53, s4, 6
	v_readfirstlane_b32 s6, v1
	s_mul_i32 s5, s5, s6
	s_mul_hi_u32 s5, s6, s5
	s_add_i32 s6, s6, s5
	s_mul_hi_u32 s5, s10, s6
	s_mul_i32 s6, s5, s3
	s_ashr_i32 s4, s18, 31
	s_sub_i32 s6, s10, s6
	s_xor_b32 s4, s11, s4
	s_add_i32 s7, s5, 1
	s_sub_i32 s8, s6, s3
	s_cmp_ge_u32 s6, s3
	s_cselect_b32 s5, s7, s5
	s_cselect_b32 s6, s8, s6
	s_add_i32 s7, s5, 1
	s_cmp_ge_u32 s6, s3
	s_cselect_b32 s3, s7, s5
	s_xor_b32 s3, s3, s4
	s_sub_i32 s3, s3, s4
	s_abs_i32 s4, s3
	v_cvt_f32_u32_e32 v1, s4
	s_sub_i32 s6, 0, s4
	s_abs_i32 s5, s33
	s_xor_b32 s3, s33, s3
	v_rcp_iflag_f32_e32 v2, v1
	s_ashr_i32 s3, s3, 31
	v_lshrrev_b32_e32 v1, 6, v0
	v_or_b32_e32 v88, s2, v97
	v_mul_f32_e32 v2, 0x4f7ffffe, v2
	v_cvt_u32_f32_e32 v2, v2
	v_lshlrev_b32_e32 v77, 4, v1
	v_lshlrev_b32_e32 v80, 7, v88
	v_lshl_or_b32 v100, v96, 2, v77
	v_readfirstlane_b32 s7, v2
	s_mul_i32 s6, s6, s7
	s_mul_hi_u32 s6, s7, s6
	s_add_i32 s7, s7, s6
	s_mul_hi_u32 s6, s5, s7
	s_mul_i32 s7, s6, s4
	s_sub_i32 s5, s5, s7
	s_add_i32 s7, s6, 1
	s_sub_i32 s8, s5, s4
	s_cmp_ge_u32 s5, s4
	s_cselect_b32 s6, s7, s6
	s_cselect_b32 s5, s8, s5
	s_add_i32 s7, s6, 1
	s_cmp_ge_u32 s5, s4
	s_cselect_b32 s4, s7, s6
	s_xor_b32 s4, s4, s3
	s_sub_i32 s55, s4, s3
	s_ashr_i32 s46, s33, 31
	s_mul_hi_i32 s3, s28, s17
	s_add_u32 s4, s36, s33
	s_addc_u32 s5, s3, s46
	s_lshl_b64 s[14:15], s[4:5], 16
	s_add_u32 s4, s22, s14
	s_addc_u32 s5, s23, s15
	v_ashrrev_i32_e32 v81, 31, v80
	v_lshl_add_u64 v[2:3], v[80:81], 2, s[4:5]
	v_lshlrev_b32_e32 v78, 2, v100
	v_or_b32_e32 v82, 0x800, v80
	v_lshl_add_u64 v[2:3], v[2:3], 0, v[78:79]
	v_ashrrev_i32_e32 v83, 31, v82
	global_load_dwordx4 v[22:25], v[2:3], off
	global_load_dwordx4 v[10:13], v[2:3], off offset:256
	v_lshl_add_u64 v[2:3], v[82:83], 2, s[4:5]
	v_or_b32_e32 v86, 0x1000, v80
	v_lshl_add_u64 v[2:3], v[2:3], 0, v[78:79]
	v_ashrrev_i32_e32 v87, 31, v86
	global_load_dwordx4 v[26:29], v[2:3], off
	global_load_dwordx4 v[14:17], v[2:3], off offset:256
	v_lshl_add_u64 v[2:3], v[86:87], 2, s[4:5]
	;; [unrolled: 6-line block ×3, first 2 shown]
	v_lshl_add_u64 v[34:35], v[2:3], 0, v[78:79]
	global_load_dwordx4 v[6:9], v[34:35], off
	global_load_dwordx4 v[2:5], v[34:35], off offset:256
	s_load_dwordx8 s[4:11], s[0:1], 0x0
	s_load_dwordx2 s[22:23], s[0:1], 0x80
	s_load_dword s56, s[30:31], 0x0
	v_and_b32_e32 v79, 63, v0
	v_or_b32_e32 v101, 64, v100
	s_cmp_lt_i32 s54, 64
	s_mul_hi_i32 s57, s33, s16
	s_mul_i32 s58, s33, s16
	v_lshrrev_b32_e32 v99, 3, v79
	s_mul_i32 s47, s28, s25
	s_mul_hi_u32 s49, s28, s24
	s_mul_i32 s48, s29, s24
	s_mul_i32 s38, s28, s24
	;; [unrolled: 1-line block ×3, first 2 shown]
	s_mul_hi_u32 s51, s33, s26
	s_mul_i32 s52, s46, s26
	s_mul_i32 s36, s33, s26
	s_cbranch_scc1 .LBB210_18
; %bb.1:
	s_ashr_i32 s1, s34, 31
	s_add_u32 s0, s58, s34
	s_addc_u32 s1, s57, s1
	s_lshl_b64 s[0:1], s[0:1], 8
	v_and_b32_e32 v103, 56, v98
	s_waitcnt lgkmcnt(0)
	s_add_u32 s24, s6, s0
	v_lshl_or_b32 v102, v1, 3, v99
	v_lshlrev_b32_e32 v34, 1, v103
	s_addc_u32 s0, s7, s1
	v_lshl_or_b32 v104, v102, 8, v34
	s_and_b32 s25, s0, 0xffff
	s_mov_b32 s27, 0x20000
	s_movk_i32 s26, 0x4000
	s_movk_i32 s0, 0x80
	v_or_b32_e32 v105, 0x2000, v104
	buffer_load_dwordx4 v[36:39], v104, s[24:27], 0 offen
	buffer_load_dwordx4 v[40:43], v104, s[24:27], s0 offen
	;; [unrolled: 1-line block ×4, first 2 shown]
	v_lshlrev_b32_e32 v35, 3, v102
	v_and_or_b32 v53, v0, 7, v35
	v_and_b32_e32 v35, 0x78, v35
	v_lshlrev_b32_e32 v53, 4, v53
	v_xor_b32_e32 v106, v53, v35
	v_mul_lo_u32 v52, v102, s19
	v_or_b32_e32 v107, 0x1000, v106
	v_xor_b32_e32 v35, 8, v106
	s_cmpk_eq_i32 s19, 0x80
	s_mov_b32 s59, s34
	v_xor_b32_e32 v53, 8, v107
	s_cselect_b64 s[0:1], -1, 0
	s_cmpk_lg_i32 s19, 0x80
	s_waitcnt vmcnt(3)
	ds_write_b64 v106, v[36:37] offset:49152
	ds_write_b64 v35, v[38:39] offset:49152
	s_waitcnt vmcnt(2)
	ds_write_b64 v106, v[40:41] offset:57344
	ds_write_b64 v35, v[42:43] offset:57344
	;; [unrolled: 3-line block ×4, first 2 shown]
	v_lshl_add_u32 v35, v52, 1, v103
	s_cbranch_scc0 .LBB210_3
; %bb.2:
	v_lshlrev_b32_e32 v37, 1, v35
	v_add_lshl_u32 v36, v35, s19, 1
	s_lshl_b32 s26, s19, 7
	v_lshl_or_b32 v34, v102, 9, v34
	s_cbranch_execz .LBB210_4
	s_branch .LBB210_5
.LBB210_3:
                                        ; implicit-def: $vgpr36
                                        ; implicit-def: $vgpr37
                                        ; implicit-def: $sgpr26
	v_lshl_or_b32 v34, v102, 9, v34
.LBB210_4:
	v_or_b32_e32 v36, 0x100, v34
	s_movk_i32 s26, 0x4000
	v_mov_b32_e32 v37, v34
.LBB210_5:
	s_mul_i32 s24, s34, s18
	s_ashr_i32 s60, s55, 31
	s_mul_hi_i32 s3, s34, s18
	s_add_u32 s24, s24, s55
	s_addc_u32 s25, s3, s60
	s_lshl_b64 s[24:25], s[24:25], 8
	s_add_u32 s24, s4, s24
	s_addc_u32 s3, s5, s25
	s_and_b32 s25, s3, 0xffff
	s_movk_i32 s61, 0x80
	buffer_load_dwordx4 v[38:41], v37, s[24:27], 0 offen
	buffer_load_dwordx4 v[42:45], v37, s[24:27], s61 offen
	buffer_load_dwordx4 v[46:49], v36, s[24:27], 0 offen
	buffer_load_dwordx4 v[50:53], v36, s[24:27], s61 offen
	v_and_b32_e32 v37, 6, v0
	v_lshlrev_b32_e32 v36, 7, v100
	v_xor_b32_e32 v59, v102, v37
	v_and_b32_e32 v54, 1, v0
	v_lshl_or_b32 v62, v97, 3, v36
	v_lshlrev_b32_e32 v59, 2, v59
	v_lshlrev_b32_e32 v55, 2, v97
	v_or_b32_e32 v108, 0x4000, v62
	v_or_b32_e32 v109, 0x6000, v62
	v_xor_b32_e32 v62, 0x440, v59
	v_cmp_eq_u32_e32 vcc, 0, v54
	v_or_b32_e32 v57, 16, v97
	v_or_b32_e32 v58, 32, v97
	v_xor_b32_e32 v60, v100, v55
	v_xor_b32_e32 v61, v101, v55
	v_cndmask_b32_e32 v54, v62, v59, vcc
	s_mov_b32 s62, 0x1000504
	v_lshl_or_b32 v63, v57, 3, v36
	v_lshlrev_b32_e32 v57, 8, v57
	v_lshl_or_b32 v64, v58, 3, v36
	v_lshlrev_b32_e32 v60, 1, v60
	v_lshlrev_b32_e32 v61, 1, v61
	v_lshl_or_b32 v37, v37, 10, v54
	s_add_i32 s3, s49, s47
	s_mov_b32 s63, 0x3020706
	v_lshlrev_b32_e32 v56, 8, v97
	v_or_b32_e32 v112, 0x4000, v64
	v_or_b32_e32 v113, 0x6000, v64
	;; [unrolled: 1-line block ×4, first 2 shown]
	v_xor_b32_e32 v54, 8, v37
	v_xor_b32_e32 v57, 24, v37
	;; [unrolled: 1-line block ×4, first 2 shown]
	s_add_i32 s39, s3, s48
	s_add_i32 s3, s51, s50
	v_or_b32_e32 v110, 0x4000, v63
	v_or_b32_e32 v111, 0x6000, v63
	;; [unrolled: 1-line block ×4, first 2 shown]
	v_xor_b32_e32 v56, 16, v37
	v_xor_b32_e32 v59, 32, v37
	;; [unrolled: 1-line block ×3, first 2 shown]
	v_add_u32_e32 v54, 0x80, v54
	v_add_u32_e32 v57, 0x80, v57
	;; [unrolled: 1-line block ×4, first 2 shown]
	s_add_i32 s37, s3, s52
	s_lshl_b64 s[24:25], s[38:39], 2
	s_add_u32 s3, s10, s24
	s_addc_u32 s28, s11, s25
	s_lshl_b64 s[24:25], s[36:37], 2
	s_add_u32 s42, s3, s24
	s_movk_i32 s3, 0xf8
	s_addc_u32 s43, s28, s25
	s_lshl_b32 s30, s19, 7
	s_movk_i32 s28, 0x100
	v_mov_b32_e32 v91, 0
	v_lshlrev_b32_e32 v90, 4, v97
	v_lshlrev_b32_e32 v58, 8, v58
	v_ashrrev_i32_e32 v89, 31, v88
	s_mov_b32 s64, 0
	s_movk_i32 s26, 0x4000
	v_or_b32_e32 v118, v58, v60
	v_or_b32_e32 v119, v58, v61
	v_lshl_add_u64 v[92:93], v[88:89], 1, s[8:9]
	s_movk_i32 s37, 0x2000
	s_movk_i32 s39, 0x3000
	v_mov_b32_e32 v153, 0x3fb8aa3b
	s_waitcnt vmcnt(1)
	v_perm_b32 v65, v38, v46, s62
	s_waitcnt vmcnt(0)
	v_perm_b32 v66, v42, v50, s62
	v_perm_b32 v38, v38, v46, s63
	;; [unrolled: 1-line block ×15, first 2 shown]
	ds_write2st64_b32 v37, v65, v66 offset0:128 offset1:160
	ds_write2st64_b32 v54, v38, v42 offset0:128 offset1:160
	ds_write2st64_b32 v56, v46, v50 offset0:129 offset1:161
	ds_write2st64_b32 v57, v39, v43 offset0:129 offset1:161
	ds_write2st64_b32 v59, v47, v51 offset0:130 offset1:162
	ds_write2st64_b32 v62, v40, v44 offset0:130 offset1:162
	ds_write2st64_b32 v63, v48, v52 offset0:131 offset1:163
	ds_write2st64_b32 v64, v41, v45 offset0:131 offset1:163
	v_or_b32_e32 v37, 48, v97
	v_lshl_or_b32 v38, v37, 3, v36
	v_lshlrev_b32_e32 v37, 8, v37
	v_or_b32_e32 v122, v37, v60
	v_or_b32_e32 v123, v37, v61
	;; [unrolled: 1-line block ×3, first 2 shown]
	v_lshlrev_b32_e32 v37, 3, v37
	v_lshrrev_b32_e32 v39, 5, v79
	v_and_or_b32 v39, v37, s3, v39
	v_lshlrev_b32_e32 v39, 4, v39
	v_or_b32_e32 v120, 0x4000, v38
	v_or_b32_e32 v121, 0x6000, v38
	v_lshrrev_b32_e32 v38, 2, v79
	v_lshlrev_b32_e32 v41, 11, v1
	v_and_b32_e32 v37, 0x78, v37
	v_or_b32_e32 v45, 32, v39
	v_and_b32_e32 v40, 12, v38
	v_and_b32_e32 v38, 0x1000, v41
	v_lshrrev_b32_e32 v43, 1, v79
	v_xor_b32_e32 v45, v45, v37
	v_xor_b32_e32 v42, v39, v37
	v_and_b32_e32 v43, 8, v43
	v_or_b32_e32 v45, v45, v38
	v_or_b32_e32 v42, v42, v38
	v_xor_b32_e32 v126, v45, v43
	v_or_b32_e32 v45, 64, v39
	v_or_b32_e32 v39, 0x60, v39
	v_xor_b32_e32 v124, v42, v43
	v_lshlrev_b32_e32 v42, 8, v96
	v_xor_b32_e32 v45, v45, v37
	v_xor_b32_e32 v37, v39, v37
	s_ashr_i32 s3, s2, 31
	v_or_b32_e32 v44, v42, v55
	v_or_b32_e32 v45, v45, v38
	;; [unrolled: 1-line block ×3, first 2 shown]
	s_lshl_b64 s[24:25], s[2:3], 8
	v_lshlrev_b32_e32 v47, 2, v0
	v_lshlrev_b32_e32 v44, 1, v44
	v_xor_b32_e32 v130, v45, v43
	v_xor_b32_e32 v131, v37, v43
	v_lshlrev_b32_e32 v37, 1, v35
	v_add_lshl_u32 v35, v35, s19, 1
	v_or_b32_e32 v43, 0x100, v34
	s_add_u32 s24, s40, s24
	v_lshlrev_b32_e32 v38, 1, v97
	v_lshrrev_b32_e32 v48, 1, v0
	v_and_or_b32 v42, v47, 60, v42
	v_or_b32_e32 v125, 0x4000, v44
	v_or_b32_e32 v127, 0x4080, v44
	;; [unrolled: 1-line block ×8, first 2 shown]
	v_lshrrev_b32_e32 v44, 4, v0
	s_addc_u32 s25, s41, s25
	v_or_b32_e32 v39, 1, v38
	v_and_b32_e32 v48, 24, v48
	v_lshlrev_b32_e32 v42, 1, v42
	v_cndmask_b32_e64 v142, v37, v34, s[0:1]
	v_cndmask_b32_e64 v143, v35, v43, s[0:1]
	v_mov_b32_e32 v35, 0xa000
	v_mov_b32_e32 v37, 0x8000
	v_cmp_gt_u32_e64 s[0:1], s28, v0
	v_xor_b32_e32 v45, v44, v38
	v_xor_b32_e32 v46, v39, v44
	v_lshl_add_u64 v[38:39], s[24:25], 0, v[90:91]
	v_lshlrev_b32_e32 v90, 8, v44
	v_or_b32_e32 v138, 0x6000, v42
	v_or_b32_e32 v47, 32, v48
	v_or_b32_e32 v139, 0x6080, v42
	v_or_b32_e32 v140, 0x6100, v42
	v_or_b32_e32 v141, 0x6180, v42
	v_or_b32_e32 v42, 0x60, v48
	v_cndmask_b32_e64 v35, v35, v37, s[0:1]
	v_lshlrev_b32_e32 v37, 3, v1
	v_lshl_or_b32 v136, v45, 3, v90
	v_and_b32_e32 v45, 8, v0
	v_xor_b32_e32 v43, v37, v48
	v_xor_b32_e32 v47, v37, v47
	v_xor_b32_e32 v37, v37, v42
	v_mov_b32_e32 v49, 0x400
	v_cmp_eq_u32_e32 vcc, 0, v45
	v_or_b32_e32 v48, 0x440, v43
	v_or_b32_e32 v50, 0x440, v47
	v_xor_b32_e32 v42, 0x440, v37
	v_and_b32_e32 v44, 7, v0
	v_cndmask_b32_e64 v45, v49, 64, vcc
	v_cndmask_b32_e32 v48, v48, v43, vcc
	v_cndmask_b32_e32 v47, v50, v47, vcc
	;; [unrolled: 1-line block ×3, first 2 shown]
	v_lshl_or_b32 v137, v46, 3, v90
	v_lshlrev_b32_e32 v46, 3, v44
	v_or_b32_e32 v48, v48, v41
	v_or_b32_e32 v47, v47, v41
	v_or3_b32 v43, v41, v45, v43
	v_or_b32_e32 v37, v37, v41
	v_lshlrev_b32_e32 v44, 7, v44
	v_xor_b32_e32 v48, v48, v46
	v_xor_b32_e32 v47, v47, v46
	;; [unrolled: 1-line block ×4, first 2 shown]
	v_or_b32_e32 v34, v77, v40
	v_add_u32_e32 v49, v35, v48
	v_add_u32_e32 v50, v35, v47
	v_or_b32_e32 v144, v43, v44
	v_add_u32_e32 v41, v35, v37
	v_or3_b32 v40, v77, v40, 64
	v_add_u32_e32 v42, 0xa000, v48
	v_add_u32_e32 v43, 0xa000, v47
	;; [unrolled: 1-line block ×3, first 2 shown]
	v_lshl_add_u64 v[94:95], v[38:39], 0, v[90:91]
	s_mov_b32 s3, 0x7060302
	v_lshlrev_b32_e32 v90, 1, v36
	v_lshlrev_b32_e32 v89, 2, v34
	v_add_u32_e32 v145, v49, v44
	v_add_u32_e32 v146, v50, v44
	;; [unrolled: 1-line block ×4, first 2 shown]
	v_lshlrev_b32_e32 v149, 2, v40
	v_add_u32_e32 v150, v42, v44
	v_add_u32_e32 v151, v43, v44
	;; [unrolled: 1-line block ×3, first 2 shown]
	s_waitcnt lgkmcnt(0)
	s_barrier
.LBB210_6:                              ; =>This Inner Loop Header: Depth=1
	s_add_i32 s65, s64, 1
	s_cmp_lt_i32 s65, s53
	s_mov_b64 s[28:29], 0
	s_cselect_b64 s[44:45], -1, 0
	s_cmp_ge_i32 s65, s53
	s_mov_b64 s[24:25], 0
	s_cbranch_scc1 .LBB210_8
; %bb.7:                                ;   in Loop: Header=BB210_6 Depth=1
	s_add_i32 s0, s59, 64
	s_ashr_i32 s1, s0, 31
	s_add_u32 s0, s58, s0
	s_addc_u32 s1, s57, s1
	s_lshl_b64 s[0:1], s[0:1], 8
	s_add_u32 s24, s6, s0
	s_addc_u32 s25, s7, s1
.LBB210_8:                              ;   in Loop: Header=BB210_6 Depth=1
	v_cndmask_b32_e64 v34, 0, 1, s[44:45]
	v_cmp_ne_u32_e64 s[0:1], 1, v34
	s_andn2_b64 vcc, exec, s[44:45]
	s_cbranch_vccnz .LBB210_10
; %bb.9:                                ;   in Loop: Header=BB210_6 Depth=1
	s_add_i32 s28, s59, 64
	s_mul_hi_i32 s29, s28, s18
	s_mul_i32 s28, s28, s18
	s_add_u32 s28, s28, s55
	s_addc_u32 s29, s29, s60
	s_lshl_b64 s[28:29], s[28:29], 8
	s_add_u32 s28, s4, s28
	s_addc_u32 s29, s5, s29
.LBB210_10:                             ;   in Loop: Header=BB210_6 Depth=1
	v_perm_b32 v35, v25, v24, s3
	v_perm_b32 v34, v23, v22, s3
	v_perm_b32 v37, v13, v12, s3
	v_perm_b32 v36, v11, v10, s3
	ds_write_b64 v108, v[34:35]
	ds_write_b64 v109, v[36:37]
	ds_write_b64 v114, v[34:35]
	ds_write_b64 v115, v[36:37]
	v_perm_b32 v35, v29, v28, s3
	v_perm_b32 v34, v27, v26, s3
	v_perm_b32 v37, v17, v16, s3
	v_perm_b32 v36, v15, v14, s3
	ds_write_b64 v110, v[34:35]
	ds_write_b64 v111, v[36:37]
	ds_write_b64 v116, v[34:35]
	ds_write_b64 v117, v[36:37]
	;; [unrolled: 8-line block ×4, first 2 shown]
	s_waitcnt lgkmcnt(0)
	s_barrier
	ds_read_b64 v[38:39], v124 offset:49152
	ds_read2_b64 v[34:37], v125 offset1:16
	ds_read_b64 v[50:51], v127 offset:6144
	ds_read_b64 v[52:53], v125 offset:6144
	s_waitcnt lgkmcnt(2)
	v_mfma_f32_16x16x16_bf16 a[0:3], v[38:39], v[34:35], 0
	ds_read_b64 v[54:55], v126 offset:49152
	ds_read2st64_b64 v[42:45], v128 offset0:4 offset1:8
	ds_read2st64_b64 v[46:49], v129 offset0:4 offset1:8
	v_mfma_f32_16x16x16_bf16 a[4:7], v[38:39], v[36:37], 0
	ds_read2_b64 v[34:37], v125 offset0:32 offset1:48
	s_add_i32 s66, s59, 63
	s_ashr_i32 s31, s66, 31
	s_waitcnt lgkmcnt(0)
	v_mfma_f32_16x16x16_bf16 a[8:11], v[38:39], v[34:35], 0
	s_mul_i32 s44, s66, s23
	s_mul_hi_u32 s45, s66, s22
	s_add_i32 s44, s45, s44
	v_mfma_f32_16x16x16_bf16 a[12:15], v[38:39], v[36:37], 0
	ds_read2st64_b64 v[34:37], v125 offset0:4 offset1:8
	ds_read2st64_b64 v[38:41], v127 offset0:4 offset1:8
	s_mul_i32 s31, s31, s22
	s_waitcnt lgkmcnt(1)
	v_mfma_f32_16x16x16_bf16 a[0:3], v[54:55], v[34:35], a[0:3]
	s_add_i32 s45, s44, s31
	s_mul_i32 s44, s66, s22
	s_lshl_b64 s[44:45], s[44:45], 2
	s_waitcnt lgkmcnt(0)
	v_mfma_f32_16x16x16_bf16 a[4:7], v[54:55], v[38:39], a[4:7]
	s_add_u32 s44, s42, s44
	s_addc_u32 s45, s43, s45
	s_and_b64 vcc, exec, s[0:1]
	v_mfma_f32_16x16x16_bf16 a[8:11], v[54:55], v[42:43], a[8:11]
	ds_read_b64 v[34:35], v130 offset:49152
	ds_read_b64 v[38:39], v131 offset:49152
	;; [unrolled: 1-line block ×3, first 2 shown]
	v_mov_b32_e32 v156, 0
	v_mov_b32_e32 v155, 0
	v_mfma_f32_16x16x16_bf16 a[12:15], v[54:55], v[46:47], a[12:15]
	v_mov_b32_e32 v154, 0
	v_mov_b32_e32 v46, 0
	;; [unrolled: 1-line block ×3, first 2 shown]
	s_waitcnt lgkmcnt(2)
	v_mfma_f32_16x16x16_bf16 a[0:3], v[34:35], v[36:37], a[0:3]
	v_mov_b32_e32 v36, 0
	v_mov_b32_e32 v37, 0
	v_mfma_f32_16x16x16_bf16 a[16:19], v[34:35], v[40:41], a[4:7]
	v_mov_b32_e32 v40, 0
	v_mov_b32_e32 v41, 0
	;; [unrolled: 3-line block ×3, first 2 shown]
	v_mfma_f32_16x16x16_bf16 a[24:27], v[34:35], v[48:49], a[12:15]
	ds_read_b64 v[34:35], v128 offset:6144
	v_mov_b32_e32 v48, 0
	v_mov_b32_e32 v49, 0
	s_waitcnt lgkmcnt(2)
	v_mfma_f32_16x16x16_bf16 a[4:7], v[38:39], v[52:53], a[0:3]
	v_mfma_f32_16x16x16_bf16 a[8:11], v[38:39], v[50:51], a[16:19]
	s_waitcnt lgkmcnt(0)
	v_mfma_f32_16x16x16_bf16 a[12:15], v[38:39], v[34:35], a[20:23]
	v_mov_b32_e32 v34, 0
	v_mov_b32_e32 v35, 0
	v_mfma_f32_16x16x16_bf16 a[0:3], v[38:39], v[42:43], a[24:27]
	v_mov_b32_e32 v38, 0
	v_mov_b32_e32 v39, 0
	;; [unrolled: 1-line block ×4, first 2 shown]
	s_cbranch_vccnz .LBB210_12
; %bb.11:                               ;   in Loop: Header=BB210_6 Depth=1
	s_and_b32 s25, s25, 0xffff
	buffer_load_dwordx4 v[46:49], v104, s[24:27], 0 offen
	buffer_load_dwordx4 v[42:45], v104, s[24:27], s61 offen
	;; [unrolled: 1-line block ×4, first 2 shown]
	v_mov_b32_e32 v155, v106
	v_mov_b32_e32 v154, v107
.LBB210_12:                             ;   in Loop: Header=BB210_6 Depth=1
	ds_read_b64 v[66:67], v124 offset:57344
	ds_read2_b64 v[50:53], v132 offset1:16
	ds_read_b64 v[68:69], v126 offset:57344
	ds_read_b64 v[70:71], v130 offset:57344
	ds_read_b64 v[72:73], v131 offset:57344
	v_add_u32_e32 v74, s59, v100
	s_waitcnt lgkmcnt(3)
	v_mfma_f32_16x16x16_bf16 a[4:7], v[66:67], v[50:51], a[4:7]
	v_mfma_f32_16x16x16_bf16 a[8:11], v[66:67], v[52:53], a[8:11]
	ds_read2_b64 v[50:53], v132 offset0:32 offset1:48
	ds_read2st64_b64 v[54:57], v132 offset0:4 offset1:8
	ds_read2st64_b64 v[58:61], v133 offset0:4 offset1:8
	;; [unrolled: 1-line block ×3, first 2 shown]
	s_waitcnt lgkmcnt(3)
	v_mfma_f32_16x16x16_bf16 a[12:15], v[66:67], v[50:51], a[12:15]
	v_ashrrev_i32_e32 v50, 31, v74
	v_mfma_f32_16x16x16_bf16 a[0:3], v[66:67], v[52:53], a[0:3]
	v_mul_lo_u32 v52, v50, s22
	v_mul_lo_u32 v53, v74, s23
	v_mad_u64_u32 v[50:51], s[24:25], v74, s22, 0
	v_add3_u32 v51, v51, v53, v52
	v_add_u32_e32 v52, 1, v74
	v_ashrrev_i32_e32 v53, 31, v52
	s_waitcnt lgkmcnt(2)
	v_mfma_f32_16x16x16_bf16 a[4:7], v[68:69], v[54:55], a[4:7]
	v_mul_lo_u32 v54, v53, s22
	v_mul_lo_u32 v55, v52, s23
	v_mad_u64_u32 v[52:53], s[24:25], v52, s22, 0
	v_add3_u32 v53, v53, v55, v54
	v_add_u32_e32 v54, 2, v74
	v_ashrrev_i32_e32 v55, 31, v54
	s_waitcnt lgkmcnt(1)
	v_mfma_f32_16x16x16_bf16 a[8:11], v[68:69], v[58:59], a[8:11]
	v_mul_lo_u32 v58, v55, s22
	v_mul_lo_u32 v59, v54, s23
	v_mad_u64_u32 v[54:55], s[24:25], v54, s22, 0
	v_add3_u32 v55, v55, v59, v58
	v_add_u32_e32 v58, 3, v74
	v_ashrrev_i32_e32 v59, 31, v58
	v_mul_lo_u32 v66, v59, s22
	v_mul_lo_u32 v67, v58, s23
	v_mad_u64_u32 v[58:59], s[24:25], v58, s22, 0
	s_ashr_i32 s25, s59, 31
	s_add_u32 s24, s58, s59
	v_lshl_add_u64 v[50:51], v[50:51], 2, s[42:43]
	v_add3_u32 v59, v59, v67, v66
	s_addc_u32 s25, s57, s25
	v_lshl_add_u64 v[52:53], v[52:53], 2, s[42:43]
	global_load_dword v74, v[50:51], off
	v_lshl_add_u64 v[50:51], v[58:59], 2, s[42:43]
	s_lshl_b64 s[24:25], s[24:25], 8
	v_lshl_add_u64 v[54:55], v[54:55], 2, s[42:43]
	global_load_dword v66, v[52:53], off
	global_load_dword v67, v[54:55], off
	;; [unrolled: 1-line block ×3, first 2 shown]
	v_lshl_add_u64 v[50:51], v[92:93], 0, s[24:25]
	v_lshl_add_u64 v[54:55], v[50:51], 0, v[90:91]
	global_load_ushort v76, v[54:55], off offset:256
	global_load_ushort v157, v[54:55], off
	ds_read2st64_b64 v[50:53], v135 offset0:4 offset1:8
	global_load_ushort v158, v[54:55], off offset:768
	global_load_ushort v159, v[54:55], off offset:512
	s_waitcnt lgkmcnt(1)
	v_mfma_f32_16x16x16_bf16 a[12:15], v[68:69], v[62:63], a[12:15]
	s_and_b64 vcc, exec, s[0:1]
	s_waitcnt vmcnt(3)
	v_lshlrev_b32_e32 v63, 16, v76
	s_waitcnt lgkmcnt(0)
	v_mfma_f32_16x16x16_bf16 a[0:3], v[68:69], v[50:51], a[0:3]
	global_load_ushort v68, v[54:55], off offset:288
	global_load_ushort v69, v[54:55], off offset:32
	;; [unrolled: 1-line block ×8, first 2 shown]
	v_mfma_f32_16x16x16_bf16 a[4:7], v[70:71], v[56:57], a[4:7]
	ds_read_b64 v[50:51], v132 offset:6144
	s_waitcnt vmcnt(10)
	v_lshlrev_b32_e32 v62, 16, v157
	v_mov_b32_e32 v157, 0
	v_mfma_f32_16x16x16_bf16 a[8:11], v[70:71], v[60:61], a[8:11]
	v_mfma_f32_16x16x16_bf16 a[12:15], v[70:71], v[64:65], a[12:15]
	;; [unrolled: 1-line block ×3, first 2 shown]
	global_load_ushort v70, v[54:55], off offset:352
	global_load_ushort v71, v[54:55], off offset:96
	ds_read_b64 v[52:53], v133 offset:6144
	ds_read_b64 v[56:57], v134 offset:6144
	;; [unrolled: 1-line block ×3, first 2 shown]
	global_load_ushort v166, v[54:55], off offset:864
	global_load_ushort v167, v[54:55], off offset:608
	s_load_dword s24, s[44:45], 0x0
	s_waitcnt lgkmcnt(0)
	v_mfma_f32_16x16x16_bf16 a[4:7], v[72:73], v[50:51], a[4:7]
	v_sub_f32_e32 v60, s24, v67
	v_mfma_f32_16x16x16_bf16 a[0:3], v[72:73], v[58:59], a[0:3]
	v_sub_f32_e32 v58, s24, v74
	v_sub_f32_e32 v59, s24, v66
	;; [unrolled: 1-line block ×3, first 2 shown]
	v_mul_f32_e32 v58, 0x3fb8aa3b, v58
	v_mul_f32_e32 v59, 0x3fb8aa3b, v59
	;; [unrolled: 1-line block ×4, first 2 shown]
	v_mfma_f32_16x16x16_bf16 a[8:11], v[72:73], v[52:53], a[8:11]
	v_exp_f32_e32 v58, v58
	v_exp_f32_e32 v59, v59
	;; [unrolled: 1-line block ×4, first 2 shown]
	v_accvgpr_read_b32 v65, a5
	v_accvgpr_read_b32 v64, a4
	;; [unrolled: 1-line block ×4, first 2 shown]
	v_pk_add_f32 v[62:63], v[62:63], v[64:65] neg_lo:[0,1] neg_hi:[0,1]
	s_waitcnt vmcnt(13)
	v_lshlrev_b32_e32 v65, 16, v158
	s_waitcnt vmcnt(12)
	v_lshlrev_b32_e32 v64, 16, v159
	v_pk_add_f32 v[50:51], v[64:65], v[50:51] neg_lo:[0,1] neg_hi:[0,1]
	v_pk_mul_f32 v[62:63], v[58:59], v[62:63]
	v_pk_mul_f32 v[50:51], v[60:61], v[50:51]
	v_accvgpr_read_b32 v65, a9
	v_perm_b32 v51, v51, v50, s3
	v_perm_b32 v50, v63, v62, s3
	v_accvgpr_read_b32 v64, a8
	v_accvgpr_read_b32 v53, a11
	v_mfma_f32_16x16x16_bf16 a[12:15], v[72:73], v[56:57], a[12:15]
	v_accvgpr_read_b32 v52, a10
	v_accvgpr_read_b32 v57, a3
	;; [unrolled: 1-line block ×3, first 2 shown]
	s_waitcnt vmcnt(11)
	v_lshlrev_b32_e32 v63, 16, v68
	s_waitcnt vmcnt(10)
	v_lshlrev_b32_e32 v62, 16, v69
	v_pk_add_f32 v[62:63], v[62:63], v[64:65] neg_lo:[0,1] neg_hi:[0,1]
	s_waitcnt vmcnt(9)
	v_lshlrev_b32_e32 v65, 16, v160
	s_waitcnt vmcnt(8)
	v_lshlrev_b32_e32 v64, 16, v161
	v_pk_add_f32 v[52:53], v[64:65], v[52:53] neg_lo:[0,1] neg_hi:[0,1]
	v_pk_mul_f32 v[62:63], v[58:59], v[62:63]
	v_pk_mul_f32 v[52:53], v[60:61], v[52:53]
	v_accvgpr_read_b32 v55, a15
	v_perm_b32 v53, v53, v52, s3
	v_perm_b32 v52, v63, v62, s3
	ds_write2_b64 v109, v[50:51], v[52:53] offset1:16
	v_accvgpr_read_b32 v53, a13
	s_waitcnt vmcnt(7)
	v_lshlrev_b32_e32 v51, 16, v162
	s_waitcnt vmcnt(6)
	v_lshlrev_b32_e32 v50, 16, v163
	v_accvgpr_read_b32 v52, a12
	v_accvgpr_read_b32 v54, a14
	v_pk_add_f32 v[50:51], v[50:51], v[52:53] neg_lo:[0,1] neg_hi:[0,1]
	s_waitcnt vmcnt(5)
	v_lshlrev_b32_e32 v53, 16, v164
	s_waitcnt vmcnt(4)
	v_lshlrev_b32_e32 v52, 16, v165
	v_pk_add_f32 v[52:53], v[52:53], v[54:55] neg_lo:[0,1] neg_hi:[0,1]
	v_pk_mul_f32 v[50:51], v[58:59], v[50:51]
	v_pk_mul_f32 v[52:53], v[60:61], v[52:53]
	v_accvgpr_read_b32 v55, a1
	v_perm_b32 v53, v53, v52, s3
	v_perm_b32 v52, v51, v50, s3
	s_waitcnt vmcnt(3)
	v_lshlrev_b32_e32 v51, 16, v70
	s_waitcnt vmcnt(2)
	v_lshlrev_b32_e32 v50, 16, v71
	v_accvgpr_read_b32 v54, a0
	v_pk_add_f32 v[50:51], v[50:51], v[54:55] neg_lo:[0,1] neg_hi:[0,1]
	s_waitcnt vmcnt(1)
	v_lshlrev_b32_e32 v55, 16, v166
	s_waitcnt vmcnt(0)
	v_lshlrev_b32_e32 v54, 16, v167
	v_pk_add_f32 v[54:55], v[54:55], v[56:57] neg_lo:[0,1] neg_hi:[0,1]
	v_pk_mul_f32 v[50:51], v[58:59], v[50:51]
	v_pk_mul_f32 v[54:55], v[60:61], v[54:55]
	v_mov_b32_e32 v56, 0
	v_perm_b32 v55, v55, v54, s3
	v_perm_b32 v54, v51, v50, s3
	ds_write2_b64 v109, v[52:53], v[54:55] offset0:32 offset1:48
	v_mov_b32_e32 v50, 0
	v_mov_b32_e32 v51, 0
	;; [unrolled: 1-line block ×15, first 2 shown]
	s_cbranch_vccnz .LBB210_14
; %bb.13:                               ;   in Loop: Header=BB210_6 Depth=1
	s_and_b32 s29, s29, 0xffff
	s_mov_b32 s31, s27
	buffer_load_dwordx4 v[62:65], v142, s[28:31], 0 offen
	buffer_load_dwordx4 v[54:57], v142, s[28:31], s61 offen
	;; [unrolled: 1-line block ×4, first 2 shown]
	v_mov_b32_e32 v156, v103
	v_mov_b32_e32 v157, v102
.LBB210_14:                             ;   in Loop: Header=BB210_6 Depth=1
	s_waitcnt lgkmcnt(0)
	s_barrier
	ds_read_b64 v[74:75], v145
	ds_read2_b64 v[66:69], v138 offset1:16
	ds_read_b64 v[174:175], v146
	ds_read_b64 v[176:177], v147
	;; [unrolled: 1-line block ×3, first 2 shown]
	ds_read2_b64 v[70:73], v138 offset0:32 offset1:48
	ds_read2st64_b64 v[158:161], v138 offset0:4 offset1:8
	ds_read2st64_b64 v[162:165], v139 offset0:4 offset1:8
	;; [unrolled: 1-line block ×4, first 2 shown]
	s_waitcnt lgkmcnt(8)
	v_mfma_f32_16x16x16_bf16 a[0:3], v[74:75], v[66:67], 0
	s_add_i32 s25, s56, s64
	s_mul_hi_i32 s29, s25, s17
	s_mul_i32 s25, s25, s17
	v_mfma_f32_16x16x16_bf16 a[4:7], v[74:75], v[68:69], 0
	s_add_u32 s28, s25, s33
	s_addc_u32 s29, s29, s46
	s_lshl_b64 s[28:29], s[28:29], 15
	s_waitcnt lgkmcnt(4)
	v_mfma_f32_16x16x16_bf16 a[8:11], v[74:75], v[70:71], 0
	s_mul_i32 s31, s66, s17
	s_mul_hi_i32 s25, s66, s17
	s_add_u32 s44, s31, s33
	v_mfma_f32_16x16x16_bf16 a[12:15], v[74:75], v[72:73], 0
	ds_read_b64 v[74:75], v138 offset:6144
	ds_read_b64 v[186:187], v139 offset:6144
	;; [unrolled: 1-line block ×4, first 2 shown]
	s_addc_u32 s45, s25, s46
	s_waitcnt lgkmcnt(7)
	v_mfma_f32_16x16x16_bf16 a[0:3], v[174:175], v[158:159], a[0:3]
	s_lshl_b64 s[44:45], s[44:45], 9
	s_add_u32 s44, s20, s44
	s_addc_u32 s45, s21, s45
	s_waitcnt lgkmcnt(6)
	v_mfma_f32_16x16x16_bf16 a[4:7], v[174:175], v[162:163], a[4:7]
	v_lshl_add_u64 v[196:197], v[94:95], 0, s[28:29]
	s_waitcnt lgkmcnt(5)
	v_mfma_f32_16x16x16_bf16 a[8:11], v[174:175], v[166:167], a[8:11]
	s_waitcnt lgkmcnt(4)
	v_mfma_f32_16x16x16_bf16 a[12:15], v[174:175], v[170:171], a[12:15]
	ds_read_b64 v[174:175], v150
	ds_read_b64 v[184:185], v151
	;; [unrolled: 1-line block ×3, first 2 shown]
	s_waitcnt lgkmcnt(2)
	v_mfma_f32_16x16x16_bf16 a[16:19], v[174:175], v[66:67], 0
	v_mfma_f32_16x16x16_bf16 a[20:23], v[174:175], v[68:69], 0
	global_load_dwordx4 v[66:69], v149, s[44:45]
	v_mfma_f32_16x16x16_bf16 a[24:27], v[174:175], v[70:71], 0
	v_mfma_f32_16x16x16_bf16 a[28:31], v[174:175], v[72:73], 0
	global_load_dwordx4 v[70:73], v89, s[44:45]
	v_mfma_f32_16x16x16_bf16 a[0:3], v[176:177], v[160:161], a[0:3]
	v_mfma_f32_16x16x16_bf16 a[4:7], v[176:177], v[164:165], a[4:7]
	;; [unrolled: 1-line block ×8, first 2 shown]
	ds_read2st64_b64 v[174:177], v136 offset1:8
	ds_read2st64_b64 v[178:181], v137 offset1:8
	ds_read_b64 v[194:195], v144 offset:40960
	s_waitcnt lgkmcnt(2)
	v_mov_b32_e32 v182, v174
	v_mfma_f32_16x16x16_bf16 a[16:19], v[184:185], v[158:159], a[16:19]
	v_mov_b32_e32 v183, v175
	v_mfma_f32_16x16x16_bf16 a[20:23], v[184:185], v[162:163], a[20:23]
	v_mfma_f32_16x16x16_bf16 a[24:27], v[184:185], v[166:167], a[24:27]
	v_mfma_f32_16x16x16_bf16 a[28:31], v[184:185], v[170:171], a[28:31]
	v_add_co_u32_e32 v170, vcc, s37, v196
	s_waitcnt lgkmcnt(1)
	v_mov_b32_e32 v184, v178
	s_waitcnt lgkmcnt(0)
	v_mfma_f32_16x16x16_bf16 a[16:19], v[194:195], v[160:161], a[16:19]
	ds_read2st64_b64 v[158:161], v136 offset0:16 offset1:24
	v_addc_co_u32_e32 v171, vcc, 0, v197, vcc
	v_mfma_f32_16x16x16_bf16 a[20:23], v[194:195], v[164:165], a[20:23]
	ds_read2st64_b64 v[162:165], v137 offset0:16 offset1:24
	v_mov_b32_e32 v185, v179
	v_mov_b32_e32 v178, v176
	v_mfma_f32_16x16x16_bf16 a[32:35], v[194:195], v[168:169], a[24:27]
	v_mov_b32_e32 v179, v177
	s_waitcnt lgkmcnt(0)
	v_mov_b32_e32 v168, v162
	v_mov_b32_e32 v169, v163
	v_mfma_f32_16x16x16_bf16 a[36:39], v[194:195], v[172:173], a[28:31]
	v_mov_b32_e32 v162, v160
	v_mov_b32_e32 v163, v161
	;; [unrolled: 1-line block ×3, first 2 shown]
	v_mfma_f32_16x16x16_bf16 a[24:27], v[192:193], v[74:75], a[16:19]
	v_add_co_u32_e32 v74, vcc, s39, v196
	v_mov_b32_e32 v167, v159
	v_mfma_f32_16x16x16_bf16 a[28:31], v[192:193], v[186:187], a[20:23]
	v_addc_co_u32_e32 v75, vcc, 0, v197, vcc
	global_store_dwordx4 v[74:75], v[162:165], off
	v_mfma_f32_16x16x16_bf16 a[16:19], v[192:193], v[188:189], a[32:35]
	s_waitcnt vmcnt(2)
	v_mov_b32_e32 v76, v69
	v_mov_b32_e32 v75, v68
	;; [unrolled: 1-line block ×3, first 2 shown]
	v_mfma_f32_16x16x16_bf16 a[20:23], v[192:193], v[190:191], a[36:39]
	s_and_b64 vcc, exec, s[0:1]
	global_store_dwordx4 v[196:197], v[182:185], off
	global_store_dwordx4 v[170:171], v[178:181], off offset:-4096
	global_store_dwordx4 v[170:171], v[166:169], off
	s_cbranch_vccnz .LBB210_16
; %bb.15:                               ;   in Loop: Header=BB210_6 Depth=1
	v_lshrrev_b32_e32 v67, 3, v156
	v_and_b32_e32 v67, 6, v67
	v_xor_b32_e32 v68, v67, v157
	v_lshlrev_b32_e32 v68, 2, v68
	v_and_b32_e32 v69, 8, v156
	v_xor_b32_e32 v156, 0x440, v68
	v_cmp_eq_u32_e32 vcc, 0, v69
	v_perm_b32 v69, v54, v50, s62
	s_nop 0
	v_cndmask_b32_e32 v68, v156, v68, vcc
	v_lshl_or_b32 v67, v67, 10, v68
	v_perm_b32 v68, v62, v58, s62
	s_barrier
	ds_write2st64_b32 v67, v68, v69 offset0:128 offset1:160
	v_xor_b32_e32 v68, 8, v67
	v_perm_b32 v58, v62, v58, s63
	v_perm_b32 v50, v54, v50, s63
	v_add_u32_e32 v54, 0x80, v68
	ds_write2st64_b32 v54, v58, v50 offset0:128 offset1:160
	v_xor_b32_e32 v50, 16, v67
	v_perm_b32 v54, v63, v59, s62
	v_perm_b32 v58, v55, v51, s62
	ds_write2st64_b32 v50, v54, v58 offset0:129 offset1:161
	v_xor_b32_e32 v50, 24, v67
	v_perm_b32 v54, v63, v59, s63
	v_perm_b32 v51, v55, v51, s63
	v_add_u32_e32 v50, 0x80, v50
	ds_write2st64_b32 v50, v54, v51 offset0:129 offset1:161
	v_xor_b32_e32 v50, 32, v67
	v_perm_b32 v51, v64, v60, s62
	v_perm_b32 v54, v56, v52, s62
	;; [unrolled: 9-line block ×3, first 2 shown]
	ds_write2st64_b32 v50, v51, v52 offset0:131 offset1:163
	v_xor_b32_e32 v50, 56, v67
	v_perm_b32 v51, v65, v61, s63
	v_perm_b32 v52, v57, v53, s63
	v_add_u32_e32 v50, 0x80, v50
	ds_write2st64_b32 v50, v51, v52 offset0:131 offset1:163
	ds_write_b64 v155, v[46:47] offset:49152
	v_xor_b32_e32 v46, 8, v155
	ds_write_b64 v46, v[48:49] offset:49152
	ds_write_b64 v155, v[42:43] offset:57344
	;; [unrolled: 1-line block ×4, first 2 shown]
	v_xor_b32_e32 v38, 8, v154
	ds_write_b64 v38, v[40:41] offset:49152
	ds_write_b64 v154, v[34:35] offset:57344
	;; [unrolled: 1-line block ×3, first 2 shown]
.LBB210_16:                             ;   in Loop: Header=BB210_6 Depth=1
	v_mul_f32_e32 v58, s24, v153
	v_exp_f32_e32 v68, v58
	s_waitcnt vmcnt(4)
	v_mul_f32_e32 v58, 0x3fb8aa3b, v70
	v_exp_f32_e32 v70, v58
	v_mul_f32_e32 v58, 0x3fb8aa3b, v71
	v_exp_f32_e32 v71, v58
	;; [unrolled: 2-line block ×4, first 2 shown]
	v_accvgpr_read_b32 v37, a3
	v_accvgpr_read_b32 v36, a2
	;; [unrolled: 1-line block ×4, first 2 shown]
	v_pk_mul_f32 v[70:71], v[68:69], v[70:71] op_sel_hi:[0,1]
	v_pk_mul_f32 v[72:73], v[68:69], v[72:73] op_sel_hi:[0,1]
	v_pk_fma_f32 v[22:23], v[22:23], v[70:71], v[34:35]
	v_pk_fma_f32 v[24:25], v[24:25], v[72:73], v[36:37]
	v_mul_f32_e32 v34, 0x3fb8aa3b, v66
	v_mul_f32_e32 v35, 0x3fb8aa3b, v74
	;; [unrolled: 1-line block ×4, first 2 shown]
	v_exp_f32_e32 v34, v34
	v_exp_f32_e32 v35, v35
	;; [unrolled: 1-line block ×4, first 2 shown]
	v_accvgpr_read_b32 v41, a7
	v_accvgpr_read_b32 v45, a11
	;; [unrolled: 1-line block ×28, first 2 shown]
	v_pk_mul_f32 v[34:35], v[68:69], v[34:35] op_sel_hi:[0,1]
	v_pk_mul_f32 v[36:37], v[68:69], v[36:37] op_sel_hi:[0,1]
	s_add_i32 s59, s59, 64
	v_pk_fma_f32 v[26:27], v[70:71], v[26:27], v[38:39]
	v_pk_fma_f32 v[28:29], v[72:73], v[28:29], v[40:41]
	;; [unrolled: 1-line block ×13, first 2 shown]
	s_cmp_eq_u32 s53, s65
	v_pk_fma_f32 v[4:5], v[36:37], v[4:5], v[64:65]
	s_cbranch_scc1 .LBB210_18
; %bb.17:                               ;   in Loop: Header=BB210_6 Depth=1
	s_mov_b32 s64, s65
	s_branch .LBB210_6
.LBB210_18:
	s_lshl_b32 s0, s53, 6
	s_sub_i32 s44, s54, s0
	s_cmp_gt_i32 s44, 0
	s_cbranch_scc0 .LBB210_99
; %bb.19:
	s_add_i32 s34, s0, s34
	s_ashr_i32 s3, s34, 31
	s_cmpk_lg_i32 s19, 0x80
	s_cselect_b64 s[30:31], -1, 0
	s_and_b64 vcc, exec, s[30:31]
	s_cbranch_vccz .LBB210_21
; %bb.20:
	s_mul_hi_i32 s0, s34, s18
	s_mul_i32 s1, s34, s18
	s_ashr_i32 s18, s55, 31
	s_add_u32 s42, s1, s55
	s_addc_u32 s43, s0, s18
	s_cbranch_execz .LBB210_22
	s_branch .LBB210_23
.LBB210_21:
                                        ; implicit-def: $sgpr42_sgpr43
.LBB210_22:
	s_mul_i32 s1, s55, s16
	s_mul_hi_i32 s0, s55, s16
	s_add_u32 s42, s1, s34
	s_addc_u32 s43, s0, s3
.LBB210_23:
	s_waitcnt lgkmcnt(0)
	s_add_i32 s16, s53, s56
	s_add_u32 s0, s58, s34
	v_lshlrev_b32_e32 v38, 6, v100
	v_lshlrev_b32_e32 v57, 2, v97
	s_addc_u32 s1, s57, s3
	s_mov_b32 s3, 0x7060302
	v_or_b32_e32 v41, v38, v57
	v_xor_b32_e32 v39, v100, v57
	s_waitcnt vmcnt(7)
	v_perm_b32 v35, v25, v24, s3
	v_perm_b32 v34, v23, v22, s3
	s_waitcnt vmcnt(6)
	v_perm_b32 v37, v13, v12, s3
	v_perm_b32 v36, v11, v10, s3
	v_lshlrev_b32_e32 v41, 1, v41
	v_xor_b32_e32 v40, v101, v57
	ds_write2st64_b64 v41, v[34:35], v[36:37] offset0:32 offset1:48
	v_lshlrev_b32_e32 v39, 1, v39
	v_lshlrev_b32_e32 v41, 8, v97
	v_or_b32_e32 v42, v39, v41
	v_lshlrev_b32_e32 v40, 1, v40
	ds_write_b64 v42, v[34:35]
	v_or_b32_e32 v34, v40, v41
	v_or_b32_e32 v41, 16, v97
	v_lshlrev_b32_e32 v55, 2, v41
	v_or_b32_e32 v42, v38, v55
	ds_write_b64 v34, v[36:37]
	s_waitcnt vmcnt(5)
	v_perm_b32 v35, v29, v28, s3
	v_perm_b32 v34, v27, v26, s3
	s_waitcnt vmcnt(4)
	v_perm_b32 v37, v17, v16, s3
	v_perm_b32 v36, v15, v14, s3
	v_lshlrev_b32_e32 v42, 1, v42
	v_lshlrev_b32_e32 v41, 8, v41
	ds_write2st64_b64 v42, v[34:35], v[36:37] offset0:32 offset1:48
	v_or_b32_e32 v42, v39, v41
	ds_write_b64 v42, v[34:35]
	v_or_b32_e32 v34, v40, v41
	v_or_b32_e32 v41, 32, v97
	v_lshlrev_b32_e32 v54, 2, v41
	v_or_b32_e32 v42, v38, v54
	ds_write_b64 v34, v[36:37]
	s_waitcnt vmcnt(3)
	v_perm_b32 v35, v33, v32, s3
	v_perm_b32 v34, v31, v30, s3
	s_waitcnt vmcnt(2)
	v_perm_b32 v37, v21, v20, s3
	v_perm_b32 v36, v19, v18, s3
	v_lshlrev_b32_e32 v42, 1, v42
	v_lshlrev_b32_e32 v41, 8, v41
	s_lshl_b64 s[28:29], s[0:1], 8
	ds_write2st64_b64 v42, v[34:35], v[36:37] offset0:32 offset1:48
	v_or_b32_e32 v42, v39, v41
	s_add_u32 s0, s6, s28
	ds_write_b64 v42, v[34:35]
	v_or_b32_e32 v34, v40, v41
	s_addc_u32 s1, s7, s29
	ds_write_b64 v34, v[36:37]
	s_waitcnt vmcnt(1)
	v_perm_b32 v35, v9, v8, s3
	v_perm_b32 v34, v7, v6, s3
	s_waitcnt vmcnt(0)
	v_perm_b32 v37, v5, v4, s3
	v_perm_b32 v36, v3, v2, s3
	v_or_b32_e32 v41, 48, v97
	s_mul_hi_i32 s3, s16, s17
	s_mul_i32 s16, s16, s17
	v_lshlrev_b32_e32 v51, 2, v41
	s_add_u32 s6, s16, s33
	v_or_b32_e32 v38, v38, v51
	s_addc_u32 s7, s3, s46
	v_lshlrev_b32_e32 v38, 1, v38
	s_ashr_i32 s3, s2, 31
	s_lshl_b64 s[6:7], s[6:7], 15
	ds_write2st64_b64 v38, v[34:35], v[36:37] offset0:32 offset1:48
	v_lshlrev_b32_e32 v38, 8, v41
	s_add_u32 s6, s40, s6
	v_or_b32_e32 v39, v39, v38
	s_addc_u32 s7, s41, s7
	s_lshl_b64 s[2:3], s[2:3], 8
	ds_write_b64 v39, v[34:35]
	v_or_b32_e32 v34, v40, v38
	s_add_u32 s2, s6, s2
	v_lshlrev_b32_e32 v35, 1, v97
	ds_write_b64 v34, v[36:37]
	v_lshrrev_b32_e32 v34, 4, v0
	s_addc_u32 s3, s7, s3
	v_or_b32_e32 v36, 1, v35
	v_lshlrev_b32_e32 v42, 4, v97
	v_mov_b32_e32 v43, 0
	v_xor_b32_e32 v35, v34, v35
	v_xor_b32_e32 v38, v36, v34
	v_lshl_add_u64 v[44:45], s[2:3], 0, v[42:43]
	v_lshlrev_b32_e32 v42, 8, v34
	v_lshl_or_b32 v48, v35, 3, v42
	v_lshl_or_b32 v49, v38, 3, v42
	s_waitcnt lgkmcnt(0)
	s_barrier
	ds_read2st64_b64 v[34:37], v48 offset1:8
	ds_read2st64_b64 v[38:41], v49 offset1:8
	v_lshl_add_u64 v[46:47], v[44:45], 0, v[42:43]
	s_movk_i32 s2, 0x2000
	s_cmp_lg_u32 s44, 64
	s_waitcnt lgkmcnt(1)
	v_mov_b32_e32 v42, v34
	v_mov_b32_e32 v43, v35
	s_waitcnt lgkmcnt(0)
	v_mov_b32_e32 v44, v38
	v_mov_b32_e32 v45, v39
	global_store_dwordx4 v[46:47], v[42:45], off
	v_mov_b32_e32 v38, v36
	v_mov_b32_e32 v39, v37
	ds_read2st64_b64 v[34:37], v48 offset0:16 offset1:24
	ds_read2st64_b64 v[42:45], v49 offset0:16 offset1:24
	v_add_co_u32_e32 v48, vcc, s2, v46
	s_cselect_b64 s[6:7], -1, 0
	s_nop 0
	v_addc_co_u32_e32 v49, vcc, 0, v47, vcc
	global_store_dwordx4 v[48:49], v[38:41], off offset:-4096
	v_lshl_or_b32 v62, v1, 3, v99
	s_mov_b32 s24, 0
	s_waitcnt lgkmcnt(1)
	v_mov_b32_e32 v38, v34
	v_add_co_u32_e32 v34, vcc, 0x3000, v46
	v_mov_b32_e32 v39, v35
	s_nop 0
	v_addc_co_u32_e32 v35, vcc, 0, v47, vcc
	s_waitcnt lgkmcnt(0)
	v_mov_b32_e32 v40, v42
	v_mov_b32_e32 v41, v43
	;; [unrolled: 1-line block ×4, first 2 shown]
	v_or_b32_e32 v52, 32, v62
	v_and_b32_e32 v50, 56, v98
	s_and_b64 vcc, exec, s[6:7]
	global_store_dwordx4 v[48:49], v[38:41], off
	global_store_dwordx4 v[34:35], v[42:45], off
	s_cbranch_vccz .LBB210_29
; %bb.24:
	s_mov_b32 s26, s24
	s_mov_b32 s27, s24
	;; [unrolled: 1-line block ×3, first 2 shown]
	v_mov_b64_e32 v[40:41], s[26:27]
	v_mov_b64_e32 v[38:39], s[24:25]
	;; [unrolled: 1-line block ×3, first 2 shown]
	v_cmp_gt_i32_e32 vcc, s44, v62
	v_mov_b64_e32 v[36:37], v[40:41]
	s_and_saveexec_b64 s[2:3], vcc
	s_cbranch_execz .LBB210_26
; %bb.25:
	v_lshlrev_b32_e32 v34, 8, v62
	v_mov_b32_e32 v35, 0
	v_lshl_add_u64 v[36:37], s[0:1], 0, v[34:35]
	v_lshlrev_b32_e32 v34, 1, v50
	v_lshl_add_u64 v[42:43], v[36:37], 0, v[34:35]
	global_load_dwordx4 v[38:41], v[42:43], off
	global_load_dwordx4 v[34:37], v[42:43], off offset:128
.LBB210_26:
	s_or_b64 exec, exec, s[2:3]
	s_mov_b32 s26, s24
	s_mov_b32 s27, s24
	;; [unrolled: 1-line block ×3, first 2 shown]
	v_mov_b64_e32 v[48:49], s[26:27]
	v_mov_b64_e32 v[46:47], s[24:25]
	v_mov_b64_e32 v[42:43], v[46:47]
	v_cmp_gt_i32_e32 vcc, s44, v52
	v_lshlrev_b32_e32 v53, 7, v52
	v_mov_b64_e32 v[44:45], v[48:49]
	s_and_saveexec_b64 s[2:3], vcc
	s_cbranch_execz .LBB210_28
; %bb.27:
	v_lshlrev_b32_e32 v42, 1, v53
	v_mov_b32_e32 v43, 0
	v_lshl_add_u64 v[44:45], s[0:1], 0, v[42:43]
	v_lshlrev_b32_e32 v42, 1, v50
	v_lshl_add_u64 v[58:59], v[44:45], 0, v[42:43]
	global_load_dwordx4 v[46:49], v[58:59], off
	global_load_dwordx4 v[42:45], v[58:59], off offset:128
.LBB210_28:
	s_or_b64 exec, exec, s[2:3]
	v_lshrrev_b32_e32 v56, 3, v50
	v_lshlrev_b32_e32 v58, 3, v62
	v_or_b32_e32 v56, v58, v56
	v_lshlrev_b32_e32 v56, 4, v56
	v_and_b32_e32 v58, 0x78, v58
	v_xor_b32_e32 v56, v56, v58
	s_branch .LBB210_31
.LBB210_29:
                                        ; implicit-def: $vgpr56
                                        ; implicit-def: $vgpr53
                                        ; implicit-def: $vgpr38_vgpr39_vgpr40_vgpr41
                                        ; implicit-def: $vgpr34_vgpr35_vgpr36_vgpr37
                                        ; implicit-def: $vgpr46_vgpr47_vgpr48_vgpr49
                                        ; implicit-def: $vgpr42_vgpr43_vgpr44_vgpr45
	s_cbranch_execz .LBB210_31
; %bb.30:
	s_waitcnt vmcnt(0)
	v_lshlrev_b32_e32 v34, 1, v50
	v_lshl_or_b32 v53, v62, 8, v34
	s_and_b32 s1, s1, 0xffff
	s_mov_b32 s3, 0x20000
	s_movk_i32 s2, 0x4000
	v_lshl_or_b32 v56, v52, 8, v34
	s_movk_i32 s16, 0x80
	buffer_load_dwordx4 v[38:41], v53, s[0:3], 0 offen
	buffer_load_dwordx4 v[34:37], v53, s[0:3], s16 offen
	;; [unrolled: 1-line block ×4, first 2 shown]
	v_lshrrev_b32_e32 v53, 3, v50
	v_lshlrev_b32_e32 v56, 3, v62
	v_or_b32_e32 v53, v56, v53
	v_lshlrev_b32_e32 v53, 4, v53
	v_and_b32_e32 v56, 0x78, v56
	v_xor_b32_e32 v56, v53, v56
	v_lshlrev_b32_e32 v53, 7, v52
.LBB210_31:
	s_movk_i32 s0, 0x1000
	v_and_or_b32 v52, v53, s0, v56
	s_waitcnt vmcnt(1)
	ds_write_b64 v56, v[38:39] offset:49152
	v_xor_b32_e32 v38, 8, v56
	ds_write_b64 v38, v[40:41] offset:49152
	s_waitcnt vmcnt(0)
	ds_write_b64 v56, v[34:35] offset:57344
	ds_write_b64 v38, v[36:37] offset:57344
	;; [unrolled: 1-line block ×3, first 2 shown]
	v_xor_b32_e32 v34, 8, v52
	ds_write_b64 v34, v[48:49] offset:49152
	ds_write_b64 v52, v[42:43] offset:57344
	;; [unrolled: 1-line block ×3, first 2 shown]
	v_or_b32_e32 v34, v77, v97
	v_lshlrev_b32_e32 v34, 3, v34
	v_lshrrev_b32_e32 v35, 5, v79
	s_movk_i32 s0, 0xf8
	v_and_or_b32 v35, v34, s0, v35
	v_lshlrev_b32_e32 v39, 4, v35
	v_lshlrev_b32_e32 v56, 11, v1
	v_and_b32_e32 v40, 0x78, v34
	v_or_b32_e32 v42, 32, v39
	v_and_b32_e32 v38, 0x1000, v56
	v_lshrrev_b32_e32 v35, 1, v79
	v_xor_b32_e32 v42, v42, v40
	v_xor_b32_e32 v34, v39, v40
	v_and_b32_e32 v41, 8, v35
	v_or_b32_e32 v42, v42, v38
	v_or_b32_e32 v34, v34, v38
	v_xor_b32_e32 v64, v42, v41
	v_or_b32_e32 v42, 64, v39
	v_xor_b32_e32 v63, v34, v41
	v_xor_b32_e32 v42, v42, v40
	s_waitcnt lgkmcnt(0)
	s_barrier
	v_or_b32_e32 v45, v42, v38
	ds_read_b64 v[42:43], v63 offset:49152
	v_lshl_or_b32 v46, v96, 8, v57
	v_lshlrev_b32_e32 v58, 1, v46
	v_add_u32_e32 v44, 0x4000, v58
	ds_read2_b64 v[34:37], v44 offset1:16
	v_or_b32_e32 v39, 0x60, v39
	v_xor_b32_e32 v39, v39, v40
	v_or_b32_e32 v38, v39, v38
	v_xor_b32_e32 v65, v45, v41
	v_xor_b32_e32 v66, v38, v41
	ds_read_b64 v[52:53], v64 offset:49152
	ds_read_b64 v[68:69], v65 offset:49152
	;; [unrolled: 1-line block ×3, first 2 shown]
	s_waitcnt lgkmcnt(3)
	v_mfma_f32_16x16x16_bf16 a[0:3], v[42:43], v[34:35], 0
	ds_read2st64_b64 v[38:41], v58 offset0:36 offset1:40
	s_lshl_b64 s[0:1], s[42:43], 8
	s_add_u32 s4, s4, s0
	v_mfma_f32_16x16x16_bf16 a[4:7], v[42:43], v[36:37], 0
	ds_read2_b64 v[34:37], v44 offset0:32 offset1:48
	s_addc_u32 s5, s5, s1
	s_add_i32 s0, s49, s47
	s_waitcnt lgkmcnt(0)
	v_mfma_f32_16x16x16_bf16 a[8:11], v[42:43], v[34:35], 0
	v_or_b32_e32 v34, 64, v46
	v_lshlrev_b32_e32 v59, 1, v34
	s_add_i32 s18, s35, -1
	v_mfma_f32_16x16x16_bf16 a[12:15], v[42:43], v[36:37], 0
	ds_read2st64_b64 v[34:37], v59 offset0:36 offset1:40
	s_add_i32 s39, s0, s48
	s_add_i32 s0, s51, s50
	v_mfma_f32_16x16x16_bf16 a[0:3], v[52:53], v[38:39], a[0:3]
	v_or_b32_e32 v38, 0x80, v46
	v_lshlrev_b32_e32 v60, 1, v38
	ds_read2st64_b64 v[42:45], v60 offset0:36 offset1:40
	s_waitcnt lgkmcnt(1)
	v_mfma_f32_16x16x16_bf16 a[4:7], v[52:53], v[34:35], a[4:7]
	v_or_b32_e32 v34, 0xc0, v46
	v_lshlrev_b32_e32 v61, 1, v34
	ds_read2st64_b64 v[46:49], v61 offset0:36 offset1:40
	s_add_i32 s37, s0, s52
	s_ashr_i32 s0, s18, 31
	s_mul_i32 s1, s18, s23
	s_mul_hi_u32 s2, s18, s22
	s_add_i32 s1, s2, s1
	s_mul_i32 s0, s0, s22
	s_waitcnt lgkmcnt(1)
	v_mfma_f32_16x16x16_bf16 a[8:11], v[52:53], v[42:43], a[8:11]
	s_add_i32 s1, s1, s0
	s_lshl_b64 s[2:3], s[38:39], 2
	s_add_u32 s10, s10, s2
	s_waitcnt lgkmcnt(0)
	v_mfma_f32_16x16x16_bf16 a[12:15], v[52:53], v[46:47], a[12:15]
	s_addc_u32 s11, s11, s3
	s_lshl_b64 s[2:3], s[36:37], 2
	s_mul_i32 s0, s18, s22
	v_mfma_f32_16x16x16_bf16 a[0:3], v[68:69], v[40:41], a[0:3]
	ds_read_b64 v[34:35], v58 offset:22528
	s_add_u32 s10, s10, s2
	s_addc_u32 s11, s11, s3
	v_mfma_f32_16x16x16_bf16 a[4:7], v[68:69], v[36:37], a[4:7]
	ds_read_b64 v[36:37], v59 offset:22528
	ds_read_b64 v[38:39], v60 offset:22528
	;; [unrolled: 1-line block ×3, first 2 shown]
	s_lshl_b64 s[0:1], s[0:1], 2
	s_add_u32 s0, s10, s0
	v_mfma_f32_16x16x16_bf16 a[8:11], v[68:69], v[44:45], a[8:11]
	s_addc_u32 s1, s11, s1
	s_load_dword s16, s[0:1], 0x0
	s_and_b64 vcc, exec, s[30:31]
	v_mfma_f32_16x16x16_bf16 a[12:15], v[68:69], v[48:49], a[12:15]
	s_waitcnt lgkmcnt(0)
	v_mfma_f32_16x16x16_bf16 a[0:3], v[70:71], v[34:35], a[0:3]
	v_mfma_f32_16x16x16_bf16 a[4:7], v[70:71], v[36:37], a[4:7]
	;; [unrolled: 1-line block ×4, first 2 shown]
	s_cbranch_vccz .LBB210_42
; %bb.32:
	v_lshlrev_b32_e32 v52, 1, v62
	s_and_b64 vcc, exec, s[6:7]
	s_cbranch_vccz .LBB210_43
; %bb.33:
	v_cmp_gt_i32_e32 vcc, s44, v52
	v_mov_b32_e32 v38, 0
	v_mov_b32_e32 v34, 0
	;; [unrolled: 1-line block ×5, first 2 shown]
	s_and_saveexec_b64 s[0:1], vcc
	s_cbranch_execz .LBB210_35
; %bb.34:
	v_mad_i64_i32 v[34:35], s[2:3], s19, v52, 0
	v_lshl_add_u64 v[34:35], v[34:35], 1, s[4:5]
	v_lshlrev_b32_e32 v36, 1, v50
	v_mov_b32_e32 v37, 0
	v_lshl_add_u64 v[34:35], v[34:35], 0, v[36:37]
	global_load_dwordx4 v[34:37], v[34:35], off
.LBB210_35:
	s_or_b64 exec, exec, s[0:1]
	v_or_b32_e32 v53, 1, v52
	v_cmp_gt_i32_e64 s[0:1], s44, v53
	v_mov_b32_e32 v39, 0
	v_mov_b32_e32 v40, 0
	;; [unrolled: 1-line block ×3, first 2 shown]
	s_and_saveexec_b64 s[2:3], s[0:1]
	s_cbranch_execz .LBB210_37
; %bb.36:
	v_mad_i64_i32 v[38:39], s[24:25], s19, v53, 0
	v_lshl_add_u64 v[38:39], v[38:39], 1, s[4:5]
	v_lshlrev_b32_e32 v40, 1, v50
	v_mov_b32_e32 v41, 0
	v_lshl_add_u64 v[38:39], v[38:39], 0, v[40:41]
	global_load_dwordx4 v[38:41], v[38:39], off
.LBB210_37:
	s_or_b64 exec, exec, s[2:3]
	v_mov_b32_e32 v49, 0
	v_mov_b32_e32 v42, 0
	;; [unrolled: 1-line block ×5, first 2 shown]
	s_and_saveexec_b64 s[2:3], vcc
	s_cbranch_execz .LBB210_39
; %bb.38:
	v_mad_i64_i32 v[42:43], s[24:25], s19, v52, 0
	v_lshl_add_u64 v[42:43], v[42:43], 1, s[4:5]
	v_lshlrev_b32_e32 v44, 1, v50
	v_mov_b32_e32 v45, 0
	v_lshl_add_u64 v[42:43], v[42:43], 0, v[44:45]
	global_load_dwordx4 v[42:45], v[42:43], off offset:128
.LBB210_39:
	s_or_b64 exec, exec, s[2:3]
	v_mov_b32_e32 v48, 0
	v_mov_b32_e32 v47, 0
	;; [unrolled: 1-line block ×3, first 2 shown]
	s_and_saveexec_b64 s[2:3], s[0:1]
	s_cbranch_execz .LBB210_41
; %bb.40:
	v_mad_i64_i32 v[46:47], s[0:1], s19, v53, 0
	v_lshl_add_u64 v[46:47], v[46:47], 1, s[4:5]
	v_lshlrev_b32_e32 v48, 1, v50
	v_mov_b32_e32 v49, 0
	v_lshl_add_u64 v[46:47], v[46:47], 0, v[48:49]
	global_load_dwordx4 v[46:49], v[46:47], off offset:128
.LBB210_41:
	s_or_b64 exec, exec, s[2:3]
	s_branch .LBB210_45
.LBB210_42:
                                        ; implicit-def: $vgpr37
                                        ; implicit-def: $vgpr41
                                        ; implicit-def: $vgpr45
                                        ; implicit-def: $vgpr49
	v_lshrrev_b32_e32 v67, 2, v79
	s_branch .LBB210_46
.LBB210_43:
                                        ; implicit-def: $vgpr37
                                        ; implicit-def: $vgpr41
                                        ; implicit-def: $vgpr45
                                        ; implicit-def: $vgpr49
	s_cbranch_execz .LBB210_45
; %bb.44:
	s_waitcnt vmcnt(0)
	v_mad_u64_u32 v[34:35], s[0:1], v52, s19, v[50:51]
	v_lshlrev_b32_e32 v52, 1, v34
	s_lshl_b32 s2, s19, 7
	s_and_b32 s1, s5, 0xffff
	s_mov_b32 s3, 0x20000
	s_mov_b32 s0, s4
	v_add_lshl_u32 v53, v34, s19, 1
	s_movk_i32 s19, 0x80
	buffer_load_dwordx4 v[34:37], v52, s[0:3], 0 offen
	buffer_load_dwordx4 v[42:45], v52, s[0:3], s19 offen
	;; [unrolled: 1-line block ×4, first 2 shown]
.LBB210_45:
	v_lshrrev_b32_e32 v67, 2, v79
	s_cbranch_execnz .LBB210_58
.LBB210_46:
	s_and_b64 vcc, exec, s[6:7]
	s_cbranch_vccz .LBB210_56
; %bb.47:
	s_waitcnt vmcnt(0)
	v_lshlrev_b32_e32 v39, 1, v62
	v_cmp_gt_i32_e32 vcc, s44, v39
	v_mov_b32_e32 v38, 0
	v_lshlrev_b32_e32 v46, 9, v62
	v_mov_b32_e32 v34, 0
	v_mov_b32_e32 v35, 0
	;; [unrolled: 1-line block ×4, first 2 shown]
	s_and_saveexec_b64 s[0:1], vcc
	s_cbranch_execz .LBB210_49
; %bb.48:
	v_mov_b32_e32 v47, 0
	v_lshl_add_u64 v[34:35], s[4:5], 0, v[46:47]
	v_lshlrev_b32_e32 v36, 1, v50
	v_mov_b32_e32 v37, v47
	v_lshl_add_u64 v[34:35], v[34:35], 0, v[36:37]
	global_load_dwordx4 v[34:37], v[34:35], off
.LBB210_49:
	s_or_b64 exec, exec, s[0:1]
	v_or_b32_e32 v39, 1, v39
	v_cmp_gt_i32_e64 s[0:1], s44, v39
	v_lshlrev_b32_e32 v52, 8, v39
	v_mov_b32_e32 v39, 0
	v_mov_b32_e32 v40, 0
	;; [unrolled: 1-line block ×3, first 2 shown]
	s_and_saveexec_b64 s[2:3], s[0:1]
	s_cbranch_execz .LBB210_51
; %bb.50:
	v_mov_b32_e32 v53, 0
	v_lshl_add_u64 v[38:39], s[4:5], 0, v[52:53]
	v_lshlrev_b32_e32 v40, 1, v50
	v_mov_b32_e32 v41, v53
	v_lshl_add_u64 v[38:39], v[38:39], 0, v[40:41]
	global_load_dwordx4 v[38:41], v[38:39], off
.LBB210_51:
	s_or_b64 exec, exec, s[2:3]
	v_mov_b32_e32 v49, 0
	v_mov_b32_e32 v42, 0
	;; [unrolled: 1-line block ×5, first 2 shown]
	s_and_saveexec_b64 s[2:3], vcc
	s_cbranch_execz .LBB210_53
; %bb.52:
	v_mov_b32_e32 v47, 0
	v_lshl_add_u64 v[42:43], s[4:5], 0, v[46:47]
	v_lshlrev_b32_e32 v46, 1, v50
	v_lshl_add_u64 v[42:43], v[42:43], 0, v[46:47]
	global_load_dwordx4 v[42:45], v[42:43], off offset:128
.LBB210_53:
	s_or_b64 exec, exec, s[2:3]
	v_mov_b32_e32 v48, 0
	v_mov_b32_e32 v47, 0
	;; [unrolled: 1-line block ×3, first 2 shown]
	s_and_saveexec_b64 s[2:3], s[0:1]
	s_cbranch_execz .LBB210_55
; %bb.54:
	v_mov_b32_e32 v53, 0
	v_lshl_add_u64 v[46:47], s[4:5], 0, v[52:53]
	v_lshlrev_b32_e32 v52, 1, v50
	v_lshl_add_u64 v[46:47], v[46:47], 0, v[52:53]
	global_load_dwordx4 v[46:49], v[46:47], off offset:128
.LBB210_55:
	s_or_b64 exec, exec, s[2:3]
	s_branch .LBB210_58
.LBB210_56:
                                        ; implicit-def: $vgpr37
                                        ; implicit-def: $vgpr41
                                        ; implicit-def: $vgpr45
                                        ; implicit-def: $vgpr49
	s_cbranch_execz .LBB210_58
; %bb.57:
	s_waitcnt vmcnt(0)
	v_lshlrev_b32_e32 v34, 1, v50
	v_lshl_or_b32 v50, v62, 9, v34
	s_and_b32 s5, s5, 0xffff
	s_mov_b32 s7, 0x20000
	s_movk_i32 s6, 0x4000
	s_movk_i32 s0, 0x80
	buffer_load_dwordx4 v[34:37], v50, s[4:7], 0 offen
	buffer_load_dwordx4 v[38:41], v50, s[4:7], 0 offen offset:256
	buffer_load_dwordx4 v[42:45], v50, s[4:7], s0 offen
	buffer_load_dwordx4 v[46:49], v50, s[4:7], s0 offen offset:256
.LBB210_58:
	ds_read_b64 v[52:53], v63 offset:57344
	v_add_u32_e32 v50, 0x6000, v58
	ds_read2_b64 v[68:71], v50 offset1:16
	ds_read_b64 v[94:95], v64 offset:57344
	ds_read_b64 v[96:97], v65 offset:57344
	ds_read_b64 v[98:99], v66 offset:57344
	v_and_b32_e32 v63, 6, v0
	v_xor_b32_e32 v62, v62, v63
	v_lshlrev_b32_e32 v62, 2, v62
	s_mov_b32 s0, 0x1000504
	s_mov_b32 s1, 0x3020706
	s_waitcnt lgkmcnt(3)
	v_mfma_f32_16x16x16_bf16 a[0:3], v[52:53], v[68:69], a[0:3]
	v_mfma_f32_16x16x16_bf16 a[4:7], v[52:53], v[70:71], a[4:7]
	ds_read2_b64 v[68:71], v50 offset0:32 offset1:48
	v_and_b32_e32 v50, 12, v67
	ds_read2st64_b64 v[64:67], v58 offset0:52 offset1:56
	s_waitcnt lgkmcnt(1)
	v_mfma_f32_16x16x16_bf16 a[8:11], v[52:53], v[68:69], a[8:11]
	v_mfma_f32_16x16x16_bf16 a[12:15], v[52:53], v[70:71], a[12:15]
	ds_read2st64_b64 v[68:71], v59 offset0:52 offset1:56
	ds_read2st64_b64 v[72:75], v60 offset0:52 offset1:56
	;; [unrolled: 1-line block ×3, first 2 shown]
	s_waitcnt lgkmcnt(3)
	v_mfma_f32_16x16x16_bf16 a[0:3], v[94:95], v[64:65], a[0:3]
	ds_read_b64 v[52:53], v58 offset:30720
	ds_read_b64 v[64:65], v59 offset:30720
	;; [unrolled: 1-line block ×4, first 2 shown]
	s_waitcnt lgkmcnt(6)
	v_mfma_f32_16x16x16_bf16 a[4:7], v[94:95], v[68:69], a[4:7]
	v_and_b32_e32 v68, 1, v0
	v_xor_b32_e32 v69, 0x440, v62
	v_cmp_eq_u32_e32 vcc, 0, v68
	s_waitcnt lgkmcnt(5)
	v_mfma_f32_16x16x16_bf16 a[8:11], v[94:95], v[72:73], a[8:11]
	v_cndmask_b32_e32 v62, v69, v62, vcc
	v_lshl_or_b32 v62, v63, 10, v62
	s_waitcnt lgkmcnt(4)
	v_mfma_f32_16x16x16_bf16 a[12:15], v[94:95], v[90:91], a[12:15]
	s_waitcnt vmcnt(0)
	v_perm_b32 v63, v34, v38, s0
	v_perm_b32 v34, v34, v38, s1
	;; [unrolled: 1-line block ×3, first 2 shown]
	v_mfma_f32_16x16x16_bf16 a[0:3], v[96:97], v[66:67], a[0:3]
	v_perm_b32 v66, v42, v46, s0
	ds_write2st64_b32 v62, v63, v66 offset0:128 offset1:160
	v_xor_b32_e32 v63, 8, v62
	v_add_u32_e32 v42, 0x80, v63
	ds_write2st64_b32 v42, v34, v38 offset0:128 offset1:160
	v_xor_b32_e32 v34, 16, v62
	v_perm_b32 v38, v35, v39, s0
	v_perm_b32 v42, v43, v47, s0
	v_mfma_f32_16x16x16_bf16 a[4:7], v[96:97], v[70:71], a[4:7]
	ds_write2st64_b32 v34, v38, v42 offset0:129 offset1:161
	v_xor_b32_e32 v34, 24, v62
	v_perm_b32 v35, v35, v39, s1
	v_mfma_f32_16x16x16_bf16 a[16:19], v[96:97], v[74:75], a[8:11]
	v_perm_b32 v38, v43, v47, s1
	v_add_u32_e32 v34, 0x80, v34
	ds_write2st64_b32 v34, v35, v38 offset0:129 offset1:161
	v_mfma_f32_16x16x16_bf16 a[20:23], v[96:97], v[92:93], a[12:15]
	v_xor_b32_e32 v34, 32, v62
	v_perm_b32 v35, v36, v40, s0
	v_perm_b32 v38, v44, v48, s0
	ds_write2st64_b32 v34, v35, v38 offset0:130 offset1:162
	v_xor_b32_e32 v34, 40, v62
	s_waitcnt lgkmcnt(8)
	v_mfma_f32_16x16x16_bf16 a[12:15], v[98:99], v[52:53], a[0:3]
	v_perm_b32 v35, v36, v40, s1
	v_perm_b32 v36, v44, v48, s1
	v_add_u32_e32 v34, 0x80, v34
	s_waitcnt lgkmcnt(7)
	v_mfma_f32_16x16x16_bf16 a[8:11], v[98:99], v[64:65], a[4:7]
	ds_write2st64_b32 v34, v35, v36 offset0:130 offset1:162
	v_xor_b32_e32 v34, 48, v62
	v_perm_b32 v35, v37, v41, s0
	s_waitcnt lgkmcnt(7)
	v_mfma_f32_16x16x16_bf16 a[4:7], v[98:99], v[100:101], a[16:19]
	v_perm_b32 v36, v45, v49, s0
	ds_write2st64_b32 v34, v35, v36 offset0:131 offset1:163
	v_xor_b32_e32 v34, 56, v62
	s_waitcnt lgkmcnt(7)
	v_mfma_f32_16x16x16_bf16 a[0:3], v[98:99], v[102:103], a[20:23]
	v_or_b32_e32 v48, v50, v77
	v_perm_b32 v35, v37, v41, s1
	v_perm_b32 v36, v45, v49, s1
	v_add_u32_e32 v34, 0x80, v34
	v_cmp_gt_i32_e64 s[0:1], s44, v48
	v_mov_b32_e32 v52, 0
	v_mov_b32_e32 v53, 0
	ds_write2st64_b32 v34, v35, v36 offset0:131 offset1:163
	s_and_saveexec_b64 s[2:3], s[0:1]
	s_cbranch_execz .LBB210_60
; %bb.59:
	v_add_u32_e32 v34, s34, v48
	v_ashrrev_i32_e32 v35, 31, v34
	v_mul_lo_u32 v36, v35, s22
	v_mul_lo_u32 v37, v34, s23
	v_mad_u64_u32 v[34:35], s[4:5], v34, s22, 0
	v_add3_u32 v35, v35, v37, v36
	v_lshl_add_u64 v[34:35], v[34:35], 2, s[10:11]
	global_load_dword v34, v[34:35], off
	s_waitcnt vmcnt(0)
	v_sub_f32_e32 v34, s16, v34
	v_mul_f32_e32 v34, 0x3fb8aa3b, v34
	v_exp_f32_e32 v53, v34
.LBB210_60:
	s_or_b64 exec, exec, s[2:3]
	v_or_b32_e32 v40, 1, v48
	v_cmp_gt_i32_e64 s[2:3], s44, v40
	s_and_saveexec_b64 s[4:5], s[2:3]
	s_cbranch_execz .LBB210_62
; %bb.61:
	v_add_u32_e32 v34, s34, v40
	v_ashrrev_i32_e32 v35, 31, v34
	v_mul_lo_u32 v36, v35, s22
	v_mul_lo_u32 v37, v34, s23
	v_mad_u64_u32 v[34:35], s[6:7], v34, s22, 0
	v_add3_u32 v35, v35, v37, v36
	v_lshl_add_u64 v[34:35], v[34:35], 2, s[10:11]
	global_load_dword v34, v[34:35], off
	s_waitcnt vmcnt(0)
	v_sub_f32_e32 v34, s16, v34
	v_mul_f32_e32 v34, 0x3fb8aa3b, v34
	v_exp_f32_e32 v52, v34
.LBB210_62:
	s_or_b64 exec, exec, s[4:5]
	v_or_b32_e32 v41, 2, v48
	v_cmp_gt_i32_e64 s[4:5], s44, v41
	v_mov_b32_e32 v49, 0
	v_mov_b32_e32 v62, 0
	s_and_saveexec_b64 s[6:7], s[4:5]
	s_cbranch_execz .LBB210_64
; %bb.63:
	v_add_u32_e32 v34, s34, v41
	v_ashrrev_i32_e32 v35, 31, v34
	v_mul_lo_u32 v36, v35, s22
	v_mul_lo_u32 v37, v34, s23
	v_mad_u64_u32 v[34:35], s[24:25], v34, s22, 0
	v_add3_u32 v35, v35, v37, v36
	v_lshl_add_u64 v[34:35], v[34:35], 2, s[10:11]
	global_load_dword v34, v[34:35], off
	s_waitcnt vmcnt(0)
	v_sub_f32_e32 v34, s16, v34
	v_mul_f32_e32 v34, 0x3fb8aa3b, v34
	v_exp_f32_e32 v62, v34
.LBB210_64:
	s_or_b64 exec, exec, s[6:7]
	v_or_b32_e32 v63, 3, v48
	v_cmp_gt_i32_e32 vcc, s44, v63
	s_and_saveexec_b64 s[6:7], vcc
	s_cbranch_execz .LBB210_66
; %bb.65:
	v_add_u32_e32 v34, s34, v63
	v_ashrrev_i32_e32 v35, 31, v34
	v_mul_lo_u32 v36, v35, s22
	v_mul_lo_u32 v37, v34, s23
	v_mad_u64_u32 v[34:35], s[22:23], v34, s22, 0
	v_add3_u32 v35, v35, v37, v36
	v_lshl_add_u64 v[34:35], v[34:35], 2, s[10:11]
	global_load_dword v34, v[34:35], off
	s_waitcnt vmcnt(0)
	v_sub_f32_e32 v34, s16, v34
	v_mul_f32_e32 v34, 0x3fb8aa3b, v34
	v_exp_f32_e32 v49, v34
.LBB210_66:
	s_or_b64 exec, exec, s[6:7]
	s_add_u32 s6, s8, s28
	v_accvgpr_read_b32 v37, a15
	s_addc_u32 s7, s9, s29
	v_ashrrev_i32_e32 v89, 31, v88
	v_accvgpr_read_b32 v36, a14
	v_accvgpr_read_b32 v35, a13
	;; [unrolled: 1-line block ×3, first 2 shown]
	v_lshl_add_u64 v[38:39], v[88:89], 1, s[6:7]
	v_mov_b32_e32 v45, 0
	v_lshlrev_b32_e32 v42, 8, v48
	v_mov_b32_e32 v43, 0
	s_and_saveexec_b64 s[6:7], s[0:1]
	s_cbranch_execz .LBB210_68
; %bb.67:
	v_mov_b32_e32 v43, 0
	v_lshl_add_u64 v[46:47], v[38:39], 0, v[42:43]
	global_load_ushort v43, v[46:47], off
	s_waitcnt vmcnt(0)
	v_lshlrev_b32_e32 v43, 16, v43
	v_sub_f32_e32 v34, v43, v34
	v_mul_f32_e32 v34, v53, v34
	v_lshrrev_b32_e32 v43, 16, v34
.LBB210_68:
	s_or_b64 exec, exec, s[6:7]
	v_lshlrev_b32_e32 v44, 8, v40
	s_and_saveexec_b64 s[6:7], s[2:3]
	s_cbranch_execz .LBB210_70
; %bb.69:
	v_mov_b32_e32 v45, 0
	v_lshl_add_u64 v[46:47], v[38:39], 0, v[44:45]
	global_load_ushort v34, v[46:47], off
	s_waitcnt vmcnt(0)
	v_lshlrev_b32_e32 v34, 16, v34
	v_sub_f32_e32 v34, v34, v35
	v_mul_f32_e32 v34, v52, v34
	v_lshrrev_b32_e32 v45, 16, v34
.LBB210_70:
	s_or_b64 exec, exec, s[6:7]
	v_mov_b32_e32 v64, 0
	v_lshlrev_b32_e32 v46, 8, v41
	v_mov_b32_e32 v47, 0
	s_and_saveexec_b64 s[6:7], s[4:5]
	s_cbranch_execz .LBB210_72
; %bb.71:
	v_mov_b32_e32 v47, 0
	v_lshl_add_u64 v[34:35], v[38:39], 0, v[46:47]
	global_load_ushort v34, v[34:35], off
	s_waitcnt vmcnt(0)
	v_lshlrev_b32_e32 v34, 16, v34
	v_sub_f32_e32 v34, v34, v36
	v_mul_f32_e32 v34, v62, v34
	v_lshrrev_b32_e32 v47, 16, v34
.LBB210_72:
	s_or_b64 exec, exec, s[6:7]
	v_lshlrev_b32_e32 v40, 8, v63
	s_and_saveexec_b64 s[6:7], vcc
	s_cbranch_execz .LBB210_74
; %bb.73:
	v_mov_b32_e32 v41, 0
	v_lshl_add_u64 v[34:35], v[38:39], 0, v[40:41]
	global_load_ushort v34, v[34:35], off
	s_waitcnt vmcnt(0)
	v_lshlrev_b32_e32 v34, 16, v34
	v_sub_f32_e32 v34, v34, v37
	v_mul_f32_e32 v34, v49, v34
	v_lshrrev_b32_e32 v64, 16, v34
.LBB210_74:
	s_or_b64 exec, exec, s[6:7]
	v_lshlrev_b32_e32 v63, 6, v48
	v_accvgpr_read_b32 v37, a11
	s_mov_b32 s6, 0x5040100
	v_or_b32_e32 v41, v63, v57
	v_accvgpr_read_b32 v36, a10
	v_accvgpr_read_b32 v35, a9
	v_accvgpr_read_b32 v34, a8
	v_perm_b32 v65, v64, v47, s6
	v_perm_b32 v64, v45, v43, s6
	v_lshlrev_b32_e32 v41, 1, v41
	v_mov_b32_e32 v45, 0
	v_mov_b32_e32 v43, 0
	ds_write_b64 v41, v[64:65] offset:24576
	s_and_saveexec_b64 s[6:7], s[0:1]
	s_cbranch_execz .LBB210_76
; %bb.75:
	v_mov_b32_e32 v43, 0
	v_lshl_add_u64 v[64:65], v[38:39], 0, v[42:43]
	global_load_ushort v41, v[64:65], off offset:32
	s_waitcnt vmcnt(0)
	v_lshlrev_b32_e32 v41, 16, v41
	v_sub_f32_e32 v34, v41, v34
	v_mul_f32_e32 v34, v53, v34
	v_lshrrev_b32_e32 v43, 16, v34
.LBB210_76:
	s_or_b64 exec, exec, s[6:7]
	s_and_saveexec_b64 s[6:7], s[2:3]
	s_cbranch_execz .LBB210_78
; %bb.77:
	v_mov_b32_e32 v45, 0
	v_lshl_add_u64 v[64:65], v[38:39], 0, v[44:45]
	global_load_ushort v34, v[64:65], off offset:32
	s_waitcnt vmcnt(0)
	v_lshlrev_b32_e32 v34, 16, v34
	v_sub_f32_e32 v34, v34, v35
	v_mul_f32_e32 v34, v52, v34
	v_lshrrev_b32_e32 v45, 16, v34
.LBB210_78:
	s_or_b64 exec, exec, s[6:7]
	v_mov_b32_e32 v41, 0
	v_mov_b32_e32 v47, 0
	s_and_saveexec_b64 s[6:7], s[4:5]
	s_cbranch_execz .LBB210_80
; %bb.79:
	v_mov_b32_e32 v47, 0
	v_lshl_add_u64 v[34:35], v[38:39], 0, v[46:47]
	global_load_ushort v34, v[34:35], off offset:32
	s_waitcnt vmcnt(0)
	v_lshlrev_b32_e32 v34, 16, v34
	v_sub_f32_e32 v34, v34, v36
	v_mul_f32_e32 v34, v62, v34
	v_lshrrev_b32_e32 v47, 16, v34
.LBB210_80:
	s_or_b64 exec, exec, s[6:7]
	s_and_saveexec_b64 s[6:7], vcc
	s_cbranch_execz .LBB210_82
; %bb.81:
	v_mov_b32_e32 v41, 0
	v_lshl_add_u64 v[34:35], v[38:39], 0, v[40:41]
	global_load_ushort v34, v[34:35], off offset:32
	s_waitcnt vmcnt(0)
	v_lshlrev_b32_e32 v34, 16, v34
	v_sub_f32_e32 v34, v34, v37
	v_mul_f32_e32 v34, v49, v34
	v_lshrrev_b32_e32 v41, 16, v34
.LBB210_82:
	s_or_b64 exec, exec, s[6:7]
	s_mov_b32 s6, 0x5040100
	v_accvgpr_read_b32 v37, a7
	v_perm_b32 v65, v41, v47, s6
	v_or_b32_e32 v41, v63, v55
	v_accvgpr_read_b32 v36, a6
	v_accvgpr_read_b32 v35, a5
	v_accvgpr_read_b32 v34, a4
	v_perm_b32 v64, v45, v43, s6
	v_lshlrev_b32_e32 v41, 1, v41
	v_mov_b32_e32 v45, 0
	v_mov_b32_e32 v43, 0
	ds_write_b64 v41, v[64:65] offset:24576
	s_and_saveexec_b64 s[6:7], s[0:1]
	s_cbranch_execz .LBB210_84
; %bb.83:
	v_mov_b32_e32 v43, 0
	v_lshl_add_u64 v[64:65], v[38:39], 0, v[42:43]
	global_load_ushort v41, v[64:65], off offset:64
	s_waitcnt vmcnt(0)
	v_lshlrev_b32_e32 v41, 16, v41
	v_sub_f32_e32 v34, v41, v34
	v_mul_f32_e32 v34, v53, v34
	v_lshrrev_b32_e32 v43, 16, v34
.LBB210_84:
	s_or_b64 exec, exec, s[6:7]
	s_and_saveexec_b64 s[6:7], s[2:3]
	s_cbranch_execz .LBB210_86
; %bb.85:
	v_mov_b32_e32 v45, 0
	v_lshl_add_u64 v[64:65], v[38:39], 0, v[44:45]
	global_load_ushort v34, v[64:65], off offset:64
	s_waitcnt vmcnt(0)
	v_lshlrev_b32_e32 v34, 16, v34
	v_sub_f32_e32 v34, v34, v35
	v_mul_f32_e32 v34, v52, v34
	v_lshrrev_b32_e32 v45, 16, v34
.LBB210_86:
	s_or_b64 exec, exec, s[6:7]
	v_mov_b32_e32 v41, 0
	v_mov_b32_e32 v47, 0
	s_and_saveexec_b64 s[6:7], s[4:5]
	s_cbranch_execz .LBB210_88
; %bb.87:
	v_mov_b32_e32 v47, 0
	v_lshl_add_u64 v[34:35], v[38:39], 0, v[46:47]
	global_load_ushort v34, v[34:35], off offset:64
	s_waitcnt vmcnt(0)
	v_lshlrev_b32_e32 v34, 16, v34
	v_sub_f32_e32 v34, v34, v36
	v_mul_f32_e32 v34, v62, v34
	v_lshrrev_b32_e32 v47, 16, v34
.LBB210_88:
	s_or_b64 exec, exec, s[6:7]
	s_and_saveexec_b64 s[6:7], vcc
	s_cbranch_execz .LBB210_90
; %bb.89:
	v_mov_b32_e32 v41, 0
	v_lshl_add_u64 v[34:35], v[38:39], 0, v[40:41]
	global_load_ushort v34, v[34:35], off offset:64
	s_waitcnt vmcnt(0)
	v_lshlrev_b32_e32 v34, 16, v34
	v_sub_f32_e32 v34, v34, v37
	v_mul_f32_e32 v34, v49, v34
	v_lshrrev_b32_e32 v41, 16, v34
.LBB210_90:
	s_or_b64 exec, exec, s[6:7]
	s_mov_b32 s6, 0x5040100
	v_accvgpr_read_b32 v37, a3
	v_perm_b32 v65, v41, v47, s6
	v_or_b32_e32 v41, v63, v54
	v_accvgpr_read_b32 v36, a2
	v_accvgpr_read_b32 v35, a1
	;; [unrolled: 1-line block ×3, first 2 shown]
	v_perm_b32 v64, v45, v43, s6
	v_lshlrev_b32_e32 v41, 1, v41
	v_mov_b32_e32 v45, 0
	v_mov_b32_e32 v43, 0
	ds_write_b64 v41, v[64:65] offset:24576
	s_and_saveexec_b64 s[6:7], s[0:1]
	s_cbranch_execz .LBB210_92
; %bb.91:
	v_mov_b32_e32 v43, 0
	v_lshl_add_u64 v[42:43], v[38:39], 0, v[42:43]
	global_load_ushort v41, v[42:43], off offset:96
	s_waitcnt vmcnt(0)
	v_lshlrev_b32_e32 v41, 16, v41
	v_sub_f32_e32 v34, v41, v34
	v_mul_f32_e32 v34, v53, v34
	v_lshrrev_b32_e32 v43, 16, v34
.LBB210_92:
	s_or_b64 exec, exec, s[6:7]
	s_and_saveexec_b64 s[0:1], s[2:3]
	s_cbranch_execz .LBB210_94
; %bb.93:
	v_mov_b32_e32 v45, 0
	v_lshl_add_u64 v[44:45], v[38:39], 0, v[44:45]
	global_load_ushort v34, v[44:45], off offset:96
	s_waitcnt vmcnt(0)
	v_lshlrev_b32_e32 v34, 16, v34
	v_sub_f32_e32 v34, v34, v35
	v_mul_f32_e32 v34, v52, v34
	v_lshrrev_b32_e32 v45, 16, v34
.LBB210_94:
	s_or_b64 exec, exec, s[0:1]
	v_mov_b32_e32 v41, 0
	v_mov_b32_e32 v44, 0
	s_and_saveexec_b64 s[0:1], s[4:5]
	s_cbranch_execz .LBB210_96
; %bb.95:
	v_mov_b32_e32 v47, 0
	v_lshl_add_u64 v[34:35], v[38:39], 0, v[46:47]
	global_load_ushort v34, v[34:35], off offset:96
	s_waitcnt vmcnt(0)
	v_lshlrev_b32_e32 v34, 16, v34
	v_sub_f32_e32 v34, v34, v36
	v_mul_f32_e32 v34, v62, v34
	v_lshrrev_b32_e32 v44, 16, v34
.LBB210_96:
	s_or_b64 exec, exec, s[0:1]
	v_or_b32_e32 v34, 0x6000, v58
	v_or_b32_e32 v35, 0x6000, v59
	;; [unrolled: 1-line block ×4, first 2 shown]
	s_and_saveexec_b64 s[0:1], vcc
	s_cbranch_execz .LBB210_98
; %bb.97:
	v_mov_b32_e32 v41, 0
	v_lshl_add_u64 v[38:39], v[38:39], 0, v[40:41]
	global_load_ushort v38, v[38:39], off offset:96
	s_waitcnt vmcnt(0)
	v_lshlrev_b32_e32 v38, 16, v38
	v_sub_f32_e32 v37, v38, v37
	v_mul_f32_e32 v37, v49, v37
	v_lshrrev_b32_e32 v41, 16, v37
.LBB210_98:
	s_or_b64 exec, exec, s[0:1]
	s_mov_b32 s0, 0x5040100
	v_or_b32_e32 v37, v63, v51
	v_perm_b32 v39, v41, v44, s0
	v_perm_b32 v38, v45, v43, s0
	v_lshlrev_b32_e32 v37, 1, v37
	ds_write_b64 v37, v[38:39] offset:24576
	v_and_b32_e32 v37, 7, v0
	v_lshlrev_b32_e32 v49, 3, v37
	v_lshlrev_b32_e32 v79, 7, v37
	v_lshrrev_b32_e32 v37, 1, v0
	v_and_b32_e32 v37, 24, v37
	v_lshlrev_b32_e32 v51, 3, v1
	s_mul_i32 s0, s18, s17
	v_and_b32_e32 v43, 8, v0
	s_movk_i32 s4, 0x100
	v_xor_b32_e32 v76, v51, v37
	s_add_u32 s2, s0, s33
	v_cmp_eq_u32_e32 vcc, 0, v43
	v_cmp_gt_u32_e64 s[0:1], s4, v0
	v_or_b32_e32 v0, 0x440, v76
	v_mov_b32_e32 v44, 0x400
	v_cndmask_b32_e32 v0, v0, v76, vcc
	v_cndmask_b32_e64 v43, v44, 64, vcc
	v_mov_b32_e32 v44, 0xa000
	v_mov_b32_e32 v45, 0x8000
	v_or_b32_e32 v0, v0, v56
	v_cndmask_b32_e64 v57, v44, v45, s[0:1]
	v_xor_b32_e32 v92, v0, v49
	v_add3_u32 v0, v57, v92, v79
	s_waitcnt lgkmcnt(0)
	s_barrier
	ds_read_b64 v[58:59], v0
	v_or_b32_e32 v0, 32, v37
	v_xor_b32_e32 v0, v51, v0
	v_or_b32_e32 v44, 0x440, v0
	s_mul_hi_i32 s3, s18, s17
	v_cndmask_b32_e32 v0, v44, v0, vcc
	v_or_b32_e32 v0, v0, v56
	s_addc_u32 s3, s3, s46
	v_xor_b32_e32 v93, v0, v49
	s_lshl_b64 s[0:1], s[2:3], 9
	v_add3_u32 v0, v57, v93, v79
	s_add_u32 s0, s20, s0
	ds_read_b64 v[74:75], v0
	s_addc_u32 s1, s21, s1
	v_lshlrev_b32_e32 v0, 2, v48
	global_load_dwordx4 v[52:55], v0, s[0:1]
	v_or_b32_e32 v37, 0x60, v37
	v_xor_b32_e32 v37, v51, v37
	v_xor_b32_e32 v48, 0x440, v37
	v_cndmask_b32_e32 v37, v48, v37, vcc
	v_or_b32_e32 v37, v37, v56
	v_xor_b32_e32 v95, v37, v49
	v_lshlrev_b32_e32 v1, 6, v1
	v_lshlrev_b32_e32 v37, 2, v50
	v_or3_b32 v43, v56, v43, v76
	v_or3_b32 v1, v1, v37, s4
	v_xor_b32_e32 v43, v43, v49
	global_load_dwordx4 v[48:51], v1, s[0:1]
	ds_read2_b64 v[38:41], v34 offset1:16
	ds_read2_b64 v[44:47], v34 offset0:32 offset1:48
	s_waitcnt lgkmcnt(1)
	v_mfma_f32_16x16x16_bf16 a[0:3], v[58:59], v[38:39], 0
	ds_read2st64_b64 v[62:65], v35 offset0:4 offset1:8
	ds_read2st64_b64 v[66:69], v36 offset0:4 offset1:8
	;; [unrolled: 1-line block ×3, first 2 shown]
	v_mfma_f32_16x16x16_bf16 a[4:7], v[58:59], v[40:41], 0
	v_or_b32_e32 v94, v43, v79
	v_or_b32_e32 v43, v57, v94
	v_add3_u32 v1, v57, v95, v79
	s_waitcnt lgkmcnt(3)
	v_mfma_f32_16x16x16_bf16 a[8:11], v[58:59], v[44:45], 0
	ds_read_b64 v[56:57], v1
	v_mov_b32_e32 v0, 0x3fb8aa3b
	v_mul_f32_e32 v0, s16, v0
	v_mfma_f32_16x16x16_bf16 a[12:15], v[58:59], v[46:47], 0
	ds_read2st64_b64 v[58:61], v34 offset0:4 offset1:8
	v_exp_f32_e32 v0, v0
	s_waitcnt vmcnt(1)
	v_mul_f32_e32 v1, 0x3fb8aa3b, v52
	s_waitcnt lgkmcnt(0)
	v_mfma_f32_16x16x16_bf16 a[0:3], v[74:75], v[58:59], a[0:3]
	v_mfma_f32_16x16x16_bf16 a[4:7], v[74:75], v[62:63], a[4:7]
	;; [unrolled: 1-line block ×4, first 2 shown]
	ds_read_b64 v[74:75], v43
	ds_read_b64 v[76:77], v34 offset:6144
	ds_read_b64 v[88:89], v35 offset:6144
	;; [unrolled: 1-line block ×4, first 2 shown]
	v_exp_f32_e32 v34, v1
	v_mul_f32_e32 v1, 0x3fb8aa3b, v53
	v_exp_f32_e32 v35, v1
	v_mul_f32_e32 v1, 0x3fb8aa3b, v54
	;; [unrolled: 2-line block ×3, first 2 shown]
	v_exp_f32_e32 v37, v1
	s_waitcnt lgkmcnt(4)
	v_mfma_f32_16x16x16_bf16 a[0:3], v[74:75], v[60:61], a[0:3]
	v_pk_mul_f32 v[34:35], v[0:1], v[34:35] op_sel_hi:[0,1]
	v_pk_mul_f32 v[22:23], v[22:23], v[34:35]
	v_pk_mul_f32 v[36:37], v[0:1], v[36:37] op_sel_hi:[0,1]
	v_add_u32_e32 v1, v92, v79
	ds_read_b64 v[52:53], v1 offset:40960
	v_mfma_f32_16x16x16_bf16 a[12:15], v[74:75], v[72:73], a[12:15]
	v_add_u32_e32 v1, v93, v79
	v_pk_mul_f32 v[24:25], v[24:25], v[36:37]
	v_pk_mul_f32 v[26:27], v[34:35], v[26:27]
	v_mfma_f32_16x16x16_bf16 a[4:7], v[74:75], v[64:65], a[4:7]
	v_pk_mul_f32 v[28:29], v[36:37], v[28:29]
	v_pk_mul_f32 v[30:31], v[34:35], v[30:31]
	;; [unrolled: 1-line block ×3, first 2 shown]
	v_mfma_f32_16x16x16_bf16 a[8:11], v[74:75], v[68:69], a[8:11]
	v_add_u32_e32 v74, v95, v79
	s_waitcnt lgkmcnt(4)
	v_mfma_f32_16x16x16_bf16 a[0:3], v[56:57], v[76:77], a[0:3]
	s_waitcnt lgkmcnt(1)
	v_mfma_f32_16x16x16_bf16 a[12:15], v[56:57], v[42:43], a[12:15]
	v_mfma_f32_16x16x16_bf16 a[4:7], v[56:57], v[88:89], a[4:7]
	;; [unrolled: 1-line block ×3, first 2 shown]
	ds_read_b64 v[56:57], v1 offset:40960
	ds_read_b64 v[74:75], v74 offset:40960
	s_nop 0
	v_accvgpr_read_b32 v1, a0
	v_add_f32_e32 v22, v22, v1
	v_accvgpr_read_b32 v1, a1
	v_accvgpr_read_b32 v55, a15
	;; [unrolled: 1-line block ×3, first 2 shown]
	s_waitcnt lgkmcnt(2)
	v_mfma_f32_16x16x16_bf16 a[14:17], v[52:53], v[38:39], 0
	v_add_f32_e32 v23, v23, v1
	v_accvgpr_read_b32 v1, a2
	ds_read_b64 v[38:39], v94 offset:40960
	v_add_f32_e32 v24, v24, v1
	v_accvgpr_read_b32 v1, a3
	v_add_f32_e32 v25, v25, v1
	v_accvgpr_read_b32 v1, a4
	;; [unrolled: 2-line block ×4, first 2 shown]
	v_mfma_f32_16x16x16_bf16 a[18:21], v[52:53], v[40:41], 0
	v_add_f32_e32 v28, v28, v1
	v_accvgpr_read_b32 v1, a7
	v_add_f32_e32 v29, v29, v1
	s_waitcnt lgkmcnt(2)
	v_mfma_f32_16x16x16_bf16 a[14:17], v[56:57], v[58:59], a[14:17]
	v_accvgpr_read_b32 v1, a8
	v_add_f32_e32 v30, v30, v1
	v_accvgpr_read_b32 v1, a9
	v_add_f32_e32 v31, v31, v1
	v_accvgpr_read_b32 v1, a10
	v_accvgpr_read_b32 v41, a13
	v_mfma_f32_16x16x16_bf16 a[22:25], v[52:53], v[44:45], 0
	v_add_f32_e32 v32, v32, v1
	v_accvgpr_read_b32 v1, a11
	v_accvgpr_read_b32 v40, a12
	v_mfma_f32_16x16x16_bf16 a[0:3], v[52:53], v[46:47], 0
	v_add_f32_e32 v33, v33, v1
	v_pk_fma_f32 v[6:7], v[34:35], v[6:7], v[40:41]
	v_pk_fma_f32 v[8:9], v[36:37], v[8:9], v[54:55]
	v_mfma_f32_16x16x16_bf16 a[4:7], v[56:57], v[62:63], a[18:21]
	s_waitcnt vmcnt(0)
	v_mov_b32_e32 v34, v49
	v_mul_f32_e32 v1, 0x3fb8aa3b, v48
	v_mov_b32_e32 v35, v50
	s_waitcnt lgkmcnt(0)
	v_mfma_f32_16x16x16_bf16 a[8:11], v[38:39], v[60:61], a[14:17]
	v_exp_f32_e32 v40, v1
	v_mul_f32_e32 v1, 0x3fb8aa3b, v34
	v_mov_b32_e32 v36, v51
	v_exp_f32_e32 v41, v1
	v_mul_f32_e32 v1, 0x3fb8aa3b, v35
	v_mfma_f32_16x16x16_bf16 a[18:21], v[56:57], v[66:67], a[22:25]
	v_exp_f32_e32 v34, v1
	v_mul_f32_e32 v1, 0x3fb8aa3b, v36
	v_exp_f32_e32 v35, v1
	v_mfma_f32_16x16x16_bf16 a[0:3], v[56:57], v[70:71], a[0:3]
	v_pk_mul_f32 v[36:37], v[0:1], v[40:41] op_sel_hi:[0,1]
	v_pk_mul_f32 v[10:11], v[10:11], v[36:37]
	v_pk_mul_f32 v[0:1], v[0:1], v[34:35] op_sel_hi:[0,1]
	v_mfma_f32_16x16x16_bf16 a[4:7], v[38:39], v[64:65], a[4:7]
	v_pk_mul_f32 v[12:13], v[12:13], v[0:1]
	v_pk_mul_f32 v[14:15], v[36:37], v[14:15]
	;; [unrolled: 1-line block ×3, first 2 shown]
	v_mfma_f32_16x16x16_bf16 a[8:11], v[74:75], v[76:77], a[8:11]
	v_pk_mul_f32 v[18:19], v[36:37], v[18:19]
	v_pk_mul_f32 v[20:21], v[0:1], v[20:21]
	v_mfma_f32_16x16x16_bf16 a[12:15], v[38:39], v[68:69], a[18:21]
	v_mfma_f32_16x16x16_bf16 a[0:3], v[38:39], v[72:73], a[0:3]
	s_nop 2
	v_accvgpr_read_b32 v38, a8
	v_add_f32_e32 v10, v10, v38
	v_accvgpr_read_b32 v38, a9
	v_mfma_f32_16x16x16_bf16 a[4:7], v[74:75], v[88:89], a[4:7]
	v_add_f32_e32 v11, v11, v38
	v_accvgpr_read_b32 v38, a10
	v_add_f32_e32 v12, v12, v38
	v_accvgpr_read_b32 v38, a11
	v_mfma_f32_16x16x16_bf16 a[12:15], v[74:75], v[90:91], a[12:15]
	v_add_f32_e32 v13, v13, v38
	s_nop 0
	v_accvgpr_read_b32 v38, a4
	v_add_f32_e32 v14, v14, v38
	v_accvgpr_read_b32 v38, a5
	v_add_f32_e32 v15, v15, v38
	;; [unrolled: 2-line block ×3, first 2 shown]
	v_accvgpr_read_b32 v38, a7
	v_mfma_f32_16x16x16_bf16 a[0:3], v[74:75], v[42:43], a[0:3]
	v_add_f32_e32 v17, v17, v38
	v_accvgpr_read_b32 v38, a12
	v_add_f32_e32 v18, v18, v38
	v_accvgpr_read_b32 v38, a13
	;; [unrolled: 2-line block ×5, first 2 shown]
	v_accvgpr_read_b32 v35, a3
	v_accvgpr_read_b32 v34, a2
	;; [unrolled: 1-line block ×3, first 2 shown]
	v_pk_fma_f32 v[2:3], v[36:37], v[2:3], v[38:39]
	v_pk_fma_f32 v[4:5], v[0:1], v[4:5], v[34:35]
.LBB210_99:
	s_add_u32 s0, s12, s14
	s_addc_u32 s1, s13, s15
	v_lshl_add_u64 v[0:1], v[80:81], 2, s[0:1]
	v_mov_b32_e32 v79, 0
	v_lshl_add_u64 v[0:1], v[0:1], 0, v[78:79]
	s_waitcnt vmcnt(7)
	global_store_dwordx4 v[0:1], v[22:25], off
	s_waitcnt vmcnt(7)
	global_store_dwordx4 v[0:1], v[10:13], off offset:256
	v_lshl_add_u64 v[0:1], v[82:83], 2, s[0:1]
	v_lshl_add_u64 v[0:1], v[0:1], 0, v[78:79]
	s_waitcnt vmcnt(7)
	global_store_dwordx4 v[0:1], v[26:29], off
	s_waitcnt vmcnt(7)
	global_store_dwordx4 v[0:1], v[14:17], off offset:256
	v_lshl_add_u64 v[0:1], v[86:87], 2, s[0:1]
	;; [unrolled: 6-line block ×3, first 2 shown]
	v_lshl_add_u64 v[0:1], v[0:1], 0, v[78:79]
	s_waitcnt vmcnt(7)
	global_store_dwordx4 v[0:1], v[6:9], off
	s_waitcnt vmcnt(7)
	global_store_dwordx4 v[0:1], v[2:5], off offset:256
	s_endpgm
	.section	.rodata,"a",@progbits
	.p2align	6, 0x0
	.amdhsa_kernel _ZN12_GLOBAL__N_139chunk_gated_delta_rule_fwd_h_hip_kernelILi64ELb1ELb1ELb0ELb1ELb0ELb1ELb0ELb0EEEvPK12hip_bfloat16S3_S3_PKfS5_PKvPS1_S8_PvPKiSB_iiiiilll
		.amdhsa_group_segment_fixed_size 65536
		.amdhsa_private_segment_fixed_size 0
		.amdhsa_kernarg_size 136
		.amdhsa_user_sgpr_count 2
		.amdhsa_user_sgpr_dispatch_ptr 0
		.amdhsa_user_sgpr_queue_ptr 0
		.amdhsa_user_sgpr_kernarg_segment_ptr 1
		.amdhsa_user_sgpr_dispatch_id 0
		.amdhsa_user_sgpr_kernarg_preload_length 0
		.amdhsa_user_sgpr_kernarg_preload_offset 0
		.amdhsa_user_sgpr_private_segment_size 0
		.amdhsa_uses_dynamic_stack 0
		.amdhsa_enable_private_segment 0
		.amdhsa_system_sgpr_workgroup_id_x 1
		.amdhsa_system_sgpr_workgroup_id_y 1
		.amdhsa_system_sgpr_workgroup_id_z 0
		.amdhsa_system_sgpr_workgroup_info 0
		.amdhsa_system_vgpr_workitem_id 0
		.amdhsa_next_free_vgpr 240
		.amdhsa_next_free_sgpr 67
		.amdhsa_accum_offset 200
		.amdhsa_reserve_vcc 1
		.amdhsa_float_round_mode_32 0
		.amdhsa_float_round_mode_16_64 0
		.amdhsa_float_denorm_mode_32 3
		.amdhsa_float_denorm_mode_16_64 3
		.amdhsa_dx10_clamp 1
		.amdhsa_ieee_mode 1
		.amdhsa_fp16_overflow 0
		.amdhsa_tg_split 0
		.amdhsa_exception_fp_ieee_invalid_op 0
		.amdhsa_exception_fp_denorm_src 0
		.amdhsa_exception_fp_ieee_div_zero 0
		.amdhsa_exception_fp_ieee_overflow 0
		.amdhsa_exception_fp_ieee_underflow 0
		.amdhsa_exception_fp_ieee_inexact 0
		.amdhsa_exception_int_div_zero 0
	.end_amdhsa_kernel
	.section	.text._ZN12_GLOBAL__N_139chunk_gated_delta_rule_fwd_h_hip_kernelILi64ELb1ELb1ELb0ELb1ELb0ELb1ELb0ELb0EEEvPK12hip_bfloat16S3_S3_PKfS5_PKvPS1_S8_PvPKiSB_iiiiilll,"axG",@progbits,_ZN12_GLOBAL__N_139chunk_gated_delta_rule_fwd_h_hip_kernelILi64ELb1ELb1ELb0ELb1ELb0ELb1ELb0ELb0EEEvPK12hip_bfloat16S3_S3_PKfS5_PKvPS1_S8_PvPKiSB_iiiiilll,comdat
.Lfunc_end210:
	.size	_ZN12_GLOBAL__N_139chunk_gated_delta_rule_fwd_h_hip_kernelILi64ELb1ELb1ELb0ELb1ELb0ELb1ELb0ELb0EEEvPK12hip_bfloat16S3_S3_PKfS5_PKvPS1_S8_PvPKiSB_iiiiilll, .Lfunc_end210-_ZN12_GLOBAL__N_139chunk_gated_delta_rule_fwd_h_hip_kernelILi64ELb1ELb1ELb0ELb1ELb0ELb1ELb0ELb0EEEvPK12hip_bfloat16S3_S3_PKfS5_PKvPS1_S8_PvPKiSB_iiiiilll
                                        ; -- End function
	.section	.AMDGPU.csdata,"",@progbits
; Kernel info:
; codeLenInByte = 12552
; NumSgprs: 73
; NumVgprs: 198
; NumAgprs: 40
; TotalNumVgprs: 240
; ScratchSize: 0
; MemoryBound: 0
; FloatMode: 240
; IeeeMode: 1
; LDSByteSize: 65536 bytes/workgroup (compile time only)
; SGPRBlocks: 9
; VGPRBlocks: 29
; NumSGPRsForWavesPerEU: 73
; NumVGPRsForWavesPerEU: 240
; AccumOffset: 200
; Occupancy: 1
; WaveLimiterHint : 1
; COMPUTE_PGM_RSRC2:SCRATCH_EN: 0
; COMPUTE_PGM_RSRC2:USER_SGPR: 2
; COMPUTE_PGM_RSRC2:TRAP_HANDLER: 0
; COMPUTE_PGM_RSRC2:TGID_X_EN: 1
; COMPUTE_PGM_RSRC2:TGID_Y_EN: 1
; COMPUTE_PGM_RSRC2:TGID_Z_EN: 0
; COMPUTE_PGM_RSRC2:TIDIG_COMP_CNT: 0
; COMPUTE_PGM_RSRC3_GFX90A:ACCUM_OFFSET: 49
; COMPUTE_PGM_RSRC3_GFX90A:TG_SPLIT: 0
	.section	.text._ZN12_GLOBAL__N_139chunk_gated_delta_rule_fwd_h_hip_kernelILi64ELb1ELb0ELb1ELb1ELb0ELb1ELb0ELb0EEEvPK12hip_bfloat16S3_S3_PKfS5_PKvPS1_S8_PvPKiSB_iiiiilll,"axG",@progbits,_ZN12_GLOBAL__N_139chunk_gated_delta_rule_fwd_h_hip_kernelILi64ELb1ELb0ELb1ELb1ELb0ELb1ELb0ELb0EEEvPK12hip_bfloat16S3_S3_PKfS5_PKvPS1_S8_PvPKiSB_iiiiilll,comdat
	.globl	_ZN12_GLOBAL__N_139chunk_gated_delta_rule_fwd_h_hip_kernelILi64ELb1ELb0ELb1ELb1ELb0ELb1ELb0ELb0EEEvPK12hip_bfloat16S3_S3_PKfS5_PKvPS1_S8_PvPKiSB_iiiiilll ; -- Begin function _ZN12_GLOBAL__N_139chunk_gated_delta_rule_fwd_h_hip_kernelILi64ELb1ELb0ELb1ELb1ELb0ELb1ELb0ELb0EEEvPK12hip_bfloat16S3_S3_PKfS5_PKvPS1_S8_PvPKiSB_iiiiilll
	.p2align	8
	.type	_ZN12_GLOBAL__N_139chunk_gated_delta_rule_fwd_h_hip_kernelILi64ELb1ELb0ELb1ELb1ELb0ELb1ELb0ELb0EEEvPK12hip_bfloat16S3_S3_PKfS5_PKvPS1_S8_PvPKiSB_iiiiilll,@function
_ZN12_GLOBAL__N_139chunk_gated_delta_rule_fwd_h_hip_kernelILi64ELb1ELb0ELb1ELb1ELb0ELb1ELb0ELb0EEEvPK12hip_bfloat16S3_S3_PKfS5_PKvPS1_S8_PvPKiSB_iiiiilll: ; @_ZN12_GLOBAL__N_139chunk_gated_delta_rule_fwd_h_hip_kernelILi64ELb1ELb0ELb1ELb1ELb0ELb1ELb0ELb0EEEvPK12hip_bfloat16S3_S3_PKfS5_PKvPS1_S8_PvPKiSB_iiiiilll
; %bb.0:
	s_load_dwordx4 s[12:15], s[0:1], 0x5c
	s_load_dwordx4 s[4:7], s[0:1], 0x48
	s_abs_i32 s9, s3
	s_ashr_i32 s8, s3, 31
	v_and_b32_e32 v90, 15, v0
	s_waitcnt lgkmcnt(0)
	s_abs_i32 s10, s13
	v_cvt_f32_u32_e32 v1, s10
	s_sub_i32 s16, 0, s10
	s_ashr_i32 s11, s13, 31
	s_xor_b32 s8, s8, s11
	v_rcp_iflag_f32_e32 v1, v1
	v_lshrrev_b32_e32 v88, 6, v0
	v_bfe_u32 v89, v0, 4, 2
	v_mov_b32_e32 v11, 0
	v_mul_f32_e32 v1, 0x4f7ffffe, v1
	v_cvt_u32_f32_e32 v1, v1
	v_and_b32_e32 v77, 63, v0
	v_lshrrev_b32_e32 v92, 3, v77
	v_lshlrev_b32_e32 v91, 3, v0
	v_readfirstlane_b32 s17, v1
	s_mul_i32 s16, s16, s17
	s_mul_hi_u32 s16, s17, s16
	s_add_i32 s17, s17, s16
	s_mul_hi_u32 s16, s9, s17
	s_mul_i32 s17, s16, s10
	s_sub_i32 s9, s9, s17
	s_add_i32 s18, s16, 1
	s_sub_i32 s17, s9, s10
	s_cmp_ge_u32 s9, s10
	s_cselect_b32 s16, s18, s16
	s_cselect_b32 s9, s17, s9
	s_add_i32 s17, s16, 1
	s_cmp_ge_u32 s9, s10
	s_cselect_b32 s9, s17, s16
	s_xor_b32 s9, s9, s8
	s_sub_i32 s20, s9, s8
	s_mul_i32 s24, s20, s13
	s_ashr_i32 s21, s20, 31
	s_sub_i32 s49, s3, s24
	s_lshl_b64 s[8:9], s[20:21], 2
	s_add_u32 s4, s4, s8
	s_addc_u32 s5, s5, s9
	s_add_u32 s22, s6, s8
	s_addc_u32 s23, s7, s9
	s_abs_i32 s3, s14
	v_cvt_f32_u32_e32 v1, s3
	s_load_dwordx2 s[34:35], s[4:5], 0x0
	s_lshl_b32 s40, s2, 6
	s_ashr_i32 s2, s14, 31
	v_rcp_iflag_f32_e32 v1, v1
	s_xor_b32 s2, s11, s2
	s_waitcnt lgkmcnt(0)
	s_sub_i32 s52, s35, s34
	s_ashr_i32 s4, s52, 31
	v_mul_f32_e32 v1, 0x4f7ffffe, v1
	v_cvt_u32_f32_e32 v1, v1
	s_lshr_b32 s4, s4, 26
	s_add_i32 s4, s52, s4
	s_ashr_i32 s51, s4, 6
	s_sub_i32 s4, 0, s3
	v_readfirstlane_b32 s5, v1
	s_mul_i32 s4, s4, s5
	s_mul_hi_u32 s4, s5, s4
	s_add_i32 s5, s5, s4
	s_mul_hi_u32 s4, s10, s5
	s_mul_i32 s5, s4, s3
	s_sub_i32 s5, s10, s5
	s_add_i32 s6, s4, 1
	s_sub_i32 s7, s5, s3
	s_cmp_ge_u32 s5, s3
	s_cselect_b32 s4, s6, s4
	s_cselect_b32 s5, s7, s5
	s_add_i32 s6, s4, 1
	s_cmp_ge_u32 s5, s3
	s_cselect_b32 s3, s6, s4
	s_xor_b32 s3, s3, s2
	s_sub_i32 s2, s3, s2
	s_abs_i32 s3, s2
	v_cvt_f32_u32_e32 v1, s3
	s_sub_i32 s5, 0, s3
	s_abs_i32 s4, s49
	s_xor_b32 s2, s49, s2
	v_rcp_iflag_f32_e32 v1, v1
	s_ashr_i32 s2, s2, 31
	s_load_dwordx4 s[16:19], s[0:1], 0x28
	s_load_dwordx2 s[28:29], s[0:1], 0x38
	v_or_b32_e32 v78, s40, v90
	v_mul_f32_e32 v1, 0x4f7ffffe, v1
	v_cvt_u32_f32_e32 v1, v1
	v_lshlrev_b32_e32 v2, 7, v78
	v_ashrrev_i32_e32 v3, 31, v2
	s_mul_hi_i32 s55, s49, s12
	v_readfirstlane_b32 s6, v1
	s_mul_i32 s5, s5, s6
	s_mul_hi_u32 s5, s6, s5
	s_add_i32 s6, s6, s5
	s_mul_hi_u32 s5, s4, s6
	s_mul_i32 s6, s5, s3
	s_sub_i32 s4, s4, s6
	s_add_i32 s6, s5, 1
	s_sub_i32 s7, s4, s3
	s_cmp_ge_u32 s4, s3
	s_cselect_b32 s5, s6, s5
	s_cselect_b32 s4, s7, s4
	s_add_i32 s6, s5, 1
	s_cmp_ge_u32 s4, s3
	s_cselect_b32 s3, s6, s5
	s_xor_b32 s3, s3, s2
	s_sub_i32 s53, s3, s2
	s_ashr_i32 s50, s49, 31
	s_mul_hi_i32 s3, s20, s13
	s_add_u32 s2, s24, s49
	s_addc_u32 s3, s3, s50
	s_lshl_b64 s[2:3], s[2:3], 16
	v_lshlrev_b32_e32 v1, 4, v88
	s_waitcnt lgkmcnt(0)
	s_add_u32 s2, s16, s2
	v_lshl_or_b32 v93, v89, 2, v1
	s_addc_u32 s3, s17, s3
	v_lshl_add_u64 v[4:5], v[2:3], 2, s[2:3]
	v_lshlrev_b32_e32 v10, 2, v93
	v_lshl_add_u64 v[4:5], v[4:5], 0, v[10:11]
	global_load_dwordx4 v[22:25], v[4:5], off
	global_load_dwordx4 v[30:33], v[4:5], off offset:256
	v_or_b32_e32 v4, 0x800, v2
	v_ashrrev_i32_e32 v5, 31, v4
	v_lshl_add_u64 v[4:5], v[4:5], 2, s[2:3]
	v_lshl_add_u64 v[4:5], v[4:5], 0, v[10:11]
	global_load_dwordx4 v[14:17], v[4:5], off
	global_load_dwordx4 v[26:29], v[4:5], off offset:256
	v_or_b32_e32 v4, 0x1000, v2
	v_or_b32_e32 v2, 0x1800, v2
	v_ashrrev_i32_e32 v5, 31, v4
	v_ashrrev_i32_e32 v3, 31, v2
	v_lshl_add_u64 v[4:5], v[4:5], 2, s[2:3]
	v_lshl_add_u64 v[2:3], v[2:3], 2, s[2:3]
	;; [unrolled: 1-line block ×4, first 2 shown]
	global_load_dwordx4 v[6:9], v[4:5], off
	global_load_dwordx4 v[18:21], v[4:5], off offset:256
	s_nop 0
	global_load_dwordx4 v[2:5], v[34:35], off
	global_load_dwordx4 v[10:13], v[34:35], off offset:256
	s_load_dwordx8 s[4:11], s[0:1], 0x0
	s_load_dwordx2 s[30:31], s[0:1], 0x80
	s_load_dwordx4 s[24:27], s[0:1], 0x70
	s_load_dword s54, s[22:23], 0x0
	v_or_b32_e32 v94, 64, v93
	s_cmp_lt_i32 s52, 64
	s_mul_i32 s56, s49, s12
	s_waitcnt lgkmcnt(0)
	s_mul_i32 s33, s20, s25
	s_mul_hi_u32 s45, s20, s24
	s_mul_i32 s44, s21, s24
	s_mul_i32 s38, s20, s24
	;; [unrolled: 1-line block ×3, first 2 shown]
	s_mul_hi_u32 s47, s49, s26
	s_mul_i32 s48, s50, s26
	s_mul_i32 s36, s49, s26
	s_cbranch_scc1 .LBB211_18
; %bb.1:
	s_ashr_i32 s3, s34, 31
	s_add_u32 s2, s56, s34
	s_addc_u32 s3, s55, s3
	s_lshl_b64 s[2:3], s[2:3], 8
	v_and_b32_e32 v96, 56, v91
	s_add_u32 s20, s6, s2
	v_lshl_or_b32 v95, v88, 3, v92
	v_lshlrev_b32_e32 v34, 1, v96
	s_addc_u32 s2, s7, s3
	v_lshl_or_b32 v97, v95, 8, v34
	s_and_b32 s21, s2, 0xffff
	s_mov_b32 s23, 0x20000
	s_movk_i32 s22, 0x4000
	s_movk_i32 s2, 0x80
	v_or_b32_e32 v98, 0x2000, v97
	buffer_load_dwordx4 v[36:39], v97, s[20:23], 0 offen
	buffer_load_dwordx4 v[40:43], v97, s[20:23], s2 offen
	;; [unrolled: 1-line block ×4, first 2 shown]
	v_lshlrev_b32_e32 v35, 3, v95
	v_and_or_b32 v53, v0, 7, v35
	v_and_b32_e32 v35, 0x78, v35
	v_lshlrev_b32_e32 v53, 4, v53
	v_xor_b32_e32 v99, v53, v35
	v_mul_lo_u32 v52, v95, s15
	v_or_b32_e32 v100, 0x1000, v99
	v_xor_b32_e32 v35, 8, v99
	s_cmpk_eq_i32 s15, 0x80
	s_mov_b32 s57, s34
	v_xor_b32_e32 v53, 8, v100
	s_cselect_b64 s[2:3], -1, 0
	s_cmpk_lg_i32 s15, 0x80
	s_waitcnt vmcnt(3)
	ds_write_b64 v99, v[36:37] offset:49152
	ds_write_b64 v35, v[38:39] offset:49152
	s_waitcnt vmcnt(2)
	ds_write_b64 v99, v[40:41] offset:57344
	ds_write_b64 v35, v[42:43] offset:57344
	;; [unrolled: 3-line block ×4, first 2 shown]
	v_lshl_add_u32 v35, v52, 1, v96
	s_cbranch_scc0 .LBB211_3
; %bb.2:
	v_lshlrev_b32_e32 v37, 1, v35
	v_add_lshl_u32 v36, v35, s15, 1
	s_lshl_b32 s22, s15, 7
	s_load_dwordx2 s[16:17], s[0:1], 0x20
	v_lshl_or_b32 v34, v95, 9, v34
	s_cbranch_execz .LBB211_4
	s_branch .LBB211_5
.LBB211_3:
                                        ; implicit-def: $vgpr36
                                        ; implicit-def: $vgpr37
                                        ; implicit-def: $sgpr22
	s_load_dwordx2 s[16:17], s[0:1], 0x20
	v_lshl_or_b32 v34, v95, 9, v34
.LBB211_4:
	v_or_b32_e32 v36, 0x100, v34
	s_movk_i32 s22, 0x4000
	v_mov_b32_e32 v37, v34
.LBB211_5:
	s_mul_i32 s0, s34, s14
	s_ashr_i32 s58, s53, 31
	s_mul_hi_i32 s1, s34, s14
	s_add_u32 s0, s0, s53
	s_addc_u32 s1, s1, s58
	s_lshl_b64 s[0:1], s[0:1], 8
	s_add_u32 s20, s4, s0
	s_addc_u32 s0, s5, s1
	s_and_b32 s21, s0, 0xffff
	s_movk_i32 s59, 0x80
	buffer_load_dwordx4 v[38:41], v37, s[20:23], 0 offen
	buffer_load_dwordx4 v[42:45], v37, s[20:23], s59 offen
	buffer_load_dwordx4 v[46:49], v36, s[20:23], 0 offen
	buffer_load_dwordx4 v[50:53], v36, s[20:23], s59 offen
	v_and_b32_e32 v37, 6, v0
	v_lshlrev_b32_e32 v36, 7, v93
	v_xor_b32_e32 v59, v95, v37
	v_and_b32_e32 v54, 1, v0
	v_lshl_or_b32 v62, v90, 3, v36
	v_lshlrev_b32_e32 v59, 2, v59
	v_lshlrev_b32_e32 v55, 2, v90
	v_or_b32_e32 v101, 0x4000, v62
	v_or_b32_e32 v102, 0x6000, v62
	v_xor_b32_e32 v62, 0x440, v59
	v_cmp_eq_u32_e32 vcc, 0, v54
	v_or_b32_e32 v57, 16, v90
	v_or_b32_e32 v58, 32, v90
	v_xor_b32_e32 v60, v93, v55
	v_xor_b32_e32 v61, v94, v55
	v_cndmask_b32_e32 v54, v62, v59, vcc
	s_mov_b32 s60, 0x1000504
	v_lshl_or_b32 v63, v57, 3, v36
	v_lshlrev_b32_e32 v57, 8, v57
	v_lshl_or_b32 v64, v58, 3, v36
	v_lshlrev_b32_e32 v60, 1, v60
	v_lshlrev_b32_e32 v61, 1, v61
	v_lshl_or_b32 v37, v37, 10, v54
	s_add_i32 s0, s45, s33
	s_mov_b32 s61, 0x3020706
	v_lshlrev_b32_e32 v56, 8, v90
	v_or_b32_e32 v105, 0x4000, v64
	v_or_b32_e32 v106, 0x6000, v64
	v_or_b32_e32 v109, v57, v60
	v_or_b32_e32 v110, v57, v61
	v_xor_b32_e32 v54, 8, v37
	v_xor_b32_e32 v57, 24, v37
	;; [unrolled: 1-line block ×4, first 2 shown]
	s_add_i32 s39, s0, s44
	s_add_i32 s0, s47, s46
	v_or_b32_e32 v103, 0x4000, v63
	v_or_b32_e32 v104, 0x6000, v63
	;; [unrolled: 1-line block ×4, first 2 shown]
	v_xor_b32_e32 v56, 16, v37
	v_xor_b32_e32 v59, 32, v37
	;; [unrolled: 1-line block ×3, first 2 shown]
	v_add_u32_e32 v54, 0x80, v54
	v_add_u32_e32 v57, 0x80, v57
	;; [unrolled: 1-line block ×4, first 2 shown]
	s_add_i32 s37, s0, s48
	s_lshl_b64 s[0:1], s[38:39], 2
	s_add_u32 s20, s10, s0
	s_addc_u32 s21, s11, s1
	s_lshl_b64 s[0:1], s[36:37], 2
	s_add_u32 s42, s20, s0
	s_movk_i32 s0, 0xf8
	s_addc_u32 s43, s21, s1
	s_ashr_i32 s41, s40, 31
	s_lshl_b32 s26, s15, 7
	v_mov_b32_e32 v81, 0
	s_movk_i32 s20, 0x100
	v_lshlrev_b32_e32 v80, 4, v90
	v_ashrrev_i32_e32 v79, 31, v78
	v_lshlrev_b32_e32 v58, 8, v58
	s_mov_b32 s62, 0
	s_movk_i32 s22, 0x4000
	v_or_b32_e32 v111, v58, v60
	v_or_b32_e32 v112, v58, v61
	s_mov_b32 s37, 0x7060302
	s_movk_i32 s39, 0x2000
	v_mov_b32_e32 v146, 0x3fb8aa3b
	s_waitcnt vmcnt(1)
	v_perm_b32 v65, v38, v46, s60
	s_waitcnt vmcnt(0)
	v_perm_b32 v66, v42, v50, s60
	v_perm_b32 v38, v38, v46, s61
	v_perm_b32 v42, v42, v50, s61
	v_perm_b32 v46, v39, v47, s60
	v_perm_b32 v50, v43, v51, s60
	v_perm_b32 v39, v39, v47, s61
	v_perm_b32 v43, v43, v51, s61
	v_perm_b32 v47, v40, v48, s60
	v_perm_b32 v51, v44, v52, s60
	v_perm_b32 v40, v40, v48, s61
	v_perm_b32 v44, v44, v52, s61
	v_perm_b32 v48, v41, v49, s60
	v_perm_b32 v52, v45, v53, s60
	v_perm_b32 v41, v41, v49, s61
	v_perm_b32 v45, v45, v53, s61
	ds_write2st64_b32 v37, v65, v66 offset0:128 offset1:160
	ds_write2st64_b32 v54, v38, v42 offset0:128 offset1:160
	;; [unrolled: 1-line block ×8, first 2 shown]
	v_or_b32_e32 v37, 48, v90
	v_lshl_or_b32 v38, v37, 3, v36
	v_lshlrev_b32_e32 v37, 8, v37
	v_or_b32_e32 v115, v37, v60
	v_or_b32_e32 v116, v37, v61
	;; [unrolled: 1-line block ×3, first 2 shown]
	v_lshlrev_b32_e32 v37, 3, v37
	v_lshrrev_b32_e32 v39, 5, v77
	v_and_or_b32 v39, v37, s0, v39
	v_lshlrev_b32_e32 v39, 4, v39
	v_or_b32_e32 v113, 0x4000, v38
	v_or_b32_e32 v114, 0x6000, v38
	v_lshrrev_b32_e32 v38, 2, v77
	v_lshlrev_b32_e32 v41, 11, v88
	v_and_b32_e32 v37, 0x78, v37
	v_or_b32_e32 v45, 32, v39
	v_and_b32_e32 v40, 12, v38
	v_and_b32_e32 v38, 0x1000, v41
	v_xor_b32_e32 v42, v39, v37
	v_lshrrev_b32_e32 v43, 1, v77
	v_xor_b32_e32 v45, v45, v37
	v_or_b32_e32 v42, v42, v38
	v_and_b32_e32 v43, 8, v43
	v_or_b32_e32 v45, v45, v38
	v_xor_b32_e32 v117, v42, v43
	v_lshlrev_b32_e32 v42, 8, v89
	v_xor_b32_e32 v119, v45, v43
	v_or_b32_e32 v45, 64, v39
	v_or_b32_e32 v39, 0x60, v39
	;; [unrolled: 1-line block ×3, first 2 shown]
	v_xor_b32_e32 v45, v45, v37
	v_xor_b32_e32 v37, v39, v37
	s_lshl_b64 s[0:1], s[40:41], 8
	v_lshlrev_b32_e32 v44, 1, v44
	v_or_b32_e32 v45, v45, v38
	v_or_b32_e32 v37, v37, v38
	s_add_u32 s0, s18, s0
	v_lshlrev_b32_e32 v38, 1, v90
	v_lshlrev_b32_e32 v47, 2, v0
	v_or_b32_e32 v118, 0x4000, v44
	v_or_b32_e32 v120, 0x4080, v44
	;; [unrolled: 1-line block ×4, first 2 shown]
	v_xor_b32_e32 v123, v45, v43
	v_xor_b32_e32 v124, v37, v43
	v_or_b32_e32 v125, 0x6000, v44
	v_or_b32_e32 v126, 0x6080, v44
	;; [unrolled: 1-line block ×4, first 2 shown]
	v_lshlrev_b32_e32 v37, 1, v35
	v_add_lshl_u32 v35, v35, s15, 1
	v_or_b32_e32 v43, 0x100, v34
	v_lshrrev_b32_e32 v44, 4, v0
	s_addc_u32 s1, s19, s1
	v_or_b32_e32 v39, 1, v38
	v_lshrrev_b32_e32 v48, 1, v0
	v_and_or_b32 v42, v47, 60, v42
	v_xor_b32_e32 v45, v44, v38
	v_xor_b32_e32 v46, v39, v44
	v_lshl_add_u64 v[38:39], s[0:1], 0, v[80:81]
	v_and_b32_e32 v48, 24, v48
	v_lshlrev_b32_e32 v42, 1, v42
	v_cndmask_b32_e64 v135, v37, v34, s[2:3]
	v_cndmask_b32_e64 v136, v35, v43, s[2:3]
	v_mov_b32_e32 v35, 0xa000
	v_mov_b32_e32 v37, 0x8000
	v_cmp_gt_u32_e64 s[0:1], s20, v0
	v_lshlrev_b32_e32 v80, 8, v44
	v_or_b32_e32 v131, 0x6000, v42
	v_or_b32_e32 v47, 32, v48
	;; [unrolled: 1-line block ×6, first 2 shown]
	v_cndmask_b32_e64 v35, v35, v37, s[0:1]
	v_lshlrev_b32_e32 v37, 3, v88
	v_lshl_or_b32 v129, v45, 3, v80
	v_and_b32_e32 v45, 8, v0
	v_xor_b32_e32 v43, v37, v48
	v_xor_b32_e32 v47, v37, v47
	;; [unrolled: 1-line block ×3, first 2 shown]
	v_mov_b32_e32 v49, 0x400
	v_cmp_eq_u32_e32 vcc, 0, v45
	v_or_b32_e32 v48, 0x440, v43
	v_or_b32_e32 v50, 0x440, v47
	v_xor_b32_e32 v42, 0x440, v37
	v_and_b32_e32 v44, 7, v0
	v_cndmask_b32_e64 v45, v49, 64, vcc
	v_cndmask_b32_e32 v48, v48, v43, vcc
	v_cndmask_b32_e32 v47, v50, v47, vcc
	;; [unrolled: 1-line block ×3, first 2 shown]
	v_lshl_or_b32 v130, v46, 3, v80
	v_lshlrev_b32_e32 v46, 3, v44
	v_or_b32_e32 v48, v48, v41
	v_or_b32_e32 v47, v47, v41
	v_or3_b32 v43, v41, v45, v43
	v_or_b32_e32 v37, v37, v41
	v_lshlrev_b32_e32 v44, 7, v44
	v_xor_b32_e32 v48, v48, v46
	v_xor_b32_e32 v47, v47, v46
	v_xor_b32_e32 v43, v43, v46
	v_xor_b32_e32 v37, v37, v46
	v_or_b32_e32 v34, v1, v40
	v_add_u32_e32 v49, v35, v48
	v_add_u32_e32 v50, v35, v47
	v_or_b32_e32 v137, v43, v44
	v_add_u32_e32 v41, v35, v37
	v_or3_b32 v40, v1, v40, 64
	v_add_u32_e32 v45, 0xa000, v48
	v_add_u32_e32 v46, 0xa000, v47
	;; [unrolled: 1-line block ×3, first 2 shown]
	v_lshlrev_b64 v[42:43], 1, v[78:79]
	v_lshl_add_u64 v[82:83], s[8:9], 0, v[42:43]
	v_lshl_add_u64 v[84:85], s[28:29], 0, v[42:43]
	v_lshl_add_u64 v[86:87], v[38:39], 0, v[80:81]
	v_lshlrev_b32_e32 v80, 1, v36
	s_movk_i32 s41, 0x3000
	v_lshlrev_b32_e32 v79, 2, v34
	v_add_u32_e32 v138, v49, v44
	v_add_u32_e32 v139, v50, v44
	;; [unrolled: 1-line block ×4, first 2 shown]
	v_lshlrev_b32_e32 v142, 2, v40
	v_add_u32_e32 v143, v45, v44
	v_add_u32_e32 v144, v46, v44
	;; [unrolled: 1-line block ×3, first 2 shown]
	s_waitcnt lgkmcnt(0)
	s_barrier
.LBB211_6:                              ; =>This Inner Loop Header: Depth=1
	s_add_i32 s63, s62, 1
	s_cmp_lt_i32 s63, s51
	s_mov_b64 s[24:25], 0
	s_cselect_b64 s[2:3], -1, 0
	s_cmp_ge_i32 s63, s51
	s_mov_b64 s[20:21], 0
	s_cbranch_scc1 .LBB211_8
; %bb.7:                                ;   in Loop: Header=BB211_6 Depth=1
	s_add_i32 s0, s57, 64
	s_ashr_i32 s1, s0, 31
	s_add_u32 s0, s56, s0
	s_addc_u32 s1, s55, s1
	s_lshl_b64 s[0:1], s[0:1], 8
	s_add_u32 s20, s6, s0
	s_addc_u32 s21, s7, s1
.LBB211_8:                              ;   in Loop: Header=BB211_6 Depth=1
	v_cndmask_b32_e64 v34, 0, 1, s[2:3]
	v_cmp_ne_u32_e64 s[0:1], 1, v34
	s_andn2_b64 vcc, exec, s[2:3]
	s_cbranch_vccnz .LBB211_10
; %bb.9:                                ;   in Loop: Header=BB211_6 Depth=1
	s_add_i32 s2, s57, 64
	s_mul_hi_i32 s3, s2, s14
	s_mul_i32 s2, s2, s14
	s_add_u32 s2, s2, s53
	s_addc_u32 s3, s3, s58
	s_lshl_b64 s[2:3], s[2:3], 8
	s_add_u32 s24, s4, s2
	s_addc_u32 s25, s5, s3
.LBB211_10:                             ;   in Loop: Header=BB211_6 Depth=1
	v_perm_b32 v35, v25, v24, s37
	v_perm_b32 v34, v23, v22, s37
	v_perm_b32 v37, v33, v32, s37
	v_perm_b32 v36, v31, v30, s37
	ds_write_b64 v101, v[34:35]
	ds_write_b64 v102, v[36:37]
	ds_write_b64 v107, v[34:35]
	ds_write_b64 v108, v[36:37]
	v_perm_b32 v35, v17, v16, s37
	v_perm_b32 v34, v15, v14, s37
	v_perm_b32 v37, v29, v28, s37
	v_perm_b32 v36, v27, v26, s37
	ds_write_b64 v103, v[34:35]
	ds_write_b64 v104, v[36:37]
	ds_write_b64 v109, v[34:35]
	ds_write_b64 v110, v[36:37]
	;; [unrolled: 8-line block ×4, first 2 shown]
	s_waitcnt lgkmcnt(0)
	s_barrier
	ds_read_b64 v[38:39], v117 offset:49152
	ds_read2_b64 v[34:37], v118 offset1:16
	ds_read_b64 v[50:51], v120 offset:6144
	ds_read_b64 v[52:53], v118 offset:6144
	s_waitcnt lgkmcnt(2)
	v_mfma_f32_16x16x16_bf16 a[0:3], v[38:39], v[34:35], 0
	ds_read_b64 v[54:55], v119 offset:49152
	ds_read2st64_b64 v[42:45], v121 offset0:4 offset1:8
	ds_read2st64_b64 v[46:49], v122 offset0:4 offset1:8
	v_mfma_f32_16x16x16_bf16 a[4:7], v[38:39], v[36:37], 0
	ds_read2_b64 v[34:37], v118 offset0:32 offset1:48
	s_add_i32 s64, s57, 63
	s_ashr_i32 s2, s64, 31
	s_waitcnt lgkmcnt(0)
	v_mfma_f32_16x16x16_bf16 a[8:11], v[38:39], v[34:35], 0
	s_mul_i32 s3, s64, s31
	s_mul_hi_u32 s27, s64, s30
	s_add_i32 s3, s27, s3
	v_mfma_f32_16x16x16_bf16 a[12:15], v[38:39], v[36:37], 0
	ds_read2st64_b64 v[34:37], v118 offset0:4 offset1:8
	ds_read2st64_b64 v[38:41], v120 offset0:4 offset1:8
	s_mul_i32 s2, s2, s30
	s_waitcnt lgkmcnt(1)
	v_mfma_f32_16x16x16_bf16 a[0:3], v[54:55], v[34:35], a[0:3]
	s_add_i32 s3, s3, s2
	s_mul_i32 s2, s64, s30
	s_lshl_b64 s[2:3], s[2:3], 2
	s_waitcnt lgkmcnt(0)
	v_mfma_f32_16x16x16_bf16 a[4:7], v[54:55], v[38:39], a[4:7]
	s_add_u32 s2, s42, s2
	s_addc_u32 s3, s43, s3
	s_and_b64 vcc, exec, s[0:1]
	v_mfma_f32_16x16x16_bf16 a[8:11], v[54:55], v[42:43], a[8:11]
	ds_read_b64 v[34:35], v123 offset:49152
	ds_read_b64 v[38:39], v124 offset:49152
	;; [unrolled: 1-line block ×3, first 2 shown]
	v_mov_b32_e32 v149, 0
	v_mov_b32_e32 v148, 0
	v_mfma_f32_16x16x16_bf16 a[12:15], v[54:55], v[46:47], a[12:15]
	v_mov_b32_e32 v147, 0
	v_mov_b32_e32 v46, 0
	;; [unrolled: 1-line block ×3, first 2 shown]
	s_waitcnt lgkmcnt(2)
	v_mfma_f32_16x16x16_bf16 a[0:3], v[34:35], v[36:37], a[0:3]
	v_mov_b32_e32 v36, 0
	v_mov_b32_e32 v37, 0
	v_mfma_f32_16x16x16_bf16 a[4:7], v[34:35], v[40:41], a[4:7]
	v_mov_b32_e32 v40, 0
	v_mov_b32_e32 v41, 0
	;; [unrolled: 3-line block ×3, first 2 shown]
	v_mfma_f32_16x16x16_bf16 a[12:15], v[34:35], v[48:49], a[12:15]
	ds_read_b64 v[34:35], v121 offset:6144
	v_mov_b32_e32 v48, 0
	v_mov_b32_e32 v49, 0
	s_waitcnt lgkmcnt(2)
	v_mfma_f32_16x16x16_bf16 a[0:3], v[38:39], v[52:53], a[0:3]
	v_mfma_f32_16x16x16_bf16 a[4:7], v[38:39], v[50:51], a[4:7]
	s_waitcnt lgkmcnt(0)
	v_mfma_f32_16x16x16_bf16 a[8:11], v[38:39], v[34:35], a[8:11]
	v_mov_b32_e32 v34, 0
	v_mov_b32_e32 v35, 0
	v_mfma_f32_16x16x16_bf16 a[12:15], v[38:39], v[42:43], a[12:15]
	v_mov_b32_e32 v38, 0
	v_mov_b32_e32 v39, 0
	v_mov_b32_e32 v42, 0
	v_mov_b32_e32 v43, 0
	s_cbranch_vccnz .LBB211_12
; %bb.11:                               ;   in Loop: Header=BB211_6 Depth=1
	s_and_b32 s21, s21, 0xffff
	buffer_load_dwordx4 v[46:49], v97, s[20:23], 0 offen
	buffer_load_dwordx4 v[42:45], v97, s[20:23], s59 offen
	buffer_load_dwordx4 v[38:41], v98, s[20:23], 0 offen
	buffer_load_dwordx4 v[34:37], v98, s[20:23], s59 offen
	v_mov_b32_e32 v148, v99
	v_mov_b32_e32 v147, v100
.LBB211_12:                             ;   in Loop: Header=BB211_6 Depth=1
	ds_read_b64 v[70:71], v117 offset:57344
	ds_read2_b64 v[50:53], v125 offset1:16
	ds_read_b64 v[72:73], v119 offset:57344
	ds_read_b64 v[74:75], v123 offset:57344
	;; [unrolled: 1-line block ×3, first 2 shown]
	s_waitcnt lgkmcnt(3)
	v_mfma_f32_16x16x16_bf16 a[0:3], v[70:71], v[50:51], a[0:3]
	v_mfma_f32_16x16x16_bf16 a[4:7], v[70:71], v[52:53], a[4:7]
	ds_read2_b64 v[50:53], v125 offset0:32 offset1:48
	ds_read2st64_b64 v[54:57], v125 offset0:4 offset1:8
	ds_read2st64_b64 v[58:61], v126 offset0:4 offset1:8
	;; [unrolled: 1-line block ×4, first 2 shown]
	s_waitcnt lgkmcnt(4)
	v_mfma_f32_16x16x16_bf16 a[8:11], v[70:71], v[50:51], a[8:11]
	v_mfma_f32_16x16x16_bf16 a[12:15], v[70:71], v[52:53], a[12:15]
	v_add_u32_e32 v70, s57, v93
	v_ashrrev_i32_e32 v50, 31, v70
	v_mul_lo_u32 v52, v50, s30
	v_mul_lo_u32 v53, v70, s31
	v_mad_u64_u32 v[50:51], s[20:21], v70, s30, 0
	v_add3_u32 v51, v51, v53, v52
	v_add_u32_e32 v52, 1, v70
	v_ashrrev_i32_e32 v53, 31, v52
	s_waitcnt lgkmcnt(3)
	v_mfma_f32_16x16x16_bf16 a[0:3], v[72:73], v[54:55], a[0:3]
	v_mul_lo_u32 v54, v53, s30
	v_mul_lo_u32 v55, v52, s31
	v_mad_u64_u32 v[52:53], s[20:21], v52, s30, 0
	v_add3_u32 v53, v53, v55, v54
	v_add_u32_e32 v54, 2, v70
	v_ashrrev_i32_e32 v55, 31, v54
	s_waitcnt lgkmcnt(2)
	v_mfma_f32_16x16x16_bf16 a[4:7], v[72:73], v[58:59], a[4:7]
	v_mul_lo_u32 v58, v55, s30
	v_mul_lo_u32 v59, v54, s31
	v_mad_u64_u32 v[54:55], s[20:21], v54, s30, 0
	v_lshl_add_u64 v[50:51], v[50:51], 2, s[42:43]
	v_lshl_add_u64 v[52:53], v[52:53], 2, s[42:43]
	v_add3_u32 v55, v55, v59, v58
	v_add_u32_e32 v58, 3, v70
	s_waitcnt lgkmcnt(1)
	v_mfma_f32_16x16x16_bf16 a[8:11], v[72:73], v[62:63], a[8:11]
	global_load_dword v63, v[50:51], off
	v_ashrrev_i32_e32 v59, 31, v58
	v_mul_lo_u32 v59, v59, s30
	s_waitcnt lgkmcnt(0)
	v_mfma_f32_16x16x16_bf16 a[12:15], v[72:73], v[66:67], a[12:15]
	global_load_dword v66, v[52:53], off
	v_mad_u64_u32 v[50:51], s[20:21], v58, s30, 0
	s_ashr_i32 s21, s57, 31
	v_mul_lo_u32 v62, v58, s31
	s_add_u32 s20, s56, s57
	v_lshl_add_u64 v[54:55], v[54:55], 2, s[42:43]
	v_add3_u32 v51, v51, v62, v59
	s_addc_u32 s21, s55, s21
	v_lshl_add_u64 v[50:51], v[50:51], 2, s[42:43]
	global_load_dword v62, v[54:55], off
	global_load_dword v67, v[50:51], off
	s_lshl_b64 s[20:21], s[20:21], 8
	v_lshl_add_u64 v[50:51], v[82:83], 0, s[20:21]
	v_lshl_add_u64 v[50:51], v[50:51], 0, v[80:81]
	global_load_ushort v70, v[50:51], off offset:256
	global_load_ushort v71, v[50:51], off
	global_load_ushort v72, v[50:51], off offset:768
	global_load_ushort v73, v[50:51], off offset:512
	;; [unrolled: 1-line block ×6, first 2 shown]
	s_load_dword s2, s[2:3], 0x0
	v_mfma_f32_16x16x16_bf16 a[12:15], v[74:75], v[68:69], a[12:15]
	global_load_ushort v68, v[50:51], off offset:320
	global_load_ushort v69, v[50:51], off offset:64
	s_and_b64 vcc, exec, s[0:1]
	v_mfma_f32_16x16x16_bf16 a[0:3], v[74:75], v[56:57], a[0:3]
	ds_read_b64 v[52:53], v125 offset:6144
	ds_read_b64 v[54:55], v126 offset:6144
	;; [unrolled: 1-line block ×4, first 2 shown]
	v_mfma_f32_16x16x16_bf16 a[4:7], v[74:75], v[60:61], a[4:7]
	s_waitcnt vmcnt(11) lgkmcnt(0)
	v_sub_f32_e32 v60, s2, v62
	v_mfma_f32_16x16x16_bf16 a[8:11], v[74:75], v[64:65], a[8:11]
	global_load_ushort v74, v[50:51], off offset:832
	global_load_ushort v75, v[50:51], off offset:576
	;; [unrolled: 1-line block ×6, first 2 shown]
	v_mfma_f32_16x16x16_bf16 a[0:3], v[150:151], v[52:53], a[0:3]
	s_waitcnt vmcnt(16)
	v_sub_f32_e32 v61, s2, v67
	v_mul_f32_e32 v60, 0x3fb8aa3b, v60
	v_mul_f32_e32 v61, 0x3fb8aa3b, v61
	v_exp_f32_e32 v60, v60
	v_exp_f32_e32 v61, v61
	s_waitcnt vmcnt(15)
	v_lshlrev_b32_e32 v65, 16, v70
	s_waitcnt vmcnt(14)
	v_lshlrev_b32_e32 v64, 16, v71
	v_accvgpr_read_b32 v53, a3
	v_accvgpr_read_b32 v52, a2
	v_mfma_f32_16x16x16_bf16 a[2:5], v[150:151], v[54:55], a[4:7]
	v_mfma_f32_16x16x16_bf16 a[6:9], v[150:151], v[56:57], a[8:11]
	s_nop 5
	v_accvgpr_read_b32 v55, a5
	v_accvgpr_read_b32 v54, a4
	;; [unrolled: 1-line block ×4, first 2 shown]
	v_mfma_f32_16x16x16_bf16 a[8:11], v[150:151], v[58:59], a[12:15]
	v_sub_f32_e32 v58, s2, v63
	v_sub_f32_e32 v59, s2, v66
	v_mul_f32_e32 v58, 0x3fb8aa3b, v58
	v_mul_f32_e32 v59, 0x3fb8aa3b, v59
	v_exp_f32_e32 v58, v58
	v_exp_f32_e32 v59, v59
	v_accvgpr_read_b32 v67, a1
	v_accvgpr_read_b32 v66, a0
	v_lshl_add_u64 v[62:63], v[84:85], 0, s[20:21]
	v_pk_add_f32 v[64:65], v[64:65], v[66:67] neg_lo:[0,1] neg_hi:[0,1]
	s_waitcnt vmcnt(13)
	v_lshlrev_b32_e32 v67, 16, v72
	s_waitcnt vmcnt(12)
	v_lshlrev_b32_e32 v66, 16, v73
	v_lshl_add_u64 v[62:63], v[62:63], 0, v[80:81]
	v_pk_add_f32 v[52:53], v[66:67], v[52:53] neg_lo:[0,1] neg_hi:[0,1]
	global_store_short_d16_hi v[62:63], v64, off
	global_store_short_d16_hi v[62:63], v65, off offset:256
	global_store_short_d16_hi v[62:63], v52, off offset:512
	;; [unrolled: 1-line block ×3, first 2 shown]
	v_pk_mul_f32 v[64:65], v[58:59], v[64:65]
	v_pk_mul_f32 v[52:53], v[60:61], v[52:53]
	v_accvgpr_read_b32 v67, a3
	v_perm_b32 v53, v53, v52, s37
	v_perm_b32 v52, v65, v64, s37
	s_waitcnt vmcnt(15)
	v_lshlrev_b32_e32 v65, 16, v76
	s_waitcnt vmcnt(14)
	v_lshlrev_b32_e32 v64, 16, v152
	v_accvgpr_read_b32 v66, a2
	v_pk_add_f32 v[64:65], v[64:65], v[66:67] neg_lo:[0,1] neg_hi:[0,1]
	s_waitcnt vmcnt(13)
	v_lshlrev_b32_e32 v67, 16, v153
	s_waitcnt vmcnt(12)
	v_lshlrev_b32_e32 v66, 16, v154
	v_pk_add_f32 v[54:55], v[66:67], v[54:55] neg_lo:[0,1] neg_hi:[0,1]
	global_store_short_d16_hi v[62:63], v64, off offset:32
	global_store_short_d16_hi v[62:63], v65, off offset:288
	;; [unrolled: 1-line block ×4, first 2 shown]
	v_pk_mul_f32 v[64:65], v[58:59], v[64:65]
	v_pk_mul_f32 v[54:55], v[60:61], v[54:55]
	v_accvgpr_read_b32 v57, a11
	v_perm_b32 v55, v55, v54, s37
	v_perm_b32 v54, v65, v64, s37
	ds_write2_b64 v102, v[52:53], v[54:55] offset1:16
	v_accvgpr_read_b32 v55, a7
	s_waitcnt vmcnt(15)
	v_lshlrev_b32_e32 v53, 16, v68
	s_waitcnt vmcnt(14)
	v_lshlrev_b32_e32 v52, 16, v69
	v_accvgpr_read_b32 v54, a6
	v_pk_add_f32 v[52:53], v[52:53], v[54:55] neg_lo:[0,1] neg_hi:[0,1]
	global_store_short_d16_hi v[62:63], v52, off offset:64
	global_store_short_d16_hi v[62:63], v53, off offset:320
	v_pk_mul_f32 v[52:53], v[58:59], v[52:53]
	v_accvgpr_read_b32 v56, a10
	v_perm_b32 v52, v53, v52, s37
	v_mov_b32_e32 v150, 0
	v_mov_b32_e32 v64, 0
	;; [unrolled: 1-line block ×3, first 2 shown]
	s_waitcnt vmcnt(15)
	v_lshlrev_b32_e32 v55, 16, v74
	s_waitcnt vmcnt(14)
	v_lshlrev_b32_e32 v54, 16, v75
	v_pk_add_f32 v[50:51], v[54:55], v[50:51] neg_lo:[0,1] neg_hi:[0,1]
	global_store_short_d16_hi v[62:63], v50, off offset:576
	global_store_short_d16_hi v[62:63], v51, off offset:832
	v_pk_mul_f32 v[50:51], v[60:61], v[50:51]
	v_accvgpr_read_b32 v55, a9
	v_perm_b32 v53, v51, v50, s37
	s_waitcnt vmcnt(15)
	v_lshlrev_b32_e32 v51, 16, v155
	s_waitcnt vmcnt(14)
	v_lshlrev_b32_e32 v50, 16, v156
	v_accvgpr_read_b32 v54, a8
	v_pk_add_f32 v[50:51], v[50:51], v[54:55] neg_lo:[0,1] neg_hi:[0,1]
	s_waitcnt vmcnt(13)
	v_lshlrev_b32_e32 v55, 16, v157
	s_waitcnt vmcnt(12)
	v_lshlrev_b32_e32 v54, 16, v158
	v_pk_add_f32 v[54:55], v[54:55], v[56:57] neg_lo:[0,1] neg_hi:[0,1]
	global_store_short_d16_hi v[62:63], v50, off offset:96
	global_store_short_d16_hi v[62:63], v51, off offset:352
	;; [unrolled: 1-line block ×4, first 2 shown]
	v_pk_mul_f32 v[50:51], v[58:59], v[50:51]
	v_pk_mul_f32 v[54:55], v[60:61], v[54:55]
	v_mov_b32_e32 v56, 0
	v_perm_b32 v55, v55, v54, s37
	v_perm_b32 v54, v51, v50, s37
	ds_write2_b64 v102, v[52:53], v[54:55] offset0:32 offset1:48
	v_mov_b32_e32 v50, 0
	v_mov_b32_e32 v51, 0
	;; [unrolled: 1-line block ×13, first 2 shown]
	s_cbranch_vccnz .LBB211_14
; %bb.13:                               ;   in Loop: Header=BB211_6 Depth=1
	s_and_b32 s25, s25, 0xffff
	s_mov_b32 s27, s23
	buffer_load_dwordx4 v[62:65], v135, s[24:27], 0 offen
	buffer_load_dwordx4 v[54:57], v135, s[24:27], s59 offen
	;; [unrolled: 1-line block ×4, first 2 shown]
	v_mov_b32_e32 v149, v96
	v_mov_b32_e32 v150, v95
.LBB211_14:                             ;   in Loop: Header=BB211_6 Depth=1
	s_waitcnt lgkmcnt(0)
	s_barrier
	ds_read_b64 v[74:75], v138
	ds_read2_b64 v[66:69], v131 offset1:16
	ds_read_b64 v[168:169], v139
	ds_read_b64 v[170:171], v140
	;; [unrolled: 1-line block ×3, first 2 shown]
	ds_read2_b64 v[70:73], v131 offset0:32 offset1:48
	ds_read2st64_b64 v[152:155], v131 offset0:4 offset1:8
	ds_read2st64_b64 v[156:159], v132 offset0:4 offset1:8
	;; [unrolled: 1-line block ×4, first 2 shown]
	s_waitcnt lgkmcnt(8)
	v_mfma_f32_16x16x16_bf16 a[0:3], v[74:75], v[66:67], 0
	s_add_i32 s3, s54, s62
	s_mul_hi_i32 s21, s3, s13
	s_mul_i32 s3, s3, s13
	v_mfma_f32_16x16x16_bf16 a[4:7], v[74:75], v[68:69], 0
	s_add_u32 s20, s3, s49
	s_addc_u32 s21, s21, s50
	s_lshl_b64 s[20:21], s[20:21], 15
	s_waitcnt lgkmcnt(4)
	v_mfma_f32_16x16x16_bf16 a[8:11], v[74:75], v[70:71], 0
	s_mul_i32 s24, s64, s13
	s_mul_hi_i32 s3, s64, s13
	s_add_u32 s24, s24, s49
	v_mfma_f32_16x16x16_bf16 a[12:15], v[74:75], v[72:73], 0
	ds_read_b64 v[74:75], v131 offset:6144
	ds_read_b64 v[180:181], v132 offset:6144
	;; [unrolled: 1-line block ×4, first 2 shown]
	s_addc_u32 s25, s3, s50
	s_waitcnt lgkmcnt(7)
	v_mfma_f32_16x16x16_bf16 a[0:3], v[168:169], v[152:153], a[0:3]
	s_lshl_b64 s[24:25], s[24:25], 9
	s_add_u32 s24, s16, s24
	s_addc_u32 s25, s17, s25
	s_waitcnt lgkmcnt(6)
	v_mfma_f32_16x16x16_bf16 a[4:7], v[168:169], v[156:157], a[4:7]
	v_lshl_add_u64 v[190:191], v[86:87], 0, s[20:21]
	s_waitcnt lgkmcnt(5)
	v_mfma_f32_16x16x16_bf16 a[8:11], v[168:169], v[160:161], a[8:11]
	s_waitcnt lgkmcnt(4)
	v_mfma_f32_16x16x16_bf16 a[12:15], v[168:169], v[164:165], a[12:15]
	ds_read_b64 v[168:169], v143
	ds_read_b64 v[178:179], v144
	;; [unrolled: 1-line block ×3, first 2 shown]
	s_waitcnt lgkmcnt(2)
	v_mfma_f32_16x16x16_bf16 a[16:19], v[168:169], v[66:67], 0
	v_mfma_f32_16x16x16_bf16 a[20:23], v[168:169], v[68:69], 0
	global_load_dwordx4 v[66:69], v142, s[24:25]
	v_mfma_f32_16x16x16_bf16 a[24:27], v[168:169], v[70:71], 0
	v_mfma_f32_16x16x16_bf16 a[28:31], v[168:169], v[72:73], 0
	global_load_dwordx4 v[70:73], v79, s[24:25]
	v_mfma_f32_16x16x16_bf16 a[0:3], v[170:171], v[154:155], a[0:3]
	v_mfma_f32_16x16x16_bf16 a[4:7], v[170:171], v[158:159], a[4:7]
	;; [unrolled: 1-line block ×8, first 2 shown]
	ds_read2st64_b64 v[168:171], v129 offset1:8
	ds_read2st64_b64 v[172:175], v130 offset1:8
	ds_read_b64 v[188:189], v137 offset:40960
	s_waitcnt lgkmcnt(2)
	v_mov_b32_e32 v176, v168
	v_mfma_f32_16x16x16_bf16 a[16:19], v[178:179], v[152:153], a[16:19]
	v_mov_b32_e32 v177, v169
	v_mfma_f32_16x16x16_bf16 a[20:23], v[178:179], v[156:157], a[20:23]
	v_mfma_f32_16x16x16_bf16 a[24:27], v[178:179], v[160:161], a[24:27]
	;; [unrolled: 1-line block ×3, first 2 shown]
	v_add_co_u32_e32 v164, vcc, s39, v190
	s_waitcnt lgkmcnt(1)
	v_mov_b32_e32 v178, v172
	s_waitcnt lgkmcnt(0)
	v_mfma_f32_16x16x16_bf16 a[16:19], v[188:189], v[154:155], a[16:19]
	ds_read2st64_b64 v[152:155], v129 offset0:16 offset1:24
	v_addc_co_u32_e32 v165, vcc, 0, v191, vcc
	v_mfma_f32_16x16x16_bf16 a[20:23], v[188:189], v[158:159], a[20:23]
	ds_read2st64_b64 v[156:159], v130 offset0:16 offset1:24
	v_mov_b32_e32 v179, v173
	v_mov_b32_e32 v172, v170
	v_mfma_f32_16x16x16_bf16 a[32:35], v[188:189], v[162:163], a[24:27]
	v_mov_b32_e32 v173, v171
	s_waitcnt lgkmcnt(0)
	v_mov_b32_e32 v162, v156
	v_mov_b32_e32 v163, v157
	v_mfma_f32_16x16x16_bf16 a[36:39], v[188:189], v[166:167], a[28:31]
	v_mov_b32_e32 v156, v154
	v_mov_b32_e32 v157, v155
	;; [unrolled: 1-line block ×3, first 2 shown]
	v_mfma_f32_16x16x16_bf16 a[24:27], v[186:187], v[74:75], a[16:19]
	v_add_co_u32_e32 v74, vcc, s41, v190
	v_mov_b32_e32 v161, v153
	v_mfma_f32_16x16x16_bf16 a[28:31], v[186:187], v[180:181], a[20:23]
	v_addc_co_u32_e32 v75, vcc, 0, v191, vcc
	global_store_dwordx4 v[74:75], v[156:159], off
	v_mfma_f32_16x16x16_bf16 a[16:19], v[186:187], v[182:183], a[32:35]
	s_waitcnt vmcnt(2)
	v_mov_b32_e32 v76, v69
	v_mov_b32_e32 v75, v68
	;; [unrolled: 1-line block ×3, first 2 shown]
	v_mfma_f32_16x16x16_bf16 a[20:23], v[186:187], v[184:185], a[36:39]
	s_and_b64 vcc, exec, s[0:1]
	global_store_dwordx4 v[190:191], v[176:179], off
	global_store_dwordx4 v[164:165], v[172:175], off offset:-4096
	global_store_dwordx4 v[164:165], v[160:163], off
	s_cbranch_vccnz .LBB211_16
; %bb.15:                               ;   in Loop: Header=BB211_6 Depth=1
	v_lshrrev_b32_e32 v67, 3, v149
	v_and_b32_e32 v67, 6, v67
	v_xor_b32_e32 v68, v67, v150
	v_lshlrev_b32_e32 v68, 2, v68
	v_and_b32_e32 v69, 8, v149
	v_xor_b32_e32 v149, 0x440, v68
	v_cmp_eq_u32_e32 vcc, 0, v69
	v_perm_b32 v69, v54, v50, s60
	s_nop 0
	v_cndmask_b32_e32 v68, v149, v68, vcc
	v_lshl_or_b32 v67, v67, 10, v68
	v_perm_b32 v68, v62, v58, s60
	s_barrier
	ds_write2st64_b32 v67, v68, v69 offset0:128 offset1:160
	v_xor_b32_e32 v68, 8, v67
	v_perm_b32 v58, v62, v58, s61
	v_perm_b32 v50, v54, v50, s61
	v_add_u32_e32 v54, 0x80, v68
	ds_write2st64_b32 v54, v58, v50 offset0:128 offset1:160
	v_xor_b32_e32 v50, 16, v67
	v_perm_b32 v54, v63, v59, s60
	v_perm_b32 v58, v55, v51, s60
	ds_write2st64_b32 v50, v54, v58 offset0:129 offset1:161
	v_xor_b32_e32 v50, 24, v67
	v_perm_b32 v54, v63, v59, s61
	v_perm_b32 v51, v55, v51, s61
	v_add_u32_e32 v50, 0x80, v50
	ds_write2st64_b32 v50, v54, v51 offset0:129 offset1:161
	v_xor_b32_e32 v50, 32, v67
	v_perm_b32 v51, v64, v60, s60
	v_perm_b32 v54, v56, v52, s60
	;; [unrolled: 9-line block ×3, first 2 shown]
	ds_write2st64_b32 v50, v51, v52 offset0:131 offset1:163
	v_xor_b32_e32 v50, 56, v67
	v_perm_b32 v51, v65, v61, s61
	v_perm_b32 v52, v57, v53, s61
	v_add_u32_e32 v50, 0x80, v50
	ds_write2st64_b32 v50, v51, v52 offset0:131 offset1:163
	ds_write_b64 v148, v[46:47] offset:49152
	v_xor_b32_e32 v46, 8, v148
	ds_write_b64 v46, v[48:49] offset:49152
	ds_write_b64 v148, v[42:43] offset:57344
	;; [unrolled: 1-line block ×4, first 2 shown]
	v_xor_b32_e32 v38, 8, v147
	ds_write_b64 v38, v[40:41] offset:49152
	ds_write_b64 v147, v[34:35] offset:57344
	;; [unrolled: 1-line block ×3, first 2 shown]
.LBB211_16:                             ;   in Loop: Header=BB211_6 Depth=1
	v_mul_f32_e32 v58, s2, v146
	v_exp_f32_e32 v68, v58
	s_waitcnt vmcnt(4)
	v_mul_f32_e32 v58, 0x3fb8aa3b, v70
	v_exp_f32_e32 v70, v58
	v_mul_f32_e32 v58, 0x3fb8aa3b, v71
	v_exp_f32_e32 v71, v58
	;; [unrolled: 2-line block ×4, first 2 shown]
	v_accvgpr_read_b32 v37, a3
	v_accvgpr_read_b32 v36, a2
	;; [unrolled: 1-line block ×4, first 2 shown]
	v_pk_mul_f32 v[70:71], v[68:69], v[70:71] op_sel_hi:[0,1]
	v_pk_mul_f32 v[72:73], v[68:69], v[72:73] op_sel_hi:[0,1]
	v_pk_fma_f32 v[22:23], v[22:23], v[70:71], v[34:35]
	v_pk_fma_f32 v[24:25], v[24:25], v[72:73], v[36:37]
	v_mul_f32_e32 v34, 0x3fb8aa3b, v66
	v_mul_f32_e32 v35, 0x3fb8aa3b, v74
	;; [unrolled: 1-line block ×4, first 2 shown]
	v_exp_f32_e32 v34, v34
	v_exp_f32_e32 v35, v35
	;; [unrolled: 1-line block ×4, first 2 shown]
	v_accvgpr_read_b32 v41, a7
	v_accvgpr_read_b32 v45, a11
	;; [unrolled: 1-line block ×28, first 2 shown]
	v_pk_mul_f32 v[34:35], v[68:69], v[34:35] op_sel_hi:[0,1]
	v_pk_mul_f32 v[36:37], v[68:69], v[36:37] op_sel_hi:[0,1]
	s_add_i32 s57, s57, 64
	v_pk_fma_f32 v[14:15], v[70:71], v[14:15], v[38:39]
	v_pk_fma_f32 v[16:17], v[72:73], v[16:17], v[40:41]
	;; [unrolled: 1-line block ×13, first 2 shown]
	s_cmp_eq_u32 s51, s63
	v_pk_fma_f32 v[12:13], v[36:37], v[12:13], v[64:65]
	s_cbranch_scc1 .LBB211_18
; %bb.17:                               ;   in Loop: Header=BB211_6 Depth=1
	s_mov_b32 s62, s63
	s_branch .LBB211_6
.LBB211_18:
	s_lshl_b32 s26, s51, 6
	s_sub_i32 s27, s52, s26
	s_cmp_gt_i32 s27, 0
	s_cbranch_scc0 .LBB211_99
; %bb.19:
	s_add_i32 s26, s26, s34
	s_ashr_i32 s2, s26, 31
	s_cmpk_lg_i32 s15, 0x80
	s_cselect_b64 s[22:23], -1, 0
	s_and_b64 vcc, exec, s[22:23]
	s_cbranch_vccz .LBB211_21
; %bb.20:
	s_mul_i32 s1, s26, s14
	s_ashr_i32 s3, s53, 31
	s_mul_hi_i32 s0, s26, s14
	s_add_u32 s24, s1, s53
	s_addc_u32 s25, s0, s3
	s_cbranch_execz .LBB211_22
	s_branch .LBB211_23
.LBB211_21:
                                        ; implicit-def: $sgpr24_sgpr25
.LBB211_22:
	s_mul_i32 s1, s53, s12
	s_mul_hi_i32 s0, s53, s12
	s_add_u32 s24, s1, s26
	s_addc_u32 s25, s0, s2
.LBB211_23:
	s_add_i32 s3, s51, s54
	s_add_u32 s0, s56, s26
	s_addc_u32 s1, s55, s2
	v_lshlrev_b32_e32 v35, 6, v93
	v_lshlrev_b32_e32 v34, 2, v90
	s_mov_b32 s2, 0x7060302
	s_waitcnt vmcnt(7)
	v_perm_b32 v25, v25, v24, s2
	v_perm_b32 v24, v23, v22, s2
	s_waitcnt vmcnt(6)
	v_perm_b32 v22, v31, v30, s2
	v_or_b32_e32 v30, v35, v34
	v_xor_b32_e32 v36, v93, v34
	v_perm_b32 v23, v33, v32, s2
	v_lshlrev_b32_e32 v30, 1, v30
	ds_write2st64_b64 v30, v[24:25], v[22:23] offset0:32 offset1:48
	v_lshlrev_b32_e32 v30, 1, v36
	v_lshlrev_b32_e32 v31, 8, v90
	v_xor_b32_e32 v37, v94, v34
	v_or_b32_e32 v32, v30, v31
	ds_write_b64 v32, v[24:25]
	v_lshlrev_b32_e32 v24, 1, v37
	v_or_b32_e32 v25, v24, v31
	ds_write_b64 v25, v[22:23]
	v_or_b32_e32 v22, 16, v90
	v_lshlrev_b32_e32 v23, 2, v22
	v_or_b32_e32 v25, v35, v23
	s_waitcnt vmcnt(5)
	v_perm_b32 v17, v17, v16, s2
	v_perm_b32 v16, v15, v14, s2
	s_waitcnt vmcnt(4)
	v_perm_b32 v15, v29, v28, s2
	v_perm_b32 v14, v27, v26, s2
	v_lshlrev_b32_e32 v25, 1, v25
	v_lshlrev_b32_e32 v22, 8, v22
	ds_write2st64_b64 v25, v[16:17], v[14:15] offset0:32 offset1:48
	v_or_b32_e32 v25, v30, v22
	ds_write_b64 v25, v[16:17]
	v_or_b32_e32 v16, v24, v22
	ds_write_b64 v16, v[14:15]
	v_or_b32_e32 v14, 32, v90
	v_lshlrev_b32_e32 v22, 2, v14
	v_or_b32_e32 v15, v35, v22
	s_waitcnt vmcnt(3)
	v_perm_b32 v9, v9, v8, s2
	v_perm_b32 v8, v7, v6, s2
	s_waitcnt vmcnt(2)
	v_perm_b32 v7, v21, v20, s2
	v_perm_b32 v6, v19, v18, s2
	v_lshlrev_b32_e32 v15, 1, v15
	v_lshlrev_b32_e32 v14, 8, v14
	s_lshl_b64 s[20:21], s[0:1], 8
	ds_write2st64_b64 v15, v[8:9], v[6:7] offset0:32 offset1:48
	v_or_b32_e32 v15, v30, v14
	s_add_u32 s0, s6, s20
	ds_write_b64 v15, v[8:9]
	v_or_b32_e32 v8, v24, v14
	s_addc_u32 s1, s7, s21
	ds_write_b64 v8, v[6:7]
	v_or_b32_e32 v6, 48, v90
	s_mul_hi_i32 s6, s3, s13
	s_mul_i32 s3, s3, s13
	s_waitcnt vmcnt(1)
	v_perm_b32 v5, v5, v4, s2
	v_perm_b32 v4, v3, v2, s2
	s_waitcnt vmcnt(0)
	v_perm_b32 v3, v13, v12, s2
	v_perm_b32 v2, v11, v10, s2
	v_lshlrev_b32_e32 v19, 2, v6
	s_add_u32 s2, s3, s49
	v_or_b32_e32 v7, v35, v19
	s_addc_u32 s3, s6, s50
	v_lshlrev_b32_e32 v7, 1, v7
	v_lshlrev_b32_e32 v6, 8, v6
	s_ashr_i32 s41, s40, 31
	s_lshl_b64 s[2:3], s[2:3], 15
	ds_write2st64_b64 v7, v[4:5], v[2:3] offset0:32 offset1:48
	v_or_b32_e32 v7, v30, v6
	s_add_u32 s6, s18, s2
	ds_write_b64 v7, v[4:5]
	v_or_b32_e32 v4, v24, v6
	s_addc_u32 s7, s19, s3
	s_lshl_b64 s[2:3], s[40:41], 8
	ds_write_b64 v4, v[2:3]
	s_add_u32 s2, s6, s2
	v_lshlrev_b32_e32 v3, 1, v90
	v_lshrrev_b32_e32 v2, 4, v0
	s_addc_u32 s3, s7, s3
	v_or_b32_e32 v4, 1, v3
	v_lshlrev_b32_e32 v10, 4, v90
	v_mov_b32_e32 v11, 0
	v_xor_b32_e32 v3, v2, v3
	v_xor_b32_e32 v6, v4, v2
	v_lshl_add_u64 v[12:13], s[2:3], 0, v[10:11]
	v_lshlrev_b32_e32 v10, 8, v2
	v_lshl_or_b32 v16, v3, 3, v10
	v_lshl_or_b32 v17, v6, 3, v10
	s_waitcnt lgkmcnt(0)
	s_barrier
	ds_read2st64_b64 v[2:5], v16 offset1:8
	ds_read2st64_b64 v[6:9], v17 offset1:8
	v_lshl_add_u64 v[14:15], v[12:13], 0, v[10:11]
	s_movk_i32 s2, 0x2000
	s_cmp_lg_u32 s27, 64
	s_waitcnt lgkmcnt(1)
	v_mov_b32_e32 v10, v2
	v_mov_b32_e32 v11, v3
	s_waitcnt lgkmcnt(0)
	v_mov_b32_e32 v12, v6
	v_mov_b32_e32 v13, v7
	global_store_dwordx4 v[14:15], v[10:13], off
	v_mov_b32_e32 v6, v4
	v_mov_b32_e32 v7, v5
	ds_read2st64_b64 v[2:5], v16 offset0:16 offset1:24
	ds_read2st64_b64 v[10:13], v17 offset0:16 offset1:24
	v_add_co_u32_e32 v16, vcc, s2, v14
	s_cselect_b64 s[6:7], -1, 0
	s_nop 0
	v_addc_co_u32_e32 v17, vcc, 0, v15, vcc
	global_store_dwordx4 v[16:17], v[6:9], off offset:-4096
	v_lshl_or_b32 v24, v88, 3, v92
	s_mov_b32 s16, 0
	s_waitcnt lgkmcnt(1)
	v_mov_b32_e32 v6, v2
	v_add_co_u32_e32 v2, vcc, 0x3000, v14
	v_mov_b32_e32 v7, v3
	s_nop 0
	v_addc_co_u32_e32 v3, vcc, 0, v15, vcc
	s_waitcnt lgkmcnt(0)
	v_mov_b32_e32 v8, v10
	v_mov_b32_e32 v9, v11
	;; [unrolled: 1-line block ×4, first 2 shown]
	v_or_b32_e32 v20, 32, v24
	v_and_b32_e32 v18, 56, v91
	s_and_b64 vcc, exec, s[6:7]
	global_store_dwordx4 v[16:17], v[6:9], off
	global_store_dwordx4 v[2:3], v[10:13], off
	s_cbranch_vccz .LBB211_29
; %bb.24:
	s_mov_b32 s17, s16
	s_mov_b32 s18, s16
	;; [unrolled: 1-line block ×3, first 2 shown]
	v_mov_b64_e32 v[6:7], s[16:17]
	v_mov_b64_e32 v[8:9], s[18:19]
	;; [unrolled: 1-line block ×3, first 2 shown]
	v_cmp_gt_i32_e32 vcc, s27, v24
	v_mov_b64_e32 v[4:5], v[8:9]
	s_and_saveexec_b64 s[2:3], vcc
	s_cbranch_execz .LBB211_26
; %bb.25:
	v_lshlrev_b32_e32 v2, 8, v24
	v_mov_b32_e32 v3, 0
	v_lshl_add_u64 v[4:5], s[0:1], 0, v[2:3]
	v_lshlrev_b32_e32 v2, 1, v18
	v_lshl_add_u64 v[10:11], v[4:5], 0, v[2:3]
	global_load_dwordx4 v[6:9], v[10:11], off
	global_load_dwordx4 v[2:5], v[10:11], off offset:128
.LBB211_26:
	s_or_b64 exec, exec, s[2:3]
	s_mov_b32 s17, s16
	s_mov_b32 s18, s16
	;; [unrolled: 1-line block ×3, first 2 shown]
	v_mov_b64_e32 v[14:15], s[16:17]
	v_mov_b64_e32 v[16:17], s[18:19]
	;; [unrolled: 1-line block ×3, first 2 shown]
	v_cmp_gt_i32_e32 vcc, s27, v20
	v_lshlrev_b32_e32 v21, 7, v20
	v_mov_b64_e32 v[12:13], v[16:17]
	s_and_saveexec_b64 s[2:3], vcc
	s_cbranch_execz .LBB211_28
; %bb.27:
	v_lshlrev_b32_e32 v10, 1, v21
	v_mov_b32_e32 v11, 0
	v_lshl_add_u64 v[12:13], s[0:1], 0, v[10:11]
	v_lshlrev_b32_e32 v10, 1, v18
	v_lshl_add_u64 v[26:27], v[12:13], 0, v[10:11]
	global_load_dwordx4 v[14:17], v[26:27], off
	global_load_dwordx4 v[10:13], v[26:27], off offset:128
.LBB211_28:
	s_or_b64 exec, exec, s[2:3]
	v_lshrrev_b32_e32 v25, 3, v18
	v_lshlrev_b32_e32 v26, 3, v24
	v_or_b32_e32 v25, v26, v25
	v_lshlrev_b32_e32 v25, 4, v25
	v_and_b32_e32 v26, 0x78, v26
	v_xor_b32_e32 v25, v25, v26
	s_branch .LBB211_31
.LBB211_29:
                                        ; implicit-def: $vgpr25
                                        ; implicit-def: $vgpr21
                                        ; implicit-def: $vgpr6_vgpr7_vgpr8_vgpr9
                                        ; implicit-def: $vgpr2_vgpr3_vgpr4_vgpr5
                                        ; implicit-def: $vgpr14_vgpr15_vgpr16_vgpr17
                                        ; implicit-def: $vgpr10_vgpr11_vgpr12_vgpr13
	s_cbranch_execz .LBB211_31
; %bb.30:
	s_waitcnt vmcnt(0)
	v_lshlrev_b32_e32 v2, 1, v18
	v_lshl_or_b32 v21, v24, 8, v2
	s_and_b32 s1, s1, 0xffff
	s_mov_b32 s3, 0x20000
	s_movk_i32 s2, 0x4000
	v_lshl_or_b32 v25, v20, 8, v2
	s_movk_i32 s12, 0x80
	buffer_load_dwordx4 v[6:9], v21, s[0:3], 0 offen
	buffer_load_dwordx4 v[2:5], v21, s[0:3], s12 offen
	;; [unrolled: 1-line block ×4, first 2 shown]
	v_lshrrev_b32_e32 v21, 3, v18
	v_lshlrev_b32_e32 v25, 3, v24
	v_or_b32_e32 v21, v25, v21
	v_lshlrev_b32_e32 v21, 4, v21
	v_and_b32_e32 v25, 0x78, v25
	v_xor_b32_e32 v25, v21, v25
	v_lshlrev_b32_e32 v21, 7, v20
.LBB211_31:
	s_movk_i32 s0, 0x1000
	v_and_or_b32 v20, v21, s0, v25
	s_waitcnt vmcnt(1)
	ds_write_b64 v25, v[6:7] offset:49152
	v_xor_b32_e32 v6, 8, v25
	ds_write_b64 v6, v[8:9] offset:49152
	s_waitcnt vmcnt(0)
	ds_write_b64 v25, v[2:3] offset:57344
	ds_write_b64 v6, v[4:5] offset:57344
	;; [unrolled: 1-line block ×3, first 2 shown]
	v_xor_b32_e32 v2, 8, v20
	ds_write_b64 v2, v[16:17] offset:49152
	ds_write_b64 v20, v[10:11] offset:57344
	;; [unrolled: 1-line block ×3, first 2 shown]
	v_or_b32_e32 v2, v1, v90
	v_lshlrev_b32_e32 v3, 11, v88
	v_lshlrev_b32_e32 v2, 3, v2
	v_and_b32_e32 v6, 0x1000, v3
	v_lshrrev_b32_e32 v3, 5, v77
	s_movk_i32 s0, 0xf8
	v_and_or_b32 v3, v2, s0, v3
	v_lshlrev_b32_e32 v7, 4, v3
	v_and_b32_e32 v8, 0x78, v2
	v_or_b32_e32 v10, 32, v7
	v_lshrrev_b32_e32 v3, 1, v77
	v_xor_b32_e32 v10, v10, v8
	v_xor_b32_e32 v2, v7, v8
	v_and_b32_e32 v9, 8, v3
	v_or_b32_e32 v10, v10, v6
	v_or_b32_e32 v2, v2, v6
	v_xor_b32_e32 v27, v10, v9
	v_or_b32_e32 v10, 64, v7
	v_xor_b32_e32 v26, v2, v9
	v_xor_b32_e32 v10, v10, v8
	s_waitcnt lgkmcnt(0)
	s_barrier
	v_or_b32_e32 v13, v10, v6
	ds_read_b64 v[10:11], v26 offset:49152
	v_lshl_or_b32 v14, v89, 8, v34
	v_lshlrev_b32_e32 v25, 1, v14
	v_add_u32_e32 v12, 0x4000, v25
	ds_read2_b64 v[2:5], v12 offset1:16
	v_or_b32_e32 v7, 0x60, v7
	v_xor_b32_e32 v7, v7, v8
	v_or_b32_e32 v6, v7, v6
	v_xor_b32_e32 v28, v13, v9
	v_xor_b32_e32 v29, v6, v9
	ds_read_b64 v[20:21], v27 offset:49152
	ds_read_b64 v[36:37], v28 offset:49152
	;; [unrolled: 1-line block ×3, first 2 shown]
	s_waitcnt lgkmcnt(3)
	v_mfma_f32_16x16x16_bf16 a[0:3], v[10:11], v[2:3], 0
	ds_read2st64_b64 v[6:9], v25 offset0:36 offset1:40
	s_lshl_b64 s[0:1], s[24:25], 8
	s_add_u32 s4, s4, s0
	v_mfma_f32_16x16x16_bf16 a[4:7], v[10:11], v[4:5], 0
	ds_read2_b64 v[2:5], v12 offset0:32 offset1:48
	s_addc_u32 s5, s5, s1
	s_add_i32 s1, s45, s33
	s_waitcnt lgkmcnt(0)
	v_mfma_f32_16x16x16_bf16 a[8:11], v[10:11], v[2:3], 0
	v_or_b32_e32 v2, 64, v14
	v_lshlrev_b32_e32 v30, 1, v2
	s_add_i32 s0, s35, -1
	v_mfma_f32_16x16x16_bf16 a[12:15], v[10:11], v[4:5], 0
	ds_read2st64_b64 v[2:5], v30 offset0:36 offset1:40
	s_add_i32 s39, s1, s44
	s_add_i32 s1, s47, s46
	v_mfma_f32_16x16x16_bf16 a[0:3], v[20:21], v[6:7], a[0:3]
	v_or_b32_e32 v6, 0x80, v14
	v_lshlrev_b32_e32 v31, 1, v6
	ds_read2st64_b64 v[10:13], v31 offset0:36 offset1:40
	s_waitcnt lgkmcnt(1)
	v_mfma_f32_16x16x16_bf16 a[4:7], v[20:21], v[2:3], a[4:7]
	v_or_b32_e32 v2, 0xc0, v14
	v_lshlrev_b32_e32 v32, 1, v2
	ds_read2st64_b64 v[14:17], v32 offset0:36 offset1:40
	s_add_i32 s37, s1, s48
	s_ashr_i32 s1, s0, 31
	s_mul_i32 s2, s0, s31
	s_mul_hi_u32 s3, s0, s30
	s_add_i32 s2, s3, s2
	s_mul_i32 s1, s1, s30
	s_waitcnt lgkmcnt(1)
	v_mfma_f32_16x16x16_bf16 a[8:11], v[20:21], v[10:11], a[8:11]
	s_add_i32 s1, s2, s1
	s_lshl_b64 s[2:3], s[38:39], 2
	s_add_u32 s10, s10, s2
	s_waitcnt lgkmcnt(0)
	v_mfma_f32_16x16x16_bf16 a[12:15], v[20:21], v[14:15], a[12:15]
	s_addc_u32 s11, s11, s3
	s_lshl_b64 s[2:3], s[36:37], 2
	s_mul_i32 s0, s0, s30
	v_mfma_f32_16x16x16_bf16 a[0:3], v[36:37], v[8:9], a[0:3]
	ds_read_b64 v[2:3], v25 offset:22528
	s_add_u32 s10, s10, s2
	s_addc_u32 s11, s11, s3
	v_mfma_f32_16x16x16_bf16 a[4:7], v[36:37], v[4:5], a[4:7]
	ds_read_b64 v[4:5], v30 offset:22528
	ds_read_b64 v[6:7], v31 offset:22528
	;; [unrolled: 1-line block ×3, first 2 shown]
	s_lshl_b64 s[0:1], s[0:1], 2
	s_add_u32 s0, s10, s0
	v_mfma_f32_16x16x16_bf16 a[8:11], v[36:37], v[12:13], a[8:11]
	s_addc_u32 s1, s11, s1
	s_load_dword s12, s[0:1], 0x0
	s_and_b64 vcc, exec, s[22:23]
	v_mfma_f32_16x16x16_bf16 a[12:15], v[36:37], v[16:17], a[12:15]
	s_waitcnt lgkmcnt(0)
	v_mfma_f32_16x16x16_bf16 a[0:3], v[38:39], v[2:3], a[0:3]
	v_mfma_f32_16x16x16_bf16 a[4:7], v[38:39], v[4:5], a[4:7]
	;; [unrolled: 1-line block ×4, first 2 shown]
	s_cbranch_vccz .LBB211_42
; %bb.32:
	v_lshlrev_b32_e32 v20, 1, v24
	s_and_b64 vcc, exec, s[6:7]
	s_cbranch_vccz .LBB211_43
; %bb.33:
	v_cmp_gt_i32_e32 vcc, s27, v20
	v_mov_b32_e32 v6, 0
	v_mov_b32_e32 v2, 0
	;; [unrolled: 1-line block ×5, first 2 shown]
	s_and_saveexec_b64 s[0:1], vcc
	s_cbranch_execz .LBB211_35
; %bb.34:
	v_mad_i64_i32 v[2:3], s[2:3], s15, v20, 0
	v_lshl_add_u64 v[2:3], v[2:3], 1, s[4:5]
	v_lshlrev_b32_e32 v4, 1, v18
	v_mov_b32_e32 v5, 0
	v_lshl_add_u64 v[2:3], v[2:3], 0, v[4:5]
	global_load_dwordx4 v[2:5], v[2:3], off
.LBB211_35:
	s_or_b64 exec, exec, s[0:1]
	v_or_b32_e32 v21, 1, v20
	v_cmp_gt_i32_e64 s[0:1], s27, v21
	v_mov_b32_e32 v7, 0
	v_mov_b32_e32 v8, 0
	;; [unrolled: 1-line block ×3, first 2 shown]
	s_and_saveexec_b64 s[2:3], s[0:1]
	s_cbranch_execz .LBB211_37
; %bb.36:
	v_mad_i64_i32 v[6:7], s[16:17], s15, v21, 0
	v_lshl_add_u64 v[6:7], v[6:7], 1, s[4:5]
	v_lshlrev_b32_e32 v8, 1, v18
	v_mov_b32_e32 v9, 0
	v_lshl_add_u64 v[6:7], v[6:7], 0, v[8:9]
	global_load_dwordx4 v[6:9], v[6:7], off
.LBB211_37:
	s_or_b64 exec, exec, s[2:3]
	v_mov_b32_e32 v17, 0
	v_mov_b32_e32 v10, 0
	;; [unrolled: 1-line block ×5, first 2 shown]
	s_and_saveexec_b64 s[2:3], vcc
	s_cbranch_execz .LBB211_39
; %bb.38:
	v_mad_i64_i32 v[10:11], s[16:17], s15, v20, 0
	v_lshl_add_u64 v[10:11], v[10:11], 1, s[4:5]
	v_lshlrev_b32_e32 v12, 1, v18
	v_mov_b32_e32 v13, 0
	v_lshl_add_u64 v[10:11], v[10:11], 0, v[12:13]
	global_load_dwordx4 v[10:13], v[10:11], off offset:128
.LBB211_39:
	s_or_b64 exec, exec, s[2:3]
	v_mov_b32_e32 v16, 0
	v_mov_b32_e32 v15, 0
	;; [unrolled: 1-line block ×3, first 2 shown]
	s_and_saveexec_b64 s[2:3], s[0:1]
	s_cbranch_execz .LBB211_41
; %bb.40:
	v_mad_i64_i32 v[14:15], s[0:1], s15, v21, 0
	v_lshl_add_u64 v[14:15], v[14:15], 1, s[4:5]
	v_lshlrev_b32_e32 v16, 1, v18
	v_mov_b32_e32 v17, 0
	v_lshl_add_u64 v[14:15], v[14:15], 0, v[16:17]
	global_load_dwordx4 v[14:17], v[14:15], off offset:128
.LBB211_41:
	s_or_b64 exec, exec, s[2:3]
	s_branch .LBB211_45
.LBB211_42:
                                        ; implicit-def: $vgpr5
                                        ; implicit-def: $vgpr9
                                        ; implicit-def: $vgpr13
                                        ; implicit-def: $vgpr17
	v_lshrrev_b32_e32 v33, 2, v77
	s_branch .LBB211_46
.LBB211_43:
                                        ; implicit-def: $vgpr5
                                        ; implicit-def: $vgpr9
                                        ; implicit-def: $vgpr13
                                        ; implicit-def: $vgpr17
	s_cbranch_execz .LBB211_45
; %bb.44:
	s_waitcnt vmcnt(0)
	v_mad_u64_u32 v[2:3], s[0:1], v20, s15, v[18:19]
	v_lshlrev_b32_e32 v20, 1, v2
	s_lshl_b32 s2, s15, 7
	s_and_b32 s1, s5, 0xffff
	s_mov_b32 s3, 0x20000
	s_mov_b32 s0, s4
	v_add_lshl_u32 v21, v2, s15, 1
	s_movk_i32 s13, 0x80
	buffer_load_dwordx4 v[2:5], v20, s[0:3], 0 offen
	buffer_load_dwordx4 v[10:13], v20, s[0:3], s13 offen
	;; [unrolled: 1-line block ×4, first 2 shown]
.LBB211_45:
	v_lshrrev_b32_e32 v33, 2, v77
	s_cbranch_execnz .LBB211_58
.LBB211_46:
	s_and_b64 vcc, exec, s[6:7]
	s_cbranch_vccz .LBB211_56
; %bb.47:
	s_waitcnt vmcnt(0)
	v_lshlrev_b32_e32 v7, 1, v24
	v_cmp_gt_i32_e32 vcc, s27, v7
	v_mov_b32_e32 v6, 0
	v_lshlrev_b32_e32 v14, 9, v24
	v_mov_b32_e32 v2, 0
	v_mov_b32_e32 v3, 0
	;; [unrolled: 1-line block ×4, first 2 shown]
	s_and_saveexec_b64 s[0:1], vcc
	s_cbranch_execz .LBB211_49
; %bb.48:
	v_mov_b32_e32 v15, 0
	v_lshl_add_u64 v[2:3], s[4:5], 0, v[14:15]
	v_lshlrev_b32_e32 v4, 1, v18
	v_mov_b32_e32 v5, v15
	v_lshl_add_u64 v[2:3], v[2:3], 0, v[4:5]
	global_load_dwordx4 v[2:5], v[2:3], off
.LBB211_49:
	s_or_b64 exec, exec, s[0:1]
	v_or_b32_e32 v7, 1, v7
	v_cmp_gt_i32_e64 s[0:1], s27, v7
	v_lshlrev_b32_e32 v20, 8, v7
	v_mov_b32_e32 v7, 0
	v_mov_b32_e32 v8, 0
	;; [unrolled: 1-line block ×3, first 2 shown]
	s_and_saveexec_b64 s[2:3], s[0:1]
	s_cbranch_execz .LBB211_51
; %bb.50:
	v_mov_b32_e32 v21, 0
	v_lshl_add_u64 v[6:7], s[4:5], 0, v[20:21]
	v_lshlrev_b32_e32 v8, 1, v18
	v_mov_b32_e32 v9, v21
	v_lshl_add_u64 v[6:7], v[6:7], 0, v[8:9]
	global_load_dwordx4 v[6:9], v[6:7], off
.LBB211_51:
	s_or_b64 exec, exec, s[2:3]
	v_mov_b32_e32 v17, 0
	v_mov_b32_e32 v10, 0
	;; [unrolled: 1-line block ×5, first 2 shown]
	s_and_saveexec_b64 s[2:3], vcc
	s_cbranch_execz .LBB211_53
; %bb.52:
	v_mov_b32_e32 v15, 0
	v_lshl_add_u64 v[10:11], s[4:5], 0, v[14:15]
	v_lshlrev_b32_e32 v14, 1, v18
	v_lshl_add_u64 v[10:11], v[10:11], 0, v[14:15]
	global_load_dwordx4 v[10:13], v[10:11], off offset:128
.LBB211_53:
	s_or_b64 exec, exec, s[2:3]
	v_mov_b32_e32 v16, 0
	v_mov_b32_e32 v15, 0
	;; [unrolled: 1-line block ×3, first 2 shown]
	s_and_saveexec_b64 s[2:3], s[0:1]
	s_cbranch_execz .LBB211_55
; %bb.54:
	v_mov_b32_e32 v21, 0
	v_lshl_add_u64 v[14:15], s[4:5], 0, v[20:21]
	v_lshlrev_b32_e32 v20, 1, v18
	v_lshl_add_u64 v[14:15], v[14:15], 0, v[20:21]
	global_load_dwordx4 v[14:17], v[14:15], off offset:128
.LBB211_55:
	s_or_b64 exec, exec, s[2:3]
	s_branch .LBB211_58
.LBB211_56:
                                        ; implicit-def: $vgpr5
                                        ; implicit-def: $vgpr9
                                        ; implicit-def: $vgpr13
                                        ; implicit-def: $vgpr17
	s_cbranch_execz .LBB211_58
; %bb.57:
	s_waitcnt vmcnt(0)
	v_lshlrev_b32_e32 v2, 1, v18
	v_lshl_or_b32 v18, v24, 9, v2
	s_and_b32 s5, s5, 0xffff
	s_mov_b32 s7, 0x20000
	s_movk_i32 s6, 0x4000
	s_movk_i32 s0, 0x80
	buffer_load_dwordx4 v[2:5], v18, s[4:7], 0 offen
	buffer_load_dwordx4 v[6:9], v18, s[4:7], 0 offen offset:256
	buffer_load_dwordx4 v[10:13], v18, s[4:7], s0 offen
	buffer_load_dwordx4 v[14:17], v18, s[4:7], s0 offen offset:256
.LBB211_58:
	ds_read_b64 v[20:21], v26 offset:57344
	v_add_u32_e32 v18, 0x6000, v25
	ds_read2_b64 v[36:39], v18 offset1:16
	ds_read_b64 v[48:49], v27 offset:57344
	ds_read_b64 v[50:51], v28 offset:57344
	;; [unrolled: 1-line block ×3, first 2 shown]
	ds_read2_b64 v[26:29], v18 offset0:32 offset1:48
	v_and_b32_e32 v18, 6, v0
	v_xor_b32_e32 v24, v24, v18
	v_lshlrev_b32_e32 v24, 2, v24
	v_and_b32_e32 v0, 1, v0
	v_cmp_eq_u32_e32 vcc, 0, v0
	s_waitcnt lgkmcnt(4)
	v_mfma_f32_16x16x16_bf16 a[0:3], v[20:21], v[36:37], a[0:3]
	s_mov_b32 s0, 0x1000504
	s_mov_b32 s1, 0x3020706
	v_mfma_f32_16x16x16_bf16 a[4:7], v[20:21], v[38:39], a[4:7]
	ds_read2st64_b64 v[36:39], v25 offset0:52 offset1:56
	s_waitcnt lgkmcnt(1)
	v_mfma_f32_16x16x16_bf16 a[8:11], v[20:21], v[26:27], a[8:11]
	v_mfma_f32_16x16x16_bf16 a[12:15], v[20:21], v[28:29], a[12:15]
	ds_read2st64_b64 v[26:29], v30 offset0:52 offset1:56
	ds_read2st64_b64 v[40:43], v31 offset0:52 offset1:56
	;; [unrolled: 1-line block ×3, first 2 shown]
	s_waitcnt lgkmcnt(3)
	v_mfma_f32_16x16x16_bf16 a[0:3], v[48:49], v[36:37], a[0:3]
	ds_read_b64 v[20:21], v25 offset:30720
	ds_read_b64 v[36:37], v30 offset:30720
	;; [unrolled: 1-line block ×4, first 2 shown]
	v_xor_b32_e32 v25, 0x440, v24
	v_cndmask_b32_e32 v0, v25, v24, vcc
	s_waitcnt lgkmcnt(6)
	v_mfma_f32_16x16x16_bf16 a[4:7], v[48:49], v[26:27], a[4:7]
	v_lshl_or_b32 v0, v18, 10, v0
	s_waitcnt vmcnt(0)
	v_perm_b32 v18, v2, v6, s0
	v_perm_b32 v24, v10, v14, s0
	s_waitcnt lgkmcnt(5)
	v_mfma_f32_16x16x16_bf16 a[8:11], v[48:49], v[40:41], a[8:11]
	ds_write2st64_b32 v0, v18, v24 offset0:128 offset1:160
	v_xor_b32_e32 v18, 8, v0
	v_perm_b32 v2, v2, v6, s1
	s_waitcnt lgkmcnt(5)
	v_mfma_f32_16x16x16_bf16 a[12:15], v[48:49], v[44:45], a[12:15]
	v_perm_b32 v6, v10, v14, s1
	v_add_u32_e32 v10, 0x80, v18
	ds_write2st64_b32 v10, v2, v6 offset0:128 offset1:160
	v_mfma_f32_16x16x16_bf16 a[0:3], v[50:51], v[38:39], a[0:3]
	v_xor_b32_e32 v2, 16, v0
	v_perm_b32 v6, v3, v7, s0
	v_perm_b32 v10, v11, v15, s0
	v_mfma_f32_16x16x16_bf16 a[4:7], v[50:51], v[28:29], a[4:7]
	ds_write2st64_b32 v2, v6, v10 offset0:129 offset1:161
	v_xor_b32_e32 v2, 24, v0
	v_perm_b32 v3, v3, v7, s1
	v_mfma_f32_16x16x16_bf16 a[16:19], v[50:51], v[42:43], a[8:11]
	v_perm_b32 v6, v11, v15, s1
	v_add_u32_e32 v2, 0x80, v2
	ds_write2st64_b32 v2, v3, v6 offset0:129 offset1:161
	v_mfma_f32_16x16x16_bf16 a[20:23], v[50:51], v[46:47], a[12:15]
	v_xor_b32_e32 v2, 32, v0
	v_perm_b32 v3, v4, v8, s0
	v_perm_b32 v6, v12, v16, s0
	s_waitcnt lgkmcnt(7)
	v_mfma_f32_16x16x16_bf16 a[12:15], v[52:53], v[20:21], a[0:3]
	ds_write2st64_b32 v2, v3, v6 offset0:130 offset1:162
	v_xor_b32_e32 v2, 40, v0
	v_perm_b32 v3, v4, v8, s1
	s_waitcnt lgkmcnt(7)
	v_mfma_f32_16x16x16_bf16 a[8:11], v[52:53], v[36:37], a[4:7]
	v_perm_b32 v4, v12, v16, s1
	v_add_u32_e32 v2, 0x80, v2
	ds_write2st64_b32 v2, v3, v4 offset0:130 offset1:162
	s_waitcnt lgkmcnt(7)
	v_mfma_f32_16x16x16_bf16 a[4:7], v[52:53], v[30:31], a[16:19]
	v_xor_b32_e32 v2, 48, v0
	v_perm_b32 v3, v5, v9, s0
	v_perm_b32 v4, v13, v17, s0
	s_waitcnt lgkmcnt(6)
	v_mfma_f32_16x16x16_bf16 a[0:3], v[52:53], v[54:55], a[20:23]
	v_xor_b32_e32 v0, 56, v0
	v_and_or_b32 v21, v33, 12, v1
	ds_write2st64_b32 v2, v3, v4 offset0:131 offset1:163
	v_perm_b32 v2, v5, v9, s1
	v_perm_b32 v3, v13, v17, s1
	v_add_u32_e32 v0, 0x80, v0
	v_cmp_gt_i32_e32 vcc, s27, v21
	v_mov_b32_e32 v16, 0
	v_mov_b32_e32 v18, 0
	ds_write2st64_b32 v0, v2, v3 offset0:131 offset1:163
	s_and_saveexec_b64 s[0:1], vcc
	s_cbranch_execz .LBB211_60
; %bb.59:
	v_add_u32_e32 v0, s26, v21
	v_ashrrev_i32_e32 v1, 31, v0
	v_mul_lo_u32 v2, v1, s30
	v_mul_lo_u32 v3, v0, s31
	v_mad_u64_u32 v[0:1], s[2:3], v0, s30, 0
	v_add3_u32 v1, v1, v3, v2
	v_lshl_add_u64 v[0:1], v[0:1], 2, s[10:11]
	global_load_dword v0, v[0:1], off
	s_waitcnt vmcnt(0)
	v_sub_f32_e32 v0, s12, v0
	v_mul_f32_e32 v0, 0x3fb8aa3b, v0
	v_exp_f32_e32 v18, v0
.LBB211_60:
	s_or_b64 exec, exec, s[0:1]
	v_or_b32_e32 v10, 1, v21
	v_cmp_gt_i32_e64 s[0:1], s27, v10
	s_and_saveexec_b64 s[2:3], s[0:1]
	s_cbranch_execz .LBB211_62
; %bb.61:
	v_add_u32_e32 v0, s26, v10
	v_ashrrev_i32_e32 v1, 31, v0
	v_mul_lo_u32 v2, v1, s30
	v_mul_lo_u32 v3, v0, s31
	v_mad_u64_u32 v[0:1], s[4:5], v0, s30, 0
	v_add3_u32 v1, v1, v3, v2
	v_lshl_add_u64 v[0:1], v[0:1], 2, s[10:11]
	global_load_dword v0, v[0:1], off
	s_waitcnt vmcnt(0)
	v_sub_f32_e32 v0, s12, v0
	v_mul_f32_e32 v0, 0x3fb8aa3b, v0
	v_exp_f32_e32 v16, v0
.LBB211_62:
	s_or_b64 exec, exec, s[2:3]
	v_or_b32_e32 v12, 2, v21
	v_cmp_gt_i32_e64 s[2:3], s27, v12
	v_mov_b32_e32 v17, 0
	v_mov_b32_e32 v20, 0
	s_and_saveexec_b64 s[4:5], s[2:3]
	s_cbranch_execz .LBB211_64
; %bb.63:
	v_add_u32_e32 v0, s26, v12
	v_ashrrev_i32_e32 v1, 31, v0
	v_mul_lo_u32 v2, v1, s30
	v_mul_lo_u32 v3, v0, s31
	v_mad_u64_u32 v[0:1], s[6:7], v0, s30, 0
	v_add3_u32 v1, v1, v3, v2
	v_lshl_add_u64 v[0:1], v[0:1], 2, s[10:11]
	global_load_dword v0, v[0:1], off
	s_waitcnt vmcnt(0)
	v_sub_f32_e32 v0, s12, v0
	v_mul_f32_e32 v0, 0x3fb8aa3b, v0
	v_exp_f32_e32 v20, v0
.LBB211_64:
	s_or_b64 exec, exec, s[4:5]
	v_or_b32_e32 v14, 3, v21
	v_cmp_gt_i32_e64 s[4:5], s27, v14
	s_and_saveexec_b64 s[6:7], s[4:5]
	s_cbranch_execz .LBB211_66
; %bb.65:
	v_add_u32_e32 v0, s26, v14
	v_ashrrev_i32_e32 v1, 31, v0
	v_mul_lo_u32 v2, v1, s30
	v_mul_lo_u32 v3, v0, s31
	v_mad_u64_u32 v[0:1], s[14:15], v0, s30, 0
	v_add3_u32 v1, v1, v3, v2
	v_lshl_add_u64 v[0:1], v[0:1], 2, s[10:11]
	global_load_dword v0, v[0:1], off
	s_waitcnt vmcnt(0)
	v_sub_f32_e32 v0, s12, v0
	v_mul_f32_e32 v0, 0x3fb8aa3b, v0
	v_exp_f32_e32 v17, v0
.LBB211_66:
	s_or_b64 exec, exec, s[6:7]
	s_add_u32 s6, s8, s20
	s_addc_u32 s7, s9, s21
	s_add_u32 s8, s28, s20
	v_ashrrev_i32_e32 v79, 31, v78
	v_accvgpr_read_b32 v0, a12
	s_addc_u32 s9, s29, s21
	v_lshlrev_b64 v[4:5], 1, v[78:79]
	v_accvgpr_read_b32 v1, a13
	v_accvgpr_read_b32 v2, a14
	;; [unrolled: 1-line block ×3, first 2 shown]
	v_lshl_add_u64 v[6:7], s[6:7], 0, v[4:5]
	v_lshl_add_u64 v[4:5], s[8:9], 0, v[4:5]
	v_mov_b32_e32 v11, 0
	v_lshlrev_b32_e32 v8, 8, v21
	v_mov_b32_e32 v9, 0
	s_and_saveexec_b64 s[6:7], vcc
	s_cbranch_execz .LBB211_68
; %bb.67:
	v_mov_b32_e32 v9, 0
	v_lshl_add_u64 v[24:25], v[6:7], 0, v[8:9]
	global_load_ushort v13, v[24:25], off
	v_lshl_add_u64 v[24:25], v[4:5], 0, v[8:9]
	s_waitcnt vmcnt(0)
	v_lshlrev_b32_e32 v9, 16, v13
	v_sub_f32_e32 v0, v9, v0
	global_store_short_d16_hi v[24:25], v0, off
	v_mul_f32_e32 v0, v18, v0
	v_lshrrev_b32_e32 v9, 16, v0
.LBB211_68:
	s_or_b64 exec, exec, s[6:7]
	v_lshlrev_b32_e32 v10, 8, v10
	s_and_saveexec_b64 s[6:7], s[0:1]
	s_cbranch_execz .LBB211_70
; %bb.69:
	v_mov_b32_e32 v11, 0
	v_lshl_add_u64 v[24:25], v[6:7], 0, v[10:11]
	global_load_ushort v0, v[24:25], off
	v_lshl_add_u64 v[24:25], v[4:5], 0, v[10:11]
	s_waitcnt vmcnt(0)
	v_lshlrev_b32_e32 v0, 16, v0
	v_sub_f32_e32 v0, v0, v1
	global_store_short_d16_hi v[24:25], v0, off
	v_mul_f32_e32 v0, v16, v0
	v_lshrrev_b32_e32 v11, 16, v0
.LBB211_70:
	s_or_b64 exec, exec, s[6:7]
	v_mov_b32_e32 v15, 0
	v_lshlrev_b32_e32 v12, 8, v12
	v_mov_b32_e32 v13, 0
	s_and_saveexec_b64 s[6:7], s[2:3]
	s_cbranch_execz .LBB211_72
; %bb.71:
	v_mov_b32_e32 v13, 0
	v_lshl_add_u64 v[0:1], v[6:7], 0, v[12:13]
	global_load_ushort v24, v[0:1], off
	v_lshl_add_u64 v[0:1], v[4:5], 0, v[12:13]
	s_waitcnt vmcnt(0)
	v_lshlrev_b32_e32 v13, 16, v24
	v_sub_f32_e32 v2, v13, v2
	global_store_short_d16_hi v[0:1], v2, off
	v_mul_f32_e32 v0, v20, v2
	v_lshrrev_b32_e32 v13, 16, v0
.LBB211_72:
	s_or_b64 exec, exec, s[6:7]
	v_lshlrev_b32_e32 v14, 8, v14
	s_and_saveexec_b64 s[6:7], s[4:5]
	s_cbranch_execz .LBB211_74
; %bb.73:
	v_mov_b32_e32 v15, 0
	v_lshl_add_u64 v[0:1], v[6:7], 0, v[14:15]
	global_load_ushort v2, v[0:1], off
	v_lshl_add_u64 v[0:1], v[4:5], 0, v[14:15]
	s_waitcnt vmcnt(0)
	v_lshlrev_b32_e32 v2, 16, v2
	v_sub_f32_e32 v2, v2, v3
	global_store_short_d16_hi v[0:1], v2, off
	v_mul_f32_e32 v0, v17, v2
	v_lshrrev_b32_e32 v15, 16, v0
.LBB211_74:
	s_or_b64 exec, exec, s[6:7]
	v_lshlrev_b32_e32 v21, 6, v21
	s_mov_b32 s6, 0x5040100
	v_perm_b32 v24, v11, v9, s6
	v_or_b32_e32 v9, v21, v34
	v_accvgpr_read_b32 v0, a8
	v_perm_b32 v25, v15, v13, s6
	v_lshlrev_b32_e32 v9, 1, v9
	v_accvgpr_read_b32 v1, a9
	v_accvgpr_read_b32 v2, a10
	;; [unrolled: 1-line block ×3, first 2 shown]
	ds_write_b64 v9, v[24:25] offset:24576
	v_mov_b32_e32 v11, 0
	v_mov_b32_e32 v9, 0
	s_and_saveexec_b64 s[6:7], vcc
	s_cbranch_execz .LBB211_76
; %bb.75:
	v_mov_b32_e32 v9, 0
	v_lshl_add_u64 v[24:25], v[6:7], 0, v[8:9]
	global_load_ushort v13, v[24:25], off offset:32
	v_lshl_add_u64 v[24:25], v[4:5], 0, v[8:9]
	s_waitcnt vmcnt(0)
	v_lshlrev_b32_e32 v9, 16, v13
	v_sub_f32_e32 v0, v9, v0
	global_store_short_d16_hi v[24:25], v0, off offset:32
	v_mul_f32_e32 v0, v18, v0
	v_lshrrev_b32_e32 v9, 16, v0
.LBB211_76:
	s_or_b64 exec, exec, s[6:7]
	s_and_saveexec_b64 s[6:7], s[0:1]
	s_cbranch_execz .LBB211_78
; %bb.77:
	v_mov_b32_e32 v11, 0
	v_lshl_add_u64 v[24:25], v[6:7], 0, v[10:11]
	global_load_ushort v0, v[24:25], off offset:32
	v_lshl_add_u64 v[24:25], v[4:5], 0, v[10:11]
	s_waitcnt vmcnt(0)
	v_lshlrev_b32_e32 v0, 16, v0
	v_sub_f32_e32 v0, v0, v1
	global_store_short_d16_hi v[24:25], v0, off offset:32
	v_mul_f32_e32 v0, v16, v0
	v_lshrrev_b32_e32 v11, 16, v0
.LBB211_78:
	s_or_b64 exec, exec, s[6:7]
	v_mov_b32_e32 v15, 0
	v_mov_b32_e32 v13, 0
	s_and_saveexec_b64 s[6:7], s[2:3]
	s_cbranch_execz .LBB211_80
; %bb.79:
	v_mov_b32_e32 v13, 0
	v_lshl_add_u64 v[0:1], v[6:7], 0, v[12:13]
	global_load_ushort v24, v[0:1], off offset:32
	v_lshl_add_u64 v[0:1], v[4:5], 0, v[12:13]
	s_waitcnt vmcnt(0)
	v_lshlrev_b32_e32 v13, 16, v24
	v_sub_f32_e32 v2, v13, v2
	global_store_short_d16_hi v[0:1], v2, off offset:32
	v_mul_f32_e32 v0, v20, v2
	v_lshrrev_b32_e32 v13, 16, v0
.LBB211_80:
	s_or_b64 exec, exec, s[6:7]
	s_and_saveexec_b64 s[6:7], s[4:5]
	s_cbranch_execz .LBB211_82
; %bb.81:
	v_mov_b32_e32 v15, 0
	v_lshl_add_u64 v[0:1], v[6:7], 0, v[14:15]
	global_load_ushort v2, v[0:1], off offset:32
	v_lshl_add_u64 v[0:1], v[4:5], 0, v[14:15]
	s_waitcnt vmcnt(0)
	v_lshlrev_b32_e32 v2, 16, v2
	v_sub_f32_e32 v2, v2, v3
	global_store_short_d16_hi v[0:1], v2, off offset:32
	v_mul_f32_e32 v0, v17, v2
	v_lshrrev_b32_e32 v15, 16, v0
.LBB211_82:
	s_or_b64 exec, exec, s[6:7]
	s_mov_b32 s6, 0x5040100
	v_perm_b32 v24, v11, v9, s6
	v_or_b32_e32 v9, v21, v23
	v_accvgpr_read_b32 v0, a4
	v_perm_b32 v25, v15, v13, s6
	v_lshlrev_b32_e32 v9, 1, v9
	v_accvgpr_read_b32 v1, a5
	v_accvgpr_read_b32 v2, a6
	v_accvgpr_read_b32 v3, a7
	ds_write_b64 v9, v[24:25] offset:24576
	v_mov_b32_e32 v11, 0
	v_mov_b32_e32 v9, 0
	s_and_saveexec_b64 s[6:7], vcc
	s_cbranch_execz .LBB211_84
; %bb.83:
	v_mov_b32_e32 v9, 0
	v_lshl_add_u64 v[24:25], v[6:7], 0, v[8:9]
	global_load_ushort v13, v[24:25], off offset:64
	v_lshl_add_u64 v[24:25], v[4:5], 0, v[8:9]
	s_waitcnt vmcnt(0)
	v_lshlrev_b32_e32 v9, 16, v13
	v_sub_f32_e32 v0, v9, v0
	global_store_short_d16_hi v[24:25], v0, off offset:64
	v_mul_f32_e32 v0, v18, v0
	v_lshrrev_b32_e32 v9, 16, v0
.LBB211_84:
	s_or_b64 exec, exec, s[6:7]
	s_and_saveexec_b64 s[6:7], s[0:1]
	s_cbranch_execz .LBB211_86
; %bb.85:
	v_mov_b32_e32 v11, 0
	v_lshl_add_u64 v[24:25], v[6:7], 0, v[10:11]
	global_load_ushort v0, v[24:25], off offset:64
	v_lshl_add_u64 v[24:25], v[4:5], 0, v[10:11]
	s_waitcnt vmcnt(0)
	v_lshlrev_b32_e32 v0, 16, v0
	v_sub_f32_e32 v0, v0, v1
	global_store_short_d16_hi v[24:25], v0, off offset:64
	v_mul_f32_e32 v0, v16, v0
	v_lshrrev_b32_e32 v11, 16, v0
.LBB211_86:
	s_or_b64 exec, exec, s[6:7]
	v_mov_b32_e32 v15, 0
	v_mov_b32_e32 v13, 0
	s_and_saveexec_b64 s[6:7], s[2:3]
	s_cbranch_execz .LBB211_88
; %bb.87:
	v_mov_b32_e32 v13, 0
	v_lshl_add_u64 v[0:1], v[6:7], 0, v[12:13]
	global_load_ushort v23, v[0:1], off offset:64
	v_lshl_add_u64 v[0:1], v[4:5], 0, v[12:13]
	s_waitcnt vmcnt(0)
	v_lshlrev_b32_e32 v13, 16, v23
	v_sub_f32_e32 v2, v13, v2
	global_store_short_d16_hi v[0:1], v2, off offset:64
	v_mul_f32_e32 v0, v20, v2
	v_lshrrev_b32_e32 v13, 16, v0
.LBB211_88:
	s_or_b64 exec, exec, s[6:7]
	s_and_saveexec_b64 s[6:7], s[4:5]
	s_cbranch_execz .LBB211_90
; %bb.89:
	v_mov_b32_e32 v15, 0
	v_lshl_add_u64 v[0:1], v[6:7], 0, v[14:15]
	global_load_ushort v2, v[0:1], off offset:64
	v_lshl_add_u64 v[0:1], v[4:5], 0, v[14:15]
	s_waitcnt vmcnt(0)
	v_lshlrev_b32_e32 v2, 16, v2
	v_sub_f32_e32 v2, v2, v3
	global_store_short_d16_hi v[0:1], v2, off offset:64
	v_mul_f32_e32 v0, v17, v2
	v_lshrrev_b32_e32 v15, 16, v0
.LBB211_90:
	s_or_b64 exec, exec, s[6:7]
	s_mov_b32 s6, 0x5040100
	v_perm_b32 v24, v11, v9, s6
	v_or_b32_e32 v9, v21, v22
	v_accvgpr_read_b32 v0, a0
	v_perm_b32 v25, v15, v13, s6
	v_lshlrev_b32_e32 v9, 1, v9
	v_accvgpr_read_b32 v1, a1
	v_accvgpr_read_b32 v2, a2
	;; [unrolled: 1-line block ×3, first 2 shown]
	ds_write_b64 v9, v[24:25] offset:24576
	v_mov_b32_e32 v11, 0
	v_mov_b32_e32 v9, 0
	s_and_saveexec_b64 s[6:7], vcc
	s_cbranch_execz .LBB211_92
; %bb.91:
	v_mov_b32_e32 v9, 0
	v_lshl_add_u64 v[22:23], v[6:7], 0, v[8:9]
	global_load_ushort v13, v[22:23], off offset:96
	v_lshl_add_u64 v[8:9], v[4:5], 0, v[8:9]
	s_waitcnt vmcnt(0)
	v_lshlrev_b32_e32 v13, 16, v13
	v_sub_f32_e32 v0, v13, v0
	global_store_short_d16_hi v[8:9], v0, off offset:96
	v_mul_f32_e32 v0, v18, v0
	v_lshrrev_b32_e32 v9, 16, v0
.LBB211_92:
	s_or_b64 exec, exec, s[6:7]
	s_and_saveexec_b64 s[6:7], s[0:1]
	s_cbranch_execz .LBB211_94
; %bb.93:
	v_mov_b32_e32 v11, 0
	v_lshl_add_u64 v[22:23], v[6:7], 0, v[10:11]
	global_load_ushort v0, v[22:23], off offset:96
	v_lshl_add_u64 v[10:11], v[4:5], 0, v[10:11]
	s_waitcnt vmcnt(0)
	v_lshlrev_b32_e32 v0, 16, v0
	v_sub_f32_e32 v0, v0, v1
	global_store_short_d16_hi v[10:11], v0, off offset:96
	v_mul_f32_e32 v0, v16, v0
	v_lshrrev_b32_e32 v11, 16, v0
.LBB211_94:
	s_or_b64 exec, exec, s[6:7]
	v_mov_b32_e32 v0, 0
	v_mov_b32_e32 v1, 0
	s_and_saveexec_b64 s[0:1], s[2:3]
	s_cbranch_execz .LBB211_96
; %bb.95:
	v_mov_b32_e32 v13, 0
	v_lshl_add_u64 v[22:23], v[6:7], 0, v[12:13]
	global_load_ushort v1, v[22:23], off offset:96
	v_lshl_add_u64 v[12:13], v[4:5], 0, v[12:13]
	s_waitcnt vmcnt(0)
	v_lshlrev_b32_e32 v1, 16, v1
	v_sub_f32_e32 v1, v1, v2
	global_store_short_d16_hi v[12:13], v1, off offset:96
	v_mul_f32_e32 v1, v20, v1
	v_lshrrev_b32_e32 v1, 16, v1
.LBB211_96:
	s_or_b64 exec, exec, s[0:1]
	s_and_saveexec_b64 s[0:1], s[4:5]
	s_cbranch_execz .LBB211_98
; %bb.97:
	v_mov_b32_e32 v15, 0
	v_lshl_add_u64 v[6:7], v[6:7], 0, v[14:15]
	global_load_ushort v0, v[6:7], off offset:96
	v_lshl_add_u64 v[4:5], v[4:5], 0, v[14:15]
	s_waitcnt vmcnt(0)
	v_lshlrev_b32_e32 v0, 16, v0
	v_sub_f32_e32 v0, v0, v3
	global_store_short_d16_hi v[4:5], v0, off offset:96
	v_mul_f32_e32 v0, v17, v0
	v_lshrrev_b32_e32 v0, 16, v0
.LBB211_98:
	s_or_b64 exec, exec, s[0:1]
	s_mov_b32 s0, 0x5040100
	v_or_b32_e32 v2, v21, v19
	v_perm_b32 v1, v0, v1, s0
	v_perm_b32 v0, v11, v9, s0
	v_lshlrev_b32_e32 v2, 1, v2
	ds_write_b64 v2, v[0:1] offset:24576
	s_waitcnt lgkmcnt(0)
	s_barrier
.LBB211_99:
	s_endpgm
	.section	.rodata,"a",@progbits
	.p2align	6, 0x0
	.amdhsa_kernel _ZN12_GLOBAL__N_139chunk_gated_delta_rule_fwd_h_hip_kernelILi64ELb1ELb0ELb1ELb1ELb0ELb1ELb0ELb0EEEvPK12hip_bfloat16S3_S3_PKfS5_PKvPS1_S8_PvPKiSB_iiiiilll
		.amdhsa_group_segment_fixed_size 65536
		.amdhsa_private_segment_fixed_size 0
		.amdhsa_kernarg_size 136
		.amdhsa_user_sgpr_count 2
		.amdhsa_user_sgpr_dispatch_ptr 0
		.amdhsa_user_sgpr_queue_ptr 0
		.amdhsa_user_sgpr_kernarg_segment_ptr 1
		.amdhsa_user_sgpr_dispatch_id 0
		.amdhsa_user_sgpr_kernarg_preload_length 0
		.amdhsa_user_sgpr_kernarg_preload_offset 0
		.amdhsa_user_sgpr_private_segment_size 0
		.amdhsa_uses_dynamic_stack 0
		.amdhsa_enable_private_segment 0
		.amdhsa_system_sgpr_workgroup_id_x 1
		.amdhsa_system_sgpr_workgroup_id_y 1
		.amdhsa_system_sgpr_workgroup_id_z 0
		.amdhsa_system_sgpr_workgroup_info 0
		.amdhsa_system_vgpr_workitem_id 0
		.amdhsa_next_free_vgpr 232
		.amdhsa_next_free_sgpr 65
		.amdhsa_accum_offset 192
		.amdhsa_reserve_vcc 1
		.amdhsa_float_round_mode_32 0
		.amdhsa_float_round_mode_16_64 0
		.amdhsa_float_denorm_mode_32 3
		.amdhsa_float_denorm_mode_16_64 3
		.amdhsa_dx10_clamp 1
		.amdhsa_ieee_mode 1
		.amdhsa_fp16_overflow 0
		.amdhsa_tg_split 0
		.amdhsa_exception_fp_ieee_invalid_op 0
		.amdhsa_exception_fp_denorm_src 0
		.amdhsa_exception_fp_ieee_div_zero 0
		.amdhsa_exception_fp_ieee_overflow 0
		.amdhsa_exception_fp_ieee_underflow 0
		.amdhsa_exception_fp_ieee_inexact 0
		.amdhsa_exception_int_div_zero 0
	.end_amdhsa_kernel
	.section	.text._ZN12_GLOBAL__N_139chunk_gated_delta_rule_fwd_h_hip_kernelILi64ELb1ELb0ELb1ELb1ELb0ELb1ELb0ELb0EEEvPK12hip_bfloat16S3_S3_PKfS5_PKvPS1_S8_PvPKiSB_iiiiilll,"axG",@progbits,_ZN12_GLOBAL__N_139chunk_gated_delta_rule_fwd_h_hip_kernelILi64ELb1ELb0ELb1ELb1ELb0ELb1ELb0ELb0EEEvPK12hip_bfloat16S3_S3_PKfS5_PKvPS1_S8_PvPKiSB_iiiiilll,comdat
.Lfunc_end211:
	.size	_ZN12_GLOBAL__N_139chunk_gated_delta_rule_fwd_h_hip_kernelILi64ELb1ELb0ELb1ELb1ELb0ELb1ELb0ELb0EEEvPK12hip_bfloat16S3_S3_PKfS5_PKvPS1_S8_PvPKiSB_iiiiilll, .Lfunc_end211-_ZN12_GLOBAL__N_139chunk_gated_delta_rule_fwd_h_hip_kernelILi64ELb1ELb0ELb1ELb1ELb0ELb1ELb0ELb0EEEvPK12hip_bfloat16S3_S3_PKfS5_PKvPS1_S8_PvPKiSB_iiiiilll
                                        ; -- End function
	.section	.AMDGPU.csdata,"",@progbits
; Kernel info:
; codeLenInByte = 11428
; NumSgprs: 71
; NumVgprs: 192
; NumAgprs: 40
; TotalNumVgprs: 232
; ScratchSize: 0
; MemoryBound: 0
; FloatMode: 240
; IeeeMode: 1
; LDSByteSize: 65536 bytes/workgroup (compile time only)
; SGPRBlocks: 8
; VGPRBlocks: 28
; NumSGPRsForWavesPerEU: 71
; NumVGPRsForWavesPerEU: 232
; AccumOffset: 192
; Occupancy: 1
; WaveLimiterHint : 1
; COMPUTE_PGM_RSRC2:SCRATCH_EN: 0
; COMPUTE_PGM_RSRC2:USER_SGPR: 2
; COMPUTE_PGM_RSRC2:TRAP_HANDLER: 0
; COMPUTE_PGM_RSRC2:TGID_X_EN: 1
; COMPUTE_PGM_RSRC2:TGID_Y_EN: 1
; COMPUTE_PGM_RSRC2:TGID_Z_EN: 0
; COMPUTE_PGM_RSRC2:TIDIG_COMP_CNT: 0
; COMPUTE_PGM_RSRC3_GFX90A:ACCUM_OFFSET: 47
; COMPUTE_PGM_RSRC3_GFX90A:TG_SPLIT: 0
	.section	.text._ZN12_GLOBAL__N_139chunk_gated_delta_rule_fwd_h_hip_kernelILi64ELb1ELb0ELb0ELb1ELb0ELb1ELb0ELb0EEEvPK12hip_bfloat16S3_S3_PKfS5_PKvPS1_S8_PvPKiSB_iiiiilll,"axG",@progbits,_ZN12_GLOBAL__N_139chunk_gated_delta_rule_fwd_h_hip_kernelILi64ELb1ELb0ELb0ELb1ELb0ELb1ELb0ELb0EEEvPK12hip_bfloat16S3_S3_PKfS5_PKvPS1_S8_PvPKiSB_iiiiilll,comdat
	.globl	_ZN12_GLOBAL__N_139chunk_gated_delta_rule_fwd_h_hip_kernelILi64ELb1ELb0ELb0ELb1ELb0ELb1ELb0ELb0EEEvPK12hip_bfloat16S3_S3_PKfS5_PKvPS1_S8_PvPKiSB_iiiiilll ; -- Begin function _ZN12_GLOBAL__N_139chunk_gated_delta_rule_fwd_h_hip_kernelILi64ELb1ELb0ELb0ELb1ELb0ELb1ELb0ELb0EEEvPK12hip_bfloat16S3_S3_PKfS5_PKvPS1_S8_PvPKiSB_iiiiilll
	.p2align	8
	.type	_ZN12_GLOBAL__N_139chunk_gated_delta_rule_fwd_h_hip_kernelILi64ELb1ELb0ELb0ELb1ELb0ELb1ELb0ELb0EEEvPK12hip_bfloat16S3_S3_PKfS5_PKvPS1_S8_PvPKiSB_iiiiilll,@function
_ZN12_GLOBAL__N_139chunk_gated_delta_rule_fwd_h_hip_kernelILi64ELb1ELb0ELb0ELb1ELb0ELb1ELb0ELb0EEEvPK12hip_bfloat16S3_S3_PKfS5_PKvPS1_S8_PvPKiSB_iiiiilll: ; @_ZN12_GLOBAL__N_139chunk_gated_delta_rule_fwd_h_hip_kernelILi64ELb1ELb0ELb0ELb1ELb0ELb1ELb0ELb0EEEvPK12hip_bfloat16S3_S3_PKfS5_PKvPS1_S8_PvPKiSB_iiiiilll
; %bb.0:
	s_load_dwordx4 s[12:15], s[0:1], 0x5c
	s_load_dwordx4 s[20:23], s[0:1], 0x70
	s_abs_i32 s9, s3
	s_ashr_i32 s8, s3, 31
	s_load_dwordx4 s[4:7], s[0:1], 0x48
	s_waitcnt lgkmcnt(0)
	s_abs_i32 s10, s13
	v_cvt_f32_u32_e32 v1, s10
	s_sub_i32 s16, 0, s10
	s_ashr_i32 s11, s13, 31
	s_xor_b32 s8, s8, s11
	v_rcp_iflag_f32_e32 v1, v1
	v_and_b32_e32 v88, 15, v0
	v_lshrrev_b32_e32 v86, 6, v0
	v_bfe_u32 v87, v0, 4, 2
	v_mul_f32_e32 v1, 0x4f7ffffe, v1
	v_cvt_u32_f32_e32 v1, v1
	v_mov_b32_e32 v11, 0
	v_and_b32_e32 v77, 63, v0
	v_lshrrev_b32_e32 v90, 3, v77
	v_readfirstlane_b32 s17, v1
	s_mul_i32 s16, s16, s17
	s_mul_hi_u32 s16, s17, s16
	s_add_i32 s17, s17, s16
	s_mul_hi_u32 s16, s9, s17
	s_mul_i32 s17, s16, s10
	s_sub_i32 s9, s9, s17
	s_add_i32 s18, s16, 1
	s_sub_i32 s17, s9, s10
	s_cmp_ge_u32 s9, s10
	s_cselect_b32 s16, s18, s16
	s_cselect_b32 s9, s17, s9
	s_add_i32 s17, s16, 1
	s_cmp_ge_u32 s9, s10
	s_cselect_b32 s9, s17, s16
	s_load_dwordx4 s[16:19], s[0:1], 0x28
	s_xor_b32 s9, s9, s8
	s_sub_i32 s24, s9, s8
	s_mul_i32 s28, s24, s13
	s_ashr_i32 s25, s24, 31
	s_sub_i32 s47, s3, s28
	s_lshl_b64 s[8:9], s[24:25], 2
	s_add_u32 s4, s4, s8
	s_addc_u32 s5, s5, s9
	s_add_u32 s26, s6, s8
	s_addc_u32 s27, s7, s9
	s_abs_i32 s3, s14
	v_cvt_f32_u32_e32 v1, s3
	s_load_dwordx2 s[30:31], s[4:5], 0x0
	s_lshl_b32 s38, s2, 6
	s_ashr_i32 s2, s14, 31
	v_rcp_iflag_f32_e32 v1, v1
	s_xor_b32 s2, s11, s2
	s_waitcnt lgkmcnt(0)
	s_sub_i32 s50, s31, s30
	s_ashr_i32 s4, s50, 31
	v_mul_f32_e32 v1, 0x4f7ffffe, v1
	v_cvt_u32_f32_e32 v1, v1
	s_lshr_b32 s4, s4, 26
	s_add_i32 s4, s50, s4
	s_ashr_i32 s49, s4, 6
	s_sub_i32 s4, 0, s3
	v_readfirstlane_b32 s5, v1
	s_mul_i32 s4, s4, s5
	s_mul_hi_u32 s4, s5, s4
	s_add_i32 s5, s5, s4
	s_mul_hi_u32 s4, s10, s5
	s_mul_i32 s5, s4, s3
	s_sub_i32 s5, s10, s5
	s_add_i32 s6, s4, 1
	s_sub_i32 s7, s5, s3
	s_cmp_ge_u32 s5, s3
	s_cselect_b32 s4, s6, s4
	s_cselect_b32 s5, s7, s5
	s_add_i32 s6, s4, 1
	s_cmp_ge_u32 s5, s3
	s_cselect_b32 s3, s6, s4
	s_xor_b32 s3, s3, s2
	s_sub_i32 s2, s3, s2
	s_abs_i32 s3, s2
	v_cvt_f32_u32_e32 v1, s3
	s_sub_i32 s5, 0, s3
	s_abs_i32 s4, s47
	s_xor_b32 s2, s47, s2
	v_rcp_iflag_f32_e32 v1, v1
	s_ashr_i32 s2, s2, 31
	v_or_b32_e32 v78, s38, v88
	v_lshlrev_b32_e32 v2, 7, v78
	v_mul_f32_e32 v1, 0x4f7ffffe, v1
	v_cvt_u32_f32_e32 v1, v1
	v_ashrrev_i32_e32 v3, 31, v2
	s_mul_hi_i32 s53, s47, s12
	s_mul_i32 s54, s47, s12
	v_readfirstlane_b32 s6, v1
	s_mul_i32 s5, s5, s6
	s_mul_hi_u32 s5, s6, s5
	s_add_i32 s6, s6, s5
	s_mul_hi_u32 s5, s4, s6
	s_mul_i32 s6, s5, s3
	s_sub_i32 s4, s4, s6
	s_add_i32 s6, s5, 1
	s_sub_i32 s7, s4, s3
	s_cmp_ge_u32 s4, s3
	s_cselect_b32 s5, s6, s5
	s_cselect_b32 s4, s7, s4
	s_add_i32 s6, s5, 1
	s_cmp_ge_u32 s4, s3
	s_cselect_b32 s3, s6, s5
	s_xor_b32 s3, s3, s2
	s_sub_i32 s51, s3, s2
	s_ashr_i32 s48, s47, 31
	s_mul_hi_i32 s3, s24, s13
	s_add_u32 s2, s28, s47
	s_addc_u32 s3, s3, s48
	s_lshl_b64 s[2:3], s[2:3], 16
	v_lshlrev_b32_e32 v1, 4, v86
	s_add_u32 s2, s16, s2
	v_lshl_or_b32 v91, v87, 2, v1
	s_addc_u32 s3, s17, s3
	v_lshl_add_u64 v[4:5], v[2:3], 2, s[2:3]
	v_lshlrev_b32_e32 v10, 2, v91
	v_lshl_add_u64 v[4:5], v[4:5], 0, v[10:11]
	global_load_dwordx4 v[22:25], v[4:5], off
	global_load_dwordx4 v[30:33], v[4:5], off offset:256
	v_or_b32_e32 v4, 0x800, v2
	v_ashrrev_i32_e32 v5, 31, v4
	v_lshl_add_u64 v[4:5], v[4:5], 2, s[2:3]
	v_lshl_add_u64 v[4:5], v[4:5], 0, v[10:11]
	global_load_dwordx4 v[14:17], v[4:5], off
	global_load_dwordx4 v[26:29], v[4:5], off offset:256
	v_or_b32_e32 v4, 0x1000, v2
	v_or_b32_e32 v2, 0x1800, v2
	v_ashrrev_i32_e32 v5, 31, v4
	v_ashrrev_i32_e32 v3, 31, v2
	v_lshl_add_u64 v[4:5], v[4:5], 2, s[2:3]
	v_lshl_add_u64 v[2:3], v[2:3], 2, s[2:3]
	;; [unrolled: 1-line block ×4, first 2 shown]
	global_load_dwordx4 v[6:9], v[4:5], off
	global_load_dwordx4 v[18:21], v[4:5], off offset:256
	s_nop 0
	global_load_dwordx4 v[2:5], v[34:35], off
	global_load_dwordx4 v[10:13], v[34:35], off offset:256
	s_load_dwordx8 s[4:11], s[0:1], 0x0
	s_load_dwordx2 s[28:29], s[0:1], 0x80
	s_load_dword s52, s[26:27], 0x0
	v_or_b32_e32 v92, 64, v91
	s_cmp_lt_i32 s50, 64
	v_lshlrev_b32_e32 v89, 3, v0
	s_mul_i32 s33, s24, s21
	s_mul_hi_u32 s43, s24, s20
	s_mul_i32 s42, s25, s20
	s_mul_i32 s36, s24, s20
	;; [unrolled: 1-line block ×3, first 2 shown]
	s_mul_hi_u32 s45, s47, s22
	s_mul_i32 s46, s48, s22
	s_mul_i32 s34, s47, s22
	s_cbranch_scc1 .LBB212_18
; %bb.1:
	s_ashr_i32 s3, s30, 31
	s_add_u32 s2, s54, s30
	s_addc_u32 s3, s53, s3
	s_lshl_b64 s[2:3], s[2:3], 8
	v_and_b32_e32 v94, 56, v89
	s_waitcnt lgkmcnt(0)
	s_add_u32 s20, s6, s2
	v_lshl_or_b32 v93, v86, 3, v90
	v_lshlrev_b32_e32 v34, 1, v94
	s_addc_u32 s2, s7, s3
	v_lshl_or_b32 v95, v93, 8, v34
	s_and_b32 s21, s2, 0xffff
	s_mov_b32 s23, 0x20000
	s_movk_i32 s22, 0x4000
	s_movk_i32 s2, 0x80
	v_or_b32_e32 v96, 0x2000, v95
	buffer_load_dwordx4 v[36:39], v95, s[20:23], 0 offen
	buffer_load_dwordx4 v[40:43], v95, s[20:23], s2 offen
	;; [unrolled: 1-line block ×4, first 2 shown]
	v_lshlrev_b32_e32 v35, 3, v93
	v_and_or_b32 v53, v0, 7, v35
	v_and_b32_e32 v35, 0x78, v35
	v_lshlrev_b32_e32 v53, 4, v53
	v_xor_b32_e32 v97, v53, v35
	v_mul_lo_u32 v52, v93, s15
	v_or_b32_e32 v98, 0x1000, v97
	v_xor_b32_e32 v35, 8, v97
	s_cmpk_eq_i32 s15, 0x80
	s_mov_b32 s55, s30
	v_xor_b32_e32 v53, 8, v98
	s_cselect_b64 s[2:3], -1, 0
	s_cmpk_lg_i32 s15, 0x80
	s_waitcnt vmcnt(3)
	ds_write_b64 v97, v[36:37] offset:49152
	ds_write_b64 v35, v[38:39] offset:49152
	s_waitcnt vmcnt(2)
	ds_write_b64 v97, v[40:41] offset:57344
	ds_write_b64 v35, v[42:43] offset:57344
	;; [unrolled: 3-line block ×4, first 2 shown]
	v_lshl_add_u32 v35, v52, 1, v94
	s_cbranch_scc0 .LBB212_3
; %bb.2:
	v_lshlrev_b32_e32 v37, 1, v35
	v_add_lshl_u32 v36, v35, s15, 1
	s_lshl_b32 s22, s15, 7
	s_load_dwordx2 s[16:17], s[0:1], 0x20
	v_lshl_or_b32 v34, v93, 9, v34
	s_cbranch_execz .LBB212_4
	s_branch .LBB212_5
.LBB212_3:
                                        ; implicit-def: $vgpr36
                                        ; implicit-def: $vgpr37
                                        ; implicit-def: $sgpr22
	s_load_dwordx2 s[16:17], s[0:1], 0x20
	v_lshl_or_b32 v34, v93, 9, v34
.LBB212_4:
	v_or_b32_e32 v36, 0x100, v34
	s_movk_i32 s22, 0x4000
	v_mov_b32_e32 v37, v34
.LBB212_5:
	s_mul_i32 s0, s30, s14
	s_ashr_i32 s56, s51, 31
	s_mul_hi_i32 s1, s30, s14
	s_add_u32 s0, s0, s51
	s_addc_u32 s1, s1, s56
	s_lshl_b64 s[0:1], s[0:1], 8
	s_add_u32 s20, s4, s0
	s_addc_u32 s0, s5, s1
	s_and_b32 s21, s0, 0xffff
	s_movk_i32 s57, 0x80
	buffer_load_dwordx4 v[38:41], v37, s[20:23], 0 offen
	buffer_load_dwordx4 v[42:45], v37, s[20:23], s57 offen
	;; [unrolled: 1-line block ×4, first 2 shown]
	v_and_b32_e32 v37, 6, v0
	v_lshlrev_b32_e32 v36, 7, v91
	v_xor_b32_e32 v59, v93, v37
	v_and_b32_e32 v54, 1, v0
	v_lshl_or_b32 v62, v88, 3, v36
	v_lshlrev_b32_e32 v59, 2, v59
	v_lshlrev_b32_e32 v55, 2, v88
	v_or_b32_e32 v99, 0x4000, v62
	v_or_b32_e32 v100, 0x6000, v62
	v_xor_b32_e32 v62, 0x440, v59
	v_cmp_eq_u32_e32 vcc, 0, v54
	v_or_b32_e32 v57, 16, v88
	v_or_b32_e32 v58, 32, v88
	v_xor_b32_e32 v60, v91, v55
	v_xor_b32_e32 v61, v92, v55
	v_cndmask_b32_e32 v54, v62, v59, vcc
	s_mov_b32 s58, 0x1000504
	v_lshl_or_b32 v63, v57, 3, v36
	v_lshlrev_b32_e32 v57, 8, v57
	v_lshl_or_b32 v64, v58, 3, v36
	v_lshlrev_b32_e32 v60, 1, v60
	v_lshlrev_b32_e32 v61, 1, v61
	v_lshl_or_b32 v37, v37, 10, v54
	s_add_i32 s0, s43, s33
	s_mov_b32 s59, 0x3020706
	v_lshlrev_b32_e32 v56, 8, v88
	v_or_b32_e32 v103, 0x4000, v64
	v_or_b32_e32 v104, 0x6000, v64
	;; [unrolled: 1-line block ×4, first 2 shown]
	v_xor_b32_e32 v54, 8, v37
	v_xor_b32_e32 v57, 24, v37
	;; [unrolled: 1-line block ×4, first 2 shown]
	s_add_i32 s37, s0, s42
	s_add_i32 s0, s45, s44
	v_or_b32_e32 v101, 0x4000, v63
	v_or_b32_e32 v102, 0x6000, v63
	;; [unrolled: 1-line block ×4, first 2 shown]
	v_xor_b32_e32 v56, 16, v37
	v_xor_b32_e32 v59, 32, v37
	;; [unrolled: 1-line block ×3, first 2 shown]
	v_add_u32_e32 v54, 0x80, v54
	v_add_u32_e32 v57, 0x80, v57
	;; [unrolled: 1-line block ×4, first 2 shown]
	s_add_i32 s35, s0, s46
	s_lshl_b64 s[0:1], s[36:37], 2
	s_add_u32 s20, s10, s0
	s_addc_u32 s21, s11, s1
	s_lshl_b64 s[0:1], s[34:35], 2
	s_add_u32 s40, s20, s0
	s_movk_i32 s0, 0xf8
	s_addc_u32 s41, s21, s1
	s_ashr_i32 s39, s38, 31
	s_lshl_b32 s26, s15, 7
	v_mov_b32_e32 v81, 0
	s_movk_i32 s20, 0x100
	v_lshlrev_b32_e32 v80, 4, v88
	v_lshlrev_b32_e32 v58, 8, v58
	v_ashrrev_i32_e32 v79, 31, v78
	s_mov_b32 s60, 0
	s_movk_i32 s22, 0x4000
	v_or_b32_e32 v109, v58, v60
	v_or_b32_e32 v110, v58, v61
	v_lshl_add_u64 v[82:83], v[78:79], 1, s[8:9]
	s_mov_b32 s35, 0x7060302
	s_movk_i32 s37, 0x2000
	v_mov_b32_e32 v144, 0x3fb8aa3b
	s_waitcnt vmcnt(1)
	v_perm_b32 v65, v38, v46, s58
	s_waitcnt vmcnt(0)
	v_perm_b32 v66, v42, v50, s58
	v_perm_b32 v38, v38, v46, s59
	;; [unrolled: 1-line block ×15, first 2 shown]
	ds_write2st64_b32 v37, v65, v66 offset0:128 offset1:160
	ds_write2st64_b32 v54, v38, v42 offset0:128 offset1:160
	ds_write2st64_b32 v56, v46, v50 offset0:129 offset1:161
	ds_write2st64_b32 v57, v39, v43 offset0:129 offset1:161
	ds_write2st64_b32 v59, v47, v51 offset0:130 offset1:162
	ds_write2st64_b32 v62, v40, v44 offset0:130 offset1:162
	ds_write2st64_b32 v63, v48, v52 offset0:131 offset1:163
	ds_write2st64_b32 v64, v41, v45 offset0:131 offset1:163
	v_or_b32_e32 v37, 48, v88
	v_lshl_or_b32 v38, v37, 3, v36
	v_lshlrev_b32_e32 v37, 8, v37
	v_or_b32_e32 v113, v37, v60
	v_or_b32_e32 v114, v37, v61
	;; [unrolled: 1-line block ×3, first 2 shown]
	v_lshlrev_b32_e32 v37, 3, v37
	v_lshrrev_b32_e32 v39, 5, v77
	v_and_or_b32 v39, v37, s0, v39
	v_lshlrev_b32_e32 v39, 4, v39
	v_or_b32_e32 v111, 0x4000, v38
	v_or_b32_e32 v112, 0x6000, v38
	v_lshrrev_b32_e32 v38, 2, v77
	v_lshlrev_b32_e32 v41, 11, v86
	v_and_b32_e32 v37, 0x78, v37
	v_or_b32_e32 v45, 32, v39
	v_and_b32_e32 v40, 12, v38
	v_and_b32_e32 v38, 0x1000, v41
	v_xor_b32_e32 v42, v39, v37
	v_lshrrev_b32_e32 v43, 1, v77
	v_xor_b32_e32 v45, v45, v37
	v_or_b32_e32 v42, v42, v38
	v_and_b32_e32 v43, 8, v43
	v_or_b32_e32 v45, v45, v38
	v_xor_b32_e32 v115, v42, v43
	v_lshlrev_b32_e32 v42, 8, v87
	v_xor_b32_e32 v117, v45, v43
	v_or_b32_e32 v45, 64, v39
	v_or_b32_e32 v39, 0x60, v39
	v_or_b32_e32 v44, v42, v55
	v_xor_b32_e32 v45, v45, v37
	v_xor_b32_e32 v37, v39, v37
	s_lshl_b64 s[0:1], s[38:39], 8
	v_lshlrev_b32_e32 v44, 1, v44
	v_or_b32_e32 v45, v45, v38
	v_or_b32_e32 v37, v37, v38
	s_add_u32 s0, s18, s0
	v_lshlrev_b32_e32 v38, 1, v88
	v_lshlrev_b32_e32 v47, 2, v0
	v_or_b32_e32 v116, 0x4000, v44
	v_or_b32_e32 v118, 0x4080, v44
	;; [unrolled: 1-line block ×4, first 2 shown]
	v_xor_b32_e32 v121, v45, v43
	v_xor_b32_e32 v122, v37, v43
	v_or_b32_e32 v123, 0x6000, v44
	v_or_b32_e32 v124, 0x6080, v44
	v_or_b32_e32 v125, 0x6100, v44
	v_or_b32_e32 v126, 0x6180, v44
	v_lshlrev_b32_e32 v37, 1, v35
	v_add_lshl_u32 v35, v35, s15, 1
	v_or_b32_e32 v43, 0x100, v34
	v_lshrrev_b32_e32 v44, 4, v0
	s_addc_u32 s1, s19, s1
	v_or_b32_e32 v39, 1, v38
	v_lshrrev_b32_e32 v48, 1, v0
	v_and_or_b32 v42, v47, 60, v42
	v_xor_b32_e32 v45, v44, v38
	v_xor_b32_e32 v46, v39, v44
	v_lshl_add_u64 v[38:39], s[0:1], 0, v[80:81]
	v_and_b32_e32 v48, 24, v48
	v_lshlrev_b32_e32 v42, 1, v42
	v_cndmask_b32_e64 v133, v37, v34, s[2:3]
	v_cndmask_b32_e64 v134, v35, v43, s[2:3]
	v_mov_b32_e32 v35, 0xa000
	v_mov_b32_e32 v37, 0x8000
	v_cmp_gt_u32_e64 s[0:1], s20, v0
	v_lshlrev_b32_e32 v80, 8, v44
	v_or_b32_e32 v129, 0x6000, v42
	v_or_b32_e32 v47, 32, v48
	;; [unrolled: 1-line block ×6, first 2 shown]
	v_cndmask_b32_e64 v35, v35, v37, s[0:1]
	v_lshlrev_b32_e32 v37, 3, v86
	v_lshl_or_b32 v127, v45, 3, v80
	v_and_b32_e32 v45, 8, v0
	v_xor_b32_e32 v43, v37, v48
	v_xor_b32_e32 v47, v37, v47
	;; [unrolled: 1-line block ×3, first 2 shown]
	v_mov_b32_e32 v49, 0x400
	v_cmp_eq_u32_e32 vcc, 0, v45
	v_or_b32_e32 v48, 0x440, v43
	v_or_b32_e32 v50, 0x440, v47
	v_xor_b32_e32 v42, 0x440, v37
	v_and_b32_e32 v44, 7, v0
	v_cndmask_b32_e64 v45, v49, 64, vcc
	v_cndmask_b32_e32 v48, v48, v43, vcc
	v_cndmask_b32_e32 v47, v50, v47, vcc
	;; [unrolled: 1-line block ×3, first 2 shown]
	v_lshl_or_b32 v128, v46, 3, v80
	v_lshlrev_b32_e32 v46, 3, v44
	v_or_b32_e32 v48, v48, v41
	v_or_b32_e32 v47, v47, v41
	v_or3_b32 v43, v41, v45, v43
	v_or_b32_e32 v37, v37, v41
	v_lshlrev_b32_e32 v44, 7, v44
	v_xor_b32_e32 v48, v48, v46
	v_xor_b32_e32 v47, v47, v46
	;; [unrolled: 1-line block ×4, first 2 shown]
	v_or_b32_e32 v34, v1, v40
	v_add_u32_e32 v49, v35, v48
	v_add_u32_e32 v50, v35, v47
	v_or_b32_e32 v135, v43, v44
	v_add_u32_e32 v41, v35, v37
	v_or3_b32 v40, v1, v40, 64
	v_add_u32_e32 v42, 0xa000, v48
	v_add_u32_e32 v43, 0xa000, v47
	;; [unrolled: 1-line block ×3, first 2 shown]
	v_lshl_add_u64 v[84:85], v[38:39], 0, v[80:81]
	v_lshlrev_b32_e32 v80, 1, v36
	s_movk_i32 s39, 0x3000
	v_lshlrev_b32_e32 v79, 2, v34
	v_add_u32_e32 v136, v49, v44
	v_add_u32_e32 v137, v50, v44
	;; [unrolled: 1-line block ×4, first 2 shown]
	v_lshlrev_b32_e32 v140, 2, v40
	v_add_u32_e32 v141, v42, v44
	v_add_u32_e32 v142, v43, v44
	;; [unrolled: 1-line block ×3, first 2 shown]
	s_waitcnt lgkmcnt(0)
	s_barrier
.LBB212_6:                              ; =>This Inner Loop Header: Depth=1
	s_add_i32 s61, s60, 1
	s_cmp_lt_i32 s61, s49
	s_mov_b64 s[24:25], 0
	s_cselect_b64 s[2:3], -1, 0
	s_cmp_ge_i32 s61, s49
	s_mov_b64 s[20:21], 0
	s_cbranch_scc1 .LBB212_8
; %bb.7:                                ;   in Loop: Header=BB212_6 Depth=1
	s_add_i32 s0, s55, 64
	s_ashr_i32 s1, s0, 31
	s_add_u32 s0, s54, s0
	s_addc_u32 s1, s53, s1
	s_lshl_b64 s[0:1], s[0:1], 8
	s_add_u32 s20, s6, s0
	s_addc_u32 s21, s7, s1
.LBB212_8:                              ;   in Loop: Header=BB212_6 Depth=1
	v_cndmask_b32_e64 v34, 0, 1, s[2:3]
	v_cmp_ne_u32_e64 s[0:1], 1, v34
	s_andn2_b64 vcc, exec, s[2:3]
	s_cbranch_vccnz .LBB212_10
; %bb.9:                                ;   in Loop: Header=BB212_6 Depth=1
	s_add_i32 s2, s55, 64
	s_mul_hi_i32 s3, s2, s14
	s_mul_i32 s2, s2, s14
	s_add_u32 s2, s2, s51
	s_addc_u32 s3, s3, s56
	s_lshl_b64 s[2:3], s[2:3], 8
	s_add_u32 s24, s4, s2
	s_addc_u32 s25, s5, s3
.LBB212_10:                             ;   in Loop: Header=BB212_6 Depth=1
	v_perm_b32 v35, v25, v24, s35
	v_perm_b32 v34, v23, v22, s35
	v_perm_b32 v37, v33, v32, s35
	v_perm_b32 v36, v31, v30, s35
	ds_write_b64 v99, v[34:35]
	ds_write_b64 v100, v[36:37]
	ds_write_b64 v105, v[34:35]
	ds_write_b64 v106, v[36:37]
	v_perm_b32 v35, v17, v16, s35
	v_perm_b32 v34, v15, v14, s35
	v_perm_b32 v37, v29, v28, s35
	v_perm_b32 v36, v27, v26, s35
	ds_write_b64 v101, v[34:35]
	ds_write_b64 v102, v[36:37]
	ds_write_b64 v107, v[34:35]
	ds_write_b64 v108, v[36:37]
	;; [unrolled: 8-line block ×4, first 2 shown]
	s_waitcnt lgkmcnt(0)
	s_barrier
	ds_read_b64 v[38:39], v115 offset:49152
	ds_read2_b64 v[34:37], v116 offset1:16
	ds_read_b64 v[50:51], v118 offset:6144
	ds_read_b64 v[52:53], v116 offset:6144
	s_waitcnt lgkmcnt(2)
	v_mfma_f32_16x16x16_bf16 a[0:3], v[38:39], v[34:35], 0
	ds_read_b64 v[54:55], v117 offset:49152
	ds_read2st64_b64 v[42:45], v119 offset0:4 offset1:8
	ds_read2st64_b64 v[46:49], v120 offset0:4 offset1:8
	v_mfma_f32_16x16x16_bf16 a[4:7], v[38:39], v[36:37], 0
	ds_read2_b64 v[34:37], v116 offset0:32 offset1:48
	s_add_i32 s62, s55, 63
	s_ashr_i32 s2, s62, 31
	s_waitcnt lgkmcnt(0)
	v_mfma_f32_16x16x16_bf16 a[8:11], v[38:39], v[34:35], 0
	s_mul_i32 s3, s62, s29
	s_mul_hi_u32 s27, s62, s28
	s_add_i32 s3, s27, s3
	v_mfma_f32_16x16x16_bf16 a[12:15], v[38:39], v[36:37], 0
	ds_read2st64_b64 v[34:37], v116 offset0:4 offset1:8
	ds_read2st64_b64 v[38:41], v118 offset0:4 offset1:8
	s_mul_i32 s2, s2, s28
	s_waitcnt lgkmcnt(1)
	v_mfma_f32_16x16x16_bf16 a[0:3], v[54:55], v[34:35], a[0:3]
	s_add_i32 s3, s3, s2
	s_mul_i32 s2, s62, s28
	s_lshl_b64 s[2:3], s[2:3], 2
	s_waitcnt lgkmcnt(0)
	v_mfma_f32_16x16x16_bf16 a[4:7], v[54:55], v[38:39], a[4:7]
	s_add_u32 s2, s40, s2
	s_addc_u32 s3, s41, s3
	s_and_b64 vcc, exec, s[0:1]
	v_mfma_f32_16x16x16_bf16 a[8:11], v[54:55], v[42:43], a[8:11]
	ds_read_b64 v[34:35], v121 offset:49152
	ds_read_b64 v[38:39], v122 offset:49152
	;; [unrolled: 1-line block ×3, first 2 shown]
	v_mov_b32_e32 v147, 0
	v_mov_b32_e32 v146, 0
	v_mfma_f32_16x16x16_bf16 a[12:15], v[54:55], v[46:47], a[12:15]
	v_mov_b32_e32 v145, 0
	v_mov_b32_e32 v46, 0
	;; [unrolled: 1-line block ×3, first 2 shown]
	s_waitcnt lgkmcnt(2)
	v_mfma_f32_16x16x16_bf16 a[0:3], v[34:35], v[36:37], a[0:3]
	v_mov_b32_e32 v36, 0
	v_mov_b32_e32 v37, 0
	v_mfma_f32_16x16x16_bf16 a[16:19], v[34:35], v[40:41], a[4:7]
	v_mov_b32_e32 v40, 0
	v_mov_b32_e32 v41, 0
	;; [unrolled: 3-line block ×3, first 2 shown]
	v_mfma_f32_16x16x16_bf16 a[24:27], v[34:35], v[48:49], a[12:15]
	ds_read_b64 v[34:35], v119 offset:6144
	v_mov_b32_e32 v48, 0
	v_mov_b32_e32 v49, 0
	s_waitcnt lgkmcnt(2)
	v_mfma_f32_16x16x16_bf16 a[4:7], v[38:39], v[52:53], a[0:3]
	v_mfma_f32_16x16x16_bf16 a[8:11], v[38:39], v[50:51], a[16:19]
	s_waitcnt lgkmcnt(0)
	v_mfma_f32_16x16x16_bf16 a[12:15], v[38:39], v[34:35], a[20:23]
	v_mov_b32_e32 v34, 0
	v_mov_b32_e32 v35, 0
	v_mfma_f32_16x16x16_bf16 a[0:3], v[38:39], v[42:43], a[24:27]
	v_mov_b32_e32 v38, 0
	v_mov_b32_e32 v39, 0
	;; [unrolled: 1-line block ×4, first 2 shown]
	s_cbranch_vccnz .LBB212_12
; %bb.11:                               ;   in Loop: Header=BB212_6 Depth=1
	s_and_b32 s21, s21, 0xffff
	buffer_load_dwordx4 v[46:49], v95, s[20:23], 0 offen
	buffer_load_dwordx4 v[42:45], v95, s[20:23], s57 offen
	;; [unrolled: 1-line block ×4, first 2 shown]
	v_mov_b32_e32 v146, v97
	v_mov_b32_e32 v145, v98
.LBB212_12:                             ;   in Loop: Header=BB212_6 Depth=1
	ds_read_b64 v[66:67], v115 offset:57344
	ds_read2_b64 v[50:53], v123 offset1:16
	ds_read_b64 v[68:69], v117 offset:57344
	ds_read_b64 v[70:71], v121 offset:57344
	;; [unrolled: 1-line block ×3, first 2 shown]
	v_add_u32_e32 v74, s55, v91
	s_waitcnt lgkmcnt(3)
	v_mfma_f32_16x16x16_bf16 a[4:7], v[66:67], v[50:51], a[4:7]
	v_mfma_f32_16x16x16_bf16 a[8:11], v[66:67], v[52:53], a[8:11]
	ds_read2_b64 v[50:53], v123 offset0:32 offset1:48
	ds_read2st64_b64 v[54:57], v123 offset0:4 offset1:8
	ds_read2st64_b64 v[58:61], v124 offset0:4 offset1:8
	;; [unrolled: 1-line block ×3, first 2 shown]
	s_waitcnt lgkmcnt(3)
	v_mfma_f32_16x16x16_bf16 a[12:15], v[66:67], v[50:51], a[12:15]
	v_ashrrev_i32_e32 v50, 31, v74
	v_mfma_f32_16x16x16_bf16 a[0:3], v[66:67], v[52:53], a[0:3]
	v_mul_lo_u32 v52, v50, s28
	v_mul_lo_u32 v53, v74, s29
	v_mad_u64_u32 v[50:51], s[20:21], v74, s28, 0
	v_add3_u32 v51, v51, v53, v52
	v_add_u32_e32 v52, 1, v74
	v_ashrrev_i32_e32 v53, 31, v52
	s_waitcnt lgkmcnt(2)
	v_mfma_f32_16x16x16_bf16 a[4:7], v[68:69], v[54:55], a[4:7]
	v_mul_lo_u32 v54, v53, s28
	v_mul_lo_u32 v55, v52, s29
	v_mad_u64_u32 v[52:53], s[20:21], v52, s28, 0
	v_add3_u32 v53, v53, v55, v54
	v_add_u32_e32 v54, 2, v74
	v_ashrrev_i32_e32 v55, 31, v54
	s_waitcnt lgkmcnt(1)
	v_mfma_f32_16x16x16_bf16 a[8:11], v[68:69], v[58:59], a[8:11]
	v_mul_lo_u32 v58, v55, s28
	v_mul_lo_u32 v59, v54, s29
	v_mad_u64_u32 v[54:55], s[20:21], v54, s28, 0
	v_add3_u32 v55, v55, v59, v58
	v_add_u32_e32 v58, 3, v74
	v_ashrrev_i32_e32 v59, 31, v58
	v_mul_lo_u32 v66, v59, s28
	v_mul_lo_u32 v67, v58, s29
	v_mad_u64_u32 v[58:59], s[20:21], v58, s28, 0
	s_ashr_i32 s21, s55, 31
	s_add_u32 s20, s54, s55
	v_lshl_add_u64 v[50:51], v[50:51], 2, s[40:41]
	v_add3_u32 v59, v59, v67, v66
	s_addc_u32 s21, s53, s21
	v_lshl_add_u64 v[52:53], v[52:53], 2, s[40:41]
	global_load_dword v74, v[50:51], off
	v_lshl_add_u64 v[50:51], v[58:59], 2, s[40:41]
	s_lshl_b64 s[20:21], s[20:21], 8
	v_lshl_add_u64 v[54:55], v[54:55], 2, s[40:41]
	global_load_dword v66, v[52:53], off
	global_load_dword v67, v[54:55], off
	;; [unrolled: 1-line block ×3, first 2 shown]
	v_lshl_add_u64 v[50:51], v[82:83], 0, s[20:21]
	v_lshl_add_u64 v[54:55], v[50:51], 0, v[80:81]
	global_load_ushort v76, v[54:55], off offset:256
	global_load_ushort v148, v[54:55], off
	ds_read2st64_b64 v[50:53], v126 offset0:4 offset1:8
	global_load_ushort v149, v[54:55], off offset:768
	global_load_ushort v150, v[54:55], off offset:512
	s_waitcnt lgkmcnt(1)
	v_mfma_f32_16x16x16_bf16 a[12:15], v[68:69], v[62:63], a[12:15]
	s_and_b64 vcc, exec, s[0:1]
	s_waitcnt vmcnt(3)
	v_lshlrev_b32_e32 v63, 16, v76
	s_waitcnt lgkmcnt(0)
	v_mfma_f32_16x16x16_bf16 a[0:3], v[68:69], v[50:51], a[0:3]
	global_load_ushort v68, v[54:55], off offset:288
	global_load_ushort v69, v[54:55], off offset:32
	;; [unrolled: 1-line block ×8, first 2 shown]
	v_mfma_f32_16x16x16_bf16 a[4:7], v[70:71], v[56:57], a[4:7]
	ds_read_b64 v[50:51], v123 offset:6144
	s_waitcnt vmcnt(10)
	v_lshlrev_b32_e32 v62, 16, v148
	v_mov_b32_e32 v148, 0
	v_mfma_f32_16x16x16_bf16 a[8:11], v[70:71], v[60:61], a[8:11]
	v_mfma_f32_16x16x16_bf16 a[12:15], v[70:71], v[64:65], a[12:15]
	;; [unrolled: 1-line block ×3, first 2 shown]
	global_load_ushort v70, v[54:55], off offset:352
	global_load_ushort v71, v[54:55], off offset:96
	ds_read_b64 v[52:53], v124 offset:6144
	ds_read_b64 v[56:57], v125 offset:6144
	ds_read_b64 v[58:59], v126 offset:6144
	global_load_ushort v157, v[54:55], off offset:864
	global_load_ushort v158, v[54:55], off offset:608
	s_load_dword s2, s[2:3], 0x0
	s_waitcnt lgkmcnt(0)
	v_mfma_f32_16x16x16_bf16 a[4:7], v[72:73], v[50:51], a[4:7]
	v_sub_f32_e32 v60, s2, v67
	v_mfma_f32_16x16x16_bf16 a[0:3], v[72:73], v[58:59], a[0:3]
	v_sub_f32_e32 v58, s2, v74
	v_sub_f32_e32 v59, s2, v66
	;; [unrolled: 1-line block ×3, first 2 shown]
	v_mul_f32_e32 v58, 0x3fb8aa3b, v58
	v_mul_f32_e32 v59, 0x3fb8aa3b, v59
	;; [unrolled: 1-line block ×4, first 2 shown]
	v_mfma_f32_16x16x16_bf16 a[8:11], v[72:73], v[52:53], a[8:11]
	v_exp_f32_e32 v58, v58
	v_exp_f32_e32 v59, v59
	v_exp_f32_e32 v60, v60
	v_exp_f32_e32 v61, v61
	v_accvgpr_read_b32 v65, a5
	v_accvgpr_read_b32 v64, a4
	v_accvgpr_read_b32 v51, a7
	v_accvgpr_read_b32 v50, a6
	v_pk_add_f32 v[62:63], v[62:63], v[64:65] neg_lo:[0,1] neg_hi:[0,1]
	s_waitcnt vmcnt(13)
	v_lshlrev_b32_e32 v65, 16, v149
	s_waitcnt vmcnt(12)
	v_lshlrev_b32_e32 v64, 16, v150
	v_pk_add_f32 v[50:51], v[64:65], v[50:51] neg_lo:[0,1] neg_hi:[0,1]
	v_pk_mul_f32 v[62:63], v[58:59], v[62:63]
	v_pk_mul_f32 v[50:51], v[60:61], v[50:51]
	v_accvgpr_read_b32 v65, a9
	v_perm_b32 v51, v51, v50, s35
	v_perm_b32 v50, v63, v62, s35
	v_accvgpr_read_b32 v64, a8
	v_accvgpr_read_b32 v53, a11
	v_mfma_f32_16x16x16_bf16 a[12:15], v[72:73], v[56:57], a[12:15]
	v_accvgpr_read_b32 v52, a10
	v_accvgpr_read_b32 v57, a3
	;; [unrolled: 1-line block ×3, first 2 shown]
	s_waitcnt vmcnt(11)
	v_lshlrev_b32_e32 v63, 16, v68
	s_waitcnt vmcnt(10)
	v_lshlrev_b32_e32 v62, 16, v69
	v_pk_add_f32 v[62:63], v[62:63], v[64:65] neg_lo:[0,1] neg_hi:[0,1]
	s_waitcnt vmcnt(9)
	v_lshlrev_b32_e32 v65, 16, v151
	s_waitcnt vmcnt(8)
	v_lshlrev_b32_e32 v64, 16, v152
	v_pk_add_f32 v[52:53], v[64:65], v[52:53] neg_lo:[0,1] neg_hi:[0,1]
	v_pk_mul_f32 v[62:63], v[58:59], v[62:63]
	v_pk_mul_f32 v[52:53], v[60:61], v[52:53]
	v_accvgpr_read_b32 v55, a15
	v_perm_b32 v53, v53, v52, s35
	v_perm_b32 v52, v63, v62, s35
	ds_write2_b64 v100, v[50:51], v[52:53] offset1:16
	v_accvgpr_read_b32 v53, a13
	s_waitcnt vmcnt(7)
	v_lshlrev_b32_e32 v51, 16, v153
	s_waitcnt vmcnt(6)
	v_lshlrev_b32_e32 v50, 16, v154
	v_accvgpr_read_b32 v52, a12
	v_accvgpr_read_b32 v54, a14
	v_pk_add_f32 v[50:51], v[50:51], v[52:53] neg_lo:[0,1] neg_hi:[0,1]
	s_waitcnt vmcnt(5)
	v_lshlrev_b32_e32 v53, 16, v155
	s_waitcnt vmcnt(4)
	v_lshlrev_b32_e32 v52, 16, v156
	v_pk_add_f32 v[52:53], v[52:53], v[54:55] neg_lo:[0,1] neg_hi:[0,1]
	v_pk_mul_f32 v[50:51], v[58:59], v[50:51]
	v_pk_mul_f32 v[52:53], v[60:61], v[52:53]
	v_accvgpr_read_b32 v55, a1
	v_perm_b32 v53, v53, v52, s35
	v_perm_b32 v52, v51, v50, s35
	s_waitcnt vmcnt(3)
	v_lshlrev_b32_e32 v51, 16, v70
	s_waitcnt vmcnt(2)
	v_lshlrev_b32_e32 v50, 16, v71
	v_accvgpr_read_b32 v54, a0
	v_pk_add_f32 v[50:51], v[50:51], v[54:55] neg_lo:[0,1] neg_hi:[0,1]
	s_waitcnt vmcnt(1)
	v_lshlrev_b32_e32 v55, 16, v157
	s_waitcnt vmcnt(0)
	v_lshlrev_b32_e32 v54, 16, v158
	v_pk_add_f32 v[54:55], v[54:55], v[56:57] neg_lo:[0,1] neg_hi:[0,1]
	v_pk_mul_f32 v[50:51], v[58:59], v[50:51]
	v_pk_mul_f32 v[54:55], v[60:61], v[54:55]
	v_mov_b32_e32 v56, 0
	v_perm_b32 v55, v55, v54, s35
	v_perm_b32 v54, v51, v50, s35
	ds_write2_b64 v100, v[52:53], v[54:55] offset0:32 offset1:48
	v_mov_b32_e32 v50, 0
	v_mov_b32_e32 v51, 0
	;; [unrolled: 1-line block ×15, first 2 shown]
	s_cbranch_vccnz .LBB212_14
; %bb.13:                               ;   in Loop: Header=BB212_6 Depth=1
	s_and_b32 s25, s25, 0xffff
	s_mov_b32 s27, s23
	buffer_load_dwordx4 v[62:65], v133, s[24:27], 0 offen
	buffer_load_dwordx4 v[54:57], v133, s[24:27], s57 offen
	;; [unrolled: 1-line block ×4, first 2 shown]
	v_mov_b32_e32 v147, v94
	v_mov_b32_e32 v148, v93
.LBB212_14:                             ;   in Loop: Header=BB212_6 Depth=1
	s_waitcnt lgkmcnt(0)
	s_barrier
	ds_read_b64 v[74:75], v136
	ds_read2_b64 v[66:69], v129 offset1:16
	ds_read_b64 v[166:167], v137
	ds_read_b64 v[168:169], v138
	;; [unrolled: 1-line block ×3, first 2 shown]
	ds_read2_b64 v[70:73], v129 offset0:32 offset1:48
	ds_read2st64_b64 v[150:153], v129 offset0:4 offset1:8
	ds_read2st64_b64 v[154:157], v130 offset0:4 offset1:8
	;; [unrolled: 1-line block ×4, first 2 shown]
	s_waitcnt lgkmcnt(8)
	v_mfma_f32_16x16x16_bf16 a[0:3], v[74:75], v[66:67], 0
	s_add_i32 s3, s52, s60
	s_mul_hi_i32 s21, s3, s13
	s_mul_i32 s3, s3, s13
	v_mfma_f32_16x16x16_bf16 a[4:7], v[74:75], v[68:69], 0
	s_add_u32 s20, s3, s47
	s_addc_u32 s21, s21, s48
	s_lshl_b64 s[20:21], s[20:21], 15
	s_waitcnt lgkmcnt(4)
	v_mfma_f32_16x16x16_bf16 a[8:11], v[74:75], v[70:71], 0
	s_mul_i32 s24, s62, s13
	s_mul_hi_i32 s3, s62, s13
	s_add_u32 s24, s24, s47
	v_mfma_f32_16x16x16_bf16 a[12:15], v[74:75], v[72:73], 0
	ds_read_b64 v[74:75], v129 offset:6144
	ds_read_b64 v[178:179], v130 offset:6144
	;; [unrolled: 1-line block ×4, first 2 shown]
	s_addc_u32 s25, s3, s48
	s_waitcnt lgkmcnt(7)
	v_mfma_f32_16x16x16_bf16 a[0:3], v[166:167], v[150:151], a[0:3]
	s_lshl_b64 s[24:25], s[24:25], 9
	s_add_u32 s24, s16, s24
	s_addc_u32 s25, s17, s25
	s_waitcnt lgkmcnt(6)
	v_mfma_f32_16x16x16_bf16 a[4:7], v[166:167], v[154:155], a[4:7]
	v_lshl_add_u64 v[188:189], v[84:85], 0, s[20:21]
	s_waitcnt lgkmcnt(5)
	v_mfma_f32_16x16x16_bf16 a[8:11], v[166:167], v[158:159], a[8:11]
	s_waitcnt lgkmcnt(4)
	v_mfma_f32_16x16x16_bf16 a[12:15], v[166:167], v[162:163], a[12:15]
	ds_read_b64 v[166:167], v141
	ds_read_b64 v[176:177], v142
	;; [unrolled: 1-line block ×3, first 2 shown]
	s_waitcnt lgkmcnt(2)
	v_mfma_f32_16x16x16_bf16 a[16:19], v[166:167], v[66:67], 0
	v_mfma_f32_16x16x16_bf16 a[20:23], v[166:167], v[68:69], 0
	global_load_dwordx4 v[66:69], v140, s[24:25]
	v_mfma_f32_16x16x16_bf16 a[24:27], v[166:167], v[70:71], 0
	v_mfma_f32_16x16x16_bf16 a[28:31], v[166:167], v[72:73], 0
	global_load_dwordx4 v[70:73], v79, s[24:25]
	v_mfma_f32_16x16x16_bf16 a[0:3], v[168:169], v[152:153], a[0:3]
	v_mfma_f32_16x16x16_bf16 a[4:7], v[168:169], v[156:157], a[4:7]
	;; [unrolled: 1-line block ×8, first 2 shown]
	ds_read2st64_b64 v[166:169], v127 offset1:8
	ds_read2st64_b64 v[170:173], v128 offset1:8
	ds_read_b64 v[186:187], v135 offset:40960
	s_waitcnt lgkmcnt(2)
	v_mov_b32_e32 v174, v166
	v_mfma_f32_16x16x16_bf16 a[16:19], v[176:177], v[150:151], a[16:19]
	v_mov_b32_e32 v175, v167
	v_mfma_f32_16x16x16_bf16 a[20:23], v[176:177], v[154:155], a[20:23]
	v_mfma_f32_16x16x16_bf16 a[24:27], v[176:177], v[158:159], a[24:27]
	;; [unrolled: 1-line block ×3, first 2 shown]
	v_add_co_u32_e32 v162, vcc, s37, v188
	s_waitcnt lgkmcnt(1)
	v_mov_b32_e32 v176, v170
	s_waitcnt lgkmcnt(0)
	v_mfma_f32_16x16x16_bf16 a[16:19], v[186:187], v[152:153], a[16:19]
	ds_read2st64_b64 v[150:153], v127 offset0:16 offset1:24
	v_addc_co_u32_e32 v163, vcc, 0, v189, vcc
	v_mfma_f32_16x16x16_bf16 a[20:23], v[186:187], v[156:157], a[20:23]
	ds_read2st64_b64 v[154:157], v128 offset0:16 offset1:24
	v_mov_b32_e32 v177, v171
	v_mov_b32_e32 v170, v168
	v_mfma_f32_16x16x16_bf16 a[32:35], v[186:187], v[160:161], a[24:27]
	v_mov_b32_e32 v171, v169
	s_waitcnt lgkmcnt(0)
	v_mov_b32_e32 v160, v154
	v_mov_b32_e32 v161, v155
	v_mfma_f32_16x16x16_bf16 a[36:39], v[186:187], v[164:165], a[28:31]
	v_mov_b32_e32 v154, v152
	v_mov_b32_e32 v155, v153
	;; [unrolled: 1-line block ×3, first 2 shown]
	v_mfma_f32_16x16x16_bf16 a[24:27], v[184:185], v[74:75], a[16:19]
	v_add_co_u32_e32 v74, vcc, s39, v188
	v_mov_b32_e32 v159, v151
	v_mfma_f32_16x16x16_bf16 a[28:31], v[184:185], v[178:179], a[20:23]
	v_addc_co_u32_e32 v75, vcc, 0, v189, vcc
	global_store_dwordx4 v[74:75], v[154:157], off
	v_mfma_f32_16x16x16_bf16 a[16:19], v[184:185], v[180:181], a[32:35]
	s_waitcnt vmcnt(2)
	v_mov_b32_e32 v76, v69
	v_mov_b32_e32 v75, v68
	;; [unrolled: 1-line block ×3, first 2 shown]
	v_mfma_f32_16x16x16_bf16 a[20:23], v[184:185], v[182:183], a[36:39]
	s_and_b64 vcc, exec, s[0:1]
	global_store_dwordx4 v[188:189], v[174:177], off
	global_store_dwordx4 v[162:163], v[170:173], off offset:-4096
	global_store_dwordx4 v[162:163], v[158:161], off
	s_cbranch_vccnz .LBB212_16
; %bb.15:                               ;   in Loop: Header=BB212_6 Depth=1
	v_lshrrev_b32_e32 v67, 3, v147
	v_and_b32_e32 v67, 6, v67
	v_xor_b32_e32 v68, v67, v148
	v_lshlrev_b32_e32 v68, 2, v68
	v_and_b32_e32 v69, 8, v147
	v_xor_b32_e32 v147, 0x440, v68
	v_cmp_eq_u32_e32 vcc, 0, v69
	v_perm_b32 v69, v54, v50, s58
	s_nop 0
	v_cndmask_b32_e32 v68, v147, v68, vcc
	v_lshl_or_b32 v67, v67, 10, v68
	v_perm_b32 v68, v62, v58, s58
	s_barrier
	ds_write2st64_b32 v67, v68, v69 offset0:128 offset1:160
	v_xor_b32_e32 v68, 8, v67
	v_perm_b32 v58, v62, v58, s59
	v_perm_b32 v50, v54, v50, s59
	v_add_u32_e32 v54, 0x80, v68
	ds_write2st64_b32 v54, v58, v50 offset0:128 offset1:160
	v_xor_b32_e32 v50, 16, v67
	v_perm_b32 v54, v63, v59, s58
	v_perm_b32 v58, v55, v51, s58
	ds_write2st64_b32 v50, v54, v58 offset0:129 offset1:161
	v_xor_b32_e32 v50, 24, v67
	v_perm_b32 v54, v63, v59, s59
	v_perm_b32 v51, v55, v51, s59
	v_add_u32_e32 v50, 0x80, v50
	ds_write2st64_b32 v50, v54, v51 offset0:129 offset1:161
	v_xor_b32_e32 v50, 32, v67
	v_perm_b32 v51, v64, v60, s58
	v_perm_b32 v54, v56, v52, s58
	;; [unrolled: 9-line block ×3, first 2 shown]
	ds_write2st64_b32 v50, v51, v52 offset0:131 offset1:163
	v_xor_b32_e32 v50, 56, v67
	v_perm_b32 v51, v65, v61, s59
	v_perm_b32 v52, v57, v53, s59
	v_add_u32_e32 v50, 0x80, v50
	ds_write2st64_b32 v50, v51, v52 offset0:131 offset1:163
	ds_write_b64 v146, v[46:47] offset:49152
	v_xor_b32_e32 v46, 8, v146
	ds_write_b64 v46, v[48:49] offset:49152
	ds_write_b64 v146, v[42:43] offset:57344
	;; [unrolled: 1-line block ×4, first 2 shown]
	v_xor_b32_e32 v38, 8, v145
	ds_write_b64 v38, v[40:41] offset:49152
	ds_write_b64 v145, v[34:35] offset:57344
	;; [unrolled: 1-line block ×3, first 2 shown]
.LBB212_16:                             ;   in Loop: Header=BB212_6 Depth=1
	v_mul_f32_e32 v58, s2, v144
	v_exp_f32_e32 v68, v58
	s_waitcnt vmcnt(4)
	v_mul_f32_e32 v58, 0x3fb8aa3b, v70
	v_exp_f32_e32 v70, v58
	v_mul_f32_e32 v58, 0x3fb8aa3b, v71
	v_exp_f32_e32 v71, v58
	;; [unrolled: 2-line block ×4, first 2 shown]
	v_accvgpr_read_b32 v37, a3
	v_accvgpr_read_b32 v36, a2
	;; [unrolled: 1-line block ×4, first 2 shown]
	v_pk_mul_f32 v[70:71], v[68:69], v[70:71] op_sel_hi:[0,1]
	v_pk_mul_f32 v[72:73], v[68:69], v[72:73] op_sel_hi:[0,1]
	v_pk_fma_f32 v[22:23], v[22:23], v[70:71], v[34:35]
	v_pk_fma_f32 v[24:25], v[24:25], v[72:73], v[36:37]
	v_mul_f32_e32 v34, 0x3fb8aa3b, v66
	v_mul_f32_e32 v35, 0x3fb8aa3b, v74
	;; [unrolled: 1-line block ×4, first 2 shown]
	v_exp_f32_e32 v34, v34
	v_exp_f32_e32 v35, v35
	;; [unrolled: 1-line block ×4, first 2 shown]
	v_accvgpr_read_b32 v41, a7
	v_accvgpr_read_b32 v45, a11
	;; [unrolled: 1-line block ×28, first 2 shown]
	v_pk_mul_f32 v[34:35], v[68:69], v[34:35] op_sel_hi:[0,1]
	v_pk_mul_f32 v[36:37], v[68:69], v[36:37] op_sel_hi:[0,1]
	s_add_i32 s55, s55, 64
	v_pk_fma_f32 v[14:15], v[70:71], v[14:15], v[38:39]
	v_pk_fma_f32 v[16:17], v[72:73], v[16:17], v[40:41]
	;; [unrolled: 1-line block ×13, first 2 shown]
	s_cmp_eq_u32 s49, s61
	v_pk_fma_f32 v[12:13], v[36:37], v[12:13], v[64:65]
	s_cbranch_scc1 .LBB212_18
; %bb.17:                               ;   in Loop: Header=BB212_6 Depth=1
	s_mov_b32 s60, s61
	s_branch .LBB212_6
.LBB212_18:
	s_lshl_b32 s26, s49, 6
	s_sub_i32 s27, s50, s26
	s_cmp_gt_i32 s27, 0
	s_cbranch_scc0 .LBB212_99
; %bb.19:
	s_add_i32 s26, s26, s30
	s_ashr_i32 s2, s26, 31
	s_cmpk_lg_i32 s15, 0x80
	s_cselect_b64 s[22:23], -1, 0
	s_and_b64 vcc, exec, s[22:23]
	s_cbranch_vccz .LBB212_21
; %bb.20:
	s_mul_i32 s1, s26, s14
	s_ashr_i32 s3, s51, 31
	s_mul_hi_i32 s0, s26, s14
	s_add_u32 s24, s1, s51
	s_addc_u32 s25, s0, s3
	s_cbranch_execz .LBB212_22
	s_branch .LBB212_23
.LBB212_21:
                                        ; implicit-def: $sgpr24_sgpr25
.LBB212_22:
	s_mul_i32 s1, s51, s12
	s_mul_hi_i32 s0, s51, s12
	s_add_u32 s24, s1, s26
	s_addc_u32 s25, s0, s2
.LBB212_23:
	s_waitcnt lgkmcnt(0)
	s_add_i32 s3, s49, s52
	s_add_u32 s0, s54, s26
	s_addc_u32 s1, s53, s2
	v_lshlrev_b32_e32 v35, 6, v91
	v_lshlrev_b32_e32 v34, 2, v88
	s_mov_b32 s2, 0x7060302
	s_waitcnt vmcnt(7)
	v_perm_b32 v25, v25, v24, s2
	v_perm_b32 v24, v23, v22, s2
	s_waitcnt vmcnt(6)
	v_perm_b32 v22, v31, v30, s2
	v_or_b32_e32 v30, v35, v34
	v_xor_b32_e32 v36, v91, v34
	v_perm_b32 v23, v33, v32, s2
	v_lshlrev_b32_e32 v30, 1, v30
	ds_write2st64_b64 v30, v[24:25], v[22:23] offset0:32 offset1:48
	v_lshlrev_b32_e32 v30, 1, v36
	v_lshlrev_b32_e32 v31, 8, v88
	v_xor_b32_e32 v37, v92, v34
	v_or_b32_e32 v32, v30, v31
	ds_write_b64 v32, v[24:25]
	v_lshlrev_b32_e32 v24, 1, v37
	v_or_b32_e32 v25, v24, v31
	ds_write_b64 v25, v[22:23]
	v_or_b32_e32 v22, 16, v88
	v_lshlrev_b32_e32 v23, 2, v22
	v_or_b32_e32 v25, v35, v23
	s_waitcnt vmcnt(5)
	v_perm_b32 v17, v17, v16, s2
	v_perm_b32 v16, v15, v14, s2
	s_waitcnt vmcnt(4)
	v_perm_b32 v15, v29, v28, s2
	v_perm_b32 v14, v27, v26, s2
	v_lshlrev_b32_e32 v25, 1, v25
	v_lshlrev_b32_e32 v22, 8, v22
	ds_write2st64_b64 v25, v[16:17], v[14:15] offset0:32 offset1:48
	v_or_b32_e32 v25, v30, v22
	ds_write_b64 v25, v[16:17]
	v_or_b32_e32 v16, v24, v22
	ds_write_b64 v16, v[14:15]
	v_or_b32_e32 v14, 32, v88
	v_lshlrev_b32_e32 v22, 2, v14
	v_or_b32_e32 v15, v35, v22
	s_waitcnt vmcnt(3)
	v_perm_b32 v9, v9, v8, s2
	v_perm_b32 v8, v7, v6, s2
	s_waitcnt vmcnt(2)
	v_perm_b32 v7, v21, v20, s2
	v_perm_b32 v6, v19, v18, s2
	v_lshlrev_b32_e32 v15, 1, v15
	v_lshlrev_b32_e32 v14, 8, v14
	s_lshl_b64 s[20:21], s[0:1], 8
	ds_write2st64_b64 v15, v[8:9], v[6:7] offset0:32 offset1:48
	v_or_b32_e32 v15, v30, v14
	s_add_u32 s0, s6, s20
	ds_write_b64 v15, v[8:9]
	v_or_b32_e32 v8, v24, v14
	s_addc_u32 s1, s7, s21
	ds_write_b64 v8, v[6:7]
	v_or_b32_e32 v6, 48, v88
	s_mul_hi_i32 s6, s3, s13
	s_mul_i32 s3, s3, s13
	s_waitcnt vmcnt(1)
	v_perm_b32 v5, v5, v4, s2
	v_perm_b32 v4, v3, v2, s2
	s_waitcnt vmcnt(0)
	v_perm_b32 v3, v13, v12, s2
	v_perm_b32 v2, v11, v10, s2
	v_lshlrev_b32_e32 v19, 2, v6
	s_add_u32 s2, s3, s47
	v_or_b32_e32 v7, v35, v19
	s_addc_u32 s3, s6, s48
	v_lshlrev_b32_e32 v7, 1, v7
	v_lshlrev_b32_e32 v6, 8, v6
	s_ashr_i32 s39, s38, 31
	s_lshl_b64 s[2:3], s[2:3], 15
	ds_write2st64_b64 v7, v[4:5], v[2:3] offset0:32 offset1:48
	v_or_b32_e32 v7, v30, v6
	s_add_u32 s6, s18, s2
	ds_write_b64 v7, v[4:5]
	v_or_b32_e32 v4, v24, v6
	s_addc_u32 s7, s19, s3
	s_lshl_b64 s[2:3], s[38:39], 8
	ds_write_b64 v4, v[2:3]
	s_add_u32 s2, s6, s2
	v_lshlrev_b32_e32 v3, 1, v88
	v_lshrrev_b32_e32 v2, 4, v0
	s_addc_u32 s3, s7, s3
	v_or_b32_e32 v4, 1, v3
	v_lshlrev_b32_e32 v10, 4, v88
	v_mov_b32_e32 v11, 0
	v_xor_b32_e32 v3, v2, v3
	v_xor_b32_e32 v6, v4, v2
	v_lshl_add_u64 v[12:13], s[2:3], 0, v[10:11]
	v_lshlrev_b32_e32 v10, 8, v2
	v_lshl_or_b32 v16, v3, 3, v10
	v_lshl_or_b32 v17, v6, 3, v10
	s_waitcnt lgkmcnt(0)
	s_barrier
	ds_read2st64_b64 v[2:5], v16 offset1:8
	ds_read2st64_b64 v[6:9], v17 offset1:8
	v_lshl_add_u64 v[14:15], v[12:13], 0, v[10:11]
	s_movk_i32 s2, 0x2000
	s_cmp_lg_u32 s27, 64
	s_waitcnt lgkmcnt(1)
	v_mov_b32_e32 v10, v2
	v_mov_b32_e32 v11, v3
	s_waitcnt lgkmcnt(0)
	v_mov_b32_e32 v12, v6
	v_mov_b32_e32 v13, v7
	global_store_dwordx4 v[14:15], v[10:13], off
	v_mov_b32_e32 v6, v4
	v_mov_b32_e32 v7, v5
	ds_read2st64_b64 v[2:5], v16 offset0:16 offset1:24
	ds_read2st64_b64 v[10:13], v17 offset0:16 offset1:24
	v_add_co_u32_e32 v16, vcc, s2, v14
	s_cselect_b64 s[6:7], -1, 0
	s_nop 0
	v_addc_co_u32_e32 v17, vcc, 0, v15, vcc
	global_store_dwordx4 v[16:17], v[6:9], off offset:-4096
	v_lshl_or_b32 v24, v86, 3, v90
	s_mov_b32 s16, 0
	s_waitcnt lgkmcnt(1)
	v_mov_b32_e32 v6, v2
	v_add_co_u32_e32 v2, vcc, 0x3000, v14
	v_mov_b32_e32 v7, v3
	s_nop 0
	v_addc_co_u32_e32 v3, vcc, 0, v15, vcc
	s_waitcnt lgkmcnt(0)
	v_mov_b32_e32 v8, v10
	v_mov_b32_e32 v9, v11
	v_mov_b32_e32 v10, v4
	v_mov_b32_e32 v11, v5
	v_or_b32_e32 v20, 32, v24
	v_and_b32_e32 v18, 56, v89
	s_and_b64 vcc, exec, s[6:7]
	global_store_dwordx4 v[16:17], v[6:9], off
	global_store_dwordx4 v[2:3], v[10:13], off
	s_cbranch_vccz .LBB212_29
; %bb.24:
	s_mov_b32 s17, s16
	s_mov_b32 s18, s16
	s_mov_b32 s19, s16
	v_mov_b64_e32 v[6:7], s[16:17]
	v_mov_b64_e32 v[8:9], s[18:19]
	v_mov_b64_e32 v[2:3], v[6:7]
	v_cmp_gt_i32_e32 vcc, s27, v24
	v_mov_b64_e32 v[4:5], v[8:9]
	s_and_saveexec_b64 s[2:3], vcc
	s_cbranch_execz .LBB212_26
; %bb.25:
	v_lshlrev_b32_e32 v2, 8, v24
	v_mov_b32_e32 v3, 0
	v_lshl_add_u64 v[4:5], s[0:1], 0, v[2:3]
	v_lshlrev_b32_e32 v2, 1, v18
	v_lshl_add_u64 v[10:11], v[4:5], 0, v[2:3]
	global_load_dwordx4 v[6:9], v[10:11], off
	global_load_dwordx4 v[2:5], v[10:11], off offset:128
.LBB212_26:
	s_or_b64 exec, exec, s[2:3]
	s_mov_b32 s17, s16
	s_mov_b32 s18, s16
	;; [unrolled: 1-line block ×3, first 2 shown]
	v_mov_b64_e32 v[14:15], s[16:17]
	v_mov_b64_e32 v[16:17], s[18:19]
	;; [unrolled: 1-line block ×3, first 2 shown]
	v_cmp_gt_i32_e32 vcc, s27, v20
	v_lshlrev_b32_e32 v21, 7, v20
	v_mov_b64_e32 v[12:13], v[16:17]
	s_and_saveexec_b64 s[2:3], vcc
	s_cbranch_execz .LBB212_28
; %bb.27:
	v_lshlrev_b32_e32 v10, 1, v21
	v_mov_b32_e32 v11, 0
	v_lshl_add_u64 v[12:13], s[0:1], 0, v[10:11]
	v_lshlrev_b32_e32 v10, 1, v18
	v_lshl_add_u64 v[26:27], v[12:13], 0, v[10:11]
	global_load_dwordx4 v[14:17], v[26:27], off
	global_load_dwordx4 v[10:13], v[26:27], off offset:128
.LBB212_28:
	s_or_b64 exec, exec, s[2:3]
	v_lshrrev_b32_e32 v25, 3, v18
	v_lshlrev_b32_e32 v26, 3, v24
	v_or_b32_e32 v25, v26, v25
	v_lshlrev_b32_e32 v25, 4, v25
	v_and_b32_e32 v26, 0x78, v26
	v_xor_b32_e32 v25, v25, v26
	s_branch .LBB212_31
.LBB212_29:
                                        ; implicit-def: $vgpr25
                                        ; implicit-def: $vgpr21
                                        ; implicit-def: $vgpr6_vgpr7_vgpr8_vgpr9
                                        ; implicit-def: $vgpr2_vgpr3_vgpr4_vgpr5
                                        ; implicit-def: $vgpr14_vgpr15_vgpr16_vgpr17
                                        ; implicit-def: $vgpr10_vgpr11_vgpr12_vgpr13
	s_cbranch_execz .LBB212_31
; %bb.30:
	s_waitcnt vmcnt(0)
	v_lshlrev_b32_e32 v2, 1, v18
	v_lshl_or_b32 v21, v24, 8, v2
	s_and_b32 s1, s1, 0xffff
	s_mov_b32 s3, 0x20000
	s_movk_i32 s2, 0x4000
	v_lshl_or_b32 v25, v20, 8, v2
	s_movk_i32 s12, 0x80
	buffer_load_dwordx4 v[6:9], v21, s[0:3], 0 offen
	buffer_load_dwordx4 v[2:5], v21, s[0:3], s12 offen
	;; [unrolled: 1-line block ×4, first 2 shown]
	v_lshrrev_b32_e32 v21, 3, v18
	v_lshlrev_b32_e32 v25, 3, v24
	v_or_b32_e32 v21, v25, v21
	v_lshlrev_b32_e32 v21, 4, v21
	v_and_b32_e32 v25, 0x78, v25
	v_xor_b32_e32 v25, v21, v25
	v_lshlrev_b32_e32 v21, 7, v20
.LBB212_31:
	s_movk_i32 s0, 0x1000
	v_and_or_b32 v20, v21, s0, v25
	s_waitcnt vmcnt(1)
	ds_write_b64 v25, v[6:7] offset:49152
	v_xor_b32_e32 v6, 8, v25
	ds_write_b64 v6, v[8:9] offset:49152
	s_waitcnt vmcnt(0)
	ds_write_b64 v25, v[2:3] offset:57344
	ds_write_b64 v6, v[4:5] offset:57344
	;; [unrolled: 1-line block ×3, first 2 shown]
	v_xor_b32_e32 v2, 8, v20
	ds_write_b64 v2, v[16:17] offset:49152
	ds_write_b64 v20, v[10:11] offset:57344
	;; [unrolled: 1-line block ×3, first 2 shown]
	v_or_b32_e32 v2, v1, v88
	v_lshlrev_b32_e32 v3, 11, v86
	v_lshlrev_b32_e32 v2, 3, v2
	v_and_b32_e32 v6, 0x1000, v3
	v_lshrrev_b32_e32 v3, 5, v77
	s_movk_i32 s0, 0xf8
	v_and_or_b32 v3, v2, s0, v3
	v_lshlrev_b32_e32 v7, 4, v3
	v_and_b32_e32 v8, 0x78, v2
	v_or_b32_e32 v10, 32, v7
	v_lshrrev_b32_e32 v3, 1, v77
	v_xor_b32_e32 v10, v10, v8
	v_xor_b32_e32 v2, v7, v8
	v_and_b32_e32 v9, 8, v3
	v_or_b32_e32 v10, v10, v6
	v_or_b32_e32 v2, v2, v6
	v_xor_b32_e32 v27, v10, v9
	v_or_b32_e32 v10, 64, v7
	v_xor_b32_e32 v26, v2, v9
	v_xor_b32_e32 v10, v10, v8
	s_waitcnt lgkmcnt(0)
	s_barrier
	v_or_b32_e32 v13, v10, v6
	ds_read_b64 v[10:11], v26 offset:49152
	v_lshl_or_b32 v14, v87, 8, v34
	v_lshlrev_b32_e32 v25, 1, v14
	v_add_u32_e32 v12, 0x4000, v25
	ds_read2_b64 v[2:5], v12 offset1:16
	v_or_b32_e32 v7, 0x60, v7
	v_xor_b32_e32 v7, v7, v8
	v_or_b32_e32 v6, v7, v6
	v_xor_b32_e32 v28, v13, v9
	v_xor_b32_e32 v29, v6, v9
	ds_read_b64 v[20:21], v27 offset:49152
	ds_read_b64 v[36:37], v28 offset:49152
	;; [unrolled: 1-line block ×3, first 2 shown]
	s_waitcnt lgkmcnt(3)
	v_mfma_f32_16x16x16_bf16 a[0:3], v[10:11], v[2:3], 0
	ds_read2st64_b64 v[6:9], v25 offset0:36 offset1:40
	s_lshl_b64 s[0:1], s[24:25], 8
	s_add_u32 s4, s4, s0
	v_mfma_f32_16x16x16_bf16 a[4:7], v[10:11], v[4:5], 0
	ds_read2_b64 v[2:5], v12 offset0:32 offset1:48
	s_addc_u32 s5, s5, s1
	s_add_i32 s1, s43, s33
	s_waitcnt lgkmcnt(0)
	v_mfma_f32_16x16x16_bf16 a[8:11], v[10:11], v[2:3], 0
	v_or_b32_e32 v2, 64, v14
	v_lshlrev_b32_e32 v30, 1, v2
	s_add_i32 s0, s31, -1
	v_mfma_f32_16x16x16_bf16 a[12:15], v[10:11], v[4:5], 0
	ds_read2st64_b64 v[2:5], v30 offset0:36 offset1:40
	s_add_i32 s37, s1, s42
	s_add_i32 s1, s45, s44
	v_mfma_f32_16x16x16_bf16 a[0:3], v[20:21], v[6:7], a[0:3]
	v_or_b32_e32 v6, 0x80, v14
	v_lshlrev_b32_e32 v31, 1, v6
	ds_read2st64_b64 v[10:13], v31 offset0:36 offset1:40
	s_waitcnt lgkmcnt(1)
	v_mfma_f32_16x16x16_bf16 a[4:7], v[20:21], v[2:3], a[4:7]
	v_or_b32_e32 v2, 0xc0, v14
	v_lshlrev_b32_e32 v32, 1, v2
	ds_read2st64_b64 v[14:17], v32 offset0:36 offset1:40
	s_add_i32 s35, s1, s46
	s_ashr_i32 s1, s0, 31
	s_mul_i32 s2, s0, s29
	s_mul_hi_u32 s3, s0, s28
	s_add_i32 s2, s3, s2
	s_mul_i32 s1, s1, s28
	s_waitcnt lgkmcnt(1)
	v_mfma_f32_16x16x16_bf16 a[8:11], v[20:21], v[10:11], a[8:11]
	s_add_i32 s1, s2, s1
	s_lshl_b64 s[2:3], s[36:37], 2
	s_add_u32 s10, s10, s2
	s_waitcnt lgkmcnt(0)
	v_mfma_f32_16x16x16_bf16 a[12:15], v[20:21], v[14:15], a[12:15]
	s_addc_u32 s11, s11, s3
	s_lshl_b64 s[2:3], s[34:35], 2
	s_mul_i32 s0, s0, s28
	v_mfma_f32_16x16x16_bf16 a[0:3], v[36:37], v[8:9], a[0:3]
	ds_read_b64 v[2:3], v25 offset:22528
	s_add_u32 s10, s10, s2
	s_addc_u32 s11, s11, s3
	v_mfma_f32_16x16x16_bf16 a[4:7], v[36:37], v[4:5], a[4:7]
	ds_read_b64 v[4:5], v30 offset:22528
	ds_read_b64 v[6:7], v31 offset:22528
	;; [unrolled: 1-line block ×3, first 2 shown]
	s_lshl_b64 s[0:1], s[0:1], 2
	s_add_u32 s0, s10, s0
	v_mfma_f32_16x16x16_bf16 a[8:11], v[36:37], v[12:13], a[8:11]
	s_addc_u32 s1, s11, s1
	s_load_dword s12, s[0:1], 0x0
	s_and_b64 vcc, exec, s[22:23]
	v_mfma_f32_16x16x16_bf16 a[12:15], v[36:37], v[16:17], a[12:15]
	s_waitcnt lgkmcnt(0)
	v_mfma_f32_16x16x16_bf16 a[0:3], v[38:39], v[2:3], a[0:3]
	v_mfma_f32_16x16x16_bf16 a[4:7], v[38:39], v[4:5], a[4:7]
	;; [unrolled: 1-line block ×4, first 2 shown]
	s_cbranch_vccz .LBB212_42
; %bb.32:
	v_lshlrev_b32_e32 v20, 1, v24
	s_and_b64 vcc, exec, s[6:7]
	s_cbranch_vccz .LBB212_43
; %bb.33:
	v_cmp_gt_i32_e32 vcc, s27, v20
	v_mov_b32_e32 v6, 0
	v_mov_b32_e32 v2, 0
	;; [unrolled: 1-line block ×5, first 2 shown]
	s_and_saveexec_b64 s[0:1], vcc
	s_cbranch_execz .LBB212_35
; %bb.34:
	v_mad_i64_i32 v[2:3], s[2:3], s15, v20, 0
	v_lshl_add_u64 v[2:3], v[2:3], 1, s[4:5]
	v_lshlrev_b32_e32 v4, 1, v18
	v_mov_b32_e32 v5, 0
	v_lshl_add_u64 v[2:3], v[2:3], 0, v[4:5]
	global_load_dwordx4 v[2:5], v[2:3], off
.LBB212_35:
	s_or_b64 exec, exec, s[0:1]
	v_or_b32_e32 v21, 1, v20
	v_cmp_gt_i32_e64 s[0:1], s27, v21
	v_mov_b32_e32 v7, 0
	v_mov_b32_e32 v8, 0
	;; [unrolled: 1-line block ×3, first 2 shown]
	s_and_saveexec_b64 s[2:3], s[0:1]
	s_cbranch_execz .LBB212_37
; %bb.36:
	v_mad_i64_i32 v[6:7], s[16:17], s15, v21, 0
	v_lshl_add_u64 v[6:7], v[6:7], 1, s[4:5]
	v_lshlrev_b32_e32 v8, 1, v18
	v_mov_b32_e32 v9, 0
	v_lshl_add_u64 v[6:7], v[6:7], 0, v[8:9]
	global_load_dwordx4 v[6:9], v[6:7], off
.LBB212_37:
	s_or_b64 exec, exec, s[2:3]
	v_mov_b32_e32 v17, 0
	v_mov_b32_e32 v10, 0
	;; [unrolled: 1-line block ×5, first 2 shown]
	s_and_saveexec_b64 s[2:3], vcc
	s_cbranch_execz .LBB212_39
; %bb.38:
	v_mad_i64_i32 v[10:11], s[16:17], s15, v20, 0
	v_lshl_add_u64 v[10:11], v[10:11], 1, s[4:5]
	v_lshlrev_b32_e32 v12, 1, v18
	v_mov_b32_e32 v13, 0
	v_lshl_add_u64 v[10:11], v[10:11], 0, v[12:13]
	global_load_dwordx4 v[10:13], v[10:11], off offset:128
.LBB212_39:
	s_or_b64 exec, exec, s[2:3]
	v_mov_b32_e32 v16, 0
	v_mov_b32_e32 v15, 0
	;; [unrolled: 1-line block ×3, first 2 shown]
	s_and_saveexec_b64 s[2:3], s[0:1]
	s_cbranch_execz .LBB212_41
; %bb.40:
	v_mad_i64_i32 v[14:15], s[0:1], s15, v21, 0
	v_lshl_add_u64 v[14:15], v[14:15], 1, s[4:5]
	v_lshlrev_b32_e32 v16, 1, v18
	v_mov_b32_e32 v17, 0
	v_lshl_add_u64 v[14:15], v[14:15], 0, v[16:17]
	global_load_dwordx4 v[14:17], v[14:15], off offset:128
.LBB212_41:
	s_or_b64 exec, exec, s[2:3]
	s_branch .LBB212_45
.LBB212_42:
                                        ; implicit-def: $vgpr5
                                        ; implicit-def: $vgpr9
                                        ; implicit-def: $vgpr13
                                        ; implicit-def: $vgpr17
	v_lshrrev_b32_e32 v33, 2, v77
	s_branch .LBB212_46
.LBB212_43:
                                        ; implicit-def: $vgpr5
                                        ; implicit-def: $vgpr9
                                        ; implicit-def: $vgpr13
                                        ; implicit-def: $vgpr17
	s_cbranch_execz .LBB212_45
; %bb.44:
	s_waitcnt vmcnt(0)
	v_mad_u64_u32 v[2:3], s[0:1], v20, s15, v[18:19]
	v_lshlrev_b32_e32 v20, 1, v2
	s_lshl_b32 s2, s15, 7
	s_and_b32 s1, s5, 0xffff
	s_mov_b32 s3, 0x20000
	s_mov_b32 s0, s4
	v_add_lshl_u32 v21, v2, s15, 1
	s_movk_i32 s13, 0x80
	buffer_load_dwordx4 v[2:5], v20, s[0:3], 0 offen
	buffer_load_dwordx4 v[10:13], v20, s[0:3], s13 offen
	;; [unrolled: 1-line block ×4, first 2 shown]
.LBB212_45:
	v_lshrrev_b32_e32 v33, 2, v77
	s_cbranch_execnz .LBB212_58
.LBB212_46:
	s_and_b64 vcc, exec, s[6:7]
	s_cbranch_vccz .LBB212_56
; %bb.47:
	s_waitcnt vmcnt(0)
	v_lshlrev_b32_e32 v7, 1, v24
	v_cmp_gt_i32_e32 vcc, s27, v7
	v_mov_b32_e32 v6, 0
	v_lshlrev_b32_e32 v14, 9, v24
	v_mov_b32_e32 v2, 0
	v_mov_b32_e32 v3, 0
	;; [unrolled: 1-line block ×4, first 2 shown]
	s_and_saveexec_b64 s[0:1], vcc
	s_cbranch_execz .LBB212_49
; %bb.48:
	v_mov_b32_e32 v15, 0
	v_lshl_add_u64 v[2:3], s[4:5], 0, v[14:15]
	v_lshlrev_b32_e32 v4, 1, v18
	v_mov_b32_e32 v5, v15
	v_lshl_add_u64 v[2:3], v[2:3], 0, v[4:5]
	global_load_dwordx4 v[2:5], v[2:3], off
.LBB212_49:
	s_or_b64 exec, exec, s[0:1]
	v_or_b32_e32 v7, 1, v7
	v_cmp_gt_i32_e64 s[0:1], s27, v7
	v_lshlrev_b32_e32 v20, 8, v7
	v_mov_b32_e32 v7, 0
	v_mov_b32_e32 v8, 0
	;; [unrolled: 1-line block ×3, first 2 shown]
	s_and_saveexec_b64 s[2:3], s[0:1]
	s_cbranch_execz .LBB212_51
; %bb.50:
	v_mov_b32_e32 v21, 0
	v_lshl_add_u64 v[6:7], s[4:5], 0, v[20:21]
	v_lshlrev_b32_e32 v8, 1, v18
	v_mov_b32_e32 v9, v21
	v_lshl_add_u64 v[6:7], v[6:7], 0, v[8:9]
	global_load_dwordx4 v[6:9], v[6:7], off
.LBB212_51:
	s_or_b64 exec, exec, s[2:3]
	v_mov_b32_e32 v17, 0
	v_mov_b32_e32 v10, 0
	;; [unrolled: 1-line block ×5, first 2 shown]
	s_and_saveexec_b64 s[2:3], vcc
	s_cbranch_execz .LBB212_53
; %bb.52:
	v_mov_b32_e32 v15, 0
	v_lshl_add_u64 v[10:11], s[4:5], 0, v[14:15]
	v_lshlrev_b32_e32 v14, 1, v18
	v_lshl_add_u64 v[10:11], v[10:11], 0, v[14:15]
	global_load_dwordx4 v[10:13], v[10:11], off offset:128
.LBB212_53:
	s_or_b64 exec, exec, s[2:3]
	v_mov_b32_e32 v16, 0
	v_mov_b32_e32 v15, 0
	;; [unrolled: 1-line block ×3, first 2 shown]
	s_and_saveexec_b64 s[2:3], s[0:1]
	s_cbranch_execz .LBB212_55
; %bb.54:
	v_mov_b32_e32 v21, 0
	v_lshl_add_u64 v[14:15], s[4:5], 0, v[20:21]
	v_lshlrev_b32_e32 v20, 1, v18
	v_lshl_add_u64 v[14:15], v[14:15], 0, v[20:21]
	global_load_dwordx4 v[14:17], v[14:15], off offset:128
.LBB212_55:
	s_or_b64 exec, exec, s[2:3]
	s_branch .LBB212_58
.LBB212_56:
                                        ; implicit-def: $vgpr5
                                        ; implicit-def: $vgpr9
                                        ; implicit-def: $vgpr13
                                        ; implicit-def: $vgpr17
	s_cbranch_execz .LBB212_58
; %bb.57:
	s_waitcnt vmcnt(0)
	v_lshlrev_b32_e32 v2, 1, v18
	v_lshl_or_b32 v18, v24, 9, v2
	s_and_b32 s5, s5, 0xffff
	s_mov_b32 s7, 0x20000
	s_movk_i32 s6, 0x4000
	s_movk_i32 s0, 0x80
	buffer_load_dwordx4 v[2:5], v18, s[4:7], 0 offen
	buffer_load_dwordx4 v[6:9], v18, s[4:7], 0 offen offset:256
	buffer_load_dwordx4 v[10:13], v18, s[4:7], s0 offen
	buffer_load_dwordx4 v[14:17], v18, s[4:7], s0 offen offset:256
.LBB212_58:
	ds_read_b64 v[20:21], v26 offset:57344
	v_add_u32_e32 v18, 0x6000, v25
	ds_read2_b64 v[36:39], v18 offset1:16
	ds_read_b64 v[48:49], v27 offset:57344
	ds_read_b64 v[50:51], v28 offset:57344
	;; [unrolled: 1-line block ×3, first 2 shown]
	ds_read2_b64 v[26:29], v18 offset0:32 offset1:48
	v_and_b32_e32 v18, 6, v0
	v_xor_b32_e32 v24, v24, v18
	v_lshlrev_b32_e32 v24, 2, v24
	v_and_b32_e32 v0, 1, v0
	v_cmp_eq_u32_e32 vcc, 0, v0
	s_waitcnt lgkmcnt(4)
	v_mfma_f32_16x16x16_bf16 a[0:3], v[20:21], v[36:37], a[0:3]
	s_mov_b32 s0, 0x1000504
	s_mov_b32 s1, 0x3020706
	v_mfma_f32_16x16x16_bf16 a[4:7], v[20:21], v[38:39], a[4:7]
	ds_read2st64_b64 v[36:39], v25 offset0:52 offset1:56
	s_waitcnt lgkmcnt(1)
	v_mfma_f32_16x16x16_bf16 a[8:11], v[20:21], v[26:27], a[8:11]
	v_mfma_f32_16x16x16_bf16 a[12:15], v[20:21], v[28:29], a[12:15]
	ds_read2st64_b64 v[26:29], v30 offset0:52 offset1:56
	ds_read2st64_b64 v[40:43], v31 offset0:52 offset1:56
	;; [unrolled: 1-line block ×3, first 2 shown]
	s_waitcnt lgkmcnt(3)
	v_mfma_f32_16x16x16_bf16 a[0:3], v[48:49], v[36:37], a[0:3]
	ds_read_b64 v[20:21], v25 offset:30720
	ds_read_b64 v[36:37], v30 offset:30720
	;; [unrolled: 1-line block ×4, first 2 shown]
	v_xor_b32_e32 v25, 0x440, v24
	v_cndmask_b32_e32 v0, v25, v24, vcc
	s_waitcnt lgkmcnt(6)
	v_mfma_f32_16x16x16_bf16 a[4:7], v[48:49], v[26:27], a[4:7]
	v_lshl_or_b32 v0, v18, 10, v0
	s_waitcnt vmcnt(0)
	v_perm_b32 v18, v2, v6, s0
	v_perm_b32 v24, v10, v14, s0
	s_waitcnt lgkmcnt(5)
	v_mfma_f32_16x16x16_bf16 a[8:11], v[48:49], v[40:41], a[8:11]
	ds_write2st64_b32 v0, v18, v24 offset0:128 offset1:160
	v_xor_b32_e32 v18, 8, v0
	v_perm_b32 v2, v2, v6, s1
	s_waitcnt lgkmcnt(5)
	v_mfma_f32_16x16x16_bf16 a[12:15], v[48:49], v[44:45], a[12:15]
	v_perm_b32 v6, v10, v14, s1
	v_add_u32_e32 v10, 0x80, v18
	ds_write2st64_b32 v10, v2, v6 offset0:128 offset1:160
	v_mfma_f32_16x16x16_bf16 a[0:3], v[50:51], v[38:39], a[0:3]
	v_xor_b32_e32 v2, 16, v0
	v_perm_b32 v6, v3, v7, s0
	v_perm_b32 v10, v11, v15, s0
	v_mfma_f32_16x16x16_bf16 a[4:7], v[50:51], v[28:29], a[4:7]
	ds_write2st64_b32 v2, v6, v10 offset0:129 offset1:161
	v_xor_b32_e32 v2, 24, v0
	v_perm_b32 v3, v3, v7, s1
	v_mfma_f32_16x16x16_bf16 a[16:19], v[50:51], v[42:43], a[8:11]
	v_perm_b32 v6, v11, v15, s1
	v_add_u32_e32 v2, 0x80, v2
	ds_write2st64_b32 v2, v3, v6 offset0:129 offset1:161
	v_mfma_f32_16x16x16_bf16 a[20:23], v[50:51], v[46:47], a[12:15]
	v_xor_b32_e32 v2, 32, v0
	v_perm_b32 v3, v4, v8, s0
	v_perm_b32 v6, v12, v16, s0
	s_waitcnt lgkmcnt(7)
	v_mfma_f32_16x16x16_bf16 a[12:15], v[52:53], v[20:21], a[0:3]
	ds_write2st64_b32 v2, v3, v6 offset0:130 offset1:162
	v_xor_b32_e32 v2, 40, v0
	v_perm_b32 v3, v4, v8, s1
	s_waitcnt lgkmcnt(7)
	v_mfma_f32_16x16x16_bf16 a[8:11], v[52:53], v[36:37], a[4:7]
	v_perm_b32 v4, v12, v16, s1
	v_add_u32_e32 v2, 0x80, v2
	ds_write2st64_b32 v2, v3, v4 offset0:130 offset1:162
	s_waitcnt lgkmcnt(7)
	v_mfma_f32_16x16x16_bf16 a[4:7], v[52:53], v[30:31], a[16:19]
	v_xor_b32_e32 v2, 48, v0
	v_perm_b32 v3, v5, v9, s0
	v_perm_b32 v4, v13, v17, s0
	s_waitcnt lgkmcnt(6)
	v_mfma_f32_16x16x16_bf16 a[0:3], v[52:53], v[54:55], a[20:23]
	v_xor_b32_e32 v0, 56, v0
	v_and_or_b32 v18, v33, 12, v1
	ds_write2st64_b32 v2, v3, v4 offset0:131 offset1:163
	v_perm_b32 v2, v5, v9, s1
	v_perm_b32 v3, v13, v17, s1
	v_add_u32_e32 v0, 0x80, v0
	v_cmp_gt_i32_e32 vcc, s27, v18
	v_mov_b32_e32 v14, 0
	v_mov_b32_e32 v16, 0
	ds_write2st64_b32 v0, v2, v3 offset0:131 offset1:163
	s_and_saveexec_b64 s[0:1], vcc
	s_cbranch_execz .LBB212_60
; %bb.59:
	v_add_u32_e32 v0, s26, v18
	v_ashrrev_i32_e32 v1, 31, v0
	v_mul_lo_u32 v2, v1, s28
	v_mul_lo_u32 v3, v0, s29
	v_mad_u64_u32 v[0:1], s[2:3], v0, s28, 0
	v_add3_u32 v1, v1, v3, v2
	v_lshl_add_u64 v[0:1], v[0:1], 2, s[10:11]
	global_load_dword v0, v[0:1], off
	s_waitcnt vmcnt(0)
	v_sub_f32_e32 v0, s12, v0
	v_mul_f32_e32 v0, 0x3fb8aa3b, v0
	v_exp_f32_e32 v16, v0
.LBB212_60:
	s_or_b64 exec, exec, s[0:1]
	v_or_b32_e32 v8, 1, v18
	v_cmp_gt_i32_e64 s[0:1], s27, v8
	s_and_saveexec_b64 s[2:3], s[0:1]
	s_cbranch_execz .LBB212_62
; %bb.61:
	v_add_u32_e32 v0, s26, v8
	v_ashrrev_i32_e32 v1, 31, v0
	v_mul_lo_u32 v2, v1, s28
	v_mul_lo_u32 v3, v0, s29
	v_mad_u64_u32 v[0:1], s[4:5], v0, s28, 0
	v_add3_u32 v1, v1, v3, v2
	v_lshl_add_u64 v[0:1], v[0:1], 2, s[10:11]
	global_load_dword v0, v[0:1], off
	s_waitcnt vmcnt(0)
	v_sub_f32_e32 v0, s12, v0
	v_mul_f32_e32 v0, 0x3fb8aa3b, v0
	v_exp_f32_e32 v14, v0
.LBB212_62:
	s_or_b64 exec, exec, s[2:3]
	v_or_b32_e32 v10, 2, v18
	v_cmp_gt_i32_e64 s[2:3], s27, v10
	v_mov_b32_e32 v15, 0
	v_mov_b32_e32 v17, 0
	s_and_saveexec_b64 s[4:5], s[2:3]
	s_cbranch_execz .LBB212_64
; %bb.63:
	v_add_u32_e32 v0, s26, v10
	v_ashrrev_i32_e32 v1, 31, v0
	v_mul_lo_u32 v2, v1, s28
	v_mul_lo_u32 v3, v0, s29
	v_mad_u64_u32 v[0:1], s[6:7], v0, s28, 0
	v_add3_u32 v1, v1, v3, v2
	v_lshl_add_u64 v[0:1], v[0:1], 2, s[10:11]
	global_load_dword v0, v[0:1], off
	s_waitcnt vmcnt(0)
	v_sub_f32_e32 v0, s12, v0
	v_mul_f32_e32 v0, 0x3fb8aa3b, v0
	v_exp_f32_e32 v17, v0
.LBB212_64:
	s_or_b64 exec, exec, s[4:5]
	v_or_b32_e32 v12, 3, v18
	v_cmp_gt_i32_e64 s[4:5], s27, v12
	s_and_saveexec_b64 s[6:7], s[4:5]
	s_cbranch_execz .LBB212_66
; %bb.65:
	v_add_u32_e32 v0, s26, v12
	v_ashrrev_i32_e32 v1, 31, v0
	v_mul_lo_u32 v2, v1, s28
	v_mul_lo_u32 v3, v0, s29
	v_mad_u64_u32 v[0:1], s[14:15], v0, s28, 0
	v_add3_u32 v1, v1, v3, v2
	v_lshl_add_u64 v[0:1], v[0:1], 2, s[10:11]
	global_load_dword v0, v[0:1], off
	s_waitcnt vmcnt(0)
	v_sub_f32_e32 v0, s12, v0
	v_mul_f32_e32 v0, 0x3fb8aa3b, v0
	v_exp_f32_e32 v15, v0
.LBB212_66:
	s_or_b64 exec, exec, s[6:7]
	s_add_u32 s6, s8, s20
	v_accvgpr_read_b32 v0, a12
	s_addc_u32 s7, s9, s21
	v_ashrrev_i32_e32 v79, 31, v78
	v_accvgpr_read_b32 v1, a13
	v_accvgpr_read_b32 v2, a14
	;; [unrolled: 1-line block ×3, first 2 shown]
	v_lshl_add_u64 v[4:5], v[78:79], 1, s[6:7]
	v_mov_b32_e32 v9, 0
	v_lshlrev_b32_e32 v6, 8, v18
	v_mov_b32_e32 v7, 0
	s_and_saveexec_b64 s[6:7], vcc
	s_cbranch_execz .LBB212_68
; %bb.67:
	v_mov_b32_e32 v7, 0
	v_lshl_add_u64 v[20:21], v[4:5], 0, v[6:7]
	global_load_ushort v7, v[20:21], off
	s_waitcnt vmcnt(0)
	v_lshlrev_b32_e32 v7, 16, v7
	v_sub_f32_e32 v0, v7, v0
	v_mul_f32_e32 v0, v16, v0
	v_lshrrev_b32_e32 v7, 16, v0
.LBB212_68:
	s_or_b64 exec, exec, s[6:7]
	v_lshlrev_b32_e32 v8, 8, v8
	s_and_saveexec_b64 s[6:7], s[0:1]
	s_cbranch_execz .LBB212_70
; %bb.69:
	v_mov_b32_e32 v9, 0
	v_lshl_add_u64 v[20:21], v[4:5], 0, v[8:9]
	global_load_ushort v0, v[20:21], off
	s_waitcnt vmcnt(0)
	v_lshlrev_b32_e32 v0, 16, v0
	v_sub_f32_e32 v0, v0, v1
	v_mul_f32_e32 v0, v14, v0
	v_lshrrev_b32_e32 v9, 16, v0
.LBB212_70:
	s_or_b64 exec, exec, s[6:7]
	v_mov_b32_e32 v13, 0
	v_lshlrev_b32_e32 v10, 8, v10
	v_mov_b32_e32 v11, 0
	s_and_saveexec_b64 s[6:7], s[2:3]
	s_cbranch_execz .LBB212_72
; %bb.71:
	v_mov_b32_e32 v11, 0
	v_lshl_add_u64 v[0:1], v[4:5], 0, v[10:11]
	global_load_ushort v0, v[0:1], off
	s_waitcnt vmcnt(0)
	v_lshlrev_b32_e32 v0, 16, v0
	v_sub_f32_e32 v0, v0, v2
	v_mul_f32_e32 v0, v17, v0
	v_lshrrev_b32_e32 v11, 16, v0
.LBB212_72:
	s_or_b64 exec, exec, s[6:7]
	v_lshlrev_b32_e32 v12, 8, v12
	s_and_saveexec_b64 s[6:7], s[4:5]
	s_cbranch_execz .LBB212_74
; %bb.73:
	v_mov_b32_e32 v13, 0
	v_lshl_add_u64 v[0:1], v[4:5], 0, v[12:13]
	global_load_ushort v0, v[0:1], off
	s_waitcnt vmcnt(0)
	v_lshlrev_b32_e32 v0, 16, v0
	v_sub_f32_e32 v0, v0, v3
	v_mul_f32_e32 v0, v15, v0
	v_lshrrev_b32_e32 v13, 16, v0
.LBB212_74:
	s_or_b64 exec, exec, s[6:7]
	v_lshlrev_b32_e32 v18, 6, v18
	s_mov_b32 s6, 0x5040100
	v_perm_b32 v20, v9, v7, s6
	v_or_b32_e32 v7, v18, v34
	v_accvgpr_read_b32 v0, a8
	v_perm_b32 v21, v13, v11, s6
	v_lshlrev_b32_e32 v7, 1, v7
	v_accvgpr_read_b32 v1, a9
	v_accvgpr_read_b32 v2, a10
	;; [unrolled: 1-line block ×3, first 2 shown]
	ds_write_b64 v7, v[20:21] offset:24576
	v_mov_b32_e32 v9, 0
	v_mov_b32_e32 v7, 0
	s_and_saveexec_b64 s[6:7], vcc
	s_cbranch_execz .LBB212_76
; %bb.75:
	v_mov_b32_e32 v7, 0
	v_lshl_add_u64 v[20:21], v[4:5], 0, v[6:7]
	global_load_ushort v7, v[20:21], off offset:32
	s_waitcnt vmcnt(0)
	v_lshlrev_b32_e32 v7, 16, v7
	v_sub_f32_e32 v0, v7, v0
	v_mul_f32_e32 v0, v16, v0
	v_lshrrev_b32_e32 v7, 16, v0
.LBB212_76:
	s_or_b64 exec, exec, s[6:7]
	s_and_saveexec_b64 s[6:7], s[0:1]
	s_cbranch_execz .LBB212_78
; %bb.77:
	v_mov_b32_e32 v9, 0
	v_lshl_add_u64 v[20:21], v[4:5], 0, v[8:9]
	global_load_ushort v0, v[20:21], off offset:32
	s_waitcnt vmcnt(0)
	v_lshlrev_b32_e32 v0, 16, v0
	v_sub_f32_e32 v0, v0, v1
	v_mul_f32_e32 v0, v14, v0
	v_lshrrev_b32_e32 v9, 16, v0
.LBB212_78:
	s_or_b64 exec, exec, s[6:7]
	v_mov_b32_e32 v13, 0
	v_mov_b32_e32 v11, 0
	s_and_saveexec_b64 s[6:7], s[2:3]
	s_cbranch_execz .LBB212_80
; %bb.79:
	v_mov_b32_e32 v11, 0
	v_lshl_add_u64 v[0:1], v[4:5], 0, v[10:11]
	global_load_ushort v0, v[0:1], off offset:32
	s_waitcnt vmcnt(0)
	v_lshlrev_b32_e32 v0, 16, v0
	v_sub_f32_e32 v0, v0, v2
	v_mul_f32_e32 v0, v17, v0
	v_lshrrev_b32_e32 v11, 16, v0
.LBB212_80:
	s_or_b64 exec, exec, s[6:7]
	s_and_saveexec_b64 s[6:7], s[4:5]
	s_cbranch_execz .LBB212_82
; %bb.81:
	v_mov_b32_e32 v13, 0
	v_lshl_add_u64 v[0:1], v[4:5], 0, v[12:13]
	global_load_ushort v0, v[0:1], off offset:32
	s_waitcnt vmcnt(0)
	v_lshlrev_b32_e32 v0, 16, v0
	v_sub_f32_e32 v0, v0, v3
	v_mul_f32_e32 v0, v15, v0
	v_lshrrev_b32_e32 v13, 16, v0
.LBB212_82:
	s_or_b64 exec, exec, s[6:7]
	s_mov_b32 s6, 0x5040100
	v_perm_b32 v20, v9, v7, s6
	v_or_b32_e32 v7, v18, v23
	v_accvgpr_read_b32 v0, a4
	v_perm_b32 v21, v13, v11, s6
	v_lshlrev_b32_e32 v7, 1, v7
	v_accvgpr_read_b32 v1, a5
	v_accvgpr_read_b32 v2, a6
	;; [unrolled: 1-line block ×3, first 2 shown]
	ds_write_b64 v7, v[20:21] offset:24576
	v_mov_b32_e32 v9, 0
	v_mov_b32_e32 v7, 0
	s_and_saveexec_b64 s[6:7], vcc
	s_cbranch_execz .LBB212_84
; %bb.83:
	v_mov_b32_e32 v7, 0
	v_lshl_add_u64 v[20:21], v[4:5], 0, v[6:7]
	global_load_ushort v7, v[20:21], off offset:64
	s_waitcnt vmcnt(0)
	v_lshlrev_b32_e32 v7, 16, v7
	v_sub_f32_e32 v0, v7, v0
	v_mul_f32_e32 v0, v16, v0
	v_lshrrev_b32_e32 v7, 16, v0
.LBB212_84:
	s_or_b64 exec, exec, s[6:7]
	s_and_saveexec_b64 s[6:7], s[0:1]
	s_cbranch_execz .LBB212_86
; %bb.85:
	v_mov_b32_e32 v9, 0
	v_lshl_add_u64 v[20:21], v[4:5], 0, v[8:9]
	global_load_ushort v0, v[20:21], off offset:64
	s_waitcnt vmcnt(0)
	v_lshlrev_b32_e32 v0, 16, v0
	v_sub_f32_e32 v0, v0, v1
	v_mul_f32_e32 v0, v14, v0
	v_lshrrev_b32_e32 v9, 16, v0
.LBB212_86:
	s_or_b64 exec, exec, s[6:7]
	v_mov_b32_e32 v13, 0
	v_mov_b32_e32 v11, 0
	s_and_saveexec_b64 s[6:7], s[2:3]
	s_cbranch_execz .LBB212_88
; %bb.87:
	v_mov_b32_e32 v11, 0
	v_lshl_add_u64 v[0:1], v[4:5], 0, v[10:11]
	global_load_ushort v0, v[0:1], off offset:64
	s_waitcnt vmcnt(0)
	v_lshlrev_b32_e32 v0, 16, v0
	v_sub_f32_e32 v0, v0, v2
	v_mul_f32_e32 v0, v17, v0
	v_lshrrev_b32_e32 v11, 16, v0
.LBB212_88:
	s_or_b64 exec, exec, s[6:7]
	s_and_saveexec_b64 s[6:7], s[4:5]
	s_cbranch_execz .LBB212_90
; %bb.89:
	v_mov_b32_e32 v13, 0
	v_lshl_add_u64 v[0:1], v[4:5], 0, v[12:13]
	global_load_ushort v0, v[0:1], off offset:64
	s_waitcnt vmcnt(0)
	v_lshlrev_b32_e32 v0, 16, v0
	v_sub_f32_e32 v0, v0, v3
	v_mul_f32_e32 v0, v15, v0
	v_lshrrev_b32_e32 v13, 16, v0
.LBB212_90:
	s_or_b64 exec, exec, s[6:7]
	s_mov_b32 s6, 0x5040100
	v_perm_b32 v20, v9, v7, s6
	v_or_b32_e32 v7, v18, v22
	v_accvgpr_read_b32 v0, a0
	v_perm_b32 v21, v13, v11, s6
	v_lshlrev_b32_e32 v7, 1, v7
	v_accvgpr_read_b32 v1, a1
	v_accvgpr_read_b32 v2, a2
	;; [unrolled: 1-line block ×3, first 2 shown]
	ds_write_b64 v7, v[20:21] offset:24576
	v_mov_b32_e32 v9, 0
	v_mov_b32_e32 v7, 0
	s_and_saveexec_b64 s[6:7], vcc
	s_cbranch_execz .LBB212_92
; %bb.91:
	v_mov_b32_e32 v7, 0
	v_lshl_add_u64 v[6:7], v[4:5], 0, v[6:7]
	global_load_ushort v6, v[6:7], off offset:96
	s_waitcnt vmcnt(0)
	v_lshlrev_b32_e32 v6, 16, v6
	v_sub_f32_e32 v0, v6, v0
	v_mul_f32_e32 v0, v16, v0
	v_lshrrev_b32_e32 v7, 16, v0
.LBB212_92:
	s_or_b64 exec, exec, s[6:7]
	s_and_saveexec_b64 s[6:7], s[0:1]
	s_cbranch_execz .LBB212_94
; %bb.93:
	v_mov_b32_e32 v9, 0
	v_lshl_add_u64 v[8:9], v[4:5], 0, v[8:9]
	global_load_ushort v0, v[8:9], off offset:96
	s_waitcnt vmcnt(0)
	v_lshlrev_b32_e32 v0, 16, v0
	v_sub_f32_e32 v0, v0, v1
	v_mul_f32_e32 v0, v14, v0
	v_lshrrev_b32_e32 v9, 16, v0
.LBB212_94:
	s_or_b64 exec, exec, s[6:7]
	v_mov_b32_e32 v0, 0
	v_mov_b32_e32 v1, 0
	s_and_saveexec_b64 s[0:1], s[2:3]
	s_cbranch_execz .LBB212_96
; %bb.95:
	v_mov_b32_e32 v11, 0
	v_lshl_add_u64 v[10:11], v[4:5], 0, v[10:11]
	global_load_ushort v1, v[10:11], off offset:96
	s_waitcnt vmcnt(0)
	v_lshlrev_b32_e32 v1, 16, v1
	v_sub_f32_e32 v1, v1, v2
	v_mul_f32_e32 v1, v17, v1
	v_lshrrev_b32_e32 v1, 16, v1
.LBB212_96:
	s_or_b64 exec, exec, s[0:1]
	s_and_saveexec_b64 s[0:1], s[4:5]
	s_cbranch_execz .LBB212_98
; %bb.97:
	v_mov_b32_e32 v13, 0
	v_lshl_add_u64 v[4:5], v[4:5], 0, v[12:13]
	global_load_ushort v0, v[4:5], off offset:96
	s_waitcnt vmcnt(0)
	v_lshlrev_b32_e32 v0, 16, v0
	v_sub_f32_e32 v0, v0, v3
	v_mul_f32_e32 v0, v15, v0
	v_lshrrev_b32_e32 v0, 16, v0
.LBB212_98:
	s_or_b64 exec, exec, s[0:1]
	s_mov_b32 s0, 0x5040100
	v_or_b32_e32 v2, v18, v19
	v_perm_b32 v1, v0, v1, s0
	v_perm_b32 v0, v9, v7, s0
	v_lshlrev_b32_e32 v2, 1, v2
	ds_write_b64 v2, v[0:1] offset:24576
	s_waitcnt lgkmcnt(0)
	s_barrier
.LBB212_99:
	s_endpgm
	.section	.rodata,"a",@progbits
	.p2align	6, 0x0
	.amdhsa_kernel _ZN12_GLOBAL__N_139chunk_gated_delta_rule_fwd_h_hip_kernelILi64ELb1ELb0ELb0ELb1ELb0ELb1ELb0ELb0EEEvPK12hip_bfloat16S3_S3_PKfS5_PKvPS1_S8_PvPKiSB_iiiiilll
		.amdhsa_group_segment_fixed_size 65536
		.amdhsa_private_segment_fixed_size 0
		.amdhsa_kernarg_size 136
		.amdhsa_user_sgpr_count 2
		.amdhsa_user_sgpr_dispatch_ptr 0
		.amdhsa_user_sgpr_queue_ptr 0
		.amdhsa_user_sgpr_kernarg_segment_ptr 1
		.amdhsa_user_sgpr_dispatch_id 0
		.amdhsa_user_sgpr_kernarg_preload_length 0
		.amdhsa_user_sgpr_kernarg_preload_offset 0
		.amdhsa_user_sgpr_private_segment_size 0
		.amdhsa_uses_dynamic_stack 0
		.amdhsa_enable_private_segment 0
		.amdhsa_system_sgpr_workgroup_id_x 1
		.amdhsa_system_sgpr_workgroup_id_y 1
		.amdhsa_system_sgpr_workgroup_id_z 0
		.amdhsa_system_sgpr_workgroup_info 0
		.amdhsa_system_vgpr_workitem_id 0
		.amdhsa_next_free_vgpr 232
		.amdhsa_next_free_sgpr 63
		.amdhsa_accum_offset 192
		.amdhsa_reserve_vcc 1
		.amdhsa_float_round_mode_32 0
		.amdhsa_float_round_mode_16_64 0
		.amdhsa_float_denorm_mode_32 3
		.amdhsa_float_denorm_mode_16_64 3
		.amdhsa_dx10_clamp 1
		.amdhsa_ieee_mode 1
		.amdhsa_fp16_overflow 0
		.amdhsa_tg_split 0
		.amdhsa_exception_fp_ieee_invalid_op 0
		.amdhsa_exception_fp_denorm_src 0
		.amdhsa_exception_fp_ieee_div_zero 0
		.amdhsa_exception_fp_ieee_overflow 0
		.amdhsa_exception_fp_ieee_underflow 0
		.amdhsa_exception_fp_ieee_inexact 0
		.amdhsa_exception_int_div_zero 0
	.end_amdhsa_kernel
	.section	.text._ZN12_GLOBAL__N_139chunk_gated_delta_rule_fwd_h_hip_kernelILi64ELb1ELb0ELb0ELb1ELb0ELb1ELb0ELb0EEEvPK12hip_bfloat16S3_S3_PKfS5_PKvPS1_S8_PvPKiSB_iiiiilll,"axG",@progbits,_ZN12_GLOBAL__N_139chunk_gated_delta_rule_fwd_h_hip_kernelILi64ELb1ELb0ELb0ELb1ELb0ELb1ELb0ELb0EEEvPK12hip_bfloat16S3_S3_PKfS5_PKvPS1_S8_PvPKiSB_iiiiilll,comdat
.Lfunc_end212:
	.size	_ZN12_GLOBAL__N_139chunk_gated_delta_rule_fwd_h_hip_kernelILi64ELb1ELb0ELb0ELb1ELb0ELb1ELb0ELb0EEEvPK12hip_bfloat16S3_S3_PKfS5_PKvPS1_S8_PvPKiSB_iiiiilll, .Lfunc_end212-_ZN12_GLOBAL__N_139chunk_gated_delta_rule_fwd_h_hip_kernelILi64ELb1ELb0ELb0ELb1ELb0ELb1ELb0ELb0EEEvPK12hip_bfloat16S3_S3_PKfS5_PKvPS1_S8_PvPKiSB_iiiiilll
                                        ; -- End function
	.section	.AMDGPU.csdata,"",@progbits
; Kernel info:
; codeLenInByte = 10972
; NumSgprs: 69
; NumVgprs: 190
; NumAgprs: 40
; TotalNumVgprs: 232
; ScratchSize: 0
; MemoryBound: 0
; FloatMode: 240
; IeeeMode: 1
; LDSByteSize: 65536 bytes/workgroup (compile time only)
; SGPRBlocks: 8
; VGPRBlocks: 28
; NumSGPRsForWavesPerEU: 69
; NumVGPRsForWavesPerEU: 232
; AccumOffset: 192
; Occupancy: 1
; WaveLimiterHint : 1
; COMPUTE_PGM_RSRC2:SCRATCH_EN: 0
; COMPUTE_PGM_RSRC2:USER_SGPR: 2
; COMPUTE_PGM_RSRC2:TRAP_HANDLER: 0
; COMPUTE_PGM_RSRC2:TGID_X_EN: 1
; COMPUTE_PGM_RSRC2:TGID_Y_EN: 1
; COMPUTE_PGM_RSRC2:TGID_Z_EN: 0
; COMPUTE_PGM_RSRC2:TIDIG_COMP_CNT: 0
; COMPUTE_PGM_RSRC3_GFX90A:ACCUM_OFFSET: 47
; COMPUTE_PGM_RSRC3_GFX90A:TG_SPLIT: 0
	.section	.text._ZN12_GLOBAL__N_139chunk_gated_delta_rule_fwd_h_hip_kernelILi64ELb0ELb1ELb1ELb1ELb0ELb1ELb0ELb0EEEvPK12hip_bfloat16S3_S3_PKfS5_PKvPS1_S8_PvPKiSB_iiiiilll,"axG",@progbits,_ZN12_GLOBAL__N_139chunk_gated_delta_rule_fwd_h_hip_kernelILi64ELb0ELb1ELb1ELb1ELb0ELb1ELb0ELb0EEEvPK12hip_bfloat16S3_S3_PKfS5_PKvPS1_S8_PvPKiSB_iiiiilll,comdat
	.globl	_ZN12_GLOBAL__N_139chunk_gated_delta_rule_fwd_h_hip_kernelILi64ELb0ELb1ELb1ELb1ELb0ELb1ELb0ELb0EEEvPK12hip_bfloat16S3_S3_PKfS5_PKvPS1_S8_PvPKiSB_iiiiilll ; -- Begin function _ZN12_GLOBAL__N_139chunk_gated_delta_rule_fwd_h_hip_kernelILi64ELb0ELb1ELb1ELb1ELb0ELb1ELb0ELb0EEEvPK12hip_bfloat16S3_S3_PKfS5_PKvPS1_S8_PvPKiSB_iiiiilll
	.p2align	8
	.type	_ZN12_GLOBAL__N_139chunk_gated_delta_rule_fwd_h_hip_kernelILi64ELb0ELb1ELb1ELb1ELb0ELb1ELb0ELb0EEEvPK12hip_bfloat16S3_S3_PKfS5_PKvPS1_S8_PvPKiSB_iiiiilll,@function
_ZN12_GLOBAL__N_139chunk_gated_delta_rule_fwd_h_hip_kernelILi64ELb0ELb1ELb1ELb1ELb0ELb1ELb0ELb0EEEvPK12hip_bfloat16S3_S3_PKfS5_PKvPS1_S8_PvPKiSB_iiiiilll: ; @_ZN12_GLOBAL__N_139chunk_gated_delta_rule_fwd_h_hip_kernelILi64ELb0ELb1ELb1ELb1ELb0ELb1ELb0ELb0EEEvPK12hip_bfloat16S3_S3_PKfS5_PKvPS1_S8_PvPKiSB_iiiiilll
; %bb.0:
	s_load_dwordx4 s[20:23], s[0:1], 0x5c
	s_load_dwordx2 s[24:25], s[0:1], 0x50
	s_abs_i32 s27, s3
	s_ashr_i32 s26, s3, 31
	s_load_dwordx8 s[4:11], s[0:1], 0x30
	s_load_dwordx8 s[12:19], s[0:1], 0x0
	s_load_dwordx2 s[40:41], s[0:1], 0x20
	s_waitcnt lgkmcnt(0)
	s_abs_i32 s30, s21
	v_cvt_f32_u32_e32 v1, s30
	s_sub_i32 s28, 0, s30
	s_ashr_i32 s48, s21, 31
	s_xor_b32 s26, s26, s48
	v_rcp_iflag_f32_e32 v1, v1
	v_lshrrev_b32_e32 v77, 6, v0
	v_bfe_u32 v88, v0, 4, 2
	v_lshlrev_b32_e32 v86, 4, v77
	v_mul_f32_e32 v1, 0x4f7ffffe, v1
	v_cvt_u32_f32_e32 v1, v1
	v_lshlrev_b32_e32 v34, 2, v88
	v_and_b32_e32 v87, 63, v0
	v_mov_b32_e32 v25, 0
	v_readfirstlane_b32 s29, v1
	s_mul_i32 s28, s28, s29
	s_mul_hi_u32 s28, s29, s28
	s_add_i32 s29, s29, s28
	s_mul_hi_u32 s28, s27, s29
	s_mul_i32 s29, s28, s30
	s_sub_i32 s27, s27, s29
	s_add_i32 s29, s28, 1
	s_sub_i32 s31, s27, s30
	s_cmp_ge_u32 s27, s30
	s_cselect_b32 s28, s29, s28
	s_cselect_b32 s27, s31, s27
	s_add_i32 s29, s28, 1
	s_cmp_ge_u32 s27, s30
	s_cselect_b32 s27, s29, s28
	s_xor_b32 s27, s27, s26
	s_sub_i32 s34, s27, s26
	s_mul_i32 s26, s34, s21
	s_ashr_i32 s35, s34, 31
	s_sub_i32 s49, s3, s26
	s_lshl_b64 s[26:27], s[34:35], 2
	s_add_u32 s10, s10, s26
	s_addc_u32 s11, s11, s27
	s_add_u32 s28, s24, s26
	s_addc_u32 s29, s25, s27
	s_abs_i32 s3, s22
	v_cvt_f32_u32_e32 v1, s3
	s_load_dwordx2 s[42:43], s[10:11], 0x0
	s_nop 0
	s_load_dwordx2 s[10:11], s[0:1], 0x80
	s_load_dwordx4 s[24:27], s[0:1], 0x70
	s_sub_i32 s1, 0, s3
	v_rcp_iflag_f32_e32 v1, v1
	s_load_dword s54, s[28:29], 0x0
	s_waitcnt lgkmcnt(0)
	s_sub_i32 s58, s43, s42
	s_ashr_i32 s0, s58, 31
	v_mul_f32_e32 v1, 0x4f7ffffe, v1
	v_cvt_u32_f32_e32 v1, v1
	s_lshr_b32 s0, s0, 26
	s_add_i32 s0, s58, s0
	s_ashr_i32 s53, s0, 6
	v_readfirstlane_b32 s31, v1
	s_mul_i32 s1, s1, s31
	s_mul_hi_u32 s1, s31, s1
	s_add_i32 s31, s31, s1
	s_mul_hi_u32 s1, s30, s31
	s_mul_i32 s31, s1, s3
	s_ashr_i32 s0, s22, 31
	s_sub_i32 s30, s30, s31
	s_xor_b32 s0, s48, s0
	s_add_i32 s31, s1, 1
	s_sub_i32 s36, s30, s3
	s_cmp_ge_u32 s30, s3
	s_cselect_b32 s1, s31, s1
	s_cselect_b32 s30, s36, s30
	s_add_i32 s31, s1, 1
	s_cmp_ge_u32 s30, s3
	s_cselect_b32 s1, s31, s1
	s_xor_b32 s1, s1, s0
	s_sub_i32 s1, s1, s0
	s_abs_i32 s3, s1
	v_cvt_f32_u32_e32 v1, s3
	s_sub_i32 s29, 0, s3
	s_abs_i32 s28, s49
	s_xor_b32 s1, s49, s1
	v_rcp_iflag_f32_e32 v1, v1
	s_ashr_i32 s1, s1, 31
	s_mov_b32 s0, 0
	s_mov_b32 s33, s21
	v_mul_f32_e32 v1, 0x4f7ffffe, v1
	v_cvt_u32_f32_e32 v1, v1
	v_and_b32_e32 v89, 15, v0
	s_mul_hi_i32 s55, s49, s20
	s_mul_i32 s57, s49, s20
	v_readfirstlane_b32 s30, v1
	s_mul_i32 s29, s29, s30
	s_mul_hi_u32 s29, s30, s29
	s_add_i32 s30, s30, s29
	s_mul_hi_u32 s29, s28, s30
	s_mul_i32 s30, s29, s3
	s_sub_i32 s28, s28, s30
	s_add_i32 s30, s29, 1
	s_sub_i32 s31, s28, s3
	s_cmp_ge_u32 s28, s3
	s_cselect_b32 s29, s30, s29
	s_cselect_b32 s28, s31, s28
	s_add_i32 s30, s29, 1
	s_cmp_ge_u32 s28, s3
	s_cselect_b32 s3, s30, s29
	s_xor_b32 s3, s3, s1
	s_sub_i32 s56, s3, s1
	v_or_b32_e32 v1, v34, v86
	s_lshl_b32 s2, s2, 6
	s_mov_b32 s1, s0
	v_or_b32_e32 v92, 64, v1
	s_cmp_lt_i32 s58, 64
	v_mov_b64_e32 v[2:3], s[0:1]
	v_lshrrev_b32_e32 v91, 3, v87
	v_lshlrev_b32_e32 v90, 3, v0
	s_mul_i32 s50, s34, s25
	s_mul_hi_u32 s51, s34, s24
	s_mul_i32 s52, s35, s24
	s_mul_i32 s24, s34, s24
	v_mov_b32_e32 v24, v25
	v_mov_b32_e32 v23, v25
	v_mov_b32_e32 v22, v25
	v_mov_b32_e32 v13, v25
	v_mov_b32_e32 v12, v25
	v_mov_b32_e32 v11, v25
	v_mov_b32_e32 v10, v25
	v_mov_b32_e32 v29, v25
	v_mov_b32_e32 v28, v25
	v_mov_b32_e32 v27, v25
	v_mov_b32_e32 v26, v25
	v_mov_b32_e32 v17, v25
	v_mov_b32_e32 v16, v25
	v_mov_b32_e32 v15, v25
	v_mov_b32_e32 v14, v25
	v_mov_b32_e32 v33, v25
	v_mov_b32_e32 v32, v25
	v_mov_b32_e32 v31, v25
	v_mov_b32_e32 v30, v25
	v_mov_b32_e32 v21, v25
	v_mov_b32_e32 v20, v25
	v_mov_b32_e32 v19, v25
	v_mov_b32_e32 v18, v25
	v_mov_b64_e32 v[4:5], s[0:1]
	v_mov_b64_e32 v[6:7], s[0:1]
	;; [unrolled: 1-line block ×3, first 2 shown]
	s_cbranch_scc1 .LBB213_18
; %bb.1:
	s_ashr_i32 s60, s49, 31
	s_ashr_i32 s1, s42, 31
	s_add_u32 s0, s57, s42
	s_addc_u32 s1, s55, s1
	s_lshl_b64 s[0:1], s[0:1], 8
	v_and_b32_e32 v94, 56, v90
	s_add_u32 s28, s14, s0
	v_lshl_or_b32 v93, v77, 3, v91
	v_lshlrev_b32_e32 v2, 1, v94
	s_addc_u32 s0, s15, s1
	v_lshl_or_b32 v95, v93, 8, v2
	s_and_b32 s29, s0, 0xffff
	s_mov_b32 s31, 0x20000
	s_movk_i32 s30, 0x4000
	s_movk_i32 s0, 0x80
	v_or_b32_e32 v96, 0x2000, v95
	buffer_load_dwordx4 v[4:7], v95, s[28:31], 0 offen
	buffer_load_dwordx4 v[8:11], v95, s[28:31], s0 offen
	;; [unrolled: 1-line block ×4, first 2 shown]
	v_lshlrev_b32_e32 v3, 3, v93
	v_and_or_b32 v21, v0, 7, v3
	v_and_b32_e32 v3, 0x78, v3
	v_lshlrev_b32_e32 v21, 4, v21
	v_xor_b32_e32 v97, v21, v3
	v_mul_lo_u32 v20, v93, s23
	v_or_b32_e32 v98, 0x1000, v97
	v_xor_b32_e32 v3, 8, v97
	s_cmpk_eq_i32 s23, 0x80
	s_mov_b32 s59, s42
	v_xor_b32_e32 v21, 8, v98
	s_cselect_b64 s[0:1], -1, 0
	s_cmpk_lg_i32 s23, 0x80
	s_waitcnt vmcnt(3)
	ds_write_b64 v97, v[4:5] offset:49152
	ds_write_b64 v3, v[6:7] offset:49152
	s_waitcnt vmcnt(2)
	ds_write_b64 v97, v[8:9] offset:57344
	ds_write_b64 v3, v[10:11] offset:57344
	s_waitcnt vmcnt(1)
	ds_write_b64 v97, v[12:13] offset:53248
	ds_write_b64 v21, v[14:15] offset:49152
	s_waitcnt vmcnt(0)
	ds_write_b64 v97, v[16:17] offset:61440
	ds_write_b64 v21, v[18:19] offset:57344
	v_lshl_add_u32 v3, v20, 1, v94
	s_cbranch_scc0 .LBB213_3
; %bb.2:
	v_lshlrev_b32_e32 v5, 1, v3
	v_add_lshl_u32 v4, v3, s23, 1
	s_lshl_b32 s30, s23, 7
	v_lshl_or_b32 v2, v93, 9, v2
	s_cbranch_execz .LBB213_4
	s_branch .LBB213_5
.LBB213_3:
                                        ; implicit-def: $vgpr4
                                        ; implicit-def: $vgpr5
                                        ; implicit-def: $sgpr30
	v_lshl_or_b32 v2, v93, 9, v2
.LBB213_4:
	v_or_b32_e32 v4, 0x100, v2
	s_movk_i32 s30, 0x4000
	v_mov_b32_e32 v5, v2
.LBB213_5:
	s_mul_i32 s25, s42, s22
	s_ashr_i32 s61, s56, 31
	s_mul_hi_i32 s3, s42, s22
	s_add_u32 s28, s25, s56
	s_addc_u32 s29, s3, s61
	s_lshl_b64 s[28:29], s[28:29], 8
	s_add_u32 s28, s12, s28
	s_addc_u32 s3, s13, s29
	s_and_b32 s29, s3, 0xffff
	s_movk_i32 s62, 0x80
	buffer_load_dwordx4 v[6:9], v5, s[28:31], 0 offen
	buffer_load_dwordx4 v[10:13], v5, s[28:31], s62 offen
	buffer_load_dwordx4 v[14:17], v4, s[28:31], 0 offen
	buffer_load_dwordx4 v[18:21], v4, s[28:31], s62 offen
	v_and_b32_e32 v5, 6, v0
	v_lshlrev_b32_e32 v4, 7, v1
	v_xor_b32_e32 v27, v93, v5
	v_and_b32_e32 v22, 1, v0
	v_lshl_or_b32 v30, v89, 3, v4
	v_lshlrev_b32_e32 v27, 2, v27
	v_lshlrev_b32_e32 v23, 2, v89
	v_or_b32_e32 v99, 0x4000, v30
	v_or_b32_e32 v100, 0x6000, v30
	v_xor_b32_e32 v30, 0x440, v27
	v_cmp_eq_u32_e32 vcc, 0, v22
	v_or_b32_e32 v25, 16, v89
	v_or_b32_e32 v26, 32, v89
	v_xor_b32_e32 v28, v1, v23
	v_xor_b32_e32 v29, v92, v23
	v_cndmask_b32_e32 v22, v30, v27, vcc
	s_add_i32 s3, s51, s50
	s_mov_b32 s63, 0x1000504
	v_lshl_or_b32 v31, v25, 3, v4
	v_lshlrev_b32_e32 v25, 8, v25
	v_lshl_or_b32 v32, v26, 3, v4
	v_lshlrev_b32_e32 v28, 1, v28
	v_lshlrev_b32_e32 v29, 1, v29
	v_lshl_or_b32 v5, v5, 10, v22
	s_add_i32 s25, s3, s52
	s_mul_i32 s3, s49, s27
	s_mul_hi_u32 s28, s49, s26
	s_mov_b32 s64, 0x3020706
	v_lshlrev_b32_e32 v24, 8, v89
	v_or_b32_e32 v103, 0x4000, v32
	v_or_b32_e32 v104, 0x6000, v32
	;; [unrolled: 1-line block ×4, first 2 shown]
	v_xor_b32_e32 v22, 8, v5
	v_xor_b32_e32 v25, 24, v5
	;; [unrolled: 1-line block ×4, first 2 shown]
	s_add_i32 s3, s28, s3
	s_mul_i32 s28, s60, s26
	v_or_b32_e32 v101, 0x4000, v31
	v_or_b32_e32 v102, 0x6000, v31
	;; [unrolled: 1-line block ×4, first 2 shown]
	v_xor_b32_e32 v24, 16, v5
	v_xor_b32_e32 v27, 32, v5
	v_xor_b32_e32 v31, 48, v5
	v_add_u32_e32 v22, 0x80, v22
	v_add_u32_e32 v25, 0x80, v25
	;; [unrolled: 1-line block ×4, first 2 shown]
	s_add_i32 s29, s3, s28
	s_lshl_b64 s[36:37], s[24:25], 2
	s_mul_i32 s28, s49, s26
	s_add_u32 s3, s18, s36
	s_addc_u32 s25, s19, s37
	s_lshl_b64 s[28:29], s[28:29], 2
	s_add_u32 s44, s3, s28
	s_movk_i32 s3, 0xf8
	s_addc_u32 s45, s25, s29
	s_lshl_b32 s38, s23, 7
	s_movk_i32 s25, 0x100
	v_mov_b32_e32 v79, 0
	v_lshlrev_b32_e32 v78, 4, v89
	v_lshlrev_b32_e32 v26, 8, v26
	s_mov_b32 s66, 0
	s_movk_i32 s30, 0x4000
	v_or_b32_e32 v109, v26, v28
	v_or_b32_e32 v110, v26, v29
	v_add_u32_e32 v136, v86, v34
	s_movk_i32 s65, 0x3000
	v_mov_b32_e32 v146, 0x3fb8aa3b
	v_mov_b32_e32 v26, v79
	s_waitcnt vmcnt(1)
	v_perm_b32 v33, v6, v14, s63
	s_waitcnt vmcnt(0)
	v_perm_b32 v35, v10, v18, s63
	v_perm_b32 v6, v6, v14, s64
	;; [unrolled: 1-line block ×15, first 2 shown]
	ds_write2st64_b32 v5, v33, v35 offset0:128 offset1:160
	ds_write2st64_b32 v22, v6, v10 offset0:128 offset1:160
	;; [unrolled: 1-line block ×8, first 2 shown]
	v_or_b32_e32 v5, 48, v89
	v_lshl_or_b32 v6, v5, 3, v4
	v_lshlrev_b32_e32 v5, 8, v5
	v_or_b32_e32 v113, v5, v28
	v_or_b32_e32 v114, v5, v29
	;; [unrolled: 1-line block ×3, first 2 shown]
	v_lshlrev_b32_e32 v5, 3, v5
	v_lshrrev_b32_e32 v7, 5, v87
	v_and_or_b32 v7, v5, s3, v7
	v_lshlrev_b32_e32 v7, 4, v7
	v_or_b32_e32 v111, 0x4000, v6
	v_or_b32_e32 v112, 0x6000, v6
	v_lshrrev_b32_e32 v6, 2, v87
	v_lshlrev_b32_e32 v11, 11, v77
	v_and_b32_e32 v5, 0x78, v5
	v_or_b32_e32 v13, 32, v7
	v_and_b32_e32 v10, 12, v6
	v_and_b32_e32 v6, 0x1000, v11
	v_lshrrev_b32_e32 v9, 1, v87
	v_xor_b32_e32 v13, v13, v5
	v_xor_b32_e32 v8, v7, v5
	v_and_b32_e32 v9, 8, v9
	v_or_b32_e32 v13, v13, v6
	v_or_b32_e32 v8, v8, v6
	v_lshlrev_b32_e32 v12, 8, v88
	v_xor_b32_e32 v117, v13, v9
	v_or_b32_e32 v13, 64, v7
	v_or_b32_e32 v7, 0x60, v7
	v_xor_b32_e32 v115, v8, v9
	v_or_b32_e32 v8, v12, v23
	v_xor_b32_e32 v13, v13, v5
	v_xor_b32_e32 v5, v7, v5
	s_ashr_i32 s3, s2, 31
	v_lshlrev_b32_e32 v8, 1, v8
	v_or_b32_e32 v13, v13, v6
	v_or_b32_e32 v5, v5, v6
	s_lshl_b64 s[28:29], s[2:3], 8
	v_lshlrev_b32_e32 v17, 2, v0
	v_or_b32_e32 v116, 0x4000, v8
	v_or_b32_e32 v118, 0x4080, v8
	;; [unrolled: 1-line block ×4, first 2 shown]
	v_xor_b32_e32 v121, v13, v9
	v_xor_b32_e32 v122, v5, v9
	v_or_b32_e32 v123, 0x6000, v8
	v_or_b32_e32 v124, 0x6080, v8
	;; [unrolled: 1-line block ×4, first 2 shown]
	v_lshlrev_b32_e32 v5, 1, v3
	v_add_lshl_u32 v3, v3, s23, 1
	v_or_b32_e32 v13, 0x100, v2
	s_add_u32 s28, s4, s28
	v_lshlrev_b32_e32 v8, 1, v89
	v_lshrrev_b32_e32 v18, 1, v0
	v_and_or_b32 v12, v17, 60, v12
	v_lshrrev_b32_e32 v14, 4, v0
	s_addc_u32 s29, s5, s29
	v_or_b32_e32 v9, 1, v8
	v_and_b32_e32 v18, 24, v18
	v_lshlrev_b32_e32 v12, 1, v12
	v_cndmask_b32_e64 v133, v5, v2, s[0:1]
	v_cndmask_b32_e64 v134, v3, v13, s[0:1]
	v_mov_b32_e32 v3, 0xa000
	v_mov_b32_e32 v5, 0x8000
	v_cmp_gt_u32_e64 s[0:1], s25, v0
	v_xor_b32_e32 v15, v14, v8
	v_xor_b32_e32 v16, v9, v14
	v_lshl_add_u64 v[8:9], s[28:29], 0, v[78:79]
	v_lshlrev_b32_e32 v78, 8, v14
	v_or_b32_e32 v129, 0x6000, v12
	v_or_b32_e32 v17, 32, v18
	;; [unrolled: 1-line block ×6, first 2 shown]
	v_cndmask_b32_e64 v3, v3, v5, s[0:1]
	v_lshlrev_b32_e32 v5, 3, v77
	v_lshl_or_b32 v127, v15, 3, v78
	v_and_b32_e32 v15, 8, v0
	v_xor_b32_e32 v13, v5, v18
	v_xor_b32_e32 v17, v5, v17
	;; [unrolled: 1-line block ×3, first 2 shown]
	v_mov_b32_e32 v19, 0x400
	v_cmp_eq_u32_e32 vcc, 0, v15
	v_or_b32_e32 v18, 0x440, v13
	v_or_b32_e32 v20, 0x440, v17
	v_xor_b32_e32 v12, 0x440, v5
	v_and_b32_e32 v14, 7, v0
	v_cndmask_b32_e64 v15, v19, 64, vcc
	v_cndmask_b32_e32 v18, v18, v13, vcc
	v_cndmask_b32_e32 v17, v20, v17, vcc
	;; [unrolled: 1-line block ×3, first 2 shown]
	v_or_b32_e32 v6, s2, v89
	v_lshl_or_b32 v128, v16, 3, v78
	v_lshlrev_b32_e32 v16, 3, v14
	v_or_b32_e32 v18, v18, v11
	v_or_b32_e32 v17, v17, v11
	v_or3_b32 v13, v11, v15, v13
	v_or_b32_e32 v5, v5, v11
	v_ashrrev_i32_e32 v7, 31, v6
	v_lshlrev_b32_e32 v14, 7, v14
	v_xor_b32_e32 v18, v18, v16
	v_xor_b32_e32 v17, v17, v16
	;; [unrolled: 1-line block ×4, first 2 shown]
	v_or_b32_e32 v2, v86, v10
	v_add_u32_e32 v19, v3, v18
	v_add_u32_e32 v20, v3, v17
	v_or_b32_e32 v135, v13, v14
	v_add_u32_e32 v11, v3, v5
	v_or3_b32 v10, v86, v10, 64
	v_add_u32_e32 v12, 0xa000, v18
	v_add_u32_e32 v13, 0xa000, v17
	;; [unrolled: 1-line block ×3, first 2 shown]
	v_lshlrev_b64 v[6:7], 1, v[6:7]
	v_lshl_add_u64 v[80:81], s[16:17], 0, v[6:7]
	v_lshl_add_u64 v[82:83], s[6:7], 0, v[6:7]
	v_lshl_add_u64 v[84:85], v[8:9], 0, v[78:79]
	s_mov_b32 s3, 0x7060302
	v_lshlrev_b32_e32 v78, 1, v4
	s_movk_i32 s25, 0x2000
	v_lshlrev_b32_e32 v137, 2, v2
	v_add_u32_e32 v138, v19, v14
	v_add_u32_e32 v139, v20, v14
	;; [unrolled: 1-line block ×4, first 2 shown]
	v_lshlrev_b32_e32 v142, 2, v10
	v_add_u32_e32 v143, v12, v14
	v_add_u32_e32 v144, v13, v14
	;; [unrolled: 1-line block ×3, first 2 shown]
	v_mov_b32_e32 v8, v79
	v_mov_b32_e32 v9, v79
	;; [unrolled: 1-line block ×31, first 2 shown]
	s_waitcnt lgkmcnt(0)
	s_barrier
.LBB213_6:                              ; =>This Inner Loop Header: Depth=1
	s_add_i32 s67, s66, 1
	s_cmp_lt_i32 s67, s53
	s_mov_b64 s[36:37], 0
	s_cselect_b64 s[46:47], -1, 0
	s_cmp_ge_i32 s67, s53
	s_mov_b64 s[28:29], 0
	s_cbranch_scc1 .LBB213_8
; %bb.7:                                ;   in Loop: Header=BB213_6 Depth=1
	s_add_i32 s0, s59, 64
	s_ashr_i32 s1, s0, 31
	s_add_u32 s0, s57, s0
	s_addc_u32 s1, s55, s1
	s_lshl_b64 s[0:1], s[0:1], 8
	s_add_u32 s28, s14, s0
	s_addc_u32 s29, s15, s1
.LBB213_8:                              ;   in Loop: Header=BB213_6 Depth=1
	v_cndmask_b32_e64 v34, 0, 1, s[46:47]
	v_cmp_ne_u32_e64 s[0:1], 1, v34
	s_andn2_b64 vcc, exec, s[46:47]
	s_cbranch_vccnz .LBB213_10
; %bb.9:                                ;   in Loop: Header=BB213_6 Depth=1
	s_add_i32 s36, s59, 64
	s_mul_hi_i32 s37, s36, s22
	s_mul_i32 s36, s36, s22
	s_add_u32 s36, s36, s56
	s_addc_u32 s37, s37, s61
	s_lshl_b64 s[36:37], s[36:37], 8
	s_add_u32 s36, s12, s36
	s_addc_u32 s37, s13, s37
.LBB213_10:                             ;   in Loop: Header=BB213_6 Depth=1
	v_perm_b32 v35, v33, v32, s3
	v_perm_b32 v34, v31, v30, s3
	v_perm_b32 v37, v21, v20, s3
	v_perm_b32 v36, v19, v18, s3
	ds_write_b64 v99, v[34:35]
	ds_write_b64 v100, v[36:37]
	ds_write_b64 v105, v[34:35]
	ds_write_b64 v106, v[36:37]
	v_perm_b32 v35, v29, v28, s3
	v_perm_b32 v34, v27, v26, s3
	v_perm_b32 v37, v17, v16, s3
	v_perm_b32 v36, v15, v14, s3
	ds_write_b64 v101, v[34:35]
	ds_write_b64 v102, v[36:37]
	ds_write_b64 v107, v[34:35]
	ds_write_b64 v108, v[36:37]
	;; [unrolled: 8-line block ×4, first 2 shown]
	s_waitcnt lgkmcnt(0)
	s_barrier
	ds_read_b64 v[38:39], v115 offset:49152
	ds_read2_b64 v[34:37], v116 offset1:16
	ds_read_b64 v[50:51], v118 offset:6144
	ds_read_b64 v[52:53], v116 offset:6144
	s_waitcnt lgkmcnt(2)
	v_mfma_f32_16x16x16_bf16 a[0:3], v[38:39], v[34:35], 0
	ds_read_b64 v[54:55], v117 offset:49152
	ds_read2st64_b64 v[42:45], v119 offset0:4 offset1:8
	ds_read2st64_b64 v[46:49], v120 offset0:4 offset1:8
	v_mfma_f32_16x16x16_bf16 a[4:7], v[38:39], v[36:37], 0
	ds_read2_b64 v[34:37], v116 offset0:32 offset1:48
	s_add_i32 s68, s59, 63
	s_ashr_i32 s39, s68, 31
	s_waitcnt lgkmcnt(0)
	v_mfma_f32_16x16x16_bf16 a[8:11], v[38:39], v[34:35], 0
	s_mul_i32 s46, s68, s11
	s_mul_hi_u32 s47, s68, s10
	s_add_i32 s46, s47, s46
	v_mfma_f32_16x16x16_bf16 a[12:15], v[38:39], v[36:37], 0
	ds_read2st64_b64 v[34:37], v116 offset0:4 offset1:8
	ds_read2st64_b64 v[38:41], v118 offset0:4 offset1:8
	s_mul_i32 s39, s39, s10
	s_waitcnt lgkmcnt(1)
	v_mfma_f32_16x16x16_bf16 a[0:3], v[54:55], v[34:35], a[0:3]
	s_add_i32 s47, s46, s39
	s_mul_i32 s46, s68, s10
	s_lshl_b64 s[46:47], s[46:47], 2
	s_waitcnt lgkmcnt(0)
	v_mfma_f32_16x16x16_bf16 a[4:7], v[54:55], v[38:39], a[4:7]
	s_add_u32 s46, s44, s46
	s_addc_u32 s47, s45, s47
	s_and_b64 vcc, exec, s[0:1]
	v_mfma_f32_16x16x16_bf16 a[8:11], v[54:55], v[42:43], a[8:11]
	ds_read_b64 v[34:35], v121 offset:49152
	ds_read_b64 v[38:39], v122 offset:49152
	;; [unrolled: 1-line block ×3, first 2 shown]
	v_mov_b32_e32 v149, 0
	v_mov_b32_e32 v148, 0
	v_mfma_f32_16x16x16_bf16 a[12:15], v[54:55], v[46:47], a[12:15]
	v_mov_b32_e32 v147, 0
	v_mov_b32_e32 v46, 0
	;; [unrolled: 1-line block ×3, first 2 shown]
	s_waitcnt lgkmcnt(2)
	v_mfma_f32_16x16x16_bf16 a[0:3], v[34:35], v[36:37], a[0:3]
	v_mov_b32_e32 v36, 0
	v_mov_b32_e32 v37, 0
	v_mfma_f32_16x16x16_bf16 a[4:7], v[34:35], v[40:41], a[4:7]
	v_mov_b32_e32 v40, 0
	v_mov_b32_e32 v41, 0
	;; [unrolled: 3-line block ×3, first 2 shown]
	v_mfma_f32_16x16x16_bf16 a[12:15], v[34:35], v[48:49], a[12:15]
	ds_read_b64 v[34:35], v119 offset:6144
	v_mov_b32_e32 v48, 0
	v_mov_b32_e32 v49, 0
	s_waitcnt lgkmcnt(2)
	v_mfma_f32_16x16x16_bf16 a[0:3], v[38:39], v[52:53], a[0:3]
	v_mfma_f32_16x16x16_bf16 a[4:7], v[38:39], v[50:51], a[4:7]
	s_waitcnt lgkmcnt(0)
	v_mfma_f32_16x16x16_bf16 a[8:11], v[38:39], v[34:35], a[8:11]
	v_mov_b32_e32 v34, 0
	v_mov_b32_e32 v35, 0
	v_mfma_f32_16x16x16_bf16 a[12:15], v[38:39], v[42:43], a[12:15]
	v_mov_b32_e32 v38, 0
	v_mov_b32_e32 v39, 0
	;; [unrolled: 1-line block ×4, first 2 shown]
	s_cbranch_vccnz .LBB213_12
; %bb.11:                               ;   in Loop: Header=BB213_6 Depth=1
	s_and_b32 s29, s29, 0xffff
	buffer_load_dwordx4 v[46:49], v95, s[28:31], 0 offen
	buffer_load_dwordx4 v[42:45], v95, s[28:31], s62 offen
	;; [unrolled: 1-line block ×4, first 2 shown]
	v_mov_b32_e32 v148, v97
	v_mov_b32_e32 v147, v98
.LBB213_12:                             ;   in Loop: Header=BB213_6 Depth=1
	ds_read_b64 v[70:71], v115 offset:57344
	ds_read2_b64 v[50:53], v123 offset1:16
	ds_read_b64 v[72:73], v117 offset:57344
	ds_read_b64 v[74:75], v121 offset:57344
	;; [unrolled: 1-line block ×3, first 2 shown]
	s_waitcnt lgkmcnt(3)
	v_mfma_f32_16x16x16_bf16 a[0:3], v[70:71], v[50:51], a[0:3]
	v_mfma_f32_16x16x16_bf16 a[4:7], v[70:71], v[52:53], a[4:7]
	ds_read2_b64 v[50:53], v123 offset0:32 offset1:48
	ds_read2st64_b64 v[54:57], v123 offset0:4 offset1:8
	ds_read2st64_b64 v[58:61], v124 offset0:4 offset1:8
	;; [unrolled: 1-line block ×4, first 2 shown]
	s_waitcnt lgkmcnt(4)
	v_mfma_f32_16x16x16_bf16 a[8:11], v[70:71], v[50:51], a[8:11]
	v_mfma_f32_16x16x16_bf16 a[12:15], v[70:71], v[52:53], a[12:15]
	v_add_u32_e32 v70, s59, v136
	v_ashrrev_i32_e32 v50, 31, v70
	v_mul_lo_u32 v52, v50, s10
	v_mul_lo_u32 v53, v70, s11
	v_mad_u64_u32 v[50:51], s[28:29], v70, s10, 0
	v_add3_u32 v51, v51, v53, v52
	v_add_u32_e32 v52, 1, v70
	v_ashrrev_i32_e32 v53, 31, v52
	s_waitcnt lgkmcnt(3)
	v_mfma_f32_16x16x16_bf16 a[0:3], v[72:73], v[54:55], a[0:3]
	v_mul_lo_u32 v54, v53, s10
	v_mul_lo_u32 v55, v52, s11
	v_mad_u64_u32 v[52:53], s[28:29], v52, s10, 0
	v_add3_u32 v53, v53, v55, v54
	v_add_u32_e32 v54, 2, v70
	v_ashrrev_i32_e32 v55, 31, v54
	s_waitcnt lgkmcnt(2)
	v_mfma_f32_16x16x16_bf16 a[4:7], v[72:73], v[58:59], a[4:7]
	v_mul_lo_u32 v58, v55, s10
	v_mul_lo_u32 v59, v54, s11
	v_mad_u64_u32 v[54:55], s[28:29], v54, s10, 0
	v_lshl_add_u64 v[50:51], v[50:51], 2, s[44:45]
	v_lshl_add_u64 v[52:53], v[52:53], 2, s[44:45]
	v_add3_u32 v55, v55, v59, v58
	v_add_u32_e32 v58, 3, v70
	s_waitcnt lgkmcnt(1)
	v_mfma_f32_16x16x16_bf16 a[8:11], v[72:73], v[62:63], a[8:11]
	global_load_dword v63, v[50:51], off
	v_ashrrev_i32_e32 v59, 31, v58
	v_mul_lo_u32 v59, v59, s10
	s_waitcnt lgkmcnt(0)
	v_mfma_f32_16x16x16_bf16 a[12:15], v[72:73], v[66:67], a[12:15]
	global_load_dword v66, v[52:53], off
	v_mad_u64_u32 v[50:51], s[28:29], v58, s10, 0
	s_ashr_i32 s29, s59, 31
	v_mul_lo_u32 v62, v58, s11
	s_add_u32 s28, s57, s59
	v_lshl_add_u64 v[54:55], v[54:55], 2, s[44:45]
	v_add3_u32 v51, v51, v62, v59
	s_addc_u32 s29, s55, s29
	v_lshl_add_u64 v[50:51], v[50:51], 2, s[44:45]
	global_load_dword v62, v[54:55], off
	global_load_dword v67, v[50:51], off
	s_lshl_b64 s[28:29], s[28:29], 8
	v_lshl_add_u64 v[50:51], v[80:81], 0, s[28:29]
	v_lshl_add_u64 v[50:51], v[50:51], 0, v[78:79]
	global_load_ushort v70, v[50:51], off offset:256
	global_load_ushort v71, v[50:51], off
	global_load_ushort v72, v[50:51], off offset:768
	global_load_ushort v73, v[50:51], off offset:512
	;; [unrolled: 1-line block ×6, first 2 shown]
	s_load_dword s46, s[46:47], 0x0
	v_mfma_f32_16x16x16_bf16 a[12:15], v[74:75], v[68:69], a[12:15]
	global_load_ushort v68, v[50:51], off offset:320
	global_load_ushort v69, v[50:51], off offset:64
	s_and_b64 vcc, exec, s[0:1]
	v_mfma_f32_16x16x16_bf16 a[0:3], v[74:75], v[56:57], a[0:3]
	ds_read_b64 v[52:53], v123 offset:6144
	ds_read_b64 v[54:55], v124 offset:6144
	;; [unrolled: 1-line block ×4, first 2 shown]
	v_mfma_f32_16x16x16_bf16 a[4:7], v[74:75], v[60:61], a[4:7]
	s_waitcnt vmcnt(11) lgkmcnt(0)
	v_sub_f32_e32 v60, s46, v62
	v_mfma_f32_16x16x16_bf16 a[8:11], v[74:75], v[64:65], a[8:11]
	global_load_ushort v74, v[50:51], off offset:832
	global_load_ushort v75, v[50:51], off offset:576
	;; [unrolled: 1-line block ×6, first 2 shown]
	v_mfma_f32_16x16x16_bf16 a[0:3], v[150:151], v[52:53], a[0:3]
	s_waitcnt vmcnt(16)
	v_sub_f32_e32 v61, s46, v67
	v_mul_f32_e32 v60, 0x3fb8aa3b, v60
	v_mul_f32_e32 v61, 0x3fb8aa3b, v61
	v_exp_f32_e32 v60, v60
	v_exp_f32_e32 v61, v61
	s_waitcnt vmcnt(15)
	v_lshlrev_b32_e32 v65, 16, v70
	s_waitcnt vmcnt(14)
	v_lshlrev_b32_e32 v64, 16, v71
	v_accvgpr_read_b32 v53, a3
	v_accvgpr_read_b32 v52, a2
	v_mfma_f32_16x16x16_bf16 a[2:5], v[150:151], v[54:55], a[4:7]
	v_mfma_f32_16x16x16_bf16 a[6:9], v[150:151], v[56:57], a[8:11]
	s_nop 5
	v_accvgpr_read_b32 v55, a5
	v_accvgpr_read_b32 v54, a4
	;; [unrolled: 1-line block ×4, first 2 shown]
	v_mfma_f32_16x16x16_bf16 a[8:11], v[150:151], v[58:59], a[12:15]
	v_sub_f32_e32 v58, s46, v63
	v_sub_f32_e32 v59, s46, v66
	v_mul_f32_e32 v58, 0x3fb8aa3b, v58
	v_mul_f32_e32 v59, 0x3fb8aa3b, v59
	v_exp_f32_e32 v58, v58
	v_exp_f32_e32 v59, v59
	v_accvgpr_read_b32 v67, a1
	v_accvgpr_read_b32 v66, a0
	v_lshl_add_u64 v[62:63], v[82:83], 0, s[28:29]
	v_pk_add_f32 v[64:65], v[64:65], v[66:67] neg_lo:[0,1] neg_hi:[0,1]
	s_waitcnt vmcnt(13)
	v_lshlrev_b32_e32 v67, 16, v72
	s_waitcnt vmcnt(12)
	v_lshlrev_b32_e32 v66, 16, v73
	v_lshl_add_u64 v[62:63], v[62:63], 0, v[78:79]
	v_pk_add_f32 v[52:53], v[66:67], v[52:53] neg_lo:[0,1] neg_hi:[0,1]
	global_store_short_d16_hi v[62:63], v64, off
	global_store_short_d16_hi v[62:63], v65, off offset:256
	global_store_short_d16_hi v[62:63], v52, off offset:512
	;; [unrolled: 1-line block ×3, first 2 shown]
	v_pk_mul_f32 v[64:65], v[58:59], v[64:65]
	v_pk_mul_f32 v[52:53], v[60:61], v[52:53]
	v_accvgpr_read_b32 v67, a3
	v_perm_b32 v53, v53, v52, s3
	v_perm_b32 v52, v65, v64, s3
	s_waitcnt vmcnt(15)
	v_lshlrev_b32_e32 v65, 16, v76
	s_waitcnt vmcnt(14)
	v_lshlrev_b32_e32 v64, 16, v152
	v_accvgpr_read_b32 v66, a2
	v_pk_add_f32 v[64:65], v[64:65], v[66:67] neg_lo:[0,1] neg_hi:[0,1]
	s_waitcnt vmcnt(13)
	v_lshlrev_b32_e32 v67, 16, v153
	s_waitcnt vmcnt(12)
	v_lshlrev_b32_e32 v66, 16, v154
	v_pk_add_f32 v[54:55], v[66:67], v[54:55] neg_lo:[0,1] neg_hi:[0,1]
	global_store_short_d16_hi v[62:63], v64, off offset:32
	global_store_short_d16_hi v[62:63], v65, off offset:288
	global_store_short_d16_hi v[62:63], v54, off offset:544
	global_store_short_d16_hi v[62:63], v55, off offset:800
	v_pk_mul_f32 v[64:65], v[58:59], v[64:65]
	v_pk_mul_f32 v[54:55], v[60:61], v[54:55]
	v_accvgpr_read_b32 v57, a11
	v_perm_b32 v55, v55, v54, s3
	v_perm_b32 v54, v65, v64, s3
	ds_write2_b64 v100, v[52:53], v[54:55] offset1:16
	v_accvgpr_read_b32 v55, a7
	s_waitcnt vmcnt(15)
	v_lshlrev_b32_e32 v53, 16, v68
	s_waitcnt vmcnt(14)
	v_lshlrev_b32_e32 v52, 16, v69
	v_accvgpr_read_b32 v54, a6
	v_pk_add_f32 v[52:53], v[52:53], v[54:55] neg_lo:[0,1] neg_hi:[0,1]
	global_store_short_d16_hi v[62:63], v52, off offset:64
	global_store_short_d16_hi v[62:63], v53, off offset:320
	v_pk_mul_f32 v[52:53], v[58:59], v[52:53]
	v_accvgpr_read_b32 v56, a10
	v_perm_b32 v52, v53, v52, s3
	v_mov_b32_e32 v150, 0
	v_mov_b32_e32 v64, 0
	;; [unrolled: 1-line block ×3, first 2 shown]
	s_waitcnt vmcnt(15)
	v_lshlrev_b32_e32 v55, 16, v74
	s_waitcnt vmcnt(14)
	v_lshlrev_b32_e32 v54, 16, v75
	v_pk_add_f32 v[50:51], v[54:55], v[50:51] neg_lo:[0,1] neg_hi:[0,1]
	global_store_short_d16_hi v[62:63], v50, off offset:576
	global_store_short_d16_hi v[62:63], v51, off offset:832
	v_pk_mul_f32 v[50:51], v[60:61], v[50:51]
	v_accvgpr_read_b32 v55, a9
	v_perm_b32 v53, v51, v50, s3
	s_waitcnt vmcnt(15)
	v_lshlrev_b32_e32 v51, 16, v155
	s_waitcnt vmcnt(14)
	v_lshlrev_b32_e32 v50, 16, v156
	v_accvgpr_read_b32 v54, a8
	v_pk_add_f32 v[50:51], v[50:51], v[54:55] neg_lo:[0,1] neg_hi:[0,1]
	s_waitcnt vmcnt(13)
	v_lshlrev_b32_e32 v55, 16, v157
	s_waitcnt vmcnt(12)
	v_lshlrev_b32_e32 v54, 16, v158
	v_pk_add_f32 v[54:55], v[54:55], v[56:57] neg_lo:[0,1] neg_hi:[0,1]
	global_store_short_d16_hi v[62:63], v50, off offset:96
	global_store_short_d16_hi v[62:63], v51, off offset:352
	;; [unrolled: 1-line block ×4, first 2 shown]
	v_pk_mul_f32 v[50:51], v[58:59], v[50:51]
	v_pk_mul_f32 v[54:55], v[60:61], v[54:55]
	v_mov_b32_e32 v56, 0
	v_perm_b32 v55, v55, v54, s3
	v_perm_b32 v54, v51, v50, s3
	ds_write2_b64 v100, v[52:53], v[54:55] offset0:32 offset1:48
	v_mov_b32_e32 v50, 0
	v_mov_b32_e32 v51, 0
	;; [unrolled: 1-line block ×13, first 2 shown]
	s_cbranch_vccnz .LBB213_14
; %bb.13:                               ;   in Loop: Header=BB213_6 Depth=1
	s_and_b32 s37, s37, 0xffff
	s_mov_b32 s39, s31
	buffer_load_dwordx4 v[62:65], v133, s[36:39], 0 offen
	buffer_load_dwordx4 v[54:57], v133, s[36:39], s62 offen
	;; [unrolled: 1-line block ×4, first 2 shown]
	v_mov_b32_e32 v149, v94
	v_mov_b32_e32 v150, v93
.LBB213_14:                             ;   in Loop: Header=BB213_6 Depth=1
	s_waitcnt lgkmcnt(0)
	s_barrier
	ds_read_b64 v[74:75], v138
	ds_read2_b64 v[66:69], v129 offset1:16
	ds_read_b64 v[168:169], v139
	ds_read_b64 v[170:171], v140
	;; [unrolled: 1-line block ×3, first 2 shown]
	ds_read2_b64 v[70:73], v129 offset0:32 offset1:48
	ds_read2st64_b64 v[152:155], v129 offset0:4 offset1:8
	ds_read2st64_b64 v[156:159], v130 offset0:4 offset1:8
	;; [unrolled: 1-line block ×4, first 2 shown]
	s_waitcnt lgkmcnt(8)
	v_mfma_f32_16x16x16_bf16 a[0:3], v[74:75], v[66:67], 0
	s_add_i32 s28, s54, s66
	s_mul_hi_i32 s29, s28, s33
	s_mul_i32 s28, s28, s33
	v_mfma_f32_16x16x16_bf16 a[4:7], v[74:75], v[68:69], 0
	s_add_u32 s28, s28, s49
	s_addc_u32 s29, s29, s60
	s_lshl_b64 s[28:29], s[28:29], 15
	s_waitcnt lgkmcnt(4)
	v_mfma_f32_16x16x16_bf16 a[8:11], v[74:75], v[70:71], 0
	s_mul_i32 s36, s68, s33
	s_mul_hi_i32 s37, s68, s33
	s_add_u32 s36, s36, s49
	v_mfma_f32_16x16x16_bf16 a[12:15], v[74:75], v[72:73], 0
	ds_read_b64 v[74:75], v129 offset:6144
	ds_read_b64 v[180:181], v130 offset:6144
	;; [unrolled: 1-line block ×4, first 2 shown]
	s_addc_u32 s37, s37, s60
	s_waitcnt lgkmcnt(7)
	v_mfma_f32_16x16x16_bf16 a[0:3], v[168:169], v[152:153], a[0:3]
	s_lshl_b64 s[36:37], s[36:37], 9
	s_add_u32 s36, s40, s36
	s_addc_u32 s37, s41, s37
	s_waitcnt lgkmcnt(6)
	v_mfma_f32_16x16x16_bf16 a[4:7], v[168:169], v[156:157], a[4:7]
	v_lshl_add_u64 v[190:191], v[84:85], 0, s[28:29]
	s_waitcnt lgkmcnt(5)
	v_mfma_f32_16x16x16_bf16 a[8:11], v[168:169], v[160:161], a[8:11]
	s_waitcnt lgkmcnt(4)
	v_mfma_f32_16x16x16_bf16 a[12:15], v[168:169], v[164:165], a[12:15]
	ds_read_b64 v[168:169], v143
	ds_read_b64 v[178:179], v144
	;; [unrolled: 1-line block ×3, first 2 shown]
	s_waitcnt lgkmcnt(2)
	v_mfma_f32_16x16x16_bf16 a[16:19], v[168:169], v[66:67], 0
	v_mfma_f32_16x16x16_bf16 a[20:23], v[168:169], v[68:69], 0
	global_load_dwordx4 v[66:69], v142, s[36:37]
	v_mfma_f32_16x16x16_bf16 a[24:27], v[168:169], v[70:71], 0
	v_mfma_f32_16x16x16_bf16 a[28:31], v[168:169], v[72:73], 0
	global_load_dwordx4 v[70:73], v137, s[36:37]
	v_mfma_f32_16x16x16_bf16 a[0:3], v[170:171], v[154:155], a[0:3]
	v_mfma_f32_16x16x16_bf16 a[4:7], v[170:171], v[158:159], a[4:7]
	;; [unrolled: 1-line block ×8, first 2 shown]
	ds_read2st64_b64 v[168:171], v127 offset1:8
	ds_read2st64_b64 v[172:175], v128 offset1:8
	ds_read_b64 v[188:189], v135 offset:40960
	s_waitcnt lgkmcnt(2)
	v_mov_b32_e32 v176, v168
	v_mfma_f32_16x16x16_bf16 a[16:19], v[178:179], v[152:153], a[16:19]
	v_mov_b32_e32 v177, v169
	v_mfma_f32_16x16x16_bf16 a[20:23], v[178:179], v[156:157], a[20:23]
	v_mfma_f32_16x16x16_bf16 a[24:27], v[178:179], v[160:161], a[24:27]
	;; [unrolled: 1-line block ×3, first 2 shown]
	v_add_co_u32_e32 v164, vcc, s25, v190
	s_waitcnt lgkmcnt(1)
	v_mov_b32_e32 v178, v172
	s_waitcnt lgkmcnt(0)
	v_mfma_f32_16x16x16_bf16 a[16:19], v[188:189], v[154:155], a[16:19]
	ds_read2st64_b64 v[152:155], v127 offset0:16 offset1:24
	v_addc_co_u32_e32 v165, vcc, 0, v191, vcc
	v_mfma_f32_16x16x16_bf16 a[20:23], v[188:189], v[158:159], a[20:23]
	ds_read2st64_b64 v[156:159], v128 offset0:16 offset1:24
	v_mov_b32_e32 v179, v173
	v_mov_b32_e32 v172, v170
	v_mfma_f32_16x16x16_bf16 a[32:35], v[188:189], v[162:163], a[24:27]
	v_mov_b32_e32 v173, v171
	s_waitcnt lgkmcnt(0)
	v_mov_b32_e32 v162, v156
	v_mov_b32_e32 v163, v157
	v_mfma_f32_16x16x16_bf16 a[36:39], v[188:189], v[166:167], a[28:31]
	v_mov_b32_e32 v156, v154
	v_mov_b32_e32 v157, v155
	;; [unrolled: 1-line block ×3, first 2 shown]
	v_mfma_f32_16x16x16_bf16 a[24:27], v[186:187], v[74:75], a[16:19]
	v_add_co_u32_e32 v74, vcc, s65, v190
	v_mov_b32_e32 v161, v153
	v_mfma_f32_16x16x16_bf16 a[28:31], v[186:187], v[180:181], a[20:23]
	v_addc_co_u32_e32 v75, vcc, 0, v191, vcc
	global_store_dwordx4 v[74:75], v[156:159], off
	v_mfma_f32_16x16x16_bf16 a[16:19], v[186:187], v[182:183], a[32:35]
	s_waitcnt vmcnt(2)
	v_mov_b32_e32 v76, v69
	v_mov_b32_e32 v75, v68
	v_mov_b32_e32 v74, v67
	v_mfma_f32_16x16x16_bf16 a[20:23], v[186:187], v[184:185], a[36:39]
	s_and_b64 vcc, exec, s[0:1]
	global_store_dwordx4 v[190:191], v[176:179], off
	global_store_dwordx4 v[164:165], v[172:175], off offset:-4096
	global_store_dwordx4 v[164:165], v[160:163], off
	s_cbranch_vccnz .LBB213_16
; %bb.15:                               ;   in Loop: Header=BB213_6 Depth=1
	v_lshrrev_b32_e32 v67, 3, v149
	v_and_b32_e32 v67, 6, v67
	v_xor_b32_e32 v68, v67, v150
	v_lshlrev_b32_e32 v68, 2, v68
	v_and_b32_e32 v69, 8, v149
	v_xor_b32_e32 v149, 0x440, v68
	v_cmp_eq_u32_e32 vcc, 0, v69
	v_perm_b32 v69, v54, v50, s63
	s_nop 0
	v_cndmask_b32_e32 v68, v149, v68, vcc
	v_lshl_or_b32 v67, v67, 10, v68
	v_perm_b32 v68, v62, v58, s63
	s_barrier
	ds_write2st64_b32 v67, v68, v69 offset0:128 offset1:160
	v_xor_b32_e32 v68, 8, v67
	v_perm_b32 v58, v62, v58, s64
	v_perm_b32 v50, v54, v50, s64
	v_add_u32_e32 v54, 0x80, v68
	ds_write2st64_b32 v54, v58, v50 offset0:128 offset1:160
	v_xor_b32_e32 v50, 16, v67
	v_perm_b32 v54, v63, v59, s63
	v_perm_b32 v58, v55, v51, s63
	ds_write2st64_b32 v50, v54, v58 offset0:129 offset1:161
	v_xor_b32_e32 v50, 24, v67
	v_perm_b32 v54, v63, v59, s64
	v_perm_b32 v51, v55, v51, s64
	v_add_u32_e32 v50, 0x80, v50
	ds_write2st64_b32 v50, v54, v51 offset0:129 offset1:161
	v_xor_b32_e32 v50, 32, v67
	v_perm_b32 v51, v64, v60, s63
	v_perm_b32 v54, v56, v52, s63
	;; [unrolled: 9-line block ×3, first 2 shown]
	ds_write2st64_b32 v50, v51, v52 offset0:131 offset1:163
	v_xor_b32_e32 v50, 56, v67
	v_perm_b32 v51, v65, v61, s64
	v_perm_b32 v52, v57, v53, s64
	v_add_u32_e32 v50, 0x80, v50
	ds_write2st64_b32 v50, v51, v52 offset0:131 offset1:163
	ds_write_b64 v148, v[46:47] offset:49152
	v_xor_b32_e32 v46, 8, v148
	ds_write_b64 v46, v[48:49] offset:49152
	ds_write_b64 v148, v[42:43] offset:57344
	;; [unrolled: 1-line block ×4, first 2 shown]
	v_xor_b32_e32 v38, 8, v147
	ds_write_b64 v38, v[40:41] offset:49152
	ds_write_b64 v147, v[34:35] offset:57344
	;; [unrolled: 1-line block ×3, first 2 shown]
.LBB213_16:                             ;   in Loop: Header=BB213_6 Depth=1
	v_mul_f32_e32 v58, s46, v146
	v_exp_f32_e32 v68, v58
	s_waitcnt vmcnt(4)
	v_mul_f32_e32 v58, 0x3fb8aa3b, v70
	v_exp_f32_e32 v70, v58
	v_mul_f32_e32 v58, 0x3fb8aa3b, v71
	v_exp_f32_e32 v71, v58
	;; [unrolled: 2-line block ×4, first 2 shown]
	v_accvgpr_read_b32 v37, a3
	v_accvgpr_read_b32 v36, a2
	;; [unrolled: 1-line block ×4, first 2 shown]
	v_pk_mul_f32 v[70:71], v[68:69], v[70:71] op_sel_hi:[0,1]
	v_pk_mul_f32 v[72:73], v[68:69], v[72:73] op_sel_hi:[0,1]
	v_pk_fma_f32 v[30:31], v[30:31], v[70:71], v[34:35]
	v_pk_fma_f32 v[32:33], v[32:33], v[72:73], v[36:37]
	v_mul_f32_e32 v34, 0x3fb8aa3b, v66
	v_mul_f32_e32 v35, 0x3fb8aa3b, v74
	;; [unrolled: 1-line block ×4, first 2 shown]
	v_exp_f32_e32 v34, v34
	v_exp_f32_e32 v35, v35
	;; [unrolled: 1-line block ×4, first 2 shown]
	v_accvgpr_read_b32 v41, a7
	v_accvgpr_read_b32 v45, a11
	;; [unrolled: 1-line block ×28, first 2 shown]
	v_pk_mul_f32 v[34:35], v[68:69], v[34:35] op_sel_hi:[0,1]
	v_pk_mul_f32 v[36:37], v[68:69], v[36:37] op_sel_hi:[0,1]
	s_add_i32 s59, s59, 64
	v_pk_fma_f32 v[26:27], v[70:71], v[26:27], v[38:39]
	v_pk_fma_f32 v[28:29], v[72:73], v[28:29], v[40:41]
	v_pk_fma_f32 v[22:23], v[70:71], v[22:23], v[42:43]
	v_pk_fma_f32 v[24:25], v[72:73], v[24:25], v[44:45]
	v_pk_fma_f32 v[2:3], v[70:71], v[2:3], v[46:47]
	v_pk_fma_f32 v[4:5], v[72:73], v[4:5], v[48:49]
	v_pk_fma_f32 v[18:19], v[18:19], v[34:35], v[50:51]
	v_pk_fma_f32 v[20:21], v[20:21], v[36:37], v[52:53]
	v_pk_fma_f32 v[14:15], v[34:35], v[14:15], v[54:55]
	v_pk_fma_f32 v[16:17], v[36:37], v[16:17], v[56:57]
	v_pk_fma_f32 v[10:11], v[34:35], v[10:11], v[58:59]
	v_pk_fma_f32 v[12:13], v[36:37], v[12:13], v[60:61]
	v_pk_fma_f32 v[6:7], v[34:35], v[6:7], v[62:63]
	s_cmp_eq_u32 s53, s67
	v_pk_fma_f32 v[8:9], v[36:37], v[8:9], v[64:65]
	s_cbranch_scc1 .LBB213_18
; %bb.17:                               ;   in Loop: Header=BB213_6 Depth=1
	s_mov_b32 s66, s67
	s_branch .LBB213_6
.LBB213_18:
	s_lshl_b32 s3, s53, 6
	s_sub_i32 s58, s58, s3
	s_cmp_gt_i32 s58, 0
	v_or_b32_e32 v50, s2, v89
	s_cbranch_scc1 .LBB213_20
; %bb.19:
	s_ashr_i32 s37, s49, 31
	v_or_b32_e32 v34, s2, v89
	s_cbranch_execz .LBB213_21
	s_branch .LBB213_101
.LBB213_20:
                                        ; implicit-def: $vgpr34
                                        ; implicit-def: $sgpr36_sgpr37
.LBB213_21:
	s_add_i32 s36, s3, s42
	s_ashr_i32 s3, s36, 31
	s_cmpk_lg_i32 s23, 0x80
	s_cselect_b64 s[44:45], -1, 0
	s_and_b64 vcc, exec, s[44:45]
	s_cbranch_vccz .LBB213_23
; %bb.22:
	s_mul_hi_i32 s0, s36, s22
	s_mul_i32 s1, s36, s22
	s_ashr_i32 s22, s56, 31
	s_add_u32 s46, s1, s56
	s_addc_u32 s47, s0, s22
	s_cbranch_execz .LBB213_24
	s_branch .LBB213_25
.LBB213_23:
                                        ; implicit-def: $sgpr46_sgpr47
.LBB213_24:
	s_mul_i32 s1, s56, s20
	s_mul_hi_i32 s0, s56, s20
	s_add_u32 s46, s1, s36
	s_addc_u32 s47, s0, s3
.LBB213_25:
	s_add_i32 s20, s53, s54
	s_ashr_i32 s37, s49, 31
	s_add_u32 s0, s57, s36
	v_lshlrev_b32_e32 v38, 6, v1
	v_lshlrev_b32_e32 v59, 2, v89
	s_addc_u32 s1, s55, s3
	s_mov_b32 s3, 0x7060302
	v_or_b32_e32 v41, v38, v59
	v_xor_b32_e32 v39, v1, v59
	v_perm_b32 v35, v33, v32, s3
	v_perm_b32 v34, v31, v30, s3
	;; [unrolled: 1-line block ×4, first 2 shown]
	v_lshlrev_b32_e32 v41, 1, v41
	v_xor_b32_e32 v40, v92, v59
	ds_write2st64_b64 v41, v[34:35], v[36:37] offset0:32 offset1:48
	v_lshlrev_b32_e32 v39, 1, v39
	v_lshlrev_b32_e32 v41, 8, v89
	v_or_b32_e32 v42, v39, v41
	v_lshlrev_b32_e32 v40, 1, v40
	ds_write_b64 v42, v[34:35]
	v_or_b32_e32 v34, v40, v41
	v_or_b32_e32 v41, 16, v89
	v_lshlrev_b32_e32 v57, 2, v41
	v_or_b32_e32 v42, v38, v57
	ds_write_b64 v34, v[36:37]
	v_perm_b32 v35, v29, v28, s3
	v_perm_b32 v34, v27, v26, s3
	;; [unrolled: 1-line block ×4, first 2 shown]
	v_lshlrev_b32_e32 v42, 1, v42
	v_lshlrev_b32_e32 v41, 8, v41
	ds_write2st64_b64 v42, v[34:35], v[36:37] offset0:32 offset1:48
	v_or_b32_e32 v42, v39, v41
	ds_write_b64 v42, v[34:35]
	v_or_b32_e32 v34, v40, v41
	v_or_b32_e32 v41, 32, v89
	v_lshlrev_b32_e32 v56, 2, v41
	v_or_b32_e32 v42, v38, v56
	ds_write_b64 v34, v[36:37]
	v_perm_b32 v35, v25, v24, s3
	v_perm_b32 v34, v23, v22, s3
	;; [unrolled: 1-line block ×4, first 2 shown]
	v_lshlrev_b32_e32 v42, 1, v42
	v_lshlrev_b32_e32 v41, 8, v41
	s_lshl_b64 s[38:39], s[0:1], 8
	ds_write2st64_b64 v42, v[34:35], v[36:37] offset0:32 offset1:48
	v_or_b32_e32 v42, v39, v41
	s_add_u32 s0, s14, s38
	ds_write_b64 v42, v[34:35]
	v_or_b32_e32 v34, v40, v41
	s_addc_u32 s1, s15, s39
	ds_write_b64 v34, v[36:37]
	v_perm_b32 v35, v5, v4, s3
	v_perm_b32 v34, v3, v2, s3
	;; [unrolled: 1-line block ×4, first 2 shown]
	v_or_b32_e32 v41, 48, v89
	s_mul_hi_i32 s3, s20, s21
	s_mul_i32 s20, s20, s21
	v_lshlrev_b32_e32 v53, 2, v41
	s_add_u32 s14, s20, s49
	v_or_b32_e32 v38, v38, v53
	s_addc_u32 s15, s3, s37
	v_lshlrev_b32_e32 v38, 1, v38
	s_ashr_i32 s3, s2, 31
	s_lshl_b64 s[14:15], s[14:15], 15
	ds_write2st64_b64 v38, v[34:35], v[36:37] offset0:32 offset1:48
	v_lshlrev_b32_e32 v38, 8, v41
	s_add_u32 s4, s4, s14
	v_or_b32_e32 v39, v39, v38
	s_addc_u32 s5, s5, s15
	s_lshl_b64 s[2:3], s[2:3], 8
	ds_write_b64 v39, v[34:35]
	v_or_b32_e32 v34, v40, v38
	s_add_u32 s2, s4, s2
	v_lshlrev_b32_e32 v35, 1, v89
	ds_write_b64 v34, v[36:37]
	v_lshrrev_b32_e32 v34, 4, v0
	s_addc_u32 s3, s5, s3
	v_or_b32_e32 v36, 1, v35
	v_lshlrev_b32_e32 v42, 4, v89
	v_mov_b32_e32 v43, 0
	v_xor_b32_e32 v35, v34, v35
	v_xor_b32_e32 v38, v36, v34
	v_lshl_add_u64 v[44:45], s[2:3], 0, v[42:43]
	v_lshlrev_b32_e32 v42, 8, v34
	v_lshl_or_b32 v48, v35, 3, v42
	v_lshl_or_b32 v49, v38, 3, v42
	s_waitcnt lgkmcnt(0)
	s_barrier
	ds_read2st64_b64 v[34:37], v48 offset1:8
	ds_read2st64_b64 v[38:41], v49 offset1:8
	v_lshl_add_u64 v[46:47], v[44:45], 0, v[42:43]
	s_movk_i32 s2, 0x2000
	s_cmp_lg_u32 s58, 64
	s_waitcnt lgkmcnt(1)
	v_mov_b32_e32 v42, v34
	v_mov_b32_e32 v43, v35
	s_waitcnt lgkmcnt(0)
	v_mov_b32_e32 v44, v38
	v_mov_b32_e32 v45, v39
	global_store_dwordx4 v[46:47], v[42:45], off
	v_mov_b32_e32 v38, v36
	v_mov_b32_e32 v39, v37
	ds_read2st64_b64 v[34:37], v48 offset0:16 offset1:24
	ds_read2st64_b64 v[42:45], v49 offset0:16 offset1:24
	v_add_co_u32_e32 v48, vcc, s2, v46
	s_cselect_b64 s[4:5], -1, 0
	s_nop 0
	v_addc_co_u32_e32 v49, vcc, 0, v47, vcc
	global_store_dwordx4 v[48:49], v[38:41], off offset:-4096
	v_lshl_or_b32 v51, v77, 3, v91
	s_mov_b32 s28, 0
	s_waitcnt lgkmcnt(1)
	v_mov_b32_e32 v38, v34
	v_add_co_u32_e32 v34, vcc, 0x3000, v46
	v_mov_b32_e32 v39, v35
	s_nop 0
	v_addc_co_u32_e32 v35, vcc, 0, v47, vcc
	s_waitcnt lgkmcnt(0)
	v_mov_b32_e32 v40, v42
	v_mov_b32_e32 v41, v43
	;; [unrolled: 1-line block ×4, first 2 shown]
	v_or_b32_e32 v54, 32, v51
	v_and_b32_e32 v52, 56, v90
	s_and_b64 vcc, exec, s[4:5]
	global_store_dwordx4 v[48:49], v[38:41], off
	global_store_dwordx4 v[34:35], v[42:45], off
	s_cbranch_vccz .LBB213_31
; %bb.26:
	s_mov_b32 s30, s28
	s_mov_b32 s31, s28
	s_mov_b32 s29, s28
	v_mov_b64_e32 v[40:41], s[30:31]
	v_mov_b64_e32 v[38:39], s[28:29]
	;; [unrolled: 1-line block ×3, first 2 shown]
	v_cmp_gt_i32_e32 vcc, s58, v51
	v_mov_b64_e32 v[36:37], v[40:41]
	s_and_saveexec_b64 s[2:3], vcc
	s_cbranch_execz .LBB213_28
; %bb.27:
	v_lshlrev_b32_e32 v34, 8, v51
	v_mov_b32_e32 v35, 0
	v_lshl_add_u64 v[36:37], s[0:1], 0, v[34:35]
	v_lshlrev_b32_e32 v34, 1, v52
	v_lshl_add_u64 v[42:43], v[36:37], 0, v[34:35]
	global_load_dwordx4 v[38:41], v[42:43], off
	global_load_dwordx4 v[34:37], v[42:43], off offset:128
.LBB213_28:
	s_or_b64 exec, exec, s[2:3]
	s_mov_b32 s30, s28
	s_mov_b32 s31, s28
	;; [unrolled: 1-line block ×3, first 2 shown]
	v_mov_b64_e32 v[48:49], s[30:31]
	v_mov_b64_e32 v[46:47], s[28:29]
	v_mov_b64_e32 v[42:43], v[46:47]
	v_cmp_gt_i32_e32 vcc, s58, v54
	v_lshlrev_b32_e32 v55, 7, v54
	v_mov_b64_e32 v[44:45], v[48:49]
	s_and_saveexec_b64 s[2:3], vcc
	s_cbranch_execz .LBB213_30
; %bb.29:
	v_lshlrev_b32_e32 v42, 1, v55
	v_mov_b32_e32 v43, 0
	v_lshl_add_u64 v[44:45], s[0:1], 0, v[42:43]
	v_lshlrev_b32_e32 v42, 1, v52
	v_lshl_add_u64 v[60:61], v[44:45], 0, v[42:43]
	global_load_dwordx4 v[46:49], v[60:61], off
	global_load_dwordx4 v[42:45], v[60:61], off offset:128
.LBB213_30:
	s_or_b64 exec, exec, s[2:3]
	v_lshrrev_b32_e32 v58, 3, v52
	v_lshlrev_b32_e32 v60, 3, v51
	v_or_b32_e32 v58, v60, v58
	v_lshlrev_b32_e32 v58, 4, v58
	v_and_b32_e32 v60, 0x78, v60
	v_xor_b32_e32 v58, v58, v60
	s_branch .LBB213_33
.LBB213_31:
                                        ; implicit-def: $vgpr58
                                        ; implicit-def: $vgpr55
                                        ; implicit-def: $vgpr38_vgpr39_vgpr40_vgpr41
                                        ; implicit-def: $vgpr34_vgpr35_vgpr36_vgpr37
                                        ; implicit-def: $vgpr46_vgpr47_vgpr48_vgpr49
                                        ; implicit-def: $vgpr42_vgpr43_vgpr44_vgpr45
	s_cbranch_execz .LBB213_33
; %bb.32:
	s_waitcnt vmcnt(0)
	v_lshlrev_b32_e32 v34, 1, v52
	v_lshl_or_b32 v55, v51, 8, v34
	s_and_b32 s1, s1, 0xffff
	s_mov_b32 s3, 0x20000
	s_movk_i32 s2, 0x4000
	v_lshl_or_b32 v58, v54, 8, v34
	s_movk_i32 s14, 0x80
	buffer_load_dwordx4 v[38:41], v55, s[0:3], 0 offen
	buffer_load_dwordx4 v[34:37], v55, s[0:3], s14 offen
	;; [unrolled: 1-line block ×4, first 2 shown]
	v_lshrrev_b32_e32 v55, 3, v52
	v_lshlrev_b32_e32 v58, 3, v51
	v_or_b32_e32 v55, v58, v55
	v_lshlrev_b32_e32 v55, 4, v55
	v_and_b32_e32 v58, 0x78, v58
	v_xor_b32_e32 v58, v55, v58
	v_lshlrev_b32_e32 v55, 7, v54
.LBB213_33:
	s_movk_i32 s0, 0x1000
	v_and_or_b32 v54, v55, s0, v58
	s_waitcnt vmcnt(1)
	ds_write_b64 v58, v[38:39] offset:49152
	v_xor_b32_e32 v38, 8, v58
	ds_write_b64 v38, v[40:41] offset:49152
	s_waitcnt vmcnt(0)
	ds_write_b64 v58, v[34:35] offset:57344
	ds_write_b64 v38, v[36:37] offset:57344
	;; [unrolled: 1-line block ×3, first 2 shown]
	v_xor_b32_e32 v34, 8, v54
	ds_write_b64 v34, v[48:49] offset:49152
	ds_write_b64 v54, v[42:43] offset:57344
	;; [unrolled: 1-line block ×3, first 2 shown]
	v_or_b32_e32 v34, v86, v89
	v_lshlrev_b32_e32 v34, 3, v34
	v_lshrrev_b32_e32 v35, 5, v87
	s_movk_i32 s0, 0xf8
	v_and_or_b32 v35, v34, s0, v35
	v_lshlrev_b32_e32 v39, 4, v35
	v_lshlrev_b32_e32 v58, 11, v77
	v_and_b32_e32 v40, 0x78, v34
	v_or_b32_e32 v42, 32, v39
	v_and_b32_e32 v38, 0x1000, v58
	v_lshrrev_b32_e32 v35, 1, v87
	v_xor_b32_e32 v42, v42, v40
	v_xor_b32_e32 v34, v39, v40
	v_and_b32_e32 v41, 8, v35
	v_or_b32_e32 v42, v42, v38
	v_or_b32_e32 v34, v34, v38
	v_xor_b32_e32 v65, v42, v41
	v_or_b32_e32 v42, 64, v39
	v_xor_b32_e32 v64, v34, v41
	v_xor_b32_e32 v42, v42, v40
	s_waitcnt lgkmcnt(0)
	s_barrier
	v_or_b32_e32 v45, v42, v38
	ds_read_b64 v[42:43], v64 offset:49152
	v_lshl_or_b32 v46, v88, 8, v59
	v_lshlrev_b32_e32 v60, 1, v46
	v_add_u32_e32 v44, 0x4000, v60
	ds_read2_b64 v[34:37], v44 offset1:16
	v_or_b32_e32 v39, 0x60, v39
	v_xor_b32_e32 v39, v39, v40
	v_or_b32_e32 v38, v39, v38
	v_xor_b32_e32 v66, v45, v41
	v_xor_b32_e32 v67, v38, v41
	ds_read_b64 v[54:55], v65 offset:49152
	ds_read_b64 v[68:69], v66 offset:49152
	;; [unrolled: 1-line block ×3, first 2 shown]
	s_waitcnt lgkmcnt(3)
	v_mfma_f32_16x16x16_bf16 a[0:3], v[42:43], v[34:35], 0
	ds_read2_b64 v[38:41], v44 offset0:32 offset1:48
	s_lshl_b64 s[0:1], s[46:47], 8
	s_add_u32 s12, s12, s0
	v_mfma_f32_16x16x16_bf16 a[4:7], v[42:43], v[36:37], 0
	ds_read2st64_b64 v[34:37], v60 offset0:36 offset1:40
	s_addc_u32 s13, s13, s1
	s_add_i32 s22, s43, -1
	s_waitcnt lgkmcnt(1)
	v_mfma_f32_16x16x16_bf16 a[8:11], v[42:43], v[38:39], 0
	v_or_b32_e32 v38, 64, v46
	v_lshlrev_b32_e32 v61, 1, v38
	s_add_i32 s0, s51, s50
	s_waitcnt lgkmcnt(0)
	v_mfma_f32_16x16x16_bf16 a[0:3], v[54:55], v[34:35], a[0:3]
	v_or_b32_e32 v34, 0x80, v46
	v_lshlrev_b32_e32 v62, 1, v34
	v_or_b32_e32 v34, 0xc0, v46
	v_mfma_f32_16x16x16_bf16 a[12:15], v[42:43], v[40:41], 0
	ds_read2st64_b64 v[38:41], v61 offset0:36 offset1:40
	v_lshlrev_b32_e32 v63, 1, v34
	ds_read2st64_b64 v[42:45], v62 offset0:36 offset1:40
	ds_read2st64_b64 v[46:49], v63 offset0:36 offset1:40
	s_add_i32 s25, s0, s52
	s_mul_i32 s0, s49, s27
	s_mul_hi_u32 s1, s49, s26
	s_ashr_i32 s2, s22, 31
	s_mul_i32 s3, s22, s11
	s_mul_hi_u32 s14, s22, s10
	s_waitcnt lgkmcnt(2)
	v_mfma_f32_16x16x16_bf16 a[4:7], v[54:55], v[38:39], a[4:7]
	s_add_i32 s0, s1, s0
	s_mul_i32 s1, s37, s26
	s_add_i32 s3, s14, s3
	s_mul_i32 s2, s2, s10
	s_waitcnt lgkmcnt(1)
	v_mfma_f32_16x16x16_bf16 a[8:11], v[54:55], v[42:43], a[8:11]
	s_add_i32 s1, s0, s1
	s_add_i32 s3, s3, s2
	s_lshl_b64 s[14:15], s[24:25], 2
	s_waitcnt lgkmcnt(0)
	v_mfma_f32_16x16x16_bf16 a[12:15], v[54:55], v[46:47], a[12:15]
	s_mul_i32 s0, s49, s26
	s_add_u32 s14, s18, s14
	s_addc_u32 s15, s19, s15
	s_lshl_b64 s[0:1], s[0:1], 2
	v_mfma_f32_16x16x16_bf16 a[0:3], v[68:69], v[36:37], a[0:3]
	s_mul_i32 s2, s22, s10
	ds_read_b64 v[34:35], v60 offset:22528
	s_add_u32 s18, s14, s0
	v_mfma_f32_16x16x16_bf16 a[4:7], v[68:69], v[40:41], a[4:7]
	ds_read_b64 v[36:37], v61 offset:22528
	ds_read_b64 v[38:39], v62 offset:22528
	;; [unrolled: 1-line block ×3, first 2 shown]
	s_addc_u32 s19, s15, s1
	s_lshl_b64 s[0:1], s[2:3], 2
	v_mfma_f32_16x16x16_bf16 a[8:11], v[68:69], v[44:45], a[8:11]
	s_add_u32 s0, s18, s0
	s_addc_u32 s1, s19, s1
	s_load_dword s20, s[0:1], 0x0
	v_mfma_f32_16x16x16_bf16 a[12:15], v[68:69], v[48:49], a[12:15]
	s_and_b64 vcc, exec, s[44:45]
	s_waitcnt lgkmcnt(0)
	v_mfma_f32_16x16x16_bf16 a[0:3], v[70:71], v[34:35], a[0:3]
	v_mfma_f32_16x16x16_bf16 a[4:7], v[70:71], v[36:37], a[4:7]
	;; [unrolled: 1-line block ×4, first 2 shown]
	s_cbranch_vccz .LBB213_44
; %bb.34:
	v_lshlrev_b32_e32 v54, 1, v51
	s_and_b64 vcc, exec, s[4:5]
	s_cbranch_vccz .LBB213_45
; %bb.35:
	v_cmp_gt_i32_e32 vcc, s58, v54
	v_mov_b32_e32 v38, 0
	v_mov_b32_e32 v34, 0
	;; [unrolled: 1-line block ×5, first 2 shown]
	s_and_saveexec_b64 s[0:1], vcc
	s_cbranch_execz .LBB213_37
; %bb.36:
	v_mad_i64_i32 v[34:35], s[2:3], s23, v54, 0
	v_lshl_add_u64 v[34:35], v[34:35], 1, s[12:13]
	v_lshlrev_b32_e32 v36, 1, v52
	v_mov_b32_e32 v37, 0
	v_lshl_add_u64 v[34:35], v[34:35], 0, v[36:37]
	global_load_dwordx4 v[34:37], v[34:35], off
.LBB213_37:
	s_or_b64 exec, exec, s[0:1]
	v_or_b32_e32 v55, 1, v54
	v_cmp_gt_i32_e64 s[0:1], s58, v55
	v_mov_b32_e32 v39, 0
	v_mov_b32_e32 v40, 0
	v_mov_b32_e32 v41, 0
	s_and_saveexec_b64 s[2:3], s[0:1]
	s_cbranch_execz .LBB213_39
; %bb.38:
	v_mad_i64_i32 v[38:39], s[14:15], s23, v55, 0
	v_lshl_add_u64 v[38:39], v[38:39], 1, s[12:13]
	v_lshlrev_b32_e32 v40, 1, v52
	v_mov_b32_e32 v41, 0
	v_lshl_add_u64 v[38:39], v[38:39], 0, v[40:41]
	global_load_dwordx4 v[38:41], v[38:39], off
.LBB213_39:
	s_or_b64 exec, exec, s[2:3]
	v_mov_b32_e32 v49, 0
	v_mov_b32_e32 v42, 0
	;; [unrolled: 1-line block ×5, first 2 shown]
	s_and_saveexec_b64 s[2:3], vcc
	s_cbranch_execz .LBB213_41
; %bb.40:
	v_mad_i64_i32 v[42:43], s[14:15], s23, v54, 0
	v_lshl_add_u64 v[42:43], v[42:43], 1, s[12:13]
	v_lshlrev_b32_e32 v44, 1, v52
	v_mov_b32_e32 v45, 0
	v_lshl_add_u64 v[42:43], v[42:43], 0, v[44:45]
	global_load_dwordx4 v[42:45], v[42:43], off offset:128
.LBB213_41:
	s_or_b64 exec, exec, s[2:3]
	v_mov_b32_e32 v48, 0
	v_mov_b32_e32 v47, 0
	;; [unrolled: 1-line block ×3, first 2 shown]
	s_and_saveexec_b64 s[2:3], s[0:1]
	s_cbranch_execz .LBB213_43
; %bb.42:
	v_mad_i64_i32 v[46:47], s[0:1], s23, v55, 0
	v_lshl_add_u64 v[46:47], v[46:47], 1, s[12:13]
	v_lshlrev_b32_e32 v48, 1, v52
	v_mov_b32_e32 v49, 0
	v_lshl_add_u64 v[46:47], v[46:47], 0, v[48:49]
	global_load_dwordx4 v[46:49], v[46:47], off offset:128
.LBB213_43:
	s_or_b64 exec, exec, s[2:3]
	s_branch .LBB213_47
.LBB213_44:
                                        ; implicit-def: $vgpr37
                                        ; implicit-def: $vgpr41
                                        ; implicit-def: $vgpr45
                                        ; implicit-def: $vgpr49
	v_lshrrev_b32_e32 v68, 2, v87
	s_branch .LBB213_48
.LBB213_45:
                                        ; implicit-def: $vgpr37
                                        ; implicit-def: $vgpr41
                                        ; implicit-def: $vgpr45
                                        ; implicit-def: $vgpr49
	s_cbranch_execz .LBB213_47
; %bb.46:
	s_waitcnt vmcnt(0)
	v_mad_u64_u32 v[34:35], s[0:1], v54, s23, v[52:53]
	v_lshlrev_b32_e32 v54, 1, v34
	s_lshl_b32 s2, s23, 7
	s_and_b32 s1, s13, 0xffff
	s_mov_b32 s3, 0x20000
	s_mov_b32 s0, s12
	v_add_lshl_u32 v55, v34, s23, 1
	s_movk_i32 s14, 0x80
	buffer_load_dwordx4 v[34:37], v54, s[0:3], 0 offen
	buffer_load_dwordx4 v[42:45], v54, s[0:3], s14 offen
	;; [unrolled: 1-line block ×4, first 2 shown]
.LBB213_47:
	v_lshrrev_b32_e32 v68, 2, v87
	s_cbranch_execnz .LBB213_60
.LBB213_48:
	s_and_b64 vcc, exec, s[4:5]
	s_cbranch_vccz .LBB213_58
; %bb.49:
	s_waitcnt vmcnt(0)
	v_lshlrev_b32_e32 v39, 1, v51
	v_cmp_gt_i32_e32 vcc, s58, v39
	v_mov_b32_e32 v38, 0
	v_lshlrev_b32_e32 v46, 9, v51
	v_mov_b32_e32 v34, 0
	v_mov_b32_e32 v35, 0
	;; [unrolled: 1-line block ×4, first 2 shown]
	s_and_saveexec_b64 s[0:1], vcc
	s_cbranch_execz .LBB213_51
; %bb.50:
	v_mov_b32_e32 v47, 0
	v_lshl_add_u64 v[34:35], s[12:13], 0, v[46:47]
	v_lshlrev_b32_e32 v36, 1, v52
	v_mov_b32_e32 v37, v47
	v_lshl_add_u64 v[34:35], v[34:35], 0, v[36:37]
	global_load_dwordx4 v[34:37], v[34:35], off
.LBB213_51:
	s_or_b64 exec, exec, s[0:1]
	v_or_b32_e32 v39, 1, v39
	v_cmp_gt_i32_e64 s[0:1], s58, v39
	v_lshlrev_b32_e32 v54, 8, v39
	v_mov_b32_e32 v39, 0
	v_mov_b32_e32 v40, 0
	;; [unrolled: 1-line block ×3, first 2 shown]
	s_and_saveexec_b64 s[2:3], s[0:1]
	s_cbranch_execz .LBB213_53
; %bb.52:
	v_mov_b32_e32 v55, 0
	v_lshl_add_u64 v[38:39], s[12:13], 0, v[54:55]
	v_lshlrev_b32_e32 v40, 1, v52
	v_mov_b32_e32 v41, v55
	v_lshl_add_u64 v[38:39], v[38:39], 0, v[40:41]
	global_load_dwordx4 v[38:41], v[38:39], off
.LBB213_53:
	s_or_b64 exec, exec, s[2:3]
	v_mov_b32_e32 v49, 0
	v_mov_b32_e32 v42, 0
	;; [unrolled: 1-line block ×5, first 2 shown]
	s_and_saveexec_b64 s[2:3], vcc
	s_cbranch_execz .LBB213_55
; %bb.54:
	v_mov_b32_e32 v47, 0
	v_lshl_add_u64 v[42:43], s[12:13], 0, v[46:47]
	v_lshlrev_b32_e32 v46, 1, v52
	v_lshl_add_u64 v[42:43], v[42:43], 0, v[46:47]
	global_load_dwordx4 v[42:45], v[42:43], off offset:128
.LBB213_55:
	s_or_b64 exec, exec, s[2:3]
	v_mov_b32_e32 v48, 0
	v_mov_b32_e32 v47, 0
	;; [unrolled: 1-line block ×3, first 2 shown]
	s_and_saveexec_b64 s[2:3], s[0:1]
	s_cbranch_execz .LBB213_57
; %bb.56:
	v_mov_b32_e32 v55, 0
	v_lshl_add_u64 v[46:47], s[12:13], 0, v[54:55]
	v_lshlrev_b32_e32 v54, 1, v52
	v_lshl_add_u64 v[46:47], v[46:47], 0, v[54:55]
	global_load_dwordx4 v[46:49], v[46:47], off offset:128
.LBB213_57:
	s_or_b64 exec, exec, s[2:3]
	s_branch .LBB213_60
.LBB213_58:
                                        ; implicit-def: $vgpr37
                                        ; implicit-def: $vgpr41
                                        ; implicit-def: $vgpr45
                                        ; implicit-def: $vgpr49
	s_cbranch_execz .LBB213_60
; %bb.59:
	s_waitcnt vmcnt(0)
	v_lshlrev_b32_e32 v34, 1, v52
	v_lshl_or_b32 v52, v51, 9, v34
	s_and_b32 s13, s13, 0xffff
	s_mov_b32 s15, 0x20000
	s_movk_i32 s14, 0x4000
	s_movk_i32 s0, 0x80
	buffer_load_dwordx4 v[34:37], v52, s[12:15], 0 offen
	buffer_load_dwordx4 v[38:41], v52, s[12:15], 0 offen offset:256
	buffer_load_dwordx4 v[42:45], v52, s[12:15], s0 offen
	buffer_load_dwordx4 v[46:49], v52, s[12:15], s0 offen offset:256
.LBB213_60:
	ds_read_b64 v[54:55], v64 offset:57344
	v_add_u32_e32 v52, 0x6000, v60
	ds_read2_b64 v[70:73], v52 offset1:16
	ds_read_b64 v[82:83], v65 offset:57344
	ds_read_b64 v[84:85], v66 offset:57344
	;; [unrolled: 1-line block ×3, first 2 shown]
	ds_read2_b64 v[64:67], v52 offset0:32 offset1:48
	v_and_b32_e32 v52, 12, v68
	v_and_b32_e32 v76, 6, v0
	v_xor_b32_e32 v51, v51, v76
	v_lshlrev_b32_e32 v51, 2, v51
	s_mov_b32 s0, 0x1000504
	s_waitcnt lgkmcnt(4)
	v_mfma_f32_16x16x16_bf16 a[4:7], v[54:55], v[72:73], a[4:7]
	s_mov_b32 s1, 0x3020706
	v_mfma_f32_16x16x16_bf16 a[0:3], v[54:55], v[70:71], a[0:3]
	ds_read2st64_b64 v[68:71], v60 offset0:52 offset1:56
	s_waitcnt lgkmcnt(1)
	v_mfma_f32_16x16x16_bf16 a[8:11], v[54:55], v[64:65], a[8:11]
	v_mfma_f32_16x16x16_bf16 a[12:15], v[54:55], v[66:67], a[12:15]
	ds_read2st64_b64 v[64:67], v61 offset0:52 offset1:56
	ds_read2st64_b64 v[72:75], v62 offset0:52 offset1:56
	;; [unrolled: 1-line block ×3, first 2 shown]
	s_waitcnt lgkmcnt(2)
	v_mfma_f32_16x16x16_bf16 a[4:7], v[82:83], v[64:65], a[4:7]
	v_and_b32_e32 v64, 1, v0
	v_xor_b32_e32 v65, 0x440, v51
	v_cmp_eq_u32_e32 vcc, 0, v64
	v_mfma_f32_16x16x16_bf16 a[0:3], v[82:83], v[68:69], a[0:3]
	s_waitcnt vmcnt(0)
	v_perm_b32 v64, v34, v38, s0
	v_cndmask_b32_e32 v51, v65, v51, vcc
	v_lshl_or_b32 v51, v76, 10, v51
	s_waitcnt lgkmcnt(1)
	v_mfma_f32_16x16x16_bf16 a[8:11], v[82:83], v[72:73], a[8:11]
	v_perm_b32 v65, v42, v46, s0
	ds_read_b64 v[54:55], v60 offset:30720
	ds_read_b64 v[68:69], v61 offset:30720
	;; [unrolled: 1-line block ×4, first 2 shown]
	ds_write2st64_b32 v51, v64, v65 offset0:128 offset1:160
	s_waitcnt lgkmcnt(5)
	v_mfma_f32_16x16x16_bf16 a[12:15], v[82:83], v[78:79], a[12:15]
	v_xor_b32_e32 v64, 8, v51
	v_perm_b32 v34, v34, v38, s1
	v_perm_b32 v38, v42, v46, s1
	v_add_u32_e32 v42, 0x80, v64
	ds_write2st64_b32 v42, v34, v38 offset0:128 offset1:160
	v_xor_b32_e32 v34, 16, v51
	v_perm_b32 v38, v35, v39, s0
	v_perm_b32 v42, v43, v47, s0
	v_mfma_f32_16x16x16_bf16 a[0:3], v[84:85], v[70:71], a[0:3]
	ds_write2st64_b32 v34, v38, v42 offset0:129 offset1:161
	v_xor_b32_e32 v34, 24, v51
	v_perm_b32 v35, v35, v39, s1
	v_mfma_f32_16x16x16_bf16 a[4:7], v[84:85], v[66:67], a[4:7]
	v_perm_b32 v38, v43, v47, s1
	v_add_u32_e32 v34, 0x80, v34
	ds_write2st64_b32 v34, v35, v38 offset0:129 offset1:161
	v_mfma_f32_16x16x16_bf16 a[16:19], v[84:85], v[74:75], a[8:11]
	v_xor_b32_e32 v34, 32, v51
	v_perm_b32 v35, v36, v40, s0
	v_perm_b32 v38, v44, v48, s0
	v_mfma_f32_16x16x16_bf16 a[20:23], v[84:85], v[80:81], a[12:15]
	ds_write2st64_b32 v34, v35, v38 offset0:130 offset1:162
	v_xor_b32_e32 v34, 40, v51
	v_perm_b32 v35, v36, v40, s1
	s_waitcnt lgkmcnt(8)
	v_mfma_f32_16x16x16_bf16 a[12:15], v[88:89], v[54:55], a[0:3]
	v_perm_b32 v36, v44, v48, s1
	v_add_u32_e32 v34, 0x80, v34
	ds_write2st64_b32 v34, v35, v36 offset0:130 offset1:162
	s_waitcnt lgkmcnt(8)
	v_mfma_f32_16x16x16_bf16 a[8:11], v[88:89], v[68:69], a[4:7]
	v_xor_b32_e32 v34, 48, v51
	v_perm_b32 v35, v37, v41, s0
	v_perm_b32 v36, v45, v49, s0
	s_waitcnt lgkmcnt(7)
	v_mfma_f32_16x16x16_bf16 a[4:7], v[88:89], v[90:91], a[16:19]
	ds_write2st64_b32 v34, v35, v36 offset0:131 offset1:163
	v_xor_b32_e32 v34, 56, v51
	v_or_b32_e32 v54, v52, v86
	s_waitcnt lgkmcnt(7)
	v_mfma_f32_16x16x16_bf16 a[0:3], v[88:89], v[92:93], a[20:23]
	v_perm_b32 v35, v37, v41, s1
	v_perm_b32 v36, v45, v49, s1
	v_add_u32_e32 v34, 0x80, v34
	v_cmp_gt_i32_e64 s[0:1], s58, v54
	v_mov_b32_e32 v64, 0
	v_mov_b32_e32 v65, 0
	ds_write2st64_b32 v34, v35, v36 offset0:131 offset1:163
	s_and_saveexec_b64 s[2:3], s[0:1]
	s_cbranch_execz .LBB213_62
; %bb.61:
	v_add_u32_e32 v34, s36, v54
	v_ashrrev_i32_e32 v35, 31, v34
	v_mul_lo_u32 v36, v35, s10
	v_mul_lo_u32 v37, v34, s11
	v_mad_u64_u32 v[34:35], s[4:5], v34, s10, 0
	v_add3_u32 v35, v35, v37, v36
	v_lshl_add_u64 v[34:35], v[34:35], 2, s[18:19]
	global_load_dword v34, v[34:35], off
	s_waitcnt vmcnt(0)
	v_sub_f32_e32 v34, s20, v34
	v_mul_f32_e32 v34, 0x3fb8aa3b, v34
	v_exp_f32_e32 v65, v34
.LBB213_62:
	s_or_b64 exec, exec, s[2:3]
	v_or_b32_e32 v43, 1, v54
	v_cmp_gt_i32_e64 s[2:3], s58, v43
	s_and_saveexec_b64 s[4:5], s[2:3]
	s_cbranch_execz .LBB213_64
; %bb.63:
	v_add_u32_e32 v34, s36, v43
	v_ashrrev_i32_e32 v35, 31, v34
	v_mul_lo_u32 v36, v35, s10
	v_mul_lo_u32 v37, v34, s11
	v_mad_u64_u32 v[34:35], s[12:13], v34, s10, 0
	v_add3_u32 v35, v35, v37, v36
	v_lshl_add_u64 v[34:35], v[34:35], 2, s[18:19]
	global_load_dword v34, v[34:35], off
	s_waitcnt vmcnt(0)
	v_sub_f32_e32 v34, s20, v34
	v_mul_f32_e32 v34, 0x3fb8aa3b, v34
	v_exp_f32_e32 v64, v34
.LBB213_64:
	s_or_b64 exec, exec, s[4:5]
	v_or_b32_e32 v42, 2, v54
	v_cmp_gt_i32_e64 s[4:5], s58, v42
	v_mov_b32_e32 v55, 0
	v_mov_b32_e32 v66, 0
	s_and_saveexec_b64 s[12:13], s[4:5]
	s_cbranch_execz .LBB213_66
; %bb.65:
	v_add_u32_e32 v34, s36, v42
	v_ashrrev_i32_e32 v35, 31, v34
	v_mul_lo_u32 v36, v35, s10
	v_mul_lo_u32 v37, v34, s11
	v_mad_u64_u32 v[34:35], s[14:15], v34, s10, 0
	v_add3_u32 v35, v35, v37, v36
	v_lshl_add_u64 v[34:35], v[34:35], 2, s[18:19]
	global_load_dword v34, v[34:35], off
	s_waitcnt vmcnt(0)
	v_sub_f32_e32 v34, s20, v34
	v_mul_f32_e32 v34, 0x3fb8aa3b, v34
	v_exp_f32_e32 v66, v34
.LBB213_66:
	s_or_b64 exec, exec, s[12:13]
	v_or_b32_e32 v67, 3, v54
	v_cmp_gt_i32_e32 vcc, s58, v67
	s_and_saveexec_b64 s[12:13], vcc
	s_cbranch_execz .LBB213_68
; %bb.67:
	v_add_u32_e32 v34, s36, v67
	v_ashrrev_i32_e32 v35, 31, v34
	v_mul_lo_u32 v36, v35, s10
	v_mul_lo_u32 v37, v34, s11
	v_mad_u64_u32 v[34:35], s[10:11], v34, s10, 0
	v_add3_u32 v35, v35, v37, v36
	v_lshl_add_u64 v[34:35], v[34:35], 2, s[18:19]
	global_load_dword v34, v[34:35], off
	s_waitcnt vmcnt(0)
	v_sub_f32_e32 v34, s20, v34
	v_mul_f32_e32 v34, 0x3fb8aa3b, v34
	v_exp_f32_e32 v55, v34
.LBB213_68:
	s_or_b64 exec, exec, s[12:13]
	s_add_u32 s10, s16, s38
	s_addc_u32 s11, s17, s39
	s_add_u32 s6, s6, s38
	v_ashrrev_i32_e32 v51, 31, v50
	v_accvgpr_read_b32 v37, a15
	s_addc_u32 s7, s7, s39
	v_lshlrev_b64 v[38:39], 1, v[50:51]
	v_accvgpr_read_b32 v36, a14
	v_accvgpr_read_b32 v35, a13
	;; [unrolled: 1-line block ×3, first 2 shown]
	v_lshl_add_u64 v[40:41], s[10:11], 0, v[38:39]
	v_lshl_add_u64 v[38:39], s[6:7], 0, v[38:39]
	v_mov_b32_e32 v47, 0
	v_lshlrev_b32_e32 v44, 8, v54
	v_mov_b32_e32 v45, 0
	s_and_saveexec_b64 s[6:7], s[0:1]
	s_cbranch_execz .LBB213_70
; %bb.69:
	v_mov_b32_e32 v45, 0
	v_lshl_add_u64 v[48:49], v[40:41], 0, v[44:45]
	global_load_ushort v46, v[48:49], off
	v_lshl_add_u64 v[48:49], v[38:39], 0, v[44:45]
	s_waitcnt vmcnt(0)
	v_lshlrev_b32_e32 v45, 16, v46
	v_sub_f32_e32 v34, v45, v34
	global_store_short_d16_hi v[48:49], v34, off
	v_mul_f32_e32 v34, v65, v34
	v_lshrrev_b32_e32 v45, 16, v34
.LBB213_70:
	s_or_b64 exec, exec, s[6:7]
	v_lshlrev_b32_e32 v46, 8, v43
	s_and_saveexec_b64 s[6:7], s[2:3]
	s_cbranch_execz .LBB213_72
; %bb.71:
	v_mov_b32_e32 v47, 0
	v_lshl_add_u64 v[48:49], v[40:41], 0, v[46:47]
	global_load_ushort v34, v[48:49], off
	v_lshl_add_u64 v[48:49], v[38:39], 0, v[46:47]
	s_waitcnt vmcnt(0)
	v_lshlrev_b32_e32 v34, 16, v34
	v_sub_f32_e32 v34, v34, v35
	global_store_short_d16_hi v[48:49], v34, off
	v_mul_f32_e32 v34, v64, v34
	v_lshrrev_b32_e32 v47, 16, v34
.LBB213_72:
	s_or_b64 exec, exec, s[6:7]
	v_mov_b32_e32 v43, 0
	v_lshlrev_b32_e32 v48, 8, v42
	v_mov_b32_e32 v49, 0
	s_and_saveexec_b64 s[6:7], s[4:5]
	s_cbranch_execz .LBB213_74
; %bb.73:
	v_mov_b32_e32 v49, 0
	v_lshl_add_u64 v[34:35], v[40:41], 0, v[48:49]
	global_load_ushort v42, v[34:35], off
	v_lshl_add_u64 v[34:35], v[38:39], 0, v[48:49]
	s_waitcnt vmcnt(0)
	v_lshlrev_b32_e32 v42, 16, v42
	v_sub_f32_e32 v36, v42, v36
	global_store_short_d16_hi v[34:35], v36, off
	v_mul_f32_e32 v34, v66, v36
	v_lshrrev_b32_e32 v49, 16, v34
.LBB213_74:
	s_or_b64 exec, exec, s[6:7]
	v_lshlrev_b32_e32 v42, 8, v67
	s_and_saveexec_b64 s[6:7], vcc
	s_cbranch_execz .LBB213_76
; %bb.75:
	v_mov_b32_e32 v43, 0
	v_lshl_add_u64 v[34:35], v[40:41], 0, v[42:43]
	global_load_ushort v36, v[34:35], off
	v_lshl_add_u64 v[34:35], v[38:39], 0, v[42:43]
	s_waitcnt vmcnt(0)
	v_lshlrev_b32_e32 v36, 16, v36
	v_sub_f32_e32 v36, v36, v37
	global_store_short_d16_hi v[34:35], v36, off
	v_mul_f32_e32 v34, v55, v36
	v_lshrrev_b32_e32 v43, 16, v34
.LBB213_76:
	s_or_b64 exec, exec, s[6:7]
	v_lshlrev_b32_e32 v51, 6, v54
	s_mov_b32 s6, 0x5040100
	v_accvgpr_read_b32 v37, a11
	v_perm_b32 v69, v43, v49, s6
	v_or_b32_e32 v43, v51, v59
	v_accvgpr_read_b32 v36, a10
	v_accvgpr_read_b32 v35, a9
	;; [unrolled: 1-line block ×3, first 2 shown]
	v_perm_b32 v68, v47, v45, s6
	v_lshlrev_b32_e32 v43, 1, v43
	v_mov_b32_e32 v47, 0
	v_mov_b32_e32 v45, 0
	ds_write_b64 v43, v[68:69] offset:24576
	s_and_saveexec_b64 s[6:7], s[0:1]
	s_cbranch_execz .LBB213_78
; %bb.77:
	v_mov_b32_e32 v45, 0
	v_lshl_add_u64 v[68:69], v[40:41], 0, v[44:45]
	global_load_ushort v43, v[68:69], off offset:32
	v_lshl_add_u64 v[68:69], v[38:39], 0, v[44:45]
	s_waitcnt vmcnt(0)
	v_lshlrev_b32_e32 v43, 16, v43
	v_sub_f32_e32 v34, v43, v34
	global_store_short_d16_hi v[68:69], v34, off offset:32
	v_mul_f32_e32 v34, v65, v34
	v_lshrrev_b32_e32 v45, 16, v34
.LBB213_78:
	s_or_b64 exec, exec, s[6:7]
	s_and_saveexec_b64 s[6:7], s[2:3]
	s_cbranch_execz .LBB213_80
; %bb.79:
	v_mov_b32_e32 v47, 0
	v_lshl_add_u64 v[68:69], v[40:41], 0, v[46:47]
	global_load_ushort v34, v[68:69], off offset:32
	v_lshl_add_u64 v[68:69], v[38:39], 0, v[46:47]
	s_waitcnt vmcnt(0)
	v_lshlrev_b32_e32 v34, 16, v34
	v_sub_f32_e32 v34, v34, v35
	global_store_short_d16_hi v[68:69], v34, off offset:32
	v_mul_f32_e32 v34, v64, v34
	v_lshrrev_b32_e32 v47, 16, v34
.LBB213_80:
	s_or_b64 exec, exec, s[6:7]
	v_mov_b32_e32 v43, 0
	v_mov_b32_e32 v49, 0
	s_and_saveexec_b64 s[6:7], s[4:5]
	s_cbranch_execz .LBB213_82
; %bb.81:
	v_mov_b32_e32 v49, 0
	v_lshl_add_u64 v[34:35], v[40:41], 0, v[48:49]
	global_load_ushort v59, v[34:35], off offset:32
	v_lshl_add_u64 v[34:35], v[38:39], 0, v[48:49]
	s_waitcnt vmcnt(0)
	v_lshlrev_b32_e32 v49, 16, v59
	v_sub_f32_e32 v36, v49, v36
	global_store_short_d16_hi v[34:35], v36, off offset:32
	v_mul_f32_e32 v34, v66, v36
	v_lshrrev_b32_e32 v49, 16, v34
.LBB213_82:
	s_or_b64 exec, exec, s[6:7]
	s_and_saveexec_b64 s[6:7], vcc
	s_cbranch_execz .LBB213_84
; %bb.83:
	v_mov_b32_e32 v43, 0
	v_lshl_add_u64 v[34:35], v[40:41], 0, v[42:43]
	global_load_ushort v36, v[34:35], off offset:32
	v_lshl_add_u64 v[34:35], v[38:39], 0, v[42:43]
	s_waitcnt vmcnt(0)
	v_lshlrev_b32_e32 v36, 16, v36
	v_sub_f32_e32 v36, v36, v37
	global_store_short_d16_hi v[34:35], v36, off offset:32
	v_mul_f32_e32 v34, v55, v36
	v_lshrrev_b32_e32 v43, 16, v34
.LBB213_84:
	s_or_b64 exec, exec, s[6:7]
	s_mov_b32 s6, 0x5040100
	v_accvgpr_read_b32 v37, a7
	v_perm_b32 v69, v43, v49, s6
	v_or_b32_e32 v43, v51, v57
	v_accvgpr_read_b32 v36, a6
	v_accvgpr_read_b32 v35, a5
	;; [unrolled: 1-line block ×3, first 2 shown]
	v_perm_b32 v68, v47, v45, s6
	v_lshlrev_b32_e32 v43, 1, v43
	v_mov_b32_e32 v47, 0
	v_mov_b32_e32 v45, 0
	ds_write_b64 v43, v[68:69] offset:24576
	s_and_saveexec_b64 s[6:7], s[0:1]
	s_cbranch_execz .LBB213_86
; %bb.85:
	v_mov_b32_e32 v45, 0
	v_lshl_add_u64 v[68:69], v[40:41], 0, v[44:45]
	global_load_ushort v43, v[68:69], off offset:64
	v_lshl_add_u64 v[68:69], v[38:39], 0, v[44:45]
	s_waitcnt vmcnt(0)
	v_lshlrev_b32_e32 v43, 16, v43
	v_sub_f32_e32 v34, v43, v34
	global_store_short_d16_hi v[68:69], v34, off offset:64
	v_mul_f32_e32 v34, v65, v34
	v_lshrrev_b32_e32 v45, 16, v34
.LBB213_86:
	s_or_b64 exec, exec, s[6:7]
	s_and_saveexec_b64 s[6:7], s[2:3]
	s_cbranch_execz .LBB213_88
; %bb.87:
	v_mov_b32_e32 v47, 0
	v_lshl_add_u64 v[68:69], v[40:41], 0, v[46:47]
	global_load_ushort v34, v[68:69], off offset:64
	v_lshl_add_u64 v[68:69], v[38:39], 0, v[46:47]
	s_waitcnt vmcnt(0)
	v_lshlrev_b32_e32 v34, 16, v34
	v_sub_f32_e32 v34, v34, v35
	global_store_short_d16_hi v[68:69], v34, off offset:64
	v_mul_f32_e32 v34, v64, v34
	v_lshrrev_b32_e32 v47, 16, v34
.LBB213_88:
	s_or_b64 exec, exec, s[6:7]
	v_mov_b32_e32 v43, 0
	v_mov_b32_e32 v49, 0
	s_and_saveexec_b64 s[6:7], s[4:5]
	s_cbranch_execz .LBB213_90
; %bb.89:
	v_mov_b32_e32 v49, 0
	v_lshl_add_u64 v[34:35], v[40:41], 0, v[48:49]
	global_load_ushort v57, v[34:35], off offset:64
	v_lshl_add_u64 v[34:35], v[38:39], 0, v[48:49]
	s_waitcnt vmcnt(0)
	v_lshlrev_b32_e32 v49, 16, v57
	v_sub_f32_e32 v36, v49, v36
	global_store_short_d16_hi v[34:35], v36, off offset:64
	v_mul_f32_e32 v34, v66, v36
	v_lshrrev_b32_e32 v49, 16, v34
.LBB213_90:
	s_or_b64 exec, exec, s[6:7]
	s_and_saveexec_b64 s[6:7], vcc
	s_cbranch_execz .LBB213_92
; %bb.91:
	v_mov_b32_e32 v43, 0
	v_lshl_add_u64 v[34:35], v[40:41], 0, v[42:43]
	global_load_ushort v36, v[34:35], off offset:64
	v_lshl_add_u64 v[34:35], v[38:39], 0, v[42:43]
	s_waitcnt vmcnt(0)
	v_lshlrev_b32_e32 v36, 16, v36
	v_sub_f32_e32 v36, v36, v37
	global_store_short_d16_hi v[34:35], v36, off offset:64
	v_mul_f32_e32 v34, v55, v36
	v_lshrrev_b32_e32 v43, 16, v34
.LBB213_92:
	s_or_b64 exec, exec, s[6:7]
	s_mov_b32 s6, 0x5040100
	v_accvgpr_read_b32 v37, a3
	v_perm_b32 v69, v43, v49, s6
	v_or_b32_e32 v43, v51, v56
	v_accvgpr_read_b32 v36, a2
	v_accvgpr_read_b32 v35, a1
	;; [unrolled: 1-line block ×3, first 2 shown]
	v_perm_b32 v68, v47, v45, s6
	v_lshlrev_b32_e32 v43, 1, v43
	v_mov_b32_e32 v47, 0
	v_mov_b32_e32 v45, 0
	ds_write_b64 v43, v[68:69] offset:24576
	s_and_saveexec_b64 s[6:7], s[0:1]
	s_cbranch_execz .LBB213_94
; %bb.93:
	v_mov_b32_e32 v45, 0
	v_lshl_add_u64 v[56:57], v[40:41], 0, v[44:45]
	global_load_ushort v43, v[56:57], off offset:96
	v_lshl_add_u64 v[44:45], v[38:39], 0, v[44:45]
	s_waitcnt vmcnt(0)
	v_lshlrev_b32_e32 v43, 16, v43
	v_sub_f32_e32 v34, v43, v34
	global_store_short_d16_hi v[44:45], v34, off offset:96
	v_mul_f32_e32 v34, v65, v34
	v_lshrrev_b32_e32 v45, 16, v34
.LBB213_94:
	s_or_b64 exec, exec, s[6:7]
	s_and_saveexec_b64 s[0:1], s[2:3]
	s_cbranch_execz .LBB213_96
; %bb.95:
	v_mov_b32_e32 v47, 0
	v_lshl_add_u64 v[56:57], v[40:41], 0, v[46:47]
	global_load_ushort v34, v[56:57], off offset:96
	v_lshl_add_u64 v[46:47], v[38:39], 0, v[46:47]
	s_waitcnt vmcnt(0)
	v_lshlrev_b32_e32 v34, 16, v34
	v_sub_f32_e32 v34, v34, v35
	global_store_short_d16_hi v[46:47], v34, off offset:96
	v_mul_f32_e32 v34, v64, v34
	v_lshrrev_b32_e32 v47, 16, v34
.LBB213_96:
	s_or_b64 exec, exec, s[0:1]
	v_mov_b32_e32 v43, 0
	v_mov_b32_e32 v46, 0
	s_and_saveexec_b64 s[0:1], s[4:5]
	s_cbranch_execz .LBB213_98
; %bb.97:
	v_mov_b32_e32 v49, 0
	v_lshl_add_u64 v[34:35], v[40:41], 0, v[48:49]
	global_load_ushort v44, v[34:35], off offset:96
	v_lshl_add_u64 v[34:35], v[38:39], 0, v[48:49]
	s_waitcnt vmcnt(0)
	v_lshlrev_b32_e32 v44, 16, v44
	v_sub_f32_e32 v36, v44, v36
	global_store_short_d16_hi v[34:35], v36, off offset:96
	v_mul_f32_e32 v34, v66, v36
	v_lshrrev_b32_e32 v46, 16, v34
.LBB213_98:
	s_or_b64 exec, exec, s[0:1]
	v_or_b32_e32 v34, 0x6000, v60
	v_or_b32_e32 v35, 0x6000, v61
	;; [unrolled: 1-line block ×4, first 2 shown]
	s_and_saveexec_b64 s[0:1], vcc
	s_cbranch_execz .LBB213_100
; %bb.99:
	v_mov_b32_e32 v43, 0
	v_lshl_add_u64 v[40:41], v[40:41], 0, v[42:43]
	global_load_ushort v40, v[40:41], off offset:96
	v_lshl_add_u64 v[38:39], v[38:39], 0, v[42:43]
	s_waitcnt vmcnt(0)
	v_lshlrev_b32_e32 v40, 16, v40
	v_sub_f32_e32 v37, v40, v37
	global_store_short_d16_hi v[38:39], v37, off offset:96
	v_mul_f32_e32 v37, v55, v37
	v_lshrrev_b32_e32 v43, 16, v37
.LBB213_100:
	s_or_b64 exec, exec, s[0:1]
	s_mov_b32 s0, 0x5040100
	v_or_b32_e32 v37, v51, v53
	v_perm_b32 v39, v43, v46, s0
	v_perm_b32 v38, v47, v45, s0
	v_lshlrev_b32_e32 v37, 1, v37
	ds_write_b64 v37, v[38:39] offset:24576
	v_and_b32_e32 v37, 7, v0
	v_lshlrev_b32_e32 v45, 3, v37
	v_lshlrev_b32_e32 v51, 7, v37
	v_lshrrev_b32_e32 v37, 1, v0
	v_and_b32_e32 v37, 24, v37
	v_lshlrev_b32_e32 v76, 3, v77
	s_mul_i32 s0, s22, s21
	v_and_b32_e32 v42, 8, v0
	s_movk_i32 s4, 0x100
	v_xor_b32_e32 v80, v76, v37
	s_add_u32 s2, s0, s49
	v_cmp_eq_u32_e32 vcc, 0, v42
	v_cmp_gt_u32_e64 s[0:1], s4, v0
	v_or_b32_e32 v0, 0x440, v80
	v_mov_b32_e32 v43, 0x400
	v_cndmask_b32_e32 v0, v0, v80, vcc
	v_cndmask_b32_e64 v53, v43, 64, vcc
	v_mov_b32_e32 v42, 0xa000
	v_mov_b32_e32 v43, 0x8000
	v_or_b32_e32 v0, v0, v58
	v_cndmask_b32_e64 v59, v42, v43, s[0:1]
	v_xor_b32_e32 v84, v0, v45
	v_add3_u32 v0, v59, v84, v51
	s_waitcnt lgkmcnt(0)
	s_barrier
	ds_read_b64 v[42:43], v0
	v_or_b32_e32 v0, 32, v37
	v_xor_b32_e32 v0, v76, v0
	v_or_b32_e32 v46, 0x440, v0
	ds_read2_b64 v[38:41], v34 offset1:16
	v_cndmask_b32_e32 v0, v46, v0, vcc
	ds_read2_b64 v[46:49], v34 offset0:32 offset1:48
	s_mul_hi_i32 s3, s22, s21
	s_waitcnt lgkmcnt(1)
	v_mfma_f32_16x16x16_bf16 a[0:3], v[42:43], v[38:39], 0
	v_or_b32_e32 v0, v0, v58
	s_addc_u32 s3, s3, s37
	v_or_b32_e32 v37, 0x60, v37
	v_mfma_f32_16x16x16_bf16 a[4:7], v[42:43], v[40:41], 0
	v_xor_b32_e32 v85, v0, v45
	s_lshl_b64 s[0:1], s[2:3], 9
	v_xor_b32_e32 v37, v76, v37
	s_waitcnt lgkmcnt(0)
	v_mfma_f32_16x16x16_bf16 a[8:11], v[42:43], v[46:47], 0
	v_add3_u32 v0, v59, v85, v51
	s_add_u32 s0, s40, s0
	ds_read_b64 v[78:79], v0
	v_mfma_f32_16x16x16_bf16 a[12:15], v[42:43], v[48:49], 0
	v_or3_b32 v42, v58, v53, v80
	v_xor_b32_e32 v42, v42, v45
	v_or_b32_e32 v86, v42, v51
	v_or_b32_e32 v42, v59, v86
	v_xor_b32_e32 v43, 0x440, v37
	s_addc_u32 s1, s41, s1
	v_cndmask_b32_e32 v37, v43, v37, vcc
	ds_read_b64 v[42:43], v42
	v_lshlrev_b32_e32 v0, 2, v54
	global_load_dwordx4 v[54:57], v0, s[0:1]
	ds_read2st64_b64 v[60:63], v34 offset0:4 offset1:8
	ds_read2st64_b64 v[64:67], v35 offset0:4 offset1:8
	;; [unrolled: 1-line block ×4, first 2 shown]
	v_or_b32_e32 v37, v37, v58
	v_xor_b32_e32 v87, v37, v45
	v_lshlrev_b32_e32 v37, 6, v77
	v_lshlrev_b32_e32 v45, 2, v52
	v_or3_b32 v37, v37, v45, s4
	s_waitcnt lgkmcnt(3)
	v_mfma_f32_16x16x16_bf16 a[0:3], v[78:79], v[60:61], a[0:3]
	v_mov_b32_e32 v0, 0x3fb8aa3b
	v_mul_f32_e32 v0, s20, v0
	v_exp_f32_e32 v0, v0
	s_waitcnt lgkmcnt(2)
	v_mfma_f32_16x16x16_bf16 a[4:7], v[78:79], v[64:65], a[4:7]
	s_waitcnt lgkmcnt(1)
	v_mfma_f32_16x16x16_bf16 a[8:11], v[78:79], v[68:69], a[8:11]
	;; [unrolled: 2-line block ×3, first 2 shown]
	global_load_dwordx4 v[76:79], v37, s[0:1]
	v_add3_u32 v37, v59, v87, v51
	ds_read_b64 v[52:53], v37
	v_mfma_f32_16x16x16_bf16 a[0:3], v[42:43], v[62:63], a[0:3]
	ds_read_b64 v[58:59], v34 offset:6144
	ds_read_b64 v[80:81], v35 offset:6144
	;; [unrolled: 1-line block ×4, first 2 shown]
	s_waitcnt vmcnt(1)
	v_mul_f32_e32 v34, 0x3fb8aa3b, v54
	v_mfma_f32_16x16x16_bf16 a[4:7], v[42:43], v[66:67], a[4:7]
	v_mul_f32_e32 v35, 0x3fb8aa3b, v55
	v_exp_f32_e32 v34, v34
	v_exp_f32_e32 v35, v35
	v_mfma_f32_16x16x16_bf16 a[8:11], v[42:43], v[70:71], a[8:11]
	v_mul_f32_e32 v36, 0x3fb8aa3b, v56
	v_mul_f32_e32 v37, 0x3fb8aa3b, v57
	v_exp_f32_e32 v36, v36
	v_mfma_f32_16x16x16_bf16 a[12:15], v[42:43], v[74:75], a[12:15]
	v_add_u32_e32 v42, v84, v51
	ds_read_b64 v[42:43], v42 offset:40960
	v_exp_f32_e32 v37, v37
	s_waitcnt lgkmcnt(4)
	v_mfma_f32_16x16x16_bf16 a[0:3], v[52:53], v[58:59], a[0:3]
	v_pk_mul_f32 v[34:35], v[0:1], v[34:35] op_sel_hi:[0,1]
	v_pk_mul_f32 v[30:31], v[30:31], v[34:35]
	v_pk_mul_f32 v[36:37], v[0:1], v[36:37] op_sel_hi:[0,1]
	s_waitcnt lgkmcnt(1)
	v_mfma_f32_16x16x16_bf16 a[12:15], v[52:53], v[44:45], a[12:15]
	v_pk_mul_f32 v[32:33], v[32:33], v[36:37]
	v_pk_mul_f32 v[26:27], v[34:35], v[26:27]
	;; [unrolled: 1-line block ×3, first 2 shown]
	v_mfma_f32_16x16x16_bf16 a[4:7], v[52:53], v[80:81], a[4:7]
	v_add_u32_e32 v54, v85, v51
	v_add_u32_e32 v51, v87, v51
	ds_read_b64 v[54:55], v54 offset:40960
	ds_read_b64 v[56:57], v51 offset:40960
	v_mfma_f32_16x16x16_bf16 a[8:11], v[52:53], v[82:83], a[8:11]
	v_accvgpr_read_b32 v53, a15
	v_accvgpr_read_b32 v52, a14
	v_pk_mul_f32 v[22:23], v[34:35], v[22:23]
	s_waitcnt lgkmcnt(2)
	v_mfma_f32_16x16x16_bf16 a[14:17], v[42:43], v[38:39], 0
	v_accvgpr_read_b32 v38, a0
	v_add_f32_e32 v30, v30, v38
	v_accvgpr_read_b32 v38, a1
	v_add_f32_e32 v31, v31, v38
	;; [unrolled: 2-line block ×8, first 2 shown]
	ds_read_b64 v[38:39], v86 offset:40960
	v_mfma_f32_16x16x16_bf16 a[18:21], v[42:43], v[40:41], 0
	v_accvgpr_read_b32 v40, a8
	v_add_f32_e32 v22, v22, v40
	v_accvgpr_read_b32 v40, a9
	s_waitcnt lgkmcnt(2)
	v_mfma_f32_16x16x16_bf16 a[14:17], v[54:55], v[60:61], a[14:17]
	v_pk_mul_f32 v[24:25], v[36:37], v[24:25]
	v_add_f32_e32 v23, v23, v40
	v_accvgpr_read_b32 v40, a10
	v_add_f32_e32 v24, v24, v40
	v_accvgpr_read_b32 v40, a11
	;; [unrolled: 2-line block ×3, first 2 shown]
	v_mfma_f32_16x16x16_bf16 a[22:25], v[42:43], v[46:47], 0
	v_accvgpr_read_b32 v40, a12
	v_pk_fma_f32 v[2:3], v[34:35], v[2:3], v[40:41]
	v_pk_fma_f32 v[4:5], v[36:37], v[4:5], v[52:53]
	v_mfma_f32_16x16x16_bf16 a[4:7], v[54:55], v[64:65], a[18:21]
	s_waitcnt vmcnt(0)
	v_mov_b32_e32 v34, v77
	v_mov_b32_e32 v35, v78
	;; [unrolled: 1-line block ×3, first 2 shown]
	s_waitcnt lgkmcnt(0)
	v_mfma_f32_16x16x16_bf16 a[8:11], v[38:39], v[62:63], a[14:17]
	v_mul_f32_e32 v37, 0x3fb8aa3b, v76
	v_mul_f32_e32 v34, 0x3fb8aa3b, v34
	v_exp_f32_e32 v40, v37
	v_mfma_f32_16x16x16_bf16 a[0:3], v[42:43], v[48:49], 0
	v_exp_f32_e32 v41, v34
	v_mul_f32_e32 v34, 0x3fb8aa3b, v35
	v_mul_f32_e32 v35, 0x3fb8aa3b, v36
	v_mfma_f32_16x16x16_bf16 a[18:21], v[54:55], v[68:69], a[22:25]
	v_exp_f32_e32 v34, v34
	v_exp_f32_e32 v35, v35
	v_pk_mul_f32 v[36:37], v[0:1], v[40:41] op_sel_hi:[0,1]
	v_mfma_f32_16x16x16_bf16 a[4:7], v[38:39], v[66:67], a[4:7]
	v_pk_mul_f32 v[18:19], v[18:19], v[36:37]
	v_pk_mul_f32 v[34:35], v[0:1], v[34:35] op_sel_hi:[0,1]
	v_pk_mul_f32 v[20:21], v[20:21], v[34:35]
	v_mfma_f32_16x16x16_bf16 a[8:11], v[56:57], v[58:59], a[8:11]
	v_pk_mul_f32 v[14:15], v[36:37], v[14:15]
	v_pk_mul_f32 v[16:17], v[34:35], v[16:17]
	;; [unrolled: 1-line block ×3, first 2 shown]
	v_mfma_f32_16x16x16_bf16 a[0:3], v[54:55], v[72:73], a[0:3]
	v_pk_mul_f32 v[12:13], v[34:35], v[12:13]
	v_mfma_f32_16x16x16_bf16 a[12:15], v[38:39], v[70:71], a[18:21]
	s_nop 0
	v_accvgpr_read_b32 v0, a8
	v_add_f32_e32 v18, v18, v0
	v_accvgpr_read_b32 v0, a9
	v_mfma_f32_16x16x16_bf16 a[4:7], v[56:57], v[80:81], a[4:7]
	v_add_f32_e32 v19, v19, v0
	v_accvgpr_read_b32 v0, a10
	v_add_f32_e32 v20, v20, v0
	v_mfma_f32_16x16x16_bf16 a[0:3], v[38:39], v[74:75], a[0:3]
	v_accvgpr_read_b32 v0, a11
	v_add_f32_e32 v21, v21, v0
	v_mfma_f32_16x16x16_bf16 a[12:15], v[56:57], v[82:83], a[12:15]
	v_accvgpr_read_b32 v0, a4
	v_add_f32_e32 v14, v14, v0
	v_accvgpr_read_b32 v0, a5
	v_mfma_f32_16x16x16_bf16 a[0:3], v[56:57], v[44:45], a[0:3]
	v_add_f32_e32 v15, v15, v0
	v_accvgpr_read_b32 v0, a6
	v_add_f32_e32 v16, v16, v0
	v_accvgpr_read_b32 v0, a7
	;; [unrolled: 2-line block ×5, first 2 shown]
	v_accvgpr_read_b32 v41, a1
	v_accvgpr_read_b32 v39, a3
	;; [unrolled: 1-line block ×3, first 2 shown]
	v_add_f32_e32 v12, v12, v0
	v_accvgpr_read_b32 v0, a15
	v_accvgpr_read_b32 v40, a0
	v_add_f32_e32 v13, v13, v0
	v_pk_fma_f32 v[6:7], v[36:37], v[6:7], v[40:41]
	v_pk_fma_f32 v[8:9], v[34:35], v[8:9], v[38:39]
	v_mov_b32_e32 v34, v50
.LBB213_101:
	s_mul_i32 s0, s33, s35
	s_mul_hi_u32 s1, s33, s34
	s_add_i32 s0, s1, s0
	s_mul_i32 s1, s48, s34
	s_add_i32 s1, s0, s1
	s_mul_i32 s0, s33, s34
	s_add_u32 s0, s0, s49
	s_addc_u32 s1, s1, s37
	s_lshl_b64 s[0:1], s[0:1], 16
	s_add_u32 s0, s8, s0
	v_lshlrev_b32_e32 v34, 7, v34
	s_addc_u32 s1, s9, s1
	v_ashrrev_i32_e32 v35, 31, v34
	v_lshl_add_u64 v[36:37], v[34:35], 2, s[0:1]
	v_lshlrev_b32_e32 v0, 2, v1
	v_mov_b32_e32 v1, 0
	v_lshl_add_u64 v[36:37], v[36:37], 0, v[0:1]
	global_store_dwordx4 v[36:37], v[30:33], off
	global_store_dwordx4 v[36:37], v[18:21], off offset:256
	s_nop 1
	v_or_b32_e32 v18, 0x800, v34
	v_ashrrev_i32_e32 v19, 31, v18
	v_lshl_add_u64 v[18:19], v[18:19], 2, s[0:1]
	v_lshl_add_u64 v[18:19], v[18:19], 0, v[0:1]
	global_store_dwordx4 v[18:19], v[26:29], off
	global_store_dwordx4 v[18:19], v[14:17], off offset:256
	s_nop 1
	v_or_b32_e32 v14, 0x1000, v34
	v_ashrrev_i32_e32 v15, 31, v14
	v_lshl_add_u64 v[14:15], v[14:15], 2, s[0:1]
	;; [unrolled: 7-line block ×3, first 2 shown]
	v_lshl_add_u64 v[0:1], v[10:11], 0, v[0:1]
	global_store_dwordx4 v[0:1], v[2:5], off
	global_store_dwordx4 v[0:1], v[6:9], off offset:256
	s_endpgm
	.section	.rodata,"a",@progbits
	.p2align	6, 0x0
	.amdhsa_kernel _ZN12_GLOBAL__N_139chunk_gated_delta_rule_fwd_h_hip_kernelILi64ELb0ELb1ELb1ELb1ELb0ELb1ELb0ELb0EEEvPK12hip_bfloat16S3_S3_PKfS5_PKvPS1_S8_PvPKiSB_iiiiilll
		.amdhsa_group_segment_fixed_size 65536
		.amdhsa_private_segment_fixed_size 0
		.amdhsa_kernarg_size 136
		.amdhsa_user_sgpr_count 2
		.amdhsa_user_sgpr_dispatch_ptr 0
		.amdhsa_user_sgpr_queue_ptr 0
		.amdhsa_user_sgpr_kernarg_segment_ptr 1
		.amdhsa_user_sgpr_dispatch_id 0
		.amdhsa_user_sgpr_kernarg_preload_length 0
		.amdhsa_user_sgpr_kernarg_preload_offset 0
		.amdhsa_user_sgpr_private_segment_size 0
		.amdhsa_uses_dynamic_stack 0
		.amdhsa_enable_private_segment 0
		.amdhsa_system_sgpr_workgroup_id_x 1
		.amdhsa_system_sgpr_workgroup_id_y 1
		.amdhsa_system_sgpr_workgroup_id_z 0
		.amdhsa_system_sgpr_workgroup_info 0
		.amdhsa_system_vgpr_workitem_id 0
		.amdhsa_next_free_vgpr 232
		.amdhsa_next_free_sgpr 69
		.amdhsa_accum_offset 192
		.amdhsa_reserve_vcc 1
		.amdhsa_float_round_mode_32 0
		.amdhsa_float_round_mode_16_64 0
		.amdhsa_float_denorm_mode_32 3
		.amdhsa_float_denorm_mode_16_64 3
		.amdhsa_dx10_clamp 1
		.amdhsa_ieee_mode 1
		.amdhsa_fp16_overflow 0
		.amdhsa_tg_split 0
		.amdhsa_exception_fp_ieee_invalid_op 0
		.amdhsa_exception_fp_denorm_src 0
		.amdhsa_exception_fp_ieee_div_zero 0
		.amdhsa_exception_fp_ieee_overflow 0
		.amdhsa_exception_fp_ieee_underflow 0
		.amdhsa_exception_fp_ieee_inexact 0
		.amdhsa_exception_int_div_zero 0
	.end_amdhsa_kernel
	.section	.text._ZN12_GLOBAL__N_139chunk_gated_delta_rule_fwd_h_hip_kernelILi64ELb0ELb1ELb1ELb1ELb0ELb1ELb0ELb0EEEvPK12hip_bfloat16S3_S3_PKfS5_PKvPS1_S8_PvPKiSB_iiiiilll,"axG",@progbits,_ZN12_GLOBAL__N_139chunk_gated_delta_rule_fwd_h_hip_kernelILi64ELb0ELb1ELb1ELb1ELb0ELb1ELb0ELb0EEEvPK12hip_bfloat16S3_S3_PKfS5_PKvPS1_S8_PvPKiSB_iiiiilll,comdat
.Lfunc_end213:
	.size	_ZN12_GLOBAL__N_139chunk_gated_delta_rule_fwd_h_hip_kernelILi64ELb0ELb1ELb1ELb1ELb0ELb1ELb0ELb0EEEvPK12hip_bfloat16S3_S3_PKfS5_PKvPS1_S8_PvPKiSB_iiiiilll, .Lfunc_end213-_ZN12_GLOBAL__N_139chunk_gated_delta_rule_fwd_h_hip_kernelILi64ELb0ELb1ELb1ELb1ELb0ELb1ELb0ELb0EEEvPK12hip_bfloat16S3_S3_PKfS5_PKvPS1_S8_PvPKiSB_iiiiilll
                                        ; -- End function
	.section	.AMDGPU.csdata,"",@progbits
; Kernel info:
; codeLenInByte = 13116
; NumSgprs: 75
; NumVgprs: 192
; NumAgprs: 40
; TotalNumVgprs: 232
; ScratchSize: 0
; MemoryBound: 0
; FloatMode: 240
; IeeeMode: 1
; LDSByteSize: 65536 bytes/workgroup (compile time only)
; SGPRBlocks: 9
; VGPRBlocks: 28
; NumSGPRsForWavesPerEU: 75
; NumVGPRsForWavesPerEU: 232
; AccumOffset: 192
; Occupancy: 1
; WaveLimiterHint : 1
; COMPUTE_PGM_RSRC2:SCRATCH_EN: 0
; COMPUTE_PGM_RSRC2:USER_SGPR: 2
; COMPUTE_PGM_RSRC2:TRAP_HANDLER: 0
; COMPUTE_PGM_RSRC2:TGID_X_EN: 1
; COMPUTE_PGM_RSRC2:TGID_Y_EN: 1
; COMPUTE_PGM_RSRC2:TGID_Z_EN: 0
; COMPUTE_PGM_RSRC2:TIDIG_COMP_CNT: 0
; COMPUTE_PGM_RSRC3_GFX90A:ACCUM_OFFSET: 47
; COMPUTE_PGM_RSRC3_GFX90A:TG_SPLIT: 0
	.section	.text._ZN12_GLOBAL__N_139chunk_gated_delta_rule_fwd_h_hip_kernelILi64ELb0ELb1ELb0ELb1ELb0ELb1ELb0ELb0EEEvPK12hip_bfloat16S3_S3_PKfS5_PKvPS1_S8_PvPKiSB_iiiiilll,"axG",@progbits,_ZN12_GLOBAL__N_139chunk_gated_delta_rule_fwd_h_hip_kernelILi64ELb0ELb1ELb0ELb1ELb0ELb1ELb0ELb0EEEvPK12hip_bfloat16S3_S3_PKfS5_PKvPS1_S8_PvPKiSB_iiiiilll,comdat
	.globl	_ZN12_GLOBAL__N_139chunk_gated_delta_rule_fwd_h_hip_kernelILi64ELb0ELb1ELb0ELb1ELb0ELb1ELb0ELb0EEEvPK12hip_bfloat16S3_S3_PKfS5_PKvPS1_S8_PvPKiSB_iiiiilll ; -- Begin function _ZN12_GLOBAL__N_139chunk_gated_delta_rule_fwd_h_hip_kernelILi64ELb0ELb1ELb0ELb1ELb0ELb1ELb0ELb0EEEvPK12hip_bfloat16S3_S3_PKfS5_PKvPS1_S8_PvPKiSB_iiiiilll
	.p2align	8
	.type	_ZN12_GLOBAL__N_139chunk_gated_delta_rule_fwd_h_hip_kernelILi64ELb0ELb1ELb0ELb1ELb0ELb1ELb0ELb0EEEvPK12hip_bfloat16S3_S3_PKfS5_PKvPS1_S8_PvPKiSB_iiiiilll,@function
_ZN12_GLOBAL__N_139chunk_gated_delta_rule_fwd_h_hip_kernelILi64ELb0ELb1ELb0ELb1ELb0ELb1ELb0ELb0EEEvPK12hip_bfloat16S3_S3_PKfS5_PKvPS1_S8_PvPKiSB_iiiiilll: ; @_ZN12_GLOBAL__N_139chunk_gated_delta_rule_fwd_h_hip_kernelILi64ELb0ELb1ELb0ELb1ELb0ELb1ELb0ELb0EEEvPK12hip_bfloat16S3_S3_PKfS5_PKvPS1_S8_PvPKiSB_iiiiilll
; %bb.0:
	s_load_dwordx4 s[16:19], s[0:1], 0x5c
	s_load_dwordx8 s[4:11], s[0:1], 0x0
	s_load_dwordx4 s[20:23], s[0:1], 0x70
	s_abs_i32 s27, s3
	s_ashr_i32 s26, s3, 31
	s_waitcnt lgkmcnt(0)
	s_abs_i32 s28, s17
	v_cvt_f32_u32_e32 v1, s28
	s_sub_i32 s29, 0, s28
	s_ashr_i32 s46, s17, 31
	s_xor_b32 s26, s26, s46
	v_rcp_iflag_f32_e32 v1, v1
	s_load_dwordx2 s[36:37], s[0:1], 0x20
	s_load_dwordx2 s[40:41], s[0:1], 0x30
	s_load_dwordx4 s[12:15], s[0:1], 0x40
	s_load_dwordx2 s[24:25], s[0:1], 0x50
	v_lshrrev_b32_e32 v77, 6, v0
	v_bfe_u32 v86, v0, 4, 2
	v_mul_f32_e32 v1, 0x4f7ffffe, v1
	v_cvt_u32_f32_e32 v1, v1
	v_lshlrev_b32_e32 v84, 4, v77
	v_lshlrev_b32_e32 v34, 2, v86
	v_and_b32_e32 v85, 63, v0
	v_readfirstlane_b32 s30, v1
	s_mul_i32 s29, s29, s30
	s_mul_hi_u32 s29, s30, s29
	s_add_i32 s30, s30, s29
	s_mul_hi_u32 s29, s27, s30
	s_mul_i32 s30, s29, s28
	s_sub_i32 s27, s27, s30
	s_add_i32 s30, s29, 1
	s_sub_i32 s31, s27, s28
	s_cmp_ge_u32 s27, s28
	s_cselect_b32 s29, s30, s29
	s_cselect_b32 s27, s31, s27
	s_add_i32 s30, s29, 1
	s_cmp_ge_u32 s27, s28
	s_cselect_b32 s27, s30, s29
	s_xor_b32 s27, s27, s26
	s_sub_i32 s34, s27, s26
	s_mul_i32 s26, s34, s17
	s_ashr_i32 s35, s34, 31
	s_sub_i32 s47, s3, s26
	s_lshl_b64 s[26:27], s[34:35], 2
	s_waitcnt lgkmcnt(0)
	s_add_u32 s14, s14, s26
	s_addc_u32 s15, s15, s27
	s_add_u32 s24, s24, s26
	s_addc_u32 s25, s25, s27
	s_abs_i32 s3, s18
	v_cvt_f32_u32_e32 v1, s3
	s_load_dwordx2 s[38:39], s[14:15], 0x0
	s_load_dword s52, s[24:25], 0x0
	v_mov_b32_e32 v25, 0
	v_rcp_iflag_f32_e32 v1, v1
	s_load_dwordx2 s[14:15], s[0:1], 0x80
	s_sub_i32 s1, 0, s3
	s_waitcnt lgkmcnt(0)
	s_sub_i32 s56, s39, s38
	v_mul_f32_e32 v1, 0x4f7ffffe, v1
	v_cvt_u32_f32_e32 v1, v1
	s_ashr_i32 s0, s56, 31
	s_lshr_b32 s0, s0, 26
	s_add_i32 s0, s56, s0
	v_readfirstlane_b32 s26, v1
	s_mul_i32 s1, s1, s26
	s_mul_hi_u32 s1, s26, s1
	s_add_i32 s26, s26, s1
	s_mul_hi_u32 s1, s28, s26
	s_mul_i32 s26, s1, s3
	s_ashr_i32 s51, s0, 6
	s_ashr_i32 s0, s18, 31
	s_sub_i32 s26, s28, s26
	s_xor_b32 s0, s46, s0
	s_add_i32 s27, s1, 1
	s_sub_i32 s28, s26, s3
	s_cmp_ge_u32 s26, s3
	s_cselect_b32 s1, s27, s1
	s_cselect_b32 s26, s28, s26
	s_add_i32 s27, s1, 1
	s_cmp_ge_u32 s26, s3
	s_cselect_b32 s1, s27, s1
	s_xor_b32 s1, s1, s0
	s_sub_i32 s1, s1, s0
	s_abs_i32 s3, s1
	v_cvt_f32_u32_e32 v1, s3
	s_sub_i32 s25, 0, s3
	s_abs_i32 s24, s47
	s_xor_b32 s1, s47, s1
	v_rcp_iflag_f32_e32 v1, v1
	s_ashr_i32 s1, s1, 31
	s_mov_b32 s0, 0
	s_mov_b32 s33, s17
	v_mul_f32_e32 v1, 0x4f7ffffe, v1
	v_cvt_u32_f32_e32 v1, v1
	v_and_b32_e32 v87, 15, v0
	s_mul_hi_i32 s53, s47, s16
	s_mul_i32 s55, s47, s16
	v_readfirstlane_b32 s26, v1
	s_mul_i32 s25, s25, s26
	s_mul_hi_u32 s25, s26, s25
	s_add_i32 s26, s26, s25
	s_mul_hi_u32 s25, s24, s26
	s_mul_i32 s26, s25, s3
	s_sub_i32 s24, s24, s26
	s_add_i32 s26, s25, 1
	s_sub_i32 s27, s24, s3
	s_cmp_ge_u32 s24, s3
	s_cselect_b32 s25, s26, s25
	s_cselect_b32 s24, s27, s24
	s_add_i32 s26, s25, 1
	s_cmp_ge_u32 s24, s3
	s_cselect_b32 s3, s26, s25
	s_xor_b32 s3, s3, s1
	s_sub_i32 s54, s3, s1
	v_or_b32_e32 v1, v34, v84
	s_lshl_b32 s2, s2, 6
	s_mov_b32 s1, s0
	v_or_b32_e32 v90, 64, v1
	s_cmp_lt_i32 s56, 64
	v_mov_b64_e32 v[2:3], s[0:1]
	v_lshrrev_b32_e32 v89, 3, v85
	v_lshlrev_b32_e32 v88, 3, v0
	s_mul_i32 s48, s34, s21
	s_mul_hi_u32 s49, s34, s20
	s_mul_i32 s50, s35, s20
	s_mul_i32 s20, s34, s20
	v_mov_b32_e32 v24, v25
	v_mov_b32_e32 v23, v25
	;; [unrolled: 1-line block ×23, first 2 shown]
	v_mov_b64_e32 v[4:5], s[0:1]
	v_mov_b64_e32 v[6:7], s[0:1]
	;; [unrolled: 1-line block ×3, first 2 shown]
	s_cbranch_scc1 .LBB214_18
; %bb.1:
	s_ashr_i32 s58, s47, 31
	s_ashr_i32 s1, s38, 31
	s_add_u32 s0, s55, s38
	s_addc_u32 s1, s53, s1
	s_lshl_b64 s[0:1], s[0:1], 8
	v_and_b32_e32 v92, 56, v88
	s_add_u32 s24, s6, s0
	v_lshl_or_b32 v91, v77, 3, v89
	v_lshlrev_b32_e32 v2, 1, v92
	s_addc_u32 s0, s7, s1
	v_lshl_or_b32 v93, v91, 8, v2
	s_and_b32 s25, s0, 0xffff
	s_mov_b32 s27, 0x20000
	s_movk_i32 s26, 0x4000
	s_movk_i32 s0, 0x80
	v_or_b32_e32 v94, 0x2000, v93
	buffer_load_dwordx4 v[4:7], v93, s[24:27], 0 offen
	buffer_load_dwordx4 v[8:11], v93, s[24:27], s0 offen
	;; [unrolled: 1-line block ×4, first 2 shown]
	v_lshlrev_b32_e32 v3, 3, v91
	v_and_or_b32 v21, v0, 7, v3
	v_and_b32_e32 v3, 0x78, v3
	v_lshlrev_b32_e32 v21, 4, v21
	v_xor_b32_e32 v95, v21, v3
	v_mul_lo_u32 v20, v91, s19
	v_or_b32_e32 v96, 0x1000, v95
	v_xor_b32_e32 v3, 8, v95
	s_cmpk_eq_i32 s19, 0x80
	s_mov_b32 s57, s38
	v_xor_b32_e32 v21, 8, v96
	s_cselect_b64 s[0:1], -1, 0
	s_cmpk_lg_i32 s19, 0x80
	s_waitcnt vmcnt(3)
	ds_write_b64 v95, v[4:5] offset:49152
	ds_write_b64 v3, v[6:7] offset:49152
	s_waitcnt vmcnt(2)
	ds_write_b64 v95, v[8:9] offset:57344
	ds_write_b64 v3, v[10:11] offset:57344
	;; [unrolled: 3-line block ×4, first 2 shown]
	v_lshl_add_u32 v3, v20, 1, v92
	s_cbranch_scc0 .LBB214_3
; %bb.2:
	v_lshlrev_b32_e32 v5, 1, v3
	v_add_lshl_u32 v4, v3, s19, 1
	s_lshl_b32 s26, s19, 7
	v_lshl_or_b32 v2, v91, 9, v2
	s_cbranch_execz .LBB214_4
	s_branch .LBB214_5
.LBB214_3:
                                        ; implicit-def: $vgpr4
                                        ; implicit-def: $vgpr5
                                        ; implicit-def: $sgpr26
	v_lshl_or_b32 v2, v91, 9, v2
.LBB214_4:
	v_or_b32_e32 v4, 0x100, v2
	s_movk_i32 s26, 0x4000
	v_mov_b32_e32 v5, v2
.LBB214_5:
	s_mul_i32 s21, s38, s18
	s_ashr_i32 s59, s54, 31
	s_mul_hi_i32 s3, s38, s18
	s_add_u32 s24, s21, s54
	s_addc_u32 s25, s3, s59
	s_lshl_b64 s[24:25], s[24:25], 8
	s_add_u32 s24, s4, s24
	s_addc_u32 s3, s5, s25
	s_and_b32 s25, s3, 0xffff
	s_movk_i32 s60, 0x80
	buffer_load_dwordx4 v[6:9], v5, s[24:27], 0 offen
	buffer_load_dwordx4 v[10:13], v5, s[24:27], s60 offen
	;; [unrolled: 1-line block ×4, first 2 shown]
	v_and_b32_e32 v5, 6, v0
	v_lshlrev_b32_e32 v4, 7, v1
	v_xor_b32_e32 v27, v91, v5
	v_and_b32_e32 v22, 1, v0
	v_lshl_or_b32 v30, v87, 3, v4
	v_lshlrev_b32_e32 v27, 2, v27
	v_lshlrev_b32_e32 v23, 2, v87
	v_or_b32_e32 v97, 0x4000, v30
	v_or_b32_e32 v98, 0x6000, v30
	v_xor_b32_e32 v30, 0x440, v27
	v_cmp_eq_u32_e32 vcc, 0, v22
	v_or_b32_e32 v25, 16, v87
	v_or_b32_e32 v26, 32, v87
	v_xor_b32_e32 v28, v1, v23
	v_xor_b32_e32 v29, v90, v23
	v_cndmask_b32_e32 v22, v30, v27, vcc
	s_add_i32 s3, s49, s48
	s_mov_b32 s61, 0x1000504
	v_lshl_or_b32 v31, v25, 3, v4
	v_lshlrev_b32_e32 v25, 8, v25
	v_lshl_or_b32 v32, v26, 3, v4
	v_lshlrev_b32_e32 v28, 1, v28
	v_lshlrev_b32_e32 v29, 1, v29
	v_lshl_or_b32 v5, v5, 10, v22
	s_add_i32 s21, s3, s50
	s_mul_i32 s3, s47, s23
	s_mul_hi_u32 s24, s47, s22
	s_mov_b32 s62, 0x3020706
	v_lshlrev_b32_e32 v24, 8, v87
	v_or_b32_e32 v101, 0x4000, v32
	v_or_b32_e32 v102, 0x6000, v32
	;; [unrolled: 1-line block ×4, first 2 shown]
	v_xor_b32_e32 v22, 8, v5
	v_xor_b32_e32 v25, 24, v5
	;; [unrolled: 1-line block ×4, first 2 shown]
	s_add_i32 s3, s24, s3
	s_mul_i32 s24, s58, s22
	v_or_b32_e32 v99, 0x4000, v31
	v_or_b32_e32 v100, 0x6000, v31
	;; [unrolled: 1-line block ×4, first 2 shown]
	v_xor_b32_e32 v24, 16, v5
	v_xor_b32_e32 v27, 32, v5
	;; [unrolled: 1-line block ×3, first 2 shown]
	v_add_u32_e32 v22, 0x80, v22
	v_add_u32_e32 v25, 0x80, v25
	;; [unrolled: 1-line block ×4, first 2 shown]
	s_add_i32 s25, s3, s24
	s_lshl_b64 s[28:29], s[20:21], 2
	s_mul_i32 s24, s47, s22
	s_add_u32 s3, s10, s28
	s_addc_u32 s21, s11, s29
	s_lshl_b64 s[24:25], s[24:25], 2
	s_add_u32 s42, s3, s24
	s_movk_i32 s3, 0xf8
	s_addc_u32 s43, s21, s25
	s_lshl_b32 s30, s19, 7
	s_movk_i32 s21, 0x100
	v_mov_b32_e32 v79, 0
	v_lshlrev_b32_e32 v78, 4, v87
	v_lshlrev_b32_e32 v26, 8, v26
	s_mov_b32 s64, 0
	s_movk_i32 s26, 0x4000
	v_or_b32_e32 v107, v26, v28
	v_or_b32_e32 v108, v26, v29
	v_add_u32_e32 v134, v84, v34
	s_movk_i32 s63, 0x3000
	v_mov_b32_e32 v144, 0x3fb8aa3b
	v_mov_b32_e32 v26, v79
	s_waitcnt vmcnt(1)
	v_perm_b32 v33, v6, v14, s61
	s_waitcnt vmcnt(0)
	v_perm_b32 v35, v10, v18, s61
	v_perm_b32 v6, v6, v14, s62
	;; [unrolled: 1-line block ×15, first 2 shown]
	ds_write2st64_b32 v5, v33, v35 offset0:128 offset1:160
	ds_write2st64_b32 v22, v6, v10 offset0:128 offset1:160
	;; [unrolled: 1-line block ×8, first 2 shown]
	v_or_b32_e32 v5, 48, v87
	v_lshl_or_b32 v6, v5, 3, v4
	v_lshlrev_b32_e32 v5, 8, v5
	v_or_b32_e32 v111, v5, v28
	v_or_b32_e32 v112, v5, v29
	;; [unrolled: 1-line block ×3, first 2 shown]
	v_lshlrev_b32_e32 v5, 3, v5
	v_lshrrev_b32_e32 v7, 5, v85
	v_and_or_b32 v7, v5, s3, v7
	v_lshlrev_b32_e32 v7, 4, v7
	v_or_b32_e32 v109, 0x4000, v6
	v_or_b32_e32 v110, 0x6000, v6
	v_lshrrev_b32_e32 v6, 2, v85
	v_lshlrev_b32_e32 v11, 11, v77
	v_and_b32_e32 v5, 0x78, v5
	v_or_b32_e32 v13, 32, v7
	v_and_b32_e32 v10, 12, v6
	v_and_b32_e32 v6, 0x1000, v11
	v_lshrrev_b32_e32 v9, 1, v85
	v_xor_b32_e32 v13, v13, v5
	v_xor_b32_e32 v8, v7, v5
	v_and_b32_e32 v9, 8, v9
	v_or_b32_e32 v13, v13, v6
	v_or_b32_e32 v8, v8, v6
	v_lshlrev_b32_e32 v12, 8, v86
	v_xor_b32_e32 v115, v13, v9
	v_or_b32_e32 v13, 64, v7
	v_or_b32_e32 v7, 0x60, v7
	v_xor_b32_e32 v113, v8, v9
	v_or_b32_e32 v8, v12, v23
	v_xor_b32_e32 v13, v13, v5
	v_xor_b32_e32 v5, v7, v5
	s_ashr_i32 s3, s2, 31
	v_lshlrev_b32_e32 v8, 1, v8
	v_or_b32_e32 v13, v13, v6
	v_or_b32_e32 v5, v5, v6
	s_lshl_b64 s[24:25], s[2:3], 8
	v_lshlrev_b32_e32 v17, 2, v0
	v_or_b32_e32 v114, 0x4000, v8
	v_or_b32_e32 v116, 0x4080, v8
	;; [unrolled: 1-line block ×4, first 2 shown]
	v_xor_b32_e32 v119, v13, v9
	v_xor_b32_e32 v120, v5, v9
	v_or_b32_e32 v121, 0x6000, v8
	v_or_b32_e32 v122, 0x6080, v8
	;; [unrolled: 1-line block ×4, first 2 shown]
	v_lshlrev_b32_e32 v5, 1, v3
	v_add_lshl_u32 v3, v3, s19, 1
	v_or_b32_e32 v13, 0x100, v2
	s_add_u32 s24, s40, s24
	v_lshlrev_b32_e32 v8, 1, v87
	v_lshrrev_b32_e32 v18, 1, v0
	v_and_or_b32 v12, v17, 60, v12
	v_lshrrev_b32_e32 v14, 4, v0
	s_addc_u32 s25, s41, s25
	v_or_b32_e32 v9, 1, v8
	v_and_b32_e32 v18, 24, v18
	v_lshlrev_b32_e32 v12, 1, v12
	v_cndmask_b32_e64 v131, v5, v2, s[0:1]
	v_cndmask_b32_e64 v132, v3, v13, s[0:1]
	v_mov_b32_e32 v3, 0xa000
	v_mov_b32_e32 v5, 0x8000
	v_cmp_gt_u32_e64 s[0:1], s21, v0
	v_xor_b32_e32 v15, v14, v8
	v_xor_b32_e32 v16, v9, v14
	v_lshl_add_u64 v[8:9], s[24:25], 0, v[78:79]
	v_lshlrev_b32_e32 v78, 8, v14
	v_or_b32_e32 v127, 0x6000, v12
	v_or_b32_e32 v17, 32, v18
	;; [unrolled: 1-line block ×6, first 2 shown]
	v_cndmask_b32_e64 v3, v3, v5, s[0:1]
	v_lshlrev_b32_e32 v5, 3, v77
	v_lshl_or_b32 v125, v15, 3, v78
	v_and_b32_e32 v15, 8, v0
	v_xor_b32_e32 v13, v5, v18
	v_xor_b32_e32 v17, v5, v17
	;; [unrolled: 1-line block ×3, first 2 shown]
	v_mov_b32_e32 v19, 0x400
	v_cmp_eq_u32_e32 vcc, 0, v15
	v_or_b32_e32 v18, 0x440, v13
	v_or_b32_e32 v20, 0x440, v17
	v_xor_b32_e32 v12, 0x440, v5
	v_and_b32_e32 v14, 7, v0
	v_cndmask_b32_e64 v15, v19, 64, vcc
	v_cndmask_b32_e32 v18, v18, v13, vcc
	v_cndmask_b32_e32 v17, v20, v17, vcc
	;; [unrolled: 1-line block ×3, first 2 shown]
	v_lshl_or_b32 v126, v16, 3, v78
	v_lshlrev_b32_e32 v16, 3, v14
	v_or_b32_e32 v18, v18, v11
	v_or_b32_e32 v17, v17, v11
	v_or3_b32 v13, v11, v15, v13
	v_or_b32_e32 v5, v5, v11
	v_or_b32_e32 v6, s2, v87
	v_lshlrev_b32_e32 v14, 7, v14
	v_xor_b32_e32 v18, v18, v16
	v_xor_b32_e32 v17, v17, v16
	;; [unrolled: 1-line block ×4, first 2 shown]
	v_ashrrev_i32_e32 v7, 31, v6
	v_or_b32_e32 v2, v84, v10
	v_add_u32_e32 v19, v3, v18
	v_add_u32_e32 v20, v3, v17
	v_or_b32_e32 v133, v13, v14
	v_add_u32_e32 v11, v3, v5
	v_or3_b32 v10, v84, v10, 64
	v_add_u32_e32 v12, 0xa000, v18
	v_add_u32_e32 v13, 0xa000, v17
	;; [unrolled: 1-line block ×3, first 2 shown]
	v_lshl_add_u64 v[80:81], v[6:7], 1, s[8:9]
	v_lshl_add_u64 v[82:83], v[8:9], 0, v[78:79]
	s_mov_b32 s3, 0x7060302
	v_lshlrev_b32_e32 v78, 1, v4
	s_movk_i32 s21, 0x2000
	v_lshlrev_b32_e32 v135, 2, v2
	v_add_u32_e32 v136, v19, v14
	v_add_u32_e32 v137, v20, v14
	;; [unrolled: 1-line block ×4, first 2 shown]
	v_lshlrev_b32_e32 v140, 2, v10
	v_add_u32_e32 v141, v12, v14
	v_add_u32_e32 v142, v13, v14
	;; [unrolled: 1-line block ×3, first 2 shown]
	v_mov_b32_e32 v8, v79
	v_mov_b32_e32 v9, v79
	;; [unrolled: 1-line block ×31, first 2 shown]
	s_waitcnt lgkmcnt(0)
	s_barrier
.LBB214_6:                              ; =>This Inner Loop Header: Depth=1
	s_add_i32 s65, s64, 1
	s_cmp_lt_i32 s65, s51
	s_mov_b64 s[28:29], 0
	s_cselect_b64 s[44:45], -1, 0
	s_cmp_ge_i32 s65, s51
	s_mov_b64 s[24:25], 0
	s_cbranch_scc1 .LBB214_8
; %bb.7:                                ;   in Loop: Header=BB214_6 Depth=1
	s_add_i32 s0, s57, 64
	s_ashr_i32 s1, s0, 31
	s_add_u32 s0, s55, s0
	s_addc_u32 s1, s53, s1
	s_lshl_b64 s[0:1], s[0:1], 8
	s_add_u32 s24, s6, s0
	s_addc_u32 s25, s7, s1
.LBB214_8:                              ;   in Loop: Header=BB214_6 Depth=1
	v_cndmask_b32_e64 v34, 0, 1, s[44:45]
	v_cmp_ne_u32_e64 s[0:1], 1, v34
	s_andn2_b64 vcc, exec, s[44:45]
	s_cbranch_vccnz .LBB214_10
; %bb.9:                                ;   in Loop: Header=BB214_6 Depth=1
	s_add_i32 s28, s57, 64
	s_mul_hi_i32 s29, s28, s18
	s_mul_i32 s28, s28, s18
	s_add_u32 s28, s28, s54
	s_addc_u32 s29, s29, s59
	s_lshl_b64 s[28:29], s[28:29], 8
	s_add_u32 s28, s4, s28
	s_addc_u32 s29, s5, s29
.LBB214_10:                             ;   in Loop: Header=BB214_6 Depth=1
	v_perm_b32 v35, v33, v32, s3
	v_perm_b32 v34, v31, v30, s3
	v_perm_b32 v37, v21, v20, s3
	v_perm_b32 v36, v19, v18, s3
	ds_write_b64 v97, v[34:35]
	ds_write_b64 v98, v[36:37]
	ds_write_b64 v103, v[34:35]
	ds_write_b64 v104, v[36:37]
	v_perm_b32 v35, v29, v28, s3
	v_perm_b32 v34, v27, v26, s3
	v_perm_b32 v37, v17, v16, s3
	v_perm_b32 v36, v15, v14, s3
	ds_write_b64 v99, v[34:35]
	ds_write_b64 v100, v[36:37]
	ds_write_b64 v105, v[34:35]
	ds_write_b64 v106, v[36:37]
	;; [unrolled: 8-line block ×4, first 2 shown]
	s_waitcnt lgkmcnt(0)
	s_barrier
	ds_read_b64 v[38:39], v113 offset:49152
	ds_read2_b64 v[34:37], v114 offset1:16
	ds_read_b64 v[50:51], v116 offset:6144
	ds_read_b64 v[52:53], v114 offset:6144
	s_waitcnt lgkmcnt(2)
	v_mfma_f32_16x16x16_bf16 a[0:3], v[38:39], v[34:35], 0
	ds_read_b64 v[54:55], v115 offset:49152
	ds_read2st64_b64 v[42:45], v117 offset0:4 offset1:8
	ds_read2st64_b64 v[46:49], v118 offset0:4 offset1:8
	v_mfma_f32_16x16x16_bf16 a[4:7], v[38:39], v[36:37], 0
	ds_read2_b64 v[34:37], v114 offset0:32 offset1:48
	s_add_i32 s66, s57, 63
	s_ashr_i32 s31, s66, 31
	s_waitcnt lgkmcnt(0)
	v_mfma_f32_16x16x16_bf16 a[8:11], v[38:39], v[34:35], 0
	s_mul_i32 s44, s66, s15
	s_mul_hi_u32 s45, s66, s14
	s_add_i32 s44, s45, s44
	v_mfma_f32_16x16x16_bf16 a[12:15], v[38:39], v[36:37], 0
	ds_read2st64_b64 v[34:37], v114 offset0:4 offset1:8
	ds_read2st64_b64 v[38:41], v116 offset0:4 offset1:8
	s_mul_i32 s31, s31, s14
	s_waitcnt lgkmcnt(1)
	v_mfma_f32_16x16x16_bf16 a[0:3], v[54:55], v[34:35], a[0:3]
	s_add_i32 s45, s44, s31
	s_mul_i32 s44, s66, s14
	s_lshl_b64 s[44:45], s[44:45], 2
	s_waitcnt lgkmcnt(0)
	v_mfma_f32_16x16x16_bf16 a[4:7], v[54:55], v[38:39], a[4:7]
	s_add_u32 s44, s42, s44
	s_addc_u32 s45, s43, s45
	s_and_b64 vcc, exec, s[0:1]
	v_mfma_f32_16x16x16_bf16 a[8:11], v[54:55], v[42:43], a[8:11]
	ds_read_b64 v[34:35], v119 offset:49152
	ds_read_b64 v[38:39], v120 offset:49152
	;; [unrolled: 1-line block ×3, first 2 shown]
	v_mov_b32_e32 v147, 0
	v_mov_b32_e32 v146, 0
	v_mfma_f32_16x16x16_bf16 a[12:15], v[54:55], v[46:47], a[12:15]
	v_mov_b32_e32 v145, 0
	v_mov_b32_e32 v46, 0
	;; [unrolled: 1-line block ×3, first 2 shown]
	s_waitcnt lgkmcnt(2)
	v_mfma_f32_16x16x16_bf16 a[0:3], v[34:35], v[36:37], a[0:3]
	v_mov_b32_e32 v36, 0
	v_mov_b32_e32 v37, 0
	v_mfma_f32_16x16x16_bf16 a[16:19], v[34:35], v[40:41], a[4:7]
	v_mov_b32_e32 v40, 0
	v_mov_b32_e32 v41, 0
	;; [unrolled: 3-line block ×3, first 2 shown]
	v_mfma_f32_16x16x16_bf16 a[24:27], v[34:35], v[48:49], a[12:15]
	ds_read_b64 v[34:35], v117 offset:6144
	v_mov_b32_e32 v48, 0
	v_mov_b32_e32 v49, 0
	s_waitcnt lgkmcnt(2)
	v_mfma_f32_16x16x16_bf16 a[4:7], v[38:39], v[52:53], a[0:3]
	v_mfma_f32_16x16x16_bf16 a[8:11], v[38:39], v[50:51], a[16:19]
	s_waitcnt lgkmcnt(0)
	v_mfma_f32_16x16x16_bf16 a[12:15], v[38:39], v[34:35], a[20:23]
	v_mov_b32_e32 v34, 0
	v_mov_b32_e32 v35, 0
	v_mfma_f32_16x16x16_bf16 a[0:3], v[38:39], v[42:43], a[24:27]
	v_mov_b32_e32 v38, 0
	v_mov_b32_e32 v39, 0
	;; [unrolled: 1-line block ×4, first 2 shown]
	s_cbranch_vccnz .LBB214_12
; %bb.11:                               ;   in Loop: Header=BB214_6 Depth=1
	s_and_b32 s25, s25, 0xffff
	buffer_load_dwordx4 v[46:49], v93, s[24:27], 0 offen
	buffer_load_dwordx4 v[42:45], v93, s[24:27], s60 offen
	buffer_load_dwordx4 v[38:41], v94, s[24:27], 0 offen
	buffer_load_dwordx4 v[34:37], v94, s[24:27], s60 offen
	v_mov_b32_e32 v146, v95
	v_mov_b32_e32 v145, v96
.LBB214_12:                             ;   in Loop: Header=BB214_6 Depth=1
	ds_read_b64 v[66:67], v113 offset:57344
	ds_read2_b64 v[50:53], v121 offset1:16
	ds_read_b64 v[68:69], v115 offset:57344
	ds_read_b64 v[70:71], v119 offset:57344
	ds_read_b64 v[72:73], v120 offset:57344
	v_add_u32_e32 v74, s57, v134
	s_waitcnt lgkmcnt(3)
	v_mfma_f32_16x16x16_bf16 a[4:7], v[66:67], v[50:51], a[4:7]
	v_mfma_f32_16x16x16_bf16 a[8:11], v[66:67], v[52:53], a[8:11]
	ds_read2_b64 v[50:53], v121 offset0:32 offset1:48
	ds_read2st64_b64 v[54:57], v121 offset0:4 offset1:8
	ds_read2st64_b64 v[58:61], v122 offset0:4 offset1:8
	;; [unrolled: 1-line block ×3, first 2 shown]
	s_waitcnt lgkmcnt(3)
	v_mfma_f32_16x16x16_bf16 a[12:15], v[66:67], v[50:51], a[12:15]
	v_ashrrev_i32_e32 v50, 31, v74
	v_mfma_f32_16x16x16_bf16 a[0:3], v[66:67], v[52:53], a[0:3]
	v_mul_lo_u32 v52, v50, s14
	v_mul_lo_u32 v53, v74, s15
	v_mad_u64_u32 v[50:51], s[24:25], v74, s14, 0
	v_add3_u32 v51, v51, v53, v52
	v_add_u32_e32 v52, 1, v74
	v_ashrrev_i32_e32 v53, 31, v52
	s_waitcnt lgkmcnt(2)
	v_mfma_f32_16x16x16_bf16 a[4:7], v[68:69], v[54:55], a[4:7]
	v_mul_lo_u32 v54, v53, s14
	v_mul_lo_u32 v55, v52, s15
	v_mad_u64_u32 v[52:53], s[24:25], v52, s14, 0
	v_add3_u32 v53, v53, v55, v54
	v_add_u32_e32 v54, 2, v74
	v_ashrrev_i32_e32 v55, 31, v54
	s_waitcnt lgkmcnt(1)
	v_mfma_f32_16x16x16_bf16 a[8:11], v[68:69], v[58:59], a[8:11]
	v_mul_lo_u32 v58, v55, s14
	v_mul_lo_u32 v59, v54, s15
	v_mad_u64_u32 v[54:55], s[24:25], v54, s14, 0
	v_add3_u32 v55, v55, v59, v58
	v_add_u32_e32 v58, 3, v74
	v_ashrrev_i32_e32 v59, 31, v58
	v_mul_lo_u32 v66, v59, s14
	v_mul_lo_u32 v67, v58, s15
	v_mad_u64_u32 v[58:59], s[24:25], v58, s14, 0
	s_ashr_i32 s25, s57, 31
	s_add_u32 s24, s55, s57
	v_lshl_add_u64 v[50:51], v[50:51], 2, s[42:43]
	v_add3_u32 v59, v59, v67, v66
	s_addc_u32 s25, s53, s25
	v_lshl_add_u64 v[52:53], v[52:53], 2, s[42:43]
	global_load_dword v74, v[50:51], off
	v_lshl_add_u64 v[50:51], v[58:59], 2, s[42:43]
	s_lshl_b64 s[24:25], s[24:25], 8
	v_lshl_add_u64 v[54:55], v[54:55], 2, s[42:43]
	global_load_dword v66, v[52:53], off
	global_load_dword v67, v[54:55], off
	;; [unrolled: 1-line block ×3, first 2 shown]
	v_lshl_add_u64 v[50:51], v[80:81], 0, s[24:25]
	v_lshl_add_u64 v[54:55], v[50:51], 0, v[78:79]
	global_load_ushort v76, v[54:55], off offset:256
	global_load_ushort v148, v[54:55], off
	ds_read2st64_b64 v[50:53], v124 offset0:4 offset1:8
	global_load_ushort v149, v[54:55], off offset:768
	global_load_ushort v150, v[54:55], off offset:512
	s_waitcnt lgkmcnt(1)
	v_mfma_f32_16x16x16_bf16 a[12:15], v[68:69], v[62:63], a[12:15]
	s_and_b64 vcc, exec, s[0:1]
	s_waitcnt vmcnt(3)
	v_lshlrev_b32_e32 v63, 16, v76
	s_waitcnt lgkmcnt(0)
	v_mfma_f32_16x16x16_bf16 a[0:3], v[68:69], v[50:51], a[0:3]
	global_load_ushort v68, v[54:55], off offset:288
	global_load_ushort v69, v[54:55], off offset:32
	;; [unrolled: 1-line block ×8, first 2 shown]
	v_mfma_f32_16x16x16_bf16 a[4:7], v[70:71], v[56:57], a[4:7]
	ds_read_b64 v[50:51], v121 offset:6144
	s_waitcnt vmcnt(10)
	v_lshlrev_b32_e32 v62, 16, v148
	v_mov_b32_e32 v148, 0
	v_mfma_f32_16x16x16_bf16 a[8:11], v[70:71], v[60:61], a[8:11]
	v_mfma_f32_16x16x16_bf16 a[12:15], v[70:71], v[64:65], a[12:15]
	;; [unrolled: 1-line block ×3, first 2 shown]
	global_load_ushort v70, v[54:55], off offset:352
	global_load_ushort v71, v[54:55], off offset:96
	ds_read_b64 v[52:53], v122 offset:6144
	ds_read_b64 v[56:57], v123 offset:6144
	;; [unrolled: 1-line block ×3, first 2 shown]
	global_load_ushort v157, v[54:55], off offset:864
	global_load_ushort v158, v[54:55], off offset:608
	s_load_dword s24, s[44:45], 0x0
	s_waitcnt lgkmcnt(0)
	v_mfma_f32_16x16x16_bf16 a[4:7], v[72:73], v[50:51], a[4:7]
	v_sub_f32_e32 v60, s24, v67
	v_mfma_f32_16x16x16_bf16 a[0:3], v[72:73], v[58:59], a[0:3]
	v_sub_f32_e32 v58, s24, v74
	v_sub_f32_e32 v59, s24, v66
	;; [unrolled: 1-line block ×3, first 2 shown]
	v_mul_f32_e32 v58, 0x3fb8aa3b, v58
	v_mul_f32_e32 v59, 0x3fb8aa3b, v59
	;; [unrolled: 1-line block ×4, first 2 shown]
	v_mfma_f32_16x16x16_bf16 a[8:11], v[72:73], v[52:53], a[8:11]
	v_exp_f32_e32 v58, v58
	v_exp_f32_e32 v59, v59
	;; [unrolled: 1-line block ×4, first 2 shown]
	v_accvgpr_read_b32 v65, a5
	v_accvgpr_read_b32 v64, a4
	;; [unrolled: 1-line block ×4, first 2 shown]
	v_pk_add_f32 v[62:63], v[62:63], v[64:65] neg_lo:[0,1] neg_hi:[0,1]
	s_waitcnt vmcnt(13)
	v_lshlrev_b32_e32 v65, 16, v149
	s_waitcnt vmcnt(12)
	v_lshlrev_b32_e32 v64, 16, v150
	v_pk_add_f32 v[50:51], v[64:65], v[50:51] neg_lo:[0,1] neg_hi:[0,1]
	v_pk_mul_f32 v[62:63], v[58:59], v[62:63]
	v_pk_mul_f32 v[50:51], v[60:61], v[50:51]
	v_accvgpr_read_b32 v65, a9
	v_perm_b32 v51, v51, v50, s3
	v_perm_b32 v50, v63, v62, s3
	v_accvgpr_read_b32 v64, a8
	v_accvgpr_read_b32 v53, a11
	v_mfma_f32_16x16x16_bf16 a[12:15], v[72:73], v[56:57], a[12:15]
	v_accvgpr_read_b32 v52, a10
	v_accvgpr_read_b32 v57, a3
	;; [unrolled: 1-line block ×3, first 2 shown]
	s_waitcnt vmcnt(11)
	v_lshlrev_b32_e32 v63, 16, v68
	s_waitcnt vmcnt(10)
	v_lshlrev_b32_e32 v62, 16, v69
	v_pk_add_f32 v[62:63], v[62:63], v[64:65] neg_lo:[0,1] neg_hi:[0,1]
	s_waitcnt vmcnt(9)
	v_lshlrev_b32_e32 v65, 16, v151
	s_waitcnt vmcnt(8)
	v_lshlrev_b32_e32 v64, 16, v152
	v_pk_add_f32 v[52:53], v[64:65], v[52:53] neg_lo:[0,1] neg_hi:[0,1]
	v_pk_mul_f32 v[62:63], v[58:59], v[62:63]
	v_pk_mul_f32 v[52:53], v[60:61], v[52:53]
	v_accvgpr_read_b32 v55, a15
	v_perm_b32 v53, v53, v52, s3
	v_perm_b32 v52, v63, v62, s3
	ds_write2_b64 v98, v[50:51], v[52:53] offset1:16
	v_accvgpr_read_b32 v53, a13
	s_waitcnt vmcnt(7)
	v_lshlrev_b32_e32 v51, 16, v153
	s_waitcnt vmcnt(6)
	v_lshlrev_b32_e32 v50, 16, v154
	v_accvgpr_read_b32 v52, a12
	v_accvgpr_read_b32 v54, a14
	v_pk_add_f32 v[50:51], v[50:51], v[52:53] neg_lo:[0,1] neg_hi:[0,1]
	s_waitcnt vmcnt(5)
	v_lshlrev_b32_e32 v53, 16, v155
	s_waitcnt vmcnt(4)
	v_lshlrev_b32_e32 v52, 16, v156
	v_pk_add_f32 v[52:53], v[52:53], v[54:55] neg_lo:[0,1] neg_hi:[0,1]
	v_pk_mul_f32 v[50:51], v[58:59], v[50:51]
	v_pk_mul_f32 v[52:53], v[60:61], v[52:53]
	v_accvgpr_read_b32 v55, a1
	v_perm_b32 v53, v53, v52, s3
	v_perm_b32 v52, v51, v50, s3
	s_waitcnt vmcnt(3)
	v_lshlrev_b32_e32 v51, 16, v70
	s_waitcnt vmcnt(2)
	v_lshlrev_b32_e32 v50, 16, v71
	v_accvgpr_read_b32 v54, a0
	v_pk_add_f32 v[50:51], v[50:51], v[54:55] neg_lo:[0,1] neg_hi:[0,1]
	s_waitcnt vmcnt(1)
	v_lshlrev_b32_e32 v55, 16, v157
	s_waitcnt vmcnt(0)
	v_lshlrev_b32_e32 v54, 16, v158
	v_pk_add_f32 v[54:55], v[54:55], v[56:57] neg_lo:[0,1] neg_hi:[0,1]
	v_pk_mul_f32 v[50:51], v[58:59], v[50:51]
	v_pk_mul_f32 v[54:55], v[60:61], v[54:55]
	v_mov_b32_e32 v56, 0
	v_perm_b32 v55, v55, v54, s3
	v_perm_b32 v54, v51, v50, s3
	ds_write2_b64 v98, v[52:53], v[54:55] offset0:32 offset1:48
	v_mov_b32_e32 v50, 0
	v_mov_b32_e32 v51, 0
	;; [unrolled: 1-line block ×15, first 2 shown]
	s_cbranch_vccnz .LBB214_14
; %bb.13:                               ;   in Loop: Header=BB214_6 Depth=1
	s_and_b32 s29, s29, 0xffff
	s_mov_b32 s31, s27
	buffer_load_dwordx4 v[62:65], v131, s[28:31], 0 offen
	buffer_load_dwordx4 v[54:57], v131, s[28:31], s60 offen
	;; [unrolled: 1-line block ×4, first 2 shown]
	v_mov_b32_e32 v147, v92
	v_mov_b32_e32 v148, v91
.LBB214_14:                             ;   in Loop: Header=BB214_6 Depth=1
	s_waitcnt lgkmcnt(0)
	s_barrier
	ds_read_b64 v[74:75], v136
	ds_read2_b64 v[66:69], v127 offset1:16
	ds_read_b64 v[166:167], v137
	ds_read_b64 v[168:169], v138
	;; [unrolled: 1-line block ×3, first 2 shown]
	ds_read2_b64 v[70:73], v127 offset0:32 offset1:48
	ds_read2st64_b64 v[150:153], v127 offset0:4 offset1:8
	ds_read2st64_b64 v[154:157], v128 offset0:4 offset1:8
	ds_read2st64_b64 v[158:161], v129 offset0:4 offset1:8
	ds_read2st64_b64 v[162:165], v130 offset0:4 offset1:8
	s_waitcnt lgkmcnt(8)
	v_mfma_f32_16x16x16_bf16 a[0:3], v[74:75], v[66:67], 0
	s_add_i32 s25, s52, s64
	s_mul_hi_i32 s29, s25, s33
	s_mul_i32 s25, s25, s33
	v_mfma_f32_16x16x16_bf16 a[4:7], v[74:75], v[68:69], 0
	s_add_u32 s28, s25, s47
	s_addc_u32 s29, s29, s58
	s_lshl_b64 s[28:29], s[28:29], 15
	s_waitcnt lgkmcnt(4)
	v_mfma_f32_16x16x16_bf16 a[8:11], v[74:75], v[70:71], 0
	s_mul_i32 s31, s66, s33
	s_mul_hi_i32 s25, s66, s33
	s_add_u32 s44, s31, s47
	v_mfma_f32_16x16x16_bf16 a[12:15], v[74:75], v[72:73], 0
	ds_read_b64 v[74:75], v127 offset:6144
	ds_read_b64 v[178:179], v128 offset:6144
	ds_read_b64 v[180:181], v129 offset:6144
	ds_read_b64 v[182:183], v130 offset:6144
	s_addc_u32 s45, s25, s58
	s_waitcnt lgkmcnt(7)
	v_mfma_f32_16x16x16_bf16 a[0:3], v[166:167], v[150:151], a[0:3]
	s_lshl_b64 s[44:45], s[44:45], 9
	s_add_u32 s44, s36, s44
	s_addc_u32 s45, s37, s45
	s_waitcnt lgkmcnt(6)
	v_mfma_f32_16x16x16_bf16 a[4:7], v[166:167], v[154:155], a[4:7]
	v_lshl_add_u64 v[188:189], v[82:83], 0, s[28:29]
	s_waitcnt lgkmcnt(5)
	v_mfma_f32_16x16x16_bf16 a[8:11], v[166:167], v[158:159], a[8:11]
	s_waitcnt lgkmcnt(4)
	v_mfma_f32_16x16x16_bf16 a[12:15], v[166:167], v[162:163], a[12:15]
	ds_read_b64 v[166:167], v141
	ds_read_b64 v[176:177], v142
	;; [unrolled: 1-line block ×3, first 2 shown]
	s_waitcnt lgkmcnt(2)
	v_mfma_f32_16x16x16_bf16 a[16:19], v[166:167], v[66:67], 0
	v_mfma_f32_16x16x16_bf16 a[20:23], v[166:167], v[68:69], 0
	global_load_dwordx4 v[66:69], v140, s[44:45]
	v_mfma_f32_16x16x16_bf16 a[24:27], v[166:167], v[70:71], 0
	v_mfma_f32_16x16x16_bf16 a[28:31], v[166:167], v[72:73], 0
	global_load_dwordx4 v[70:73], v135, s[44:45]
	v_mfma_f32_16x16x16_bf16 a[0:3], v[168:169], v[152:153], a[0:3]
	v_mfma_f32_16x16x16_bf16 a[4:7], v[168:169], v[156:157], a[4:7]
	v_mfma_f32_16x16x16_bf16 a[8:11], v[168:169], v[160:161], a[8:11]
	v_mfma_f32_16x16x16_bf16 a[12:15], v[168:169], v[164:165], a[12:15]
	v_mfma_f32_16x16x16_bf16 a[0:3], v[170:171], v[74:75], a[0:3]
	v_mfma_f32_16x16x16_bf16 a[4:7], v[170:171], v[178:179], a[4:7]
	v_mfma_f32_16x16x16_bf16 a[8:11], v[170:171], v[180:181], a[8:11]
	v_mfma_f32_16x16x16_bf16 a[12:15], v[170:171], v[182:183], a[12:15]
	ds_read2st64_b64 v[166:169], v125 offset1:8
	ds_read2st64_b64 v[170:173], v126 offset1:8
	ds_read_b64 v[186:187], v133 offset:40960
	s_waitcnt lgkmcnt(2)
	v_mov_b32_e32 v174, v166
	v_mfma_f32_16x16x16_bf16 a[16:19], v[176:177], v[150:151], a[16:19]
	v_mov_b32_e32 v175, v167
	v_mfma_f32_16x16x16_bf16 a[20:23], v[176:177], v[154:155], a[20:23]
	v_mfma_f32_16x16x16_bf16 a[24:27], v[176:177], v[158:159], a[24:27]
	;; [unrolled: 1-line block ×3, first 2 shown]
	v_add_co_u32_e32 v162, vcc, s21, v188
	s_waitcnt lgkmcnt(1)
	v_mov_b32_e32 v176, v170
	s_waitcnt lgkmcnt(0)
	v_mfma_f32_16x16x16_bf16 a[16:19], v[186:187], v[152:153], a[16:19]
	ds_read2st64_b64 v[150:153], v125 offset0:16 offset1:24
	v_addc_co_u32_e32 v163, vcc, 0, v189, vcc
	v_mfma_f32_16x16x16_bf16 a[20:23], v[186:187], v[156:157], a[20:23]
	ds_read2st64_b64 v[154:157], v126 offset0:16 offset1:24
	v_mov_b32_e32 v177, v171
	v_mov_b32_e32 v170, v168
	v_mfma_f32_16x16x16_bf16 a[32:35], v[186:187], v[160:161], a[24:27]
	v_mov_b32_e32 v171, v169
	s_waitcnt lgkmcnt(0)
	v_mov_b32_e32 v160, v154
	v_mov_b32_e32 v161, v155
	v_mfma_f32_16x16x16_bf16 a[36:39], v[186:187], v[164:165], a[28:31]
	v_mov_b32_e32 v154, v152
	v_mov_b32_e32 v155, v153
	;; [unrolled: 1-line block ×3, first 2 shown]
	v_mfma_f32_16x16x16_bf16 a[24:27], v[184:185], v[74:75], a[16:19]
	v_add_co_u32_e32 v74, vcc, s63, v188
	v_mov_b32_e32 v159, v151
	v_mfma_f32_16x16x16_bf16 a[28:31], v[184:185], v[178:179], a[20:23]
	v_addc_co_u32_e32 v75, vcc, 0, v189, vcc
	global_store_dwordx4 v[74:75], v[154:157], off
	v_mfma_f32_16x16x16_bf16 a[16:19], v[184:185], v[180:181], a[32:35]
	s_waitcnt vmcnt(2)
	v_mov_b32_e32 v76, v69
	v_mov_b32_e32 v75, v68
	;; [unrolled: 1-line block ×3, first 2 shown]
	v_mfma_f32_16x16x16_bf16 a[20:23], v[184:185], v[182:183], a[36:39]
	s_and_b64 vcc, exec, s[0:1]
	global_store_dwordx4 v[188:189], v[174:177], off
	global_store_dwordx4 v[162:163], v[170:173], off offset:-4096
	global_store_dwordx4 v[162:163], v[158:161], off
	s_cbranch_vccnz .LBB214_16
; %bb.15:                               ;   in Loop: Header=BB214_6 Depth=1
	v_lshrrev_b32_e32 v67, 3, v147
	v_and_b32_e32 v67, 6, v67
	v_xor_b32_e32 v68, v67, v148
	v_lshlrev_b32_e32 v68, 2, v68
	v_and_b32_e32 v69, 8, v147
	v_xor_b32_e32 v147, 0x440, v68
	v_cmp_eq_u32_e32 vcc, 0, v69
	v_perm_b32 v69, v54, v50, s61
	s_nop 0
	v_cndmask_b32_e32 v68, v147, v68, vcc
	v_lshl_or_b32 v67, v67, 10, v68
	v_perm_b32 v68, v62, v58, s61
	s_barrier
	ds_write2st64_b32 v67, v68, v69 offset0:128 offset1:160
	v_xor_b32_e32 v68, 8, v67
	v_perm_b32 v58, v62, v58, s62
	v_perm_b32 v50, v54, v50, s62
	v_add_u32_e32 v54, 0x80, v68
	ds_write2st64_b32 v54, v58, v50 offset0:128 offset1:160
	v_xor_b32_e32 v50, 16, v67
	v_perm_b32 v54, v63, v59, s61
	v_perm_b32 v58, v55, v51, s61
	ds_write2st64_b32 v50, v54, v58 offset0:129 offset1:161
	v_xor_b32_e32 v50, 24, v67
	v_perm_b32 v54, v63, v59, s62
	v_perm_b32 v51, v55, v51, s62
	v_add_u32_e32 v50, 0x80, v50
	ds_write2st64_b32 v50, v54, v51 offset0:129 offset1:161
	v_xor_b32_e32 v50, 32, v67
	v_perm_b32 v51, v64, v60, s61
	v_perm_b32 v54, v56, v52, s61
	;; [unrolled: 9-line block ×3, first 2 shown]
	ds_write2st64_b32 v50, v51, v52 offset0:131 offset1:163
	v_xor_b32_e32 v50, 56, v67
	v_perm_b32 v51, v65, v61, s62
	v_perm_b32 v52, v57, v53, s62
	v_add_u32_e32 v50, 0x80, v50
	ds_write2st64_b32 v50, v51, v52 offset0:131 offset1:163
	ds_write_b64 v146, v[46:47] offset:49152
	v_xor_b32_e32 v46, 8, v146
	ds_write_b64 v46, v[48:49] offset:49152
	ds_write_b64 v146, v[42:43] offset:57344
	;; [unrolled: 1-line block ×4, first 2 shown]
	v_xor_b32_e32 v38, 8, v145
	ds_write_b64 v38, v[40:41] offset:49152
	ds_write_b64 v145, v[34:35] offset:57344
	;; [unrolled: 1-line block ×3, first 2 shown]
.LBB214_16:                             ;   in Loop: Header=BB214_6 Depth=1
	v_mul_f32_e32 v58, s24, v144
	v_exp_f32_e32 v68, v58
	s_waitcnt vmcnt(4)
	v_mul_f32_e32 v58, 0x3fb8aa3b, v70
	v_exp_f32_e32 v70, v58
	v_mul_f32_e32 v58, 0x3fb8aa3b, v71
	v_exp_f32_e32 v71, v58
	;; [unrolled: 2-line block ×4, first 2 shown]
	v_accvgpr_read_b32 v37, a3
	v_accvgpr_read_b32 v36, a2
	;; [unrolled: 1-line block ×4, first 2 shown]
	v_pk_mul_f32 v[70:71], v[68:69], v[70:71] op_sel_hi:[0,1]
	v_pk_mul_f32 v[72:73], v[68:69], v[72:73] op_sel_hi:[0,1]
	v_pk_fma_f32 v[30:31], v[30:31], v[70:71], v[34:35]
	v_pk_fma_f32 v[32:33], v[32:33], v[72:73], v[36:37]
	v_mul_f32_e32 v34, 0x3fb8aa3b, v66
	v_mul_f32_e32 v35, 0x3fb8aa3b, v74
	;; [unrolled: 1-line block ×4, first 2 shown]
	v_exp_f32_e32 v34, v34
	v_exp_f32_e32 v35, v35
	;; [unrolled: 1-line block ×4, first 2 shown]
	v_accvgpr_read_b32 v41, a7
	v_accvgpr_read_b32 v45, a11
	;; [unrolled: 1-line block ×28, first 2 shown]
	v_pk_mul_f32 v[34:35], v[68:69], v[34:35] op_sel_hi:[0,1]
	v_pk_mul_f32 v[36:37], v[68:69], v[36:37] op_sel_hi:[0,1]
	s_add_i32 s57, s57, 64
	v_pk_fma_f32 v[26:27], v[70:71], v[26:27], v[38:39]
	v_pk_fma_f32 v[28:29], v[72:73], v[28:29], v[40:41]
	;; [unrolled: 1-line block ×13, first 2 shown]
	s_cmp_eq_u32 s51, s65
	v_pk_fma_f32 v[8:9], v[36:37], v[8:9], v[64:65]
	s_cbranch_scc1 .LBB214_18
; %bb.17:                               ;   in Loop: Header=BB214_6 Depth=1
	s_mov_b32 s64, s65
	s_branch .LBB214_6
.LBB214_18:
	s_lshl_b32 s3, s51, 6
	s_sub_i32 s56, s56, s3
	s_cmp_gt_i32 s56, 0
	v_or_b32_e32 v50, s2, v87
	s_cbranch_scc1 .LBB214_20
; %bb.19:
	s_ashr_i32 s29, s47, 31
	v_or_b32_e32 v34, s2, v87
	s_cbranch_execz .LBB214_21
	s_branch .LBB214_101
.LBB214_20:
                                        ; implicit-def: $vgpr34
                                        ; implicit-def: $sgpr28_sgpr29
.LBB214_21:
	s_add_i32 s28, s3, s38
	s_ashr_i32 s3, s28, 31
	s_cmpk_lg_i32 s19, 0x80
	s_cselect_b64 s[42:43], -1, 0
	s_and_b64 vcc, exec, s[42:43]
	s_cbranch_vccz .LBB214_23
; %bb.22:
	s_mul_hi_i32 s0, s28, s18
	s_mul_i32 s1, s28, s18
	s_ashr_i32 s18, s54, 31
	s_add_u32 s44, s1, s54
	s_addc_u32 s45, s0, s18
	s_cbranch_execz .LBB214_24
	s_branch .LBB214_25
.LBB214_23:
                                        ; implicit-def: $sgpr44_sgpr45
.LBB214_24:
	s_mul_i32 s1, s54, s16
	s_mul_hi_i32 s0, s54, s16
	s_add_u32 s44, s1, s28
	s_addc_u32 s45, s0, s3
.LBB214_25:
	s_add_i32 s16, s51, s52
	s_ashr_i32 s29, s47, 31
	s_add_u32 s0, s55, s28
	v_lshlrev_b32_e32 v38, 6, v1
	v_lshlrev_b32_e32 v59, 2, v87
	s_addc_u32 s1, s53, s3
	s_mov_b32 s3, 0x7060302
	v_or_b32_e32 v41, v38, v59
	v_xor_b32_e32 v39, v1, v59
	v_perm_b32 v35, v33, v32, s3
	v_perm_b32 v34, v31, v30, s3
	;; [unrolled: 1-line block ×4, first 2 shown]
	v_lshlrev_b32_e32 v41, 1, v41
	v_xor_b32_e32 v40, v90, v59
	ds_write2st64_b64 v41, v[34:35], v[36:37] offset0:32 offset1:48
	v_lshlrev_b32_e32 v39, 1, v39
	v_lshlrev_b32_e32 v41, 8, v87
	v_or_b32_e32 v42, v39, v41
	v_lshlrev_b32_e32 v40, 1, v40
	ds_write_b64 v42, v[34:35]
	v_or_b32_e32 v34, v40, v41
	v_or_b32_e32 v41, 16, v87
	v_lshlrev_b32_e32 v57, 2, v41
	v_or_b32_e32 v42, v38, v57
	ds_write_b64 v34, v[36:37]
	v_perm_b32 v35, v29, v28, s3
	v_perm_b32 v34, v27, v26, s3
	;; [unrolled: 1-line block ×4, first 2 shown]
	v_lshlrev_b32_e32 v42, 1, v42
	v_lshlrev_b32_e32 v41, 8, v41
	ds_write2st64_b64 v42, v[34:35], v[36:37] offset0:32 offset1:48
	v_or_b32_e32 v42, v39, v41
	ds_write_b64 v42, v[34:35]
	v_or_b32_e32 v34, v40, v41
	v_or_b32_e32 v41, 32, v87
	v_lshlrev_b32_e32 v56, 2, v41
	v_or_b32_e32 v42, v38, v56
	ds_write_b64 v34, v[36:37]
	v_perm_b32 v35, v25, v24, s3
	v_perm_b32 v34, v23, v22, s3
	;; [unrolled: 1-line block ×4, first 2 shown]
	v_lshlrev_b32_e32 v42, 1, v42
	v_lshlrev_b32_e32 v41, 8, v41
	s_lshl_b64 s[30:31], s[0:1], 8
	ds_write2st64_b64 v42, v[34:35], v[36:37] offset0:32 offset1:48
	v_or_b32_e32 v42, v39, v41
	s_add_u32 s0, s6, s30
	ds_write_b64 v42, v[34:35]
	v_or_b32_e32 v34, v40, v41
	s_addc_u32 s1, s7, s31
	ds_write_b64 v34, v[36:37]
	v_perm_b32 v35, v5, v4, s3
	v_perm_b32 v34, v3, v2, s3
	;; [unrolled: 1-line block ×4, first 2 shown]
	v_or_b32_e32 v41, 48, v87
	s_mul_hi_i32 s3, s16, s17
	s_mul_i32 s16, s16, s17
	v_lshlrev_b32_e32 v53, 2, v41
	s_add_u32 s6, s16, s47
	v_or_b32_e32 v38, v38, v53
	s_addc_u32 s7, s3, s29
	v_lshlrev_b32_e32 v38, 1, v38
	s_ashr_i32 s3, s2, 31
	s_lshl_b64 s[6:7], s[6:7], 15
	ds_write2st64_b64 v38, v[34:35], v[36:37] offset0:32 offset1:48
	v_lshlrev_b32_e32 v38, 8, v41
	s_add_u32 s6, s40, s6
	v_or_b32_e32 v39, v39, v38
	s_addc_u32 s7, s41, s7
	s_lshl_b64 s[2:3], s[2:3], 8
	ds_write_b64 v39, v[34:35]
	v_or_b32_e32 v34, v40, v38
	s_add_u32 s2, s6, s2
	v_lshlrev_b32_e32 v35, 1, v87
	ds_write_b64 v34, v[36:37]
	v_lshrrev_b32_e32 v34, 4, v0
	s_addc_u32 s3, s7, s3
	v_or_b32_e32 v36, 1, v35
	v_lshlrev_b32_e32 v42, 4, v87
	v_mov_b32_e32 v43, 0
	v_xor_b32_e32 v35, v34, v35
	v_xor_b32_e32 v38, v36, v34
	v_lshl_add_u64 v[44:45], s[2:3], 0, v[42:43]
	v_lshlrev_b32_e32 v42, 8, v34
	v_lshl_or_b32 v48, v35, 3, v42
	v_lshl_or_b32 v49, v38, 3, v42
	s_waitcnt lgkmcnt(0)
	s_barrier
	ds_read2st64_b64 v[34:37], v48 offset1:8
	ds_read2st64_b64 v[38:41], v49 offset1:8
	v_lshl_add_u64 v[46:47], v[44:45], 0, v[42:43]
	s_movk_i32 s2, 0x2000
	s_cmp_lg_u32 s56, 64
	s_waitcnt lgkmcnt(1)
	v_mov_b32_e32 v42, v34
	v_mov_b32_e32 v43, v35
	s_waitcnt lgkmcnt(0)
	v_mov_b32_e32 v44, v38
	v_mov_b32_e32 v45, v39
	global_store_dwordx4 v[46:47], v[42:45], off
	v_mov_b32_e32 v38, v36
	v_mov_b32_e32 v39, v37
	ds_read2st64_b64 v[34:37], v48 offset0:16 offset1:24
	ds_read2st64_b64 v[42:45], v49 offset0:16 offset1:24
	v_add_co_u32_e32 v48, vcc, s2, v46
	s_cselect_b64 s[6:7], -1, 0
	s_nop 0
	v_addc_co_u32_e32 v49, vcc, 0, v47, vcc
	global_store_dwordx4 v[48:49], v[38:41], off offset:-4096
	v_lshl_or_b32 v51, v77, 3, v89
	s_mov_b32 s24, 0
	s_waitcnt lgkmcnt(1)
	v_mov_b32_e32 v38, v34
	v_add_co_u32_e32 v34, vcc, 0x3000, v46
	v_mov_b32_e32 v39, v35
	s_nop 0
	v_addc_co_u32_e32 v35, vcc, 0, v47, vcc
	s_waitcnt lgkmcnt(0)
	v_mov_b32_e32 v40, v42
	v_mov_b32_e32 v41, v43
	;; [unrolled: 1-line block ×4, first 2 shown]
	v_or_b32_e32 v54, 32, v51
	v_and_b32_e32 v52, 56, v88
	s_and_b64 vcc, exec, s[6:7]
	global_store_dwordx4 v[48:49], v[38:41], off
	global_store_dwordx4 v[34:35], v[42:45], off
	s_cbranch_vccz .LBB214_31
; %bb.26:
	s_mov_b32 s26, s24
	s_mov_b32 s27, s24
	;; [unrolled: 1-line block ×3, first 2 shown]
	v_mov_b64_e32 v[40:41], s[26:27]
	v_mov_b64_e32 v[38:39], s[24:25]
	;; [unrolled: 1-line block ×3, first 2 shown]
	v_cmp_gt_i32_e32 vcc, s56, v51
	v_mov_b64_e32 v[36:37], v[40:41]
	s_and_saveexec_b64 s[2:3], vcc
	s_cbranch_execz .LBB214_28
; %bb.27:
	v_lshlrev_b32_e32 v34, 8, v51
	v_mov_b32_e32 v35, 0
	v_lshl_add_u64 v[36:37], s[0:1], 0, v[34:35]
	v_lshlrev_b32_e32 v34, 1, v52
	v_lshl_add_u64 v[42:43], v[36:37], 0, v[34:35]
	global_load_dwordx4 v[38:41], v[42:43], off
	global_load_dwordx4 v[34:37], v[42:43], off offset:128
.LBB214_28:
	s_or_b64 exec, exec, s[2:3]
	s_mov_b32 s26, s24
	s_mov_b32 s27, s24
	;; [unrolled: 1-line block ×3, first 2 shown]
	v_mov_b64_e32 v[48:49], s[26:27]
	v_mov_b64_e32 v[46:47], s[24:25]
	v_mov_b64_e32 v[42:43], v[46:47]
	v_cmp_gt_i32_e32 vcc, s56, v54
	v_lshlrev_b32_e32 v55, 7, v54
	v_mov_b64_e32 v[44:45], v[48:49]
	s_and_saveexec_b64 s[2:3], vcc
	s_cbranch_execz .LBB214_30
; %bb.29:
	v_lshlrev_b32_e32 v42, 1, v55
	v_mov_b32_e32 v43, 0
	v_lshl_add_u64 v[44:45], s[0:1], 0, v[42:43]
	v_lshlrev_b32_e32 v42, 1, v52
	v_lshl_add_u64 v[60:61], v[44:45], 0, v[42:43]
	global_load_dwordx4 v[46:49], v[60:61], off
	global_load_dwordx4 v[42:45], v[60:61], off offset:128
.LBB214_30:
	s_or_b64 exec, exec, s[2:3]
	v_lshrrev_b32_e32 v58, 3, v52
	v_lshlrev_b32_e32 v60, 3, v51
	v_or_b32_e32 v58, v60, v58
	v_lshlrev_b32_e32 v58, 4, v58
	v_and_b32_e32 v60, 0x78, v60
	v_xor_b32_e32 v58, v58, v60
	s_branch .LBB214_33
.LBB214_31:
                                        ; implicit-def: $vgpr58
                                        ; implicit-def: $vgpr55
                                        ; implicit-def: $vgpr38_vgpr39_vgpr40_vgpr41
                                        ; implicit-def: $vgpr34_vgpr35_vgpr36_vgpr37
                                        ; implicit-def: $vgpr46_vgpr47_vgpr48_vgpr49
                                        ; implicit-def: $vgpr42_vgpr43_vgpr44_vgpr45
	s_cbranch_execz .LBB214_33
; %bb.32:
	s_waitcnt vmcnt(0)
	v_lshlrev_b32_e32 v34, 1, v52
	v_lshl_or_b32 v55, v51, 8, v34
	s_and_b32 s1, s1, 0xffff
	s_mov_b32 s3, 0x20000
	s_movk_i32 s2, 0x4000
	v_lshl_or_b32 v58, v54, 8, v34
	s_movk_i32 s16, 0x80
	buffer_load_dwordx4 v[38:41], v55, s[0:3], 0 offen
	buffer_load_dwordx4 v[34:37], v55, s[0:3], s16 offen
	;; [unrolled: 1-line block ×4, first 2 shown]
	v_lshrrev_b32_e32 v55, 3, v52
	v_lshlrev_b32_e32 v58, 3, v51
	v_or_b32_e32 v55, v58, v55
	v_lshlrev_b32_e32 v55, 4, v55
	v_and_b32_e32 v58, 0x78, v58
	v_xor_b32_e32 v58, v55, v58
	v_lshlrev_b32_e32 v55, 7, v54
.LBB214_33:
	s_movk_i32 s0, 0x1000
	v_and_or_b32 v54, v55, s0, v58
	s_waitcnt vmcnt(1)
	ds_write_b64 v58, v[38:39] offset:49152
	v_xor_b32_e32 v38, 8, v58
	ds_write_b64 v38, v[40:41] offset:49152
	s_waitcnt vmcnt(0)
	ds_write_b64 v58, v[34:35] offset:57344
	ds_write_b64 v38, v[36:37] offset:57344
	;; [unrolled: 1-line block ×3, first 2 shown]
	v_xor_b32_e32 v34, 8, v54
	ds_write_b64 v34, v[48:49] offset:49152
	ds_write_b64 v54, v[42:43] offset:57344
	;; [unrolled: 1-line block ×3, first 2 shown]
	v_or_b32_e32 v34, v84, v87
	v_lshlrev_b32_e32 v34, 3, v34
	v_lshrrev_b32_e32 v35, 5, v85
	s_movk_i32 s0, 0xf8
	v_and_or_b32 v35, v34, s0, v35
	v_lshlrev_b32_e32 v39, 4, v35
	v_lshlrev_b32_e32 v58, 11, v77
	v_and_b32_e32 v40, 0x78, v34
	v_or_b32_e32 v42, 32, v39
	v_and_b32_e32 v38, 0x1000, v58
	v_lshrrev_b32_e32 v35, 1, v85
	v_xor_b32_e32 v42, v42, v40
	v_xor_b32_e32 v34, v39, v40
	v_and_b32_e32 v41, 8, v35
	v_or_b32_e32 v42, v42, v38
	v_or_b32_e32 v34, v34, v38
	v_xor_b32_e32 v65, v42, v41
	v_or_b32_e32 v42, 64, v39
	v_xor_b32_e32 v64, v34, v41
	v_xor_b32_e32 v42, v42, v40
	s_waitcnt lgkmcnt(0)
	s_barrier
	v_or_b32_e32 v45, v42, v38
	ds_read_b64 v[42:43], v64 offset:49152
	v_lshl_or_b32 v46, v86, 8, v59
	v_lshlrev_b32_e32 v60, 1, v46
	v_add_u32_e32 v44, 0x4000, v60
	ds_read2_b64 v[34:37], v44 offset1:16
	v_or_b32_e32 v39, 0x60, v39
	v_xor_b32_e32 v39, v39, v40
	v_or_b32_e32 v38, v39, v38
	v_xor_b32_e32 v66, v45, v41
	v_xor_b32_e32 v67, v38, v41
	ds_read_b64 v[54:55], v65 offset:49152
	ds_read_b64 v[68:69], v66 offset:49152
	;; [unrolled: 1-line block ×3, first 2 shown]
	s_waitcnt lgkmcnt(3)
	v_mfma_f32_16x16x16_bf16 a[0:3], v[42:43], v[34:35], 0
	ds_read2_b64 v[38:41], v44 offset0:32 offset1:48
	s_lshl_b64 s[0:1], s[44:45], 8
	s_add_u32 s4, s4, s0
	v_mfma_f32_16x16x16_bf16 a[4:7], v[42:43], v[36:37], 0
	ds_read2st64_b64 v[34:37], v60 offset0:36 offset1:40
	s_addc_u32 s5, s5, s1
	s_add_i32 s18, s39, -1
	s_waitcnt lgkmcnt(1)
	v_mfma_f32_16x16x16_bf16 a[8:11], v[42:43], v[38:39], 0
	v_or_b32_e32 v38, 64, v46
	v_lshlrev_b32_e32 v61, 1, v38
	s_add_i32 s0, s49, s48
	s_waitcnt lgkmcnt(0)
	v_mfma_f32_16x16x16_bf16 a[0:3], v[54:55], v[34:35], a[0:3]
	v_or_b32_e32 v34, 0x80, v46
	v_lshlrev_b32_e32 v62, 1, v34
	v_or_b32_e32 v34, 0xc0, v46
	v_mfma_f32_16x16x16_bf16 a[12:15], v[42:43], v[40:41], 0
	ds_read2st64_b64 v[38:41], v61 offset0:36 offset1:40
	v_lshlrev_b32_e32 v63, 1, v34
	ds_read2st64_b64 v[42:45], v62 offset0:36 offset1:40
	ds_read2st64_b64 v[46:49], v63 offset0:36 offset1:40
	s_add_i32 s21, s0, s50
	s_mul_i32 s0, s47, s23
	s_mul_hi_u32 s1, s47, s22
	s_ashr_i32 s2, s18, 31
	s_mul_i32 s3, s18, s15
	s_mul_hi_u32 s16, s18, s14
	s_waitcnt lgkmcnt(2)
	v_mfma_f32_16x16x16_bf16 a[4:7], v[54:55], v[38:39], a[4:7]
	s_add_i32 s0, s1, s0
	s_mul_i32 s1, s29, s22
	s_add_i32 s3, s16, s3
	s_mul_i32 s2, s2, s14
	s_waitcnt lgkmcnt(1)
	v_mfma_f32_16x16x16_bf16 a[8:11], v[54:55], v[42:43], a[8:11]
	s_add_i32 s1, s0, s1
	s_add_i32 s3, s3, s2
	s_lshl_b64 s[20:21], s[20:21], 2
	s_waitcnt lgkmcnt(0)
	v_mfma_f32_16x16x16_bf16 a[12:15], v[54:55], v[46:47], a[12:15]
	s_mul_i32 s0, s47, s22
	s_add_u32 s10, s10, s20
	s_addc_u32 s11, s11, s21
	s_lshl_b64 s[0:1], s[0:1], 2
	v_mfma_f32_16x16x16_bf16 a[0:3], v[68:69], v[36:37], a[0:3]
	s_mul_i32 s2, s18, s14
	ds_read_b64 v[34:35], v60 offset:22528
	s_add_u32 s10, s10, s0
	v_mfma_f32_16x16x16_bf16 a[4:7], v[68:69], v[40:41], a[4:7]
	ds_read_b64 v[36:37], v61 offset:22528
	ds_read_b64 v[38:39], v62 offset:22528
	;; [unrolled: 1-line block ×3, first 2 shown]
	s_addc_u32 s11, s11, s1
	s_lshl_b64 s[0:1], s[2:3], 2
	v_mfma_f32_16x16x16_bf16 a[8:11], v[68:69], v[44:45], a[8:11]
	s_add_u32 s0, s10, s0
	s_addc_u32 s1, s11, s1
	s_load_dword s16, s[0:1], 0x0
	v_mfma_f32_16x16x16_bf16 a[12:15], v[68:69], v[48:49], a[12:15]
	s_and_b64 vcc, exec, s[42:43]
	s_waitcnt lgkmcnt(0)
	v_mfma_f32_16x16x16_bf16 a[0:3], v[70:71], v[34:35], a[0:3]
	v_mfma_f32_16x16x16_bf16 a[4:7], v[70:71], v[36:37], a[4:7]
	;; [unrolled: 1-line block ×4, first 2 shown]
	s_cbranch_vccz .LBB214_44
; %bb.34:
	v_lshlrev_b32_e32 v54, 1, v51
	s_and_b64 vcc, exec, s[6:7]
	s_cbranch_vccz .LBB214_45
; %bb.35:
	v_cmp_gt_i32_e32 vcc, s56, v54
	v_mov_b32_e32 v38, 0
	v_mov_b32_e32 v34, 0
	;; [unrolled: 1-line block ×5, first 2 shown]
	s_and_saveexec_b64 s[0:1], vcc
	s_cbranch_execz .LBB214_37
; %bb.36:
	v_mad_i64_i32 v[34:35], s[2:3], s19, v54, 0
	v_lshl_add_u64 v[34:35], v[34:35], 1, s[4:5]
	v_lshlrev_b32_e32 v36, 1, v52
	v_mov_b32_e32 v37, 0
	v_lshl_add_u64 v[34:35], v[34:35], 0, v[36:37]
	global_load_dwordx4 v[34:37], v[34:35], off
.LBB214_37:
	s_or_b64 exec, exec, s[0:1]
	v_or_b32_e32 v55, 1, v54
	v_cmp_gt_i32_e64 s[0:1], s56, v55
	v_mov_b32_e32 v39, 0
	v_mov_b32_e32 v40, 0
	;; [unrolled: 1-line block ×3, first 2 shown]
	s_and_saveexec_b64 s[2:3], s[0:1]
	s_cbranch_execz .LBB214_39
; %bb.38:
	v_mad_i64_i32 v[38:39], s[20:21], s19, v55, 0
	v_lshl_add_u64 v[38:39], v[38:39], 1, s[4:5]
	v_lshlrev_b32_e32 v40, 1, v52
	v_mov_b32_e32 v41, 0
	v_lshl_add_u64 v[38:39], v[38:39], 0, v[40:41]
	global_load_dwordx4 v[38:41], v[38:39], off
.LBB214_39:
	s_or_b64 exec, exec, s[2:3]
	v_mov_b32_e32 v49, 0
	v_mov_b32_e32 v42, 0
	;; [unrolled: 1-line block ×5, first 2 shown]
	s_and_saveexec_b64 s[2:3], vcc
	s_cbranch_execz .LBB214_41
; %bb.40:
	v_mad_i64_i32 v[42:43], s[20:21], s19, v54, 0
	v_lshl_add_u64 v[42:43], v[42:43], 1, s[4:5]
	v_lshlrev_b32_e32 v44, 1, v52
	v_mov_b32_e32 v45, 0
	v_lshl_add_u64 v[42:43], v[42:43], 0, v[44:45]
	global_load_dwordx4 v[42:45], v[42:43], off offset:128
.LBB214_41:
	s_or_b64 exec, exec, s[2:3]
	v_mov_b32_e32 v48, 0
	v_mov_b32_e32 v47, 0
	;; [unrolled: 1-line block ×3, first 2 shown]
	s_and_saveexec_b64 s[2:3], s[0:1]
	s_cbranch_execz .LBB214_43
; %bb.42:
	v_mad_i64_i32 v[46:47], s[0:1], s19, v55, 0
	v_lshl_add_u64 v[46:47], v[46:47], 1, s[4:5]
	v_lshlrev_b32_e32 v48, 1, v52
	v_mov_b32_e32 v49, 0
	v_lshl_add_u64 v[46:47], v[46:47], 0, v[48:49]
	global_load_dwordx4 v[46:49], v[46:47], off offset:128
.LBB214_43:
	s_or_b64 exec, exec, s[2:3]
	s_branch .LBB214_47
.LBB214_44:
                                        ; implicit-def: $vgpr37
                                        ; implicit-def: $vgpr41
                                        ; implicit-def: $vgpr45
                                        ; implicit-def: $vgpr49
	v_lshrrev_b32_e32 v68, 2, v85
	s_branch .LBB214_48
.LBB214_45:
                                        ; implicit-def: $vgpr37
                                        ; implicit-def: $vgpr41
                                        ; implicit-def: $vgpr45
                                        ; implicit-def: $vgpr49
	s_cbranch_execz .LBB214_47
; %bb.46:
	s_waitcnt vmcnt(0)
	v_mad_u64_u32 v[34:35], s[0:1], v54, s19, v[52:53]
	v_lshlrev_b32_e32 v54, 1, v34
	s_lshl_b32 s2, s19, 7
	s_and_b32 s1, s5, 0xffff
	s_mov_b32 s3, 0x20000
	s_mov_b32 s0, s4
	v_add_lshl_u32 v55, v34, s19, 1
	s_movk_i32 s19, 0x80
	buffer_load_dwordx4 v[34:37], v54, s[0:3], 0 offen
	buffer_load_dwordx4 v[42:45], v54, s[0:3], s19 offen
	;; [unrolled: 1-line block ×4, first 2 shown]
.LBB214_47:
	v_lshrrev_b32_e32 v68, 2, v85
	s_cbranch_execnz .LBB214_60
.LBB214_48:
	s_and_b64 vcc, exec, s[6:7]
	s_cbranch_vccz .LBB214_58
; %bb.49:
	s_waitcnt vmcnt(0)
	v_lshlrev_b32_e32 v39, 1, v51
	v_cmp_gt_i32_e32 vcc, s56, v39
	v_mov_b32_e32 v38, 0
	v_lshlrev_b32_e32 v46, 9, v51
	v_mov_b32_e32 v34, 0
	v_mov_b32_e32 v35, 0
	;; [unrolled: 1-line block ×4, first 2 shown]
	s_and_saveexec_b64 s[0:1], vcc
	s_cbranch_execz .LBB214_51
; %bb.50:
	v_mov_b32_e32 v47, 0
	v_lshl_add_u64 v[34:35], s[4:5], 0, v[46:47]
	v_lshlrev_b32_e32 v36, 1, v52
	v_mov_b32_e32 v37, v47
	v_lshl_add_u64 v[34:35], v[34:35], 0, v[36:37]
	global_load_dwordx4 v[34:37], v[34:35], off
.LBB214_51:
	s_or_b64 exec, exec, s[0:1]
	v_or_b32_e32 v39, 1, v39
	v_cmp_gt_i32_e64 s[0:1], s56, v39
	v_lshlrev_b32_e32 v54, 8, v39
	v_mov_b32_e32 v39, 0
	v_mov_b32_e32 v40, 0
	;; [unrolled: 1-line block ×3, first 2 shown]
	s_and_saveexec_b64 s[2:3], s[0:1]
	s_cbranch_execz .LBB214_53
; %bb.52:
	v_mov_b32_e32 v55, 0
	v_lshl_add_u64 v[38:39], s[4:5], 0, v[54:55]
	v_lshlrev_b32_e32 v40, 1, v52
	v_mov_b32_e32 v41, v55
	v_lshl_add_u64 v[38:39], v[38:39], 0, v[40:41]
	global_load_dwordx4 v[38:41], v[38:39], off
.LBB214_53:
	s_or_b64 exec, exec, s[2:3]
	v_mov_b32_e32 v49, 0
	v_mov_b32_e32 v42, 0
	v_mov_b32_e32 v43, 0
	v_mov_b32_e32 v44, 0
	v_mov_b32_e32 v45, 0
	s_and_saveexec_b64 s[2:3], vcc
	s_cbranch_execz .LBB214_55
; %bb.54:
	v_mov_b32_e32 v47, 0
	v_lshl_add_u64 v[42:43], s[4:5], 0, v[46:47]
	v_lshlrev_b32_e32 v46, 1, v52
	v_lshl_add_u64 v[42:43], v[42:43], 0, v[46:47]
	global_load_dwordx4 v[42:45], v[42:43], off offset:128
.LBB214_55:
	s_or_b64 exec, exec, s[2:3]
	v_mov_b32_e32 v48, 0
	v_mov_b32_e32 v47, 0
	;; [unrolled: 1-line block ×3, first 2 shown]
	s_and_saveexec_b64 s[2:3], s[0:1]
	s_cbranch_execz .LBB214_57
; %bb.56:
	v_mov_b32_e32 v55, 0
	v_lshl_add_u64 v[46:47], s[4:5], 0, v[54:55]
	v_lshlrev_b32_e32 v54, 1, v52
	v_lshl_add_u64 v[46:47], v[46:47], 0, v[54:55]
	global_load_dwordx4 v[46:49], v[46:47], off offset:128
.LBB214_57:
	s_or_b64 exec, exec, s[2:3]
	s_branch .LBB214_60
.LBB214_58:
                                        ; implicit-def: $vgpr37
                                        ; implicit-def: $vgpr41
                                        ; implicit-def: $vgpr45
                                        ; implicit-def: $vgpr49
	s_cbranch_execz .LBB214_60
; %bb.59:
	s_waitcnt vmcnt(0)
	v_lshlrev_b32_e32 v34, 1, v52
	v_lshl_or_b32 v52, v51, 9, v34
	s_and_b32 s5, s5, 0xffff
	s_mov_b32 s7, 0x20000
	s_movk_i32 s6, 0x4000
	s_movk_i32 s0, 0x80
	buffer_load_dwordx4 v[34:37], v52, s[4:7], 0 offen
	buffer_load_dwordx4 v[38:41], v52, s[4:7], 0 offen offset:256
	buffer_load_dwordx4 v[42:45], v52, s[4:7], s0 offen
	buffer_load_dwordx4 v[46:49], v52, s[4:7], s0 offen offset:256
.LBB214_60:
	ds_read_b64 v[54:55], v64 offset:57344
	v_add_u32_e32 v52, 0x6000, v60
	ds_read2_b64 v[70:73], v52 offset1:16
	ds_read_b64 v[82:83], v65 offset:57344
	ds_read_b64 v[86:87], v66 offset:57344
	;; [unrolled: 1-line block ×3, first 2 shown]
	ds_read2_b64 v[64:67], v52 offset0:32 offset1:48
	v_and_b32_e32 v52, 12, v68
	v_and_b32_e32 v76, 6, v0
	v_xor_b32_e32 v51, v51, v76
	v_lshlrev_b32_e32 v51, 2, v51
	s_mov_b32 s0, 0x1000504
	s_waitcnt lgkmcnt(4)
	v_mfma_f32_16x16x16_bf16 a[4:7], v[54:55], v[72:73], a[4:7]
	s_mov_b32 s1, 0x3020706
	v_mfma_f32_16x16x16_bf16 a[0:3], v[54:55], v[70:71], a[0:3]
	ds_read2st64_b64 v[68:71], v60 offset0:52 offset1:56
	s_waitcnt lgkmcnt(1)
	v_mfma_f32_16x16x16_bf16 a[8:11], v[54:55], v[64:65], a[8:11]
	v_mfma_f32_16x16x16_bf16 a[12:15], v[54:55], v[66:67], a[12:15]
	ds_read2st64_b64 v[64:67], v61 offset0:52 offset1:56
	ds_read2st64_b64 v[72:75], v62 offset0:52 offset1:56
	;; [unrolled: 1-line block ×3, first 2 shown]
	s_waitcnt lgkmcnt(2)
	v_mfma_f32_16x16x16_bf16 a[4:7], v[82:83], v[64:65], a[4:7]
	v_and_b32_e32 v64, 1, v0
	v_xor_b32_e32 v65, 0x440, v51
	v_cmp_eq_u32_e32 vcc, 0, v64
	v_mfma_f32_16x16x16_bf16 a[0:3], v[82:83], v[68:69], a[0:3]
	s_waitcnt vmcnt(0)
	v_perm_b32 v64, v34, v38, s0
	v_cndmask_b32_e32 v51, v65, v51, vcc
	v_lshl_or_b32 v51, v76, 10, v51
	s_waitcnt lgkmcnt(1)
	v_mfma_f32_16x16x16_bf16 a[8:11], v[82:83], v[72:73], a[8:11]
	v_perm_b32 v65, v42, v46, s0
	ds_read_b64 v[54:55], v60 offset:30720
	ds_read_b64 v[68:69], v61 offset:30720
	;; [unrolled: 1-line block ×4, first 2 shown]
	ds_write2st64_b32 v51, v64, v65 offset0:128 offset1:160
	s_waitcnt lgkmcnt(5)
	v_mfma_f32_16x16x16_bf16 a[12:15], v[82:83], v[78:79], a[12:15]
	v_xor_b32_e32 v64, 8, v51
	v_perm_b32 v34, v34, v38, s1
	v_perm_b32 v38, v42, v46, s1
	v_add_u32_e32 v42, 0x80, v64
	ds_write2st64_b32 v42, v34, v38 offset0:128 offset1:160
	v_xor_b32_e32 v34, 16, v51
	v_perm_b32 v38, v35, v39, s0
	v_perm_b32 v42, v43, v47, s0
	v_mfma_f32_16x16x16_bf16 a[0:3], v[86:87], v[70:71], a[0:3]
	ds_write2st64_b32 v34, v38, v42 offset0:129 offset1:161
	v_xor_b32_e32 v34, 24, v51
	v_perm_b32 v35, v35, v39, s1
	v_mfma_f32_16x16x16_bf16 a[4:7], v[86:87], v[66:67], a[4:7]
	v_perm_b32 v38, v43, v47, s1
	v_add_u32_e32 v34, 0x80, v34
	ds_write2st64_b32 v34, v35, v38 offset0:129 offset1:161
	v_mfma_f32_16x16x16_bf16 a[16:19], v[86:87], v[74:75], a[8:11]
	v_xor_b32_e32 v34, 32, v51
	v_perm_b32 v35, v36, v40, s0
	v_perm_b32 v38, v44, v48, s0
	v_mfma_f32_16x16x16_bf16 a[20:23], v[86:87], v[80:81], a[12:15]
	ds_write2st64_b32 v34, v35, v38 offset0:130 offset1:162
	v_xor_b32_e32 v34, 40, v51
	v_perm_b32 v35, v36, v40, s1
	s_waitcnt lgkmcnt(8)
	v_mfma_f32_16x16x16_bf16 a[12:15], v[88:89], v[54:55], a[0:3]
	v_perm_b32 v36, v44, v48, s1
	v_add_u32_e32 v34, 0x80, v34
	ds_write2st64_b32 v34, v35, v36 offset0:130 offset1:162
	s_waitcnt lgkmcnt(8)
	v_mfma_f32_16x16x16_bf16 a[8:11], v[88:89], v[68:69], a[4:7]
	v_xor_b32_e32 v34, 48, v51
	v_perm_b32 v35, v37, v41, s0
	v_perm_b32 v36, v45, v49, s0
	s_waitcnt lgkmcnt(7)
	v_mfma_f32_16x16x16_bf16 a[4:7], v[88:89], v[90:91], a[16:19]
	ds_write2st64_b32 v34, v35, v36 offset0:131 offset1:163
	v_xor_b32_e32 v34, 56, v51
	v_or_b32_e32 v48, v52, v84
	s_waitcnt lgkmcnt(7)
	v_mfma_f32_16x16x16_bf16 a[0:3], v[88:89], v[92:93], a[20:23]
	v_perm_b32 v35, v37, v41, s1
	v_perm_b32 v36, v45, v49, s1
	v_add_u32_e32 v34, 0x80, v34
	v_cmp_gt_i32_e64 s[0:1], s56, v48
	v_mov_b32_e32 v54, 0
	v_mov_b32_e32 v55, 0
	ds_write2st64_b32 v34, v35, v36 offset0:131 offset1:163
	s_and_saveexec_b64 s[2:3], s[0:1]
	s_cbranch_execz .LBB214_62
; %bb.61:
	v_add_u32_e32 v34, s28, v48
	v_ashrrev_i32_e32 v35, 31, v34
	v_mul_lo_u32 v36, v35, s14
	v_mul_lo_u32 v37, v34, s15
	v_mad_u64_u32 v[34:35], s[4:5], v34, s14, 0
	v_add3_u32 v35, v35, v37, v36
	v_lshl_add_u64 v[34:35], v[34:35], 2, s[10:11]
	global_load_dword v34, v[34:35], off
	s_waitcnt vmcnt(0)
	v_sub_f32_e32 v34, s16, v34
	v_mul_f32_e32 v34, 0x3fb8aa3b, v34
	v_exp_f32_e32 v55, v34
.LBB214_62:
	s_or_b64 exec, exec, s[2:3]
	v_or_b32_e32 v40, 1, v48
	v_cmp_gt_i32_e64 s[2:3], s56, v40
	s_and_saveexec_b64 s[4:5], s[2:3]
	s_cbranch_execz .LBB214_64
; %bb.63:
	v_add_u32_e32 v34, s28, v40
	v_ashrrev_i32_e32 v35, 31, v34
	v_mul_lo_u32 v36, v35, s14
	v_mul_lo_u32 v37, v34, s15
	v_mad_u64_u32 v[34:35], s[6:7], v34, s14, 0
	v_add3_u32 v35, v35, v37, v36
	v_lshl_add_u64 v[34:35], v[34:35], 2, s[10:11]
	global_load_dword v34, v[34:35], off
	s_waitcnt vmcnt(0)
	v_sub_f32_e32 v34, s16, v34
	v_mul_f32_e32 v34, 0x3fb8aa3b, v34
	v_exp_f32_e32 v54, v34
.LBB214_64:
	s_or_b64 exec, exec, s[4:5]
	v_or_b32_e32 v41, 2, v48
	v_cmp_gt_i32_e64 s[4:5], s56, v41
	v_mov_b32_e32 v49, 0
	v_mov_b32_e32 v64, 0
	s_and_saveexec_b64 s[6:7], s[4:5]
	s_cbranch_execz .LBB214_66
; %bb.65:
	v_add_u32_e32 v34, s28, v41
	v_ashrrev_i32_e32 v35, 31, v34
	v_mul_lo_u32 v36, v35, s14
	v_mul_lo_u32 v37, v34, s15
	v_mad_u64_u32 v[34:35], s[20:21], v34, s14, 0
	v_add3_u32 v35, v35, v37, v36
	v_lshl_add_u64 v[34:35], v[34:35], 2, s[10:11]
	global_load_dword v34, v[34:35], off
	s_waitcnt vmcnt(0)
	v_sub_f32_e32 v34, s16, v34
	v_mul_f32_e32 v34, 0x3fb8aa3b, v34
	v_exp_f32_e32 v64, v34
.LBB214_66:
	s_or_b64 exec, exec, s[6:7]
	v_or_b32_e32 v65, 3, v48
	v_cmp_gt_i32_e32 vcc, s56, v65
	s_and_saveexec_b64 s[6:7], vcc
	s_cbranch_execz .LBB214_68
; %bb.67:
	v_add_u32_e32 v34, s28, v65
	v_ashrrev_i32_e32 v35, 31, v34
	v_mul_lo_u32 v36, v35, s14
	v_mul_lo_u32 v37, v34, s15
	v_mad_u64_u32 v[34:35], s[14:15], v34, s14, 0
	v_add3_u32 v35, v35, v37, v36
	v_lshl_add_u64 v[34:35], v[34:35], 2, s[10:11]
	global_load_dword v34, v[34:35], off
	s_waitcnt vmcnt(0)
	v_sub_f32_e32 v34, s16, v34
	v_mul_f32_e32 v34, 0x3fb8aa3b, v34
	v_exp_f32_e32 v49, v34
.LBB214_68:
	s_or_b64 exec, exec, s[6:7]
	s_add_u32 s6, s8, s30
	v_accvgpr_read_b32 v37, a15
	s_addc_u32 s7, s9, s31
	v_ashrrev_i32_e32 v51, 31, v50
	v_accvgpr_read_b32 v36, a14
	v_accvgpr_read_b32 v35, a13
	;; [unrolled: 1-line block ×3, first 2 shown]
	v_lshl_add_u64 v[38:39], v[50:51], 1, s[6:7]
	v_mov_b32_e32 v45, 0
	v_lshlrev_b32_e32 v42, 8, v48
	v_mov_b32_e32 v43, 0
	s_and_saveexec_b64 s[6:7], s[0:1]
	s_cbranch_execz .LBB214_70
; %bb.69:
	v_mov_b32_e32 v43, 0
	v_lshl_add_u64 v[46:47], v[38:39], 0, v[42:43]
	global_load_ushort v43, v[46:47], off
	s_waitcnt vmcnt(0)
	v_lshlrev_b32_e32 v43, 16, v43
	v_sub_f32_e32 v34, v43, v34
	v_mul_f32_e32 v34, v55, v34
	v_lshrrev_b32_e32 v43, 16, v34
.LBB214_70:
	s_or_b64 exec, exec, s[6:7]
	v_lshlrev_b32_e32 v44, 8, v40
	s_and_saveexec_b64 s[6:7], s[2:3]
	s_cbranch_execz .LBB214_72
; %bb.71:
	v_mov_b32_e32 v45, 0
	v_lshl_add_u64 v[46:47], v[38:39], 0, v[44:45]
	global_load_ushort v34, v[46:47], off
	s_waitcnt vmcnt(0)
	v_lshlrev_b32_e32 v34, 16, v34
	v_sub_f32_e32 v34, v34, v35
	v_mul_f32_e32 v34, v54, v34
	v_lshrrev_b32_e32 v45, 16, v34
.LBB214_72:
	s_or_b64 exec, exec, s[6:7]
	v_mov_b32_e32 v66, 0
	v_lshlrev_b32_e32 v46, 8, v41
	v_mov_b32_e32 v47, 0
	s_and_saveexec_b64 s[6:7], s[4:5]
	s_cbranch_execz .LBB214_74
; %bb.73:
	v_mov_b32_e32 v47, 0
	v_lshl_add_u64 v[34:35], v[38:39], 0, v[46:47]
	global_load_ushort v34, v[34:35], off
	s_waitcnt vmcnt(0)
	v_lshlrev_b32_e32 v34, 16, v34
	v_sub_f32_e32 v34, v34, v36
	v_mul_f32_e32 v34, v64, v34
	v_lshrrev_b32_e32 v47, 16, v34
.LBB214_74:
	s_or_b64 exec, exec, s[6:7]
	v_lshlrev_b32_e32 v40, 8, v65
	s_and_saveexec_b64 s[6:7], vcc
	s_cbranch_execz .LBB214_76
; %bb.75:
	v_mov_b32_e32 v41, 0
	v_lshl_add_u64 v[34:35], v[38:39], 0, v[40:41]
	global_load_ushort v34, v[34:35], off
	s_waitcnt vmcnt(0)
	v_lshlrev_b32_e32 v34, 16, v34
	v_sub_f32_e32 v34, v34, v37
	v_mul_f32_e32 v34, v49, v34
	v_lshrrev_b32_e32 v66, 16, v34
.LBB214_76:
	s_or_b64 exec, exec, s[6:7]
	v_lshlrev_b32_e32 v51, 6, v48
	v_accvgpr_read_b32 v37, a11
	s_mov_b32 s6, 0x5040100
	v_or_b32_e32 v41, v51, v59
	v_accvgpr_read_b32 v36, a10
	v_accvgpr_read_b32 v35, a9
	v_accvgpr_read_b32 v34, a8
	v_perm_b32 v67, v66, v47, s6
	v_perm_b32 v66, v45, v43, s6
	v_lshlrev_b32_e32 v41, 1, v41
	v_mov_b32_e32 v45, 0
	v_mov_b32_e32 v43, 0
	ds_write_b64 v41, v[66:67] offset:24576
	s_and_saveexec_b64 s[6:7], s[0:1]
	s_cbranch_execz .LBB214_78
; %bb.77:
	v_mov_b32_e32 v43, 0
	v_lshl_add_u64 v[66:67], v[38:39], 0, v[42:43]
	global_load_ushort v41, v[66:67], off offset:32
	s_waitcnt vmcnt(0)
	v_lshlrev_b32_e32 v41, 16, v41
	v_sub_f32_e32 v34, v41, v34
	v_mul_f32_e32 v34, v55, v34
	v_lshrrev_b32_e32 v43, 16, v34
.LBB214_78:
	s_or_b64 exec, exec, s[6:7]
	s_and_saveexec_b64 s[6:7], s[2:3]
	s_cbranch_execz .LBB214_80
; %bb.79:
	v_mov_b32_e32 v45, 0
	v_lshl_add_u64 v[66:67], v[38:39], 0, v[44:45]
	global_load_ushort v34, v[66:67], off offset:32
	s_waitcnt vmcnt(0)
	v_lshlrev_b32_e32 v34, 16, v34
	v_sub_f32_e32 v34, v34, v35
	v_mul_f32_e32 v34, v54, v34
	v_lshrrev_b32_e32 v45, 16, v34
.LBB214_80:
	s_or_b64 exec, exec, s[6:7]
	v_mov_b32_e32 v41, 0
	v_mov_b32_e32 v47, 0
	s_and_saveexec_b64 s[6:7], s[4:5]
	s_cbranch_execz .LBB214_82
; %bb.81:
	v_mov_b32_e32 v47, 0
	v_lshl_add_u64 v[34:35], v[38:39], 0, v[46:47]
	global_load_ushort v34, v[34:35], off offset:32
	s_waitcnt vmcnt(0)
	v_lshlrev_b32_e32 v34, 16, v34
	v_sub_f32_e32 v34, v34, v36
	v_mul_f32_e32 v34, v64, v34
	v_lshrrev_b32_e32 v47, 16, v34
.LBB214_82:
	s_or_b64 exec, exec, s[6:7]
	s_and_saveexec_b64 s[6:7], vcc
	s_cbranch_execz .LBB214_84
; %bb.83:
	v_mov_b32_e32 v41, 0
	v_lshl_add_u64 v[34:35], v[38:39], 0, v[40:41]
	global_load_ushort v34, v[34:35], off offset:32
	s_waitcnt vmcnt(0)
	v_lshlrev_b32_e32 v34, 16, v34
	v_sub_f32_e32 v34, v34, v37
	v_mul_f32_e32 v34, v49, v34
	v_lshrrev_b32_e32 v41, 16, v34
.LBB214_84:
	s_or_b64 exec, exec, s[6:7]
	s_mov_b32 s6, 0x5040100
	v_accvgpr_read_b32 v37, a7
	v_perm_b32 v67, v41, v47, s6
	v_or_b32_e32 v41, v51, v57
	v_accvgpr_read_b32 v36, a6
	v_accvgpr_read_b32 v35, a5
	;; [unrolled: 1-line block ×3, first 2 shown]
	v_perm_b32 v66, v45, v43, s6
	v_lshlrev_b32_e32 v41, 1, v41
	v_mov_b32_e32 v45, 0
	v_mov_b32_e32 v43, 0
	ds_write_b64 v41, v[66:67] offset:24576
	s_and_saveexec_b64 s[6:7], s[0:1]
	s_cbranch_execz .LBB214_86
; %bb.85:
	v_mov_b32_e32 v43, 0
	v_lshl_add_u64 v[66:67], v[38:39], 0, v[42:43]
	global_load_ushort v41, v[66:67], off offset:64
	s_waitcnt vmcnt(0)
	v_lshlrev_b32_e32 v41, 16, v41
	v_sub_f32_e32 v34, v41, v34
	v_mul_f32_e32 v34, v55, v34
	v_lshrrev_b32_e32 v43, 16, v34
.LBB214_86:
	s_or_b64 exec, exec, s[6:7]
	s_and_saveexec_b64 s[6:7], s[2:3]
	s_cbranch_execz .LBB214_88
; %bb.87:
	v_mov_b32_e32 v45, 0
	v_lshl_add_u64 v[66:67], v[38:39], 0, v[44:45]
	global_load_ushort v34, v[66:67], off offset:64
	s_waitcnt vmcnt(0)
	v_lshlrev_b32_e32 v34, 16, v34
	v_sub_f32_e32 v34, v34, v35
	v_mul_f32_e32 v34, v54, v34
	v_lshrrev_b32_e32 v45, 16, v34
.LBB214_88:
	s_or_b64 exec, exec, s[6:7]
	v_mov_b32_e32 v41, 0
	v_mov_b32_e32 v47, 0
	s_and_saveexec_b64 s[6:7], s[4:5]
	s_cbranch_execz .LBB214_90
; %bb.89:
	v_mov_b32_e32 v47, 0
	v_lshl_add_u64 v[34:35], v[38:39], 0, v[46:47]
	global_load_ushort v34, v[34:35], off offset:64
	s_waitcnt vmcnt(0)
	v_lshlrev_b32_e32 v34, 16, v34
	v_sub_f32_e32 v34, v34, v36
	v_mul_f32_e32 v34, v64, v34
	v_lshrrev_b32_e32 v47, 16, v34
.LBB214_90:
	s_or_b64 exec, exec, s[6:7]
	s_and_saveexec_b64 s[6:7], vcc
	s_cbranch_execz .LBB214_92
; %bb.91:
	v_mov_b32_e32 v41, 0
	v_lshl_add_u64 v[34:35], v[38:39], 0, v[40:41]
	global_load_ushort v34, v[34:35], off offset:64
	s_waitcnt vmcnt(0)
	v_lshlrev_b32_e32 v34, 16, v34
	v_sub_f32_e32 v34, v34, v37
	v_mul_f32_e32 v34, v49, v34
	v_lshrrev_b32_e32 v41, 16, v34
.LBB214_92:
	s_or_b64 exec, exec, s[6:7]
	s_mov_b32 s6, 0x5040100
	v_accvgpr_read_b32 v37, a3
	v_perm_b32 v67, v41, v47, s6
	v_or_b32_e32 v41, v51, v56
	v_accvgpr_read_b32 v36, a2
	v_accvgpr_read_b32 v35, a1
	;; [unrolled: 1-line block ×3, first 2 shown]
	v_perm_b32 v66, v45, v43, s6
	v_lshlrev_b32_e32 v41, 1, v41
	v_mov_b32_e32 v45, 0
	v_mov_b32_e32 v43, 0
	ds_write_b64 v41, v[66:67] offset:24576
	s_and_saveexec_b64 s[6:7], s[0:1]
	s_cbranch_execz .LBB214_94
; %bb.93:
	v_mov_b32_e32 v43, 0
	v_lshl_add_u64 v[42:43], v[38:39], 0, v[42:43]
	global_load_ushort v41, v[42:43], off offset:96
	s_waitcnt vmcnt(0)
	v_lshlrev_b32_e32 v41, 16, v41
	v_sub_f32_e32 v34, v41, v34
	v_mul_f32_e32 v34, v55, v34
	v_lshrrev_b32_e32 v43, 16, v34
.LBB214_94:
	s_or_b64 exec, exec, s[6:7]
	s_and_saveexec_b64 s[0:1], s[2:3]
	s_cbranch_execz .LBB214_96
; %bb.95:
	v_mov_b32_e32 v45, 0
	v_lshl_add_u64 v[44:45], v[38:39], 0, v[44:45]
	global_load_ushort v34, v[44:45], off offset:96
	s_waitcnt vmcnt(0)
	v_lshlrev_b32_e32 v34, 16, v34
	v_sub_f32_e32 v34, v34, v35
	v_mul_f32_e32 v34, v54, v34
	v_lshrrev_b32_e32 v45, 16, v34
.LBB214_96:
	s_or_b64 exec, exec, s[0:1]
	v_mov_b32_e32 v41, 0
	v_mov_b32_e32 v44, 0
	s_and_saveexec_b64 s[0:1], s[4:5]
	s_cbranch_execz .LBB214_98
; %bb.97:
	v_mov_b32_e32 v47, 0
	v_lshl_add_u64 v[34:35], v[38:39], 0, v[46:47]
	global_load_ushort v34, v[34:35], off offset:96
	s_waitcnt vmcnt(0)
	v_lshlrev_b32_e32 v34, 16, v34
	v_sub_f32_e32 v34, v34, v36
	v_mul_f32_e32 v34, v64, v34
	v_lshrrev_b32_e32 v44, 16, v34
.LBB214_98:
	s_or_b64 exec, exec, s[0:1]
	v_or_b32_e32 v34, 0x6000, v60
	v_or_b32_e32 v35, 0x6000, v61
	;; [unrolled: 1-line block ×4, first 2 shown]
	s_and_saveexec_b64 s[0:1], vcc
	s_cbranch_execz .LBB214_100
; %bb.99:
	v_mov_b32_e32 v41, 0
	v_lshl_add_u64 v[38:39], v[38:39], 0, v[40:41]
	global_load_ushort v38, v[38:39], off offset:96
	s_waitcnt vmcnt(0)
	v_lshlrev_b32_e32 v38, 16, v38
	v_sub_f32_e32 v37, v38, v37
	v_mul_f32_e32 v37, v49, v37
	v_lshrrev_b32_e32 v41, 16, v37
.LBB214_100:
	s_or_b64 exec, exec, s[0:1]
	s_mov_b32 s0, 0x5040100
	v_or_b32_e32 v37, v51, v53
	v_perm_b32 v39, v41, v44, s0
	v_perm_b32 v38, v45, v43, s0
	v_lshlrev_b32_e32 v37, 1, v37
	ds_write_b64 v37, v[38:39] offset:24576
	v_and_b32_e32 v37, 7, v0
	v_lshlrev_b32_e32 v51, 3, v37
	v_lshlrev_b32_e32 v84, 7, v37
	v_lshrrev_b32_e32 v37, 1, v0
	v_and_b32_e32 v37, 24, v37
	v_lshlrev_b32_e32 v49, 3, v77
	s_mul_i32 s0, s18, s17
	v_and_b32_e32 v43, 8, v0
	s_movk_i32 s4, 0x100
	v_xor_b32_e32 v59, v49, v37
	s_add_u32 s2, s0, s47
	v_cmp_eq_u32_e32 vcc, 0, v43
	v_cmp_gt_u32_e64 s[0:1], s4, v0
	v_or_b32_e32 v0, 0x440, v59
	v_mov_b32_e32 v44, 0x400
	v_cndmask_b32_e32 v0, v0, v59, vcc
	v_cndmask_b32_e64 v43, v44, 64, vcc
	v_mov_b32_e32 v44, 0xa000
	v_mov_b32_e32 v45, 0x8000
	v_or_b32_e32 v0, v0, v58
	v_cndmask_b32_e64 v53, v44, v45, s[0:1]
	v_xor_b32_e32 v85, v0, v51
	v_add3_u32 v0, v53, v85, v84
	s_waitcnt lgkmcnt(0)
	s_barrier
	ds_read_b64 v[60:61], v0
	v_or_b32_e32 v0, 32, v37
	v_xor_b32_e32 v0, v49, v0
	v_or_b32_e32 v44, 0x440, v0
	s_mul_hi_i32 s3, s18, s17
	v_cndmask_b32_e32 v0, v44, v0, vcc
	v_or_b32_e32 v0, v0, v58
	s_addc_u32 s3, s3, s29
	v_xor_b32_e32 v86, v0, v51
	s_lshl_b64 s[0:1], s[2:3], 9
	v_add3_u32 v0, v53, v86, v84
	s_add_u32 s0, s36, s0
	ds_read_b64 v[78:79], v0
	s_addc_u32 s1, s37, s1
	v_lshlrev_b32_e32 v0, 2, v48
	global_load_dwordx4 v[54:57], v0, s[0:1]
	ds_read2_b64 v[38:41], v34 offset1:16
	ds_read2_b64 v[44:47], v34 offset0:32 offset1:48
	v_or_b32_e32 v37, 0x60, v37
	v_or3_b32 v43, v58, v43, v59
	v_xor_b32_e32 v37, v49, v37
	s_waitcnt lgkmcnt(1)
	v_mfma_f32_16x16x16_bf16 a[0:3], v[60:61], v[38:39], 0
	ds_read2st64_b64 v[64:67], v35 offset0:4 offset1:8
	ds_read2st64_b64 v[68:71], v36 offset0:4 offset1:8
	;; [unrolled: 1-line block ×3, first 2 shown]
	v_mfma_f32_16x16x16_bf16 a[4:7], v[60:61], v[40:41], 0
	v_xor_b32_e32 v43, v43, v51
	v_xor_b32_e32 v48, 0x440, v37
	v_or_b32_e32 v87, v43, v84
	s_waitcnt lgkmcnt(3)
	v_mfma_f32_16x16x16_bf16 a[8:11], v[60:61], v[44:45], 0
	v_cndmask_b32_e32 v37, v48, v37, vcc
	v_or_b32_e32 v43, v53, v87
	v_or_b32_e32 v37, v37, v58
	v_mfma_f32_16x16x16_bf16 a[12:15], v[60:61], v[46:47], 0
	ds_read2st64_b64 v[60:63], v34 offset0:4 offset1:8
	ds_read_b64 v[48:49], v43
	v_xor_b32_e32 v51, v37, v51
	v_lshlrev_b32_e32 v37, 6, v77
	v_lshlrev_b32_e32 v43, 2, v52
	v_or3_b32 v37, v37, v43, s4
	s_waitcnt lgkmcnt(1)
	v_mfma_f32_16x16x16_bf16 a[0:3], v[78:79], v[60:61], a[0:3]
	v_mov_b32_e32 v0, 0x3fb8aa3b
	v_mul_f32_e32 v0, s16, v0
	v_exp_f32_e32 v0, v0
	v_mfma_f32_16x16x16_bf16 a[4:7], v[78:79], v[64:65], a[4:7]
	v_mfma_f32_16x16x16_bf16 a[8:11], v[78:79], v[68:69], a[8:11]
	;; [unrolled: 1-line block ×3, first 2 shown]
	global_load_dwordx4 v[76:79], v37, s[0:1]
	v_add3_u32 v37, v53, v51, v84
	ds_read_b64 v[52:53], v37
	s_waitcnt lgkmcnt(1)
	v_mfma_f32_16x16x16_bf16 a[0:3], v[48:49], v[62:63], a[0:3]
	ds_read_b64 v[58:59], v34 offset:6144
	ds_read_b64 v[80:81], v35 offset:6144
	;; [unrolled: 1-line block ×4, first 2 shown]
	v_add_u32_e32 v51, v51, v84
	s_waitcnt vmcnt(1)
	v_mul_f32_e32 v34, 0x3fb8aa3b, v54
	v_mfma_f32_16x16x16_bf16 a[4:7], v[48:49], v[66:67], a[4:7]
	v_mul_f32_e32 v35, 0x3fb8aa3b, v55
	v_exp_f32_e32 v34, v34
	v_exp_f32_e32 v35, v35
	v_mfma_f32_16x16x16_bf16 a[8:11], v[48:49], v[70:71], a[8:11]
	v_mul_f32_e32 v36, 0x3fb8aa3b, v56
	v_mul_f32_e32 v37, 0x3fb8aa3b, v57
	v_exp_f32_e32 v36, v36
	v_mfma_f32_16x16x16_bf16 a[12:15], v[48:49], v[74:75], a[12:15]
	v_add_u32_e32 v48, v85, v84
	ds_read_b64 v[48:49], v48 offset:40960
	v_exp_f32_e32 v37, v37
	s_waitcnt lgkmcnt(4)
	v_mfma_f32_16x16x16_bf16 a[0:3], v[52:53], v[58:59], a[0:3]
	v_pk_mul_f32 v[34:35], v[0:1], v[34:35] op_sel_hi:[0,1]
	v_pk_mul_f32 v[30:31], v[30:31], v[34:35]
	v_pk_mul_f32 v[36:37], v[0:1], v[36:37] op_sel_hi:[0,1]
	s_waitcnt lgkmcnt(1)
	v_mfma_f32_16x16x16_bf16 a[12:15], v[52:53], v[42:43], a[12:15]
	v_pk_mul_f32 v[32:33], v[32:33], v[36:37]
	v_pk_mul_f32 v[26:27], v[34:35], v[26:27]
	;; [unrolled: 1-line block ×3, first 2 shown]
	v_mfma_f32_16x16x16_bf16 a[4:7], v[52:53], v[80:81], a[4:7]
	v_add_u32_e32 v54, v86, v84
	ds_read_b64 v[54:55], v54 offset:40960
	ds_read_b64 v[56:57], v51 offset:40960
	v_pk_mul_f32 v[22:23], v[34:35], v[22:23]
	v_mfma_f32_16x16x16_bf16 a[8:11], v[52:53], v[82:83], a[8:11]
	v_accvgpr_read_b32 v53, a15
	v_accvgpr_read_b32 v52, a14
	v_pk_mul_f32 v[24:25], v[36:37], v[24:25]
	s_waitcnt lgkmcnt(2)
	v_mfma_f32_16x16x16_bf16 a[14:17], v[48:49], v[38:39], 0
	v_accvgpr_read_b32 v38, a0
	v_add_f32_e32 v30, v30, v38
	v_accvgpr_read_b32 v38, a1
	v_add_f32_e32 v31, v31, v38
	;; [unrolled: 2-line block ×8, first 2 shown]
	ds_read_b64 v[38:39], v87 offset:40960
	v_mfma_f32_16x16x16_bf16 a[18:21], v[48:49], v[40:41], 0
	v_accvgpr_read_b32 v40, a8
	v_add_f32_e32 v22, v22, v40
	v_accvgpr_read_b32 v40, a9
	s_waitcnt lgkmcnt(2)
	v_mfma_f32_16x16x16_bf16 a[14:17], v[54:55], v[60:61], a[14:17]
	v_add_f32_e32 v23, v23, v40
	v_accvgpr_read_b32 v40, a10
	v_add_f32_e32 v24, v24, v40
	v_accvgpr_read_b32 v40, a11
	;; [unrolled: 2-line block ×3, first 2 shown]
	v_mfma_f32_16x16x16_bf16 a[22:25], v[48:49], v[44:45], 0
	v_accvgpr_read_b32 v40, a12
	v_pk_fma_f32 v[2:3], v[34:35], v[2:3], v[40:41]
	v_pk_fma_f32 v[4:5], v[36:37], v[4:5], v[52:53]
	v_mfma_f32_16x16x16_bf16 a[4:7], v[54:55], v[64:65], a[18:21]
	s_waitcnt vmcnt(0)
	v_mov_b32_e32 v34, v77
	v_mov_b32_e32 v35, v78
	v_mov_b32_e32 v36, v79
	s_waitcnt lgkmcnt(0)
	v_mfma_f32_16x16x16_bf16 a[8:11], v[38:39], v[62:63], a[14:17]
	v_mul_f32_e32 v37, 0x3fb8aa3b, v76
	v_mul_f32_e32 v34, 0x3fb8aa3b, v34
	v_exp_f32_e32 v40, v37
	v_mfma_f32_16x16x16_bf16 a[0:3], v[48:49], v[46:47], 0
	v_exp_f32_e32 v41, v34
	v_mul_f32_e32 v34, 0x3fb8aa3b, v35
	v_mul_f32_e32 v35, 0x3fb8aa3b, v36
	v_mfma_f32_16x16x16_bf16 a[18:21], v[54:55], v[68:69], a[22:25]
	v_exp_f32_e32 v34, v34
	v_exp_f32_e32 v35, v35
	v_pk_mul_f32 v[36:37], v[0:1], v[40:41] op_sel_hi:[0,1]
	v_mfma_f32_16x16x16_bf16 a[4:7], v[38:39], v[66:67], a[4:7]
	v_pk_mul_f32 v[18:19], v[18:19], v[36:37]
	v_pk_mul_f32 v[34:35], v[0:1], v[34:35] op_sel_hi:[0,1]
	v_pk_mul_f32 v[20:21], v[20:21], v[34:35]
	v_mfma_f32_16x16x16_bf16 a[8:11], v[56:57], v[58:59], a[8:11]
	v_pk_mul_f32 v[14:15], v[36:37], v[14:15]
	v_pk_mul_f32 v[16:17], v[34:35], v[16:17]
	;; [unrolled: 1-line block ×3, first 2 shown]
	v_mfma_f32_16x16x16_bf16 a[0:3], v[54:55], v[72:73], a[0:3]
	v_pk_mul_f32 v[12:13], v[34:35], v[12:13]
	v_mfma_f32_16x16x16_bf16 a[12:15], v[38:39], v[70:71], a[18:21]
	s_nop 0
	v_accvgpr_read_b32 v0, a8
	v_add_f32_e32 v18, v18, v0
	v_accvgpr_read_b32 v0, a9
	v_mfma_f32_16x16x16_bf16 a[4:7], v[56:57], v[80:81], a[4:7]
	v_add_f32_e32 v19, v19, v0
	v_accvgpr_read_b32 v0, a10
	v_add_f32_e32 v20, v20, v0
	v_mfma_f32_16x16x16_bf16 a[0:3], v[38:39], v[74:75], a[0:3]
	v_accvgpr_read_b32 v0, a11
	v_add_f32_e32 v21, v21, v0
	v_mfma_f32_16x16x16_bf16 a[12:15], v[56:57], v[82:83], a[12:15]
	v_accvgpr_read_b32 v0, a4
	v_add_f32_e32 v14, v14, v0
	v_accvgpr_read_b32 v0, a5
	v_mfma_f32_16x16x16_bf16 a[0:3], v[56:57], v[42:43], a[0:3]
	v_add_f32_e32 v15, v15, v0
	v_accvgpr_read_b32 v0, a6
	v_add_f32_e32 v16, v16, v0
	v_accvgpr_read_b32 v0, a7
	;; [unrolled: 2-line block ×5, first 2 shown]
	v_accvgpr_read_b32 v41, a1
	v_accvgpr_read_b32 v39, a3
	;; [unrolled: 1-line block ×3, first 2 shown]
	v_add_f32_e32 v12, v12, v0
	v_accvgpr_read_b32 v0, a15
	v_accvgpr_read_b32 v40, a0
	v_add_f32_e32 v13, v13, v0
	v_pk_fma_f32 v[6:7], v[36:37], v[6:7], v[40:41]
	v_pk_fma_f32 v[8:9], v[34:35], v[8:9], v[38:39]
	v_mov_b32_e32 v34, v50
.LBB214_101:
	s_mul_i32 s0, s33, s35
	s_mul_hi_u32 s1, s33, s34
	s_add_i32 s0, s1, s0
	s_mul_i32 s1, s46, s34
	s_add_i32 s1, s0, s1
	s_mul_i32 s0, s33, s34
	s_add_u32 s0, s0, s47
	s_addc_u32 s1, s1, s29
	s_lshl_b64 s[0:1], s[0:1], 16
	s_add_u32 s0, s12, s0
	v_lshlrev_b32_e32 v34, 7, v34
	s_addc_u32 s1, s13, s1
	v_ashrrev_i32_e32 v35, 31, v34
	v_lshl_add_u64 v[36:37], v[34:35], 2, s[0:1]
	v_lshlrev_b32_e32 v0, 2, v1
	v_mov_b32_e32 v1, 0
	v_lshl_add_u64 v[36:37], v[36:37], 0, v[0:1]
	global_store_dwordx4 v[36:37], v[30:33], off
	global_store_dwordx4 v[36:37], v[18:21], off offset:256
	s_nop 1
	v_or_b32_e32 v18, 0x800, v34
	v_ashrrev_i32_e32 v19, 31, v18
	v_lshl_add_u64 v[18:19], v[18:19], 2, s[0:1]
	v_lshl_add_u64 v[18:19], v[18:19], 0, v[0:1]
	global_store_dwordx4 v[18:19], v[26:29], off
	global_store_dwordx4 v[18:19], v[14:17], off offset:256
	s_nop 1
	v_or_b32_e32 v14, 0x1000, v34
	v_ashrrev_i32_e32 v15, 31, v14
	v_lshl_add_u64 v[14:15], v[14:15], 2, s[0:1]
	;; [unrolled: 7-line block ×3, first 2 shown]
	v_lshl_add_u64 v[0:1], v[10:11], 0, v[0:1]
	global_store_dwordx4 v[0:1], v[2:5], off
	global_store_dwordx4 v[0:1], v[6:9], off offset:256
	s_endpgm
	.section	.rodata,"a",@progbits
	.p2align	6, 0x0
	.amdhsa_kernel _ZN12_GLOBAL__N_139chunk_gated_delta_rule_fwd_h_hip_kernelILi64ELb0ELb1ELb0ELb1ELb0ELb1ELb0ELb0EEEvPK12hip_bfloat16S3_S3_PKfS5_PKvPS1_S8_PvPKiSB_iiiiilll
		.amdhsa_group_segment_fixed_size 65536
		.amdhsa_private_segment_fixed_size 0
		.amdhsa_kernarg_size 136
		.amdhsa_user_sgpr_count 2
		.amdhsa_user_sgpr_dispatch_ptr 0
		.amdhsa_user_sgpr_queue_ptr 0
		.amdhsa_user_sgpr_kernarg_segment_ptr 1
		.amdhsa_user_sgpr_dispatch_id 0
		.amdhsa_user_sgpr_kernarg_preload_length 0
		.amdhsa_user_sgpr_kernarg_preload_offset 0
		.amdhsa_user_sgpr_private_segment_size 0
		.amdhsa_uses_dynamic_stack 0
		.amdhsa_enable_private_segment 0
		.amdhsa_system_sgpr_workgroup_id_x 1
		.amdhsa_system_sgpr_workgroup_id_y 1
		.amdhsa_system_sgpr_workgroup_id_z 0
		.amdhsa_system_sgpr_workgroup_info 0
		.amdhsa_system_vgpr_workitem_id 0
		.amdhsa_next_free_vgpr 232
		.amdhsa_next_free_sgpr 67
		.amdhsa_accum_offset 192
		.amdhsa_reserve_vcc 1
		.amdhsa_float_round_mode_32 0
		.amdhsa_float_round_mode_16_64 0
		.amdhsa_float_denorm_mode_32 3
		.amdhsa_float_denorm_mode_16_64 3
		.amdhsa_dx10_clamp 1
		.amdhsa_ieee_mode 1
		.amdhsa_fp16_overflow 0
		.amdhsa_tg_split 0
		.amdhsa_exception_fp_ieee_invalid_op 0
		.amdhsa_exception_fp_denorm_src 0
		.amdhsa_exception_fp_ieee_div_zero 0
		.amdhsa_exception_fp_ieee_overflow 0
		.amdhsa_exception_fp_ieee_underflow 0
		.amdhsa_exception_fp_ieee_inexact 0
		.amdhsa_exception_int_div_zero 0
	.end_amdhsa_kernel
	.section	.text._ZN12_GLOBAL__N_139chunk_gated_delta_rule_fwd_h_hip_kernelILi64ELb0ELb1ELb0ELb1ELb0ELb1ELb0ELb0EEEvPK12hip_bfloat16S3_S3_PKfS5_PKvPS1_S8_PvPKiSB_iiiiilll,"axG",@progbits,_ZN12_GLOBAL__N_139chunk_gated_delta_rule_fwd_h_hip_kernelILi64ELb0ELb1ELb0ELb1ELb0ELb1ELb0ELb0EEEvPK12hip_bfloat16S3_S3_PKfS5_PKvPS1_S8_PvPKiSB_iiiiilll,comdat
.Lfunc_end214:
	.size	_ZN12_GLOBAL__N_139chunk_gated_delta_rule_fwd_h_hip_kernelILi64ELb0ELb1ELb0ELb1ELb0ELb1ELb0ELb0EEEvPK12hip_bfloat16S3_S3_PKfS5_PKvPS1_S8_PvPKiSB_iiiiilll, .Lfunc_end214-_ZN12_GLOBAL__N_139chunk_gated_delta_rule_fwd_h_hip_kernelILi64ELb0ELb1ELb0ELb1ELb0ELb1ELb0ELb0EEEvPK12hip_bfloat16S3_S3_PKfS5_PKvPS1_S8_PvPKiSB_iiiiilll
                                        ; -- End function
	.section	.AMDGPU.csdata,"",@progbits
; Kernel info:
; codeLenInByte = 12668
; NumSgprs: 73
; NumVgprs: 190
; NumAgprs: 40
; TotalNumVgprs: 232
; ScratchSize: 0
; MemoryBound: 0
; FloatMode: 240
; IeeeMode: 1
; LDSByteSize: 65536 bytes/workgroup (compile time only)
; SGPRBlocks: 9
; VGPRBlocks: 28
; NumSGPRsForWavesPerEU: 73
; NumVGPRsForWavesPerEU: 232
; AccumOffset: 192
; Occupancy: 1
; WaveLimiterHint : 1
; COMPUTE_PGM_RSRC2:SCRATCH_EN: 0
; COMPUTE_PGM_RSRC2:USER_SGPR: 2
; COMPUTE_PGM_RSRC2:TRAP_HANDLER: 0
; COMPUTE_PGM_RSRC2:TGID_X_EN: 1
; COMPUTE_PGM_RSRC2:TGID_Y_EN: 1
; COMPUTE_PGM_RSRC2:TGID_Z_EN: 0
; COMPUTE_PGM_RSRC2:TIDIG_COMP_CNT: 0
; COMPUTE_PGM_RSRC3_GFX90A:ACCUM_OFFSET: 47
; COMPUTE_PGM_RSRC3_GFX90A:TG_SPLIT: 0
	.section	.text._ZN12_GLOBAL__N_139chunk_gated_delta_rule_fwd_h_hip_kernelILi64ELb0ELb0ELb1ELb1ELb0ELb1ELb0ELb0EEEvPK12hip_bfloat16S3_S3_PKfS5_PKvPS1_S8_PvPKiSB_iiiiilll,"axG",@progbits,_ZN12_GLOBAL__N_139chunk_gated_delta_rule_fwd_h_hip_kernelILi64ELb0ELb0ELb1ELb1ELb0ELb1ELb0ELb0EEEvPK12hip_bfloat16S3_S3_PKfS5_PKvPS1_S8_PvPKiSB_iiiiilll,comdat
	.globl	_ZN12_GLOBAL__N_139chunk_gated_delta_rule_fwd_h_hip_kernelILi64ELb0ELb0ELb1ELb1ELb0ELb1ELb0ELb0EEEvPK12hip_bfloat16S3_S3_PKfS5_PKvPS1_S8_PvPKiSB_iiiiilll ; -- Begin function _ZN12_GLOBAL__N_139chunk_gated_delta_rule_fwd_h_hip_kernelILi64ELb0ELb0ELb1ELb1ELb0ELb1ELb0ELb0EEEvPK12hip_bfloat16S3_S3_PKfS5_PKvPS1_S8_PvPKiSB_iiiiilll
	.p2align	8
	.type	_ZN12_GLOBAL__N_139chunk_gated_delta_rule_fwd_h_hip_kernelILi64ELb0ELb0ELb1ELb1ELb0ELb1ELb0ELb0EEEvPK12hip_bfloat16S3_S3_PKfS5_PKvPS1_S8_PvPKiSB_iiiiilll,@function
_ZN12_GLOBAL__N_139chunk_gated_delta_rule_fwd_h_hip_kernelILi64ELb0ELb0ELb1ELb1ELb0ELb1ELb0ELb0EEEvPK12hip_bfloat16S3_S3_PKfS5_PKvPS1_S8_PvPKiSB_iiiiilll: ; @_ZN12_GLOBAL__N_139chunk_gated_delta_rule_fwd_h_hip_kernelILi64ELb0ELb0ELb1ELb1ELb0ELb1ELb0ELb0EEEvPK12hip_bfloat16S3_S3_PKfS5_PKvPS1_S8_PvPKiSB_iiiiilll
; %bb.0:
	s_load_dwordx4 s[16:19], s[0:1], 0x5c
	s_load_dwordx4 s[20:23], s[0:1], 0x70
	s_abs_i32 s25, s3
	s_ashr_i32 s24, s3, 31
	s_load_dwordx4 s[12:15], s[0:1], 0x30
	s_load_dwordx4 s[28:31], s[0:1], 0x48
	s_waitcnt lgkmcnt(0)
	s_abs_i32 s34, s17
	v_cvt_f32_u32_e32 v1, s34
	s_sub_i32 s26, 0, s34
	s_ashr_i32 s35, s17, 31
	s_xor_b32 s24, s24, s35
	v_rcp_iflag_f32_e32 v1, v1
	s_load_dwordx8 s[4:11], s[0:1], 0x0
	v_lshrrev_b32_e32 v87, 6, v0
	v_bfe_u32 v88, v0, 4, 2
	v_mul_f32_e32 v1, 0x4f7ffffe, v1
	v_cvt_u32_f32_e32 v1, v1
	v_lshlrev_b32_e32 v2, 2, v88
	v_and_b32_e32 v86, 63, v0
	v_mov_b32_e32 v47, 0
	v_readfirstlane_b32 s27, v1
	s_mul_i32 s26, s26, s27
	s_mul_hi_u32 s26, s27, s26
	s_add_i32 s27, s27, s26
	s_mul_hi_u32 s26, s25, s27
	s_mul_i32 s27, s26, s34
	s_sub_i32 s25, s25, s27
	s_add_i32 s33, s26, 1
	s_sub_i32 s27, s25, s34
	s_cmp_ge_u32 s25, s34
	s_cselect_b32 s26, s33, s26
	s_cselect_b32 s25, s27, s25
	s_add_i32 s27, s26, 1
	s_cmp_ge_u32 s25, s34
	s_cselect_b32 s25, s27, s26
	s_xor_b32 s25, s25, s24
	s_sub_i32 s24, s25, s24
	s_mul_i32 s25, s24, s17
	s_sub_i32 s33, s3, s25
	s_ashr_i32 s25, s24, 31
	s_lshl_b64 s[26:27], s[24:25], 2
	s_add_u32 s28, s28, s26
	s_addc_u32 s29, s29, s27
	s_add_u32 s26, s30, s26
	s_addc_u32 s27, s31, s27
	s_abs_i32 s3, s18
	v_cvt_f32_u32_e32 v1, s3
	s_load_dwordx2 s[38:39], s[28:29], 0x0
	s_sub_i32 s29, 0, s3
	s_load_dword s48, s[26:27], 0x0
	v_rcp_iflag_f32_e32 v1, v1
	v_and_b32_e32 v45, 15, v0
	s_waitcnt lgkmcnt(0)
	s_sub_i32 s49, s39, s38
	s_ashr_i32 s28, s49, 31
	v_mul_f32_e32 v1, 0x4f7ffffe, v1
	v_cvt_u32_f32_e32 v1, v1
	s_lshr_b32 s28, s28, 26
	s_add_i32 s28, s49, s28
	s_ashr_i32 s47, s28, 6
	v_readfirstlane_b32 s30, v1
	s_mul_i32 s29, s29, s30
	s_mul_hi_u32 s29, s30, s29
	s_add_i32 s30, s30, s29
	s_mul_hi_u32 s29, s34, s30
	s_mul_i32 s30, s29, s3
	s_ashr_i32 s28, s18, 31
	s_sub_i32 s30, s34, s30
	s_xor_b32 s28, s35, s28
	s_add_i32 s31, s29, 1
	s_sub_i32 s34, s30, s3
	s_cmp_ge_u32 s30, s3
	s_cselect_b32 s29, s31, s29
	s_cselect_b32 s30, s34, s30
	s_add_i32 s31, s29, 1
	s_cmp_ge_u32 s30, s3
	s_cselect_b32 s3, s31, s29
	s_xor_b32 s3, s3, s28
	s_sub_i32 s3, s3, s28
	s_abs_i32 s28, s3
	v_cvt_f32_u32_e32 v1, s28
	s_sub_i32 s27, 0, s28
	s_abs_i32 s26, s33
	s_xor_b32 s3, s33, s3
	v_rcp_iflag_f32_e32 v1, v1
	s_ashr_i32 s3, s3, 31
	s_load_dwordx2 s[34:35], s[0:1], 0x80
	s_mul_hi_i32 s50, s33, s16
	v_mul_f32_e32 v1, 0x4f7ffffe, v1
	v_cvt_u32_f32_e32 v1, v1
	s_mul_i32 s51, s33, s16
	v_lshrrev_b32_e32 v90, 3, v86
	v_lshlrev_b32_e32 v89, 3, v0
	v_readfirstlane_b32 s29, v1
	s_mul_i32 s27, s27, s29
	s_mul_hi_u32 s27, s29, s27
	s_add_i32 s29, s29, s27
	s_mul_hi_u32 s27, s26, s29
	s_mul_i32 s29, s27, s28
	s_sub_i32 s26, s26, s29
	s_add_i32 s29, s27, 1
	s_sub_i32 s30, s26, s28
	s_cmp_ge_u32 s26, s28
	s_cselect_b32 s27, s29, s27
	s_cselect_b32 s26, s30, s26
	s_add_i32 s29, s27, 1
	s_cmp_ge_u32 s26, s28
	s_cselect_b32 s26, s29, s27
	s_xor_b32 s26, s26, s3
	v_lshlrev_b32_e32 v1, 4, v87
	s_sub_i32 s52, s26, s3
	v_or_b32_e32 v91, v2, v1
	s_lshl_b32 s36, s2, 6
	v_or_b32_e32 v92, 64, v91
	s_cmp_lt_i32 s49, 64
	s_mul_i32 s44, s24, s21
	s_mul_hi_u32 s45, s24, s20
	s_mul_i32 s46, s25, s20
	s_mul_i32 s20, s24, s20
	v_mov_b32_e32 v46, v47
	v_mov_b32_e32 v53, v47
	;; [unrolled: 1-line block ×31, first 2 shown]
	s_cbranch_scc1 .LBB215_18
; %bb.1:
	s_ashr_i32 s55, s33, 31
	s_ashr_i32 s3, s38, 31
	s_add_u32 s2, s51, s38
	s_addc_u32 s3, s50, s3
	s_lshl_b64 s[2:3], s[2:3], 8
	v_and_b32_e32 v94, 56, v89
	s_add_u32 s24, s6, s2
	v_lshl_or_b32 v93, v87, 3, v90
	v_lshlrev_b32_e32 v3, 1, v94
	s_addc_u32 s2, s7, s3
	v_lshl_or_b32 v95, v93, 8, v3
	s_and_b32 s25, s2, 0xffff
	s_mov_b32 s27, 0x20000
	s_movk_i32 s26, 0x4000
	s_movk_i32 s2, 0x80
	v_or_b32_e32 v96, 0x2000, v95
	buffer_load_dwordx4 v[4:7], v95, s[24:27], 0 offen
	buffer_load_dwordx4 v[8:11], v95, s[24:27], s2 offen
	;; [unrolled: 1-line block ×4, first 2 shown]
	v_lshlrev_b32_e32 v20, 3, v93
	v_and_or_b32 v22, v0, 7, v20
	v_and_b32_e32 v20, 0x78, v20
	v_lshlrev_b32_e32 v22, 4, v22
	v_xor_b32_e32 v97, v22, v20
	v_mul_lo_u32 v21, v93, s19
	v_or_b32_e32 v98, 0x1000, v97
	s_cmpk_eq_i32 s19, 0x80
	s_mov_b32 s53, s17
	s_mov_b32 s54, s38
	v_xor_b32_e32 v20, 8, v97
	v_xor_b32_e32 v22, 8, v98
	s_cselect_b64 s[2:3], -1, 0
	s_cmpk_lg_i32 s19, 0x80
	s_waitcnt vmcnt(3)
	ds_write_b64 v97, v[4:5] offset:49152
	ds_write_b64 v20, v[6:7] offset:49152
	s_waitcnt vmcnt(2)
	ds_write_b64 v97, v[8:9] offset:57344
	ds_write_b64 v20, v[10:11] offset:57344
	;; [unrolled: 3-line block ×4, first 2 shown]
	v_lshl_add_u32 v4, v21, 1, v94
	s_cbranch_scc0 .LBB215_3
; %bb.2:
	v_lshlrev_b32_e32 v6, 1, v4
	v_add_lshl_u32 v5, v4, s19, 1
	s_lshl_b32 s26, s19, 7
	s_load_dwordx2 s[40:41], s[0:1], 0x20
	v_lshl_or_b32 v3, v93, 9, v3
	s_cbranch_execz .LBB215_4
	s_branch .LBB215_5
.LBB215_3:
                                        ; implicit-def: $vgpr5
                                        ; implicit-def: $vgpr6
                                        ; implicit-def: $sgpr26
	s_load_dwordx2 s[40:41], s[0:1], 0x20
	v_lshl_or_b32 v3, v93, 9, v3
.LBB215_4:
	v_or_b32_e32 v5, 0x100, v3
	s_movk_i32 s26, 0x4000
	v_mov_b32_e32 v6, v3
.LBB215_5:
	s_mul_i32 s0, s38, s18
	s_ashr_i32 s56, s52, 31
	s_mul_hi_i32 s1, s38, s18
	s_add_u32 s0, s0, s52
	s_addc_u32 s1, s1, s56
	s_lshl_b64 s[0:1], s[0:1], 8
	s_add_u32 s24, s4, s0
	s_addc_u32 s0, s5, s1
	s_and_b32 s25, s0, 0xffff
	s_movk_i32 s57, 0x80
	buffer_load_dwordx4 v[8:11], v6, s[24:27], 0 offen
	buffer_load_dwordx4 v[12:15], v6, s[24:27], s57 offen
	;; [unrolled: 1-line block ×4, first 2 shown]
	v_and_b32_e32 v5, 6, v0
	v_lshlrev_b32_e32 v6, 7, v91
	v_xor_b32_e32 v28, v93, v5
	v_and_b32_e32 v7, 1, v0
	v_lshl_or_b32 v31, v45, 3, v6
	v_lshlrev_b32_e32 v28, 2, v28
	v_lshlrev_b32_e32 v24, 2, v45
	v_or_b32_e32 v99, 0x4000, v31
	v_or_b32_e32 v100, 0x6000, v31
	v_xor_b32_e32 v31, 0x440, v28
	v_cmp_eq_u32_e32 vcc, 0, v7
	v_or_b32_e32 v26, 16, v45
	v_or_b32_e32 v27, 32, v45
	v_xor_b32_e32 v29, v91, v24
	v_xor_b32_e32 v30, v92, v24
	v_cndmask_b32_e32 v7, v31, v28, vcc
	s_add_i32 s0, s45, s44
	s_mov_b32 s58, 0x1000504
	v_lshl_or_b32 v32, v26, 3, v6
	v_lshlrev_b32_e32 v26, 8, v26
	v_lshl_or_b32 v33, v27, 3, v6
	v_lshlrev_b32_e32 v29, 1, v29
	v_lshlrev_b32_e32 v30, 1, v30
	v_lshl_or_b32 v5, v5, 10, v7
	s_add_i32 s21, s0, s46
	s_mul_i32 s0, s33, s23
	s_mul_hi_u32 s1, s33, s22
	s_mov_b32 s59, 0x3020706
	v_lshlrev_b32_e32 v25, 8, v45
	v_or_b32_e32 v103, 0x4000, v33
	v_or_b32_e32 v104, 0x6000, v33
	v_or_b32_e32 v107, v26, v29
	v_or_b32_e32 v108, v26, v30
	v_xor_b32_e32 v7, 8, v5
	v_xor_b32_e32 v26, 24, v5
	v_xor_b32_e32 v31, 40, v5
	v_xor_b32_e32 v33, 56, v5
	s_add_i32 s0, s1, s0
	s_mul_i32 s1, s55, s22
	v_or_b32_e32 v101, 0x4000, v32
	v_or_b32_e32 v102, 0x6000, v32
	;; [unrolled: 1-line block ×4, first 2 shown]
	v_xor_b32_e32 v25, 16, v5
	v_xor_b32_e32 v28, 32, v5
	;; [unrolled: 1-line block ×3, first 2 shown]
	v_add_u32_e32 v7, 0x80, v7
	v_add_u32_e32 v26, 0x80, v26
	;; [unrolled: 1-line block ×4, first 2 shown]
	s_add_i32 s1, s0, s1
	s_lshl_b64 s[24:25], s[20:21], 2
	s_mul_i32 s0, s33, s22
	s_add_u32 s21, s10, s24
	s_addc_u32 s24, s11, s25
	s_lshl_b64 s[0:1], s[0:1], 2
	s_add_u32 s42, s21, s0
	s_movk_i32 s0, 0xf8
	s_addc_u32 s43, s24, s1
	s_ashr_i32 s37, s36, 31
	s_lshl_b32 s30, s19, 7
	v_mov_b32_e32 v79, 0
	s_movk_i32 s21, 0x100
	v_lshlrev_b32_e32 v78, 4, v45
	v_lshlrev_b32_e32 v27, 8, v27
	s_mov_b32 s61, 0
	s_movk_i32 s26, 0x4000
	v_or_b32_e32 v109, v27, v29
	v_or_b32_e32 v110, v27, v30
	v_add_u32_e32 v136, v1, v2
	s_movk_i32 s60, 0x3000
	v_mov_b32_e32 v146, 0x3fb8aa3b
	v_mov_b32_e32 v70, v79
	;; [unrolled: 1-line block ×7, first 2 shown]
	s_waitcnt vmcnt(1)
	v_perm_b32 v34, v8, v16, s58
	s_waitcnt vmcnt(0)
	v_perm_b32 v35, v12, v20, s58
	v_perm_b32 v8, v8, v16, s59
	v_perm_b32 v12, v12, v20, s59
	v_perm_b32 v16, v9, v17, s58
	v_perm_b32 v20, v13, v21, s58
	v_perm_b32 v9, v9, v17, s59
	v_perm_b32 v13, v13, v21, s59
	v_perm_b32 v17, v10, v18, s58
	v_perm_b32 v21, v14, v22, s58
	v_perm_b32 v10, v10, v18, s59
	v_perm_b32 v14, v14, v22, s59
	v_perm_b32 v18, v11, v19, s58
	v_perm_b32 v22, v15, v23, s58
	v_perm_b32 v11, v11, v19, s59
	v_perm_b32 v15, v15, v23, s59
	ds_write2st64_b32 v5, v34, v35 offset0:128 offset1:160
	ds_write2st64_b32 v7, v8, v12 offset0:128 offset1:160
	;; [unrolled: 1-line block ×8, first 2 shown]
	v_or_b32_e32 v5, 48, v45
	v_lshl_or_b32 v7, v5, 3, v6
	v_lshlrev_b32_e32 v5, 8, v5
	v_or_b32_e32 v113, v5, v29
	v_or_b32_e32 v114, v5, v30
	;; [unrolled: 1-line block ×3, first 2 shown]
	v_lshlrev_b32_e32 v5, 3, v5
	v_lshrrev_b32_e32 v9, 5, v86
	v_and_or_b32 v9, v5, s0, v9
	v_lshlrev_b32_e32 v9, 4, v9
	v_lshlrev_b32_e32 v11, 11, v87
	v_and_b32_e32 v5, 0x78, v5
	v_or_b32_e32 v14, 32, v9
	v_and_b32_e32 v8, 0x1000, v11
	v_xor_b32_e32 v10, v9, v5
	v_lshrrev_b32_e32 v12, 1, v86
	v_xor_b32_e32 v14, v14, v5
	v_or_b32_e32 v10, v10, v8
	v_and_b32_e32 v12, 8, v12
	v_or_b32_e32 v14, v14, v8
	v_xor_b32_e32 v115, v10, v12
	v_lshlrev_b32_e32 v10, 8, v88
	v_xor_b32_e32 v117, v14, v12
	v_or_b32_e32 v14, 64, v9
	v_or_b32_e32 v9, 0x60, v9
	;; [unrolled: 1-line block ×3, first 2 shown]
	v_xor_b32_e32 v14, v14, v5
	v_xor_b32_e32 v5, v9, v5
	v_lshlrev_b32_e32 v13, 1, v13
	v_or_b32_e32 v14, v14, v8
	v_or_b32_e32 v5, v5, v8
	s_lshl_b64 s[0:1], s[36:37], 8
	v_or_b32_e32 v116, 0x4000, v13
	v_or_b32_e32 v118, 0x4080, v13
	;; [unrolled: 1-line block ×4, first 2 shown]
	v_xor_b32_e32 v121, v14, v12
	v_xor_b32_e32 v122, v5, v12
	v_or_b32_e32 v123, 0x6000, v13
	v_or_b32_e32 v124, 0x6080, v13
	;; [unrolled: 1-line block ×4, first 2 shown]
	v_lshlrev_b32_e32 v12, 1, v4
	v_add_lshl_u32 v13, v4, s19, 1
	s_add_u32 s0, s12, s0
	v_lshlrev_b32_e32 v4, 1, v45
	v_lshrrev_b32_e32 v15, 4, v0
	s_addc_u32 s1, s13, s1
	v_or_b32_e32 v5, 1, v4
	v_lshlrev_b32_e32 v18, 2, v0
	v_or_b32_e32 v14, 0x100, v3
	v_xor_b32_e32 v16, v15, v4
	v_xor_b32_e32 v17, v5, v15
	v_lshl_add_u64 v[4:5], s[0:1], 0, v[78:79]
	v_lshlrev_b32_e32 v78, 8, v15
	v_lshrrev_b32_e32 v19, 1, v0
	v_and_or_b32 v10, v18, 60, v10
	v_cndmask_b32_e64 v133, v12, v3, s[2:3]
	v_mov_b32_e32 v3, 0xa000
	v_mov_b32_e32 v12, 0x8000
	v_cmp_gt_u32_e64 s[0:1], s21, v0
	v_lshl_or_b32 v127, v16, 3, v78
	v_and_b32_e32 v16, 8, v0
	v_and_b32_e32 v19, 24, v19
	v_lshlrev_b32_e32 v10, 1, v10
	v_cndmask_b32_e64 v3, v3, v12, s[0:1]
	v_lshlrev_b32_e32 v12, 3, v87
	v_or_b32_e32 v129, 0x6000, v10
	v_or_b32_e32 v130, 0x6080, v10
	;; [unrolled: 1-line block ×4, first 2 shown]
	v_mov_b32_e32 v10, 0x400
	v_cmp_eq_u32_e32 vcc, 0, v16
	v_cndmask_b32_e64 v134, v13, v14, s[2:3]
	v_xor_b32_e32 v13, v12, v19
	v_and_b32_e32 v15, 7, v0
	v_cndmask_b32_e64 v16, v10, 64, vcc
	v_or_b32_e32 v14, 0x440, v13
	v_lshl_or_b32 v128, v17, 3, v78
	v_lshlrev_b32_e32 v17, 3, v15
	v_or_b32_e32 v18, 32, v19
	v_or_b32_e32 v20, 0x60, v19
	v_cndmask_b32_e32 v14, v14, v13, vcc
	v_or3_b32 v13, v11, v16, v13
	v_lshlrev_b32_e32 v15, 7, v15
	v_xor_b32_e32 v18, v12, v18
	v_xor_b32_e32 v13, v13, v17
	;; [unrolled: 1-line block ×3, first 2 shown]
	v_or_b32_e32 v21, 0x440, v18
	v_or_b32_e32 v135, v13, v15
	v_xor_b32_e32 v13, 0x440, v12
	v_cndmask_b32_e32 v18, v21, v18, vcc
	v_cndmask_b32_e32 v12, v13, v12, vcc
	v_or_b32_e32 v111, 0x4000, v7
	v_or_b32_e32 v112, 0x6000, v7
	v_lshrrev_b32_e32 v7, 2, v86
	v_or_b32_e32 v8, s36, v45
	v_or_b32_e32 v14, v14, v11
	;; [unrolled: 1-line block ×4, first 2 shown]
	v_and_b32_e32 v7, 12, v7
	v_ashrrev_i32_e32 v9, 31, v8
	v_xor_b32_e32 v14, v14, v17
	v_xor_b32_e32 v18, v18, v17
	;; [unrolled: 1-line block ×3, first 2 shown]
	v_or_b32_e32 v10, v1, v7
	v_add_u32_e32 v19, v3, v14
	v_add_u32_e32 v21, v3, v18
	;; [unrolled: 1-line block ×3, first 2 shown]
	v_or3_b32 v12, v1, v7, 64
	v_add_u32_e32 v7, 0xa000, v14
	v_add_u32_e32 v14, 0xa000, v18
	;; [unrolled: 1-line block ×3, first 2 shown]
	v_lshlrev_b64 v[8:9], 1, v[8:9]
	v_lshl_add_u64 v[80:81], s[8:9], 0, v[8:9]
	v_lshl_add_u64 v[82:83], s[14:15], 0, v[8:9]
	v_lshl_add_u64 v[84:85], v[4:5], 0, v[78:79]
	s_mov_b32 s21, 0x7060302
	v_lshlrev_b32_e32 v78, 1, v6
	s_movk_i32 s37, 0x2000
	v_lshlrev_b32_e32 v137, 2, v10
	v_add_u32_e32 v138, v19, v15
	v_add_u32_e32 v139, v21, v15
	;; [unrolled: 1-line block ×4, first 2 shown]
	v_lshlrev_b32_e32 v142, 2, v12
	v_add_u32_e32 v143, v7, v15
	v_add_u32_e32 v144, v14, v15
	;; [unrolled: 1-line block ×3, first 2 shown]
	v_mov_b32_e32 v76, v79
	v_mov_b32_e32 v77, v79
	;; [unrolled: 1-line block ×26, first 2 shown]
	s_waitcnt lgkmcnt(0)
	s_barrier
.LBB215_6:                              ; =>This Inner Loop Header: Depth=1
	s_add_i32 s62, s61, 1
	s_cmp_lt_i32 s62, s47
	s_mov_b64 s[28:29], 0
	s_cselect_b64 s[2:3], -1, 0
	s_cmp_ge_i32 s62, s47
	s_mov_b64 s[24:25], 0
	s_cbranch_scc1 .LBB215_8
; %bb.7:                                ;   in Loop: Header=BB215_6 Depth=1
	s_add_i32 s0, s54, 64
	s_ashr_i32 s1, s0, 31
	s_add_u32 s0, s51, s0
	s_addc_u32 s1, s50, s1
	s_lshl_b64 s[0:1], s[0:1], 8
	s_add_u32 s24, s6, s0
	s_addc_u32 s25, s7, s1
.LBB215_8:                              ;   in Loop: Header=BB215_6 Depth=1
	v_cndmask_b32_e64 v2, 0, 1, s[2:3]
	v_cmp_ne_u32_e64 s[0:1], 1, v2
	s_andn2_b64 vcc, exec, s[2:3]
	s_cbranch_vccnz .LBB215_10
; %bb.9:                                ;   in Loop: Header=BB215_6 Depth=1
	s_add_i32 s2, s54, 64
	s_mul_hi_i32 s3, s2, s18
	s_mul_i32 s2, s2, s18
	s_add_u32 s2, s2, s52
	s_addc_u32 s3, s3, s56
	s_lshl_b64 s[2:3], s[2:3], 8
	s_add_u32 s28, s4, s2
	s_addc_u32 s29, s5, s3
.LBB215_10:                             ;   in Loop: Header=BB215_6 Depth=1
	v_perm_b32 v3, v77, v76, s21
	v_perm_b32 v2, v75, v74, s21
	v_perm_b32 v5, v73, v72, s21
	v_perm_b32 v4, v71, v70, s21
	ds_write_b64 v99, v[2:3]
	ds_write_b64 v100, v[4:5]
	ds_write_b64 v105, v[2:3]
	ds_write_b64 v106, v[4:5]
	v_perm_b32 v3, v69, v68, s21
	v_perm_b32 v2, v67, v66, s21
	v_perm_b32 v5, v65, v64, s21
	v_perm_b32 v4, v63, v62, s21
	ds_write_b64 v101, v[2:3]
	ds_write_b64 v102, v[4:5]
	ds_write_b64 v107, v[2:3]
	ds_write_b64 v108, v[4:5]
	v_perm_b32 v3, v61, v60, s21
	v_perm_b32 v2, v59, v58, s21
	v_perm_b32 v5, v57, v56, s21
	v_perm_b32 v4, v55, v54, s21
	ds_write_b64 v103, v[2:3]
	ds_write_b64 v104, v[4:5]
	ds_write_b64 v109, v[2:3]
	ds_write_b64 v110, v[4:5]
	v_perm_b32 v3, v47, v46, s21
	v_perm_b32 v2, v53, v52, s21
	v_perm_b32 v5, v51, v50, s21
	v_perm_b32 v4, v49, v48, s21
	ds_write_b64 v111, v[2:3]
	ds_write_b64 v112, v[4:5]
	ds_write_b64 v113, v[2:3]
	ds_write_b64 v114, v[4:5]
	s_waitcnt lgkmcnt(0)
	s_barrier
	ds_read_b64 v[6:7], v115 offset:49152
	ds_read2_b64 v[2:5], v116 offset1:16
	ds_read_b64 v[18:19], v118 offset:6144
	ds_read_b64 v[20:21], v116 offset:6144
	s_waitcnt lgkmcnt(2)
	v_mfma_f32_16x16x16_bf16 a[0:3], v[6:7], v[2:3], 0
	ds_read_b64 v[22:23], v117 offset:49152
	ds_read2st64_b64 v[10:13], v119 offset0:4 offset1:8
	ds_read2st64_b64 v[14:17], v120 offset0:4 offset1:8
	v_mfma_f32_16x16x16_bf16 a[4:7], v[6:7], v[4:5], 0
	ds_read2_b64 v[2:5], v116 offset0:32 offset1:48
	s_add_i32 s63, s54, 63
	s_ashr_i32 s2, s63, 31
	s_waitcnt lgkmcnt(0)
	v_mfma_f32_16x16x16_bf16 a[8:11], v[6:7], v[2:3], 0
	s_mul_i32 s3, s63, s35
	s_mul_hi_u32 s31, s63, s34
	s_add_i32 s3, s31, s3
	v_mfma_f32_16x16x16_bf16 a[12:15], v[6:7], v[4:5], 0
	ds_read2st64_b64 v[2:5], v116 offset0:4 offset1:8
	ds_read2st64_b64 v[6:9], v118 offset0:4 offset1:8
	s_mul_i32 s2, s2, s34
	s_waitcnt lgkmcnt(1)
	v_mfma_f32_16x16x16_bf16 a[0:3], v[22:23], v[2:3], a[0:3]
	s_add_i32 s3, s3, s2
	s_mul_i32 s2, s63, s34
	s_lshl_b64 s[2:3], s[2:3], 2
	s_waitcnt lgkmcnt(0)
	v_mfma_f32_16x16x16_bf16 a[4:7], v[22:23], v[6:7], a[4:7]
	s_add_u32 s2, s42, s2
	s_addc_u32 s3, s43, s3
	s_and_b64 vcc, exec, s[0:1]
	v_mfma_f32_16x16x16_bf16 a[8:11], v[22:23], v[10:11], a[8:11]
	ds_read_b64 v[2:3], v121 offset:49152
	ds_read_b64 v[6:7], v122 offset:49152
	;; [unrolled: 1-line block ×3, first 2 shown]
	v_mov_b32_e32 v149, 0
	v_mov_b32_e32 v148, 0
	v_mfma_f32_16x16x16_bf16 a[12:15], v[22:23], v[14:15], a[12:15]
	v_mov_b32_e32 v147, 0
	v_mov_b32_e32 v14, 0
	v_mov_b32_e32 v15, 0
	s_waitcnt lgkmcnt(2)
	v_mfma_f32_16x16x16_bf16 a[0:3], v[2:3], v[4:5], a[0:3]
	v_mov_b32_e32 v4, 0
	v_mov_b32_e32 v5, 0
	v_mfma_f32_16x16x16_bf16 a[4:7], v[2:3], v[8:9], a[4:7]
	v_mov_b32_e32 v8, 0
	v_mov_b32_e32 v9, 0
	;; [unrolled: 3-line block ×3, first 2 shown]
	v_mfma_f32_16x16x16_bf16 a[12:15], v[2:3], v[16:17], a[12:15]
	ds_read_b64 v[2:3], v119 offset:6144
	v_mov_b32_e32 v16, 0
	v_mov_b32_e32 v17, 0
	s_waitcnt lgkmcnt(2)
	v_mfma_f32_16x16x16_bf16 a[0:3], v[6:7], v[20:21], a[0:3]
	v_mfma_f32_16x16x16_bf16 a[4:7], v[6:7], v[18:19], a[4:7]
	s_waitcnt lgkmcnt(0)
	v_mfma_f32_16x16x16_bf16 a[8:11], v[6:7], v[2:3], a[8:11]
	v_mov_b32_e32 v2, 0
	v_mov_b32_e32 v3, 0
	v_mfma_f32_16x16x16_bf16 a[12:15], v[6:7], v[10:11], a[12:15]
	v_mov_b32_e32 v6, 0
	v_mov_b32_e32 v7, 0
	;; [unrolled: 1-line block ×4, first 2 shown]
	s_cbranch_vccnz .LBB215_12
; %bb.11:                               ;   in Loop: Header=BB215_6 Depth=1
	s_and_b32 s25, s25, 0xffff
	buffer_load_dwordx4 v[14:17], v95, s[24:27], 0 offen
	buffer_load_dwordx4 v[10:13], v95, s[24:27], s57 offen
	;; [unrolled: 1-line block ×4, first 2 shown]
	v_mov_b32_e32 v148, v97
	v_mov_b32_e32 v147, v98
.LBB215_12:                             ;   in Loop: Header=BB215_6 Depth=1
	ds_read_b64 v[38:39], v115 offset:57344
	ds_read2_b64 v[18:21], v123 offset1:16
	ds_read_b64 v[40:41], v117 offset:57344
	ds_read_b64 v[42:43], v121 offset:57344
	;; [unrolled: 1-line block ×3, first 2 shown]
	s_waitcnt lgkmcnt(3)
	v_mfma_f32_16x16x16_bf16 a[0:3], v[38:39], v[18:19], a[0:3]
	v_mfma_f32_16x16x16_bf16 a[4:7], v[38:39], v[20:21], a[4:7]
	ds_read2_b64 v[18:21], v123 offset0:32 offset1:48
	ds_read2st64_b64 v[22:25], v123 offset0:4 offset1:8
	ds_read2st64_b64 v[26:29], v124 offset0:4 offset1:8
	;; [unrolled: 1-line block ×4, first 2 shown]
	s_waitcnt lgkmcnt(4)
	v_mfma_f32_16x16x16_bf16 a[8:11], v[38:39], v[18:19], a[8:11]
	v_mfma_f32_16x16x16_bf16 a[12:15], v[38:39], v[20:21], a[12:15]
	v_add_u32_e32 v38, s54, v136
	v_ashrrev_i32_e32 v18, 31, v38
	v_mul_lo_u32 v20, v18, s34
	v_mul_lo_u32 v21, v38, s35
	v_mad_u64_u32 v[18:19], s[24:25], v38, s34, 0
	v_add3_u32 v19, v19, v21, v20
	v_add_u32_e32 v20, 1, v38
	v_ashrrev_i32_e32 v21, 31, v20
	s_waitcnt lgkmcnt(3)
	v_mfma_f32_16x16x16_bf16 a[0:3], v[40:41], v[22:23], a[0:3]
	v_mul_lo_u32 v22, v21, s34
	v_mul_lo_u32 v23, v20, s35
	v_mad_u64_u32 v[20:21], s[24:25], v20, s34, 0
	v_add3_u32 v21, v21, v23, v22
	v_add_u32_e32 v22, 2, v38
	v_ashrrev_i32_e32 v23, 31, v22
	s_waitcnt lgkmcnt(2)
	v_mfma_f32_16x16x16_bf16 a[4:7], v[40:41], v[26:27], a[4:7]
	v_mul_lo_u32 v26, v23, s34
	v_mul_lo_u32 v27, v22, s35
	v_mad_u64_u32 v[22:23], s[24:25], v22, s34, 0
	v_lshl_add_u64 v[18:19], v[18:19], 2, s[42:43]
	v_lshl_add_u64 v[20:21], v[20:21], 2, s[42:43]
	v_add3_u32 v23, v23, v27, v26
	v_add_u32_e32 v26, 3, v38
	s_waitcnt lgkmcnt(1)
	v_mfma_f32_16x16x16_bf16 a[8:11], v[40:41], v[30:31], a[8:11]
	global_load_dword v31, v[18:19], off
	v_ashrrev_i32_e32 v27, 31, v26
	v_mul_lo_u32 v27, v27, s34
	s_waitcnt lgkmcnt(0)
	v_mfma_f32_16x16x16_bf16 a[12:15], v[40:41], v[34:35], a[12:15]
	global_load_dword v34, v[20:21], off
	v_mad_u64_u32 v[18:19], s[24:25], v26, s34, 0
	s_ashr_i32 s25, s54, 31
	v_mul_lo_u32 v30, v26, s35
	s_add_u32 s24, s51, s54
	v_lshl_add_u64 v[22:23], v[22:23], 2, s[42:43]
	v_add3_u32 v19, v19, v30, v27
	s_addc_u32 s25, s50, s25
	v_lshl_add_u64 v[18:19], v[18:19], 2, s[42:43]
	global_load_dword v30, v[22:23], off
	global_load_dword v35, v[18:19], off
	s_lshl_b64 s[24:25], s[24:25], 8
	v_lshl_add_u64 v[18:19], v[80:81], 0, s[24:25]
	v_lshl_add_u64 v[18:19], v[18:19], 0, v[78:79]
	global_load_ushort v38, v[18:19], off offset:256
	global_load_ushort v39, v[18:19], off
	global_load_ushort v40, v[18:19], off offset:768
	global_load_ushort v41, v[18:19], off offset:512
	;; [unrolled: 1-line block ×6, first 2 shown]
	s_load_dword s2, s[2:3], 0x0
	v_mfma_f32_16x16x16_bf16 a[12:15], v[42:43], v[36:37], a[12:15]
	global_load_ushort v36, v[18:19], off offset:320
	global_load_ushort v37, v[18:19], off offset:64
	s_and_b64 vcc, exec, s[0:1]
	v_mfma_f32_16x16x16_bf16 a[0:3], v[42:43], v[24:25], a[0:3]
	ds_read_b64 v[20:21], v123 offset:6144
	ds_read_b64 v[22:23], v124 offset:6144
	ds_read_b64 v[24:25], v125 offset:6144
	ds_read_b64 v[26:27], v126 offset:6144
	v_mfma_f32_16x16x16_bf16 a[4:7], v[42:43], v[28:29], a[4:7]
	s_waitcnt vmcnt(11) lgkmcnt(0)
	v_sub_f32_e32 v28, s2, v30
	v_mfma_f32_16x16x16_bf16 a[8:11], v[42:43], v[32:33], a[8:11]
	global_load_ushort v42, v[18:19], off offset:832
	global_load_ushort v43, v[18:19], off offset:576
	;; [unrolled: 1-line block ×6, first 2 shown]
	v_mfma_f32_16x16x16_bf16 a[0:3], v[150:151], v[20:21], a[0:3]
	s_waitcnt vmcnt(16)
	v_sub_f32_e32 v29, s2, v35
	v_mul_f32_e32 v28, 0x3fb8aa3b, v28
	v_mul_f32_e32 v29, 0x3fb8aa3b, v29
	v_exp_f32_e32 v28, v28
	v_exp_f32_e32 v29, v29
	s_waitcnt vmcnt(15)
	v_lshlrev_b32_e32 v33, 16, v38
	s_waitcnt vmcnt(14)
	v_lshlrev_b32_e32 v32, 16, v39
	v_accvgpr_read_b32 v21, a3
	v_accvgpr_read_b32 v20, a2
	v_mfma_f32_16x16x16_bf16 a[2:5], v[150:151], v[22:23], a[4:7]
	v_mfma_f32_16x16x16_bf16 a[6:9], v[150:151], v[24:25], a[8:11]
	s_nop 5
	v_accvgpr_read_b32 v23, a5
	v_accvgpr_read_b32 v22, a4
	;; [unrolled: 1-line block ×4, first 2 shown]
	v_mfma_f32_16x16x16_bf16 a[8:11], v[150:151], v[26:27], a[12:15]
	v_sub_f32_e32 v26, s2, v31
	v_sub_f32_e32 v27, s2, v34
	v_mul_f32_e32 v26, 0x3fb8aa3b, v26
	v_mul_f32_e32 v27, 0x3fb8aa3b, v27
	v_exp_f32_e32 v26, v26
	v_exp_f32_e32 v27, v27
	v_accvgpr_read_b32 v35, a1
	v_accvgpr_read_b32 v34, a0
	v_lshl_add_u64 v[30:31], v[82:83], 0, s[24:25]
	v_pk_add_f32 v[32:33], v[32:33], v[34:35] neg_lo:[0,1] neg_hi:[0,1]
	s_waitcnt vmcnt(13)
	v_lshlrev_b32_e32 v35, 16, v40
	s_waitcnt vmcnt(12)
	v_lshlrev_b32_e32 v34, 16, v41
	v_lshl_add_u64 v[30:31], v[30:31], 0, v[78:79]
	v_pk_add_f32 v[20:21], v[34:35], v[20:21] neg_lo:[0,1] neg_hi:[0,1]
	global_store_short_d16_hi v[30:31], v32, off
	global_store_short_d16_hi v[30:31], v33, off offset:256
	global_store_short_d16_hi v[30:31], v20, off offset:512
	;; [unrolled: 1-line block ×3, first 2 shown]
	v_pk_mul_f32 v[32:33], v[26:27], v[32:33]
	v_pk_mul_f32 v[20:21], v[28:29], v[20:21]
	v_accvgpr_read_b32 v35, a3
	v_perm_b32 v21, v21, v20, s21
	v_perm_b32 v20, v33, v32, s21
	s_waitcnt vmcnt(15)
	v_lshlrev_b32_e32 v33, 16, v44
	s_waitcnt vmcnt(14)
	v_lshlrev_b32_e32 v32, 16, v152
	v_accvgpr_read_b32 v34, a2
	v_pk_add_f32 v[32:33], v[32:33], v[34:35] neg_lo:[0,1] neg_hi:[0,1]
	s_waitcnt vmcnt(13)
	v_lshlrev_b32_e32 v35, 16, v153
	s_waitcnt vmcnt(12)
	v_lshlrev_b32_e32 v34, 16, v154
	v_pk_add_f32 v[22:23], v[34:35], v[22:23] neg_lo:[0,1] neg_hi:[0,1]
	global_store_short_d16_hi v[30:31], v32, off offset:32
	global_store_short_d16_hi v[30:31], v33, off offset:288
	;; [unrolled: 1-line block ×4, first 2 shown]
	v_pk_mul_f32 v[32:33], v[26:27], v[32:33]
	v_pk_mul_f32 v[22:23], v[28:29], v[22:23]
	v_accvgpr_read_b32 v25, a11
	v_perm_b32 v23, v23, v22, s21
	v_perm_b32 v22, v33, v32, s21
	ds_write2_b64 v100, v[20:21], v[22:23] offset1:16
	v_accvgpr_read_b32 v23, a7
	s_waitcnt vmcnt(15)
	v_lshlrev_b32_e32 v21, 16, v36
	s_waitcnt vmcnt(14)
	v_lshlrev_b32_e32 v20, 16, v37
	v_accvgpr_read_b32 v22, a6
	v_pk_add_f32 v[20:21], v[20:21], v[22:23] neg_lo:[0,1] neg_hi:[0,1]
	global_store_short_d16_hi v[30:31], v20, off offset:64
	global_store_short_d16_hi v[30:31], v21, off offset:320
	v_pk_mul_f32 v[20:21], v[26:27], v[20:21]
	v_accvgpr_read_b32 v24, a10
	v_perm_b32 v20, v21, v20, s21
	v_mov_b32_e32 v150, 0
	v_mov_b32_e32 v32, 0
	;; [unrolled: 1-line block ×3, first 2 shown]
	s_waitcnt vmcnt(15)
	v_lshlrev_b32_e32 v23, 16, v42
	s_waitcnt vmcnt(14)
	v_lshlrev_b32_e32 v22, 16, v43
	v_pk_add_f32 v[18:19], v[22:23], v[18:19] neg_lo:[0,1] neg_hi:[0,1]
	global_store_short_d16_hi v[30:31], v18, off offset:576
	global_store_short_d16_hi v[30:31], v19, off offset:832
	v_pk_mul_f32 v[18:19], v[28:29], v[18:19]
	v_accvgpr_read_b32 v23, a9
	v_perm_b32 v21, v19, v18, s21
	s_waitcnt vmcnt(15)
	v_lshlrev_b32_e32 v19, 16, v155
	s_waitcnt vmcnt(14)
	v_lshlrev_b32_e32 v18, 16, v156
	v_accvgpr_read_b32 v22, a8
	v_pk_add_f32 v[18:19], v[18:19], v[22:23] neg_lo:[0,1] neg_hi:[0,1]
	s_waitcnt vmcnt(13)
	v_lshlrev_b32_e32 v23, 16, v157
	s_waitcnt vmcnt(12)
	v_lshlrev_b32_e32 v22, 16, v158
	v_pk_add_f32 v[22:23], v[22:23], v[24:25] neg_lo:[0,1] neg_hi:[0,1]
	global_store_short_d16_hi v[30:31], v18, off offset:96
	global_store_short_d16_hi v[30:31], v19, off offset:352
	;; [unrolled: 1-line block ×4, first 2 shown]
	v_pk_mul_f32 v[18:19], v[26:27], v[18:19]
	v_pk_mul_f32 v[22:23], v[28:29], v[22:23]
	v_mov_b32_e32 v24, 0
	v_perm_b32 v23, v23, v22, s21
	v_perm_b32 v22, v19, v18, s21
	ds_write2_b64 v100, v[20:21], v[22:23] offset0:32 offset1:48
	v_mov_b32_e32 v18, 0
	v_mov_b32_e32 v19, 0
	;; [unrolled: 1-line block ×13, first 2 shown]
	s_cbranch_vccnz .LBB215_14
; %bb.13:                               ;   in Loop: Header=BB215_6 Depth=1
	s_and_b32 s29, s29, 0xffff
	s_mov_b32 s31, s27
	buffer_load_dwordx4 v[30:33], v133, s[28:31], 0 offen
	buffer_load_dwordx4 v[22:25], v133, s[28:31], s57 offen
	;; [unrolled: 1-line block ×4, first 2 shown]
	v_mov_b32_e32 v149, v94
	v_mov_b32_e32 v150, v93
.LBB215_14:                             ;   in Loop: Header=BB215_6 Depth=1
	s_waitcnt lgkmcnt(0)
	s_barrier
	ds_read_b64 v[42:43], v138
	ds_read2_b64 v[34:37], v129 offset1:16
	ds_read_b64 v[168:169], v139
	ds_read_b64 v[170:171], v140
	;; [unrolled: 1-line block ×3, first 2 shown]
	ds_read2_b64 v[38:41], v129 offset0:32 offset1:48
	ds_read2st64_b64 v[152:155], v129 offset0:4 offset1:8
	ds_read2st64_b64 v[156:159], v130 offset0:4 offset1:8
	;; [unrolled: 1-line block ×4, first 2 shown]
	s_waitcnt lgkmcnt(8)
	v_mfma_f32_16x16x16_bf16 a[0:3], v[42:43], v[34:35], 0
	s_add_i32 s3, s48, s61
	s_mul_hi_i32 s25, s3, s53
	s_mul_i32 s3, s3, s53
	v_mfma_f32_16x16x16_bf16 a[4:7], v[42:43], v[36:37], 0
	s_add_u32 s24, s3, s33
	s_addc_u32 s25, s25, s55
	s_lshl_b64 s[24:25], s[24:25], 15
	s_waitcnt lgkmcnt(4)
	v_mfma_f32_16x16x16_bf16 a[8:11], v[42:43], v[38:39], 0
	s_mul_i32 s28, s63, s53
	s_mul_hi_i32 s3, s63, s53
	s_add_u32 s28, s28, s33
	v_mfma_f32_16x16x16_bf16 a[12:15], v[42:43], v[40:41], 0
	ds_read_b64 v[42:43], v129 offset:6144
	ds_read_b64 v[180:181], v130 offset:6144
	;; [unrolled: 1-line block ×4, first 2 shown]
	s_addc_u32 s29, s3, s55
	s_waitcnt lgkmcnt(7)
	v_mfma_f32_16x16x16_bf16 a[0:3], v[168:169], v[152:153], a[0:3]
	s_lshl_b64 s[28:29], s[28:29], 9
	s_add_u32 s28, s40, s28
	s_addc_u32 s29, s41, s29
	s_waitcnt lgkmcnt(6)
	v_mfma_f32_16x16x16_bf16 a[4:7], v[168:169], v[156:157], a[4:7]
	v_lshl_add_u64 v[190:191], v[84:85], 0, s[24:25]
	s_waitcnt lgkmcnt(5)
	v_mfma_f32_16x16x16_bf16 a[8:11], v[168:169], v[160:161], a[8:11]
	s_waitcnt lgkmcnt(4)
	v_mfma_f32_16x16x16_bf16 a[12:15], v[168:169], v[164:165], a[12:15]
	ds_read_b64 v[168:169], v143
	ds_read_b64 v[178:179], v144
	;; [unrolled: 1-line block ×3, first 2 shown]
	s_waitcnt lgkmcnt(2)
	v_mfma_f32_16x16x16_bf16 a[16:19], v[168:169], v[34:35], 0
	v_mfma_f32_16x16x16_bf16 a[20:23], v[168:169], v[36:37], 0
	global_load_dwordx4 v[34:37], v142, s[28:29]
	v_mfma_f32_16x16x16_bf16 a[24:27], v[168:169], v[38:39], 0
	v_mfma_f32_16x16x16_bf16 a[28:31], v[168:169], v[40:41], 0
	global_load_dwordx4 v[38:41], v137, s[28:29]
	v_mfma_f32_16x16x16_bf16 a[0:3], v[170:171], v[154:155], a[0:3]
	v_mfma_f32_16x16x16_bf16 a[4:7], v[170:171], v[158:159], a[4:7]
	;; [unrolled: 1-line block ×8, first 2 shown]
	ds_read2st64_b64 v[168:171], v127 offset1:8
	ds_read2st64_b64 v[172:175], v128 offset1:8
	ds_read_b64 v[188:189], v135 offset:40960
	s_waitcnt lgkmcnt(2)
	v_mov_b32_e32 v176, v168
	v_mfma_f32_16x16x16_bf16 a[16:19], v[178:179], v[152:153], a[16:19]
	v_mov_b32_e32 v177, v169
	v_mfma_f32_16x16x16_bf16 a[20:23], v[178:179], v[156:157], a[20:23]
	v_mfma_f32_16x16x16_bf16 a[24:27], v[178:179], v[160:161], a[24:27]
	;; [unrolled: 1-line block ×3, first 2 shown]
	v_add_co_u32_e32 v164, vcc, s37, v190
	s_waitcnt lgkmcnt(1)
	v_mov_b32_e32 v178, v172
	s_waitcnt lgkmcnt(0)
	v_mfma_f32_16x16x16_bf16 a[16:19], v[188:189], v[154:155], a[16:19]
	ds_read2st64_b64 v[152:155], v127 offset0:16 offset1:24
	v_addc_co_u32_e32 v165, vcc, 0, v191, vcc
	v_mfma_f32_16x16x16_bf16 a[20:23], v[188:189], v[158:159], a[20:23]
	ds_read2st64_b64 v[156:159], v128 offset0:16 offset1:24
	v_mov_b32_e32 v179, v173
	v_mov_b32_e32 v172, v170
	v_mfma_f32_16x16x16_bf16 a[32:35], v[188:189], v[162:163], a[24:27]
	v_mov_b32_e32 v173, v171
	s_waitcnt lgkmcnt(0)
	v_mov_b32_e32 v162, v156
	v_mov_b32_e32 v163, v157
	v_mfma_f32_16x16x16_bf16 a[36:39], v[188:189], v[166:167], a[28:31]
	v_mov_b32_e32 v156, v154
	v_mov_b32_e32 v157, v155
	;; [unrolled: 1-line block ×3, first 2 shown]
	v_mfma_f32_16x16x16_bf16 a[24:27], v[186:187], v[42:43], a[16:19]
	v_add_co_u32_e32 v42, vcc, s60, v190
	v_mov_b32_e32 v161, v153
	v_mfma_f32_16x16x16_bf16 a[28:31], v[186:187], v[180:181], a[20:23]
	v_addc_co_u32_e32 v43, vcc, 0, v191, vcc
	global_store_dwordx4 v[42:43], v[156:159], off
	v_mfma_f32_16x16x16_bf16 a[16:19], v[186:187], v[182:183], a[32:35]
	s_waitcnt vmcnt(2)
	v_mov_b32_e32 v44, v37
	v_mov_b32_e32 v43, v36
	v_mov_b32_e32 v42, v35
	v_mfma_f32_16x16x16_bf16 a[20:23], v[186:187], v[184:185], a[36:39]
	s_and_b64 vcc, exec, s[0:1]
	global_store_dwordx4 v[190:191], v[176:179], off
	global_store_dwordx4 v[164:165], v[172:175], off offset:-4096
	global_store_dwordx4 v[164:165], v[160:163], off
	s_cbranch_vccnz .LBB215_16
; %bb.15:                               ;   in Loop: Header=BB215_6 Depth=1
	v_lshrrev_b32_e32 v35, 3, v149
	v_and_b32_e32 v35, 6, v35
	v_xor_b32_e32 v36, v35, v150
	v_lshlrev_b32_e32 v36, 2, v36
	v_and_b32_e32 v37, 8, v149
	v_xor_b32_e32 v149, 0x440, v36
	v_cmp_eq_u32_e32 vcc, 0, v37
	v_perm_b32 v37, v22, v18, s58
	s_nop 0
	v_cndmask_b32_e32 v36, v149, v36, vcc
	v_lshl_or_b32 v35, v35, 10, v36
	v_perm_b32 v36, v30, v26, s58
	s_barrier
	ds_write2st64_b32 v35, v36, v37 offset0:128 offset1:160
	v_xor_b32_e32 v36, 8, v35
	v_perm_b32 v26, v30, v26, s59
	v_perm_b32 v18, v22, v18, s59
	v_add_u32_e32 v22, 0x80, v36
	ds_write2st64_b32 v22, v26, v18 offset0:128 offset1:160
	v_xor_b32_e32 v18, 16, v35
	v_perm_b32 v22, v31, v27, s58
	v_perm_b32 v26, v23, v19, s58
	ds_write2st64_b32 v18, v22, v26 offset0:129 offset1:161
	v_xor_b32_e32 v18, 24, v35
	v_perm_b32 v22, v31, v27, s59
	v_perm_b32 v19, v23, v19, s59
	v_add_u32_e32 v18, 0x80, v18
	ds_write2st64_b32 v18, v22, v19 offset0:129 offset1:161
	v_xor_b32_e32 v18, 32, v35
	v_perm_b32 v19, v32, v28, s58
	v_perm_b32 v22, v24, v20, s58
	;; [unrolled: 9-line block ×3, first 2 shown]
	ds_write2st64_b32 v18, v19, v20 offset0:131 offset1:163
	v_xor_b32_e32 v18, 56, v35
	v_perm_b32 v19, v33, v29, s59
	v_perm_b32 v20, v25, v21, s59
	v_add_u32_e32 v18, 0x80, v18
	ds_write2st64_b32 v18, v19, v20 offset0:131 offset1:163
	ds_write_b64 v148, v[14:15] offset:49152
	v_xor_b32_e32 v14, 8, v148
	ds_write_b64 v14, v[16:17] offset:49152
	ds_write_b64 v148, v[10:11] offset:57344
	;; [unrolled: 1-line block ×4, first 2 shown]
	v_xor_b32_e32 v6, 8, v147
	ds_write_b64 v6, v[8:9] offset:49152
	ds_write_b64 v147, v[2:3] offset:57344
	;; [unrolled: 1-line block ×3, first 2 shown]
.LBB215_16:                             ;   in Loop: Header=BB215_6 Depth=1
	v_mul_f32_e32 v26, s2, v146
	v_exp_f32_e32 v36, v26
	s_waitcnt vmcnt(4)
	v_mul_f32_e32 v26, 0x3fb8aa3b, v38
	v_exp_f32_e32 v38, v26
	v_mul_f32_e32 v26, 0x3fb8aa3b, v39
	v_exp_f32_e32 v39, v26
	;; [unrolled: 2-line block ×4, first 2 shown]
	v_accvgpr_read_b32 v5, a3
	v_accvgpr_read_b32 v4, a2
	;; [unrolled: 1-line block ×4, first 2 shown]
	v_pk_mul_f32 v[38:39], v[36:37], v[38:39] op_sel_hi:[0,1]
	v_pk_mul_f32 v[40:41], v[36:37], v[40:41] op_sel_hi:[0,1]
	v_pk_fma_f32 v[74:75], v[74:75], v[38:39], v[2:3]
	v_pk_fma_f32 v[76:77], v[76:77], v[40:41], v[4:5]
	v_mul_f32_e32 v2, 0x3fb8aa3b, v34
	v_mul_f32_e32 v3, 0x3fb8aa3b, v42
	;; [unrolled: 1-line block ×4, first 2 shown]
	v_exp_f32_e32 v2, v2
	v_exp_f32_e32 v3, v3
	;; [unrolled: 1-line block ×4, first 2 shown]
	v_accvgpr_read_b32 v9, a7
	v_accvgpr_read_b32 v13, a11
	;; [unrolled: 1-line block ×28, first 2 shown]
	v_pk_mul_f32 v[2:3], v[36:37], v[2:3] op_sel_hi:[0,1]
	v_pk_mul_f32 v[4:5], v[36:37], v[4:5] op_sel_hi:[0,1]
	s_add_i32 s54, s54, 64
	v_pk_fma_f32 v[66:67], v[38:39], v[66:67], v[6:7]
	v_pk_fma_f32 v[68:69], v[40:41], v[68:69], v[8:9]
	;; [unrolled: 1-line block ×13, first 2 shown]
	s_cmp_eq_u32 s47, s62
	v_pk_fma_f32 v[50:51], v[4:5], v[50:51], v[32:33]
	s_cbranch_scc1 .LBB215_18
; %bb.17:                               ;   in Loop: Header=BB215_6 Depth=1
	s_mov_b32 s61, s62
	s_branch .LBB215_6
.LBB215_18:
	s_lshl_b32 s0, s47, 6
	s_sub_i32 s42, s49, s0
	s_cmp_gt_i32 s42, 0
	s_cbranch_scc0 .LBB215_99
; %bb.19:
	s_add_i32 s38, s0, s38
	s_ashr_i32 s2, s38, 31
	s_cmpk_lg_i32 s19, 0x80
	s_cselect_b64 s[30:31], -1, 0
	s_and_b64 vcc, exec, s[30:31]
	s_cbranch_vccz .LBB215_21
; %bb.20:
	s_mul_i32 s1, s38, s18
	s_ashr_i32 s3, s52, 31
	s_mul_hi_i32 s0, s38, s18
	s_add_u32 s40, s1, s52
	s_addc_u32 s41, s0, s3
	s_cbranch_execz .LBB215_22
	s_branch .LBB215_23
.LBB215_21:
                                        ; implicit-def: $sgpr40_sgpr41
.LBB215_22:
	s_mul_i32 s1, s52, s16
	s_mul_hi_i32 s0, s52, s16
	s_add_u32 s40, s1, s38
	s_addc_u32 s41, s0, s2
.LBB215_23:
	s_add_i32 s3, s47, s48
	s_ashr_i32 s16, s33, 31
	s_add_u32 s0, s51, s38
	v_lshlrev_b32_e32 v6, 6, v91
	v_lshlrev_b32_e32 v24, 2, v45
	s_addc_u32 s1, s50, s2
	s_mov_b32 s2, 0x7060302
	v_or_b32_e32 v9, v6, v24
	v_xor_b32_e32 v7, v91, v24
	v_perm_b32 v3, v77, v76, s2
	v_perm_b32 v2, v75, v74, s2
	;; [unrolled: 1-line block ×4, first 2 shown]
	v_lshlrev_b32_e32 v9, 1, v9
	v_xor_b32_e32 v8, v92, v24
	ds_write2st64_b64 v9, v[2:3], v[4:5] offset0:32 offset1:48
	v_lshlrev_b32_e32 v7, 1, v7
	v_lshlrev_b32_e32 v9, 8, v45
	v_or_b32_e32 v10, v7, v9
	v_lshlrev_b32_e32 v8, 1, v8
	ds_write_b64 v10, v[2:3]
	v_or_b32_e32 v2, v8, v9
	v_or_b32_e32 v9, 16, v45
	v_lshlrev_b32_e32 v23, 2, v9
	v_or_b32_e32 v10, v6, v23
	ds_write_b64 v2, v[4:5]
	v_perm_b32 v3, v69, v68, s2
	v_perm_b32 v2, v67, v66, s2
	;; [unrolled: 1-line block ×4, first 2 shown]
	v_lshlrev_b32_e32 v10, 1, v10
	v_lshlrev_b32_e32 v9, 8, v9
	ds_write2st64_b64 v10, v[2:3], v[4:5] offset0:32 offset1:48
	v_or_b32_e32 v10, v7, v9
	ds_write_b64 v10, v[2:3]
	v_or_b32_e32 v2, v8, v9
	v_or_b32_e32 v9, 32, v45
	v_lshlrev_b32_e32 v22, 2, v9
	v_or_b32_e32 v10, v6, v22
	s_lshl_b64 s[28:29], s[0:1], 8
	ds_write_b64 v2, v[4:5]
	v_perm_b32 v3, v61, v60, s2
	v_perm_b32 v2, v59, v58, s2
	;; [unrolled: 1-line block ×4, first 2 shown]
	v_lshlrev_b32_e32 v10, 1, v10
	v_lshlrev_b32_e32 v9, 8, v9
	s_add_u32 s0, s6, s28
	ds_write2st64_b64 v10, v[2:3], v[4:5] offset0:32 offset1:48
	v_or_b32_e32 v10, v7, v9
	s_addc_u32 s1, s7, s29
	ds_write_b64 v10, v[2:3]
	v_or_b32_e32 v2, v8, v9
	v_or_b32_e32 v9, 48, v45
	s_mul_hi_i32 s6, s3, s17
	s_mul_i32 s3, s3, s17
	ds_write_b64 v2, v[4:5]
	v_perm_b32 v3, v47, v46, s2
	v_perm_b32 v2, v53, v52, s2
	;; [unrolled: 1-line block ×4, first 2 shown]
	v_lshlrev_b32_e32 v19, 2, v9
	s_add_u32 s2, s3, s33
	v_or_b32_e32 v6, v6, v19
	s_addc_u32 s3, s6, s16
	v_lshlrev_b32_e32 v6, 1, v6
	s_ashr_i32 s37, s36, 31
	s_lshl_b64 s[2:3], s[2:3], 15
	ds_write2st64_b64 v6, v[2:3], v[4:5] offset0:32 offset1:48
	v_lshlrev_b32_e32 v6, 8, v9
	s_add_u32 s6, s12, s2
	v_or_b32_e32 v7, v7, v6
	s_addc_u32 s7, s13, s3
	s_lshl_b64 s[2:3], s[36:37], 8
	ds_write_b64 v7, v[2:3]
	v_or_b32_e32 v2, v8, v6
	s_add_u32 s2, s6, s2
	v_lshlrev_b32_e32 v3, 1, v45
	ds_write_b64 v2, v[4:5]
	v_lshrrev_b32_e32 v2, 4, v0
	s_addc_u32 s3, s7, s3
	v_or_b32_e32 v4, 1, v3
	v_lshlrev_b32_e32 v10, 4, v45
	v_mov_b32_e32 v11, 0
	v_xor_b32_e32 v3, v2, v3
	v_xor_b32_e32 v6, v4, v2
	v_lshl_add_u64 v[12:13], s[2:3], 0, v[10:11]
	v_lshlrev_b32_e32 v10, 8, v2
	v_lshl_or_b32 v16, v3, 3, v10
	v_lshl_or_b32 v17, v6, 3, v10
	s_waitcnt lgkmcnt(0)
	s_barrier
	ds_read2st64_b64 v[2:5], v16 offset1:8
	ds_read2st64_b64 v[6:9], v17 offset1:8
	v_lshl_add_u64 v[14:15], v[12:13], 0, v[10:11]
	s_movk_i32 s2, 0x2000
	s_cmp_lg_u32 s42, 64
	s_waitcnt lgkmcnt(1)
	v_mov_b32_e32 v10, v2
	v_mov_b32_e32 v11, v3
	s_waitcnt lgkmcnt(0)
	v_mov_b32_e32 v12, v6
	v_mov_b32_e32 v13, v7
	global_store_dwordx4 v[14:15], v[10:13], off
	v_mov_b32_e32 v6, v4
	v_mov_b32_e32 v7, v5
	ds_read2st64_b64 v[2:5], v16 offset0:16 offset1:24
	ds_read2st64_b64 v[10:13], v17 offset0:16 offset1:24
	v_add_co_u32_e32 v16, vcc, s2, v14
	s_cselect_b64 s[6:7], -1, 0
	s_nop 0
	v_addc_co_u32_e32 v17, vcc, 0, v15, vcc
	global_store_dwordx4 v[16:17], v[6:9], off offset:-4096
	v_lshl_or_b32 v25, v87, 3, v90
	s_mov_b32 s24, 0
	s_waitcnt lgkmcnt(1)
	v_mov_b32_e32 v6, v2
	v_add_co_u32_e32 v2, vcc, 0x3000, v14
	v_mov_b32_e32 v7, v3
	s_nop 0
	v_addc_co_u32_e32 v3, vcc, 0, v15, vcc
	s_waitcnt lgkmcnt(0)
	v_mov_b32_e32 v8, v10
	v_mov_b32_e32 v9, v11
	;; [unrolled: 1-line block ×4, first 2 shown]
	v_or_b32_e32 v20, 32, v25
	v_and_b32_e32 v18, 56, v89
	s_and_b64 vcc, exec, s[6:7]
	global_store_dwordx4 v[16:17], v[6:9], off
	global_store_dwordx4 v[2:3], v[10:13], off
	s_cbranch_vccz .LBB215_29
; %bb.24:
	s_mov_b32 s25, s24
	s_mov_b32 s26, s24
	;; [unrolled: 1-line block ×3, first 2 shown]
	v_mov_b64_e32 v[6:7], s[24:25]
	v_mov_b64_e32 v[8:9], s[26:27]
	;; [unrolled: 1-line block ×3, first 2 shown]
	v_cmp_gt_i32_e32 vcc, s42, v25
	v_mov_b64_e32 v[4:5], v[8:9]
	s_and_saveexec_b64 s[2:3], vcc
	s_cbranch_execz .LBB215_26
; %bb.25:
	v_lshlrev_b32_e32 v2, 8, v25
	v_mov_b32_e32 v3, 0
	v_lshl_add_u64 v[4:5], s[0:1], 0, v[2:3]
	v_lshlrev_b32_e32 v2, 1, v18
	v_lshl_add_u64 v[10:11], v[4:5], 0, v[2:3]
	global_load_dwordx4 v[6:9], v[10:11], off
	global_load_dwordx4 v[2:5], v[10:11], off offset:128
.LBB215_26:
	s_or_b64 exec, exec, s[2:3]
	s_mov_b32 s25, s24
	s_mov_b32 s26, s24
	;; [unrolled: 1-line block ×3, first 2 shown]
	v_mov_b64_e32 v[14:15], s[24:25]
	v_mov_b64_e32 v[16:17], s[26:27]
	;; [unrolled: 1-line block ×3, first 2 shown]
	v_cmp_gt_i32_e32 vcc, s42, v20
	v_lshlrev_b32_e32 v21, 7, v20
	v_mov_b64_e32 v[12:13], v[16:17]
	s_and_saveexec_b64 s[2:3], vcc
	s_cbranch_execz .LBB215_28
; %bb.27:
	v_lshlrev_b32_e32 v10, 1, v21
	v_mov_b32_e32 v11, 0
	v_lshl_add_u64 v[12:13], s[0:1], 0, v[10:11]
	v_lshlrev_b32_e32 v10, 1, v18
	v_lshl_add_u64 v[26:27], v[12:13], 0, v[10:11]
	global_load_dwordx4 v[14:17], v[26:27], off
	global_load_dwordx4 v[10:13], v[26:27], off offset:128
.LBB215_28:
	s_or_b64 exec, exec, s[2:3]
	v_lshrrev_b32_e32 v26, 3, v18
	v_lshlrev_b32_e32 v27, 3, v25
	v_or_b32_e32 v26, v27, v26
	v_lshlrev_b32_e32 v26, 4, v26
	v_and_b32_e32 v27, 0x78, v27
	v_xor_b32_e32 v26, v26, v27
	s_branch .LBB215_31
.LBB215_29:
                                        ; implicit-def: $vgpr26
                                        ; implicit-def: $vgpr21
                                        ; implicit-def: $vgpr6_vgpr7_vgpr8_vgpr9
                                        ; implicit-def: $vgpr2_vgpr3_vgpr4_vgpr5
                                        ; implicit-def: $vgpr14_vgpr15_vgpr16_vgpr17
                                        ; implicit-def: $vgpr10_vgpr11_vgpr12_vgpr13
	s_cbranch_execz .LBB215_31
; %bb.30:
	s_waitcnt vmcnt(0)
	v_lshlrev_b32_e32 v2, 1, v18
	v_lshl_or_b32 v21, v25, 8, v2
	s_and_b32 s1, s1, 0xffff
	s_mov_b32 s3, 0x20000
	s_movk_i32 s2, 0x4000
	v_lshl_or_b32 v26, v20, 8, v2
	s_movk_i32 s12, 0x80
	buffer_load_dwordx4 v[6:9], v21, s[0:3], 0 offen
	buffer_load_dwordx4 v[2:5], v21, s[0:3], s12 offen
	;; [unrolled: 1-line block ×4, first 2 shown]
	v_lshrrev_b32_e32 v21, 3, v18
	v_lshlrev_b32_e32 v26, 3, v25
	v_or_b32_e32 v21, v26, v21
	v_lshlrev_b32_e32 v21, 4, v21
	v_and_b32_e32 v26, 0x78, v26
	v_xor_b32_e32 v26, v21, v26
	v_lshlrev_b32_e32 v21, 7, v20
.LBB215_31:
	s_movk_i32 s0, 0x1000
	v_and_or_b32 v20, v21, s0, v26
	s_waitcnt vmcnt(1)
	ds_write_b64 v26, v[6:7] offset:49152
	v_xor_b32_e32 v6, 8, v26
	ds_write_b64 v6, v[8:9] offset:49152
	s_waitcnt vmcnt(0)
	ds_write_b64 v26, v[2:3] offset:57344
	ds_write_b64 v6, v[4:5] offset:57344
	;; [unrolled: 1-line block ×3, first 2 shown]
	v_xor_b32_e32 v2, 8, v20
	ds_write_b64 v2, v[16:17] offset:49152
	ds_write_b64 v20, v[10:11] offset:57344
	;; [unrolled: 1-line block ×3, first 2 shown]
	v_or_b32_e32 v2, v1, v45
	v_lshlrev_b32_e32 v3, 11, v87
	v_lshlrev_b32_e32 v2, 3, v2
	v_and_b32_e32 v6, 0x1000, v3
	v_lshrrev_b32_e32 v3, 5, v86
	s_movk_i32 s0, 0xf8
	v_and_or_b32 v3, v2, s0, v3
	v_lshlrev_b32_e32 v7, 4, v3
	v_and_b32_e32 v8, 0x78, v2
	v_or_b32_e32 v10, 32, v7
	v_lshrrev_b32_e32 v3, 1, v86
	v_xor_b32_e32 v10, v10, v8
	v_xor_b32_e32 v2, v7, v8
	v_and_b32_e32 v9, 8, v3
	v_or_b32_e32 v10, v10, v6
	v_or_b32_e32 v2, v2, v6
	v_xor_b32_e32 v28, v10, v9
	v_or_b32_e32 v10, 64, v7
	v_xor_b32_e32 v27, v2, v9
	v_xor_b32_e32 v10, v10, v8
	s_waitcnt lgkmcnt(0)
	s_barrier
	v_or_b32_e32 v13, v10, v6
	ds_read_b64 v[10:11], v27 offset:49152
	v_lshl_or_b32 v14, v88, 8, v24
	v_lshlrev_b32_e32 v26, 1, v14
	v_add_u32_e32 v12, 0x4000, v26
	ds_read2_b64 v[2:5], v12 offset1:16
	v_or_b32_e32 v7, 0x60, v7
	v_xor_b32_e32 v7, v7, v8
	v_or_b32_e32 v6, v7, v6
	v_xor_b32_e32 v29, v13, v9
	v_xor_b32_e32 v30, v6, v9
	ds_read_b64 v[20:21], v28 offset:49152
	ds_read_b64 v[34:35], v29 offset:49152
	ds_read_b64 v[36:37], v30 offset:49152
	s_waitcnt lgkmcnt(3)
	v_mfma_f32_16x16x16_bf16 a[0:3], v[10:11], v[2:3], 0
	ds_read2_b64 v[6:9], v12 offset0:32 offset1:48
	s_lshl_b64 s[0:1], s[40:41], 8
	s_add_u32 s4, s4, s0
	v_mfma_f32_16x16x16_bf16 a[4:7], v[10:11], v[4:5], 0
	ds_read2st64_b64 v[2:5], v26 offset0:36 offset1:40
	s_addc_u32 s5, s5, s1
	s_add_i32 s2, s39, -1
	s_waitcnt lgkmcnt(1)
	v_mfma_f32_16x16x16_bf16 a[8:11], v[10:11], v[6:7], 0
	v_or_b32_e32 v6, 64, v14
	v_lshlrev_b32_e32 v31, 1, v6
	s_add_i32 s0, s45, s44
	s_waitcnt lgkmcnt(0)
	v_mfma_f32_16x16x16_bf16 a[0:3], v[20:21], v[2:3], a[0:3]
	v_or_b32_e32 v2, 0x80, v14
	v_lshlrev_b32_e32 v32, 1, v2
	v_or_b32_e32 v2, 0xc0, v14
	v_mfma_f32_16x16x16_bf16 a[12:15], v[10:11], v[8:9], 0
	ds_read2st64_b64 v[6:9], v31 offset0:36 offset1:40
	v_lshlrev_b32_e32 v33, 1, v2
	ds_read2st64_b64 v[10:13], v32 offset0:36 offset1:40
	ds_read2st64_b64 v[14:17], v33 offset0:36 offset1:40
	s_add_i32 s21, s0, s46
	s_mul_i32 s0, s33, s23
	s_mul_hi_u32 s1, s33, s22
	s_ashr_i32 s3, s2, 31
	s_mul_i32 s12, s2, s35
	s_mul_hi_u32 s13, s2, s34
	s_waitcnt lgkmcnt(2)
	v_mfma_f32_16x16x16_bf16 a[4:7], v[20:21], v[6:7], a[4:7]
	s_add_i32 s0, s1, s0
	s_mul_i32 s1, s16, s22
	s_add_i32 s12, s13, s12
	s_mul_i32 s3, s3, s34
	s_waitcnt lgkmcnt(1)
	v_mfma_f32_16x16x16_bf16 a[8:11], v[20:21], v[10:11], a[8:11]
	s_add_i32 s1, s0, s1
	s_add_i32 s3, s12, s3
	s_lshl_b64 s[12:13], s[20:21], 2
	s_waitcnt lgkmcnt(0)
	v_mfma_f32_16x16x16_bf16 a[12:15], v[20:21], v[14:15], a[12:15]
	s_mul_i32 s0, s33, s22
	s_add_u32 s10, s10, s12
	s_addc_u32 s11, s11, s13
	s_lshl_b64 s[0:1], s[0:1], 2
	v_mfma_f32_16x16x16_bf16 a[0:3], v[34:35], v[4:5], a[0:3]
	s_mul_i32 s2, s2, s34
	ds_read_b64 v[2:3], v26 offset:22528
	s_add_u32 s10, s10, s0
	v_mfma_f32_16x16x16_bf16 a[4:7], v[34:35], v[8:9], a[4:7]
	ds_read_b64 v[4:5], v31 offset:22528
	ds_read_b64 v[6:7], v32 offset:22528
	;; [unrolled: 1-line block ×3, first 2 shown]
	s_addc_u32 s11, s11, s1
	s_lshl_b64 s[0:1], s[2:3], 2
	v_mfma_f32_16x16x16_bf16 a[8:11], v[34:35], v[12:13], a[8:11]
	s_add_u32 s0, s10, s0
	s_addc_u32 s1, s11, s1
	s_load_dword s12, s[0:1], 0x0
	v_mfma_f32_16x16x16_bf16 a[12:15], v[34:35], v[16:17], a[12:15]
	s_and_b64 vcc, exec, s[30:31]
	s_waitcnt lgkmcnt(0)
	v_mfma_f32_16x16x16_bf16 a[0:3], v[36:37], v[2:3], a[0:3]
	v_mfma_f32_16x16x16_bf16 a[4:7], v[36:37], v[4:5], a[4:7]
	v_mfma_f32_16x16x16_bf16 a[8:11], v[36:37], v[6:7], a[8:11]
	v_mfma_f32_16x16x16_bf16 a[12:15], v[36:37], v[8:9], a[12:15]
	s_cbranch_vccz .LBB215_42
; %bb.32:
	v_lshlrev_b32_e32 v20, 1, v25
	s_and_b64 vcc, exec, s[6:7]
	s_cbranch_vccz .LBB215_43
; %bb.33:
	v_cmp_gt_i32_e32 vcc, s42, v20
	v_mov_b32_e32 v6, 0
	v_mov_b32_e32 v2, 0
	;; [unrolled: 1-line block ×5, first 2 shown]
	s_and_saveexec_b64 s[0:1], vcc
	s_cbranch_execz .LBB215_35
; %bb.34:
	v_mad_i64_i32 v[2:3], s[2:3], s19, v20, 0
	v_lshl_add_u64 v[2:3], v[2:3], 1, s[4:5]
	v_lshlrev_b32_e32 v4, 1, v18
	v_mov_b32_e32 v5, 0
	v_lshl_add_u64 v[2:3], v[2:3], 0, v[4:5]
	global_load_dwordx4 v[2:5], v[2:3], off
.LBB215_35:
	s_or_b64 exec, exec, s[0:1]
	v_or_b32_e32 v21, 1, v20
	v_cmp_gt_i32_e64 s[0:1], s42, v21
	v_mov_b32_e32 v7, 0
	v_mov_b32_e32 v8, 0
	;; [unrolled: 1-line block ×3, first 2 shown]
	s_and_saveexec_b64 s[2:3], s[0:1]
	s_cbranch_execz .LBB215_37
; %bb.36:
	v_mad_i64_i32 v[6:7], s[16:17], s19, v21, 0
	v_lshl_add_u64 v[6:7], v[6:7], 1, s[4:5]
	v_lshlrev_b32_e32 v8, 1, v18
	v_mov_b32_e32 v9, 0
	v_lshl_add_u64 v[6:7], v[6:7], 0, v[8:9]
	global_load_dwordx4 v[6:9], v[6:7], off
.LBB215_37:
	s_or_b64 exec, exec, s[2:3]
	v_mov_b32_e32 v17, 0
	v_mov_b32_e32 v10, 0
	;; [unrolled: 1-line block ×5, first 2 shown]
	s_and_saveexec_b64 s[2:3], vcc
	s_cbranch_execz .LBB215_39
; %bb.38:
	v_mad_i64_i32 v[10:11], s[16:17], s19, v20, 0
	v_lshl_add_u64 v[10:11], v[10:11], 1, s[4:5]
	v_lshlrev_b32_e32 v12, 1, v18
	v_mov_b32_e32 v13, 0
	v_lshl_add_u64 v[10:11], v[10:11], 0, v[12:13]
	global_load_dwordx4 v[10:13], v[10:11], off offset:128
.LBB215_39:
	s_or_b64 exec, exec, s[2:3]
	v_mov_b32_e32 v16, 0
	v_mov_b32_e32 v15, 0
	;; [unrolled: 1-line block ×3, first 2 shown]
	s_and_saveexec_b64 s[2:3], s[0:1]
	s_cbranch_execz .LBB215_41
; %bb.40:
	v_mad_i64_i32 v[14:15], s[0:1], s19, v21, 0
	v_lshl_add_u64 v[14:15], v[14:15], 1, s[4:5]
	v_lshlrev_b32_e32 v16, 1, v18
	v_mov_b32_e32 v17, 0
	v_lshl_add_u64 v[14:15], v[14:15], 0, v[16:17]
	global_load_dwordx4 v[14:17], v[14:15], off offset:128
.LBB215_41:
	s_or_b64 exec, exec, s[2:3]
	s_branch .LBB215_45
.LBB215_42:
                                        ; implicit-def: $vgpr5
                                        ; implicit-def: $vgpr9
                                        ; implicit-def: $vgpr13
                                        ; implicit-def: $vgpr17
	v_lshrrev_b32_e32 v34, 2, v86
	s_branch .LBB215_46
.LBB215_43:
                                        ; implicit-def: $vgpr5
                                        ; implicit-def: $vgpr9
                                        ; implicit-def: $vgpr13
                                        ; implicit-def: $vgpr17
	s_cbranch_execz .LBB215_45
; %bb.44:
	s_waitcnt vmcnt(0)
	v_mad_u64_u32 v[2:3], s[0:1], v20, s19, v[18:19]
	v_lshlrev_b32_e32 v20, 1, v2
	s_lshl_b32 s2, s19, 7
	s_and_b32 s1, s5, 0xffff
	s_mov_b32 s3, 0x20000
	s_mov_b32 s0, s4
	v_add_lshl_u32 v21, v2, s19, 1
	s_movk_i32 s13, 0x80
	buffer_load_dwordx4 v[2:5], v20, s[0:3], 0 offen
	buffer_load_dwordx4 v[10:13], v20, s[0:3], s13 offen
	;; [unrolled: 1-line block ×4, first 2 shown]
.LBB215_45:
	v_lshrrev_b32_e32 v34, 2, v86
	s_cbranch_execnz .LBB215_58
.LBB215_46:
	s_and_b64 vcc, exec, s[6:7]
	s_cbranch_vccz .LBB215_56
; %bb.47:
	s_waitcnt vmcnt(0)
	v_lshlrev_b32_e32 v7, 1, v25
	v_cmp_gt_i32_e32 vcc, s42, v7
	v_mov_b32_e32 v6, 0
	v_lshlrev_b32_e32 v14, 9, v25
	v_mov_b32_e32 v2, 0
	v_mov_b32_e32 v3, 0
	;; [unrolled: 1-line block ×4, first 2 shown]
	s_and_saveexec_b64 s[0:1], vcc
	s_cbranch_execz .LBB215_49
; %bb.48:
	v_mov_b32_e32 v15, 0
	v_lshl_add_u64 v[2:3], s[4:5], 0, v[14:15]
	v_lshlrev_b32_e32 v4, 1, v18
	v_mov_b32_e32 v5, v15
	v_lshl_add_u64 v[2:3], v[2:3], 0, v[4:5]
	global_load_dwordx4 v[2:5], v[2:3], off
.LBB215_49:
	s_or_b64 exec, exec, s[0:1]
	v_or_b32_e32 v7, 1, v7
	v_cmp_gt_i32_e64 s[0:1], s42, v7
	v_lshlrev_b32_e32 v20, 8, v7
	v_mov_b32_e32 v7, 0
	v_mov_b32_e32 v8, 0
	;; [unrolled: 1-line block ×3, first 2 shown]
	s_and_saveexec_b64 s[2:3], s[0:1]
	s_cbranch_execz .LBB215_51
; %bb.50:
	v_mov_b32_e32 v21, 0
	v_lshl_add_u64 v[6:7], s[4:5], 0, v[20:21]
	v_lshlrev_b32_e32 v8, 1, v18
	v_mov_b32_e32 v9, v21
	v_lshl_add_u64 v[6:7], v[6:7], 0, v[8:9]
	global_load_dwordx4 v[6:9], v[6:7], off
.LBB215_51:
	s_or_b64 exec, exec, s[2:3]
	v_mov_b32_e32 v17, 0
	v_mov_b32_e32 v10, 0
	;; [unrolled: 1-line block ×5, first 2 shown]
	s_and_saveexec_b64 s[2:3], vcc
	s_cbranch_execz .LBB215_53
; %bb.52:
	v_mov_b32_e32 v15, 0
	v_lshl_add_u64 v[10:11], s[4:5], 0, v[14:15]
	v_lshlrev_b32_e32 v14, 1, v18
	v_lshl_add_u64 v[10:11], v[10:11], 0, v[14:15]
	global_load_dwordx4 v[10:13], v[10:11], off offset:128
.LBB215_53:
	s_or_b64 exec, exec, s[2:3]
	v_mov_b32_e32 v16, 0
	v_mov_b32_e32 v15, 0
	;; [unrolled: 1-line block ×3, first 2 shown]
	s_and_saveexec_b64 s[2:3], s[0:1]
	s_cbranch_execz .LBB215_55
; %bb.54:
	v_mov_b32_e32 v21, 0
	v_lshl_add_u64 v[14:15], s[4:5], 0, v[20:21]
	v_lshlrev_b32_e32 v20, 1, v18
	v_lshl_add_u64 v[14:15], v[14:15], 0, v[20:21]
	global_load_dwordx4 v[14:17], v[14:15], off offset:128
.LBB215_55:
	s_or_b64 exec, exec, s[2:3]
	s_branch .LBB215_58
.LBB215_56:
                                        ; implicit-def: $vgpr5
                                        ; implicit-def: $vgpr9
                                        ; implicit-def: $vgpr13
                                        ; implicit-def: $vgpr17
	s_cbranch_execz .LBB215_58
; %bb.57:
	s_waitcnt vmcnt(0)
	v_lshlrev_b32_e32 v2, 1, v18
	v_lshl_or_b32 v18, v25, 9, v2
	s_and_b32 s5, s5, 0xffff
	s_mov_b32 s7, 0x20000
	s_movk_i32 s6, 0x4000
	s_movk_i32 s0, 0x80
	buffer_load_dwordx4 v[2:5], v18, s[4:7], 0 offen
	buffer_load_dwordx4 v[6:9], v18, s[4:7], 0 offen offset:256
	buffer_load_dwordx4 v[10:13], v18, s[4:7], s0 offen
	buffer_load_dwordx4 v[14:17], v18, s[4:7], s0 offen offset:256
.LBB215_58:
	ds_read_b64 v[20:21], v27 offset:57344
	v_add_u32_e32 v18, 0x6000, v26
	ds_read2_b64 v[36:39], v18 offset1:16
	ds_read_b64 v[54:55], v28 offset:57344
	ds_read_b64 v[28:29], v29 offset:57344
	;; [unrolled: 1-line block ×3, first 2 shown]
	ds_read2st64_b64 v[40:43], v26 offset0:52 offset1:56
	s_mov_b32 s0, 0x1000504
	s_mov_b32 s1, 0x3020706
	s_waitcnt lgkmcnt(4)
	v_mfma_f32_16x16x16_bf16 a[0:3], v[20:21], v[36:37], a[0:3]
	v_mfma_f32_16x16x16_bf16 a[4:7], v[20:21], v[38:39], a[4:7]
	ds_read2_b64 v[36:39], v18 offset0:32 offset1:48
	v_and_b32_e32 v18, 6, v0
	v_xor_b32_e32 v25, v25, v18
	s_waitcnt lgkmcnt(0)
	v_mfma_f32_16x16x16_bf16 a[8:11], v[20:21], v[36:37], a[8:11]
	v_lshlrev_b32_e32 v25, 2, v25
	v_and_b32_e32 v0, 1, v0
	v_xor_b32_e32 v35, 0x440, v25
	v_mfma_f32_16x16x16_bf16 a[12:15], v[20:21], v[38:39], a[12:15]
	ds_read2st64_b64 v[36:39], v31 offset0:52 offset1:56
	ds_read2st64_b64 v[46:49], v32 offset0:52 offset1:56
	;; [unrolled: 1-line block ×3, first 2 shown]
	v_cmp_eq_u32_e32 vcc, 0, v0
	ds_read_b64 v[20:21], v26 offset:30720
	ds_read_b64 v[26:27], v31 offset:30720
	;; [unrolled: 1-line block ×4, first 2 shown]
	v_mfma_f32_16x16x16_bf16 a[0:3], v[54:55], v[40:41], a[0:3]
	v_cndmask_b32_e32 v0, v35, v25, vcc
	v_lshl_or_b32 v0, v18, 10, v0
	s_waitcnt vmcnt(0)
	v_perm_b32 v18, v2, v6, s0
	s_waitcnt lgkmcnt(6)
	v_mfma_f32_16x16x16_bf16 a[4:7], v[54:55], v[36:37], a[4:7]
	v_perm_b32 v25, v10, v14, s0
	ds_write2st64_b32 v0, v18, v25 offset0:128 offset1:160
	v_xor_b32_e32 v18, 8, v0
	s_waitcnt lgkmcnt(6)
	v_mfma_f32_16x16x16_bf16 a[8:11], v[54:55], v[46:47], a[8:11]
	v_perm_b32 v2, v2, v6, s1
	v_perm_b32 v6, v10, v14, s1
	v_add_u32_e32 v10, 0x80, v18
	s_waitcnt lgkmcnt(5)
	v_mfma_f32_16x16x16_bf16 a[12:15], v[54:55], v[50:51], a[12:15]
	ds_write2st64_b32 v10, v2, v6 offset0:128 offset1:160
	v_xor_b32_e32 v2, 16, v0
	v_perm_b32 v6, v3, v7, s0
	v_mfma_f32_16x16x16_bf16 a[0:3], v[28:29], v[42:43], a[0:3]
	v_perm_b32 v10, v11, v15, s0
	ds_write2st64_b32 v2, v6, v10 offset0:129 offset1:161
	v_xor_b32_e32 v2, 24, v0
	v_mfma_f32_16x16x16_bf16 a[4:7], v[28:29], v[38:39], a[4:7]
	v_perm_b32 v3, v3, v7, s1
	v_perm_b32 v6, v11, v15, s1
	v_add_u32_e32 v2, 0x80, v2
	v_mfma_f32_16x16x16_bf16 a[16:19], v[28:29], v[48:49], a[8:11]
	ds_write2st64_b32 v2, v3, v6 offset0:129 offset1:161
	v_xor_b32_e32 v2, 32, v0
	v_perm_b32 v3, v4, v8, s0
	v_mfma_f32_16x16x16_bf16 a[20:23], v[28:29], v[52:53], a[12:15]
	v_perm_b32 v6, v12, v16, s0
	ds_write2st64_b32 v2, v3, v6 offset0:130 offset1:162
	v_xor_b32_e32 v2, 40, v0
	s_waitcnt lgkmcnt(8)
	v_mfma_f32_16x16x16_bf16 a[12:15], v[56:57], v[20:21], a[0:3]
	v_perm_b32 v3, v4, v8, s1
	v_perm_b32 v4, v12, v16, s1
	v_add_u32_e32 v2, 0x80, v2
	s_waitcnt lgkmcnt(7)
	v_mfma_f32_16x16x16_bf16 a[8:11], v[56:57], v[26:27], a[4:7]
	ds_write2st64_b32 v2, v3, v4 offset0:130 offset1:162
	v_xor_b32_e32 v2, 48, v0
	v_perm_b32 v3, v5, v9, s0
	s_waitcnt lgkmcnt(7)
	v_mfma_f32_16x16x16_bf16 a[4:7], v[56:57], v[30:31], a[16:19]
	v_perm_b32 v4, v13, v17, s0
	v_xor_b32_e32 v0, 56, v0
	v_and_or_b32 v21, v34, 12, v1
	s_waitcnt lgkmcnt(6)
	v_mfma_f32_16x16x16_bf16 a[0:3], v[56:57], v[32:33], a[20:23]
	ds_write2st64_b32 v2, v3, v4 offset0:131 offset1:163
	v_perm_b32 v2, v5, v9, s1
	v_perm_b32 v3, v13, v17, s1
	v_add_u32_e32 v0, 0x80, v0
	v_cmp_gt_i32_e32 vcc, s42, v21
	v_mov_b32_e32 v16, 0
	v_mov_b32_e32 v18, 0
	ds_write2st64_b32 v0, v2, v3 offset0:131 offset1:163
	s_and_saveexec_b64 s[0:1], vcc
	s_cbranch_execz .LBB215_60
; %bb.59:
	v_add_u32_e32 v0, s38, v21
	v_ashrrev_i32_e32 v1, 31, v0
	v_mul_lo_u32 v2, v1, s34
	v_mul_lo_u32 v3, v0, s35
	v_mad_u64_u32 v[0:1], s[2:3], v0, s34, 0
	v_add3_u32 v1, v1, v3, v2
	v_lshl_add_u64 v[0:1], v[0:1], 2, s[10:11]
	global_load_dword v0, v[0:1], off
	s_waitcnt vmcnt(0)
	v_sub_f32_e32 v0, s12, v0
	v_mul_f32_e32 v0, 0x3fb8aa3b, v0
	v_exp_f32_e32 v18, v0
.LBB215_60:
	s_or_b64 exec, exec, s[0:1]
	v_or_b32_e32 v10, 1, v21
	v_cmp_gt_i32_e64 s[0:1], s42, v10
	s_and_saveexec_b64 s[2:3], s[0:1]
	s_cbranch_execz .LBB215_62
; %bb.61:
	v_add_u32_e32 v0, s38, v10
	v_ashrrev_i32_e32 v1, 31, v0
	v_mul_lo_u32 v2, v1, s34
	v_mul_lo_u32 v3, v0, s35
	v_mad_u64_u32 v[0:1], s[4:5], v0, s34, 0
	v_add3_u32 v1, v1, v3, v2
	v_lshl_add_u64 v[0:1], v[0:1], 2, s[10:11]
	global_load_dword v0, v[0:1], off
	s_waitcnt vmcnt(0)
	v_sub_f32_e32 v0, s12, v0
	v_mul_f32_e32 v0, 0x3fb8aa3b, v0
	v_exp_f32_e32 v16, v0
.LBB215_62:
	s_or_b64 exec, exec, s[2:3]
	v_or_b32_e32 v12, 2, v21
	v_cmp_gt_i32_e64 s[2:3], s42, v12
	v_mov_b32_e32 v17, 0
	v_mov_b32_e32 v20, 0
	s_and_saveexec_b64 s[4:5], s[2:3]
	s_cbranch_execz .LBB215_64
; %bb.63:
	v_add_u32_e32 v0, s38, v12
	v_ashrrev_i32_e32 v1, 31, v0
	v_mul_lo_u32 v2, v1, s34
	v_mul_lo_u32 v3, v0, s35
	v_mad_u64_u32 v[0:1], s[6:7], v0, s34, 0
	v_add3_u32 v1, v1, v3, v2
	v_lshl_add_u64 v[0:1], v[0:1], 2, s[10:11]
	global_load_dword v0, v[0:1], off
	s_waitcnt vmcnt(0)
	v_sub_f32_e32 v0, s12, v0
	v_mul_f32_e32 v0, 0x3fb8aa3b, v0
	v_exp_f32_e32 v20, v0
.LBB215_64:
	s_or_b64 exec, exec, s[4:5]
	v_or_b32_e32 v14, 3, v21
	v_cmp_gt_i32_e64 s[4:5], s42, v14
	s_and_saveexec_b64 s[6:7], s[4:5]
	s_cbranch_execz .LBB215_66
; %bb.65:
	v_add_u32_e32 v0, s38, v14
	v_ashrrev_i32_e32 v1, 31, v0
	v_mul_lo_u32 v2, v1, s34
	v_mul_lo_u32 v3, v0, s35
	v_mad_u64_u32 v[0:1], s[16:17], v0, s34, 0
	v_add3_u32 v1, v1, v3, v2
	v_lshl_add_u64 v[0:1], v[0:1], 2, s[10:11]
	global_load_dword v0, v[0:1], off
	s_waitcnt vmcnt(0)
	v_sub_f32_e32 v0, s12, v0
	v_mul_f32_e32 v0, 0x3fb8aa3b, v0
	v_exp_f32_e32 v17, v0
.LBB215_66:
	s_or_b64 exec, exec, s[6:7]
	s_add_u32 s6, s8, s28
	v_or_b32_e32 v4, s36, v45
	s_addc_u32 s7, s9, s29
	s_add_u32 s8, s14, s28
	v_ashrrev_i32_e32 v5, 31, v4
	v_accvgpr_read_b32 v0, a12
	s_addc_u32 s9, s15, s29
	v_lshlrev_b64 v[4:5], 1, v[4:5]
	v_accvgpr_read_b32 v1, a13
	v_accvgpr_read_b32 v2, a14
	;; [unrolled: 1-line block ×3, first 2 shown]
	v_lshl_add_u64 v[6:7], s[6:7], 0, v[4:5]
	v_lshl_add_u64 v[4:5], s[8:9], 0, v[4:5]
	v_mov_b32_e32 v11, 0
	v_lshlrev_b32_e32 v8, 8, v21
	v_mov_b32_e32 v9, 0
	s_and_saveexec_b64 s[6:7], vcc
	s_cbranch_execz .LBB215_68
; %bb.67:
	v_mov_b32_e32 v9, 0
	v_lshl_add_u64 v[26:27], v[6:7], 0, v[8:9]
	global_load_ushort v13, v[26:27], off
	v_lshl_add_u64 v[26:27], v[4:5], 0, v[8:9]
	s_waitcnt vmcnt(0)
	v_lshlrev_b32_e32 v9, 16, v13
	v_sub_f32_e32 v0, v9, v0
	global_store_short_d16_hi v[26:27], v0, off
	v_mul_f32_e32 v0, v18, v0
	v_lshrrev_b32_e32 v9, 16, v0
.LBB215_68:
	s_or_b64 exec, exec, s[6:7]
	v_lshlrev_b32_e32 v10, 8, v10
	s_and_saveexec_b64 s[6:7], s[0:1]
	s_cbranch_execz .LBB215_70
; %bb.69:
	v_mov_b32_e32 v11, 0
	v_lshl_add_u64 v[26:27], v[6:7], 0, v[10:11]
	global_load_ushort v0, v[26:27], off
	v_lshl_add_u64 v[26:27], v[4:5], 0, v[10:11]
	s_waitcnt vmcnt(0)
	v_lshlrev_b32_e32 v0, 16, v0
	v_sub_f32_e32 v0, v0, v1
	global_store_short_d16_hi v[26:27], v0, off
	v_mul_f32_e32 v0, v16, v0
	v_lshrrev_b32_e32 v11, 16, v0
.LBB215_70:
	s_or_b64 exec, exec, s[6:7]
	v_mov_b32_e32 v15, 0
	v_lshlrev_b32_e32 v12, 8, v12
	v_mov_b32_e32 v13, 0
	s_and_saveexec_b64 s[6:7], s[2:3]
	s_cbranch_execz .LBB215_72
; %bb.71:
	v_mov_b32_e32 v13, 0
	v_lshl_add_u64 v[0:1], v[6:7], 0, v[12:13]
	global_load_ushort v25, v[0:1], off
	v_lshl_add_u64 v[0:1], v[4:5], 0, v[12:13]
	s_waitcnt vmcnt(0)
	v_lshlrev_b32_e32 v13, 16, v25
	v_sub_f32_e32 v2, v13, v2
	global_store_short_d16_hi v[0:1], v2, off
	v_mul_f32_e32 v0, v20, v2
	v_lshrrev_b32_e32 v13, 16, v0
.LBB215_72:
	s_or_b64 exec, exec, s[6:7]
	v_lshlrev_b32_e32 v14, 8, v14
	s_and_saveexec_b64 s[6:7], s[4:5]
	s_cbranch_execz .LBB215_74
; %bb.73:
	v_mov_b32_e32 v15, 0
	v_lshl_add_u64 v[0:1], v[6:7], 0, v[14:15]
	global_load_ushort v2, v[0:1], off
	v_lshl_add_u64 v[0:1], v[4:5], 0, v[14:15]
	s_waitcnt vmcnt(0)
	v_lshlrev_b32_e32 v2, 16, v2
	v_sub_f32_e32 v2, v2, v3
	global_store_short_d16_hi v[0:1], v2, off
	v_mul_f32_e32 v0, v17, v2
	v_lshrrev_b32_e32 v15, 16, v0
.LBB215_74:
	s_or_b64 exec, exec, s[6:7]
	v_lshlrev_b32_e32 v21, 6, v21
	s_mov_b32 s6, 0x5040100
	v_perm_b32 v26, v11, v9, s6
	v_or_b32_e32 v9, v21, v24
	v_accvgpr_read_b32 v0, a8
	v_perm_b32 v27, v15, v13, s6
	v_lshlrev_b32_e32 v9, 1, v9
	v_accvgpr_read_b32 v1, a9
	v_accvgpr_read_b32 v2, a10
	;; [unrolled: 1-line block ×3, first 2 shown]
	ds_write_b64 v9, v[26:27] offset:24576
	v_mov_b32_e32 v11, 0
	v_mov_b32_e32 v9, 0
	s_and_saveexec_b64 s[6:7], vcc
	s_cbranch_execz .LBB215_76
; %bb.75:
	v_mov_b32_e32 v9, 0
	v_lshl_add_u64 v[24:25], v[6:7], 0, v[8:9]
	global_load_ushort v13, v[24:25], off offset:32
	v_lshl_add_u64 v[24:25], v[4:5], 0, v[8:9]
	s_waitcnt vmcnt(0)
	v_lshlrev_b32_e32 v9, 16, v13
	v_sub_f32_e32 v0, v9, v0
	global_store_short_d16_hi v[24:25], v0, off offset:32
	v_mul_f32_e32 v0, v18, v0
	v_lshrrev_b32_e32 v9, 16, v0
.LBB215_76:
	s_or_b64 exec, exec, s[6:7]
	s_and_saveexec_b64 s[6:7], s[0:1]
	s_cbranch_execz .LBB215_78
; %bb.77:
	v_mov_b32_e32 v11, 0
	v_lshl_add_u64 v[24:25], v[6:7], 0, v[10:11]
	global_load_ushort v0, v[24:25], off offset:32
	v_lshl_add_u64 v[24:25], v[4:5], 0, v[10:11]
	s_waitcnt vmcnt(0)
	v_lshlrev_b32_e32 v0, 16, v0
	v_sub_f32_e32 v0, v0, v1
	global_store_short_d16_hi v[24:25], v0, off offset:32
	v_mul_f32_e32 v0, v16, v0
	v_lshrrev_b32_e32 v11, 16, v0
.LBB215_78:
	s_or_b64 exec, exec, s[6:7]
	v_mov_b32_e32 v15, 0
	v_mov_b32_e32 v13, 0
	s_and_saveexec_b64 s[6:7], s[2:3]
	s_cbranch_execz .LBB215_80
; %bb.79:
	v_mov_b32_e32 v13, 0
	v_lshl_add_u64 v[0:1], v[6:7], 0, v[12:13]
	global_load_ushort v24, v[0:1], off offset:32
	v_lshl_add_u64 v[0:1], v[4:5], 0, v[12:13]
	s_waitcnt vmcnt(0)
	v_lshlrev_b32_e32 v13, 16, v24
	v_sub_f32_e32 v2, v13, v2
	global_store_short_d16_hi v[0:1], v2, off offset:32
	v_mul_f32_e32 v0, v20, v2
	v_lshrrev_b32_e32 v13, 16, v0
.LBB215_80:
	s_or_b64 exec, exec, s[6:7]
	s_and_saveexec_b64 s[6:7], s[4:5]
	s_cbranch_execz .LBB215_82
; %bb.81:
	v_mov_b32_e32 v15, 0
	v_lshl_add_u64 v[0:1], v[6:7], 0, v[14:15]
	global_load_ushort v2, v[0:1], off offset:32
	v_lshl_add_u64 v[0:1], v[4:5], 0, v[14:15]
	s_waitcnt vmcnt(0)
	v_lshlrev_b32_e32 v2, 16, v2
	v_sub_f32_e32 v2, v2, v3
	global_store_short_d16_hi v[0:1], v2, off offset:32
	v_mul_f32_e32 v0, v17, v2
	v_lshrrev_b32_e32 v15, 16, v0
.LBB215_82:
	s_or_b64 exec, exec, s[6:7]
	s_mov_b32 s6, 0x5040100
	v_perm_b32 v24, v11, v9, s6
	v_or_b32_e32 v9, v21, v23
	v_accvgpr_read_b32 v0, a4
	v_perm_b32 v25, v15, v13, s6
	v_lshlrev_b32_e32 v9, 1, v9
	v_accvgpr_read_b32 v1, a5
	v_accvgpr_read_b32 v2, a6
	;; [unrolled: 1-line block ×3, first 2 shown]
	ds_write_b64 v9, v[24:25] offset:24576
	v_mov_b32_e32 v11, 0
	v_mov_b32_e32 v9, 0
	s_and_saveexec_b64 s[6:7], vcc
	s_cbranch_execz .LBB215_84
; %bb.83:
	v_mov_b32_e32 v9, 0
	v_lshl_add_u64 v[24:25], v[6:7], 0, v[8:9]
	global_load_ushort v13, v[24:25], off offset:64
	v_lshl_add_u64 v[24:25], v[4:5], 0, v[8:9]
	s_waitcnt vmcnt(0)
	v_lshlrev_b32_e32 v9, 16, v13
	v_sub_f32_e32 v0, v9, v0
	global_store_short_d16_hi v[24:25], v0, off offset:64
	v_mul_f32_e32 v0, v18, v0
	v_lshrrev_b32_e32 v9, 16, v0
.LBB215_84:
	s_or_b64 exec, exec, s[6:7]
	s_and_saveexec_b64 s[6:7], s[0:1]
	s_cbranch_execz .LBB215_86
; %bb.85:
	v_mov_b32_e32 v11, 0
	v_lshl_add_u64 v[24:25], v[6:7], 0, v[10:11]
	global_load_ushort v0, v[24:25], off offset:64
	v_lshl_add_u64 v[24:25], v[4:5], 0, v[10:11]
	s_waitcnt vmcnt(0)
	v_lshlrev_b32_e32 v0, 16, v0
	v_sub_f32_e32 v0, v0, v1
	global_store_short_d16_hi v[24:25], v0, off offset:64
	v_mul_f32_e32 v0, v16, v0
	v_lshrrev_b32_e32 v11, 16, v0
.LBB215_86:
	s_or_b64 exec, exec, s[6:7]
	v_mov_b32_e32 v15, 0
	v_mov_b32_e32 v13, 0
	s_and_saveexec_b64 s[6:7], s[2:3]
	s_cbranch_execz .LBB215_88
; %bb.87:
	v_mov_b32_e32 v13, 0
	v_lshl_add_u64 v[0:1], v[6:7], 0, v[12:13]
	global_load_ushort v23, v[0:1], off offset:64
	v_lshl_add_u64 v[0:1], v[4:5], 0, v[12:13]
	s_waitcnt vmcnt(0)
	v_lshlrev_b32_e32 v13, 16, v23
	v_sub_f32_e32 v2, v13, v2
	global_store_short_d16_hi v[0:1], v2, off offset:64
	v_mul_f32_e32 v0, v20, v2
	v_lshrrev_b32_e32 v13, 16, v0
.LBB215_88:
	s_or_b64 exec, exec, s[6:7]
	s_and_saveexec_b64 s[6:7], s[4:5]
	s_cbranch_execz .LBB215_90
; %bb.89:
	v_mov_b32_e32 v15, 0
	v_lshl_add_u64 v[0:1], v[6:7], 0, v[14:15]
	global_load_ushort v2, v[0:1], off offset:64
	v_lshl_add_u64 v[0:1], v[4:5], 0, v[14:15]
	s_waitcnt vmcnt(0)
	v_lshlrev_b32_e32 v2, 16, v2
	v_sub_f32_e32 v2, v2, v3
	global_store_short_d16_hi v[0:1], v2, off offset:64
	v_mul_f32_e32 v0, v17, v2
	v_lshrrev_b32_e32 v15, 16, v0
.LBB215_90:
	s_or_b64 exec, exec, s[6:7]
	s_mov_b32 s6, 0x5040100
	v_perm_b32 v24, v11, v9, s6
	v_or_b32_e32 v9, v21, v22
	v_accvgpr_read_b32 v0, a0
	v_perm_b32 v25, v15, v13, s6
	v_lshlrev_b32_e32 v9, 1, v9
	v_accvgpr_read_b32 v1, a1
	v_accvgpr_read_b32 v2, a2
	;; [unrolled: 1-line block ×3, first 2 shown]
	ds_write_b64 v9, v[24:25] offset:24576
	v_mov_b32_e32 v11, 0
	v_mov_b32_e32 v9, 0
	s_and_saveexec_b64 s[6:7], vcc
	s_cbranch_execz .LBB215_92
; %bb.91:
	v_mov_b32_e32 v9, 0
	v_lshl_add_u64 v[22:23], v[6:7], 0, v[8:9]
	global_load_ushort v13, v[22:23], off offset:96
	v_lshl_add_u64 v[8:9], v[4:5], 0, v[8:9]
	s_waitcnt vmcnt(0)
	v_lshlrev_b32_e32 v13, 16, v13
	v_sub_f32_e32 v0, v13, v0
	global_store_short_d16_hi v[8:9], v0, off offset:96
	v_mul_f32_e32 v0, v18, v0
	v_lshrrev_b32_e32 v9, 16, v0
.LBB215_92:
	s_or_b64 exec, exec, s[6:7]
	s_and_saveexec_b64 s[6:7], s[0:1]
	s_cbranch_execz .LBB215_94
; %bb.93:
	v_mov_b32_e32 v11, 0
	v_lshl_add_u64 v[22:23], v[6:7], 0, v[10:11]
	global_load_ushort v0, v[22:23], off offset:96
	v_lshl_add_u64 v[10:11], v[4:5], 0, v[10:11]
	s_waitcnt vmcnt(0)
	v_lshlrev_b32_e32 v0, 16, v0
	v_sub_f32_e32 v0, v0, v1
	global_store_short_d16_hi v[10:11], v0, off offset:96
	v_mul_f32_e32 v0, v16, v0
	v_lshrrev_b32_e32 v11, 16, v0
.LBB215_94:
	s_or_b64 exec, exec, s[6:7]
	v_mov_b32_e32 v0, 0
	v_mov_b32_e32 v1, 0
	s_and_saveexec_b64 s[0:1], s[2:3]
	s_cbranch_execz .LBB215_96
; %bb.95:
	v_mov_b32_e32 v13, 0
	v_lshl_add_u64 v[22:23], v[6:7], 0, v[12:13]
	global_load_ushort v1, v[22:23], off offset:96
	v_lshl_add_u64 v[12:13], v[4:5], 0, v[12:13]
	s_waitcnt vmcnt(0)
	v_lshlrev_b32_e32 v1, 16, v1
	v_sub_f32_e32 v1, v1, v2
	global_store_short_d16_hi v[12:13], v1, off offset:96
	v_mul_f32_e32 v1, v20, v1
	v_lshrrev_b32_e32 v1, 16, v1
.LBB215_96:
	s_or_b64 exec, exec, s[0:1]
	s_and_saveexec_b64 s[0:1], s[4:5]
	s_cbranch_execz .LBB215_98
; %bb.97:
	v_mov_b32_e32 v15, 0
	v_lshl_add_u64 v[6:7], v[6:7], 0, v[14:15]
	global_load_ushort v0, v[6:7], off offset:96
	v_lshl_add_u64 v[4:5], v[4:5], 0, v[14:15]
	s_waitcnt vmcnt(0)
	v_lshlrev_b32_e32 v0, 16, v0
	v_sub_f32_e32 v0, v0, v3
	global_store_short_d16_hi v[4:5], v0, off offset:96
	v_mul_f32_e32 v0, v17, v0
	v_lshrrev_b32_e32 v0, 16, v0
.LBB215_98:
	s_or_b64 exec, exec, s[0:1]
	s_mov_b32 s0, 0x5040100
	v_or_b32_e32 v2, v21, v19
	v_perm_b32 v1, v0, v1, s0
	v_perm_b32 v0, v11, v9, s0
	v_lshlrev_b32_e32 v2, 1, v2
	ds_write_b64 v2, v[0:1] offset:24576
	s_waitcnt lgkmcnt(0)
	s_barrier
.LBB215_99:
	s_endpgm
	.section	.rodata,"a",@progbits
	.p2align	6, 0x0
	.amdhsa_kernel _ZN12_GLOBAL__N_139chunk_gated_delta_rule_fwd_h_hip_kernelILi64ELb0ELb0ELb1ELb1ELb0ELb1ELb0ELb0EEEvPK12hip_bfloat16S3_S3_PKfS5_PKvPS1_S8_PvPKiSB_iiiiilll
		.amdhsa_group_segment_fixed_size 65536
		.amdhsa_private_segment_fixed_size 0
		.amdhsa_kernarg_size 136
		.amdhsa_user_sgpr_count 2
		.amdhsa_user_sgpr_dispatch_ptr 0
		.amdhsa_user_sgpr_queue_ptr 0
		.amdhsa_user_sgpr_kernarg_segment_ptr 1
		.amdhsa_user_sgpr_dispatch_id 0
		.amdhsa_user_sgpr_kernarg_preload_length 0
		.amdhsa_user_sgpr_kernarg_preload_offset 0
		.amdhsa_user_sgpr_private_segment_size 0
		.amdhsa_uses_dynamic_stack 0
		.amdhsa_enable_private_segment 0
		.amdhsa_system_sgpr_workgroup_id_x 1
		.amdhsa_system_sgpr_workgroup_id_y 1
		.amdhsa_system_sgpr_workgroup_id_z 0
		.amdhsa_system_sgpr_workgroup_info 0
		.amdhsa_system_vgpr_workitem_id 0
		.amdhsa_next_free_vgpr 232
		.amdhsa_next_free_sgpr 64
		.amdhsa_accum_offset 192
		.amdhsa_reserve_vcc 1
		.amdhsa_float_round_mode_32 0
		.amdhsa_float_round_mode_16_64 0
		.amdhsa_float_denorm_mode_32 3
		.amdhsa_float_denorm_mode_16_64 3
		.amdhsa_dx10_clamp 1
		.amdhsa_ieee_mode 1
		.amdhsa_fp16_overflow 0
		.amdhsa_tg_split 0
		.amdhsa_exception_fp_ieee_invalid_op 0
		.amdhsa_exception_fp_denorm_src 0
		.amdhsa_exception_fp_ieee_div_zero 0
		.amdhsa_exception_fp_ieee_overflow 0
		.amdhsa_exception_fp_ieee_underflow 0
		.amdhsa_exception_fp_ieee_inexact 0
		.amdhsa_exception_int_div_zero 0
	.end_amdhsa_kernel
	.section	.text._ZN12_GLOBAL__N_139chunk_gated_delta_rule_fwd_h_hip_kernelILi64ELb0ELb0ELb1ELb1ELb0ELb1ELb0ELb0EEEvPK12hip_bfloat16S3_S3_PKfS5_PKvPS1_S8_PvPKiSB_iiiiilll,"axG",@progbits,_ZN12_GLOBAL__N_139chunk_gated_delta_rule_fwd_h_hip_kernelILi64ELb0ELb0ELb1ELb1ELb0ELb1ELb0ELb0EEEvPK12hip_bfloat16S3_S3_PKfS5_PKvPS1_S8_PvPKiSB_iiiiilll,comdat
.Lfunc_end215:
	.size	_ZN12_GLOBAL__N_139chunk_gated_delta_rule_fwd_h_hip_kernelILi64ELb0ELb0ELb1ELb1ELb0ELb1ELb0ELb0EEEvPK12hip_bfloat16S3_S3_PKfS5_PKvPS1_S8_PvPKiSB_iiiiilll, .Lfunc_end215-_ZN12_GLOBAL__N_139chunk_gated_delta_rule_fwd_h_hip_kernelILi64ELb0ELb0ELb1ELb1ELb0ELb1ELb0ELb0EEEvPK12hip_bfloat16S3_S3_PKfS5_PKvPS1_S8_PvPKiSB_iiiiilll
                                        ; -- End function
	.section	.AMDGPU.csdata,"",@progbits
; Kernel info:
; codeLenInByte = 11460
; NumSgprs: 70
; NumVgprs: 192
; NumAgprs: 40
; TotalNumVgprs: 232
; ScratchSize: 0
; MemoryBound: 0
; FloatMode: 240
; IeeeMode: 1
; LDSByteSize: 65536 bytes/workgroup (compile time only)
; SGPRBlocks: 8
; VGPRBlocks: 28
; NumSGPRsForWavesPerEU: 70
; NumVGPRsForWavesPerEU: 232
; AccumOffset: 192
; Occupancy: 1
; WaveLimiterHint : 1
; COMPUTE_PGM_RSRC2:SCRATCH_EN: 0
; COMPUTE_PGM_RSRC2:USER_SGPR: 2
; COMPUTE_PGM_RSRC2:TRAP_HANDLER: 0
; COMPUTE_PGM_RSRC2:TGID_X_EN: 1
; COMPUTE_PGM_RSRC2:TGID_Y_EN: 1
; COMPUTE_PGM_RSRC2:TGID_Z_EN: 0
; COMPUTE_PGM_RSRC2:TIDIG_COMP_CNT: 0
; COMPUTE_PGM_RSRC3_GFX90A:ACCUM_OFFSET: 47
; COMPUTE_PGM_RSRC3_GFX90A:TG_SPLIT: 0
	.section	.text._ZN12_GLOBAL__N_139chunk_gated_delta_rule_fwd_h_hip_kernelILi64ELb0ELb0ELb0ELb1ELb0ELb1ELb0ELb0EEEvPK12hip_bfloat16S3_S3_PKfS5_PKvPS1_S8_PvPKiSB_iiiiilll,"axG",@progbits,_ZN12_GLOBAL__N_139chunk_gated_delta_rule_fwd_h_hip_kernelILi64ELb0ELb0ELb0ELb1ELb0ELb1ELb0ELb0EEEvPK12hip_bfloat16S3_S3_PKfS5_PKvPS1_S8_PvPKiSB_iiiiilll,comdat
	.globl	_ZN12_GLOBAL__N_139chunk_gated_delta_rule_fwd_h_hip_kernelILi64ELb0ELb0ELb0ELb1ELb0ELb1ELb0ELb0EEEvPK12hip_bfloat16S3_S3_PKfS5_PKvPS1_S8_PvPKiSB_iiiiilll ; -- Begin function _ZN12_GLOBAL__N_139chunk_gated_delta_rule_fwd_h_hip_kernelILi64ELb0ELb0ELb0ELb1ELb0ELb1ELb0ELb0EEEvPK12hip_bfloat16S3_S3_PKfS5_PKvPS1_S8_PvPKiSB_iiiiilll
	.p2align	8
	.type	_ZN12_GLOBAL__N_139chunk_gated_delta_rule_fwd_h_hip_kernelILi64ELb0ELb0ELb0ELb1ELb0ELb1ELb0ELb0EEEvPK12hip_bfloat16S3_S3_PKfS5_PKvPS1_S8_PvPKiSB_iiiiilll,@function
_ZN12_GLOBAL__N_139chunk_gated_delta_rule_fwd_h_hip_kernelILi64ELb0ELb0ELb0ELb1ELb0ELb1ELb0ELb0EEEvPK12hip_bfloat16S3_S3_PKfS5_PKvPS1_S8_PvPKiSB_iiiiilll: ; @_ZN12_GLOBAL__N_139chunk_gated_delta_rule_fwd_h_hip_kernelILi64ELb0ELb0ELb0ELb1ELb0ELb1ELb0ELb0EEEvPK12hip_bfloat16S3_S3_PKfS5_PKvPS1_S8_PvPKiSB_iiiiilll
; %bb.0:
	s_load_dwordx4 s[12:15], s[0:1], 0x5c
	s_load_dwordx4 s[16:19], s[0:1], 0x70
	s_abs_i32 s21, s3
	s_ashr_i32 s20, s3, 31
	s_load_dwordx2 s[36:37], s[0:1], 0x30
	s_load_dwordx4 s[24:27], s[0:1], 0x48
	s_waitcnt lgkmcnt(0)
	s_abs_i32 s28, s13
	v_cvt_f32_u32_e32 v1, s28
	s_sub_i32 s22, 0, s28
	s_ashr_i32 s29, s13, 31
	s_xor_b32 s20, s20, s29
	v_rcp_iflag_f32_e32 v1, v1
	s_load_dwordx8 s[4:11], s[0:1], 0x0
	v_lshrrev_b32_e32 v85, 6, v0
	v_bfe_u32 v86, v0, 4, 2
	v_mul_f32_e32 v1, 0x4f7ffffe, v1
	v_cvt_u32_f32_e32 v1, v1
	v_lshlrev_b32_e32 v2, 2, v86
	v_and_b32_e32 v84, 63, v0
	v_mov_b32_e32 v47, 0
	v_readfirstlane_b32 s23, v1
	s_mul_i32 s22, s22, s23
	s_mul_hi_u32 s22, s23, s22
	s_add_i32 s23, s23, s22
	s_mul_hi_u32 s22, s21, s23
	s_mul_i32 s23, s22, s28
	s_sub_i32 s21, s21, s23
	s_add_i32 s30, s22, 1
	s_sub_i32 s23, s21, s28
	s_cmp_ge_u32 s21, s28
	s_cselect_b32 s22, s30, s22
	s_cselect_b32 s21, s23, s21
	s_add_i32 s23, s22, 1
	s_cmp_ge_u32 s21, s28
	s_cselect_b32 s21, s23, s22
	s_xor_b32 s21, s21, s20
	s_sub_i32 s20, s21, s20
	s_mul_i32 s21, s20, s13
	s_sub_i32 s33, s3, s21
	s_ashr_i32 s21, s20, 31
	s_lshl_b64 s[22:23], s[20:21], 2
	s_add_u32 s24, s24, s22
	s_addc_u32 s25, s25, s23
	s_add_u32 s22, s26, s22
	s_addc_u32 s23, s27, s23
	s_abs_i32 s3, s14
	v_cvt_f32_u32_e32 v1, s3
	s_load_dwordx2 s[34:35], s[24:25], 0x0
	s_sub_i32 s25, 0, s3
	s_load_dword s46, s[22:23], 0x0
	v_rcp_iflag_f32_e32 v1, v1
	v_and_b32_e32 v45, 15, v0
	s_waitcnt lgkmcnt(0)
	s_sub_i32 s47, s35, s34
	s_ashr_i32 s24, s47, 31
	v_mul_f32_e32 v1, 0x4f7ffffe, v1
	v_cvt_u32_f32_e32 v1, v1
	s_lshr_b32 s24, s24, 26
	s_add_i32 s24, s47, s24
	s_ashr_i32 s45, s24, 6
	v_readfirstlane_b32 s26, v1
	s_mul_i32 s25, s25, s26
	s_mul_hi_u32 s25, s26, s25
	s_add_i32 s26, s26, s25
	s_mul_hi_u32 s25, s28, s26
	s_mul_i32 s26, s25, s3
	s_ashr_i32 s24, s14, 31
	s_sub_i32 s26, s28, s26
	s_xor_b32 s24, s29, s24
	s_add_i32 s27, s25, 1
	s_sub_i32 s28, s26, s3
	s_cmp_ge_u32 s26, s3
	s_cselect_b32 s25, s27, s25
	s_cselect_b32 s26, s28, s26
	s_add_i32 s27, s25, 1
	s_cmp_ge_u32 s26, s3
	s_cselect_b32 s3, s27, s25
	s_xor_b32 s3, s3, s24
	s_sub_i32 s3, s3, s24
	s_abs_i32 s24, s3
	v_cvt_f32_u32_e32 v1, s24
	s_sub_i32 s23, 0, s24
	s_abs_i32 s22, s33
	s_xor_b32 s3, s33, s3
	v_rcp_iflag_f32_e32 v1, v1
	s_ashr_i32 s3, s3, 31
	s_load_dwordx2 s[28:29], s[0:1], 0x80
	s_mul_hi_i32 s48, s33, s12
	v_mul_f32_e32 v1, 0x4f7ffffe, v1
	v_cvt_u32_f32_e32 v1, v1
	s_mul_i32 s49, s33, s12
	v_lshrrev_b32_e32 v88, 3, v84
	v_lshlrev_b32_e32 v87, 3, v0
	v_readfirstlane_b32 s25, v1
	s_mul_i32 s23, s23, s25
	s_mul_hi_u32 s23, s25, s23
	s_add_i32 s25, s25, s23
	s_mul_hi_u32 s23, s22, s25
	s_mul_i32 s25, s23, s24
	s_sub_i32 s22, s22, s25
	s_add_i32 s25, s23, 1
	s_sub_i32 s26, s22, s24
	s_cmp_ge_u32 s22, s24
	s_cselect_b32 s23, s25, s23
	s_cselect_b32 s22, s26, s22
	s_add_i32 s25, s23, 1
	s_cmp_ge_u32 s22, s24
	s_cselect_b32 s22, s25, s23
	s_xor_b32 s22, s22, s3
	v_lshlrev_b32_e32 v1, 4, v85
	s_sub_i32 s50, s22, s3
	v_or_b32_e32 v89, v2, v1
	s_lshl_b32 s30, s2, 6
	v_or_b32_e32 v90, 64, v89
	s_cmp_lt_i32 s47, 64
	s_mul_i32 s42, s20, s17
	s_mul_hi_u32 s43, s20, s16
	s_mul_i32 s44, s21, s16
	s_mul_i32 s16, s20, s16
	v_mov_b32_e32 v46, v47
	v_mov_b32_e32 v53, v47
	;; [unrolled: 1-line block ×31, first 2 shown]
	s_cbranch_scc1 .LBB216_18
; %bb.1:
	s_ashr_i32 s53, s33, 31
	s_ashr_i32 s3, s34, 31
	s_add_u32 s2, s49, s34
	s_addc_u32 s3, s48, s3
	s_lshl_b64 s[2:3], s[2:3], 8
	v_and_b32_e32 v92, 56, v87
	s_add_u32 s20, s6, s2
	v_lshl_or_b32 v91, v85, 3, v88
	v_lshlrev_b32_e32 v3, 1, v92
	s_addc_u32 s2, s7, s3
	v_lshl_or_b32 v93, v91, 8, v3
	s_and_b32 s21, s2, 0xffff
	s_mov_b32 s23, 0x20000
	s_movk_i32 s22, 0x4000
	s_movk_i32 s2, 0x80
	v_or_b32_e32 v94, 0x2000, v93
	buffer_load_dwordx4 v[4:7], v93, s[20:23], 0 offen
	buffer_load_dwordx4 v[8:11], v93, s[20:23], s2 offen
	;; [unrolled: 1-line block ×4, first 2 shown]
	v_lshlrev_b32_e32 v20, 3, v91
	v_and_or_b32 v22, v0, 7, v20
	v_and_b32_e32 v20, 0x78, v20
	v_lshlrev_b32_e32 v22, 4, v22
	v_xor_b32_e32 v95, v22, v20
	v_mul_lo_u32 v21, v91, s15
	v_or_b32_e32 v96, 0x1000, v95
	s_cmpk_eq_i32 s15, 0x80
	s_mov_b32 s51, s13
	s_mov_b32 s52, s34
	v_xor_b32_e32 v20, 8, v95
	v_xor_b32_e32 v22, 8, v96
	s_cselect_b64 s[2:3], -1, 0
	s_cmpk_lg_i32 s15, 0x80
	s_waitcnt vmcnt(3)
	ds_write_b64 v95, v[4:5] offset:49152
	ds_write_b64 v20, v[6:7] offset:49152
	s_waitcnt vmcnt(2)
	ds_write_b64 v95, v[8:9] offset:57344
	ds_write_b64 v20, v[10:11] offset:57344
	;; [unrolled: 3-line block ×4, first 2 shown]
	v_lshl_add_u32 v4, v21, 1, v92
	s_cbranch_scc0 .LBB216_3
; %bb.2:
	v_lshlrev_b32_e32 v6, 1, v4
	v_add_lshl_u32 v5, v4, s15, 1
	s_lshl_b32 s22, s15, 7
	s_load_dwordx2 s[38:39], s[0:1], 0x20
	v_lshl_or_b32 v3, v91, 9, v3
	s_cbranch_execz .LBB216_4
	s_branch .LBB216_5
.LBB216_3:
                                        ; implicit-def: $vgpr5
                                        ; implicit-def: $vgpr6
                                        ; implicit-def: $sgpr22
	s_load_dwordx2 s[38:39], s[0:1], 0x20
	v_lshl_or_b32 v3, v91, 9, v3
.LBB216_4:
	v_or_b32_e32 v5, 0x100, v3
	s_movk_i32 s22, 0x4000
	v_mov_b32_e32 v6, v3
.LBB216_5:
	s_mul_i32 s0, s34, s14
	s_ashr_i32 s54, s50, 31
	s_mul_hi_i32 s1, s34, s14
	s_add_u32 s0, s0, s50
	s_addc_u32 s1, s1, s54
	s_lshl_b64 s[0:1], s[0:1], 8
	s_add_u32 s20, s4, s0
	s_addc_u32 s0, s5, s1
	s_and_b32 s21, s0, 0xffff
	s_movk_i32 s55, 0x80
	buffer_load_dwordx4 v[8:11], v6, s[20:23], 0 offen
	buffer_load_dwordx4 v[12:15], v6, s[20:23], s55 offen
	;; [unrolled: 1-line block ×4, first 2 shown]
	v_and_b32_e32 v5, 6, v0
	v_lshlrev_b32_e32 v6, 7, v89
	v_xor_b32_e32 v28, v91, v5
	v_and_b32_e32 v7, 1, v0
	v_lshl_or_b32 v31, v45, 3, v6
	v_lshlrev_b32_e32 v28, 2, v28
	v_lshlrev_b32_e32 v24, 2, v45
	v_or_b32_e32 v97, 0x4000, v31
	v_or_b32_e32 v98, 0x6000, v31
	v_xor_b32_e32 v31, 0x440, v28
	v_cmp_eq_u32_e32 vcc, 0, v7
	v_or_b32_e32 v26, 16, v45
	v_or_b32_e32 v27, 32, v45
	v_xor_b32_e32 v29, v89, v24
	v_xor_b32_e32 v30, v90, v24
	v_cndmask_b32_e32 v7, v31, v28, vcc
	s_add_i32 s0, s43, s42
	s_mov_b32 s56, 0x1000504
	v_lshl_or_b32 v32, v26, 3, v6
	v_lshlrev_b32_e32 v26, 8, v26
	v_lshl_or_b32 v33, v27, 3, v6
	v_lshlrev_b32_e32 v29, 1, v29
	v_lshlrev_b32_e32 v30, 1, v30
	v_lshl_or_b32 v5, v5, 10, v7
	s_add_i32 s17, s0, s44
	s_mul_i32 s0, s33, s19
	s_mul_hi_u32 s1, s33, s18
	s_mov_b32 s57, 0x3020706
	v_lshlrev_b32_e32 v25, 8, v45
	v_or_b32_e32 v101, 0x4000, v33
	v_or_b32_e32 v102, 0x6000, v33
	;; [unrolled: 1-line block ×4, first 2 shown]
	v_xor_b32_e32 v7, 8, v5
	v_xor_b32_e32 v26, 24, v5
	;; [unrolled: 1-line block ×4, first 2 shown]
	s_add_i32 s0, s1, s0
	s_mul_i32 s1, s53, s18
	v_or_b32_e32 v99, 0x4000, v32
	v_or_b32_e32 v100, 0x6000, v32
	;; [unrolled: 1-line block ×4, first 2 shown]
	v_xor_b32_e32 v25, 16, v5
	v_xor_b32_e32 v28, 32, v5
	;; [unrolled: 1-line block ×3, first 2 shown]
	v_add_u32_e32 v7, 0x80, v7
	v_add_u32_e32 v26, 0x80, v26
	;; [unrolled: 1-line block ×4, first 2 shown]
	s_add_i32 s1, s0, s1
	s_lshl_b64 s[20:21], s[16:17], 2
	s_mul_i32 s0, s33, s18
	s_add_u32 s17, s10, s20
	s_addc_u32 s20, s11, s21
	s_lshl_b64 s[0:1], s[0:1], 2
	s_add_u32 s40, s17, s0
	s_movk_i32 s0, 0xf8
	s_addc_u32 s41, s20, s1
	s_ashr_i32 s31, s30, 31
	s_lshl_b32 s26, s15, 7
	v_mov_b32_e32 v79, 0
	s_movk_i32 s17, 0x100
	v_lshlrev_b32_e32 v78, 4, v45
	v_lshlrev_b32_e32 v27, 8, v27
	s_mov_b32 s59, 0
	s_movk_i32 s22, 0x4000
	v_or_b32_e32 v107, v27, v29
	v_or_b32_e32 v108, v27, v30
	v_add_u32_e32 v134, v1, v2
	s_movk_i32 s58, 0x3000
	v_mov_b32_e32 v144, 0x3fb8aa3b
	v_mov_b32_e32 v70, v79
	;; [unrolled: 1-line block ×7, first 2 shown]
	s_waitcnt vmcnt(1)
	v_perm_b32 v34, v8, v16, s56
	s_waitcnt vmcnt(0)
	v_perm_b32 v35, v12, v20, s56
	v_perm_b32 v8, v8, v16, s57
	;; [unrolled: 1-line block ×15, first 2 shown]
	ds_write2st64_b32 v5, v34, v35 offset0:128 offset1:160
	ds_write2st64_b32 v7, v8, v12 offset0:128 offset1:160
	;; [unrolled: 1-line block ×8, first 2 shown]
	v_or_b32_e32 v5, 48, v45
	v_lshl_or_b32 v7, v5, 3, v6
	v_lshlrev_b32_e32 v5, 8, v5
	v_or_b32_e32 v111, v5, v29
	v_or_b32_e32 v112, v5, v30
	;; [unrolled: 1-line block ×3, first 2 shown]
	v_lshlrev_b32_e32 v5, 3, v5
	v_lshrrev_b32_e32 v9, 5, v84
	v_and_or_b32 v9, v5, s0, v9
	v_lshlrev_b32_e32 v9, 4, v9
	v_lshlrev_b32_e32 v11, 11, v85
	v_and_b32_e32 v5, 0x78, v5
	v_or_b32_e32 v14, 32, v9
	v_and_b32_e32 v8, 0x1000, v11
	v_xor_b32_e32 v10, v9, v5
	v_lshrrev_b32_e32 v12, 1, v84
	v_xor_b32_e32 v14, v14, v5
	v_or_b32_e32 v10, v10, v8
	v_and_b32_e32 v12, 8, v12
	v_or_b32_e32 v14, v14, v8
	v_xor_b32_e32 v113, v10, v12
	v_lshlrev_b32_e32 v10, 8, v86
	v_xor_b32_e32 v115, v14, v12
	v_or_b32_e32 v14, 64, v9
	v_or_b32_e32 v9, 0x60, v9
	;; [unrolled: 1-line block ×3, first 2 shown]
	v_xor_b32_e32 v14, v14, v5
	v_xor_b32_e32 v5, v9, v5
	v_lshlrev_b32_e32 v13, 1, v13
	v_or_b32_e32 v14, v14, v8
	v_or_b32_e32 v5, v5, v8
	s_lshl_b64 s[0:1], s[30:31], 8
	v_or_b32_e32 v114, 0x4000, v13
	v_or_b32_e32 v116, 0x4080, v13
	;; [unrolled: 1-line block ×4, first 2 shown]
	v_xor_b32_e32 v119, v14, v12
	v_xor_b32_e32 v120, v5, v12
	v_or_b32_e32 v121, 0x6000, v13
	v_or_b32_e32 v122, 0x6080, v13
	;; [unrolled: 1-line block ×4, first 2 shown]
	v_lshlrev_b32_e32 v12, 1, v4
	v_add_lshl_u32 v13, v4, s15, 1
	s_add_u32 s0, s36, s0
	v_lshlrev_b32_e32 v4, 1, v45
	v_lshrrev_b32_e32 v15, 4, v0
	s_addc_u32 s1, s37, s1
	v_or_b32_e32 v5, 1, v4
	v_lshlrev_b32_e32 v18, 2, v0
	v_or_b32_e32 v14, 0x100, v3
	v_xor_b32_e32 v16, v15, v4
	v_xor_b32_e32 v17, v5, v15
	v_lshl_add_u64 v[4:5], s[0:1], 0, v[78:79]
	v_lshlrev_b32_e32 v78, 8, v15
	v_lshrrev_b32_e32 v19, 1, v0
	v_and_or_b32 v10, v18, 60, v10
	v_cndmask_b32_e64 v131, v12, v3, s[2:3]
	v_mov_b32_e32 v3, 0xa000
	v_mov_b32_e32 v12, 0x8000
	v_cmp_gt_u32_e64 s[0:1], s17, v0
	v_lshl_or_b32 v125, v16, 3, v78
	v_and_b32_e32 v16, 8, v0
	v_and_b32_e32 v19, 24, v19
	v_lshlrev_b32_e32 v10, 1, v10
	v_cndmask_b32_e64 v3, v3, v12, s[0:1]
	v_lshlrev_b32_e32 v12, 3, v85
	v_or_b32_e32 v127, 0x6000, v10
	v_or_b32_e32 v128, 0x6080, v10
	;; [unrolled: 1-line block ×4, first 2 shown]
	v_mov_b32_e32 v10, 0x400
	v_cmp_eq_u32_e32 vcc, 0, v16
	v_cndmask_b32_e64 v132, v13, v14, s[2:3]
	v_xor_b32_e32 v13, v12, v19
	v_and_b32_e32 v15, 7, v0
	v_cndmask_b32_e64 v16, v10, 64, vcc
	v_or_b32_e32 v14, 0x440, v13
	v_lshl_or_b32 v126, v17, 3, v78
	v_lshlrev_b32_e32 v17, 3, v15
	v_or_b32_e32 v18, 32, v19
	v_or_b32_e32 v20, 0x60, v19
	v_cndmask_b32_e32 v14, v14, v13, vcc
	v_or3_b32 v13, v11, v16, v13
	v_lshlrev_b32_e32 v15, 7, v15
	v_xor_b32_e32 v18, v12, v18
	v_xor_b32_e32 v13, v13, v17
	;; [unrolled: 1-line block ×3, first 2 shown]
	v_or_b32_e32 v21, 0x440, v18
	v_or_b32_e32 v133, v13, v15
	v_xor_b32_e32 v13, 0x440, v12
	v_cndmask_b32_e32 v18, v21, v18, vcc
	v_cndmask_b32_e32 v12, v13, v12, vcc
	v_or_b32_e32 v109, 0x4000, v7
	v_or_b32_e32 v110, 0x6000, v7
	v_lshrrev_b32_e32 v7, 2, v84
	v_or_b32_e32 v14, v14, v11
	v_or_b32_e32 v18, v18, v11
	;; [unrolled: 1-line block ×3, first 2 shown]
	v_and_b32_e32 v7, 12, v7
	v_or_b32_e32 v8, s30, v45
	v_xor_b32_e32 v14, v14, v17
	v_xor_b32_e32 v18, v18, v17
	;; [unrolled: 1-line block ×3, first 2 shown]
	v_ashrrev_i32_e32 v9, 31, v8
	v_or_b32_e32 v10, v1, v7
	v_add_u32_e32 v19, v3, v14
	v_add_u32_e32 v21, v3, v18
	;; [unrolled: 1-line block ×3, first 2 shown]
	v_or3_b32 v12, v1, v7, 64
	v_add_u32_e32 v7, 0xa000, v14
	v_add_u32_e32 v14, 0xa000, v18
	;; [unrolled: 1-line block ×3, first 2 shown]
	v_lshl_add_u64 v[80:81], v[8:9], 1, s[8:9]
	v_lshl_add_u64 v[82:83], v[4:5], 0, v[78:79]
	s_mov_b32 s17, 0x7060302
	v_lshlrev_b32_e32 v78, 1, v6
	s_movk_i32 s31, 0x2000
	v_lshlrev_b32_e32 v135, 2, v10
	v_add_u32_e32 v136, v19, v15
	v_add_u32_e32 v137, v21, v15
	;; [unrolled: 1-line block ×4, first 2 shown]
	v_lshlrev_b32_e32 v140, 2, v12
	v_add_u32_e32 v141, v7, v15
	v_add_u32_e32 v142, v14, v15
	;; [unrolled: 1-line block ×3, first 2 shown]
	v_mov_b32_e32 v76, v79
	v_mov_b32_e32 v77, v79
	;; [unrolled: 1-line block ×26, first 2 shown]
	s_waitcnt lgkmcnt(0)
	s_barrier
.LBB216_6:                              ; =>This Inner Loop Header: Depth=1
	s_add_i32 s60, s59, 1
	s_cmp_lt_i32 s60, s45
	s_mov_b64 s[24:25], 0
	s_cselect_b64 s[2:3], -1, 0
	s_cmp_ge_i32 s60, s45
	s_mov_b64 s[20:21], 0
	s_cbranch_scc1 .LBB216_8
; %bb.7:                                ;   in Loop: Header=BB216_6 Depth=1
	s_add_i32 s0, s52, 64
	s_ashr_i32 s1, s0, 31
	s_add_u32 s0, s49, s0
	s_addc_u32 s1, s48, s1
	s_lshl_b64 s[0:1], s[0:1], 8
	s_add_u32 s20, s6, s0
	s_addc_u32 s21, s7, s1
.LBB216_8:                              ;   in Loop: Header=BB216_6 Depth=1
	v_cndmask_b32_e64 v2, 0, 1, s[2:3]
	v_cmp_ne_u32_e64 s[0:1], 1, v2
	s_andn2_b64 vcc, exec, s[2:3]
	s_cbranch_vccnz .LBB216_10
; %bb.9:                                ;   in Loop: Header=BB216_6 Depth=1
	s_add_i32 s2, s52, 64
	s_mul_hi_i32 s3, s2, s14
	s_mul_i32 s2, s2, s14
	s_add_u32 s2, s2, s50
	s_addc_u32 s3, s3, s54
	s_lshl_b64 s[2:3], s[2:3], 8
	s_add_u32 s24, s4, s2
	s_addc_u32 s25, s5, s3
.LBB216_10:                             ;   in Loop: Header=BB216_6 Depth=1
	v_perm_b32 v3, v77, v76, s17
	v_perm_b32 v2, v75, v74, s17
	v_perm_b32 v5, v73, v72, s17
	v_perm_b32 v4, v71, v70, s17
	ds_write_b64 v97, v[2:3]
	ds_write_b64 v98, v[4:5]
	ds_write_b64 v103, v[2:3]
	ds_write_b64 v104, v[4:5]
	v_perm_b32 v3, v69, v68, s17
	v_perm_b32 v2, v67, v66, s17
	v_perm_b32 v5, v65, v64, s17
	v_perm_b32 v4, v63, v62, s17
	ds_write_b64 v99, v[2:3]
	ds_write_b64 v100, v[4:5]
	ds_write_b64 v105, v[2:3]
	ds_write_b64 v106, v[4:5]
	;; [unrolled: 8-line block ×4, first 2 shown]
	s_waitcnt lgkmcnt(0)
	s_barrier
	ds_read_b64 v[6:7], v113 offset:49152
	ds_read2_b64 v[2:5], v114 offset1:16
	ds_read_b64 v[18:19], v116 offset:6144
	ds_read_b64 v[20:21], v114 offset:6144
	s_waitcnt lgkmcnt(2)
	v_mfma_f32_16x16x16_bf16 a[0:3], v[6:7], v[2:3], 0
	ds_read_b64 v[22:23], v115 offset:49152
	ds_read2st64_b64 v[10:13], v117 offset0:4 offset1:8
	ds_read2st64_b64 v[14:17], v118 offset0:4 offset1:8
	v_mfma_f32_16x16x16_bf16 a[4:7], v[6:7], v[4:5], 0
	ds_read2_b64 v[2:5], v114 offset0:32 offset1:48
	s_add_i32 s61, s52, 63
	s_ashr_i32 s2, s61, 31
	s_waitcnt lgkmcnt(0)
	v_mfma_f32_16x16x16_bf16 a[8:11], v[6:7], v[2:3], 0
	s_mul_i32 s3, s61, s29
	s_mul_hi_u32 s27, s61, s28
	s_add_i32 s3, s27, s3
	v_mfma_f32_16x16x16_bf16 a[12:15], v[6:7], v[4:5], 0
	ds_read2st64_b64 v[2:5], v114 offset0:4 offset1:8
	ds_read2st64_b64 v[6:9], v116 offset0:4 offset1:8
	s_mul_i32 s2, s2, s28
	s_waitcnt lgkmcnt(1)
	v_mfma_f32_16x16x16_bf16 a[0:3], v[22:23], v[2:3], a[0:3]
	s_add_i32 s3, s3, s2
	s_mul_i32 s2, s61, s28
	s_lshl_b64 s[2:3], s[2:3], 2
	s_waitcnt lgkmcnt(0)
	v_mfma_f32_16x16x16_bf16 a[4:7], v[22:23], v[6:7], a[4:7]
	s_add_u32 s2, s40, s2
	s_addc_u32 s3, s41, s3
	s_and_b64 vcc, exec, s[0:1]
	v_mfma_f32_16x16x16_bf16 a[8:11], v[22:23], v[10:11], a[8:11]
	ds_read_b64 v[2:3], v119 offset:49152
	ds_read_b64 v[6:7], v120 offset:49152
	;; [unrolled: 1-line block ×3, first 2 shown]
	v_mov_b32_e32 v147, 0
	v_mov_b32_e32 v146, 0
	v_mfma_f32_16x16x16_bf16 a[12:15], v[22:23], v[14:15], a[12:15]
	v_mov_b32_e32 v145, 0
	v_mov_b32_e32 v14, 0
	;; [unrolled: 1-line block ×3, first 2 shown]
	s_waitcnt lgkmcnt(2)
	v_mfma_f32_16x16x16_bf16 a[0:3], v[2:3], v[4:5], a[0:3]
	v_mov_b32_e32 v4, 0
	v_mov_b32_e32 v5, 0
	v_mfma_f32_16x16x16_bf16 a[16:19], v[2:3], v[8:9], a[4:7]
	v_mov_b32_e32 v8, 0
	v_mov_b32_e32 v9, 0
	;; [unrolled: 3-line block ×3, first 2 shown]
	v_mfma_f32_16x16x16_bf16 a[24:27], v[2:3], v[16:17], a[12:15]
	ds_read_b64 v[2:3], v117 offset:6144
	v_mov_b32_e32 v16, 0
	v_mov_b32_e32 v17, 0
	s_waitcnt lgkmcnt(2)
	v_mfma_f32_16x16x16_bf16 a[4:7], v[6:7], v[20:21], a[0:3]
	v_mfma_f32_16x16x16_bf16 a[8:11], v[6:7], v[18:19], a[16:19]
	s_waitcnt lgkmcnt(0)
	v_mfma_f32_16x16x16_bf16 a[12:15], v[6:7], v[2:3], a[20:23]
	v_mov_b32_e32 v2, 0
	v_mov_b32_e32 v3, 0
	v_mfma_f32_16x16x16_bf16 a[0:3], v[6:7], v[10:11], a[24:27]
	v_mov_b32_e32 v6, 0
	v_mov_b32_e32 v7, 0
	;; [unrolled: 1-line block ×4, first 2 shown]
	s_cbranch_vccnz .LBB216_12
; %bb.11:                               ;   in Loop: Header=BB216_6 Depth=1
	s_and_b32 s21, s21, 0xffff
	buffer_load_dwordx4 v[14:17], v93, s[20:23], 0 offen
	buffer_load_dwordx4 v[10:13], v93, s[20:23], s55 offen
	;; [unrolled: 1-line block ×4, first 2 shown]
	v_mov_b32_e32 v146, v95
	v_mov_b32_e32 v145, v96
.LBB216_12:                             ;   in Loop: Header=BB216_6 Depth=1
	ds_read_b64 v[34:35], v113 offset:57344
	ds_read2_b64 v[18:21], v121 offset1:16
	ds_read_b64 v[36:37], v115 offset:57344
	ds_read_b64 v[38:39], v119 offset:57344
	;; [unrolled: 1-line block ×3, first 2 shown]
	v_add_u32_e32 v42, s52, v134
	s_waitcnt lgkmcnt(3)
	v_mfma_f32_16x16x16_bf16 a[4:7], v[34:35], v[18:19], a[4:7]
	v_mfma_f32_16x16x16_bf16 a[8:11], v[34:35], v[20:21], a[8:11]
	ds_read2_b64 v[18:21], v121 offset0:32 offset1:48
	ds_read2st64_b64 v[22:25], v121 offset0:4 offset1:8
	ds_read2st64_b64 v[26:29], v122 offset0:4 offset1:8
	;; [unrolled: 1-line block ×3, first 2 shown]
	s_waitcnt lgkmcnt(3)
	v_mfma_f32_16x16x16_bf16 a[12:15], v[34:35], v[18:19], a[12:15]
	v_ashrrev_i32_e32 v18, 31, v42
	v_mfma_f32_16x16x16_bf16 a[0:3], v[34:35], v[20:21], a[0:3]
	v_mul_lo_u32 v20, v18, s28
	v_mul_lo_u32 v21, v42, s29
	v_mad_u64_u32 v[18:19], s[20:21], v42, s28, 0
	v_add3_u32 v19, v19, v21, v20
	v_add_u32_e32 v20, 1, v42
	v_ashrrev_i32_e32 v21, 31, v20
	s_waitcnt lgkmcnt(2)
	v_mfma_f32_16x16x16_bf16 a[4:7], v[36:37], v[22:23], a[4:7]
	v_mul_lo_u32 v22, v21, s28
	v_mul_lo_u32 v23, v20, s29
	v_mad_u64_u32 v[20:21], s[20:21], v20, s28, 0
	v_add3_u32 v21, v21, v23, v22
	v_add_u32_e32 v22, 2, v42
	v_ashrrev_i32_e32 v23, 31, v22
	s_waitcnt lgkmcnt(1)
	v_mfma_f32_16x16x16_bf16 a[8:11], v[36:37], v[26:27], a[8:11]
	v_mul_lo_u32 v26, v23, s28
	v_mul_lo_u32 v27, v22, s29
	v_mad_u64_u32 v[22:23], s[20:21], v22, s28, 0
	v_add3_u32 v23, v23, v27, v26
	v_add_u32_e32 v26, 3, v42
	v_ashrrev_i32_e32 v27, 31, v26
	v_mul_lo_u32 v34, v27, s28
	v_mul_lo_u32 v35, v26, s29
	v_mad_u64_u32 v[26:27], s[20:21], v26, s28, 0
	s_ashr_i32 s21, s52, 31
	s_add_u32 s20, s49, s52
	v_lshl_add_u64 v[18:19], v[18:19], 2, s[40:41]
	v_add3_u32 v27, v27, v35, v34
	s_addc_u32 s21, s48, s21
	v_lshl_add_u64 v[20:21], v[20:21], 2, s[40:41]
	global_load_dword v42, v[18:19], off
	v_lshl_add_u64 v[18:19], v[26:27], 2, s[40:41]
	s_lshl_b64 s[20:21], s[20:21], 8
	v_lshl_add_u64 v[22:23], v[22:23], 2, s[40:41]
	global_load_dword v34, v[20:21], off
	global_load_dword v35, v[22:23], off
	global_load_dword v43, v[18:19], off
	v_lshl_add_u64 v[18:19], v[80:81], 0, s[20:21]
	v_lshl_add_u64 v[22:23], v[18:19], 0, v[78:79]
	global_load_ushort v44, v[22:23], off offset:256
	global_load_ushort v148, v[22:23], off
	ds_read2st64_b64 v[18:21], v124 offset0:4 offset1:8
	global_load_ushort v149, v[22:23], off offset:768
	global_load_ushort v150, v[22:23], off offset:512
	s_waitcnt lgkmcnt(1)
	v_mfma_f32_16x16x16_bf16 a[12:15], v[36:37], v[30:31], a[12:15]
	s_and_b64 vcc, exec, s[0:1]
	s_waitcnt vmcnt(3)
	v_lshlrev_b32_e32 v31, 16, v44
	s_waitcnt lgkmcnt(0)
	v_mfma_f32_16x16x16_bf16 a[0:3], v[36:37], v[18:19], a[0:3]
	global_load_ushort v36, v[22:23], off offset:288
	global_load_ushort v37, v[22:23], off offset:32
	;; [unrolled: 1-line block ×8, first 2 shown]
	v_mfma_f32_16x16x16_bf16 a[4:7], v[38:39], v[24:25], a[4:7]
	ds_read_b64 v[18:19], v121 offset:6144
	s_waitcnt vmcnt(10)
	v_lshlrev_b32_e32 v30, 16, v148
	v_mov_b32_e32 v148, 0
	v_mfma_f32_16x16x16_bf16 a[8:11], v[38:39], v[28:29], a[8:11]
	v_mfma_f32_16x16x16_bf16 a[12:15], v[38:39], v[32:33], a[12:15]
	;; [unrolled: 1-line block ×3, first 2 shown]
	global_load_ushort v38, v[22:23], off offset:352
	global_load_ushort v39, v[22:23], off offset:96
	ds_read_b64 v[20:21], v122 offset:6144
	ds_read_b64 v[24:25], v123 offset:6144
	;; [unrolled: 1-line block ×3, first 2 shown]
	global_load_ushort v157, v[22:23], off offset:864
	global_load_ushort v158, v[22:23], off offset:608
	s_load_dword s2, s[2:3], 0x0
	s_waitcnt lgkmcnt(0)
	v_mfma_f32_16x16x16_bf16 a[4:7], v[40:41], v[18:19], a[4:7]
	v_sub_f32_e32 v28, s2, v35
	v_mfma_f32_16x16x16_bf16 a[0:3], v[40:41], v[26:27], a[0:3]
	v_sub_f32_e32 v26, s2, v42
	v_sub_f32_e32 v27, s2, v34
	;; [unrolled: 1-line block ×3, first 2 shown]
	v_mul_f32_e32 v26, 0x3fb8aa3b, v26
	v_mul_f32_e32 v27, 0x3fb8aa3b, v27
	;; [unrolled: 1-line block ×4, first 2 shown]
	v_mfma_f32_16x16x16_bf16 a[8:11], v[40:41], v[20:21], a[8:11]
	v_exp_f32_e32 v26, v26
	v_exp_f32_e32 v27, v27
	;; [unrolled: 1-line block ×4, first 2 shown]
	v_accvgpr_read_b32 v33, a5
	v_accvgpr_read_b32 v32, a4
	;; [unrolled: 1-line block ×4, first 2 shown]
	v_pk_add_f32 v[30:31], v[30:31], v[32:33] neg_lo:[0,1] neg_hi:[0,1]
	s_waitcnt vmcnt(13)
	v_lshlrev_b32_e32 v33, 16, v149
	s_waitcnt vmcnt(12)
	v_lshlrev_b32_e32 v32, 16, v150
	v_pk_add_f32 v[18:19], v[32:33], v[18:19] neg_lo:[0,1] neg_hi:[0,1]
	v_pk_mul_f32 v[30:31], v[26:27], v[30:31]
	v_pk_mul_f32 v[18:19], v[28:29], v[18:19]
	v_accvgpr_read_b32 v33, a9
	v_perm_b32 v19, v19, v18, s17
	v_perm_b32 v18, v31, v30, s17
	v_accvgpr_read_b32 v32, a8
	v_accvgpr_read_b32 v21, a11
	v_mfma_f32_16x16x16_bf16 a[12:15], v[40:41], v[24:25], a[12:15]
	v_accvgpr_read_b32 v20, a10
	v_accvgpr_read_b32 v25, a3
	;; [unrolled: 1-line block ×3, first 2 shown]
	s_waitcnt vmcnt(11)
	v_lshlrev_b32_e32 v31, 16, v36
	s_waitcnt vmcnt(10)
	v_lshlrev_b32_e32 v30, 16, v37
	v_pk_add_f32 v[30:31], v[30:31], v[32:33] neg_lo:[0,1] neg_hi:[0,1]
	s_waitcnt vmcnt(9)
	v_lshlrev_b32_e32 v33, 16, v151
	s_waitcnt vmcnt(8)
	v_lshlrev_b32_e32 v32, 16, v152
	v_pk_add_f32 v[20:21], v[32:33], v[20:21] neg_lo:[0,1] neg_hi:[0,1]
	v_pk_mul_f32 v[30:31], v[26:27], v[30:31]
	v_pk_mul_f32 v[20:21], v[28:29], v[20:21]
	v_accvgpr_read_b32 v23, a15
	v_perm_b32 v21, v21, v20, s17
	v_perm_b32 v20, v31, v30, s17
	ds_write2_b64 v98, v[18:19], v[20:21] offset1:16
	v_accvgpr_read_b32 v21, a13
	s_waitcnt vmcnt(7)
	v_lshlrev_b32_e32 v19, 16, v153
	s_waitcnt vmcnt(6)
	v_lshlrev_b32_e32 v18, 16, v154
	v_accvgpr_read_b32 v20, a12
	v_accvgpr_read_b32 v22, a14
	v_pk_add_f32 v[18:19], v[18:19], v[20:21] neg_lo:[0,1] neg_hi:[0,1]
	s_waitcnt vmcnt(5)
	v_lshlrev_b32_e32 v21, 16, v155
	s_waitcnt vmcnt(4)
	v_lshlrev_b32_e32 v20, 16, v156
	v_pk_add_f32 v[20:21], v[20:21], v[22:23] neg_lo:[0,1] neg_hi:[0,1]
	v_pk_mul_f32 v[18:19], v[26:27], v[18:19]
	v_pk_mul_f32 v[20:21], v[28:29], v[20:21]
	v_accvgpr_read_b32 v23, a1
	v_perm_b32 v21, v21, v20, s17
	v_perm_b32 v20, v19, v18, s17
	s_waitcnt vmcnt(3)
	v_lshlrev_b32_e32 v19, 16, v38
	s_waitcnt vmcnt(2)
	v_lshlrev_b32_e32 v18, 16, v39
	v_accvgpr_read_b32 v22, a0
	v_pk_add_f32 v[18:19], v[18:19], v[22:23] neg_lo:[0,1] neg_hi:[0,1]
	s_waitcnt vmcnt(1)
	v_lshlrev_b32_e32 v23, 16, v157
	s_waitcnt vmcnt(0)
	v_lshlrev_b32_e32 v22, 16, v158
	v_pk_add_f32 v[22:23], v[22:23], v[24:25] neg_lo:[0,1] neg_hi:[0,1]
	v_pk_mul_f32 v[18:19], v[26:27], v[18:19]
	v_pk_mul_f32 v[22:23], v[28:29], v[22:23]
	v_mov_b32_e32 v24, 0
	v_perm_b32 v23, v23, v22, s17
	v_perm_b32 v22, v19, v18, s17
	ds_write2_b64 v98, v[20:21], v[22:23] offset0:32 offset1:48
	v_mov_b32_e32 v18, 0
	v_mov_b32_e32 v19, 0
	;; [unrolled: 1-line block ×15, first 2 shown]
	s_cbranch_vccnz .LBB216_14
; %bb.13:                               ;   in Loop: Header=BB216_6 Depth=1
	s_and_b32 s25, s25, 0xffff
	s_mov_b32 s27, s23
	buffer_load_dwordx4 v[30:33], v131, s[24:27], 0 offen
	buffer_load_dwordx4 v[22:25], v131, s[24:27], s55 offen
	;; [unrolled: 1-line block ×4, first 2 shown]
	v_mov_b32_e32 v147, v92
	v_mov_b32_e32 v148, v91
.LBB216_14:                             ;   in Loop: Header=BB216_6 Depth=1
	s_waitcnt lgkmcnt(0)
	s_barrier
	ds_read_b64 v[42:43], v136
	ds_read2_b64 v[34:37], v127 offset1:16
	ds_read_b64 v[166:167], v137
	ds_read_b64 v[168:169], v138
	;; [unrolled: 1-line block ×3, first 2 shown]
	ds_read2_b64 v[38:41], v127 offset0:32 offset1:48
	ds_read2st64_b64 v[150:153], v127 offset0:4 offset1:8
	ds_read2st64_b64 v[154:157], v128 offset0:4 offset1:8
	;; [unrolled: 1-line block ×4, first 2 shown]
	s_waitcnt lgkmcnt(8)
	v_mfma_f32_16x16x16_bf16 a[0:3], v[42:43], v[34:35], 0
	s_add_i32 s3, s46, s59
	s_mul_hi_i32 s21, s3, s51
	s_mul_i32 s3, s3, s51
	v_mfma_f32_16x16x16_bf16 a[4:7], v[42:43], v[36:37], 0
	s_add_u32 s20, s3, s33
	s_addc_u32 s21, s21, s53
	s_lshl_b64 s[20:21], s[20:21], 15
	s_waitcnt lgkmcnt(4)
	v_mfma_f32_16x16x16_bf16 a[8:11], v[42:43], v[38:39], 0
	s_mul_i32 s24, s61, s51
	s_mul_hi_i32 s3, s61, s51
	s_add_u32 s24, s24, s33
	v_mfma_f32_16x16x16_bf16 a[12:15], v[42:43], v[40:41], 0
	ds_read_b64 v[42:43], v127 offset:6144
	ds_read_b64 v[178:179], v128 offset:6144
	;; [unrolled: 1-line block ×4, first 2 shown]
	s_addc_u32 s25, s3, s53
	s_waitcnt lgkmcnt(7)
	v_mfma_f32_16x16x16_bf16 a[0:3], v[166:167], v[150:151], a[0:3]
	s_lshl_b64 s[24:25], s[24:25], 9
	s_add_u32 s24, s38, s24
	s_addc_u32 s25, s39, s25
	s_waitcnt lgkmcnt(6)
	v_mfma_f32_16x16x16_bf16 a[4:7], v[166:167], v[154:155], a[4:7]
	v_lshl_add_u64 v[188:189], v[82:83], 0, s[20:21]
	s_waitcnt lgkmcnt(5)
	v_mfma_f32_16x16x16_bf16 a[8:11], v[166:167], v[158:159], a[8:11]
	s_waitcnt lgkmcnt(4)
	v_mfma_f32_16x16x16_bf16 a[12:15], v[166:167], v[162:163], a[12:15]
	ds_read_b64 v[166:167], v141
	ds_read_b64 v[176:177], v142
	;; [unrolled: 1-line block ×3, first 2 shown]
	s_waitcnt lgkmcnt(2)
	v_mfma_f32_16x16x16_bf16 a[16:19], v[166:167], v[34:35], 0
	v_mfma_f32_16x16x16_bf16 a[20:23], v[166:167], v[36:37], 0
	global_load_dwordx4 v[34:37], v140, s[24:25]
	v_mfma_f32_16x16x16_bf16 a[24:27], v[166:167], v[38:39], 0
	v_mfma_f32_16x16x16_bf16 a[28:31], v[166:167], v[40:41], 0
	global_load_dwordx4 v[38:41], v135, s[24:25]
	v_mfma_f32_16x16x16_bf16 a[0:3], v[168:169], v[152:153], a[0:3]
	v_mfma_f32_16x16x16_bf16 a[4:7], v[168:169], v[156:157], a[4:7]
	;; [unrolled: 1-line block ×8, first 2 shown]
	ds_read2st64_b64 v[166:169], v125 offset1:8
	ds_read2st64_b64 v[170:173], v126 offset1:8
	ds_read_b64 v[186:187], v133 offset:40960
	s_waitcnt lgkmcnt(2)
	v_mov_b32_e32 v174, v166
	v_mfma_f32_16x16x16_bf16 a[16:19], v[176:177], v[150:151], a[16:19]
	v_mov_b32_e32 v175, v167
	v_mfma_f32_16x16x16_bf16 a[20:23], v[176:177], v[154:155], a[20:23]
	v_mfma_f32_16x16x16_bf16 a[24:27], v[176:177], v[158:159], a[24:27]
	;; [unrolled: 1-line block ×3, first 2 shown]
	v_add_co_u32_e32 v162, vcc, s31, v188
	s_waitcnt lgkmcnt(1)
	v_mov_b32_e32 v176, v170
	s_waitcnt lgkmcnt(0)
	v_mfma_f32_16x16x16_bf16 a[16:19], v[186:187], v[152:153], a[16:19]
	ds_read2st64_b64 v[150:153], v125 offset0:16 offset1:24
	v_addc_co_u32_e32 v163, vcc, 0, v189, vcc
	v_mfma_f32_16x16x16_bf16 a[20:23], v[186:187], v[156:157], a[20:23]
	ds_read2st64_b64 v[154:157], v126 offset0:16 offset1:24
	v_mov_b32_e32 v177, v171
	v_mov_b32_e32 v170, v168
	v_mfma_f32_16x16x16_bf16 a[32:35], v[186:187], v[160:161], a[24:27]
	v_mov_b32_e32 v171, v169
	s_waitcnt lgkmcnt(0)
	v_mov_b32_e32 v160, v154
	v_mov_b32_e32 v161, v155
	v_mfma_f32_16x16x16_bf16 a[36:39], v[186:187], v[164:165], a[28:31]
	v_mov_b32_e32 v154, v152
	v_mov_b32_e32 v155, v153
	;; [unrolled: 1-line block ×3, first 2 shown]
	v_mfma_f32_16x16x16_bf16 a[24:27], v[184:185], v[42:43], a[16:19]
	v_add_co_u32_e32 v42, vcc, s58, v188
	v_mov_b32_e32 v159, v151
	v_mfma_f32_16x16x16_bf16 a[28:31], v[184:185], v[178:179], a[20:23]
	v_addc_co_u32_e32 v43, vcc, 0, v189, vcc
	global_store_dwordx4 v[42:43], v[154:157], off
	v_mfma_f32_16x16x16_bf16 a[16:19], v[184:185], v[180:181], a[32:35]
	s_waitcnt vmcnt(2)
	v_mov_b32_e32 v44, v37
	v_mov_b32_e32 v43, v36
	;; [unrolled: 1-line block ×3, first 2 shown]
	v_mfma_f32_16x16x16_bf16 a[20:23], v[184:185], v[182:183], a[36:39]
	s_and_b64 vcc, exec, s[0:1]
	global_store_dwordx4 v[188:189], v[174:177], off
	global_store_dwordx4 v[162:163], v[170:173], off offset:-4096
	global_store_dwordx4 v[162:163], v[158:161], off
	s_cbranch_vccnz .LBB216_16
; %bb.15:                               ;   in Loop: Header=BB216_6 Depth=1
	v_lshrrev_b32_e32 v35, 3, v147
	v_and_b32_e32 v35, 6, v35
	v_xor_b32_e32 v36, v35, v148
	v_lshlrev_b32_e32 v36, 2, v36
	v_and_b32_e32 v37, 8, v147
	v_xor_b32_e32 v147, 0x440, v36
	v_cmp_eq_u32_e32 vcc, 0, v37
	v_perm_b32 v37, v22, v18, s56
	s_nop 0
	v_cndmask_b32_e32 v36, v147, v36, vcc
	v_lshl_or_b32 v35, v35, 10, v36
	v_perm_b32 v36, v30, v26, s56
	s_barrier
	ds_write2st64_b32 v35, v36, v37 offset0:128 offset1:160
	v_xor_b32_e32 v36, 8, v35
	v_perm_b32 v26, v30, v26, s57
	v_perm_b32 v18, v22, v18, s57
	v_add_u32_e32 v22, 0x80, v36
	ds_write2st64_b32 v22, v26, v18 offset0:128 offset1:160
	v_xor_b32_e32 v18, 16, v35
	v_perm_b32 v22, v31, v27, s56
	v_perm_b32 v26, v23, v19, s56
	ds_write2st64_b32 v18, v22, v26 offset0:129 offset1:161
	v_xor_b32_e32 v18, 24, v35
	v_perm_b32 v22, v31, v27, s57
	v_perm_b32 v19, v23, v19, s57
	v_add_u32_e32 v18, 0x80, v18
	ds_write2st64_b32 v18, v22, v19 offset0:129 offset1:161
	v_xor_b32_e32 v18, 32, v35
	v_perm_b32 v19, v32, v28, s56
	v_perm_b32 v22, v24, v20, s56
	;; [unrolled: 9-line block ×3, first 2 shown]
	ds_write2st64_b32 v18, v19, v20 offset0:131 offset1:163
	v_xor_b32_e32 v18, 56, v35
	v_perm_b32 v19, v33, v29, s57
	v_perm_b32 v20, v25, v21, s57
	v_add_u32_e32 v18, 0x80, v18
	ds_write2st64_b32 v18, v19, v20 offset0:131 offset1:163
	ds_write_b64 v146, v[14:15] offset:49152
	v_xor_b32_e32 v14, 8, v146
	ds_write_b64 v14, v[16:17] offset:49152
	ds_write_b64 v146, v[10:11] offset:57344
	;; [unrolled: 1-line block ×4, first 2 shown]
	v_xor_b32_e32 v6, 8, v145
	ds_write_b64 v6, v[8:9] offset:49152
	ds_write_b64 v145, v[2:3] offset:57344
	;; [unrolled: 1-line block ×3, first 2 shown]
.LBB216_16:                             ;   in Loop: Header=BB216_6 Depth=1
	v_mul_f32_e32 v26, s2, v144
	v_exp_f32_e32 v36, v26
	s_waitcnt vmcnt(4)
	v_mul_f32_e32 v26, 0x3fb8aa3b, v38
	v_exp_f32_e32 v38, v26
	v_mul_f32_e32 v26, 0x3fb8aa3b, v39
	v_exp_f32_e32 v39, v26
	;; [unrolled: 2-line block ×4, first 2 shown]
	v_accvgpr_read_b32 v5, a3
	v_accvgpr_read_b32 v4, a2
	;; [unrolled: 1-line block ×4, first 2 shown]
	v_pk_mul_f32 v[38:39], v[36:37], v[38:39] op_sel_hi:[0,1]
	v_pk_mul_f32 v[40:41], v[36:37], v[40:41] op_sel_hi:[0,1]
	v_pk_fma_f32 v[74:75], v[74:75], v[38:39], v[2:3]
	v_pk_fma_f32 v[76:77], v[76:77], v[40:41], v[4:5]
	v_mul_f32_e32 v2, 0x3fb8aa3b, v34
	v_mul_f32_e32 v3, 0x3fb8aa3b, v42
	;; [unrolled: 1-line block ×4, first 2 shown]
	v_exp_f32_e32 v2, v2
	v_exp_f32_e32 v3, v3
	;; [unrolled: 1-line block ×4, first 2 shown]
	v_accvgpr_read_b32 v9, a7
	v_accvgpr_read_b32 v13, a11
	;; [unrolled: 1-line block ×28, first 2 shown]
	v_pk_mul_f32 v[2:3], v[36:37], v[2:3] op_sel_hi:[0,1]
	v_pk_mul_f32 v[4:5], v[36:37], v[4:5] op_sel_hi:[0,1]
	s_add_i32 s52, s52, 64
	v_pk_fma_f32 v[66:67], v[38:39], v[66:67], v[6:7]
	v_pk_fma_f32 v[68:69], v[40:41], v[68:69], v[8:9]
	;; [unrolled: 1-line block ×13, first 2 shown]
	s_cmp_eq_u32 s45, s60
	v_pk_fma_f32 v[50:51], v[4:5], v[50:51], v[32:33]
	s_cbranch_scc1 .LBB216_18
; %bb.17:                               ;   in Loop: Header=BB216_6 Depth=1
	s_mov_b32 s59, s60
	s_branch .LBB216_6
.LBB216_18:
	s_lshl_b32 s0, s45, 6
	s_sub_i32 s40, s47, s0
	s_cmp_gt_i32 s40, 0
	s_cbranch_scc0 .LBB216_99
; %bb.19:
	s_add_i32 s34, s0, s34
	s_ashr_i32 s2, s34, 31
	s_cmpk_lg_i32 s15, 0x80
	s_cselect_b64 s[26:27], -1, 0
	s_and_b64 vcc, exec, s[26:27]
	s_cbranch_vccz .LBB216_21
; %bb.20:
	s_mul_i32 s1, s34, s14
	s_ashr_i32 s3, s50, 31
	s_mul_hi_i32 s0, s34, s14
	s_add_u32 s38, s1, s50
	s_addc_u32 s39, s0, s3
	s_cbranch_execz .LBB216_22
	s_branch .LBB216_23
.LBB216_21:
                                        ; implicit-def: $sgpr38_sgpr39
.LBB216_22:
	s_mul_i32 s1, s50, s12
	s_mul_hi_i32 s0, s50, s12
	s_add_u32 s38, s1, s34
	s_addc_u32 s39, s0, s2
.LBB216_23:
	s_add_i32 s3, s45, s46
	s_ashr_i32 s12, s33, 31
	s_add_u32 s0, s49, s34
	v_lshlrev_b32_e32 v6, 6, v89
	v_lshlrev_b32_e32 v24, 2, v45
	s_addc_u32 s1, s48, s2
	s_mov_b32 s2, 0x7060302
	v_or_b32_e32 v9, v6, v24
	v_xor_b32_e32 v7, v89, v24
	v_perm_b32 v3, v77, v76, s2
	v_perm_b32 v2, v75, v74, s2
	;; [unrolled: 1-line block ×4, first 2 shown]
	v_lshlrev_b32_e32 v9, 1, v9
	v_xor_b32_e32 v8, v90, v24
	ds_write2st64_b64 v9, v[2:3], v[4:5] offset0:32 offset1:48
	v_lshlrev_b32_e32 v7, 1, v7
	v_lshlrev_b32_e32 v9, 8, v45
	v_or_b32_e32 v10, v7, v9
	v_lshlrev_b32_e32 v8, 1, v8
	ds_write_b64 v10, v[2:3]
	v_or_b32_e32 v2, v8, v9
	v_or_b32_e32 v9, 16, v45
	v_lshlrev_b32_e32 v23, 2, v9
	v_or_b32_e32 v10, v6, v23
	ds_write_b64 v2, v[4:5]
	v_perm_b32 v3, v69, v68, s2
	v_perm_b32 v2, v67, v66, s2
	;; [unrolled: 1-line block ×4, first 2 shown]
	v_lshlrev_b32_e32 v10, 1, v10
	v_lshlrev_b32_e32 v9, 8, v9
	ds_write2st64_b64 v10, v[2:3], v[4:5] offset0:32 offset1:48
	v_or_b32_e32 v10, v7, v9
	ds_write_b64 v10, v[2:3]
	v_or_b32_e32 v2, v8, v9
	v_or_b32_e32 v9, 32, v45
	v_lshlrev_b32_e32 v22, 2, v9
	v_or_b32_e32 v10, v6, v22
	s_lshl_b64 s[24:25], s[0:1], 8
	ds_write_b64 v2, v[4:5]
	v_perm_b32 v3, v61, v60, s2
	v_perm_b32 v2, v59, v58, s2
	;; [unrolled: 1-line block ×4, first 2 shown]
	v_lshlrev_b32_e32 v10, 1, v10
	v_lshlrev_b32_e32 v9, 8, v9
	s_add_u32 s0, s6, s24
	ds_write2st64_b64 v10, v[2:3], v[4:5] offset0:32 offset1:48
	v_or_b32_e32 v10, v7, v9
	s_addc_u32 s1, s7, s25
	ds_write_b64 v10, v[2:3]
	v_or_b32_e32 v2, v8, v9
	v_or_b32_e32 v9, 48, v45
	s_mul_hi_i32 s6, s3, s13
	s_mul_i32 s3, s3, s13
	ds_write_b64 v2, v[4:5]
	v_perm_b32 v3, v47, v46, s2
	v_perm_b32 v2, v53, v52, s2
	;; [unrolled: 1-line block ×4, first 2 shown]
	v_lshlrev_b32_e32 v19, 2, v9
	s_add_u32 s2, s3, s33
	v_or_b32_e32 v6, v6, v19
	s_addc_u32 s3, s6, s12
	v_lshlrev_b32_e32 v6, 1, v6
	s_ashr_i32 s31, s30, 31
	s_lshl_b64 s[2:3], s[2:3], 15
	ds_write2st64_b64 v6, v[2:3], v[4:5] offset0:32 offset1:48
	v_lshlrev_b32_e32 v6, 8, v9
	s_add_u32 s6, s36, s2
	v_or_b32_e32 v7, v7, v6
	s_addc_u32 s7, s37, s3
	s_lshl_b64 s[2:3], s[30:31], 8
	ds_write_b64 v7, v[2:3]
	v_or_b32_e32 v2, v8, v6
	s_add_u32 s2, s6, s2
	v_lshlrev_b32_e32 v3, 1, v45
	ds_write_b64 v2, v[4:5]
	v_lshrrev_b32_e32 v2, 4, v0
	s_addc_u32 s3, s7, s3
	v_or_b32_e32 v4, 1, v3
	v_lshlrev_b32_e32 v10, 4, v45
	v_mov_b32_e32 v11, 0
	v_xor_b32_e32 v3, v2, v3
	v_xor_b32_e32 v6, v4, v2
	v_lshl_add_u64 v[12:13], s[2:3], 0, v[10:11]
	v_lshlrev_b32_e32 v10, 8, v2
	v_lshl_or_b32 v16, v3, 3, v10
	v_lshl_or_b32 v17, v6, 3, v10
	s_waitcnt lgkmcnt(0)
	s_barrier
	ds_read2st64_b64 v[2:5], v16 offset1:8
	ds_read2st64_b64 v[6:9], v17 offset1:8
	v_lshl_add_u64 v[14:15], v[12:13], 0, v[10:11]
	s_movk_i32 s2, 0x2000
	s_cmp_lg_u32 s40, 64
	s_waitcnt lgkmcnt(1)
	v_mov_b32_e32 v10, v2
	v_mov_b32_e32 v11, v3
	s_waitcnt lgkmcnt(0)
	v_mov_b32_e32 v12, v6
	v_mov_b32_e32 v13, v7
	global_store_dwordx4 v[14:15], v[10:13], off
	v_mov_b32_e32 v6, v4
	v_mov_b32_e32 v7, v5
	ds_read2st64_b64 v[2:5], v16 offset0:16 offset1:24
	ds_read2st64_b64 v[10:13], v17 offset0:16 offset1:24
	v_add_co_u32_e32 v16, vcc, s2, v14
	s_cselect_b64 s[6:7], -1, 0
	s_nop 0
	v_addc_co_u32_e32 v17, vcc, 0, v15, vcc
	global_store_dwordx4 v[16:17], v[6:9], off offset:-4096
	v_lshl_or_b32 v25, v85, 3, v88
	s_mov_b32 s20, 0
	s_waitcnt lgkmcnt(1)
	v_mov_b32_e32 v6, v2
	v_add_co_u32_e32 v2, vcc, 0x3000, v14
	v_mov_b32_e32 v7, v3
	s_nop 0
	v_addc_co_u32_e32 v3, vcc, 0, v15, vcc
	s_waitcnt lgkmcnt(0)
	v_mov_b32_e32 v8, v10
	v_mov_b32_e32 v9, v11
	v_mov_b32_e32 v10, v4
	v_mov_b32_e32 v11, v5
	v_or_b32_e32 v20, 32, v25
	v_and_b32_e32 v18, 56, v87
	s_and_b64 vcc, exec, s[6:7]
	global_store_dwordx4 v[16:17], v[6:9], off
	global_store_dwordx4 v[2:3], v[10:13], off
	s_cbranch_vccz .LBB216_29
; %bb.24:
	s_mov_b32 s21, s20
	s_mov_b32 s22, s20
	;; [unrolled: 1-line block ×3, first 2 shown]
	v_mov_b64_e32 v[6:7], s[20:21]
	v_mov_b64_e32 v[8:9], s[22:23]
	;; [unrolled: 1-line block ×3, first 2 shown]
	v_cmp_gt_i32_e32 vcc, s40, v25
	v_mov_b64_e32 v[4:5], v[8:9]
	s_and_saveexec_b64 s[2:3], vcc
	s_cbranch_execz .LBB216_26
; %bb.25:
	v_lshlrev_b32_e32 v2, 8, v25
	v_mov_b32_e32 v3, 0
	v_lshl_add_u64 v[4:5], s[0:1], 0, v[2:3]
	v_lshlrev_b32_e32 v2, 1, v18
	v_lshl_add_u64 v[10:11], v[4:5], 0, v[2:3]
	global_load_dwordx4 v[6:9], v[10:11], off
	global_load_dwordx4 v[2:5], v[10:11], off offset:128
.LBB216_26:
	s_or_b64 exec, exec, s[2:3]
	s_mov_b32 s21, s20
	s_mov_b32 s22, s20
	;; [unrolled: 1-line block ×3, first 2 shown]
	v_mov_b64_e32 v[14:15], s[20:21]
	v_mov_b64_e32 v[16:17], s[22:23]
	;; [unrolled: 1-line block ×3, first 2 shown]
	v_cmp_gt_i32_e32 vcc, s40, v20
	v_lshlrev_b32_e32 v21, 7, v20
	v_mov_b64_e32 v[12:13], v[16:17]
	s_and_saveexec_b64 s[2:3], vcc
	s_cbranch_execz .LBB216_28
; %bb.27:
	v_lshlrev_b32_e32 v10, 1, v21
	v_mov_b32_e32 v11, 0
	v_lshl_add_u64 v[12:13], s[0:1], 0, v[10:11]
	v_lshlrev_b32_e32 v10, 1, v18
	v_lshl_add_u64 v[26:27], v[12:13], 0, v[10:11]
	global_load_dwordx4 v[14:17], v[26:27], off
	global_load_dwordx4 v[10:13], v[26:27], off offset:128
.LBB216_28:
	s_or_b64 exec, exec, s[2:3]
	v_lshrrev_b32_e32 v26, 3, v18
	v_lshlrev_b32_e32 v27, 3, v25
	v_or_b32_e32 v26, v27, v26
	v_lshlrev_b32_e32 v26, 4, v26
	v_and_b32_e32 v27, 0x78, v27
	v_xor_b32_e32 v26, v26, v27
	s_branch .LBB216_31
.LBB216_29:
                                        ; implicit-def: $vgpr26
                                        ; implicit-def: $vgpr21
                                        ; implicit-def: $vgpr6_vgpr7_vgpr8_vgpr9
                                        ; implicit-def: $vgpr2_vgpr3_vgpr4_vgpr5
                                        ; implicit-def: $vgpr14_vgpr15_vgpr16_vgpr17
                                        ; implicit-def: $vgpr10_vgpr11_vgpr12_vgpr13
	s_cbranch_execz .LBB216_31
; %bb.30:
	s_waitcnt vmcnt(0)
	v_lshlrev_b32_e32 v2, 1, v18
	v_lshl_or_b32 v21, v25, 8, v2
	s_and_b32 s1, s1, 0xffff
	s_mov_b32 s3, 0x20000
	s_movk_i32 s2, 0x4000
	v_lshl_or_b32 v26, v20, 8, v2
	s_movk_i32 s13, 0x80
	buffer_load_dwordx4 v[6:9], v21, s[0:3], 0 offen
	buffer_load_dwordx4 v[2:5], v21, s[0:3], s13 offen
	;; [unrolled: 1-line block ×4, first 2 shown]
	v_lshrrev_b32_e32 v21, 3, v18
	v_lshlrev_b32_e32 v26, 3, v25
	v_or_b32_e32 v21, v26, v21
	v_lshlrev_b32_e32 v21, 4, v21
	v_and_b32_e32 v26, 0x78, v26
	v_xor_b32_e32 v26, v21, v26
	v_lshlrev_b32_e32 v21, 7, v20
.LBB216_31:
	s_movk_i32 s0, 0x1000
	v_and_or_b32 v20, v21, s0, v26
	s_waitcnt vmcnt(1)
	ds_write_b64 v26, v[6:7] offset:49152
	v_xor_b32_e32 v6, 8, v26
	ds_write_b64 v6, v[8:9] offset:49152
	s_waitcnt vmcnt(0)
	ds_write_b64 v26, v[2:3] offset:57344
	ds_write_b64 v6, v[4:5] offset:57344
	;; [unrolled: 1-line block ×3, first 2 shown]
	v_xor_b32_e32 v2, 8, v20
	ds_write_b64 v2, v[16:17] offset:49152
	ds_write_b64 v20, v[10:11] offset:57344
	;; [unrolled: 1-line block ×3, first 2 shown]
	v_or_b32_e32 v2, v1, v45
	v_lshlrev_b32_e32 v3, 11, v85
	v_lshlrev_b32_e32 v2, 3, v2
	v_and_b32_e32 v6, 0x1000, v3
	v_lshrrev_b32_e32 v3, 5, v84
	s_movk_i32 s0, 0xf8
	v_and_or_b32 v3, v2, s0, v3
	v_lshlrev_b32_e32 v7, 4, v3
	v_and_b32_e32 v8, 0x78, v2
	v_or_b32_e32 v10, 32, v7
	v_lshrrev_b32_e32 v3, 1, v84
	v_xor_b32_e32 v10, v10, v8
	v_xor_b32_e32 v2, v7, v8
	v_and_b32_e32 v9, 8, v3
	v_or_b32_e32 v10, v10, v6
	v_or_b32_e32 v2, v2, v6
	v_xor_b32_e32 v28, v10, v9
	v_or_b32_e32 v10, 64, v7
	v_xor_b32_e32 v27, v2, v9
	v_xor_b32_e32 v10, v10, v8
	s_waitcnt lgkmcnt(0)
	s_barrier
	v_or_b32_e32 v13, v10, v6
	ds_read_b64 v[10:11], v27 offset:49152
	v_lshl_or_b32 v14, v86, 8, v24
	v_lshlrev_b32_e32 v26, 1, v14
	v_add_u32_e32 v12, 0x4000, v26
	ds_read2_b64 v[2:5], v12 offset1:16
	v_or_b32_e32 v7, 0x60, v7
	v_xor_b32_e32 v7, v7, v8
	v_or_b32_e32 v6, v7, v6
	v_xor_b32_e32 v29, v13, v9
	v_xor_b32_e32 v30, v6, v9
	ds_read_b64 v[20:21], v28 offset:49152
	ds_read_b64 v[34:35], v29 offset:49152
	;; [unrolled: 1-line block ×3, first 2 shown]
	s_waitcnt lgkmcnt(3)
	v_mfma_f32_16x16x16_bf16 a[0:3], v[10:11], v[2:3], 0
	ds_read2_b64 v[6:9], v12 offset0:32 offset1:48
	s_lshl_b64 s[0:1], s[38:39], 8
	s_add_u32 s4, s4, s0
	v_mfma_f32_16x16x16_bf16 a[4:7], v[10:11], v[4:5], 0
	ds_read2st64_b64 v[2:5], v26 offset0:36 offset1:40
	s_addc_u32 s5, s5, s1
	s_add_i32 s0, s43, s42
	s_waitcnt lgkmcnt(1)
	v_mfma_f32_16x16x16_bf16 a[8:11], v[10:11], v[6:7], 0
	v_or_b32_e32 v6, 64, v14
	v_lshlrev_b32_e32 v31, 1, v6
	s_add_i32 s2, s35, -1
	s_waitcnt lgkmcnt(0)
	v_mfma_f32_16x16x16_bf16 a[0:3], v[20:21], v[2:3], a[0:3]
	v_or_b32_e32 v2, 0x80, v14
	v_lshlrev_b32_e32 v32, 1, v2
	v_or_b32_e32 v2, 0xc0, v14
	v_mfma_f32_16x16x16_bf16 a[12:15], v[10:11], v[8:9], 0
	ds_read2st64_b64 v[6:9], v31 offset0:36 offset1:40
	v_lshlrev_b32_e32 v33, 1, v2
	ds_read2st64_b64 v[10:13], v32 offset0:36 offset1:40
	ds_read2st64_b64 v[14:17], v33 offset0:36 offset1:40
	s_add_i32 s17, s0, s44
	s_mul_i32 s0, s33, s19
	s_mul_hi_u32 s1, s33, s18
	s_add_i32 s0, s1, s0
	s_mul_i32 s1, s12, s18
	s_ashr_i32 s3, s2, 31
	s_mul_i32 s12, s2, s29
	s_mul_hi_u32 s13, s2, s28
	s_waitcnt lgkmcnt(2)
	v_mfma_f32_16x16x16_bf16 a[4:7], v[20:21], v[6:7], a[4:7]
	s_add_i32 s12, s13, s12
	s_mul_i32 s3, s3, s28
	s_add_i32 s1, s0, s1
	s_waitcnt lgkmcnt(1)
	v_mfma_f32_16x16x16_bf16 a[8:11], v[20:21], v[10:11], a[8:11]
	s_add_i32 s3, s12, s3
	s_lshl_b64 s[12:13], s[16:17], 2
	s_mul_i32 s0, s33, s18
	s_waitcnt lgkmcnt(0)
	v_mfma_f32_16x16x16_bf16 a[12:15], v[20:21], v[14:15], a[12:15]
	s_add_u32 s10, s10, s12
	s_addc_u32 s11, s11, s13
	s_lshl_b64 s[0:1], s[0:1], 2
	v_mfma_f32_16x16x16_bf16 a[0:3], v[34:35], v[4:5], a[0:3]
	s_mul_i32 s2, s2, s28
	ds_read_b64 v[2:3], v26 offset:22528
	s_add_u32 s10, s10, s0
	v_mfma_f32_16x16x16_bf16 a[4:7], v[34:35], v[8:9], a[4:7]
	ds_read_b64 v[4:5], v31 offset:22528
	ds_read_b64 v[6:7], v32 offset:22528
	ds_read_b64 v[8:9], v33 offset:22528
	s_addc_u32 s11, s11, s1
	s_lshl_b64 s[0:1], s[2:3], 2
	v_mfma_f32_16x16x16_bf16 a[8:11], v[34:35], v[12:13], a[8:11]
	s_add_u32 s0, s10, s0
	s_addc_u32 s1, s11, s1
	s_load_dword s12, s[0:1], 0x0
	v_mfma_f32_16x16x16_bf16 a[12:15], v[34:35], v[16:17], a[12:15]
	s_and_b64 vcc, exec, s[26:27]
	s_waitcnt lgkmcnt(0)
	v_mfma_f32_16x16x16_bf16 a[0:3], v[36:37], v[2:3], a[0:3]
	v_mfma_f32_16x16x16_bf16 a[4:7], v[36:37], v[4:5], a[4:7]
	v_mfma_f32_16x16x16_bf16 a[8:11], v[36:37], v[6:7], a[8:11]
	v_mfma_f32_16x16x16_bf16 a[12:15], v[36:37], v[8:9], a[12:15]
	s_cbranch_vccz .LBB216_42
; %bb.32:
	v_lshlrev_b32_e32 v20, 1, v25
	s_and_b64 vcc, exec, s[6:7]
	s_cbranch_vccz .LBB216_43
; %bb.33:
	v_cmp_gt_i32_e32 vcc, s40, v20
	v_mov_b32_e32 v6, 0
	v_mov_b32_e32 v2, 0
	;; [unrolled: 1-line block ×5, first 2 shown]
	s_and_saveexec_b64 s[0:1], vcc
	s_cbranch_execz .LBB216_35
; %bb.34:
	v_mad_i64_i32 v[2:3], s[2:3], s15, v20, 0
	v_lshl_add_u64 v[2:3], v[2:3], 1, s[4:5]
	v_lshlrev_b32_e32 v4, 1, v18
	v_mov_b32_e32 v5, 0
	v_lshl_add_u64 v[2:3], v[2:3], 0, v[4:5]
	global_load_dwordx4 v[2:5], v[2:3], off
.LBB216_35:
	s_or_b64 exec, exec, s[0:1]
	v_or_b32_e32 v21, 1, v20
	v_cmp_gt_i32_e64 s[0:1], s40, v21
	v_mov_b32_e32 v7, 0
	v_mov_b32_e32 v8, 0
	;; [unrolled: 1-line block ×3, first 2 shown]
	s_and_saveexec_b64 s[2:3], s[0:1]
	s_cbranch_execz .LBB216_37
; %bb.36:
	v_mad_i64_i32 v[6:7], s[16:17], s15, v21, 0
	v_lshl_add_u64 v[6:7], v[6:7], 1, s[4:5]
	v_lshlrev_b32_e32 v8, 1, v18
	v_mov_b32_e32 v9, 0
	v_lshl_add_u64 v[6:7], v[6:7], 0, v[8:9]
	global_load_dwordx4 v[6:9], v[6:7], off
.LBB216_37:
	s_or_b64 exec, exec, s[2:3]
	v_mov_b32_e32 v17, 0
	v_mov_b32_e32 v10, 0
	;; [unrolled: 1-line block ×5, first 2 shown]
	s_and_saveexec_b64 s[2:3], vcc
	s_cbranch_execz .LBB216_39
; %bb.38:
	v_mad_i64_i32 v[10:11], s[16:17], s15, v20, 0
	v_lshl_add_u64 v[10:11], v[10:11], 1, s[4:5]
	v_lshlrev_b32_e32 v12, 1, v18
	v_mov_b32_e32 v13, 0
	v_lshl_add_u64 v[10:11], v[10:11], 0, v[12:13]
	global_load_dwordx4 v[10:13], v[10:11], off offset:128
.LBB216_39:
	s_or_b64 exec, exec, s[2:3]
	v_mov_b32_e32 v16, 0
	v_mov_b32_e32 v15, 0
	v_mov_b32_e32 v14, 0
	s_and_saveexec_b64 s[2:3], s[0:1]
	s_cbranch_execz .LBB216_41
; %bb.40:
	v_mad_i64_i32 v[14:15], s[0:1], s15, v21, 0
	v_lshl_add_u64 v[14:15], v[14:15], 1, s[4:5]
	v_lshlrev_b32_e32 v16, 1, v18
	v_mov_b32_e32 v17, 0
	v_lshl_add_u64 v[14:15], v[14:15], 0, v[16:17]
	global_load_dwordx4 v[14:17], v[14:15], off offset:128
.LBB216_41:
	s_or_b64 exec, exec, s[2:3]
	s_branch .LBB216_45
.LBB216_42:
                                        ; implicit-def: $vgpr5
                                        ; implicit-def: $vgpr9
                                        ; implicit-def: $vgpr13
                                        ; implicit-def: $vgpr17
	v_lshrrev_b32_e32 v34, 2, v84
	s_branch .LBB216_46
.LBB216_43:
                                        ; implicit-def: $vgpr5
                                        ; implicit-def: $vgpr9
                                        ; implicit-def: $vgpr13
                                        ; implicit-def: $vgpr17
	s_cbranch_execz .LBB216_45
; %bb.44:
	s_waitcnt vmcnt(0)
	v_mad_u64_u32 v[2:3], s[0:1], v20, s15, v[18:19]
	v_lshlrev_b32_e32 v20, 1, v2
	s_lshl_b32 s2, s15, 7
	s_and_b32 s1, s5, 0xffff
	s_mov_b32 s3, 0x20000
	s_mov_b32 s0, s4
	v_add_lshl_u32 v21, v2, s15, 1
	s_movk_i32 s13, 0x80
	buffer_load_dwordx4 v[2:5], v20, s[0:3], 0 offen
	buffer_load_dwordx4 v[10:13], v20, s[0:3], s13 offen
	;; [unrolled: 1-line block ×4, first 2 shown]
.LBB216_45:
	v_lshrrev_b32_e32 v34, 2, v84
	s_cbranch_execnz .LBB216_58
.LBB216_46:
	s_and_b64 vcc, exec, s[6:7]
	s_cbranch_vccz .LBB216_56
; %bb.47:
	s_waitcnt vmcnt(0)
	v_lshlrev_b32_e32 v7, 1, v25
	v_cmp_gt_i32_e32 vcc, s40, v7
	v_mov_b32_e32 v6, 0
	v_lshlrev_b32_e32 v14, 9, v25
	v_mov_b32_e32 v2, 0
	v_mov_b32_e32 v3, 0
	;; [unrolled: 1-line block ×4, first 2 shown]
	s_and_saveexec_b64 s[0:1], vcc
	s_cbranch_execz .LBB216_49
; %bb.48:
	v_mov_b32_e32 v15, 0
	v_lshl_add_u64 v[2:3], s[4:5], 0, v[14:15]
	v_lshlrev_b32_e32 v4, 1, v18
	v_mov_b32_e32 v5, v15
	v_lshl_add_u64 v[2:3], v[2:3], 0, v[4:5]
	global_load_dwordx4 v[2:5], v[2:3], off
.LBB216_49:
	s_or_b64 exec, exec, s[0:1]
	v_or_b32_e32 v7, 1, v7
	v_cmp_gt_i32_e64 s[0:1], s40, v7
	v_lshlrev_b32_e32 v20, 8, v7
	v_mov_b32_e32 v7, 0
	v_mov_b32_e32 v8, 0
	;; [unrolled: 1-line block ×3, first 2 shown]
	s_and_saveexec_b64 s[2:3], s[0:1]
	s_cbranch_execz .LBB216_51
; %bb.50:
	v_mov_b32_e32 v21, 0
	v_lshl_add_u64 v[6:7], s[4:5], 0, v[20:21]
	v_lshlrev_b32_e32 v8, 1, v18
	v_mov_b32_e32 v9, v21
	v_lshl_add_u64 v[6:7], v[6:7], 0, v[8:9]
	global_load_dwordx4 v[6:9], v[6:7], off
.LBB216_51:
	s_or_b64 exec, exec, s[2:3]
	v_mov_b32_e32 v17, 0
	v_mov_b32_e32 v10, 0
	;; [unrolled: 1-line block ×5, first 2 shown]
	s_and_saveexec_b64 s[2:3], vcc
	s_cbranch_execz .LBB216_53
; %bb.52:
	v_mov_b32_e32 v15, 0
	v_lshl_add_u64 v[10:11], s[4:5], 0, v[14:15]
	v_lshlrev_b32_e32 v14, 1, v18
	v_lshl_add_u64 v[10:11], v[10:11], 0, v[14:15]
	global_load_dwordx4 v[10:13], v[10:11], off offset:128
.LBB216_53:
	s_or_b64 exec, exec, s[2:3]
	v_mov_b32_e32 v16, 0
	v_mov_b32_e32 v15, 0
	;; [unrolled: 1-line block ×3, first 2 shown]
	s_and_saveexec_b64 s[2:3], s[0:1]
	s_cbranch_execz .LBB216_55
; %bb.54:
	v_mov_b32_e32 v21, 0
	v_lshl_add_u64 v[14:15], s[4:5], 0, v[20:21]
	v_lshlrev_b32_e32 v20, 1, v18
	v_lshl_add_u64 v[14:15], v[14:15], 0, v[20:21]
	global_load_dwordx4 v[14:17], v[14:15], off offset:128
.LBB216_55:
	s_or_b64 exec, exec, s[2:3]
	s_branch .LBB216_58
.LBB216_56:
                                        ; implicit-def: $vgpr5
                                        ; implicit-def: $vgpr9
                                        ; implicit-def: $vgpr13
                                        ; implicit-def: $vgpr17
	s_cbranch_execz .LBB216_58
; %bb.57:
	s_waitcnt vmcnt(0)
	v_lshlrev_b32_e32 v2, 1, v18
	v_lshl_or_b32 v18, v25, 9, v2
	s_and_b32 s5, s5, 0xffff
	s_mov_b32 s7, 0x20000
	s_movk_i32 s6, 0x4000
	s_movk_i32 s0, 0x80
	buffer_load_dwordx4 v[2:5], v18, s[4:7], 0 offen
	buffer_load_dwordx4 v[6:9], v18, s[4:7], 0 offen offset:256
	buffer_load_dwordx4 v[10:13], v18, s[4:7], s0 offen
	buffer_load_dwordx4 v[14:17], v18, s[4:7], s0 offen offset:256
.LBB216_58:
	ds_read_b64 v[20:21], v27 offset:57344
	v_add_u32_e32 v18, 0x6000, v26
	ds_read2_b64 v[36:39], v18 offset1:16
	ds_read_b64 v[54:55], v28 offset:57344
	ds_read_b64 v[28:29], v29 offset:57344
	;; [unrolled: 1-line block ×3, first 2 shown]
	ds_read2st64_b64 v[40:43], v26 offset0:52 offset1:56
	s_mov_b32 s0, 0x1000504
	s_mov_b32 s1, 0x3020706
	s_waitcnt lgkmcnt(4)
	v_mfma_f32_16x16x16_bf16 a[0:3], v[20:21], v[36:37], a[0:3]
	v_mfma_f32_16x16x16_bf16 a[4:7], v[20:21], v[38:39], a[4:7]
	ds_read2_b64 v[36:39], v18 offset0:32 offset1:48
	v_and_b32_e32 v18, 6, v0
	v_xor_b32_e32 v25, v25, v18
	s_waitcnt lgkmcnt(0)
	v_mfma_f32_16x16x16_bf16 a[8:11], v[20:21], v[36:37], a[8:11]
	v_lshlrev_b32_e32 v25, 2, v25
	v_and_b32_e32 v0, 1, v0
	v_xor_b32_e32 v35, 0x440, v25
	v_mfma_f32_16x16x16_bf16 a[12:15], v[20:21], v[38:39], a[12:15]
	ds_read2st64_b64 v[36:39], v31 offset0:52 offset1:56
	ds_read2st64_b64 v[46:49], v32 offset0:52 offset1:56
	;; [unrolled: 1-line block ×3, first 2 shown]
	v_cmp_eq_u32_e32 vcc, 0, v0
	ds_read_b64 v[20:21], v26 offset:30720
	ds_read_b64 v[26:27], v31 offset:30720
	;; [unrolled: 1-line block ×4, first 2 shown]
	v_mfma_f32_16x16x16_bf16 a[0:3], v[54:55], v[40:41], a[0:3]
	v_cndmask_b32_e32 v0, v35, v25, vcc
	v_lshl_or_b32 v0, v18, 10, v0
	s_waitcnt vmcnt(0)
	v_perm_b32 v18, v2, v6, s0
	s_waitcnt lgkmcnt(6)
	v_mfma_f32_16x16x16_bf16 a[4:7], v[54:55], v[36:37], a[4:7]
	v_perm_b32 v25, v10, v14, s0
	ds_write2st64_b32 v0, v18, v25 offset0:128 offset1:160
	v_xor_b32_e32 v18, 8, v0
	s_waitcnt lgkmcnt(6)
	v_mfma_f32_16x16x16_bf16 a[8:11], v[54:55], v[46:47], a[8:11]
	v_perm_b32 v2, v2, v6, s1
	v_perm_b32 v6, v10, v14, s1
	v_add_u32_e32 v10, 0x80, v18
	s_waitcnt lgkmcnt(5)
	v_mfma_f32_16x16x16_bf16 a[12:15], v[54:55], v[50:51], a[12:15]
	ds_write2st64_b32 v10, v2, v6 offset0:128 offset1:160
	v_xor_b32_e32 v2, 16, v0
	v_perm_b32 v6, v3, v7, s0
	v_mfma_f32_16x16x16_bf16 a[0:3], v[28:29], v[42:43], a[0:3]
	v_perm_b32 v10, v11, v15, s0
	ds_write2st64_b32 v2, v6, v10 offset0:129 offset1:161
	v_xor_b32_e32 v2, 24, v0
	v_mfma_f32_16x16x16_bf16 a[4:7], v[28:29], v[38:39], a[4:7]
	v_perm_b32 v3, v3, v7, s1
	v_perm_b32 v6, v11, v15, s1
	v_add_u32_e32 v2, 0x80, v2
	v_mfma_f32_16x16x16_bf16 a[16:19], v[28:29], v[48:49], a[8:11]
	ds_write2st64_b32 v2, v3, v6 offset0:129 offset1:161
	v_xor_b32_e32 v2, 32, v0
	v_perm_b32 v3, v4, v8, s0
	v_mfma_f32_16x16x16_bf16 a[20:23], v[28:29], v[52:53], a[12:15]
	v_perm_b32 v6, v12, v16, s0
	ds_write2st64_b32 v2, v3, v6 offset0:130 offset1:162
	v_xor_b32_e32 v2, 40, v0
	s_waitcnt lgkmcnt(8)
	v_mfma_f32_16x16x16_bf16 a[12:15], v[56:57], v[20:21], a[0:3]
	v_perm_b32 v3, v4, v8, s1
	v_perm_b32 v4, v12, v16, s1
	v_add_u32_e32 v2, 0x80, v2
	s_waitcnt lgkmcnt(7)
	v_mfma_f32_16x16x16_bf16 a[8:11], v[56:57], v[26:27], a[4:7]
	ds_write2st64_b32 v2, v3, v4 offset0:130 offset1:162
	v_xor_b32_e32 v2, 48, v0
	v_perm_b32 v3, v5, v9, s0
	s_waitcnt lgkmcnt(7)
	v_mfma_f32_16x16x16_bf16 a[4:7], v[56:57], v[30:31], a[16:19]
	v_perm_b32 v4, v13, v17, s0
	v_xor_b32_e32 v0, 56, v0
	v_and_or_b32 v18, v34, 12, v1
	s_waitcnt lgkmcnt(6)
	v_mfma_f32_16x16x16_bf16 a[0:3], v[56:57], v[32:33], a[20:23]
	ds_write2st64_b32 v2, v3, v4 offset0:131 offset1:163
	v_perm_b32 v2, v5, v9, s1
	v_perm_b32 v3, v13, v17, s1
	v_add_u32_e32 v0, 0x80, v0
	v_cmp_gt_i32_e32 vcc, s40, v18
	v_mov_b32_e32 v14, 0
	v_mov_b32_e32 v16, 0
	ds_write2st64_b32 v0, v2, v3 offset0:131 offset1:163
	s_and_saveexec_b64 s[0:1], vcc
	s_cbranch_execz .LBB216_60
; %bb.59:
	v_add_u32_e32 v0, s34, v18
	v_ashrrev_i32_e32 v1, 31, v0
	v_mul_lo_u32 v2, v1, s28
	v_mul_lo_u32 v3, v0, s29
	v_mad_u64_u32 v[0:1], s[2:3], v0, s28, 0
	v_add3_u32 v1, v1, v3, v2
	v_lshl_add_u64 v[0:1], v[0:1], 2, s[10:11]
	global_load_dword v0, v[0:1], off
	s_waitcnt vmcnt(0)
	v_sub_f32_e32 v0, s12, v0
	v_mul_f32_e32 v0, 0x3fb8aa3b, v0
	v_exp_f32_e32 v16, v0
.LBB216_60:
	s_or_b64 exec, exec, s[0:1]
	v_or_b32_e32 v8, 1, v18
	v_cmp_gt_i32_e64 s[0:1], s40, v8
	s_and_saveexec_b64 s[2:3], s[0:1]
	s_cbranch_execz .LBB216_62
; %bb.61:
	v_add_u32_e32 v0, s34, v8
	v_ashrrev_i32_e32 v1, 31, v0
	v_mul_lo_u32 v2, v1, s28
	v_mul_lo_u32 v3, v0, s29
	v_mad_u64_u32 v[0:1], s[4:5], v0, s28, 0
	v_add3_u32 v1, v1, v3, v2
	v_lshl_add_u64 v[0:1], v[0:1], 2, s[10:11]
	global_load_dword v0, v[0:1], off
	s_waitcnt vmcnt(0)
	v_sub_f32_e32 v0, s12, v0
	v_mul_f32_e32 v0, 0x3fb8aa3b, v0
	v_exp_f32_e32 v14, v0
.LBB216_62:
	s_or_b64 exec, exec, s[2:3]
	v_or_b32_e32 v10, 2, v18
	v_cmp_gt_i32_e64 s[2:3], s40, v10
	v_mov_b32_e32 v15, 0
	v_mov_b32_e32 v17, 0
	s_and_saveexec_b64 s[4:5], s[2:3]
	s_cbranch_execz .LBB216_64
; %bb.63:
	v_add_u32_e32 v0, s34, v10
	v_ashrrev_i32_e32 v1, 31, v0
	v_mul_lo_u32 v2, v1, s28
	v_mul_lo_u32 v3, v0, s29
	v_mad_u64_u32 v[0:1], s[6:7], v0, s28, 0
	v_add3_u32 v1, v1, v3, v2
	v_lshl_add_u64 v[0:1], v[0:1], 2, s[10:11]
	global_load_dword v0, v[0:1], off
	s_waitcnt vmcnt(0)
	v_sub_f32_e32 v0, s12, v0
	v_mul_f32_e32 v0, 0x3fb8aa3b, v0
	v_exp_f32_e32 v17, v0
.LBB216_64:
	s_or_b64 exec, exec, s[4:5]
	v_or_b32_e32 v12, 3, v18
	v_cmp_gt_i32_e64 s[4:5], s40, v12
	s_and_saveexec_b64 s[6:7], s[4:5]
	s_cbranch_execz .LBB216_66
; %bb.65:
	v_add_u32_e32 v0, s34, v12
	v_ashrrev_i32_e32 v1, 31, v0
	v_mul_lo_u32 v2, v1, s28
	v_mul_lo_u32 v3, v0, s29
	v_mad_u64_u32 v[0:1], s[14:15], v0, s28, 0
	v_add3_u32 v1, v1, v3, v2
	v_lshl_add_u64 v[0:1], v[0:1], 2, s[10:11]
	global_load_dword v0, v[0:1], off
	s_waitcnt vmcnt(0)
	v_sub_f32_e32 v0, s12, v0
	v_mul_f32_e32 v0, 0x3fb8aa3b, v0
	v_exp_f32_e32 v15, v0
.LBB216_66:
	s_or_b64 exec, exec, s[6:7]
	v_or_b32_e32 v4, s30, v45
	s_add_u32 s6, s8, s24
	v_accvgpr_read_b32 v0, a12
	s_addc_u32 s7, s9, s25
	v_ashrrev_i32_e32 v5, 31, v4
	v_accvgpr_read_b32 v1, a13
	v_accvgpr_read_b32 v2, a14
	;; [unrolled: 1-line block ×3, first 2 shown]
	v_lshl_add_u64 v[4:5], v[4:5], 1, s[6:7]
	v_mov_b32_e32 v9, 0
	v_lshlrev_b32_e32 v6, 8, v18
	v_mov_b32_e32 v7, 0
	s_and_saveexec_b64 s[6:7], vcc
	s_cbranch_execz .LBB216_68
; %bb.67:
	v_mov_b32_e32 v7, 0
	v_lshl_add_u64 v[20:21], v[4:5], 0, v[6:7]
	global_load_ushort v7, v[20:21], off
	s_waitcnt vmcnt(0)
	v_lshlrev_b32_e32 v7, 16, v7
	v_sub_f32_e32 v0, v7, v0
	v_mul_f32_e32 v0, v16, v0
	v_lshrrev_b32_e32 v7, 16, v0
.LBB216_68:
	s_or_b64 exec, exec, s[6:7]
	v_lshlrev_b32_e32 v8, 8, v8
	s_and_saveexec_b64 s[6:7], s[0:1]
	s_cbranch_execz .LBB216_70
; %bb.69:
	v_mov_b32_e32 v9, 0
	v_lshl_add_u64 v[20:21], v[4:5], 0, v[8:9]
	global_load_ushort v0, v[20:21], off
	s_waitcnt vmcnt(0)
	v_lshlrev_b32_e32 v0, 16, v0
	v_sub_f32_e32 v0, v0, v1
	v_mul_f32_e32 v0, v14, v0
	v_lshrrev_b32_e32 v9, 16, v0
.LBB216_70:
	s_or_b64 exec, exec, s[6:7]
	v_mov_b32_e32 v13, 0
	v_lshlrev_b32_e32 v10, 8, v10
	v_mov_b32_e32 v11, 0
	s_and_saveexec_b64 s[6:7], s[2:3]
	s_cbranch_execz .LBB216_72
; %bb.71:
	v_mov_b32_e32 v11, 0
	v_lshl_add_u64 v[0:1], v[4:5], 0, v[10:11]
	global_load_ushort v0, v[0:1], off
	s_waitcnt vmcnt(0)
	v_lshlrev_b32_e32 v0, 16, v0
	v_sub_f32_e32 v0, v0, v2
	v_mul_f32_e32 v0, v17, v0
	v_lshrrev_b32_e32 v11, 16, v0
.LBB216_72:
	s_or_b64 exec, exec, s[6:7]
	v_lshlrev_b32_e32 v12, 8, v12
	s_and_saveexec_b64 s[6:7], s[4:5]
	s_cbranch_execz .LBB216_74
; %bb.73:
	v_mov_b32_e32 v13, 0
	v_lshl_add_u64 v[0:1], v[4:5], 0, v[12:13]
	global_load_ushort v0, v[0:1], off
	s_waitcnt vmcnt(0)
	v_lshlrev_b32_e32 v0, 16, v0
	v_sub_f32_e32 v0, v0, v3
	v_mul_f32_e32 v0, v15, v0
	v_lshrrev_b32_e32 v13, 16, v0
.LBB216_74:
	s_or_b64 exec, exec, s[6:7]
	v_lshlrev_b32_e32 v18, 6, v18
	s_mov_b32 s6, 0x5040100
	v_perm_b32 v20, v9, v7, s6
	v_or_b32_e32 v7, v18, v24
	v_accvgpr_read_b32 v0, a8
	v_perm_b32 v21, v13, v11, s6
	v_lshlrev_b32_e32 v7, 1, v7
	v_accvgpr_read_b32 v1, a9
	v_accvgpr_read_b32 v2, a10
	v_accvgpr_read_b32 v3, a11
	ds_write_b64 v7, v[20:21] offset:24576
	v_mov_b32_e32 v9, 0
	v_mov_b32_e32 v7, 0
	s_and_saveexec_b64 s[6:7], vcc
	s_cbranch_execz .LBB216_76
; %bb.75:
	v_mov_b32_e32 v7, 0
	v_lshl_add_u64 v[20:21], v[4:5], 0, v[6:7]
	global_load_ushort v7, v[20:21], off offset:32
	s_waitcnt vmcnt(0)
	v_lshlrev_b32_e32 v7, 16, v7
	v_sub_f32_e32 v0, v7, v0
	v_mul_f32_e32 v0, v16, v0
	v_lshrrev_b32_e32 v7, 16, v0
.LBB216_76:
	s_or_b64 exec, exec, s[6:7]
	s_and_saveexec_b64 s[6:7], s[0:1]
	s_cbranch_execz .LBB216_78
; %bb.77:
	v_mov_b32_e32 v9, 0
	v_lshl_add_u64 v[20:21], v[4:5], 0, v[8:9]
	global_load_ushort v0, v[20:21], off offset:32
	s_waitcnt vmcnt(0)
	v_lshlrev_b32_e32 v0, 16, v0
	v_sub_f32_e32 v0, v0, v1
	v_mul_f32_e32 v0, v14, v0
	v_lshrrev_b32_e32 v9, 16, v0
.LBB216_78:
	s_or_b64 exec, exec, s[6:7]
	v_mov_b32_e32 v13, 0
	v_mov_b32_e32 v11, 0
	s_and_saveexec_b64 s[6:7], s[2:3]
	s_cbranch_execz .LBB216_80
; %bb.79:
	v_mov_b32_e32 v11, 0
	v_lshl_add_u64 v[0:1], v[4:5], 0, v[10:11]
	global_load_ushort v0, v[0:1], off offset:32
	s_waitcnt vmcnt(0)
	v_lshlrev_b32_e32 v0, 16, v0
	v_sub_f32_e32 v0, v0, v2
	v_mul_f32_e32 v0, v17, v0
	v_lshrrev_b32_e32 v11, 16, v0
.LBB216_80:
	s_or_b64 exec, exec, s[6:7]
	s_and_saveexec_b64 s[6:7], s[4:5]
	s_cbranch_execz .LBB216_82
; %bb.81:
	v_mov_b32_e32 v13, 0
	v_lshl_add_u64 v[0:1], v[4:5], 0, v[12:13]
	global_load_ushort v0, v[0:1], off offset:32
	s_waitcnt vmcnt(0)
	v_lshlrev_b32_e32 v0, 16, v0
	v_sub_f32_e32 v0, v0, v3
	v_mul_f32_e32 v0, v15, v0
	v_lshrrev_b32_e32 v13, 16, v0
.LBB216_82:
	s_or_b64 exec, exec, s[6:7]
	s_mov_b32 s6, 0x5040100
	v_perm_b32 v20, v9, v7, s6
	v_or_b32_e32 v7, v18, v23
	v_accvgpr_read_b32 v0, a4
	v_perm_b32 v21, v13, v11, s6
	v_lshlrev_b32_e32 v7, 1, v7
	v_accvgpr_read_b32 v1, a5
	v_accvgpr_read_b32 v2, a6
	;; [unrolled: 1-line block ×3, first 2 shown]
	ds_write_b64 v7, v[20:21] offset:24576
	v_mov_b32_e32 v9, 0
	v_mov_b32_e32 v7, 0
	s_and_saveexec_b64 s[6:7], vcc
	s_cbranch_execz .LBB216_84
; %bb.83:
	v_mov_b32_e32 v7, 0
	v_lshl_add_u64 v[20:21], v[4:5], 0, v[6:7]
	global_load_ushort v7, v[20:21], off offset:64
	s_waitcnt vmcnt(0)
	v_lshlrev_b32_e32 v7, 16, v7
	v_sub_f32_e32 v0, v7, v0
	v_mul_f32_e32 v0, v16, v0
	v_lshrrev_b32_e32 v7, 16, v0
.LBB216_84:
	s_or_b64 exec, exec, s[6:7]
	s_and_saveexec_b64 s[6:7], s[0:1]
	s_cbranch_execz .LBB216_86
; %bb.85:
	v_mov_b32_e32 v9, 0
	v_lshl_add_u64 v[20:21], v[4:5], 0, v[8:9]
	global_load_ushort v0, v[20:21], off offset:64
	s_waitcnt vmcnt(0)
	v_lshlrev_b32_e32 v0, 16, v0
	v_sub_f32_e32 v0, v0, v1
	v_mul_f32_e32 v0, v14, v0
	v_lshrrev_b32_e32 v9, 16, v0
.LBB216_86:
	s_or_b64 exec, exec, s[6:7]
	v_mov_b32_e32 v13, 0
	v_mov_b32_e32 v11, 0
	s_and_saveexec_b64 s[6:7], s[2:3]
	s_cbranch_execz .LBB216_88
; %bb.87:
	v_mov_b32_e32 v11, 0
	v_lshl_add_u64 v[0:1], v[4:5], 0, v[10:11]
	global_load_ushort v0, v[0:1], off offset:64
	s_waitcnt vmcnt(0)
	v_lshlrev_b32_e32 v0, 16, v0
	v_sub_f32_e32 v0, v0, v2
	v_mul_f32_e32 v0, v17, v0
	v_lshrrev_b32_e32 v11, 16, v0
.LBB216_88:
	s_or_b64 exec, exec, s[6:7]
	s_and_saveexec_b64 s[6:7], s[4:5]
	s_cbranch_execz .LBB216_90
; %bb.89:
	v_mov_b32_e32 v13, 0
	v_lshl_add_u64 v[0:1], v[4:5], 0, v[12:13]
	global_load_ushort v0, v[0:1], off offset:64
	s_waitcnt vmcnt(0)
	v_lshlrev_b32_e32 v0, 16, v0
	v_sub_f32_e32 v0, v0, v3
	v_mul_f32_e32 v0, v15, v0
	v_lshrrev_b32_e32 v13, 16, v0
.LBB216_90:
	s_or_b64 exec, exec, s[6:7]
	s_mov_b32 s6, 0x5040100
	v_perm_b32 v20, v9, v7, s6
	v_or_b32_e32 v7, v18, v22
	v_accvgpr_read_b32 v0, a0
	v_perm_b32 v21, v13, v11, s6
	v_lshlrev_b32_e32 v7, 1, v7
	v_accvgpr_read_b32 v1, a1
	v_accvgpr_read_b32 v2, a2
	;; [unrolled: 1-line block ×3, first 2 shown]
	ds_write_b64 v7, v[20:21] offset:24576
	v_mov_b32_e32 v9, 0
	v_mov_b32_e32 v7, 0
	s_and_saveexec_b64 s[6:7], vcc
	s_cbranch_execz .LBB216_92
; %bb.91:
	v_mov_b32_e32 v7, 0
	v_lshl_add_u64 v[6:7], v[4:5], 0, v[6:7]
	global_load_ushort v6, v[6:7], off offset:96
	s_waitcnt vmcnt(0)
	v_lshlrev_b32_e32 v6, 16, v6
	v_sub_f32_e32 v0, v6, v0
	v_mul_f32_e32 v0, v16, v0
	v_lshrrev_b32_e32 v7, 16, v0
.LBB216_92:
	s_or_b64 exec, exec, s[6:7]
	s_and_saveexec_b64 s[6:7], s[0:1]
	s_cbranch_execz .LBB216_94
; %bb.93:
	v_mov_b32_e32 v9, 0
	v_lshl_add_u64 v[8:9], v[4:5], 0, v[8:9]
	global_load_ushort v0, v[8:9], off offset:96
	s_waitcnt vmcnt(0)
	v_lshlrev_b32_e32 v0, 16, v0
	v_sub_f32_e32 v0, v0, v1
	v_mul_f32_e32 v0, v14, v0
	v_lshrrev_b32_e32 v9, 16, v0
.LBB216_94:
	s_or_b64 exec, exec, s[6:7]
	v_mov_b32_e32 v0, 0
	v_mov_b32_e32 v1, 0
	s_and_saveexec_b64 s[0:1], s[2:3]
	s_cbranch_execz .LBB216_96
; %bb.95:
	v_mov_b32_e32 v11, 0
	v_lshl_add_u64 v[10:11], v[4:5], 0, v[10:11]
	global_load_ushort v1, v[10:11], off offset:96
	s_waitcnt vmcnt(0)
	v_lshlrev_b32_e32 v1, 16, v1
	v_sub_f32_e32 v1, v1, v2
	v_mul_f32_e32 v1, v17, v1
	v_lshrrev_b32_e32 v1, 16, v1
.LBB216_96:
	s_or_b64 exec, exec, s[0:1]
	s_and_saveexec_b64 s[0:1], s[4:5]
	s_cbranch_execz .LBB216_98
; %bb.97:
	v_mov_b32_e32 v13, 0
	v_lshl_add_u64 v[4:5], v[4:5], 0, v[12:13]
	global_load_ushort v0, v[4:5], off offset:96
	s_waitcnt vmcnt(0)
	v_lshlrev_b32_e32 v0, 16, v0
	v_sub_f32_e32 v0, v0, v3
	v_mul_f32_e32 v0, v15, v0
	v_lshrrev_b32_e32 v0, 16, v0
.LBB216_98:
	s_or_b64 exec, exec, s[0:1]
	s_mov_b32 s0, 0x5040100
	v_or_b32_e32 v2, v18, v19
	v_perm_b32 v1, v0, v1, s0
	v_perm_b32 v0, v9, v7, s0
	v_lshlrev_b32_e32 v2, 1, v2
	ds_write_b64 v2, v[0:1] offset:24576
	s_waitcnt lgkmcnt(0)
	s_barrier
.LBB216_99:
	s_endpgm
	.section	.rodata,"a",@progbits
	.p2align	6, 0x0
	.amdhsa_kernel _ZN12_GLOBAL__N_139chunk_gated_delta_rule_fwd_h_hip_kernelILi64ELb0ELb0ELb0ELb1ELb0ELb1ELb0ELb0EEEvPK12hip_bfloat16S3_S3_PKfS5_PKvPS1_S8_PvPKiSB_iiiiilll
		.amdhsa_group_segment_fixed_size 65536
		.amdhsa_private_segment_fixed_size 0
		.amdhsa_kernarg_size 136
		.amdhsa_user_sgpr_count 2
		.amdhsa_user_sgpr_dispatch_ptr 0
		.amdhsa_user_sgpr_queue_ptr 0
		.amdhsa_user_sgpr_kernarg_segment_ptr 1
		.amdhsa_user_sgpr_dispatch_id 0
		.amdhsa_user_sgpr_kernarg_preload_length 0
		.amdhsa_user_sgpr_kernarg_preload_offset 0
		.amdhsa_user_sgpr_private_segment_size 0
		.amdhsa_uses_dynamic_stack 0
		.amdhsa_enable_private_segment 0
		.amdhsa_system_sgpr_workgroup_id_x 1
		.amdhsa_system_sgpr_workgroup_id_y 1
		.amdhsa_system_sgpr_workgroup_id_z 0
		.amdhsa_system_sgpr_workgroup_info 0
		.amdhsa_system_vgpr_workitem_id 0
		.amdhsa_next_free_vgpr 232
		.amdhsa_next_free_sgpr 62
		.amdhsa_accum_offset 192
		.amdhsa_reserve_vcc 1
		.amdhsa_float_round_mode_32 0
		.amdhsa_float_round_mode_16_64 0
		.amdhsa_float_denorm_mode_32 3
		.amdhsa_float_denorm_mode_16_64 3
		.amdhsa_dx10_clamp 1
		.amdhsa_ieee_mode 1
		.amdhsa_fp16_overflow 0
		.amdhsa_tg_split 0
		.amdhsa_exception_fp_ieee_invalid_op 0
		.amdhsa_exception_fp_denorm_src 0
		.amdhsa_exception_fp_ieee_div_zero 0
		.amdhsa_exception_fp_ieee_overflow 0
		.amdhsa_exception_fp_ieee_underflow 0
		.amdhsa_exception_fp_ieee_inexact 0
		.amdhsa_exception_int_div_zero 0
	.end_amdhsa_kernel
	.section	.text._ZN12_GLOBAL__N_139chunk_gated_delta_rule_fwd_h_hip_kernelILi64ELb0ELb0ELb0ELb1ELb0ELb1ELb0ELb0EEEvPK12hip_bfloat16S3_S3_PKfS5_PKvPS1_S8_PvPKiSB_iiiiilll,"axG",@progbits,_ZN12_GLOBAL__N_139chunk_gated_delta_rule_fwd_h_hip_kernelILi64ELb0ELb0ELb0ELb1ELb0ELb1ELb0ELb0EEEvPK12hip_bfloat16S3_S3_PKfS5_PKvPS1_S8_PvPKiSB_iiiiilll,comdat
.Lfunc_end216:
	.size	_ZN12_GLOBAL__N_139chunk_gated_delta_rule_fwd_h_hip_kernelILi64ELb0ELb0ELb0ELb1ELb0ELb1ELb0ELb0EEEvPK12hip_bfloat16S3_S3_PKfS5_PKvPS1_S8_PvPKiSB_iiiiilll, .Lfunc_end216-_ZN12_GLOBAL__N_139chunk_gated_delta_rule_fwd_h_hip_kernelILi64ELb0ELb0ELb0ELb1ELb0ELb1ELb0ELb0EEEvPK12hip_bfloat16S3_S3_PKfS5_PKvPS1_S8_PvPKiSB_iiiiilll
                                        ; -- End function
	.section	.AMDGPU.csdata,"",@progbits
; Kernel info:
; codeLenInByte = 11012
; NumSgprs: 68
; NumVgprs: 190
; NumAgprs: 40
; TotalNumVgprs: 232
; ScratchSize: 0
; MemoryBound: 0
; FloatMode: 240
; IeeeMode: 1
; LDSByteSize: 65536 bytes/workgroup (compile time only)
; SGPRBlocks: 8
; VGPRBlocks: 28
; NumSGPRsForWavesPerEU: 68
; NumVGPRsForWavesPerEU: 232
; AccumOffset: 192
; Occupancy: 1
; WaveLimiterHint : 1
; COMPUTE_PGM_RSRC2:SCRATCH_EN: 0
; COMPUTE_PGM_RSRC2:USER_SGPR: 2
; COMPUTE_PGM_RSRC2:TRAP_HANDLER: 0
; COMPUTE_PGM_RSRC2:TGID_X_EN: 1
; COMPUTE_PGM_RSRC2:TGID_Y_EN: 1
; COMPUTE_PGM_RSRC2:TGID_Z_EN: 0
; COMPUTE_PGM_RSRC2:TIDIG_COMP_CNT: 0
; COMPUTE_PGM_RSRC3_GFX90A:ACCUM_OFFSET: 47
; COMPUTE_PGM_RSRC3_GFX90A:TG_SPLIT: 0
	.section	.text._ZN12_GLOBAL__N_139chunk_gated_delta_rule_fwd_h_hip_kernelILi64ELb1ELb1ELb1ELb0ELb0ELb1ELb0ELb0EEEvPK12hip_bfloat16S3_S3_PKfS5_PKvPS1_S8_PvPKiSB_iiiiilll,"axG",@progbits,_ZN12_GLOBAL__N_139chunk_gated_delta_rule_fwd_h_hip_kernelILi64ELb1ELb1ELb1ELb0ELb0ELb1ELb0ELb0EEEvPK12hip_bfloat16S3_S3_PKfS5_PKvPS1_S8_PvPKiSB_iiiiilll,comdat
	.globl	_ZN12_GLOBAL__N_139chunk_gated_delta_rule_fwd_h_hip_kernelILi64ELb1ELb1ELb1ELb0ELb0ELb1ELb0ELb0EEEvPK12hip_bfloat16S3_S3_PKfS5_PKvPS1_S8_PvPKiSB_iiiiilll ; -- Begin function _ZN12_GLOBAL__N_139chunk_gated_delta_rule_fwd_h_hip_kernelILi64ELb1ELb1ELb1ELb0ELb0ELb1ELb0ELb0EEEvPK12hip_bfloat16S3_S3_PKfS5_PKvPS1_S8_PvPKiSB_iiiiilll
	.p2align	8
	.type	_ZN12_GLOBAL__N_139chunk_gated_delta_rule_fwd_h_hip_kernelILi64ELb1ELb1ELb1ELb0ELb0ELb1ELb0ELb0EEEvPK12hip_bfloat16S3_S3_PKfS5_PKvPS1_S8_PvPKiSB_iiiiilll,@function
_ZN12_GLOBAL__N_139chunk_gated_delta_rule_fwd_h_hip_kernelILi64ELb1ELb1ELb1ELb0ELb0ELb1ELb0ELb0EEEvPK12hip_bfloat16S3_S3_PKfS5_PKvPS1_S8_PvPKiSB_iiiiilll: ; @_ZN12_GLOBAL__N_139chunk_gated_delta_rule_fwd_h_hip_kernelILi64ELb1ELb1ELb1ELb0ELb0ELb1ELb0ELb0EEEvPK12hip_bfloat16S3_S3_PKfS5_PKvPS1_S8_PvPKiSB_iiiiilll
; %bb.0:
	s_load_dwordx4 s[24:27], s[0:1], 0x5c
	s_abs_i32 s6, s3
	s_ashr_i32 s5, s3, 31
	v_and_b32_e32 v99, 15, v0
	v_bfe_u32 v98, v0, 4, 2
	s_waitcnt lgkmcnt(0)
	s_abs_i32 s4, s25
	v_cvt_f32_u32_e32 v1, s4
	s_sub_i32 s8, 0, s4
	s_ashr_i32 s7, s25, 31
	s_xor_b32 s5, s5, s7
	v_rcp_iflag_f32_e32 v1, v1
	v_mov_b32_e32 v79, 0
	v_lshlrev_b32_e32 v100, 3, v0
	v_mul_f32_e32 v1, 0x4f7ffffe, v1
	v_cvt_u32_f32_e32 v1, v1
	s_nop 0
	v_readfirstlane_b32 s9, v1
	s_mul_i32 s8, s8, s9
	s_mul_hi_u32 s8, s9, s8
	s_add_i32 s9, s9, s8
	s_mul_hi_u32 s8, s6, s9
	s_mul_i32 s9, s8, s4
	s_sub_i32 s6, s6, s9
	s_add_i32 s10, s8, 1
	s_sub_i32 s9, s6, s4
	s_cmp_ge_u32 s6, s4
	s_cselect_b32 s8, s10, s8
	s_cselect_b32 s6, s9, s6
	s_add_i32 s9, s8, 1
	s_cmp_ge_u32 s6, s4
	s_cselect_b32 s6, s9, s8
	s_xor_b32 s6, s6, s5
	s_sub_i32 s58, s6, s5
	s_mul_i32 s6, s58, s25
	s_sub_i32 s33, s3, s6
	s_abs_i32 s3, s26
	v_cvt_f32_u32_e32 v1, s3
	s_add_i32 s8, s24, 63
	s_ashr_i32 s9, s8, 31
	s_lshr_b32 s5, s9, 26
	v_rcp_iflag_f32_e32 v1, v1
	s_ashr_i32 s57, s24, 31
	s_add_i32 s8, s8, s5
	s_lshr_b32 s5, s57, 26
	v_mul_f32_e32 v1, 0x4f7ffffe, v1
	v_cvt_u32_f32_e32 v1, v1
	s_add_i32 s5, s24, s5
	s_ashr_i32 s60, s26, 31
	s_ashr_i32 s28, s8, 6
	;; [unrolled: 1-line block ×3, first 2 shown]
	s_xor_b32 s5, s7, s60
	s_sub_i32 s7, 0, s3
	v_readfirstlane_b32 s8, v1
	s_mul_i32 s7, s7, s8
	s_mul_hi_u32 s7, s8, s7
	s_add_i32 s8, s8, s7
	s_mul_hi_u32 s7, s4, s8
	s_mul_i32 s8, s7, s3
	s_sub_i32 s4, s4, s8
	s_lshl_b32 s2, s2, 6
	s_add_i32 s8, s7, 1
	s_sub_i32 s9, s4, s3
	s_cmp_ge_u32 s4, s3
	s_cselect_b32 s7, s8, s7
	s_cselect_b32 s4, s9, s4
	s_add_i32 s8, s7, 1
	s_cmp_ge_u32 s4, s3
	s_cselect_b32 s3, s8, s7
	s_xor_b32 s3, s3, s5
	s_sub_i32 s3, s3, s5
	s_abs_i32 s4, s3
	v_cvt_f32_u32_e32 v1, s4
	s_sub_i32 s7, 0, s4
	s_abs_i32 s5, s33
	s_xor_b32 s3, s33, s3
	v_rcp_iflag_f32_e32 v2, v1
	s_ashr_i32 s3, s3, 31
	s_load_dwordx8 s[8:15], s[0:1], 0x20
	v_lshrrev_b32_e32 v1, 6, v0
	v_mul_f32_e32 v2, 0x4f7ffffe, v2
	v_cvt_u32_f32_e32 v2, v2
	v_or_b32_e32 v88, s2, v99
	v_lshlrev_b32_e32 v77, 4, v1
	v_lshlrev_b32_e32 v80, 7, v88
	v_readfirstlane_b32 s16, v2
	s_mul_i32 s7, s7, s16
	s_mul_hi_u32 s7, s16, s7
	s_add_i32 s16, s16, s7
	s_mul_hi_u32 s7, s5, s16
	s_mul_i32 s16, s7, s4
	s_sub_i32 s5, s5, s16
	s_add_i32 s16, s7, 1
	s_sub_i32 s17, s5, s4
	s_cmp_ge_u32 s5, s4
	s_cselect_b32 s7, s16, s7
	s_cselect_b32 s5, s17, s5
	s_add_i32 s16, s7, 1
	s_cmp_ge_u32 s5, s4
	s_cselect_b32 s4, s16, s7
	s_xor_b32 s4, s4, s3
	s_sub_i32 s61, s4, s3
	s_ashr_i32 s3, s58, 31
	s_ashr_i32 s50, s33, 31
	s_mul_hi_i32 s4, s58, s25
	s_add_u32 s42, s6, s33
	s_addc_u32 s43, s4, s50
	s_lshl_b64 s[34:35], s[42:43], 16
	s_waitcnt lgkmcnt(0)
	s_add_u32 s4, s10, s34
	v_lshl_or_b32 v102, v98, 2, v77
	s_addc_u32 s5, s11, s35
	v_ashrrev_i32_e32 v81, 31, v80
	v_lshl_add_u64 v[2:3], v[80:81], 2, s[4:5]
	v_lshlrev_b32_e32 v78, 2, v102
	v_or_b32_e32 v82, 0x800, v80
	v_lshl_add_u64 v[2:3], v[2:3], 0, v[78:79]
	v_ashrrev_i32_e32 v83, 31, v82
	global_load_dwordx4 v[22:25], v[2:3], off
	global_load_dwordx4 v[10:13], v[2:3], off offset:256
	v_lshl_add_u64 v[2:3], v[82:83], 2, s[4:5]
	v_or_b32_e32 v86, 0x1000, v80
	v_lshl_add_u64 v[2:3], v[2:3], 0, v[78:79]
	v_ashrrev_i32_e32 v87, 31, v86
	global_load_dwordx4 v[26:29], v[2:3], off
	global_load_dwordx4 v[14:17], v[2:3], off offset:256
	v_lshl_add_u64 v[2:3], v[86:87], 2, s[4:5]
	;; [unrolled: 6-line block ×3, first 2 shown]
	v_lshl_add_u64 v[34:35], v[2:3], 0, v[78:79]
	global_load_dwordx4 v[6:9], v[34:35], off
	global_load_dwordx4 v[2:5], v[34:35], off offset:256
	s_load_dwordx2 s[10:11], s[0:1], 0x40
	s_load_dwordx8 s[16:23], s[0:1], 0x0
	s_load_dwordx2 s[36:37], s[0:1], 0x80
	s_load_dwordx4 s[4:7], s[0:1], 0x70
	v_and_b32_e32 v79, 63, v0
	s_mul_i32 s51, s58, s24
	s_mul_i32 s62, s58, s28
	v_or_b32_e32 v103, 64, v102
	s_cmp_lt_i32 s24, 64
	v_lshrrev_b32_e32 v101, 3, v79
	s_mul_i32 s63, s43, s24
	s_mul_hi_u32 s64, s42, s24
	s_mul_i32 s44, s42, s24
	s_waitcnt lgkmcnt(0)
	s_mul_i32 s43, s58, s5
	s_mul_hi_u32 s53, s58, s4
	s_mul_i32 s52, s3, s4
	s_mul_i32 s40, s58, s4
	;; [unrolled: 1-line block ×3, first 2 shown]
	s_mul_hi_u32 s55, s33, s6
	s_mul_i32 s56, s50, s6
	s_mul_i32 s38, s33, s6
	s_cbranch_scc1 .LBB217_18
; %bb.1:
	s_add_i32 s45, s64, s63
	s_lshl_b64 s[0:1], s[44:45], 8
	v_and_b32_e32 v105, 56, v100
	s_add_u32 s4, s18, s0
	v_lshl_or_b32 v104, v1, 3, v101
	v_lshlrev_b32_e32 v34, 1, v105
	s_addc_u32 s0, s19, s1
	v_lshl_or_b32 v106, v104, 8, v34
	s_and_b32 s5, s0, 0xffff
	s_mov_b32 s7, 0x20000
	s_movk_i32 s6, 0x4000
	s_movk_i32 s0, 0x80
	v_or_b32_e32 v107, 0x2000, v106
	buffer_load_dwordx4 v[36:39], v106, s[4:7], 0 offen
	buffer_load_dwordx4 v[40:43], v106, s[4:7], s0 offen
	;; [unrolled: 1-line block ×4, first 2 shown]
	v_lshlrev_b32_e32 v35, 3, v104
	v_and_or_b32 v53, v0, 7, v35
	v_and_b32_e32 v35, 0x78, v35
	v_lshlrev_b32_e32 v53, 4, v53
	v_xor_b32_e32 v108, v53, v35
	v_mul_lo_u32 v52, v104, s27
	v_or_b32_e32 v109, 0x1000, v108
	v_xor_b32_e32 v35, 8, v108
	s_cmpk_eq_i32 s27, 0x80
	s_mov_b32 s65, s26
	v_xor_b32_e32 v53, 8, v109
	s_cselect_b64 s[0:1], -1, 0
	s_cmpk_lg_i32 s27, 0x80
	s_waitcnt vmcnt(3)
	ds_write_b64 v108, v[36:37] offset:49152
	ds_write_b64 v35, v[38:39] offset:49152
	s_waitcnt vmcnt(2)
	ds_write_b64 v108, v[40:41] offset:57344
	ds_write_b64 v35, v[42:43] offset:57344
	;; [unrolled: 3-line block ×4, first 2 shown]
	v_lshl_add_u32 v35, v52, 1, v105
	s_cbranch_scc0 .LBB217_3
; %bb.2:
	v_lshlrev_b32_e32 v37, 1, v35
	v_add_lshl_u32 v36, v35, s27, 1
	s_lshl_b32 s6, s27, 7
	v_lshl_or_b32 v34, v104, 9, v34
	s_cbranch_execz .LBB217_4
	s_branch .LBB217_5
.LBB217_3:
                                        ; implicit-def: $vgpr36
                                        ; implicit-def: $vgpr37
                                        ; implicit-def: $sgpr6
	v_lshl_or_b32 v34, v104, 9, v34
.LBB217_4:
	v_or_b32_e32 v36, 0x100, v34
	s_movk_i32 s6, 0x4000
	v_mov_b32_e32 v37, v34
.LBB217_5:
	s_mul_hi_u32 s4, s26, s24
	s_mul_i32 s5, s60, s24
	s_add_i32 s4, s4, s5
	s_mul_i32 s5, s26, s24
	s_mul_i32 s7, s5, s3
	s_mul_hi_u32 s28, s5, s58
	s_add_i32 s7, s28, s7
	s_mul_i32 s4, s4, s58
	s_add_i32 s7, s7, s4
	s_mul_i32 s5, s5, s58
	s_ashr_i32 s66, s61, 31
	s_add_u32 s4, s5, s61
	s_addc_u32 s5, s7, s66
	s_lshl_b64 s[4:5], s[4:5], 8
	s_add_u32 s4, s16, s4
	s_addc_u32 s5, s17, s5
	s_and_b32 s5, s5, 0xffff
	s_mov_b32 s7, 0x20000
	s_movk_i32 s67, 0x80
	buffer_load_dwordx4 v[38:41], v37, s[4:7], 0 offen
	buffer_load_dwordx4 v[42:45], v37, s[4:7], s67 offen
	;; [unrolled: 1-line block ×4, first 2 shown]
	v_and_b32_e32 v37, 6, v0
	v_lshlrev_b32_e32 v36, 7, v102
	v_xor_b32_e32 v58, v104, v37
	v_and_b32_e32 v54, 1, v0
	v_lshl_or_b32 v61, v99, 3, v36
	v_lshlrev_b32_e32 v58, 2, v58
	v_or_b32_e32 v110, 0x4000, v61
	v_or_b32_e32 v111, 0x6000, v61
	v_xor_b32_e32 v61, 0x440, v58
	v_cmp_eq_u32_e32 vcc, 0, v54
	v_lshlrev_b32_e32 v55, 2, v99
	v_or_b32_e32 v57, 16, v99
	v_cndmask_b32_e32 v54, v61, v58, vcc
	s_mov_b32 s69, 0x1000504
	v_xor_b32_e32 v59, v102, v55
	v_xor_b32_e32 v60, v103, v55
	v_lshl_or_b32 v62, v57, 3, v36
	v_lshl_or_b32 v37, v37, 10, v54
	s_mov_b32 s70, 0x3020706
	v_lshlrev_b32_e32 v56, 8, v99
	v_lshlrev_b32_e32 v59, 1, v59
	;; [unrolled: 1-line block ×3, first 2 shown]
	v_or_b32_e32 v112, 0x4000, v62
	v_or_b32_e32 v113, 0x6000, v62
	v_xor_b32_e32 v54, 8, v37
	v_xor_b32_e32 v58, 24, v37
	;; [unrolled: 1-line block ×4, first 2 shown]
	s_mul_i32 s3, s3, s24
	s_mul_hi_u32 s4, s58, s24
	v_or_b32_e32 v114, v56, v59
	v_or_b32_e32 v115, v56, v60
	v_xor_b32_e32 v56, 16, v37
	v_xor_b32_e32 v61, 32, v37
	;; [unrolled: 1-line block ×3, first 2 shown]
	v_add_u32_e32 v54, 0x80, v54
	v_add_u32_e32 v58, 0x80, v58
	;; [unrolled: 1-line block ×4, first 2 shown]
	s_add_i32 s71, s4, s3
	s_add_i32 s3, s53, s43
	s_add_i32 s41, s3, s52
	s_add_i32 s3, s55, s54
	s_add_i32 s39, s3, s56
	s_lshl_b64 s[4:5], s[40:41], 2
	s_add_u32 s3, s22, s4
	s_addc_u32 s28, s23, s5
	s_lshl_b64 s[4:5], s[38:39], 2
	s_add_u32 s46, s3, s4
	s_movk_i32 s3, 0xf8
	s_addc_u32 s47, s28, s5
	s_lshl_b32 s30, s27, 7
	s_movk_i32 s28, 0x100
	v_mov_b32_e32 v91, 0
	v_lshlrev_b32_e32 v90, 4, v99
	v_ashrrev_i32_e32 v89, 31, v88
	s_mov_b32 s68, 0
	s_movk_i32 s6, 0x4000
	s_mov_b32 s39, 0x7060302
	s_movk_i32 s41, 0x2000
	s_movk_i32 s72, 0x3000
	v_mov_b32_e32 v155, 0x3fb8aa3b
	s_mov_b32 s74, 0
	s_waitcnt vmcnt(1)
	v_perm_b32 v65, v38, v46, s69
	s_waitcnt vmcnt(0)
	v_perm_b32 v66, v42, v50, s69
	v_perm_b32 v38, v38, v46, s70
	;; [unrolled: 1-line block ×15, first 2 shown]
	ds_write2st64_b32 v37, v65, v66 offset0:128 offset1:160
	ds_write2st64_b32 v54, v38, v42 offset0:128 offset1:160
	;; [unrolled: 1-line block ×8, first 2 shown]
	v_lshlrev_b32_e32 v37, 8, v57
	v_or_b32_e32 v116, v37, v59
	v_or_b32_e32 v117, v37, v60
	;; [unrolled: 1-line block ×3, first 2 shown]
	v_lshl_or_b32 v38, v37, 3, v36
	v_lshlrev_b32_e32 v37, 8, v37
	v_or_b32_e32 v120, v37, v59
	v_or_b32_e32 v121, v37, v60
	;; [unrolled: 1-line block ×5, first 2 shown]
	v_lshl_or_b32 v38, v37, 3, v36
	v_lshlrev_b32_e32 v37, 8, v37
	v_or_b32_e32 v124, v37, v59
	v_or_b32_e32 v125, v37, v60
	;; [unrolled: 1-line block ×3, first 2 shown]
	v_lshlrev_b32_e32 v37, 3, v37
	v_lshrrev_b32_e32 v39, 5, v79
	v_and_or_b32 v39, v37, s3, v39
	v_lshlrev_b32_e32 v39, 4, v39
	v_or_b32_e32 v122, 0x4000, v38
	v_or_b32_e32 v123, 0x6000, v38
	v_lshrrev_b32_e32 v38, 2, v79
	v_lshlrev_b32_e32 v41, 11, v1
	v_and_b32_e32 v37, 0x78, v37
	v_or_b32_e32 v45, 32, v39
	v_and_b32_e32 v40, 12, v38
	v_and_b32_e32 v38, 0x1000, v41
	v_lshrrev_b32_e32 v43, 1, v79
	v_xor_b32_e32 v45, v45, v37
	v_xor_b32_e32 v42, v39, v37
	v_and_b32_e32 v43, 8, v43
	v_or_b32_e32 v45, v45, v38
	v_or_b32_e32 v42, v42, v38
	v_xor_b32_e32 v128, v45, v43
	v_or_b32_e32 v45, 64, v39
	v_or_b32_e32 v39, 0x60, v39
	v_xor_b32_e32 v126, v42, v43
	v_lshlrev_b32_e32 v42, 8, v98
	v_xor_b32_e32 v45, v45, v37
	v_xor_b32_e32 v37, v39, v37
	s_ashr_i32 s3, s2, 31
	v_or_b32_e32 v44, v42, v55
	v_or_b32_e32 v45, v45, v38
	v_or_b32_e32 v37, v37, v38
	s_lshl_b64 s[4:5], s[2:3], 8
	v_lshlrev_b32_e32 v47, 2, v0
	v_lshlrev_b32_e32 v44, 1, v44
	v_xor_b32_e32 v132, v45, v43
	v_xor_b32_e32 v133, v37, v43
	v_lshlrev_b32_e32 v37, 1, v35
	v_add_lshl_u32 v35, v35, s27, 1
	v_or_b32_e32 v43, 0x100, v34
	s_add_u32 s4, s12, s4
	v_lshlrev_b32_e32 v38, 1, v99
	v_lshrrev_b32_e32 v48, 1, v0
	v_and_or_b32 v42, v47, 60, v42
	v_or_b32_e32 v127, 0x4000, v44
	v_or_b32_e32 v129, 0x4080, v44
	;; [unrolled: 1-line block ×8, first 2 shown]
	v_lshrrev_b32_e32 v44, 4, v0
	s_addc_u32 s5, s13, s5
	v_or_b32_e32 v39, 1, v38
	v_and_b32_e32 v48, 24, v48
	v_lshlrev_b32_e32 v42, 1, v42
	v_cndmask_b32_e64 v144, v37, v34, s[0:1]
	v_cndmask_b32_e64 v145, v35, v43, s[0:1]
	v_mov_b32_e32 v35, 0xa000
	v_mov_b32_e32 v37, 0x8000
	v_cmp_gt_u32_e64 s[0:1], s28, v0
	v_xor_b32_e32 v45, v44, v38
	v_xor_b32_e32 v46, v39, v44
	v_lshl_add_u64 v[38:39], s[4:5], 0, v[90:91]
	v_lshlrev_b32_e32 v90, 8, v44
	v_or_b32_e32 v140, 0x6000, v42
	v_or_b32_e32 v47, 32, v48
	;; [unrolled: 1-line block ×6, first 2 shown]
	v_cndmask_b32_e64 v35, v35, v37, s[0:1]
	v_lshlrev_b32_e32 v37, 3, v1
	v_lshl_or_b32 v138, v45, 3, v90
	v_and_b32_e32 v45, 8, v0
	v_xor_b32_e32 v43, v37, v48
	v_xor_b32_e32 v47, v37, v47
	;; [unrolled: 1-line block ×3, first 2 shown]
	v_mov_b32_e32 v49, 0x400
	v_cmp_eq_u32_e32 vcc, 0, v45
	v_or_b32_e32 v48, 0x440, v43
	v_or_b32_e32 v50, 0x440, v47
	v_xor_b32_e32 v42, 0x440, v37
	v_and_b32_e32 v44, 7, v0
	v_cndmask_b32_e64 v45, v49, 64, vcc
	v_cndmask_b32_e32 v48, v48, v43, vcc
	v_cndmask_b32_e32 v47, v50, v47, vcc
	;; [unrolled: 1-line block ×3, first 2 shown]
	v_lshl_or_b32 v139, v46, 3, v90
	v_lshlrev_b32_e32 v46, 3, v44
	v_or_b32_e32 v48, v48, v41
	v_or_b32_e32 v47, v47, v41
	v_or3_b32 v43, v41, v45, v43
	v_or_b32_e32 v37, v37, v41
	v_lshlrev_b32_e32 v44, 7, v44
	v_xor_b32_e32 v48, v48, v46
	v_xor_b32_e32 v47, v47, v46
	;; [unrolled: 1-line block ×4, first 2 shown]
	v_or_b32_e32 v34, v77, v40
	v_add_u32_e32 v49, v35, v48
	v_add_u32_e32 v50, v35, v47
	v_or_b32_e32 v146, v43, v44
	v_add_u32_e32 v41, v35, v37
	v_or3_b32 v40, v77, v40, 64
	v_add_u32_e32 v45, 0xa000, v48
	v_add_u32_e32 v46, 0xa000, v47
	v_add_u32_e32 v37, 0xa000, v37
	v_lshlrev_b64 v[42:43], 1, v[88:89]
	v_lshl_add_u64 v[92:93], s[20:21], 0, v[42:43]
	v_lshl_add_u64 v[94:95], s[14:15], 0, v[42:43]
	;; [unrolled: 1-line block ×3, first 2 shown]
	s_add_i32 s3, s51, 63
	v_lshlrev_b32_e32 v90, 1, v36
	v_lshlrev_b32_e32 v89, 2, v34
	v_add_u32_e32 v147, v49, v44
	v_add_u32_e32 v148, v50, v44
	;; [unrolled: 1-line block ×4, first 2 shown]
	v_lshlrev_b32_e32 v151, 2, v40
	v_add_u32_e32 v152, v45, v44
	v_add_u32_e32 v153, v46, v44
	;; [unrolled: 1-line block ×3, first 2 shown]
	s_waitcnt lgkmcnt(0)
	s_barrier
.LBB217_6:                              ; =>This Inner Loop Header: Depth=1
	s_add_i32 s73, s74, 1
	s_cmp_lt_i32 s73, s59
	s_mov_b64 s[28:29], 0
	s_cselect_b64 s[48:49], -1, 0
	s_cmp_ge_i32 s73, s59
	s_mov_b64 s[4:5], 0
	s_cbranch_scc1 .LBB217_8
; %bb.7:                                ;   in Loop: Header=BB217_6 Depth=1
	s_add_i32 s0, s68, 64
	s_add_u32 s0, s44, s0
	s_addc_u32 s1, s45, 0
	s_lshl_b64 s[0:1], s[0:1], 8
	s_add_u32 s4, s18, s0
	s_addc_u32 s5, s19, s1
.LBB217_8:                              ;   in Loop: Header=BB217_6 Depth=1
	v_cndmask_b32_e64 v34, 0, 1, s[48:49]
	v_cmp_ne_u32_e64 s[0:1], 1, v34
	s_andn2_b64 vcc, exec, s[48:49]
	s_cbranch_vccnz .LBB217_10
; %bb.9:                                ;   in Loop: Header=BB217_6 Depth=1
	s_add_i32 s28, s68, 64
	s_add_u32 s28, s51, s28
	s_addc_u32 s29, s71, 0
	s_mul_i32 s31, s28, s60
	s_mul_hi_u32 s48, s28, s65
	s_add_i32 s31, s48, s31
	s_mul_i32 s29, s29, s65
	s_add_i32 s31, s31, s29
	s_mul_i32 s28, s28, s65
	s_add_u32 s28, s28, s61
	s_addc_u32 s29, s31, s66
	s_lshl_b64 s[28:29], s[28:29], 8
	s_add_u32 s28, s16, s28
	s_addc_u32 s29, s17, s29
.LBB217_10:                             ;   in Loop: Header=BB217_6 Depth=1
	v_perm_b32 v35, v25, v24, s39
	v_perm_b32 v34, v23, v22, s39
	v_perm_b32 v37, v13, v12, s39
	v_perm_b32 v36, v11, v10, s39
	ds_write_b64 v110, v[34:35]
	ds_write_b64 v111, v[36:37]
	ds_write_b64 v114, v[34:35]
	ds_write_b64 v115, v[36:37]
	v_perm_b32 v35, v29, v28, s39
	v_perm_b32 v34, v27, v26, s39
	v_perm_b32 v37, v17, v16, s39
	v_perm_b32 v36, v15, v14, s39
	ds_write_b64 v112, v[34:35]
	ds_write_b64 v113, v[36:37]
	ds_write_b64 v116, v[34:35]
	ds_write_b64 v117, v[36:37]
	;; [unrolled: 8-line block ×4, first 2 shown]
	s_waitcnt lgkmcnt(0)
	s_barrier
	ds_read_b64 v[38:39], v126 offset:49152
	ds_read2_b64 v[34:37], v127 offset1:16
	ds_read_b64 v[50:51], v129 offset:6144
	ds_read_b64 v[52:53], v127 offset:6144
	s_waitcnt lgkmcnt(2)
	v_mfma_f32_16x16x16_bf16 a[0:3], v[38:39], v[34:35], 0
	ds_read_b64 v[54:55], v128 offset:49152
	ds_read2st64_b64 v[42:45], v130 offset0:4 offset1:8
	ds_read2st64_b64 v[46:49], v131 offset0:4 offset1:8
	v_mfma_f32_16x16x16_bf16 a[4:7], v[38:39], v[36:37], 0
	ds_read2_b64 v[34:37], v127 offset0:32 offset1:48
	s_add_i32 s31, s68, 63
	s_mul_i32 s48, s31, s37
	s_waitcnt lgkmcnt(0)
	v_mfma_f32_16x16x16_bf16 a[8:11], v[38:39], v[34:35], 0
	s_mul_hi_u32 s49, s31, s36
	s_add_i32 s49, s49, s48
	s_mul_i32 s48, s31, s36
	v_mfma_f32_16x16x16_bf16 a[12:15], v[38:39], v[36:37], 0
	ds_read2st64_b64 v[34:37], v127 offset0:4 offset1:8
	ds_read2st64_b64 v[38:41], v129 offset0:4 offset1:8
	s_lshl_b64 s[48:49], s[48:49], 2
	s_waitcnt lgkmcnt(1)
	v_mfma_f32_16x16x16_bf16 a[0:3], v[54:55], v[34:35], a[0:3]
	s_add_u32 s48, s46, s48
	s_addc_u32 s49, s47, s49
	s_and_b64 vcc, exec, s[0:1]
	s_waitcnt lgkmcnt(0)
	v_mfma_f32_16x16x16_bf16 a[4:7], v[54:55], v[38:39], a[4:7]
	v_mov_b32_e32 v158, 0
	v_mov_b32_e32 v157, 0
	;; [unrolled: 1-line block ×3, first 2 shown]
	v_mfma_f32_16x16x16_bf16 a[8:11], v[54:55], v[42:43], a[8:11]
	ds_read_b64 v[34:35], v132 offset:49152
	ds_read_b64 v[38:39], v133 offset:49152
	;; [unrolled: 1-line block ×3, first 2 shown]
	v_mfma_f32_16x16x16_bf16 a[12:15], v[54:55], v[46:47], a[12:15]
	v_mov_b32_e32 v46, 0
	v_mov_b32_e32 v47, 0
	s_waitcnt lgkmcnt(2)
	v_mfma_f32_16x16x16_bf16 a[0:3], v[34:35], v[36:37], a[0:3]
	v_mov_b32_e32 v36, 0
	v_mov_b32_e32 v37, 0
	v_mfma_f32_16x16x16_bf16 a[4:7], v[34:35], v[40:41], a[4:7]
	v_mov_b32_e32 v40, 0
	v_mov_b32_e32 v41, 0
	v_mfma_f32_16x16x16_bf16 a[8:11], v[34:35], v[44:45], a[8:11]
	v_mov_b32_e32 v44, 0
	v_mov_b32_e32 v45, 0
	v_mfma_f32_16x16x16_bf16 a[12:15], v[34:35], v[48:49], a[12:15]
	ds_read_b64 v[34:35], v130 offset:6144
	v_mov_b32_e32 v48, 0
	v_mov_b32_e32 v49, 0
	s_waitcnt lgkmcnt(2)
	v_mfma_f32_16x16x16_bf16 a[0:3], v[38:39], v[52:53], a[0:3]
	v_mfma_f32_16x16x16_bf16 a[4:7], v[38:39], v[50:51], a[4:7]
	s_waitcnt lgkmcnt(0)
	v_mfma_f32_16x16x16_bf16 a[8:11], v[38:39], v[34:35], a[8:11]
	v_mov_b32_e32 v34, 0
	v_mov_b32_e32 v35, 0
	v_mfma_f32_16x16x16_bf16 a[12:15], v[38:39], v[42:43], a[12:15]
	v_mov_b32_e32 v38, 0
	v_mov_b32_e32 v39, 0
	;; [unrolled: 1-line block ×4, first 2 shown]
	s_cbranch_vccnz .LBB217_12
; %bb.11:                               ;   in Loop: Header=BB217_6 Depth=1
	s_and_b32 s5, s5, 0xffff
	buffer_load_dwordx4 v[46:49], v106, s[4:7], 0 offen
	buffer_load_dwordx4 v[42:45], v106, s[4:7], s67 offen
	;; [unrolled: 1-line block ×4, first 2 shown]
	v_mov_b32_e32 v157, v108
	v_mov_b32_e32 v156, v109
.LBB217_12:                             ;   in Loop: Header=BB217_6 Depth=1
	ds_read_b64 v[70:71], v126 offset:57344
	ds_read2_b64 v[50:53], v134 offset1:16
	ds_read_b64 v[72:73], v128 offset:57344
	ds_read_b64 v[74:75], v132 offset:57344
	;; [unrolled: 1-line block ×3, first 2 shown]
	s_waitcnt lgkmcnt(3)
	v_mfma_f32_16x16x16_bf16 a[0:3], v[70:71], v[50:51], a[0:3]
	v_mfma_f32_16x16x16_bf16 a[4:7], v[70:71], v[52:53], a[4:7]
	ds_read2_b64 v[50:53], v134 offset0:32 offset1:48
	ds_read2st64_b64 v[54:57], v134 offset0:4 offset1:8
	ds_read2st64_b64 v[58:61], v135 offset0:4 offset1:8
	;; [unrolled: 1-line block ×4, first 2 shown]
	s_waitcnt lgkmcnt(4)
	v_mfma_f32_16x16x16_bf16 a[8:11], v[70:71], v[50:51], a[8:11]
	v_mfma_f32_16x16x16_bf16 a[12:15], v[70:71], v[52:53], a[12:15]
	v_add_u32_e32 v70, s68, v102
	v_ashrrev_i32_e32 v50, 31, v70
	v_mul_lo_u32 v52, v50, s36
	v_mul_lo_u32 v53, v70, s37
	v_mad_u64_u32 v[50:51], s[4:5], v70, s36, 0
	v_add3_u32 v51, v51, v53, v52
	v_add_u32_e32 v52, 1, v70
	v_ashrrev_i32_e32 v53, 31, v52
	s_waitcnt lgkmcnt(3)
	v_mfma_f32_16x16x16_bf16 a[0:3], v[72:73], v[54:55], a[0:3]
	v_mul_lo_u32 v54, v53, s36
	v_mul_lo_u32 v55, v52, s37
	v_mad_u64_u32 v[52:53], s[4:5], v52, s36, 0
	v_add3_u32 v53, v53, v55, v54
	v_add_u32_e32 v54, 2, v70
	v_ashrrev_i32_e32 v55, 31, v54
	s_waitcnt lgkmcnt(2)
	v_mfma_f32_16x16x16_bf16 a[4:7], v[72:73], v[58:59], a[4:7]
	v_mul_lo_u32 v58, v55, s36
	v_mul_lo_u32 v59, v54, s37
	v_mad_u64_u32 v[54:55], s[4:5], v54, s36, 0
	v_add3_u32 v55, v55, v59, v58
	v_add_u32_e32 v58, 3, v70
	v_lshl_add_u64 v[50:51], v[50:51], 2, s[46:47]
	v_lshl_add_u64 v[52:53], v[52:53], 2, s[46:47]
	v_ashrrev_i32_e32 v59, 31, v58
	s_waitcnt lgkmcnt(1)
	v_mfma_f32_16x16x16_bf16 a[8:11], v[72:73], v[62:63], a[8:11]
	v_mul_lo_u32 v59, v59, s36
	global_load_dword v62, v[50:51], off
	v_mul_lo_u32 v63, v58, s37
	s_waitcnt lgkmcnt(0)
	v_mfma_f32_16x16x16_bf16 a[12:15], v[72:73], v[66:67], a[12:15]
	global_load_dword v66, v[52:53], off
	v_mad_u64_u32 v[50:51], s[4:5], v58, s36, 0
	v_add3_u32 v51, v51, v63, v59
	s_add_u32 s4, s44, s68
	v_lshl_add_u64 v[54:55], v[54:55], 2, s[46:47]
	v_lshl_add_u64 v[50:51], v[50:51], 2, s[46:47]
	s_addc_u32 s5, s45, 0
	global_load_dword v63, v[54:55], off
	global_load_dword v67, v[50:51], off
	s_lshl_b64 s[4:5], s[4:5], 8
	v_lshl_add_u64 v[50:51], v[92:93], 0, s[4:5]
	v_lshl_add_u64 v[50:51], v[50:51], 0, v[90:91]
	global_load_ushort v70, v[50:51], off offset:256
	global_load_ushort v71, v[50:51], off
	global_load_ushort v72, v[50:51], off offset:768
	global_load_ushort v73, v[50:51], off offset:512
	;; [unrolled: 1-line block ×6, first 2 shown]
	s_load_dword s48, s[48:49], 0x0
	v_mfma_f32_16x16x16_bf16 a[12:15], v[74:75], v[68:69], a[12:15]
	global_load_ushort v68, v[50:51], off offset:320
	global_load_ushort v69, v[50:51], off offset:64
	s_and_b64 vcc, exec, s[0:1]
	v_mfma_f32_16x16x16_bf16 a[0:3], v[74:75], v[56:57], a[0:3]
	ds_read_b64 v[52:53], v134 offset:6144
	ds_read_b64 v[54:55], v135 offset:6144
	;; [unrolled: 1-line block ×4, first 2 shown]
	v_mfma_f32_16x16x16_bf16 a[4:7], v[74:75], v[60:61], a[4:7]
	s_waitcnt vmcnt(11) lgkmcnt(0)
	v_sub_f32_e32 v60, s48, v63
	v_mfma_f32_16x16x16_bf16 a[8:11], v[74:75], v[64:65], a[8:11]
	global_load_ushort v74, v[50:51], off offset:832
	global_load_ushort v75, v[50:51], off offset:576
	;; [unrolled: 1-line block ×6, first 2 shown]
	v_mfma_f32_16x16x16_bf16 a[0:3], v[160:161], v[52:53], a[0:3]
	s_waitcnt vmcnt(16)
	v_sub_f32_e32 v61, s48, v67
	v_mul_f32_e32 v60, 0x3fb8aa3b, v60
	v_mul_f32_e32 v61, 0x3fb8aa3b, v61
	v_exp_f32_e32 v60, v60
	v_exp_f32_e32 v61, v61
	s_waitcnt vmcnt(15)
	v_lshlrev_b32_e32 v65, 16, v70
	s_waitcnt vmcnt(14)
	v_lshlrev_b32_e32 v64, 16, v71
	v_accvgpr_read_b32 v53, a3
	v_accvgpr_read_b32 v52, a2
	v_mfma_f32_16x16x16_bf16 a[2:5], v[160:161], v[54:55], a[4:7]
	v_mfma_f32_16x16x16_bf16 a[6:9], v[160:161], v[56:57], a[8:11]
	s_nop 5
	v_accvgpr_read_b32 v55, a5
	v_accvgpr_read_b32 v54, a4
	;; [unrolled: 1-line block ×4, first 2 shown]
	v_mfma_f32_16x16x16_bf16 a[8:11], v[160:161], v[58:59], a[12:15]
	v_sub_f32_e32 v58, s48, v62
	v_sub_f32_e32 v59, s48, v66
	v_mul_f32_e32 v58, 0x3fb8aa3b, v58
	v_mul_f32_e32 v59, 0x3fb8aa3b, v59
	v_exp_f32_e32 v58, v58
	v_exp_f32_e32 v59, v59
	v_accvgpr_read_b32 v67, a1
	v_accvgpr_read_b32 v66, a0
	v_lshl_add_u64 v[62:63], v[94:95], 0, s[4:5]
	v_pk_add_f32 v[64:65], v[64:65], v[66:67] neg_lo:[0,1] neg_hi:[0,1]
	s_waitcnt vmcnt(13)
	v_lshlrev_b32_e32 v67, 16, v72
	s_waitcnt vmcnt(12)
	v_lshlrev_b32_e32 v66, 16, v73
	v_lshl_add_u64 v[62:63], v[62:63], 0, v[90:91]
	v_pk_add_f32 v[52:53], v[66:67], v[52:53] neg_lo:[0,1] neg_hi:[0,1]
	global_store_short_d16_hi v[62:63], v64, off
	global_store_short_d16_hi v[62:63], v65, off offset:256
	global_store_short_d16_hi v[62:63], v52, off offset:512
	;; [unrolled: 1-line block ×3, first 2 shown]
	v_pk_mul_f32 v[64:65], v[58:59], v[64:65]
	v_pk_mul_f32 v[52:53], v[60:61], v[52:53]
	v_accvgpr_read_b32 v67, a3
	v_perm_b32 v53, v53, v52, s39
	v_perm_b32 v52, v65, v64, s39
	s_waitcnt vmcnt(15)
	v_lshlrev_b32_e32 v65, 16, v76
	s_waitcnt vmcnt(14)
	v_lshlrev_b32_e32 v64, 16, v159
	v_accvgpr_read_b32 v66, a2
	v_pk_add_f32 v[64:65], v[64:65], v[66:67] neg_lo:[0,1] neg_hi:[0,1]
	s_waitcnt vmcnt(13)
	v_lshlrev_b32_e32 v67, 16, v162
	s_waitcnt vmcnt(12)
	v_lshlrev_b32_e32 v66, 16, v163
	v_pk_add_f32 v[54:55], v[66:67], v[54:55] neg_lo:[0,1] neg_hi:[0,1]
	global_store_short_d16_hi v[62:63], v64, off offset:32
	global_store_short_d16_hi v[62:63], v65, off offset:288
	global_store_short_d16_hi v[62:63], v54, off offset:544
	global_store_short_d16_hi v[62:63], v55, off offset:800
	v_pk_mul_f32 v[64:65], v[58:59], v[64:65]
	v_pk_mul_f32 v[54:55], v[60:61], v[54:55]
	v_accvgpr_read_b32 v57, a11
	v_perm_b32 v55, v55, v54, s39
	v_perm_b32 v54, v65, v64, s39
	ds_write2_b64 v111, v[52:53], v[54:55] offset1:16
	v_accvgpr_read_b32 v55, a7
	s_waitcnt vmcnt(15)
	v_lshlrev_b32_e32 v53, 16, v68
	s_waitcnt vmcnt(14)
	v_lshlrev_b32_e32 v52, 16, v69
	v_accvgpr_read_b32 v54, a6
	v_pk_add_f32 v[52:53], v[52:53], v[54:55] neg_lo:[0,1] neg_hi:[0,1]
	global_store_short_d16_hi v[62:63], v52, off offset:64
	global_store_short_d16_hi v[62:63], v53, off offset:320
	v_pk_mul_f32 v[52:53], v[58:59], v[52:53]
	v_accvgpr_read_b32 v56, a10
	v_perm_b32 v52, v53, v52, s39
	v_mov_b32_e32 v159, 0
	v_mov_b32_e32 v64, 0
	;; [unrolled: 1-line block ×3, first 2 shown]
	s_waitcnt vmcnt(15)
	v_lshlrev_b32_e32 v55, 16, v74
	s_waitcnt vmcnt(14)
	v_lshlrev_b32_e32 v54, 16, v75
	v_pk_add_f32 v[50:51], v[54:55], v[50:51] neg_lo:[0,1] neg_hi:[0,1]
	global_store_short_d16_hi v[62:63], v50, off offset:576
	global_store_short_d16_hi v[62:63], v51, off offset:832
	v_pk_mul_f32 v[50:51], v[60:61], v[50:51]
	v_accvgpr_read_b32 v55, a9
	v_perm_b32 v53, v51, v50, s39
	s_waitcnt vmcnt(15)
	v_lshlrev_b32_e32 v51, 16, v164
	s_waitcnt vmcnt(14)
	v_lshlrev_b32_e32 v50, 16, v165
	v_accvgpr_read_b32 v54, a8
	v_pk_add_f32 v[50:51], v[50:51], v[54:55] neg_lo:[0,1] neg_hi:[0,1]
	s_waitcnt vmcnt(13)
	v_lshlrev_b32_e32 v55, 16, v166
	s_waitcnt vmcnt(12)
	v_lshlrev_b32_e32 v54, 16, v167
	v_pk_add_f32 v[54:55], v[54:55], v[56:57] neg_lo:[0,1] neg_hi:[0,1]
	global_store_short_d16_hi v[62:63], v50, off offset:96
	global_store_short_d16_hi v[62:63], v51, off offset:352
	;; [unrolled: 1-line block ×4, first 2 shown]
	v_pk_mul_f32 v[50:51], v[58:59], v[50:51]
	v_pk_mul_f32 v[54:55], v[60:61], v[54:55]
	v_mov_b32_e32 v56, 0
	v_perm_b32 v55, v55, v54, s39
	v_perm_b32 v54, v51, v50, s39
	ds_write2_b64 v111, v[52:53], v[54:55] offset0:32 offset1:48
	v_mov_b32_e32 v50, 0
	v_mov_b32_e32 v51, 0
	v_mov_b32_e32 v52, 0
	v_mov_b32_e32 v53, 0
	v_mov_b32_e32 v54, 0
	v_mov_b32_e32 v55, 0
	v_mov_b32_e32 v57, 0
	v_mov_b32_e32 v58, 0
	v_mov_b32_e32 v59, 0
	v_mov_b32_e32 v60, 0
	v_mov_b32_e32 v61, 0
	v_mov_b32_e32 v62, 0
	v_mov_b32_e32 v63, 0
	s_cbranch_vccnz .LBB217_14
; %bb.13:                               ;   in Loop: Header=BB217_6 Depth=1
	s_and_b32 s29, s29, 0xffff
	s_mov_b32 s31, s7
	buffer_load_dwordx4 v[62:65], v144, s[28:31], 0 offen
	buffer_load_dwordx4 v[54:57], v144, s[28:31], s67 offen
	;; [unrolled: 1-line block ×4, first 2 shown]
	v_mov_b32_e32 v158, v105
	v_mov_b32_e32 v159, v104
.LBB217_14:                             ;   in Loop: Header=BB217_6 Depth=1
	s_waitcnt lgkmcnt(0)
	s_barrier
	ds_read_b64 v[74:75], v147
	ds_read2_b64 v[66:69], v140 offset1:16
	ds_read_b64 v[176:177], v148
	ds_read_b64 v[178:179], v149
	;; [unrolled: 1-line block ×3, first 2 shown]
	ds_read2_b64 v[70:73], v140 offset0:32 offset1:48
	ds_read2st64_b64 v[160:163], v140 offset0:4 offset1:8
	ds_read2st64_b64 v[164:167], v141 offset0:4 offset1:8
	;; [unrolled: 1-line block ×4, first 2 shown]
	s_waitcnt lgkmcnt(8)
	v_mfma_f32_16x16x16_bf16 a[0:3], v[74:75], v[66:67], 0
	s_add_i32 s4, s62, s74
	s_mul_hi_i32 s5, s4, s25
	s_mul_i32 s4, s4, s25
	v_mfma_f32_16x16x16_bf16 a[4:7], v[74:75], v[68:69], 0
	s_add_u32 s4, s4, s33
	s_addc_u32 s5, s5, s50
	s_add_i32 s28, s3, s68
	s_waitcnt lgkmcnt(4)
	v_mfma_f32_16x16x16_bf16 a[8:11], v[74:75], v[70:71], 0
	s_lshl_b64 s[4:5], s[4:5], 15
	s_mul_hi_i32 s29, s28, s25
	s_mul_i32 s28, s28, s25
	v_mfma_f32_16x16x16_bf16 a[12:15], v[74:75], v[72:73], 0
	ds_read_b64 v[74:75], v140 offset:6144
	ds_read_b64 v[188:189], v141 offset:6144
	ds_read_b64 v[190:191], v142 offset:6144
	ds_read_b64 v[192:193], v143 offset:6144
	s_add_u32 s28, s28, s33
	s_waitcnt lgkmcnt(7)
	v_mfma_f32_16x16x16_bf16 a[0:3], v[176:177], v[160:161], a[0:3]
	s_addc_u32 s29, s29, s50
	s_lshl_b64 s[28:29], s[28:29], 9
	s_add_u32 s28, s8, s28
	s_waitcnt lgkmcnt(6)
	v_mfma_f32_16x16x16_bf16 a[4:7], v[176:177], v[164:165], a[4:7]
	s_addc_u32 s29, s9, s29
	v_lshl_add_u64 v[198:199], v[96:97], 0, s[4:5]
	s_waitcnt lgkmcnt(5)
	v_mfma_f32_16x16x16_bf16 a[8:11], v[176:177], v[168:169], a[8:11]
	s_waitcnt lgkmcnt(4)
	v_mfma_f32_16x16x16_bf16 a[12:15], v[176:177], v[172:173], a[12:15]
	ds_read_b64 v[176:177], v152
	ds_read_b64 v[186:187], v153
	;; [unrolled: 1-line block ×3, first 2 shown]
	s_waitcnt lgkmcnt(2)
	v_mfma_f32_16x16x16_bf16 a[16:19], v[176:177], v[66:67], 0
	v_mfma_f32_16x16x16_bf16 a[20:23], v[176:177], v[68:69], 0
	global_load_dwordx4 v[66:69], v151, s[28:29]
	v_mfma_f32_16x16x16_bf16 a[24:27], v[176:177], v[70:71], 0
	v_mfma_f32_16x16x16_bf16 a[28:31], v[176:177], v[72:73], 0
	global_load_dwordx4 v[70:73], v89, s[28:29]
	v_mfma_f32_16x16x16_bf16 a[0:3], v[178:179], v[162:163], a[0:3]
	v_mfma_f32_16x16x16_bf16 a[4:7], v[178:179], v[166:167], a[4:7]
	;; [unrolled: 1-line block ×8, first 2 shown]
	ds_read2st64_b64 v[176:179], v138 offset1:8
	ds_read2st64_b64 v[180:183], v139 offset1:8
	ds_read_b64 v[196:197], v146 offset:40960
	s_waitcnt lgkmcnt(2)
	v_mov_b32_e32 v184, v176
	v_mfma_f32_16x16x16_bf16 a[16:19], v[186:187], v[160:161], a[16:19]
	v_mov_b32_e32 v185, v177
	v_mfma_f32_16x16x16_bf16 a[20:23], v[186:187], v[164:165], a[20:23]
	v_mfma_f32_16x16x16_bf16 a[24:27], v[186:187], v[168:169], a[24:27]
	;; [unrolled: 1-line block ×3, first 2 shown]
	v_add_co_u32_e32 v172, vcc, s41, v198
	s_waitcnt lgkmcnt(1)
	v_mov_b32_e32 v186, v180
	s_waitcnt lgkmcnt(0)
	v_mfma_f32_16x16x16_bf16 a[16:19], v[196:197], v[162:163], a[16:19]
	ds_read2st64_b64 v[160:163], v138 offset0:16 offset1:24
	v_addc_co_u32_e32 v173, vcc, 0, v199, vcc
	v_mfma_f32_16x16x16_bf16 a[20:23], v[196:197], v[166:167], a[20:23]
	ds_read2st64_b64 v[164:167], v139 offset0:16 offset1:24
	v_mov_b32_e32 v187, v181
	v_mov_b32_e32 v180, v178
	v_mfma_f32_16x16x16_bf16 a[32:35], v[196:197], v[170:171], a[24:27]
	v_mov_b32_e32 v181, v179
	s_waitcnt lgkmcnt(0)
	v_mov_b32_e32 v170, v164
	v_mov_b32_e32 v171, v165
	v_mfma_f32_16x16x16_bf16 a[36:39], v[196:197], v[174:175], a[28:31]
	v_mov_b32_e32 v164, v162
	v_mov_b32_e32 v165, v163
	;; [unrolled: 1-line block ×3, first 2 shown]
	v_mfma_f32_16x16x16_bf16 a[24:27], v[194:195], v[74:75], a[16:19]
	v_add_co_u32_e32 v74, vcc, s72, v198
	v_mov_b32_e32 v169, v161
	v_mfma_f32_16x16x16_bf16 a[28:31], v[194:195], v[188:189], a[20:23]
	v_addc_co_u32_e32 v75, vcc, 0, v199, vcc
	global_store_dwordx4 v[74:75], v[164:167], off
	v_mfma_f32_16x16x16_bf16 a[16:19], v[194:195], v[190:191], a[32:35]
	s_waitcnt vmcnt(2)
	v_mov_b32_e32 v76, v69
	v_mov_b32_e32 v75, v68
	;; [unrolled: 1-line block ×3, first 2 shown]
	v_mfma_f32_16x16x16_bf16 a[20:23], v[194:195], v[192:193], a[36:39]
	s_and_b64 vcc, exec, s[0:1]
	global_store_dwordx4 v[198:199], v[184:187], off
	global_store_dwordx4 v[172:173], v[180:183], off offset:-4096
	global_store_dwordx4 v[172:173], v[168:171], off
	s_cbranch_vccnz .LBB217_16
; %bb.15:                               ;   in Loop: Header=BB217_6 Depth=1
	v_lshrrev_b32_e32 v67, 3, v158
	v_and_b32_e32 v67, 6, v67
	v_xor_b32_e32 v68, v67, v159
	v_lshlrev_b32_e32 v68, 2, v68
	v_and_b32_e32 v69, 8, v158
	v_xor_b32_e32 v158, 0x440, v68
	v_cmp_eq_u32_e32 vcc, 0, v69
	v_perm_b32 v69, v54, v50, s69
	s_nop 0
	v_cndmask_b32_e32 v68, v158, v68, vcc
	v_lshl_or_b32 v67, v67, 10, v68
	v_perm_b32 v68, v62, v58, s69
	s_barrier
	ds_write2st64_b32 v67, v68, v69 offset0:128 offset1:160
	v_xor_b32_e32 v68, 8, v67
	v_perm_b32 v58, v62, v58, s70
	v_perm_b32 v50, v54, v50, s70
	v_add_u32_e32 v54, 0x80, v68
	ds_write2st64_b32 v54, v58, v50 offset0:128 offset1:160
	v_xor_b32_e32 v50, 16, v67
	v_perm_b32 v54, v63, v59, s69
	v_perm_b32 v58, v55, v51, s69
	ds_write2st64_b32 v50, v54, v58 offset0:129 offset1:161
	v_xor_b32_e32 v50, 24, v67
	v_perm_b32 v54, v63, v59, s70
	v_perm_b32 v51, v55, v51, s70
	v_add_u32_e32 v50, 0x80, v50
	ds_write2st64_b32 v50, v54, v51 offset0:129 offset1:161
	v_xor_b32_e32 v50, 32, v67
	v_perm_b32 v51, v64, v60, s69
	v_perm_b32 v54, v56, v52, s69
	ds_write2st64_b32 v50, v51, v54 offset0:130 offset1:162
	v_xor_b32_e32 v50, 40, v67
	v_perm_b32 v51, v64, v60, s70
	v_perm_b32 v52, v56, v52, s70
	v_add_u32_e32 v50, 0x80, v50
	ds_write2st64_b32 v50, v51, v52 offset0:130 offset1:162
	v_xor_b32_e32 v50, 48, v67
	v_perm_b32 v51, v65, v61, s69
	v_perm_b32 v52, v57, v53, s69
	ds_write2st64_b32 v50, v51, v52 offset0:131 offset1:163
	v_xor_b32_e32 v50, 56, v67
	v_perm_b32 v51, v65, v61, s70
	v_perm_b32 v52, v57, v53, s70
	v_add_u32_e32 v50, 0x80, v50
	ds_write2st64_b32 v50, v51, v52 offset0:131 offset1:163
	ds_write_b64 v157, v[46:47] offset:49152
	v_xor_b32_e32 v46, 8, v157
	ds_write_b64 v46, v[48:49] offset:49152
	ds_write_b64 v157, v[42:43] offset:57344
	;; [unrolled: 1-line block ×4, first 2 shown]
	v_xor_b32_e32 v38, 8, v156
	ds_write_b64 v38, v[40:41] offset:49152
	ds_write_b64 v156, v[34:35] offset:57344
	;; [unrolled: 1-line block ×3, first 2 shown]
.LBB217_16:                             ;   in Loop: Header=BB217_6 Depth=1
	v_mul_f32_e32 v58, s48, v155
	v_exp_f32_e32 v68, v58
	s_waitcnt vmcnt(4)
	v_mul_f32_e32 v58, 0x3fb8aa3b, v70
	v_exp_f32_e32 v70, v58
	v_mul_f32_e32 v58, 0x3fb8aa3b, v71
	v_exp_f32_e32 v71, v58
	;; [unrolled: 2-line block ×4, first 2 shown]
	v_accvgpr_read_b32 v37, a3
	v_accvgpr_read_b32 v36, a2
	;; [unrolled: 1-line block ×4, first 2 shown]
	v_pk_mul_f32 v[70:71], v[68:69], v[70:71] op_sel_hi:[0,1]
	v_pk_mul_f32 v[72:73], v[68:69], v[72:73] op_sel_hi:[0,1]
	v_pk_fma_f32 v[22:23], v[22:23], v[70:71], v[34:35]
	v_pk_fma_f32 v[24:25], v[24:25], v[72:73], v[36:37]
	v_mul_f32_e32 v34, 0x3fb8aa3b, v66
	v_mul_f32_e32 v35, 0x3fb8aa3b, v74
	;; [unrolled: 1-line block ×4, first 2 shown]
	v_exp_f32_e32 v34, v34
	v_exp_f32_e32 v35, v35
	;; [unrolled: 1-line block ×4, first 2 shown]
	v_accvgpr_read_b32 v41, a7
	v_accvgpr_read_b32 v45, a11
	;; [unrolled: 1-line block ×28, first 2 shown]
	v_pk_mul_f32 v[34:35], v[68:69], v[34:35] op_sel_hi:[0,1]
	v_pk_mul_f32 v[36:37], v[68:69], v[36:37] op_sel_hi:[0,1]
	s_add_i32 s68, s68, 64
	v_pk_fma_f32 v[26:27], v[70:71], v[26:27], v[38:39]
	v_pk_fma_f32 v[28:29], v[72:73], v[28:29], v[40:41]
	;; [unrolled: 1-line block ×13, first 2 shown]
	s_cmp_eq_u32 s59, s73
	v_pk_fma_f32 v[4:5], v[36:37], v[4:5], v[64:65]
	s_cbranch_scc1 .LBB217_18
; %bb.17:                               ;   in Loop: Header=BB217_6 Depth=1
	s_mov_b32 s74, s73
	s_branch .LBB217_6
.LBB217_18:
	s_lshl_b32 s45, s59, 6
	s_sub_i32 s48, s24, s45
	s_cmp_gt_i32 s48, 0
	s_cbranch_scc0 .LBB217_99
; %bb.19:
	s_ashr_i32 s3, s45, 31
	s_cmpk_lg_i32 s27, 0x80
	s_cselect_b64 s[30:31], -1, 0
	s_and_b64 vcc, exec, s[30:31]
	s_cbranch_vccz .LBB217_21
; %bb.20:
	s_mul_hi_i32 s0, s58, s24
	s_add_u32 s1, s51, s45
	s_addc_u32 s0, s0, s3
	s_mul_i32 s4, s1, s60
	s_mul_hi_u32 s5, s1, s26
	s_add_i32 s4, s5, s4
	s_mul_i32 s0, s0, s26
	s_add_i32 s4, s4, s0
	s_mul_i32 s1, s1, s26
	s_ashr_i32 s0, s61, 31
	s_add_u32 s46, s1, s61
	s_addc_u32 s47, s4, s0
	s_cbranch_execz .LBB217_22
	s_branch .LBB217_23
.LBB217_21:
                                        ; implicit-def: $sgpr46_sgpr47
.LBB217_22:
	s_mul_hi_i32 s0, s58, s26
	s_mul_i32 s58, s58, s26
	s_ashr_i32 s1, s61, 31
	s_add_u32 s4, s58, s61
	s_addc_u32 s0, s0, s1
	s_mul_i32 s1, s4, s57
	s_mul_hi_u32 s5, s4, s24
	s_add_i32 s1, s5, s1
	s_mul_i32 s0, s0, s24
	s_add_i32 s1, s1, s0
	s_mul_i32 s4, s4, s24
	s_add_u32 s46, s4, s45
	s_addc_u32 s47, s1, s3
.LBB217_23:
	s_mul_i32 s0, s42, s57
	s_add_i32 s0, s64, s0
	s_add_i32 s4, s62, s59
	;; [unrolled: 1-line block ×3, first 2 shown]
	s_add_u32 s0, s44, s45
	v_lshlrev_b32_e32 v38, 6, v102
	v_lshlrev_b32_e32 v57, 2, v99
	s_addc_u32 s1, s1, s3
	s_mov_b32 s3, 0x7060302
	v_or_b32_e32 v41, v38, v57
	v_xor_b32_e32 v39, v102, v57
	s_waitcnt vmcnt(7)
	v_perm_b32 v35, v25, v24, s3
	v_perm_b32 v34, v23, v22, s3
	s_waitcnt vmcnt(6)
	v_perm_b32 v37, v13, v12, s3
	v_perm_b32 v36, v11, v10, s3
	v_lshlrev_b32_e32 v41, 1, v41
	v_xor_b32_e32 v40, v103, v57
	ds_write2st64_b64 v41, v[34:35], v[36:37] offset0:32 offset1:48
	v_lshlrev_b32_e32 v39, 1, v39
	v_lshlrev_b32_e32 v41, 8, v99
	v_or_b32_e32 v42, v39, v41
	v_lshlrev_b32_e32 v40, 1, v40
	ds_write_b64 v42, v[34:35]
	v_or_b32_e32 v34, v40, v41
	v_or_b32_e32 v41, 16, v99
	v_lshlrev_b32_e32 v55, 2, v41
	v_or_b32_e32 v42, v38, v55
	ds_write_b64 v34, v[36:37]
	s_waitcnt vmcnt(5)
	v_perm_b32 v35, v29, v28, s3
	v_perm_b32 v34, v27, v26, s3
	s_waitcnt vmcnt(4)
	v_perm_b32 v37, v17, v16, s3
	v_perm_b32 v36, v15, v14, s3
	v_lshlrev_b32_e32 v42, 1, v42
	v_lshlrev_b32_e32 v41, 8, v41
	ds_write2st64_b64 v42, v[34:35], v[36:37] offset0:32 offset1:48
	v_or_b32_e32 v42, v39, v41
	ds_write_b64 v42, v[34:35]
	v_or_b32_e32 v34, v40, v41
	v_or_b32_e32 v41, 32, v99
	v_lshlrev_b32_e32 v54, 2, v41
	v_or_b32_e32 v42, v38, v54
	ds_write_b64 v34, v[36:37]
	s_waitcnt vmcnt(3)
	v_perm_b32 v35, v33, v32, s3
	v_perm_b32 v34, v31, v30, s3
	s_waitcnt vmcnt(2)
	v_perm_b32 v37, v21, v20, s3
	v_perm_b32 v36, v19, v18, s3
	v_lshlrev_b32_e32 v42, 1, v42
	v_lshlrev_b32_e32 v41, 8, v41
	s_lshl_b64 s[28:29], s[0:1], 8
	ds_write2st64_b64 v42, v[34:35], v[36:37] offset0:32 offset1:48
	v_or_b32_e32 v42, v39, v41
	s_add_u32 s0, s18, s28
	ds_write_b64 v42, v[34:35]
	v_or_b32_e32 v34, v40, v41
	s_addc_u32 s1, s19, s29
	ds_write_b64 v34, v[36:37]
	s_waitcnt vmcnt(1)
	v_perm_b32 v35, v9, v8, s3
	v_perm_b32 v34, v7, v6, s3
	s_waitcnt vmcnt(0)
	v_perm_b32 v37, v5, v4, s3
	v_perm_b32 v36, v3, v2, s3
	v_or_b32_e32 v41, 48, v99
	s_mul_hi_i32 s3, s4, s25
	s_mul_i32 s4, s4, s25
	v_lshlrev_b32_e32 v51, 2, v41
	s_add_u32 s4, s4, s33
	v_or_b32_e32 v38, v38, v51
	s_addc_u32 s5, s3, s50
	v_lshlrev_b32_e32 v38, 1, v38
	s_ashr_i32 s3, s2, 31
	s_lshl_b64 s[4:5], s[4:5], 15
	ds_write2st64_b64 v38, v[34:35], v[36:37] offset0:32 offset1:48
	v_lshlrev_b32_e32 v38, 8, v41
	s_add_u32 s4, s12, s4
	v_or_b32_e32 v39, v39, v38
	s_addc_u32 s5, s13, s5
	s_lshl_b64 s[2:3], s[2:3], 8
	ds_write_b64 v39, v[34:35]
	v_or_b32_e32 v34, v40, v38
	s_add_u32 s2, s4, s2
	v_lshlrev_b32_e32 v35, 1, v99
	ds_write_b64 v34, v[36:37]
	v_lshrrev_b32_e32 v34, 4, v0
	s_addc_u32 s3, s5, s3
	v_or_b32_e32 v36, 1, v35
	v_lshlrev_b32_e32 v42, 4, v99
	v_mov_b32_e32 v43, 0
	v_xor_b32_e32 v35, v34, v35
	v_xor_b32_e32 v38, v36, v34
	v_lshl_add_u64 v[44:45], s[2:3], 0, v[42:43]
	v_lshlrev_b32_e32 v42, 8, v34
	v_lshl_or_b32 v48, v35, 3, v42
	v_lshl_or_b32 v49, v38, 3, v42
	s_waitcnt lgkmcnt(0)
	s_barrier
	ds_read2st64_b64 v[34:37], v48 offset1:8
	ds_read2st64_b64 v[38:41], v49 offset1:8
	v_lshl_add_u64 v[46:47], v[44:45], 0, v[42:43]
	s_movk_i32 s2, 0x2000
	s_cmp_lg_u32 s48, 64
	s_waitcnt lgkmcnt(1)
	v_mov_b32_e32 v42, v34
	v_mov_b32_e32 v43, v35
	s_waitcnt lgkmcnt(0)
	v_mov_b32_e32 v44, v38
	v_mov_b32_e32 v45, v39
	global_store_dwordx4 v[46:47], v[42:45], off
	v_mov_b32_e32 v38, v36
	v_mov_b32_e32 v39, v37
	ds_read2st64_b64 v[34:37], v48 offset0:16 offset1:24
	ds_read2st64_b64 v[42:45], v49 offset0:16 offset1:24
	v_add_co_u32_e32 v48, vcc, s2, v46
	s_cselect_b64 s[18:19], -1, 0
	s_nop 0
	v_addc_co_u32_e32 v49, vcc, 0, v47, vcc
	global_store_dwordx4 v[48:49], v[38:41], off offset:-4096
	v_lshl_or_b32 v62, v1, 3, v101
	s_mov_b32 s4, 0
	s_waitcnt lgkmcnt(1)
	v_mov_b32_e32 v38, v34
	v_add_co_u32_e32 v34, vcc, 0x3000, v46
	v_mov_b32_e32 v39, v35
	s_nop 0
	v_addc_co_u32_e32 v35, vcc, 0, v47, vcc
	s_waitcnt lgkmcnt(0)
	v_mov_b32_e32 v40, v42
	v_mov_b32_e32 v41, v43
	;; [unrolled: 1-line block ×4, first 2 shown]
	v_or_b32_e32 v52, 32, v62
	v_and_b32_e32 v50, 56, v100
	s_and_b64 vcc, exec, s[18:19]
	global_store_dwordx4 v[48:49], v[38:41], off
	global_store_dwordx4 v[34:35], v[42:45], off
	s_cbranch_vccz .LBB217_29
; %bb.24:
	s_mov_b32 s6, s4
	s_mov_b32 s7, s4
	;; [unrolled: 1-line block ×3, first 2 shown]
	v_mov_b64_e32 v[40:41], s[6:7]
	v_mov_b64_e32 v[38:39], s[4:5]
	;; [unrolled: 1-line block ×3, first 2 shown]
	v_cmp_gt_i32_e32 vcc, s48, v62
	v_mov_b64_e32 v[36:37], v[40:41]
	s_and_saveexec_b64 s[2:3], vcc
	s_cbranch_execz .LBB217_26
; %bb.25:
	v_lshlrev_b32_e32 v34, 8, v62
	v_mov_b32_e32 v35, 0
	v_lshl_add_u64 v[36:37], s[0:1], 0, v[34:35]
	v_lshlrev_b32_e32 v34, 1, v50
	v_lshl_add_u64 v[42:43], v[36:37], 0, v[34:35]
	global_load_dwordx4 v[38:41], v[42:43], off
	global_load_dwordx4 v[34:37], v[42:43], off offset:128
.LBB217_26:
	s_or_b64 exec, exec, s[2:3]
	s_mov_b32 s6, s4
	s_mov_b32 s7, s4
	;; [unrolled: 1-line block ×3, first 2 shown]
	v_mov_b64_e32 v[48:49], s[6:7]
	v_mov_b64_e32 v[46:47], s[4:5]
	;; [unrolled: 1-line block ×3, first 2 shown]
	v_cmp_gt_i32_e32 vcc, s48, v52
	v_lshlrev_b32_e32 v53, 7, v52
	v_mov_b64_e32 v[44:45], v[48:49]
	s_and_saveexec_b64 s[2:3], vcc
	s_cbranch_execz .LBB217_28
; %bb.27:
	v_lshlrev_b32_e32 v42, 1, v53
	v_mov_b32_e32 v43, 0
	v_lshl_add_u64 v[44:45], s[0:1], 0, v[42:43]
	v_lshlrev_b32_e32 v42, 1, v50
	v_lshl_add_u64 v[58:59], v[44:45], 0, v[42:43]
	global_load_dwordx4 v[46:49], v[58:59], off
	global_load_dwordx4 v[42:45], v[58:59], off offset:128
.LBB217_28:
	s_or_b64 exec, exec, s[2:3]
	v_lshrrev_b32_e32 v56, 3, v50
	v_lshlrev_b32_e32 v58, 3, v62
	v_or_b32_e32 v56, v58, v56
	v_lshlrev_b32_e32 v56, 4, v56
	v_and_b32_e32 v58, 0x78, v58
	v_xor_b32_e32 v56, v56, v58
	s_branch .LBB217_31
.LBB217_29:
                                        ; implicit-def: $vgpr56
                                        ; implicit-def: $vgpr53
                                        ; implicit-def: $vgpr38_vgpr39_vgpr40_vgpr41
                                        ; implicit-def: $vgpr34_vgpr35_vgpr36_vgpr37
                                        ; implicit-def: $vgpr46_vgpr47_vgpr48_vgpr49
                                        ; implicit-def: $vgpr42_vgpr43_vgpr44_vgpr45
	s_cbranch_execz .LBB217_31
; %bb.30:
	s_waitcnt vmcnt(0)
	v_lshlrev_b32_e32 v34, 1, v50
	v_lshl_or_b32 v53, v62, 8, v34
	s_and_b32 s1, s1, 0xffff
	s_mov_b32 s3, 0x20000
	s_movk_i32 s2, 0x4000
	v_lshl_or_b32 v56, v52, 8, v34
	s_movk_i32 s4, 0x80
	buffer_load_dwordx4 v[38:41], v53, s[0:3], 0 offen
	buffer_load_dwordx4 v[34:37], v53, s[0:3], s4 offen
	;; [unrolled: 1-line block ×4, first 2 shown]
	v_lshrrev_b32_e32 v53, 3, v50
	v_lshlrev_b32_e32 v56, 3, v62
	v_or_b32_e32 v53, v56, v53
	v_lshlrev_b32_e32 v53, 4, v53
	v_and_b32_e32 v56, 0x78, v56
	v_xor_b32_e32 v56, v53, v56
	v_lshlrev_b32_e32 v53, 7, v52
.LBB217_31:
	s_movk_i32 s0, 0x1000
	v_and_or_b32 v52, v53, s0, v56
	s_waitcnt vmcnt(1)
	ds_write_b64 v56, v[38:39] offset:49152
	v_xor_b32_e32 v38, 8, v56
	ds_write_b64 v38, v[40:41] offset:49152
	s_waitcnt vmcnt(0)
	ds_write_b64 v56, v[34:35] offset:57344
	ds_write_b64 v38, v[36:37] offset:57344
	;; [unrolled: 1-line block ×3, first 2 shown]
	v_xor_b32_e32 v34, 8, v52
	ds_write_b64 v34, v[48:49] offset:49152
	ds_write_b64 v52, v[42:43] offset:57344
	;; [unrolled: 1-line block ×3, first 2 shown]
	v_or_b32_e32 v34, v77, v99
	v_lshlrev_b32_e32 v34, 3, v34
	v_lshrrev_b32_e32 v35, 5, v79
	s_movk_i32 s0, 0xf8
	v_and_or_b32 v35, v34, s0, v35
	v_lshlrev_b32_e32 v39, 4, v35
	v_lshlrev_b32_e32 v56, 11, v1
	v_and_b32_e32 v40, 0x78, v34
	v_or_b32_e32 v42, 32, v39
	v_and_b32_e32 v38, 0x1000, v56
	v_lshrrev_b32_e32 v35, 1, v79
	v_xor_b32_e32 v42, v42, v40
	v_xor_b32_e32 v34, v39, v40
	v_and_b32_e32 v41, 8, v35
	v_or_b32_e32 v42, v42, v38
	v_or_b32_e32 v34, v34, v38
	v_xor_b32_e32 v64, v42, v41
	v_or_b32_e32 v42, 64, v39
	v_xor_b32_e32 v63, v34, v41
	v_xor_b32_e32 v42, v42, v40
	s_waitcnt lgkmcnt(0)
	s_barrier
	v_or_b32_e32 v45, v42, v38
	ds_read_b64 v[42:43], v63 offset:49152
	v_lshl_or_b32 v46, v98, 8, v57
	v_lshlrev_b32_e32 v58, 1, v46
	v_add_u32_e32 v44, 0x4000, v58
	ds_read2_b64 v[34:37], v44 offset1:16
	v_or_b32_e32 v39, 0x60, v39
	v_xor_b32_e32 v39, v39, v40
	v_or_b32_e32 v38, v39, v38
	v_xor_b32_e32 v65, v45, v41
	v_xor_b32_e32 v66, v38, v41
	ds_read_b64 v[52:53], v64 offset:49152
	ds_read_b64 v[68:69], v65 offset:49152
	;; [unrolled: 1-line block ×3, first 2 shown]
	s_waitcnt lgkmcnt(3)
	v_mfma_f32_16x16x16_bf16 a[0:3], v[42:43], v[34:35], 0
	ds_read2st64_b64 v[38:41], v58 offset0:36 offset1:40
	s_lshl_b64 s[0:1], s[46:47], 8
	s_add_u32 s4, s16, s0
	v_mfma_f32_16x16x16_bf16 a[4:7], v[42:43], v[36:37], 0
	ds_read2_b64 v[34:37], v44 offset0:32 offset1:48
	s_addc_u32 s5, s17, s1
	s_add_i32 s0, s53, s43
	s_waitcnt lgkmcnt(0)
	v_mfma_f32_16x16x16_bf16 a[8:11], v[42:43], v[34:35], 0
	v_or_b32_e32 v34, 64, v46
	v_lshlrev_b32_e32 v59, 1, v34
	s_add_i32 s17, s24, -1
	v_mfma_f32_16x16x16_bf16 a[12:15], v[42:43], v[36:37], 0
	ds_read2st64_b64 v[34:37], v59 offset0:36 offset1:40
	s_add_i32 s41, s0, s52
	s_add_i32 s0, s55, s54
	v_mfma_f32_16x16x16_bf16 a[0:3], v[52:53], v[38:39], a[0:3]
	v_or_b32_e32 v38, 0x80, v46
	v_lshlrev_b32_e32 v60, 1, v38
	ds_read2st64_b64 v[42:45], v60 offset0:36 offset1:40
	s_waitcnt lgkmcnt(1)
	v_mfma_f32_16x16x16_bf16 a[4:7], v[52:53], v[34:35], a[4:7]
	v_or_b32_e32 v34, 0xc0, v46
	v_lshlrev_b32_e32 v61, 1, v34
	ds_read2st64_b64 v[46:49], v61 offset0:36 offset1:40
	s_add_i32 s39, s0, s56
	s_ashr_i32 s0, s17, 31
	s_mul_i32 s1, s17, s37
	s_mul_hi_u32 s2, s17, s36
	s_add_i32 s1, s2, s1
	s_mul_i32 s0, s0, s36
	s_waitcnt lgkmcnt(1)
	v_mfma_f32_16x16x16_bf16 a[8:11], v[52:53], v[42:43], a[8:11]
	s_add_i32 s1, s1, s0
	s_lshl_b64 s[2:3], s[40:41], 2
	s_add_u32 s6, s22, s2
	s_waitcnt lgkmcnt(0)
	v_mfma_f32_16x16x16_bf16 a[12:15], v[52:53], v[46:47], a[12:15]
	s_addc_u32 s7, s23, s3
	s_lshl_b64 s[2:3], s[38:39], 2
	s_mul_i32 s0, s17, s36
	v_mfma_f32_16x16x16_bf16 a[0:3], v[68:69], v[40:41], a[0:3]
	ds_read_b64 v[34:35], v58 offset:22528
	s_add_u32 s12, s6, s2
	s_addc_u32 s13, s7, s3
	v_mfma_f32_16x16x16_bf16 a[4:7], v[68:69], v[36:37], a[4:7]
	ds_read_b64 v[36:37], v59 offset:22528
	ds_read_b64 v[38:39], v60 offset:22528
	;; [unrolled: 1-line block ×3, first 2 shown]
	s_lshl_b64 s[0:1], s[0:1], 2
	s_add_u32 s0, s12, s0
	v_mfma_f32_16x16x16_bf16 a[8:11], v[68:69], v[44:45], a[8:11]
	s_addc_u32 s1, s13, s1
	s_load_dword s16, s[0:1], 0x0
	s_and_b64 vcc, exec, s[30:31]
	v_mfma_f32_16x16x16_bf16 a[12:15], v[68:69], v[48:49], a[12:15]
	s_waitcnt lgkmcnt(0)
	v_mfma_f32_16x16x16_bf16 a[0:3], v[70:71], v[34:35], a[0:3]
	v_mfma_f32_16x16x16_bf16 a[4:7], v[70:71], v[36:37], a[4:7]
	;; [unrolled: 1-line block ×4, first 2 shown]
	s_cbranch_vccz .LBB217_42
; %bb.32:
	v_lshlrev_b32_e32 v52, 1, v62
	s_and_b64 vcc, exec, s[18:19]
	s_cbranch_vccz .LBB217_43
; %bb.33:
	v_cmp_gt_i32_e32 vcc, s48, v52
	v_mov_b32_e32 v38, 0
	v_mov_b32_e32 v34, 0
	;; [unrolled: 1-line block ×5, first 2 shown]
	s_and_saveexec_b64 s[0:1], vcc
	s_cbranch_execz .LBB217_35
; %bb.34:
	v_mad_i64_i32 v[34:35], s[2:3], s27, v52, 0
	v_lshl_add_u64 v[34:35], v[34:35], 1, s[4:5]
	v_lshlrev_b32_e32 v36, 1, v50
	v_mov_b32_e32 v37, 0
	v_lshl_add_u64 v[34:35], v[34:35], 0, v[36:37]
	global_load_dwordx4 v[34:37], v[34:35], off
.LBB217_35:
	s_or_b64 exec, exec, s[0:1]
	v_or_b32_e32 v53, 1, v52
	v_cmp_gt_i32_e64 s[0:1], s48, v53
	v_mov_b32_e32 v39, 0
	v_mov_b32_e32 v40, 0
	;; [unrolled: 1-line block ×3, first 2 shown]
	s_and_saveexec_b64 s[2:3], s[0:1]
	s_cbranch_execz .LBB217_37
; %bb.36:
	v_mad_i64_i32 v[38:39], s[6:7], s27, v53, 0
	v_lshl_add_u64 v[38:39], v[38:39], 1, s[4:5]
	v_lshlrev_b32_e32 v40, 1, v50
	v_mov_b32_e32 v41, 0
	v_lshl_add_u64 v[38:39], v[38:39], 0, v[40:41]
	global_load_dwordx4 v[38:41], v[38:39], off
.LBB217_37:
	s_or_b64 exec, exec, s[2:3]
	v_mov_b32_e32 v49, 0
	v_mov_b32_e32 v42, 0
	;; [unrolled: 1-line block ×5, first 2 shown]
	s_and_saveexec_b64 s[2:3], vcc
	s_cbranch_execz .LBB217_39
; %bb.38:
	v_mad_i64_i32 v[42:43], s[6:7], s27, v52, 0
	v_lshl_add_u64 v[42:43], v[42:43], 1, s[4:5]
	v_lshlrev_b32_e32 v44, 1, v50
	v_mov_b32_e32 v45, 0
	v_lshl_add_u64 v[42:43], v[42:43], 0, v[44:45]
	global_load_dwordx4 v[42:45], v[42:43], off offset:128
.LBB217_39:
	s_or_b64 exec, exec, s[2:3]
	v_mov_b32_e32 v48, 0
	v_mov_b32_e32 v47, 0
	;; [unrolled: 1-line block ×3, first 2 shown]
	s_and_saveexec_b64 s[2:3], s[0:1]
	s_cbranch_execz .LBB217_41
; %bb.40:
	v_mad_i64_i32 v[46:47], s[0:1], s27, v53, 0
	v_lshl_add_u64 v[46:47], v[46:47], 1, s[4:5]
	v_lshlrev_b32_e32 v48, 1, v50
	v_mov_b32_e32 v49, 0
	v_lshl_add_u64 v[46:47], v[46:47], 0, v[48:49]
	global_load_dwordx4 v[46:49], v[46:47], off offset:128
.LBB217_41:
	s_or_b64 exec, exec, s[2:3]
	s_branch .LBB217_45
.LBB217_42:
                                        ; implicit-def: $vgpr37
                                        ; implicit-def: $vgpr41
                                        ; implicit-def: $vgpr45
                                        ; implicit-def: $vgpr49
	v_lshrrev_b32_e32 v67, 2, v79
	s_branch .LBB217_46
.LBB217_43:
                                        ; implicit-def: $vgpr37
                                        ; implicit-def: $vgpr41
                                        ; implicit-def: $vgpr45
                                        ; implicit-def: $vgpr49
	s_cbranch_execz .LBB217_45
; %bb.44:
	s_waitcnt vmcnt(0)
	v_mad_u64_u32 v[34:35], s[0:1], v52, s27, v[50:51]
	v_lshlrev_b32_e32 v52, 1, v34
	s_lshl_b32 s2, s27, 7
	s_and_b32 s1, s5, 0xffff
	s_mov_b32 s3, 0x20000
	s_mov_b32 s0, s4
	v_add_lshl_u32 v53, v34, s27, 1
	s_movk_i32 s6, 0x80
	buffer_load_dwordx4 v[34:37], v52, s[0:3], 0 offen
	buffer_load_dwordx4 v[42:45], v52, s[0:3], s6 offen
	buffer_load_dwordx4 v[38:41], v53, s[0:3], 0 offen
	buffer_load_dwordx4 v[46:49], v53, s[0:3], s6 offen
.LBB217_45:
	v_lshrrev_b32_e32 v67, 2, v79
	s_cbranch_execnz .LBB217_58
.LBB217_46:
	s_and_b64 vcc, exec, s[18:19]
	s_cbranch_vccz .LBB217_56
; %bb.47:
	s_waitcnt vmcnt(0)
	v_lshlrev_b32_e32 v39, 1, v62
	v_cmp_gt_i32_e32 vcc, s48, v39
	v_mov_b32_e32 v38, 0
	v_lshlrev_b32_e32 v46, 9, v62
	v_mov_b32_e32 v34, 0
	v_mov_b32_e32 v35, 0
	;; [unrolled: 1-line block ×4, first 2 shown]
	s_and_saveexec_b64 s[0:1], vcc
	s_cbranch_execz .LBB217_49
; %bb.48:
	v_mov_b32_e32 v47, 0
	v_lshl_add_u64 v[34:35], s[4:5], 0, v[46:47]
	v_lshlrev_b32_e32 v36, 1, v50
	v_mov_b32_e32 v37, v47
	v_lshl_add_u64 v[34:35], v[34:35], 0, v[36:37]
	global_load_dwordx4 v[34:37], v[34:35], off
.LBB217_49:
	s_or_b64 exec, exec, s[0:1]
	v_or_b32_e32 v39, 1, v39
	v_cmp_gt_i32_e64 s[0:1], s48, v39
	v_lshlrev_b32_e32 v52, 8, v39
	v_mov_b32_e32 v39, 0
	v_mov_b32_e32 v40, 0
	;; [unrolled: 1-line block ×3, first 2 shown]
	s_and_saveexec_b64 s[2:3], s[0:1]
	s_cbranch_execz .LBB217_51
; %bb.50:
	v_mov_b32_e32 v53, 0
	v_lshl_add_u64 v[38:39], s[4:5], 0, v[52:53]
	v_lshlrev_b32_e32 v40, 1, v50
	v_mov_b32_e32 v41, v53
	v_lshl_add_u64 v[38:39], v[38:39], 0, v[40:41]
	global_load_dwordx4 v[38:41], v[38:39], off
.LBB217_51:
	s_or_b64 exec, exec, s[2:3]
	v_mov_b32_e32 v49, 0
	v_mov_b32_e32 v42, 0
	;; [unrolled: 1-line block ×5, first 2 shown]
	s_and_saveexec_b64 s[2:3], vcc
	s_cbranch_execz .LBB217_53
; %bb.52:
	v_mov_b32_e32 v47, 0
	v_lshl_add_u64 v[42:43], s[4:5], 0, v[46:47]
	v_lshlrev_b32_e32 v46, 1, v50
	v_lshl_add_u64 v[42:43], v[42:43], 0, v[46:47]
	global_load_dwordx4 v[42:45], v[42:43], off offset:128
.LBB217_53:
	s_or_b64 exec, exec, s[2:3]
	v_mov_b32_e32 v48, 0
	v_mov_b32_e32 v47, 0
	;; [unrolled: 1-line block ×3, first 2 shown]
	s_and_saveexec_b64 s[2:3], s[0:1]
	s_cbranch_execz .LBB217_55
; %bb.54:
	v_mov_b32_e32 v53, 0
	v_lshl_add_u64 v[46:47], s[4:5], 0, v[52:53]
	v_lshlrev_b32_e32 v52, 1, v50
	v_lshl_add_u64 v[46:47], v[46:47], 0, v[52:53]
	global_load_dwordx4 v[46:49], v[46:47], off offset:128
.LBB217_55:
	s_or_b64 exec, exec, s[2:3]
	s_branch .LBB217_58
.LBB217_56:
                                        ; implicit-def: $vgpr37
                                        ; implicit-def: $vgpr41
                                        ; implicit-def: $vgpr45
                                        ; implicit-def: $vgpr49
	s_cbranch_execz .LBB217_58
; %bb.57:
	s_waitcnt vmcnt(0)
	v_lshlrev_b32_e32 v34, 1, v50
	v_lshl_or_b32 v50, v62, 9, v34
	s_and_b32 s5, s5, 0xffff
	s_mov_b32 s7, 0x20000
	s_movk_i32 s6, 0x4000
	s_movk_i32 s0, 0x80
	buffer_load_dwordx4 v[34:37], v50, s[4:7], 0 offen
	buffer_load_dwordx4 v[38:41], v50, s[4:7], 0 offen offset:256
	buffer_load_dwordx4 v[42:45], v50, s[4:7], s0 offen
	buffer_load_dwordx4 v[46:49], v50, s[4:7], s0 offen offset:256
.LBB217_58:
	ds_read_b64 v[52:53], v63 offset:57344
	v_add_u32_e32 v50, 0x6000, v58
	ds_read2_b64 v[68:71], v50 offset1:16
	ds_read_b64 v[94:95], v64 offset:57344
	ds_read_b64 v[96:97], v65 offset:57344
	;; [unrolled: 1-line block ×3, first 2 shown]
	v_and_b32_e32 v63, 6, v0
	v_xor_b32_e32 v62, v62, v63
	v_lshlrev_b32_e32 v62, 2, v62
	s_mov_b32 s0, 0x1000504
	s_mov_b32 s1, 0x3020706
	s_waitcnt lgkmcnt(3)
	v_mfma_f32_16x16x16_bf16 a[0:3], v[52:53], v[68:69], a[0:3]
	v_mfma_f32_16x16x16_bf16 a[4:7], v[52:53], v[70:71], a[4:7]
	ds_read2_b64 v[68:71], v50 offset0:32 offset1:48
	v_and_b32_e32 v50, 12, v67
	ds_read2st64_b64 v[64:67], v58 offset0:52 offset1:56
	s_waitcnt lgkmcnt(1)
	v_mfma_f32_16x16x16_bf16 a[8:11], v[52:53], v[68:69], a[8:11]
	v_mfma_f32_16x16x16_bf16 a[12:15], v[52:53], v[70:71], a[12:15]
	ds_read2st64_b64 v[68:71], v59 offset0:52 offset1:56
	ds_read2st64_b64 v[72:75], v60 offset0:52 offset1:56
	;; [unrolled: 1-line block ×3, first 2 shown]
	s_waitcnt lgkmcnt(3)
	v_mfma_f32_16x16x16_bf16 a[0:3], v[94:95], v[64:65], a[0:3]
	ds_read_b64 v[52:53], v58 offset:30720
	ds_read_b64 v[64:65], v59 offset:30720
	;; [unrolled: 1-line block ×4, first 2 shown]
	s_waitcnt lgkmcnt(6)
	v_mfma_f32_16x16x16_bf16 a[4:7], v[94:95], v[68:69], a[4:7]
	v_and_b32_e32 v68, 1, v0
	v_xor_b32_e32 v69, 0x440, v62
	v_cmp_eq_u32_e32 vcc, 0, v68
	s_waitcnt lgkmcnt(5)
	v_mfma_f32_16x16x16_bf16 a[8:11], v[94:95], v[72:73], a[8:11]
	v_cndmask_b32_e32 v62, v69, v62, vcc
	v_lshl_or_b32 v62, v63, 10, v62
	s_waitcnt lgkmcnt(4)
	v_mfma_f32_16x16x16_bf16 a[12:15], v[94:95], v[90:91], a[12:15]
	s_waitcnt vmcnt(0)
	v_perm_b32 v63, v34, v38, s0
	v_perm_b32 v34, v34, v38, s1
	;; [unrolled: 1-line block ×3, first 2 shown]
	v_mfma_f32_16x16x16_bf16 a[0:3], v[96:97], v[66:67], a[0:3]
	v_perm_b32 v66, v42, v46, s0
	ds_write2st64_b32 v62, v63, v66 offset0:128 offset1:160
	v_xor_b32_e32 v63, 8, v62
	v_add_u32_e32 v42, 0x80, v63
	ds_write2st64_b32 v42, v34, v38 offset0:128 offset1:160
	v_xor_b32_e32 v34, 16, v62
	v_perm_b32 v38, v35, v39, s0
	v_perm_b32 v42, v43, v47, s0
	v_mfma_f32_16x16x16_bf16 a[4:7], v[96:97], v[70:71], a[4:7]
	ds_write2st64_b32 v34, v38, v42 offset0:129 offset1:161
	v_xor_b32_e32 v34, 24, v62
	v_perm_b32 v35, v35, v39, s1
	v_mfma_f32_16x16x16_bf16 a[16:19], v[96:97], v[74:75], a[8:11]
	v_perm_b32 v38, v43, v47, s1
	v_add_u32_e32 v34, 0x80, v34
	ds_write2st64_b32 v34, v35, v38 offset0:129 offset1:161
	v_mfma_f32_16x16x16_bf16 a[20:23], v[96:97], v[92:93], a[12:15]
	v_xor_b32_e32 v34, 32, v62
	v_perm_b32 v35, v36, v40, s0
	v_perm_b32 v38, v44, v48, s0
	ds_write2st64_b32 v34, v35, v38 offset0:130 offset1:162
	v_xor_b32_e32 v34, 40, v62
	s_waitcnt lgkmcnt(8)
	v_mfma_f32_16x16x16_bf16 a[12:15], v[98:99], v[52:53], a[0:3]
	v_perm_b32 v35, v36, v40, s1
	v_perm_b32 v36, v44, v48, s1
	v_add_u32_e32 v34, 0x80, v34
	s_waitcnt lgkmcnt(7)
	v_mfma_f32_16x16x16_bf16 a[8:11], v[98:99], v[64:65], a[4:7]
	ds_write2st64_b32 v34, v35, v36 offset0:130 offset1:162
	v_xor_b32_e32 v34, 48, v62
	v_perm_b32 v35, v37, v41, s0
	s_waitcnt lgkmcnt(7)
	v_mfma_f32_16x16x16_bf16 a[4:7], v[98:99], v[100:101], a[16:19]
	v_perm_b32 v36, v45, v49, s0
	ds_write2st64_b32 v34, v35, v36 offset0:131 offset1:163
	v_xor_b32_e32 v34, 56, v62
	s_waitcnt lgkmcnt(7)
	v_mfma_f32_16x16x16_bf16 a[0:3], v[98:99], v[102:103], a[20:23]
	v_or_b32_e32 v52, v50, v77
	v_perm_b32 v35, v37, v41, s1
	v_perm_b32 v36, v45, v49, s1
	v_add_u32_e32 v34, 0x80, v34
	v_cmp_gt_i32_e64 s[0:1], s48, v52
	v_mov_b32_e32 v62, 0
	v_mov_b32_e32 v63, 0
	ds_write2st64_b32 v34, v35, v36 offset0:131 offset1:163
	s_and_saveexec_b64 s[2:3], s[0:1]
	s_cbranch_execz .LBB217_60
; %bb.59:
	v_add_u32_e32 v34, s45, v52
	v_ashrrev_i32_e32 v35, 31, v34
	v_mul_lo_u32 v36, v35, s36
	v_mul_lo_u32 v37, v34, s37
	v_mad_u64_u32 v[34:35], s[4:5], v34, s36, 0
	v_add3_u32 v35, v35, v37, v36
	v_lshl_add_u64 v[34:35], v[34:35], 2, s[12:13]
	global_load_dword v34, v[34:35], off
	s_waitcnt vmcnt(0)
	v_sub_f32_e32 v34, s16, v34
	v_mul_f32_e32 v34, 0x3fb8aa3b, v34
	v_exp_f32_e32 v63, v34
.LBB217_60:
	s_or_b64 exec, exec, s[2:3]
	v_or_b32_e32 v43, 1, v52
	v_cmp_gt_i32_e64 s[2:3], s48, v43
	s_and_saveexec_b64 s[4:5], s[2:3]
	s_cbranch_execz .LBB217_62
; %bb.61:
	v_add_u32_e32 v34, s45, v43
	v_ashrrev_i32_e32 v35, 31, v34
	v_mul_lo_u32 v36, v35, s36
	v_mul_lo_u32 v37, v34, s37
	v_mad_u64_u32 v[34:35], s[6:7], v34, s36, 0
	v_add3_u32 v35, v35, v37, v36
	v_lshl_add_u64 v[34:35], v[34:35], 2, s[12:13]
	global_load_dword v34, v[34:35], off
	s_waitcnt vmcnt(0)
	v_sub_f32_e32 v34, s16, v34
	v_mul_f32_e32 v34, 0x3fb8aa3b, v34
	v_exp_f32_e32 v62, v34
.LBB217_62:
	s_or_b64 exec, exec, s[4:5]
	v_or_b32_e32 v42, 2, v52
	v_cmp_gt_i32_e64 s[4:5], s48, v42
	v_mov_b32_e32 v53, 0
	v_mov_b32_e32 v64, 0
	s_and_saveexec_b64 s[6:7], s[4:5]
	s_cbranch_execz .LBB217_64
; %bb.63:
	v_add_u32_e32 v34, s45, v42
	v_ashrrev_i32_e32 v35, 31, v34
	v_mul_lo_u32 v36, v35, s36
	v_mul_lo_u32 v37, v34, s37
	v_mad_u64_u32 v[34:35], s[18:19], v34, s36, 0
	v_add3_u32 v35, v35, v37, v36
	v_lshl_add_u64 v[34:35], v[34:35], 2, s[12:13]
	global_load_dword v34, v[34:35], off
	s_waitcnt vmcnt(0)
	v_sub_f32_e32 v34, s16, v34
	v_mul_f32_e32 v34, 0x3fb8aa3b, v34
	v_exp_f32_e32 v64, v34
.LBB217_64:
	s_or_b64 exec, exec, s[6:7]
	v_or_b32_e32 v65, 3, v52
	v_cmp_gt_i32_e32 vcc, s48, v65
	s_and_saveexec_b64 s[6:7], vcc
	s_cbranch_execz .LBB217_66
; %bb.65:
	v_add_u32_e32 v34, s45, v65
	v_ashrrev_i32_e32 v35, 31, v34
	v_mul_lo_u32 v36, v35, s36
	v_mul_lo_u32 v37, v34, s37
	v_mad_u64_u32 v[34:35], s[18:19], v34, s36, 0
	v_add3_u32 v35, v35, v37, v36
	v_lshl_add_u64 v[34:35], v[34:35], 2, s[12:13]
	global_load_dword v34, v[34:35], off
	s_waitcnt vmcnt(0)
	v_sub_f32_e32 v34, s16, v34
	v_mul_f32_e32 v34, 0x3fb8aa3b, v34
	v_exp_f32_e32 v53, v34
.LBB217_66:
	s_or_b64 exec, exec, s[6:7]
	s_add_u32 s6, s20, s28
	s_addc_u32 s7, s21, s29
	s_add_u32 s12, s14, s28
	v_ashrrev_i32_e32 v89, 31, v88
	v_accvgpr_read_b32 v37, a15
	s_addc_u32 s13, s15, s29
	v_lshlrev_b64 v[38:39], 1, v[88:89]
	v_accvgpr_read_b32 v36, a14
	v_accvgpr_read_b32 v35, a13
	;; [unrolled: 1-line block ×3, first 2 shown]
	v_lshl_add_u64 v[40:41], s[6:7], 0, v[38:39]
	v_lshl_add_u64 v[38:39], s[12:13], 0, v[38:39]
	v_mov_b32_e32 v47, 0
	v_lshlrev_b32_e32 v44, 8, v52
	v_mov_b32_e32 v45, 0
	s_and_saveexec_b64 s[6:7], s[0:1]
	s_cbranch_execz .LBB217_68
; %bb.67:
	v_mov_b32_e32 v45, 0
	v_lshl_add_u64 v[48:49], v[40:41], 0, v[44:45]
	global_load_ushort v46, v[48:49], off
	v_lshl_add_u64 v[48:49], v[38:39], 0, v[44:45]
	s_waitcnt vmcnt(0)
	v_lshlrev_b32_e32 v45, 16, v46
	v_sub_f32_e32 v34, v45, v34
	global_store_short_d16_hi v[48:49], v34, off
	v_mul_f32_e32 v34, v63, v34
	v_lshrrev_b32_e32 v45, 16, v34
.LBB217_68:
	s_or_b64 exec, exec, s[6:7]
	v_lshlrev_b32_e32 v46, 8, v43
	s_and_saveexec_b64 s[6:7], s[2:3]
	s_cbranch_execz .LBB217_70
; %bb.69:
	v_mov_b32_e32 v47, 0
	v_lshl_add_u64 v[48:49], v[40:41], 0, v[46:47]
	global_load_ushort v34, v[48:49], off
	v_lshl_add_u64 v[48:49], v[38:39], 0, v[46:47]
	s_waitcnt vmcnt(0)
	v_lshlrev_b32_e32 v34, 16, v34
	v_sub_f32_e32 v34, v34, v35
	global_store_short_d16_hi v[48:49], v34, off
	v_mul_f32_e32 v34, v62, v34
	v_lshrrev_b32_e32 v47, 16, v34
.LBB217_70:
	s_or_b64 exec, exec, s[6:7]
	v_mov_b32_e32 v43, 0
	v_lshlrev_b32_e32 v48, 8, v42
	v_mov_b32_e32 v49, 0
	s_and_saveexec_b64 s[6:7], s[4:5]
	s_cbranch_execz .LBB217_72
; %bb.71:
	v_mov_b32_e32 v49, 0
	v_lshl_add_u64 v[34:35], v[40:41], 0, v[48:49]
	global_load_ushort v42, v[34:35], off
	v_lshl_add_u64 v[34:35], v[38:39], 0, v[48:49]
	s_waitcnt vmcnt(0)
	v_lshlrev_b32_e32 v42, 16, v42
	v_sub_f32_e32 v36, v42, v36
	global_store_short_d16_hi v[34:35], v36, off
	v_mul_f32_e32 v34, v64, v36
	v_lshrrev_b32_e32 v49, 16, v34
.LBB217_72:
	s_or_b64 exec, exec, s[6:7]
	v_lshlrev_b32_e32 v42, 8, v65
	s_and_saveexec_b64 s[6:7], vcc
	s_cbranch_execz .LBB217_74
; %bb.73:
	v_mov_b32_e32 v43, 0
	v_lshl_add_u64 v[34:35], v[40:41], 0, v[42:43]
	global_load_ushort v36, v[34:35], off
	v_lshl_add_u64 v[34:35], v[38:39], 0, v[42:43]
	s_waitcnt vmcnt(0)
	v_lshlrev_b32_e32 v36, 16, v36
	v_sub_f32_e32 v36, v36, v37
	global_store_short_d16_hi v[34:35], v36, off
	v_mul_f32_e32 v34, v53, v36
	v_lshrrev_b32_e32 v43, 16, v34
.LBB217_74:
	s_or_b64 exec, exec, s[6:7]
	v_lshlrev_b32_e32 v65, 6, v52
	s_mov_b32 s6, 0x5040100
	v_accvgpr_read_b32 v37, a11
	v_perm_b32 v67, v43, v49, s6
	v_or_b32_e32 v43, v65, v57
	v_accvgpr_read_b32 v36, a10
	v_accvgpr_read_b32 v35, a9
	;; [unrolled: 1-line block ×3, first 2 shown]
	v_perm_b32 v66, v47, v45, s6
	v_lshlrev_b32_e32 v43, 1, v43
	v_mov_b32_e32 v47, 0
	v_mov_b32_e32 v45, 0
	ds_write_b64 v43, v[66:67] offset:24576
	s_and_saveexec_b64 s[6:7], s[0:1]
	s_cbranch_execz .LBB217_76
; %bb.75:
	v_mov_b32_e32 v45, 0
	v_lshl_add_u64 v[66:67], v[40:41], 0, v[44:45]
	global_load_ushort v43, v[66:67], off offset:32
	v_lshl_add_u64 v[66:67], v[38:39], 0, v[44:45]
	s_waitcnt vmcnt(0)
	v_lshlrev_b32_e32 v43, 16, v43
	v_sub_f32_e32 v34, v43, v34
	global_store_short_d16_hi v[66:67], v34, off offset:32
	v_mul_f32_e32 v34, v63, v34
	v_lshrrev_b32_e32 v45, 16, v34
.LBB217_76:
	s_or_b64 exec, exec, s[6:7]
	s_and_saveexec_b64 s[6:7], s[2:3]
	s_cbranch_execz .LBB217_78
; %bb.77:
	v_mov_b32_e32 v47, 0
	v_lshl_add_u64 v[66:67], v[40:41], 0, v[46:47]
	global_load_ushort v34, v[66:67], off offset:32
	v_lshl_add_u64 v[66:67], v[38:39], 0, v[46:47]
	s_waitcnt vmcnt(0)
	v_lshlrev_b32_e32 v34, 16, v34
	v_sub_f32_e32 v34, v34, v35
	global_store_short_d16_hi v[66:67], v34, off offset:32
	v_mul_f32_e32 v34, v62, v34
	v_lshrrev_b32_e32 v47, 16, v34
.LBB217_78:
	s_or_b64 exec, exec, s[6:7]
	v_mov_b32_e32 v43, 0
	v_mov_b32_e32 v49, 0
	s_and_saveexec_b64 s[6:7], s[4:5]
	s_cbranch_execz .LBB217_80
; %bb.79:
	v_mov_b32_e32 v49, 0
	v_lshl_add_u64 v[34:35], v[40:41], 0, v[48:49]
	global_load_ushort v57, v[34:35], off offset:32
	v_lshl_add_u64 v[34:35], v[38:39], 0, v[48:49]
	s_waitcnt vmcnt(0)
	v_lshlrev_b32_e32 v49, 16, v57
	v_sub_f32_e32 v36, v49, v36
	global_store_short_d16_hi v[34:35], v36, off offset:32
	v_mul_f32_e32 v34, v64, v36
	v_lshrrev_b32_e32 v49, 16, v34
.LBB217_80:
	s_or_b64 exec, exec, s[6:7]
	s_and_saveexec_b64 s[6:7], vcc
	s_cbranch_execz .LBB217_82
; %bb.81:
	v_mov_b32_e32 v43, 0
	v_lshl_add_u64 v[34:35], v[40:41], 0, v[42:43]
	global_load_ushort v36, v[34:35], off offset:32
	v_lshl_add_u64 v[34:35], v[38:39], 0, v[42:43]
	s_waitcnt vmcnt(0)
	v_lshlrev_b32_e32 v36, 16, v36
	v_sub_f32_e32 v36, v36, v37
	global_store_short_d16_hi v[34:35], v36, off offset:32
	v_mul_f32_e32 v34, v53, v36
	v_lshrrev_b32_e32 v43, 16, v34
.LBB217_82:
	s_or_b64 exec, exec, s[6:7]
	s_mov_b32 s6, 0x5040100
	v_accvgpr_read_b32 v37, a7
	v_perm_b32 v67, v43, v49, s6
	v_or_b32_e32 v43, v65, v55
	v_accvgpr_read_b32 v36, a6
	v_accvgpr_read_b32 v35, a5
	;; [unrolled: 1-line block ×3, first 2 shown]
	v_perm_b32 v66, v47, v45, s6
	v_lshlrev_b32_e32 v43, 1, v43
	v_mov_b32_e32 v47, 0
	v_mov_b32_e32 v45, 0
	ds_write_b64 v43, v[66:67] offset:24576
	s_and_saveexec_b64 s[6:7], s[0:1]
	s_cbranch_execz .LBB217_84
; %bb.83:
	v_mov_b32_e32 v45, 0
	v_lshl_add_u64 v[66:67], v[40:41], 0, v[44:45]
	global_load_ushort v43, v[66:67], off offset:64
	v_lshl_add_u64 v[66:67], v[38:39], 0, v[44:45]
	s_waitcnt vmcnt(0)
	v_lshlrev_b32_e32 v43, 16, v43
	v_sub_f32_e32 v34, v43, v34
	global_store_short_d16_hi v[66:67], v34, off offset:64
	v_mul_f32_e32 v34, v63, v34
	v_lshrrev_b32_e32 v45, 16, v34
.LBB217_84:
	s_or_b64 exec, exec, s[6:7]
	s_and_saveexec_b64 s[6:7], s[2:3]
	s_cbranch_execz .LBB217_86
; %bb.85:
	v_mov_b32_e32 v47, 0
	v_lshl_add_u64 v[66:67], v[40:41], 0, v[46:47]
	global_load_ushort v34, v[66:67], off offset:64
	v_lshl_add_u64 v[66:67], v[38:39], 0, v[46:47]
	s_waitcnt vmcnt(0)
	v_lshlrev_b32_e32 v34, 16, v34
	v_sub_f32_e32 v34, v34, v35
	global_store_short_d16_hi v[66:67], v34, off offset:64
	v_mul_f32_e32 v34, v62, v34
	v_lshrrev_b32_e32 v47, 16, v34
.LBB217_86:
	s_or_b64 exec, exec, s[6:7]
	v_mov_b32_e32 v43, 0
	v_mov_b32_e32 v49, 0
	s_and_saveexec_b64 s[6:7], s[4:5]
	s_cbranch_execz .LBB217_88
; %bb.87:
	v_mov_b32_e32 v49, 0
	v_lshl_add_u64 v[34:35], v[40:41], 0, v[48:49]
	global_load_ushort v55, v[34:35], off offset:64
	v_lshl_add_u64 v[34:35], v[38:39], 0, v[48:49]
	s_waitcnt vmcnt(0)
	v_lshlrev_b32_e32 v49, 16, v55
	v_sub_f32_e32 v36, v49, v36
	global_store_short_d16_hi v[34:35], v36, off offset:64
	v_mul_f32_e32 v34, v64, v36
	v_lshrrev_b32_e32 v49, 16, v34
.LBB217_88:
	s_or_b64 exec, exec, s[6:7]
	s_and_saveexec_b64 s[6:7], vcc
	s_cbranch_execz .LBB217_90
; %bb.89:
	v_mov_b32_e32 v43, 0
	v_lshl_add_u64 v[34:35], v[40:41], 0, v[42:43]
	global_load_ushort v36, v[34:35], off offset:64
	v_lshl_add_u64 v[34:35], v[38:39], 0, v[42:43]
	s_waitcnt vmcnt(0)
	v_lshlrev_b32_e32 v36, 16, v36
	v_sub_f32_e32 v36, v36, v37
	global_store_short_d16_hi v[34:35], v36, off offset:64
	v_mul_f32_e32 v34, v53, v36
	v_lshrrev_b32_e32 v43, 16, v34
.LBB217_90:
	s_or_b64 exec, exec, s[6:7]
	s_mov_b32 s6, 0x5040100
	v_accvgpr_read_b32 v37, a3
	v_perm_b32 v67, v43, v49, s6
	v_or_b32_e32 v43, v65, v54
	v_accvgpr_read_b32 v36, a2
	v_accvgpr_read_b32 v35, a1
	;; [unrolled: 1-line block ×3, first 2 shown]
	v_perm_b32 v66, v47, v45, s6
	v_lshlrev_b32_e32 v43, 1, v43
	v_mov_b32_e32 v47, 0
	v_mov_b32_e32 v45, 0
	ds_write_b64 v43, v[66:67] offset:24576
	s_and_saveexec_b64 s[6:7], s[0:1]
	s_cbranch_execz .LBB217_92
; %bb.91:
	v_mov_b32_e32 v45, 0
	v_lshl_add_u64 v[54:55], v[40:41], 0, v[44:45]
	global_load_ushort v43, v[54:55], off offset:96
	v_lshl_add_u64 v[44:45], v[38:39], 0, v[44:45]
	s_waitcnt vmcnt(0)
	v_lshlrev_b32_e32 v43, 16, v43
	v_sub_f32_e32 v34, v43, v34
	global_store_short_d16_hi v[44:45], v34, off offset:96
	v_mul_f32_e32 v34, v63, v34
	v_lshrrev_b32_e32 v45, 16, v34
.LBB217_92:
	s_or_b64 exec, exec, s[6:7]
	s_and_saveexec_b64 s[0:1], s[2:3]
	s_cbranch_execz .LBB217_94
; %bb.93:
	v_mov_b32_e32 v47, 0
	v_lshl_add_u64 v[54:55], v[40:41], 0, v[46:47]
	global_load_ushort v34, v[54:55], off offset:96
	v_lshl_add_u64 v[46:47], v[38:39], 0, v[46:47]
	s_waitcnt vmcnt(0)
	v_lshlrev_b32_e32 v34, 16, v34
	v_sub_f32_e32 v34, v34, v35
	global_store_short_d16_hi v[46:47], v34, off offset:96
	v_mul_f32_e32 v34, v62, v34
	v_lshrrev_b32_e32 v47, 16, v34
.LBB217_94:
	s_or_b64 exec, exec, s[0:1]
	v_mov_b32_e32 v43, 0
	v_mov_b32_e32 v46, 0
	s_and_saveexec_b64 s[0:1], s[4:5]
	s_cbranch_execz .LBB217_96
; %bb.95:
	v_mov_b32_e32 v49, 0
	v_lshl_add_u64 v[34:35], v[40:41], 0, v[48:49]
	global_load_ushort v44, v[34:35], off offset:96
	v_lshl_add_u64 v[34:35], v[38:39], 0, v[48:49]
	s_waitcnt vmcnt(0)
	v_lshlrev_b32_e32 v44, 16, v44
	v_sub_f32_e32 v36, v44, v36
	global_store_short_d16_hi v[34:35], v36, off offset:96
	v_mul_f32_e32 v34, v64, v36
	v_lshrrev_b32_e32 v46, 16, v34
.LBB217_96:
	s_or_b64 exec, exec, s[0:1]
	v_or_b32_e32 v34, 0x6000, v58
	v_or_b32_e32 v35, 0x6000, v59
	;; [unrolled: 1-line block ×4, first 2 shown]
	s_and_saveexec_b64 s[0:1], vcc
	s_cbranch_execz .LBB217_98
; %bb.97:
	v_mov_b32_e32 v43, 0
	v_lshl_add_u64 v[40:41], v[40:41], 0, v[42:43]
	global_load_ushort v40, v[40:41], off offset:96
	v_lshl_add_u64 v[38:39], v[38:39], 0, v[42:43]
	s_waitcnt vmcnt(0)
	v_lshlrev_b32_e32 v40, 16, v40
	v_sub_f32_e32 v37, v40, v37
	global_store_short_d16_hi v[38:39], v37, off offset:96
	v_mul_f32_e32 v37, v53, v37
	v_lshrrev_b32_e32 v43, 16, v37
.LBB217_98:
	s_or_b64 exec, exec, s[0:1]
	s_mov_b32 s0, 0x5040100
	v_or_b32_e32 v37, v65, v51
	v_perm_b32 v39, v43, v46, s0
	v_perm_b32 v38, v47, v45, s0
	v_lshlrev_b32_e32 v37, 1, v37
	ds_write_b64 v37, v[38:39] offset:24576
	v_and_b32_e32 v37, 7, v0
	v_lshlrev_b32_e32 v45, 3, v37
	v_lshlrev_b32_e32 v79, 7, v37
	v_lshrrev_b32_e32 v37, 1, v0
	s_add_i32 s0, s17, s51
	v_and_b32_e32 v37, 24, v37
	v_lshlrev_b32_e32 v76, 3, v1
	s_mul_hi_i32 s3, s0, s25
	s_mul_i32 s0, s0, s25
	v_and_b32_e32 v42, 8, v0
	s_movk_i32 s4, 0x100
	v_xor_b32_e32 v77, v76, v37
	s_add_u32 s2, s0, s33
	v_cmp_eq_u32_e32 vcc, 0, v42
	v_cmp_gt_u32_e64 s[0:1], s4, v0
	v_or_b32_e32 v0, 0x440, v77
	v_mov_b32_e32 v43, 0x400
	v_cndmask_b32_e32 v0, v0, v77, vcc
	v_cndmask_b32_e64 v51, v43, 64, vcc
	v_mov_b32_e32 v42, 0xa000
	v_mov_b32_e32 v43, 0x8000
	v_or_b32_e32 v0, v0, v56
	v_cndmask_b32_e64 v57, v42, v43, s[0:1]
	v_xor_b32_e32 v92, v0, v45
	v_add3_u32 v0, v57, v92, v79
	s_waitcnt lgkmcnt(0)
	s_barrier
	ds_read_b64 v[42:43], v0
	v_or_b32_e32 v0, 32, v37
	v_xor_b32_e32 v0, v76, v0
	v_or_b32_e32 v46, 0x440, v0
	ds_read2_b64 v[38:41], v34 offset1:16
	v_cndmask_b32_e32 v0, v46, v0, vcc
	ds_read2_b64 v[46:49], v34 offset0:32 offset1:48
	s_waitcnt lgkmcnt(1)
	v_mfma_f32_16x16x16_bf16 a[0:3], v[42:43], v[38:39], 0
	v_or_b32_e32 v0, v0, v56
	s_addc_u32 s3, s3, s50
	v_or_b32_e32 v37, 0x60, v37
	v_mfma_f32_16x16x16_bf16 a[4:7], v[42:43], v[40:41], 0
	v_xor_b32_e32 v93, v0, v45
	s_lshl_b64 s[0:1], s[2:3], 9
	v_xor_b32_e32 v37, v76, v37
	s_waitcnt lgkmcnt(0)
	v_mfma_f32_16x16x16_bf16 a[8:11], v[42:43], v[46:47], 0
	v_add3_u32 v0, v57, v93, v79
	s_add_u32 s0, s8, s0
	ds_read_b64 v[74:75], v0
	v_mfma_f32_16x16x16_bf16 a[12:15], v[42:43], v[48:49], 0
	v_or3_b32 v42, v56, v51, v77
	v_xor_b32_e32 v42, v42, v45
	v_or_b32_e32 v94, v42, v79
	v_or_b32_e32 v42, v57, v94
	v_xor_b32_e32 v43, 0x440, v37
	s_addc_u32 s1, s9, s1
	v_cndmask_b32_e32 v37, v43, v37, vcc
	ds_read_b64 v[42:43], v42
	v_lshlrev_b32_e32 v0, 2, v52
	global_load_dwordx4 v[52:55], v0, s[0:1]
	ds_read2st64_b64 v[58:61], v34 offset0:4 offset1:8
	ds_read2st64_b64 v[62:65], v35 offset0:4 offset1:8
	;; [unrolled: 1-line block ×4, first 2 shown]
	v_or_b32_e32 v37, v37, v56
	v_xor_b32_e32 v95, v37, v45
	v_lshlrev_b32_e32 v1, 6, v1
	v_lshlrev_b32_e32 v37, 2, v50
	v_or3_b32 v1, v1, v37, s4
	s_waitcnt lgkmcnt(3)
	v_mfma_f32_16x16x16_bf16 a[0:3], v[74:75], v[58:59], a[0:3]
	v_mov_b32_e32 v0, 0x3fb8aa3b
	v_mul_f32_e32 v0, s16, v0
	v_exp_f32_e32 v0, v0
	s_waitcnt lgkmcnt(2)
	v_mfma_f32_16x16x16_bf16 a[4:7], v[74:75], v[62:63], a[4:7]
	s_waitcnt lgkmcnt(1)
	v_mfma_f32_16x16x16_bf16 a[8:11], v[74:75], v[66:67], a[8:11]
	;; [unrolled: 2-line block ×3, first 2 shown]
	global_load_dwordx4 v[74:77], v1, s[0:1]
	v_add3_u32 v1, v57, v95, v79
	ds_read_b64 v[50:51], v1
	ds_read_b64 v[56:57], v34 offset:6144
	ds_read_b64 v[88:89], v35 offset:6144
	ds_read_b64 v[90:91], v36 offset:6144
	ds_read_b64 v[44:45], v44 offset:6144
	v_mfma_f32_16x16x16_bf16 a[0:3], v[42:43], v[60:61], a[0:3]
	s_waitcnt vmcnt(1)
	v_mul_f32_e32 v1, 0x3fb8aa3b, v52
	v_exp_f32_e32 v34, v1
	v_mul_f32_e32 v1, 0x3fb8aa3b, v53
	v_exp_f32_e32 v35, v1
	;; [unrolled: 2-line block ×4, first 2 shown]
	v_pk_mul_f32 v[34:35], v[0:1], v[34:35] op_sel_hi:[0,1]
	v_mfma_f32_16x16x16_bf16 a[4:7], v[42:43], v[64:65], a[4:7]
	v_add_u32_e32 v54, v95, v79
	v_pk_mul_f32 v[36:37], v[0:1], v[36:37] op_sel_hi:[0,1]
	v_add_u32_e32 v1, v92, v79
	v_mfma_f32_16x16x16_bf16 a[8:11], v[42:43], v[68:69], a[8:11]
	v_pk_mul_f32 v[22:23], v[22:23], v[34:35]
	v_pk_mul_f32 v[24:25], v[24:25], v[36:37]
	;; [unrolled: 1-line block ×3, first 2 shown]
	v_mfma_f32_16x16x16_bf16 a[12:15], v[42:43], v[72:73], a[12:15]
	ds_read_b64 v[42:43], v1 offset:40960
	v_add_u32_e32 v1, v93, v79
	ds_read_b64 v[52:53], v1 offset:40960
	ds_read_b64 v[54:55], v54 offset:40960
	s_waitcnt lgkmcnt(6)
	v_mfma_f32_16x16x16_bf16 a[0:3], v[50:51], v[56:57], a[0:3]
	v_pk_mul_f32 v[28:29], v[36:37], v[28:29]
	v_pk_mul_f32 v[30:31], v[34:35], v[30:31]
	;; [unrolled: 1-line block ×3, first 2 shown]
	s_waitcnt lgkmcnt(3)
	v_mfma_f32_16x16x16_bf16 a[12:15], v[50:51], v[44:45], a[12:15]
	v_mfma_f32_16x16x16_bf16 a[4:7], v[50:51], v[88:89], a[4:7]
	s_nop 0
	v_accvgpr_read_b32 v1, a0
	v_add_f32_e32 v22, v22, v1
	v_accvgpr_read_b32 v1, a1
	v_mfma_f32_16x16x16_bf16 a[8:11], v[50:51], v[90:91], a[8:11]
	s_nop 0
	v_accvgpr_read_b32 v51, a15
	v_accvgpr_read_b32 v50, a14
	v_add_f32_e32 v23, v23, v1
	s_waitcnt lgkmcnt(2)
	v_mfma_f32_16x16x16_bf16 a[14:17], v[42:43], v[38:39], 0
	v_accvgpr_read_b32 v1, a2
	ds_read_b64 v[38:39], v94 offset:40960
	v_add_f32_e32 v24, v24, v1
	v_accvgpr_read_b32 v1, a3
	v_add_f32_e32 v25, v25, v1
	v_accvgpr_read_b32 v1, a4
	;; [unrolled: 2-line block ×4, first 2 shown]
	v_mfma_f32_16x16x16_bf16 a[18:21], v[42:43], v[40:41], 0
	v_add_f32_e32 v28, v28, v1
	v_accvgpr_read_b32 v1, a7
	v_add_f32_e32 v29, v29, v1
	s_waitcnt lgkmcnt(2)
	v_mfma_f32_16x16x16_bf16 a[14:17], v[52:53], v[58:59], a[14:17]
	v_accvgpr_read_b32 v1, a8
	v_add_f32_e32 v30, v30, v1
	v_accvgpr_read_b32 v1, a9
	v_add_f32_e32 v31, v31, v1
	v_accvgpr_read_b32 v1, a10
	v_accvgpr_read_b32 v41, a13
	v_mfma_f32_16x16x16_bf16 a[22:25], v[42:43], v[46:47], 0
	v_add_f32_e32 v32, v32, v1
	v_accvgpr_read_b32 v1, a11
	v_accvgpr_read_b32 v40, a12
	v_mfma_f32_16x16x16_bf16 a[0:3], v[42:43], v[48:49], 0
	v_add_f32_e32 v33, v33, v1
	v_pk_fma_f32 v[6:7], v[34:35], v[6:7], v[40:41]
	v_pk_fma_f32 v[8:9], v[36:37], v[8:9], v[50:51]
	v_mfma_f32_16x16x16_bf16 a[4:7], v[52:53], v[62:63], a[18:21]
	s_waitcnt vmcnt(0)
	v_mov_b32_e32 v34, v75
	v_mul_f32_e32 v1, 0x3fb8aa3b, v74
	v_mov_b32_e32 v35, v76
	s_waitcnt lgkmcnt(0)
	v_mfma_f32_16x16x16_bf16 a[8:11], v[38:39], v[60:61], a[14:17]
	v_exp_f32_e32 v40, v1
	v_mul_f32_e32 v1, 0x3fb8aa3b, v34
	v_mov_b32_e32 v36, v77
	v_exp_f32_e32 v41, v1
	v_mul_f32_e32 v1, 0x3fb8aa3b, v35
	v_mfma_f32_16x16x16_bf16 a[18:21], v[52:53], v[66:67], a[22:25]
	v_exp_f32_e32 v34, v1
	v_mul_f32_e32 v1, 0x3fb8aa3b, v36
	v_exp_f32_e32 v35, v1
	v_mfma_f32_16x16x16_bf16 a[0:3], v[52:53], v[70:71], a[0:3]
	v_pk_mul_f32 v[36:37], v[0:1], v[40:41] op_sel_hi:[0,1]
	v_pk_mul_f32 v[10:11], v[10:11], v[36:37]
	v_pk_mul_f32 v[0:1], v[0:1], v[34:35] op_sel_hi:[0,1]
	v_mfma_f32_16x16x16_bf16 a[4:7], v[38:39], v[64:65], a[4:7]
	v_pk_mul_f32 v[12:13], v[12:13], v[0:1]
	v_pk_mul_f32 v[14:15], v[36:37], v[14:15]
	;; [unrolled: 1-line block ×3, first 2 shown]
	v_mfma_f32_16x16x16_bf16 a[8:11], v[54:55], v[56:57], a[8:11]
	v_pk_mul_f32 v[18:19], v[36:37], v[18:19]
	v_pk_mul_f32 v[20:21], v[0:1], v[20:21]
	v_mfma_f32_16x16x16_bf16 a[12:15], v[38:39], v[68:69], a[18:21]
	v_mfma_f32_16x16x16_bf16 a[0:3], v[38:39], v[72:73], a[0:3]
	s_nop 2
	v_accvgpr_read_b32 v38, a8
	v_add_f32_e32 v10, v10, v38
	v_accvgpr_read_b32 v38, a9
	v_mfma_f32_16x16x16_bf16 a[4:7], v[54:55], v[88:89], a[4:7]
	v_add_f32_e32 v11, v11, v38
	v_accvgpr_read_b32 v38, a10
	v_add_f32_e32 v12, v12, v38
	v_accvgpr_read_b32 v38, a11
	v_mfma_f32_16x16x16_bf16 a[12:15], v[54:55], v[90:91], a[12:15]
	v_add_f32_e32 v13, v13, v38
	s_nop 0
	v_accvgpr_read_b32 v38, a4
	v_add_f32_e32 v14, v14, v38
	v_accvgpr_read_b32 v38, a5
	v_add_f32_e32 v15, v15, v38
	;; [unrolled: 2-line block ×3, first 2 shown]
	v_accvgpr_read_b32 v38, a7
	v_mfma_f32_16x16x16_bf16 a[0:3], v[54:55], v[44:45], a[0:3]
	v_add_f32_e32 v17, v17, v38
	v_accvgpr_read_b32 v38, a12
	v_add_f32_e32 v18, v18, v38
	v_accvgpr_read_b32 v38, a13
	;; [unrolled: 2-line block ×5, first 2 shown]
	v_accvgpr_read_b32 v35, a3
	v_accvgpr_read_b32 v34, a2
	v_accvgpr_read_b32 v38, a0
	v_pk_fma_f32 v[2:3], v[36:37], v[2:3], v[38:39]
	v_pk_fma_f32 v[4:5], v[0:1], v[4:5], v[34:35]
.LBB217_99:
	s_add_u32 s0, s10, s34
	s_addc_u32 s1, s11, s35
	v_lshl_add_u64 v[0:1], v[80:81], 2, s[0:1]
	v_mov_b32_e32 v79, 0
	v_lshl_add_u64 v[0:1], v[0:1], 0, v[78:79]
	s_waitcnt vmcnt(7)
	global_store_dwordx4 v[0:1], v[22:25], off
	s_waitcnt vmcnt(7)
	global_store_dwordx4 v[0:1], v[10:13], off offset:256
	v_lshl_add_u64 v[0:1], v[82:83], 2, s[0:1]
	v_lshl_add_u64 v[0:1], v[0:1], 0, v[78:79]
	s_waitcnt vmcnt(7)
	global_store_dwordx4 v[0:1], v[26:29], off
	s_waitcnt vmcnt(7)
	global_store_dwordx4 v[0:1], v[14:17], off offset:256
	v_lshl_add_u64 v[0:1], v[86:87], 2, s[0:1]
	;; [unrolled: 6-line block ×3, first 2 shown]
	v_lshl_add_u64 v[0:1], v[0:1], 0, v[78:79]
	s_waitcnt vmcnt(7)
	global_store_dwordx4 v[0:1], v[6:9], off
	s_waitcnt vmcnt(7)
	global_store_dwordx4 v[0:1], v[2:5], off offset:256
	s_endpgm
	.section	.rodata,"a",@progbits
	.p2align	6, 0x0
	.amdhsa_kernel _ZN12_GLOBAL__N_139chunk_gated_delta_rule_fwd_h_hip_kernelILi64ELb1ELb1ELb1ELb0ELb0ELb1ELb0ELb0EEEvPK12hip_bfloat16S3_S3_PKfS5_PKvPS1_S8_PvPKiSB_iiiiilll
		.amdhsa_group_segment_fixed_size 65536
		.amdhsa_private_segment_fixed_size 0
		.amdhsa_kernarg_size 136
		.amdhsa_user_sgpr_count 2
		.amdhsa_user_sgpr_dispatch_ptr 0
		.amdhsa_user_sgpr_queue_ptr 0
		.amdhsa_user_sgpr_kernarg_segment_ptr 1
		.amdhsa_user_sgpr_dispatch_id 0
		.amdhsa_user_sgpr_kernarg_preload_length 0
		.amdhsa_user_sgpr_kernarg_preload_offset 0
		.amdhsa_user_sgpr_private_segment_size 0
		.amdhsa_uses_dynamic_stack 0
		.amdhsa_enable_private_segment 0
		.amdhsa_system_sgpr_workgroup_id_x 1
		.amdhsa_system_sgpr_workgroup_id_y 1
		.amdhsa_system_sgpr_workgroup_id_z 0
		.amdhsa_system_sgpr_workgroup_info 0
		.amdhsa_system_vgpr_workitem_id 0
		.amdhsa_next_free_vgpr 240
		.amdhsa_next_free_sgpr 75
		.amdhsa_accum_offset 200
		.amdhsa_reserve_vcc 1
		.amdhsa_float_round_mode_32 0
		.amdhsa_float_round_mode_16_64 0
		.amdhsa_float_denorm_mode_32 3
		.amdhsa_float_denorm_mode_16_64 3
		.amdhsa_dx10_clamp 1
		.amdhsa_ieee_mode 1
		.amdhsa_fp16_overflow 0
		.amdhsa_tg_split 0
		.amdhsa_exception_fp_ieee_invalid_op 0
		.amdhsa_exception_fp_denorm_src 0
		.amdhsa_exception_fp_ieee_div_zero 0
		.amdhsa_exception_fp_ieee_overflow 0
		.amdhsa_exception_fp_ieee_underflow 0
		.amdhsa_exception_fp_ieee_inexact 0
		.amdhsa_exception_int_div_zero 0
	.end_amdhsa_kernel
	.section	.text._ZN12_GLOBAL__N_139chunk_gated_delta_rule_fwd_h_hip_kernelILi64ELb1ELb1ELb1ELb0ELb0ELb1ELb0ELb0EEEvPK12hip_bfloat16S3_S3_PKfS5_PKvPS1_S8_PvPKiSB_iiiiilll,"axG",@progbits,_ZN12_GLOBAL__N_139chunk_gated_delta_rule_fwd_h_hip_kernelILi64ELb1ELb1ELb1ELb0ELb0ELb1ELb0ELb0EEEvPK12hip_bfloat16S3_S3_PKfS5_PKvPS1_S8_PvPKiSB_iiiiilll,comdat
.Lfunc_end217:
	.size	_ZN12_GLOBAL__N_139chunk_gated_delta_rule_fwd_h_hip_kernelILi64ELb1ELb1ELb1ELb0ELb0ELb1ELb0ELb0EEEvPK12hip_bfloat16S3_S3_PKfS5_PKvPS1_S8_PvPKiSB_iiiiilll, .Lfunc_end217-_ZN12_GLOBAL__N_139chunk_gated_delta_rule_fwd_h_hip_kernelILi64ELb1ELb1ELb1ELb0ELb0ELb1ELb0ELb0EEEvPK12hip_bfloat16S3_S3_PKfS5_PKvPS1_S8_PvPKiSB_iiiiilll
                                        ; -- End function
	.section	.AMDGPU.csdata,"",@progbits
; Kernel info:
; codeLenInByte = 13124
; NumSgprs: 81
; NumVgprs: 200
; NumAgprs: 40
; TotalNumVgprs: 240
; ScratchSize: 0
; MemoryBound: 0
; FloatMode: 240
; IeeeMode: 1
; LDSByteSize: 65536 bytes/workgroup (compile time only)
; SGPRBlocks: 10
; VGPRBlocks: 29
; NumSGPRsForWavesPerEU: 81
; NumVGPRsForWavesPerEU: 240
; AccumOffset: 200
; Occupancy: 1
; WaveLimiterHint : 1
; COMPUTE_PGM_RSRC2:SCRATCH_EN: 0
; COMPUTE_PGM_RSRC2:USER_SGPR: 2
; COMPUTE_PGM_RSRC2:TRAP_HANDLER: 0
; COMPUTE_PGM_RSRC2:TGID_X_EN: 1
; COMPUTE_PGM_RSRC2:TGID_Y_EN: 1
; COMPUTE_PGM_RSRC2:TGID_Z_EN: 0
; COMPUTE_PGM_RSRC2:TIDIG_COMP_CNT: 0
; COMPUTE_PGM_RSRC3_GFX90A:ACCUM_OFFSET: 49
; COMPUTE_PGM_RSRC3_GFX90A:TG_SPLIT: 0
	.section	.text._ZN12_GLOBAL__N_139chunk_gated_delta_rule_fwd_h_hip_kernelILi64ELb1ELb1ELb0ELb0ELb0ELb1ELb0ELb0EEEvPK12hip_bfloat16S3_S3_PKfS5_PKvPS1_S8_PvPKiSB_iiiiilll,"axG",@progbits,_ZN12_GLOBAL__N_139chunk_gated_delta_rule_fwd_h_hip_kernelILi64ELb1ELb1ELb0ELb0ELb0ELb1ELb0ELb0EEEvPK12hip_bfloat16S3_S3_PKfS5_PKvPS1_S8_PvPKiSB_iiiiilll,comdat
	.globl	_ZN12_GLOBAL__N_139chunk_gated_delta_rule_fwd_h_hip_kernelILi64ELb1ELb1ELb0ELb0ELb0ELb1ELb0ELb0EEEvPK12hip_bfloat16S3_S3_PKfS5_PKvPS1_S8_PvPKiSB_iiiiilll ; -- Begin function _ZN12_GLOBAL__N_139chunk_gated_delta_rule_fwd_h_hip_kernelILi64ELb1ELb1ELb0ELb0ELb0ELb1ELb0ELb0EEEvPK12hip_bfloat16S3_S3_PKfS5_PKvPS1_S8_PvPKiSB_iiiiilll
	.p2align	8
	.type	_ZN12_GLOBAL__N_139chunk_gated_delta_rule_fwd_h_hip_kernelILi64ELb1ELb1ELb0ELb0ELb0ELb1ELb0ELb0EEEvPK12hip_bfloat16S3_S3_PKfS5_PKvPS1_S8_PvPKiSB_iiiiilll,@function
_ZN12_GLOBAL__N_139chunk_gated_delta_rule_fwd_h_hip_kernelILi64ELb1ELb1ELb0ELb0ELb0ELb1ELb0ELb0EEEvPK12hip_bfloat16S3_S3_PKfS5_PKvPS1_S8_PvPKiSB_iiiiilll: ; @_ZN12_GLOBAL__N_139chunk_gated_delta_rule_fwd_h_hip_kernelILi64ELb1ELb1ELb0ELb0ELb0ELb1ELb0ELb0EEEvPK12hip_bfloat16S3_S3_PKfS5_PKvPS1_S8_PvPKiSB_iiiiilll
; %bb.0:
	s_load_dwordx4 s[12:15], s[0:1], 0x5c
	s_abs_i32 s6, s3
	s_ashr_i32 s5, s3, 31
	s_load_dwordx4 s[16:19], s[0:1], 0x20
	s_load_dwordx2 s[38:39], s[0:1], 0x30
	v_and_b32_e32 v97, 15, v0
	s_waitcnt lgkmcnt(0)
	s_abs_i32 s4, s13
	v_cvt_f32_u32_e32 v1, s4
	s_sub_i32 s8, 0, s4
	s_ashr_i32 s7, s13, 31
	s_xor_b32 s5, s5, s7
	v_rcp_iflag_f32_e32 v1, v1
	v_bfe_u32 v96, v0, 4, 2
	v_mov_b32_e32 v79, 0
	v_lshlrev_b32_e32 v98, 3, v0
	v_mul_f32_e32 v1, 0x4f7ffffe, v1
	v_cvt_u32_f32_e32 v1, v1
	s_nop 0
	v_readfirstlane_b32 s9, v1
	s_mul_i32 s8, s8, s9
	s_mul_hi_u32 s8, s9, s8
	s_add_i32 s9, s9, s8
	s_mul_hi_u32 s8, s6, s9
	s_mul_i32 s9, s8, s4
	s_sub_i32 s6, s6, s9
	s_add_i32 s10, s8, 1
	s_sub_i32 s9, s6, s4
	s_cmp_ge_u32 s6, s4
	s_cselect_b32 s8, s10, s8
	s_cselect_b32 s6, s9, s6
	s_add_i32 s9, s8, 1
	s_cmp_ge_u32 s6, s4
	s_cselect_b32 s6, s9, s8
	s_xor_b32 s6, s6, s5
	s_sub_i32 s56, s6, s5
	s_mul_i32 s6, s56, s13
	s_sub_i32 s33, s3, s6
	s_abs_i32 s3, s14
	v_cvt_f32_u32_e32 v1, s3
	s_add_i32 s8, s12, 63
	s_ashr_i32 s9, s8, 31
	s_lshr_b32 s5, s9, 26
	v_rcp_iflag_f32_e32 v1, v1
	s_ashr_i32 s55, s12, 31
	s_add_i32 s8, s8, s5
	s_lshr_b32 s5, s55, 26
	v_mul_f32_e32 v1, 0x4f7ffffe, v1
	v_cvt_u32_f32_e32 v1, v1
	s_add_i32 s5, s12, s5
	s_ashr_i32 s58, s14, 31
	s_ashr_i32 s24, s8, 6
	;; [unrolled: 1-line block ×3, first 2 shown]
	s_xor_b32 s5, s7, s58
	s_sub_i32 s7, 0, s3
	v_readfirstlane_b32 s8, v1
	s_mul_i32 s7, s7, s8
	s_mul_hi_u32 s7, s8, s7
	s_add_i32 s8, s8, s7
	s_mul_hi_u32 s7, s4, s8
	s_mul_i32 s8, s7, s3
	s_sub_i32 s4, s4, s8
	s_lshl_b32 s2, s2, 6
	s_add_i32 s8, s7, 1
	s_sub_i32 s9, s4, s3
	s_cmp_ge_u32 s4, s3
	s_cselect_b32 s7, s8, s7
	s_cselect_b32 s4, s9, s4
	s_add_i32 s8, s7, 1
	s_cmp_ge_u32 s4, s3
	s_cselect_b32 s3, s8, s7
	s_xor_b32 s3, s3, s5
	s_sub_i32 s3, s3, s5
	s_abs_i32 s4, s3
	v_cvt_f32_u32_e32 v1, s4
	s_sub_i32 s7, 0, s4
	s_abs_i32 s5, s33
	s_xor_b32 s3, s33, s3
	v_rcp_iflag_f32_e32 v2, v1
	s_ashr_i32 s3, s3, 31
	v_lshrrev_b32_e32 v1, 6, v0
	v_or_b32_e32 v88, s2, v97
	v_mul_f32_e32 v2, 0x4f7ffffe, v2
	v_cvt_u32_f32_e32 v2, v2
	v_lshlrev_b32_e32 v77, 4, v1
	v_lshlrev_b32_e32 v80, 7, v88
	v_lshl_or_b32 v100, v96, 2, v77
	v_readfirstlane_b32 s8, v2
	s_mul_i32 s7, s7, s8
	s_mul_hi_u32 s7, s8, s7
	s_add_i32 s8, s8, s7
	s_mul_hi_u32 s7, s5, s8
	s_mul_i32 s8, s7, s4
	s_sub_i32 s5, s5, s8
	s_add_i32 s8, s7, 1
	s_sub_i32 s9, s5, s4
	s_cmp_ge_u32 s5, s4
	s_cselect_b32 s7, s8, s7
	s_cselect_b32 s5, s9, s5
	s_add_i32 s8, s7, 1
	s_cmp_ge_u32 s5, s4
	s_cselect_b32 s4, s8, s7
	s_xor_b32 s4, s4, s3
	s_sub_i32 s59, s4, s3
	s_ashr_i32 s3, s56, 31
	s_ashr_i32 s48, s33, 31
	s_mul_hi_i32 s4, s56, s13
	s_add_u32 s40, s6, s33
	s_addc_u32 s41, s4, s48
	s_lshl_b64 s[28:29], s[40:41], 16
	s_add_u32 s4, s18, s28
	s_addc_u32 s5, s19, s29
	v_ashrrev_i32_e32 v81, 31, v80
	v_lshl_add_u64 v[2:3], v[80:81], 2, s[4:5]
	v_lshlrev_b32_e32 v78, 2, v100
	v_or_b32_e32 v82, 0x800, v80
	v_lshl_add_u64 v[2:3], v[2:3], 0, v[78:79]
	v_ashrrev_i32_e32 v83, 31, v82
	global_load_dwordx4 v[22:25], v[2:3], off
	global_load_dwordx4 v[10:13], v[2:3], off offset:256
	v_lshl_add_u64 v[2:3], v[82:83], 2, s[4:5]
	v_or_b32_e32 v86, 0x1000, v80
	v_lshl_add_u64 v[2:3], v[2:3], 0, v[78:79]
	v_ashrrev_i32_e32 v87, 31, v86
	global_load_dwordx4 v[26:29], v[2:3], off
	global_load_dwordx4 v[14:17], v[2:3], off offset:256
	v_lshl_add_u64 v[2:3], v[86:87], 2, s[4:5]
	;; [unrolled: 6-line block ×3, first 2 shown]
	v_lshl_add_u64 v[34:35], v[2:3], 0, v[78:79]
	global_load_dwordx4 v[6:9], v[34:35], off
	global_load_dwordx4 v[2:5], v[34:35], off offset:256
	s_load_dwordx2 s[18:19], s[0:1], 0x40
	s_load_dwordx8 s[4:11], s[0:1], 0x0
	s_load_dwordx2 s[30:31], s[0:1], 0x80
	s_load_dwordx4 s[20:23], s[0:1], 0x70
	v_and_b32_e32 v79, 63, v0
	s_mul_i32 s49, s56, s12
	s_mul_i32 s60, s56, s24
	v_or_b32_e32 v101, 64, v100
	s_cmp_lt_i32 s12, 64
	v_lshrrev_b32_e32 v99, 3, v79
	s_mul_i32 s61, s41, s12
	s_mul_hi_u32 s62, s40, s12
	s_mul_i32 s42, s40, s12
	s_waitcnt lgkmcnt(0)
	s_mul_i32 s41, s56, s21
	s_mul_hi_u32 s51, s56, s20
	s_mul_i32 s50, s3, s20
	s_mul_i32 s36, s56, s20
	;; [unrolled: 1-line block ×3, first 2 shown]
	s_mul_hi_u32 s53, s33, s22
	s_mul_i32 s54, s48, s22
	s_mul_i32 s34, s33, s22
	s_cbranch_scc1 .LBB218_18
; %bb.1:
	s_add_i32 s43, s62, s61
	s_lshl_b64 s[0:1], s[42:43], 8
	v_and_b32_e32 v103, 56, v98
	s_add_u32 s20, s6, s0
	v_lshl_or_b32 v102, v1, 3, v99
	v_lshlrev_b32_e32 v34, 1, v103
	s_addc_u32 s0, s7, s1
	v_lshl_or_b32 v104, v102, 8, v34
	s_and_b32 s21, s0, 0xffff
	s_mov_b32 s23, 0x20000
	s_movk_i32 s22, 0x4000
	s_movk_i32 s0, 0x80
	v_or_b32_e32 v105, 0x2000, v104
	buffer_load_dwordx4 v[36:39], v104, s[20:23], 0 offen
	buffer_load_dwordx4 v[40:43], v104, s[20:23], s0 offen
	;; [unrolled: 1-line block ×4, first 2 shown]
	v_lshlrev_b32_e32 v35, 3, v102
	v_and_or_b32 v53, v0, 7, v35
	v_and_b32_e32 v35, 0x78, v35
	v_lshlrev_b32_e32 v53, 4, v53
	v_xor_b32_e32 v106, v53, v35
	v_mul_lo_u32 v52, v102, s15
	v_or_b32_e32 v107, 0x1000, v106
	v_xor_b32_e32 v35, 8, v106
	s_cmpk_eq_i32 s15, 0x80
	s_mov_b32 s63, s14
	v_xor_b32_e32 v53, 8, v107
	s_cselect_b64 s[0:1], -1, 0
	s_cmpk_lg_i32 s15, 0x80
	s_waitcnt vmcnt(3)
	ds_write_b64 v106, v[36:37] offset:49152
	ds_write_b64 v35, v[38:39] offset:49152
	s_waitcnt vmcnt(2)
	ds_write_b64 v106, v[40:41] offset:57344
	ds_write_b64 v35, v[42:43] offset:57344
	;; [unrolled: 3-line block ×4, first 2 shown]
	v_lshl_add_u32 v35, v52, 1, v103
	s_cbranch_scc0 .LBB218_3
; %bb.2:
	v_lshlrev_b32_e32 v37, 1, v35
	v_add_lshl_u32 v36, v35, s15, 1
	s_lshl_b32 s22, s15, 7
	v_lshl_or_b32 v34, v102, 9, v34
	s_cbranch_execz .LBB218_4
	s_branch .LBB218_5
.LBB218_3:
                                        ; implicit-def: $vgpr36
                                        ; implicit-def: $vgpr37
                                        ; implicit-def: $sgpr22
	v_lshl_or_b32 v34, v102, 9, v34
.LBB218_4:
	v_or_b32_e32 v36, 0x100, v34
	s_movk_i32 s22, 0x4000
	v_mov_b32_e32 v37, v34
.LBB218_5:
	s_mul_hi_u32 s20, s14, s12
	s_mul_i32 s21, s58, s12
	s_add_i32 s20, s20, s21
	s_mul_i32 s21, s14, s12
	s_mul_i32 s23, s21, s3
	s_mul_hi_u32 s24, s21, s56
	s_add_i32 s23, s24, s23
	s_mul_i32 s20, s20, s56
	s_add_i32 s23, s23, s20
	s_mul_i32 s21, s21, s56
	s_ashr_i32 s64, s59, 31
	s_add_u32 s20, s21, s59
	s_addc_u32 s21, s23, s64
	s_lshl_b64 s[20:21], s[20:21], 8
	s_add_u32 s20, s4, s20
	s_addc_u32 s21, s5, s21
	s_and_b32 s21, s21, 0xffff
	s_mov_b32 s23, 0x20000
	s_movk_i32 s65, 0x80
	buffer_load_dwordx4 v[38:41], v37, s[20:23], 0 offen
	buffer_load_dwordx4 v[42:45], v37, s[20:23], s65 offen
	;; [unrolled: 1-line block ×4, first 2 shown]
	v_and_b32_e32 v37, 6, v0
	v_lshlrev_b32_e32 v36, 7, v100
	v_xor_b32_e32 v58, v102, v37
	v_and_b32_e32 v54, 1, v0
	v_lshl_or_b32 v61, v97, 3, v36
	v_lshlrev_b32_e32 v58, 2, v58
	v_or_b32_e32 v108, 0x4000, v61
	v_or_b32_e32 v109, 0x6000, v61
	v_xor_b32_e32 v61, 0x440, v58
	v_cmp_eq_u32_e32 vcc, 0, v54
	v_lshlrev_b32_e32 v55, 2, v97
	v_or_b32_e32 v57, 16, v97
	v_cndmask_b32_e32 v54, v61, v58, vcc
	s_mov_b32 s67, 0x1000504
	v_xor_b32_e32 v59, v100, v55
	v_xor_b32_e32 v60, v101, v55
	v_lshl_or_b32 v62, v57, 3, v36
	v_lshl_or_b32 v37, v37, 10, v54
	s_mov_b32 s68, 0x3020706
	v_lshlrev_b32_e32 v56, 8, v97
	v_lshlrev_b32_e32 v59, 1, v59
	;; [unrolled: 1-line block ×3, first 2 shown]
	v_or_b32_e32 v110, 0x4000, v62
	v_or_b32_e32 v111, 0x6000, v62
	v_xor_b32_e32 v54, 8, v37
	v_xor_b32_e32 v58, 24, v37
	;; [unrolled: 1-line block ×4, first 2 shown]
	s_mul_i32 s3, s3, s12
	s_mul_hi_u32 s20, s56, s12
	v_or_b32_e32 v112, v56, v59
	v_or_b32_e32 v113, v56, v60
	v_xor_b32_e32 v56, 16, v37
	v_xor_b32_e32 v61, 32, v37
	;; [unrolled: 1-line block ×3, first 2 shown]
	v_add_u32_e32 v54, 0x80, v54
	v_add_u32_e32 v58, 0x80, v58
	;; [unrolled: 1-line block ×4, first 2 shown]
	s_add_i32 s69, s20, s3
	s_add_i32 s3, s51, s41
	;; [unrolled: 1-line block ×5, first 2 shown]
	s_lshl_b64 s[20:21], s[36:37], 2
	s_add_u32 s3, s10, s20
	s_addc_u32 s24, s11, s21
	s_lshl_b64 s[20:21], s[34:35], 2
	s_add_u32 s44, s3, s20
	s_movk_i32 s3, 0xf8
	s_addc_u32 s45, s24, s21
	s_lshl_b32 s26, s15, 7
	s_movk_i32 s24, 0x100
	v_mov_b32_e32 v91, 0
	v_lshlrev_b32_e32 v90, 4, v97
	v_ashrrev_i32_e32 v89, 31, v88
	s_mov_b32 s66, 0
	s_movk_i32 s22, 0x4000
	v_lshl_add_u64 v[92:93], v[88:89], 1, s[8:9]
	s_mov_b32 s35, 0x7060302
	s_movk_i32 s37, 0x2000
	s_movk_i32 s70, 0x3000
	v_mov_b32_e32 v153, 0x3fb8aa3b
	s_mov_b32 s72, 0
	s_waitcnt vmcnt(1)
	v_perm_b32 v65, v38, v46, s67
	s_waitcnt vmcnt(0)
	v_perm_b32 v66, v42, v50, s67
	v_perm_b32 v38, v38, v46, s68
	;; [unrolled: 1-line block ×15, first 2 shown]
	ds_write2st64_b32 v37, v65, v66 offset0:128 offset1:160
	ds_write2st64_b32 v54, v38, v42 offset0:128 offset1:160
	;; [unrolled: 1-line block ×8, first 2 shown]
	v_lshlrev_b32_e32 v37, 8, v57
	v_or_b32_e32 v114, v37, v59
	v_or_b32_e32 v115, v37, v60
	;; [unrolled: 1-line block ×3, first 2 shown]
	v_lshl_or_b32 v38, v37, 3, v36
	v_lshlrev_b32_e32 v37, 8, v37
	v_or_b32_e32 v118, v37, v59
	v_or_b32_e32 v119, v37, v60
	;; [unrolled: 1-line block ×5, first 2 shown]
	v_lshl_or_b32 v38, v37, 3, v36
	v_lshlrev_b32_e32 v37, 8, v37
	v_or_b32_e32 v122, v37, v59
	v_or_b32_e32 v123, v37, v60
	;; [unrolled: 1-line block ×3, first 2 shown]
	v_lshlrev_b32_e32 v37, 3, v37
	v_lshrrev_b32_e32 v39, 5, v79
	v_and_or_b32 v39, v37, s3, v39
	v_lshlrev_b32_e32 v39, 4, v39
	v_or_b32_e32 v120, 0x4000, v38
	v_or_b32_e32 v121, 0x6000, v38
	v_lshrrev_b32_e32 v38, 2, v79
	v_lshlrev_b32_e32 v41, 11, v1
	v_and_b32_e32 v37, 0x78, v37
	v_or_b32_e32 v45, 32, v39
	v_and_b32_e32 v40, 12, v38
	v_and_b32_e32 v38, 0x1000, v41
	v_lshrrev_b32_e32 v43, 1, v79
	v_xor_b32_e32 v45, v45, v37
	v_xor_b32_e32 v42, v39, v37
	v_and_b32_e32 v43, 8, v43
	v_or_b32_e32 v45, v45, v38
	v_or_b32_e32 v42, v42, v38
	v_xor_b32_e32 v126, v45, v43
	v_or_b32_e32 v45, 64, v39
	v_or_b32_e32 v39, 0x60, v39
	v_xor_b32_e32 v124, v42, v43
	v_lshlrev_b32_e32 v42, 8, v96
	v_xor_b32_e32 v45, v45, v37
	v_xor_b32_e32 v37, v39, v37
	s_ashr_i32 s3, s2, 31
	v_or_b32_e32 v44, v42, v55
	v_or_b32_e32 v45, v45, v38
	v_or_b32_e32 v37, v37, v38
	s_lshl_b64 s[20:21], s[2:3], 8
	v_lshlrev_b32_e32 v47, 2, v0
	v_lshlrev_b32_e32 v44, 1, v44
	v_xor_b32_e32 v130, v45, v43
	v_xor_b32_e32 v131, v37, v43
	v_lshlrev_b32_e32 v37, 1, v35
	v_add_lshl_u32 v35, v35, s15, 1
	v_or_b32_e32 v43, 0x100, v34
	s_add_u32 s20, s38, s20
	v_lshlrev_b32_e32 v38, 1, v97
	v_lshrrev_b32_e32 v48, 1, v0
	v_and_or_b32 v42, v47, 60, v42
	v_or_b32_e32 v125, 0x4000, v44
	v_or_b32_e32 v127, 0x4080, v44
	;; [unrolled: 1-line block ×8, first 2 shown]
	v_lshrrev_b32_e32 v44, 4, v0
	s_addc_u32 s21, s39, s21
	v_or_b32_e32 v39, 1, v38
	v_and_b32_e32 v48, 24, v48
	v_lshlrev_b32_e32 v42, 1, v42
	v_cndmask_b32_e64 v142, v37, v34, s[0:1]
	v_cndmask_b32_e64 v143, v35, v43, s[0:1]
	v_mov_b32_e32 v35, 0xa000
	v_mov_b32_e32 v37, 0x8000
	v_cmp_gt_u32_e64 s[0:1], s24, v0
	v_xor_b32_e32 v45, v44, v38
	v_xor_b32_e32 v46, v39, v44
	v_lshl_add_u64 v[38:39], s[20:21], 0, v[90:91]
	v_lshlrev_b32_e32 v90, 8, v44
	v_or_b32_e32 v138, 0x6000, v42
	v_or_b32_e32 v47, 32, v48
	v_or_b32_e32 v139, 0x6080, v42
	v_or_b32_e32 v140, 0x6100, v42
	v_or_b32_e32 v141, 0x6180, v42
	v_or_b32_e32 v42, 0x60, v48
	v_cndmask_b32_e64 v35, v35, v37, s[0:1]
	v_lshlrev_b32_e32 v37, 3, v1
	v_lshl_or_b32 v136, v45, 3, v90
	v_and_b32_e32 v45, 8, v0
	v_xor_b32_e32 v43, v37, v48
	v_xor_b32_e32 v47, v37, v47
	;; [unrolled: 1-line block ×3, first 2 shown]
	v_mov_b32_e32 v49, 0x400
	v_cmp_eq_u32_e32 vcc, 0, v45
	v_or_b32_e32 v48, 0x440, v43
	v_or_b32_e32 v50, 0x440, v47
	v_xor_b32_e32 v42, 0x440, v37
	v_and_b32_e32 v44, 7, v0
	v_cndmask_b32_e64 v45, v49, 64, vcc
	v_cndmask_b32_e32 v48, v48, v43, vcc
	v_cndmask_b32_e32 v47, v50, v47, vcc
	;; [unrolled: 1-line block ×3, first 2 shown]
	v_lshl_or_b32 v137, v46, 3, v90
	v_lshlrev_b32_e32 v46, 3, v44
	v_or_b32_e32 v48, v48, v41
	v_or_b32_e32 v47, v47, v41
	v_or3_b32 v43, v41, v45, v43
	v_or_b32_e32 v37, v37, v41
	v_lshlrev_b32_e32 v44, 7, v44
	v_xor_b32_e32 v48, v48, v46
	v_xor_b32_e32 v47, v47, v46
	v_xor_b32_e32 v43, v43, v46
	v_xor_b32_e32 v37, v37, v46
	v_or_b32_e32 v34, v77, v40
	v_add_u32_e32 v49, v35, v48
	v_add_u32_e32 v50, v35, v47
	v_or_b32_e32 v144, v43, v44
	v_add_u32_e32 v41, v35, v37
	v_or3_b32 v40, v77, v40, 64
	v_add_u32_e32 v42, 0xa000, v48
	v_add_u32_e32 v43, 0xa000, v47
	;; [unrolled: 1-line block ×3, first 2 shown]
	v_lshl_add_u64 v[94:95], v[38:39], 0, v[90:91]
	s_add_i32 s3, s49, 63
	v_lshlrev_b32_e32 v90, 1, v36
	v_lshlrev_b32_e32 v89, 2, v34
	v_add_u32_e32 v145, v49, v44
	v_add_u32_e32 v146, v50, v44
	v_add_u32_e32 v147, v35, v144
	v_add_u32_e32 v148, v41, v44
	v_lshlrev_b32_e32 v149, 2, v40
	v_add_u32_e32 v150, v42, v44
	v_add_u32_e32 v151, v43, v44
	;; [unrolled: 1-line block ×3, first 2 shown]
	s_waitcnt lgkmcnt(0)
	s_barrier
.LBB218_6:                              ; =>This Inner Loop Header: Depth=1
	s_add_i32 s71, s72, 1
	s_cmp_lt_i32 s71, s57
	s_mov_b64 s[24:25], 0
	s_cselect_b64 s[46:47], -1, 0
	s_cmp_ge_i32 s71, s57
	s_mov_b64 s[20:21], 0
	s_cbranch_scc1 .LBB218_8
; %bb.7:                                ;   in Loop: Header=BB218_6 Depth=1
	s_add_i32 s0, s66, 64
	s_add_u32 s0, s42, s0
	s_addc_u32 s1, s43, 0
	s_lshl_b64 s[0:1], s[0:1], 8
	s_add_u32 s20, s6, s0
	s_addc_u32 s21, s7, s1
.LBB218_8:                              ;   in Loop: Header=BB218_6 Depth=1
	v_cndmask_b32_e64 v34, 0, 1, s[46:47]
	v_cmp_ne_u32_e64 s[0:1], 1, v34
	s_andn2_b64 vcc, exec, s[46:47]
	s_cbranch_vccnz .LBB218_10
; %bb.9:                                ;   in Loop: Header=BB218_6 Depth=1
	s_add_i32 s24, s66, 64
	s_add_u32 s24, s49, s24
	s_addc_u32 s25, s69, 0
	s_mul_i32 s27, s24, s58
	s_mul_hi_u32 s46, s24, s63
	s_add_i32 s27, s46, s27
	s_mul_i32 s25, s25, s63
	s_add_i32 s27, s27, s25
	s_mul_i32 s24, s24, s63
	s_add_u32 s24, s24, s59
	s_addc_u32 s25, s27, s64
	s_lshl_b64 s[24:25], s[24:25], 8
	s_add_u32 s24, s4, s24
	s_addc_u32 s25, s5, s25
.LBB218_10:                             ;   in Loop: Header=BB218_6 Depth=1
	v_perm_b32 v35, v25, v24, s35
	v_perm_b32 v34, v23, v22, s35
	v_perm_b32 v37, v13, v12, s35
	v_perm_b32 v36, v11, v10, s35
	ds_write_b64 v108, v[34:35]
	ds_write_b64 v109, v[36:37]
	ds_write_b64 v112, v[34:35]
	ds_write_b64 v113, v[36:37]
	v_perm_b32 v35, v29, v28, s35
	v_perm_b32 v34, v27, v26, s35
	v_perm_b32 v37, v17, v16, s35
	v_perm_b32 v36, v15, v14, s35
	ds_write_b64 v110, v[34:35]
	ds_write_b64 v111, v[36:37]
	ds_write_b64 v114, v[34:35]
	ds_write_b64 v115, v[36:37]
	;; [unrolled: 8-line block ×4, first 2 shown]
	s_waitcnt lgkmcnt(0)
	s_barrier
	ds_read_b64 v[38:39], v124 offset:49152
	ds_read2_b64 v[34:37], v125 offset1:16
	ds_read_b64 v[50:51], v127 offset:6144
	ds_read_b64 v[52:53], v125 offset:6144
	s_waitcnt lgkmcnt(2)
	v_mfma_f32_16x16x16_bf16 a[0:3], v[38:39], v[34:35], 0
	ds_read_b64 v[54:55], v126 offset:49152
	ds_read2st64_b64 v[42:45], v128 offset0:4 offset1:8
	ds_read2st64_b64 v[46:49], v129 offset0:4 offset1:8
	v_mfma_f32_16x16x16_bf16 a[4:7], v[38:39], v[36:37], 0
	ds_read2_b64 v[34:37], v125 offset0:32 offset1:48
	s_add_i32 s27, s66, 63
	s_mul_i32 s46, s27, s31
	s_waitcnt lgkmcnt(0)
	v_mfma_f32_16x16x16_bf16 a[8:11], v[38:39], v[34:35], 0
	s_mul_hi_u32 s47, s27, s30
	s_add_i32 s47, s47, s46
	s_mul_i32 s46, s27, s30
	v_mfma_f32_16x16x16_bf16 a[12:15], v[38:39], v[36:37], 0
	ds_read2st64_b64 v[34:37], v125 offset0:4 offset1:8
	ds_read2st64_b64 v[38:41], v127 offset0:4 offset1:8
	s_lshl_b64 s[46:47], s[46:47], 2
	s_waitcnt lgkmcnt(1)
	v_mfma_f32_16x16x16_bf16 a[0:3], v[54:55], v[34:35], a[0:3]
	s_add_u32 s46, s44, s46
	s_addc_u32 s47, s45, s47
	s_and_b64 vcc, exec, s[0:1]
	s_waitcnt lgkmcnt(0)
	v_mfma_f32_16x16x16_bf16 a[4:7], v[54:55], v[38:39], a[4:7]
	v_mov_b32_e32 v156, 0
	v_mov_b32_e32 v155, 0
	;; [unrolled: 1-line block ×3, first 2 shown]
	v_mfma_f32_16x16x16_bf16 a[8:11], v[54:55], v[42:43], a[8:11]
	ds_read_b64 v[34:35], v130 offset:49152
	ds_read_b64 v[38:39], v131 offset:49152
	;; [unrolled: 1-line block ×3, first 2 shown]
	v_mfma_f32_16x16x16_bf16 a[12:15], v[54:55], v[46:47], a[12:15]
	v_mov_b32_e32 v46, 0
	v_mov_b32_e32 v47, 0
	s_waitcnt lgkmcnt(2)
	v_mfma_f32_16x16x16_bf16 a[0:3], v[34:35], v[36:37], a[0:3]
	v_mov_b32_e32 v36, 0
	v_mov_b32_e32 v37, 0
	v_mfma_f32_16x16x16_bf16 a[16:19], v[34:35], v[40:41], a[4:7]
	v_mov_b32_e32 v40, 0
	v_mov_b32_e32 v41, 0
	;; [unrolled: 3-line block ×3, first 2 shown]
	v_mfma_f32_16x16x16_bf16 a[24:27], v[34:35], v[48:49], a[12:15]
	ds_read_b64 v[34:35], v128 offset:6144
	v_mov_b32_e32 v48, 0
	v_mov_b32_e32 v49, 0
	s_waitcnt lgkmcnt(2)
	v_mfma_f32_16x16x16_bf16 a[4:7], v[38:39], v[52:53], a[0:3]
	v_mfma_f32_16x16x16_bf16 a[8:11], v[38:39], v[50:51], a[16:19]
	s_waitcnt lgkmcnt(0)
	v_mfma_f32_16x16x16_bf16 a[12:15], v[38:39], v[34:35], a[20:23]
	v_mov_b32_e32 v34, 0
	v_mov_b32_e32 v35, 0
	v_mfma_f32_16x16x16_bf16 a[0:3], v[38:39], v[42:43], a[24:27]
	v_mov_b32_e32 v38, 0
	v_mov_b32_e32 v39, 0
	;; [unrolled: 1-line block ×4, first 2 shown]
	s_cbranch_vccnz .LBB218_12
; %bb.11:                               ;   in Loop: Header=BB218_6 Depth=1
	s_and_b32 s21, s21, 0xffff
	buffer_load_dwordx4 v[46:49], v104, s[20:23], 0 offen
	buffer_load_dwordx4 v[42:45], v104, s[20:23], s65 offen
	;; [unrolled: 1-line block ×4, first 2 shown]
	v_mov_b32_e32 v155, v106
	v_mov_b32_e32 v154, v107
.LBB218_12:                             ;   in Loop: Header=BB218_6 Depth=1
	ds_read_b64 v[66:67], v124 offset:57344
	ds_read2_b64 v[50:53], v132 offset1:16
	ds_read_b64 v[68:69], v126 offset:57344
	ds_read_b64 v[70:71], v130 offset:57344
	ds_read_b64 v[72:73], v131 offset:57344
	v_add_u32_e32 v74, s66, v100
	s_waitcnt lgkmcnt(3)
	v_mfma_f32_16x16x16_bf16 a[4:7], v[66:67], v[50:51], a[4:7]
	v_mfma_f32_16x16x16_bf16 a[8:11], v[66:67], v[52:53], a[8:11]
	ds_read2_b64 v[50:53], v132 offset0:32 offset1:48
	ds_read2st64_b64 v[54:57], v132 offset0:4 offset1:8
	ds_read2st64_b64 v[58:61], v133 offset0:4 offset1:8
	;; [unrolled: 1-line block ×3, first 2 shown]
	s_waitcnt lgkmcnt(3)
	v_mfma_f32_16x16x16_bf16 a[12:15], v[66:67], v[50:51], a[12:15]
	v_ashrrev_i32_e32 v50, 31, v74
	v_mfma_f32_16x16x16_bf16 a[0:3], v[66:67], v[52:53], a[0:3]
	v_mul_lo_u32 v52, v50, s30
	v_mul_lo_u32 v53, v74, s31
	v_mad_u64_u32 v[50:51], s[20:21], v74, s30, 0
	v_add3_u32 v51, v51, v53, v52
	v_add_u32_e32 v52, 1, v74
	v_ashrrev_i32_e32 v53, 31, v52
	s_waitcnt lgkmcnt(2)
	v_mfma_f32_16x16x16_bf16 a[4:7], v[68:69], v[54:55], a[4:7]
	v_mul_lo_u32 v54, v53, s30
	v_mul_lo_u32 v55, v52, s31
	v_mad_u64_u32 v[52:53], s[20:21], v52, s30, 0
	v_add3_u32 v53, v53, v55, v54
	v_add_u32_e32 v54, 2, v74
	v_ashrrev_i32_e32 v55, 31, v54
	s_waitcnt lgkmcnt(1)
	v_mfma_f32_16x16x16_bf16 a[8:11], v[68:69], v[58:59], a[8:11]
	v_mul_lo_u32 v58, v55, s30
	v_mul_lo_u32 v59, v54, s31
	v_mad_u64_u32 v[54:55], s[20:21], v54, s30, 0
	v_lshl_add_u64 v[50:51], v[50:51], 2, s[44:45]
	v_add3_u32 v55, v55, v59, v58
	v_add_u32_e32 v58, 3, v74
	v_ashrrev_i32_e32 v59, 31, v58
	global_load_dword v67, v[50:51], off
	v_mad_u64_u32 v[50:51], s[20:21], v58, s30, 0
	v_mul_lo_u32 v59, v59, s30
	v_mul_lo_u32 v66, v58, s31
	s_add_u32 s20, s42, s66
	v_add3_u32 v51, v51, v66, v59
	s_addc_u32 s21, s43, 0
	v_lshl_add_u64 v[52:53], v[52:53], 2, s[44:45]
	v_lshl_add_u64 v[54:55], v[54:55], 2, s[44:45]
	;; [unrolled: 1-line block ×3, first 2 shown]
	s_lshl_b64 s[20:21], s[20:21], 8
	global_load_dword v66, v[52:53], off
	global_load_dword v74, v[54:55], off
	;; [unrolled: 1-line block ×3, first 2 shown]
	v_lshl_add_u64 v[50:51], v[92:93], 0, s[20:21]
	v_lshl_add_u64 v[54:55], v[50:51], 0, v[90:91]
	global_load_ushort v76, v[54:55], off offset:256
	global_load_ushort v157, v[54:55], off
	ds_read2st64_b64 v[50:53], v135 offset0:4 offset1:8
	global_load_ushort v158, v[54:55], off offset:768
	global_load_ushort v159, v[54:55], off offset:512
	s_waitcnt lgkmcnt(1)
	v_mfma_f32_16x16x16_bf16 a[12:15], v[68:69], v[62:63], a[12:15]
	s_and_b64 vcc, exec, s[0:1]
	s_waitcnt vmcnt(3)
	v_lshlrev_b32_e32 v63, 16, v76
	s_waitcnt lgkmcnt(0)
	v_mfma_f32_16x16x16_bf16 a[0:3], v[68:69], v[50:51], a[0:3]
	global_load_ushort v68, v[54:55], off offset:288
	global_load_ushort v69, v[54:55], off offset:32
	;; [unrolled: 1-line block ×8, first 2 shown]
	v_mfma_f32_16x16x16_bf16 a[4:7], v[70:71], v[56:57], a[4:7]
	ds_read_b64 v[50:51], v132 offset:6144
	s_waitcnt vmcnt(10)
	v_lshlrev_b32_e32 v62, 16, v157
	v_mov_b32_e32 v157, 0
	v_mfma_f32_16x16x16_bf16 a[8:11], v[70:71], v[60:61], a[8:11]
	v_mfma_f32_16x16x16_bf16 a[12:15], v[70:71], v[64:65], a[12:15]
	;; [unrolled: 1-line block ×3, first 2 shown]
	global_load_ushort v70, v[54:55], off offset:352
	global_load_ushort v71, v[54:55], off offset:96
	ds_read_b64 v[52:53], v133 offset:6144
	ds_read_b64 v[56:57], v134 offset:6144
	;; [unrolled: 1-line block ×3, first 2 shown]
	global_load_ushort v166, v[54:55], off offset:864
	global_load_ushort v167, v[54:55], off offset:608
	s_load_dword s20, s[46:47], 0x0
	s_waitcnt lgkmcnt(0)
	v_mfma_f32_16x16x16_bf16 a[4:7], v[72:73], v[50:51], a[4:7]
	v_sub_f32_e32 v60, s20, v74
	v_mfma_f32_16x16x16_bf16 a[0:3], v[72:73], v[58:59], a[0:3]
	v_sub_f32_e32 v58, s20, v67
	v_sub_f32_e32 v59, s20, v66
	;; [unrolled: 1-line block ×3, first 2 shown]
	v_mul_f32_e32 v58, 0x3fb8aa3b, v58
	v_mul_f32_e32 v59, 0x3fb8aa3b, v59
	;; [unrolled: 1-line block ×4, first 2 shown]
	v_mfma_f32_16x16x16_bf16 a[8:11], v[72:73], v[52:53], a[8:11]
	v_exp_f32_e32 v58, v58
	v_exp_f32_e32 v59, v59
	;; [unrolled: 1-line block ×4, first 2 shown]
	v_accvgpr_read_b32 v65, a5
	v_accvgpr_read_b32 v64, a4
	;; [unrolled: 1-line block ×4, first 2 shown]
	v_pk_add_f32 v[62:63], v[62:63], v[64:65] neg_lo:[0,1] neg_hi:[0,1]
	s_waitcnt vmcnt(13)
	v_lshlrev_b32_e32 v65, 16, v158
	s_waitcnt vmcnt(12)
	v_lshlrev_b32_e32 v64, 16, v159
	v_pk_add_f32 v[50:51], v[64:65], v[50:51] neg_lo:[0,1] neg_hi:[0,1]
	v_pk_mul_f32 v[62:63], v[58:59], v[62:63]
	v_pk_mul_f32 v[50:51], v[60:61], v[50:51]
	v_accvgpr_read_b32 v65, a9
	v_perm_b32 v51, v51, v50, s35
	v_perm_b32 v50, v63, v62, s35
	v_accvgpr_read_b32 v64, a8
	v_accvgpr_read_b32 v53, a11
	v_mfma_f32_16x16x16_bf16 a[12:15], v[72:73], v[56:57], a[12:15]
	v_accvgpr_read_b32 v52, a10
	v_accvgpr_read_b32 v57, a3
	;; [unrolled: 1-line block ×3, first 2 shown]
	s_waitcnt vmcnt(11)
	v_lshlrev_b32_e32 v63, 16, v68
	s_waitcnt vmcnt(10)
	v_lshlrev_b32_e32 v62, 16, v69
	v_pk_add_f32 v[62:63], v[62:63], v[64:65] neg_lo:[0,1] neg_hi:[0,1]
	s_waitcnt vmcnt(9)
	v_lshlrev_b32_e32 v65, 16, v160
	s_waitcnt vmcnt(8)
	v_lshlrev_b32_e32 v64, 16, v161
	v_pk_add_f32 v[52:53], v[64:65], v[52:53] neg_lo:[0,1] neg_hi:[0,1]
	v_pk_mul_f32 v[62:63], v[58:59], v[62:63]
	v_pk_mul_f32 v[52:53], v[60:61], v[52:53]
	v_accvgpr_read_b32 v55, a15
	v_perm_b32 v53, v53, v52, s35
	v_perm_b32 v52, v63, v62, s35
	ds_write2_b64 v109, v[50:51], v[52:53] offset1:16
	v_accvgpr_read_b32 v53, a13
	s_waitcnt vmcnt(7)
	v_lshlrev_b32_e32 v51, 16, v162
	s_waitcnt vmcnt(6)
	v_lshlrev_b32_e32 v50, 16, v163
	v_accvgpr_read_b32 v52, a12
	v_accvgpr_read_b32 v54, a14
	v_pk_add_f32 v[50:51], v[50:51], v[52:53] neg_lo:[0,1] neg_hi:[0,1]
	s_waitcnt vmcnt(5)
	v_lshlrev_b32_e32 v53, 16, v164
	s_waitcnt vmcnt(4)
	v_lshlrev_b32_e32 v52, 16, v165
	v_pk_add_f32 v[52:53], v[52:53], v[54:55] neg_lo:[0,1] neg_hi:[0,1]
	v_pk_mul_f32 v[50:51], v[58:59], v[50:51]
	v_pk_mul_f32 v[52:53], v[60:61], v[52:53]
	v_accvgpr_read_b32 v55, a1
	v_perm_b32 v53, v53, v52, s35
	v_perm_b32 v52, v51, v50, s35
	s_waitcnt vmcnt(3)
	v_lshlrev_b32_e32 v51, 16, v70
	s_waitcnt vmcnt(2)
	v_lshlrev_b32_e32 v50, 16, v71
	v_accvgpr_read_b32 v54, a0
	v_pk_add_f32 v[50:51], v[50:51], v[54:55] neg_lo:[0,1] neg_hi:[0,1]
	s_waitcnt vmcnt(1)
	v_lshlrev_b32_e32 v55, 16, v166
	s_waitcnt vmcnt(0)
	v_lshlrev_b32_e32 v54, 16, v167
	v_pk_add_f32 v[54:55], v[54:55], v[56:57] neg_lo:[0,1] neg_hi:[0,1]
	v_pk_mul_f32 v[50:51], v[58:59], v[50:51]
	v_pk_mul_f32 v[54:55], v[60:61], v[54:55]
	v_mov_b32_e32 v56, 0
	v_perm_b32 v55, v55, v54, s35
	v_perm_b32 v54, v51, v50, s35
	ds_write2_b64 v109, v[52:53], v[54:55] offset0:32 offset1:48
	v_mov_b32_e32 v50, 0
	v_mov_b32_e32 v51, 0
	;; [unrolled: 1-line block ×15, first 2 shown]
	s_cbranch_vccnz .LBB218_14
; %bb.13:                               ;   in Loop: Header=BB218_6 Depth=1
	s_and_b32 s25, s25, 0xffff
	s_mov_b32 s27, s23
	buffer_load_dwordx4 v[62:65], v142, s[24:27], 0 offen
	buffer_load_dwordx4 v[54:57], v142, s[24:27], s65 offen
	;; [unrolled: 1-line block ×4, first 2 shown]
	v_mov_b32_e32 v156, v103
	v_mov_b32_e32 v157, v102
.LBB218_14:                             ;   in Loop: Header=BB218_6 Depth=1
	s_waitcnt lgkmcnt(0)
	s_barrier
	ds_read_b64 v[74:75], v145
	ds_read2_b64 v[66:69], v138 offset1:16
	ds_read_b64 v[174:175], v146
	ds_read_b64 v[176:177], v147
	;; [unrolled: 1-line block ×3, first 2 shown]
	ds_read2_b64 v[70:73], v138 offset0:32 offset1:48
	ds_read2st64_b64 v[158:161], v138 offset0:4 offset1:8
	ds_read2st64_b64 v[162:165], v139 offset0:4 offset1:8
	;; [unrolled: 1-line block ×4, first 2 shown]
	s_waitcnt lgkmcnt(8)
	v_mfma_f32_16x16x16_bf16 a[0:3], v[74:75], v[66:67], 0
	s_add_i32 s21, s60, s72
	s_mul_hi_i32 s25, s21, s13
	s_mul_i32 s21, s21, s13
	v_mfma_f32_16x16x16_bf16 a[4:7], v[74:75], v[68:69], 0
	s_add_u32 s24, s21, s33
	s_addc_u32 s25, s25, s48
	s_add_i32 s21, s3, s66
	s_waitcnt lgkmcnt(4)
	v_mfma_f32_16x16x16_bf16 a[8:11], v[74:75], v[70:71], 0
	s_lshl_b64 s[24:25], s[24:25], 15
	s_mul_hi_i32 s27, s21, s13
	s_mul_i32 s21, s21, s13
	v_mfma_f32_16x16x16_bf16 a[12:15], v[74:75], v[72:73], 0
	ds_read_b64 v[74:75], v138 offset:6144
	ds_read_b64 v[186:187], v139 offset:6144
	;; [unrolled: 1-line block ×4, first 2 shown]
	s_add_u32 s46, s21, s33
	s_waitcnt lgkmcnt(7)
	v_mfma_f32_16x16x16_bf16 a[0:3], v[174:175], v[158:159], a[0:3]
	s_addc_u32 s47, s27, s48
	s_lshl_b64 s[46:47], s[46:47], 9
	s_add_u32 s46, s16, s46
	s_waitcnt lgkmcnt(6)
	v_mfma_f32_16x16x16_bf16 a[4:7], v[174:175], v[162:163], a[4:7]
	s_addc_u32 s47, s17, s47
	v_lshl_add_u64 v[196:197], v[94:95], 0, s[24:25]
	s_waitcnt lgkmcnt(5)
	v_mfma_f32_16x16x16_bf16 a[8:11], v[174:175], v[166:167], a[8:11]
	s_waitcnt lgkmcnt(4)
	v_mfma_f32_16x16x16_bf16 a[12:15], v[174:175], v[170:171], a[12:15]
	ds_read_b64 v[174:175], v150
	ds_read_b64 v[184:185], v151
	;; [unrolled: 1-line block ×3, first 2 shown]
	s_waitcnt lgkmcnt(2)
	v_mfma_f32_16x16x16_bf16 a[16:19], v[174:175], v[66:67], 0
	v_mfma_f32_16x16x16_bf16 a[20:23], v[174:175], v[68:69], 0
	global_load_dwordx4 v[66:69], v149, s[46:47]
	v_mfma_f32_16x16x16_bf16 a[24:27], v[174:175], v[70:71], 0
	v_mfma_f32_16x16x16_bf16 a[28:31], v[174:175], v[72:73], 0
	global_load_dwordx4 v[70:73], v89, s[46:47]
	v_mfma_f32_16x16x16_bf16 a[0:3], v[176:177], v[160:161], a[0:3]
	v_mfma_f32_16x16x16_bf16 a[4:7], v[176:177], v[164:165], a[4:7]
	;; [unrolled: 1-line block ×8, first 2 shown]
	ds_read2st64_b64 v[174:177], v136 offset1:8
	ds_read2st64_b64 v[178:181], v137 offset1:8
	ds_read_b64 v[194:195], v144 offset:40960
	s_waitcnt lgkmcnt(2)
	v_mov_b32_e32 v182, v174
	v_mfma_f32_16x16x16_bf16 a[16:19], v[184:185], v[158:159], a[16:19]
	v_mov_b32_e32 v183, v175
	v_mfma_f32_16x16x16_bf16 a[20:23], v[184:185], v[162:163], a[20:23]
	v_mfma_f32_16x16x16_bf16 a[24:27], v[184:185], v[166:167], a[24:27]
	;; [unrolled: 1-line block ×3, first 2 shown]
	v_add_co_u32_e32 v170, vcc, s37, v196
	s_waitcnt lgkmcnt(1)
	v_mov_b32_e32 v184, v178
	s_waitcnt lgkmcnt(0)
	v_mfma_f32_16x16x16_bf16 a[16:19], v[194:195], v[160:161], a[16:19]
	ds_read2st64_b64 v[158:161], v136 offset0:16 offset1:24
	v_addc_co_u32_e32 v171, vcc, 0, v197, vcc
	v_mfma_f32_16x16x16_bf16 a[20:23], v[194:195], v[164:165], a[20:23]
	ds_read2st64_b64 v[162:165], v137 offset0:16 offset1:24
	v_mov_b32_e32 v185, v179
	v_mov_b32_e32 v178, v176
	v_mfma_f32_16x16x16_bf16 a[32:35], v[194:195], v[168:169], a[24:27]
	v_mov_b32_e32 v179, v177
	s_waitcnt lgkmcnt(0)
	v_mov_b32_e32 v168, v162
	v_mov_b32_e32 v169, v163
	v_mfma_f32_16x16x16_bf16 a[36:39], v[194:195], v[172:173], a[28:31]
	v_mov_b32_e32 v162, v160
	v_mov_b32_e32 v163, v161
	;; [unrolled: 1-line block ×3, first 2 shown]
	v_mfma_f32_16x16x16_bf16 a[24:27], v[192:193], v[74:75], a[16:19]
	v_add_co_u32_e32 v74, vcc, s70, v196
	v_mov_b32_e32 v167, v159
	v_mfma_f32_16x16x16_bf16 a[28:31], v[192:193], v[186:187], a[20:23]
	v_addc_co_u32_e32 v75, vcc, 0, v197, vcc
	global_store_dwordx4 v[74:75], v[162:165], off
	v_mfma_f32_16x16x16_bf16 a[16:19], v[192:193], v[188:189], a[32:35]
	s_waitcnt vmcnt(2)
	v_mov_b32_e32 v76, v69
	v_mov_b32_e32 v75, v68
	;; [unrolled: 1-line block ×3, first 2 shown]
	v_mfma_f32_16x16x16_bf16 a[20:23], v[192:193], v[190:191], a[36:39]
	s_and_b64 vcc, exec, s[0:1]
	global_store_dwordx4 v[196:197], v[182:185], off
	global_store_dwordx4 v[170:171], v[178:181], off offset:-4096
	global_store_dwordx4 v[170:171], v[166:169], off
	s_cbranch_vccnz .LBB218_16
; %bb.15:                               ;   in Loop: Header=BB218_6 Depth=1
	v_lshrrev_b32_e32 v67, 3, v156
	v_and_b32_e32 v67, 6, v67
	v_xor_b32_e32 v68, v67, v157
	v_lshlrev_b32_e32 v68, 2, v68
	v_and_b32_e32 v69, 8, v156
	v_xor_b32_e32 v156, 0x440, v68
	v_cmp_eq_u32_e32 vcc, 0, v69
	v_perm_b32 v69, v54, v50, s67
	s_nop 0
	v_cndmask_b32_e32 v68, v156, v68, vcc
	v_lshl_or_b32 v67, v67, 10, v68
	v_perm_b32 v68, v62, v58, s67
	s_barrier
	ds_write2st64_b32 v67, v68, v69 offset0:128 offset1:160
	v_xor_b32_e32 v68, 8, v67
	v_perm_b32 v58, v62, v58, s68
	v_perm_b32 v50, v54, v50, s68
	v_add_u32_e32 v54, 0x80, v68
	ds_write2st64_b32 v54, v58, v50 offset0:128 offset1:160
	v_xor_b32_e32 v50, 16, v67
	v_perm_b32 v54, v63, v59, s67
	v_perm_b32 v58, v55, v51, s67
	ds_write2st64_b32 v50, v54, v58 offset0:129 offset1:161
	v_xor_b32_e32 v50, 24, v67
	v_perm_b32 v54, v63, v59, s68
	v_perm_b32 v51, v55, v51, s68
	v_add_u32_e32 v50, 0x80, v50
	ds_write2st64_b32 v50, v54, v51 offset0:129 offset1:161
	v_xor_b32_e32 v50, 32, v67
	v_perm_b32 v51, v64, v60, s67
	v_perm_b32 v54, v56, v52, s67
	;; [unrolled: 9-line block ×3, first 2 shown]
	ds_write2st64_b32 v50, v51, v52 offset0:131 offset1:163
	v_xor_b32_e32 v50, 56, v67
	v_perm_b32 v51, v65, v61, s68
	v_perm_b32 v52, v57, v53, s68
	v_add_u32_e32 v50, 0x80, v50
	ds_write2st64_b32 v50, v51, v52 offset0:131 offset1:163
	ds_write_b64 v155, v[46:47] offset:49152
	v_xor_b32_e32 v46, 8, v155
	ds_write_b64 v46, v[48:49] offset:49152
	ds_write_b64 v155, v[42:43] offset:57344
	;; [unrolled: 1-line block ×4, first 2 shown]
	v_xor_b32_e32 v38, 8, v154
	ds_write_b64 v38, v[40:41] offset:49152
	ds_write_b64 v154, v[34:35] offset:57344
	;; [unrolled: 1-line block ×3, first 2 shown]
.LBB218_16:                             ;   in Loop: Header=BB218_6 Depth=1
	v_mul_f32_e32 v58, s20, v153
	v_exp_f32_e32 v68, v58
	s_waitcnt vmcnt(4)
	v_mul_f32_e32 v58, 0x3fb8aa3b, v70
	v_exp_f32_e32 v70, v58
	v_mul_f32_e32 v58, 0x3fb8aa3b, v71
	v_exp_f32_e32 v71, v58
	;; [unrolled: 2-line block ×4, first 2 shown]
	v_accvgpr_read_b32 v37, a3
	v_accvgpr_read_b32 v36, a2
	;; [unrolled: 1-line block ×4, first 2 shown]
	v_pk_mul_f32 v[70:71], v[68:69], v[70:71] op_sel_hi:[0,1]
	v_pk_mul_f32 v[72:73], v[68:69], v[72:73] op_sel_hi:[0,1]
	v_pk_fma_f32 v[22:23], v[22:23], v[70:71], v[34:35]
	v_pk_fma_f32 v[24:25], v[24:25], v[72:73], v[36:37]
	v_mul_f32_e32 v34, 0x3fb8aa3b, v66
	v_mul_f32_e32 v35, 0x3fb8aa3b, v74
	;; [unrolled: 1-line block ×4, first 2 shown]
	v_exp_f32_e32 v34, v34
	v_exp_f32_e32 v35, v35
	;; [unrolled: 1-line block ×4, first 2 shown]
	v_accvgpr_read_b32 v41, a7
	v_accvgpr_read_b32 v45, a11
	;; [unrolled: 1-line block ×28, first 2 shown]
	v_pk_mul_f32 v[34:35], v[68:69], v[34:35] op_sel_hi:[0,1]
	v_pk_mul_f32 v[36:37], v[68:69], v[36:37] op_sel_hi:[0,1]
	s_add_i32 s66, s66, 64
	v_pk_fma_f32 v[26:27], v[70:71], v[26:27], v[38:39]
	v_pk_fma_f32 v[28:29], v[72:73], v[28:29], v[40:41]
	;; [unrolled: 1-line block ×13, first 2 shown]
	s_cmp_eq_u32 s57, s71
	v_pk_fma_f32 v[4:5], v[36:37], v[4:5], v[64:65]
	s_cbranch_scc1 .LBB218_18
; %bb.17:                               ;   in Loop: Header=BB218_6 Depth=1
	s_mov_b32 s72, s71
	s_branch .LBB218_6
.LBB218_18:
	s_lshl_b32 s43, s57, 6
	s_sub_i32 s46, s12, s43
	s_cmp_gt_i32 s46, 0
	s_cbranch_scc0 .LBB218_99
; %bb.19:
	s_ashr_i32 s3, s43, 31
	s_cmpk_lg_i32 s15, 0x80
	s_cselect_b64 s[26:27], -1, 0
	s_and_b64 vcc, exec, s[26:27]
	s_cbranch_vccz .LBB218_21
; %bb.20:
	s_mul_hi_i32 s0, s56, s12
	s_add_u32 s1, s49, s43
	s_addc_u32 s0, s0, s3
	s_mul_i32 s20, s1, s58
	s_mul_hi_u32 s21, s1, s14
	s_add_i32 s20, s21, s20
	s_mul_i32 s0, s0, s14
	s_add_i32 s20, s20, s0
	s_mul_i32 s1, s1, s14
	s_ashr_i32 s0, s59, 31
	s_add_u32 s44, s1, s59
	s_addc_u32 s45, s20, s0
	s_cbranch_execz .LBB218_22
	s_branch .LBB218_23
.LBB218_21:
                                        ; implicit-def: $sgpr44_sgpr45
.LBB218_22:
	s_mul_hi_i32 s0, s56, s14
	s_mul_i32 s56, s56, s14
	s_ashr_i32 s1, s59, 31
	s_add_u32 s14, s56, s59
	s_addc_u32 s0, s0, s1
	s_mul_i32 s1, s14, s55
	s_mul_hi_u32 s20, s14, s12
	s_add_i32 s1, s20, s1
	s_mul_i32 s0, s0, s12
	s_add_i32 s1, s1, s0
	s_mul_i32 s14, s14, s12
	s_add_u32 s44, s14, s43
	s_addc_u32 s45, s1, s3
.LBB218_23:
	s_mul_i32 s0, s40, s55
	s_add_i32 s0, s62, s0
	s_add_i32 s14, s60, s57
	;; [unrolled: 1-line block ×3, first 2 shown]
	s_add_u32 s0, s42, s43
	v_lshlrev_b32_e32 v38, 6, v100
	v_lshlrev_b32_e32 v57, 2, v97
	s_addc_u32 s1, s1, s3
	s_mov_b32 s3, 0x7060302
	v_or_b32_e32 v41, v38, v57
	v_xor_b32_e32 v39, v100, v57
	s_waitcnt vmcnt(7)
	v_perm_b32 v35, v25, v24, s3
	v_perm_b32 v34, v23, v22, s3
	s_waitcnt vmcnt(6)
	v_perm_b32 v37, v13, v12, s3
	v_perm_b32 v36, v11, v10, s3
	v_lshlrev_b32_e32 v41, 1, v41
	v_xor_b32_e32 v40, v101, v57
	ds_write2st64_b64 v41, v[34:35], v[36:37] offset0:32 offset1:48
	v_lshlrev_b32_e32 v39, 1, v39
	v_lshlrev_b32_e32 v41, 8, v97
	v_or_b32_e32 v42, v39, v41
	v_lshlrev_b32_e32 v40, 1, v40
	ds_write_b64 v42, v[34:35]
	v_or_b32_e32 v34, v40, v41
	v_or_b32_e32 v41, 16, v97
	v_lshlrev_b32_e32 v55, 2, v41
	v_or_b32_e32 v42, v38, v55
	ds_write_b64 v34, v[36:37]
	s_waitcnt vmcnt(5)
	v_perm_b32 v35, v29, v28, s3
	v_perm_b32 v34, v27, v26, s3
	s_waitcnt vmcnt(4)
	v_perm_b32 v37, v17, v16, s3
	v_perm_b32 v36, v15, v14, s3
	v_lshlrev_b32_e32 v42, 1, v42
	v_lshlrev_b32_e32 v41, 8, v41
	ds_write2st64_b64 v42, v[34:35], v[36:37] offset0:32 offset1:48
	v_or_b32_e32 v42, v39, v41
	ds_write_b64 v42, v[34:35]
	v_or_b32_e32 v34, v40, v41
	v_or_b32_e32 v41, 32, v97
	v_lshlrev_b32_e32 v54, 2, v41
	v_or_b32_e32 v42, v38, v54
	ds_write_b64 v34, v[36:37]
	s_waitcnt vmcnt(3)
	v_perm_b32 v35, v33, v32, s3
	v_perm_b32 v34, v31, v30, s3
	s_waitcnt vmcnt(2)
	v_perm_b32 v37, v21, v20, s3
	v_perm_b32 v36, v19, v18, s3
	v_lshlrev_b32_e32 v42, 1, v42
	v_lshlrev_b32_e32 v41, 8, v41
	s_lshl_b64 s[24:25], s[0:1], 8
	ds_write2st64_b64 v42, v[34:35], v[36:37] offset0:32 offset1:48
	v_or_b32_e32 v42, v39, v41
	s_add_u32 s0, s6, s24
	ds_write_b64 v42, v[34:35]
	v_or_b32_e32 v34, v40, v41
	s_addc_u32 s1, s7, s25
	ds_write_b64 v34, v[36:37]
	s_waitcnt vmcnt(1)
	v_perm_b32 v35, v9, v8, s3
	v_perm_b32 v34, v7, v6, s3
	s_waitcnt vmcnt(0)
	v_perm_b32 v37, v5, v4, s3
	v_perm_b32 v36, v3, v2, s3
	v_or_b32_e32 v41, 48, v97
	s_mul_hi_i32 s3, s14, s13
	s_mul_i32 s14, s14, s13
	v_lshlrev_b32_e32 v51, 2, v41
	s_add_u32 s6, s14, s33
	v_or_b32_e32 v38, v38, v51
	s_addc_u32 s7, s3, s48
	v_lshlrev_b32_e32 v38, 1, v38
	s_ashr_i32 s3, s2, 31
	s_lshl_b64 s[6:7], s[6:7], 15
	ds_write2st64_b64 v38, v[34:35], v[36:37] offset0:32 offset1:48
	v_lshlrev_b32_e32 v38, 8, v41
	s_add_u32 s6, s38, s6
	v_or_b32_e32 v39, v39, v38
	s_addc_u32 s7, s39, s7
	s_lshl_b64 s[2:3], s[2:3], 8
	ds_write_b64 v39, v[34:35]
	v_or_b32_e32 v34, v40, v38
	s_add_u32 s2, s6, s2
	v_lshlrev_b32_e32 v35, 1, v97
	ds_write_b64 v34, v[36:37]
	v_lshrrev_b32_e32 v34, 4, v0
	s_addc_u32 s3, s7, s3
	v_or_b32_e32 v36, 1, v35
	v_lshlrev_b32_e32 v42, 4, v97
	v_mov_b32_e32 v43, 0
	v_xor_b32_e32 v35, v34, v35
	v_xor_b32_e32 v38, v36, v34
	v_lshl_add_u64 v[44:45], s[2:3], 0, v[42:43]
	v_lshlrev_b32_e32 v42, 8, v34
	v_lshl_or_b32 v48, v35, 3, v42
	v_lshl_or_b32 v49, v38, 3, v42
	s_waitcnt lgkmcnt(0)
	s_barrier
	ds_read2st64_b64 v[34:37], v48 offset1:8
	ds_read2st64_b64 v[38:41], v49 offset1:8
	v_lshl_add_u64 v[46:47], v[44:45], 0, v[42:43]
	s_movk_i32 s2, 0x2000
	s_cmp_lg_u32 s46, 64
	s_waitcnt lgkmcnt(1)
	v_mov_b32_e32 v42, v34
	v_mov_b32_e32 v43, v35
	s_waitcnt lgkmcnt(0)
	v_mov_b32_e32 v44, v38
	v_mov_b32_e32 v45, v39
	global_store_dwordx4 v[46:47], v[42:45], off
	v_mov_b32_e32 v38, v36
	v_mov_b32_e32 v39, v37
	ds_read2st64_b64 v[34:37], v48 offset0:16 offset1:24
	ds_read2st64_b64 v[42:45], v49 offset0:16 offset1:24
	v_add_co_u32_e32 v48, vcc, s2, v46
	s_cselect_b64 s[6:7], -1, 0
	s_nop 0
	v_addc_co_u32_e32 v49, vcc, 0, v47, vcc
	global_store_dwordx4 v[48:49], v[38:41], off offset:-4096
	v_lshl_or_b32 v62, v1, 3, v99
	s_mov_b32 s20, 0
	s_waitcnt lgkmcnt(1)
	v_mov_b32_e32 v38, v34
	v_add_co_u32_e32 v34, vcc, 0x3000, v46
	v_mov_b32_e32 v39, v35
	s_nop 0
	v_addc_co_u32_e32 v35, vcc, 0, v47, vcc
	s_waitcnt lgkmcnt(0)
	v_mov_b32_e32 v40, v42
	v_mov_b32_e32 v41, v43
	;; [unrolled: 1-line block ×4, first 2 shown]
	v_or_b32_e32 v52, 32, v62
	v_and_b32_e32 v50, 56, v98
	s_and_b64 vcc, exec, s[6:7]
	global_store_dwordx4 v[48:49], v[38:41], off
	global_store_dwordx4 v[34:35], v[42:45], off
	s_cbranch_vccz .LBB218_29
; %bb.24:
	s_mov_b32 s22, s20
	s_mov_b32 s23, s20
	;; [unrolled: 1-line block ×3, first 2 shown]
	v_mov_b64_e32 v[40:41], s[22:23]
	v_mov_b64_e32 v[38:39], s[20:21]
	;; [unrolled: 1-line block ×3, first 2 shown]
	v_cmp_gt_i32_e32 vcc, s46, v62
	v_mov_b64_e32 v[36:37], v[40:41]
	s_and_saveexec_b64 s[2:3], vcc
	s_cbranch_execz .LBB218_26
; %bb.25:
	v_lshlrev_b32_e32 v34, 8, v62
	v_mov_b32_e32 v35, 0
	v_lshl_add_u64 v[36:37], s[0:1], 0, v[34:35]
	v_lshlrev_b32_e32 v34, 1, v50
	v_lshl_add_u64 v[42:43], v[36:37], 0, v[34:35]
	global_load_dwordx4 v[38:41], v[42:43], off
	global_load_dwordx4 v[34:37], v[42:43], off offset:128
.LBB218_26:
	s_or_b64 exec, exec, s[2:3]
	s_mov_b32 s22, s20
	s_mov_b32 s23, s20
	;; [unrolled: 1-line block ×3, first 2 shown]
	v_mov_b64_e32 v[48:49], s[22:23]
	v_mov_b64_e32 v[46:47], s[20:21]
	;; [unrolled: 1-line block ×3, first 2 shown]
	v_cmp_gt_i32_e32 vcc, s46, v52
	v_lshlrev_b32_e32 v53, 7, v52
	v_mov_b64_e32 v[44:45], v[48:49]
	s_and_saveexec_b64 s[2:3], vcc
	s_cbranch_execz .LBB218_28
; %bb.27:
	v_lshlrev_b32_e32 v42, 1, v53
	v_mov_b32_e32 v43, 0
	v_lshl_add_u64 v[44:45], s[0:1], 0, v[42:43]
	v_lshlrev_b32_e32 v42, 1, v50
	v_lshl_add_u64 v[58:59], v[44:45], 0, v[42:43]
	global_load_dwordx4 v[46:49], v[58:59], off
	global_load_dwordx4 v[42:45], v[58:59], off offset:128
.LBB218_28:
	s_or_b64 exec, exec, s[2:3]
	v_lshrrev_b32_e32 v56, 3, v50
	v_lshlrev_b32_e32 v58, 3, v62
	v_or_b32_e32 v56, v58, v56
	v_lshlrev_b32_e32 v56, 4, v56
	v_and_b32_e32 v58, 0x78, v58
	v_xor_b32_e32 v56, v56, v58
	s_branch .LBB218_31
.LBB218_29:
                                        ; implicit-def: $vgpr56
                                        ; implicit-def: $vgpr53
                                        ; implicit-def: $vgpr38_vgpr39_vgpr40_vgpr41
                                        ; implicit-def: $vgpr34_vgpr35_vgpr36_vgpr37
                                        ; implicit-def: $vgpr46_vgpr47_vgpr48_vgpr49
                                        ; implicit-def: $vgpr42_vgpr43_vgpr44_vgpr45
	s_cbranch_execz .LBB218_31
; %bb.30:
	s_waitcnt vmcnt(0)
	v_lshlrev_b32_e32 v34, 1, v50
	v_lshl_or_b32 v53, v62, 8, v34
	s_and_b32 s1, s1, 0xffff
	s_mov_b32 s3, 0x20000
	s_movk_i32 s2, 0x4000
	v_lshl_or_b32 v56, v52, 8, v34
	s_movk_i32 s14, 0x80
	buffer_load_dwordx4 v[38:41], v53, s[0:3], 0 offen
	buffer_load_dwordx4 v[34:37], v53, s[0:3], s14 offen
	;; [unrolled: 1-line block ×4, first 2 shown]
	v_lshrrev_b32_e32 v53, 3, v50
	v_lshlrev_b32_e32 v56, 3, v62
	v_or_b32_e32 v53, v56, v53
	v_lshlrev_b32_e32 v53, 4, v53
	v_and_b32_e32 v56, 0x78, v56
	v_xor_b32_e32 v56, v53, v56
	v_lshlrev_b32_e32 v53, 7, v52
.LBB218_31:
	s_movk_i32 s0, 0x1000
	v_and_or_b32 v52, v53, s0, v56
	s_waitcnt vmcnt(1)
	ds_write_b64 v56, v[38:39] offset:49152
	v_xor_b32_e32 v38, 8, v56
	ds_write_b64 v38, v[40:41] offset:49152
	s_waitcnt vmcnt(0)
	ds_write_b64 v56, v[34:35] offset:57344
	ds_write_b64 v38, v[36:37] offset:57344
	;; [unrolled: 1-line block ×3, first 2 shown]
	v_xor_b32_e32 v34, 8, v52
	ds_write_b64 v34, v[48:49] offset:49152
	ds_write_b64 v52, v[42:43] offset:57344
	;; [unrolled: 1-line block ×3, first 2 shown]
	v_or_b32_e32 v34, v77, v97
	v_lshlrev_b32_e32 v34, 3, v34
	v_lshrrev_b32_e32 v35, 5, v79
	s_movk_i32 s0, 0xf8
	v_and_or_b32 v35, v34, s0, v35
	v_lshlrev_b32_e32 v39, 4, v35
	v_lshlrev_b32_e32 v56, 11, v1
	v_and_b32_e32 v40, 0x78, v34
	v_or_b32_e32 v42, 32, v39
	v_and_b32_e32 v38, 0x1000, v56
	v_lshrrev_b32_e32 v35, 1, v79
	v_xor_b32_e32 v42, v42, v40
	v_xor_b32_e32 v34, v39, v40
	v_and_b32_e32 v41, 8, v35
	v_or_b32_e32 v42, v42, v38
	v_or_b32_e32 v34, v34, v38
	v_xor_b32_e32 v64, v42, v41
	v_or_b32_e32 v42, 64, v39
	v_xor_b32_e32 v63, v34, v41
	v_xor_b32_e32 v42, v42, v40
	s_waitcnt lgkmcnt(0)
	s_barrier
	v_or_b32_e32 v45, v42, v38
	ds_read_b64 v[42:43], v63 offset:49152
	v_lshl_or_b32 v46, v96, 8, v57
	v_lshlrev_b32_e32 v58, 1, v46
	v_add_u32_e32 v44, 0x4000, v58
	ds_read2_b64 v[34:37], v44 offset1:16
	v_or_b32_e32 v39, 0x60, v39
	v_xor_b32_e32 v39, v39, v40
	v_or_b32_e32 v38, v39, v38
	v_xor_b32_e32 v65, v45, v41
	v_xor_b32_e32 v66, v38, v41
	ds_read_b64 v[52:53], v64 offset:49152
	ds_read_b64 v[68:69], v65 offset:49152
	;; [unrolled: 1-line block ×3, first 2 shown]
	s_waitcnt lgkmcnt(3)
	v_mfma_f32_16x16x16_bf16 a[0:3], v[42:43], v[34:35], 0
	ds_read2st64_b64 v[38:41], v58 offset0:36 offset1:40
	s_lshl_b64 s[0:1], s[44:45], 8
	s_add_u32 s4, s4, s0
	v_mfma_f32_16x16x16_bf16 a[4:7], v[42:43], v[36:37], 0
	ds_read2_b64 v[34:37], v44 offset0:32 offset1:48
	s_addc_u32 s5, s5, s1
	s_add_i32 s0, s51, s41
	s_waitcnt lgkmcnt(0)
	v_mfma_f32_16x16x16_bf16 a[8:11], v[42:43], v[34:35], 0
	v_or_b32_e32 v34, 64, v46
	v_lshlrev_b32_e32 v59, 1, v34
	s_add_i32 s14, s12, -1
	v_mfma_f32_16x16x16_bf16 a[12:15], v[42:43], v[36:37], 0
	ds_read2st64_b64 v[34:37], v59 offset0:36 offset1:40
	s_add_i32 s37, s0, s50
	s_add_i32 s0, s53, s52
	v_mfma_f32_16x16x16_bf16 a[0:3], v[52:53], v[38:39], a[0:3]
	v_or_b32_e32 v38, 0x80, v46
	v_lshlrev_b32_e32 v60, 1, v38
	ds_read2st64_b64 v[42:45], v60 offset0:36 offset1:40
	s_waitcnt lgkmcnt(1)
	v_mfma_f32_16x16x16_bf16 a[4:7], v[52:53], v[34:35], a[4:7]
	v_or_b32_e32 v34, 0xc0, v46
	v_lshlrev_b32_e32 v61, 1, v34
	ds_read2st64_b64 v[46:49], v61 offset0:36 offset1:40
	s_add_i32 s35, s0, s54
	s_ashr_i32 s0, s14, 31
	s_mul_i32 s1, s14, s31
	s_mul_hi_u32 s2, s14, s30
	s_add_i32 s1, s2, s1
	s_mul_i32 s0, s0, s30
	s_waitcnt lgkmcnt(1)
	v_mfma_f32_16x16x16_bf16 a[8:11], v[52:53], v[42:43], a[8:11]
	s_add_i32 s1, s1, s0
	s_lshl_b64 s[2:3], s[36:37], 2
	s_add_u32 s10, s10, s2
	s_waitcnt lgkmcnt(0)
	v_mfma_f32_16x16x16_bf16 a[12:15], v[52:53], v[46:47], a[12:15]
	s_addc_u32 s11, s11, s3
	s_lshl_b64 s[2:3], s[34:35], 2
	s_mul_i32 s0, s14, s30
	v_mfma_f32_16x16x16_bf16 a[0:3], v[68:69], v[40:41], a[0:3]
	ds_read_b64 v[34:35], v58 offset:22528
	s_add_u32 s10, s10, s2
	s_addc_u32 s11, s11, s3
	v_mfma_f32_16x16x16_bf16 a[4:7], v[68:69], v[36:37], a[4:7]
	ds_read_b64 v[36:37], v59 offset:22528
	ds_read_b64 v[38:39], v60 offset:22528
	;; [unrolled: 1-line block ×3, first 2 shown]
	s_lshl_b64 s[0:1], s[0:1], 2
	s_add_u32 s0, s10, s0
	v_mfma_f32_16x16x16_bf16 a[8:11], v[68:69], v[44:45], a[8:11]
	s_addc_u32 s1, s11, s1
	s_load_dword s12, s[0:1], 0x0
	s_and_b64 vcc, exec, s[26:27]
	v_mfma_f32_16x16x16_bf16 a[12:15], v[68:69], v[48:49], a[12:15]
	s_waitcnt lgkmcnt(0)
	v_mfma_f32_16x16x16_bf16 a[0:3], v[70:71], v[34:35], a[0:3]
	v_mfma_f32_16x16x16_bf16 a[4:7], v[70:71], v[36:37], a[4:7]
	;; [unrolled: 1-line block ×4, first 2 shown]
	s_cbranch_vccz .LBB218_42
; %bb.32:
	v_lshlrev_b32_e32 v52, 1, v62
	s_and_b64 vcc, exec, s[6:7]
	s_cbranch_vccz .LBB218_43
; %bb.33:
	v_cmp_gt_i32_e32 vcc, s46, v52
	v_mov_b32_e32 v38, 0
	v_mov_b32_e32 v34, 0
	;; [unrolled: 1-line block ×5, first 2 shown]
	s_and_saveexec_b64 s[0:1], vcc
	s_cbranch_execz .LBB218_35
; %bb.34:
	v_mad_i64_i32 v[34:35], s[2:3], s15, v52, 0
	v_lshl_add_u64 v[34:35], v[34:35], 1, s[4:5]
	v_lshlrev_b32_e32 v36, 1, v50
	v_mov_b32_e32 v37, 0
	v_lshl_add_u64 v[34:35], v[34:35], 0, v[36:37]
	global_load_dwordx4 v[34:37], v[34:35], off
.LBB218_35:
	s_or_b64 exec, exec, s[0:1]
	v_or_b32_e32 v53, 1, v52
	v_cmp_gt_i32_e64 s[0:1], s46, v53
	v_mov_b32_e32 v39, 0
	v_mov_b32_e32 v40, 0
	;; [unrolled: 1-line block ×3, first 2 shown]
	s_and_saveexec_b64 s[2:3], s[0:1]
	s_cbranch_execz .LBB218_37
; %bb.36:
	v_mad_i64_i32 v[38:39], s[20:21], s15, v53, 0
	v_lshl_add_u64 v[38:39], v[38:39], 1, s[4:5]
	v_lshlrev_b32_e32 v40, 1, v50
	v_mov_b32_e32 v41, 0
	v_lshl_add_u64 v[38:39], v[38:39], 0, v[40:41]
	global_load_dwordx4 v[38:41], v[38:39], off
.LBB218_37:
	s_or_b64 exec, exec, s[2:3]
	v_mov_b32_e32 v49, 0
	v_mov_b32_e32 v42, 0
	;; [unrolled: 1-line block ×5, first 2 shown]
	s_and_saveexec_b64 s[2:3], vcc
	s_cbranch_execz .LBB218_39
; %bb.38:
	v_mad_i64_i32 v[42:43], s[20:21], s15, v52, 0
	v_lshl_add_u64 v[42:43], v[42:43], 1, s[4:5]
	v_lshlrev_b32_e32 v44, 1, v50
	v_mov_b32_e32 v45, 0
	v_lshl_add_u64 v[42:43], v[42:43], 0, v[44:45]
	global_load_dwordx4 v[42:45], v[42:43], off offset:128
.LBB218_39:
	s_or_b64 exec, exec, s[2:3]
	v_mov_b32_e32 v48, 0
	v_mov_b32_e32 v47, 0
	;; [unrolled: 1-line block ×3, first 2 shown]
	s_and_saveexec_b64 s[2:3], s[0:1]
	s_cbranch_execz .LBB218_41
; %bb.40:
	v_mad_i64_i32 v[46:47], s[0:1], s15, v53, 0
	v_lshl_add_u64 v[46:47], v[46:47], 1, s[4:5]
	v_lshlrev_b32_e32 v48, 1, v50
	v_mov_b32_e32 v49, 0
	v_lshl_add_u64 v[46:47], v[46:47], 0, v[48:49]
	global_load_dwordx4 v[46:49], v[46:47], off offset:128
.LBB218_41:
	s_or_b64 exec, exec, s[2:3]
	s_branch .LBB218_45
.LBB218_42:
                                        ; implicit-def: $vgpr37
                                        ; implicit-def: $vgpr41
                                        ; implicit-def: $vgpr45
                                        ; implicit-def: $vgpr49
	v_lshrrev_b32_e32 v67, 2, v79
	s_branch .LBB218_46
.LBB218_43:
                                        ; implicit-def: $vgpr37
                                        ; implicit-def: $vgpr41
                                        ; implicit-def: $vgpr45
                                        ; implicit-def: $vgpr49
	s_cbranch_execz .LBB218_45
; %bb.44:
	s_waitcnt vmcnt(0)
	v_mad_u64_u32 v[34:35], s[0:1], v52, s15, v[50:51]
	v_lshlrev_b32_e32 v52, 1, v34
	s_lshl_b32 s2, s15, 7
	s_and_b32 s1, s5, 0xffff
	s_mov_b32 s3, 0x20000
	s_mov_b32 s0, s4
	v_add_lshl_u32 v53, v34, s15, 1
	s_movk_i32 s15, 0x80
	buffer_load_dwordx4 v[34:37], v52, s[0:3], 0 offen
	buffer_load_dwordx4 v[42:45], v52, s[0:3], s15 offen
	;; [unrolled: 1-line block ×4, first 2 shown]
.LBB218_45:
	v_lshrrev_b32_e32 v67, 2, v79
	s_cbranch_execnz .LBB218_58
.LBB218_46:
	s_and_b64 vcc, exec, s[6:7]
	s_cbranch_vccz .LBB218_56
; %bb.47:
	s_waitcnt vmcnt(0)
	v_lshlrev_b32_e32 v39, 1, v62
	v_cmp_gt_i32_e32 vcc, s46, v39
	v_mov_b32_e32 v38, 0
	v_lshlrev_b32_e32 v46, 9, v62
	v_mov_b32_e32 v34, 0
	v_mov_b32_e32 v35, 0
	;; [unrolled: 1-line block ×4, first 2 shown]
	s_and_saveexec_b64 s[0:1], vcc
	s_cbranch_execz .LBB218_49
; %bb.48:
	v_mov_b32_e32 v47, 0
	v_lshl_add_u64 v[34:35], s[4:5], 0, v[46:47]
	v_lshlrev_b32_e32 v36, 1, v50
	v_mov_b32_e32 v37, v47
	v_lshl_add_u64 v[34:35], v[34:35], 0, v[36:37]
	global_load_dwordx4 v[34:37], v[34:35], off
.LBB218_49:
	s_or_b64 exec, exec, s[0:1]
	v_or_b32_e32 v39, 1, v39
	v_cmp_gt_i32_e64 s[0:1], s46, v39
	v_lshlrev_b32_e32 v52, 8, v39
	v_mov_b32_e32 v39, 0
	v_mov_b32_e32 v40, 0
	;; [unrolled: 1-line block ×3, first 2 shown]
	s_and_saveexec_b64 s[2:3], s[0:1]
	s_cbranch_execz .LBB218_51
; %bb.50:
	v_mov_b32_e32 v53, 0
	v_lshl_add_u64 v[38:39], s[4:5], 0, v[52:53]
	v_lshlrev_b32_e32 v40, 1, v50
	v_mov_b32_e32 v41, v53
	v_lshl_add_u64 v[38:39], v[38:39], 0, v[40:41]
	global_load_dwordx4 v[38:41], v[38:39], off
.LBB218_51:
	s_or_b64 exec, exec, s[2:3]
	v_mov_b32_e32 v49, 0
	v_mov_b32_e32 v42, 0
	;; [unrolled: 1-line block ×5, first 2 shown]
	s_and_saveexec_b64 s[2:3], vcc
	s_cbranch_execz .LBB218_53
; %bb.52:
	v_mov_b32_e32 v47, 0
	v_lshl_add_u64 v[42:43], s[4:5], 0, v[46:47]
	v_lshlrev_b32_e32 v46, 1, v50
	v_lshl_add_u64 v[42:43], v[42:43], 0, v[46:47]
	global_load_dwordx4 v[42:45], v[42:43], off offset:128
.LBB218_53:
	s_or_b64 exec, exec, s[2:3]
	v_mov_b32_e32 v48, 0
	v_mov_b32_e32 v47, 0
	;; [unrolled: 1-line block ×3, first 2 shown]
	s_and_saveexec_b64 s[2:3], s[0:1]
	s_cbranch_execz .LBB218_55
; %bb.54:
	v_mov_b32_e32 v53, 0
	v_lshl_add_u64 v[46:47], s[4:5], 0, v[52:53]
	v_lshlrev_b32_e32 v52, 1, v50
	v_lshl_add_u64 v[46:47], v[46:47], 0, v[52:53]
	global_load_dwordx4 v[46:49], v[46:47], off offset:128
.LBB218_55:
	s_or_b64 exec, exec, s[2:3]
	s_branch .LBB218_58
.LBB218_56:
                                        ; implicit-def: $vgpr37
                                        ; implicit-def: $vgpr41
                                        ; implicit-def: $vgpr45
                                        ; implicit-def: $vgpr49
	s_cbranch_execz .LBB218_58
; %bb.57:
	s_waitcnt vmcnt(0)
	v_lshlrev_b32_e32 v34, 1, v50
	v_lshl_or_b32 v50, v62, 9, v34
	s_and_b32 s5, s5, 0xffff
	s_mov_b32 s7, 0x20000
	s_movk_i32 s6, 0x4000
	s_movk_i32 s0, 0x80
	buffer_load_dwordx4 v[34:37], v50, s[4:7], 0 offen
	buffer_load_dwordx4 v[38:41], v50, s[4:7], 0 offen offset:256
	buffer_load_dwordx4 v[42:45], v50, s[4:7], s0 offen
	buffer_load_dwordx4 v[46:49], v50, s[4:7], s0 offen offset:256
.LBB218_58:
	ds_read_b64 v[52:53], v63 offset:57344
	v_add_u32_e32 v50, 0x6000, v58
	ds_read2_b64 v[68:71], v50 offset1:16
	ds_read_b64 v[94:95], v64 offset:57344
	ds_read_b64 v[96:97], v65 offset:57344
	;; [unrolled: 1-line block ×3, first 2 shown]
	v_and_b32_e32 v63, 6, v0
	v_xor_b32_e32 v62, v62, v63
	v_lshlrev_b32_e32 v62, 2, v62
	s_mov_b32 s0, 0x1000504
	s_mov_b32 s1, 0x3020706
	s_waitcnt lgkmcnt(3)
	v_mfma_f32_16x16x16_bf16 a[0:3], v[52:53], v[68:69], a[0:3]
	v_mfma_f32_16x16x16_bf16 a[4:7], v[52:53], v[70:71], a[4:7]
	ds_read2_b64 v[68:71], v50 offset0:32 offset1:48
	v_and_b32_e32 v50, 12, v67
	ds_read2st64_b64 v[64:67], v58 offset0:52 offset1:56
	s_waitcnt lgkmcnt(1)
	v_mfma_f32_16x16x16_bf16 a[8:11], v[52:53], v[68:69], a[8:11]
	v_mfma_f32_16x16x16_bf16 a[12:15], v[52:53], v[70:71], a[12:15]
	ds_read2st64_b64 v[68:71], v59 offset0:52 offset1:56
	ds_read2st64_b64 v[72:75], v60 offset0:52 offset1:56
	;; [unrolled: 1-line block ×3, first 2 shown]
	s_waitcnt lgkmcnt(3)
	v_mfma_f32_16x16x16_bf16 a[0:3], v[94:95], v[64:65], a[0:3]
	ds_read_b64 v[52:53], v58 offset:30720
	ds_read_b64 v[64:65], v59 offset:30720
	;; [unrolled: 1-line block ×4, first 2 shown]
	s_waitcnt lgkmcnt(6)
	v_mfma_f32_16x16x16_bf16 a[4:7], v[94:95], v[68:69], a[4:7]
	v_and_b32_e32 v68, 1, v0
	v_xor_b32_e32 v69, 0x440, v62
	v_cmp_eq_u32_e32 vcc, 0, v68
	s_waitcnt lgkmcnt(5)
	v_mfma_f32_16x16x16_bf16 a[8:11], v[94:95], v[72:73], a[8:11]
	v_cndmask_b32_e32 v62, v69, v62, vcc
	v_lshl_or_b32 v62, v63, 10, v62
	s_waitcnt lgkmcnt(4)
	v_mfma_f32_16x16x16_bf16 a[12:15], v[94:95], v[90:91], a[12:15]
	s_waitcnt vmcnt(0)
	v_perm_b32 v63, v34, v38, s0
	v_perm_b32 v34, v34, v38, s1
	v_perm_b32 v38, v42, v46, s1
	v_mfma_f32_16x16x16_bf16 a[0:3], v[96:97], v[66:67], a[0:3]
	v_perm_b32 v66, v42, v46, s0
	ds_write2st64_b32 v62, v63, v66 offset0:128 offset1:160
	v_xor_b32_e32 v63, 8, v62
	v_add_u32_e32 v42, 0x80, v63
	ds_write2st64_b32 v42, v34, v38 offset0:128 offset1:160
	v_xor_b32_e32 v34, 16, v62
	v_perm_b32 v38, v35, v39, s0
	v_perm_b32 v42, v43, v47, s0
	v_mfma_f32_16x16x16_bf16 a[4:7], v[96:97], v[70:71], a[4:7]
	ds_write2st64_b32 v34, v38, v42 offset0:129 offset1:161
	v_xor_b32_e32 v34, 24, v62
	v_perm_b32 v35, v35, v39, s1
	v_mfma_f32_16x16x16_bf16 a[16:19], v[96:97], v[74:75], a[8:11]
	v_perm_b32 v38, v43, v47, s1
	v_add_u32_e32 v34, 0x80, v34
	ds_write2st64_b32 v34, v35, v38 offset0:129 offset1:161
	v_mfma_f32_16x16x16_bf16 a[20:23], v[96:97], v[92:93], a[12:15]
	v_xor_b32_e32 v34, 32, v62
	v_perm_b32 v35, v36, v40, s0
	v_perm_b32 v38, v44, v48, s0
	ds_write2st64_b32 v34, v35, v38 offset0:130 offset1:162
	v_xor_b32_e32 v34, 40, v62
	s_waitcnt lgkmcnt(8)
	v_mfma_f32_16x16x16_bf16 a[12:15], v[98:99], v[52:53], a[0:3]
	v_perm_b32 v35, v36, v40, s1
	v_perm_b32 v36, v44, v48, s1
	v_add_u32_e32 v34, 0x80, v34
	s_waitcnt lgkmcnt(7)
	v_mfma_f32_16x16x16_bf16 a[8:11], v[98:99], v[64:65], a[4:7]
	ds_write2st64_b32 v34, v35, v36 offset0:130 offset1:162
	v_xor_b32_e32 v34, 48, v62
	v_perm_b32 v35, v37, v41, s0
	s_waitcnt lgkmcnt(7)
	v_mfma_f32_16x16x16_bf16 a[4:7], v[98:99], v[100:101], a[16:19]
	v_perm_b32 v36, v45, v49, s0
	ds_write2st64_b32 v34, v35, v36 offset0:131 offset1:163
	v_xor_b32_e32 v34, 56, v62
	s_waitcnt lgkmcnt(7)
	v_mfma_f32_16x16x16_bf16 a[0:3], v[98:99], v[102:103], a[20:23]
	v_or_b32_e32 v48, v50, v77
	v_perm_b32 v35, v37, v41, s1
	v_perm_b32 v36, v45, v49, s1
	v_add_u32_e32 v34, 0x80, v34
	v_cmp_gt_i32_e64 s[0:1], s46, v48
	v_mov_b32_e32 v52, 0
	v_mov_b32_e32 v53, 0
	ds_write2st64_b32 v34, v35, v36 offset0:131 offset1:163
	s_and_saveexec_b64 s[2:3], s[0:1]
	s_cbranch_execz .LBB218_60
; %bb.59:
	v_add_u32_e32 v34, s43, v48
	v_ashrrev_i32_e32 v35, 31, v34
	v_mul_lo_u32 v36, v35, s30
	v_mul_lo_u32 v37, v34, s31
	v_mad_u64_u32 v[34:35], s[4:5], v34, s30, 0
	v_add3_u32 v35, v35, v37, v36
	v_lshl_add_u64 v[34:35], v[34:35], 2, s[10:11]
	global_load_dword v34, v[34:35], off
	s_waitcnt vmcnt(0)
	v_sub_f32_e32 v34, s12, v34
	v_mul_f32_e32 v34, 0x3fb8aa3b, v34
	v_exp_f32_e32 v53, v34
.LBB218_60:
	s_or_b64 exec, exec, s[2:3]
	v_or_b32_e32 v40, 1, v48
	v_cmp_gt_i32_e64 s[2:3], s46, v40
	s_and_saveexec_b64 s[4:5], s[2:3]
	s_cbranch_execz .LBB218_62
; %bb.61:
	v_add_u32_e32 v34, s43, v40
	v_ashrrev_i32_e32 v35, 31, v34
	v_mul_lo_u32 v36, v35, s30
	v_mul_lo_u32 v37, v34, s31
	v_mad_u64_u32 v[34:35], s[6:7], v34, s30, 0
	v_add3_u32 v35, v35, v37, v36
	v_lshl_add_u64 v[34:35], v[34:35], 2, s[10:11]
	global_load_dword v34, v[34:35], off
	s_waitcnt vmcnt(0)
	v_sub_f32_e32 v34, s12, v34
	v_mul_f32_e32 v34, 0x3fb8aa3b, v34
	v_exp_f32_e32 v52, v34
.LBB218_62:
	s_or_b64 exec, exec, s[4:5]
	v_or_b32_e32 v41, 2, v48
	v_cmp_gt_i32_e64 s[4:5], s46, v41
	v_mov_b32_e32 v49, 0
	v_mov_b32_e32 v62, 0
	s_and_saveexec_b64 s[6:7], s[4:5]
	s_cbranch_execz .LBB218_64
; %bb.63:
	v_add_u32_e32 v34, s43, v41
	v_ashrrev_i32_e32 v35, 31, v34
	v_mul_lo_u32 v36, v35, s30
	v_mul_lo_u32 v37, v34, s31
	v_mad_u64_u32 v[34:35], s[20:21], v34, s30, 0
	v_add3_u32 v35, v35, v37, v36
	v_lshl_add_u64 v[34:35], v[34:35], 2, s[10:11]
	global_load_dword v34, v[34:35], off
	s_waitcnt vmcnt(0)
	v_sub_f32_e32 v34, s12, v34
	v_mul_f32_e32 v34, 0x3fb8aa3b, v34
	v_exp_f32_e32 v62, v34
.LBB218_64:
	s_or_b64 exec, exec, s[6:7]
	v_or_b32_e32 v63, 3, v48
	v_cmp_gt_i32_e32 vcc, s46, v63
	s_and_saveexec_b64 s[6:7], vcc
	s_cbranch_execz .LBB218_66
; %bb.65:
	v_add_u32_e32 v34, s43, v63
	v_ashrrev_i32_e32 v35, 31, v34
	v_mul_lo_u32 v36, v35, s30
	v_mul_lo_u32 v37, v34, s31
	v_mad_u64_u32 v[34:35], s[20:21], v34, s30, 0
	v_add3_u32 v35, v35, v37, v36
	v_lshl_add_u64 v[34:35], v[34:35], 2, s[10:11]
	global_load_dword v34, v[34:35], off
	s_waitcnt vmcnt(0)
	v_sub_f32_e32 v34, s12, v34
	v_mul_f32_e32 v34, 0x3fb8aa3b, v34
	v_exp_f32_e32 v49, v34
.LBB218_66:
	s_or_b64 exec, exec, s[6:7]
	s_add_u32 s6, s8, s24
	v_accvgpr_read_b32 v37, a15
	s_addc_u32 s7, s9, s25
	v_ashrrev_i32_e32 v89, 31, v88
	v_accvgpr_read_b32 v36, a14
	v_accvgpr_read_b32 v35, a13
	;; [unrolled: 1-line block ×3, first 2 shown]
	v_lshl_add_u64 v[38:39], v[88:89], 1, s[6:7]
	v_mov_b32_e32 v45, 0
	v_lshlrev_b32_e32 v42, 8, v48
	v_mov_b32_e32 v43, 0
	s_and_saveexec_b64 s[6:7], s[0:1]
	s_cbranch_execz .LBB218_68
; %bb.67:
	v_mov_b32_e32 v43, 0
	v_lshl_add_u64 v[46:47], v[38:39], 0, v[42:43]
	global_load_ushort v43, v[46:47], off
	s_waitcnt vmcnt(0)
	v_lshlrev_b32_e32 v43, 16, v43
	v_sub_f32_e32 v34, v43, v34
	v_mul_f32_e32 v34, v53, v34
	v_lshrrev_b32_e32 v43, 16, v34
.LBB218_68:
	s_or_b64 exec, exec, s[6:7]
	v_lshlrev_b32_e32 v44, 8, v40
	s_and_saveexec_b64 s[6:7], s[2:3]
	s_cbranch_execz .LBB218_70
; %bb.69:
	v_mov_b32_e32 v45, 0
	v_lshl_add_u64 v[46:47], v[38:39], 0, v[44:45]
	global_load_ushort v34, v[46:47], off
	s_waitcnt vmcnt(0)
	v_lshlrev_b32_e32 v34, 16, v34
	v_sub_f32_e32 v34, v34, v35
	v_mul_f32_e32 v34, v52, v34
	v_lshrrev_b32_e32 v45, 16, v34
.LBB218_70:
	s_or_b64 exec, exec, s[6:7]
	v_mov_b32_e32 v64, 0
	v_lshlrev_b32_e32 v46, 8, v41
	v_mov_b32_e32 v47, 0
	s_and_saveexec_b64 s[6:7], s[4:5]
	s_cbranch_execz .LBB218_72
; %bb.71:
	v_mov_b32_e32 v47, 0
	v_lshl_add_u64 v[34:35], v[38:39], 0, v[46:47]
	global_load_ushort v34, v[34:35], off
	s_waitcnt vmcnt(0)
	v_lshlrev_b32_e32 v34, 16, v34
	v_sub_f32_e32 v34, v34, v36
	v_mul_f32_e32 v34, v62, v34
	v_lshrrev_b32_e32 v47, 16, v34
.LBB218_72:
	s_or_b64 exec, exec, s[6:7]
	v_lshlrev_b32_e32 v40, 8, v63
	s_and_saveexec_b64 s[6:7], vcc
	s_cbranch_execz .LBB218_74
; %bb.73:
	v_mov_b32_e32 v41, 0
	v_lshl_add_u64 v[34:35], v[38:39], 0, v[40:41]
	global_load_ushort v34, v[34:35], off
	s_waitcnt vmcnt(0)
	v_lshlrev_b32_e32 v34, 16, v34
	v_sub_f32_e32 v34, v34, v37
	v_mul_f32_e32 v34, v49, v34
	v_lshrrev_b32_e32 v64, 16, v34
.LBB218_74:
	s_or_b64 exec, exec, s[6:7]
	v_lshlrev_b32_e32 v63, 6, v48
	v_accvgpr_read_b32 v37, a11
	s_mov_b32 s6, 0x5040100
	v_or_b32_e32 v41, v63, v57
	v_accvgpr_read_b32 v36, a10
	v_accvgpr_read_b32 v35, a9
	;; [unrolled: 1-line block ×3, first 2 shown]
	v_perm_b32 v65, v64, v47, s6
	v_perm_b32 v64, v45, v43, s6
	v_lshlrev_b32_e32 v41, 1, v41
	v_mov_b32_e32 v45, 0
	v_mov_b32_e32 v43, 0
	ds_write_b64 v41, v[64:65] offset:24576
	s_and_saveexec_b64 s[6:7], s[0:1]
	s_cbranch_execz .LBB218_76
; %bb.75:
	v_mov_b32_e32 v43, 0
	v_lshl_add_u64 v[64:65], v[38:39], 0, v[42:43]
	global_load_ushort v41, v[64:65], off offset:32
	s_waitcnt vmcnt(0)
	v_lshlrev_b32_e32 v41, 16, v41
	v_sub_f32_e32 v34, v41, v34
	v_mul_f32_e32 v34, v53, v34
	v_lshrrev_b32_e32 v43, 16, v34
.LBB218_76:
	s_or_b64 exec, exec, s[6:7]
	s_and_saveexec_b64 s[6:7], s[2:3]
	s_cbranch_execz .LBB218_78
; %bb.77:
	v_mov_b32_e32 v45, 0
	v_lshl_add_u64 v[64:65], v[38:39], 0, v[44:45]
	global_load_ushort v34, v[64:65], off offset:32
	s_waitcnt vmcnt(0)
	v_lshlrev_b32_e32 v34, 16, v34
	v_sub_f32_e32 v34, v34, v35
	v_mul_f32_e32 v34, v52, v34
	v_lshrrev_b32_e32 v45, 16, v34
.LBB218_78:
	s_or_b64 exec, exec, s[6:7]
	v_mov_b32_e32 v41, 0
	v_mov_b32_e32 v47, 0
	s_and_saveexec_b64 s[6:7], s[4:5]
	s_cbranch_execz .LBB218_80
; %bb.79:
	v_mov_b32_e32 v47, 0
	v_lshl_add_u64 v[34:35], v[38:39], 0, v[46:47]
	global_load_ushort v34, v[34:35], off offset:32
	s_waitcnt vmcnt(0)
	v_lshlrev_b32_e32 v34, 16, v34
	v_sub_f32_e32 v34, v34, v36
	v_mul_f32_e32 v34, v62, v34
	v_lshrrev_b32_e32 v47, 16, v34
.LBB218_80:
	s_or_b64 exec, exec, s[6:7]
	s_and_saveexec_b64 s[6:7], vcc
	s_cbranch_execz .LBB218_82
; %bb.81:
	v_mov_b32_e32 v41, 0
	v_lshl_add_u64 v[34:35], v[38:39], 0, v[40:41]
	global_load_ushort v34, v[34:35], off offset:32
	s_waitcnt vmcnt(0)
	v_lshlrev_b32_e32 v34, 16, v34
	v_sub_f32_e32 v34, v34, v37
	v_mul_f32_e32 v34, v49, v34
	v_lshrrev_b32_e32 v41, 16, v34
.LBB218_82:
	s_or_b64 exec, exec, s[6:7]
	s_mov_b32 s6, 0x5040100
	v_accvgpr_read_b32 v37, a7
	v_perm_b32 v65, v41, v47, s6
	v_or_b32_e32 v41, v63, v55
	v_accvgpr_read_b32 v36, a6
	v_accvgpr_read_b32 v35, a5
	;; [unrolled: 1-line block ×3, first 2 shown]
	v_perm_b32 v64, v45, v43, s6
	v_lshlrev_b32_e32 v41, 1, v41
	v_mov_b32_e32 v45, 0
	v_mov_b32_e32 v43, 0
	ds_write_b64 v41, v[64:65] offset:24576
	s_and_saveexec_b64 s[6:7], s[0:1]
	s_cbranch_execz .LBB218_84
; %bb.83:
	v_mov_b32_e32 v43, 0
	v_lshl_add_u64 v[64:65], v[38:39], 0, v[42:43]
	global_load_ushort v41, v[64:65], off offset:64
	s_waitcnt vmcnt(0)
	v_lshlrev_b32_e32 v41, 16, v41
	v_sub_f32_e32 v34, v41, v34
	v_mul_f32_e32 v34, v53, v34
	v_lshrrev_b32_e32 v43, 16, v34
.LBB218_84:
	s_or_b64 exec, exec, s[6:7]
	s_and_saveexec_b64 s[6:7], s[2:3]
	s_cbranch_execz .LBB218_86
; %bb.85:
	v_mov_b32_e32 v45, 0
	v_lshl_add_u64 v[64:65], v[38:39], 0, v[44:45]
	global_load_ushort v34, v[64:65], off offset:64
	s_waitcnt vmcnt(0)
	v_lshlrev_b32_e32 v34, 16, v34
	v_sub_f32_e32 v34, v34, v35
	v_mul_f32_e32 v34, v52, v34
	v_lshrrev_b32_e32 v45, 16, v34
.LBB218_86:
	s_or_b64 exec, exec, s[6:7]
	v_mov_b32_e32 v41, 0
	v_mov_b32_e32 v47, 0
	s_and_saveexec_b64 s[6:7], s[4:5]
	s_cbranch_execz .LBB218_88
; %bb.87:
	v_mov_b32_e32 v47, 0
	v_lshl_add_u64 v[34:35], v[38:39], 0, v[46:47]
	global_load_ushort v34, v[34:35], off offset:64
	s_waitcnt vmcnt(0)
	v_lshlrev_b32_e32 v34, 16, v34
	v_sub_f32_e32 v34, v34, v36
	v_mul_f32_e32 v34, v62, v34
	v_lshrrev_b32_e32 v47, 16, v34
.LBB218_88:
	s_or_b64 exec, exec, s[6:7]
	s_and_saveexec_b64 s[6:7], vcc
	s_cbranch_execz .LBB218_90
; %bb.89:
	v_mov_b32_e32 v41, 0
	v_lshl_add_u64 v[34:35], v[38:39], 0, v[40:41]
	global_load_ushort v34, v[34:35], off offset:64
	s_waitcnt vmcnt(0)
	v_lshlrev_b32_e32 v34, 16, v34
	v_sub_f32_e32 v34, v34, v37
	v_mul_f32_e32 v34, v49, v34
	v_lshrrev_b32_e32 v41, 16, v34
.LBB218_90:
	s_or_b64 exec, exec, s[6:7]
	s_mov_b32 s6, 0x5040100
	v_accvgpr_read_b32 v37, a3
	v_perm_b32 v65, v41, v47, s6
	v_or_b32_e32 v41, v63, v54
	v_accvgpr_read_b32 v36, a2
	v_accvgpr_read_b32 v35, a1
	;; [unrolled: 1-line block ×3, first 2 shown]
	v_perm_b32 v64, v45, v43, s6
	v_lshlrev_b32_e32 v41, 1, v41
	v_mov_b32_e32 v45, 0
	v_mov_b32_e32 v43, 0
	ds_write_b64 v41, v[64:65] offset:24576
	s_and_saveexec_b64 s[6:7], s[0:1]
	s_cbranch_execz .LBB218_92
; %bb.91:
	v_mov_b32_e32 v43, 0
	v_lshl_add_u64 v[42:43], v[38:39], 0, v[42:43]
	global_load_ushort v41, v[42:43], off offset:96
	s_waitcnt vmcnt(0)
	v_lshlrev_b32_e32 v41, 16, v41
	v_sub_f32_e32 v34, v41, v34
	v_mul_f32_e32 v34, v53, v34
	v_lshrrev_b32_e32 v43, 16, v34
.LBB218_92:
	s_or_b64 exec, exec, s[6:7]
	s_and_saveexec_b64 s[0:1], s[2:3]
	s_cbranch_execz .LBB218_94
; %bb.93:
	v_mov_b32_e32 v45, 0
	v_lshl_add_u64 v[44:45], v[38:39], 0, v[44:45]
	global_load_ushort v34, v[44:45], off offset:96
	s_waitcnt vmcnt(0)
	v_lshlrev_b32_e32 v34, 16, v34
	v_sub_f32_e32 v34, v34, v35
	v_mul_f32_e32 v34, v52, v34
	v_lshrrev_b32_e32 v45, 16, v34
.LBB218_94:
	s_or_b64 exec, exec, s[0:1]
	v_mov_b32_e32 v41, 0
	v_mov_b32_e32 v44, 0
	s_and_saveexec_b64 s[0:1], s[4:5]
	s_cbranch_execz .LBB218_96
; %bb.95:
	v_mov_b32_e32 v47, 0
	v_lshl_add_u64 v[34:35], v[38:39], 0, v[46:47]
	global_load_ushort v34, v[34:35], off offset:96
	s_waitcnt vmcnt(0)
	v_lshlrev_b32_e32 v34, 16, v34
	v_sub_f32_e32 v34, v34, v36
	v_mul_f32_e32 v34, v62, v34
	v_lshrrev_b32_e32 v44, 16, v34
.LBB218_96:
	s_or_b64 exec, exec, s[0:1]
	v_or_b32_e32 v34, 0x6000, v58
	v_or_b32_e32 v35, 0x6000, v59
	;; [unrolled: 1-line block ×4, first 2 shown]
	s_and_saveexec_b64 s[0:1], vcc
	s_cbranch_execz .LBB218_98
; %bb.97:
	v_mov_b32_e32 v41, 0
	v_lshl_add_u64 v[38:39], v[38:39], 0, v[40:41]
	global_load_ushort v38, v[38:39], off offset:96
	s_waitcnt vmcnt(0)
	v_lshlrev_b32_e32 v38, 16, v38
	v_sub_f32_e32 v37, v38, v37
	v_mul_f32_e32 v37, v49, v37
	v_lshrrev_b32_e32 v41, 16, v37
.LBB218_98:
	s_or_b64 exec, exec, s[0:1]
	s_mov_b32 s0, 0x5040100
	v_or_b32_e32 v37, v63, v51
	v_perm_b32 v39, v41, v44, s0
	v_perm_b32 v38, v45, v43, s0
	v_lshlrev_b32_e32 v37, 1, v37
	ds_write_b64 v37, v[38:39] offset:24576
	v_and_b32_e32 v37, 7, v0
	v_lshlrev_b32_e32 v49, 3, v37
	v_lshlrev_b32_e32 v79, 7, v37
	v_lshrrev_b32_e32 v37, 1, v0
	s_add_i32 s0, s14, s49
	v_and_b32_e32 v37, 24, v37
	v_lshlrev_b32_e32 v51, 3, v1
	s_mul_hi_i32 s3, s0, s13
	s_mul_i32 s0, s0, s13
	v_and_b32_e32 v43, 8, v0
	s_movk_i32 s4, 0x100
	v_xor_b32_e32 v76, v51, v37
	s_add_u32 s2, s0, s33
	v_cmp_eq_u32_e32 vcc, 0, v43
	v_cmp_gt_u32_e64 s[0:1], s4, v0
	v_or_b32_e32 v0, 0x440, v76
	v_mov_b32_e32 v44, 0x400
	v_cndmask_b32_e32 v0, v0, v76, vcc
	v_cndmask_b32_e64 v43, v44, 64, vcc
	v_mov_b32_e32 v44, 0xa000
	v_mov_b32_e32 v45, 0x8000
	v_or_b32_e32 v0, v0, v56
	v_cndmask_b32_e64 v57, v44, v45, s[0:1]
	v_xor_b32_e32 v92, v0, v49
	v_add3_u32 v0, v57, v92, v79
	s_waitcnt lgkmcnt(0)
	s_barrier
	ds_read_b64 v[58:59], v0
	v_or_b32_e32 v0, 32, v37
	v_xor_b32_e32 v0, v51, v0
	v_or_b32_e32 v44, 0x440, v0
	v_cndmask_b32_e32 v0, v44, v0, vcc
	v_or_b32_e32 v0, v0, v56
	s_addc_u32 s3, s3, s48
	v_xor_b32_e32 v93, v0, v49
	s_lshl_b64 s[0:1], s[2:3], 9
	v_add3_u32 v0, v57, v93, v79
	s_add_u32 s0, s16, s0
	ds_read_b64 v[74:75], v0
	s_addc_u32 s1, s17, s1
	v_lshlrev_b32_e32 v0, 2, v48
	global_load_dwordx4 v[52:55], v0, s[0:1]
	v_or_b32_e32 v37, 0x60, v37
	v_xor_b32_e32 v37, v51, v37
	v_xor_b32_e32 v48, 0x440, v37
	v_cndmask_b32_e32 v37, v48, v37, vcc
	v_or_b32_e32 v37, v37, v56
	v_xor_b32_e32 v95, v37, v49
	v_lshlrev_b32_e32 v1, 6, v1
	v_lshlrev_b32_e32 v37, 2, v50
	v_or3_b32 v43, v56, v43, v76
	v_or3_b32 v1, v1, v37, s4
	v_xor_b32_e32 v43, v43, v49
	global_load_dwordx4 v[48:51], v1, s[0:1]
	ds_read2_b64 v[38:41], v34 offset1:16
	ds_read2_b64 v[44:47], v34 offset0:32 offset1:48
	s_waitcnt lgkmcnt(1)
	v_mfma_f32_16x16x16_bf16 a[0:3], v[58:59], v[38:39], 0
	ds_read2st64_b64 v[62:65], v35 offset0:4 offset1:8
	ds_read2st64_b64 v[66:69], v36 offset0:4 offset1:8
	;; [unrolled: 1-line block ×3, first 2 shown]
	v_mfma_f32_16x16x16_bf16 a[4:7], v[58:59], v[40:41], 0
	v_or_b32_e32 v94, v43, v79
	v_or_b32_e32 v43, v57, v94
	v_add3_u32 v1, v57, v95, v79
	s_waitcnt lgkmcnt(3)
	v_mfma_f32_16x16x16_bf16 a[8:11], v[58:59], v[44:45], 0
	ds_read_b64 v[56:57], v1
	v_mov_b32_e32 v0, 0x3fb8aa3b
	v_mul_f32_e32 v0, s12, v0
	v_mfma_f32_16x16x16_bf16 a[12:15], v[58:59], v[46:47], 0
	ds_read2st64_b64 v[58:61], v34 offset0:4 offset1:8
	v_exp_f32_e32 v0, v0
	s_waitcnt vmcnt(1)
	v_mul_f32_e32 v1, 0x3fb8aa3b, v52
	s_waitcnt lgkmcnt(0)
	v_mfma_f32_16x16x16_bf16 a[0:3], v[74:75], v[58:59], a[0:3]
	v_mfma_f32_16x16x16_bf16 a[4:7], v[74:75], v[62:63], a[4:7]
	v_mfma_f32_16x16x16_bf16 a[8:11], v[74:75], v[66:67], a[8:11]
	v_mfma_f32_16x16x16_bf16 a[12:15], v[74:75], v[70:71], a[12:15]
	ds_read_b64 v[74:75], v43
	ds_read_b64 v[76:77], v34 offset:6144
	ds_read_b64 v[88:89], v35 offset:6144
	;; [unrolled: 1-line block ×4, first 2 shown]
	v_exp_f32_e32 v34, v1
	v_mul_f32_e32 v1, 0x3fb8aa3b, v53
	v_exp_f32_e32 v35, v1
	v_mul_f32_e32 v1, 0x3fb8aa3b, v54
	;; [unrolled: 2-line block ×3, first 2 shown]
	v_exp_f32_e32 v37, v1
	s_waitcnt lgkmcnt(4)
	v_mfma_f32_16x16x16_bf16 a[0:3], v[74:75], v[60:61], a[0:3]
	v_pk_mul_f32 v[34:35], v[0:1], v[34:35] op_sel_hi:[0,1]
	v_pk_mul_f32 v[22:23], v[22:23], v[34:35]
	v_pk_mul_f32 v[36:37], v[0:1], v[36:37] op_sel_hi:[0,1]
	v_add_u32_e32 v1, v92, v79
	ds_read_b64 v[52:53], v1 offset:40960
	v_mfma_f32_16x16x16_bf16 a[12:15], v[74:75], v[72:73], a[12:15]
	v_add_u32_e32 v1, v93, v79
	v_pk_mul_f32 v[24:25], v[24:25], v[36:37]
	v_pk_mul_f32 v[26:27], v[34:35], v[26:27]
	v_mfma_f32_16x16x16_bf16 a[4:7], v[74:75], v[64:65], a[4:7]
	v_pk_mul_f32 v[28:29], v[36:37], v[28:29]
	v_pk_mul_f32 v[30:31], v[34:35], v[30:31]
	;; [unrolled: 1-line block ×3, first 2 shown]
	v_mfma_f32_16x16x16_bf16 a[8:11], v[74:75], v[68:69], a[8:11]
	v_add_u32_e32 v74, v95, v79
	s_waitcnt lgkmcnt(4)
	v_mfma_f32_16x16x16_bf16 a[0:3], v[56:57], v[76:77], a[0:3]
	s_waitcnt lgkmcnt(1)
	v_mfma_f32_16x16x16_bf16 a[12:15], v[56:57], v[42:43], a[12:15]
	v_mfma_f32_16x16x16_bf16 a[4:7], v[56:57], v[88:89], a[4:7]
	;; [unrolled: 1-line block ×3, first 2 shown]
	ds_read_b64 v[56:57], v1 offset:40960
	ds_read_b64 v[74:75], v74 offset:40960
	s_nop 0
	v_accvgpr_read_b32 v1, a0
	v_add_f32_e32 v22, v22, v1
	v_accvgpr_read_b32 v1, a1
	v_accvgpr_read_b32 v55, a15
	;; [unrolled: 1-line block ×3, first 2 shown]
	s_waitcnt lgkmcnt(2)
	v_mfma_f32_16x16x16_bf16 a[14:17], v[52:53], v[38:39], 0
	v_add_f32_e32 v23, v23, v1
	v_accvgpr_read_b32 v1, a2
	ds_read_b64 v[38:39], v94 offset:40960
	v_add_f32_e32 v24, v24, v1
	v_accvgpr_read_b32 v1, a3
	v_add_f32_e32 v25, v25, v1
	v_accvgpr_read_b32 v1, a4
	;; [unrolled: 2-line block ×4, first 2 shown]
	v_mfma_f32_16x16x16_bf16 a[18:21], v[52:53], v[40:41], 0
	v_add_f32_e32 v28, v28, v1
	v_accvgpr_read_b32 v1, a7
	v_add_f32_e32 v29, v29, v1
	s_waitcnt lgkmcnt(2)
	v_mfma_f32_16x16x16_bf16 a[14:17], v[56:57], v[58:59], a[14:17]
	v_accvgpr_read_b32 v1, a8
	v_add_f32_e32 v30, v30, v1
	v_accvgpr_read_b32 v1, a9
	v_add_f32_e32 v31, v31, v1
	v_accvgpr_read_b32 v1, a10
	v_accvgpr_read_b32 v41, a13
	v_mfma_f32_16x16x16_bf16 a[22:25], v[52:53], v[44:45], 0
	v_add_f32_e32 v32, v32, v1
	v_accvgpr_read_b32 v1, a11
	v_accvgpr_read_b32 v40, a12
	v_mfma_f32_16x16x16_bf16 a[0:3], v[52:53], v[46:47], 0
	v_add_f32_e32 v33, v33, v1
	v_pk_fma_f32 v[6:7], v[34:35], v[6:7], v[40:41]
	v_pk_fma_f32 v[8:9], v[36:37], v[8:9], v[54:55]
	v_mfma_f32_16x16x16_bf16 a[4:7], v[56:57], v[62:63], a[18:21]
	s_waitcnt vmcnt(0)
	v_mov_b32_e32 v34, v49
	v_mul_f32_e32 v1, 0x3fb8aa3b, v48
	v_mov_b32_e32 v35, v50
	s_waitcnt lgkmcnt(0)
	v_mfma_f32_16x16x16_bf16 a[8:11], v[38:39], v[60:61], a[14:17]
	v_exp_f32_e32 v40, v1
	v_mul_f32_e32 v1, 0x3fb8aa3b, v34
	v_mov_b32_e32 v36, v51
	v_exp_f32_e32 v41, v1
	v_mul_f32_e32 v1, 0x3fb8aa3b, v35
	v_mfma_f32_16x16x16_bf16 a[18:21], v[56:57], v[66:67], a[22:25]
	v_exp_f32_e32 v34, v1
	v_mul_f32_e32 v1, 0x3fb8aa3b, v36
	v_exp_f32_e32 v35, v1
	v_mfma_f32_16x16x16_bf16 a[0:3], v[56:57], v[70:71], a[0:3]
	v_pk_mul_f32 v[36:37], v[0:1], v[40:41] op_sel_hi:[0,1]
	v_pk_mul_f32 v[10:11], v[10:11], v[36:37]
	v_pk_mul_f32 v[0:1], v[0:1], v[34:35] op_sel_hi:[0,1]
	v_mfma_f32_16x16x16_bf16 a[4:7], v[38:39], v[64:65], a[4:7]
	v_pk_mul_f32 v[12:13], v[12:13], v[0:1]
	v_pk_mul_f32 v[14:15], v[36:37], v[14:15]
	;; [unrolled: 1-line block ×3, first 2 shown]
	v_mfma_f32_16x16x16_bf16 a[8:11], v[74:75], v[76:77], a[8:11]
	v_pk_mul_f32 v[18:19], v[36:37], v[18:19]
	v_pk_mul_f32 v[20:21], v[0:1], v[20:21]
	v_mfma_f32_16x16x16_bf16 a[12:15], v[38:39], v[68:69], a[18:21]
	v_mfma_f32_16x16x16_bf16 a[0:3], v[38:39], v[72:73], a[0:3]
	s_nop 2
	v_accvgpr_read_b32 v38, a8
	v_add_f32_e32 v10, v10, v38
	v_accvgpr_read_b32 v38, a9
	v_mfma_f32_16x16x16_bf16 a[4:7], v[74:75], v[88:89], a[4:7]
	v_add_f32_e32 v11, v11, v38
	v_accvgpr_read_b32 v38, a10
	v_add_f32_e32 v12, v12, v38
	v_accvgpr_read_b32 v38, a11
	v_mfma_f32_16x16x16_bf16 a[12:15], v[74:75], v[90:91], a[12:15]
	v_add_f32_e32 v13, v13, v38
	s_nop 0
	v_accvgpr_read_b32 v38, a4
	v_add_f32_e32 v14, v14, v38
	v_accvgpr_read_b32 v38, a5
	v_add_f32_e32 v15, v15, v38
	;; [unrolled: 2-line block ×3, first 2 shown]
	v_accvgpr_read_b32 v38, a7
	v_mfma_f32_16x16x16_bf16 a[0:3], v[74:75], v[42:43], a[0:3]
	v_add_f32_e32 v17, v17, v38
	v_accvgpr_read_b32 v38, a12
	v_add_f32_e32 v18, v18, v38
	v_accvgpr_read_b32 v38, a13
	;; [unrolled: 2-line block ×5, first 2 shown]
	v_accvgpr_read_b32 v35, a3
	v_accvgpr_read_b32 v34, a2
	;; [unrolled: 1-line block ×3, first 2 shown]
	v_pk_fma_f32 v[2:3], v[36:37], v[2:3], v[38:39]
	v_pk_fma_f32 v[4:5], v[0:1], v[4:5], v[34:35]
.LBB218_99:
	s_add_u32 s0, s18, s28
	s_addc_u32 s1, s19, s29
	v_lshl_add_u64 v[0:1], v[80:81], 2, s[0:1]
	v_mov_b32_e32 v79, 0
	v_lshl_add_u64 v[0:1], v[0:1], 0, v[78:79]
	s_waitcnt vmcnt(7)
	global_store_dwordx4 v[0:1], v[22:25], off
	s_waitcnt vmcnt(7)
	global_store_dwordx4 v[0:1], v[10:13], off offset:256
	v_lshl_add_u64 v[0:1], v[82:83], 2, s[0:1]
	v_lshl_add_u64 v[0:1], v[0:1], 0, v[78:79]
	s_waitcnt vmcnt(7)
	global_store_dwordx4 v[0:1], v[26:29], off
	s_waitcnt vmcnt(7)
	global_store_dwordx4 v[0:1], v[14:17], off offset:256
	v_lshl_add_u64 v[0:1], v[86:87], 2, s[0:1]
	;; [unrolled: 6-line block ×3, first 2 shown]
	v_lshl_add_u64 v[0:1], v[0:1], 0, v[78:79]
	s_waitcnt vmcnt(7)
	global_store_dwordx4 v[0:1], v[6:9], off
	s_waitcnt vmcnt(7)
	global_store_dwordx4 v[0:1], v[2:5], off offset:256
	s_endpgm
	.section	.rodata,"a",@progbits
	.p2align	6, 0x0
	.amdhsa_kernel _ZN12_GLOBAL__N_139chunk_gated_delta_rule_fwd_h_hip_kernelILi64ELb1ELb1ELb0ELb0ELb0ELb1ELb0ELb0EEEvPK12hip_bfloat16S3_S3_PKfS5_PKvPS1_S8_PvPKiSB_iiiiilll
		.amdhsa_group_segment_fixed_size 65536
		.amdhsa_private_segment_fixed_size 0
		.amdhsa_kernarg_size 136
		.amdhsa_user_sgpr_count 2
		.amdhsa_user_sgpr_dispatch_ptr 0
		.amdhsa_user_sgpr_queue_ptr 0
		.amdhsa_user_sgpr_kernarg_segment_ptr 1
		.amdhsa_user_sgpr_dispatch_id 0
		.amdhsa_user_sgpr_kernarg_preload_length 0
		.amdhsa_user_sgpr_kernarg_preload_offset 0
		.amdhsa_user_sgpr_private_segment_size 0
		.amdhsa_uses_dynamic_stack 0
		.amdhsa_enable_private_segment 0
		.amdhsa_system_sgpr_workgroup_id_x 1
		.amdhsa_system_sgpr_workgroup_id_y 1
		.amdhsa_system_sgpr_workgroup_id_z 0
		.amdhsa_system_sgpr_workgroup_info 0
		.amdhsa_system_vgpr_workitem_id 0
		.amdhsa_next_free_vgpr 240
		.amdhsa_next_free_sgpr 73
		.amdhsa_accum_offset 200
		.amdhsa_reserve_vcc 1
		.amdhsa_float_round_mode_32 0
		.amdhsa_float_round_mode_16_64 0
		.amdhsa_float_denorm_mode_32 3
		.amdhsa_float_denorm_mode_16_64 3
		.amdhsa_dx10_clamp 1
		.amdhsa_ieee_mode 1
		.amdhsa_fp16_overflow 0
		.amdhsa_tg_split 0
		.amdhsa_exception_fp_ieee_invalid_op 0
		.amdhsa_exception_fp_denorm_src 0
		.amdhsa_exception_fp_ieee_div_zero 0
		.amdhsa_exception_fp_ieee_overflow 0
		.amdhsa_exception_fp_ieee_underflow 0
		.amdhsa_exception_fp_ieee_inexact 0
		.amdhsa_exception_int_div_zero 0
	.end_amdhsa_kernel
	.section	.text._ZN12_GLOBAL__N_139chunk_gated_delta_rule_fwd_h_hip_kernelILi64ELb1ELb1ELb0ELb0ELb0ELb1ELb0ELb0EEEvPK12hip_bfloat16S3_S3_PKfS5_PKvPS1_S8_PvPKiSB_iiiiilll,"axG",@progbits,_ZN12_GLOBAL__N_139chunk_gated_delta_rule_fwd_h_hip_kernelILi64ELb1ELb1ELb0ELb0ELb0ELb1ELb0ELb0EEEvPK12hip_bfloat16S3_S3_PKfS5_PKvPS1_S8_PvPKiSB_iiiiilll,comdat
.Lfunc_end218:
	.size	_ZN12_GLOBAL__N_139chunk_gated_delta_rule_fwd_h_hip_kernelILi64ELb1ELb1ELb0ELb0ELb0ELb1ELb0ELb0EEEvPK12hip_bfloat16S3_S3_PKfS5_PKvPS1_S8_PvPKiSB_iiiiilll, .Lfunc_end218-_ZN12_GLOBAL__N_139chunk_gated_delta_rule_fwd_h_hip_kernelILi64ELb1ELb1ELb0ELb0ELb0ELb1ELb0ELb0EEEvPK12hip_bfloat16S3_S3_PKfS5_PKvPS1_S8_PvPKiSB_iiiiilll
                                        ; -- End function
	.section	.AMDGPU.csdata,"",@progbits
; Kernel info:
; codeLenInByte = 12668
; NumSgprs: 79
; NumVgprs: 198
; NumAgprs: 40
; TotalNumVgprs: 240
; ScratchSize: 0
; MemoryBound: 0
; FloatMode: 240
; IeeeMode: 1
; LDSByteSize: 65536 bytes/workgroup (compile time only)
; SGPRBlocks: 9
; VGPRBlocks: 29
; NumSGPRsForWavesPerEU: 79
; NumVGPRsForWavesPerEU: 240
; AccumOffset: 200
; Occupancy: 1
; WaveLimiterHint : 1
; COMPUTE_PGM_RSRC2:SCRATCH_EN: 0
; COMPUTE_PGM_RSRC2:USER_SGPR: 2
; COMPUTE_PGM_RSRC2:TRAP_HANDLER: 0
; COMPUTE_PGM_RSRC2:TGID_X_EN: 1
; COMPUTE_PGM_RSRC2:TGID_Y_EN: 1
; COMPUTE_PGM_RSRC2:TGID_Z_EN: 0
; COMPUTE_PGM_RSRC2:TIDIG_COMP_CNT: 0
; COMPUTE_PGM_RSRC3_GFX90A:ACCUM_OFFSET: 49
; COMPUTE_PGM_RSRC3_GFX90A:TG_SPLIT: 0
	.section	.text._ZN12_GLOBAL__N_139chunk_gated_delta_rule_fwd_h_hip_kernelILi64ELb1ELb0ELb1ELb0ELb0ELb1ELb0ELb0EEEvPK12hip_bfloat16S3_S3_PKfS5_PKvPS1_S8_PvPKiSB_iiiiilll,"axG",@progbits,_ZN12_GLOBAL__N_139chunk_gated_delta_rule_fwd_h_hip_kernelILi64ELb1ELb0ELb1ELb0ELb0ELb1ELb0ELb0EEEvPK12hip_bfloat16S3_S3_PKfS5_PKvPS1_S8_PvPKiSB_iiiiilll,comdat
	.globl	_ZN12_GLOBAL__N_139chunk_gated_delta_rule_fwd_h_hip_kernelILi64ELb1ELb0ELb1ELb0ELb0ELb1ELb0ELb0EEEvPK12hip_bfloat16S3_S3_PKfS5_PKvPS1_S8_PvPKiSB_iiiiilll ; -- Begin function _ZN12_GLOBAL__N_139chunk_gated_delta_rule_fwd_h_hip_kernelILi64ELb1ELb0ELb1ELb0ELb0ELb1ELb0ELb0EEEvPK12hip_bfloat16S3_S3_PKfS5_PKvPS1_S8_PvPKiSB_iiiiilll
	.p2align	8
	.type	_ZN12_GLOBAL__N_139chunk_gated_delta_rule_fwd_h_hip_kernelILi64ELb1ELb0ELb1ELb0ELb0ELb1ELb0ELb0EEEvPK12hip_bfloat16S3_S3_PKfS5_PKvPS1_S8_PvPKiSB_iiiiilll,@function
_ZN12_GLOBAL__N_139chunk_gated_delta_rule_fwd_h_hip_kernelILi64ELb1ELb0ELb1ELb0ELb0ELb1ELb0ELb0EEEvPK12hip_bfloat16S3_S3_PKfS5_PKvPS1_S8_PvPKiSB_iiiiilll: ; @_ZN12_GLOBAL__N_139chunk_gated_delta_rule_fwd_h_hip_kernelILi64ELb1ELb0ELb1ELb0ELb0ELb1ELb0ELb0EEEvPK12hip_bfloat16S3_S3_PKfS5_PKvPS1_S8_PvPKiSB_iiiiilll
; %bb.0:
	s_load_dwordx4 s[12:15], s[0:1], 0x5c
	s_load_dwordx4 s[20:23], s[0:1], 0x70
	s_abs_i32 s6, s3
	s_ashr_i32 s5, s3, 31
	s_load_dwordx4 s[16:19], s[0:1], 0x28
	s_load_dwordx2 s[28:29], s[0:1], 0x38
	s_waitcnt lgkmcnt(0)
	s_abs_i32 s4, s13
	v_cvt_f32_u32_e32 v1, s4
	s_sub_i32 s8, 0, s4
	s_ashr_i32 s7, s13, 31
	s_xor_b32 s5, s5, s7
	v_rcp_iflag_f32_e32 v1, v1
	v_and_b32_e32 v90, 15, v0
	v_lshrrev_b32_e32 v88, 6, v0
	v_bfe_u32 v89, v0, 4, 2
	v_mul_f32_e32 v1, 0x4f7ffffe, v1
	v_cvt_u32_f32_e32 v1, v1
	v_mov_b32_e32 v11, 0
	v_and_b32_e32 v77, 63, v0
	v_lshrrev_b32_e32 v92, 3, v77
	v_readfirstlane_b32 s9, v1
	s_mul_i32 s8, s8, s9
	s_mul_hi_u32 s8, s9, s8
	s_add_i32 s9, s9, s8
	s_mul_hi_u32 s8, s6, s9
	s_mul_i32 s9, s8, s4
	s_sub_i32 s6, s6, s9
	s_add_i32 s10, s8, 1
	s_sub_i32 s9, s6, s4
	s_cmp_ge_u32 s6, s4
	s_cselect_b32 s8, s10, s8
	s_cselect_b32 s6, s9, s6
	s_add_i32 s9, s8, 1
	s_cmp_ge_u32 s6, s4
	s_cselect_b32 s6, s9, s8
	s_xor_b32 s6, s6, s5
	s_add_i32 s8, s12, 63
	s_sub_i32 s53, s6, s5
	s_ashr_i32 s9, s8, 31
	s_mul_i32 s5, s53, s13
	s_sub_i32 s50, s3, s5
	s_lshr_b32 s3, s9, 26
	s_add_i32 s8, s8, s3
	s_abs_i32 s3, s14
	v_cvt_f32_u32_e32 v1, s3
	s_ashr_i32 s52, s12, 31
	s_lshr_b32 s6, s52, 26
	s_add_i32 s6, s12, s6
	v_rcp_iflag_f32_e32 v1, v1
	s_ashr_i32 s55, s14, 31
	s_ashr_i32 s54, s6, 6
	s_lshl_b32 s38, s2, 6
	v_mul_f32_e32 v1, 0x4f7ffffe, v1
	v_cvt_u32_f32_e32 v1, v1
	s_xor_b32 s2, s7, s55
	s_sub_i32 s6, 0, s3
	s_ashr_i32 s25, s8, 6
	v_readfirstlane_b32 s7, v1
	s_mul_i32 s6, s6, s7
	s_mul_hi_u32 s6, s7, s6
	s_add_i32 s7, s7, s6
	s_mul_hi_u32 s6, s4, s7
	s_mul_i32 s7, s6, s3
	s_sub_i32 s4, s4, s7
	s_add_i32 s7, s6, 1
	s_sub_i32 s8, s4, s3
	s_cmp_ge_u32 s4, s3
	s_cselect_b32 s6, s7, s6
	s_cselect_b32 s4, s8, s4
	s_add_i32 s7, s6, 1
	s_cmp_ge_u32 s4, s3
	s_cselect_b32 s3, s7, s6
	s_xor_b32 s3, s3, s2
	s_sub_i32 s2, s3, s2
	s_abs_i32 s3, s2
	v_cvt_f32_u32_e32 v1, s3
	s_sub_i32 s6, 0, s3
	s_abs_i32 s4, s50
	s_xor_b32 s2, s50, s2
	v_rcp_iflag_f32_e32 v1, v1
	s_ashr_i32 s2, s2, 31
	v_or_b32_e32 v78, s38, v90
	v_lshlrev_b32_e32 v2, 7, v78
	v_mul_f32_e32 v1, 0x4f7ffffe, v1
	v_cvt_u32_f32_e32 v1, v1
	v_ashrrev_i32_e32 v3, 31, v2
	s_mul_i32 s57, s53, s25
	v_lshlrev_b32_e32 v91, 3, v0
	v_readfirstlane_b32 s7, v1
	s_mul_i32 s6, s6, s7
	s_mul_hi_u32 s6, s7, s6
	s_add_i32 s7, s7, s6
	s_mul_hi_u32 s6, s4, s7
	s_mul_i32 s7, s6, s3
	s_sub_i32 s4, s4, s7
	s_add_i32 s7, s6, 1
	s_sub_i32 s8, s4, s3
	s_cmp_ge_u32 s4, s3
	s_cselect_b32 s6, s7, s6
	s_cselect_b32 s4, s8, s4
	s_add_i32 s7, s6, 1
	s_cmp_ge_u32 s4, s3
	s_cselect_b32 s3, s7, s6
	s_xor_b32 s3, s3, s2
	s_sub_i32 s56, s3, s2
	s_ashr_i32 s24, s53, 31
	s_ashr_i32 s51, s50, 31
	s_mul_hi_i32 s2, s53, s13
	s_add_u32 s40, s5, s50
	s_addc_u32 s41, s2, s51
	s_lshl_b64 s[2:3], s[40:41], 16
	v_lshlrev_b32_e32 v1, 4, v88
	s_add_u32 s2, s16, s2
	v_lshl_or_b32 v93, v89, 2, v1
	s_addc_u32 s3, s17, s3
	v_lshl_add_u64 v[4:5], v[2:3], 2, s[2:3]
	v_lshlrev_b32_e32 v10, 2, v93
	v_lshl_add_u64 v[4:5], v[4:5], 0, v[10:11]
	global_load_dwordx4 v[22:25], v[4:5], off
	global_load_dwordx4 v[30:33], v[4:5], off offset:256
	v_or_b32_e32 v4, 0x800, v2
	v_ashrrev_i32_e32 v5, 31, v4
	v_lshl_add_u64 v[4:5], v[4:5], 2, s[2:3]
	v_lshl_add_u64 v[4:5], v[4:5], 0, v[10:11]
	global_load_dwordx4 v[14:17], v[4:5], off
	global_load_dwordx4 v[26:29], v[4:5], off offset:256
	v_or_b32_e32 v4, 0x1000, v2
	v_or_b32_e32 v2, 0x1800, v2
	v_ashrrev_i32_e32 v5, 31, v4
	v_ashrrev_i32_e32 v3, 31, v2
	v_lshl_add_u64 v[4:5], v[4:5], 2, s[2:3]
	v_lshl_add_u64 v[2:3], v[2:3], 2, s[2:3]
	;; [unrolled: 1-line block ×4, first 2 shown]
	global_load_dwordx4 v[6:9], v[4:5], off
	global_load_dwordx4 v[18:21], v[4:5], off offset:256
	s_nop 0
	global_load_dwordx4 v[2:5], v[34:35], off
	global_load_dwordx4 v[10:13], v[34:35], off offset:256
	s_load_dwordx8 s[4:11], s[0:1], 0x0
	s_load_dwordx2 s[30:31], s[0:1], 0x80
	v_or_b32_e32 v94, 64, v93
	s_cmp_lt_i32 s12, 64
	s_mul_i32 s58, s41, s12
	s_mul_hi_u32 s59, s40, s12
	s_mul_i32 s16, s40, s12
	s_mul_i32 s33, s53, s21
	s_mul_hi_u32 s46, s53, s20
	s_mul_i32 s41, s24, s20
	s_mul_i32 s36, s53, s20
	;; [unrolled: 1-line block ×3, first 2 shown]
	s_mul_hi_u32 s48, s50, s22
	s_mul_i32 s49, s51, s22
	s_mul_i32 s34, s50, s22
	s_cbranch_scc1 .LBB219_18
; %bb.1:
	s_add_i32 s17, s59, s58
	s_lshl_b64 s[2:3], s[16:17], 8
	v_and_b32_e32 v96, 56, v91
	s_waitcnt lgkmcnt(0)
	s_add_u32 s20, s6, s2
	v_lshl_or_b32 v95, v88, 3, v92
	v_lshlrev_b32_e32 v34, 1, v96
	s_addc_u32 s2, s7, s3
	v_lshl_or_b32 v97, v95, 8, v34
	s_and_b32 s21, s2, 0xffff
	s_mov_b32 s23, 0x20000
	s_movk_i32 s22, 0x4000
	s_movk_i32 s2, 0x80
	v_or_b32_e32 v98, 0x2000, v97
	buffer_load_dwordx4 v[36:39], v97, s[20:23], 0 offen
	buffer_load_dwordx4 v[40:43], v97, s[20:23], s2 offen
	;; [unrolled: 1-line block ×4, first 2 shown]
	v_lshlrev_b32_e32 v35, 3, v95
	v_and_or_b32 v53, v0, 7, v35
	v_and_b32_e32 v35, 0x78, v35
	v_lshlrev_b32_e32 v53, 4, v53
	v_xor_b32_e32 v99, v53, v35
	v_mul_lo_u32 v52, v95, s15
	v_or_b32_e32 v100, 0x1000, v99
	v_xor_b32_e32 v35, 8, v99
	s_cmpk_eq_i32 s15, 0x80
	s_mov_b32 s60, s14
	v_xor_b32_e32 v53, 8, v100
	s_cselect_b64 s[2:3], -1, 0
	s_cmpk_lg_i32 s15, 0x80
	s_waitcnt vmcnt(3)
	ds_write_b64 v99, v[36:37] offset:49152
	ds_write_b64 v35, v[38:39] offset:49152
	s_waitcnt vmcnt(2)
	ds_write_b64 v99, v[40:41] offset:57344
	ds_write_b64 v35, v[42:43] offset:57344
	;; [unrolled: 3-line block ×4, first 2 shown]
	v_lshl_add_u32 v35, v52, 1, v96
	s_cbranch_scc0 .LBB219_3
; %bb.2:
	v_lshlrev_b32_e32 v37, 1, v35
	v_add_lshl_u32 v36, v35, s15, 1
	s_lshl_b32 s22, s15, 7
	s_load_dwordx2 s[42:43], s[0:1], 0x20
	v_lshl_or_b32 v34, v95, 9, v34
	s_cbranch_execz .LBB219_4
	s_branch .LBB219_5
.LBB219_3:
                                        ; implicit-def: $vgpr36
                                        ; implicit-def: $vgpr37
                                        ; implicit-def: $sgpr22
	s_load_dwordx2 s[42:43], s[0:1], 0x20
	v_lshl_or_b32 v34, v95, 9, v34
.LBB219_4:
	v_or_b32_e32 v36, 0x100, v34
	s_movk_i32 s22, 0x4000
	v_mov_b32_e32 v37, v34
.LBB219_5:
	s_mul_hi_u32 s0, s14, s12
	s_mul_i32 s1, s55, s12
	s_add_i32 s0, s0, s1
	s_mul_i32 s1, s14, s12
	s_mul_i32 s20, s1, s24
	s_mul_hi_u32 s21, s1, s53
	s_add_i32 s20, s21, s20
	s_mul_i32 s0, s0, s53
	s_add_i32 s20, s20, s0
	s_mul_i32 s1, s1, s53
	s_ashr_i32 s61, s56, 31
	s_add_u32 s0, s1, s56
	s_addc_u32 s1, s20, s61
	s_lshl_b64 s[0:1], s[0:1], 8
	s_add_u32 s20, s4, s0
	s_addc_u32 s0, s5, s1
	s_and_b32 s21, s0, 0xffff
	s_movk_i32 s62, 0x80
	buffer_load_dwordx4 v[38:41], v37, s[20:23], 0 offen
	buffer_load_dwordx4 v[42:45], v37, s[20:23], s62 offen
	;; [unrolled: 1-line block ×4, first 2 shown]
	v_and_b32_e32 v37, 6, v0
	v_lshlrev_b32_e32 v36, 7, v93
	v_xor_b32_e32 v58, v95, v37
	v_and_b32_e32 v54, 1, v0
	v_lshl_or_b32 v61, v90, 3, v36
	v_lshlrev_b32_e32 v58, 2, v58
	v_or_b32_e32 v101, 0x4000, v61
	v_or_b32_e32 v102, 0x6000, v61
	v_xor_b32_e32 v61, 0x440, v58
	v_cmp_eq_u32_e32 vcc, 0, v54
	v_lshlrev_b32_e32 v55, 2, v90
	s_mov_b32 s65, 0x1000504
	v_cndmask_b32_e32 v54, v61, v58, vcc
	v_xor_b32_e32 v59, v93, v55
	v_xor_b32_e32 v60, v94, v55
	v_lshl_or_b32 v37, v37, 10, v54
	s_mov_b32 s66, 0x3020706
	v_lshlrev_b32_e32 v56, 8, v90
	v_or_b32_e32 v57, 16, v90
	v_lshlrev_b32_e32 v59, 1, v59
	v_lshlrev_b32_e32 v60, 1, v60
	v_xor_b32_e32 v54, 8, v37
	v_xor_b32_e32 v58, 24, v37
	;; [unrolled: 1-line block ×4, first 2 shown]
	s_mul_i32 s24, s24, s12
	s_mul_hi_u32 s0, s53, s12
	v_or_b32_e32 v104, v56, v59
	v_or_b32_e32 v105, v56, v60
	v_xor_b32_e32 v56, 16, v37
	v_xor_b32_e32 v61, 32, v37
	;; [unrolled: 1-line block ×3, first 2 shown]
	v_add_u32_e32 v54, 0x80, v54
	v_add_u32_e32 v58, 0x80, v58
	;; [unrolled: 1-line block ×4, first 2 shown]
	s_add_i32 s67, s0, s24
	s_add_i32 s0, s46, s33
	;; [unrolled: 1-line block ×5, first 2 shown]
	s_lshl_b64 s[0:1], s[36:37], 2
	s_add_u32 s20, s10, s0
	s_addc_u32 s21, s11, s1
	s_lshl_b64 s[0:1], s[34:35], 2
	s_add_u32 s44, s20, s0
	s_movk_i32 s0, 0xf8
	s_addc_u32 s45, s21, s1
	s_ashr_i32 s39, s38, 31
	s_lshl_b32 s26, s15, 7
	v_mov_b32_e32 v81, 0
	s_movk_i32 s20, 0x100
	v_lshlrev_b32_e32 v80, 4, v90
	v_ashrrev_i32_e32 v79, 31, v78
	s_mul_i32 s63, s53, s12
	v_lshl_or_b32 v62, v57, 3, v36
	s_mov_b32 s64, 0
	v_or_b32_e32 v103, 0x4000, v62
	s_movk_i32 s22, 0x4000
	v_or_b32_e32 v106, 0x6000, v62
	s_mov_b32 s37, 0x7060302
	s_movk_i32 s68, 0x3000
	v_mov_b32_e32 v146, 0x3fb8aa3b
	s_mov_b32 s70, 0
	s_waitcnt vmcnt(1)
	v_perm_b32 v66, v38, v46, s65
	s_waitcnt vmcnt(0)
	v_perm_b32 v67, v42, v50, s65
	v_perm_b32 v38, v38, v46, s66
	;; [unrolled: 1-line block ×15, first 2 shown]
	ds_write2st64_b32 v37, v66, v67 offset0:128 offset1:160
	ds_write2st64_b32 v54, v38, v42 offset0:128 offset1:160
	;; [unrolled: 1-line block ×8, first 2 shown]
	v_lshlrev_b32_e32 v37, 8, v57
	v_or_b32_e32 v107, v37, v59
	v_or_b32_e32 v108, v37, v60
	;; [unrolled: 1-line block ×3, first 2 shown]
	v_lshl_or_b32 v38, v37, 3, v36
	v_lshlrev_b32_e32 v37, 8, v37
	v_or_b32_e32 v111, v37, v59
	v_or_b32_e32 v112, v37, v60
	v_or_b32_e32 v37, 48, v90
	v_or_b32_e32 v109, 0x4000, v38
	v_or_b32_e32 v110, 0x6000, v38
	v_lshl_or_b32 v38, v37, 3, v36
	v_lshlrev_b32_e32 v37, 8, v37
	v_or_b32_e32 v115, v37, v59
	v_or_b32_e32 v116, v37, v60
	;; [unrolled: 1-line block ×3, first 2 shown]
	v_lshlrev_b32_e32 v37, 3, v37
	v_lshrrev_b32_e32 v39, 5, v77
	v_and_or_b32 v39, v37, s0, v39
	v_lshlrev_b32_e32 v39, 4, v39
	v_or_b32_e32 v113, 0x4000, v38
	v_or_b32_e32 v114, 0x6000, v38
	v_lshrrev_b32_e32 v38, 2, v77
	v_lshlrev_b32_e32 v41, 11, v88
	v_and_b32_e32 v37, 0x78, v37
	v_or_b32_e32 v45, 32, v39
	v_and_b32_e32 v40, 12, v38
	v_and_b32_e32 v38, 0x1000, v41
	v_xor_b32_e32 v42, v39, v37
	v_lshrrev_b32_e32 v43, 1, v77
	v_xor_b32_e32 v45, v45, v37
	v_or_b32_e32 v42, v42, v38
	v_and_b32_e32 v43, 8, v43
	v_or_b32_e32 v45, v45, v38
	v_xor_b32_e32 v117, v42, v43
	v_lshlrev_b32_e32 v42, 8, v89
	v_xor_b32_e32 v119, v45, v43
	v_or_b32_e32 v45, 64, v39
	v_or_b32_e32 v39, 0x60, v39
	;; [unrolled: 1-line block ×3, first 2 shown]
	v_xor_b32_e32 v45, v45, v37
	v_xor_b32_e32 v37, v39, v37
	s_lshl_b64 s[0:1], s[38:39], 8
	v_lshlrev_b32_e32 v44, 1, v44
	v_or_b32_e32 v45, v45, v38
	v_or_b32_e32 v37, v37, v38
	s_add_u32 s0, s18, s0
	v_lshlrev_b32_e32 v38, 1, v90
	v_lshlrev_b32_e32 v47, 2, v0
	v_or_b32_e32 v118, 0x4000, v44
	v_or_b32_e32 v120, 0x4080, v44
	;; [unrolled: 1-line block ×4, first 2 shown]
	v_xor_b32_e32 v123, v45, v43
	v_xor_b32_e32 v124, v37, v43
	v_or_b32_e32 v125, 0x6000, v44
	v_or_b32_e32 v126, 0x6080, v44
	;; [unrolled: 1-line block ×4, first 2 shown]
	v_lshlrev_b32_e32 v37, 1, v35
	v_add_lshl_u32 v35, v35, s15, 1
	v_or_b32_e32 v43, 0x100, v34
	v_lshrrev_b32_e32 v44, 4, v0
	s_addc_u32 s1, s19, s1
	v_or_b32_e32 v39, 1, v38
	v_lshrrev_b32_e32 v48, 1, v0
	v_and_or_b32 v42, v47, 60, v42
	v_xor_b32_e32 v45, v44, v38
	v_xor_b32_e32 v46, v39, v44
	v_lshl_add_u64 v[38:39], s[0:1], 0, v[80:81]
	v_and_b32_e32 v48, 24, v48
	v_lshlrev_b32_e32 v42, 1, v42
	v_cndmask_b32_e64 v135, v37, v34, s[2:3]
	v_cndmask_b32_e64 v136, v35, v43, s[2:3]
	v_mov_b32_e32 v35, 0xa000
	v_mov_b32_e32 v37, 0x8000
	v_cmp_gt_u32_e64 s[0:1], s20, v0
	v_lshlrev_b32_e32 v80, 8, v44
	v_or_b32_e32 v131, 0x6000, v42
	v_or_b32_e32 v47, 32, v48
	;; [unrolled: 1-line block ×6, first 2 shown]
	v_cndmask_b32_e64 v35, v35, v37, s[0:1]
	v_lshlrev_b32_e32 v37, 3, v88
	v_lshl_or_b32 v129, v45, 3, v80
	v_and_b32_e32 v45, 8, v0
	v_xor_b32_e32 v43, v37, v48
	v_xor_b32_e32 v47, v37, v47
	;; [unrolled: 1-line block ×3, first 2 shown]
	v_mov_b32_e32 v49, 0x400
	v_cmp_eq_u32_e32 vcc, 0, v45
	v_or_b32_e32 v48, 0x440, v43
	v_or_b32_e32 v50, 0x440, v47
	v_xor_b32_e32 v42, 0x440, v37
	v_and_b32_e32 v44, 7, v0
	v_cndmask_b32_e64 v45, v49, 64, vcc
	v_cndmask_b32_e32 v48, v48, v43, vcc
	v_cndmask_b32_e32 v47, v50, v47, vcc
	v_cndmask_b32_e32 v37, v42, v37, vcc
	v_lshl_or_b32 v130, v46, 3, v80
	v_lshlrev_b32_e32 v46, 3, v44
	v_or_b32_e32 v48, v48, v41
	v_or_b32_e32 v47, v47, v41
	v_or3_b32 v43, v41, v45, v43
	v_or_b32_e32 v37, v37, v41
	v_lshlrev_b32_e32 v44, 7, v44
	v_xor_b32_e32 v48, v48, v46
	v_xor_b32_e32 v47, v47, v46
	;; [unrolled: 1-line block ×4, first 2 shown]
	v_or_b32_e32 v34, v1, v40
	v_add_u32_e32 v49, v35, v48
	v_add_u32_e32 v50, v35, v47
	v_or_b32_e32 v137, v43, v44
	v_add_u32_e32 v41, v35, v37
	v_or3_b32 v40, v1, v40, 64
	v_add_u32_e32 v45, 0xa000, v48
	v_add_u32_e32 v46, 0xa000, v47
	;; [unrolled: 1-line block ×3, first 2 shown]
	v_lshlrev_b64 v[42:43], 1, v[78:79]
	v_lshl_add_u64 v[82:83], s[8:9], 0, v[42:43]
	v_lshl_add_u64 v[84:85], s[28:29], 0, v[42:43]
	;; [unrolled: 1-line block ×3, first 2 shown]
	s_add_i32 s35, s63, 63
	v_lshlrev_b32_e32 v80, 1, v36
	s_movk_i32 s39, 0x2000
	v_lshlrev_b32_e32 v79, 2, v34
	v_add_u32_e32 v138, v49, v44
	v_add_u32_e32 v139, v50, v44
	;; [unrolled: 1-line block ×4, first 2 shown]
	v_lshlrev_b32_e32 v142, 2, v40
	v_add_u32_e32 v143, v45, v44
	v_add_u32_e32 v144, v46, v44
	;; [unrolled: 1-line block ×3, first 2 shown]
	s_waitcnt lgkmcnt(0)
	s_barrier
.LBB219_6:                              ; =>This Inner Loop Header: Depth=1
	s_add_i32 s69, s70, 1
	s_cmp_lt_i32 s69, s54
	s_mov_b64 s[24:25], 0
	s_cselect_b64 s[2:3], -1, 0
	s_cmp_ge_i32 s69, s54
	s_mov_b64 s[20:21], 0
	s_cbranch_scc1 .LBB219_8
; %bb.7:                                ;   in Loop: Header=BB219_6 Depth=1
	s_add_i32 s0, s64, 64
	s_add_u32 s0, s16, s0
	s_addc_u32 s1, s17, 0
	s_lshl_b64 s[0:1], s[0:1], 8
	s_add_u32 s20, s6, s0
	s_addc_u32 s21, s7, s1
.LBB219_8:                              ;   in Loop: Header=BB219_6 Depth=1
	v_cndmask_b32_e64 v34, 0, 1, s[2:3]
	v_cmp_ne_u32_e64 s[0:1], 1, v34
	s_andn2_b64 vcc, exec, s[2:3]
	s_cbranch_vccnz .LBB219_10
; %bb.9:                                ;   in Loop: Header=BB219_6 Depth=1
	s_add_i32 s2, s64, 64
	s_add_u32 s2, s63, s2
	s_addc_u32 s3, s67, 0
	s_mul_i32 s24, s2, s55
	s_mul_hi_u32 s25, s2, s60
	s_add_i32 s24, s25, s24
	s_mul_i32 s3, s3, s60
	s_add_i32 s24, s24, s3
	s_mul_i32 s2, s2, s60
	s_add_u32 s2, s2, s56
	s_addc_u32 s3, s24, s61
	s_lshl_b64 s[2:3], s[2:3], 8
	s_add_u32 s24, s4, s2
	s_addc_u32 s25, s5, s3
.LBB219_10:                             ;   in Loop: Header=BB219_6 Depth=1
	v_perm_b32 v35, v25, v24, s37
	v_perm_b32 v34, v23, v22, s37
	v_perm_b32 v37, v33, v32, s37
	v_perm_b32 v36, v31, v30, s37
	ds_write_b64 v101, v[34:35]
	ds_write_b64 v102, v[36:37]
	ds_write_b64 v104, v[34:35]
	ds_write_b64 v105, v[36:37]
	v_perm_b32 v35, v17, v16, s37
	v_perm_b32 v34, v15, v14, s37
	v_perm_b32 v37, v29, v28, s37
	v_perm_b32 v36, v27, v26, s37
	ds_write_b64 v103, v[34:35]
	ds_write_b64 v106, v[36:37]
	ds_write_b64 v107, v[34:35]
	ds_write_b64 v108, v[36:37]
	;; [unrolled: 8-line block ×4, first 2 shown]
	s_waitcnt lgkmcnt(0)
	s_barrier
	ds_read_b64 v[38:39], v117 offset:49152
	ds_read2_b64 v[34:37], v118 offset1:16
	ds_read_b64 v[50:51], v120 offset:6144
	ds_read_b64 v[52:53], v118 offset:6144
	s_waitcnt lgkmcnt(2)
	v_mfma_f32_16x16x16_bf16 a[0:3], v[38:39], v[34:35], 0
	ds_read_b64 v[54:55], v119 offset:49152
	ds_read2st64_b64 v[42:45], v121 offset0:4 offset1:8
	ds_read2st64_b64 v[46:49], v122 offset0:4 offset1:8
	v_mfma_f32_16x16x16_bf16 a[4:7], v[38:39], v[36:37], 0
	ds_read2_b64 v[34:37], v118 offset0:32 offset1:48
	s_add_i32 s2, s64, 63
	s_mul_i32 s3, s2, s31
	s_waitcnt lgkmcnt(0)
	v_mfma_f32_16x16x16_bf16 a[8:11], v[38:39], v[34:35], 0
	s_mul_hi_u32 s27, s2, s30
	s_add_i32 s3, s27, s3
	s_mul_i32 s2, s2, s30
	v_mfma_f32_16x16x16_bf16 a[12:15], v[38:39], v[36:37], 0
	ds_read2st64_b64 v[34:37], v118 offset0:4 offset1:8
	ds_read2st64_b64 v[38:41], v120 offset0:4 offset1:8
	s_lshl_b64 s[2:3], s[2:3], 2
	s_waitcnt lgkmcnt(1)
	v_mfma_f32_16x16x16_bf16 a[0:3], v[54:55], v[34:35], a[0:3]
	s_add_u32 s2, s44, s2
	s_addc_u32 s3, s45, s3
	s_and_b64 vcc, exec, s[0:1]
	s_waitcnt lgkmcnt(0)
	v_mfma_f32_16x16x16_bf16 a[4:7], v[54:55], v[38:39], a[4:7]
	v_mov_b32_e32 v149, 0
	v_mov_b32_e32 v148, 0
	v_mov_b32_e32 v147, 0
	v_mfma_f32_16x16x16_bf16 a[8:11], v[54:55], v[42:43], a[8:11]
	ds_read_b64 v[34:35], v123 offset:49152
	ds_read_b64 v[38:39], v124 offset:49152
	ds_read_b64 v[42:43], v122 offset:6144
	v_mfma_f32_16x16x16_bf16 a[12:15], v[54:55], v[46:47], a[12:15]
	v_mov_b32_e32 v46, 0
	v_mov_b32_e32 v47, 0
	s_waitcnt lgkmcnt(2)
	v_mfma_f32_16x16x16_bf16 a[0:3], v[34:35], v[36:37], a[0:3]
	v_mov_b32_e32 v36, 0
	v_mov_b32_e32 v37, 0
	v_mfma_f32_16x16x16_bf16 a[4:7], v[34:35], v[40:41], a[4:7]
	v_mov_b32_e32 v40, 0
	v_mov_b32_e32 v41, 0
	;; [unrolled: 3-line block ×3, first 2 shown]
	v_mfma_f32_16x16x16_bf16 a[12:15], v[34:35], v[48:49], a[12:15]
	ds_read_b64 v[34:35], v121 offset:6144
	v_mov_b32_e32 v48, 0
	v_mov_b32_e32 v49, 0
	s_waitcnt lgkmcnt(2)
	v_mfma_f32_16x16x16_bf16 a[0:3], v[38:39], v[52:53], a[0:3]
	v_mfma_f32_16x16x16_bf16 a[4:7], v[38:39], v[50:51], a[4:7]
	s_waitcnt lgkmcnt(0)
	v_mfma_f32_16x16x16_bf16 a[8:11], v[38:39], v[34:35], a[8:11]
	v_mov_b32_e32 v34, 0
	v_mov_b32_e32 v35, 0
	v_mfma_f32_16x16x16_bf16 a[12:15], v[38:39], v[42:43], a[12:15]
	v_mov_b32_e32 v38, 0
	v_mov_b32_e32 v39, 0
	;; [unrolled: 1-line block ×4, first 2 shown]
	s_cbranch_vccnz .LBB219_12
; %bb.11:                               ;   in Loop: Header=BB219_6 Depth=1
	s_and_b32 s21, s21, 0xffff
	buffer_load_dwordx4 v[46:49], v97, s[20:23], 0 offen
	buffer_load_dwordx4 v[42:45], v97, s[20:23], s62 offen
	;; [unrolled: 1-line block ×4, first 2 shown]
	v_mov_b32_e32 v148, v99
	v_mov_b32_e32 v147, v100
.LBB219_12:                             ;   in Loop: Header=BB219_6 Depth=1
	ds_read_b64 v[70:71], v117 offset:57344
	ds_read2_b64 v[50:53], v125 offset1:16
	ds_read_b64 v[72:73], v119 offset:57344
	ds_read_b64 v[74:75], v123 offset:57344
	;; [unrolled: 1-line block ×3, first 2 shown]
	s_waitcnt lgkmcnt(3)
	v_mfma_f32_16x16x16_bf16 a[0:3], v[70:71], v[50:51], a[0:3]
	v_mfma_f32_16x16x16_bf16 a[4:7], v[70:71], v[52:53], a[4:7]
	ds_read2_b64 v[50:53], v125 offset0:32 offset1:48
	ds_read2st64_b64 v[54:57], v125 offset0:4 offset1:8
	ds_read2st64_b64 v[58:61], v126 offset0:4 offset1:8
	;; [unrolled: 1-line block ×4, first 2 shown]
	s_waitcnt lgkmcnt(4)
	v_mfma_f32_16x16x16_bf16 a[8:11], v[70:71], v[50:51], a[8:11]
	v_mfma_f32_16x16x16_bf16 a[12:15], v[70:71], v[52:53], a[12:15]
	v_add_u32_e32 v70, s64, v93
	v_ashrrev_i32_e32 v50, 31, v70
	v_mul_lo_u32 v52, v50, s30
	v_mul_lo_u32 v53, v70, s31
	v_mad_u64_u32 v[50:51], s[20:21], v70, s30, 0
	v_add3_u32 v51, v51, v53, v52
	v_add_u32_e32 v52, 1, v70
	v_ashrrev_i32_e32 v53, 31, v52
	s_waitcnt lgkmcnt(3)
	v_mfma_f32_16x16x16_bf16 a[0:3], v[72:73], v[54:55], a[0:3]
	v_mul_lo_u32 v54, v53, s30
	v_mul_lo_u32 v55, v52, s31
	v_mad_u64_u32 v[52:53], s[20:21], v52, s30, 0
	v_add3_u32 v53, v53, v55, v54
	v_add_u32_e32 v54, 2, v70
	v_ashrrev_i32_e32 v55, 31, v54
	s_waitcnt lgkmcnt(2)
	v_mfma_f32_16x16x16_bf16 a[4:7], v[72:73], v[58:59], a[4:7]
	v_mul_lo_u32 v58, v55, s30
	v_mul_lo_u32 v59, v54, s31
	v_mad_u64_u32 v[54:55], s[20:21], v54, s30, 0
	v_add3_u32 v55, v55, v59, v58
	v_add_u32_e32 v58, 3, v70
	v_lshl_add_u64 v[50:51], v[50:51], 2, s[44:45]
	v_lshl_add_u64 v[52:53], v[52:53], 2, s[44:45]
	v_ashrrev_i32_e32 v59, 31, v58
	s_waitcnt lgkmcnt(1)
	v_mfma_f32_16x16x16_bf16 a[8:11], v[72:73], v[62:63], a[8:11]
	v_mul_lo_u32 v59, v59, s30
	global_load_dword v62, v[50:51], off
	v_mul_lo_u32 v63, v58, s31
	s_waitcnt lgkmcnt(0)
	v_mfma_f32_16x16x16_bf16 a[12:15], v[72:73], v[66:67], a[12:15]
	global_load_dword v66, v[52:53], off
	v_mad_u64_u32 v[50:51], s[20:21], v58, s30, 0
	v_add3_u32 v51, v51, v63, v59
	s_add_u32 s20, s16, s64
	v_lshl_add_u64 v[54:55], v[54:55], 2, s[44:45]
	v_lshl_add_u64 v[50:51], v[50:51], 2, s[44:45]
	s_addc_u32 s21, s17, 0
	global_load_dword v63, v[54:55], off
	global_load_dword v67, v[50:51], off
	s_lshl_b64 s[20:21], s[20:21], 8
	v_lshl_add_u64 v[50:51], v[82:83], 0, s[20:21]
	v_lshl_add_u64 v[50:51], v[50:51], 0, v[80:81]
	global_load_ushort v70, v[50:51], off offset:256
	global_load_ushort v71, v[50:51], off
	global_load_ushort v72, v[50:51], off offset:768
	global_load_ushort v73, v[50:51], off offset:512
	;; [unrolled: 1-line block ×6, first 2 shown]
	s_load_dword s2, s[2:3], 0x0
	v_mfma_f32_16x16x16_bf16 a[12:15], v[74:75], v[68:69], a[12:15]
	global_load_ushort v68, v[50:51], off offset:320
	global_load_ushort v69, v[50:51], off offset:64
	s_and_b64 vcc, exec, s[0:1]
	v_mfma_f32_16x16x16_bf16 a[0:3], v[74:75], v[56:57], a[0:3]
	ds_read_b64 v[52:53], v125 offset:6144
	ds_read_b64 v[54:55], v126 offset:6144
	;; [unrolled: 1-line block ×4, first 2 shown]
	v_mfma_f32_16x16x16_bf16 a[4:7], v[74:75], v[60:61], a[4:7]
	s_waitcnt vmcnt(11) lgkmcnt(0)
	v_sub_f32_e32 v60, s2, v63
	v_mfma_f32_16x16x16_bf16 a[8:11], v[74:75], v[64:65], a[8:11]
	global_load_ushort v74, v[50:51], off offset:832
	global_load_ushort v75, v[50:51], off offset:576
	;; [unrolled: 1-line block ×6, first 2 shown]
	v_mfma_f32_16x16x16_bf16 a[0:3], v[150:151], v[52:53], a[0:3]
	s_waitcnt vmcnt(16)
	v_sub_f32_e32 v61, s2, v67
	v_mul_f32_e32 v60, 0x3fb8aa3b, v60
	v_mul_f32_e32 v61, 0x3fb8aa3b, v61
	v_exp_f32_e32 v60, v60
	v_exp_f32_e32 v61, v61
	s_waitcnt vmcnt(15)
	v_lshlrev_b32_e32 v65, 16, v70
	s_waitcnt vmcnt(14)
	v_lshlrev_b32_e32 v64, 16, v71
	v_accvgpr_read_b32 v53, a3
	v_accvgpr_read_b32 v52, a2
	v_mfma_f32_16x16x16_bf16 a[2:5], v[150:151], v[54:55], a[4:7]
	v_mfma_f32_16x16x16_bf16 a[6:9], v[150:151], v[56:57], a[8:11]
	s_nop 5
	v_accvgpr_read_b32 v55, a5
	v_accvgpr_read_b32 v54, a4
	;; [unrolled: 1-line block ×4, first 2 shown]
	v_mfma_f32_16x16x16_bf16 a[8:11], v[150:151], v[58:59], a[12:15]
	v_sub_f32_e32 v58, s2, v62
	v_sub_f32_e32 v59, s2, v66
	v_mul_f32_e32 v58, 0x3fb8aa3b, v58
	v_mul_f32_e32 v59, 0x3fb8aa3b, v59
	v_exp_f32_e32 v58, v58
	v_exp_f32_e32 v59, v59
	v_accvgpr_read_b32 v67, a1
	v_accvgpr_read_b32 v66, a0
	v_lshl_add_u64 v[62:63], v[84:85], 0, s[20:21]
	v_pk_add_f32 v[64:65], v[64:65], v[66:67] neg_lo:[0,1] neg_hi:[0,1]
	s_waitcnt vmcnt(13)
	v_lshlrev_b32_e32 v67, 16, v72
	s_waitcnt vmcnt(12)
	v_lshlrev_b32_e32 v66, 16, v73
	v_lshl_add_u64 v[62:63], v[62:63], 0, v[80:81]
	v_pk_add_f32 v[52:53], v[66:67], v[52:53] neg_lo:[0,1] neg_hi:[0,1]
	global_store_short_d16_hi v[62:63], v64, off
	global_store_short_d16_hi v[62:63], v65, off offset:256
	global_store_short_d16_hi v[62:63], v52, off offset:512
	global_store_short_d16_hi v[62:63], v53, off offset:768
	v_pk_mul_f32 v[64:65], v[58:59], v[64:65]
	v_pk_mul_f32 v[52:53], v[60:61], v[52:53]
	v_accvgpr_read_b32 v67, a3
	v_perm_b32 v53, v53, v52, s37
	v_perm_b32 v52, v65, v64, s37
	s_waitcnt vmcnt(15)
	v_lshlrev_b32_e32 v65, 16, v76
	s_waitcnt vmcnt(14)
	v_lshlrev_b32_e32 v64, 16, v152
	v_accvgpr_read_b32 v66, a2
	v_pk_add_f32 v[64:65], v[64:65], v[66:67] neg_lo:[0,1] neg_hi:[0,1]
	s_waitcnt vmcnt(13)
	v_lshlrev_b32_e32 v67, 16, v153
	s_waitcnt vmcnt(12)
	v_lshlrev_b32_e32 v66, 16, v154
	v_pk_add_f32 v[54:55], v[66:67], v[54:55] neg_lo:[0,1] neg_hi:[0,1]
	global_store_short_d16_hi v[62:63], v64, off offset:32
	global_store_short_d16_hi v[62:63], v65, off offset:288
	;; [unrolled: 1-line block ×4, first 2 shown]
	v_pk_mul_f32 v[64:65], v[58:59], v[64:65]
	v_pk_mul_f32 v[54:55], v[60:61], v[54:55]
	v_accvgpr_read_b32 v57, a11
	v_perm_b32 v55, v55, v54, s37
	v_perm_b32 v54, v65, v64, s37
	ds_write2_b64 v102, v[52:53], v[54:55] offset1:16
	v_accvgpr_read_b32 v55, a7
	s_waitcnt vmcnt(15)
	v_lshlrev_b32_e32 v53, 16, v68
	s_waitcnt vmcnt(14)
	v_lshlrev_b32_e32 v52, 16, v69
	v_accvgpr_read_b32 v54, a6
	v_pk_add_f32 v[52:53], v[52:53], v[54:55] neg_lo:[0,1] neg_hi:[0,1]
	global_store_short_d16_hi v[62:63], v52, off offset:64
	global_store_short_d16_hi v[62:63], v53, off offset:320
	v_pk_mul_f32 v[52:53], v[58:59], v[52:53]
	v_accvgpr_read_b32 v56, a10
	v_perm_b32 v52, v53, v52, s37
	v_mov_b32_e32 v150, 0
	v_mov_b32_e32 v64, 0
	;; [unrolled: 1-line block ×3, first 2 shown]
	s_waitcnt vmcnt(15)
	v_lshlrev_b32_e32 v55, 16, v74
	s_waitcnt vmcnt(14)
	v_lshlrev_b32_e32 v54, 16, v75
	v_pk_add_f32 v[50:51], v[54:55], v[50:51] neg_lo:[0,1] neg_hi:[0,1]
	global_store_short_d16_hi v[62:63], v50, off offset:576
	global_store_short_d16_hi v[62:63], v51, off offset:832
	v_pk_mul_f32 v[50:51], v[60:61], v[50:51]
	v_accvgpr_read_b32 v55, a9
	v_perm_b32 v53, v51, v50, s37
	s_waitcnt vmcnt(15)
	v_lshlrev_b32_e32 v51, 16, v155
	s_waitcnt vmcnt(14)
	v_lshlrev_b32_e32 v50, 16, v156
	v_accvgpr_read_b32 v54, a8
	v_pk_add_f32 v[50:51], v[50:51], v[54:55] neg_lo:[0,1] neg_hi:[0,1]
	s_waitcnt vmcnt(13)
	v_lshlrev_b32_e32 v55, 16, v157
	s_waitcnt vmcnt(12)
	v_lshlrev_b32_e32 v54, 16, v158
	v_pk_add_f32 v[54:55], v[54:55], v[56:57] neg_lo:[0,1] neg_hi:[0,1]
	global_store_short_d16_hi v[62:63], v50, off offset:96
	global_store_short_d16_hi v[62:63], v51, off offset:352
	;; [unrolled: 1-line block ×4, first 2 shown]
	v_pk_mul_f32 v[50:51], v[58:59], v[50:51]
	v_pk_mul_f32 v[54:55], v[60:61], v[54:55]
	v_mov_b32_e32 v56, 0
	v_perm_b32 v55, v55, v54, s37
	v_perm_b32 v54, v51, v50, s37
	ds_write2_b64 v102, v[52:53], v[54:55] offset0:32 offset1:48
	v_mov_b32_e32 v50, 0
	v_mov_b32_e32 v51, 0
	;; [unrolled: 1-line block ×13, first 2 shown]
	s_cbranch_vccnz .LBB219_14
; %bb.13:                               ;   in Loop: Header=BB219_6 Depth=1
	s_and_b32 s25, s25, 0xffff
	s_mov_b32 s27, s23
	buffer_load_dwordx4 v[62:65], v135, s[24:27], 0 offen
	buffer_load_dwordx4 v[54:57], v135, s[24:27], s62 offen
	buffer_load_dwordx4 v[58:61], v136, s[24:27], 0 offen
	buffer_load_dwordx4 v[50:53], v136, s[24:27], s62 offen
	v_mov_b32_e32 v149, v96
	v_mov_b32_e32 v150, v95
.LBB219_14:                             ;   in Loop: Header=BB219_6 Depth=1
	s_waitcnt lgkmcnt(0)
	s_barrier
	ds_read_b64 v[74:75], v138
	ds_read2_b64 v[66:69], v131 offset1:16
	ds_read_b64 v[168:169], v139
	ds_read_b64 v[170:171], v140
	;; [unrolled: 1-line block ×3, first 2 shown]
	ds_read2_b64 v[70:73], v131 offset0:32 offset1:48
	ds_read2st64_b64 v[152:155], v131 offset0:4 offset1:8
	ds_read2st64_b64 v[156:159], v132 offset0:4 offset1:8
	;; [unrolled: 1-line block ×4, first 2 shown]
	s_waitcnt lgkmcnt(8)
	v_mfma_f32_16x16x16_bf16 a[0:3], v[74:75], v[66:67], 0
	s_add_i32 s3, s57, s70
	s_mul_hi_i32 s21, s3, s13
	s_mul_i32 s3, s3, s13
	v_mfma_f32_16x16x16_bf16 a[4:7], v[74:75], v[68:69], 0
	s_add_u32 s20, s3, s50
	s_addc_u32 s21, s21, s51
	s_add_i32 s3, s35, s64
	s_waitcnt lgkmcnt(4)
	v_mfma_f32_16x16x16_bf16 a[8:11], v[74:75], v[70:71], 0
	s_lshl_b64 s[20:21], s[20:21], 15
	s_mul_hi_i32 s25, s3, s13
	s_mul_i32 s3, s3, s13
	v_mfma_f32_16x16x16_bf16 a[12:15], v[74:75], v[72:73], 0
	ds_read_b64 v[74:75], v131 offset:6144
	ds_read_b64 v[180:181], v132 offset:6144
	;; [unrolled: 1-line block ×4, first 2 shown]
	s_add_u32 s24, s3, s50
	s_waitcnt lgkmcnt(7)
	v_mfma_f32_16x16x16_bf16 a[0:3], v[168:169], v[152:153], a[0:3]
	s_addc_u32 s25, s25, s51
	s_lshl_b64 s[24:25], s[24:25], 9
	s_add_u32 s24, s42, s24
	s_waitcnt lgkmcnt(6)
	v_mfma_f32_16x16x16_bf16 a[4:7], v[168:169], v[156:157], a[4:7]
	s_addc_u32 s25, s43, s25
	v_lshl_add_u64 v[190:191], v[86:87], 0, s[20:21]
	s_waitcnt lgkmcnt(5)
	v_mfma_f32_16x16x16_bf16 a[8:11], v[168:169], v[160:161], a[8:11]
	s_waitcnt lgkmcnt(4)
	v_mfma_f32_16x16x16_bf16 a[12:15], v[168:169], v[164:165], a[12:15]
	ds_read_b64 v[168:169], v143
	ds_read_b64 v[178:179], v144
	;; [unrolled: 1-line block ×3, first 2 shown]
	s_waitcnt lgkmcnt(2)
	v_mfma_f32_16x16x16_bf16 a[16:19], v[168:169], v[66:67], 0
	v_mfma_f32_16x16x16_bf16 a[20:23], v[168:169], v[68:69], 0
	global_load_dwordx4 v[66:69], v142, s[24:25]
	v_mfma_f32_16x16x16_bf16 a[24:27], v[168:169], v[70:71], 0
	v_mfma_f32_16x16x16_bf16 a[28:31], v[168:169], v[72:73], 0
	global_load_dwordx4 v[70:73], v79, s[24:25]
	v_mfma_f32_16x16x16_bf16 a[0:3], v[170:171], v[154:155], a[0:3]
	v_mfma_f32_16x16x16_bf16 a[4:7], v[170:171], v[158:159], a[4:7]
	;; [unrolled: 1-line block ×8, first 2 shown]
	ds_read2st64_b64 v[168:171], v129 offset1:8
	ds_read2st64_b64 v[172:175], v130 offset1:8
	ds_read_b64 v[188:189], v137 offset:40960
	s_waitcnt lgkmcnt(2)
	v_mov_b32_e32 v176, v168
	v_mfma_f32_16x16x16_bf16 a[16:19], v[178:179], v[152:153], a[16:19]
	v_mov_b32_e32 v177, v169
	v_mfma_f32_16x16x16_bf16 a[20:23], v[178:179], v[156:157], a[20:23]
	v_mfma_f32_16x16x16_bf16 a[24:27], v[178:179], v[160:161], a[24:27]
	;; [unrolled: 1-line block ×3, first 2 shown]
	v_add_co_u32_e32 v164, vcc, s39, v190
	s_waitcnt lgkmcnt(1)
	v_mov_b32_e32 v178, v172
	s_waitcnt lgkmcnt(0)
	v_mfma_f32_16x16x16_bf16 a[16:19], v[188:189], v[154:155], a[16:19]
	ds_read2st64_b64 v[152:155], v129 offset0:16 offset1:24
	v_addc_co_u32_e32 v165, vcc, 0, v191, vcc
	v_mfma_f32_16x16x16_bf16 a[20:23], v[188:189], v[158:159], a[20:23]
	ds_read2st64_b64 v[156:159], v130 offset0:16 offset1:24
	v_mov_b32_e32 v179, v173
	v_mov_b32_e32 v172, v170
	v_mfma_f32_16x16x16_bf16 a[32:35], v[188:189], v[162:163], a[24:27]
	v_mov_b32_e32 v173, v171
	s_waitcnt lgkmcnt(0)
	v_mov_b32_e32 v162, v156
	v_mov_b32_e32 v163, v157
	v_mfma_f32_16x16x16_bf16 a[36:39], v[188:189], v[166:167], a[28:31]
	v_mov_b32_e32 v156, v154
	v_mov_b32_e32 v157, v155
	;; [unrolled: 1-line block ×3, first 2 shown]
	v_mfma_f32_16x16x16_bf16 a[24:27], v[186:187], v[74:75], a[16:19]
	v_add_co_u32_e32 v74, vcc, s68, v190
	v_mov_b32_e32 v161, v153
	v_mfma_f32_16x16x16_bf16 a[28:31], v[186:187], v[180:181], a[20:23]
	v_addc_co_u32_e32 v75, vcc, 0, v191, vcc
	global_store_dwordx4 v[74:75], v[156:159], off
	v_mfma_f32_16x16x16_bf16 a[16:19], v[186:187], v[182:183], a[32:35]
	s_waitcnt vmcnt(2)
	v_mov_b32_e32 v76, v69
	v_mov_b32_e32 v75, v68
	;; [unrolled: 1-line block ×3, first 2 shown]
	v_mfma_f32_16x16x16_bf16 a[20:23], v[186:187], v[184:185], a[36:39]
	s_and_b64 vcc, exec, s[0:1]
	global_store_dwordx4 v[190:191], v[176:179], off
	global_store_dwordx4 v[164:165], v[172:175], off offset:-4096
	global_store_dwordx4 v[164:165], v[160:163], off
	s_cbranch_vccnz .LBB219_16
; %bb.15:                               ;   in Loop: Header=BB219_6 Depth=1
	v_lshrrev_b32_e32 v67, 3, v149
	v_and_b32_e32 v67, 6, v67
	v_xor_b32_e32 v68, v67, v150
	v_lshlrev_b32_e32 v68, 2, v68
	v_and_b32_e32 v69, 8, v149
	v_xor_b32_e32 v149, 0x440, v68
	v_cmp_eq_u32_e32 vcc, 0, v69
	v_perm_b32 v69, v54, v50, s65
	s_nop 0
	v_cndmask_b32_e32 v68, v149, v68, vcc
	v_lshl_or_b32 v67, v67, 10, v68
	v_perm_b32 v68, v62, v58, s65
	s_barrier
	ds_write2st64_b32 v67, v68, v69 offset0:128 offset1:160
	v_xor_b32_e32 v68, 8, v67
	v_perm_b32 v58, v62, v58, s66
	v_perm_b32 v50, v54, v50, s66
	v_add_u32_e32 v54, 0x80, v68
	ds_write2st64_b32 v54, v58, v50 offset0:128 offset1:160
	v_xor_b32_e32 v50, 16, v67
	v_perm_b32 v54, v63, v59, s65
	v_perm_b32 v58, v55, v51, s65
	ds_write2st64_b32 v50, v54, v58 offset0:129 offset1:161
	v_xor_b32_e32 v50, 24, v67
	v_perm_b32 v54, v63, v59, s66
	v_perm_b32 v51, v55, v51, s66
	v_add_u32_e32 v50, 0x80, v50
	ds_write2st64_b32 v50, v54, v51 offset0:129 offset1:161
	v_xor_b32_e32 v50, 32, v67
	v_perm_b32 v51, v64, v60, s65
	v_perm_b32 v54, v56, v52, s65
	;; [unrolled: 9-line block ×3, first 2 shown]
	ds_write2st64_b32 v50, v51, v52 offset0:131 offset1:163
	v_xor_b32_e32 v50, 56, v67
	v_perm_b32 v51, v65, v61, s66
	v_perm_b32 v52, v57, v53, s66
	v_add_u32_e32 v50, 0x80, v50
	ds_write2st64_b32 v50, v51, v52 offset0:131 offset1:163
	ds_write_b64 v148, v[46:47] offset:49152
	v_xor_b32_e32 v46, 8, v148
	ds_write_b64 v46, v[48:49] offset:49152
	ds_write_b64 v148, v[42:43] offset:57344
	;; [unrolled: 1-line block ×4, first 2 shown]
	v_xor_b32_e32 v38, 8, v147
	ds_write_b64 v38, v[40:41] offset:49152
	ds_write_b64 v147, v[34:35] offset:57344
	;; [unrolled: 1-line block ×3, first 2 shown]
.LBB219_16:                             ;   in Loop: Header=BB219_6 Depth=1
	v_mul_f32_e32 v58, s2, v146
	v_exp_f32_e32 v68, v58
	s_waitcnt vmcnt(4)
	v_mul_f32_e32 v58, 0x3fb8aa3b, v70
	v_exp_f32_e32 v70, v58
	v_mul_f32_e32 v58, 0x3fb8aa3b, v71
	v_exp_f32_e32 v71, v58
	;; [unrolled: 2-line block ×4, first 2 shown]
	v_accvgpr_read_b32 v37, a3
	v_accvgpr_read_b32 v36, a2
	;; [unrolled: 1-line block ×4, first 2 shown]
	v_pk_mul_f32 v[70:71], v[68:69], v[70:71] op_sel_hi:[0,1]
	v_pk_mul_f32 v[72:73], v[68:69], v[72:73] op_sel_hi:[0,1]
	v_pk_fma_f32 v[22:23], v[22:23], v[70:71], v[34:35]
	v_pk_fma_f32 v[24:25], v[24:25], v[72:73], v[36:37]
	v_mul_f32_e32 v34, 0x3fb8aa3b, v66
	v_mul_f32_e32 v35, 0x3fb8aa3b, v74
	;; [unrolled: 1-line block ×4, first 2 shown]
	v_exp_f32_e32 v34, v34
	v_exp_f32_e32 v35, v35
	;; [unrolled: 1-line block ×4, first 2 shown]
	v_accvgpr_read_b32 v41, a7
	v_accvgpr_read_b32 v45, a11
	;; [unrolled: 1-line block ×28, first 2 shown]
	v_pk_mul_f32 v[34:35], v[68:69], v[34:35] op_sel_hi:[0,1]
	v_pk_mul_f32 v[36:37], v[68:69], v[36:37] op_sel_hi:[0,1]
	s_add_i32 s64, s64, 64
	v_pk_fma_f32 v[14:15], v[70:71], v[14:15], v[38:39]
	v_pk_fma_f32 v[16:17], v[72:73], v[16:17], v[40:41]
	;; [unrolled: 1-line block ×13, first 2 shown]
	s_cmp_eq_u32 s54, s69
	v_pk_fma_f32 v[12:13], v[36:37], v[12:13], v[64:65]
	s_cbranch_scc1 .LBB219_18
; %bb.17:                               ;   in Loop: Header=BB219_6 Depth=1
	s_mov_b32 s70, s69
	s_branch .LBB219_6
.LBB219_18:
	s_lshl_b32 s26, s54, 6
	s_sub_i32 s27, s12, s26
	s_cmp_gt_i32 s27, 0
	s_cbranch_scc0 .LBB219_99
; %bb.19:
	s_ashr_i32 s2, s26, 31
	s_cmpk_lg_i32 s15, 0x80
	s_cselect_b64 s[22:23], -1, 0
	s_and_b64 vcc, exec, s[22:23]
	s_cbranch_vccz .LBB219_21
; %bb.20:
	s_mul_i32 s1, s53, s12
	s_mul_hi_i32 s0, s53, s12
	s_add_u32 s1, s1, s26
	s_addc_u32 s0, s0, s2
	s_mul_i32 s3, s1, s55
	s_mul_hi_u32 s17, s1, s14
	s_add_i32 s3, s17, s3
	s_mul_i32 s0, s0, s14
	s_add_i32 s3, s3, s0
	s_mul_i32 s1, s1, s14
	s_ashr_i32 s0, s56, 31
	s_add_u32 s24, s1, s56
	s_addc_u32 s25, s3, s0
	s_cbranch_execz .LBB219_22
	s_branch .LBB219_23
.LBB219_21:
                                        ; implicit-def: $sgpr24_sgpr25
.LBB219_22:
	s_mul_hi_i32 s0, s53, s14
	s_mul_i32 s53, s53, s14
	s_ashr_i32 s1, s56, 31
	s_add_u32 s3, s53, s56
	s_addc_u32 s0, s0, s1
	s_mul_i32 s1, s3, s52
	s_mul_hi_u32 s14, s3, s12
	s_add_i32 s1, s14, s1
	s_mul_i32 s0, s0, s12
	s_add_i32 s1, s1, s0
	s_mul_i32 s3, s3, s12
	s_add_u32 s24, s3, s26
	s_addc_u32 s25, s1, s2
.LBB219_23:
	s_mul_i32 s0, s40, s52
	s_add_i32 s0, s59, s0
	s_add_i32 s3, s57, s54
	;; [unrolled: 1-line block ×3, first 2 shown]
	s_add_u32 s0, s16, s26
	s_addc_u32 s1, s1, s2
	v_lshlrev_b32_e32 v35, 6, v93
	v_lshlrev_b32_e32 v34, 2, v90
	s_mov_b32 s2, 0x7060302
	s_waitcnt vmcnt(7)
	v_perm_b32 v25, v25, v24, s2
	v_perm_b32 v24, v23, v22, s2
	s_waitcnt vmcnt(6)
	v_perm_b32 v22, v31, v30, s2
	v_or_b32_e32 v30, v35, v34
	v_xor_b32_e32 v36, v93, v34
	v_perm_b32 v23, v33, v32, s2
	v_lshlrev_b32_e32 v30, 1, v30
	ds_write2st64_b64 v30, v[24:25], v[22:23] offset0:32 offset1:48
	v_lshlrev_b32_e32 v30, 1, v36
	v_lshlrev_b32_e32 v31, 8, v90
	v_xor_b32_e32 v37, v94, v34
	v_or_b32_e32 v32, v30, v31
	ds_write_b64 v32, v[24:25]
	v_lshlrev_b32_e32 v24, 1, v37
	v_or_b32_e32 v25, v24, v31
	ds_write_b64 v25, v[22:23]
	v_or_b32_e32 v22, 16, v90
	v_lshlrev_b32_e32 v23, 2, v22
	v_or_b32_e32 v25, v35, v23
	s_waitcnt vmcnt(5)
	v_perm_b32 v17, v17, v16, s2
	v_perm_b32 v16, v15, v14, s2
	s_waitcnt vmcnt(4)
	v_perm_b32 v15, v29, v28, s2
	v_perm_b32 v14, v27, v26, s2
	v_lshlrev_b32_e32 v25, 1, v25
	v_lshlrev_b32_e32 v22, 8, v22
	ds_write2st64_b64 v25, v[16:17], v[14:15] offset0:32 offset1:48
	v_or_b32_e32 v25, v30, v22
	ds_write_b64 v25, v[16:17]
	v_or_b32_e32 v16, v24, v22
	ds_write_b64 v16, v[14:15]
	v_or_b32_e32 v14, 32, v90
	v_lshlrev_b32_e32 v22, 2, v14
	v_or_b32_e32 v15, v35, v22
	s_waitcnt vmcnt(3)
	v_perm_b32 v9, v9, v8, s2
	v_perm_b32 v8, v7, v6, s2
	s_waitcnt vmcnt(2)
	v_perm_b32 v7, v21, v20, s2
	v_perm_b32 v6, v19, v18, s2
	v_lshlrev_b32_e32 v15, 1, v15
	v_lshlrev_b32_e32 v14, 8, v14
	s_lshl_b64 s[20:21], s[0:1], 8
	ds_write2st64_b64 v15, v[8:9], v[6:7] offset0:32 offset1:48
	v_or_b32_e32 v15, v30, v14
	s_waitcnt lgkmcnt(0)
	s_add_u32 s0, s6, s20
	ds_write_b64 v15, v[8:9]
	v_or_b32_e32 v8, v24, v14
	s_addc_u32 s1, s7, s21
	ds_write_b64 v8, v[6:7]
	v_or_b32_e32 v6, 48, v90
	s_mul_hi_i32 s6, s3, s13
	s_mul_i32 s3, s3, s13
	s_waitcnt vmcnt(1)
	v_perm_b32 v5, v5, v4, s2
	v_perm_b32 v4, v3, v2, s2
	s_waitcnt vmcnt(0)
	v_perm_b32 v3, v13, v12, s2
	v_perm_b32 v2, v11, v10, s2
	v_lshlrev_b32_e32 v19, 2, v6
	s_add_u32 s2, s3, s50
	v_or_b32_e32 v7, v35, v19
	s_addc_u32 s3, s6, s51
	v_lshlrev_b32_e32 v7, 1, v7
	v_lshlrev_b32_e32 v6, 8, v6
	s_ashr_i32 s39, s38, 31
	s_lshl_b64 s[2:3], s[2:3], 15
	ds_write2st64_b64 v7, v[4:5], v[2:3] offset0:32 offset1:48
	v_or_b32_e32 v7, v30, v6
	s_add_u32 s6, s18, s2
	ds_write_b64 v7, v[4:5]
	v_or_b32_e32 v4, v24, v6
	s_addc_u32 s7, s19, s3
	s_lshl_b64 s[2:3], s[38:39], 8
	ds_write_b64 v4, v[2:3]
	s_add_u32 s2, s6, s2
	v_lshlrev_b32_e32 v3, 1, v90
	v_lshrrev_b32_e32 v2, 4, v0
	s_addc_u32 s3, s7, s3
	v_or_b32_e32 v4, 1, v3
	v_lshlrev_b32_e32 v10, 4, v90
	v_mov_b32_e32 v11, 0
	v_xor_b32_e32 v3, v2, v3
	v_xor_b32_e32 v6, v4, v2
	v_lshl_add_u64 v[12:13], s[2:3], 0, v[10:11]
	v_lshlrev_b32_e32 v10, 8, v2
	v_lshl_or_b32 v16, v3, 3, v10
	v_lshl_or_b32 v17, v6, 3, v10
	s_waitcnt lgkmcnt(0)
	s_barrier
	ds_read2st64_b64 v[2:5], v16 offset1:8
	ds_read2st64_b64 v[6:9], v17 offset1:8
	v_lshl_add_u64 v[14:15], v[12:13], 0, v[10:11]
	s_movk_i32 s2, 0x2000
	s_cmp_lg_u32 s27, 64
	s_waitcnt lgkmcnt(1)
	v_mov_b32_e32 v10, v2
	v_mov_b32_e32 v11, v3
	s_waitcnt lgkmcnt(0)
	v_mov_b32_e32 v12, v6
	v_mov_b32_e32 v13, v7
	global_store_dwordx4 v[14:15], v[10:13], off
	v_mov_b32_e32 v6, v4
	v_mov_b32_e32 v7, v5
	ds_read2st64_b64 v[2:5], v16 offset0:16 offset1:24
	ds_read2st64_b64 v[10:13], v17 offset0:16 offset1:24
	v_add_co_u32_e32 v16, vcc, s2, v14
	s_cselect_b64 s[6:7], -1, 0
	s_nop 0
	v_addc_co_u32_e32 v17, vcc, 0, v15, vcc
	global_store_dwordx4 v[16:17], v[6:9], off offset:-4096
	v_lshl_or_b32 v24, v88, 3, v92
	s_mov_b32 s16, 0
	s_waitcnt lgkmcnt(1)
	v_mov_b32_e32 v6, v2
	v_add_co_u32_e32 v2, vcc, 0x3000, v14
	v_mov_b32_e32 v7, v3
	s_nop 0
	v_addc_co_u32_e32 v3, vcc, 0, v15, vcc
	s_waitcnt lgkmcnt(0)
	v_mov_b32_e32 v8, v10
	v_mov_b32_e32 v9, v11
	;; [unrolled: 1-line block ×4, first 2 shown]
	v_or_b32_e32 v20, 32, v24
	v_and_b32_e32 v18, 56, v91
	s_and_b64 vcc, exec, s[6:7]
	global_store_dwordx4 v[16:17], v[6:9], off
	global_store_dwordx4 v[2:3], v[10:13], off
	s_cbranch_vccz .LBB219_29
; %bb.24:
	s_mov_b32 s17, s16
	s_mov_b32 s18, s16
	s_mov_b32 s19, s16
	v_mov_b64_e32 v[6:7], s[16:17]
	v_mov_b64_e32 v[8:9], s[18:19]
	;; [unrolled: 1-line block ×3, first 2 shown]
	v_cmp_gt_i32_e32 vcc, s27, v24
	v_mov_b64_e32 v[4:5], v[8:9]
	s_and_saveexec_b64 s[2:3], vcc
	s_cbranch_execz .LBB219_26
; %bb.25:
	v_lshlrev_b32_e32 v2, 8, v24
	v_mov_b32_e32 v3, 0
	v_lshl_add_u64 v[4:5], s[0:1], 0, v[2:3]
	v_lshlrev_b32_e32 v2, 1, v18
	v_lshl_add_u64 v[10:11], v[4:5], 0, v[2:3]
	global_load_dwordx4 v[6:9], v[10:11], off
	global_load_dwordx4 v[2:5], v[10:11], off offset:128
.LBB219_26:
	s_or_b64 exec, exec, s[2:3]
	s_mov_b32 s17, s16
	s_mov_b32 s18, s16
	;; [unrolled: 1-line block ×3, first 2 shown]
	v_mov_b64_e32 v[14:15], s[16:17]
	v_mov_b64_e32 v[16:17], s[18:19]
	;; [unrolled: 1-line block ×3, first 2 shown]
	v_cmp_gt_i32_e32 vcc, s27, v20
	v_lshlrev_b32_e32 v21, 7, v20
	v_mov_b64_e32 v[12:13], v[16:17]
	s_and_saveexec_b64 s[2:3], vcc
	s_cbranch_execz .LBB219_28
; %bb.27:
	v_lshlrev_b32_e32 v10, 1, v21
	v_mov_b32_e32 v11, 0
	v_lshl_add_u64 v[12:13], s[0:1], 0, v[10:11]
	v_lshlrev_b32_e32 v10, 1, v18
	v_lshl_add_u64 v[26:27], v[12:13], 0, v[10:11]
	global_load_dwordx4 v[14:17], v[26:27], off
	global_load_dwordx4 v[10:13], v[26:27], off offset:128
.LBB219_28:
	s_or_b64 exec, exec, s[2:3]
	v_lshrrev_b32_e32 v25, 3, v18
	v_lshlrev_b32_e32 v26, 3, v24
	v_or_b32_e32 v25, v26, v25
	v_lshlrev_b32_e32 v25, 4, v25
	v_and_b32_e32 v26, 0x78, v26
	v_xor_b32_e32 v25, v25, v26
	s_branch .LBB219_31
.LBB219_29:
                                        ; implicit-def: $vgpr25
                                        ; implicit-def: $vgpr21
                                        ; implicit-def: $vgpr6_vgpr7_vgpr8_vgpr9
                                        ; implicit-def: $vgpr2_vgpr3_vgpr4_vgpr5
                                        ; implicit-def: $vgpr14_vgpr15_vgpr16_vgpr17
                                        ; implicit-def: $vgpr10_vgpr11_vgpr12_vgpr13
	s_cbranch_execz .LBB219_31
; %bb.30:
	s_waitcnt vmcnt(0)
	v_lshlrev_b32_e32 v2, 1, v18
	v_lshl_or_b32 v21, v24, 8, v2
	s_and_b32 s1, s1, 0xffff
	s_mov_b32 s3, 0x20000
	s_movk_i32 s2, 0x4000
	v_lshl_or_b32 v25, v20, 8, v2
	s_movk_i32 s13, 0x80
	buffer_load_dwordx4 v[6:9], v21, s[0:3], 0 offen
	buffer_load_dwordx4 v[2:5], v21, s[0:3], s13 offen
	;; [unrolled: 1-line block ×4, first 2 shown]
	v_lshrrev_b32_e32 v21, 3, v18
	v_lshlrev_b32_e32 v25, 3, v24
	v_or_b32_e32 v21, v25, v21
	v_lshlrev_b32_e32 v21, 4, v21
	v_and_b32_e32 v25, 0x78, v25
	v_xor_b32_e32 v25, v21, v25
	v_lshlrev_b32_e32 v21, 7, v20
.LBB219_31:
	s_movk_i32 s0, 0x1000
	v_and_or_b32 v20, v21, s0, v25
	s_waitcnt vmcnt(1)
	ds_write_b64 v25, v[6:7] offset:49152
	v_xor_b32_e32 v6, 8, v25
	ds_write_b64 v6, v[8:9] offset:49152
	s_waitcnt vmcnt(0)
	ds_write_b64 v25, v[2:3] offset:57344
	ds_write_b64 v6, v[4:5] offset:57344
	;; [unrolled: 1-line block ×3, first 2 shown]
	v_xor_b32_e32 v2, 8, v20
	ds_write_b64 v2, v[16:17] offset:49152
	ds_write_b64 v20, v[10:11] offset:57344
	;; [unrolled: 1-line block ×3, first 2 shown]
	v_or_b32_e32 v2, v1, v90
	v_lshlrev_b32_e32 v3, 11, v88
	v_lshlrev_b32_e32 v2, 3, v2
	v_and_b32_e32 v6, 0x1000, v3
	v_lshrrev_b32_e32 v3, 5, v77
	s_movk_i32 s0, 0xf8
	v_and_or_b32 v3, v2, s0, v3
	v_lshlrev_b32_e32 v7, 4, v3
	v_and_b32_e32 v8, 0x78, v2
	v_or_b32_e32 v10, 32, v7
	v_lshrrev_b32_e32 v3, 1, v77
	v_xor_b32_e32 v10, v10, v8
	v_xor_b32_e32 v2, v7, v8
	v_and_b32_e32 v9, 8, v3
	v_or_b32_e32 v10, v10, v6
	v_or_b32_e32 v2, v2, v6
	v_xor_b32_e32 v27, v10, v9
	v_or_b32_e32 v10, 64, v7
	v_xor_b32_e32 v26, v2, v9
	v_xor_b32_e32 v10, v10, v8
	s_waitcnt lgkmcnt(0)
	s_barrier
	v_or_b32_e32 v13, v10, v6
	ds_read_b64 v[10:11], v26 offset:49152
	v_lshl_or_b32 v14, v89, 8, v34
	v_lshlrev_b32_e32 v25, 1, v14
	v_add_u32_e32 v12, 0x4000, v25
	ds_read2_b64 v[2:5], v12 offset1:16
	v_or_b32_e32 v7, 0x60, v7
	v_xor_b32_e32 v7, v7, v8
	v_or_b32_e32 v6, v7, v6
	v_xor_b32_e32 v28, v13, v9
	v_xor_b32_e32 v29, v6, v9
	ds_read_b64 v[20:21], v27 offset:49152
	ds_read_b64 v[36:37], v28 offset:49152
	ds_read_b64 v[38:39], v29 offset:49152
	s_waitcnt lgkmcnt(3)
	v_mfma_f32_16x16x16_bf16 a[0:3], v[10:11], v[2:3], 0
	ds_read2st64_b64 v[6:9], v25 offset0:36 offset1:40
	s_lshl_b64 s[0:1], s[24:25], 8
	s_add_u32 s4, s4, s0
	v_mfma_f32_16x16x16_bf16 a[4:7], v[10:11], v[4:5], 0
	ds_read2_b64 v[2:5], v12 offset0:32 offset1:48
	s_addc_u32 s5, s5, s1
	s_add_i32 s1, s46, s33
	s_waitcnt lgkmcnt(0)
	v_mfma_f32_16x16x16_bf16 a[8:11], v[10:11], v[2:3], 0
	v_or_b32_e32 v2, 64, v14
	v_lshlrev_b32_e32 v30, 1, v2
	s_add_i32 s0, s12, -1
	v_mfma_f32_16x16x16_bf16 a[12:15], v[10:11], v[4:5], 0
	ds_read2st64_b64 v[2:5], v30 offset0:36 offset1:40
	s_add_i32 s37, s1, s41
	s_add_i32 s1, s48, s47
	v_mfma_f32_16x16x16_bf16 a[0:3], v[20:21], v[6:7], a[0:3]
	v_or_b32_e32 v6, 0x80, v14
	v_lshlrev_b32_e32 v31, 1, v6
	ds_read2st64_b64 v[10:13], v31 offset0:36 offset1:40
	s_waitcnt lgkmcnt(1)
	v_mfma_f32_16x16x16_bf16 a[4:7], v[20:21], v[2:3], a[4:7]
	v_or_b32_e32 v2, 0xc0, v14
	v_lshlrev_b32_e32 v32, 1, v2
	ds_read2st64_b64 v[14:17], v32 offset0:36 offset1:40
	s_add_i32 s35, s1, s49
	s_ashr_i32 s1, s0, 31
	s_mul_i32 s2, s0, s31
	s_mul_hi_u32 s3, s0, s30
	s_add_i32 s2, s3, s2
	s_mul_i32 s1, s1, s30
	s_waitcnt lgkmcnt(1)
	v_mfma_f32_16x16x16_bf16 a[8:11], v[20:21], v[10:11], a[8:11]
	s_add_i32 s1, s2, s1
	s_lshl_b64 s[2:3], s[36:37], 2
	s_add_u32 s10, s10, s2
	s_waitcnt lgkmcnt(0)
	v_mfma_f32_16x16x16_bf16 a[12:15], v[20:21], v[14:15], a[12:15]
	s_addc_u32 s11, s11, s3
	s_lshl_b64 s[2:3], s[34:35], 2
	s_mul_i32 s0, s0, s30
	v_mfma_f32_16x16x16_bf16 a[0:3], v[36:37], v[8:9], a[0:3]
	ds_read_b64 v[2:3], v25 offset:22528
	s_add_u32 s10, s10, s2
	s_addc_u32 s11, s11, s3
	v_mfma_f32_16x16x16_bf16 a[4:7], v[36:37], v[4:5], a[4:7]
	ds_read_b64 v[4:5], v30 offset:22528
	ds_read_b64 v[6:7], v31 offset:22528
	;; [unrolled: 1-line block ×3, first 2 shown]
	s_lshl_b64 s[0:1], s[0:1], 2
	s_add_u32 s0, s10, s0
	v_mfma_f32_16x16x16_bf16 a[8:11], v[36:37], v[12:13], a[8:11]
	s_addc_u32 s1, s11, s1
	s_load_dword s12, s[0:1], 0x0
	s_and_b64 vcc, exec, s[22:23]
	v_mfma_f32_16x16x16_bf16 a[12:15], v[36:37], v[16:17], a[12:15]
	s_waitcnt lgkmcnt(0)
	v_mfma_f32_16x16x16_bf16 a[0:3], v[38:39], v[2:3], a[0:3]
	v_mfma_f32_16x16x16_bf16 a[4:7], v[38:39], v[4:5], a[4:7]
	;; [unrolled: 1-line block ×4, first 2 shown]
	s_cbranch_vccz .LBB219_42
; %bb.32:
	v_lshlrev_b32_e32 v20, 1, v24
	s_and_b64 vcc, exec, s[6:7]
	s_cbranch_vccz .LBB219_43
; %bb.33:
	v_cmp_gt_i32_e32 vcc, s27, v20
	v_mov_b32_e32 v6, 0
	v_mov_b32_e32 v2, 0
	;; [unrolled: 1-line block ×5, first 2 shown]
	s_and_saveexec_b64 s[0:1], vcc
	s_cbranch_execz .LBB219_35
; %bb.34:
	v_mad_i64_i32 v[2:3], s[2:3], s15, v20, 0
	v_lshl_add_u64 v[2:3], v[2:3], 1, s[4:5]
	v_lshlrev_b32_e32 v4, 1, v18
	v_mov_b32_e32 v5, 0
	v_lshl_add_u64 v[2:3], v[2:3], 0, v[4:5]
	global_load_dwordx4 v[2:5], v[2:3], off
.LBB219_35:
	s_or_b64 exec, exec, s[0:1]
	v_or_b32_e32 v21, 1, v20
	v_cmp_gt_i32_e64 s[0:1], s27, v21
	v_mov_b32_e32 v7, 0
	v_mov_b32_e32 v8, 0
	;; [unrolled: 1-line block ×3, first 2 shown]
	s_and_saveexec_b64 s[2:3], s[0:1]
	s_cbranch_execz .LBB219_37
; %bb.36:
	v_mad_i64_i32 v[6:7], s[16:17], s15, v21, 0
	v_lshl_add_u64 v[6:7], v[6:7], 1, s[4:5]
	v_lshlrev_b32_e32 v8, 1, v18
	v_mov_b32_e32 v9, 0
	v_lshl_add_u64 v[6:7], v[6:7], 0, v[8:9]
	global_load_dwordx4 v[6:9], v[6:7], off
.LBB219_37:
	s_or_b64 exec, exec, s[2:3]
	v_mov_b32_e32 v17, 0
	v_mov_b32_e32 v10, 0
	;; [unrolled: 1-line block ×5, first 2 shown]
	s_and_saveexec_b64 s[2:3], vcc
	s_cbranch_execz .LBB219_39
; %bb.38:
	v_mad_i64_i32 v[10:11], s[16:17], s15, v20, 0
	v_lshl_add_u64 v[10:11], v[10:11], 1, s[4:5]
	v_lshlrev_b32_e32 v12, 1, v18
	v_mov_b32_e32 v13, 0
	v_lshl_add_u64 v[10:11], v[10:11], 0, v[12:13]
	global_load_dwordx4 v[10:13], v[10:11], off offset:128
.LBB219_39:
	s_or_b64 exec, exec, s[2:3]
	v_mov_b32_e32 v16, 0
	v_mov_b32_e32 v15, 0
	;; [unrolled: 1-line block ×3, first 2 shown]
	s_and_saveexec_b64 s[2:3], s[0:1]
	s_cbranch_execz .LBB219_41
; %bb.40:
	v_mad_i64_i32 v[14:15], s[0:1], s15, v21, 0
	v_lshl_add_u64 v[14:15], v[14:15], 1, s[4:5]
	v_lshlrev_b32_e32 v16, 1, v18
	v_mov_b32_e32 v17, 0
	v_lshl_add_u64 v[14:15], v[14:15], 0, v[16:17]
	global_load_dwordx4 v[14:17], v[14:15], off offset:128
.LBB219_41:
	s_or_b64 exec, exec, s[2:3]
	s_branch .LBB219_45
.LBB219_42:
                                        ; implicit-def: $vgpr5
                                        ; implicit-def: $vgpr9
                                        ; implicit-def: $vgpr13
                                        ; implicit-def: $vgpr17
	v_lshrrev_b32_e32 v33, 2, v77
	s_branch .LBB219_46
.LBB219_43:
                                        ; implicit-def: $vgpr5
                                        ; implicit-def: $vgpr9
                                        ; implicit-def: $vgpr13
                                        ; implicit-def: $vgpr17
	s_cbranch_execz .LBB219_45
; %bb.44:
	s_waitcnt vmcnt(0)
	v_mad_u64_u32 v[2:3], s[0:1], v20, s15, v[18:19]
	v_lshlrev_b32_e32 v20, 1, v2
	s_lshl_b32 s2, s15, 7
	s_and_b32 s1, s5, 0xffff
	s_mov_b32 s3, 0x20000
	s_mov_b32 s0, s4
	v_add_lshl_u32 v21, v2, s15, 1
	s_movk_i32 s13, 0x80
	buffer_load_dwordx4 v[2:5], v20, s[0:3], 0 offen
	buffer_load_dwordx4 v[10:13], v20, s[0:3], s13 offen
	;; [unrolled: 1-line block ×4, first 2 shown]
.LBB219_45:
	v_lshrrev_b32_e32 v33, 2, v77
	s_cbranch_execnz .LBB219_58
.LBB219_46:
	s_and_b64 vcc, exec, s[6:7]
	s_cbranch_vccz .LBB219_56
; %bb.47:
	s_waitcnt vmcnt(0)
	v_lshlrev_b32_e32 v7, 1, v24
	v_cmp_gt_i32_e32 vcc, s27, v7
	v_mov_b32_e32 v6, 0
	v_lshlrev_b32_e32 v14, 9, v24
	v_mov_b32_e32 v2, 0
	v_mov_b32_e32 v3, 0
	;; [unrolled: 1-line block ×4, first 2 shown]
	s_and_saveexec_b64 s[0:1], vcc
	s_cbranch_execz .LBB219_49
; %bb.48:
	v_mov_b32_e32 v15, 0
	v_lshl_add_u64 v[2:3], s[4:5], 0, v[14:15]
	v_lshlrev_b32_e32 v4, 1, v18
	v_mov_b32_e32 v5, v15
	v_lshl_add_u64 v[2:3], v[2:3], 0, v[4:5]
	global_load_dwordx4 v[2:5], v[2:3], off
.LBB219_49:
	s_or_b64 exec, exec, s[0:1]
	v_or_b32_e32 v7, 1, v7
	v_cmp_gt_i32_e64 s[0:1], s27, v7
	v_lshlrev_b32_e32 v20, 8, v7
	v_mov_b32_e32 v7, 0
	v_mov_b32_e32 v8, 0
	;; [unrolled: 1-line block ×3, first 2 shown]
	s_and_saveexec_b64 s[2:3], s[0:1]
	s_cbranch_execz .LBB219_51
; %bb.50:
	v_mov_b32_e32 v21, 0
	v_lshl_add_u64 v[6:7], s[4:5], 0, v[20:21]
	v_lshlrev_b32_e32 v8, 1, v18
	v_mov_b32_e32 v9, v21
	v_lshl_add_u64 v[6:7], v[6:7], 0, v[8:9]
	global_load_dwordx4 v[6:9], v[6:7], off
.LBB219_51:
	s_or_b64 exec, exec, s[2:3]
	v_mov_b32_e32 v17, 0
	v_mov_b32_e32 v10, 0
	;; [unrolled: 1-line block ×5, first 2 shown]
	s_and_saveexec_b64 s[2:3], vcc
	s_cbranch_execz .LBB219_53
; %bb.52:
	v_mov_b32_e32 v15, 0
	v_lshl_add_u64 v[10:11], s[4:5], 0, v[14:15]
	v_lshlrev_b32_e32 v14, 1, v18
	v_lshl_add_u64 v[10:11], v[10:11], 0, v[14:15]
	global_load_dwordx4 v[10:13], v[10:11], off offset:128
.LBB219_53:
	s_or_b64 exec, exec, s[2:3]
	v_mov_b32_e32 v16, 0
	v_mov_b32_e32 v15, 0
	;; [unrolled: 1-line block ×3, first 2 shown]
	s_and_saveexec_b64 s[2:3], s[0:1]
	s_cbranch_execz .LBB219_55
; %bb.54:
	v_mov_b32_e32 v21, 0
	v_lshl_add_u64 v[14:15], s[4:5], 0, v[20:21]
	v_lshlrev_b32_e32 v20, 1, v18
	v_lshl_add_u64 v[14:15], v[14:15], 0, v[20:21]
	global_load_dwordx4 v[14:17], v[14:15], off offset:128
.LBB219_55:
	s_or_b64 exec, exec, s[2:3]
	s_branch .LBB219_58
.LBB219_56:
                                        ; implicit-def: $vgpr5
                                        ; implicit-def: $vgpr9
                                        ; implicit-def: $vgpr13
                                        ; implicit-def: $vgpr17
	s_cbranch_execz .LBB219_58
; %bb.57:
	s_waitcnt vmcnt(0)
	v_lshlrev_b32_e32 v2, 1, v18
	v_lshl_or_b32 v18, v24, 9, v2
	s_and_b32 s5, s5, 0xffff
	s_mov_b32 s7, 0x20000
	s_movk_i32 s6, 0x4000
	s_movk_i32 s0, 0x80
	buffer_load_dwordx4 v[2:5], v18, s[4:7], 0 offen
	buffer_load_dwordx4 v[6:9], v18, s[4:7], 0 offen offset:256
	buffer_load_dwordx4 v[10:13], v18, s[4:7], s0 offen
	buffer_load_dwordx4 v[14:17], v18, s[4:7], s0 offen offset:256
.LBB219_58:
	ds_read_b64 v[20:21], v26 offset:57344
	v_add_u32_e32 v18, 0x6000, v25
	ds_read2_b64 v[36:39], v18 offset1:16
	ds_read_b64 v[48:49], v27 offset:57344
	ds_read_b64 v[50:51], v28 offset:57344
	;; [unrolled: 1-line block ×3, first 2 shown]
	ds_read2_b64 v[26:29], v18 offset0:32 offset1:48
	v_and_b32_e32 v18, 6, v0
	v_xor_b32_e32 v24, v24, v18
	v_lshlrev_b32_e32 v24, 2, v24
	v_and_b32_e32 v0, 1, v0
	v_cmp_eq_u32_e32 vcc, 0, v0
	s_waitcnt lgkmcnt(4)
	v_mfma_f32_16x16x16_bf16 a[0:3], v[20:21], v[36:37], a[0:3]
	s_mov_b32 s0, 0x1000504
	s_mov_b32 s1, 0x3020706
	v_mfma_f32_16x16x16_bf16 a[4:7], v[20:21], v[38:39], a[4:7]
	ds_read2st64_b64 v[36:39], v25 offset0:52 offset1:56
	s_waitcnt lgkmcnt(1)
	v_mfma_f32_16x16x16_bf16 a[8:11], v[20:21], v[26:27], a[8:11]
	v_mfma_f32_16x16x16_bf16 a[12:15], v[20:21], v[28:29], a[12:15]
	ds_read2st64_b64 v[26:29], v30 offset0:52 offset1:56
	ds_read2st64_b64 v[40:43], v31 offset0:52 offset1:56
	;; [unrolled: 1-line block ×3, first 2 shown]
	s_waitcnt lgkmcnt(3)
	v_mfma_f32_16x16x16_bf16 a[0:3], v[48:49], v[36:37], a[0:3]
	ds_read_b64 v[20:21], v25 offset:30720
	ds_read_b64 v[36:37], v30 offset:30720
	;; [unrolled: 1-line block ×4, first 2 shown]
	v_xor_b32_e32 v25, 0x440, v24
	v_cndmask_b32_e32 v0, v25, v24, vcc
	s_waitcnt lgkmcnt(6)
	v_mfma_f32_16x16x16_bf16 a[4:7], v[48:49], v[26:27], a[4:7]
	v_lshl_or_b32 v0, v18, 10, v0
	s_waitcnt vmcnt(0)
	v_perm_b32 v18, v2, v6, s0
	v_perm_b32 v24, v10, v14, s0
	s_waitcnt lgkmcnt(5)
	v_mfma_f32_16x16x16_bf16 a[8:11], v[48:49], v[40:41], a[8:11]
	ds_write2st64_b32 v0, v18, v24 offset0:128 offset1:160
	v_xor_b32_e32 v18, 8, v0
	v_perm_b32 v2, v2, v6, s1
	s_waitcnt lgkmcnt(5)
	v_mfma_f32_16x16x16_bf16 a[12:15], v[48:49], v[44:45], a[12:15]
	v_perm_b32 v6, v10, v14, s1
	v_add_u32_e32 v10, 0x80, v18
	ds_write2st64_b32 v10, v2, v6 offset0:128 offset1:160
	v_mfma_f32_16x16x16_bf16 a[0:3], v[50:51], v[38:39], a[0:3]
	v_xor_b32_e32 v2, 16, v0
	v_perm_b32 v6, v3, v7, s0
	v_perm_b32 v10, v11, v15, s0
	v_mfma_f32_16x16x16_bf16 a[4:7], v[50:51], v[28:29], a[4:7]
	ds_write2st64_b32 v2, v6, v10 offset0:129 offset1:161
	v_xor_b32_e32 v2, 24, v0
	v_perm_b32 v3, v3, v7, s1
	v_mfma_f32_16x16x16_bf16 a[16:19], v[50:51], v[42:43], a[8:11]
	v_perm_b32 v6, v11, v15, s1
	v_add_u32_e32 v2, 0x80, v2
	ds_write2st64_b32 v2, v3, v6 offset0:129 offset1:161
	v_mfma_f32_16x16x16_bf16 a[20:23], v[50:51], v[46:47], a[12:15]
	v_xor_b32_e32 v2, 32, v0
	v_perm_b32 v3, v4, v8, s0
	v_perm_b32 v6, v12, v16, s0
	s_waitcnt lgkmcnt(7)
	v_mfma_f32_16x16x16_bf16 a[12:15], v[52:53], v[20:21], a[0:3]
	ds_write2st64_b32 v2, v3, v6 offset0:130 offset1:162
	v_xor_b32_e32 v2, 40, v0
	v_perm_b32 v3, v4, v8, s1
	s_waitcnt lgkmcnt(7)
	v_mfma_f32_16x16x16_bf16 a[8:11], v[52:53], v[36:37], a[4:7]
	v_perm_b32 v4, v12, v16, s1
	v_add_u32_e32 v2, 0x80, v2
	ds_write2st64_b32 v2, v3, v4 offset0:130 offset1:162
	s_waitcnt lgkmcnt(7)
	v_mfma_f32_16x16x16_bf16 a[4:7], v[52:53], v[30:31], a[16:19]
	v_xor_b32_e32 v2, 48, v0
	v_perm_b32 v3, v5, v9, s0
	v_perm_b32 v4, v13, v17, s0
	s_waitcnt lgkmcnt(6)
	v_mfma_f32_16x16x16_bf16 a[0:3], v[52:53], v[54:55], a[20:23]
	v_xor_b32_e32 v0, 56, v0
	v_and_or_b32 v21, v33, 12, v1
	ds_write2st64_b32 v2, v3, v4 offset0:131 offset1:163
	v_perm_b32 v2, v5, v9, s1
	v_perm_b32 v3, v13, v17, s1
	v_add_u32_e32 v0, 0x80, v0
	v_cmp_gt_i32_e32 vcc, s27, v21
	v_mov_b32_e32 v16, 0
	v_mov_b32_e32 v18, 0
	ds_write2st64_b32 v0, v2, v3 offset0:131 offset1:163
	s_and_saveexec_b64 s[0:1], vcc
	s_cbranch_execz .LBB219_60
; %bb.59:
	v_add_u32_e32 v0, s26, v21
	v_ashrrev_i32_e32 v1, 31, v0
	v_mul_lo_u32 v2, v1, s30
	v_mul_lo_u32 v3, v0, s31
	v_mad_u64_u32 v[0:1], s[2:3], v0, s30, 0
	v_add3_u32 v1, v1, v3, v2
	v_lshl_add_u64 v[0:1], v[0:1], 2, s[10:11]
	global_load_dword v0, v[0:1], off
	s_waitcnt vmcnt(0)
	v_sub_f32_e32 v0, s12, v0
	v_mul_f32_e32 v0, 0x3fb8aa3b, v0
	v_exp_f32_e32 v18, v0
.LBB219_60:
	s_or_b64 exec, exec, s[0:1]
	v_or_b32_e32 v10, 1, v21
	v_cmp_gt_i32_e64 s[0:1], s27, v10
	s_and_saveexec_b64 s[2:3], s[0:1]
	s_cbranch_execz .LBB219_62
; %bb.61:
	v_add_u32_e32 v0, s26, v10
	v_ashrrev_i32_e32 v1, 31, v0
	v_mul_lo_u32 v2, v1, s30
	v_mul_lo_u32 v3, v0, s31
	v_mad_u64_u32 v[0:1], s[4:5], v0, s30, 0
	v_add3_u32 v1, v1, v3, v2
	v_lshl_add_u64 v[0:1], v[0:1], 2, s[10:11]
	global_load_dword v0, v[0:1], off
	s_waitcnt vmcnt(0)
	v_sub_f32_e32 v0, s12, v0
	v_mul_f32_e32 v0, 0x3fb8aa3b, v0
	v_exp_f32_e32 v16, v0
.LBB219_62:
	s_or_b64 exec, exec, s[2:3]
	v_or_b32_e32 v12, 2, v21
	v_cmp_gt_i32_e64 s[2:3], s27, v12
	v_mov_b32_e32 v17, 0
	v_mov_b32_e32 v20, 0
	s_and_saveexec_b64 s[4:5], s[2:3]
	s_cbranch_execz .LBB219_64
; %bb.63:
	v_add_u32_e32 v0, s26, v12
	v_ashrrev_i32_e32 v1, 31, v0
	v_mul_lo_u32 v2, v1, s30
	v_mul_lo_u32 v3, v0, s31
	v_mad_u64_u32 v[0:1], s[6:7], v0, s30, 0
	v_add3_u32 v1, v1, v3, v2
	v_lshl_add_u64 v[0:1], v[0:1], 2, s[10:11]
	global_load_dword v0, v[0:1], off
	s_waitcnt vmcnt(0)
	v_sub_f32_e32 v0, s12, v0
	v_mul_f32_e32 v0, 0x3fb8aa3b, v0
	v_exp_f32_e32 v20, v0
.LBB219_64:
	s_or_b64 exec, exec, s[4:5]
	v_or_b32_e32 v14, 3, v21
	v_cmp_gt_i32_e64 s[4:5], s27, v14
	s_and_saveexec_b64 s[6:7], s[4:5]
	s_cbranch_execz .LBB219_66
; %bb.65:
	v_add_u32_e32 v0, s26, v14
	v_ashrrev_i32_e32 v1, 31, v0
	v_mul_lo_u32 v2, v1, s30
	v_mul_lo_u32 v3, v0, s31
	v_mad_u64_u32 v[0:1], s[14:15], v0, s30, 0
	v_add3_u32 v1, v1, v3, v2
	v_lshl_add_u64 v[0:1], v[0:1], 2, s[10:11]
	global_load_dword v0, v[0:1], off
	s_waitcnt vmcnt(0)
	v_sub_f32_e32 v0, s12, v0
	v_mul_f32_e32 v0, 0x3fb8aa3b, v0
	v_exp_f32_e32 v17, v0
.LBB219_66:
	s_or_b64 exec, exec, s[6:7]
	s_add_u32 s6, s8, s20
	s_addc_u32 s7, s9, s21
	s_add_u32 s8, s28, s20
	v_ashrrev_i32_e32 v79, 31, v78
	v_accvgpr_read_b32 v0, a12
	s_addc_u32 s9, s29, s21
	v_lshlrev_b64 v[4:5], 1, v[78:79]
	v_accvgpr_read_b32 v1, a13
	v_accvgpr_read_b32 v2, a14
	;; [unrolled: 1-line block ×3, first 2 shown]
	v_lshl_add_u64 v[6:7], s[6:7], 0, v[4:5]
	v_lshl_add_u64 v[4:5], s[8:9], 0, v[4:5]
	v_mov_b32_e32 v11, 0
	v_lshlrev_b32_e32 v8, 8, v21
	v_mov_b32_e32 v9, 0
	s_and_saveexec_b64 s[6:7], vcc
	s_cbranch_execz .LBB219_68
; %bb.67:
	v_mov_b32_e32 v9, 0
	v_lshl_add_u64 v[24:25], v[6:7], 0, v[8:9]
	global_load_ushort v13, v[24:25], off
	v_lshl_add_u64 v[24:25], v[4:5], 0, v[8:9]
	s_waitcnt vmcnt(0)
	v_lshlrev_b32_e32 v9, 16, v13
	v_sub_f32_e32 v0, v9, v0
	global_store_short_d16_hi v[24:25], v0, off
	v_mul_f32_e32 v0, v18, v0
	v_lshrrev_b32_e32 v9, 16, v0
.LBB219_68:
	s_or_b64 exec, exec, s[6:7]
	v_lshlrev_b32_e32 v10, 8, v10
	s_and_saveexec_b64 s[6:7], s[0:1]
	s_cbranch_execz .LBB219_70
; %bb.69:
	v_mov_b32_e32 v11, 0
	v_lshl_add_u64 v[24:25], v[6:7], 0, v[10:11]
	global_load_ushort v0, v[24:25], off
	v_lshl_add_u64 v[24:25], v[4:5], 0, v[10:11]
	s_waitcnt vmcnt(0)
	v_lshlrev_b32_e32 v0, 16, v0
	v_sub_f32_e32 v0, v0, v1
	global_store_short_d16_hi v[24:25], v0, off
	v_mul_f32_e32 v0, v16, v0
	v_lshrrev_b32_e32 v11, 16, v0
.LBB219_70:
	s_or_b64 exec, exec, s[6:7]
	v_mov_b32_e32 v15, 0
	v_lshlrev_b32_e32 v12, 8, v12
	v_mov_b32_e32 v13, 0
	s_and_saveexec_b64 s[6:7], s[2:3]
	s_cbranch_execz .LBB219_72
; %bb.71:
	v_mov_b32_e32 v13, 0
	v_lshl_add_u64 v[0:1], v[6:7], 0, v[12:13]
	global_load_ushort v24, v[0:1], off
	v_lshl_add_u64 v[0:1], v[4:5], 0, v[12:13]
	s_waitcnt vmcnt(0)
	v_lshlrev_b32_e32 v13, 16, v24
	v_sub_f32_e32 v2, v13, v2
	global_store_short_d16_hi v[0:1], v2, off
	v_mul_f32_e32 v0, v20, v2
	v_lshrrev_b32_e32 v13, 16, v0
.LBB219_72:
	s_or_b64 exec, exec, s[6:7]
	v_lshlrev_b32_e32 v14, 8, v14
	s_and_saveexec_b64 s[6:7], s[4:5]
	s_cbranch_execz .LBB219_74
; %bb.73:
	v_mov_b32_e32 v15, 0
	v_lshl_add_u64 v[0:1], v[6:7], 0, v[14:15]
	global_load_ushort v2, v[0:1], off
	v_lshl_add_u64 v[0:1], v[4:5], 0, v[14:15]
	s_waitcnt vmcnt(0)
	v_lshlrev_b32_e32 v2, 16, v2
	v_sub_f32_e32 v2, v2, v3
	global_store_short_d16_hi v[0:1], v2, off
	v_mul_f32_e32 v0, v17, v2
	v_lshrrev_b32_e32 v15, 16, v0
.LBB219_74:
	s_or_b64 exec, exec, s[6:7]
	v_lshlrev_b32_e32 v21, 6, v21
	s_mov_b32 s6, 0x5040100
	v_perm_b32 v24, v11, v9, s6
	v_or_b32_e32 v9, v21, v34
	v_accvgpr_read_b32 v0, a8
	v_perm_b32 v25, v15, v13, s6
	v_lshlrev_b32_e32 v9, 1, v9
	v_accvgpr_read_b32 v1, a9
	v_accvgpr_read_b32 v2, a10
	;; [unrolled: 1-line block ×3, first 2 shown]
	ds_write_b64 v9, v[24:25] offset:24576
	v_mov_b32_e32 v11, 0
	v_mov_b32_e32 v9, 0
	s_and_saveexec_b64 s[6:7], vcc
	s_cbranch_execz .LBB219_76
; %bb.75:
	v_mov_b32_e32 v9, 0
	v_lshl_add_u64 v[24:25], v[6:7], 0, v[8:9]
	global_load_ushort v13, v[24:25], off offset:32
	v_lshl_add_u64 v[24:25], v[4:5], 0, v[8:9]
	s_waitcnt vmcnt(0)
	v_lshlrev_b32_e32 v9, 16, v13
	v_sub_f32_e32 v0, v9, v0
	global_store_short_d16_hi v[24:25], v0, off offset:32
	v_mul_f32_e32 v0, v18, v0
	v_lshrrev_b32_e32 v9, 16, v0
.LBB219_76:
	s_or_b64 exec, exec, s[6:7]
	s_and_saveexec_b64 s[6:7], s[0:1]
	s_cbranch_execz .LBB219_78
; %bb.77:
	v_mov_b32_e32 v11, 0
	v_lshl_add_u64 v[24:25], v[6:7], 0, v[10:11]
	global_load_ushort v0, v[24:25], off offset:32
	v_lshl_add_u64 v[24:25], v[4:5], 0, v[10:11]
	s_waitcnt vmcnt(0)
	v_lshlrev_b32_e32 v0, 16, v0
	v_sub_f32_e32 v0, v0, v1
	global_store_short_d16_hi v[24:25], v0, off offset:32
	v_mul_f32_e32 v0, v16, v0
	v_lshrrev_b32_e32 v11, 16, v0
.LBB219_78:
	s_or_b64 exec, exec, s[6:7]
	v_mov_b32_e32 v15, 0
	v_mov_b32_e32 v13, 0
	s_and_saveexec_b64 s[6:7], s[2:3]
	s_cbranch_execz .LBB219_80
; %bb.79:
	v_mov_b32_e32 v13, 0
	v_lshl_add_u64 v[0:1], v[6:7], 0, v[12:13]
	global_load_ushort v24, v[0:1], off offset:32
	v_lshl_add_u64 v[0:1], v[4:5], 0, v[12:13]
	s_waitcnt vmcnt(0)
	v_lshlrev_b32_e32 v13, 16, v24
	v_sub_f32_e32 v2, v13, v2
	global_store_short_d16_hi v[0:1], v2, off offset:32
	v_mul_f32_e32 v0, v20, v2
	v_lshrrev_b32_e32 v13, 16, v0
.LBB219_80:
	s_or_b64 exec, exec, s[6:7]
	s_and_saveexec_b64 s[6:7], s[4:5]
	s_cbranch_execz .LBB219_82
; %bb.81:
	v_mov_b32_e32 v15, 0
	v_lshl_add_u64 v[0:1], v[6:7], 0, v[14:15]
	global_load_ushort v2, v[0:1], off offset:32
	v_lshl_add_u64 v[0:1], v[4:5], 0, v[14:15]
	s_waitcnt vmcnt(0)
	v_lshlrev_b32_e32 v2, 16, v2
	v_sub_f32_e32 v2, v2, v3
	global_store_short_d16_hi v[0:1], v2, off offset:32
	v_mul_f32_e32 v0, v17, v2
	v_lshrrev_b32_e32 v15, 16, v0
.LBB219_82:
	s_or_b64 exec, exec, s[6:7]
	s_mov_b32 s6, 0x5040100
	v_perm_b32 v24, v11, v9, s6
	v_or_b32_e32 v9, v21, v23
	v_accvgpr_read_b32 v0, a4
	v_perm_b32 v25, v15, v13, s6
	v_lshlrev_b32_e32 v9, 1, v9
	v_accvgpr_read_b32 v1, a5
	v_accvgpr_read_b32 v2, a6
	;; [unrolled: 1-line block ×3, first 2 shown]
	ds_write_b64 v9, v[24:25] offset:24576
	v_mov_b32_e32 v11, 0
	v_mov_b32_e32 v9, 0
	s_and_saveexec_b64 s[6:7], vcc
	s_cbranch_execz .LBB219_84
; %bb.83:
	v_mov_b32_e32 v9, 0
	v_lshl_add_u64 v[24:25], v[6:7], 0, v[8:9]
	global_load_ushort v13, v[24:25], off offset:64
	v_lshl_add_u64 v[24:25], v[4:5], 0, v[8:9]
	s_waitcnt vmcnt(0)
	v_lshlrev_b32_e32 v9, 16, v13
	v_sub_f32_e32 v0, v9, v0
	global_store_short_d16_hi v[24:25], v0, off offset:64
	v_mul_f32_e32 v0, v18, v0
	v_lshrrev_b32_e32 v9, 16, v0
.LBB219_84:
	s_or_b64 exec, exec, s[6:7]
	s_and_saveexec_b64 s[6:7], s[0:1]
	s_cbranch_execz .LBB219_86
; %bb.85:
	v_mov_b32_e32 v11, 0
	v_lshl_add_u64 v[24:25], v[6:7], 0, v[10:11]
	global_load_ushort v0, v[24:25], off offset:64
	v_lshl_add_u64 v[24:25], v[4:5], 0, v[10:11]
	s_waitcnt vmcnt(0)
	v_lshlrev_b32_e32 v0, 16, v0
	v_sub_f32_e32 v0, v0, v1
	global_store_short_d16_hi v[24:25], v0, off offset:64
	v_mul_f32_e32 v0, v16, v0
	v_lshrrev_b32_e32 v11, 16, v0
.LBB219_86:
	s_or_b64 exec, exec, s[6:7]
	v_mov_b32_e32 v15, 0
	v_mov_b32_e32 v13, 0
	s_and_saveexec_b64 s[6:7], s[2:3]
	s_cbranch_execz .LBB219_88
; %bb.87:
	v_mov_b32_e32 v13, 0
	v_lshl_add_u64 v[0:1], v[6:7], 0, v[12:13]
	global_load_ushort v23, v[0:1], off offset:64
	v_lshl_add_u64 v[0:1], v[4:5], 0, v[12:13]
	s_waitcnt vmcnt(0)
	v_lshlrev_b32_e32 v13, 16, v23
	v_sub_f32_e32 v2, v13, v2
	global_store_short_d16_hi v[0:1], v2, off offset:64
	v_mul_f32_e32 v0, v20, v2
	v_lshrrev_b32_e32 v13, 16, v0
.LBB219_88:
	s_or_b64 exec, exec, s[6:7]
	s_and_saveexec_b64 s[6:7], s[4:5]
	s_cbranch_execz .LBB219_90
; %bb.89:
	v_mov_b32_e32 v15, 0
	v_lshl_add_u64 v[0:1], v[6:7], 0, v[14:15]
	global_load_ushort v2, v[0:1], off offset:64
	v_lshl_add_u64 v[0:1], v[4:5], 0, v[14:15]
	s_waitcnt vmcnt(0)
	v_lshlrev_b32_e32 v2, 16, v2
	v_sub_f32_e32 v2, v2, v3
	global_store_short_d16_hi v[0:1], v2, off offset:64
	v_mul_f32_e32 v0, v17, v2
	v_lshrrev_b32_e32 v15, 16, v0
.LBB219_90:
	s_or_b64 exec, exec, s[6:7]
	s_mov_b32 s6, 0x5040100
	v_perm_b32 v24, v11, v9, s6
	v_or_b32_e32 v9, v21, v22
	v_accvgpr_read_b32 v0, a0
	v_perm_b32 v25, v15, v13, s6
	v_lshlrev_b32_e32 v9, 1, v9
	v_accvgpr_read_b32 v1, a1
	v_accvgpr_read_b32 v2, a2
	;; [unrolled: 1-line block ×3, first 2 shown]
	ds_write_b64 v9, v[24:25] offset:24576
	v_mov_b32_e32 v11, 0
	v_mov_b32_e32 v9, 0
	s_and_saveexec_b64 s[6:7], vcc
	s_cbranch_execz .LBB219_92
; %bb.91:
	v_mov_b32_e32 v9, 0
	v_lshl_add_u64 v[22:23], v[6:7], 0, v[8:9]
	global_load_ushort v13, v[22:23], off offset:96
	v_lshl_add_u64 v[8:9], v[4:5], 0, v[8:9]
	s_waitcnt vmcnt(0)
	v_lshlrev_b32_e32 v13, 16, v13
	v_sub_f32_e32 v0, v13, v0
	global_store_short_d16_hi v[8:9], v0, off offset:96
	v_mul_f32_e32 v0, v18, v0
	v_lshrrev_b32_e32 v9, 16, v0
.LBB219_92:
	s_or_b64 exec, exec, s[6:7]
	s_and_saveexec_b64 s[6:7], s[0:1]
	s_cbranch_execz .LBB219_94
; %bb.93:
	v_mov_b32_e32 v11, 0
	v_lshl_add_u64 v[22:23], v[6:7], 0, v[10:11]
	global_load_ushort v0, v[22:23], off offset:96
	v_lshl_add_u64 v[10:11], v[4:5], 0, v[10:11]
	s_waitcnt vmcnt(0)
	v_lshlrev_b32_e32 v0, 16, v0
	v_sub_f32_e32 v0, v0, v1
	global_store_short_d16_hi v[10:11], v0, off offset:96
	v_mul_f32_e32 v0, v16, v0
	v_lshrrev_b32_e32 v11, 16, v0
.LBB219_94:
	s_or_b64 exec, exec, s[6:7]
	v_mov_b32_e32 v0, 0
	v_mov_b32_e32 v1, 0
	s_and_saveexec_b64 s[0:1], s[2:3]
	s_cbranch_execz .LBB219_96
; %bb.95:
	v_mov_b32_e32 v13, 0
	v_lshl_add_u64 v[22:23], v[6:7], 0, v[12:13]
	global_load_ushort v1, v[22:23], off offset:96
	v_lshl_add_u64 v[12:13], v[4:5], 0, v[12:13]
	s_waitcnt vmcnt(0)
	v_lshlrev_b32_e32 v1, 16, v1
	v_sub_f32_e32 v1, v1, v2
	global_store_short_d16_hi v[12:13], v1, off offset:96
	v_mul_f32_e32 v1, v20, v1
	v_lshrrev_b32_e32 v1, 16, v1
.LBB219_96:
	s_or_b64 exec, exec, s[0:1]
	s_and_saveexec_b64 s[0:1], s[4:5]
	s_cbranch_execz .LBB219_98
; %bb.97:
	v_mov_b32_e32 v15, 0
	v_lshl_add_u64 v[6:7], v[6:7], 0, v[14:15]
	global_load_ushort v0, v[6:7], off offset:96
	v_lshl_add_u64 v[4:5], v[4:5], 0, v[14:15]
	s_waitcnt vmcnt(0)
	v_lshlrev_b32_e32 v0, 16, v0
	v_sub_f32_e32 v0, v0, v3
	global_store_short_d16_hi v[4:5], v0, off offset:96
	v_mul_f32_e32 v0, v17, v0
	v_lshrrev_b32_e32 v0, 16, v0
.LBB219_98:
	s_or_b64 exec, exec, s[0:1]
	s_mov_b32 s0, 0x5040100
	v_or_b32_e32 v2, v21, v19
	v_perm_b32 v1, v0, v1, s0
	v_perm_b32 v0, v11, v9, s0
	v_lshlrev_b32_e32 v2, 1, v2
	ds_write_b64 v2, v[0:1] offset:24576
	s_waitcnt lgkmcnt(0)
	s_barrier
.LBB219_99:
	s_endpgm
	.section	.rodata,"a",@progbits
	.p2align	6, 0x0
	.amdhsa_kernel _ZN12_GLOBAL__N_139chunk_gated_delta_rule_fwd_h_hip_kernelILi64ELb1ELb0ELb1ELb0ELb0ELb1ELb0ELb0EEEvPK12hip_bfloat16S3_S3_PKfS5_PKvPS1_S8_PvPKiSB_iiiiilll
		.amdhsa_group_segment_fixed_size 65536
		.amdhsa_private_segment_fixed_size 0
		.amdhsa_kernarg_size 136
		.amdhsa_user_sgpr_count 2
		.amdhsa_user_sgpr_dispatch_ptr 0
		.amdhsa_user_sgpr_queue_ptr 0
		.amdhsa_user_sgpr_kernarg_segment_ptr 1
		.amdhsa_user_sgpr_dispatch_id 0
		.amdhsa_user_sgpr_kernarg_preload_length 0
		.amdhsa_user_sgpr_kernarg_preload_offset 0
		.amdhsa_user_sgpr_private_segment_size 0
		.amdhsa_uses_dynamic_stack 0
		.amdhsa_enable_private_segment 0
		.amdhsa_system_sgpr_workgroup_id_x 1
		.amdhsa_system_sgpr_workgroup_id_y 1
		.amdhsa_system_sgpr_workgroup_id_z 0
		.amdhsa_system_sgpr_workgroup_info 0
		.amdhsa_system_vgpr_workitem_id 0
		.amdhsa_next_free_vgpr 232
		.amdhsa_next_free_sgpr 71
		.amdhsa_accum_offset 192
		.amdhsa_reserve_vcc 1
		.amdhsa_float_round_mode_32 0
		.amdhsa_float_round_mode_16_64 0
		.amdhsa_float_denorm_mode_32 3
		.amdhsa_float_denorm_mode_16_64 3
		.amdhsa_dx10_clamp 1
		.amdhsa_ieee_mode 1
		.amdhsa_fp16_overflow 0
		.amdhsa_tg_split 0
		.amdhsa_exception_fp_ieee_invalid_op 0
		.amdhsa_exception_fp_denorm_src 0
		.amdhsa_exception_fp_ieee_div_zero 0
		.amdhsa_exception_fp_ieee_overflow 0
		.amdhsa_exception_fp_ieee_underflow 0
		.amdhsa_exception_fp_ieee_inexact 0
		.amdhsa_exception_int_div_zero 0
	.end_amdhsa_kernel
	.section	.text._ZN12_GLOBAL__N_139chunk_gated_delta_rule_fwd_h_hip_kernelILi64ELb1ELb0ELb1ELb0ELb0ELb1ELb0ELb0EEEvPK12hip_bfloat16S3_S3_PKfS5_PKvPS1_S8_PvPKiSB_iiiiilll,"axG",@progbits,_ZN12_GLOBAL__N_139chunk_gated_delta_rule_fwd_h_hip_kernelILi64ELb1ELb0ELb1ELb0ELb0ELb1ELb0ELb0EEEvPK12hip_bfloat16S3_S3_PKfS5_PKvPS1_S8_PvPKiSB_iiiiilll,comdat
.Lfunc_end219:
	.size	_ZN12_GLOBAL__N_139chunk_gated_delta_rule_fwd_h_hip_kernelILi64ELb1ELb0ELb1ELb0ELb0ELb1ELb0ELb0EEEvPK12hip_bfloat16S3_S3_PKfS5_PKvPS1_S8_PvPKiSB_iiiiilll, .Lfunc_end219-_ZN12_GLOBAL__N_139chunk_gated_delta_rule_fwd_h_hip_kernelILi64ELb1ELb0ELb1ELb0ELb0ELb1ELb0ELb0EEEvPK12hip_bfloat16S3_S3_PKfS5_PKvPS1_S8_PvPKiSB_iiiiilll
                                        ; -- End function
	.section	.AMDGPU.csdata,"",@progbits
; Kernel info:
; codeLenInByte = 11536
; NumSgprs: 77
; NumVgprs: 192
; NumAgprs: 40
; TotalNumVgprs: 232
; ScratchSize: 0
; MemoryBound: 0
; FloatMode: 240
; IeeeMode: 1
; LDSByteSize: 65536 bytes/workgroup (compile time only)
; SGPRBlocks: 9
; VGPRBlocks: 28
; NumSGPRsForWavesPerEU: 77
; NumVGPRsForWavesPerEU: 232
; AccumOffset: 192
; Occupancy: 1
; WaveLimiterHint : 1
; COMPUTE_PGM_RSRC2:SCRATCH_EN: 0
; COMPUTE_PGM_RSRC2:USER_SGPR: 2
; COMPUTE_PGM_RSRC2:TRAP_HANDLER: 0
; COMPUTE_PGM_RSRC2:TGID_X_EN: 1
; COMPUTE_PGM_RSRC2:TGID_Y_EN: 1
; COMPUTE_PGM_RSRC2:TGID_Z_EN: 0
; COMPUTE_PGM_RSRC2:TIDIG_COMP_CNT: 0
; COMPUTE_PGM_RSRC3_GFX90A:ACCUM_OFFSET: 47
; COMPUTE_PGM_RSRC3_GFX90A:TG_SPLIT: 0
	.section	.text._ZN12_GLOBAL__N_139chunk_gated_delta_rule_fwd_h_hip_kernelILi64ELb1ELb0ELb0ELb0ELb0ELb1ELb0ELb0EEEvPK12hip_bfloat16S3_S3_PKfS5_PKvPS1_S8_PvPKiSB_iiiiilll,"axG",@progbits,_ZN12_GLOBAL__N_139chunk_gated_delta_rule_fwd_h_hip_kernelILi64ELb1ELb0ELb0ELb0ELb0ELb1ELb0ELb0EEEvPK12hip_bfloat16S3_S3_PKfS5_PKvPS1_S8_PvPKiSB_iiiiilll,comdat
	.globl	_ZN12_GLOBAL__N_139chunk_gated_delta_rule_fwd_h_hip_kernelILi64ELb1ELb0ELb0ELb0ELb0ELb1ELb0ELb0EEEvPK12hip_bfloat16S3_S3_PKfS5_PKvPS1_S8_PvPKiSB_iiiiilll ; -- Begin function _ZN12_GLOBAL__N_139chunk_gated_delta_rule_fwd_h_hip_kernelILi64ELb1ELb0ELb0ELb0ELb0ELb1ELb0ELb0EEEvPK12hip_bfloat16S3_S3_PKfS5_PKvPS1_S8_PvPKiSB_iiiiilll
	.p2align	8
	.type	_ZN12_GLOBAL__N_139chunk_gated_delta_rule_fwd_h_hip_kernelILi64ELb1ELb0ELb0ELb0ELb0ELb1ELb0ELb0EEEvPK12hip_bfloat16S3_S3_PKfS5_PKvPS1_S8_PvPKiSB_iiiiilll,@function
_ZN12_GLOBAL__N_139chunk_gated_delta_rule_fwd_h_hip_kernelILi64ELb1ELb0ELb0ELb0ELb0ELb1ELb0ELb0EEEvPK12hip_bfloat16S3_S3_PKfS5_PKvPS1_S8_PvPKiSB_iiiiilll: ; @_ZN12_GLOBAL__N_139chunk_gated_delta_rule_fwd_h_hip_kernelILi64ELb1ELb0ELb0ELb0ELb0ELb1ELb0ELb0EEEvPK12hip_bfloat16S3_S3_PKfS5_PKvPS1_S8_PvPKiSB_iiiiilll
; %bb.0:
	s_load_dwordx4 s[12:15], s[0:1], 0x5c
	s_load_dwordx4 s[16:19], s[0:1], 0x28
	s_abs_i32 s6, s3
	s_ashr_i32 s5, s3, 31
	v_and_b32_e32 v88, 15, v0
	s_waitcnt lgkmcnt(0)
	s_abs_i32 s4, s13
	v_cvt_f32_u32_e32 v1, s4
	s_sub_i32 s8, 0, s4
	s_ashr_i32 s7, s13, 31
	s_xor_b32 s5, s5, s7
	v_rcp_iflag_f32_e32 v1, v1
	v_lshrrev_b32_e32 v86, 6, v0
	v_bfe_u32 v87, v0, 4, 2
	v_mov_b32_e32 v11, 0
	v_mul_f32_e32 v1, 0x4f7ffffe, v1
	v_cvt_u32_f32_e32 v1, v1
	v_and_b32_e32 v77, 63, v0
	v_lshrrev_b32_e32 v90, 3, v77
	v_lshlrev_b32_e32 v89, 3, v0
	v_readfirstlane_b32 s9, v1
	s_mul_i32 s8, s8, s9
	s_mul_hi_u32 s8, s9, s8
	s_add_i32 s9, s9, s8
	s_mul_hi_u32 s8, s6, s9
	s_mul_i32 s9, s8, s4
	s_sub_i32 s6, s6, s9
	s_add_i32 s10, s8, 1
	s_sub_i32 s9, s6, s4
	s_cmp_ge_u32 s6, s4
	s_cselect_b32 s8, s10, s8
	s_cselect_b32 s6, s9, s6
	s_add_i32 s9, s8, 1
	s_cmp_ge_u32 s6, s4
	s_cselect_b32 s6, s9, s8
	s_xor_b32 s6, s6, s5
	s_sub_i32 s51, s6, s5
	s_mul_i32 s6, s51, s13
	s_sub_i32 s48, s3, s6
	s_abs_i32 s3, s14
	v_cvt_f32_u32_e32 v1, s3
	s_add_i32 s8, s12, 63
	s_ashr_i32 s9, s8, 31
	s_lshr_b32 s5, s9, 26
	v_rcp_iflag_f32_e32 v1, v1
	s_ashr_i32 s50, s12, 31
	s_add_i32 s8, s8, s5
	s_lshr_b32 s5, s50, 26
	v_mul_f32_e32 v1, 0x4f7ffffe, v1
	v_cvt_u32_f32_e32 v1, v1
	s_add_i32 s5, s12, s5
	s_ashr_i32 s53, s14, 31
	s_ashr_i32 s52, s5, 6
	s_lshl_b32 s36, s2, 6
	s_xor_b32 s2, s7, s53
	s_sub_i32 s5, 0, s3
	v_readfirstlane_b32 s7, v1
	s_mul_i32 s5, s5, s7
	s_mul_hi_u32 s5, s7, s5
	s_add_i32 s7, s7, s5
	s_mul_hi_u32 s5, s4, s7
	s_mul_i32 s7, s5, s3
	s_sub_i32 s4, s4, s7
	s_ashr_i32 s25, s8, 6
	s_add_i32 s7, s5, 1
	s_sub_i32 s8, s4, s3
	s_cmp_ge_u32 s4, s3
	s_cselect_b32 s5, s7, s5
	s_cselect_b32 s4, s8, s4
	s_add_i32 s7, s5, 1
	s_cmp_ge_u32 s4, s3
	s_cselect_b32 s3, s7, s5
	s_xor_b32 s3, s3, s2
	s_sub_i32 s2, s3, s2
	s_abs_i32 s3, s2
	v_cvt_f32_u32_e32 v1, s3
	s_sub_i32 s5, 0, s3
	s_abs_i32 s4, s48
	s_xor_b32 s2, s48, s2
	v_rcp_iflag_f32_e32 v1, v1
	s_ashr_i32 s2, s2, 31
	v_or_b32_e32 v78, s36, v88
	v_lshlrev_b32_e32 v2, 7, v78
	v_mul_f32_e32 v1, 0x4f7ffffe, v1
	v_cvt_u32_f32_e32 v1, v1
	v_ashrrev_i32_e32 v3, 31, v2
	s_mul_i32 s55, s51, s25
	v_readfirstlane_b32 s7, v1
	s_mul_i32 s5, s5, s7
	s_mul_hi_u32 s5, s7, s5
	s_add_i32 s7, s7, s5
	s_mul_hi_u32 s5, s4, s7
	s_mul_i32 s7, s5, s3
	s_sub_i32 s4, s4, s7
	s_add_i32 s7, s5, 1
	s_sub_i32 s8, s4, s3
	s_cmp_ge_u32 s4, s3
	s_cselect_b32 s5, s7, s5
	s_cselect_b32 s4, s8, s4
	s_add_i32 s7, s5, 1
	s_cmp_ge_u32 s4, s3
	s_cselect_b32 s3, s7, s5
	s_xor_b32 s3, s3, s2
	s_sub_i32 s54, s3, s2
	s_ashr_i32 s24, s51, 31
	s_ashr_i32 s49, s48, 31
	s_mul_hi_i32 s2, s51, s13
	s_add_u32 s38, s6, s48
	s_addc_u32 s39, s2, s49
	s_lshl_b64 s[2:3], s[38:39], 16
	v_lshlrev_b32_e32 v1, 4, v86
	s_add_u32 s2, s16, s2
	v_lshl_or_b32 v91, v87, 2, v1
	s_addc_u32 s3, s17, s3
	v_lshl_add_u64 v[4:5], v[2:3], 2, s[2:3]
	v_lshlrev_b32_e32 v10, 2, v91
	v_lshl_add_u64 v[4:5], v[4:5], 0, v[10:11]
	global_load_dwordx4 v[22:25], v[4:5], off
	global_load_dwordx4 v[30:33], v[4:5], off offset:256
	v_or_b32_e32 v4, 0x800, v2
	v_ashrrev_i32_e32 v5, 31, v4
	v_lshl_add_u64 v[4:5], v[4:5], 2, s[2:3]
	v_lshl_add_u64 v[4:5], v[4:5], 0, v[10:11]
	global_load_dwordx4 v[14:17], v[4:5], off
	global_load_dwordx4 v[26:29], v[4:5], off offset:256
	v_or_b32_e32 v4, 0x1000, v2
	v_or_b32_e32 v2, 0x1800, v2
	v_ashrrev_i32_e32 v5, 31, v4
	v_ashrrev_i32_e32 v3, 31, v2
	v_lshl_add_u64 v[4:5], v[4:5], 2, s[2:3]
	v_lshl_add_u64 v[2:3], v[2:3], 2, s[2:3]
	;; [unrolled: 1-line block ×4, first 2 shown]
	global_load_dwordx4 v[6:9], v[4:5], off
	global_load_dwordx4 v[18:21], v[4:5], off offset:256
	s_nop 0
	global_load_dwordx4 v[2:5], v[34:35], off
	global_load_dwordx4 v[10:13], v[34:35], off offset:256
	s_load_dwordx8 s[4:11], s[0:1], 0x0
	s_load_dwordx2 s[28:29], s[0:1], 0x80
	s_load_dwordx4 s[20:23], s[0:1], 0x70
	v_or_b32_e32 v92, 64, v91
	s_cmp_lt_i32 s12, 64
	s_mul_i32 s56, s39, s12
	s_mul_hi_u32 s57, s38, s12
	s_mul_i32 s16, s38, s12
	s_waitcnt lgkmcnt(0)
	s_mul_i32 s33, s51, s21
	s_mul_hi_u32 s44, s51, s20
	s_mul_i32 s39, s24, s20
	s_mul_i32 s34, s51, s20
	;; [unrolled: 1-line block ×3, first 2 shown]
	s_mul_hi_u32 s46, s48, s22
	s_mul_i32 s47, s49, s22
	s_mul_i32 s30, s48, s22
	s_cbranch_scc1 .LBB220_18
; %bb.1:
	s_add_i32 s17, s57, s56
	s_lshl_b64 s[2:3], s[16:17], 8
	v_and_b32_e32 v94, 56, v89
	s_add_u32 s20, s6, s2
	v_lshl_or_b32 v93, v86, 3, v90
	v_lshlrev_b32_e32 v34, 1, v94
	s_addc_u32 s2, s7, s3
	v_lshl_or_b32 v95, v93, 8, v34
	s_and_b32 s21, s2, 0xffff
	s_mov_b32 s23, 0x20000
	s_movk_i32 s22, 0x4000
	s_movk_i32 s2, 0x80
	v_or_b32_e32 v96, 0x2000, v95
	buffer_load_dwordx4 v[36:39], v95, s[20:23], 0 offen
	buffer_load_dwordx4 v[40:43], v95, s[20:23], s2 offen
	buffer_load_dwordx4 v[44:47], v96, s[20:23], 0 offen
	buffer_load_dwordx4 v[48:51], v96, s[20:23], s2 offen
	v_lshlrev_b32_e32 v35, 3, v93
	v_and_or_b32 v53, v0, 7, v35
	v_and_b32_e32 v35, 0x78, v35
	v_lshlrev_b32_e32 v53, 4, v53
	v_xor_b32_e32 v97, v53, v35
	v_mul_lo_u32 v52, v93, s15
	v_or_b32_e32 v98, 0x1000, v97
	v_xor_b32_e32 v35, 8, v97
	s_cmpk_eq_i32 s15, 0x80
	s_mov_b32 s58, s14
	v_xor_b32_e32 v53, 8, v98
	s_cselect_b64 s[2:3], -1, 0
	s_cmpk_lg_i32 s15, 0x80
	s_waitcnt vmcnt(3)
	ds_write_b64 v97, v[36:37] offset:49152
	ds_write_b64 v35, v[38:39] offset:49152
	s_waitcnt vmcnt(2)
	ds_write_b64 v97, v[40:41] offset:57344
	ds_write_b64 v35, v[42:43] offset:57344
	;; [unrolled: 3-line block ×4, first 2 shown]
	v_lshl_add_u32 v35, v52, 1, v94
	s_cbranch_scc0 .LBB220_3
; %bb.2:
	v_lshlrev_b32_e32 v37, 1, v35
	v_add_lshl_u32 v36, v35, s15, 1
	s_lshl_b32 s22, s15, 7
	s_load_dwordx2 s[40:41], s[0:1], 0x20
	v_lshl_or_b32 v34, v93, 9, v34
	s_cbranch_execz .LBB220_4
	s_branch .LBB220_5
.LBB220_3:
                                        ; implicit-def: $vgpr36
                                        ; implicit-def: $vgpr37
                                        ; implicit-def: $sgpr22
	s_load_dwordx2 s[40:41], s[0:1], 0x20
	v_lshl_or_b32 v34, v93, 9, v34
.LBB220_4:
	v_or_b32_e32 v36, 0x100, v34
	s_movk_i32 s22, 0x4000
	v_mov_b32_e32 v37, v34
.LBB220_5:
	s_mul_hi_u32 s0, s14, s12
	s_mul_i32 s1, s53, s12
	s_add_i32 s0, s0, s1
	s_mul_i32 s1, s14, s12
	s_mul_i32 s20, s1, s24
	s_mul_hi_u32 s21, s1, s51
	s_add_i32 s20, s21, s20
	s_mul_i32 s0, s0, s51
	s_add_i32 s20, s20, s0
	s_mul_i32 s1, s1, s51
	s_ashr_i32 s59, s54, 31
	s_add_u32 s0, s1, s54
	s_addc_u32 s1, s20, s59
	s_lshl_b64 s[0:1], s[0:1], 8
	s_add_u32 s20, s4, s0
	s_addc_u32 s0, s5, s1
	s_and_b32 s21, s0, 0xffff
	s_movk_i32 s60, 0x80
	buffer_load_dwordx4 v[38:41], v37, s[20:23], 0 offen
	buffer_load_dwordx4 v[42:45], v37, s[20:23], s60 offen
	buffer_load_dwordx4 v[46:49], v36, s[20:23], 0 offen
	buffer_load_dwordx4 v[50:53], v36, s[20:23], s60 offen
	v_and_b32_e32 v37, 6, v0
	v_lshlrev_b32_e32 v36, 7, v91
	v_xor_b32_e32 v58, v93, v37
	v_and_b32_e32 v54, 1, v0
	v_lshl_or_b32 v61, v88, 3, v36
	v_lshlrev_b32_e32 v58, 2, v58
	v_or_b32_e32 v99, 0x4000, v61
	v_or_b32_e32 v100, 0x6000, v61
	v_xor_b32_e32 v61, 0x440, v58
	v_cmp_eq_u32_e32 vcc, 0, v54
	v_lshlrev_b32_e32 v55, 2, v88
	s_mov_b32 s63, 0x1000504
	v_cndmask_b32_e32 v54, v61, v58, vcc
	v_xor_b32_e32 v59, v91, v55
	v_xor_b32_e32 v60, v92, v55
	v_lshl_or_b32 v37, v37, 10, v54
	s_mov_b32 s64, 0x3020706
	v_lshlrev_b32_e32 v56, 8, v88
	v_or_b32_e32 v57, 16, v88
	v_lshlrev_b32_e32 v59, 1, v59
	v_lshlrev_b32_e32 v60, 1, v60
	v_xor_b32_e32 v54, 8, v37
	v_xor_b32_e32 v58, 24, v37
	;; [unrolled: 1-line block ×4, first 2 shown]
	s_mul_i32 s24, s24, s12
	s_mul_hi_u32 s0, s51, s12
	v_or_b32_e32 v102, v56, v59
	v_or_b32_e32 v103, v56, v60
	v_xor_b32_e32 v56, 16, v37
	v_xor_b32_e32 v61, 32, v37
	;; [unrolled: 1-line block ×3, first 2 shown]
	v_add_u32_e32 v54, 0x80, v54
	v_add_u32_e32 v58, 0x80, v58
	;; [unrolled: 1-line block ×4, first 2 shown]
	s_add_i32 s65, s0, s24
	s_add_i32 s0, s44, s33
	s_add_i32 s35, s0, s39
	s_add_i32 s0, s46, s45
	s_add_i32 s31, s0, s47
	s_lshl_b64 s[0:1], s[34:35], 2
	s_add_u32 s20, s10, s0
	s_addc_u32 s21, s11, s1
	s_lshl_b64 s[0:1], s[30:31], 2
	s_add_u32 s42, s20, s0
	s_movk_i32 s0, 0xf8
	s_addc_u32 s43, s21, s1
	s_ashr_i32 s37, s36, 31
	s_lshl_b32 s26, s15, 7
	v_mov_b32_e32 v81, 0
	s_movk_i32 s20, 0x100
	v_lshlrev_b32_e32 v80, 4, v88
	s_mul_i32 s61, s51, s12
	v_lshl_or_b32 v62, v57, 3, v36
	v_ashrrev_i32_e32 v79, 31, v78
	s_mov_b32 s62, 0
	v_or_b32_e32 v101, 0x4000, v62
	s_movk_i32 s22, 0x4000
	v_or_b32_e32 v104, 0x6000, v62
	v_lshl_add_u64 v[82:83], v[78:79], 1, s[8:9]
	s_mov_b32 s35, 0x7060302
	s_movk_i32 s66, 0x3000
	v_mov_b32_e32 v144, 0x3fb8aa3b
	s_mov_b32 s68, 0
	s_waitcnt vmcnt(1)
	v_perm_b32 v66, v38, v46, s63
	s_waitcnt vmcnt(0)
	v_perm_b32 v67, v42, v50, s63
	v_perm_b32 v38, v38, v46, s64
	;; [unrolled: 1-line block ×15, first 2 shown]
	ds_write2st64_b32 v37, v66, v67 offset0:128 offset1:160
	ds_write2st64_b32 v54, v38, v42 offset0:128 offset1:160
	;; [unrolled: 1-line block ×8, first 2 shown]
	v_lshlrev_b32_e32 v37, 8, v57
	v_or_b32_e32 v105, v37, v59
	v_or_b32_e32 v106, v37, v60
	;; [unrolled: 1-line block ×3, first 2 shown]
	v_lshl_or_b32 v38, v37, 3, v36
	v_lshlrev_b32_e32 v37, 8, v37
	v_or_b32_e32 v109, v37, v59
	v_or_b32_e32 v110, v37, v60
	;; [unrolled: 1-line block ×5, first 2 shown]
	v_lshl_or_b32 v38, v37, 3, v36
	v_lshlrev_b32_e32 v37, 8, v37
	v_or_b32_e32 v113, v37, v59
	v_or_b32_e32 v114, v37, v60
	;; [unrolled: 1-line block ×3, first 2 shown]
	v_lshlrev_b32_e32 v37, 3, v37
	v_lshrrev_b32_e32 v39, 5, v77
	v_and_or_b32 v39, v37, s0, v39
	v_lshlrev_b32_e32 v39, 4, v39
	v_or_b32_e32 v111, 0x4000, v38
	v_or_b32_e32 v112, 0x6000, v38
	v_lshrrev_b32_e32 v38, 2, v77
	v_lshlrev_b32_e32 v41, 11, v86
	v_and_b32_e32 v37, 0x78, v37
	v_or_b32_e32 v45, 32, v39
	v_and_b32_e32 v40, 12, v38
	v_and_b32_e32 v38, 0x1000, v41
	v_xor_b32_e32 v42, v39, v37
	v_lshrrev_b32_e32 v43, 1, v77
	v_xor_b32_e32 v45, v45, v37
	v_or_b32_e32 v42, v42, v38
	v_and_b32_e32 v43, 8, v43
	v_or_b32_e32 v45, v45, v38
	v_xor_b32_e32 v115, v42, v43
	v_lshlrev_b32_e32 v42, 8, v87
	v_xor_b32_e32 v117, v45, v43
	v_or_b32_e32 v45, 64, v39
	v_or_b32_e32 v39, 0x60, v39
	v_or_b32_e32 v44, v42, v55
	v_xor_b32_e32 v45, v45, v37
	v_xor_b32_e32 v37, v39, v37
	s_lshl_b64 s[0:1], s[36:37], 8
	v_lshlrev_b32_e32 v44, 1, v44
	v_or_b32_e32 v45, v45, v38
	v_or_b32_e32 v37, v37, v38
	s_add_u32 s0, s18, s0
	v_lshlrev_b32_e32 v38, 1, v88
	v_lshlrev_b32_e32 v47, 2, v0
	v_or_b32_e32 v116, 0x4000, v44
	v_or_b32_e32 v118, 0x4080, v44
	;; [unrolled: 1-line block ×4, first 2 shown]
	v_xor_b32_e32 v121, v45, v43
	v_xor_b32_e32 v122, v37, v43
	v_or_b32_e32 v123, 0x6000, v44
	v_or_b32_e32 v124, 0x6080, v44
	;; [unrolled: 1-line block ×4, first 2 shown]
	v_lshlrev_b32_e32 v37, 1, v35
	v_add_lshl_u32 v35, v35, s15, 1
	v_or_b32_e32 v43, 0x100, v34
	v_lshrrev_b32_e32 v44, 4, v0
	s_addc_u32 s1, s19, s1
	v_or_b32_e32 v39, 1, v38
	v_lshrrev_b32_e32 v48, 1, v0
	v_and_or_b32 v42, v47, 60, v42
	v_xor_b32_e32 v45, v44, v38
	v_xor_b32_e32 v46, v39, v44
	v_lshl_add_u64 v[38:39], s[0:1], 0, v[80:81]
	v_and_b32_e32 v48, 24, v48
	v_lshlrev_b32_e32 v42, 1, v42
	v_cndmask_b32_e64 v133, v37, v34, s[2:3]
	v_cndmask_b32_e64 v134, v35, v43, s[2:3]
	v_mov_b32_e32 v35, 0xa000
	v_mov_b32_e32 v37, 0x8000
	v_cmp_gt_u32_e64 s[0:1], s20, v0
	v_lshlrev_b32_e32 v80, 8, v44
	v_or_b32_e32 v129, 0x6000, v42
	v_or_b32_e32 v47, 32, v48
	;; [unrolled: 1-line block ×6, first 2 shown]
	v_cndmask_b32_e64 v35, v35, v37, s[0:1]
	v_lshlrev_b32_e32 v37, 3, v86
	v_lshl_or_b32 v127, v45, 3, v80
	v_and_b32_e32 v45, 8, v0
	v_xor_b32_e32 v43, v37, v48
	v_xor_b32_e32 v47, v37, v47
	;; [unrolled: 1-line block ×3, first 2 shown]
	v_mov_b32_e32 v49, 0x400
	v_cmp_eq_u32_e32 vcc, 0, v45
	v_or_b32_e32 v48, 0x440, v43
	v_or_b32_e32 v50, 0x440, v47
	v_xor_b32_e32 v42, 0x440, v37
	v_and_b32_e32 v44, 7, v0
	v_cndmask_b32_e64 v45, v49, 64, vcc
	v_cndmask_b32_e32 v48, v48, v43, vcc
	v_cndmask_b32_e32 v47, v50, v47, vcc
	;; [unrolled: 1-line block ×3, first 2 shown]
	v_lshl_or_b32 v128, v46, 3, v80
	v_lshlrev_b32_e32 v46, 3, v44
	v_or_b32_e32 v48, v48, v41
	v_or_b32_e32 v47, v47, v41
	v_or3_b32 v43, v41, v45, v43
	v_or_b32_e32 v37, v37, v41
	v_lshlrev_b32_e32 v44, 7, v44
	v_xor_b32_e32 v48, v48, v46
	v_xor_b32_e32 v47, v47, v46
	;; [unrolled: 1-line block ×4, first 2 shown]
	v_or_b32_e32 v34, v1, v40
	v_add_u32_e32 v49, v35, v48
	v_add_u32_e32 v50, v35, v47
	v_or_b32_e32 v135, v43, v44
	v_add_u32_e32 v41, v35, v37
	v_or3_b32 v40, v1, v40, 64
	v_add_u32_e32 v42, 0xa000, v48
	v_add_u32_e32 v43, 0xa000, v47
	;; [unrolled: 1-line block ×3, first 2 shown]
	v_lshl_add_u64 v[84:85], v[38:39], 0, v[80:81]
	s_add_i32 s31, s61, 63
	v_lshlrev_b32_e32 v80, 1, v36
	s_movk_i32 s37, 0x2000
	v_lshlrev_b32_e32 v79, 2, v34
	v_add_u32_e32 v136, v49, v44
	v_add_u32_e32 v137, v50, v44
	;; [unrolled: 1-line block ×4, first 2 shown]
	v_lshlrev_b32_e32 v140, 2, v40
	v_add_u32_e32 v141, v42, v44
	v_add_u32_e32 v142, v43, v44
	;; [unrolled: 1-line block ×3, first 2 shown]
	s_waitcnt lgkmcnt(0)
	s_barrier
.LBB220_6:                              ; =>This Inner Loop Header: Depth=1
	s_add_i32 s67, s68, 1
	s_cmp_lt_i32 s67, s52
	s_mov_b64 s[24:25], 0
	s_cselect_b64 s[2:3], -1, 0
	s_cmp_ge_i32 s67, s52
	s_mov_b64 s[20:21], 0
	s_cbranch_scc1 .LBB220_8
; %bb.7:                                ;   in Loop: Header=BB220_6 Depth=1
	s_add_i32 s0, s62, 64
	s_add_u32 s0, s16, s0
	s_addc_u32 s1, s17, 0
	s_lshl_b64 s[0:1], s[0:1], 8
	s_add_u32 s20, s6, s0
	s_addc_u32 s21, s7, s1
.LBB220_8:                              ;   in Loop: Header=BB220_6 Depth=1
	v_cndmask_b32_e64 v34, 0, 1, s[2:3]
	v_cmp_ne_u32_e64 s[0:1], 1, v34
	s_andn2_b64 vcc, exec, s[2:3]
	s_cbranch_vccnz .LBB220_10
; %bb.9:                                ;   in Loop: Header=BB220_6 Depth=1
	s_add_i32 s2, s62, 64
	s_add_u32 s2, s61, s2
	s_addc_u32 s3, s65, 0
	s_mul_i32 s24, s2, s53
	s_mul_hi_u32 s25, s2, s58
	s_add_i32 s24, s25, s24
	s_mul_i32 s3, s3, s58
	s_add_i32 s24, s24, s3
	s_mul_i32 s2, s2, s58
	s_add_u32 s2, s2, s54
	s_addc_u32 s3, s24, s59
	s_lshl_b64 s[2:3], s[2:3], 8
	s_add_u32 s24, s4, s2
	s_addc_u32 s25, s5, s3
.LBB220_10:                             ;   in Loop: Header=BB220_6 Depth=1
	v_perm_b32 v35, v25, v24, s35
	v_perm_b32 v34, v23, v22, s35
	v_perm_b32 v37, v33, v32, s35
	v_perm_b32 v36, v31, v30, s35
	ds_write_b64 v99, v[34:35]
	ds_write_b64 v100, v[36:37]
	ds_write_b64 v102, v[34:35]
	ds_write_b64 v103, v[36:37]
	v_perm_b32 v35, v17, v16, s35
	v_perm_b32 v34, v15, v14, s35
	v_perm_b32 v37, v29, v28, s35
	v_perm_b32 v36, v27, v26, s35
	ds_write_b64 v101, v[34:35]
	ds_write_b64 v104, v[36:37]
	ds_write_b64 v105, v[34:35]
	ds_write_b64 v106, v[36:37]
	;; [unrolled: 8-line block ×4, first 2 shown]
	s_waitcnt lgkmcnt(0)
	s_barrier
	ds_read_b64 v[38:39], v115 offset:49152
	ds_read2_b64 v[34:37], v116 offset1:16
	ds_read_b64 v[50:51], v118 offset:6144
	ds_read_b64 v[52:53], v116 offset:6144
	s_waitcnt lgkmcnt(2)
	v_mfma_f32_16x16x16_bf16 a[0:3], v[38:39], v[34:35], 0
	ds_read_b64 v[54:55], v117 offset:49152
	ds_read2st64_b64 v[42:45], v119 offset0:4 offset1:8
	ds_read2st64_b64 v[46:49], v120 offset0:4 offset1:8
	v_mfma_f32_16x16x16_bf16 a[4:7], v[38:39], v[36:37], 0
	ds_read2_b64 v[34:37], v116 offset0:32 offset1:48
	s_add_i32 s2, s62, 63
	s_mul_i32 s3, s2, s29
	s_waitcnt lgkmcnt(0)
	v_mfma_f32_16x16x16_bf16 a[8:11], v[38:39], v[34:35], 0
	s_mul_hi_u32 s27, s2, s28
	s_add_i32 s3, s27, s3
	s_mul_i32 s2, s2, s28
	v_mfma_f32_16x16x16_bf16 a[12:15], v[38:39], v[36:37], 0
	ds_read2st64_b64 v[34:37], v116 offset0:4 offset1:8
	ds_read2st64_b64 v[38:41], v118 offset0:4 offset1:8
	s_lshl_b64 s[2:3], s[2:3], 2
	s_waitcnt lgkmcnt(1)
	v_mfma_f32_16x16x16_bf16 a[0:3], v[54:55], v[34:35], a[0:3]
	s_add_u32 s2, s42, s2
	s_addc_u32 s3, s43, s3
	s_and_b64 vcc, exec, s[0:1]
	s_waitcnt lgkmcnt(0)
	v_mfma_f32_16x16x16_bf16 a[4:7], v[54:55], v[38:39], a[4:7]
	v_mov_b32_e32 v147, 0
	v_mov_b32_e32 v146, 0
	;; [unrolled: 1-line block ×3, first 2 shown]
	v_mfma_f32_16x16x16_bf16 a[8:11], v[54:55], v[42:43], a[8:11]
	ds_read_b64 v[34:35], v121 offset:49152
	ds_read_b64 v[38:39], v122 offset:49152
	;; [unrolled: 1-line block ×3, first 2 shown]
	v_mfma_f32_16x16x16_bf16 a[12:15], v[54:55], v[46:47], a[12:15]
	v_mov_b32_e32 v46, 0
	v_mov_b32_e32 v47, 0
	s_waitcnt lgkmcnt(2)
	v_mfma_f32_16x16x16_bf16 a[0:3], v[34:35], v[36:37], a[0:3]
	v_mov_b32_e32 v36, 0
	v_mov_b32_e32 v37, 0
	v_mfma_f32_16x16x16_bf16 a[16:19], v[34:35], v[40:41], a[4:7]
	v_mov_b32_e32 v40, 0
	v_mov_b32_e32 v41, 0
	;; [unrolled: 3-line block ×3, first 2 shown]
	v_mfma_f32_16x16x16_bf16 a[24:27], v[34:35], v[48:49], a[12:15]
	ds_read_b64 v[34:35], v119 offset:6144
	v_mov_b32_e32 v48, 0
	v_mov_b32_e32 v49, 0
	s_waitcnt lgkmcnt(2)
	v_mfma_f32_16x16x16_bf16 a[4:7], v[38:39], v[52:53], a[0:3]
	v_mfma_f32_16x16x16_bf16 a[8:11], v[38:39], v[50:51], a[16:19]
	s_waitcnt lgkmcnt(0)
	v_mfma_f32_16x16x16_bf16 a[12:15], v[38:39], v[34:35], a[20:23]
	v_mov_b32_e32 v34, 0
	v_mov_b32_e32 v35, 0
	v_mfma_f32_16x16x16_bf16 a[0:3], v[38:39], v[42:43], a[24:27]
	v_mov_b32_e32 v38, 0
	v_mov_b32_e32 v39, 0
	;; [unrolled: 1-line block ×4, first 2 shown]
	s_cbranch_vccnz .LBB220_12
; %bb.11:                               ;   in Loop: Header=BB220_6 Depth=1
	s_and_b32 s21, s21, 0xffff
	buffer_load_dwordx4 v[46:49], v95, s[20:23], 0 offen
	buffer_load_dwordx4 v[42:45], v95, s[20:23], s60 offen
	;; [unrolled: 1-line block ×4, first 2 shown]
	v_mov_b32_e32 v146, v97
	v_mov_b32_e32 v145, v98
.LBB220_12:                             ;   in Loop: Header=BB220_6 Depth=1
	ds_read_b64 v[66:67], v115 offset:57344
	ds_read2_b64 v[50:53], v123 offset1:16
	ds_read_b64 v[68:69], v117 offset:57344
	ds_read_b64 v[70:71], v121 offset:57344
	;; [unrolled: 1-line block ×3, first 2 shown]
	v_add_u32_e32 v74, s62, v91
	s_waitcnt lgkmcnt(3)
	v_mfma_f32_16x16x16_bf16 a[4:7], v[66:67], v[50:51], a[4:7]
	v_mfma_f32_16x16x16_bf16 a[8:11], v[66:67], v[52:53], a[8:11]
	ds_read2_b64 v[50:53], v123 offset0:32 offset1:48
	ds_read2st64_b64 v[54:57], v123 offset0:4 offset1:8
	ds_read2st64_b64 v[58:61], v124 offset0:4 offset1:8
	ds_read2st64_b64 v[62:65], v125 offset0:4 offset1:8
	s_waitcnt lgkmcnt(3)
	v_mfma_f32_16x16x16_bf16 a[12:15], v[66:67], v[50:51], a[12:15]
	v_ashrrev_i32_e32 v50, 31, v74
	v_mfma_f32_16x16x16_bf16 a[0:3], v[66:67], v[52:53], a[0:3]
	v_mul_lo_u32 v52, v50, s28
	v_mul_lo_u32 v53, v74, s29
	v_mad_u64_u32 v[50:51], s[20:21], v74, s28, 0
	v_add3_u32 v51, v51, v53, v52
	v_add_u32_e32 v52, 1, v74
	v_ashrrev_i32_e32 v53, 31, v52
	s_waitcnt lgkmcnt(2)
	v_mfma_f32_16x16x16_bf16 a[4:7], v[68:69], v[54:55], a[4:7]
	v_mul_lo_u32 v54, v53, s28
	v_mul_lo_u32 v55, v52, s29
	v_mad_u64_u32 v[52:53], s[20:21], v52, s28, 0
	v_add3_u32 v53, v53, v55, v54
	v_add_u32_e32 v54, 2, v74
	v_ashrrev_i32_e32 v55, 31, v54
	s_waitcnt lgkmcnt(1)
	v_mfma_f32_16x16x16_bf16 a[8:11], v[68:69], v[58:59], a[8:11]
	v_mul_lo_u32 v58, v55, s28
	v_mul_lo_u32 v59, v54, s29
	v_mad_u64_u32 v[54:55], s[20:21], v54, s28, 0
	v_lshl_add_u64 v[50:51], v[50:51], 2, s[42:43]
	v_add3_u32 v55, v55, v59, v58
	v_add_u32_e32 v58, 3, v74
	v_ashrrev_i32_e32 v59, 31, v58
	global_load_dword v67, v[50:51], off
	v_mad_u64_u32 v[50:51], s[20:21], v58, s28, 0
	v_mul_lo_u32 v59, v59, s28
	v_mul_lo_u32 v66, v58, s29
	s_add_u32 s20, s16, s62
	v_add3_u32 v51, v51, v66, v59
	s_addc_u32 s21, s17, 0
	v_lshl_add_u64 v[52:53], v[52:53], 2, s[42:43]
	v_lshl_add_u64 v[54:55], v[54:55], 2, s[42:43]
	;; [unrolled: 1-line block ×3, first 2 shown]
	s_lshl_b64 s[20:21], s[20:21], 8
	global_load_dword v66, v[52:53], off
	global_load_dword v74, v[54:55], off
	global_load_dword v75, v[50:51], off
	v_lshl_add_u64 v[50:51], v[82:83], 0, s[20:21]
	v_lshl_add_u64 v[54:55], v[50:51], 0, v[80:81]
	global_load_ushort v76, v[54:55], off offset:256
	global_load_ushort v148, v[54:55], off
	ds_read2st64_b64 v[50:53], v126 offset0:4 offset1:8
	global_load_ushort v149, v[54:55], off offset:768
	global_load_ushort v150, v[54:55], off offset:512
	s_waitcnt lgkmcnt(1)
	v_mfma_f32_16x16x16_bf16 a[12:15], v[68:69], v[62:63], a[12:15]
	s_and_b64 vcc, exec, s[0:1]
	s_waitcnt vmcnt(3)
	v_lshlrev_b32_e32 v63, 16, v76
	s_waitcnt lgkmcnt(0)
	v_mfma_f32_16x16x16_bf16 a[0:3], v[68:69], v[50:51], a[0:3]
	global_load_ushort v68, v[54:55], off offset:288
	global_load_ushort v69, v[54:55], off offset:32
	;; [unrolled: 1-line block ×8, first 2 shown]
	v_mfma_f32_16x16x16_bf16 a[4:7], v[70:71], v[56:57], a[4:7]
	ds_read_b64 v[50:51], v123 offset:6144
	s_waitcnt vmcnt(10)
	v_lshlrev_b32_e32 v62, 16, v148
	v_mov_b32_e32 v148, 0
	v_mfma_f32_16x16x16_bf16 a[8:11], v[70:71], v[60:61], a[8:11]
	v_mfma_f32_16x16x16_bf16 a[12:15], v[70:71], v[64:65], a[12:15]
	;; [unrolled: 1-line block ×3, first 2 shown]
	global_load_ushort v70, v[54:55], off offset:352
	global_load_ushort v71, v[54:55], off offset:96
	ds_read_b64 v[52:53], v124 offset:6144
	ds_read_b64 v[56:57], v125 offset:6144
	ds_read_b64 v[58:59], v126 offset:6144
	global_load_ushort v157, v[54:55], off offset:864
	global_load_ushort v158, v[54:55], off offset:608
	s_load_dword s2, s[2:3], 0x0
	s_waitcnt lgkmcnt(0)
	v_mfma_f32_16x16x16_bf16 a[4:7], v[72:73], v[50:51], a[4:7]
	v_sub_f32_e32 v60, s2, v74
	v_mfma_f32_16x16x16_bf16 a[0:3], v[72:73], v[58:59], a[0:3]
	v_sub_f32_e32 v58, s2, v67
	v_sub_f32_e32 v59, s2, v66
	;; [unrolled: 1-line block ×3, first 2 shown]
	v_mul_f32_e32 v58, 0x3fb8aa3b, v58
	v_mul_f32_e32 v59, 0x3fb8aa3b, v59
	;; [unrolled: 1-line block ×4, first 2 shown]
	v_mfma_f32_16x16x16_bf16 a[8:11], v[72:73], v[52:53], a[8:11]
	v_exp_f32_e32 v58, v58
	v_exp_f32_e32 v59, v59
	;; [unrolled: 1-line block ×4, first 2 shown]
	v_accvgpr_read_b32 v65, a5
	v_accvgpr_read_b32 v64, a4
	;; [unrolled: 1-line block ×4, first 2 shown]
	v_pk_add_f32 v[62:63], v[62:63], v[64:65] neg_lo:[0,1] neg_hi:[0,1]
	s_waitcnt vmcnt(13)
	v_lshlrev_b32_e32 v65, 16, v149
	s_waitcnt vmcnt(12)
	v_lshlrev_b32_e32 v64, 16, v150
	v_pk_add_f32 v[50:51], v[64:65], v[50:51] neg_lo:[0,1] neg_hi:[0,1]
	v_pk_mul_f32 v[62:63], v[58:59], v[62:63]
	v_pk_mul_f32 v[50:51], v[60:61], v[50:51]
	v_accvgpr_read_b32 v65, a9
	v_perm_b32 v51, v51, v50, s35
	v_perm_b32 v50, v63, v62, s35
	v_accvgpr_read_b32 v64, a8
	v_accvgpr_read_b32 v53, a11
	v_mfma_f32_16x16x16_bf16 a[12:15], v[72:73], v[56:57], a[12:15]
	v_accvgpr_read_b32 v52, a10
	v_accvgpr_read_b32 v57, a3
	;; [unrolled: 1-line block ×3, first 2 shown]
	s_waitcnt vmcnt(11)
	v_lshlrev_b32_e32 v63, 16, v68
	s_waitcnt vmcnt(10)
	v_lshlrev_b32_e32 v62, 16, v69
	v_pk_add_f32 v[62:63], v[62:63], v[64:65] neg_lo:[0,1] neg_hi:[0,1]
	s_waitcnt vmcnt(9)
	v_lshlrev_b32_e32 v65, 16, v151
	s_waitcnt vmcnt(8)
	v_lshlrev_b32_e32 v64, 16, v152
	v_pk_add_f32 v[52:53], v[64:65], v[52:53] neg_lo:[0,1] neg_hi:[0,1]
	v_pk_mul_f32 v[62:63], v[58:59], v[62:63]
	v_pk_mul_f32 v[52:53], v[60:61], v[52:53]
	v_accvgpr_read_b32 v55, a15
	v_perm_b32 v53, v53, v52, s35
	v_perm_b32 v52, v63, v62, s35
	ds_write2_b64 v100, v[50:51], v[52:53] offset1:16
	v_accvgpr_read_b32 v53, a13
	s_waitcnt vmcnt(7)
	v_lshlrev_b32_e32 v51, 16, v153
	s_waitcnt vmcnt(6)
	v_lshlrev_b32_e32 v50, 16, v154
	v_accvgpr_read_b32 v52, a12
	v_accvgpr_read_b32 v54, a14
	v_pk_add_f32 v[50:51], v[50:51], v[52:53] neg_lo:[0,1] neg_hi:[0,1]
	s_waitcnt vmcnt(5)
	v_lshlrev_b32_e32 v53, 16, v155
	s_waitcnt vmcnt(4)
	v_lshlrev_b32_e32 v52, 16, v156
	v_pk_add_f32 v[52:53], v[52:53], v[54:55] neg_lo:[0,1] neg_hi:[0,1]
	v_pk_mul_f32 v[50:51], v[58:59], v[50:51]
	v_pk_mul_f32 v[52:53], v[60:61], v[52:53]
	v_accvgpr_read_b32 v55, a1
	v_perm_b32 v53, v53, v52, s35
	v_perm_b32 v52, v51, v50, s35
	s_waitcnt vmcnt(3)
	v_lshlrev_b32_e32 v51, 16, v70
	s_waitcnt vmcnt(2)
	v_lshlrev_b32_e32 v50, 16, v71
	v_accvgpr_read_b32 v54, a0
	v_pk_add_f32 v[50:51], v[50:51], v[54:55] neg_lo:[0,1] neg_hi:[0,1]
	s_waitcnt vmcnt(1)
	v_lshlrev_b32_e32 v55, 16, v157
	s_waitcnt vmcnt(0)
	v_lshlrev_b32_e32 v54, 16, v158
	v_pk_add_f32 v[54:55], v[54:55], v[56:57] neg_lo:[0,1] neg_hi:[0,1]
	v_pk_mul_f32 v[50:51], v[58:59], v[50:51]
	v_pk_mul_f32 v[54:55], v[60:61], v[54:55]
	v_mov_b32_e32 v56, 0
	v_perm_b32 v55, v55, v54, s35
	v_perm_b32 v54, v51, v50, s35
	ds_write2_b64 v100, v[52:53], v[54:55] offset0:32 offset1:48
	v_mov_b32_e32 v50, 0
	v_mov_b32_e32 v51, 0
	;; [unrolled: 1-line block ×15, first 2 shown]
	s_cbranch_vccnz .LBB220_14
; %bb.13:                               ;   in Loop: Header=BB220_6 Depth=1
	s_and_b32 s25, s25, 0xffff
	s_mov_b32 s27, s23
	buffer_load_dwordx4 v[62:65], v133, s[24:27], 0 offen
	buffer_load_dwordx4 v[54:57], v133, s[24:27], s60 offen
	;; [unrolled: 1-line block ×4, first 2 shown]
	v_mov_b32_e32 v147, v94
	v_mov_b32_e32 v148, v93
.LBB220_14:                             ;   in Loop: Header=BB220_6 Depth=1
	s_waitcnt lgkmcnt(0)
	s_barrier
	ds_read_b64 v[74:75], v136
	ds_read2_b64 v[66:69], v129 offset1:16
	ds_read_b64 v[166:167], v137
	ds_read_b64 v[168:169], v138
	;; [unrolled: 1-line block ×3, first 2 shown]
	ds_read2_b64 v[70:73], v129 offset0:32 offset1:48
	ds_read2st64_b64 v[150:153], v129 offset0:4 offset1:8
	ds_read2st64_b64 v[154:157], v130 offset0:4 offset1:8
	;; [unrolled: 1-line block ×4, first 2 shown]
	s_waitcnt lgkmcnt(8)
	v_mfma_f32_16x16x16_bf16 a[0:3], v[74:75], v[66:67], 0
	s_add_i32 s3, s55, s68
	s_mul_hi_i32 s21, s3, s13
	s_mul_i32 s3, s3, s13
	v_mfma_f32_16x16x16_bf16 a[4:7], v[74:75], v[68:69], 0
	s_add_u32 s20, s3, s48
	s_addc_u32 s21, s21, s49
	s_add_i32 s3, s31, s62
	s_waitcnt lgkmcnt(4)
	v_mfma_f32_16x16x16_bf16 a[8:11], v[74:75], v[70:71], 0
	s_lshl_b64 s[20:21], s[20:21], 15
	s_mul_hi_i32 s25, s3, s13
	s_mul_i32 s3, s3, s13
	v_mfma_f32_16x16x16_bf16 a[12:15], v[74:75], v[72:73], 0
	ds_read_b64 v[74:75], v129 offset:6144
	ds_read_b64 v[178:179], v130 offset:6144
	;; [unrolled: 1-line block ×4, first 2 shown]
	s_add_u32 s24, s3, s48
	s_waitcnt lgkmcnt(7)
	v_mfma_f32_16x16x16_bf16 a[0:3], v[166:167], v[150:151], a[0:3]
	s_addc_u32 s25, s25, s49
	s_lshl_b64 s[24:25], s[24:25], 9
	s_add_u32 s24, s40, s24
	s_waitcnt lgkmcnt(6)
	v_mfma_f32_16x16x16_bf16 a[4:7], v[166:167], v[154:155], a[4:7]
	s_addc_u32 s25, s41, s25
	v_lshl_add_u64 v[188:189], v[84:85], 0, s[20:21]
	s_waitcnt lgkmcnt(5)
	v_mfma_f32_16x16x16_bf16 a[8:11], v[166:167], v[158:159], a[8:11]
	s_waitcnt lgkmcnt(4)
	v_mfma_f32_16x16x16_bf16 a[12:15], v[166:167], v[162:163], a[12:15]
	ds_read_b64 v[166:167], v141
	ds_read_b64 v[176:177], v142
	;; [unrolled: 1-line block ×3, first 2 shown]
	s_waitcnt lgkmcnt(2)
	v_mfma_f32_16x16x16_bf16 a[16:19], v[166:167], v[66:67], 0
	v_mfma_f32_16x16x16_bf16 a[20:23], v[166:167], v[68:69], 0
	global_load_dwordx4 v[66:69], v140, s[24:25]
	v_mfma_f32_16x16x16_bf16 a[24:27], v[166:167], v[70:71], 0
	v_mfma_f32_16x16x16_bf16 a[28:31], v[166:167], v[72:73], 0
	global_load_dwordx4 v[70:73], v79, s[24:25]
	v_mfma_f32_16x16x16_bf16 a[0:3], v[168:169], v[152:153], a[0:3]
	v_mfma_f32_16x16x16_bf16 a[4:7], v[168:169], v[156:157], a[4:7]
	;; [unrolled: 1-line block ×8, first 2 shown]
	ds_read2st64_b64 v[166:169], v127 offset1:8
	ds_read2st64_b64 v[170:173], v128 offset1:8
	ds_read_b64 v[186:187], v135 offset:40960
	s_waitcnt lgkmcnt(2)
	v_mov_b32_e32 v174, v166
	v_mfma_f32_16x16x16_bf16 a[16:19], v[176:177], v[150:151], a[16:19]
	v_mov_b32_e32 v175, v167
	v_mfma_f32_16x16x16_bf16 a[20:23], v[176:177], v[154:155], a[20:23]
	v_mfma_f32_16x16x16_bf16 a[24:27], v[176:177], v[158:159], a[24:27]
	;; [unrolled: 1-line block ×3, first 2 shown]
	v_add_co_u32_e32 v162, vcc, s37, v188
	s_waitcnt lgkmcnt(1)
	v_mov_b32_e32 v176, v170
	s_waitcnt lgkmcnt(0)
	v_mfma_f32_16x16x16_bf16 a[16:19], v[186:187], v[152:153], a[16:19]
	ds_read2st64_b64 v[150:153], v127 offset0:16 offset1:24
	v_addc_co_u32_e32 v163, vcc, 0, v189, vcc
	v_mfma_f32_16x16x16_bf16 a[20:23], v[186:187], v[156:157], a[20:23]
	ds_read2st64_b64 v[154:157], v128 offset0:16 offset1:24
	v_mov_b32_e32 v177, v171
	v_mov_b32_e32 v170, v168
	v_mfma_f32_16x16x16_bf16 a[32:35], v[186:187], v[160:161], a[24:27]
	v_mov_b32_e32 v171, v169
	s_waitcnt lgkmcnt(0)
	v_mov_b32_e32 v160, v154
	v_mov_b32_e32 v161, v155
	v_mfma_f32_16x16x16_bf16 a[36:39], v[186:187], v[164:165], a[28:31]
	v_mov_b32_e32 v154, v152
	v_mov_b32_e32 v155, v153
	;; [unrolled: 1-line block ×3, first 2 shown]
	v_mfma_f32_16x16x16_bf16 a[24:27], v[184:185], v[74:75], a[16:19]
	v_add_co_u32_e32 v74, vcc, s66, v188
	v_mov_b32_e32 v159, v151
	v_mfma_f32_16x16x16_bf16 a[28:31], v[184:185], v[178:179], a[20:23]
	v_addc_co_u32_e32 v75, vcc, 0, v189, vcc
	global_store_dwordx4 v[74:75], v[154:157], off
	v_mfma_f32_16x16x16_bf16 a[16:19], v[184:185], v[180:181], a[32:35]
	s_waitcnt vmcnt(2)
	v_mov_b32_e32 v76, v69
	v_mov_b32_e32 v75, v68
	v_mov_b32_e32 v74, v67
	v_mfma_f32_16x16x16_bf16 a[20:23], v[184:185], v[182:183], a[36:39]
	s_and_b64 vcc, exec, s[0:1]
	global_store_dwordx4 v[188:189], v[174:177], off
	global_store_dwordx4 v[162:163], v[170:173], off offset:-4096
	global_store_dwordx4 v[162:163], v[158:161], off
	s_cbranch_vccnz .LBB220_16
; %bb.15:                               ;   in Loop: Header=BB220_6 Depth=1
	v_lshrrev_b32_e32 v67, 3, v147
	v_and_b32_e32 v67, 6, v67
	v_xor_b32_e32 v68, v67, v148
	v_lshlrev_b32_e32 v68, 2, v68
	v_and_b32_e32 v69, 8, v147
	v_xor_b32_e32 v147, 0x440, v68
	v_cmp_eq_u32_e32 vcc, 0, v69
	v_perm_b32 v69, v54, v50, s63
	s_nop 0
	v_cndmask_b32_e32 v68, v147, v68, vcc
	v_lshl_or_b32 v67, v67, 10, v68
	v_perm_b32 v68, v62, v58, s63
	s_barrier
	ds_write2st64_b32 v67, v68, v69 offset0:128 offset1:160
	v_xor_b32_e32 v68, 8, v67
	v_perm_b32 v58, v62, v58, s64
	v_perm_b32 v50, v54, v50, s64
	v_add_u32_e32 v54, 0x80, v68
	ds_write2st64_b32 v54, v58, v50 offset0:128 offset1:160
	v_xor_b32_e32 v50, 16, v67
	v_perm_b32 v54, v63, v59, s63
	v_perm_b32 v58, v55, v51, s63
	ds_write2st64_b32 v50, v54, v58 offset0:129 offset1:161
	v_xor_b32_e32 v50, 24, v67
	v_perm_b32 v54, v63, v59, s64
	v_perm_b32 v51, v55, v51, s64
	v_add_u32_e32 v50, 0x80, v50
	ds_write2st64_b32 v50, v54, v51 offset0:129 offset1:161
	v_xor_b32_e32 v50, 32, v67
	v_perm_b32 v51, v64, v60, s63
	v_perm_b32 v54, v56, v52, s63
	;; [unrolled: 9-line block ×3, first 2 shown]
	ds_write2st64_b32 v50, v51, v52 offset0:131 offset1:163
	v_xor_b32_e32 v50, 56, v67
	v_perm_b32 v51, v65, v61, s64
	v_perm_b32 v52, v57, v53, s64
	v_add_u32_e32 v50, 0x80, v50
	ds_write2st64_b32 v50, v51, v52 offset0:131 offset1:163
	ds_write_b64 v146, v[46:47] offset:49152
	v_xor_b32_e32 v46, 8, v146
	ds_write_b64 v46, v[48:49] offset:49152
	ds_write_b64 v146, v[42:43] offset:57344
	;; [unrolled: 1-line block ×4, first 2 shown]
	v_xor_b32_e32 v38, 8, v145
	ds_write_b64 v38, v[40:41] offset:49152
	ds_write_b64 v145, v[34:35] offset:57344
	ds_write_b64 v38, v[36:37] offset:57344
.LBB220_16:                             ;   in Loop: Header=BB220_6 Depth=1
	v_mul_f32_e32 v58, s2, v144
	v_exp_f32_e32 v68, v58
	s_waitcnt vmcnt(4)
	v_mul_f32_e32 v58, 0x3fb8aa3b, v70
	v_exp_f32_e32 v70, v58
	v_mul_f32_e32 v58, 0x3fb8aa3b, v71
	v_exp_f32_e32 v71, v58
	;; [unrolled: 2-line block ×4, first 2 shown]
	v_accvgpr_read_b32 v37, a3
	v_accvgpr_read_b32 v36, a2
	;; [unrolled: 1-line block ×4, first 2 shown]
	v_pk_mul_f32 v[70:71], v[68:69], v[70:71] op_sel_hi:[0,1]
	v_pk_mul_f32 v[72:73], v[68:69], v[72:73] op_sel_hi:[0,1]
	v_pk_fma_f32 v[22:23], v[22:23], v[70:71], v[34:35]
	v_pk_fma_f32 v[24:25], v[24:25], v[72:73], v[36:37]
	v_mul_f32_e32 v34, 0x3fb8aa3b, v66
	v_mul_f32_e32 v35, 0x3fb8aa3b, v74
	;; [unrolled: 1-line block ×4, first 2 shown]
	v_exp_f32_e32 v34, v34
	v_exp_f32_e32 v35, v35
	;; [unrolled: 1-line block ×4, first 2 shown]
	v_accvgpr_read_b32 v41, a7
	v_accvgpr_read_b32 v45, a11
	;; [unrolled: 1-line block ×28, first 2 shown]
	v_pk_mul_f32 v[34:35], v[68:69], v[34:35] op_sel_hi:[0,1]
	v_pk_mul_f32 v[36:37], v[68:69], v[36:37] op_sel_hi:[0,1]
	s_add_i32 s62, s62, 64
	v_pk_fma_f32 v[14:15], v[70:71], v[14:15], v[38:39]
	v_pk_fma_f32 v[16:17], v[72:73], v[16:17], v[40:41]
	;; [unrolled: 1-line block ×13, first 2 shown]
	s_cmp_eq_u32 s52, s67
	v_pk_fma_f32 v[12:13], v[36:37], v[12:13], v[64:65]
	s_cbranch_scc1 .LBB220_18
; %bb.17:                               ;   in Loop: Header=BB220_6 Depth=1
	s_mov_b32 s68, s67
	s_branch .LBB220_6
.LBB220_18:
	s_lshl_b32 s26, s52, 6
	s_sub_i32 s27, s12, s26
	s_cmp_gt_i32 s27, 0
	s_cbranch_scc0 .LBB220_99
; %bb.19:
	s_ashr_i32 s2, s26, 31
	s_cmpk_lg_i32 s15, 0x80
	s_cselect_b64 s[22:23], -1, 0
	s_and_b64 vcc, exec, s[22:23]
	s_cbranch_vccz .LBB220_21
; %bb.20:
	s_mul_i32 s1, s51, s12
	s_mul_hi_i32 s0, s51, s12
	s_add_u32 s1, s1, s26
	s_addc_u32 s0, s0, s2
	s_mul_i32 s3, s1, s53
	s_mul_hi_u32 s17, s1, s14
	s_add_i32 s3, s17, s3
	s_mul_i32 s0, s0, s14
	s_add_i32 s3, s3, s0
	s_mul_i32 s1, s1, s14
	s_ashr_i32 s0, s54, 31
	s_add_u32 s24, s1, s54
	s_addc_u32 s25, s3, s0
	s_cbranch_execz .LBB220_22
	s_branch .LBB220_23
.LBB220_21:
                                        ; implicit-def: $sgpr24_sgpr25
.LBB220_22:
	s_mul_hi_i32 s0, s51, s14
	s_mul_i32 s51, s51, s14
	s_ashr_i32 s1, s54, 31
	s_add_u32 s3, s51, s54
	s_addc_u32 s0, s0, s1
	s_mul_i32 s1, s3, s50
	s_mul_hi_u32 s14, s3, s12
	s_add_i32 s1, s14, s1
	s_mul_i32 s0, s0, s12
	s_add_i32 s1, s1, s0
	s_mul_i32 s3, s3, s12
	s_add_u32 s24, s3, s26
	s_addc_u32 s25, s1, s2
.LBB220_23:
	s_mul_i32 s0, s38, s50
	s_add_i32 s0, s57, s0
	s_add_i32 s3, s55, s52
	s_add_i32 s1, s0, s56
	s_add_u32 s0, s16, s26
	s_addc_u32 s1, s1, s2
	v_lshlrev_b32_e32 v35, 6, v91
	v_lshlrev_b32_e32 v34, 2, v88
	s_mov_b32 s2, 0x7060302
	s_waitcnt vmcnt(7)
	v_perm_b32 v25, v25, v24, s2
	v_perm_b32 v24, v23, v22, s2
	s_waitcnt vmcnt(6)
	v_perm_b32 v22, v31, v30, s2
	v_or_b32_e32 v30, v35, v34
	v_xor_b32_e32 v36, v91, v34
	v_perm_b32 v23, v33, v32, s2
	v_lshlrev_b32_e32 v30, 1, v30
	ds_write2st64_b64 v30, v[24:25], v[22:23] offset0:32 offset1:48
	v_lshlrev_b32_e32 v30, 1, v36
	v_lshlrev_b32_e32 v31, 8, v88
	v_xor_b32_e32 v37, v92, v34
	v_or_b32_e32 v32, v30, v31
	ds_write_b64 v32, v[24:25]
	v_lshlrev_b32_e32 v24, 1, v37
	v_or_b32_e32 v25, v24, v31
	ds_write_b64 v25, v[22:23]
	v_or_b32_e32 v22, 16, v88
	v_lshlrev_b32_e32 v23, 2, v22
	v_or_b32_e32 v25, v35, v23
	s_waitcnt vmcnt(5)
	v_perm_b32 v17, v17, v16, s2
	v_perm_b32 v16, v15, v14, s2
	s_waitcnt vmcnt(4)
	v_perm_b32 v15, v29, v28, s2
	v_perm_b32 v14, v27, v26, s2
	v_lshlrev_b32_e32 v25, 1, v25
	v_lshlrev_b32_e32 v22, 8, v22
	ds_write2st64_b64 v25, v[16:17], v[14:15] offset0:32 offset1:48
	v_or_b32_e32 v25, v30, v22
	ds_write_b64 v25, v[16:17]
	v_or_b32_e32 v16, v24, v22
	ds_write_b64 v16, v[14:15]
	v_or_b32_e32 v14, 32, v88
	v_lshlrev_b32_e32 v22, 2, v14
	v_or_b32_e32 v15, v35, v22
	s_waitcnt vmcnt(3)
	v_perm_b32 v9, v9, v8, s2
	v_perm_b32 v8, v7, v6, s2
	s_waitcnt vmcnt(2)
	v_perm_b32 v7, v21, v20, s2
	v_perm_b32 v6, v19, v18, s2
	v_lshlrev_b32_e32 v15, 1, v15
	v_lshlrev_b32_e32 v14, 8, v14
	s_lshl_b64 s[20:21], s[0:1], 8
	ds_write2st64_b64 v15, v[8:9], v[6:7] offset0:32 offset1:48
	v_or_b32_e32 v15, v30, v14
	s_add_u32 s0, s6, s20
	ds_write_b64 v15, v[8:9]
	v_or_b32_e32 v8, v24, v14
	s_addc_u32 s1, s7, s21
	ds_write_b64 v8, v[6:7]
	v_or_b32_e32 v6, 48, v88
	s_mul_hi_i32 s6, s3, s13
	s_mul_i32 s3, s3, s13
	s_waitcnt vmcnt(1)
	v_perm_b32 v5, v5, v4, s2
	v_perm_b32 v4, v3, v2, s2
	s_waitcnt vmcnt(0)
	v_perm_b32 v3, v13, v12, s2
	v_perm_b32 v2, v11, v10, s2
	v_lshlrev_b32_e32 v19, 2, v6
	s_add_u32 s2, s3, s48
	v_or_b32_e32 v7, v35, v19
	s_addc_u32 s3, s6, s49
	v_lshlrev_b32_e32 v7, 1, v7
	v_lshlrev_b32_e32 v6, 8, v6
	s_ashr_i32 s37, s36, 31
	s_lshl_b64 s[2:3], s[2:3], 15
	ds_write2st64_b64 v7, v[4:5], v[2:3] offset0:32 offset1:48
	v_or_b32_e32 v7, v30, v6
	s_add_u32 s6, s18, s2
	ds_write_b64 v7, v[4:5]
	v_or_b32_e32 v4, v24, v6
	s_addc_u32 s7, s19, s3
	s_lshl_b64 s[2:3], s[36:37], 8
	ds_write_b64 v4, v[2:3]
	s_add_u32 s2, s6, s2
	v_lshlrev_b32_e32 v3, 1, v88
	v_lshrrev_b32_e32 v2, 4, v0
	s_addc_u32 s3, s7, s3
	v_or_b32_e32 v4, 1, v3
	v_lshlrev_b32_e32 v10, 4, v88
	v_mov_b32_e32 v11, 0
	v_xor_b32_e32 v3, v2, v3
	v_xor_b32_e32 v6, v4, v2
	v_lshl_add_u64 v[12:13], s[2:3], 0, v[10:11]
	v_lshlrev_b32_e32 v10, 8, v2
	v_lshl_or_b32 v16, v3, 3, v10
	v_lshl_or_b32 v17, v6, 3, v10
	s_waitcnt lgkmcnt(0)
	s_barrier
	ds_read2st64_b64 v[2:5], v16 offset1:8
	ds_read2st64_b64 v[6:9], v17 offset1:8
	v_lshl_add_u64 v[14:15], v[12:13], 0, v[10:11]
	s_movk_i32 s2, 0x2000
	s_cmp_lg_u32 s27, 64
	s_waitcnt lgkmcnt(1)
	v_mov_b32_e32 v10, v2
	v_mov_b32_e32 v11, v3
	s_waitcnt lgkmcnt(0)
	v_mov_b32_e32 v12, v6
	v_mov_b32_e32 v13, v7
	global_store_dwordx4 v[14:15], v[10:13], off
	v_mov_b32_e32 v6, v4
	v_mov_b32_e32 v7, v5
	ds_read2st64_b64 v[2:5], v16 offset0:16 offset1:24
	ds_read2st64_b64 v[10:13], v17 offset0:16 offset1:24
	v_add_co_u32_e32 v16, vcc, s2, v14
	s_cselect_b64 s[6:7], -1, 0
	s_nop 0
	v_addc_co_u32_e32 v17, vcc, 0, v15, vcc
	global_store_dwordx4 v[16:17], v[6:9], off offset:-4096
	v_lshl_or_b32 v24, v86, 3, v90
	s_mov_b32 s16, 0
	s_waitcnt lgkmcnt(1)
	v_mov_b32_e32 v6, v2
	v_add_co_u32_e32 v2, vcc, 0x3000, v14
	v_mov_b32_e32 v7, v3
	s_nop 0
	v_addc_co_u32_e32 v3, vcc, 0, v15, vcc
	s_waitcnt lgkmcnt(0)
	v_mov_b32_e32 v8, v10
	v_mov_b32_e32 v9, v11
	;; [unrolled: 1-line block ×4, first 2 shown]
	v_or_b32_e32 v20, 32, v24
	v_and_b32_e32 v18, 56, v89
	s_and_b64 vcc, exec, s[6:7]
	global_store_dwordx4 v[16:17], v[6:9], off
	global_store_dwordx4 v[2:3], v[10:13], off
	s_cbranch_vccz .LBB220_29
; %bb.24:
	s_mov_b32 s17, s16
	s_mov_b32 s18, s16
	;; [unrolled: 1-line block ×3, first 2 shown]
	v_mov_b64_e32 v[6:7], s[16:17]
	v_mov_b64_e32 v[8:9], s[18:19]
	;; [unrolled: 1-line block ×3, first 2 shown]
	v_cmp_gt_i32_e32 vcc, s27, v24
	v_mov_b64_e32 v[4:5], v[8:9]
	s_and_saveexec_b64 s[2:3], vcc
	s_cbranch_execz .LBB220_26
; %bb.25:
	v_lshlrev_b32_e32 v2, 8, v24
	v_mov_b32_e32 v3, 0
	v_lshl_add_u64 v[4:5], s[0:1], 0, v[2:3]
	v_lshlrev_b32_e32 v2, 1, v18
	v_lshl_add_u64 v[10:11], v[4:5], 0, v[2:3]
	global_load_dwordx4 v[6:9], v[10:11], off
	global_load_dwordx4 v[2:5], v[10:11], off offset:128
.LBB220_26:
	s_or_b64 exec, exec, s[2:3]
	s_mov_b32 s17, s16
	s_mov_b32 s18, s16
	;; [unrolled: 1-line block ×3, first 2 shown]
	v_mov_b64_e32 v[14:15], s[16:17]
	v_mov_b64_e32 v[16:17], s[18:19]
	;; [unrolled: 1-line block ×3, first 2 shown]
	v_cmp_gt_i32_e32 vcc, s27, v20
	v_lshlrev_b32_e32 v21, 7, v20
	v_mov_b64_e32 v[12:13], v[16:17]
	s_and_saveexec_b64 s[2:3], vcc
	s_cbranch_execz .LBB220_28
; %bb.27:
	v_lshlrev_b32_e32 v10, 1, v21
	v_mov_b32_e32 v11, 0
	v_lshl_add_u64 v[12:13], s[0:1], 0, v[10:11]
	v_lshlrev_b32_e32 v10, 1, v18
	v_lshl_add_u64 v[26:27], v[12:13], 0, v[10:11]
	global_load_dwordx4 v[14:17], v[26:27], off
	global_load_dwordx4 v[10:13], v[26:27], off offset:128
.LBB220_28:
	s_or_b64 exec, exec, s[2:3]
	v_lshrrev_b32_e32 v25, 3, v18
	v_lshlrev_b32_e32 v26, 3, v24
	v_or_b32_e32 v25, v26, v25
	v_lshlrev_b32_e32 v25, 4, v25
	v_and_b32_e32 v26, 0x78, v26
	v_xor_b32_e32 v25, v25, v26
	s_branch .LBB220_31
.LBB220_29:
                                        ; implicit-def: $vgpr25
                                        ; implicit-def: $vgpr21
                                        ; implicit-def: $vgpr6_vgpr7_vgpr8_vgpr9
                                        ; implicit-def: $vgpr2_vgpr3_vgpr4_vgpr5
                                        ; implicit-def: $vgpr14_vgpr15_vgpr16_vgpr17
                                        ; implicit-def: $vgpr10_vgpr11_vgpr12_vgpr13
	s_cbranch_execz .LBB220_31
; %bb.30:
	s_waitcnt vmcnt(0)
	v_lshlrev_b32_e32 v2, 1, v18
	v_lshl_or_b32 v21, v24, 8, v2
	s_and_b32 s1, s1, 0xffff
	s_mov_b32 s3, 0x20000
	s_movk_i32 s2, 0x4000
	v_lshl_or_b32 v25, v20, 8, v2
	s_movk_i32 s13, 0x80
	buffer_load_dwordx4 v[6:9], v21, s[0:3], 0 offen
	buffer_load_dwordx4 v[2:5], v21, s[0:3], s13 offen
	;; [unrolled: 1-line block ×4, first 2 shown]
	v_lshrrev_b32_e32 v21, 3, v18
	v_lshlrev_b32_e32 v25, 3, v24
	v_or_b32_e32 v21, v25, v21
	v_lshlrev_b32_e32 v21, 4, v21
	v_and_b32_e32 v25, 0x78, v25
	v_xor_b32_e32 v25, v21, v25
	v_lshlrev_b32_e32 v21, 7, v20
.LBB220_31:
	s_movk_i32 s0, 0x1000
	v_and_or_b32 v20, v21, s0, v25
	s_waitcnt vmcnt(1)
	ds_write_b64 v25, v[6:7] offset:49152
	v_xor_b32_e32 v6, 8, v25
	ds_write_b64 v6, v[8:9] offset:49152
	s_waitcnt vmcnt(0)
	ds_write_b64 v25, v[2:3] offset:57344
	ds_write_b64 v6, v[4:5] offset:57344
	;; [unrolled: 1-line block ×3, first 2 shown]
	v_xor_b32_e32 v2, 8, v20
	ds_write_b64 v2, v[16:17] offset:49152
	ds_write_b64 v20, v[10:11] offset:57344
	;; [unrolled: 1-line block ×3, first 2 shown]
	v_or_b32_e32 v2, v1, v88
	v_lshlrev_b32_e32 v3, 11, v86
	v_lshlrev_b32_e32 v2, 3, v2
	v_and_b32_e32 v6, 0x1000, v3
	v_lshrrev_b32_e32 v3, 5, v77
	s_movk_i32 s0, 0xf8
	v_and_or_b32 v3, v2, s0, v3
	v_lshlrev_b32_e32 v7, 4, v3
	v_and_b32_e32 v8, 0x78, v2
	v_or_b32_e32 v10, 32, v7
	v_lshrrev_b32_e32 v3, 1, v77
	v_xor_b32_e32 v10, v10, v8
	v_xor_b32_e32 v2, v7, v8
	v_and_b32_e32 v9, 8, v3
	v_or_b32_e32 v10, v10, v6
	v_or_b32_e32 v2, v2, v6
	v_xor_b32_e32 v27, v10, v9
	v_or_b32_e32 v10, 64, v7
	v_xor_b32_e32 v26, v2, v9
	v_xor_b32_e32 v10, v10, v8
	s_waitcnt lgkmcnt(0)
	s_barrier
	v_or_b32_e32 v13, v10, v6
	ds_read_b64 v[10:11], v26 offset:49152
	v_lshl_or_b32 v14, v87, 8, v34
	v_lshlrev_b32_e32 v25, 1, v14
	v_add_u32_e32 v12, 0x4000, v25
	ds_read2_b64 v[2:5], v12 offset1:16
	v_or_b32_e32 v7, 0x60, v7
	v_xor_b32_e32 v7, v7, v8
	v_or_b32_e32 v6, v7, v6
	v_xor_b32_e32 v28, v13, v9
	v_xor_b32_e32 v29, v6, v9
	ds_read_b64 v[20:21], v27 offset:49152
	ds_read_b64 v[36:37], v28 offset:49152
	;; [unrolled: 1-line block ×3, first 2 shown]
	s_waitcnt lgkmcnt(3)
	v_mfma_f32_16x16x16_bf16 a[0:3], v[10:11], v[2:3], 0
	ds_read2st64_b64 v[6:9], v25 offset0:36 offset1:40
	s_lshl_b64 s[0:1], s[24:25], 8
	s_add_u32 s4, s4, s0
	v_mfma_f32_16x16x16_bf16 a[4:7], v[10:11], v[4:5], 0
	ds_read2_b64 v[2:5], v12 offset0:32 offset1:48
	s_addc_u32 s5, s5, s1
	s_add_i32 s1, s44, s33
	s_waitcnt lgkmcnt(0)
	v_mfma_f32_16x16x16_bf16 a[8:11], v[10:11], v[2:3], 0
	v_or_b32_e32 v2, 64, v14
	v_lshlrev_b32_e32 v30, 1, v2
	s_add_i32 s0, s12, -1
	v_mfma_f32_16x16x16_bf16 a[12:15], v[10:11], v[4:5], 0
	ds_read2st64_b64 v[2:5], v30 offset0:36 offset1:40
	s_add_i32 s35, s1, s39
	s_add_i32 s1, s46, s45
	v_mfma_f32_16x16x16_bf16 a[0:3], v[20:21], v[6:7], a[0:3]
	v_or_b32_e32 v6, 0x80, v14
	v_lshlrev_b32_e32 v31, 1, v6
	ds_read2st64_b64 v[10:13], v31 offset0:36 offset1:40
	s_waitcnt lgkmcnt(1)
	v_mfma_f32_16x16x16_bf16 a[4:7], v[20:21], v[2:3], a[4:7]
	v_or_b32_e32 v2, 0xc0, v14
	v_lshlrev_b32_e32 v32, 1, v2
	ds_read2st64_b64 v[14:17], v32 offset0:36 offset1:40
	s_add_i32 s31, s1, s47
	s_ashr_i32 s1, s0, 31
	s_mul_i32 s2, s0, s29
	s_mul_hi_u32 s3, s0, s28
	s_add_i32 s2, s3, s2
	s_mul_i32 s1, s1, s28
	s_waitcnt lgkmcnt(1)
	v_mfma_f32_16x16x16_bf16 a[8:11], v[20:21], v[10:11], a[8:11]
	s_add_i32 s1, s2, s1
	s_lshl_b64 s[2:3], s[34:35], 2
	s_add_u32 s10, s10, s2
	s_waitcnt lgkmcnt(0)
	v_mfma_f32_16x16x16_bf16 a[12:15], v[20:21], v[14:15], a[12:15]
	s_addc_u32 s11, s11, s3
	s_lshl_b64 s[2:3], s[30:31], 2
	s_mul_i32 s0, s0, s28
	v_mfma_f32_16x16x16_bf16 a[0:3], v[36:37], v[8:9], a[0:3]
	ds_read_b64 v[2:3], v25 offset:22528
	s_add_u32 s10, s10, s2
	s_addc_u32 s11, s11, s3
	v_mfma_f32_16x16x16_bf16 a[4:7], v[36:37], v[4:5], a[4:7]
	ds_read_b64 v[4:5], v30 offset:22528
	ds_read_b64 v[6:7], v31 offset:22528
	;; [unrolled: 1-line block ×3, first 2 shown]
	s_lshl_b64 s[0:1], s[0:1], 2
	s_add_u32 s0, s10, s0
	v_mfma_f32_16x16x16_bf16 a[8:11], v[36:37], v[12:13], a[8:11]
	s_addc_u32 s1, s11, s1
	s_load_dword s12, s[0:1], 0x0
	s_and_b64 vcc, exec, s[22:23]
	v_mfma_f32_16x16x16_bf16 a[12:15], v[36:37], v[16:17], a[12:15]
	s_waitcnt lgkmcnt(0)
	v_mfma_f32_16x16x16_bf16 a[0:3], v[38:39], v[2:3], a[0:3]
	v_mfma_f32_16x16x16_bf16 a[4:7], v[38:39], v[4:5], a[4:7]
	;; [unrolled: 1-line block ×4, first 2 shown]
	s_cbranch_vccz .LBB220_42
; %bb.32:
	v_lshlrev_b32_e32 v20, 1, v24
	s_and_b64 vcc, exec, s[6:7]
	s_cbranch_vccz .LBB220_43
; %bb.33:
	v_cmp_gt_i32_e32 vcc, s27, v20
	v_mov_b32_e32 v6, 0
	v_mov_b32_e32 v2, 0
	;; [unrolled: 1-line block ×5, first 2 shown]
	s_and_saveexec_b64 s[0:1], vcc
	s_cbranch_execz .LBB220_35
; %bb.34:
	v_mad_i64_i32 v[2:3], s[2:3], s15, v20, 0
	v_lshl_add_u64 v[2:3], v[2:3], 1, s[4:5]
	v_lshlrev_b32_e32 v4, 1, v18
	v_mov_b32_e32 v5, 0
	v_lshl_add_u64 v[2:3], v[2:3], 0, v[4:5]
	global_load_dwordx4 v[2:5], v[2:3], off
.LBB220_35:
	s_or_b64 exec, exec, s[0:1]
	v_or_b32_e32 v21, 1, v20
	v_cmp_gt_i32_e64 s[0:1], s27, v21
	v_mov_b32_e32 v7, 0
	v_mov_b32_e32 v8, 0
	;; [unrolled: 1-line block ×3, first 2 shown]
	s_and_saveexec_b64 s[2:3], s[0:1]
	s_cbranch_execz .LBB220_37
; %bb.36:
	v_mad_i64_i32 v[6:7], s[16:17], s15, v21, 0
	v_lshl_add_u64 v[6:7], v[6:7], 1, s[4:5]
	v_lshlrev_b32_e32 v8, 1, v18
	v_mov_b32_e32 v9, 0
	v_lshl_add_u64 v[6:7], v[6:7], 0, v[8:9]
	global_load_dwordx4 v[6:9], v[6:7], off
.LBB220_37:
	s_or_b64 exec, exec, s[2:3]
	v_mov_b32_e32 v17, 0
	v_mov_b32_e32 v10, 0
	;; [unrolled: 1-line block ×5, first 2 shown]
	s_and_saveexec_b64 s[2:3], vcc
	s_cbranch_execz .LBB220_39
; %bb.38:
	v_mad_i64_i32 v[10:11], s[16:17], s15, v20, 0
	v_lshl_add_u64 v[10:11], v[10:11], 1, s[4:5]
	v_lshlrev_b32_e32 v12, 1, v18
	v_mov_b32_e32 v13, 0
	v_lshl_add_u64 v[10:11], v[10:11], 0, v[12:13]
	global_load_dwordx4 v[10:13], v[10:11], off offset:128
.LBB220_39:
	s_or_b64 exec, exec, s[2:3]
	v_mov_b32_e32 v16, 0
	v_mov_b32_e32 v15, 0
	;; [unrolled: 1-line block ×3, first 2 shown]
	s_and_saveexec_b64 s[2:3], s[0:1]
	s_cbranch_execz .LBB220_41
; %bb.40:
	v_mad_i64_i32 v[14:15], s[0:1], s15, v21, 0
	v_lshl_add_u64 v[14:15], v[14:15], 1, s[4:5]
	v_lshlrev_b32_e32 v16, 1, v18
	v_mov_b32_e32 v17, 0
	v_lshl_add_u64 v[14:15], v[14:15], 0, v[16:17]
	global_load_dwordx4 v[14:17], v[14:15], off offset:128
.LBB220_41:
	s_or_b64 exec, exec, s[2:3]
	s_branch .LBB220_45
.LBB220_42:
                                        ; implicit-def: $vgpr5
                                        ; implicit-def: $vgpr9
                                        ; implicit-def: $vgpr13
                                        ; implicit-def: $vgpr17
	v_lshrrev_b32_e32 v33, 2, v77
	s_branch .LBB220_46
.LBB220_43:
                                        ; implicit-def: $vgpr5
                                        ; implicit-def: $vgpr9
                                        ; implicit-def: $vgpr13
                                        ; implicit-def: $vgpr17
	s_cbranch_execz .LBB220_45
; %bb.44:
	s_waitcnt vmcnt(0)
	v_mad_u64_u32 v[2:3], s[0:1], v20, s15, v[18:19]
	v_lshlrev_b32_e32 v20, 1, v2
	s_lshl_b32 s2, s15, 7
	s_and_b32 s1, s5, 0xffff
	s_mov_b32 s3, 0x20000
	s_mov_b32 s0, s4
	v_add_lshl_u32 v21, v2, s15, 1
	s_movk_i32 s13, 0x80
	buffer_load_dwordx4 v[2:5], v20, s[0:3], 0 offen
	buffer_load_dwordx4 v[10:13], v20, s[0:3], s13 offen
	;; [unrolled: 1-line block ×4, first 2 shown]
.LBB220_45:
	v_lshrrev_b32_e32 v33, 2, v77
	s_cbranch_execnz .LBB220_58
.LBB220_46:
	s_and_b64 vcc, exec, s[6:7]
	s_cbranch_vccz .LBB220_56
; %bb.47:
	s_waitcnt vmcnt(0)
	v_lshlrev_b32_e32 v7, 1, v24
	v_cmp_gt_i32_e32 vcc, s27, v7
	v_mov_b32_e32 v6, 0
	v_lshlrev_b32_e32 v14, 9, v24
	v_mov_b32_e32 v2, 0
	v_mov_b32_e32 v3, 0
	;; [unrolled: 1-line block ×4, first 2 shown]
	s_and_saveexec_b64 s[0:1], vcc
	s_cbranch_execz .LBB220_49
; %bb.48:
	v_mov_b32_e32 v15, 0
	v_lshl_add_u64 v[2:3], s[4:5], 0, v[14:15]
	v_lshlrev_b32_e32 v4, 1, v18
	v_mov_b32_e32 v5, v15
	v_lshl_add_u64 v[2:3], v[2:3], 0, v[4:5]
	global_load_dwordx4 v[2:5], v[2:3], off
.LBB220_49:
	s_or_b64 exec, exec, s[0:1]
	v_or_b32_e32 v7, 1, v7
	v_cmp_gt_i32_e64 s[0:1], s27, v7
	v_lshlrev_b32_e32 v20, 8, v7
	v_mov_b32_e32 v7, 0
	v_mov_b32_e32 v8, 0
	;; [unrolled: 1-line block ×3, first 2 shown]
	s_and_saveexec_b64 s[2:3], s[0:1]
	s_cbranch_execz .LBB220_51
; %bb.50:
	v_mov_b32_e32 v21, 0
	v_lshl_add_u64 v[6:7], s[4:5], 0, v[20:21]
	v_lshlrev_b32_e32 v8, 1, v18
	v_mov_b32_e32 v9, v21
	v_lshl_add_u64 v[6:7], v[6:7], 0, v[8:9]
	global_load_dwordx4 v[6:9], v[6:7], off
.LBB220_51:
	s_or_b64 exec, exec, s[2:3]
	v_mov_b32_e32 v17, 0
	v_mov_b32_e32 v10, 0
	;; [unrolled: 1-line block ×5, first 2 shown]
	s_and_saveexec_b64 s[2:3], vcc
	s_cbranch_execz .LBB220_53
; %bb.52:
	v_mov_b32_e32 v15, 0
	v_lshl_add_u64 v[10:11], s[4:5], 0, v[14:15]
	v_lshlrev_b32_e32 v14, 1, v18
	v_lshl_add_u64 v[10:11], v[10:11], 0, v[14:15]
	global_load_dwordx4 v[10:13], v[10:11], off offset:128
.LBB220_53:
	s_or_b64 exec, exec, s[2:3]
	v_mov_b32_e32 v16, 0
	v_mov_b32_e32 v15, 0
	v_mov_b32_e32 v14, 0
	s_and_saveexec_b64 s[2:3], s[0:1]
	s_cbranch_execz .LBB220_55
; %bb.54:
	v_mov_b32_e32 v21, 0
	v_lshl_add_u64 v[14:15], s[4:5], 0, v[20:21]
	v_lshlrev_b32_e32 v20, 1, v18
	v_lshl_add_u64 v[14:15], v[14:15], 0, v[20:21]
	global_load_dwordx4 v[14:17], v[14:15], off offset:128
.LBB220_55:
	s_or_b64 exec, exec, s[2:3]
	s_branch .LBB220_58
.LBB220_56:
                                        ; implicit-def: $vgpr5
                                        ; implicit-def: $vgpr9
                                        ; implicit-def: $vgpr13
                                        ; implicit-def: $vgpr17
	s_cbranch_execz .LBB220_58
; %bb.57:
	s_waitcnt vmcnt(0)
	v_lshlrev_b32_e32 v2, 1, v18
	v_lshl_or_b32 v18, v24, 9, v2
	s_and_b32 s5, s5, 0xffff
	s_mov_b32 s7, 0x20000
	s_movk_i32 s6, 0x4000
	s_movk_i32 s0, 0x80
	buffer_load_dwordx4 v[2:5], v18, s[4:7], 0 offen
	buffer_load_dwordx4 v[6:9], v18, s[4:7], 0 offen offset:256
	buffer_load_dwordx4 v[10:13], v18, s[4:7], s0 offen
	buffer_load_dwordx4 v[14:17], v18, s[4:7], s0 offen offset:256
.LBB220_58:
	ds_read_b64 v[20:21], v26 offset:57344
	v_add_u32_e32 v18, 0x6000, v25
	ds_read2_b64 v[36:39], v18 offset1:16
	ds_read_b64 v[48:49], v27 offset:57344
	ds_read_b64 v[50:51], v28 offset:57344
	;; [unrolled: 1-line block ×3, first 2 shown]
	ds_read2_b64 v[26:29], v18 offset0:32 offset1:48
	v_and_b32_e32 v18, 6, v0
	v_xor_b32_e32 v24, v24, v18
	v_lshlrev_b32_e32 v24, 2, v24
	v_and_b32_e32 v0, 1, v0
	v_cmp_eq_u32_e32 vcc, 0, v0
	s_waitcnt lgkmcnt(4)
	v_mfma_f32_16x16x16_bf16 a[0:3], v[20:21], v[36:37], a[0:3]
	s_mov_b32 s0, 0x1000504
	s_mov_b32 s1, 0x3020706
	v_mfma_f32_16x16x16_bf16 a[4:7], v[20:21], v[38:39], a[4:7]
	ds_read2st64_b64 v[36:39], v25 offset0:52 offset1:56
	s_waitcnt lgkmcnt(1)
	v_mfma_f32_16x16x16_bf16 a[8:11], v[20:21], v[26:27], a[8:11]
	v_mfma_f32_16x16x16_bf16 a[12:15], v[20:21], v[28:29], a[12:15]
	ds_read2st64_b64 v[26:29], v30 offset0:52 offset1:56
	ds_read2st64_b64 v[40:43], v31 offset0:52 offset1:56
	;; [unrolled: 1-line block ×3, first 2 shown]
	s_waitcnt lgkmcnt(3)
	v_mfma_f32_16x16x16_bf16 a[0:3], v[48:49], v[36:37], a[0:3]
	ds_read_b64 v[20:21], v25 offset:30720
	ds_read_b64 v[36:37], v30 offset:30720
	;; [unrolled: 1-line block ×4, first 2 shown]
	v_xor_b32_e32 v25, 0x440, v24
	v_cndmask_b32_e32 v0, v25, v24, vcc
	s_waitcnt lgkmcnt(6)
	v_mfma_f32_16x16x16_bf16 a[4:7], v[48:49], v[26:27], a[4:7]
	v_lshl_or_b32 v0, v18, 10, v0
	s_waitcnt vmcnt(0)
	v_perm_b32 v18, v2, v6, s0
	v_perm_b32 v24, v10, v14, s0
	s_waitcnt lgkmcnt(5)
	v_mfma_f32_16x16x16_bf16 a[8:11], v[48:49], v[40:41], a[8:11]
	ds_write2st64_b32 v0, v18, v24 offset0:128 offset1:160
	v_xor_b32_e32 v18, 8, v0
	v_perm_b32 v2, v2, v6, s1
	s_waitcnt lgkmcnt(5)
	v_mfma_f32_16x16x16_bf16 a[12:15], v[48:49], v[44:45], a[12:15]
	v_perm_b32 v6, v10, v14, s1
	v_add_u32_e32 v10, 0x80, v18
	ds_write2st64_b32 v10, v2, v6 offset0:128 offset1:160
	v_mfma_f32_16x16x16_bf16 a[0:3], v[50:51], v[38:39], a[0:3]
	v_xor_b32_e32 v2, 16, v0
	v_perm_b32 v6, v3, v7, s0
	v_perm_b32 v10, v11, v15, s0
	v_mfma_f32_16x16x16_bf16 a[4:7], v[50:51], v[28:29], a[4:7]
	ds_write2st64_b32 v2, v6, v10 offset0:129 offset1:161
	v_xor_b32_e32 v2, 24, v0
	v_perm_b32 v3, v3, v7, s1
	v_mfma_f32_16x16x16_bf16 a[16:19], v[50:51], v[42:43], a[8:11]
	v_perm_b32 v6, v11, v15, s1
	v_add_u32_e32 v2, 0x80, v2
	ds_write2st64_b32 v2, v3, v6 offset0:129 offset1:161
	v_mfma_f32_16x16x16_bf16 a[20:23], v[50:51], v[46:47], a[12:15]
	v_xor_b32_e32 v2, 32, v0
	v_perm_b32 v3, v4, v8, s0
	v_perm_b32 v6, v12, v16, s0
	s_waitcnt lgkmcnt(7)
	v_mfma_f32_16x16x16_bf16 a[12:15], v[52:53], v[20:21], a[0:3]
	ds_write2st64_b32 v2, v3, v6 offset0:130 offset1:162
	v_xor_b32_e32 v2, 40, v0
	v_perm_b32 v3, v4, v8, s1
	s_waitcnt lgkmcnt(7)
	v_mfma_f32_16x16x16_bf16 a[8:11], v[52:53], v[36:37], a[4:7]
	v_perm_b32 v4, v12, v16, s1
	v_add_u32_e32 v2, 0x80, v2
	ds_write2st64_b32 v2, v3, v4 offset0:130 offset1:162
	s_waitcnt lgkmcnt(7)
	v_mfma_f32_16x16x16_bf16 a[4:7], v[52:53], v[30:31], a[16:19]
	v_xor_b32_e32 v2, 48, v0
	v_perm_b32 v3, v5, v9, s0
	v_perm_b32 v4, v13, v17, s0
	s_waitcnt lgkmcnt(6)
	v_mfma_f32_16x16x16_bf16 a[0:3], v[52:53], v[54:55], a[20:23]
	v_xor_b32_e32 v0, 56, v0
	v_and_or_b32 v18, v33, 12, v1
	ds_write2st64_b32 v2, v3, v4 offset0:131 offset1:163
	v_perm_b32 v2, v5, v9, s1
	v_perm_b32 v3, v13, v17, s1
	v_add_u32_e32 v0, 0x80, v0
	v_cmp_gt_i32_e32 vcc, s27, v18
	v_mov_b32_e32 v14, 0
	v_mov_b32_e32 v16, 0
	ds_write2st64_b32 v0, v2, v3 offset0:131 offset1:163
	s_and_saveexec_b64 s[0:1], vcc
	s_cbranch_execz .LBB220_60
; %bb.59:
	v_add_u32_e32 v0, s26, v18
	v_ashrrev_i32_e32 v1, 31, v0
	v_mul_lo_u32 v2, v1, s28
	v_mul_lo_u32 v3, v0, s29
	v_mad_u64_u32 v[0:1], s[2:3], v0, s28, 0
	v_add3_u32 v1, v1, v3, v2
	v_lshl_add_u64 v[0:1], v[0:1], 2, s[10:11]
	global_load_dword v0, v[0:1], off
	s_waitcnt vmcnt(0)
	v_sub_f32_e32 v0, s12, v0
	v_mul_f32_e32 v0, 0x3fb8aa3b, v0
	v_exp_f32_e32 v16, v0
.LBB220_60:
	s_or_b64 exec, exec, s[0:1]
	v_or_b32_e32 v8, 1, v18
	v_cmp_gt_i32_e64 s[0:1], s27, v8
	s_and_saveexec_b64 s[2:3], s[0:1]
	s_cbranch_execz .LBB220_62
; %bb.61:
	v_add_u32_e32 v0, s26, v8
	v_ashrrev_i32_e32 v1, 31, v0
	v_mul_lo_u32 v2, v1, s28
	v_mul_lo_u32 v3, v0, s29
	v_mad_u64_u32 v[0:1], s[4:5], v0, s28, 0
	v_add3_u32 v1, v1, v3, v2
	v_lshl_add_u64 v[0:1], v[0:1], 2, s[10:11]
	global_load_dword v0, v[0:1], off
	s_waitcnt vmcnt(0)
	v_sub_f32_e32 v0, s12, v0
	v_mul_f32_e32 v0, 0x3fb8aa3b, v0
	v_exp_f32_e32 v14, v0
.LBB220_62:
	s_or_b64 exec, exec, s[2:3]
	v_or_b32_e32 v10, 2, v18
	v_cmp_gt_i32_e64 s[2:3], s27, v10
	v_mov_b32_e32 v15, 0
	v_mov_b32_e32 v17, 0
	s_and_saveexec_b64 s[4:5], s[2:3]
	s_cbranch_execz .LBB220_64
; %bb.63:
	v_add_u32_e32 v0, s26, v10
	v_ashrrev_i32_e32 v1, 31, v0
	v_mul_lo_u32 v2, v1, s28
	v_mul_lo_u32 v3, v0, s29
	v_mad_u64_u32 v[0:1], s[6:7], v0, s28, 0
	v_add3_u32 v1, v1, v3, v2
	v_lshl_add_u64 v[0:1], v[0:1], 2, s[10:11]
	global_load_dword v0, v[0:1], off
	s_waitcnt vmcnt(0)
	v_sub_f32_e32 v0, s12, v0
	v_mul_f32_e32 v0, 0x3fb8aa3b, v0
	v_exp_f32_e32 v17, v0
.LBB220_64:
	s_or_b64 exec, exec, s[4:5]
	v_or_b32_e32 v12, 3, v18
	v_cmp_gt_i32_e64 s[4:5], s27, v12
	s_and_saveexec_b64 s[6:7], s[4:5]
	s_cbranch_execz .LBB220_66
; %bb.65:
	v_add_u32_e32 v0, s26, v12
	v_ashrrev_i32_e32 v1, 31, v0
	v_mul_lo_u32 v2, v1, s28
	v_mul_lo_u32 v3, v0, s29
	v_mad_u64_u32 v[0:1], s[14:15], v0, s28, 0
	v_add3_u32 v1, v1, v3, v2
	v_lshl_add_u64 v[0:1], v[0:1], 2, s[10:11]
	global_load_dword v0, v[0:1], off
	s_waitcnt vmcnt(0)
	v_sub_f32_e32 v0, s12, v0
	v_mul_f32_e32 v0, 0x3fb8aa3b, v0
	v_exp_f32_e32 v15, v0
.LBB220_66:
	s_or_b64 exec, exec, s[6:7]
	s_add_u32 s6, s8, s20
	v_accvgpr_read_b32 v0, a12
	s_addc_u32 s7, s9, s21
	v_ashrrev_i32_e32 v79, 31, v78
	v_accvgpr_read_b32 v1, a13
	v_accvgpr_read_b32 v2, a14
	;; [unrolled: 1-line block ×3, first 2 shown]
	v_lshl_add_u64 v[4:5], v[78:79], 1, s[6:7]
	v_mov_b32_e32 v9, 0
	v_lshlrev_b32_e32 v6, 8, v18
	v_mov_b32_e32 v7, 0
	s_and_saveexec_b64 s[6:7], vcc
	s_cbranch_execz .LBB220_68
; %bb.67:
	v_mov_b32_e32 v7, 0
	v_lshl_add_u64 v[20:21], v[4:5], 0, v[6:7]
	global_load_ushort v7, v[20:21], off
	s_waitcnt vmcnt(0)
	v_lshlrev_b32_e32 v7, 16, v7
	v_sub_f32_e32 v0, v7, v0
	v_mul_f32_e32 v0, v16, v0
	v_lshrrev_b32_e32 v7, 16, v0
.LBB220_68:
	s_or_b64 exec, exec, s[6:7]
	v_lshlrev_b32_e32 v8, 8, v8
	s_and_saveexec_b64 s[6:7], s[0:1]
	s_cbranch_execz .LBB220_70
; %bb.69:
	v_mov_b32_e32 v9, 0
	v_lshl_add_u64 v[20:21], v[4:5], 0, v[8:9]
	global_load_ushort v0, v[20:21], off
	s_waitcnt vmcnt(0)
	v_lshlrev_b32_e32 v0, 16, v0
	v_sub_f32_e32 v0, v0, v1
	v_mul_f32_e32 v0, v14, v0
	v_lshrrev_b32_e32 v9, 16, v0
.LBB220_70:
	s_or_b64 exec, exec, s[6:7]
	v_mov_b32_e32 v13, 0
	v_lshlrev_b32_e32 v10, 8, v10
	v_mov_b32_e32 v11, 0
	s_and_saveexec_b64 s[6:7], s[2:3]
	s_cbranch_execz .LBB220_72
; %bb.71:
	v_mov_b32_e32 v11, 0
	v_lshl_add_u64 v[0:1], v[4:5], 0, v[10:11]
	global_load_ushort v0, v[0:1], off
	s_waitcnt vmcnt(0)
	v_lshlrev_b32_e32 v0, 16, v0
	v_sub_f32_e32 v0, v0, v2
	v_mul_f32_e32 v0, v17, v0
	v_lshrrev_b32_e32 v11, 16, v0
.LBB220_72:
	s_or_b64 exec, exec, s[6:7]
	v_lshlrev_b32_e32 v12, 8, v12
	s_and_saveexec_b64 s[6:7], s[4:5]
	s_cbranch_execz .LBB220_74
; %bb.73:
	v_mov_b32_e32 v13, 0
	v_lshl_add_u64 v[0:1], v[4:5], 0, v[12:13]
	global_load_ushort v0, v[0:1], off
	s_waitcnt vmcnt(0)
	v_lshlrev_b32_e32 v0, 16, v0
	v_sub_f32_e32 v0, v0, v3
	v_mul_f32_e32 v0, v15, v0
	v_lshrrev_b32_e32 v13, 16, v0
.LBB220_74:
	s_or_b64 exec, exec, s[6:7]
	v_lshlrev_b32_e32 v18, 6, v18
	s_mov_b32 s6, 0x5040100
	v_perm_b32 v20, v9, v7, s6
	v_or_b32_e32 v7, v18, v34
	v_accvgpr_read_b32 v0, a8
	v_perm_b32 v21, v13, v11, s6
	v_lshlrev_b32_e32 v7, 1, v7
	v_accvgpr_read_b32 v1, a9
	v_accvgpr_read_b32 v2, a10
	;; [unrolled: 1-line block ×3, first 2 shown]
	ds_write_b64 v7, v[20:21] offset:24576
	v_mov_b32_e32 v9, 0
	v_mov_b32_e32 v7, 0
	s_and_saveexec_b64 s[6:7], vcc
	s_cbranch_execz .LBB220_76
; %bb.75:
	v_mov_b32_e32 v7, 0
	v_lshl_add_u64 v[20:21], v[4:5], 0, v[6:7]
	global_load_ushort v7, v[20:21], off offset:32
	s_waitcnt vmcnt(0)
	v_lshlrev_b32_e32 v7, 16, v7
	v_sub_f32_e32 v0, v7, v0
	v_mul_f32_e32 v0, v16, v0
	v_lshrrev_b32_e32 v7, 16, v0
.LBB220_76:
	s_or_b64 exec, exec, s[6:7]
	s_and_saveexec_b64 s[6:7], s[0:1]
	s_cbranch_execz .LBB220_78
; %bb.77:
	v_mov_b32_e32 v9, 0
	v_lshl_add_u64 v[20:21], v[4:5], 0, v[8:9]
	global_load_ushort v0, v[20:21], off offset:32
	s_waitcnt vmcnt(0)
	v_lshlrev_b32_e32 v0, 16, v0
	v_sub_f32_e32 v0, v0, v1
	v_mul_f32_e32 v0, v14, v0
	v_lshrrev_b32_e32 v9, 16, v0
.LBB220_78:
	s_or_b64 exec, exec, s[6:7]
	v_mov_b32_e32 v13, 0
	v_mov_b32_e32 v11, 0
	s_and_saveexec_b64 s[6:7], s[2:3]
	s_cbranch_execz .LBB220_80
; %bb.79:
	v_mov_b32_e32 v11, 0
	v_lshl_add_u64 v[0:1], v[4:5], 0, v[10:11]
	global_load_ushort v0, v[0:1], off offset:32
	s_waitcnt vmcnt(0)
	v_lshlrev_b32_e32 v0, 16, v0
	v_sub_f32_e32 v0, v0, v2
	v_mul_f32_e32 v0, v17, v0
	v_lshrrev_b32_e32 v11, 16, v0
.LBB220_80:
	s_or_b64 exec, exec, s[6:7]
	s_and_saveexec_b64 s[6:7], s[4:5]
	s_cbranch_execz .LBB220_82
; %bb.81:
	v_mov_b32_e32 v13, 0
	v_lshl_add_u64 v[0:1], v[4:5], 0, v[12:13]
	global_load_ushort v0, v[0:1], off offset:32
	s_waitcnt vmcnt(0)
	v_lshlrev_b32_e32 v0, 16, v0
	v_sub_f32_e32 v0, v0, v3
	v_mul_f32_e32 v0, v15, v0
	v_lshrrev_b32_e32 v13, 16, v0
.LBB220_82:
	s_or_b64 exec, exec, s[6:7]
	s_mov_b32 s6, 0x5040100
	v_perm_b32 v20, v9, v7, s6
	v_or_b32_e32 v7, v18, v23
	v_accvgpr_read_b32 v0, a4
	v_perm_b32 v21, v13, v11, s6
	v_lshlrev_b32_e32 v7, 1, v7
	v_accvgpr_read_b32 v1, a5
	v_accvgpr_read_b32 v2, a6
	;; [unrolled: 1-line block ×3, first 2 shown]
	ds_write_b64 v7, v[20:21] offset:24576
	v_mov_b32_e32 v9, 0
	v_mov_b32_e32 v7, 0
	s_and_saveexec_b64 s[6:7], vcc
	s_cbranch_execz .LBB220_84
; %bb.83:
	v_mov_b32_e32 v7, 0
	v_lshl_add_u64 v[20:21], v[4:5], 0, v[6:7]
	global_load_ushort v7, v[20:21], off offset:64
	s_waitcnt vmcnt(0)
	v_lshlrev_b32_e32 v7, 16, v7
	v_sub_f32_e32 v0, v7, v0
	v_mul_f32_e32 v0, v16, v0
	v_lshrrev_b32_e32 v7, 16, v0
.LBB220_84:
	s_or_b64 exec, exec, s[6:7]
	s_and_saveexec_b64 s[6:7], s[0:1]
	s_cbranch_execz .LBB220_86
; %bb.85:
	v_mov_b32_e32 v9, 0
	v_lshl_add_u64 v[20:21], v[4:5], 0, v[8:9]
	global_load_ushort v0, v[20:21], off offset:64
	s_waitcnt vmcnt(0)
	v_lshlrev_b32_e32 v0, 16, v0
	v_sub_f32_e32 v0, v0, v1
	v_mul_f32_e32 v0, v14, v0
	v_lshrrev_b32_e32 v9, 16, v0
.LBB220_86:
	s_or_b64 exec, exec, s[6:7]
	v_mov_b32_e32 v13, 0
	v_mov_b32_e32 v11, 0
	s_and_saveexec_b64 s[6:7], s[2:3]
	s_cbranch_execz .LBB220_88
; %bb.87:
	v_mov_b32_e32 v11, 0
	v_lshl_add_u64 v[0:1], v[4:5], 0, v[10:11]
	global_load_ushort v0, v[0:1], off offset:64
	s_waitcnt vmcnt(0)
	v_lshlrev_b32_e32 v0, 16, v0
	v_sub_f32_e32 v0, v0, v2
	v_mul_f32_e32 v0, v17, v0
	v_lshrrev_b32_e32 v11, 16, v0
.LBB220_88:
	s_or_b64 exec, exec, s[6:7]
	s_and_saveexec_b64 s[6:7], s[4:5]
	s_cbranch_execz .LBB220_90
; %bb.89:
	v_mov_b32_e32 v13, 0
	v_lshl_add_u64 v[0:1], v[4:5], 0, v[12:13]
	global_load_ushort v0, v[0:1], off offset:64
	s_waitcnt vmcnt(0)
	v_lshlrev_b32_e32 v0, 16, v0
	v_sub_f32_e32 v0, v0, v3
	v_mul_f32_e32 v0, v15, v0
	v_lshrrev_b32_e32 v13, 16, v0
.LBB220_90:
	s_or_b64 exec, exec, s[6:7]
	s_mov_b32 s6, 0x5040100
	v_perm_b32 v20, v9, v7, s6
	v_or_b32_e32 v7, v18, v22
	v_accvgpr_read_b32 v0, a0
	v_perm_b32 v21, v13, v11, s6
	v_lshlrev_b32_e32 v7, 1, v7
	v_accvgpr_read_b32 v1, a1
	v_accvgpr_read_b32 v2, a2
	;; [unrolled: 1-line block ×3, first 2 shown]
	ds_write_b64 v7, v[20:21] offset:24576
	v_mov_b32_e32 v9, 0
	v_mov_b32_e32 v7, 0
	s_and_saveexec_b64 s[6:7], vcc
	s_cbranch_execz .LBB220_92
; %bb.91:
	v_mov_b32_e32 v7, 0
	v_lshl_add_u64 v[6:7], v[4:5], 0, v[6:7]
	global_load_ushort v6, v[6:7], off offset:96
	s_waitcnt vmcnt(0)
	v_lshlrev_b32_e32 v6, 16, v6
	v_sub_f32_e32 v0, v6, v0
	v_mul_f32_e32 v0, v16, v0
	v_lshrrev_b32_e32 v7, 16, v0
.LBB220_92:
	s_or_b64 exec, exec, s[6:7]
	s_and_saveexec_b64 s[6:7], s[0:1]
	s_cbranch_execz .LBB220_94
; %bb.93:
	v_mov_b32_e32 v9, 0
	v_lshl_add_u64 v[8:9], v[4:5], 0, v[8:9]
	global_load_ushort v0, v[8:9], off offset:96
	s_waitcnt vmcnt(0)
	v_lshlrev_b32_e32 v0, 16, v0
	v_sub_f32_e32 v0, v0, v1
	v_mul_f32_e32 v0, v14, v0
	v_lshrrev_b32_e32 v9, 16, v0
.LBB220_94:
	s_or_b64 exec, exec, s[6:7]
	v_mov_b32_e32 v0, 0
	v_mov_b32_e32 v1, 0
	s_and_saveexec_b64 s[0:1], s[2:3]
	s_cbranch_execz .LBB220_96
; %bb.95:
	v_mov_b32_e32 v11, 0
	v_lshl_add_u64 v[10:11], v[4:5], 0, v[10:11]
	global_load_ushort v1, v[10:11], off offset:96
	s_waitcnt vmcnt(0)
	v_lshlrev_b32_e32 v1, 16, v1
	v_sub_f32_e32 v1, v1, v2
	v_mul_f32_e32 v1, v17, v1
	v_lshrrev_b32_e32 v1, 16, v1
.LBB220_96:
	s_or_b64 exec, exec, s[0:1]
	s_and_saveexec_b64 s[0:1], s[4:5]
	s_cbranch_execz .LBB220_98
; %bb.97:
	v_mov_b32_e32 v13, 0
	v_lshl_add_u64 v[4:5], v[4:5], 0, v[12:13]
	global_load_ushort v0, v[4:5], off offset:96
	s_waitcnt vmcnt(0)
	v_lshlrev_b32_e32 v0, 16, v0
	v_sub_f32_e32 v0, v0, v3
	v_mul_f32_e32 v0, v15, v0
	v_lshrrev_b32_e32 v0, 16, v0
.LBB220_98:
	s_or_b64 exec, exec, s[0:1]
	s_mov_b32 s0, 0x5040100
	v_or_b32_e32 v2, v18, v19
	v_perm_b32 v1, v0, v1, s0
	v_perm_b32 v0, v9, v7, s0
	v_lshlrev_b32_e32 v2, 1, v2
	ds_write_b64 v2, v[0:1] offset:24576
	s_waitcnt lgkmcnt(0)
	s_barrier
.LBB220_99:
	s_endpgm
	.section	.rodata,"a",@progbits
	.p2align	6, 0x0
	.amdhsa_kernel _ZN12_GLOBAL__N_139chunk_gated_delta_rule_fwd_h_hip_kernelILi64ELb1ELb0ELb0ELb0ELb0ELb1ELb0ELb0EEEvPK12hip_bfloat16S3_S3_PKfS5_PKvPS1_S8_PvPKiSB_iiiiilll
		.amdhsa_group_segment_fixed_size 65536
		.amdhsa_private_segment_fixed_size 0
		.amdhsa_kernarg_size 136
		.amdhsa_user_sgpr_count 2
		.amdhsa_user_sgpr_dispatch_ptr 0
		.amdhsa_user_sgpr_queue_ptr 0
		.amdhsa_user_sgpr_kernarg_segment_ptr 1
		.amdhsa_user_sgpr_dispatch_id 0
		.amdhsa_user_sgpr_kernarg_preload_length 0
		.amdhsa_user_sgpr_kernarg_preload_offset 0
		.amdhsa_user_sgpr_private_segment_size 0
		.amdhsa_uses_dynamic_stack 0
		.amdhsa_enable_private_segment 0
		.amdhsa_system_sgpr_workgroup_id_x 1
		.amdhsa_system_sgpr_workgroup_id_y 1
		.amdhsa_system_sgpr_workgroup_id_z 0
		.amdhsa_system_sgpr_workgroup_info 0
		.amdhsa_system_vgpr_workitem_id 0
		.amdhsa_next_free_vgpr 232
		.amdhsa_next_free_sgpr 69
		.amdhsa_accum_offset 192
		.amdhsa_reserve_vcc 1
		.amdhsa_float_round_mode_32 0
		.amdhsa_float_round_mode_16_64 0
		.amdhsa_float_denorm_mode_32 3
		.amdhsa_float_denorm_mode_16_64 3
		.amdhsa_dx10_clamp 1
		.amdhsa_ieee_mode 1
		.amdhsa_fp16_overflow 0
		.amdhsa_tg_split 0
		.amdhsa_exception_fp_ieee_invalid_op 0
		.amdhsa_exception_fp_denorm_src 0
		.amdhsa_exception_fp_ieee_div_zero 0
		.amdhsa_exception_fp_ieee_overflow 0
		.amdhsa_exception_fp_ieee_underflow 0
		.amdhsa_exception_fp_ieee_inexact 0
		.amdhsa_exception_int_div_zero 0
	.end_amdhsa_kernel
	.section	.text._ZN12_GLOBAL__N_139chunk_gated_delta_rule_fwd_h_hip_kernelILi64ELb1ELb0ELb0ELb0ELb0ELb1ELb0ELb0EEEvPK12hip_bfloat16S3_S3_PKfS5_PKvPS1_S8_PvPKiSB_iiiiilll,"axG",@progbits,_ZN12_GLOBAL__N_139chunk_gated_delta_rule_fwd_h_hip_kernelILi64ELb1ELb0ELb0ELb0ELb0ELb1ELb0ELb0EEEvPK12hip_bfloat16S3_S3_PKfS5_PKvPS1_S8_PvPKiSB_iiiiilll,comdat
.Lfunc_end220:
	.size	_ZN12_GLOBAL__N_139chunk_gated_delta_rule_fwd_h_hip_kernelILi64ELb1ELb0ELb0ELb0ELb0ELb1ELb0ELb0EEEvPK12hip_bfloat16S3_S3_PKfS5_PKvPS1_S8_PvPKiSB_iiiiilll, .Lfunc_end220-_ZN12_GLOBAL__N_139chunk_gated_delta_rule_fwd_h_hip_kernelILi64ELb1ELb0ELb0ELb0ELb0ELb1ELb0ELb0EEEvPK12hip_bfloat16S3_S3_PKfS5_PKvPS1_S8_PvPKiSB_iiiiilll
                                        ; -- End function
	.section	.AMDGPU.csdata,"",@progbits
; Kernel info:
; codeLenInByte = 11076
; NumSgprs: 75
; NumVgprs: 190
; NumAgprs: 40
; TotalNumVgprs: 232
; ScratchSize: 0
; MemoryBound: 0
; FloatMode: 240
; IeeeMode: 1
; LDSByteSize: 65536 bytes/workgroup (compile time only)
; SGPRBlocks: 9
; VGPRBlocks: 28
; NumSGPRsForWavesPerEU: 75
; NumVGPRsForWavesPerEU: 232
; AccumOffset: 192
; Occupancy: 1
; WaveLimiterHint : 1
; COMPUTE_PGM_RSRC2:SCRATCH_EN: 0
; COMPUTE_PGM_RSRC2:USER_SGPR: 2
; COMPUTE_PGM_RSRC2:TRAP_HANDLER: 0
; COMPUTE_PGM_RSRC2:TGID_X_EN: 1
; COMPUTE_PGM_RSRC2:TGID_Y_EN: 1
; COMPUTE_PGM_RSRC2:TGID_Z_EN: 0
; COMPUTE_PGM_RSRC2:TIDIG_COMP_CNT: 0
; COMPUTE_PGM_RSRC3_GFX90A:ACCUM_OFFSET: 47
; COMPUTE_PGM_RSRC3_GFX90A:TG_SPLIT: 0
	.section	.text._ZN12_GLOBAL__N_139chunk_gated_delta_rule_fwd_h_hip_kernelILi64ELb0ELb1ELb1ELb0ELb0ELb1ELb0ELb0EEEvPK12hip_bfloat16S3_S3_PKfS5_PKvPS1_S8_PvPKiSB_iiiiilll,"axG",@progbits,_ZN12_GLOBAL__N_139chunk_gated_delta_rule_fwd_h_hip_kernelILi64ELb0ELb1ELb1ELb0ELb0ELb1ELb0ELb0EEEvPK12hip_bfloat16S3_S3_PKfS5_PKvPS1_S8_PvPKiSB_iiiiilll,comdat
	.globl	_ZN12_GLOBAL__N_139chunk_gated_delta_rule_fwd_h_hip_kernelILi64ELb0ELb1ELb1ELb0ELb0ELb1ELb0ELb0EEEvPK12hip_bfloat16S3_S3_PKfS5_PKvPS1_S8_PvPKiSB_iiiiilll ; -- Begin function _ZN12_GLOBAL__N_139chunk_gated_delta_rule_fwd_h_hip_kernelILi64ELb0ELb1ELb1ELb0ELb0ELb1ELb0ELb0EEEvPK12hip_bfloat16S3_S3_PKfS5_PKvPS1_S8_PvPKiSB_iiiiilll
	.p2align	8
	.type	_ZN12_GLOBAL__N_139chunk_gated_delta_rule_fwd_h_hip_kernelILi64ELb0ELb1ELb1ELb0ELb0ELb1ELb0ELb0EEEvPK12hip_bfloat16S3_S3_PKfS5_PKvPS1_S8_PvPKiSB_iiiiilll,@function
_ZN12_GLOBAL__N_139chunk_gated_delta_rule_fwd_h_hip_kernelILi64ELb0ELb1ELb1ELb0ELb0ELb1ELb0ELb0EEEvPK12hip_bfloat16S3_S3_PKfS5_PKvPS1_S8_PvPKiSB_iiiiilll: ; @_ZN12_GLOBAL__N_139chunk_gated_delta_rule_fwd_h_hip_kernelILi64ELb0ELb1ELb1ELb0ELb0ELb1ELb0ELb0EEEvPK12hip_bfloat16S3_S3_PKfS5_PKvPS1_S8_PvPKiSB_iiiiilll
; %bb.0:
	s_load_dwordx4 s[12:15], s[0:1], 0x5c
	s_load_dwordx2 s[34:35], s[0:1], 0x40
	s_abs_i32 s22, s3
	s_ashr_i32 s21, s3, 31
	s_load_dwordx8 s[4:11], s[0:1], 0x0
	s_load_dwordx2 s[36:37], s[0:1], 0x20
	s_load_dwordx4 s[16:19], s[0:1], 0x30
	s_waitcnt lgkmcnt(0)
	s_abs_i32 s20, s13
	v_cvt_f32_u32_e32 v1, s20
	s_sub_i32 s24, 0, s20
	s_ashr_i32 s23, s13, 31
	s_xor_b32 s21, s21, s23
	v_rcp_iflag_f32_e32 v1, v1
	v_lshrrev_b32_e32 v77, 6, v0
	v_bfe_u32 v88, v0, 4, 2
	v_lshlrev_b32_e32 v86, 4, v77
	v_mul_f32_e32 v1, 0x4f7ffffe, v1
	v_cvt_u32_f32_e32 v1, v1
	v_lshlrev_b32_e32 v34, 2, v88
	v_and_b32_e32 v87, 63, v0
	v_mov_b32_e32 v25, 0
	v_readfirstlane_b32 s25, v1
	s_mul_i32 s24, s24, s25
	s_mul_hi_u32 s24, s25, s24
	s_add_i32 s25, s25, s24
	s_mul_hi_u32 s24, s22, s25
	s_mul_i32 s25, s24, s20
	s_sub_i32 s22, s22, s25
	s_add_i32 s25, s24, 1
	s_sub_i32 s26, s22, s20
	s_cmp_ge_u32 s22, s20
	s_cselect_b32 s24, s25, s24
	s_cselect_b32 s22, s26, s22
	s_add_i32 s25, s24, 1
	s_cmp_ge_u32 s22, s20
	s_cselect_b32 s22, s25, s24
	s_xor_b32 s22, s22, s21
	s_sub_i32 s52, s22, s21
	s_abs_i32 s21, s14
	v_cvt_f32_u32_e32 v1, s21
	s_ashr_i32 s51, s12, 31
	s_lshr_b32 s22, s51, 26
	s_add_i32 s22, s12, s22
	v_rcp_iflag_f32_e32 v1, v1
	s_ashr_i32 s54, s14, 31
	s_ashr_i32 s53, s22, 6
	s_xor_b32 s22, s23, s54
	v_mul_f32_e32 v1, 0x4f7ffffe, v1
	v_cvt_u32_f32_e32 v1, v1
	s_sub_i32 s23, 0, s21
	s_mul_i32 s50, s52, s13
	s_sub_i32 s33, s3, s50
	v_readfirstlane_b32 s24, v1
	s_mul_i32 s23, s23, s24
	s_mul_hi_u32 s23, s24, s23
	s_add_i32 s24, s24, s23
	s_mul_hi_u32 s23, s20, s24
	s_mul_i32 s24, s23, s21
	s_sub_i32 s20, s20, s24
	s_add_i32 s3, s12, 63
	s_add_i32 s24, s23, 1
	s_sub_i32 s25, s20, s21
	s_cmp_ge_u32 s20, s21
	s_cselect_b32 s23, s24, s23
	s_cselect_b32 s20, s25, s20
	s_add_i32 s24, s23, 1
	s_cmp_ge_u32 s20, s21
	s_cselect_b32 s20, s24, s23
	s_xor_b32 s20, s20, s22
	s_sub_i32 s24, s20, s22
	s_abs_i32 s25, s24
	v_cvt_f32_u32_e32 v1, s25
	s_sub_i32 s26, 0, s25
	s_load_dwordx2 s[38:39], s[0:1], 0x80
	s_load_dwordx4 s[20:23], s[0:1], 0x70
	s_xor_b32 s1, s33, s24
	v_rcp_iflag_f32_e32 v1, v1
	s_abs_i32 s24, s33
	s_ashr_i32 s1, s1, 31
	s_mov_b32 s0, 0
	v_mul_f32_e32 v1, 0x4f7ffffe, v1
	v_cvt_u32_f32_e32 v1, v1
	s_mul_i32 s48, s52, s12
	v_and_b32_e32 v89, 15, v0
	s_mul_hi_i32 s56, s52, s13
	v_readfirstlane_b32 s27, v1
	s_mul_i32 s26, s26, s27
	s_mul_hi_u32 s26, s27, s26
	s_add_i32 s27, s27, s26
	s_mul_hi_u32 s26, s24, s27
	s_mul_i32 s27, s26, s25
	s_sub_i32 s24, s24, s27
	s_add_i32 s27, s26, 1
	s_sub_i32 s28, s24, s25
	s_cmp_ge_u32 s24, s25
	s_cselect_b32 s26, s27, s26
	s_cselect_b32 s24, s28, s24
	s_add_i32 s27, s26, 1
	s_cmp_ge_u32 s24, s25
	s_cselect_b32 s24, s27, s26
	s_xor_b32 s24, s24, s1
	s_sub_i32 s57, s24, s1
	s_ashr_i32 s1, s3, 31
	s_lshr_b32 s1, s1, 26
	s_add_i32 s3, s3, s1
	s_ashr_i32 s1, s3, 6
	v_or_b32_e32 v1, v34, v86
	s_mul_i32 s55, s52, s1
	s_lshl_b32 s2, s2, 6
	s_mov_b32 s1, s0
	v_or_b32_e32 v92, 64, v1
	s_cmp_lt_i32 s12, 64
	v_mov_b64_e32 v[2:3], s[0:1]
	v_lshrrev_b32_e32 v91, 3, v87
	v_lshlrev_b32_e32 v90, 3, v0
	s_waitcnt lgkmcnt(0)
	s_mul_i32 s21, s52, s21
	s_mul_hi_u32 s49, s52, s20
	s_mul_i32 s40, s52, s20
	v_mov_b32_e32 v24, v25
	v_mov_b32_e32 v23, v25
	;; [unrolled: 1-line block ×23, first 2 shown]
	v_mov_b64_e32 v[4:5], s[0:1]
	v_mov_b64_e32 v[6:7], s[0:1]
	v_mov_b64_e32 v[8:9], s[0:1]
	s_cbranch_scc1 .LBB221_18
; %bb.1:
	s_ashr_i32 s3, s52, 31
	s_ashr_i32 s59, s33, 31
	s_add_u32 s0, s50, s33
	s_addc_u32 s1, s56, s59
	s_mul_i32 s1, s12, s1
	s_mul_hi_u32 s24, s12, s0
	s_add_i32 s43, s24, s1
	s_mul_i32 s42, s12, s0
	s_lshl_b64 s[0:1], s[42:43], 8
	v_and_b32_e32 v94, 56, v90
	s_add_u32 s24, s6, s0
	v_lshl_or_b32 v93, v77, 3, v91
	v_lshlrev_b32_e32 v2, 1, v94
	s_addc_u32 s0, s7, s1
	v_lshl_or_b32 v95, v93, 8, v2
	s_and_b32 s25, s0, 0xffff
	s_mov_b32 s27, 0x20000
	s_movk_i32 s26, 0x4000
	s_movk_i32 s0, 0x80
	v_or_b32_e32 v96, 0x2000, v95
	buffer_load_dwordx4 v[4:7], v95, s[24:27], 0 offen
	buffer_load_dwordx4 v[8:11], v95, s[24:27], s0 offen
	;; [unrolled: 1-line block ×4, first 2 shown]
	v_lshlrev_b32_e32 v3, 3, v93
	v_and_or_b32 v21, v0, 7, v3
	v_and_b32_e32 v3, 0x78, v3
	v_lshlrev_b32_e32 v21, 4, v21
	v_xor_b32_e32 v97, v21, v3
	v_mul_lo_u32 v20, v93, s15
	v_or_b32_e32 v98, 0x1000, v97
	v_xor_b32_e32 v3, 8, v97
	s_cmpk_eq_i32 s15, 0x80
	s_mov_b32 s58, s14
	v_xor_b32_e32 v21, 8, v98
	s_cselect_b64 s[0:1], -1, 0
	s_cmpk_lg_i32 s15, 0x80
	s_waitcnt vmcnt(3)
	ds_write_b64 v97, v[4:5] offset:49152
	ds_write_b64 v3, v[6:7] offset:49152
	s_waitcnt vmcnt(2)
	ds_write_b64 v97, v[8:9] offset:57344
	ds_write_b64 v3, v[10:11] offset:57344
	;; [unrolled: 3-line block ×4, first 2 shown]
	v_lshl_add_u32 v3, v20, 1, v94
	s_cbranch_scc0 .LBB221_3
; %bb.2:
	v_lshlrev_b32_e32 v5, 1, v3
	v_add_lshl_u32 v4, v3, s15, 1
	s_lshl_b32 s26, s15, 7
	v_lshl_or_b32 v2, v93, 9, v2
	s_cbranch_execz .LBB221_4
	s_branch .LBB221_5
.LBB221_3:
                                        ; implicit-def: $vgpr4
                                        ; implicit-def: $vgpr5
                                        ; implicit-def: $sgpr26
	v_lshl_or_b32 v2, v93, 9, v2
.LBB221_4:
	v_or_b32_e32 v4, 0x100, v2
	s_movk_i32 s26, 0x4000
	v_mov_b32_e32 v5, v2
.LBB221_5:
	s_mul_hi_u32 s24, s14, s12
	s_mul_i32 s25, s54, s12
	s_add_i32 s24, s24, s25
	s_mul_i32 s25, s14, s12
	s_mul_i32 s27, s25, s3
	s_mul_hi_u32 s28, s25, s52
	s_add_i32 s27, s28, s27
	s_mul_i32 s24, s24, s52
	s_add_i32 s27, s27, s24
	s_mul_i32 s25, s25, s52
	s_ashr_i32 s60, s57, 31
	s_add_u32 s24, s25, s57
	s_addc_u32 s25, s27, s60
	s_lshl_b64 s[24:25], s[24:25], 8
	s_add_u32 s24, s4, s24
	s_addc_u32 s25, s5, s25
	s_and_b32 s25, s25, 0xffff
	s_mov_b32 s27, 0x20000
	s_movk_i32 s61, 0x80
	buffer_load_dwordx4 v[6:9], v5, s[24:27], 0 offen
	buffer_load_dwordx4 v[10:13], v5, s[24:27], s61 offen
	;; [unrolled: 1-line block ×4, first 2 shown]
	v_and_b32_e32 v5, 6, v0
	v_lshlrev_b32_e32 v4, 7, v1
	v_xor_b32_e32 v26, v93, v5
	v_and_b32_e32 v22, 1, v0
	v_lshl_or_b32 v29, v89, 3, v4
	v_lshlrev_b32_e32 v26, 2, v26
	v_or_b32_e32 v99, 0x4000, v29
	v_or_b32_e32 v100, 0x6000, v29
	v_xor_b32_e32 v29, 0x440, v26
	v_cmp_eq_u32_e32 vcc, 0, v22
	v_lshlrev_b32_e32 v23, 2, v89
	v_or_b32_e32 v25, 16, v89
	v_cndmask_b32_e32 v22, v29, v26, vcc
	s_mov_b32 s63, 0x1000504
	v_xor_b32_e32 v27, v1, v23
	v_xor_b32_e32 v28, v92, v23
	v_lshl_or_b32 v30, v25, 3, v4
	v_lshl_or_b32 v5, v5, 10, v22
	s_mov_b32 s64, 0x3020706
	s_mul_i32 s24, s3, s12
	s_mul_hi_u32 s25, s52, s12
	v_lshlrev_b32_e32 v24, 8, v89
	v_lshlrev_b32_e32 v27, 1, v27
	;; [unrolled: 1-line block ×3, first 2 shown]
	v_or_b32_e32 v101, 0x4000, v30
	v_or_b32_e32 v102, 0x6000, v30
	v_xor_b32_e32 v22, 8, v5
	v_xor_b32_e32 v26, 24, v5
	v_xor_b32_e32 v30, 40, v5
	v_xor_b32_e32 v32, 56, v5
	v_or_b32_e32 v103, v24, v27
	v_or_b32_e32 v104, v24, v28
	v_xor_b32_e32 v24, 16, v5
	v_xor_b32_e32 v29, 32, v5
	;; [unrolled: 1-line block ×3, first 2 shown]
	v_add_u32_e32 v22, 0x80, v22
	v_add_u32_e32 v26, 0x80, v26
	;; [unrolled: 1-line block ×4, first 2 shown]
	s_add_i32 s65, s25, s24
	s_add_i32 s24, s49, s21
	s_mul_i32 s3, s3, s20
	s_add_i32 s41, s24, s3
	s_mul_i32 s3, s33, s23
	s_mul_hi_u32 s24, s33, s22
	s_add_i32 s3, s24, s3
	s_mul_i32 s24, s59, s22
	s_add_i32 s25, s3, s24
	s_lshl_b64 s[28:29], s[40:41], 2
	s_mul_i32 s24, s33, s22
	s_add_u32 s3, s10, s28
	s_addc_u32 s28, s11, s29
	s_lshl_b64 s[24:25], s[24:25], 2
	s_add_u32 s44, s3, s24
	s_movk_i32 s3, 0xf8
	s_addc_u32 s45, s28, s25
	s_lshl_b32 s30, s15, 7
	s_movk_i32 s28, 0x100
	v_mov_b32_e32 v79, 0
	v_lshlrev_b32_e32 v78, 4, v89
	s_mov_b32 s62, 0
	s_movk_i32 s26, 0x4000
	v_add_u32_e32 v136, v86, v34
	s_mov_b32 s41, 0x7060302
	s_movk_i32 s66, 0x2000
	s_movk_i32 s67, 0x3000
	v_mov_b32_e32 v146, 0x3fb8aa3b
	s_mov_b32 s69, 0
	s_waitcnt vmcnt(1)
	v_perm_b32 v33, v6, v14, s63
	s_waitcnt vmcnt(0)
	v_perm_b32 v35, v10, v18, s63
	v_perm_b32 v6, v6, v14, s64
	;; [unrolled: 1-line block ×15, first 2 shown]
	ds_write2st64_b32 v5, v33, v35 offset0:128 offset1:160
	ds_write2st64_b32 v22, v6, v10 offset0:128 offset1:160
	;; [unrolled: 1-line block ×8, first 2 shown]
	v_lshlrev_b32_e32 v5, 8, v25
	v_or_b32_e32 v105, v5, v27
	v_or_b32_e32 v106, v5, v28
	;; [unrolled: 1-line block ×3, first 2 shown]
	v_lshl_or_b32 v6, v5, 3, v4
	v_lshlrev_b32_e32 v5, 8, v5
	v_or_b32_e32 v109, v5, v27
	v_or_b32_e32 v110, v5, v28
	;; [unrolled: 1-line block ×5, first 2 shown]
	v_lshl_or_b32 v6, v5, 3, v4
	v_lshlrev_b32_e32 v5, 8, v5
	v_or_b32_e32 v113, v5, v27
	v_or_b32_e32 v114, v5, v28
	v_or_b32_e32 v5, v86, v89
	v_lshlrev_b32_e32 v5, 3, v5
	v_lshrrev_b32_e32 v7, 5, v87
	v_and_or_b32 v7, v5, s3, v7
	v_lshlrev_b32_e32 v7, 4, v7
	v_or_b32_e32 v111, 0x4000, v6
	v_or_b32_e32 v112, 0x6000, v6
	v_lshrrev_b32_e32 v6, 2, v87
	v_lshlrev_b32_e32 v11, 11, v77
	v_and_b32_e32 v5, 0x78, v5
	v_or_b32_e32 v13, 32, v7
	v_and_b32_e32 v10, 12, v6
	v_and_b32_e32 v6, 0x1000, v11
	v_lshrrev_b32_e32 v9, 1, v87
	v_xor_b32_e32 v13, v13, v5
	v_xor_b32_e32 v8, v7, v5
	v_and_b32_e32 v9, 8, v9
	v_or_b32_e32 v13, v13, v6
	v_or_b32_e32 v8, v8, v6
	v_lshlrev_b32_e32 v12, 8, v88
	v_xor_b32_e32 v117, v13, v9
	v_or_b32_e32 v13, 64, v7
	v_or_b32_e32 v7, 0x60, v7
	v_xor_b32_e32 v115, v8, v9
	v_or_b32_e32 v8, v12, v23
	v_xor_b32_e32 v13, v13, v5
	v_xor_b32_e32 v5, v7, v5
	s_ashr_i32 s3, s2, 31
	v_lshlrev_b32_e32 v8, 1, v8
	v_or_b32_e32 v13, v13, v6
	v_or_b32_e32 v5, v5, v6
	s_lshl_b64 s[24:25], s[2:3], 8
	v_lshlrev_b32_e32 v17, 2, v0
	v_or_b32_e32 v116, 0x4000, v8
	v_or_b32_e32 v118, 0x4080, v8
	;; [unrolled: 1-line block ×4, first 2 shown]
	v_xor_b32_e32 v121, v13, v9
	v_xor_b32_e32 v122, v5, v9
	v_or_b32_e32 v123, 0x6000, v8
	v_or_b32_e32 v124, 0x6080, v8
	v_or_b32_e32 v125, 0x6100, v8
	v_or_b32_e32 v126, 0x6180, v8
	v_lshlrev_b32_e32 v5, 1, v3
	v_add_lshl_u32 v3, v3, s15, 1
	v_or_b32_e32 v13, 0x100, v2
	s_add_u32 s24, s16, s24
	v_lshlrev_b32_e32 v8, 1, v89
	v_lshrrev_b32_e32 v18, 1, v0
	v_and_or_b32 v12, v17, 60, v12
	v_lshrrev_b32_e32 v14, 4, v0
	s_addc_u32 s25, s17, s25
	v_or_b32_e32 v9, 1, v8
	v_and_b32_e32 v18, 24, v18
	v_lshlrev_b32_e32 v12, 1, v12
	v_cndmask_b32_e64 v133, v5, v2, s[0:1]
	v_cndmask_b32_e64 v134, v3, v13, s[0:1]
	v_mov_b32_e32 v3, 0xa000
	v_mov_b32_e32 v5, 0x8000
	v_cmp_gt_u32_e64 s[0:1], s28, v0
	v_xor_b32_e32 v15, v14, v8
	v_xor_b32_e32 v16, v9, v14
	v_lshl_add_u64 v[8:9], s[24:25], 0, v[78:79]
	v_lshlrev_b32_e32 v78, 8, v14
	v_or_b32_e32 v129, 0x6000, v12
	v_or_b32_e32 v17, 32, v18
	;; [unrolled: 1-line block ×6, first 2 shown]
	v_cndmask_b32_e64 v3, v3, v5, s[0:1]
	v_lshlrev_b32_e32 v5, 3, v77
	v_lshl_or_b32 v127, v15, 3, v78
	v_and_b32_e32 v15, 8, v0
	v_xor_b32_e32 v13, v5, v18
	v_xor_b32_e32 v17, v5, v17
	;; [unrolled: 1-line block ×3, first 2 shown]
	v_mov_b32_e32 v19, 0x400
	v_cmp_eq_u32_e32 vcc, 0, v15
	v_or_b32_e32 v18, 0x440, v13
	v_or_b32_e32 v20, 0x440, v17
	v_xor_b32_e32 v12, 0x440, v5
	v_and_b32_e32 v14, 7, v0
	v_cndmask_b32_e64 v15, v19, 64, vcc
	v_cndmask_b32_e32 v18, v18, v13, vcc
	v_cndmask_b32_e32 v17, v20, v17, vcc
	;; [unrolled: 1-line block ×3, first 2 shown]
	v_or_b32_e32 v6, s2, v89
	v_lshl_or_b32 v128, v16, 3, v78
	v_lshlrev_b32_e32 v16, 3, v14
	v_or_b32_e32 v18, v18, v11
	v_or_b32_e32 v17, v17, v11
	v_or3_b32 v13, v11, v15, v13
	v_or_b32_e32 v5, v5, v11
	v_ashrrev_i32_e32 v7, 31, v6
	v_lshlrev_b32_e32 v14, 7, v14
	v_xor_b32_e32 v18, v18, v16
	v_xor_b32_e32 v17, v17, v16
	;; [unrolled: 1-line block ×4, first 2 shown]
	v_or_b32_e32 v2, v86, v10
	v_add_u32_e32 v19, v3, v18
	v_add_u32_e32 v20, v3, v17
	v_or_b32_e32 v135, v13, v14
	v_add_u32_e32 v11, v3, v5
	v_or3_b32 v10, v86, v10, 64
	v_add_u32_e32 v12, 0xa000, v18
	v_add_u32_e32 v13, 0xa000, v17
	;; [unrolled: 1-line block ×3, first 2 shown]
	v_lshlrev_b64 v[6:7], 1, v[6:7]
	v_lshl_add_u64 v[80:81], s[8:9], 0, v[6:7]
	v_lshl_add_u64 v[82:83], s[18:19], 0, v[6:7]
	;; [unrolled: 1-line block ×3, first 2 shown]
	s_add_i32 s3, s48, 63
	v_lshlrev_b32_e32 v78, 1, v4
	v_lshlrev_b32_e32 v137, 2, v2
	v_add_u32_e32 v138, v19, v14
	v_add_u32_e32 v139, v20, v14
	;; [unrolled: 1-line block ×4, first 2 shown]
	v_lshlrev_b32_e32 v142, 2, v10
	v_add_u32_e32 v143, v12, v14
	v_add_u32_e32 v144, v13, v14
	;; [unrolled: 1-line block ×3, first 2 shown]
	v_mov_b32_e32 v8, v79
	v_mov_b32_e32 v9, v79
	;; [unrolled: 1-line block ×32, first 2 shown]
	s_waitcnt lgkmcnt(0)
	s_barrier
.LBB221_6:                              ; =>This Inner Loop Header: Depth=1
	s_add_i32 s68, s69, 1
	s_cmp_lt_i32 s68, s53
	s_mov_b64 s[28:29], 0
	s_cselect_b64 s[46:47], -1, 0
	s_cmp_ge_i32 s68, s53
	s_mov_b64 s[24:25], 0
	s_cbranch_scc1 .LBB221_8
; %bb.7:                                ;   in Loop: Header=BB221_6 Depth=1
	s_add_i32 s0, s62, 64
	s_add_u32 s0, s42, s0
	s_addc_u32 s1, s43, 0
	s_lshl_b64 s[0:1], s[0:1], 8
	s_add_u32 s24, s6, s0
	s_addc_u32 s25, s7, s1
.LBB221_8:                              ;   in Loop: Header=BB221_6 Depth=1
	v_cndmask_b32_e64 v34, 0, 1, s[46:47]
	v_cmp_ne_u32_e64 s[0:1], 1, v34
	s_andn2_b64 vcc, exec, s[46:47]
	s_cbranch_vccnz .LBB221_10
; %bb.9:                                ;   in Loop: Header=BB221_6 Depth=1
	s_add_i32 s28, s62, 64
	s_add_u32 s28, s48, s28
	s_addc_u32 s29, s65, 0
	s_mul_i32 s31, s28, s54
	s_mul_hi_u32 s46, s28, s58
	s_add_i32 s31, s46, s31
	s_mul_i32 s29, s29, s58
	s_add_i32 s31, s31, s29
	s_mul_i32 s28, s28, s58
	s_add_u32 s28, s28, s57
	s_addc_u32 s29, s31, s60
	s_lshl_b64 s[28:29], s[28:29], 8
	s_add_u32 s28, s4, s28
	s_addc_u32 s29, s5, s29
.LBB221_10:                             ;   in Loop: Header=BB221_6 Depth=1
	v_perm_b32 v35, v33, v32, s41
	v_perm_b32 v34, v31, v30, s41
	v_perm_b32 v37, v21, v20, s41
	v_perm_b32 v36, v19, v18, s41
	ds_write_b64 v99, v[34:35]
	ds_write_b64 v100, v[36:37]
	ds_write_b64 v103, v[34:35]
	ds_write_b64 v104, v[36:37]
	v_perm_b32 v35, v29, v28, s41
	v_perm_b32 v34, v27, v26, s41
	v_perm_b32 v37, v17, v16, s41
	v_perm_b32 v36, v15, v14, s41
	ds_write_b64 v101, v[34:35]
	ds_write_b64 v102, v[36:37]
	ds_write_b64 v105, v[34:35]
	ds_write_b64 v106, v[36:37]
	;; [unrolled: 8-line block ×4, first 2 shown]
	s_waitcnt lgkmcnt(0)
	s_barrier
	ds_read_b64 v[38:39], v115 offset:49152
	ds_read2_b64 v[34:37], v116 offset1:16
	ds_read_b64 v[50:51], v118 offset:6144
	ds_read_b64 v[52:53], v116 offset:6144
	s_waitcnt lgkmcnt(2)
	v_mfma_f32_16x16x16_bf16 a[0:3], v[38:39], v[34:35], 0
	ds_read_b64 v[54:55], v117 offset:49152
	ds_read2st64_b64 v[42:45], v119 offset0:4 offset1:8
	ds_read2st64_b64 v[46:49], v120 offset0:4 offset1:8
	v_mfma_f32_16x16x16_bf16 a[4:7], v[38:39], v[36:37], 0
	ds_read2_b64 v[34:37], v116 offset0:32 offset1:48
	s_add_i32 s31, s62, 63
	s_mul_i32 s46, s31, s39
	s_waitcnt lgkmcnt(0)
	v_mfma_f32_16x16x16_bf16 a[8:11], v[38:39], v[34:35], 0
	s_mul_hi_u32 s47, s31, s38
	s_add_i32 s47, s47, s46
	s_mul_i32 s46, s31, s38
	v_mfma_f32_16x16x16_bf16 a[12:15], v[38:39], v[36:37], 0
	ds_read2st64_b64 v[34:37], v116 offset0:4 offset1:8
	ds_read2st64_b64 v[38:41], v118 offset0:4 offset1:8
	s_lshl_b64 s[46:47], s[46:47], 2
	s_waitcnt lgkmcnt(1)
	v_mfma_f32_16x16x16_bf16 a[0:3], v[54:55], v[34:35], a[0:3]
	s_add_u32 s46, s44, s46
	s_addc_u32 s47, s45, s47
	s_and_b64 vcc, exec, s[0:1]
	s_waitcnt lgkmcnt(0)
	v_mfma_f32_16x16x16_bf16 a[4:7], v[54:55], v[38:39], a[4:7]
	v_mov_b32_e32 v149, 0
	v_mov_b32_e32 v148, 0
	;; [unrolled: 1-line block ×3, first 2 shown]
	v_mfma_f32_16x16x16_bf16 a[8:11], v[54:55], v[42:43], a[8:11]
	ds_read_b64 v[34:35], v121 offset:49152
	ds_read_b64 v[38:39], v122 offset:49152
	;; [unrolled: 1-line block ×3, first 2 shown]
	v_mfma_f32_16x16x16_bf16 a[12:15], v[54:55], v[46:47], a[12:15]
	v_mov_b32_e32 v46, 0
	v_mov_b32_e32 v47, 0
	s_waitcnt lgkmcnt(2)
	v_mfma_f32_16x16x16_bf16 a[0:3], v[34:35], v[36:37], a[0:3]
	v_mov_b32_e32 v36, 0
	v_mov_b32_e32 v37, 0
	v_mfma_f32_16x16x16_bf16 a[4:7], v[34:35], v[40:41], a[4:7]
	v_mov_b32_e32 v40, 0
	v_mov_b32_e32 v41, 0
	;; [unrolled: 3-line block ×3, first 2 shown]
	v_mfma_f32_16x16x16_bf16 a[12:15], v[34:35], v[48:49], a[12:15]
	ds_read_b64 v[34:35], v119 offset:6144
	v_mov_b32_e32 v48, 0
	v_mov_b32_e32 v49, 0
	s_waitcnt lgkmcnt(2)
	v_mfma_f32_16x16x16_bf16 a[0:3], v[38:39], v[52:53], a[0:3]
	v_mfma_f32_16x16x16_bf16 a[4:7], v[38:39], v[50:51], a[4:7]
	s_waitcnt lgkmcnt(0)
	v_mfma_f32_16x16x16_bf16 a[8:11], v[38:39], v[34:35], a[8:11]
	v_mov_b32_e32 v34, 0
	v_mov_b32_e32 v35, 0
	v_mfma_f32_16x16x16_bf16 a[12:15], v[38:39], v[42:43], a[12:15]
	v_mov_b32_e32 v38, 0
	v_mov_b32_e32 v39, 0
	;; [unrolled: 1-line block ×4, first 2 shown]
	s_cbranch_vccnz .LBB221_12
; %bb.11:                               ;   in Loop: Header=BB221_6 Depth=1
	s_and_b32 s25, s25, 0xffff
	buffer_load_dwordx4 v[46:49], v95, s[24:27], 0 offen
	buffer_load_dwordx4 v[42:45], v95, s[24:27], s61 offen
	;; [unrolled: 1-line block ×4, first 2 shown]
	v_mov_b32_e32 v148, v97
	v_mov_b32_e32 v147, v98
.LBB221_12:                             ;   in Loop: Header=BB221_6 Depth=1
	ds_read_b64 v[70:71], v115 offset:57344
	ds_read2_b64 v[50:53], v123 offset1:16
	ds_read_b64 v[72:73], v117 offset:57344
	ds_read_b64 v[74:75], v121 offset:57344
	;; [unrolled: 1-line block ×3, first 2 shown]
	s_waitcnt lgkmcnt(3)
	v_mfma_f32_16x16x16_bf16 a[0:3], v[70:71], v[50:51], a[0:3]
	v_mfma_f32_16x16x16_bf16 a[4:7], v[70:71], v[52:53], a[4:7]
	ds_read2_b64 v[50:53], v123 offset0:32 offset1:48
	ds_read2st64_b64 v[54:57], v123 offset0:4 offset1:8
	ds_read2st64_b64 v[58:61], v124 offset0:4 offset1:8
	ds_read2st64_b64 v[62:65], v125 offset0:4 offset1:8
	ds_read2st64_b64 v[66:69], v126 offset0:4 offset1:8
	s_waitcnt lgkmcnt(4)
	v_mfma_f32_16x16x16_bf16 a[8:11], v[70:71], v[50:51], a[8:11]
	v_mfma_f32_16x16x16_bf16 a[12:15], v[70:71], v[52:53], a[12:15]
	v_add_u32_e32 v70, s62, v136
	v_ashrrev_i32_e32 v50, 31, v70
	v_mul_lo_u32 v52, v50, s38
	v_mul_lo_u32 v53, v70, s39
	v_mad_u64_u32 v[50:51], s[24:25], v70, s38, 0
	v_add3_u32 v51, v51, v53, v52
	v_add_u32_e32 v52, 1, v70
	v_ashrrev_i32_e32 v53, 31, v52
	s_waitcnt lgkmcnt(3)
	v_mfma_f32_16x16x16_bf16 a[0:3], v[72:73], v[54:55], a[0:3]
	v_mul_lo_u32 v54, v53, s38
	v_mul_lo_u32 v55, v52, s39
	v_mad_u64_u32 v[52:53], s[24:25], v52, s38, 0
	v_add3_u32 v53, v53, v55, v54
	v_add_u32_e32 v54, 2, v70
	v_ashrrev_i32_e32 v55, 31, v54
	s_waitcnt lgkmcnt(2)
	v_mfma_f32_16x16x16_bf16 a[4:7], v[72:73], v[58:59], a[4:7]
	v_mul_lo_u32 v58, v55, s38
	v_mul_lo_u32 v59, v54, s39
	v_mad_u64_u32 v[54:55], s[24:25], v54, s38, 0
	v_add3_u32 v55, v55, v59, v58
	v_add_u32_e32 v58, 3, v70
	v_lshl_add_u64 v[50:51], v[50:51], 2, s[44:45]
	v_lshl_add_u64 v[52:53], v[52:53], 2, s[44:45]
	v_ashrrev_i32_e32 v59, 31, v58
	s_waitcnt lgkmcnt(1)
	v_mfma_f32_16x16x16_bf16 a[8:11], v[72:73], v[62:63], a[8:11]
	v_mul_lo_u32 v59, v59, s38
	global_load_dword v62, v[50:51], off
	v_mul_lo_u32 v63, v58, s39
	s_waitcnt lgkmcnt(0)
	v_mfma_f32_16x16x16_bf16 a[12:15], v[72:73], v[66:67], a[12:15]
	global_load_dword v66, v[52:53], off
	v_mad_u64_u32 v[50:51], s[24:25], v58, s38, 0
	v_add3_u32 v51, v51, v63, v59
	s_add_u32 s24, s42, s62
	v_lshl_add_u64 v[54:55], v[54:55], 2, s[44:45]
	v_lshl_add_u64 v[50:51], v[50:51], 2, s[44:45]
	s_addc_u32 s25, s43, 0
	global_load_dword v63, v[54:55], off
	global_load_dword v67, v[50:51], off
	s_lshl_b64 s[24:25], s[24:25], 8
	v_lshl_add_u64 v[50:51], v[80:81], 0, s[24:25]
	v_lshl_add_u64 v[50:51], v[50:51], 0, v[78:79]
	global_load_ushort v70, v[50:51], off offset:256
	global_load_ushort v71, v[50:51], off
	global_load_ushort v72, v[50:51], off offset:768
	global_load_ushort v73, v[50:51], off offset:512
	;; [unrolled: 1-line block ×6, first 2 shown]
	s_load_dword s46, s[46:47], 0x0
	v_mfma_f32_16x16x16_bf16 a[12:15], v[74:75], v[68:69], a[12:15]
	global_load_ushort v68, v[50:51], off offset:320
	global_load_ushort v69, v[50:51], off offset:64
	s_and_b64 vcc, exec, s[0:1]
	v_mfma_f32_16x16x16_bf16 a[0:3], v[74:75], v[56:57], a[0:3]
	ds_read_b64 v[52:53], v123 offset:6144
	ds_read_b64 v[54:55], v124 offset:6144
	;; [unrolled: 1-line block ×4, first 2 shown]
	v_mfma_f32_16x16x16_bf16 a[4:7], v[74:75], v[60:61], a[4:7]
	s_waitcnt vmcnt(11) lgkmcnt(0)
	v_sub_f32_e32 v60, s46, v63
	v_mfma_f32_16x16x16_bf16 a[8:11], v[74:75], v[64:65], a[8:11]
	global_load_ushort v74, v[50:51], off offset:832
	global_load_ushort v75, v[50:51], off offset:576
	global_load_ushort v155, v[50:51], off offset:352
	global_load_ushort v156, v[50:51], off offset:96
	global_load_ushort v157, v[50:51], off offset:864
	global_load_ushort v158, v[50:51], off offset:608
	v_mfma_f32_16x16x16_bf16 a[0:3], v[150:151], v[52:53], a[0:3]
	s_waitcnt vmcnt(16)
	v_sub_f32_e32 v61, s46, v67
	v_mul_f32_e32 v60, 0x3fb8aa3b, v60
	v_mul_f32_e32 v61, 0x3fb8aa3b, v61
	v_exp_f32_e32 v60, v60
	v_exp_f32_e32 v61, v61
	s_waitcnt vmcnt(15)
	v_lshlrev_b32_e32 v65, 16, v70
	s_waitcnt vmcnt(14)
	v_lshlrev_b32_e32 v64, 16, v71
	v_accvgpr_read_b32 v53, a3
	v_accvgpr_read_b32 v52, a2
	v_mfma_f32_16x16x16_bf16 a[2:5], v[150:151], v[54:55], a[4:7]
	v_mfma_f32_16x16x16_bf16 a[6:9], v[150:151], v[56:57], a[8:11]
	s_nop 5
	v_accvgpr_read_b32 v55, a5
	v_accvgpr_read_b32 v54, a4
	;; [unrolled: 1-line block ×4, first 2 shown]
	v_mfma_f32_16x16x16_bf16 a[8:11], v[150:151], v[58:59], a[12:15]
	v_sub_f32_e32 v58, s46, v62
	v_sub_f32_e32 v59, s46, v66
	v_mul_f32_e32 v58, 0x3fb8aa3b, v58
	v_mul_f32_e32 v59, 0x3fb8aa3b, v59
	v_exp_f32_e32 v58, v58
	v_exp_f32_e32 v59, v59
	v_accvgpr_read_b32 v67, a1
	v_accvgpr_read_b32 v66, a0
	v_lshl_add_u64 v[62:63], v[82:83], 0, s[24:25]
	v_pk_add_f32 v[64:65], v[64:65], v[66:67] neg_lo:[0,1] neg_hi:[0,1]
	s_waitcnt vmcnt(13)
	v_lshlrev_b32_e32 v67, 16, v72
	s_waitcnt vmcnt(12)
	v_lshlrev_b32_e32 v66, 16, v73
	v_lshl_add_u64 v[62:63], v[62:63], 0, v[78:79]
	v_pk_add_f32 v[52:53], v[66:67], v[52:53] neg_lo:[0,1] neg_hi:[0,1]
	global_store_short_d16_hi v[62:63], v64, off
	global_store_short_d16_hi v[62:63], v65, off offset:256
	global_store_short_d16_hi v[62:63], v52, off offset:512
	;; [unrolled: 1-line block ×3, first 2 shown]
	v_pk_mul_f32 v[64:65], v[58:59], v[64:65]
	v_pk_mul_f32 v[52:53], v[60:61], v[52:53]
	v_accvgpr_read_b32 v67, a3
	v_perm_b32 v53, v53, v52, s41
	v_perm_b32 v52, v65, v64, s41
	s_waitcnt vmcnt(15)
	v_lshlrev_b32_e32 v65, 16, v76
	s_waitcnt vmcnt(14)
	v_lshlrev_b32_e32 v64, 16, v152
	v_accvgpr_read_b32 v66, a2
	v_pk_add_f32 v[64:65], v[64:65], v[66:67] neg_lo:[0,1] neg_hi:[0,1]
	s_waitcnt vmcnt(13)
	v_lshlrev_b32_e32 v67, 16, v153
	s_waitcnt vmcnt(12)
	v_lshlrev_b32_e32 v66, 16, v154
	v_pk_add_f32 v[54:55], v[66:67], v[54:55] neg_lo:[0,1] neg_hi:[0,1]
	global_store_short_d16_hi v[62:63], v64, off offset:32
	global_store_short_d16_hi v[62:63], v65, off offset:288
	;; [unrolled: 1-line block ×4, first 2 shown]
	v_pk_mul_f32 v[64:65], v[58:59], v[64:65]
	v_pk_mul_f32 v[54:55], v[60:61], v[54:55]
	v_accvgpr_read_b32 v57, a11
	v_perm_b32 v55, v55, v54, s41
	v_perm_b32 v54, v65, v64, s41
	ds_write2_b64 v100, v[52:53], v[54:55] offset1:16
	v_accvgpr_read_b32 v55, a7
	s_waitcnt vmcnt(15)
	v_lshlrev_b32_e32 v53, 16, v68
	s_waitcnt vmcnt(14)
	v_lshlrev_b32_e32 v52, 16, v69
	v_accvgpr_read_b32 v54, a6
	v_pk_add_f32 v[52:53], v[52:53], v[54:55] neg_lo:[0,1] neg_hi:[0,1]
	global_store_short_d16_hi v[62:63], v52, off offset:64
	global_store_short_d16_hi v[62:63], v53, off offset:320
	v_pk_mul_f32 v[52:53], v[58:59], v[52:53]
	v_accvgpr_read_b32 v56, a10
	v_perm_b32 v52, v53, v52, s41
	v_mov_b32_e32 v150, 0
	v_mov_b32_e32 v64, 0
	;; [unrolled: 1-line block ×3, first 2 shown]
	s_waitcnt vmcnt(15)
	v_lshlrev_b32_e32 v55, 16, v74
	s_waitcnt vmcnt(14)
	v_lshlrev_b32_e32 v54, 16, v75
	v_pk_add_f32 v[50:51], v[54:55], v[50:51] neg_lo:[0,1] neg_hi:[0,1]
	global_store_short_d16_hi v[62:63], v50, off offset:576
	global_store_short_d16_hi v[62:63], v51, off offset:832
	v_pk_mul_f32 v[50:51], v[60:61], v[50:51]
	v_accvgpr_read_b32 v55, a9
	v_perm_b32 v53, v51, v50, s41
	s_waitcnt vmcnt(15)
	v_lshlrev_b32_e32 v51, 16, v155
	s_waitcnt vmcnt(14)
	v_lshlrev_b32_e32 v50, 16, v156
	v_accvgpr_read_b32 v54, a8
	v_pk_add_f32 v[50:51], v[50:51], v[54:55] neg_lo:[0,1] neg_hi:[0,1]
	s_waitcnt vmcnt(13)
	v_lshlrev_b32_e32 v55, 16, v157
	s_waitcnt vmcnt(12)
	v_lshlrev_b32_e32 v54, 16, v158
	v_pk_add_f32 v[54:55], v[54:55], v[56:57] neg_lo:[0,1] neg_hi:[0,1]
	global_store_short_d16_hi v[62:63], v50, off offset:96
	global_store_short_d16_hi v[62:63], v51, off offset:352
	;; [unrolled: 1-line block ×4, first 2 shown]
	v_pk_mul_f32 v[50:51], v[58:59], v[50:51]
	v_pk_mul_f32 v[54:55], v[60:61], v[54:55]
	v_mov_b32_e32 v56, 0
	v_perm_b32 v55, v55, v54, s41
	v_perm_b32 v54, v51, v50, s41
	ds_write2_b64 v100, v[52:53], v[54:55] offset0:32 offset1:48
	v_mov_b32_e32 v50, 0
	v_mov_b32_e32 v51, 0
	;; [unrolled: 1-line block ×13, first 2 shown]
	s_cbranch_vccnz .LBB221_14
; %bb.13:                               ;   in Loop: Header=BB221_6 Depth=1
	s_and_b32 s29, s29, 0xffff
	s_mov_b32 s31, s27
	buffer_load_dwordx4 v[62:65], v133, s[28:31], 0 offen
	buffer_load_dwordx4 v[54:57], v133, s[28:31], s61 offen
	;; [unrolled: 1-line block ×4, first 2 shown]
	v_mov_b32_e32 v149, v94
	v_mov_b32_e32 v150, v93
.LBB221_14:                             ;   in Loop: Header=BB221_6 Depth=1
	s_waitcnt lgkmcnt(0)
	s_barrier
	ds_read_b64 v[74:75], v138
	ds_read2_b64 v[66:69], v129 offset1:16
	ds_read_b64 v[168:169], v139
	ds_read_b64 v[170:171], v140
	;; [unrolled: 1-line block ×3, first 2 shown]
	ds_read2_b64 v[70:73], v129 offset0:32 offset1:48
	ds_read2st64_b64 v[152:155], v129 offset0:4 offset1:8
	ds_read2st64_b64 v[156:159], v130 offset0:4 offset1:8
	;; [unrolled: 1-line block ×4, first 2 shown]
	s_waitcnt lgkmcnt(8)
	v_mfma_f32_16x16x16_bf16 a[0:3], v[74:75], v[66:67], 0
	s_add_i32 s24, s55, s69
	s_mul_hi_i32 s25, s24, s13
	s_mul_i32 s24, s24, s13
	v_mfma_f32_16x16x16_bf16 a[4:7], v[74:75], v[68:69], 0
	s_add_u32 s24, s24, s33
	s_addc_u32 s25, s25, s59
	s_add_i32 s28, s3, s62
	s_waitcnt lgkmcnt(4)
	v_mfma_f32_16x16x16_bf16 a[8:11], v[74:75], v[70:71], 0
	s_lshl_b64 s[24:25], s[24:25], 15
	s_mul_hi_i32 s29, s28, s13
	s_mul_i32 s28, s28, s13
	v_mfma_f32_16x16x16_bf16 a[12:15], v[74:75], v[72:73], 0
	ds_read_b64 v[74:75], v129 offset:6144
	ds_read_b64 v[180:181], v130 offset:6144
	;; [unrolled: 1-line block ×4, first 2 shown]
	s_add_u32 s28, s28, s33
	s_waitcnt lgkmcnt(7)
	v_mfma_f32_16x16x16_bf16 a[0:3], v[168:169], v[152:153], a[0:3]
	s_addc_u32 s29, s29, s59
	s_lshl_b64 s[28:29], s[28:29], 9
	s_add_u32 s28, s36, s28
	s_waitcnt lgkmcnt(6)
	v_mfma_f32_16x16x16_bf16 a[4:7], v[168:169], v[156:157], a[4:7]
	s_addc_u32 s29, s37, s29
	v_lshl_add_u64 v[190:191], v[84:85], 0, s[24:25]
	s_waitcnt lgkmcnt(5)
	v_mfma_f32_16x16x16_bf16 a[8:11], v[168:169], v[160:161], a[8:11]
	s_waitcnt lgkmcnt(4)
	v_mfma_f32_16x16x16_bf16 a[12:15], v[168:169], v[164:165], a[12:15]
	ds_read_b64 v[168:169], v143
	ds_read_b64 v[178:179], v144
	;; [unrolled: 1-line block ×3, first 2 shown]
	s_waitcnt lgkmcnt(2)
	v_mfma_f32_16x16x16_bf16 a[16:19], v[168:169], v[66:67], 0
	v_mfma_f32_16x16x16_bf16 a[20:23], v[168:169], v[68:69], 0
	global_load_dwordx4 v[66:69], v142, s[28:29]
	v_mfma_f32_16x16x16_bf16 a[24:27], v[168:169], v[70:71], 0
	v_mfma_f32_16x16x16_bf16 a[28:31], v[168:169], v[72:73], 0
	global_load_dwordx4 v[70:73], v137, s[28:29]
	v_mfma_f32_16x16x16_bf16 a[0:3], v[170:171], v[154:155], a[0:3]
	v_mfma_f32_16x16x16_bf16 a[4:7], v[170:171], v[158:159], a[4:7]
	;; [unrolled: 1-line block ×8, first 2 shown]
	ds_read2st64_b64 v[168:171], v127 offset1:8
	ds_read2st64_b64 v[172:175], v128 offset1:8
	ds_read_b64 v[188:189], v135 offset:40960
	s_waitcnt lgkmcnt(2)
	v_mov_b32_e32 v176, v168
	v_mfma_f32_16x16x16_bf16 a[16:19], v[178:179], v[152:153], a[16:19]
	v_mov_b32_e32 v177, v169
	v_mfma_f32_16x16x16_bf16 a[20:23], v[178:179], v[156:157], a[20:23]
	v_mfma_f32_16x16x16_bf16 a[24:27], v[178:179], v[160:161], a[24:27]
	;; [unrolled: 1-line block ×3, first 2 shown]
	v_add_co_u32_e32 v164, vcc, s66, v190
	s_waitcnt lgkmcnt(1)
	v_mov_b32_e32 v178, v172
	s_waitcnt lgkmcnt(0)
	v_mfma_f32_16x16x16_bf16 a[16:19], v[188:189], v[154:155], a[16:19]
	ds_read2st64_b64 v[152:155], v127 offset0:16 offset1:24
	v_addc_co_u32_e32 v165, vcc, 0, v191, vcc
	v_mfma_f32_16x16x16_bf16 a[20:23], v[188:189], v[158:159], a[20:23]
	ds_read2st64_b64 v[156:159], v128 offset0:16 offset1:24
	v_mov_b32_e32 v179, v173
	v_mov_b32_e32 v172, v170
	v_mfma_f32_16x16x16_bf16 a[32:35], v[188:189], v[162:163], a[24:27]
	v_mov_b32_e32 v173, v171
	s_waitcnt lgkmcnt(0)
	v_mov_b32_e32 v162, v156
	v_mov_b32_e32 v163, v157
	v_mfma_f32_16x16x16_bf16 a[36:39], v[188:189], v[166:167], a[28:31]
	v_mov_b32_e32 v156, v154
	v_mov_b32_e32 v157, v155
	;; [unrolled: 1-line block ×3, first 2 shown]
	v_mfma_f32_16x16x16_bf16 a[24:27], v[186:187], v[74:75], a[16:19]
	v_add_co_u32_e32 v74, vcc, s67, v190
	v_mov_b32_e32 v161, v153
	v_mfma_f32_16x16x16_bf16 a[28:31], v[186:187], v[180:181], a[20:23]
	v_addc_co_u32_e32 v75, vcc, 0, v191, vcc
	global_store_dwordx4 v[74:75], v[156:159], off
	v_mfma_f32_16x16x16_bf16 a[16:19], v[186:187], v[182:183], a[32:35]
	s_waitcnt vmcnt(2)
	v_mov_b32_e32 v76, v69
	v_mov_b32_e32 v75, v68
	;; [unrolled: 1-line block ×3, first 2 shown]
	v_mfma_f32_16x16x16_bf16 a[20:23], v[186:187], v[184:185], a[36:39]
	s_and_b64 vcc, exec, s[0:1]
	global_store_dwordx4 v[190:191], v[176:179], off
	global_store_dwordx4 v[164:165], v[172:175], off offset:-4096
	global_store_dwordx4 v[164:165], v[160:163], off
	s_cbranch_vccnz .LBB221_16
; %bb.15:                               ;   in Loop: Header=BB221_6 Depth=1
	v_lshrrev_b32_e32 v67, 3, v149
	v_and_b32_e32 v67, 6, v67
	v_xor_b32_e32 v68, v67, v150
	v_lshlrev_b32_e32 v68, 2, v68
	v_and_b32_e32 v69, 8, v149
	v_xor_b32_e32 v149, 0x440, v68
	v_cmp_eq_u32_e32 vcc, 0, v69
	v_perm_b32 v69, v54, v50, s63
	s_nop 0
	v_cndmask_b32_e32 v68, v149, v68, vcc
	v_lshl_or_b32 v67, v67, 10, v68
	v_perm_b32 v68, v62, v58, s63
	s_barrier
	ds_write2st64_b32 v67, v68, v69 offset0:128 offset1:160
	v_xor_b32_e32 v68, 8, v67
	v_perm_b32 v58, v62, v58, s64
	v_perm_b32 v50, v54, v50, s64
	v_add_u32_e32 v54, 0x80, v68
	ds_write2st64_b32 v54, v58, v50 offset0:128 offset1:160
	v_xor_b32_e32 v50, 16, v67
	v_perm_b32 v54, v63, v59, s63
	v_perm_b32 v58, v55, v51, s63
	ds_write2st64_b32 v50, v54, v58 offset0:129 offset1:161
	v_xor_b32_e32 v50, 24, v67
	v_perm_b32 v54, v63, v59, s64
	v_perm_b32 v51, v55, v51, s64
	v_add_u32_e32 v50, 0x80, v50
	ds_write2st64_b32 v50, v54, v51 offset0:129 offset1:161
	v_xor_b32_e32 v50, 32, v67
	v_perm_b32 v51, v64, v60, s63
	v_perm_b32 v54, v56, v52, s63
	;; [unrolled: 9-line block ×3, first 2 shown]
	ds_write2st64_b32 v50, v51, v52 offset0:131 offset1:163
	v_xor_b32_e32 v50, 56, v67
	v_perm_b32 v51, v65, v61, s64
	v_perm_b32 v52, v57, v53, s64
	v_add_u32_e32 v50, 0x80, v50
	ds_write2st64_b32 v50, v51, v52 offset0:131 offset1:163
	ds_write_b64 v148, v[46:47] offset:49152
	v_xor_b32_e32 v46, 8, v148
	ds_write_b64 v46, v[48:49] offset:49152
	ds_write_b64 v148, v[42:43] offset:57344
	;; [unrolled: 1-line block ×4, first 2 shown]
	v_xor_b32_e32 v38, 8, v147
	ds_write_b64 v38, v[40:41] offset:49152
	ds_write_b64 v147, v[34:35] offset:57344
	;; [unrolled: 1-line block ×3, first 2 shown]
.LBB221_16:                             ;   in Loop: Header=BB221_6 Depth=1
	v_mul_f32_e32 v58, s46, v146
	v_exp_f32_e32 v68, v58
	s_waitcnt vmcnt(4)
	v_mul_f32_e32 v58, 0x3fb8aa3b, v70
	v_exp_f32_e32 v70, v58
	v_mul_f32_e32 v58, 0x3fb8aa3b, v71
	v_exp_f32_e32 v71, v58
	;; [unrolled: 2-line block ×4, first 2 shown]
	v_accvgpr_read_b32 v37, a3
	v_accvgpr_read_b32 v36, a2
	;; [unrolled: 1-line block ×4, first 2 shown]
	v_pk_mul_f32 v[70:71], v[68:69], v[70:71] op_sel_hi:[0,1]
	v_pk_mul_f32 v[72:73], v[68:69], v[72:73] op_sel_hi:[0,1]
	v_pk_fma_f32 v[30:31], v[30:31], v[70:71], v[34:35]
	v_pk_fma_f32 v[32:33], v[32:33], v[72:73], v[36:37]
	v_mul_f32_e32 v34, 0x3fb8aa3b, v66
	v_mul_f32_e32 v35, 0x3fb8aa3b, v74
	;; [unrolled: 1-line block ×4, first 2 shown]
	v_exp_f32_e32 v34, v34
	v_exp_f32_e32 v35, v35
	;; [unrolled: 1-line block ×4, first 2 shown]
	v_accvgpr_read_b32 v41, a7
	v_accvgpr_read_b32 v45, a11
	;; [unrolled: 1-line block ×28, first 2 shown]
	v_pk_mul_f32 v[34:35], v[68:69], v[34:35] op_sel_hi:[0,1]
	v_pk_mul_f32 v[36:37], v[68:69], v[36:37] op_sel_hi:[0,1]
	s_add_i32 s62, s62, 64
	v_pk_fma_f32 v[26:27], v[70:71], v[26:27], v[38:39]
	v_pk_fma_f32 v[28:29], v[72:73], v[28:29], v[40:41]
	;; [unrolled: 1-line block ×13, first 2 shown]
	s_cmp_eq_u32 s53, s68
	v_pk_fma_f32 v[8:9], v[36:37], v[8:9], v[64:65]
	s_cbranch_scc1 .LBB221_18
; %bb.17:                               ;   in Loop: Header=BB221_6 Depth=1
	s_mov_b32 s69, s68
	s_branch .LBB221_6
.LBB221_18:
	s_lshl_b32 s46, s53, 6
	s_sub_i32 s47, s12, s46
	s_cmp_gt_i32 s47, 0
	v_or_b32_e32 v50, s2, v89
	s_cbranch_scc1 .LBB221_20
; %bb.19:
	s_ashr_i32 s0, s33, 31
	s_add_u32 s28, s50, s33
	s_addc_u32 s29, s56, s0
	v_or_b32_e32 v34, s2, v89
	s_cbranch_execz .LBB221_21
	s_branch .LBB221_101
.LBB221_20:
                                        ; implicit-def: $sgpr28_sgpr29
                                        ; implicit-def: $vgpr34
.LBB221_21:
	s_ashr_i32 s41, s52, 31
	s_ashr_i32 s3, s46, 31
	s_cmpk_lg_i32 s15, 0x80
	s_cselect_b64 s[42:43], -1, 0
	s_and_b64 vcc, exec, s[42:43]
	s_cbranch_vccz .LBB221_23
; %bb.22:
	s_mul_hi_i32 s0, s52, s12
	s_add_u32 s1, s48, s46
	s_addc_u32 s0, s0, s3
	s_mul_i32 s24, s1, s54
	s_mul_hi_u32 s25, s1, s14
	s_add_i32 s24, s25, s24
	s_mul_i32 s0, s0, s14
	s_add_i32 s24, s24, s0
	s_mul_i32 s1, s1, s14
	s_ashr_i32 s0, s57, 31
	s_add_u32 s44, s1, s57
	s_addc_u32 s45, s24, s0
	s_cbranch_execz .LBB221_24
	s_branch .LBB221_25
.LBB221_23:
                                        ; implicit-def: $sgpr44_sgpr45
.LBB221_24:
	s_mul_hi_i32 s0, s52, s14
	s_mul_i32 s52, s52, s14
	s_ashr_i32 s1, s57, 31
	s_add_u32 s14, s52, s57
	s_addc_u32 s0, s0, s1
	s_mul_i32 s1, s14, s51
	s_mul_hi_u32 s24, s14, s12
	s_add_i32 s1, s24, s1
	s_mul_i32 s0, s0, s12
	s_add_i32 s1, s1, s0
	s_mul_i32 s14, s14, s12
	s_add_u32 s44, s14, s46
	s_addc_u32 s45, s1, s3
.LBB221_25:
	s_add_i32 s24, s55, s53
	s_ashr_i32 s14, s33, 31
	s_add_u32 s28, s50, s33
	s_addc_u32 s29, s56, s14
	s_mul_i32 s0, s28, s51
	s_mul_hi_u32 s1, s28, s12
	s_add_i32 s0, s1, s0
	s_mul_i32 s1, s29, s12
	s_add_i32 s1, s0, s1
	s_mul_i32 s0, s28, s12
	s_add_u32 s0, s0, s46
	v_lshlrev_b32_e32 v38, 6, v1
	v_lshlrev_b32_e32 v59, 2, v89
	s_addc_u32 s1, s1, s3
	s_mov_b32 s3, 0x7060302
	v_or_b32_e32 v41, v38, v59
	v_xor_b32_e32 v39, v1, v59
	v_perm_b32 v35, v33, v32, s3
	v_perm_b32 v34, v31, v30, s3
	;; [unrolled: 1-line block ×4, first 2 shown]
	v_lshlrev_b32_e32 v41, 1, v41
	v_xor_b32_e32 v40, v92, v59
	ds_write2st64_b64 v41, v[34:35], v[36:37] offset0:32 offset1:48
	v_lshlrev_b32_e32 v39, 1, v39
	v_lshlrev_b32_e32 v41, 8, v89
	v_or_b32_e32 v42, v39, v41
	v_lshlrev_b32_e32 v40, 1, v40
	ds_write_b64 v42, v[34:35]
	v_or_b32_e32 v34, v40, v41
	v_or_b32_e32 v41, 16, v89
	v_lshlrev_b32_e32 v57, 2, v41
	v_or_b32_e32 v42, v38, v57
	ds_write_b64 v34, v[36:37]
	v_perm_b32 v35, v29, v28, s3
	v_perm_b32 v34, v27, v26, s3
	;; [unrolled: 1-line block ×4, first 2 shown]
	v_lshlrev_b32_e32 v42, 1, v42
	v_lshlrev_b32_e32 v41, 8, v41
	ds_write2st64_b64 v42, v[34:35], v[36:37] offset0:32 offset1:48
	v_or_b32_e32 v42, v39, v41
	ds_write_b64 v42, v[34:35]
	v_or_b32_e32 v34, v40, v41
	v_or_b32_e32 v41, 32, v89
	v_lshlrev_b32_e32 v56, 2, v41
	v_or_b32_e32 v42, v38, v56
	ds_write_b64 v34, v[36:37]
	v_perm_b32 v35, v25, v24, s3
	v_perm_b32 v34, v23, v22, s3
	;; [unrolled: 1-line block ×4, first 2 shown]
	v_lshlrev_b32_e32 v42, 1, v42
	v_lshlrev_b32_e32 v41, 8, v41
	s_lshl_b64 s[30:31], s[0:1], 8
	ds_write2st64_b64 v42, v[34:35], v[36:37] offset0:32 offset1:48
	v_or_b32_e32 v42, v39, v41
	s_add_u32 s0, s6, s30
	ds_write_b64 v42, v[34:35]
	v_or_b32_e32 v34, v40, v41
	s_addc_u32 s1, s7, s31
	ds_write_b64 v34, v[36:37]
	v_perm_b32 v35, v5, v4, s3
	v_perm_b32 v34, v3, v2, s3
	;; [unrolled: 1-line block ×4, first 2 shown]
	v_or_b32_e32 v41, 48, v89
	s_mul_hi_i32 s3, s24, s13
	s_mul_i32 s24, s24, s13
	v_lshlrev_b32_e32 v53, 2, v41
	s_add_u32 s6, s24, s33
	v_or_b32_e32 v38, v38, v53
	s_addc_u32 s7, s3, s14
	v_lshlrev_b32_e32 v38, 1, v38
	s_ashr_i32 s3, s2, 31
	s_lshl_b64 s[6:7], s[6:7], 15
	ds_write2st64_b64 v38, v[34:35], v[36:37] offset0:32 offset1:48
	v_lshlrev_b32_e32 v38, 8, v41
	s_add_u32 s6, s16, s6
	v_or_b32_e32 v39, v39, v38
	s_addc_u32 s7, s17, s7
	s_lshl_b64 s[2:3], s[2:3], 8
	ds_write_b64 v39, v[34:35]
	v_or_b32_e32 v34, v40, v38
	s_add_u32 s2, s6, s2
	v_lshlrev_b32_e32 v35, 1, v89
	ds_write_b64 v34, v[36:37]
	v_lshrrev_b32_e32 v34, 4, v0
	s_addc_u32 s3, s7, s3
	v_or_b32_e32 v36, 1, v35
	v_lshlrev_b32_e32 v42, 4, v89
	v_mov_b32_e32 v43, 0
	v_xor_b32_e32 v35, v34, v35
	v_xor_b32_e32 v38, v36, v34
	v_lshl_add_u64 v[44:45], s[2:3], 0, v[42:43]
	v_lshlrev_b32_e32 v42, 8, v34
	v_lshl_or_b32 v48, v35, 3, v42
	v_lshl_or_b32 v49, v38, 3, v42
	s_waitcnt lgkmcnt(0)
	s_barrier
	ds_read2st64_b64 v[34:37], v48 offset1:8
	ds_read2st64_b64 v[38:41], v49 offset1:8
	v_lshl_add_u64 v[46:47], v[44:45], 0, v[42:43]
	s_movk_i32 s2, 0x2000
	s_cmp_lg_u32 s47, 64
	s_waitcnt lgkmcnt(1)
	v_mov_b32_e32 v42, v34
	v_mov_b32_e32 v43, v35
	s_waitcnt lgkmcnt(0)
	v_mov_b32_e32 v44, v38
	v_mov_b32_e32 v45, v39
	global_store_dwordx4 v[46:47], v[42:45], off
	v_mov_b32_e32 v38, v36
	v_mov_b32_e32 v39, v37
	ds_read2st64_b64 v[34:37], v48 offset0:16 offset1:24
	ds_read2st64_b64 v[42:45], v49 offset0:16 offset1:24
	v_add_co_u32_e32 v48, vcc, s2, v46
	s_cselect_b64 s[6:7], -1, 0
	s_nop 0
	v_addc_co_u32_e32 v49, vcc, 0, v47, vcc
	global_store_dwordx4 v[48:49], v[38:41], off offset:-4096
	v_lshl_or_b32 v51, v77, 3, v91
	s_mov_b32 s24, 0
	s_waitcnt lgkmcnt(1)
	v_mov_b32_e32 v38, v34
	v_add_co_u32_e32 v34, vcc, 0x3000, v46
	v_mov_b32_e32 v39, v35
	s_nop 0
	v_addc_co_u32_e32 v35, vcc, 0, v47, vcc
	s_waitcnt lgkmcnt(0)
	v_mov_b32_e32 v40, v42
	v_mov_b32_e32 v41, v43
	;; [unrolled: 1-line block ×4, first 2 shown]
	v_or_b32_e32 v54, 32, v51
	v_and_b32_e32 v52, 56, v90
	s_and_b64 vcc, exec, s[6:7]
	global_store_dwordx4 v[48:49], v[38:41], off
	global_store_dwordx4 v[34:35], v[42:45], off
	s_cbranch_vccz .LBB221_31
; %bb.26:
	s_mov_b32 s26, s24
	s_mov_b32 s27, s24
	;; [unrolled: 1-line block ×3, first 2 shown]
	v_mov_b64_e32 v[40:41], s[26:27]
	v_mov_b64_e32 v[38:39], s[24:25]
	;; [unrolled: 1-line block ×3, first 2 shown]
	v_cmp_gt_i32_e32 vcc, s47, v51
	v_mov_b64_e32 v[36:37], v[40:41]
	s_and_saveexec_b64 s[2:3], vcc
	s_cbranch_execz .LBB221_28
; %bb.27:
	v_lshlrev_b32_e32 v34, 8, v51
	v_mov_b32_e32 v35, 0
	v_lshl_add_u64 v[36:37], s[0:1], 0, v[34:35]
	v_lshlrev_b32_e32 v34, 1, v52
	v_lshl_add_u64 v[42:43], v[36:37], 0, v[34:35]
	global_load_dwordx4 v[38:41], v[42:43], off
	global_load_dwordx4 v[34:37], v[42:43], off offset:128
.LBB221_28:
	s_or_b64 exec, exec, s[2:3]
	s_mov_b32 s26, s24
	s_mov_b32 s27, s24
	;; [unrolled: 1-line block ×3, first 2 shown]
	v_mov_b64_e32 v[48:49], s[26:27]
	v_mov_b64_e32 v[46:47], s[24:25]
	;; [unrolled: 1-line block ×3, first 2 shown]
	v_cmp_gt_i32_e32 vcc, s47, v54
	v_lshlrev_b32_e32 v55, 7, v54
	v_mov_b64_e32 v[44:45], v[48:49]
	s_and_saveexec_b64 s[2:3], vcc
	s_cbranch_execz .LBB221_30
; %bb.29:
	v_lshlrev_b32_e32 v42, 1, v55
	v_mov_b32_e32 v43, 0
	v_lshl_add_u64 v[44:45], s[0:1], 0, v[42:43]
	v_lshlrev_b32_e32 v42, 1, v52
	v_lshl_add_u64 v[60:61], v[44:45], 0, v[42:43]
	global_load_dwordx4 v[46:49], v[60:61], off
	global_load_dwordx4 v[42:45], v[60:61], off offset:128
.LBB221_30:
	s_or_b64 exec, exec, s[2:3]
	v_lshrrev_b32_e32 v58, 3, v52
	v_lshlrev_b32_e32 v60, 3, v51
	v_or_b32_e32 v58, v60, v58
	v_lshlrev_b32_e32 v58, 4, v58
	v_and_b32_e32 v60, 0x78, v60
	v_xor_b32_e32 v58, v58, v60
	s_branch .LBB221_33
.LBB221_31:
                                        ; implicit-def: $vgpr58
                                        ; implicit-def: $vgpr55
                                        ; implicit-def: $vgpr38_vgpr39_vgpr40_vgpr41
                                        ; implicit-def: $vgpr34_vgpr35_vgpr36_vgpr37
                                        ; implicit-def: $vgpr46_vgpr47_vgpr48_vgpr49
                                        ; implicit-def: $vgpr42_vgpr43_vgpr44_vgpr45
	s_cbranch_execz .LBB221_33
; %bb.32:
	s_waitcnt vmcnt(0)
	v_lshlrev_b32_e32 v34, 1, v52
	v_lshl_or_b32 v55, v51, 8, v34
	s_and_b32 s1, s1, 0xffff
	s_mov_b32 s3, 0x20000
	s_movk_i32 s2, 0x4000
	v_lshl_or_b32 v58, v54, 8, v34
	s_movk_i32 s16, 0x80
	buffer_load_dwordx4 v[38:41], v55, s[0:3], 0 offen
	buffer_load_dwordx4 v[34:37], v55, s[0:3], s16 offen
	;; [unrolled: 1-line block ×4, first 2 shown]
	v_lshrrev_b32_e32 v55, 3, v52
	v_lshlrev_b32_e32 v58, 3, v51
	v_or_b32_e32 v55, v58, v55
	v_lshlrev_b32_e32 v55, 4, v55
	v_and_b32_e32 v58, 0x78, v58
	v_xor_b32_e32 v58, v55, v58
	v_lshlrev_b32_e32 v55, 7, v54
.LBB221_33:
	s_movk_i32 s0, 0x1000
	v_and_or_b32 v54, v55, s0, v58
	s_waitcnt vmcnt(1)
	ds_write_b64 v58, v[38:39] offset:49152
	v_xor_b32_e32 v38, 8, v58
	ds_write_b64 v38, v[40:41] offset:49152
	s_waitcnt vmcnt(0)
	ds_write_b64 v58, v[34:35] offset:57344
	ds_write_b64 v38, v[36:37] offset:57344
	;; [unrolled: 1-line block ×3, first 2 shown]
	v_xor_b32_e32 v34, 8, v54
	ds_write_b64 v34, v[48:49] offset:49152
	ds_write_b64 v54, v[42:43] offset:57344
	;; [unrolled: 1-line block ×3, first 2 shown]
	v_or_b32_e32 v34, v86, v89
	v_lshlrev_b32_e32 v34, 3, v34
	v_lshrrev_b32_e32 v35, 5, v87
	s_movk_i32 s0, 0xf8
	v_and_or_b32 v35, v34, s0, v35
	v_lshlrev_b32_e32 v39, 4, v35
	v_lshlrev_b32_e32 v58, 11, v77
	v_and_b32_e32 v40, 0x78, v34
	v_or_b32_e32 v42, 32, v39
	v_and_b32_e32 v38, 0x1000, v58
	v_lshrrev_b32_e32 v35, 1, v87
	v_xor_b32_e32 v42, v42, v40
	v_xor_b32_e32 v34, v39, v40
	v_and_b32_e32 v41, 8, v35
	v_or_b32_e32 v42, v42, v38
	v_or_b32_e32 v34, v34, v38
	v_xor_b32_e32 v65, v42, v41
	v_or_b32_e32 v42, 64, v39
	v_xor_b32_e32 v64, v34, v41
	v_xor_b32_e32 v42, v42, v40
	s_waitcnt lgkmcnt(0)
	s_barrier
	v_or_b32_e32 v45, v42, v38
	ds_read_b64 v[42:43], v64 offset:49152
	v_lshl_or_b32 v46, v88, 8, v59
	v_lshlrev_b32_e32 v60, 1, v46
	v_add_u32_e32 v44, 0x4000, v60
	ds_read2_b64 v[34:37], v44 offset1:16
	v_or_b32_e32 v39, 0x60, v39
	v_xor_b32_e32 v39, v39, v40
	v_or_b32_e32 v38, v39, v38
	v_xor_b32_e32 v66, v45, v41
	v_xor_b32_e32 v67, v38, v41
	ds_read_b64 v[54:55], v65 offset:49152
	ds_read_b64 v[68:69], v66 offset:49152
	;; [unrolled: 1-line block ×3, first 2 shown]
	s_waitcnt lgkmcnt(3)
	v_mfma_f32_16x16x16_bf16 a[0:3], v[42:43], v[34:35], 0
	ds_read2_b64 v[38:41], v44 offset0:32 offset1:48
	s_lshl_b64 s[0:1], s[44:45], 8
	s_add_u32 s4, s4, s0
	v_mfma_f32_16x16x16_bf16 a[4:7], v[42:43], v[36:37], 0
	ds_read2st64_b64 v[34:37], v60 offset0:36 offset1:40
	s_addc_u32 s5, s5, s1
	s_add_i32 s16, s12, -1
	s_waitcnt lgkmcnt(1)
	v_mfma_f32_16x16x16_bf16 a[8:11], v[42:43], v[38:39], 0
	v_or_b32_e32 v38, 64, v46
	v_lshlrev_b32_e32 v61, 1, v38
	s_add_i32 s0, s49, s21
	s_waitcnt lgkmcnt(0)
	v_mfma_f32_16x16x16_bf16 a[0:3], v[54:55], v[34:35], a[0:3]
	v_or_b32_e32 v34, 0x80, v46
	v_lshlrev_b32_e32 v62, 1, v34
	v_or_b32_e32 v34, 0xc0, v46
	v_mfma_f32_16x16x16_bf16 a[12:15], v[42:43], v[40:41], 0
	ds_read2st64_b64 v[38:41], v61 offset0:36 offset1:40
	v_lshlrev_b32_e32 v63, 1, v34
	ds_read2st64_b64 v[42:45], v62 offset0:36 offset1:40
	ds_read2st64_b64 v[46:49], v63 offset0:36 offset1:40
	s_mul_i32 s41, s41, s20
	s_add_i32 s41, s0, s41
	s_mul_i32 s0, s33, s23
	s_mul_hi_u32 s1, s33, s22
	s_ashr_i32 s2, s16, 31
	s_mul_i32 s3, s16, s39
	s_mul_hi_u32 s12, s16, s38
	s_waitcnt lgkmcnt(2)
	v_mfma_f32_16x16x16_bf16 a[4:7], v[54:55], v[38:39], a[4:7]
	s_add_i32 s0, s1, s0
	s_mul_i32 s1, s14, s22
	s_add_i32 s3, s12, s3
	s_mul_i32 s2, s2, s38
	s_waitcnt lgkmcnt(1)
	v_mfma_f32_16x16x16_bf16 a[8:11], v[54:55], v[42:43], a[8:11]
	s_add_i32 s1, s0, s1
	s_add_i32 s3, s3, s2
	s_lshl_b64 s[20:21], s[40:41], 2
	s_waitcnt lgkmcnt(0)
	v_mfma_f32_16x16x16_bf16 a[12:15], v[54:55], v[46:47], a[12:15]
	s_mul_i32 s0, s33, s22
	s_add_u32 s10, s10, s20
	s_addc_u32 s11, s11, s21
	s_lshl_b64 s[0:1], s[0:1], 2
	v_mfma_f32_16x16x16_bf16 a[0:3], v[68:69], v[36:37], a[0:3]
	s_mul_i32 s2, s16, s38
	ds_read_b64 v[34:35], v60 offset:22528
	s_add_u32 s10, s10, s0
	v_mfma_f32_16x16x16_bf16 a[4:7], v[68:69], v[40:41], a[4:7]
	ds_read_b64 v[36:37], v61 offset:22528
	ds_read_b64 v[38:39], v62 offset:22528
	;; [unrolled: 1-line block ×3, first 2 shown]
	s_addc_u32 s11, s11, s1
	s_lshl_b64 s[0:1], s[2:3], 2
	v_mfma_f32_16x16x16_bf16 a[8:11], v[68:69], v[44:45], a[8:11]
	s_add_u32 s0, s10, s0
	s_addc_u32 s1, s11, s1
	s_load_dword s12, s[0:1], 0x0
	v_mfma_f32_16x16x16_bf16 a[12:15], v[68:69], v[48:49], a[12:15]
	s_and_b64 vcc, exec, s[42:43]
	s_waitcnt lgkmcnt(0)
	v_mfma_f32_16x16x16_bf16 a[0:3], v[70:71], v[34:35], a[0:3]
	v_mfma_f32_16x16x16_bf16 a[4:7], v[70:71], v[36:37], a[4:7]
	;; [unrolled: 1-line block ×4, first 2 shown]
	s_cbranch_vccz .LBB221_44
; %bb.34:
	v_lshlrev_b32_e32 v54, 1, v51
	s_and_b64 vcc, exec, s[6:7]
	s_cbranch_vccz .LBB221_45
; %bb.35:
	v_cmp_gt_i32_e32 vcc, s47, v54
	v_mov_b32_e32 v38, 0
	v_mov_b32_e32 v34, 0
	;; [unrolled: 1-line block ×5, first 2 shown]
	s_and_saveexec_b64 s[0:1], vcc
	s_cbranch_execz .LBB221_37
; %bb.36:
	v_mad_i64_i32 v[34:35], s[2:3], s15, v54, 0
	v_lshl_add_u64 v[34:35], v[34:35], 1, s[4:5]
	v_lshlrev_b32_e32 v36, 1, v52
	v_mov_b32_e32 v37, 0
	v_lshl_add_u64 v[34:35], v[34:35], 0, v[36:37]
	global_load_dwordx4 v[34:37], v[34:35], off
.LBB221_37:
	s_or_b64 exec, exec, s[0:1]
	v_or_b32_e32 v55, 1, v54
	v_cmp_gt_i32_e64 s[0:1], s47, v55
	v_mov_b32_e32 v39, 0
	v_mov_b32_e32 v40, 0
	;; [unrolled: 1-line block ×3, first 2 shown]
	s_and_saveexec_b64 s[2:3], s[0:1]
	s_cbranch_execz .LBB221_39
; %bb.38:
	v_mad_i64_i32 v[38:39], s[20:21], s15, v55, 0
	v_lshl_add_u64 v[38:39], v[38:39], 1, s[4:5]
	v_lshlrev_b32_e32 v40, 1, v52
	v_mov_b32_e32 v41, 0
	v_lshl_add_u64 v[38:39], v[38:39], 0, v[40:41]
	global_load_dwordx4 v[38:41], v[38:39], off
.LBB221_39:
	s_or_b64 exec, exec, s[2:3]
	v_mov_b32_e32 v49, 0
	v_mov_b32_e32 v42, 0
	;; [unrolled: 1-line block ×5, first 2 shown]
	s_and_saveexec_b64 s[2:3], vcc
	s_cbranch_execz .LBB221_41
; %bb.40:
	v_mad_i64_i32 v[42:43], s[20:21], s15, v54, 0
	v_lshl_add_u64 v[42:43], v[42:43], 1, s[4:5]
	v_lshlrev_b32_e32 v44, 1, v52
	v_mov_b32_e32 v45, 0
	v_lshl_add_u64 v[42:43], v[42:43], 0, v[44:45]
	global_load_dwordx4 v[42:45], v[42:43], off offset:128
.LBB221_41:
	s_or_b64 exec, exec, s[2:3]
	v_mov_b32_e32 v48, 0
	v_mov_b32_e32 v47, 0
	;; [unrolled: 1-line block ×3, first 2 shown]
	s_and_saveexec_b64 s[2:3], s[0:1]
	s_cbranch_execz .LBB221_43
; %bb.42:
	v_mad_i64_i32 v[46:47], s[0:1], s15, v55, 0
	v_lshl_add_u64 v[46:47], v[46:47], 1, s[4:5]
	v_lshlrev_b32_e32 v48, 1, v52
	v_mov_b32_e32 v49, 0
	v_lshl_add_u64 v[46:47], v[46:47], 0, v[48:49]
	global_load_dwordx4 v[46:49], v[46:47], off offset:128
.LBB221_43:
	s_or_b64 exec, exec, s[2:3]
	s_branch .LBB221_47
.LBB221_44:
                                        ; implicit-def: $vgpr37
                                        ; implicit-def: $vgpr41
                                        ; implicit-def: $vgpr45
                                        ; implicit-def: $vgpr49
	v_lshrrev_b32_e32 v68, 2, v87
	s_branch .LBB221_48
.LBB221_45:
                                        ; implicit-def: $vgpr37
                                        ; implicit-def: $vgpr41
                                        ; implicit-def: $vgpr45
                                        ; implicit-def: $vgpr49
	s_cbranch_execz .LBB221_47
; %bb.46:
	s_waitcnt vmcnt(0)
	v_mad_u64_u32 v[34:35], s[0:1], v54, s15, v[52:53]
	v_lshlrev_b32_e32 v54, 1, v34
	s_lshl_b32 s2, s15, 7
	s_and_b32 s1, s5, 0xffff
	s_mov_b32 s3, 0x20000
	s_mov_b32 s0, s4
	v_add_lshl_u32 v55, v34, s15, 1
	s_movk_i32 s15, 0x80
	buffer_load_dwordx4 v[34:37], v54, s[0:3], 0 offen
	buffer_load_dwordx4 v[42:45], v54, s[0:3], s15 offen
	;; [unrolled: 1-line block ×4, first 2 shown]
.LBB221_47:
	v_lshrrev_b32_e32 v68, 2, v87
	s_cbranch_execnz .LBB221_60
.LBB221_48:
	s_and_b64 vcc, exec, s[6:7]
	s_cbranch_vccz .LBB221_58
; %bb.49:
	s_waitcnt vmcnt(0)
	v_lshlrev_b32_e32 v39, 1, v51
	v_cmp_gt_i32_e32 vcc, s47, v39
	v_mov_b32_e32 v38, 0
	v_lshlrev_b32_e32 v46, 9, v51
	v_mov_b32_e32 v34, 0
	v_mov_b32_e32 v35, 0
	;; [unrolled: 1-line block ×4, first 2 shown]
	s_and_saveexec_b64 s[0:1], vcc
	s_cbranch_execz .LBB221_51
; %bb.50:
	v_mov_b32_e32 v47, 0
	v_lshl_add_u64 v[34:35], s[4:5], 0, v[46:47]
	v_lshlrev_b32_e32 v36, 1, v52
	v_mov_b32_e32 v37, v47
	v_lshl_add_u64 v[34:35], v[34:35], 0, v[36:37]
	global_load_dwordx4 v[34:37], v[34:35], off
.LBB221_51:
	s_or_b64 exec, exec, s[0:1]
	v_or_b32_e32 v39, 1, v39
	v_cmp_gt_i32_e64 s[0:1], s47, v39
	v_lshlrev_b32_e32 v54, 8, v39
	v_mov_b32_e32 v39, 0
	v_mov_b32_e32 v40, 0
	;; [unrolled: 1-line block ×3, first 2 shown]
	s_and_saveexec_b64 s[2:3], s[0:1]
	s_cbranch_execz .LBB221_53
; %bb.52:
	v_mov_b32_e32 v55, 0
	v_lshl_add_u64 v[38:39], s[4:5], 0, v[54:55]
	v_lshlrev_b32_e32 v40, 1, v52
	v_mov_b32_e32 v41, v55
	v_lshl_add_u64 v[38:39], v[38:39], 0, v[40:41]
	global_load_dwordx4 v[38:41], v[38:39], off
.LBB221_53:
	s_or_b64 exec, exec, s[2:3]
	v_mov_b32_e32 v49, 0
	v_mov_b32_e32 v42, 0
	;; [unrolled: 1-line block ×5, first 2 shown]
	s_and_saveexec_b64 s[2:3], vcc
	s_cbranch_execz .LBB221_55
; %bb.54:
	v_mov_b32_e32 v47, 0
	v_lshl_add_u64 v[42:43], s[4:5], 0, v[46:47]
	v_lshlrev_b32_e32 v46, 1, v52
	v_lshl_add_u64 v[42:43], v[42:43], 0, v[46:47]
	global_load_dwordx4 v[42:45], v[42:43], off offset:128
.LBB221_55:
	s_or_b64 exec, exec, s[2:3]
	v_mov_b32_e32 v48, 0
	v_mov_b32_e32 v47, 0
	;; [unrolled: 1-line block ×3, first 2 shown]
	s_and_saveexec_b64 s[2:3], s[0:1]
	s_cbranch_execz .LBB221_57
; %bb.56:
	v_mov_b32_e32 v55, 0
	v_lshl_add_u64 v[46:47], s[4:5], 0, v[54:55]
	v_lshlrev_b32_e32 v54, 1, v52
	v_lshl_add_u64 v[46:47], v[46:47], 0, v[54:55]
	global_load_dwordx4 v[46:49], v[46:47], off offset:128
.LBB221_57:
	s_or_b64 exec, exec, s[2:3]
	s_branch .LBB221_60
.LBB221_58:
                                        ; implicit-def: $vgpr37
                                        ; implicit-def: $vgpr41
                                        ; implicit-def: $vgpr45
                                        ; implicit-def: $vgpr49
	s_cbranch_execz .LBB221_60
; %bb.59:
	s_waitcnt vmcnt(0)
	v_lshlrev_b32_e32 v34, 1, v52
	v_lshl_or_b32 v52, v51, 9, v34
	s_and_b32 s5, s5, 0xffff
	s_mov_b32 s7, 0x20000
	s_movk_i32 s6, 0x4000
	s_movk_i32 s0, 0x80
	buffer_load_dwordx4 v[34:37], v52, s[4:7], 0 offen
	buffer_load_dwordx4 v[38:41], v52, s[4:7], 0 offen offset:256
	buffer_load_dwordx4 v[42:45], v52, s[4:7], s0 offen
	buffer_load_dwordx4 v[46:49], v52, s[4:7], s0 offen offset:256
.LBB221_60:
	ds_read_b64 v[54:55], v64 offset:57344
	v_add_u32_e32 v52, 0x6000, v60
	ds_read2_b64 v[70:73], v52 offset1:16
	ds_read_b64 v[82:83], v65 offset:57344
	ds_read_b64 v[84:85], v66 offset:57344
	;; [unrolled: 1-line block ×3, first 2 shown]
	ds_read2_b64 v[64:67], v52 offset0:32 offset1:48
	v_and_b32_e32 v52, 12, v68
	v_and_b32_e32 v76, 6, v0
	v_xor_b32_e32 v51, v51, v76
	v_lshlrev_b32_e32 v51, 2, v51
	s_mov_b32 s0, 0x1000504
	s_waitcnt lgkmcnt(4)
	v_mfma_f32_16x16x16_bf16 a[4:7], v[54:55], v[72:73], a[4:7]
	s_mov_b32 s1, 0x3020706
	v_mfma_f32_16x16x16_bf16 a[0:3], v[54:55], v[70:71], a[0:3]
	ds_read2st64_b64 v[68:71], v60 offset0:52 offset1:56
	s_waitcnt lgkmcnt(1)
	v_mfma_f32_16x16x16_bf16 a[8:11], v[54:55], v[64:65], a[8:11]
	v_mfma_f32_16x16x16_bf16 a[12:15], v[54:55], v[66:67], a[12:15]
	ds_read2st64_b64 v[64:67], v61 offset0:52 offset1:56
	ds_read2st64_b64 v[72:75], v62 offset0:52 offset1:56
	;; [unrolled: 1-line block ×3, first 2 shown]
	s_waitcnt lgkmcnt(2)
	v_mfma_f32_16x16x16_bf16 a[4:7], v[82:83], v[64:65], a[4:7]
	v_and_b32_e32 v64, 1, v0
	v_xor_b32_e32 v65, 0x440, v51
	v_cmp_eq_u32_e32 vcc, 0, v64
	v_mfma_f32_16x16x16_bf16 a[0:3], v[82:83], v[68:69], a[0:3]
	s_waitcnt vmcnt(0)
	v_perm_b32 v64, v34, v38, s0
	v_cndmask_b32_e32 v51, v65, v51, vcc
	v_lshl_or_b32 v51, v76, 10, v51
	s_waitcnt lgkmcnt(1)
	v_mfma_f32_16x16x16_bf16 a[8:11], v[82:83], v[72:73], a[8:11]
	v_perm_b32 v65, v42, v46, s0
	ds_read_b64 v[54:55], v60 offset:30720
	ds_read_b64 v[68:69], v61 offset:30720
	;; [unrolled: 1-line block ×4, first 2 shown]
	ds_write2st64_b32 v51, v64, v65 offset0:128 offset1:160
	s_waitcnt lgkmcnt(5)
	v_mfma_f32_16x16x16_bf16 a[12:15], v[82:83], v[78:79], a[12:15]
	v_xor_b32_e32 v64, 8, v51
	v_perm_b32 v34, v34, v38, s1
	v_perm_b32 v38, v42, v46, s1
	v_add_u32_e32 v42, 0x80, v64
	ds_write2st64_b32 v42, v34, v38 offset0:128 offset1:160
	v_xor_b32_e32 v34, 16, v51
	v_perm_b32 v38, v35, v39, s0
	v_perm_b32 v42, v43, v47, s0
	v_mfma_f32_16x16x16_bf16 a[0:3], v[84:85], v[70:71], a[0:3]
	ds_write2st64_b32 v34, v38, v42 offset0:129 offset1:161
	v_xor_b32_e32 v34, 24, v51
	v_perm_b32 v35, v35, v39, s1
	v_mfma_f32_16x16x16_bf16 a[4:7], v[84:85], v[66:67], a[4:7]
	v_perm_b32 v38, v43, v47, s1
	v_add_u32_e32 v34, 0x80, v34
	ds_write2st64_b32 v34, v35, v38 offset0:129 offset1:161
	v_mfma_f32_16x16x16_bf16 a[16:19], v[84:85], v[74:75], a[8:11]
	v_xor_b32_e32 v34, 32, v51
	v_perm_b32 v35, v36, v40, s0
	v_perm_b32 v38, v44, v48, s0
	v_mfma_f32_16x16x16_bf16 a[20:23], v[84:85], v[80:81], a[12:15]
	ds_write2st64_b32 v34, v35, v38 offset0:130 offset1:162
	v_xor_b32_e32 v34, 40, v51
	v_perm_b32 v35, v36, v40, s1
	s_waitcnt lgkmcnt(8)
	v_mfma_f32_16x16x16_bf16 a[12:15], v[88:89], v[54:55], a[0:3]
	v_perm_b32 v36, v44, v48, s1
	v_add_u32_e32 v34, 0x80, v34
	ds_write2st64_b32 v34, v35, v36 offset0:130 offset1:162
	s_waitcnt lgkmcnt(8)
	v_mfma_f32_16x16x16_bf16 a[8:11], v[88:89], v[68:69], a[4:7]
	v_xor_b32_e32 v34, 48, v51
	v_perm_b32 v35, v37, v41, s0
	v_perm_b32 v36, v45, v49, s0
	s_waitcnt lgkmcnt(7)
	v_mfma_f32_16x16x16_bf16 a[4:7], v[88:89], v[90:91], a[16:19]
	ds_write2st64_b32 v34, v35, v36 offset0:131 offset1:163
	v_xor_b32_e32 v34, 56, v51
	v_or_b32_e32 v54, v52, v86
	s_waitcnt lgkmcnt(7)
	v_mfma_f32_16x16x16_bf16 a[0:3], v[88:89], v[92:93], a[20:23]
	v_perm_b32 v35, v37, v41, s1
	v_perm_b32 v36, v45, v49, s1
	v_add_u32_e32 v34, 0x80, v34
	v_cmp_gt_i32_e64 s[0:1], s47, v54
	v_mov_b32_e32 v64, 0
	v_mov_b32_e32 v65, 0
	ds_write2st64_b32 v34, v35, v36 offset0:131 offset1:163
	s_and_saveexec_b64 s[2:3], s[0:1]
	s_cbranch_execz .LBB221_62
; %bb.61:
	v_add_u32_e32 v34, s46, v54
	v_ashrrev_i32_e32 v35, 31, v34
	v_mul_lo_u32 v36, v35, s38
	v_mul_lo_u32 v37, v34, s39
	v_mad_u64_u32 v[34:35], s[4:5], v34, s38, 0
	v_add3_u32 v35, v35, v37, v36
	v_lshl_add_u64 v[34:35], v[34:35], 2, s[10:11]
	global_load_dword v34, v[34:35], off
	s_waitcnt vmcnt(0)
	v_sub_f32_e32 v34, s12, v34
	v_mul_f32_e32 v34, 0x3fb8aa3b, v34
	v_exp_f32_e32 v65, v34
.LBB221_62:
	s_or_b64 exec, exec, s[2:3]
	v_or_b32_e32 v43, 1, v54
	v_cmp_gt_i32_e64 s[2:3], s47, v43
	s_and_saveexec_b64 s[4:5], s[2:3]
	s_cbranch_execz .LBB221_64
; %bb.63:
	v_add_u32_e32 v34, s46, v43
	v_ashrrev_i32_e32 v35, 31, v34
	v_mul_lo_u32 v36, v35, s38
	v_mul_lo_u32 v37, v34, s39
	v_mad_u64_u32 v[34:35], s[6:7], v34, s38, 0
	v_add3_u32 v35, v35, v37, v36
	v_lshl_add_u64 v[34:35], v[34:35], 2, s[10:11]
	global_load_dword v34, v[34:35], off
	s_waitcnt vmcnt(0)
	v_sub_f32_e32 v34, s12, v34
	v_mul_f32_e32 v34, 0x3fb8aa3b, v34
	v_exp_f32_e32 v64, v34
.LBB221_64:
	s_or_b64 exec, exec, s[4:5]
	v_or_b32_e32 v42, 2, v54
	v_cmp_gt_i32_e64 s[4:5], s47, v42
	v_mov_b32_e32 v55, 0
	v_mov_b32_e32 v66, 0
	s_and_saveexec_b64 s[6:7], s[4:5]
	s_cbranch_execz .LBB221_66
; %bb.65:
	v_add_u32_e32 v34, s46, v42
	v_ashrrev_i32_e32 v35, 31, v34
	v_mul_lo_u32 v36, v35, s38
	v_mul_lo_u32 v37, v34, s39
	v_mad_u64_u32 v[34:35], s[20:21], v34, s38, 0
	v_add3_u32 v35, v35, v37, v36
	v_lshl_add_u64 v[34:35], v[34:35], 2, s[10:11]
	global_load_dword v34, v[34:35], off
	s_waitcnt vmcnt(0)
	v_sub_f32_e32 v34, s12, v34
	v_mul_f32_e32 v34, 0x3fb8aa3b, v34
	v_exp_f32_e32 v66, v34
.LBB221_66:
	s_or_b64 exec, exec, s[6:7]
	v_or_b32_e32 v67, 3, v54
	v_cmp_gt_i32_e32 vcc, s47, v67
	s_and_saveexec_b64 s[6:7], vcc
	s_cbranch_execz .LBB221_68
; %bb.67:
	v_add_u32_e32 v34, s46, v67
	v_ashrrev_i32_e32 v35, 31, v34
	v_mul_lo_u32 v36, v35, s38
	v_mul_lo_u32 v37, v34, s39
	v_mad_u64_u32 v[34:35], s[20:21], v34, s38, 0
	v_add3_u32 v35, v35, v37, v36
	v_lshl_add_u64 v[34:35], v[34:35], 2, s[10:11]
	global_load_dword v34, v[34:35], off
	s_waitcnt vmcnt(0)
	v_sub_f32_e32 v34, s12, v34
	v_mul_f32_e32 v34, 0x3fb8aa3b, v34
	v_exp_f32_e32 v55, v34
.LBB221_68:
	s_or_b64 exec, exec, s[6:7]
	s_add_u32 s6, s8, s30
	s_addc_u32 s7, s9, s31
	s_add_u32 s8, s18, s30
	v_ashrrev_i32_e32 v51, 31, v50
	v_accvgpr_read_b32 v37, a15
	s_addc_u32 s9, s19, s31
	v_lshlrev_b64 v[38:39], 1, v[50:51]
	v_accvgpr_read_b32 v36, a14
	v_accvgpr_read_b32 v35, a13
	;; [unrolled: 1-line block ×3, first 2 shown]
	v_lshl_add_u64 v[40:41], s[6:7], 0, v[38:39]
	v_lshl_add_u64 v[38:39], s[8:9], 0, v[38:39]
	v_mov_b32_e32 v47, 0
	v_lshlrev_b32_e32 v44, 8, v54
	v_mov_b32_e32 v45, 0
	s_and_saveexec_b64 s[6:7], s[0:1]
	s_cbranch_execz .LBB221_70
; %bb.69:
	v_mov_b32_e32 v45, 0
	v_lshl_add_u64 v[48:49], v[40:41], 0, v[44:45]
	global_load_ushort v46, v[48:49], off
	v_lshl_add_u64 v[48:49], v[38:39], 0, v[44:45]
	s_waitcnt vmcnt(0)
	v_lshlrev_b32_e32 v45, 16, v46
	v_sub_f32_e32 v34, v45, v34
	global_store_short_d16_hi v[48:49], v34, off
	v_mul_f32_e32 v34, v65, v34
	v_lshrrev_b32_e32 v45, 16, v34
.LBB221_70:
	s_or_b64 exec, exec, s[6:7]
	v_lshlrev_b32_e32 v46, 8, v43
	s_and_saveexec_b64 s[6:7], s[2:3]
	s_cbranch_execz .LBB221_72
; %bb.71:
	v_mov_b32_e32 v47, 0
	v_lshl_add_u64 v[48:49], v[40:41], 0, v[46:47]
	global_load_ushort v34, v[48:49], off
	v_lshl_add_u64 v[48:49], v[38:39], 0, v[46:47]
	s_waitcnt vmcnt(0)
	v_lshlrev_b32_e32 v34, 16, v34
	v_sub_f32_e32 v34, v34, v35
	global_store_short_d16_hi v[48:49], v34, off
	v_mul_f32_e32 v34, v64, v34
	v_lshrrev_b32_e32 v47, 16, v34
.LBB221_72:
	s_or_b64 exec, exec, s[6:7]
	v_mov_b32_e32 v43, 0
	v_lshlrev_b32_e32 v48, 8, v42
	v_mov_b32_e32 v49, 0
	s_and_saveexec_b64 s[6:7], s[4:5]
	s_cbranch_execz .LBB221_74
; %bb.73:
	v_mov_b32_e32 v49, 0
	v_lshl_add_u64 v[34:35], v[40:41], 0, v[48:49]
	global_load_ushort v42, v[34:35], off
	v_lshl_add_u64 v[34:35], v[38:39], 0, v[48:49]
	s_waitcnt vmcnt(0)
	v_lshlrev_b32_e32 v42, 16, v42
	v_sub_f32_e32 v36, v42, v36
	global_store_short_d16_hi v[34:35], v36, off
	v_mul_f32_e32 v34, v66, v36
	v_lshrrev_b32_e32 v49, 16, v34
.LBB221_74:
	s_or_b64 exec, exec, s[6:7]
	v_lshlrev_b32_e32 v42, 8, v67
	s_and_saveexec_b64 s[6:7], vcc
	s_cbranch_execz .LBB221_76
; %bb.75:
	v_mov_b32_e32 v43, 0
	v_lshl_add_u64 v[34:35], v[40:41], 0, v[42:43]
	global_load_ushort v36, v[34:35], off
	v_lshl_add_u64 v[34:35], v[38:39], 0, v[42:43]
	s_waitcnt vmcnt(0)
	v_lshlrev_b32_e32 v36, 16, v36
	v_sub_f32_e32 v36, v36, v37
	global_store_short_d16_hi v[34:35], v36, off
	v_mul_f32_e32 v34, v55, v36
	v_lshrrev_b32_e32 v43, 16, v34
.LBB221_76:
	s_or_b64 exec, exec, s[6:7]
	v_lshlrev_b32_e32 v51, 6, v54
	s_mov_b32 s6, 0x5040100
	v_accvgpr_read_b32 v37, a11
	v_perm_b32 v69, v43, v49, s6
	v_or_b32_e32 v43, v51, v59
	v_accvgpr_read_b32 v36, a10
	v_accvgpr_read_b32 v35, a9
	;; [unrolled: 1-line block ×3, first 2 shown]
	v_perm_b32 v68, v47, v45, s6
	v_lshlrev_b32_e32 v43, 1, v43
	v_mov_b32_e32 v47, 0
	v_mov_b32_e32 v45, 0
	ds_write_b64 v43, v[68:69] offset:24576
	s_and_saveexec_b64 s[6:7], s[0:1]
	s_cbranch_execz .LBB221_78
; %bb.77:
	v_mov_b32_e32 v45, 0
	v_lshl_add_u64 v[68:69], v[40:41], 0, v[44:45]
	global_load_ushort v43, v[68:69], off offset:32
	v_lshl_add_u64 v[68:69], v[38:39], 0, v[44:45]
	s_waitcnt vmcnt(0)
	v_lshlrev_b32_e32 v43, 16, v43
	v_sub_f32_e32 v34, v43, v34
	global_store_short_d16_hi v[68:69], v34, off offset:32
	v_mul_f32_e32 v34, v65, v34
	v_lshrrev_b32_e32 v45, 16, v34
.LBB221_78:
	s_or_b64 exec, exec, s[6:7]
	s_and_saveexec_b64 s[6:7], s[2:3]
	s_cbranch_execz .LBB221_80
; %bb.79:
	v_mov_b32_e32 v47, 0
	v_lshl_add_u64 v[68:69], v[40:41], 0, v[46:47]
	global_load_ushort v34, v[68:69], off offset:32
	v_lshl_add_u64 v[68:69], v[38:39], 0, v[46:47]
	s_waitcnt vmcnt(0)
	v_lshlrev_b32_e32 v34, 16, v34
	v_sub_f32_e32 v34, v34, v35
	global_store_short_d16_hi v[68:69], v34, off offset:32
	v_mul_f32_e32 v34, v64, v34
	v_lshrrev_b32_e32 v47, 16, v34
.LBB221_80:
	s_or_b64 exec, exec, s[6:7]
	v_mov_b32_e32 v43, 0
	v_mov_b32_e32 v49, 0
	s_and_saveexec_b64 s[6:7], s[4:5]
	s_cbranch_execz .LBB221_82
; %bb.81:
	v_mov_b32_e32 v49, 0
	v_lshl_add_u64 v[34:35], v[40:41], 0, v[48:49]
	global_load_ushort v59, v[34:35], off offset:32
	v_lshl_add_u64 v[34:35], v[38:39], 0, v[48:49]
	s_waitcnt vmcnt(0)
	v_lshlrev_b32_e32 v49, 16, v59
	v_sub_f32_e32 v36, v49, v36
	global_store_short_d16_hi v[34:35], v36, off offset:32
	v_mul_f32_e32 v34, v66, v36
	v_lshrrev_b32_e32 v49, 16, v34
.LBB221_82:
	s_or_b64 exec, exec, s[6:7]
	s_and_saveexec_b64 s[6:7], vcc
	s_cbranch_execz .LBB221_84
; %bb.83:
	v_mov_b32_e32 v43, 0
	v_lshl_add_u64 v[34:35], v[40:41], 0, v[42:43]
	global_load_ushort v36, v[34:35], off offset:32
	v_lshl_add_u64 v[34:35], v[38:39], 0, v[42:43]
	s_waitcnt vmcnt(0)
	v_lshlrev_b32_e32 v36, 16, v36
	v_sub_f32_e32 v36, v36, v37
	global_store_short_d16_hi v[34:35], v36, off offset:32
	v_mul_f32_e32 v34, v55, v36
	v_lshrrev_b32_e32 v43, 16, v34
.LBB221_84:
	s_or_b64 exec, exec, s[6:7]
	s_mov_b32 s6, 0x5040100
	v_accvgpr_read_b32 v37, a7
	v_perm_b32 v69, v43, v49, s6
	v_or_b32_e32 v43, v51, v57
	v_accvgpr_read_b32 v36, a6
	v_accvgpr_read_b32 v35, a5
	;; [unrolled: 1-line block ×3, first 2 shown]
	v_perm_b32 v68, v47, v45, s6
	v_lshlrev_b32_e32 v43, 1, v43
	v_mov_b32_e32 v47, 0
	v_mov_b32_e32 v45, 0
	ds_write_b64 v43, v[68:69] offset:24576
	s_and_saveexec_b64 s[6:7], s[0:1]
	s_cbranch_execz .LBB221_86
; %bb.85:
	v_mov_b32_e32 v45, 0
	v_lshl_add_u64 v[68:69], v[40:41], 0, v[44:45]
	global_load_ushort v43, v[68:69], off offset:64
	v_lshl_add_u64 v[68:69], v[38:39], 0, v[44:45]
	s_waitcnt vmcnt(0)
	v_lshlrev_b32_e32 v43, 16, v43
	v_sub_f32_e32 v34, v43, v34
	global_store_short_d16_hi v[68:69], v34, off offset:64
	v_mul_f32_e32 v34, v65, v34
	v_lshrrev_b32_e32 v45, 16, v34
.LBB221_86:
	s_or_b64 exec, exec, s[6:7]
	s_and_saveexec_b64 s[6:7], s[2:3]
	s_cbranch_execz .LBB221_88
; %bb.87:
	v_mov_b32_e32 v47, 0
	v_lshl_add_u64 v[68:69], v[40:41], 0, v[46:47]
	global_load_ushort v34, v[68:69], off offset:64
	v_lshl_add_u64 v[68:69], v[38:39], 0, v[46:47]
	s_waitcnt vmcnt(0)
	v_lshlrev_b32_e32 v34, 16, v34
	v_sub_f32_e32 v34, v34, v35
	global_store_short_d16_hi v[68:69], v34, off offset:64
	v_mul_f32_e32 v34, v64, v34
	v_lshrrev_b32_e32 v47, 16, v34
.LBB221_88:
	s_or_b64 exec, exec, s[6:7]
	v_mov_b32_e32 v43, 0
	v_mov_b32_e32 v49, 0
	s_and_saveexec_b64 s[6:7], s[4:5]
	s_cbranch_execz .LBB221_90
; %bb.89:
	v_mov_b32_e32 v49, 0
	v_lshl_add_u64 v[34:35], v[40:41], 0, v[48:49]
	global_load_ushort v57, v[34:35], off offset:64
	v_lshl_add_u64 v[34:35], v[38:39], 0, v[48:49]
	s_waitcnt vmcnt(0)
	v_lshlrev_b32_e32 v49, 16, v57
	v_sub_f32_e32 v36, v49, v36
	global_store_short_d16_hi v[34:35], v36, off offset:64
	v_mul_f32_e32 v34, v66, v36
	v_lshrrev_b32_e32 v49, 16, v34
.LBB221_90:
	s_or_b64 exec, exec, s[6:7]
	s_and_saveexec_b64 s[6:7], vcc
	s_cbranch_execz .LBB221_92
; %bb.91:
	v_mov_b32_e32 v43, 0
	v_lshl_add_u64 v[34:35], v[40:41], 0, v[42:43]
	global_load_ushort v36, v[34:35], off offset:64
	v_lshl_add_u64 v[34:35], v[38:39], 0, v[42:43]
	s_waitcnt vmcnt(0)
	v_lshlrev_b32_e32 v36, 16, v36
	v_sub_f32_e32 v36, v36, v37
	global_store_short_d16_hi v[34:35], v36, off offset:64
	v_mul_f32_e32 v34, v55, v36
	v_lshrrev_b32_e32 v43, 16, v34
.LBB221_92:
	s_or_b64 exec, exec, s[6:7]
	s_mov_b32 s6, 0x5040100
	v_accvgpr_read_b32 v37, a3
	v_perm_b32 v69, v43, v49, s6
	v_or_b32_e32 v43, v51, v56
	v_accvgpr_read_b32 v36, a2
	v_accvgpr_read_b32 v35, a1
	;; [unrolled: 1-line block ×3, first 2 shown]
	v_perm_b32 v68, v47, v45, s6
	v_lshlrev_b32_e32 v43, 1, v43
	v_mov_b32_e32 v47, 0
	v_mov_b32_e32 v45, 0
	ds_write_b64 v43, v[68:69] offset:24576
	s_and_saveexec_b64 s[6:7], s[0:1]
	s_cbranch_execz .LBB221_94
; %bb.93:
	v_mov_b32_e32 v45, 0
	v_lshl_add_u64 v[56:57], v[40:41], 0, v[44:45]
	global_load_ushort v43, v[56:57], off offset:96
	v_lshl_add_u64 v[44:45], v[38:39], 0, v[44:45]
	s_waitcnt vmcnt(0)
	v_lshlrev_b32_e32 v43, 16, v43
	v_sub_f32_e32 v34, v43, v34
	global_store_short_d16_hi v[44:45], v34, off offset:96
	v_mul_f32_e32 v34, v65, v34
	v_lshrrev_b32_e32 v45, 16, v34
.LBB221_94:
	s_or_b64 exec, exec, s[6:7]
	s_and_saveexec_b64 s[0:1], s[2:3]
	s_cbranch_execz .LBB221_96
; %bb.95:
	v_mov_b32_e32 v47, 0
	v_lshl_add_u64 v[56:57], v[40:41], 0, v[46:47]
	global_load_ushort v34, v[56:57], off offset:96
	v_lshl_add_u64 v[46:47], v[38:39], 0, v[46:47]
	s_waitcnt vmcnt(0)
	v_lshlrev_b32_e32 v34, 16, v34
	v_sub_f32_e32 v34, v34, v35
	global_store_short_d16_hi v[46:47], v34, off offset:96
	v_mul_f32_e32 v34, v64, v34
	v_lshrrev_b32_e32 v47, 16, v34
.LBB221_96:
	s_or_b64 exec, exec, s[0:1]
	v_mov_b32_e32 v43, 0
	v_mov_b32_e32 v46, 0
	s_and_saveexec_b64 s[0:1], s[4:5]
	s_cbranch_execz .LBB221_98
; %bb.97:
	v_mov_b32_e32 v49, 0
	v_lshl_add_u64 v[34:35], v[40:41], 0, v[48:49]
	global_load_ushort v44, v[34:35], off offset:96
	v_lshl_add_u64 v[34:35], v[38:39], 0, v[48:49]
	s_waitcnt vmcnt(0)
	v_lshlrev_b32_e32 v44, 16, v44
	v_sub_f32_e32 v36, v44, v36
	global_store_short_d16_hi v[34:35], v36, off offset:96
	v_mul_f32_e32 v34, v66, v36
	v_lshrrev_b32_e32 v46, 16, v34
.LBB221_98:
	s_or_b64 exec, exec, s[0:1]
	v_or_b32_e32 v34, 0x6000, v60
	v_or_b32_e32 v35, 0x6000, v61
	v_or_b32_e32 v36, 0x6000, v62
	v_or_b32_e32 v44, 0x6000, v63
	s_and_saveexec_b64 s[0:1], vcc
	s_cbranch_execz .LBB221_100
; %bb.99:
	v_mov_b32_e32 v43, 0
	v_lshl_add_u64 v[40:41], v[40:41], 0, v[42:43]
	global_load_ushort v40, v[40:41], off offset:96
	v_lshl_add_u64 v[38:39], v[38:39], 0, v[42:43]
	s_waitcnt vmcnt(0)
	v_lshlrev_b32_e32 v40, 16, v40
	v_sub_f32_e32 v37, v40, v37
	global_store_short_d16_hi v[38:39], v37, off offset:96
	v_mul_f32_e32 v37, v55, v37
	v_lshrrev_b32_e32 v43, 16, v37
.LBB221_100:
	s_or_b64 exec, exec, s[0:1]
	s_mov_b32 s0, 0x5040100
	v_or_b32_e32 v37, v51, v53
	v_perm_b32 v39, v43, v46, s0
	v_perm_b32 v38, v47, v45, s0
	v_lshlrev_b32_e32 v37, 1, v37
	ds_write_b64 v37, v[38:39] offset:24576
	v_and_b32_e32 v37, 7, v0
	v_lshlrev_b32_e32 v45, 3, v37
	v_lshlrev_b32_e32 v51, 7, v37
	v_lshrrev_b32_e32 v37, 1, v0
	s_add_i32 s0, s16, s48
	v_and_b32_e32 v37, 24, v37
	v_lshlrev_b32_e32 v76, 3, v77
	s_mul_hi_i32 s3, s0, s13
	s_mul_i32 s0, s0, s13
	v_and_b32_e32 v42, 8, v0
	s_movk_i32 s4, 0x100
	v_xor_b32_e32 v80, v76, v37
	s_add_u32 s2, s0, s33
	v_cmp_eq_u32_e32 vcc, 0, v42
	v_cmp_gt_u32_e64 s[0:1], s4, v0
	v_or_b32_e32 v0, 0x440, v80
	v_mov_b32_e32 v43, 0x400
	v_cndmask_b32_e32 v0, v0, v80, vcc
	v_cndmask_b32_e64 v53, v43, 64, vcc
	v_mov_b32_e32 v42, 0xa000
	v_mov_b32_e32 v43, 0x8000
	v_or_b32_e32 v0, v0, v58
	v_cndmask_b32_e64 v59, v42, v43, s[0:1]
	v_xor_b32_e32 v84, v0, v45
	v_add3_u32 v0, v59, v84, v51
	s_waitcnt lgkmcnt(0)
	s_barrier
	ds_read_b64 v[42:43], v0
	v_or_b32_e32 v0, 32, v37
	v_xor_b32_e32 v0, v76, v0
	v_or_b32_e32 v46, 0x440, v0
	ds_read2_b64 v[38:41], v34 offset1:16
	v_cndmask_b32_e32 v0, v46, v0, vcc
	ds_read2_b64 v[46:49], v34 offset0:32 offset1:48
	s_waitcnt lgkmcnt(1)
	v_mfma_f32_16x16x16_bf16 a[0:3], v[42:43], v[38:39], 0
	v_or_b32_e32 v0, v0, v58
	s_addc_u32 s3, s3, s14
	v_or_b32_e32 v37, 0x60, v37
	v_mfma_f32_16x16x16_bf16 a[4:7], v[42:43], v[40:41], 0
	v_xor_b32_e32 v85, v0, v45
	s_lshl_b64 s[0:1], s[2:3], 9
	v_xor_b32_e32 v37, v76, v37
	s_waitcnt lgkmcnt(0)
	v_mfma_f32_16x16x16_bf16 a[8:11], v[42:43], v[46:47], 0
	v_add3_u32 v0, v59, v85, v51
	s_add_u32 s0, s36, s0
	ds_read_b64 v[78:79], v0
	v_mfma_f32_16x16x16_bf16 a[12:15], v[42:43], v[48:49], 0
	v_or3_b32 v42, v58, v53, v80
	v_xor_b32_e32 v42, v42, v45
	v_or_b32_e32 v86, v42, v51
	v_or_b32_e32 v42, v59, v86
	v_xor_b32_e32 v43, 0x440, v37
	s_addc_u32 s1, s37, s1
	v_cndmask_b32_e32 v37, v43, v37, vcc
	ds_read_b64 v[42:43], v42
	v_lshlrev_b32_e32 v0, 2, v54
	global_load_dwordx4 v[54:57], v0, s[0:1]
	ds_read2st64_b64 v[60:63], v34 offset0:4 offset1:8
	ds_read2st64_b64 v[64:67], v35 offset0:4 offset1:8
	ds_read2st64_b64 v[68:71], v36 offset0:4 offset1:8
	ds_read2st64_b64 v[72:75], v44 offset0:4 offset1:8
	v_or_b32_e32 v37, v37, v58
	v_xor_b32_e32 v87, v37, v45
	v_lshlrev_b32_e32 v37, 6, v77
	v_lshlrev_b32_e32 v45, 2, v52
	v_or3_b32 v37, v37, v45, s4
	s_waitcnt lgkmcnt(3)
	v_mfma_f32_16x16x16_bf16 a[0:3], v[78:79], v[60:61], a[0:3]
	v_mov_b32_e32 v0, 0x3fb8aa3b
	v_mul_f32_e32 v0, s12, v0
	v_exp_f32_e32 v0, v0
	s_waitcnt lgkmcnt(2)
	v_mfma_f32_16x16x16_bf16 a[4:7], v[78:79], v[64:65], a[4:7]
	s_waitcnt lgkmcnt(1)
	v_mfma_f32_16x16x16_bf16 a[8:11], v[78:79], v[68:69], a[8:11]
	;; [unrolled: 2-line block ×3, first 2 shown]
	global_load_dwordx4 v[76:79], v37, s[0:1]
	v_add3_u32 v37, v59, v87, v51
	ds_read_b64 v[52:53], v37
	v_mfma_f32_16x16x16_bf16 a[0:3], v[42:43], v[62:63], a[0:3]
	ds_read_b64 v[58:59], v34 offset:6144
	ds_read_b64 v[80:81], v35 offset:6144
	;; [unrolled: 1-line block ×4, first 2 shown]
	s_waitcnt vmcnt(1)
	v_mul_f32_e32 v34, 0x3fb8aa3b, v54
	v_mfma_f32_16x16x16_bf16 a[4:7], v[42:43], v[66:67], a[4:7]
	v_mul_f32_e32 v35, 0x3fb8aa3b, v55
	v_exp_f32_e32 v34, v34
	v_exp_f32_e32 v35, v35
	v_mfma_f32_16x16x16_bf16 a[8:11], v[42:43], v[70:71], a[8:11]
	v_mul_f32_e32 v36, 0x3fb8aa3b, v56
	v_mul_f32_e32 v37, 0x3fb8aa3b, v57
	v_exp_f32_e32 v36, v36
	v_mfma_f32_16x16x16_bf16 a[12:15], v[42:43], v[74:75], a[12:15]
	v_add_u32_e32 v42, v84, v51
	ds_read_b64 v[42:43], v42 offset:40960
	v_exp_f32_e32 v37, v37
	s_waitcnt lgkmcnt(4)
	v_mfma_f32_16x16x16_bf16 a[0:3], v[52:53], v[58:59], a[0:3]
	v_pk_mul_f32 v[34:35], v[0:1], v[34:35] op_sel_hi:[0,1]
	v_pk_mul_f32 v[30:31], v[30:31], v[34:35]
	v_pk_mul_f32 v[36:37], v[0:1], v[36:37] op_sel_hi:[0,1]
	s_waitcnt lgkmcnt(1)
	v_mfma_f32_16x16x16_bf16 a[12:15], v[52:53], v[44:45], a[12:15]
	v_pk_mul_f32 v[32:33], v[32:33], v[36:37]
	v_pk_mul_f32 v[26:27], v[34:35], v[26:27]
	;; [unrolled: 1-line block ×3, first 2 shown]
	v_mfma_f32_16x16x16_bf16 a[4:7], v[52:53], v[80:81], a[4:7]
	v_add_u32_e32 v54, v85, v51
	v_add_u32_e32 v51, v87, v51
	ds_read_b64 v[54:55], v54 offset:40960
	ds_read_b64 v[56:57], v51 offset:40960
	v_mfma_f32_16x16x16_bf16 a[8:11], v[52:53], v[82:83], a[8:11]
	v_accvgpr_read_b32 v53, a15
	v_accvgpr_read_b32 v52, a14
	v_pk_mul_f32 v[22:23], v[34:35], v[22:23]
	s_waitcnt lgkmcnt(2)
	v_mfma_f32_16x16x16_bf16 a[14:17], v[42:43], v[38:39], 0
	v_accvgpr_read_b32 v38, a0
	v_add_f32_e32 v30, v30, v38
	v_accvgpr_read_b32 v38, a1
	v_add_f32_e32 v31, v31, v38
	;; [unrolled: 2-line block ×8, first 2 shown]
	ds_read_b64 v[38:39], v86 offset:40960
	v_mfma_f32_16x16x16_bf16 a[18:21], v[42:43], v[40:41], 0
	v_accvgpr_read_b32 v40, a8
	v_add_f32_e32 v22, v22, v40
	v_accvgpr_read_b32 v40, a9
	s_waitcnt lgkmcnt(2)
	v_mfma_f32_16x16x16_bf16 a[14:17], v[54:55], v[60:61], a[14:17]
	v_pk_mul_f32 v[24:25], v[36:37], v[24:25]
	v_add_f32_e32 v23, v23, v40
	v_accvgpr_read_b32 v40, a10
	v_add_f32_e32 v24, v24, v40
	v_accvgpr_read_b32 v40, a11
	;; [unrolled: 2-line block ×3, first 2 shown]
	v_mfma_f32_16x16x16_bf16 a[22:25], v[42:43], v[46:47], 0
	v_accvgpr_read_b32 v40, a12
	v_pk_fma_f32 v[2:3], v[34:35], v[2:3], v[40:41]
	v_pk_fma_f32 v[4:5], v[36:37], v[4:5], v[52:53]
	v_mfma_f32_16x16x16_bf16 a[4:7], v[54:55], v[64:65], a[18:21]
	s_waitcnt vmcnt(0)
	v_mov_b32_e32 v34, v77
	v_mov_b32_e32 v35, v78
	;; [unrolled: 1-line block ×3, first 2 shown]
	s_waitcnt lgkmcnt(0)
	v_mfma_f32_16x16x16_bf16 a[8:11], v[38:39], v[62:63], a[14:17]
	v_mul_f32_e32 v37, 0x3fb8aa3b, v76
	v_mul_f32_e32 v34, 0x3fb8aa3b, v34
	v_exp_f32_e32 v40, v37
	v_mfma_f32_16x16x16_bf16 a[0:3], v[42:43], v[48:49], 0
	v_exp_f32_e32 v41, v34
	v_mul_f32_e32 v34, 0x3fb8aa3b, v35
	v_mul_f32_e32 v35, 0x3fb8aa3b, v36
	v_mfma_f32_16x16x16_bf16 a[18:21], v[54:55], v[68:69], a[22:25]
	v_exp_f32_e32 v34, v34
	v_exp_f32_e32 v35, v35
	v_pk_mul_f32 v[36:37], v[0:1], v[40:41] op_sel_hi:[0,1]
	v_mfma_f32_16x16x16_bf16 a[4:7], v[38:39], v[66:67], a[4:7]
	v_pk_mul_f32 v[18:19], v[18:19], v[36:37]
	v_pk_mul_f32 v[34:35], v[0:1], v[34:35] op_sel_hi:[0,1]
	v_pk_mul_f32 v[20:21], v[20:21], v[34:35]
	v_mfma_f32_16x16x16_bf16 a[8:11], v[56:57], v[58:59], a[8:11]
	v_pk_mul_f32 v[14:15], v[36:37], v[14:15]
	v_pk_mul_f32 v[16:17], v[34:35], v[16:17]
	;; [unrolled: 1-line block ×3, first 2 shown]
	v_mfma_f32_16x16x16_bf16 a[0:3], v[54:55], v[72:73], a[0:3]
	v_pk_mul_f32 v[12:13], v[34:35], v[12:13]
	v_mfma_f32_16x16x16_bf16 a[12:15], v[38:39], v[70:71], a[18:21]
	s_nop 0
	v_accvgpr_read_b32 v0, a8
	v_add_f32_e32 v18, v18, v0
	v_accvgpr_read_b32 v0, a9
	v_mfma_f32_16x16x16_bf16 a[4:7], v[56:57], v[80:81], a[4:7]
	v_add_f32_e32 v19, v19, v0
	v_accvgpr_read_b32 v0, a10
	v_add_f32_e32 v20, v20, v0
	v_mfma_f32_16x16x16_bf16 a[0:3], v[38:39], v[74:75], a[0:3]
	v_accvgpr_read_b32 v0, a11
	v_add_f32_e32 v21, v21, v0
	v_mfma_f32_16x16x16_bf16 a[12:15], v[56:57], v[82:83], a[12:15]
	v_accvgpr_read_b32 v0, a4
	v_add_f32_e32 v14, v14, v0
	v_accvgpr_read_b32 v0, a5
	v_mfma_f32_16x16x16_bf16 a[0:3], v[56:57], v[44:45], a[0:3]
	v_add_f32_e32 v15, v15, v0
	v_accvgpr_read_b32 v0, a6
	v_add_f32_e32 v16, v16, v0
	v_accvgpr_read_b32 v0, a7
	;; [unrolled: 2-line block ×5, first 2 shown]
	v_accvgpr_read_b32 v41, a1
	v_accvgpr_read_b32 v39, a3
	;; [unrolled: 1-line block ×3, first 2 shown]
	v_add_f32_e32 v12, v12, v0
	v_accvgpr_read_b32 v0, a15
	v_accvgpr_read_b32 v40, a0
	v_add_f32_e32 v13, v13, v0
	v_pk_fma_f32 v[6:7], v[36:37], v[6:7], v[40:41]
	v_pk_fma_f32 v[8:9], v[34:35], v[8:9], v[38:39]
	v_mov_b32_e32 v34, v50
.LBB221_101:
	s_lshl_b64 s[0:1], s[28:29], 16
	s_add_u32 s0, s34, s0
	v_lshlrev_b32_e32 v34, 7, v34
	s_addc_u32 s1, s35, s1
	v_ashrrev_i32_e32 v35, 31, v34
	v_lshl_add_u64 v[36:37], v[34:35], 2, s[0:1]
	v_lshlrev_b32_e32 v0, 2, v1
	v_mov_b32_e32 v1, 0
	v_lshl_add_u64 v[36:37], v[36:37], 0, v[0:1]
	global_store_dwordx4 v[36:37], v[30:33], off
	global_store_dwordx4 v[36:37], v[18:21], off offset:256
	s_nop 1
	v_or_b32_e32 v18, 0x800, v34
	v_ashrrev_i32_e32 v19, 31, v18
	v_lshl_add_u64 v[18:19], v[18:19], 2, s[0:1]
	v_lshl_add_u64 v[18:19], v[18:19], 0, v[0:1]
	global_store_dwordx4 v[18:19], v[26:29], off
	global_store_dwordx4 v[18:19], v[14:17], off offset:256
	s_nop 1
	v_or_b32_e32 v14, 0x1000, v34
	v_ashrrev_i32_e32 v15, 31, v14
	v_lshl_add_u64 v[14:15], v[14:15], 2, s[0:1]
	;; [unrolled: 7-line block ×3, first 2 shown]
	v_lshl_add_u64 v[0:1], v[10:11], 0, v[0:1]
	global_store_dwordx4 v[0:1], v[2:5], off
	global_store_dwordx4 v[0:1], v[6:9], off offset:256
	s_endpgm
	.section	.rodata,"a",@progbits
	.p2align	6, 0x0
	.amdhsa_kernel _ZN12_GLOBAL__N_139chunk_gated_delta_rule_fwd_h_hip_kernelILi64ELb0ELb1ELb1ELb0ELb0ELb1ELb0ELb0EEEvPK12hip_bfloat16S3_S3_PKfS5_PKvPS1_S8_PvPKiSB_iiiiilll
		.amdhsa_group_segment_fixed_size 65536
		.amdhsa_private_segment_fixed_size 0
		.amdhsa_kernarg_size 136
		.amdhsa_user_sgpr_count 2
		.amdhsa_user_sgpr_dispatch_ptr 0
		.amdhsa_user_sgpr_queue_ptr 0
		.amdhsa_user_sgpr_kernarg_segment_ptr 1
		.amdhsa_user_sgpr_dispatch_id 0
		.amdhsa_user_sgpr_kernarg_preload_length 0
		.amdhsa_user_sgpr_kernarg_preload_offset 0
		.amdhsa_user_sgpr_private_segment_size 0
		.amdhsa_uses_dynamic_stack 0
		.amdhsa_enable_private_segment 0
		.amdhsa_system_sgpr_workgroup_id_x 1
		.amdhsa_system_sgpr_workgroup_id_y 1
		.amdhsa_system_sgpr_workgroup_id_z 0
		.amdhsa_system_sgpr_workgroup_info 0
		.amdhsa_system_vgpr_workitem_id 0
		.amdhsa_next_free_vgpr 232
		.amdhsa_next_free_sgpr 70
		.amdhsa_accum_offset 192
		.amdhsa_reserve_vcc 1
		.amdhsa_float_round_mode_32 0
		.amdhsa_float_round_mode_16_64 0
		.amdhsa_float_denorm_mode_32 3
		.amdhsa_float_denorm_mode_16_64 3
		.amdhsa_dx10_clamp 1
		.amdhsa_ieee_mode 1
		.amdhsa_fp16_overflow 0
		.amdhsa_tg_split 0
		.amdhsa_exception_fp_ieee_invalid_op 0
		.amdhsa_exception_fp_denorm_src 0
		.amdhsa_exception_fp_ieee_div_zero 0
		.amdhsa_exception_fp_ieee_overflow 0
		.amdhsa_exception_fp_ieee_underflow 0
		.amdhsa_exception_fp_ieee_inexact 0
		.amdhsa_exception_int_div_zero 0
	.end_amdhsa_kernel
	.section	.text._ZN12_GLOBAL__N_139chunk_gated_delta_rule_fwd_h_hip_kernelILi64ELb0ELb1ELb1ELb0ELb0ELb1ELb0ELb0EEEvPK12hip_bfloat16S3_S3_PKfS5_PKvPS1_S8_PvPKiSB_iiiiilll,"axG",@progbits,_ZN12_GLOBAL__N_139chunk_gated_delta_rule_fwd_h_hip_kernelILi64ELb0ELb1ELb1ELb0ELb0ELb1ELb0ELb0EEEvPK12hip_bfloat16S3_S3_PKfS5_PKvPS1_S8_PvPKiSB_iiiiilll,comdat
.Lfunc_end221:
	.size	_ZN12_GLOBAL__N_139chunk_gated_delta_rule_fwd_h_hip_kernelILi64ELb0ELb1ELb1ELb0ELb0ELb1ELb0ELb0EEEvPK12hip_bfloat16S3_S3_PKfS5_PKvPS1_S8_PvPKiSB_iiiiilll, .Lfunc_end221-_ZN12_GLOBAL__N_139chunk_gated_delta_rule_fwd_h_hip_kernelILi64ELb0ELb1ELb1ELb0ELb0ELb1ELb0ELb0EEEvPK12hip_bfloat16S3_S3_PKfS5_PKvPS1_S8_PvPKiSB_iiiiilll
                                        ; -- End function
	.section	.AMDGPU.csdata,"",@progbits
; Kernel info:
; codeLenInByte = 13252
; NumSgprs: 76
; NumVgprs: 192
; NumAgprs: 40
; TotalNumVgprs: 232
; ScratchSize: 0
; MemoryBound: 0
; FloatMode: 240
; IeeeMode: 1
; LDSByteSize: 65536 bytes/workgroup (compile time only)
; SGPRBlocks: 9
; VGPRBlocks: 28
; NumSGPRsForWavesPerEU: 76
; NumVGPRsForWavesPerEU: 232
; AccumOffset: 192
; Occupancy: 1
; WaveLimiterHint : 1
; COMPUTE_PGM_RSRC2:SCRATCH_EN: 0
; COMPUTE_PGM_RSRC2:USER_SGPR: 2
; COMPUTE_PGM_RSRC2:TRAP_HANDLER: 0
; COMPUTE_PGM_RSRC2:TGID_X_EN: 1
; COMPUTE_PGM_RSRC2:TGID_Y_EN: 1
; COMPUTE_PGM_RSRC2:TGID_Z_EN: 0
; COMPUTE_PGM_RSRC2:TIDIG_COMP_CNT: 0
; COMPUTE_PGM_RSRC3_GFX90A:ACCUM_OFFSET: 47
; COMPUTE_PGM_RSRC3_GFX90A:TG_SPLIT: 0
	.section	.text._ZN12_GLOBAL__N_139chunk_gated_delta_rule_fwd_h_hip_kernelILi64ELb0ELb1ELb0ELb0ELb0ELb1ELb0ELb0EEEvPK12hip_bfloat16S3_S3_PKfS5_PKvPS1_S8_PvPKiSB_iiiiilll,"axG",@progbits,_ZN12_GLOBAL__N_139chunk_gated_delta_rule_fwd_h_hip_kernelILi64ELb0ELb1ELb0ELb0ELb0ELb1ELb0ELb0EEEvPK12hip_bfloat16S3_S3_PKfS5_PKvPS1_S8_PvPKiSB_iiiiilll,comdat
	.globl	_ZN12_GLOBAL__N_139chunk_gated_delta_rule_fwd_h_hip_kernelILi64ELb0ELb1ELb0ELb0ELb0ELb1ELb0ELb0EEEvPK12hip_bfloat16S3_S3_PKfS5_PKvPS1_S8_PvPKiSB_iiiiilll ; -- Begin function _ZN12_GLOBAL__N_139chunk_gated_delta_rule_fwd_h_hip_kernelILi64ELb0ELb1ELb0ELb0ELb0ELb1ELb0ELb0EEEvPK12hip_bfloat16S3_S3_PKfS5_PKvPS1_S8_PvPKiSB_iiiiilll
	.p2align	8
	.type	_ZN12_GLOBAL__N_139chunk_gated_delta_rule_fwd_h_hip_kernelILi64ELb0ELb1ELb0ELb0ELb0ELb1ELb0ELb0EEEvPK12hip_bfloat16S3_S3_PKfS5_PKvPS1_S8_PvPKiSB_iiiiilll,@function
_ZN12_GLOBAL__N_139chunk_gated_delta_rule_fwd_h_hip_kernelILi64ELb0ELb1ELb0ELb0ELb0ELb1ELb0ELb0EEEvPK12hip_bfloat16S3_S3_PKfS5_PKvPS1_S8_PvPKiSB_iiiiilll: ; @_ZN12_GLOBAL__N_139chunk_gated_delta_rule_fwd_h_hip_kernelILi64ELb0ELb1ELb0ELb0ELb0ELb1ELb0ELb0EEEvPK12hip_bfloat16S3_S3_PKfS5_PKvPS1_S8_PvPKiSB_iiiiilll
; %bb.0:
	s_load_dwordx4 s[12:15], s[0:1], 0x5c
	s_load_dwordx8 s[4:11], s[0:1], 0x0
	s_load_dwordx4 s[16:19], s[0:1], 0x70
	s_abs_i32 s23, s3
	s_ashr_i32 s21, s3, 31
	s_waitcnt lgkmcnt(0)
	s_abs_i32 s20, s13
	v_cvt_f32_u32_e32 v1, s20
	s_sub_i32 s24, 0, s20
	s_ashr_i32 s22, s13, 31
	s_xor_b32 s21, s21, s22
	v_rcp_iflag_f32_e32 v1, v1
	s_load_dwordx2 s[30:31], s[0:1], 0x20
	s_load_dwordx2 s[28:29], s[0:1], 0x40
	;; [unrolled: 1-line block ×4, first 2 shown]
	v_lshrrev_b32_e32 v77, 6, v0
	v_mul_f32_e32 v1, 0x4f7ffffe, v1
	v_cvt_u32_f32_e32 v1, v1
	v_bfe_u32 v86, v0, 4, 2
	s_mov_b32 s0, 0
	v_lshlrev_b32_e32 v84, 4, v77
	v_readfirstlane_b32 s25, v1
	s_mul_i32 s24, s24, s25
	s_mul_hi_u32 s24, s25, s24
	s_add_i32 s25, s25, s24
	s_mul_hi_u32 s24, s23, s25
	s_mul_i32 s25, s24, s20
	s_sub_i32 s23, s23, s25
	s_add_i32 s25, s24, 1
	s_sub_i32 s26, s23, s20
	s_cmp_ge_u32 s23, s20
	s_cselect_b32 s24, s25, s24
	s_cselect_b32 s23, s26, s23
	s_add_i32 s25, s24, 1
	s_cmp_ge_u32 s23, s20
	s_cselect_b32 s23, s25, s24
	s_xor_b32 s23, s23, s21
	s_sub_i32 s50, s23, s21
	s_abs_i32 s21, s14
	v_cvt_f32_u32_e32 v1, s21
	s_ashr_i32 s49, s12, 31
	s_lshr_b32 s23, s49, 26
	s_add_i32 s23, s12, s23
	v_rcp_iflag_f32_e32 v1, v1
	s_ashr_i32 s51, s23, 6
	s_sub_i32 s23, 0, s21
	s_mul_i32 s48, s50, s13
	v_mul_f32_e32 v1, 0x4f7ffffe, v1
	v_cvt_u32_f32_e32 v1, v1
	s_ashr_i32 s52, s14, 31
	s_sub_i32 s33, s3, s48
	s_add_i32 s3, s12, 63
	v_readfirstlane_b32 s24, v1
	s_mul_i32 s23, s23, s24
	s_mul_hi_u32 s23, s24, s23
	s_add_i32 s24, s24, s23
	s_mul_hi_u32 s23, s20, s24
	s_mul_i32 s24, s23, s21
	s_sub_i32 s20, s20, s24
	s_xor_b32 s22, s22, s52
	s_add_i32 s24, s23, 1
	s_sub_i32 s25, s20, s21
	s_cmp_ge_u32 s20, s21
	s_cselect_b32 s23, s24, s23
	s_cselect_b32 s20, s25, s20
	s_add_i32 s24, s23, 1
	s_cmp_ge_u32 s20, s21
	s_cselect_b32 s20, s24, s23
	s_xor_b32 s20, s20, s22
	s_sub_i32 s20, s20, s22
	s_abs_i32 s21, s20
	v_cvt_f32_u32_e32 v1, s21
	s_sub_i32 s22, 0, s21
	s_xor_b32 s1, s33, s20
	s_abs_i32 s20, s33
	v_rcp_iflag_f32_e32 v1, v1
	s_ashr_i32 s1, s1, 31
	v_lshlrev_b32_e32 v34, 2, v86
	v_and_b32_e32 v85, 63, v0
	v_mul_f32_e32 v1, 0x4f7ffffe, v1
	v_cvt_u32_f32_e32 v1, v1
	v_mov_b32_e32 v25, 0
	s_mul_i32 s46, s50, s12
	v_and_b32_e32 v87, 15, v0
	v_readfirstlane_b32 s23, v1
	s_mul_i32 s22, s22, s23
	s_mul_hi_u32 s22, s23, s22
	s_add_i32 s23, s23, s22
	s_mul_hi_u32 s22, s20, s23
	s_mul_i32 s23, s22, s21
	s_sub_i32 s20, s20, s23
	s_add_i32 s23, s22, 1
	s_sub_i32 s24, s20, s21
	s_cmp_ge_u32 s20, s21
	s_cselect_b32 s22, s23, s22
	s_cselect_b32 s20, s24, s20
	s_add_i32 s23, s22, 1
	s_cmp_ge_u32 s20, s21
	s_cselect_b32 s20, s23, s22
	s_xor_b32 s20, s20, s1
	s_sub_i32 s55, s20, s1
	s_ashr_i32 s1, s3, 31
	s_lshr_b32 s1, s1, 26
	s_add_i32 s3, s3, s1
	s_ashr_i32 s1, s3, 6
	v_or_b32_e32 v1, v34, v84
	s_mul_i32 s53, s50, s1
	s_lshl_b32 s2, s2, 6
	s_mov_b32 s1, s0
	v_or_b32_e32 v90, 64, v1
	s_cmp_lt_i32 s12, 64
	v_mov_b64_e32 v[2:3], s[0:1]
	s_mul_hi_i32 s54, s50, s13
	v_lshrrev_b32_e32 v89, 3, v85
	v_lshlrev_b32_e32 v88, 3, v0
	s_mul_i32 s17, s50, s17
	s_mul_hi_u32 s47, s50, s16
	s_mul_i32 s36, s50, s16
	v_mov_b32_e32 v24, v25
	v_mov_b32_e32 v23, v25
	;; [unrolled: 1-line block ×23, first 2 shown]
	v_mov_b64_e32 v[4:5], s[0:1]
	v_mov_b64_e32 v[6:7], s[0:1]
	;; [unrolled: 1-line block ×3, first 2 shown]
	s_cbranch_scc1 .LBB222_18
; %bb.1:
	s_ashr_i32 s3, s50, 31
	s_ashr_i32 s57, s33, 31
	s_add_u32 s0, s48, s33
	s_addc_u32 s1, s54, s57
	s_mul_i32 s1, s12, s1
	s_mul_hi_u32 s20, s12, s0
	s_add_i32 s41, s20, s1
	s_mul_i32 s40, s12, s0
	s_lshl_b64 s[0:1], s[40:41], 8
	v_and_b32_e32 v92, 56, v88
	s_add_u32 s20, s6, s0
	v_lshl_or_b32 v91, v77, 3, v89
	v_lshlrev_b32_e32 v2, 1, v92
	s_addc_u32 s0, s7, s1
	v_lshl_or_b32 v93, v91, 8, v2
	s_and_b32 s21, s0, 0xffff
	s_mov_b32 s23, 0x20000
	s_movk_i32 s22, 0x4000
	s_movk_i32 s0, 0x80
	v_or_b32_e32 v94, 0x2000, v93
	buffer_load_dwordx4 v[4:7], v93, s[20:23], 0 offen
	buffer_load_dwordx4 v[8:11], v93, s[20:23], s0 offen
	buffer_load_dwordx4 v[12:15], v94, s[20:23], 0 offen
	buffer_load_dwordx4 v[16:19], v94, s[20:23], s0 offen
	v_lshlrev_b32_e32 v3, 3, v91
	v_and_or_b32 v21, v0, 7, v3
	v_and_b32_e32 v3, 0x78, v3
	v_lshlrev_b32_e32 v21, 4, v21
	v_xor_b32_e32 v95, v21, v3
	v_mul_lo_u32 v20, v91, s15
	v_or_b32_e32 v96, 0x1000, v95
	v_xor_b32_e32 v3, 8, v95
	s_cmpk_eq_i32 s15, 0x80
	s_mov_b32 s56, s14
	v_xor_b32_e32 v21, 8, v96
	s_cselect_b64 s[0:1], -1, 0
	s_cmpk_lg_i32 s15, 0x80
	s_waitcnt vmcnt(3)
	ds_write_b64 v95, v[4:5] offset:49152
	ds_write_b64 v3, v[6:7] offset:49152
	s_waitcnt vmcnt(2)
	ds_write_b64 v95, v[8:9] offset:57344
	ds_write_b64 v3, v[10:11] offset:57344
	s_waitcnt vmcnt(1)
	ds_write_b64 v95, v[12:13] offset:53248
	ds_write_b64 v21, v[14:15] offset:49152
	s_waitcnt vmcnt(0)
	ds_write_b64 v95, v[16:17] offset:61440
	ds_write_b64 v21, v[18:19] offset:57344
	v_lshl_add_u32 v3, v20, 1, v92
	s_cbranch_scc0 .LBB222_3
; %bb.2:
	v_lshlrev_b32_e32 v5, 1, v3
	v_add_lshl_u32 v4, v3, s15, 1
	s_lshl_b32 s22, s15, 7
	v_lshl_or_b32 v2, v91, 9, v2
	s_cbranch_execz .LBB222_4
	s_branch .LBB222_5
.LBB222_3:
                                        ; implicit-def: $vgpr4
                                        ; implicit-def: $vgpr5
                                        ; implicit-def: $sgpr22
	v_lshl_or_b32 v2, v91, 9, v2
.LBB222_4:
	v_or_b32_e32 v4, 0x100, v2
	s_movk_i32 s22, 0x4000
	v_mov_b32_e32 v5, v2
.LBB222_5:
	s_mul_hi_u32 s20, s14, s12
	s_mul_i32 s21, s52, s12
	s_add_i32 s20, s20, s21
	s_mul_i32 s21, s14, s12
	s_mul_i32 s23, s21, s3
	s_mul_hi_u32 s24, s21, s50
	s_add_i32 s23, s24, s23
	s_mul_i32 s20, s20, s50
	s_add_i32 s23, s23, s20
	s_mul_i32 s21, s21, s50
	s_ashr_i32 s58, s55, 31
	s_add_u32 s20, s21, s55
	s_addc_u32 s21, s23, s58
	s_lshl_b64 s[20:21], s[20:21], 8
	s_add_u32 s20, s4, s20
	s_addc_u32 s21, s5, s21
	s_and_b32 s21, s21, 0xffff
	s_mov_b32 s23, 0x20000
	s_movk_i32 s59, 0x80
	buffer_load_dwordx4 v[6:9], v5, s[20:23], 0 offen
	buffer_load_dwordx4 v[10:13], v5, s[20:23], s59 offen
	;; [unrolled: 1-line block ×4, first 2 shown]
	v_and_b32_e32 v5, 6, v0
	v_lshlrev_b32_e32 v4, 7, v1
	v_xor_b32_e32 v26, v91, v5
	v_and_b32_e32 v22, 1, v0
	v_lshl_or_b32 v29, v87, 3, v4
	v_lshlrev_b32_e32 v26, 2, v26
	v_or_b32_e32 v97, 0x4000, v29
	v_or_b32_e32 v98, 0x6000, v29
	v_xor_b32_e32 v29, 0x440, v26
	v_cmp_eq_u32_e32 vcc, 0, v22
	v_lshlrev_b32_e32 v23, 2, v87
	v_or_b32_e32 v25, 16, v87
	v_cndmask_b32_e32 v22, v29, v26, vcc
	s_mov_b32 s61, 0x1000504
	v_xor_b32_e32 v27, v1, v23
	v_xor_b32_e32 v28, v90, v23
	v_lshl_or_b32 v30, v25, 3, v4
	v_lshl_or_b32 v5, v5, 10, v22
	s_mov_b32 s62, 0x3020706
	s_mul_i32 s20, s3, s12
	s_mul_hi_u32 s21, s50, s12
	v_lshlrev_b32_e32 v24, 8, v87
	v_lshlrev_b32_e32 v27, 1, v27
	;; [unrolled: 1-line block ×3, first 2 shown]
	v_or_b32_e32 v99, 0x4000, v30
	v_or_b32_e32 v100, 0x6000, v30
	v_xor_b32_e32 v22, 8, v5
	v_xor_b32_e32 v26, 24, v5
	;; [unrolled: 1-line block ×4, first 2 shown]
	v_or_b32_e32 v101, v24, v27
	v_or_b32_e32 v102, v24, v28
	v_xor_b32_e32 v24, 16, v5
	v_xor_b32_e32 v29, 32, v5
	;; [unrolled: 1-line block ×3, first 2 shown]
	v_add_u32_e32 v22, 0x80, v22
	v_add_u32_e32 v26, 0x80, v26
	;; [unrolled: 1-line block ×4, first 2 shown]
	s_add_i32 s63, s21, s20
	s_add_i32 s20, s47, s17
	s_mul_i32 s3, s3, s16
	s_add_i32 s37, s20, s3
	s_mul_i32 s3, s33, s19
	s_mul_hi_u32 s20, s33, s18
	s_add_i32 s3, s20, s3
	s_mul_i32 s20, s57, s18
	s_add_i32 s21, s3, s20
	s_lshl_b64 s[24:25], s[36:37], 2
	s_mul_i32 s20, s33, s18
	s_add_u32 s3, s10, s24
	s_addc_u32 s24, s11, s25
	s_lshl_b64 s[20:21], s[20:21], 2
	s_add_u32 s42, s3, s20
	s_movk_i32 s3, 0xf8
	s_addc_u32 s43, s24, s21
	s_lshl_b32 s26, s15, 7
	s_movk_i32 s24, 0x100
	v_mov_b32_e32 v79, 0
	v_lshlrev_b32_e32 v78, 4, v87
	s_mov_b32 s60, 0
	s_movk_i32 s22, 0x4000
	v_add_u32_e32 v134, v84, v34
	s_mov_b32 s37, 0x7060302
	s_movk_i32 s64, 0x2000
	s_movk_i32 s65, 0x3000
	v_mov_b32_e32 v144, 0x3fb8aa3b
	s_mov_b32 s67, 0
	s_waitcnt vmcnt(1)
	v_perm_b32 v33, v6, v14, s61
	s_waitcnt vmcnt(0)
	v_perm_b32 v35, v10, v18, s61
	v_perm_b32 v6, v6, v14, s62
	;; [unrolled: 1-line block ×15, first 2 shown]
	ds_write2st64_b32 v5, v33, v35 offset0:128 offset1:160
	ds_write2st64_b32 v22, v6, v10 offset0:128 offset1:160
	;; [unrolled: 1-line block ×8, first 2 shown]
	v_lshlrev_b32_e32 v5, 8, v25
	v_or_b32_e32 v103, v5, v27
	v_or_b32_e32 v104, v5, v28
	;; [unrolled: 1-line block ×3, first 2 shown]
	v_lshl_or_b32 v6, v5, 3, v4
	v_lshlrev_b32_e32 v5, 8, v5
	v_or_b32_e32 v107, v5, v27
	v_or_b32_e32 v108, v5, v28
	;; [unrolled: 1-line block ×5, first 2 shown]
	v_lshl_or_b32 v6, v5, 3, v4
	v_lshlrev_b32_e32 v5, 8, v5
	v_or_b32_e32 v111, v5, v27
	v_or_b32_e32 v112, v5, v28
	;; [unrolled: 1-line block ×3, first 2 shown]
	v_lshlrev_b32_e32 v5, 3, v5
	v_lshrrev_b32_e32 v7, 5, v85
	v_and_or_b32 v7, v5, s3, v7
	v_lshlrev_b32_e32 v7, 4, v7
	v_or_b32_e32 v109, 0x4000, v6
	v_or_b32_e32 v110, 0x6000, v6
	v_lshrrev_b32_e32 v6, 2, v85
	v_lshlrev_b32_e32 v11, 11, v77
	v_and_b32_e32 v5, 0x78, v5
	v_or_b32_e32 v13, 32, v7
	v_and_b32_e32 v10, 12, v6
	v_and_b32_e32 v6, 0x1000, v11
	v_lshrrev_b32_e32 v9, 1, v85
	v_xor_b32_e32 v13, v13, v5
	v_xor_b32_e32 v8, v7, v5
	v_and_b32_e32 v9, 8, v9
	v_or_b32_e32 v13, v13, v6
	v_or_b32_e32 v8, v8, v6
	v_lshlrev_b32_e32 v12, 8, v86
	v_xor_b32_e32 v115, v13, v9
	v_or_b32_e32 v13, 64, v7
	v_or_b32_e32 v7, 0x60, v7
	v_xor_b32_e32 v113, v8, v9
	v_or_b32_e32 v8, v12, v23
	v_xor_b32_e32 v13, v13, v5
	v_xor_b32_e32 v5, v7, v5
	s_ashr_i32 s3, s2, 31
	v_lshlrev_b32_e32 v8, 1, v8
	v_or_b32_e32 v13, v13, v6
	v_or_b32_e32 v5, v5, v6
	s_lshl_b64 s[20:21], s[2:3], 8
	v_lshlrev_b32_e32 v17, 2, v0
	v_or_b32_e32 v114, 0x4000, v8
	v_or_b32_e32 v116, 0x4080, v8
	;; [unrolled: 1-line block ×4, first 2 shown]
	v_xor_b32_e32 v119, v13, v9
	v_xor_b32_e32 v120, v5, v9
	v_or_b32_e32 v121, 0x6000, v8
	v_or_b32_e32 v122, 0x6080, v8
	;; [unrolled: 1-line block ×4, first 2 shown]
	v_lshlrev_b32_e32 v5, 1, v3
	v_add_lshl_u32 v3, v3, s15, 1
	v_or_b32_e32 v13, 0x100, v2
	s_waitcnt lgkmcnt(0)
	s_add_u32 s20, s38, s20
	v_lshlrev_b32_e32 v8, 1, v87
	v_lshrrev_b32_e32 v18, 1, v0
	v_and_or_b32 v12, v17, 60, v12
	v_lshrrev_b32_e32 v14, 4, v0
	s_addc_u32 s21, s39, s21
	v_or_b32_e32 v9, 1, v8
	v_and_b32_e32 v18, 24, v18
	v_lshlrev_b32_e32 v12, 1, v12
	v_cndmask_b32_e64 v131, v5, v2, s[0:1]
	v_cndmask_b32_e64 v132, v3, v13, s[0:1]
	v_mov_b32_e32 v3, 0xa000
	v_mov_b32_e32 v5, 0x8000
	v_cmp_gt_u32_e64 s[0:1], s24, v0
	v_xor_b32_e32 v15, v14, v8
	v_xor_b32_e32 v16, v9, v14
	v_lshl_add_u64 v[8:9], s[20:21], 0, v[78:79]
	v_lshlrev_b32_e32 v78, 8, v14
	v_or_b32_e32 v127, 0x6000, v12
	v_or_b32_e32 v17, 32, v18
	;; [unrolled: 1-line block ×6, first 2 shown]
	v_cndmask_b32_e64 v3, v3, v5, s[0:1]
	v_lshlrev_b32_e32 v5, 3, v77
	v_lshl_or_b32 v125, v15, 3, v78
	v_and_b32_e32 v15, 8, v0
	v_xor_b32_e32 v13, v5, v18
	v_xor_b32_e32 v17, v5, v17
	;; [unrolled: 1-line block ×3, first 2 shown]
	v_mov_b32_e32 v19, 0x400
	v_cmp_eq_u32_e32 vcc, 0, v15
	v_or_b32_e32 v18, 0x440, v13
	v_or_b32_e32 v20, 0x440, v17
	v_xor_b32_e32 v12, 0x440, v5
	v_and_b32_e32 v14, 7, v0
	v_cndmask_b32_e64 v15, v19, 64, vcc
	v_cndmask_b32_e32 v18, v18, v13, vcc
	v_cndmask_b32_e32 v17, v20, v17, vcc
	;; [unrolled: 1-line block ×3, first 2 shown]
	v_lshl_or_b32 v126, v16, 3, v78
	v_lshlrev_b32_e32 v16, 3, v14
	v_or_b32_e32 v18, v18, v11
	v_or_b32_e32 v17, v17, v11
	v_or3_b32 v13, v11, v15, v13
	v_or_b32_e32 v5, v5, v11
	v_or_b32_e32 v6, s2, v87
	v_lshlrev_b32_e32 v14, 7, v14
	v_xor_b32_e32 v18, v18, v16
	v_xor_b32_e32 v17, v17, v16
	;; [unrolled: 1-line block ×4, first 2 shown]
	v_ashrrev_i32_e32 v7, 31, v6
	v_or_b32_e32 v2, v84, v10
	v_add_u32_e32 v19, v3, v18
	v_add_u32_e32 v20, v3, v17
	v_or_b32_e32 v133, v13, v14
	v_add_u32_e32 v11, v3, v5
	v_or3_b32 v10, v84, v10, 64
	v_add_u32_e32 v12, 0xa000, v18
	v_add_u32_e32 v13, 0xa000, v17
	;; [unrolled: 1-line block ×3, first 2 shown]
	v_lshl_add_u64 v[80:81], v[6:7], 1, s[8:9]
	v_lshl_add_u64 v[82:83], v[8:9], 0, v[78:79]
	s_add_i32 s3, s46, 63
	v_lshlrev_b32_e32 v78, 1, v4
	v_lshlrev_b32_e32 v135, 2, v2
	v_add_u32_e32 v136, v19, v14
	v_add_u32_e32 v137, v20, v14
	v_add_u32_e32 v138, v3, v133
	v_add_u32_e32 v139, v11, v14
	v_lshlrev_b32_e32 v140, 2, v10
	v_add_u32_e32 v141, v12, v14
	v_add_u32_e32 v142, v13, v14
	;; [unrolled: 1-line block ×3, first 2 shown]
	v_mov_b32_e32 v8, v79
	v_mov_b32_e32 v9, v79
	;; [unrolled: 1-line block ×32, first 2 shown]
	s_barrier
.LBB222_6:                              ; =>This Inner Loop Header: Depth=1
	s_add_i32 s66, s67, 1
	s_cmp_lt_i32 s66, s51
	s_mov_b64 s[24:25], 0
	s_cselect_b64 s[44:45], -1, 0
	s_cmp_ge_i32 s66, s51
	s_mov_b64 s[20:21], 0
	s_cbranch_scc1 .LBB222_8
; %bb.7:                                ;   in Loop: Header=BB222_6 Depth=1
	s_add_i32 s0, s60, 64
	s_add_u32 s0, s40, s0
	s_addc_u32 s1, s41, 0
	s_lshl_b64 s[0:1], s[0:1], 8
	s_add_u32 s20, s6, s0
	s_addc_u32 s21, s7, s1
.LBB222_8:                              ;   in Loop: Header=BB222_6 Depth=1
	v_cndmask_b32_e64 v34, 0, 1, s[44:45]
	v_cmp_ne_u32_e64 s[0:1], 1, v34
	s_andn2_b64 vcc, exec, s[44:45]
	s_cbranch_vccnz .LBB222_10
; %bb.9:                                ;   in Loop: Header=BB222_6 Depth=1
	s_add_i32 s24, s60, 64
	s_add_u32 s24, s46, s24
	s_addc_u32 s25, s63, 0
	s_mul_i32 s27, s24, s52
	s_mul_hi_u32 s44, s24, s56
	s_add_i32 s27, s44, s27
	s_mul_i32 s25, s25, s56
	s_add_i32 s27, s27, s25
	s_mul_i32 s24, s24, s56
	s_add_u32 s24, s24, s55
	s_addc_u32 s25, s27, s58
	s_lshl_b64 s[24:25], s[24:25], 8
	s_add_u32 s24, s4, s24
	s_addc_u32 s25, s5, s25
.LBB222_10:                             ;   in Loop: Header=BB222_6 Depth=1
	v_perm_b32 v35, v33, v32, s37
	v_perm_b32 v34, v31, v30, s37
	v_perm_b32 v37, v21, v20, s37
	v_perm_b32 v36, v19, v18, s37
	ds_write_b64 v97, v[34:35]
	ds_write_b64 v98, v[36:37]
	ds_write_b64 v101, v[34:35]
	ds_write_b64 v102, v[36:37]
	v_perm_b32 v35, v29, v28, s37
	v_perm_b32 v34, v27, v26, s37
	v_perm_b32 v37, v17, v16, s37
	v_perm_b32 v36, v15, v14, s37
	ds_write_b64 v99, v[34:35]
	ds_write_b64 v100, v[36:37]
	ds_write_b64 v103, v[34:35]
	ds_write_b64 v104, v[36:37]
	;; [unrolled: 8-line block ×4, first 2 shown]
	s_waitcnt lgkmcnt(0)
	s_barrier
	ds_read_b64 v[38:39], v113 offset:49152
	ds_read2_b64 v[34:37], v114 offset1:16
	ds_read_b64 v[50:51], v116 offset:6144
	ds_read_b64 v[52:53], v114 offset:6144
	s_waitcnt lgkmcnt(2)
	v_mfma_f32_16x16x16_bf16 a[0:3], v[38:39], v[34:35], 0
	ds_read_b64 v[54:55], v115 offset:49152
	ds_read2st64_b64 v[42:45], v117 offset0:4 offset1:8
	ds_read2st64_b64 v[46:49], v118 offset0:4 offset1:8
	v_mfma_f32_16x16x16_bf16 a[4:7], v[38:39], v[36:37], 0
	ds_read2_b64 v[34:37], v114 offset0:32 offset1:48
	s_add_i32 s27, s60, 63
	s_mul_i32 s44, s27, s35
	s_waitcnt lgkmcnt(0)
	v_mfma_f32_16x16x16_bf16 a[8:11], v[38:39], v[34:35], 0
	s_mul_hi_u32 s45, s27, s34
	s_add_i32 s45, s45, s44
	s_mul_i32 s44, s27, s34
	v_mfma_f32_16x16x16_bf16 a[12:15], v[38:39], v[36:37], 0
	ds_read2st64_b64 v[34:37], v114 offset0:4 offset1:8
	ds_read2st64_b64 v[38:41], v116 offset0:4 offset1:8
	s_lshl_b64 s[44:45], s[44:45], 2
	s_waitcnt lgkmcnt(1)
	v_mfma_f32_16x16x16_bf16 a[0:3], v[54:55], v[34:35], a[0:3]
	s_add_u32 s44, s42, s44
	s_addc_u32 s45, s43, s45
	s_and_b64 vcc, exec, s[0:1]
	s_waitcnt lgkmcnt(0)
	v_mfma_f32_16x16x16_bf16 a[4:7], v[54:55], v[38:39], a[4:7]
	v_mov_b32_e32 v147, 0
	v_mov_b32_e32 v146, 0
	;; [unrolled: 1-line block ×3, first 2 shown]
	v_mfma_f32_16x16x16_bf16 a[8:11], v[54:55], v[42:43], a[8:11]
	ds_read_b64 v[34:35], v119 offset:49152
	ds_read_b64 v[38:39], v120 offset:49152
	;; [unrolled: 1-line block ×3, first 2 shown]
	v_mfma_f32_16x16x16_bf16 a[12:15], v[54:55], v[46:47], a[12:15]
	v_mov_b32_e32 v46, 0
	v_mov_b32_e32 v47, 0
	s_waitcnt lgkmcnt(2)
	v_mfma_f32_16x16x16_bf16 a[0:3], v[34:35], v[36:37], a[0:3]
	v_mov_b32_e32 v36, 0
	v_mov_b32_e32 v37, 0
	v_mfma_f32_16x16x16_bf16 a[16:19], v[34:35], v[40:41], a[4:7]
	v_mov_b32_e32 v40, 0
	v_mov_b32_e32 v41, 0
	;; [unrolled: 3-line block ×3, first 2 shown]
	v_mfma_f32_16x16x16_bf16 a[24:27], v[34:35], v[48:49], a[12:15]
	ds_read_b64 v[34:35], v117 offset:6144
	v_mov_b32_e32 v48, 0
	v_mov_b32_e32 v49, 0
	s_waitcnt lgkmcnt(2)
	v_mfma_f32_16x16x16_bf16 a[4:7], v[38:39], v[52:53], a[0:3]
	v_mfma_f32_16x16x16_bf16 a[8:11], v[38:39], v[50:51], a[16:19]
	s_waitcnt lgkmcnt(0)
	v_mfma_f32_16x16x16_bf16 a[12:15], v[38:39], v[34:35], a[20:23]
	v_mov_b32_e32 v34, 0
	v_mov_b32_e32 v35, 0
	v_mfma_f32_16x16x16_bf16 a[0:3], v[38:39], v[42:43], a[24:27]
	v_mov_b32_e32 v38, 0
	v_mov_b32_e32 v39, 0
	;; [unrolled: 1-line block ×4, first 2 shown]
	s_cbranch_vccnz .LBB222_12
; %bb.11:                               ;   in Loop: Header=BB222_6 Depth=1
	s_and_b32 s21, s21, 0xffff
	buffer_load_dwordx4 v[46:49], v93, s[20:23], 0 offen
	buffer_load_dwordx4 v[42:45], v93, s[20:23], s59 offen
	;; [unrolled: 1-line block ×4, first 2 shown]
	v_mov_b32_e32 v146, v95
	v_mov_b32_e32 v145, v96
.LBB222_12:                             ;   in Loop: Header=BB222_6 Depth=1
	ds_read_b64 v[66:67], v113 offset:57344
	ds_read2_b64 v[50:53], v121 offset1:16
	ds_read_b64 v[68:69], v115 offset:57344
	ds_read_b64 v[70:71], v119 offset:57344
	;; [unrolled: 1-line block ×3, first 2 shown]
	v_add_u32_e32 v74, s60, v134
	s_waitcnt lgkmcnt(3)
	v_mfma_f32_16x16x16_bf16 a[4:7], v[66:67], v[50:51], a[4:7]
	v_mfma_f32_16x16x16_bf16 a[8:11], v[66:67], v[52:53], a[8:11]
	ds_read2_b64 v[50:53], v121 offset0:32 offset1:48
	ds_read2st64_b64 v[54:57], v121 offset0:4 offset1:8
	ds_read2st64_b64 v[58:61], v122 offset0:4 offset1:8
	;; [unrolled: 1-line block ×3, first 2 shown]
	s_waitcnt lgkmcnt(3)
	v_mfma_f32_16x16x16_bf16 a[12:15], v[66:67], v[50:51], a[12:15]
	v_ashrrev_i32_e32 v50, 31, v74
	v_mfma_f32_16x16x16_bf16 a[0:3], v[66:67], v[52:53], a[0:3]
	v_mul_lo_u32 v52, v50, s34
	v_mul_lo_u32 v53, v74, s35
	v_mad_u64_u32 v[50:51], s[20:21], v74, s34, 0
	v_add3_u32 v51, v51, v53, v52
	v_add_u32_e32 v52, 1, v74
	v_ashrrev_i32_e32 v53, 31, v52
	s_waitcnt lgkmcnt(2)
	v_mfma_f32_16x16x16_bf16 a[4:7], v[68:69], v[54:55], a[4:7]
	v_mul_lo_u32 v54, v53, s34
	v_mul_lo_u32 v55, v52, s35
	v_mad_u64_u32 v[52:53], s[20:21], v52, s34, 0
	v_add3_u32 v53, v53, v55, v54
	v_add_u32_e32 v54, 2, v74
	v_ashrrev_i32_e32 v55, 31, v54
	s_waitcnt lgkmcnt(1)
	v_mfma_f32_16x16x16_bf16 a[8:11], v[68:69], v[58:59], a[8:11]
	v_mul_lo_u32 v58, v55, s34
	v_mul_lo_u32 v59, v54, s35
	v_mad_u64_u32 v[54:55], s[20:21], v54, s34, 0
	v_lshl_add_u64 v[50:51], v[50:51], 2, s[42:43]
	v_add3_u32 v55, v55, v59, v58
	v_add_u32_e32 v58, 3, v74
	v_ashrrev_i32_e32 v59, 31, v58
	global_load_dword v67, v[50:51], off
	v_mad_u64_u32 v[50:51], s[20:21], v58, s34, 0
	v_mul_lo_u32 v59, v59, s34
	v_mul_lo_u32 v66, v58, s35
	s_add_u32 s20, s40, s60
	v_add3_u32 v51, v51, v66, v59
	s_addc_u32 s21, s41, 0
	v_lshl_add_u64 v[52:53], v[52:53], 2, s[42:43]
	v_lshl_add_u64 v[54:55], v[54:55], 2, s[42:43]
	;; [unrolled: 1-line block ×3, first 2 shown]
	s_lshl_b64 s[20:21], s[20:21], 8
	global_load_dword v66, v[52:53], off
	global_load_dword v74, v[54:55], off
	;; [unrolled: 1-line block ×3, first 2 shown]
	v_lshl_add_u64 v[50:51], v[80:81], 0, s[20:21]
	v_lshl_add_u64 v[54:55], v[50:51], 0, v[78:79]
	global_load_ushort v76, v[54:55], off offset:256
	global_load_ushort v148, v[54:55], off
	ds_read2st64_b64 v[50:53], v124 offset0:4 offset1:8
	global_load_ushort v149, v[54:55], off offset:768
	global_load_ushort v150, v[54:55], off offset:512
	s_waitcnt lgkmcnt(1)
	v_mfma_f32_16x16x16_bf16 a[12:15], v[68:69], v[62:63], a[12:15]
	s_and_b64 vcc, exec, s[0:1]
	s_waitcnt vmcnt(3)
	v_lshlrev_b32_e32 v63, 16, v76
	s_waitcnt lgkmcnt(0)
	v_mfma_f32_16x16x16_bf16 a[0:3], v[68:69], v[50:51], a[0:3]
	global_load_ushort v68, v[54:55], off offset:288
	global_load_ushort v69, v[54:55], off offset:32
	;; [unrolled: 1-line block ×8, first 2 shown]
	v_mfma_f32_16x16x16_bf16 a[4:7], v[70:71], v[56:57], a[4:7]
	ds_read_b64 v[50:51], v121 offset:6144
	s_waitcnt vmcnt(10)
	v_lshlrev_b32_e32 v62, 16, v148
	v_mov_b32_e32 v148, 0
	v_mfma_f32_16x16x16_bf16 a[8:11], v[70:71], v[60:61], a[8:11]
	v_mfma_f32_16x16x16_bf16 a[12:15], v[70:71], v[64:65], a[12:15]
	;; [unrolled: 1-line block ×3, first 2 shown]
	global_load_ushort v70, v[54:55], off offset:352
	global_load_ushort v71, v[54:55], off offset:96
	ds_read_b64 v[52:53], v122 offset:6144
	ds_read_b64 v[56:57], v123 offset:6144
	;; [unrolled: 1-line block ×3, first 2 shown]
	global_load_ushort v157, v[54:55], off offset:864
	global_load_ushort v158, v[54:55], off offset:608
	s_load_dword s20, s[44:45], 0x0
	s_waitcnt lgkmcnt(0)
	v_mfma_f32_16x16x16_bf16 a[4:7], v[72:73], v[50:51], a[4:7]
	v_sub_f32_e32 v60, s20, v74
	v_mfma_f32_16x16x16_bf16 a[0:3], v[72:73], v[58:59], a[0:3]
	v_sub_f32_e32 v58, s20, v67
	v_sub_f32_e32 v59, s20, v66
	;; [unrolled: 1-line block ×3, first 2 shown]
	v_mul_f32_e32 v58, 0x3fb8aa3b, v58
	v_mul_f32_e32 v59, 0x3fb8aa3b, v59
	;; [unrolled: 1-line block ×4, first 2 shown]
	v_mfma_f32_16x16x16_bf16 a[8:11], v[72:73], v[52:53], a[8:11]
	v_exp_f32_e32 v58, v58
	v_exp_f32_e32 v59, v59
	v_exp_f32_e32 v60, v60
	v_exp_f32_e32 v61, v61
	v_accvgpr_read_b32 v65, a5
	v_accvgpr_read_b32 v64, a4
	;; [unrolled: 1-line block ×4, first 2 shown]
	v_pk_add_f32 v[62:63], v[62:63], v[64:65] neg_lo:[0,1] neg_hi:[0,1]
	s_waitcnt vmcnt(13)
	v_lshlrev_b32_e32 v65, 16, v149
	s_waitcnt vmcnt(12)
	v_lshlrev_b32_e32 v64, 16, v150
	v_pk_add_f32 v[50:51], v[64:65], v[50:51] neg_lo:[0,1] neg_hi:[0,1]
	v_pk_mul_f32 v[62:63], v[58:59], v[62:63]
	v_pk_mul_f32 v[50:51], v[60:61], v[50:51]
	v_accvgpr_read_b32 v65, a9
	v_perm_b32 v51, v51, v50, s37
	v_perm_b32 v50, v63, v62, s37
	v_accvgpr_read_b32 v64, a8
	v_accvgpr_read_b32 v53, a11
	v_mfma_f32_16x16x16_bf16 a[12:15], v[72:73], v[56:57], a[12:15]
	v_accvgpr_read_b32 v52, a10
	v_accvgpr_read_b32 v57, a3
	;; [unrolled: 1-line block ×3, first 2 shown]
	s_waitcnt vmcnt(11)
	v_lshlrev_b32_e32 v63, 16, v68
	s_waitcnt vmcnt(10)
	v_lshlrev_b32_e32 v62, 16, v69
	v_pk_add_f32 v[62:63], v[62:63], v[64:65] neg_lo:[0,1] neg_hi:[0,1]
	s_waitcnt vmcnt(9)
	v_lshlrev_b32_e32 v65, 16, v151
	s_waitcnt vmcnt(8)
	v_lshlrev_b32_e32 v64, 16, v152
	v_pk_add_f32 v[52:53], v[64:65], v[52:53] neg_lo:[0,1] neg_hi:[0,1]
	v_pk_mul_f32 v[62:63], v[58:59], v[62:63]
	v_pk_mul_f32 v[52:53], v[60:61], v[52:53]
	v_accvgpr_read_b32 v55, a15
	v_perm_b32 v53, v53, v52, s37
	v_perm_b32 v52, v63, v62, s37
	ds_write2_b64 v98, v[50:51], v[52:53] offset1:16
	v_accvgpr_read_b32 v53, a13
	s_waitcnt vmcnt(7)
	v_lshlrev_b32_e32 v51, 16, v153
	s_waitcnt vmcnt(6)
	v_lshlrev_b32_e32 v50, 16, v154
	v_accvgpr_read_b32 v52, a12
	v_accvgpr_read_b32 v54, a14
	v_pk_add_f32 v[50:51], v[50:51], v[52:53] neg_lo:[0,1] neg_hi:[0,1]
	s_waitcnt vmcnt(5)
	v_lshlrev_b32_e32 v53, 16, v155
	s_waitcnt vmcnt(4)
	v_lshlrev_b32_e32 v52, 16, v156
	v_pk_add_f32 v[52:53], v[52:53], v[54:55] neg_lo:[0,1] neg_hi:[0,1]
	v_pk_mul_f32 v[50:51], v[58:59], v[50:51]
	v_pk_mul_f32 v[52:53], v[60:61], v[52:53]
	v_accvgpr_read_b32 v55, a1
	v_perm_b32 v53, v53, v52, s37
	v_perm_b32 v52, v51, v50, s37
	s_waitcnt vmcnt(3)
	v_lshlrev_b32_e32 v51, 16, v70
	s_waitcnt vmcnt(2)
	v_lshlrev_b32_e32 v50, 16, v71
	v_accvgpr_read_b32 v54, a0
	v_pk_add_f32 v[50:51], v[50:51], v[54:55] neg_lo:[0,1] neg_hi:[0,1]
	s_waitcnt vmcnt(1)
	v_lshlrev_b32_e32 v55, 16, v157
	s_waitcnt vmcnt(0)
	v_lshlrev_b32_e32 v54, 16, v158
	v_pk_add_f32 v[54:55], v[54:55], v[56:57] neg_lo:[0,1] neg_hi:[0,1]
	v_pk_mul_f32 v[50:51], v[58:59], v[50:51]
	v_pk_mul_f32 v[54:55], v[60:61], v[54:55]
	v_mov_b32_e32 v56, 0
	v_perm_b32 v55, v55, v54, s37
	v_perm_b32 v54, v51, v50, s37
	ds_write2_b64 v98, v[52:53], v[54:55] offset0:32 offset1:48
	v_mov_b32_e32 v50, 0
	v_mov_b32_e32 v51, 0
	v_mov_b32_e32 v52, 0
	v_mov_b32_e32 v53, 0
	v_mov_b32_e32 v54, 0
	v_mov_b32_e32 v55, 0
	v_mov_b32_e32 v57, 0
	v_mov_b32_e32 v58, 0
	v_mov_b32_e32 v59, 0
	v_mov_b32_e32 v60, 0
	v_mov_b32_e32 v61, 0
	v_mov_b32_e32 v62, 0
	v_mov_b32_e32 v63, 0
	v_mov_b32_e32 v64, 0
	v_mov_b32_e32 v65, 0
	s_cbranch_vccnz .LBB222_14
; %bb.13:                               ;   in Loop: Header=BB222_6 Depth=1
	s_and_b32 s25, s25, 0xffff
	s_mov_b32 s27, s23
	buffer_load_dwordx4 v[62:65], v131, s[24:27], 0 offen
	buffer_load_dwordx4 v[54:57], v131, s[24:27], s59 offen
	buffer_load_dwordx4 v[58:61], v132, s[24:27], 0 offen
	buffer_load_dwordx4 v[50:53], v132, s[24:27], s59 offen
	v_mov_b32_e32 v147, v92
	v_mov_b32_e32 v148, v91
.LBB222_14:                             ;   in Loop: Header=BB222_6 Depth=1
	s_waitcnt lgkmcnt(0)
	s_barrier
	ds_read_b64 v[74:75], v136
	ds_read2_b64 v[66:69], v127 offset1:16
	ds_read_b64 v[166:167], v137
	ds_read_b64 v[168:169], v138
	;; [unrolled: 1-line block ×3, first 2 shown]
	ds_read2_b64 v[70:73], v127 offset0:32 offset1:48
	ds_read2st64_b64 v[150:153], v127 offset0:4 offset1:8
	ds_read2st64_b64 v[154:157], v128 offset0:4 offset1:8
	;; [unrolled: 1-line block ×4, first 2 shown]
	s_waitcnt lgkmcnt(8)
	v_mfma_f32_16x16x16_bf16 a[0:3], v[74:75], v[66:67], 0
	s_add_i32 s21, s53, s67
	s_mul_hi_i32 s25, s21, s13
	s_mul_i32 s21, s21, s13
	v_mfma_f32_16x16x16_bf16 a[4:7], v[74:75], v[68:69], 0
	s_add_u32 s24, s21, s33
	s_addc_u32 s25, s25, s57
	s_add_i32 s21, s3, s60
	s_waitcnt lgkmcnt(4)
	v_mfma_f32_16x16x16_bf16 a[8:11], v[74:75], v[70:71], 0
	s_lshl_b64 s[24:25], s[24:25], 15
	s_mul_hi_i32 s27, s21, s13
	s_mul_i32 s21, s21, s13
	v_mfma_f32_16x16x16_bf16 a[12:15], v[74:75], v[72:73], 0
	ds_read_b64 v[74:75], v127 offset:6144
	ds_read_b64 v[178:179], v128 offset:6144
	;; [unrolled: 1-line block ×4, first 2 shown]
	s_add_u32 s44, s21, s33
	s_waitcnt lgkmcnt(7)
	v_mfma_f32_16x16x16_bf16 a[0:3], v[166:167], v[150:151], a[0:3]
	s_addc_u32 s45, s27, s57
	s_lshl_b64 s[44:45], s[44:45], 9
	s_add_u32 s44, s30, s44
	s_waitcnt lgkmcnt(6)
	v_mfma_f32_16x16x16_bf16 a[4:7], v[166:167], v[154:155], a[4:7]
	s_addc_u32 s45, s31, s45
	v_lshl_add_u64 v[188:189], v[82:83], 0, s[24:25]
	s_waitcnt lgkmcnt(5)
	v_mfma_f32_16x16x16_bf16 a[8:11], v[166:167], v[158:159], a[8:11]
	s_waitcnt lgkmcnt(4)
	v_mfma_f32_16x16x16_bf16 a[12:15], v[166:167], v[162:163], a[12:15]
	ds_read_b64 v[166:167], v141
	ds_read_b64 v[176:177], v142
	;; [unrolled: 1-line block ×3, first 2 shown]
	s_waitcnt lgkmcnt(2)
	v_mfma_f32_16x16x16_bf16 a[16:19], v[166:167], v[66:67], 0
	v_mfma_f32_16x16x16_bf16 a[20:23], v[166:167], v[68:69], 0
	global_load_dwordx4 v[66:69], v140, s[44:45]
	v_mfma_f32_16x16x16_bf16 a[24:27], v[166:167], v[70:71], 0
	v_mfma_f32_16x16x16_bf16 a[28:31], v[166:167], v[72:73], 0
	global_load_dwordx4 v[70:73], v135, s[44:45]
	v_mfma_f32_16x16x16_bf16 a[0:3], v[168:169], v[152:153], a[0:3]
	v_mfma_f32_16x16x16_bf16 a[4:7], v[168:169], v[156:157], a[4:7]
	;; [unrolled: 1-line block ×8, first 2 shown]
	ds_read2st64_b64 v[166:169], v125 offset1:8
	ds_read2st64_b64 v[170:173], v126 offset1:8
	ds_read_b64 v[186:187], v133 offset:40960
	s_waitcnt lgkmcnt(2)
	v_mov_b32_e32 v174, v166
	v_mfma_f32_16x16x16_bf16 a[16:19], v[176:177], v[150:151], a[16:19]
	v_mov_b32_e32 v175, v167
	v_mfma_f32_16x16x16_bf16 a[20:23], v[176:177], v[154:155], a[20:23]
	v_mfma_f32_16x16x16_bf16 a[24:27], v[176:177], v[158:159], a[24:27]
	;; [unrolled: 1-line block ×3, first 2 shown]
	v_add_co_u32_e32 v162, vcc, s64, v188
	s_waitcnt lgkmcnt(1)
	v_mov_b32_e32 v176, v170
	s_waitcnt lgkmcnt(0)
	v_mfma_f32_16x16x16_bf16 a[16:19], v[186:187], v[152:153], a[16:19]
	ds_read2st64_b64 v[150:153], v125 offset0:16 offset1:24
	v_addc_co_u32_e32 v163, vcc, 0, v189, vcc
	v_mfma_f32_16x16x16_bf16 a[20:23], v[186:187], v[156:157], a[20:23]
	ds_read2st64_b64 v[154:157], v126 offset0:16 offset1:24
	v_mov_b32_e32 v177, v171
	v_mov_b32_e32 v170, v168
	v_mfma_f32_16x16x16_bf16 a[32:35], v[186:187], v[160:161], a[24:27]
	v_mov_b32_e32 v171, v169
	s_waitcnt lgkmcnt(0)
	v_mov_b32_e32 v160, v154
	v_mov_b32_e32 v161, v155
	v_mfma_f32_16x16x16_bf16 a[36:39], v[186:187], v[164:165], a[28:31]
	v_mov_b32_e32 v154, v152
	v_mov_b32_e32 v155, v153
	v_mov_b32_e32 v158, v150
	v_mfma_f32_16x16x16_bf16 a[24:27], v[184:185], v[74:75], a[16:19]
	v_add_co_u32_e32 v74, vcc, s65, v188
	v_mov_b32_e32 v159, v151
	v_mfma_f32_16x16x16_bf16 a[28:31], v[184:185], v[178:179], a[20:23]
	v_addc_co_u32_e32 v75, vcc, 0, v189, vcc
	global_store_dwordx4 v[74:75], v[154:157], off
	v_mfma_f32_16x16x16_bf16 a[16:19], v[184:185], v[180:181], a[32:35]
	s_waitcnt vmcnt(2)
	v_mov_b32_e32 v76, v69
	v_mov_b32_e32 v75, v68
	;; [unrolled: 1-line block ×3, first 2 shown]
	v_mfma_f32_16x16x16_bf16 a[20:23], v[184:185], v[182:183], a[36:39]
	s_and_b64 vcc, exec, s[0:1]
	global_store_dwordx4 v[188:189], v[174:177], off
	global_store_dwordx4 v[162:163], v[170:173], off offset:-4096
	global_store_dwordx4 v[162:163], v[158:161], off
	s_cbranch_vccnz .LBB222_16
; %bb.15:                               ;   in Loop: Header=BB222_6 Depth=1
	v_lshrrev_b32_e32 v67, 3, v147
	v_and_b32_e32 v67, 6, v67
	v_xor_b32_e32 v68, v67, v148
	v_lshlrev_b32_e32 v68, 2, v68
	v_and_b32_e32 v69, 8, v147
	v_xor_b32_e32 v147, 0x440, v68
	v_cmp_eq_u32_e32 vcc, 0, v69
	v_perm_b32 v69, v54, v50, s61
	s_nop 0
	v_cndmask_b32_e32 v68, v147, v68, vcc
	v_lshl_or_b32 v67, v67, 10, v68
	v_perm_b32 v68, v62, v58, s61
	s_barrier
	ds_write2st64_b32 v67, v68, v69 offset0:128 offset1:160
	v_xor_b32_e32 v68, 8, v67
	v_perm_b32 v58, v62, v58, s62
	v_perm_b32 v50, v54, v50, s62
	v_add_u32_e32 v54, 0x80, v68
	ds_write2st64_b32 v54, v58, v50 offset0:128 offset1:160
	v_xor_b32_e32 v50, 16, v67
	v_perm_b32 v54, v63, v59, s61
	v_perm_b32 v58, v55, v51, s61
	ds_write2st64_b32 v50, v54, v58 offset0:129 offset1:161
	v_xor_b32_e32 v50, 24, v67
	v_perm_b32 v54, v63, v59, s62
	v_perm_b32 v51, v55, v51, s62
	v_add_u32_e32 v50, 0x80, v50
	ds_write2st64_b32 v50, v54, v51 offset0:129 offset1:161
	v_xor_b32_e32 v50, 32, v67
	v_perm_b32 v51, v64, v60, s61
	v_perm_b32 v54, v56, v52, s61
	;; [unrolled: 9-line block ×3, first 2 shown]
	ds_write2st64_b32 v50, v51, v52 offset0:131 offset1:163
	v_xor_b32_e32 v50, 56, v67
	v_perm_b32 v51, v65, v61, s62
	v_perm_b32 v52, v57, v53, s62
	v_add_u32_e32 v50, 0x80, v50
	ds_write2st64_b32 v50, v51, v52 offset0:131 offset1:163
	ds_write_b64 v146, v[46:47] offset:49152
	v_xor_b32_e32 v46, 8, v146
	ds_write_b64 v46, v[48:49] offset:49152
	ds_write_b64 v146, v[42:43] offset:57344
	;; [unrolled: 1-line block ×4, first 2 shown]
	v_xor_b32_e32 v38, 8, v145
	ds_write_b64 v38, v[40:41] offset:49152
	ds_write_b64 v145, v[34:35] offset:57344
	;; [unrolled: 1-line block ×3, first 2 shown]
.LBB222_16:                             ;   in Loop: Header=BB222_6 Depth=1
	v_mul_f32_e32 v58, s20, v144
	v_exp_f32_e32 v68, v58
	s_waitcnt vmcnt(4)
	v_mul_f32_e32 v58, 0x3fb8aa3b, v70
	v_exp_f32_e32 v70, v58
	v_mul_f32_e32 v58, 0x3fb8aa3b, v71
	v_exp_f32_e32 v71, v58
	;; [unrolled: 2-line block ×4, first 2 shown]
	v_accvgpr_read_b32 v37, a3
	v_accvgpr_read_b32 v36, a2
	;; [unrolled: 1-line block ×4, first 2 shown]
	v_pk_mul_f32 v[70:71], v[68:69], v[70:71] op_sel_hi:[0,1]
	v_pk_mul_f32 v[72:73], v[68:69], v[72:73] op_sel_hi:[0,1]
	v_pk_fma_f32 v[30:31], v[30:31], v[70:71], v[34:35]
	v_pk_fma_f32 v[32:33], v[32:33], v[72:73], v[36:37]
	v_mul_f32_e32 v34, 0x3fb8aa3b, v66
	v_mul_f32_e32 v35, 0x3fb8aa3b, v74
	;; [unrolled: 1-line block ×4, first 2 shown]
	v_exp_f32_e32 v34, v34
	v_exp_f32_e32 v35, v35
	;; [unrolled: 1-line block ×4, first 2 shown]
	v_accvgpr_read_b32 v41, a7
	v_accvgpr_read_b32 v45, a11
	v_accvgpr_read_b32 v49, a15
	v_accvgpr_read_b32 v53, a27
	v_accvgpr_read_b32 v57, a31
	v_accvgpr_read_b32 v61, a19
	v_accvgpr_read_b32 v65, a23
	v_accvgpr_read_b32 v40, a6
	v_accvgpr_read_b32 v39, a5
	v_accvgpr_read_b32 v38, a4
	v_accvgpr_read_b32 v44, a10
	v_accvgpr_read_b32 v43, a9
	v_accvgpr_read_b32 v42, a8
	v_accvgpr_read_b32 v48, a14
	v_accvgpr_read_b32 v47, a13
	v_accvgpr_read_b32 v46, a12
	v_accvgpr_read_b32 v52, a26
	v_accvgpr_read_b32 v51, a25
	v_accvgpr_read_b32 v50, a24
	v_accvgpr_read_b32 v56, a30
	v_accvgpr_read_b32 v55, a29
	v_accvgpr_read_b32 v54, a28
	v_accvgpr_read_b32 v60, a18
	v_accvgpr_read_b32 v59, a17
	v_accvgpr_read_b32 v58, a16
	v_accvgpr_read_b32 v64, a22
	v_accvgpr_read_b32 v63, a21
	v_accvgpr_read_b32 v62, a20
	v_pk_mul_f32 v[34:35], v[68:69], v[34:35] op_sel_hi:[0,1]
	v_pk_mul_f32 v[36:37], v[68:69], v[36:37] op_sel_hi:[0,1]
	s_add_i32 s60, s60, 64
	v_pk_fma_f32 v[26:27], v[70:71], v[26:27], v[38:39]
	v_pk_fma_f32 v[28:29], v[72:73], v[28:29], v[40:41]
	;; [unrolled: 1-line block ×13, first 2 shown]
	s_cmp_eq_u32 s51, s66
	v_pk_fma_f32 v[8:9], v[36:37], v[8:9], v[64:65]
	s_cbranch_scc1 .LBB222_18
; %bb.17:                               ;   in Loop: Header=BB222_6 Depth=1
	s_mov_b32 s67, s66
	s_branch .LBB222_6
.LBB222_18:
	s_lshl_b32 s44, s51, 6
	s_sub_i32 s45, s12, s44
	s_cmp_gt_i32 s45, 0
	v_or_b32_e32 v50, s2, v87
	s_cbranch_scc1 .LBB222_20
; %bb.19:
	s_ashr_i32 s0, s33, 31
	s_add_u32 s24, s48, s33
	s_addc_u32 s25, s54, s0
	v_or_b32_e32 v34, s2, v87
	s_cbranch_execz .LBB222_21
	s_branch .LBB222_101
.LBB222_20:
                                        ; implicit-def: $sgpr24_sgpr25
                                        ; implicit-def: $vgpr34
.LBB222_21:
	s_ashr_i32 s37, s50, 31
	s_ashr_i32 s3, s44, 31
	s_cmpk_lg_i32 s15, 0x80
	s_cselect_b64 s[40:41], -1, 0
	s_and_b64 vcc, exec, s[40:41]
	s_cbranch_vccz .LBB222_23
; %bb.22:
	s_mul_hi_i32 s0, s50, s12
	s_add_u32 s1, s46, s44
	s_addc_u32 s0, s0, s3
	s_mul_i32 s20, s1, s52
	s_mul_hi_u32 s21, s1, s14
	s_add_i32 s20, s21, s20
	s_mul_i32 s0, s0, s14
	s_add_i32 s20, s20, s0
	s_mul_i32 s1, s1, s14
	s_ashr_i32 s0, s55, 31
	s_add_u32 s42, s1, s55
	s_addc_u32 s43, s20, s0
	s_cbranch_execz .LBB222_24
	s_branch .LBB222_25
.LBB222_23:
                                        ; implicit-def: $sgpr42_sgpr43
.LBB222_24:
	s_mul_hi_i32 s0, s50, s14
	s_mul_i32 s50, s50, s14
	s_ashr_i32 s1, s55, 31
	s_add_u32 s14, s50, s55
	s_addc_u32 s0, s0, s1
	s_mul_i32 s1, s14, s49
	s_mul_hi_u32 s20, s14, s12
	s_add_i32 s1, s20, s1
	s_mul_i32 s0, s0, s12
	s_add_i32 s1, s1, s0
	s_mul_i32 s14, s14, s12
	s_add_u32 s42, s14, s44
	s_addc_u32 s43, s1, s3
.LBB222_25:
	s_add_i32 s20, s53, s51
	s_ashr_i32 s14, s33, 31
	s_add_u32 s24, s48, s33
	s_addc_u32 s25, s54, s14
	s_mul_i32 s0, s24, s49
	s_mul_hi_u32 s1, s24, s12
	s_add_i32 s0, s1, s0
	s_mul_i32 s1, s25, s12
	s_add_i32 s1, s0, s1
	s_mul_i32 s0, s24, s12
	s_add_u32 s0, s0, s44
	v_lshlrev_b32_e32 v38, 6, v1
	v_lshlrev_b32_e32 v59, 2, v87
	s_addc_u32 s1, s1, s3
	s_mov_b32 s3, 0x7060302
	v_or_b32_e32 v41, v38, v59
	v_xor_b32_e32 v39, v1, v59
	v_perm_b32 v35, v33, v32, s3
	v_perm_b32 v34, v31, v30, s3
	v_perm_b32 v37, v21, v20, s3
	v_perm_b32 v36, v19, v18, s3
	v_lshlrev_b32_e32 v41, 1, v41
	v_xor_b32_e32 v40, v90, v59
	ds_write2st64_b64 v41, v[34:35], v[36:37] offset0:32 offset1:48
	v_lshlrev_b32_e32 v39, 1, v39
	v_lshlrev_b32_e32 v41, 8, v87
	v_or_b32_e32 v42, v39, v41
	v_lshlrev_b32_e32 v40, 1, v40
	ds_write_b64 v42, v[34:35]
	v_or_b32_e32 v34, v40, v41
	v_or_b32_e32 v41, 16, v87
	v_lshlrev_b32_e32 v57, 2, v41
	v_or_b32_e32 v42, v38, v57
	ds_write_b64 v34, v[36:37]
	v_perm_b32 v35, v29, v28, s3
	v_perm_b32 v34, v27, v26, s3
	;; [unrolled: 1-line block ×4, first 2 shown]
	v_lshlrev_b32_e32 v42, 1, v42
	v_lshlrev_b32_e32 v41, 8, v41
	ds_write2st64_b64 v42, v[34:35], v[36:37] offset0:32 offset1:48
	v_or_b32_e32 v42, v39, v41
	ds_write_b64 v42, v[34:35]
	v_or_b32_e32 v34, v40, v41
	v_or_b32_e32 v41, 32, v87
	v_lshlrev_b32_e32 v56, 2, v41
	v_or_b32_e32 v42, v38, v56
	ds_write_b64 v34, v[36:37]
	v_perm_b32 v35, v25, v24, s3
	v_perm_b32 v34, v23, v22, s3
	;; [unrolled: 1-line block ×4, first 2 shown]
	v_lshlrev_b32_e32 v42, 1, v42
	v_lshlrev_b32_e32 v41, 8, v41
	s_lshl_b64 s[26:27], s[0:1], 8
	ds_write2st64_b64 v42, v[34:35], v[36:37] offset0:32 offset1:48
	v_or_b32_e32 v42, v39, v41
	s_add_u32 s0, s6, s26
	ds_write_b64 v42, v[34:35]
	v_or_b32_e32 v34, v40, v41
	s_addc_u32 s1, s7, s27
	ds_write_b64 v34, v[36:37]
	v_perm_b32 v35, v5, v4, s3
	v_perm_b32 v34, v3, v2, s3
	;; [unrolled: 1-line block ×4, first 2 shown]
	v_or_b32_e32 v41, 48, v87
	s_mul_hi_i32 s3, s20, s13
	s_mul_i32 s20, s20, s13
	v_lshlrev_b32_e32 v53, 2, v41
	s_add_u32 s6, s20, s33
	v_or_b32_e32 v38, v38, v53
	s_addc_u32 s7, s3, s14
	v_lshlrev_b32_e32 v38, 1, v38
	s_ashr_i32 s3, s2, 31
	s_lshl_b64 s[6:7], s[6:7], 15
	ds_write2st64_b64 v38, v[34:35], v[36:37] offset0:32 offset1:48
	v_lshlrev_b32_e32 v38, 8, v41
	s_waitcnt lgkmcnt(0)
	s_add_u32 s6, s38, s6
	v_or_b32_e32 v39, v39, v38
	s_addc_u32 s7, s39, s7
	s_lshl_b64 s[2:3], s[2:3], 8
	ds_write_b64 v39, v[34:35]
	v_or_b32_e32 v34, v40, v38
	s_add_u32 s2, s6, s2
	v_lshlrev_b32_e32 v35, 1, v87
	ds_write_b64 v34, v[36:37]
	v_lshrrev_b32_e32 v34, 4, v0
	s_addc_u32 s3, s7, s3
	v_or_b32_e32 v36, 1, v35
	v_lshlrev_b32_e32 v42, 4, v87
	v_mov_b32_e32 v43, 0
	v_xor_b32_e32 v35, v34, v35
	v_xor_b32_e32 v38, v36, v34
	v_lshl_add_u64 v[44:45], s[2:3], 0, v[42:43]
	v_lshlrev_b32_e32 v42, 8, v34
	v_lshl_or_b32 v48, v35, 3, v42
	v_lshl_or_b32 v49, v38, 3, v42
	s_waitcnt lgkmcnt(0)
	s_barrier
	ds_read2st64_b64 v[34:37], v48 offset1:8
	ds_read2st64_b64 v[38:41], v49 offset1:8
	v_lshl_add_u64 v[46:47], v[44:45], 0, v[42:43]
	s_movk_i32 s2, 0x2000
	s_cmp_lg_u32 s45, 64
	s_waitcnt lgkmcnt(1)
	v_mov_b32_e32 v42, v34
	v_mov_b32_e32 v43, v35
	s_waitcnt lgkmcnt(0)
	v_mov_b32_e32 v44, v38
	v_mov_b32_e32 v45, v39
	global_store_dwordx4 v[46:47], v[42:45], off
	v_mov_b32_e32 v38, v36
	v_mov_b32_e32 v39, v37
	ds_read2st64_b64 v[34:37], v48 offset0:16 offset1:24
	ds_read2st64_b64 v[42:45], v49 offset0:16 offset1:24
	v_add_co_u32_e32 v48, vcc, s2, v46
	s_cselect_b64 s[6:7], -1, 0
	s_nop 0
	v_addc_co_u32_e32 v49, vcc, 0, v47, vcc
	global_store_dwordx4 v[48:49], v[38:41], off offset:-4096
	v_lshl_or_b32 v51, v77, 3, v89
	s_mov_b32 s20, 0
	s_waitcnt lgkmcnt(1)
	v_mov_b32_e32 v38, v34
	v_add_co_u32_e32 v34, vcc, 0x3000, v46
	v_mov_b32_e32 v39, v35
	s_nop 0
	v_addc_co_u32_e32 v35, vcc, 0, v47, vcc
	s_waitcnt lgkmcnt(0)
	v_mov_b32_e32 v40, v42
	v_mov_b32_e32 v41, v43
	;; [unrolled: 1-line block ×4, first 2 shown]
	v_or_b32_e32 v54, 32, v51
	v_and_b32_e32 v52, 56, v88
	s_and_b64 vcc, exec, s[6:7]
	global_store_dwordx4 v[48:49], v[38:41], off
	global_store_dwordx4 v[34:35], v[42:45], off
	s_cbranch_vccz .LBB222_31
; %bb.26:
	s_mov_b32 s22, s20
	s_mov_b32 s23, s20
	;; [unrolled: 1-line block ×3, first 2 shown]
	v_mov_b64_e32 v[40:41], s[22:23]
	v_mov_b64_e32 v[38:39], s[20:21]
	;; [unrolled: 1-line block ×3, first 2 shown]
	v_cmp_gt_i32_e32 vcc, s45, v51
	v_mov_b64_e32 v[36:37], v[40:41]
	s_and_saveexec_b64 s[2:3], vcc
	s_cbranch_execz .LBB222_28
; %bb.27:
	v_lshlrev_b32_e32 v34, 8, v51
	v_mov_b32_e32 v35, 0
	v_lshl_add_u64 v[36:37], s[0:1], 0, v[34:35]
	v_lshlrev_b32_e32 v34, 1, v52
	v_lshl_add_u64 v[42:43], v[36:37], 0, v[34:35]
	global_load_dwordx4 v[38:41], v[42:43], off
	global_load_dwordx4 v[34:37], v[42:43], off offset:128
.LBB222_28:
	s_or_b64 exec, exec, s[2:3]
	s_mov_b32 s22, s20
	s_mov_b32 s23, s20
	;; [unrolled: 1-line block ×3, first 2 shown]
	v_mov_b64_e32 v[48:49], s[22:23]
	v_mov_b64_e32 v[46:47], s[20:21]
	;; [unrolled: 1-line block ×3, first 2 shown]
	v_cmp_gt_i32_e32 vcc, s45, v54
	v_lshlrev_b32_e32 v55, 7, v54
	v_mov_b64_e32 v[44:45], v[48:49]
	s_and_saveexec_b64 s[2:3], vcc
	s_cbranch_execz .LBB222_30
; %bb.29:
	v_lshlrev_b32_e32 v42, 1, v55
	v_mov_b32_e32 v43, 0
	v_lshl_add_u64 v[44:45], s[0:1], 0, v[42:43]
	v_lshlrev_b32_e32 v42, 1, v52
	v_lshl_add_u64 v[60:61], v[44:45], 0, v[42:43]
	global_load_dwordx4 v[46:49], v[60:61], off
	global_load_dwordx4 v[42:45], v[60:61], off offset:128
.LBB222_30:
	s_or_b64 exec, exec, s[2:3]
	v_lshrrev_b32_e32 v58, 3, v52
	v_lshlrev_b32_e32 v60, 3, v51
	v_or_b32_e32 v58, v60, v58
	v_lshlrev_b32_e32 v58, 4, v58
	v_and_b32_e32 v60, 0x78, v60
	v_xor_b32_e32 v58, v58, v60
	s_branch .LBB222_33
.LBB222_31:
                                        ; implicit-def: $vgpr58
                                        ; implicit-def: $vgpr55
                                        ; implicit-def: $vgpr38_vgpr39_vgpr40_vgpr41
                                        ; implicit-def: $vgpr34_vgpr35_vgpr36_vgpr37
                                        ; implicit-def: $vgpr46_vgpr47_vgpr48_vgpr49
                                        ; implicit-def: $vgpr42_vgpr43_vgpr44_vgpr45
	s_cbranch_execz .LBB222_33
; %bb.32:
	s_waitcnt vmcnt(0)
	v_lshlrev_b32_e32 v34, 1, v52
	v_lshl_or_b32 v55, v51, 8, v34
	s_and_b32 s1, s1, 0xffff
	s_mov_b32 s3, 0x20000
	s_movk_i32 s2, 0x4000
	v_lshl_or_b32 v58, v54, 8, v34
	s_movk_i32 s20, 0x80
	buffer_load_dwordx4 v[38:41], v55, s[0:3], 0 offen
	buffer_load_dwordx4 v[34:37], v55, s[0:3], s20 offen
	;; [unrolled: 1-line block ×4, first 2 shown]
	v_lshrrev_b32_e32 v55, 3, v52
	v_lshlrev_b32_e32 v58, 3, v51
	v_or_b32_e32 v55, v58, v55
	v_lshlrev_b32_e32 v55, 4, v55
	v_and_b32_e32 v58, 0x78, v58
	v_xor_b32_e32 v58, v55, v58
	v_lshlrev_b32_e32 v55, 7, v54
.LBB222_33:
	s_movk_i32 s0, 0x1000
	v_and_or_b32 v54, v55, s0, v58
	s_waitcnt vmcnt(1)
	ds_write_b64 v58, v[38:39] offset:49152
	v_xor_b32_e32 v38, 8, v58
	ds_write_b64 v38, v[40:41] offset:49152
	s_waitcnt vmcnt(0)
	ds_write_b64 v58, v[34:35] offset:57344
	ds_write_b64 v38, v[36:37] offset:57344
	ds_write_b64 v54, v[46:47] offset:49152
	v_xor_b32_e32 v34, 8, v54
	ds_write_b64 v34, v[48:49] offset:49152
	ds_write_b64 v54, v[42:43] offset:57344
	;; [unrolled: 1-line block ×3, first 2 shown]
	v_or_b32_e32 v34, v84, v87
	v_lshlrev_b32_e32 v34, 3, v34
	v_lshrrev_b32_e32 v35, 5, v85
	s_movk_i32 s0, 0xf8
	v_and_or_b32 v35, v34, s0, v35
	v_lshlrev_b32_e32 v39, 4, v35
	v_lshlrev_b32_e32 v58, 11, v77
	v_and_b32_e32 v40, 0x78, v34
	v_or_b32_e32 v42, 32, v39
	v_and_b32_e32 v38, 0x1000, v58
	v_lshrrev_b32_e32 v35, 1, v85
	v_xor_b32_e32 v42, v42, v40
	v_xor_b32_e32 v34, v39, v40
	v_and_b32_e32 v41, 8, v35
	v_or_b32_e32 v42, v42, v38
	v_or_b32_e32 v34, v34, v38
	v_xor_b32_e32 v65, v42, v41
	v_or_b32_e32 v42, 64, v39
	v_xor_b32_e32 v64, v34, v41
	v_xor_b32_e32 v42, v42, v40
	s_waitcnt lgkmcnt(0)
	s_barrier
	v_or_b32_e32 v45, v42, v38
	ds_read_b64 v[42:43], v64 offset:49152
	v_lshl_or_b32 v46, v86, 8, v59
	v_lshlrev_b32_e32 v60, 1, v46
	v_add_u32_e32 v44, 0x4000, v60
	ds_read2_b64 v[34:37], v44 offset1:16
	v_or_b32_e32 v39, 0x60, v39
	v_xor_b32_e32 v39, v39, v40
	v_or_b32_e32 v38, v39, v38
	v_xor_b32_e32 v66, v45, v41
	v_xor_b32_e32 v67, v38, v41
	ds_read_b64 v[54:55], v65 offset:49152
	ds_read_b64 v[68:69], v66 offset:49152
	;; [unrolled: 1-line block ×3, first 2 shown]
	s_waitcnt lgkmcnt(3)
	v_mfma_f32_16x16x16_bf16 a[0:3], v[42:43], v[34:35], 0
	ds_read2_b64 v[38:41], v44 offset0:32 offset1:48
	s_lshl_b64 s[0:1], s[42:43], 8
	s_add_u32 s4, s4, s0
	v_mfma_f32_16x16x16_bf16 a[4:7], v[42:43], v[36:37], 0
	ds_read2st64_b64 v[34:37], v60 offset0:36 offset1:40
	s_addc_u32 s5, s5, s1
	s_add_i32 s20, s12, -1
	s_waitcnt lgkmcnt(1)
	v_mfma_f32_16x16x16_bf16 a[8:11], v[42:43], v[38:39], 0
	v_or_b32_e32 v38, 64, v46
	v_lshlrev_b32_e32 v61, 1, v38
	s_add_i32 s0, s47, s17
	s_waitcnt lgkmcnt(0)
	v_mfma_f32_16x16x16_bf16 a[0:3], v[54:55], v[34:35], a[0:3]
	v_or_b32_e32 v34, 0x80, v46
	v_lshlrev_b32_e32 v62, 1, v34
	v_or_b32_e32 v34, 0xc0, v46
	v_mfma_f32_16x16x16_bf16 a[12:15], v[42:43], v[40:41], 0
	ds_read2st64_b64 v[38:41], v61 offset0:36 offset1:40
	v_lshlrev_b32_e32 v63, 1, v34
	ds_read2st64_b64 v[42:45], v62 offset0:36 offset1:40
	ds_read2st64_b64 v[46:49], v63 offset0:36 offset1:40
	s_mul_i32 s37, s37, s16
	s_add_i32 s37, s0, s37
	s_mul_i32 s0, s33, s19
	s_mul_hi_u32 s1, s33, s18
	s_ashr_i32 s2, s20, 31
	s_mul_i32 s3, s20, s35
	s_mul_hi_u32 s12, s20, s34
	s_waitcnt lgkmcnt(2)
	v_mfma_f32_16x16x16_bf16 a[4:7], v[54:55], v[38:39], a[4:7]
	s_add_i32 s0, s1, s0
	s_mul_i32 s1, s14, s18
	s_add_i32 s3, s12, s3
	s_mul_i32 s2, s2, s34
	s_waitcnt lgkmcnt(1)
	v_mfma_f32_16x16x16_bf16 a[8:11], v[54:55], v[42:43], a[8:11]
	s_add_i32 s1, s0, s1
	s_add_i32 s3, s3, s2
	s_lshl_b64 s[16:17], s[36:37], 2
	s_waitcnt lgkmcnt(0)
	v_mfma_f32_16x16x16_bf16 a[12:15], v[54:55], v[46:47], a[12:15]
	s_mul_i32 s0, s33, s18
	s_add_u32 s10, s10, s16
	s_addc_u32 s11, s11, s17
	s_lshl_b64 s[0:1], s[0:1], 2
	v_mfma_f32_16x16x16_bf16 a[0:3], v[68:69], v[36:37], a[0:3]
	s_mul_i32 s2, s20, s34
	ds_read_b64 v[34:35], v60 offset:22528
	s_add_u32 s10, s10, s0
	v_mfma_f32_16x16x16_bf16 a[4:7], v[68:69], v[40:41], a[4:7]
	ds_read_b64 v[36:37], v61 offset:22528
	ds_read_b64 v[38:39], v62 offset:22528
	;; [unrolled: 1-line block ×3, first 2 shown]
	s_addc_u32 s11, s11, s1
	s_lshl_b64 s[0:1], s[2:3], 2
	v_mfma_f32_16x16x16_bf16 a[8:11], v[68:69], v[44:45], a[8:11]
	s_add_u32 s0, s10, s0
	s_addc_u32 s1, s11, s1
	s_load_dword s12, s[0:1], 0x0
	v_mfma_f32_16x16x16_bf16 a[12:15], v[68:69], v[48:49], a[12:15]
	s_and_b64 vcc, exec, s[40:41]
	s_waitcnt lgkmcnt(0)
	v_mfma_f32_16x16x16_bf16 a[0:3], v[70:71], v[34:35], a[0:3]
	v_mfma_f32_16x16x16_bf16 a[4:7], v[70:71], v[36:37], a[4:7]
	;; [unrolled: 1-line block ×4, first 2 shown]
	s_cbranch_vccz .LBB222_44
; %bb.34:
	v_lshlrev_b32_e32 v54, 1, v51
	s_and_b64 vcc, exec, s[6:7]
	s_cbranch_vccz .LBB222_45
; %bb.35:
	v_cmp_gt_i32_e32 vcc, s45, v54
	v_mov_b32_e32 v38, 0
	v_mov_b32_e32 v34, 0
	;; [unrolled: 1-line block ×5, first 2 shown]
	s_and_saveexec_b64 s[0:1], vcc
	s_cbranch_execz .LBB222_37
; %bb.36:
	v_mad_i64_i32 v[34:35], s[2:3], s15, v54, 0
	v_lshl_add_u64 v[34:35], v[34:35], 1, s[4:5]
	v_lshlrev_b32_e32 v36, 1, v52
	v_mov_b32_e32 v37, 0
	v_lshl_add_u64 v[34:35], v[34:35], 0, v[36:37]
	global_load_dwordx4 v[34:37], v[34:35], off
.LBB222_37:
	s_or_b64 exec, exec, s[0:1]
	v_or_b32_e32 v55, 1, v54
	v_cmp_gt_i32_e64 s[0:1], s45, v55
	v_mov_b32_e32 v39, 0
	v_mov_b32_e32 v40, 0
	;; [unrolled: 1-line block ×3, first 2 shown]
	s_and_saveexec_b64 s[2:3], s[0:1]
	s_cbranch_execz .LBB222_39
; %bb.38:
	v_mad_i64_i32 v[38:39], s[16:17], s15, v55, 0
	v_lshl_add_u64 v[38:39], v[38:39], 1, s[4:5]
	v_lshlrev_b32_e32 v40, 1, v52
	v_mov_b32_e32 v41, 0
	v_lshl_add_u64 v[38:39], v[38:39], 0, v[40:41]
	global_load_dwordx4 v[38:41], v[38:39], off
.LBB222_39:
	s_or_b64 exec, exec, s[2:3]
	v_mov_b32_e32 v49, 0
	v_mov_b32_e32 v42, 0
	;; [unrolled: 1-line block ×5, first 2 shown]
	s_and_saveexec_b64 s[2:3], vcc
	s_cbranch_execz .LBB222_41
; %bb.40:
	v_mad_i64_i32 v[42:43], s[16:17], s15, v54, 0
	v_lshl_add_u64 v[42:43], v[42:43], 1, s[4:5]
	v_lshlrev_b32_e32 v44, 1, v52
	v_mov_b32_e32 v45, 0
	v_lshl_add_u64 v[42:43], v[42:43], 0, v[44:45]
	global_load_dwordx4 v[42:45], v[42:43], off offset:128
.LBB222_41:
	s_or_b64 exec, exec, s[2:3]
	v_mov_b32_e32 v48, 0
	v_mov_b32_e32 v47, 0
	;; [unrolled: 1-line block ×3, first 2 shown]
	s_and_saveexec_b64 s[2:3], s[0:1]
	s_cbranch_execz .LBB222_43
; %bb.42:
	v_mad_i64_i32 v[46:47], s[0:1], s15, v55, 0
	v_lshl_add_u64 v[46:47], v[46:47], 1, s[4:5]
	v_lshlrev_b32_e32 v48, 1, v52
	v_mov_b32_e32 v49, 0
	v_lshl_add_u64 v[46:47], v[46:47], 0, v[48:49]
	global_load_dwordx4 v[46:49], v[46:47], off offset:128
.LBB222_43:
	s_or_b64 exec, exec, s[2:3]
	s_branch .LBB222_47
.LBB222_44:
                                        ; implicit-def: $vgpr37
                                        ; implicit-def: $vgpr41
                                        ; implicit-def: $vgpr45
                                        ; implicit-def: $vgpr49
	v_lshrrev_b32_e32 v68, 2, v85
	s_branch .LBB222_48
.LBB222_45:
                                        ; implicit-def: $vgpr37
                                        ; implicit-def: $vgpr41
                                        ; implicit-def: $vgpr45
                                        ; implicit-def: $vgpr49
	s_cbranch_execz .LBB222_47
; %bb.46:
	s_waitcnt vmcnt(0)
	v_mad_u64_u32 v[34:35], s[0:1], v54, s15, v[52:53]
	v_lshlrev_b32_e32 v54, 1, v34
	s_lshl_b32 s2, s15, 7
	s_and_b32 s1, s5, 0xffff
	s_mov_b32 s3, 0x20000
	s_mov_b32 s0, s4
	v_add_lshl_u32 v55, v34, s15, 1
	s_movk_i32 s15, 0x80
	buffer_load_dwordx4 v[34:37], v54, s[0:3], 0 offen
	buffer_load_dwordx4 v[42:45], v54, s[0:3], s15 offen
	;; [unrolled: 1-line block ×4, first 2 shown]
.LBB222_47:
	v_lshrrev_b32_e32 v68, 2, v85
	s_cbranch_execnz .LBB222_60
.LBB222_48:
	s_and_b64 vcc, exec, s[6:7]
	s_cbranch_vccz .LBB222_58
; %bb.49:
	s_waitcnt vmcnt(0)
	v_lshlrev_b32_e32 v39, 1, v51
	v_cmp_gt_i32_e32 vcc, s45, v39
	v_mov_b32_e32 v38, 0
	v_lshlrev_b32_e32 v46, 9, v51
	v_mov_b32_e32 v34, 0
	v_mov_b32_e32 v35, 0
	;; [unrolled: 1-line block ×4, first 2 shown]
	s_and_saveexec_b64 s[0:1], vcc
	s_cbranch_execz .LBB222_51
; %bb.50:
	v_mov_b32_e32 v47, 0
	v_lshl_add_u64 v[34:35], s[4:5], 0, v[46:47]
	v_lshlrev_b32_e32 v36, 1, v52
	v_mov_b32_e32 v37, v47
	v_lshl_add_u64 v[34:35], v[34:35], 0, v[36:37]
	global_load_dwordx4 v[34:37], v[34:35], off
.LBB222_51:
	s_or_b64 exec, exec, s[0:1]
	v_or_b32_e32 v39, 1, v39
	v_cmp_gt_i32_e64 s[0:1], s45, v39
	v_lshlrev_b32_e32 v54, 8, v39
	v_mov_b32_e32 v39, 0
	v_mov_b32_e32 v40, 0
	;; [unrolled: 1-line block ×3, first 2 shown]
	s_and_saveexec_b64 s[2:3], s[0:1]
	s_cbranch_execz .LBB222_53
; %bb.52:
	v_mov_b32_e32 v55, 0
	v_lshl_add_u64 v[38:39], s[4:5], 0, v[54:55]
	v_lshlrev_b32_e32 v40, 1, v52
	v_mov_b32_e32 v41, v55
	v_lshl_add_u64 v[38:39], v[38:39], 0, v[40:41]
	global_load_dwordx4 v[38:41], v[38:39], off
.LBB222_53:
	s_or_b64 exec, exec, s[2:3]
	v_mov_b32_e32 v49, 0
	v_mov_b32_e32 v42, 0
	;; [unrolled: 1-line block ×5, first 2 shown]
	s_and_saveexec_b64 s[2:3], vcc
	s_cbranch_execz .LBB222_55
; %bb.54:
	v_mov_b32_e32 v47, 0
	v_lshl_add_u64 v[42:43], s[4:5], 0, v[46:47]
	v_lshlrev_b32_e32 v46, 1, v52
	v_lshl_add_u64 v[42:43], v[42:43], 0, v[46:47]
	global_load_dwordx4 v[42:45], v[42:43], off offset:128
.LBB222_55:
	s_or_b64 exec, exec, s[2:3]
	v_mov_b32_e32 v48, 0
	v_mov_b32_e32 v47, 0
	;; [unrolled: 1-line block ×3, first 2 shown]
	s_and_saveexec_b64 s[2:3], s[0:1]
	s_cbranch_execz .LBB222_57
; %bb.56:
	v_mov_b32_e32 v55, 0
	v_lshl_add_u64 v[46:47], s[4:5], 0, v[54:55]
	v_lshlrev_b32_e32 v54, 1, v52
	v_lshl_add_u64 v[46:47], v[46:47], 0, v[54:55]
	global_load_dwordx4 v[46:49], v[46:47], off offset:128
.LBB222_57:
	s_or_b64 exec, exec, s[2:3]
	s_branch .LBB222_60
.LBB222_58:
                                        ; implicit-def: $vgpr37
                                        ; implicit-def: $vgpr41
                                        ; implicit-def: $vgpr45
                                        ; implicit-def: $vgpr49
	s_cbranch_execz .LBB222_60
; %bb.59:
	s_waitcnt vmcnt(0)
	v_lshlrev_b32_e32 v34, 1, v52
	v_lshl_or_b32 v52, v51, 9, v34
	s_and_b32 s5, s5, 0xffff
	s_mov_b32 s7, 0x20000
	s_movk_i32 s6, 0x4000
	s_movk_i32 s0, 0x80
	buffer_load_dwordx4 v[34:37], v52, s[4:7], 0 offen
	buffer_load_dwordx4 v[38:41], v52, s[4:7], 0 offen offset:256
	buffer_load_dwordx4 v[42:45], v52, s[4:7], s0 offen
	buffer_load_dwordx4 v[46:49], v52, s[4:7], s0 offen offset:256
.LBB222_60:
	ds_read_b64 v[54:55], v64 offset:57344
	v_add_u32_e32 v52, 0x6000, v60
	ds_read2_b64 v[70:73], v52 offset1:16
	ds_read_b64 v[82:83], v65 offset:57344
	ds_read_b64 v[86:87], v66 offset:57344
	;; [unrolled: 1-line block ×3, first 2 shown]
	ds_read2_b64 v[64:67], v52 offset0:32 offset1:48
	v_and_b32_e32 v52, 12, v68
	v_and_b32_e32 v76, 6, v0
	v_xor_b32_e32 v51, v51, v76
	v_lshlrev_b32_e32 v51, 2, v51
	s_mov_b32 s0, 0x1000504
	s_waitcnt lgkmcnt(4)
	v_mfma_f32_16x16x16_bf16 a[4:7], v[54:55], v[72:73], a[4:7]
	s_mov_b32 s1, 0x3020706
	v_mfma_f32_16x16x16_bf16 a[0:3], v[54:55], v[70:71], a[0:3]
	ds_read2st64_b64 v[68:71], v60 offset0:52 offset1:56
	s_waitcnt lgkmcnt(1)
	v_mfma_f32_16x16x16_bf16 a[8:11], v[54:55], v[64:65], a[8:11]
	v_mfma_f32_16x16x16_bf16 a[12:15], v[54:55], v[66:67], a[12:15]
	ds_read2st64_b64 v[64:67], v61 offset0:52 offset1:56
	ds_read2st64_b64 v[72:75], v62 offset0:52 offset1:56
	;; [unrolled: 1-line block ×3, first 2 shown]
	s_waitcnt lgkmcnt(2)
	v_mfma_f32_16x16x16_bf16 a[4:7], v[82:83], v[64:65], a[4:7]
	v_and_b32_e32 v64, 1, v0
	v_xor_b32_e32 v65, 0x440, v51
	v_cmp_eq_u32_e32 vcc, 0, v64
	v_mfma_f32_16x16x16_bf16 a[0:3], v[82:83], v[68:69], a[0:3]
	s_waitcnt vmcnt(0)
	v_perm_b32 v64, v34, v38, s0
	v_cndmask_b32_e32 v51, v65, v51, vcc
	v_lshl_or_b32 v51, v76, 10, v51
	s_waitcnt lgkmcnt(1)
	v_mfma_f32_16x16x16_bf16 a[8:11], v[82:83], v[72:73], a[8:11]
	v_perm_b32 v65, v42, v46, s0
	ds_read_b64 v[54:55], v60 offset:30720
	ds_read_b64 v[68:69], v61 offset:30720
	;; [unrolled: 1-line block ×4, first 2 shown]
	ds_write2st64_b32 v51, v64, v65 offset0:128 offset1:160
	s_waitcnt lgkmcnt(5)
	v_mfma_f32_16x16x16_bf16 a[12:15], v[82:83], v[78:79], a[12:15]
	v_xor_b32_e32 v64, 8, v51
	v_perm_b32 v34, v34, v38, s1
	v_perm_b32 v38, v42, v46, s1
	v_add_u32_e32 v42, 0x80, v64
	ds_write2st64_b32 v42, v34, v38 offset0:128 offset1:160
	v_xor_b32_e32 v34, 16, v51
	v_perm_b32 v38, v35, v39, s0
	v_perm_b32 v42, v43, v47, s0
	v_mfma_f32_16x16x16_bf16 a[0:3], v[86:87], v[70:71], a[0:3]
	ds_write2st64_b32 v34, v38, v42 offset0:129 offset1:161
	v_xor_b32_e32 v34, 24, v51
	v_perm_b32 v35, v35, v39, s1
	v_mfma_f32_16x16x16_bf16 a[4:7], v[86:87], v[66:67], a[4:7]
	v_perm_b32 v38, v43, v47, s1
	v_add_u32_e32 v34, 0x80, v34
	ds_write2st64_b32 v34, v35, v38 offset0:129 offset1:161
	v_mfma_f32_16x16x16_bf16 a[16:19], v[86:87], v[74:75], a[8:11]
	v_xor_b32_e32 v34, 32, v51
	v_perm_b32 v35, v36, v40, s0
	v_perm_b32 v38, v44, v48, s0
	v_mfma_f32_16x16x16_bf16 a[20:23], v[86:87], v[80:81], a[12:15]
	ds_write2st64_b32 v34, v35, v38 offset0:130 offset1:162
	v_xor_b32_e32 v34, 40, v51
	v_perm_b32 v35, v36, v40, s1
	s_waitcnt lgkmcnt(8)
	v_mfma_f32_16x16x16_bf16 a[12:15], v[88:89], v[54:55], a[0:3]
	v_perm_b32 v36, v44, v48, s1
	v_add_u32_e32 v34, 0x80, v34
	ds_write2st64_b32 v34, v35, v36 offset0:130 offset1:162
	s_waitcnt lgkmcnt(8)
	v_mfma_f32_16x16x16_bf16 a[8:11], v[88:89], v[68:69], a[4:7]
	v_xor_b32_e32 v34, 48, v51
	v_perm_b32 v35, v37, v41, s0
	v_perm_b32 v36, v45, v49, s0
	s_waitcnt lgkmcnt(7)
	v_mfma_f32_16x16x16_bf16 a[4:7], v[88:89], v[90:91], a[16:19]
	ds_write2st64_b32 v34, v35, v36 offset0:131 offset1:163
	v_xor_b32_e32 v34, 56, v51
	v_or_b32_e32 v48, v52, v84
	s_waitcnt lgkmcnt(7)
	v_mfma_f32_16x16x16_bf16 a[0:3], v[88:89], v[92:93], a[20:23]
	v_perm_b32 v35, v37, v41, s1
	v_perm_b32 v36, v45, v49, s1
	v_add_u32_e32 v34, 0x80, v34
	v_cmp_gt_i32_e64 s[0:1], s45, v48
	v_mov_b32_e32 v54, 0
	v_mov_b32_e32 v55, 0
	ds_write2st64_b32 v34, v35, v36 offset0:131 offset1:163
	s_and_saveexec_b64 s[2:3], s[0:1]
	s_cbranch_execz .LBB222_62
; %bb.61:
	v_add_u32_e32 v34, s44, v48
	v_ashrrev_i32_e32 v35, 31, v34
	v_mul_lo_u32 v36, v35, s34
	v_mul_lo_u32 v37, v34, s35
	v_mad_u64_u32 v[34:35], s[4:5], v34, s34, 0
	v_add3_u32 v35, v35, v37, v36
	v_lshl_add_u64 v[34:35], v[34:35], 2, s[10:11]
	global_load_dword v34, v[34:35], off
	s_waitcnt vmcnt(0)
	v_sub_f32_e32 v34, s12, v34
	v_mul_f32_e32 v34, 0x3fb8aa3b, v34
	v_exp_f32_e32 v55, v34
.LBB222_62:
	s_or_b64 exec, exec, s[2:3]
	v_or_b32_e32 v40, 1, v48
	v_cmp_gt_i32_e64 s[2:3], s45, v40
	s_and_saveexec_b64 s[4:5], s[2:3]
	s_cbranch_execz .LBB222_64
; %bb.63:
	v_add_u32_e32 v34, s44, v40
	v_ashrrev_i32_e32 v35, 31, v34
	v_mul_lo_u32 v36, v35, s34
	v_mul_lo_u32 v37, v34, s35
	v_mad_u64_u32 v[34:35], s[6:7], v34, s34, 0
	v_add3_u32 v35, v35, v37, v36
	v_lshl_add_u64 v[34:35], v[34:35], 2, s[10:11]
	global_load_dword v34, v[34:35], off
	s_waitcnt vmcnt(0)
	v_sub_f32_e32 v34, s12, v34
	v_mul_f32_e32 v34, 0x3fb8aa3b, v34
	v_exp_f32_e32 v54, v34
.LBB222_64:
	s_or_b64 exec, exec, s[4:5]
	v_or_b32_e32 v41, 2, v48
	v_cmp_gt_i32_e64 s[4:5], s45, v41
	v_mov_b32_e32 v49, 0
	v_mov_b32_e32 v64, 0
	s_and_saveexec_b64 s[6:7], s[4:5]
	s_cbranch_execz .LBB222_66
; %bb.65:
	v_add_u32_e32 v34, s44, v41
	v_ashrrev_i32_e32 v35, 31, v34
	v_mul_lo_u32 v36, v35, s34
	v_mul_lo_u32 v37, v34, s35
	v_mad_u64_u32 v[34:35], s[16:17], v34, s34, 0
	v_add3_u32 v35, v35, v37, v36
	v_lshl_add_u64 v[34:35], v[34:35], 2, s[10:11]
	global_load_dword v34, v[34:35], off
	s_waitcnt vmcnt(0)
	v_sub_f32_e32 v34, s12, v34
	v_mul_f32_e32 v34, 0x3fb8aa3b, v34
	v_exp_f32_e32 v64, v34
.LBB222_66:
	s_or_b64 exec, exec, s[6:7]
	v_or_b32_e32 v65, 3, v48
	v_cmp_gt_i32_e32 vcc, s45, v65
	s_and_saveexec_b64 s[6:7], vcc
	s_cbranch_execz .LBB222_68
; %bb.67:
	v_add_u32_e32 v34, s44, v65
	v_ashrrev_i32_e32 v35, 31, v34
	v_mul_lo_u32 v36, v35, s34
	v_mul_lo_u32 v37, v34, s35
	v_mad_u64_u32 v[34:35], s[16:17], v34, s34, 0
	v_add3_u32 v35, v35, v37, v36
	v_lshl_add_u64 v[34:35], v[34:35], 2, s[10:11]
	global_load_dword v34, v[34:35], off
	s_waitcnt vmcnt(0)
	v_sub_f32_e32 v34, s12, v34
	v_mul_f32_e32 v34, 0x3fb8aa3b, v34
	v_exp_f32_e32 v49, v34
.LBB222_68:
	s_or_b64 exec, exec, s[6:7]
	s_add_u32 s6, s8, s26
	v_accvgpr_read_b32 v37, a15
	s_addc_u32 s7, s9, s27
	v_ashrrev_i32_e32 v51, 31, v50
	v_accvgpr_read_b32 v36, a14
	v_accvgpr_read_b32 v35, a13
	;; [unrolled: 1-line block ×3, first 2 shown]
	v_lshl_add_u64 v[38:39], v[50:51], 1, s[6:7]
	v_mov_b32_e32 v45, 0
	v_lshlrev_b32_e32 v42, 8, v48
	v_mov_b32_e32 v43, 0
	s_and_saveexec_b64 s[6:7], s[0:1]
	s_cbranch_execz .LBB222_70
; %bb.69:
	v_mov_b32_e32 v43, 0
	v_lshl_add_u64 v[46:47], v[38:39], 0, v[42:43]
	global_load_ushort v43, v[46:47], off
	s_waitcnt vmcnt(0)
	v_lshlrev_b32_e32 v43, 16, v43
	v_sub_f32_e32 v34, v43, v34
	v_mul_f32_e32 v34, v55, v34
	v_lshrrev_b32_e32 v43, 16, v34
.LBB222_70:
	s_or_b64 exec, exec, s[6:7]
	v_lshlrev_b32_e32 v44, 8, v40
	s_and_saveexec_b64 s[6:7], s[2:3]
	s_cbranch_execz .LBB222_72
; %bb.71:
	v_mov_b32_e32 v45, 0
	v_lshl_add_u64 v[46:47], v[38:39], 0, v[44:45]
	global_load_ushort v34, v[46:47], off
	s_waitcnt vmcnt(0)
	v_lshlrev_b32_e32 v34, 16, v34
	v_sub_f32_e32 v34, v34, v35
	v_mul_f32_e32 v34, v54, v34
	v_lshrrev_b32_e32 v45, 16, v34
.LBB222_72:
	s_or_b64 exec, exec, s[6:7]
	v_mov_b32_e32 v66, 0
	v_lshlrev_b32_e32 v46, 8, v41
	v_mov_b32_e32 v47, 0
	s_and_saveexec_b64 s[6:7], s[4:5]
	s_cbranch_execz .LBB222_74
; %bb.73:
	v_mov_b32_e32 v47, 0
	v_lshl_add_u64 v[34:35], v[38:39], 0, v[46:47]
	global_load_ushort v34, v[34:35], off
	s_waitcnt vmcnt(0)
	v_lshlrev_b32_e32 v34, 16, v34
	v_sub_f32_e32 v34, v34, v36
	v_mul_f32_e32 v34, v64, v34
	v_lshrrev_b32_e32 v47, 16, v34
.LBB222_74:
	s_or_b64 exec, exec, s[6:7]
	v_lshlrev_b32_e32 v40, 8, v65
	s_and_saveexec_b64 s[6:7], vcc
	s_cbranch_execz .LBB222_76
; %bb.75:
	v_mov_b32_e32 v41, 0
	v_lshl_add_u64 v[34:35], v[38:39], 0, v[40:41]
	global_load_ushort v34, v[34:35], off
	s_waitcnt vmcnt(0)
	v_lshlrev_b32_e32 v34, 16, v34
	v_sub_f32_e32 v34, v34, v37
	v_mul_f32_e32 v34, v49, v34
	v_lshrrev_b32_e32 v66, 16, v34
.LBB222_76:
	s_or_b64 exec, exec, s[6:7]
	v_lshlrev_b32_e32 v51, 6, v48
	v_accvgpr_read_b32 v37, a11
	s_mov_b32 s6, 0x5040100
	v_or_b32_e32 v41, v51, v59
	v_accvgpr_read_b32 v36, a10
	v_accvgpr_read_b32 v35, a9
	;; [unrolled: 1-line block ×3, first 2 shown]
	v_perm_b32 v67, v66, v47, s6
	v_perm_b32 v66, v45, v43, s6
	v_lshlrev_b32_e32 v41, 1, v41
	v_mov_b32_e32 v45, 0
	v_mov_b32_e32 v43, 0
	ds_write_b64 v41, v[66:67] offset:24576
	s_and_saveexec_b64 s[6:7], s[0:1]
	s_cbranch_execz .LBB222_78
; %bb.77:
	v_mov_b32_e32 v43, 0
	v_lshl_add_u64 v[66:67], v[38:39], 0, v[42:43]
	global_load_ushort v41, v[66:67], off offset:32
	s_waitcnt vmcnt(0)
	v_lshlrev_b32_e32 v41, 16, v41
	v_sub_f32_e32 v34, v41, v34
	v_mul_f32_e32 v34, v55, v34
	v_lshrrev_b32_e32 v43, 16, v34
.LBB222_78:
	s_or_b64 exec, exec, s[6:7]
	s_and_saveexec_b64 s[6:7], s[2:3]
	s_cbranch_execz .LBB222_80
; %bb.79:
	v_mov_b32_e32 v45, 0
	v_lshl_add_u64 v[66:67], v[38:39], 0, v[44:45]
	global_load_ushort v34, v[66:67], off offset:32
	s_waitcnt vmcnt(0)
	v_lshlrev_b32_e32 v34, 16, v34
	v_sub_f32_e32 v34, v34, v35
	v_mul_f32_e32 v34, v54, v34
	v_lshrrev_b32_e32 v45, 16, v34
.LBB222_80:
	s_or_b64 exec, exec, s[6:7]
	v_mov_b32_e32 v41, 0
	v_mov_b32_e32 v47, 0
	s_and_saveexec_b64 s[6:7], s[4:5]
	s_cbranch_execz .LBB222_82
; %bb.81:
	v_mov_b32_e32 v47, 0
	v_lshl_add_u64 v[34:35], v[38:39], 0, v[46:47]
	global_load_ushort v34, v[34:35], off offset:32
	s_waitcnt vmcnt(0)
	v_lshlrev_b32_e32 v34, 16, v34
	v_sub_f32_e32 v34, v34, v36
	v_mul_f32_e32 v34, v64, v34
	v_lshrrev_b32_e32 v47, 16, v34
.LBB222_82:
	s_or_b64 exec, exec, s[6:7]
	s_and_saveexec_b64 s[6:7], vcc
	s_cbranch_execz .LBB222_84
; %bb.83:
	v_mov_b32_e32 v41, 0
	v_lshl_add_u64 v[34:35], v[38:39], 0, v[40:41]
	global_load_ushort v34, v[34:35], off offset:32
	s_waitcnt vmcnt(0)
	v_lshlrev_b32_e32 v34, 16, v34
	v_sub_f32_e32 v34, v34, v37
	v_mul_f32_e32 v34, v49, v34
	v_lshrrev_b32_e32 v41, 16, v34
.LBB222_84:
	s_or_b64 exec, exec, s[6:7]
	s_mov_b32 s6, 0x5040100
	v_accvgpr_read_b32 v37, a7
	v_perm_b32 v67, v41, v47, s6
	v_or_b32_e32 v41, v51, v57
	v_accvgpr_read_b32 v36, a6
	v_accvgpr_read_b32 v35, a5
	;; [unrolled: 1-line block ×3, first 2 shown]
	v_perm_b32 v66, v45, v43, s6
	v_lshlrev_b32_e32 v41, 1, v41
	v_mov_b32_e32 v45, 0
	v_mov_b32_e32 v43, 0
	ds_write_b64 v41, v[66:67] offset:24576
	s_and_saveexec_b64 s[6:7], s[0:1]
	s_cbranch_execz .LBB222_86
; %bb.85:
	v_mov_b32_e32 v43, 0
	v_lshl_add_u64 v[66:67], v[38:39], 0, v[42:43]
	global_load_ushort v41, v[66:67], off offset:64
	s_waitcnt vmcnt(0)
	v_lshlrev_b32_e32 v41, 16, v41
	v_sub_f32_e32 v34, v41, v34
	v_mul_f32_e32 v34, v55, v34
	v_lshrrev_b32_e32 v43, 16, v34
.LBB222_86:
	s_or_b64 exec, exec, s[6:7]
	s_and_saveexec_b64 s[6:7], s[2:3]
	s_cbranch_execz .LBB222_88
; %bb.87:
	v_mov_b32_e32 v45, 0
	v_lshl_add_u64 v[66:67], v[38:39], 0, v[44:45]
	global_load_ushort v34, v[66:67], off offset:64
	s_waitcnt vmcnt(0)
	v_lshlrev_b32_e32 v34, 16, v34
	v_sub_f32_e32 v34, v34, v35
	v_mul_f32_e32 v34, v54, v34
	v_lshrrev_b32_e32 v45, 16, v34
.LBB222_88:
	s_or_b64 exec, exec, s[6:7]
	v_mov_b32_e32 v41, 0
	v_mov_b32_e32 v47, 0
	s_and_saveexec_b64 s[6:7], s[4:5]
	s_cbranch_execz .LBB222_90
; %bb.89:
	v_mov_b32_e32 v47, 0
	v_lshl_add_u64 v[34:35], v[38:39], 0, v[46:47]
	global_load_ushort v34, v[34:35], off offset:64
	s_waitcnt vmcnt(0)
	v_lshlrev_b32_e32 v34, 16, v34
	v_sub_f32_e32 v34, v34, v36
	v_mul_f32_e32 v34, v64, v34
	v_lshrrev_b32_e32 v47, 16, v34
.LBB222_90:
	s_or_b64 exec, exec, s[6:7]
	s_and_saveexec_b64 s[6:7], vcc
	s_cbranch_execz .LBB222_92
; %bb.91:
	v_mov_b32_e32 v41, 0
	v_lshl_add_u64 v[34:35], v[38:39], 0, v[40:41]
	global_load_ushort v34, v[34:35], off offset:64
	s_waitcnt vmcnt(0)
	v_lshlrev_b32_e32 v34, 16, v34
	v_sub_f32_e32 v34, v34, v37
	v_mul_f32_e32 v34, v49, v34
	v_lshrrev_b32_e32 v41, 16, v34
.LBB222_92:
	s_or_b64 exec, exec, s[6:7]
	s_mov_b32 s6, 0x5040100
	v_accvgpr_read_b32 v37, a3
	v_perm_b32 v67, v41, v47, s6
	v_or_b32_e32 v41, v51, v56
	v_accvgpr_read_b32 v36, a2
	v_accvgpr_read_b32 v35, a1
	;; [unrolled: 1-line block ×3, first 2 shown]
	v_perm_b32 v66, v45, v43, s6
	v_lshlrev_b32_e32 v41, 1, v41
	v_mov_b32_e32 v45, 0
	v_mov_b32_e32 v43, 0
	ds_write_b64 v41, v[66:67] offset:24576
	s_and_saveexec_b64 s[6:7], s[0:1]
	s_cbranch_execz .LBB222_94
; %bb.93:
	v_mov_b32_e32 v43, 0
	v_lshl_add_u64 v[42:43], v[38:39], 0, v[42:43]
	global_load_ushort v41, v[42:43], off offset:96
	s_waitcnt vmcnt(0)
	v_lshlrev_b32_e32 v41, 16, v41
	v_sub_f32_e32 v34, v41, v34
	v_mul_f32_e32 v34, v55, v34
	v_lshrrev_b32_e32 v43, 16, v34
.LBB222_94:
	s_or_b64 exec, exec, s[6:7]
	s_and_saveexec_b64 s[0:1], s[2:3]
	s_cbranch_execz .LBB222_96
; %bb.95:
	v_mov_b32_e32 v45, 0
	v_lshl_add_u64 v[44:45], v[38:39], 0, v[44:45]
	global_load_ushort v34, v[44:45], off offset:96
	s_waitcnt vmcnt(0)
	v_lshlrev_b32_e32 v34, 16, v34
	v_sub_f32_e32 v34, v34, v35
	v_mul_f32_e32 v34, v54, v34
	v_lshrrev_b32_e32 v45, 16, v34
.LBB222_96:
	s_or_b64 exec, exec, s[0:1]
	v_mov_b32_e32 v41, 0
	v_mov_b32_e32 v44, 0
	s_and_saveexec_b64 s[0:1], s[4:5]
	s_cbranch_execz .LBB222_98
; %bb.97:
	v_mov_b32_e32 v47, 0
	v_lshl_add_u64 v[34:35], v[38:39], 0, v[46:47]
	global_load_ushort v34, v[34:35], off offset:96
	s_waitcnt vmcnt(0)
	v_lshlrev_b32_e32 v34, 16, v34
	v_sub_f32_e32 v34, v34, v36
	v_mul_f32_e32 v34, v64, v34
	v_lshrrev_b32_e32 v44, 16, v34
.LBB222_98:
	s_or_b64 exec, exec, s[0:1]
	v_or_b32_e32 v34, 0x6000, v60
	v_or_b32_e32 v35, 0x6000, v61
	;; [unrolled: 1-line block ×4, first 2 shown]
	s_and_saveexec_b64 s[0:1], vcc
	s_cbranch_execz .LBB222_100
; %bb.99:
	v_mov_b32_e32 v41, 0
	v_lshl_add_u64 v[38:39], v[38:39], 0, v[40:41]
	global_load_ushort v38, v[38:39], off offset:96
	s_waitcnt vmcnt(0)
	v_lshlrev_b32_e32 v38, 16, v38
	v_sub_f32_e32 v37, v38, v37
	v_mul_f32_e32 v37, v49, v37
	v_lshrrev_b32_e32 v41, 16, v37
.LBB222_100:
	s_or_b64 exec, exec, s[0:1]
	s_mov_b32 s0, 0x5040100
	v_or_b32_e32 v37, v51, v53
	v_perm_b32 v39, v41, v44, s0
	v_perm_b32 v38, v45, v43, s0
	v_lshlrev_b32_e32 v37, 1, v37
	ds_write_b64 v37, v[38:39] offset:24576
	v_and_b32_e32 v37, 7, v0
	v_lshlrev_b32_e32 v51, 3, v37
	v_lshlrev_b32_e32 v84, 7, v37
	v_lshrrev_b32_e32 v37, 1, v0
	s_add_i32 s0, s20, s46
	v_and_b32_e32 v37, 24, v37
	v_lshlrev_b32_e32 v49, 3, v77
	s_mul_hi_i32 s3, s0, s13
	s_mul_i32 s0, s0, s13
	v_and_b32_e32 v43, 8, v0
	s_movk_i32 s4, 0x100
	v_xor_b32_e32 v59, v49, v37
	s_add_u32 s2, s0, s33
	v_cmp_eq_u32_e32 vcc, 0, v43
	v_cmp_gt_u32_e64 s[0:1], s4, v0
	v_or_b32_e32 v0, 0x440, v59
	v_mov_b32_e32 v44, 0x400
	v_cndmask_b32_e32 v0, v0, v59, vcc
	v_cndmask_b32_e64 v43, v44, 64, vcc
	v_mov_b32_e32 v44, 0xa000
	v_mov_b32_e32 v45, 0x8000
	v_or_b32_e32 v0, v0, v58
	v_cndmask_b32_e64 v53, v44, v45, s[0:1]
	v_xor_b32_e32 v85, v0, v51
	v_add3_u32 v0, v53, v85, v84
	s_waitcnt lgkmcnt(0)
	s_barrier
	ds_read_b64 v[60:61], v0
	v_or_b32_e32 v0, 32, v37
	v_xor_b32_e32 v0, v49, v0
	v_or_b32_e32 v44, 0x440, v0
	v_cndmask_b32_e32 v0, v44, v0, vcc
	v_or_b32_e32 v0, v0, v58
	s_addc_u32 s3, s3, s14
	v_xor_b32_e32 v86, v0, v51
	s_lshl_b64 s[0:1], s[2:3], 9
	v_add3_u32 v0, v53, v86, v84
	s_add_u32 s0, s30, s0
	ds_read_b64 v[78:79], v0
	s_addc_u32 s1, s31, s1
	v_lshlrev_b32_e32 v0, 2, v48
	global_load_dwordx4 v[54:57], v0, s[0:1]
	ds_read2_b64 v[38:41], v34 offset1:16
	ds_read2_b64 v[44:47], v34 offset0:32 offset1:48
	v_or_b32_e32 v37, 0x60, v37
	v_or3_b32 v43, v58, v43, v59
	v_xor_b32_e32 v37, v49, v37
	s_waitcnt lgkmcnt(1)
	v_mfma_f32_16x16x16_bf16 a[0:3], v[60:61], v[38:39], 0
	ds_read2st64_b64 v[64:67], v35 offset0:4 offset1:8
	ds_read2st64_b64 v[68:71], v36 offset0:4 offset1:8
	;; [unrolled: 1-line block ×3, first 2 shown]
	v_mfma_f32_16x16x16_bf16 a[4:7], v[60:61], v[40:41], 0
	v_xor_b32_e32 v43, v43, v51
	v_xor_b32_e32 v48, 0x440, v37
	v_or_b32_e32 v87, v43, v84
	s_waitcnt lgkmcnt(3)
	v_mfma_f32_16x16x16_bf16 a[8:11], v[60:61], v[44:45], 0
	v_cndmask_b32_e32 v37, v48, v37, vcc
	v_or_b32_e32 v43, v53, v87
	v_or_b32_e32 v37, v37, v58
	v_mfma_f32_16x16x16_bf16 a[12:15], v[60:61], v[46:47], 0
	ds_read2st64_b64 v[60:63], v34 offset0:4 offset1:8
	ds_read_b64 v[48:49], v43
	v_xor_b32_e32 v51, v37, v51
	v_lshlrev_b32_e32 v37, 6, v77
	v_lshlrev_b32_e32 v43, 2, v52
	v_or3_b32 v37, v37, v43, s4
	s_waitcnt lgkmcnt(1)
	v_mfma_f32_16x16x16_bf16 a[0:3], v[78:79], v[60:61], a[0:3]
	v_mov_b32_e32 v0, 0x3fb8aa3b
	v_mul_f32_e32 v0, s12, v0
	v_exp_f32_e32 v0, v0
	v_mfma_f32_16x16x16_bf16 a[4:7], v[78:79], v[64:65], a[4:7]
	v_mfma_f32_16x16x16_bf16 a[8:11], v[78:79], v[68:69], a[8:11]
	;; [unrolled: 1-line block ×3, first 2 shown]
	global_load_dwordx4 v[76:79], v37, s[0:1]
	v_add3_u32 v37, v53, v51, v84
	ds_read_b64 v[52:53], v37
	s_waitcnt lgkmcnt(1)
	v_mfma_f32_16x16x16_bf16 a[0:3], v[48:49], v[62:63], a[0:3]
	ds_read_b64 v[58:59], v34 offset:6144
	ds_read_b64 v[80:81], v35 offset:6144
	ds_read_b64 v[82:83], v36 offset:6144
	ds_read_b64 v[42:43], v42 offset:6144
	v_add_u32_e32 v51, v51, v84
	s_waitcnt vmcnt(1)
	v_mul_f32_e32 v34, 0x3fb8aa3b, v54
	v_mfma_f32_16x16x16_bf16 a[4:7], v[48:49], v[66:67], a[4:7]
	v_mul_f32_e32 v35, 0x3fb8aa3b, v55
	v_exp_f32_e32 v34, v34
	v_exp_f32_e32 v35, v35
	v_mfma_f32_16x16x16_bf16 a[8:11], v[48:49], v[70:71], a[8:11]
	v_mul_f32_e32 v36, 0x3fb8aa3b, v56
	v_mul_f32_e32 v37, 0x3fb8aa3b, v57
	v_exp_f32_e32 v36, v36
	v_mfma_f32_16x16x16_bf16 a[12:15], v[48:49], v[74:75], a[12:15]
	v_add_u32_e32 v48, v85, v84
	ds_read_b64 v[48:49], v48 offset:40960
	v_exp_f32_e32 v37, v37
	s_waitcnt lgkmcnt(4)
	v_mfma_f32_16x16x16_bf16 a[0:3], v[52:53], v[58:59], a[0:3]
	v_pk_mul_f32 v[34:35], v[0:1], v[34:35] op_sel_hi:[0,1]
	v_pk_mul_f32 v[30:31], v[30:31], v[34:35]
	v_pk_mul_f32 v[36:37], v[0:1], v[36:37] op_sel_hi:[0,1]
	s_waitcnt lgkmcnt(1)
	v_mfma_f32_16x16x16_bf16 a[12:15], v[52:53], v[42:43], a[12:15]
	v_pk_mul_f32 v[32:33], v[32:33], v[36:37]
	v_pk_mul_f32 v[26:27], v[34:35], v[26:27]
	;; [unrolled: 1-line block ×3, first 2 shown]
	v_mfma_f32_16x16x16_bf16 a[4:7], v[52:53], v[80:81], a[4:7]
	v_add_u32_e32 v54, v86, v84
	ds_read_b64 v[54:55], v54 offset:40960
	ds_read_b64 v[56:57], v51 offset:40960
	v_pk_mul_f32 v[22:23], v[34:35], v[22:23]
	v_mfma_f32_16x16x16_bf16 a[8:11], v[52:53], v[82:83], a[8:11]
	v_accvgpr_read_b32 v53, a15
	v_accvgpr_read_b32 v52, a14
	v_pk_mul_f32 v[24:25], v[36:37], v[24:25]
	s_waitcnt lgkmcnt(2)
	v_mfma_f32_16x16x16_bf16 a[14:17], v[48:49], v[38:39], 0
	v_accvgpr_read_b32 v38, a0
	v_add_f32_e32 v30, v30, v38
	v_accvgpr_read_b32 v38, a1
	v_add_f32_e32 v31, v31, v38
	;; [unrolled: 2-line block ×8, first 2 shown]
	ds_read_b64 v[38:39], v87 offset:40960
	v_mfma_f32_16x16x16_bf16 a[18:21], v[48:49], v[40:41], 0
	v_accvgpr_read_b32 v40, a8
	v_add_f32_e32 v22, v22, v40
	v_accvgpr_read_b32 v40, a9
	s_waitcnt lgkmcnt(2)
	v_mfma_f32_16x16x16_bf16 a[14:17], v[54:55], v[60:61], a[14:17]
	v_add_f32_e32 v23, v23, v40
	v_accvgpr_read_b32 v40, a10
	v_add_f32_e32 v24, v24, v40
	v_accvgpr_read_b32 v40, a11
	;; [unrolled: 2-line block ×3, first 2 shown]
	v_mfma_f32_16x16x16_bf16 a[22:25], v[48:49], v[44:45], 0
	v_accvgpr_read_b32 v40, a12
	v_pk_fma_f32 v[2:3], v[34:35], v[2:3], v[40:41]
	v_pk_fma_f32 v[4:5], v[36:37], v[4:5], v[52:53]
	v_mfma_f32_16x16x16_bf16 a[4:7], v[54:55], v[64:65], a[18:21]
	s_waitcnt vmcnt(0)
	v_mov_b32_e32 v34, v77
	v_mov_b32_e32 v35, v78
	;; [unrolled: 1-line block ×3, first 2 shown]
	s_waitcnt lgkmcnt(0)
	v_mfma_f32_16x16x16_bf16 a[8:11], v[38:39], v[62:63], a[14:17]
	v_mul_f32_e32 v37, 0x3fb8aa3b, v76
	v_mul_f32_e32 v34, 0x3fb8aa3b, v34
	v_exp_f32_e32 v40, v37
	v_mfma_f32_16x16x16_bf16 a[0:3], v[48:49], v[46:47], 0
	v_exp_f32_e32 v41, v34
	v_mul_f32_e32 v34, 0x3fb8aa3b, v35
	v_mul_f32_e32 v35, 0x3fb8aa3b, v36
	v_mfma_f32_16x16x16_bf16 a[18:21], v[54:55], v[68:69], a[22:25]
	v_exp_f32_e32 v34, v34
	v_exp_f32_e32 v35, v35
	v_pk_mul_f32 v[36:37], v[0:1], v[40:41] op_sel_hi:[0,1]
	v_mfma_f32_16x16x16_bf16 a[4:7], v[38:39], v[66:67], a[4:7]
	v_pk_mul_f32 v[18:19], v[18:19], v[36:37]
	v_pk_mul_f32 v[34:35], v[0:1], v[34:35] op_sel_hi:[0,1]
	v_pk_mul_f32 v[20:21], v[20:21], v[34:35]
	v_mfma_f32_16x16x16_bf16 a[8:11], v[56:57], v[58:59], a[8:11]
	v_pk_mul_f32 v[14:15], v[36:37], v[14:15]
	v_pk_mul_f32 v[16:17], v[34:35], v[16:17]
	;; [unrolled: 1-line block ×3, first 2 shown]
	v_mfma_f32_16x16x16_bf16 a[0:3], v[54:55], v[72:73], a[0:3]
	v_pk_mul_f32 v[12:13], v[34:35], v[12:13]
	v_mfma_f32_16x16x16_bf16 a[12:15], v[38:39], v[70:71], a[18:21]
	s_nop 0
	v_accvgpr_read_b32 v0, a8
	v_add_f32_e32 v18, v18, v0
	v_accvgpr_read_b32 v0, a9
	v_mfma_f32_16x16x16_bf16 a[4:7], v[56:57], v[80:81], a[4:7]
	v_add_f32_e32 v19, v19, v0
	v_accvgpr_read_b32 v0, a10
	v_add_f32_e32 v20, v20, v0
	v_mfma_f32_16x16x16_bf16 a[0:3], v[38:39], v[74:75], a[0:3]
	v_accvgpr_read_b32 v0, a11
	v_add_f32_e32 v21, v21, v0
	v_mfma_f32_16x16x16_bf16 a[12:15], v[56:57], v[82:83], a[12:15]
	v_accvgpr_read_b32 v0, a4
	v_add_f32_e32 v14, v14, v0
	v_accvgpr_read_b32 v0, a5
	v_mfma_f32_16x16x16_bf16 a[0:3], v[56:57], v[42:43], a[0:3]
	v_add_f32_e32 v15, v15, v0
	v_accvgpr_read_b32 v0, a6
	v_add_f32_e32 v16, v16, v0
	v_accvgpr_read_b32 v0, a7
	;; [unrolled: 2-line block ×5, first 2 shown]
	v_accvgpr_read_b32 v41, a1
	v_accvgpr_read_b32 v39, a3
	;; [unrolled: 1-line block ×3, first 2 shown]
	v_add_f32_e32 v12, v12, v0
	v_accvgpr_read_b32 v0, a15
	v_accvgpr_read_b32 v40, a0
	v_add_f32_e32 v13, v13, v0
	v_pk_fma_f32 v[6:7], v[36:37], v[6:7], v[40:41]
	v_pk_fma_f32 v[8:9], v[34:35], v[8:9], v[38:39]
	v_mov_b32_e32 v34, v50
.LBB222_101:
	s_lshl_b64 s[0:1], s[24:25], 16
	s_waitcnt lgkmcnt(0)
	s_add_u32 s0, s28, s0
	v_lshlrev_b32_e32 v34, 7, v34
	s_addc_u32 s1, s29, s1
	v_ashrrev_i32_e32 v35, 31, v34
	v_lshl_add_u64 v[36:37], v[34:35], 2, s[0:1]
	v_lshlrev_b32_e32 v0, 2, v1
	v_mov_b32_e32 v1, 0
	v_lshl_add_u64 v[36:37], v[36:37], 0, v[0:1]
	global_store_dwordx4 v[36:37], v[30:33], off
	global_store_dwordx4 v[36:37], v[18:21], off offset:256
	s_nop 1
	v_or_b32_e32 v18, 0x800, v34
	v_ashrrev_i32_e32 v19, 31, v18
	v_lshl_add_u64 v[18:19], v[18:19], 2, s[0:1]
	v_lshl_add_u64 v[18:19], v[18:19], 0, v[0:1]
	global_store_dwordx4 v[18:19], v[26:29], off
	global_store_dwordx4 v[18:19], v[14:17], off offset:256
	s_nop 1
	v_or_b32_e32 v14, 0x1000, v34
	v_ashrrev_i32_e32 v15, 31, v14
	v_lshl_add_u64 v[14:15], v[14:15], 2, s[0:1]
	;; [unrolled: 7-line block ×3, first 2 shown]
	v_lshl_add_u64 v[0:1], v[10:11], 0, v[0:1]
	global_store_dwordx4 v[0:1], v[2:5], off
	global_store_dwordx4 v[0:1], v[6:9], off offset:256
	s_endpgm
	.section	.rodata,"a",@progbits
	.p2align	6, 0x0
	.amdhsa_kernel _ZN12_GLOBAL__N_139chunk_gated_delta_rule_fwd_h_hip_kernelILi64ELb0ELb1ELb0ELb0ELb0ELb1ELb0ELb0EEEvPK12hip_bfloat16S3_S3_PKfS5_PKvPS1_S8_PvPKiSB_iiiiilll
		.amdhsa_group_segment_fixed_size 65536
		.amdhsa_private_segment_fixed_size 0
		.amdhsa_kernarg_size 136
		.amdhsa_user_sgpr_count 2
		.amdhsa_user_sgpr_dispatch_ptr 0
		.amdhsa_user_sgpr_queue_ptr 0
		.amdhsa_user_sgpr_kernarg_segment_ptr 1
		.amdhsa_user_sgpr_dispatch_id 0
		.amdhsa_user_sgpr_kernarg_preload_length 0
		.amdhsa_user_sgpr_kernarg_preload_offset 0
		.amdhsa_user_sgpr_private_segment_size 0
		.amdhsa_uses_dynamic_stack 0
		.amdhsa_enable_private_segment 0
		.amdhsa_system_sgpr_workgroup_id_x 1
		.amdhsa_system_sgpr_workgroup_id_y 1
		.amdhsa_system_sgpr_workgroup_id_z 0
		.amdhsa_system_sgpr_workgroup_info 0
		.amdhsa_system_vgpr_workitem_id 0
		.amdhsa_next_free_vgpr 232
		.amdhsa_next_free_sgpr 68
		.amdhsa_accum_offset 192
		.amdhsa_reserve_vcc 1
		.amdhsa_float_round_mode_32 0
		.amdhsa_float_round_mode_16_64 0
		.amdhsa_float_denorm_mode_32 3
		.amdhsa_float_denorm_mode_16_64 3
		.amdhsa_dx10_clamp 1
		.amdhsa_ieee_mode 1
		.amdhsa_fp16_overflow 0
		.amdhsa_tg_split 0
		.amdhsa_exception_fp_ieee_invalid_op 0
		.amdhsa_exception_fp_denorm_src 0
		.amdhsa_exception_fp_ieee_div_zero 0
		.amdhsa_exception_fp_ieee_overflow 0
		.amdhsa_exception_fp_ieee_underflow 0
		.amdhsa_exception_fp_ieee_inexact 0
		.amdhsa_exception_int_div_zero 0
	.end_amdhsa_kernel
	.section	.text._ZN12_GLOBAL__N_139chunk_gated_delta_rule_fwd_h_hip_kernelILi64ELb0ELb1ELb0ELb0ELb0ELb1ELb0ELb0EEEvPK12hip_bfloat16S3_S3_PKfS5_PKvPS1_S8_PvPKiSB_iiiiilll,"axG",@progbits,_ZN12_GLOBAL__N_139chunk_gated_delta_rule_fwd_h_hip_kernelILi64ELb0ELb1ELb0ELb0ELb0ELb1ELb0ELb0EEEvPK12hip_bfloat16S3_S3_PKfS5_PKvPS1_S8_PvPKiSB_iiiiilll,comdat
.Lfunc_end222:
	.size	_ZN12_GLOBAL__N_139chunk_gated_delta_rule_fwd_h_hip_kernelILi64ELb0ELb1ELb0ELb0ELb0ELb1ELb0ELb0EEEvPK12hip_bfloat16S3_S3_PKfS5_PKvPS1_S8_PvPKiSB_iiiiilll, .Lfunc_end222-_ZN12_GLOBAL__N_139chunk_gated_delta_rule_fwd_h_hip_kernelILi64ELb0ELb1ELb0ELb0ELb0ELb1ELb0ELb0EEEvPK12hip_bfloat16S3_S3_PKfS5_PKvPS1_S8_PvPKiSB_iiiiilll
                                        ; -- End function
	.section	.AMDGPU.csdata,"",@progbits
; Kernel info:
; codeLenInByte = 12800
; NumSgprs: 74
; NumVgprs: 190
; NumAgprs: 40
; TotalNumVgprs: 232
; ScratchSize: 0
; MemoryBound: 0
; FloatMode: 240
; IeeeMode: 1
; LDSByteSize: 65536 bytes/workgroup (compile time only)
; SGPRBlocks: 9
; VGPRBlocks: 28
; NumSGPRsForWavesPerEU: 74
; NumVGPRsForWavesPerEU: 232
; AccumOffset: 192
; Occupancy: 1
; WaveLimiterHint : 1
; COMPUTE_PGM_RSRC2:SCRATCH_EN: 0
; COMPUTE_PGM_RSRC2:USER_SGPR: 2
; COMPUTE_PGM_RSRC2:TRAP_HANDLER: 0
; COMPUTE_PGM_RSRC2:TGID_X_EN: 1
; COMPUTE_PGM_RSRC2:TGID_Y_EN: 1
; COMPUTE_PGM_RSRC2:TGID_Z_EN: 0
; COMPUTE_PGM_RSRC2:TIDIG_COMP_CNT: 0
; COMPUTE_PGM_RSRC3_GFX90A:ACCUM_OFFSET: 47
; COMPUTE_PGM_RSRC3_GFX90A:TG_SPLIT: 0
	.section	.text._ZN12_GLOBAL__N_139chunk_gated_delta_rule_fwd_h_hip_kernelILi64ELb0ELb0ELb1ELb0ELb0ELb1ELb0ELb0EEEvPK12hip_bfloat16S3_S3_PKfS5_PKvPS1_S8_PvPKiSB_iiiiilll,"axG",@progbits,_ZN12_GLOBAL__N_139chunk_gated_delta_rule_fwd_h_hip_kernelILi64ELb0ELb0ELb1ELb0ELb0ELb1ELb0ELb0EEEvPK12hip_bfloat16S3_S3_PKfS5_PKvPS1_S8_PvPKiSB_iiiiilll,comdat
	.globl	_ZN12_GLOBAL__N_139chunk_gated_delta_rule_fwd_h_hip_kernelILi64ELb0ELb0ELb1ELb0ELb0ELb1ELb0ELb0EEEvPK12hip_bfloat16S3_S3_PKfS5_PKvPS1_S8_PvPKiSB_iiiiilll ; -- Begin function _ZN12_GLOBAL__N_139chunk_gated_delta_rule_fwd_h_hip_kernelILi64ELb0ELb0ELb1ELb0ELb0ELb1ELb0ELb0EEEvPK12hip_bfloat16S3_S3_PKfS5_PKvPS1_S8_PvPKiSB_iiiiilll
	.p2align	8
	.type	_ZN12_GLOBAL__N_139chunk_gated_delta_rule_fwd_h_hip_kernelILi64ELb0ELb0ELb1ELb0ELb0ELb1ELb0ELb0EEEvPK12hip_bfloat16S3_S3_PKfS5_PKvPS1_S8_PvPKiSB_iiiiilll,@function
_ZN12_GLOBAL__N_139chunk_gated_delta_rule_fwd_h_hip_kernelILi64ELb0ELb0ELb1ELb0ELb0ELb1ELb0ELb0EEEvPK12hip_bfloat16S3_S3_PKfS5_PKvPS1_S8_PvPKiSB_iiiiilll: ; @_ZN12_GLOBAL__N_139chunk_gated_delta_rule_fwd_h_hip_kernelILi64ELb0ELb0ELb1ELb0ELb0ELb1ELb0ELb0EEEvPK12hip_bfloat16S3_S3_PKfS5_PKvPS1_S8_PvPKiSB_iiiiilll
; %bb.0:
	s_load_dwordx4 s[16:19], s[0:1], 0x5c
	s_load_dwordx4 s[12:15], s[0:1], 0x30
	s_abs_i32 s22, s3
	s_ashr_i32 s21, s3, 31
	s_load_dwordx8 s[4:11], s[0:1], 0x0
	s_waitcnt lgkmcnt(0)
	s_abs_i32 s20, s17
	v_cvt_f32_u32_e32 v1, s20
	s_sub_i32 s24, 0, s20
	s_ashr_i32 s23, s17, 31
	s_xor_b32 s21, s21, s23
	v_rcp_iflag_f32_e32 v1, v1
	v_lshrrev_b32_e32 v87, 6, v0
	v_bfe_u32 v88, v0, 4, 2
	v_lshlrev_b32_e32 v2, 2, v88
	v_mul_f32_e32 v1, 0x4f7ffffe, v1
	v_cvt_u32_f32_e32 v1, v1
	v_and_b32_e32 v86, 63, v0
	v_mov_b32_e32 v47, 0
	v_and_b32_e32 v45, 15, v0
	v_readfirstlane_b32 s25, v1
	s_mul_i32 s24, s24, s25
	s_mul_hi_u32 s24, s25, s24
	s_add_i32 s25, s25, s24
	s_mul_hi_u32 s24, s22, s25
	s_mul_i32 s25, s24, s20
	s_sub_i32 s22, s22, s25
	s_add_i32 s26, s24, 1
	s_sub_i32 s25, s22, s20
	s_cmp_ge_u32 s22, s20
	s_cselect_b32 s24, s26, s24
	s_cselect_b32 s22, s25, s22
	s_add_i32 s25, s24, 1
	s_cmp_ge_u32 s22, s20
	s_cselect_b32 s22, s25, s24
	s_abs_i32 s24, s18
	v_cvt_f32_u32_e32 v1, s24
	s_xor_b32 s22, s22, s21
	s_ashr_i32 s48, s16, 31
	s_sub_i32 s50, s22, s21
	v_rcp_iflag_f32_e32 v1, v1
	s_lshr_b32 s21, s48, 26
	s_add_i32 s21, s16, s21
	s_ashr_i32 s51, s18, 31
	v_mul_f32_e32 v1, 0x4f7ffffe, v1
	v_cvt_u32_f32_e32 v1, v1
	s_ashr_i32 s49, s21, 6
	s_xor_b32 s21, s23, s51
	s_sub_i32 s22, 0, s24
	v_readfirstlane_b32 s23, v1
	s_mul_i32 s22, s22, s23
	s_mul_hi_u32 s22, s23, s22
	s_add_i32 s23, s23, s22
	s_mul_hi_u32 s22, s20, s23
	s_mul_i32 s23, s22, s24
	s_mul_i32 s47, s50, s17
	s_sub_i32 s20, s20, s23
	s_sub_i32 s33, s3, s47
	s_add_i32 s3, s16, 63
	s_add_i32 s23, s22, 1
	s_sub_i32 s25, s20, s24
	s_cmp_ge_u32 s20, s24
	s_cselect_b32 s22, s23, s22
	s_cselect_b32 s20, s25, s20
	s_add_i32 s23, s22, 1
	s_cmp_ge_u32 s20, s24
	s_cselect_b32 s20, s23, s22
	s_xor_b32 s20, s20, s21
	s_sub_i32 s24, s20, s21
	s_abs_i32 s25, s24
	v_cvt_f32_u32_e32 v1, s25
	s_sub_i32 s27, 0, s25
	s_abs_i32 s26, s33
	s_xor_b32 s24, s33, s24
	v_rcp_iflag_f32_e32 v1, v1
	s_ashr_i32 s24, s24, 31
	s_load_dwordx2 s[34:35], s[0:1], 0x80
	s_load_dwordx4 s[20:23], s[0:1], 0x70
	s_mul_hi_i32 s53, s50, s17
	v_mul_f32_e32 v1, 0x4f7ffffe, v1
	v_cvt_u32_f32_e32 v1, v1
	v_lshrrev_b32_e32 v90, 3, v86
	v_lshlrev_b32_e32 v89, 3, v0
	s_waitcnt lgkmcnt(0)
	s_mul_i32 s21, s50, s21
	v_readfirstlane_b32 s28, v1
	s_mul_i32 s27, s27, s28
	s_mul_hi_u32 s27, s28, s27
	s_add_i32 s28, s28, s27
	s_mul_hi_u32 s27, s26, s28
	s_mul_i32 s28, s27, s25
	s_sub_i32 s26, s26, s28
	s_add_i32 s28, s27, 1
	s_sub_i32 s29, s26, s25
	s_cmp_ge_u32 s26, s25
	s_cselect_b32 s27, s28, s27
	s_cselect_b32 s26, s29, s26
	s_add_i32 s28, s27, 1
	s_cmp_ge_u32 s26, s25
	s_cselect_b32 s25, s28, s27
	s_xor_b32 s25, s25, s24
	s_sub_i32 s54, s25, s24
	s_ashr_i32 s24, s3, 31
	s_lshr_b32 s24, s24, 26
	v_lshlrev_b32_e32 v1, 4, v87
	s_add_i32 s3, s3, s24
	v_or_b32_e32 v91, v2, v1
	s_ashr_i32 s3, s3, 6
	s_lshl_b32 s36, s2, 6
	s_mul_i32 s52, s50, s3
	v_or_b32_e32 v92, 64, v91
	s_cmp_lt_i32 s16, 64
	s_mul_hi_u32 s46, s50, s20
	s_mul_i32 s38, s50, s20
	v_mov_b32_e32 v46, v47
	v_mov_b32_e32 v53, v47
	;; [unrolled: 1-line block ×31, first 2 shown]
	s_cbranch_scc1 .LBB223_18
; %bb.1:
	s_ashr_i32 s28, s50, 31
	s_ashr_i32 s56, s33, 31
	s_add_u32 s2, s47, s33
	s_addc_u32 s3, s53, s56
	s_mul_i32 s3, s16, s3
	s_mul_hi_u32 s24, s16, s2
	s_add_i32 s41, s24, s3
	s_mul_i32 s40, s16, s2
	s_lshl_b64 s[2:3], s[40:41], 8
	v_and_b32_e32 v94, 56, v89
	s_add_u32 s24, s6, s2
	v_lshl_or_b32 v93, v87, 3, v90
	v_lshlrev_b32_e32 v3, 1, v94
	s_addc_u32 s2, s7, s3
	v_lshl_or_b32 v95, v93, 8, v3
	s_and_b32 s25, s2, 0xffff
	s_mov_b32 s27, 0x20000
	s_movk_i32 s26, 0x4000
	s_movk_i32 s2, 0x80
	v_or_b32_e32 v96, 0x2000, v95
	buffer_load_dwordx4 v[4:7], v95, s[24:27], 0 offen
	buffer_load_dwordx4 v[8:11], v95, s[24:27], s2 offen
	;; [unrolled: 1-line block ×4, first 2 shown]
	v_lshlrev_b32_e32 v20, 3, v93
	v_and_or_b32 v22, v0, 7, v20
	v_and_b32_e32 v20, 0x78, v20
	v_lshlrev_b32_e32 v22, 4, v22
	v_xor_b32_e32 v97, v22, v20
	v_mul_lo_u32 v21, v93, s19
	v_or_b32_e32 v98, 0x1000, v97
	s_cmpk_eq_i32 s19, 0x80
	s_mov_b32 s55, s18
	v_xor_b32_e32 v20, 8, v97
	v_xor_b32_e32 v22, 8, v98
	s_cselect_b64 s[2:3], -1, 0
	s_cmpk_lg_i32 s19, 0x80
	s_waitcnt vmcnt(3)
	ds_write_b64 v97, v[4:5] offset:49152
	ds_write_b64 v20, v[6:7] offset:49152
	s_waitcnt vmcnt(2)
	ds_write_b64 v97, v[8:9] offset:57344
	ds_write_b64 v20, v[10:11] offset:57344
	;; [unrolled: 3-line block ×4, first 2 shown]
	v_lshl_add_u32 v4, v21, 1, v94
	s_cbranch_scc0 .LBB223_3
; %bb.2:
	v_lshlrev_b32_e32 v6, 1, v4
	v_add_lshl_u32 v5, v4, s19, 1
	s_lshl_b32 s26, s19, 7
	s_load_dwordx2 s[42:43], s[0:1], 0x20
	v_lshl_or_b32 v3, v93, 9, v3
	s_cbranch_execz .LBB223_4
	s_branch .LBB223_5
.LBB223_3:
                                        ; implicit-def: $vgpr5
                                        ; implicit-def: $vgpr6
                                        ; implicit-def: $sgpr26
	s_load_dwordx2 s[42:43], s[0:1], 0x20
	v_lshl_or_b32 v3, v93, 9, v3
.LBB223_4:
	v_or_b32_e32 v5, 0x100, v3
	s_movk_i32 s26, 0x4000
	v_mov_b32_e32 v6, v3
.LBB223_5:
	s_mul_hi_u32 s0, s18, s16
	s_mul_i32 s1, s51, s16
	s_add_i32 s0, s0, s1
	s_mul_i32 s1, s18, s16
	s_mul_i32 s24, s1, s28
	s_mul_hi_u32 s25, s1, s50
	s_add_i32 s24, s25, s24
	s_mul_i32 s0, s0, s50
	s_add_i32 s24, s24, s0
	s_mul_i32 s1, s1, s50
	s_ashr_i32 s57, s54, 31
	s_add_u32 s0, s1, s54
	s_addc_u32 s1, s24, s57
	s_lshl_b64 s[0:1], s[0:1], 8
	s_add_u32 s24, s4, s0
	s_addc_u32 s0, s5, s1
	s_and_b32 s25, s0, 0xffff
	s_movk_i32 s58, 0x80
	buffer_load_dwordx4 v[8:11], v6, s[24:27], 0 offen
	buffer_load_dwordx4 v[12:15], v6, s[24:27], s58 offen
	;; [unrolled: 1-line block ×4, first 2 shown]
	v_and_b32_e32 v5, 6, v0
	v_lshlrev_b32_e32 v6, 7, v91
	v_xor_b32_e32 v27, v93, v5
	v_and_b32_e32 v7, 1, v0
	v_lshl_or_b32 v30, v45, 3, v6
	v_lshlrev_b32_e32 v27, 2, v27
	v_or_b32_e32 v99, 0x4000, v30
	v_or_b32_e32 v100, 0x6000, v30
	v_xor_b32_e32 v30, 0x440, v27
	v_cmp_eq_u32_e32 vcc, 0, v7
	v_lshlrev_b32_e32 v24, 2, v45
	s_mov_b32 s61, 0x1000504
	v_cndmask_b32_e32 v7, v30, v27, vcc
	v_xor_b32_e32 v28, v91, v24
	v_xor_b32_e32 v29, v92, v24
	v_lshl_or_b32 v5, v5, 10, v7
	s_mov_b32 s62, 0x3020706
	s_mul_i32 s0, s28, s16
	s_mul_hi_u32 s1, s50, s16
	v_lshlrev_b32_e32 v25, 8, v45
	v_or_b32_e32 v26, 16, v45
	v_lshlrev_b32_e32 v28, 1, v28
	v_lshlrev_b32_e32 v29, 1, v29
	v_xor_b32_e32 v7, 8, v5
	v_xor_b32_e32 v27, 24, v5
	;; [unrolled: 1-line block ×4, first 2 shown]
	v_or_b32_e32 v102, v25, v28
	v_or_b32_e32 v103, v25, v29
	v_xor_b32_e32 v25, 16, v5
	v_xor_b32_e32 v30, 32, v5
	;; [unrolled: 1-line block ×3, first 2 shown]
	v_add_u32_e32 v7, 0x80, v7
	v_add_u32_e32 v27, 0x80, v27
	;; [unrolled: 1-line block ×4, first 2 shown]
	s_add_i32 s63, s1, s0
	s_add_i32 s0, s46, s21
	s_mul_i32 s28, s28, s20
	s_add_i32 s39, s0, s28
	s_mul_i32 s0, s33, s23
	s_mul_hi_u32 s1, s33, s22
	s_add_i32 s0, s1, s0
	s_mul_i32 s1, s56, s22
	s_add_i32 s1, s0, s1
	s_lshl_b64 s[24:25], s[38:39], 2
	s_mul_i32 s0, s33, s22
	s_add_u32 s24, s10, s24
	s_addc_u32 s25, s11, s25
	s_lshl_b64 s[0:1], s[0:1], 2
	s_add_u32 s44, s24, s0
	s_movk_i32 s0, 0xf8
	s_addc_u32 s45, s25, s1
	s_ashr_i32 s37, s36, 31
	s_lshl_b32 s30, s19, 7
	v_mov_b32_e32 v79, 0
	s_movk_i32 s24, 0x100
	v_lshlrev_b32_e32 v78, 4, v45
	s_mul_i32 s59, s50, s16
	v_lshl_or_b32 v31, v26, 3, v6
	s_mov_b32 s60, 0
	v_or_b32_e32 v101, 0x4000, v31
	s_movk_i32 s26, 0x4000
	v_or_b32_e32 v104, 0x6000, v31
	v_add_u32_e32 v136, v1, v2
	s_mov_b32 s39, 0x7060302
	s_movk_i32 s64, 0x2000
	s_movk_i32 s65, 0x3000
	v_mov_b32_e32 v146, 0x3fb8aa3b
	s_mov_b32 s67, 0
	v_mov_b32_e32 v70, v79
	v_mov_b32_e32 v71, v79
	;; [unrolled: 1-line block ×8, first 2 shown]
	s_waitcnt vmcnt(1)
	v_perm_b32 v35, v8, v16, s61
	s_waitcnt vmcnt(0)
	v_perm_b32 v36, v12, v20, s61
	v_perm_b32 v8, v8, v16, s62
	v_perm_b32 v12, v12, v20, s62
	v_perm_b32 v16, v9, v17, s61
	v_perm_b32 v20, v13, v21, s61
	v_perm_b32 v9, v9, v17, s62
	v_perm_b32 v13, v13, v21, s62
	v_perm_b32 v17, v10, v18, s61
	v_perm_b32 v21, v14, v22, s61
	v_perm_b32 v10, v10, v18, s62
	v_perm_b32 v14, v14, v22, s62
	v_perm_b32 v18, v11, v19, s61
	v_perm_b32 v22, v15, v23, s61
	v_perm_b32 v11, v11, v19, s62
	v_perm_b32 v15, v15, v23, s62
	ds_write2st64_b32 v5, v35, v36 offset0:128 offset1:160
	ds_write2st64_b32 v7, v8, v12 offset0:128 offset1:160
	;; [unrolled: 1-line block ×8, first 2 shown]
	v_lshlrev_b32_e32 v5, 8, v26
	v_or_b32_e32 v105, v5, v28
	v_or_b32_e32 v106, v5, v29
	v_or_b32_e32 v5, 32, v45
	v_lshl_or_b32 v7, v5, 3, v6
	v_lshlrev_b32_e32 v5, 8, v5
	v_or_b32_e32 v109, v5, v28
	v_or_b32_e32 v110, v5, v29
	;; [unrolled: 1-line block ×5, first 2 shown]
	v_lshl_or_b32 v7, v5, 3, v6
	v_lshlrev_b32_e32 v5, 8, v5
	v_or_b32_e32 v113, v5, v28
	v_or_b32_e32 v114, v5, v29
	;; [unrolled: 1-line block ×3, first 2 shown]
	v_lshlrev_b32_e32 v5, 3, v5
	v_lshrrev_b32_e32 v9, 5, v86
	v_and_or_b32 v9, v5, s0, v9
	v_lshlrev_b32_e32 v9, 4, v9
	v_lshlrev_b32_e32 v11, 11, v87
	v_and_b32_e32 v5, 0x78, v5
	v_or_b32_e32 v14, 32, v9
	v_and_b32_e32 v8, 0x1000, v11
	v_xor_b32_e32 v10, v9, v5
	v_lshrrev_b32_e32 v12, 1, v86
	v_xor_b32_e32 v14, v14, v5
	v_or_b32_e32 v10, v10, v8
	v_and_b32_e32 v12, 8, v12
	v_or_b32_e32 v14, v14, v8
	v_xor_b32_e32 v115, v10, v12
	v_lshlrev_b32_e32 v10, 8, v88
	v_xor_b32_e32 v117, v14, v12
	v_or_b32_e32 v14, 64, v9
	v_or_b32_e32 v9, 0x60, v9
	;; [unrolled: 1-line block ×3, first 2 shown]
	v_xor_b32_e32 v14, v14, v5
	v_xor_b32_e32 v5, v9, v5
	v_lshlrev_b32_e32 v13, 1, v13
	v_or_b32_e32 v14, v14, v8
	v_or_b32_e32 v5, v5, v8
	s_lshl_b64 s[0:1], s[36:37], 8
	v_or_b32_e32 v116, 0x4000, v13
	v_or_b32_e32 v118, 0x4080, v13
	;; [unrolled: 1-line block ×4, first 2 shown]
	v_xor_b32_e32 v121, v14, v12
	v_xor_b32_e32 v122, v5, v12
	v_or_b32_e32 v123, 0x6000, v13
	v_or_b32_e32 v124, 0x6080, v13
	;; [unrolled: 1-line block ×4, first 2 shown]
	v_lshlrev_b32_e32 v12, 1, v4
	v_add_lshl_u32 v13, v4, s19, 1
	s_add_u32 s0, s12, s0
	v_lshlrev_b32_e32 v4, 1, v45
	v_lshrrev_b32_e32 v15, 4, v0
	s_addc_u32 s1, s13, s1
	v_or_b32_e32 v5, 1, v4
	v_lshlrev_b32_e32 v18, 2, v0
	v_or_b32_e32 v14, 0x100, v3
	v_xor_b32_e32 v16, v15, v4
	v_xor_b32_e32 v17, v5, v15
	v_lshl_add_u64 v[4:5], s[0:1], 0, v[78:79]
	v_lshlrev_b32_e32 v78, 8, v15
	v_lshrrev_b32_e32 v19, 1, v0
	v_and_or_b32 v10, v18, 60, v10
	v_cndmask_b32_e64 v133, v12, v3, s[2:3]
	v_mov_b32_e32 v3, 0xa000
	v_mov_b32_e32 v12, 0x8000
	v_cmp_gt_u32_e64 s[0:1], s24, v0
	v_lshl_or_b32 v127, v16, 3, v78
	v_and_b32_e32 v16, 8, v0
	v_and_b32_e32 v19, 24, v19
	v_lshlrev_b32_e32 v10, 1, v10
	v_cndmask_b32_e64 v3, v3, v12, s[0:1]
	v_lshlrev_b32_e32 v12, 3, v87
	v_or_b32_e32 v129, 0x6000, v10
	v_or_b32_e32 v130, 0x6080, v10
	;; [unrolled: 1-line block ×4, first 2 shown]
	v_mov_b32_e32 v10, 0x400
	v_cmp_eq_u32_e32 vcc, 0, v16
	v_cndmask_b32_e64 v134, v13, v14, s[2:3]
	v_xor_b32_e32 v13, v12, v19
	v_and_b32_e32 v15, 7, v0
	v_cndmask_b32_e64 v16, v10, 64, vcc
	v_or_b32_e32 v14, 0x440, v13
	v_lshl_or_b32 v128, v17, 3, v78
	v_lshlrev_b32_e32 v17, 3, v15
	v_or_b32_e32 v18, 32, v19
	v_or_b32_e32 v20, 0x60, v19
	v_cndmask_b32_e32 v14, v14, v13, vcc
	v_or3_b32 v13, v11, v16, v13
	v_lshlrev_b32_e32 v15, 7, v15
	v_xor_b32_e32 v18, v12, v18
	v_xor_b32_e32 v13, v13, v17
	;; [unrolled: 1-line block ×3, first 2 shown]
	v_or_b32_e32 v21, 0x440, v18
	v_or_b32_e32 v135, v13, v15
	v_xor_b32_e32 v13, 0x440, v12
	v_cndmask_b32_e32 v18, v21, v18, vcc
	v_cndmask_b32_e32 v12, v13, v12, vcc
	v_or_b32_e32 v111, 0x4000, v7
	v_or_b32_e32 v112, 0x6000, v7
	v_lshrrev_b32_e32 v7, 2, v86
	v_or_b32_e32 v8, s36, v45
	v_or_b32_e32 v14, v14, v11
	;; [unrolled: 1-line block ×4, first 2 shown]
	v_and_b32_e32 v7, 12, v7
	v_ashrrev_i32_e32 v9, 31, v8
	v_xor_b32_e32 v14, v14, v17
	v_xor_b32_e32 v18, v18, v17
	;; [unrolled: 1-line block ×3, first 2 shown]
	v_or_b32_e32 v10, v1, v7
	v_add_u32_e32 v19, v3, v14
	v_add_u32_e32 v21, v3, v18
	;; [unrolled: 1-line block ×3, first 2 shown]
	v_or3_b32 v12, v1, v7, 64
	v_add_u32_e32 v7, 0xa000, v14
	v_add_u32_e32 v14, 0xa000, v18
	;; [unrolled: 1-line block ×3, first 2 shown]
	v_lshlrev_b64 v[8:9], 1, v[8:9]
	v_lshl_add_u64 v[80:81], s[8:9], 0, v[8:9]
	v_lshl_add_u64 v[82:83], s[14:15], 0, v[8:9]
	;; [unrolled: 1-line block ×3, first 2 shown]
	s_add_i32 s37, s59, 63
	v_lshlrev_b32_e32 v78, 1, v6
	v_lshlrev_b32_e32 v137, 2, v10
	v_add_u32_e32 v138, v19, v15
	v_add_u32_e32 v139, v21, v15
	v_add_u32_e32 v140, v3, v135
	v_add_u32_e32 v141, v13, v15
	v_lshlrev_b32_e32 v142, 2, v12
	v_add_u32_e32 v143, v7, v15
	v_add_u32_e32 v144, v14, v15
	;; [unrolled: 1-line block ×3, first 2 shown]
	v_mov_b32_e32 v62, v79
	v_mov_b32_e32 v63, v79
	;; [unrolled: 1-line block ×24, first 2 shown]
	s_waitcnt lgkmcnt(0)
	s_barrier
.LBB223_6:                              ; =>This Inner Loop Header: Depth=1
	s_add_i32 s66, s67, 1
	s_cmp_lt_i32 s66, s49
	s_mov_b64 s[28:29], 0
	s_cselect_b64 s[2:3], -1, 0
	s_cmp_ge_i32 s66, s49
	s_mov_b64 s[24:25], 0
	s_cbranch_scc1 .LBB223_8
; %bb.7:                                ;   in Loop: Header=BB223_6 Depth=1
	s_add_i32 s0, s60, 64
	s_add_u32 s0, s40, s0
	s_addc_u32 s1, s41, 0
	s_lshl_b64 s[0:1], s[0:1], 8
	s_add_u32 s24, s6, s0
	s_addc_u32 s25, s7, s1
.LBB223_8:                              ;   in Loop: Header=BB223_6 Depth=1
	v_cndmask_b32_e64 v2, 0, 1, s[2:3]
	v_cmp_ne_u32_e64 s[0:1], 1, v2
	s_andn2_b64 vcc, exec, s[2:3]
	s_cbranch_vccnz .LBB223_10
; %bb.9:                                ;   in Loop: Header=BB223_6 Depth=1
	s_add_i32 s2, s60, 64
	s_add_u32 s2, s59, s2
	s_addc_u32 s3, s63, 0
	s_mul_i32 s28, s2, s51
	s_mul_hi_u32 s29, s2, s55
	s_add_i32 s28, s29, s28
	s_mul_i32 s3, s3, s55
	s_add_i32 s28, s28, s3
	s_mul_i32 s2, s2, s55
	s_add_u32 s2, s2, s54
	s_addc_u32 s3, s28, s57
	s_lshl_b64 s[2:3], s[2:3], 8
	s_add_u32 s28, s4, s2
	s_addc_u32 s29, s5, s3
.LBB223_10:                             ;   in Loop: Header=BB223_6 Depth=1
	v_perm_b32 v3, v77, v76, s39
	v_perm_b32 v2, v75, v74, s39
	v_perm_b32 v5, v73, v72, s39
	v_perm_b32 v4, v71, v70, s39
	ds_write_b64 v99, v[2:3]
	ds_write_b64 v100, v[4:5]
	ds_write_b64 v102, v[2:3]
	ds_write_b64 v103, v[4:5]
	v_perm_b32 v3, v69, v68, s39
	v_perm_b32 v2, v67, v66, s39
	v_perm_b32 v5, v65, v64, s39
	v_perm_b32 v4, v63, v62, s39
	ds_write_b64 v101, v[2:3]
	ds_write_b64 v104, v[4:5]
	ds_write_b64 v105, v[2:3]
	ds_write_b64 v106, v[4:5]
	;; [unrolled: 8-line block ×4, first 2 shown]
	s_waitcnt lgkmcnt(0)
	s_barrier
	ds_read_b64 v[6:7], v115 offset:49152
	ds_read2_b64 v[2:5], v116 offset1:16
	ds_read_b64 v[18:19], v118 offset:6144
	ds_read_b64 v[20:21], v116 offset:6144
	s_waitcnt lgkmcnt(2)
	v_mfma_f32_16x16x16_bf16 a[0:3], v[6:7], v[2:3], 0
	ds_read_b64 v[22:23], v117 offset:49152
	ds_read2st64_b64 v[10:13], v119 offset0:4 offset1:8
	ds_read2st64_b64 v[14:17], v120 offset0:4 offset1:8
	v_mfma_f32_16x16x16_bf16 a[4:7], v[6:7], v[4:5], 0
	ds_read2_b64 v[2:5], v116 offset0:32 offset1:48
	s_add_i32 s2, s60, 63
	s_mul_i32 s3, s2, s35
	s_waitcnt lgkmcnt(0)
	v_mfma_f32_16x16x16_bf16 a[8:11], v[6:7], v[2:3], 0
	s_mul_hi_u32 s31, s2, s34
	s_add_i32 s3, s31, s3
	s_mul_i32 s2, s2, s34
	v_mfma_f32_16x16x16_bf16 a[12:15], v[6:7], v[4:5], 0
	ds_read2st64_b64 v[2:5], v116 offset0:4 offset1:8
	ds_read2st64_b64 v[6:9], v118 offset0:4 offset1:8
	s_lshl_b64 s[2:3], s[2:3], 2
	s_waitcnt lgkmcnt(1)
	v_mfma_f32_16x16x16_bf16 a[0:3], v[22:23], v[2:3], a[0:3]
	s_add_u32 s2, s44, s2
	s_addc_u32 s3, s45, s3
	s_and_b64 vcc, exec, s[0:1]
	s_waitcnt lgkmcnt(0)
	v_mfma_f32_16x16x16_bf16 a[4:7], v[22:23], v[6:7], a[4:7]
	v_mov_b32_e32 v149, 0
	v_mov_b32_e32 v148, 0
	;; [unrolled: 1-line block ×3, first 2 shown]
	v_mfma_f32_16x16x16_bf16 a[8:11], v[22:23], v[10:11], a[8:11]
	ds_read_b64 v[2:3], v121 offset:49152
	ds_read_b64 v[6:7], v122 offset:49152
	;; [unrolled: 1-line block ×3, first 2 shown]
	v_mfma_f32_16x16x16_bf16 a[12:15], v[22:23], v[14:15], a[12:15]
	v_mov_b32_e32 v14, 0
	v_mov_b32_e32 v15, 0
	s_waitcnt lgkmcnt(2)
	v_mfma_f32_16x16x16_bf16 a[0:3], v[2:3], v[4:5], a[0:3]
	v_mov_b32_e32 v4, 0
	v_mov_b32_e32 v5, 0
	v_mfma_f32_16x16x16_bf16 a[4:7], v[2:3], v[8:9], a[4:7]
	v_mov_b32_e32 v8, 0
	v_mov_b32_e32 v9, 0
	;; [unrolled: 3-line block ×3, first 2 shown]
	v_mfma_f32_16x16x16_bf16 a[12:15], v[2:3], v[16:17], a[12:15]
	ds_read_b64 v[2:3], v119 offset:6144
	v_mov_b32_e32 v16, 0
	v_mov_b32_e32 v17, 0
	s_waitcnt lgkmcnt(2)
	v_mfma_f32_16x16x16_bf16 a[0:3], v[6:7], v[20:21], a[0:3]
	v_mfma_f32_16x16x16_bf16 a[4:7], v[6:7], v[18:19], a[4:7]
	s_waitcnt lgkmcnt(0)
	v_mfma_f32_16x16x16_bf16 a[8:11], v[6:7], v[2:3], a[8:11]
	v_mov_b32_e32 v2, 0
	v_mov_b32_e32 v3, 0
	v_mfma_f32_16x16x16_bf16 a[12:15], v[6:7], v[10:11], a[12:15]
	v_mov_b32_e32 v6, 0
	v_mov_b32_e32 v7, 0
	v_mov_b32_e32 v10, 0
	v_mov_b32_e32 v11, 0
	s_cbranch_vccnz .LBB223_12
; %bb.11:                               ;   in Loop: Header=BB223_6 Depth=1
	s_and_b32 s25, s25, 0xffff
	buffer_load_dwordx4 v[14:17], v95, s[24:27], 0 offen
	buffer_load_dwordx4 v[10:13], v95, s[24:27], s58 offen
	;; [unrolled: 1-line block ×4, first 2 shown]
	v_mov_b32_e32 v148, v97
	v_mov_b32_e32 v147, v98
.LBB223_12:                             ;   in Loop: Header=BB223_6 Depth=1
	ds_read_b64 v[38:39], v115 offset:57344
	ds_read2_b64 v[18:21], v123 offset1:16
	ds_read_b64 v[40:41], v117 offset:57344
	ds_read_b64 v[42:43], v121 offset:57344
	ds_read_b64 v[150:151], v122 offset:57344
	s_waitcnt lgkmcnt(3)
	v_mfma_f32_16x16x16_bf16 a[0:3], v[38:39], v[18:19], a[0:3]
	v_mfma_f32_16x16x16_bf16 a[4:7], v[38:39], v[20:21], a[4:7]
	ds_read2_b64 v[18:21], v123 offset0:32 offset1:48
	ds_read2st64_b64 v[22:25], v123 offset0:4 offset1:8
	ds_read2st64_b64 v[26:29], v124 offset0:4 offset1:8
	;; [unrolled: 1-line block ×4, first 2 shown]
	s_waitcnt lgkmcnt(4)
	v_mfma_f32_16x16x16_bf16 a[8:11], v[38:39], v[18:19], a[8:11]
	v_mfma_f32_16x16x16_bf16 a[12:15], v[38:39], v[20:21], a[12:15]
	v_add_u32_e32 v38, s60, v136
	v_ashrrev_i32_e32 v18, 31, v38
	v_mul_lo_u32 v20, v18, s34
	v_mul_lo_u32 v21, v38, s35
	v_mad_u64_u32 v[18:19], s[24:25], v38, s34, 0
	v_add3_u32 v19, v19, v21, v20
	v_add_u32_e32 v20, 1, v38
	v_ashrrev_i32_e32 v21, 31, v20
	s_waitcnt lgkmcnt(3)
	v_mfma_f32_16x16x16_bf16 a[0:3], v[40:41], v[22:23], a[0:3]
	v_mul_lo_u32 v22, v21, s34
	v_mul_lo_u32 v23, v20, s35
	v_mad_u64_u32 v[20:21], s[24:25], v20, s34, 0
	v_add3_u32 v21, v21, v23, v22
	v_add_u32_e32 v22, 2, v38
	v_ashrrev_i32_e32 v23, 31, v22
	s_waitcnt lgkmcnt(2)
	v_mfma_f32_16x16x16_bf16 a[4:7], v[40:41], v[26:27], a[4:7]
	v_mul_lo_u32 v26, v23, s34
	v_mul_lo_u32 v27, v22, s35
	v_mad_u64_u32 v[22:23], s[24:25], v22, s34, 0
	v_add3_u32 v23, v23, v27, v26
	v_add_u32_e32 v26, 3, v38
	v_lshl_add_u64 v[18:19], v[18:19], 2, s[44:45]
	v_lshl_add_u64 v[20:21], v[20:21], 2, s[44:45]
	v_ashrrev_i32_e32 v27, 31, v26
	s_waitcnt lgkmcnt(1)
	v_mfma_f32_16x16x16_bf16 a[8:11], v[40:41], v[30:31], a[8:11]
	v_mul_lo_u32 v27, v27, s34
	global_load_dword v30, v[18:19], off
	v_mul_lo_u32 v31, v26, s35
	s_waitcnt lgkmcnt(0)
	v_mfma_f32_16x16x16_bf16 a[12:15], v[40:41], v[34:35], a[12:15]
	global_load_dword v34, v[20:21], off
	v_mad_u64_u32 v[18:19], s[24:25], v26, s34, 0
	v_add3_u32 v19, v19, v31, v27
	s_add_u32 s24, s40, s60
	v_lshl_add_u64 v[22:23], v[22:23], 2, s[44:45]
	v_lshl_add_u64 v[18:19], v[18:19], 2, s[44:45]
	s_addc_u32 s25, s41, 0
	global_load_dword v31, v[22:23], off
	global_load_dword v35, v[18:19], off
	s_lshl_b64 s[24:25], s[24:25], 8
	v_lshl_add_u64 v[18:19], v[80:81], 0, s[24:25]
	v_lshl_add_u64 v[18:19], v[18:19], 0, v[78:79]
	global_load_ushort v38, v[18:19], off offset:256
	global_load_ushort v39, v[18:19], off
	global_load_ushort v40, v[18:19], off offset:768
	global_load_ushort v41, v[18:19], off offset:512
	;; [unrolled: 1-line block ×6, first 2 shown]
	s_load_dword s2, s[2:3], 0x0
	v_mfma_f32_16x16x16_bf16 a[12:15], v[42:43], v[36:37], a[12:15]
	global_load_ushort v36, v[18:19], off offset:320
	global_load_ushort v37, v[18:19], off offset:64
	s_and_b64 vcc, exec, s[0:1]
	v_mfma_f32_16x16x16_bf16 a[0:3], v[42:43], v[24:25], a[0:3]
	ds_read_b64 v[20:21], v123 offset:6144
	ds_read_b64 v[22:23], v124 offset:6144
	;; [unrolled: 1-line block ×4, first 2 shown]
	v_mfma_f32_16x16x16_bf16 a[4:7], v[42:43], v[28:29], a[4:7]
	s_waitcnt vmcnt(11) lgkmcnt(0)
	v_sub_f32_e32 v28, s2, v31
	v_mfma_f32_16x16x16_bf16 a[8:11], v[42:43], v[32:33], a[8:11]
	global_load_ushort v42, v[18:19], off offset:832
	global_load_ushort v43, v[18:19], off offset:576
	;; [unrolled: 1-line block ×6, first 2 shown]
	v_mfma_f32_16x16x16_bf16 a[0:3], v[150:151], v[20:21], a[0:3]
	s_waitcnt vmcnt(16)
	v_sub_f32_e32 v29, s2, v35
	v_mul_f32_e32 v28, 0x3fb8aa3b, v28
	v_mul_f32_e32 v29, 0x3fb8aa3b, v29
	v_exp_f32_e32 v28, v28
	v_exp_f32_e32 v29, v29
	s_waitcnt vmcnt(15)
	v_lshlrev_b32_e32 v33, 16, v38
	s_waitcnt vmcnt(14)
	v_lshlrev_b32_e32 v32, 16, v39
	v_accvgpr_read_b32 v21, a3
	v_accvgpr_read_b32 v20, a2
	v_mfma_f32_16x16x16_bf16 a[2:5], v[150:151], v[22:23], a[4:7]
	v_mfma_f32_16x16x16_bf16 a[6:9], v[150:151], v[24:25], a[8:11]
	s_nop 5
	v_accvgpr_read_b32 v23, a5
	v_accvgpr_read_b32 v22, a4
	;; [unrolled: 1-line block ×4, first 2 shown]
	v_mfma_f32_16x16x16_bf16 a[8:11], v[150:151], v[26:27], a[12:15]
	v_sub_f32_e32 v26, s2, v30
	v_sub_f32_e32 v27, s2, v34
	v_mul_f32_e32 v26, 0x3fb8aa3b, v26
	v_mul_f32_e32 v27, 0x3fb8aa3b, v27
	v_exp_f32_e32 v26, v26
	v_exp_f32_e32 v27, v27
	v_accvgpr_read_b32 v35, a1
	v_accvgpr_read_b32 v34, a0
	v_lshl_add_u64 v[30:31], v[82:83], 0, s[24:25]
	v_pk_add_f32 v[32:33], v[32:33], v[34:35] neg_lo:[0,1] neg_hi:[0,1]
	s_waitcnt vmcnt(13)
	v_lshlrev_b32_e32 v35, 16, v40
	s_waitcnt vmcnt(12)
	v_lshlrev_b32_e32 v34, 16, v41
	v_lshl_add_u64 v[30:31], v[30:31], 0, v[78:79]
	v_pk_add_f32 v[20:21], v[34:35], v[20:21] neg_lo:[0,1] neg_hi:[0,1]
	global_store_short_d16_hi v[30:31], v32, off
	global_store_short_d16_hi v[30:31], v33, off offset:256
	global_store_short_d16_hi v[30:31], v20, off offset:512
	;; [unrolled: 1-line block ×3, first 2 shown]
	v_pk_mul_f32 v[32:33], v[26:27], v[32:33]
	v_pk_mul_f32 v[20:21], v[28:29], v[20:21]
	v_accvgpr_read_b32 v35, a3
	v_perm_b32 v21, v21, v20, s39
	v_perm_b32 v20, v33, v32, s39
	s_waitcnt vmcnt(15)
	v_lshlrev_b32_e32 v33, 16, v44
	s_waitcnt vmcnt(14)
	v_lshlrev_b32_e32 v32, 16, v152
	v_accvgpr_read_b32 v34, a2
	v_pk_add_f32 v[32:33], v[32:33], v[34:35] neg_lo:[0,1] neg_hi:[0,1]
	s_waitcnt vmcnt(13)
	v_lshlrev_b32_e32 v35, 16, v153
	s_waitcnt vmcnt(12)
	v_lshlrev_b32_e32 v34, 16, v154
	v_pk_add_f32 v[22:23], v[34:35], v[22:23] neg_lo:[0,1] neg_hi:[0,1]
	global_store_short_d16_hi v[30:31], v32, off offset:32
	global_store_short_d16_hi v[30:31], v33, off offset:288
	global_store_short_d16_hi v[30:31], v22, off offset:544
	global_store_short_d16_hi v[30:31], v23, off offset:800
	v_pk_mul_f32 v[32:33], v[26:27], v[32:33]
	v_pk_mul_f32 v[22:23], v[28:29], v[22:23]
	v_accvgpr_read_b32 v25, a11
	v_perm_b32 v23, v23, v22, s39
	v_perm_b32 v22, v33, v32, s39
	ds_write2_b64 v100, v[20:21], v[22:23] offset1:16
	v_accvgpr_read_b32 v23, a7
	s_waitcnt vmcnt(15)
	v_lshlrev_b32_e32 v21, 16, v36
	s_waitcnt vmcnt(14)
	v_lshlrev_b32_e32 v20, 16, v37
	v_accvgpr_read_b32 v22, a6
	v_pk_add_f32 v[20:21], v[20:21], v[22:23] neg_lo:[0,1] neg_hi:[0,1]
	global_store_short_d16_hi v[30:31], v20, off offset:64
	global_store_short_d16_hi v[30:31], v21, off offset:320
	v_pk_mul_f32 v[20:21], v[26:27], v[20:21]
	v_accvgpr_read_b32 v24, a10
	v_perm_b32 v20, v21, v20, s39
	v_mov_b32_e32 v150, 0
	v_mov_b32_e32 v32, 0
	;; [unrolled: 1-line block ×3, first 2 shown]
	s_waitcnt vmcnt(15)
	v_lshlrev_b32_e32 v23, 16, v42
	s_waitcnt vmcnt(14)
	v_lshlrev_b32_e32 v22, 16, v43
	v_pk_add_f32 v[18:19], v[22:23], v[18:19] neg_lo:[0,1] neg_hi:[0,1]
	global_store_short_d16_hi v[30:31], v18, off offset:576
	global_store_short_d16_hi v[30:31], v19, off offset:832
	v_pk_mul_f32 v[18:19], v[28:29], v[18:19]
	v_accvgpr_read_b32 v23, a9
	v_perm_b32 v21, v19, v18, s39
	s_waitcnt vmcnt(15)
	v_lshlrev_b32_e32 v19, 16, v155
	s_waitcnt vmcnt(14)
	v_lshlrev_b32_e32 v18, 16, v156
	v_accvgpr_read_b32 v22, a8
	v_pk_add_f32 v[18:19], v[18:19], v[22:23] neg_lo:[0,1] neg_hi:[0,1]
	s_waitcnt vmcnt(13)
	v_lshlrev_b32_e32 v23, 16, v157
	s_waitcnt vmcnt(12)
	v_lshlrev_b32_e32 v22, 16, v158
	v_pk_add_f32 v[22:23], v[22:23], v[24:25] neg_lo:[0,1] neg_hi:[0,1]
	global_store_short_d16_hi v[30:31], v18, off offset:96
	global_store_short_d16_hi v[30:31], v19, off offset:352
	;; [unrolled: 1-line block ×4, first 2 shown]
	v_pk_mul_f32 v[18:19], v[26:27], v[18:19]
	v_pk_mul_f32 v[22:23], v[28:29], v[22:23]
	v_mov_b32_e32 v24, 0
	v_perm_b32 v23, v23, v22, s39
	v_perm_b32 v22, v19, v18, s39
	ds_write2_b64 v100, v[20:21], v[22:23] offset0:32 offset1:48
	v_mov_b32_e32 v18, 0
	v_mov_b32_e32 v19, 0
	;; [unrolled: 1-line block ×13, first 2 shown]
	s_cbranch_vccnz .LBB223_14
; %bb.13:                               ;   in Loop: Header=BB223_6 Depth=1
	s_and_b32 s29, s29, 0xffff
	s_mov_b32 s31, s27
	buffer_load_dwordx4 v[30:33], v133, s[28:31], 0 offen
	buffer_load_dwordx4 v[22:25], v133, s[28:31], s58 offen
	;; [unrolled: 1-line block ×4, first 2 shown]
	v_mov_b32_e32 v149, v94
	v_mov_b32_e32 v150, v93
.LBB223_14:                             ;   in Loop: Header=BB223_6 Depth=1
	s_waitcnt lgkmcnt(0)
	s_barrier
	ds_read_b64 v[42:43], v138
	ds_read2_b64 v[34:37], v129 offset1:16
	ds_read_b64 v[168:169], v139
	ds_read_b64 v[170:171], v140
	;; [unrolled: 1-line block ×3, first 2 shown]
	ds_read2_b64 v[38:41], v129 offset0:32 offset1:48
	ds_read2st64_b64 v[152:155], v129 offset0:4 offset1:8
	ds_read2st64_b64 v[156:159], v130 offset0:4 offset1:8
	;; [unrolled: 1-line block ×4, first 2 shown]
	s_waitcnt lgkmcnt(8)
	v_mfma_f32_16x16x16_bf16 a[0:3], v[42:43], v[34:35], 0
	s_add_i32 s3, s52, s67
	s_mul_hi_i32 s25, s3, s17
	s_mul_i32 s3, s3, s17
	v_mfma_f32_16x16x16_bf16 a[4:7], v[42:43], v[36:37], 0
	s_add_u32 s24, s3, s33
	s_addc_u32 s25, s25, s56
	s_add_i32 s3, s37, s60
	s_waitcnt lgkmcnt(4)
	v_mfma_f32_16x16x16_bf16 a[8:11], v[42:43], v[38:39], 0
	s_lshl_b64 s[24:25], s[24:25], 15
	s_mul_hi_i32 s29, s3, s17
	s_mul_i32 s3, s3, s17
	v_mfma_f32_16x16x16_bf16 a[12:15], v[42:43], v[40:41], 0
	ds_read_b64 v[42:43], v129 offset:6144
	ds_read_b64 v[180:181], v130 offset:6144
	;; [unrolled: 1-line block ×4, first 2 shown]
	s_add_u32 s28, s3, s33
	s_waitcnt lgkmcnt(7)
	v_mfma_f32_16x16x16_bf16 a[0:3], v[168:169], v[152:153], a[0:3]
	s_addc_u32 s29, s29, s56
	s_lshl_b64 s[28:29], s[28:29], 9
	s_add_u32 s28, s42, s28
	s_waitcnt lgkmcnt(6)
	v_mfma_f32_16x16x16_bf16 a[4:7], v[168:169], v[156:157], a[4:7]
	s_addc_u32 s29, s43, s29
	v_lshl_add_u64 v[190:191], v[84:85], 0, s[24:25]
	s_waitcnt lgkmcnt(5)
	v_mfma_f32_16x16x16_bf16 a[8:11], v[168:169], v[160:161], a[8:11]
	s_waitcnt lgkmcnt(4)
	v_mfma_f32_16x16x16_bf16 a[12:15], v[168:169], v[164:165], a[12:15]
	ds_read_b64 v[168:169], v143
	ds_read_b64 v[178:179], v144
	ds_read_b64 v[186:187], v145
	s_waitcnt lgkmcnt(2)
	v_mfma_f32_16x16x16_bf16 a[16:19], v[168:169], v[34:35], 0
	v_mfma_f32_16x16x16_bf16 a[20:23], v[168:169], v[36:37], 0
	global_load_dwordx4 v[34:37], v142, s[28:29]
	v_mfma_f32_16x16x16_bf16 a[24:27], v[168:169], v[38:39], 0
	v_mfma_f32_16x16x16_bf16 a[28:31], v[168:169], v[40:41], 0
	global_load_dwordx4 v[38:41], v137, s[28:29]
	v_mfma_f32_16x16x16_bf16 a[0:3], v[170:171], v[154:155], a[0:3]
	v_mfma_f32_16x16x16_bf16 a[4:7], v[170:171], v[158:159], a[4:7]
	;; [unrolled: 1-line block ×8, first 2 shown]
	ds_read2st64_b64 v[168:171], v127 offset1:8
	ds_read2st64_b64 v[172:175], v128 offset1:8
	ds_read_b64 v[188:189], v135 offset:40960
	s_waitcnt lgkmcnt(2)
	v_mov_b32_e32 v176, v168
	v_mfma_f32_16x16x16_bf16 a[16:19], v[178:179], v[152:153], a[16:19]
	v_mov_b32_e32 v177, v169
	v_mfma_f32_16x16x16_bf16 a[20:23], v[178:179], v[156:157], a[20:23]
	v_mfma_f32_16x16x16_bf16 a[24:27], v[178:179], v[160:161], a[24:27]
	;; [unrolled: 1-line block ×3, first 2 shown]
	v_add_co_u32_e32 v164, vcc, s64, v190
	s_waitcnt lgkmcnt(1)
	v_mov_b32_e32 v178, v172
	s_waitcnt lgkmcnt(0)
	v_mfma_f32_16x16x16_bf16 a[16:19], v[188:189], v[154:155], a[16:19]
	ds_read2st64_b64 v[152:155], v127 offset0:16 offset1:24
	v_addc_co_u32_e32 v165, vcc, 0, v191, vcc
	v_mfma_f32_16x16x16_bf16 a[20:23], v[188:189], v[158:159], a[20:23]
	ds_read2st64_b64 v[156:159], v128 offset0:16 offset1:24
	v_mov_b32_e32 v179, v173
	v_mov_b32_e32 v172, v170
	v_mfma_f32_16x16x16_bf16 a[32:35], v[188:189], v[162:163], a[24:27]
	v_mov_b32_e32 v173, v171
	s_waitcnt lgkmcnt(0)
	v_mov_b32_e32 v162, v156
	v_mov_b32_e32 v163, v157
	v_mfma_f32_16x16x16_bf16 a[36:39], v[188:189], v[166:167], a[28:31]
	v_mov_b32_e32 v156, v154
	v_mov_b32_e32 v157, v155
	;; [unrolled: 1-line block ×3, first 2 shown]
	v_mfma_f32_16x16x16_bf16 a[24:27], v[186:187], v[42:43], a[16:19]
	v_add_co_u32_e32 v42, vcc, s65, v190
	v_mov_b32_e32 v161, v153
	v_mfma_f32_16x16x16_bf16 a[28:31], v[186:187], v[180:181], a[20:23]
	v_addc_co_u32_e32 v43, vcc, 0, v191, vcc
	global_store_dwordx4 v[42:43], v[156:159], off
	v_mfma_f32_16x16x16_bf16 a[16:19], v[186:187], v[182:183], a[32:35]
	s_waitcnt vmcnt(2)
	v_mov_b32_e32 v44, v37
	v_mov_b32_e32 v43, v36
	v_mov_b32_e32 v42, v35
	v_mfma_f32_16x16x16_bf16 a[20:23], v[186:187], v[184:185], a[36:39]
	s_and_b64 vcc, exec, s[0:1]
	global_store_dwordx4 v[190:191], v[176:179], off
	global_store_dwordx4 v[164:165], v[172:175], off offset:-4096
	global_store_dwordx4 v[164:165], v[160:163], off
	s_cbranch_vccnz .LBB223_16
; %bb.15:                               ;   in Loop: Header=BB223_6 Depth=1
	v_lshrrev_b32_e32 v35, 3, v149
	v_and_b32_e32 v35, 6, v35
	v_xor_b32_e32 v36, v35, v150
	v_lshlrev_b32_e32 v36, 2, v36
	v_and_b32_e32 v37, 8, v149
	v_xor_b32_e32 v149, 0x440, v36
	v_cmp_eq_u32_e32 vcc, 0, v37
	v_perm_b32 v37, v22, v18, s61
	s_nop 0
	v_cndmask_b32_e32 v36, v149, v36, vcc
	v_lshl_or_b32 v35, v35, 10, v36
	v_perm_b32 v36, v30, v26, s61
	s_barrier
	ds_write2st64_b32 v35, v36, v37 offset0:128 offset1:160
	v_xor_b32_e32 v36, 8, v35
	v_perm_b32 v26, v30, v26, s62
	v_perm_b32 v18, v22, v18, s62
	v_add_u32_e32 v22, 0x80, v36
	ds_write2st64_b32 v22, v26, v18 offset0:128 offset1:160
	v_xor_b32_e32 v18, 16, v35
	v_perm_b32 v22, v31, v27, s61
	v_perm_b32 v26, v23, v19, s61
	ds_write2st64_b32 v18, v22, v26 offset0:129 offset1:161
	v_xor_b32_e32 v18, 24, v35
	v_perm_b32 v22, v31, v27, s62
	v_perm_b32 v19, v23, v19, s62
	v_add_u32_e32 v18, 0x80, v18
	ds_write2st64_b32 v18, v22, v19 offset0:129 offset1:161
	v_xor_b32_e32 v18, 32, v35
	v_perm_b32 v19, v32, v28, s61
	v_perm_b32 v22, v24, v20, s61
	;; [unrolled: 9-line block ×3, first 2 shown]
	ds_write2st64_b32 v18, v19, v20 offset0:131 offset1:163
	v_xor_b32_e32 v18, 56, v35
	v_perm_b32 v19, v33, v29, s62
	v_perm_b32 v20, v25, v21, s62
	v_add_u32_e32 v18, 0x80, v18
	ds_write2st64_b32 v18, v19, v20 offset0:131 offset1:163
	ds_write_b64 v148, v[14:15] offset:49152
	v_xor_b32_e32 v14, 8, v148
	ds_write_b64 v14, v[16:17] offset:49152
	ds_write_b64 v148, v[10:11] offset:57344
	;; [unrolled: 1-line block ×4, first 2 shown]
	v_xor_b32_e32 v6, 8, v147
	ds_write_b64 v6, v[8:9] offset:49152
	ds_write_b64 v147, v[2:3] offset:57344
	;; [unrolled: 1-line block ×3, first 2 shown]
.LBB223_16:                             ;   in Loop: Header=BB223_6 Depth=1
	v_mul_f32_e32 v26, s2, v146
	v_exp_f32_e32 v36, v26
	s_waitcnt vmcnt(4)
	v_mul_f32_e32 v26, 0x3fb8aa3b, v38
	v_exp_f32_e32 v38, v26
	v_mul_f32_e32 v26, 0x3fb8aa3b, v39
	v_exp_f32_e32 v39, v26
	;; [unrolled: 2-line block ×4, first 2 shown]
	v_accvgpr_read_b32 v5, a3
	v_accvgpr_read_b32 v4, a2
	;; [unrolled: 1-line block ×4, first 2 shown]
	v_pk_mul_f32 v[38:39], v[36:37], v[38:39] op_sel_hi:[0,1]
	v_pk_mul_f32 v[40:41], v[36:37], v[40:41] op_sel_hi:[0,1]
	v_pk_fma_f32 v[74:75], v[74:75], v[38:39], v[2:3]
	v_pk_fma_f32 v[76:77], v[76:77], v[40:41], v[4:5]
	v_mul_f32_e32 v2, 0x3fb8aa3b, v34
	v_mul_f32_e32 v3, 0x3fb8aa3b, v42
	;; [unrolled: 1-line block ×4, first 2 shown]
	v_exp_f32_e32 v2, v2
	v_exp_f32_e32 v3, v3
	;; [unrolled: 1-line block ×4, first 2 shown]
	v_accvgpr_read_b32 v9, a7
	v_accvgpr_read_b32 v13, a11
	;; [unrolled: 1-line block ×28, first 2 shown]
	v_pk_mul_f32 v[2:3], v[36:37], v[2:3] op_sel_hi:[0,1]
	v_pk_mul_f32 v[4:5], v[36:37], v[4:5] op_sel_hi:[0,1]
	s_add_i32 s60, s60, 64
	v_pk_fma_f32 v[66:67], v[38:39], v[66:67], v[6:7]
	v_pk_fma_f32 v[68:69], v[40:41], v[68:69], v[8:9]
	;; [unrolled: 1-line block ×13, first 2 shown]
	s_cmp_eq_u32 s49, s66
	v_pk_fma_f32 v[50:51], v[4:5], v[50:51], v[32:33]
	s_cbranch_scc1 .LBB223_18
; %bb.17:                               ;   in Loop: Header=BB223_6 Depth=1
	s_mov_b32 s67, s66
	s_branch .LBB223_6
.LBB223_18:
	s_lshl_b32 s42, s49, 6
	s_sub_i32 s43, s16, s42
	s_cmp_gt_i32 s43, 0
	s_cbranch_scc0 .LBB223_99
; %bb.19:
	s_ashr_i32 s39, s50, 31
	s_ashr_i32 s2, s42, 31
	s_cmpk_lg_i32 s19, 0x80
	s_cselect_b64 s[30:31], -1, 0
	s_and_b64 vcc, exec, s[30:31]
	s_cbranch_vccz .LBB223_21
; %bb.20:
	s_mul_i32 s1, s50, s16
	s_mul_hi_i32 s0, s50, s16
	s_add_u32 s1, s1, s42
	s_addc_u32 s0, s0, s2
	s_mul_i32 s3, s1, s51
	s_mul_hi_u32 s24, s1, s18
	s_add_i32 s3, s24, s3
	s_mul_i32 s0, s0, s18
	s_add_i32 s3, s3, s0
	s_mul_i32 s1, s1, s18
	s_ashr_i32 s0, s54, 31
	s_add_u32 s40, s1, s54
	s_addc_u32 s41, s3, s0
	s_cbranch_execz .LBB223_22
	s_branch .LBB223_23
.LBB223_21:
                                        ; implicit-def: $sgpr40_sgpr41
.LBB223_22:
	s_mul_hi_i32 s0, s50, s18
	s_mul_i32 s50, s50, s18
	s_ashr_i32 s1, s54, 31
	s_add_u32 s3, s50, s54
	s_addc_u32 s0, s0, s1
	s_mul_i32 s1, s3, s48
	s_mul_hi_u32 s18, s3, s16
	s_add_i32 s1, s18, s1
	s_mul_i32 s0, s0, s16
	s_add_i32 s1, s1, s0
	s_mul_i32 s3, s3, s16
	s_add_u32 s40, s3, s42
	s_addc_u32 s41, s1, s2
.LBB223_23:
	s_add_i32 s3, s52, s49
	s_ashr_i32 s18, s33, 31
	s_add_u32 s0, s47, s33
	s_addc_u32 s1, s53, s18
	s_mul_i32 s24, s0, s48
	s_mul_hi_u32 s25, s0, s16
	s_add_i32 s24, s25, s24
	s_mul_i32 s1, s1, s16
	s_add_i32 s24, s24, s1
	s_mul_i32 s0, s0, s16
	s_add_u32 s0, s0, s42
	v_lshlrev_b32_e32 v6, 6, v91
	v_lshlrev_b32_e32 v24, 2, v45
	s_addc_u32 s1, s24, s2
	s_mov_b32 s2, 0x7060302
	v_or_b32_e32 v9, v6, v24
	v_xor_b32_e32 v7, v91, v24
	v_perm_b32 v3, v77, v76, s2
	v_perm_b32 v2, v75, v74, s2
	;; [unrolled: 1-line block ×4, first 2 shown]
	v_lshlrev_b32_e32 v9, 1, v9
	v_xor_b32_e32 v8, v92, v24
	ds_write2st64_b64 v9, v[2:3], v[4:5] offset0:32 offset1:48
	v_lshlrev_b32_e32 v7, 1, v7
	v_lshlrev_b32_e32 v9, 8, v45
	v_or_b32_e32 v10, v7, v9
	v_lshlrev_b32_e32 v8, 1, v8
	ds_write_b64 v10, v[2:3]
	v_or_b32_e32 v2, v8, v9
	v_or_b32_e32 v9, 16, v45
	v_lshlrev_b32_e32 v23, 2, v9
	v_or_b32_e32 v10, v6, v23
	ds_write_b64 v2, v[4:5]
	v_perm_b32 v3, v69, v68, s2
	v_perm_b32 v2, v67, v66, s2
	;; [unrolled: 1-line block ×4, first 2 shown]
	v_lshlrev_b32_e32 v10, 1, v10
	v_lshlrev_b32_e32 v9, 8, v9
	ds_write2st64_b64 v10, v[2:3], v[4:5] offset0:32 offset1:48
	v_or_b32_e32 v10, v7, v9
	ds_write_b64 v10, v[2:3]
	v_or_b32_e32 v2, v8, v9
	v_or_b32_e32 v9, 32, v45
	v_lshlrev_b32_e32 v22, 2, v9
	v_or_b32_e32 v10, v6, v22
	s_lshl_b64 s[28:29], s[0:1], 8
	ds_write_b64 v2, v[4:5]
	v_perm_b32 v3, v61, v60, s2
	v_perm_b32 v2, v59, v58, s2
	;; [unrolled: 1-line block ×4, first 2 shown]
	v_lshlrev_b32_e32 v10, 1, v10
	v_lshlrev_b32_e32 v9, 8, v9
	s_add_u32 s0, s6, s28
	ds_write2st64_b64 v10, v[2:3], v[4:5] offset0:32 offset1:48
	v_or_b32_e32 v10, v7, v9
	s_addc_u32 s1, s7, s29
	ds_write_b64 v10, v[2:3]
	v_or_b32_e32 v2, v8, v9
	v_or_b32_e32 v9, 48, v45
	s_mul_hi_i32 s6, s3, s17
	s_mul_i32 s3, s3, s17
	ds_write_b64 v2, v[4:5]
	v_perm_b32 v3, v47, v46, s2
	v_perm_b32 v2, v53, v52, s2
	v_perm_b32 v5, v51, v50, s2
	v_perm_b32 v4, v49, v48, s2
	v_lshlrev_b32_e32 v19, 2, v9
	s_add_u32 s2, s3, s33
	v_or_b32_e32 v6, v6, v19
	s_addc_u32 s3, s6, s18
	v_lshlrev_b32_e32 v6, 1, v6
	s_ashr_i32 s37, s36, 31
	s_lshl_b64 s[2:3], s[2:3], 15
	ds_write2st64_b64 v6, v[2:3], v[4:5] offset0:32 offset1:48
	v_lshlrev_b32_e32 v6, 8, v9
	s_add_u32 s6, s12, s2
	v_or_b32_e32 v7, v7, v6
	s_addc_u32 s7, s13, s3
	s_lshl_b64 s[2:3], s[36:37], 8
	ds_write_b64 v7, v[2:3]
	v_or_b32_e32 v2, v8, v6
	s_add_u32 s2, s6, s2
	v_lshlrev_b32_e32 v3, 1, v45
	ds_write_b64 v2, v[4:5]
	v_lshrrev_b32_e32 v2, 4, v0
	s_addc_u32 s3, s7, s3
	v_or_b32_e32 v4, 1, v3
	v_lshlrev_b32_e32 v10, 4, v45
	v_mov_b32_e32 v11, 0
	v_xor_b32_e32 v3, v2, v3
	v_xor_b32_e32 v6, v4, v2
	v_lshl_add_u64 v[12:13], s[2:3], 0, v[10:11]
	v_lshlrev_b32_e32 v10, 8, v2
	v_lshl_or_b32 v16, v3, 3, v10
	v_lshl_or_b32 v17, v6, 3, v10
	s_waitcnt lgkmcnt(0)
	s_barrier
	ds_read2st64_b64 v[2:5], v16 offset1:8
	ds_read2st64_b64 v[6:9], v17 offset1:8
	v_lshl_add_u64 v[14:15], v[12:13], 0, v[10:11]
	s_movk_i32 s2, 0x2000
	s_cmp_lg_u32 s43, 64
	s_waitcnt lgkmcnt(1)
	v_mov_b32_e32 v10, v2
	v_mov_b32_e32 v11, v3
	s_waitcnt lgkmcnt(0)
	v_mov_b32_e32 v12, v6
	v_mov_b32_e32 v13, v7
	global_store_dwordx4 v[14:15], v[10:13], off
	v_mov_b32_e32 v6, v4
	v_mov_b32_e32 v7, v5
	ds_read2st64_b64 v[2:5], v16 offset0:16 offset1:24
	ds_read2st64_b64 v[10:13], v17 offset0:16 offset1:24
	v_add_co_u32_e32 v16, vcc, s2, v14
	s_cselect_b64 s[6:7], -1, 0
	s_nop 0
	v_addc_co_u32_e32 v17, vcc, 0, v15, vcc
	global_store_dwordx4 v[16:17], v[6:9], off offset:-4096
	v_lshl_or_b32 v25, v87, 3, v90
	s_mov_b32 s24, 0
	s_waitcnt lgkmcnt(1)
	v_mov_b32_e32 v6, v2
	v_add_co_u32_e32 v2, vcc, 0x3000, v14
	v_mov_b32_e32 v7, v3
	s_nop 0
	v_addc_co_u32_e32 v3, vcc, 0, v15, vcc
	s_waitcnt lgkmcnt(0)
	v_mov_b32_e32 v8, v10
	v_mov_b32_e32 v9, v11
	;; [unrolled: 1-line block ×4, first 2 shown]
	v_or_b32_e32 v20, 32, v25
	v_and_b32_e32 v18, 56, v89
	s_and_b64 vcc, exec, s[6:7]
	global_store_dwordx4 v[16:17], v[6:9], off
	global_store_dwordx4 v[2:3], v[10:13], off
	s_cbranch_vccz .LBB223_29
; %bb.24:
	s_mov_b32 s25, s24
	s_mov_b32 s26, s24
	;; [unrolled: 1-line block ×3, first 2 shown]
	v_mov_b64_e32 v[6:7], s[24:25]
	v_mov_b64_e32 v[8:9], s[26:27]
	;; [unrolled: 1-line block ×3, first 2 shown]
	v_cmp_gt_i32_e32 vcc, s43, v25
	v_mov_b64_e32 v[4:5], v[8:9]
	s_and_saveexec_b64 s[2:3], vcc
	s_cbranch_execz .LBB223_26
; %bb.25:
	v_lshlrev_b32_e32 v2, 8, v25
	v_mov_b32_e32 v3, 0
	v_lshl_add_u64 v[4:5], s[0:1], 0, v[2:3]
	v_lshlrev_b32_e32 v2, 1, v18
	v_lshl_add_u64 v[10:11], v[4:5], 0, v[2:3]
	global_load_dwordx4 v[6:9], v[10:11], off
	global_load_dwordx4 v[2:5], v[10:11], off offset:128
.LBB223_26:
	s_or_b64 exec, exec, s[2:3]
	s_mov_b32 s25, s24
	s_mov_b32 s26, s24
	;; [unrolled: 1-line block ×3, first 2 shown]
	v_mov_b64_e32 v[14:15], s[24:25]
	v_mov_b64_e32 v[16:17], s[26:27]
	v_mov_b64_e32 v[10:11], v[14:15]
	v_cmp_gt_i32_e32 vcc, s43, v20
	v_lshlrev_b32_e32 v21, 7, v20
	v_mov_b64_e32 v[12:13], v[16:17]
	s_and_saveexec_b64 s[2:3], vcc
	s_cbranch_execz .LBB223_28
; %bb.27:
	v_lshlrev_b32_e32 v10, 1, v21
	v_mov_b32_e32 v11, 0
	v_lshl_add_u64 v[12:13], s[0:1], 0, v[10:11]
	v_lshlrev_b32_e32 v10, 1, v18
	v_lshl_add_u64 v[26:27], v[12:13], 0, v[10:11]
	global_load_dwordx4 v[14:17], v[26:27], off
	global_load_dwordx4 v[10:13], v[26:27], off offset:128
.LBB223_28:
	s_or_b64 exec, exec, s[2:3]
	v_lshrrev_b32_e32 v26, 3, v18
	v_lshlrev_b32_e32 v27, 3, v25
	v_or_b32_e32 v26, v27, v26
	v_lshlrev_b32_e32 v26, 4, v26
	v_and_b32_e32 v27, 0x78, v27
	v_xor_b32_e32 v26, v26, v27
	s_branch .LBB223_31
.LBB223_29:
                                        ; implicit-def: $vgpr26
                                        ; implicit-def: $vgpr21
                                        ; implicit-def: $vgpr6_vgpr7_vgpr8_vgpr9
                                        ; implicit-def: $vgpr2_vgpr3_vgpr4_vgpr5
                                        ; implicit-def: $vgpr14_vgpr15_vgpr16_vgpr17
                                        ; implicit-def: $vgpr10_vgpr11_vgpr12_vgpr13
	s_cbranch_execz .LBB223_31
; %bb.30:
	s_waitcnt vmcnt(0)
	v_lshlrev_b32_e32 v2, 1, v18
	v_lshl_or_b32 v21, v25, 8, v2
	s_and_b32 s1, s1, 0xffff
	s_mov_b32 s3, 0x20000
	s_movk_i32 s2, 0x4000
	v_lshl_or_b32 v26, v20, 8, v2
	s_movk_i32 s12, 0x80
	buffer_load_dwordx4 v[6:9], v21, s[0:3], 0 offen
	buffer_load_dwordx4 v[2:5], v21, s[0:3], s12 offen
	;; [unrolled: 1-line block ×4, first 2 shown]
	v_lshrrev_b32_e32 v21, 3, v18
	v_lshlrev_b32_e32 v26, 3, v25
	v_or_b32_e32 v21, v26, v21
	v_lshlrev_b32_e32 v21, 4, v21
	v_and_b32_e32 v26, 0x78, v26
	v_xor_b32_e32 v26, v21, v26
	v_lshlrev_b32_e32 v21, 7, v20
.LBB223_31:
	s_movk_i32 s0, 0x1000
	v_and_or_b32 v20, v21, s0, v26
	s_waitcnt vmcnt(1)
	ds_write_b64 v26, v[6:7] offset:49152
	v_xor_b32_e32 v6, 8, v26
	ds_write_b64 v6, v[8:9] offset:49152
	s_waitcnt vmcnt(0)
	ds_write_b64 v26, v[2:3] offset:57344
	ds_write_b64 v6, v[4:5] offset:57344
	;; [unrolled: 1-line block ×3, first 2 shown]
	v_xor_b32_e32 v2, 8, v20
	ds_write_b64 v2, v[16:17] offset:49152
	ds_write_b64 v20, v[10:11] offset:57344
	;; [unrolled: 1-line block ×3, first 2 shown]
	v_or_b32_e32 v2, v1, v45
	v_lshlrev_b32_e32 v3, 11, v87
	v_lshlrev_b32_e32 v2, 3, v2
	v_and_b32_e32 v6, 0x1000, v3
	v_lshrrev_b32_e32 v3, 5, v86
	s_movk_i32 s0, 0xf8
	v_and_or_b32 v3, v2, s0, v3
	v_lshlrev_b32_e32 v7, 4, v3
	v_and_b32_e32 v8, 0x78, v2
	v_or_b32_e32 v10, 32, v7
	v_lshrrev_b32_e32 v3, 1, v86
	v_xor_b32_e32 v10, v10, v8
	v_xor_b32_e32 v2, v7, v8
	v_and_b32_e32 v9, 8, v3
	v_or_b32_e32 v10, v10, v6
	v_or_b32_e32 v2, v2, v6
	v_xor_b32_e32 v28, v10, v9
	v_or_b32_e32 v10, 64, v7
	v_xor_b32_e32 v27, v2, v9
	v_xor_b32_e32 v10, v10, v8
	s_waitcnt lgkmcnt(0)
	s_barrier
	v_or_b32_e32 v13, v10, v6
	ds_read_b64 v[10:11], v27 offset:49152
	v_lshl_or_b32 v14, v88, 8, v24
	v_lshlrev_b32_e32 v26, 1, v14
	v_add_u32_e32 v12, 0x4000, v26
	ds_read2_b64 v[2:5], v12 offset1:16
	v_or_b32_e32 v7, 0x60, v7
	v_xor_b32_e32 v7, v7, v8
	v_or_b32_e32 v6, v7, v6
	v_xor_b32_e32 v29, v13, v9
	v_xor_b32_e32 v30, v6, v9
	ds_read_b64 v[20:21], v28 offset:49152
	ds_read_b64 v[34:35], v29 offset:49152
	;; [unrolled: 1-line block ×3, first 2 shown]
	s_waitcnt lgkmcnt(3)
	v_mfma_f32_16x16x16_bf16 a[0:3], v[10:11], v[2:3], 0
	ds_read2_b64 v[6:9], v12 offset0:32 offset1:48
	s_lshl_b64 s[0:1], s[40:41], 8
	s_add_u32 s4, s4, s0
	v_mfma_f32_16x16x16_bf16 a[4:7], v[10:11], v[4:5], 0
	ds_read2st64_b64 v[2:5], v26 offset0:36 offset1:40
	s_addc_u32 s5, s5, s1
	s_add_i32 s2, s16, -1
	s_waitcnt lgkmcnt(1)
	v_mfma_f32_16x16x16_bf16 a[8:11], v[10:11], v[6:7], 0
	v_or_b32_e32 v6, 64, v14
	v_lshlrev_b32_e32 v31, 1, v6
	s_add_i32 s0, s46, s21
	s_waitcnt lgkmcnt(0)
	v_mfma_f32_16x16x16_bf16 a[0:3], v[20:21], v[2:3], a[0:3]
	v_or_b32_e32 v2, 0x80, v14
	v_lshlrev_b32_e32 v32, 1, v2
	v_or_b32_e32 v2, 0xc0, v14
	v_mfma_f32_16x16x16_bf16 a[12:15], v[10:11], v[8:9], 0
	ds_read2st64_b64 v[6:9], v31 offset0:36 offset1:40
	v_lshlrev_b32_e32 v33, 1, v2
	ds_read2st64_b64 v[10:13], v32 offset0:36 offset1:40
	ds_read2st64_b64 v[14:17], v33 offset0:36 offset1:40
	s_mul_i32 s39, s39, s20
	s_add_i32 s39, s0, s39
	s_mul_i32 s0, s33, s23
	s_mul_hi_u32 s1, s33, s22
	s_ashr_i32 s3, s2, 31
	s_mul_i32 s12, s2, s35
	s_mul_hi_u32 s13, s2, s34
	s_waitcnt lgkmcnt(2)
	v_mfma_f32_16x16x16_bf16 a[4:7], v[20:21], v[6:7], a[4:7]
	s_add_i32 s0, s1, s0
	s_mul_i32 s1, s18, s22
	s_add_i32 s12, s13, s12
	s_mul_i32 s3, s3, s34
	s_waitcnt lgkmcnt(1)
	v_mfma_f32_16x16x16_bf16 a[8:11], v[20:21], v[10:11], a[8:11]
	s_add_i32 s1, s0, s1
	s_add_i32 s3, s12, s3
	s_lshl_b64 s[12:13], s[38:39], 2
	s_waitcnt lgkmcnt(0)
	v_mfma_f32_16x16x16_bf16 a[12:15], v[20:21], v[14:15], a[12:15]
	s_mul_i32 s0, s33, s22
	s_add_u32 s10, s10, s12
	s_addc_u32 s11, s11, s13
	s_lshl_b64 s[0:1], s[0:1], 2
	v_mfma_f32_16x16x16_bf16 a[0:3], v[34:35], v[4:5], a[0:3]
	s_mul_i32 s2, s2, s34
	ds_read_b64 v[2:3], v26 offset:22528
	s_add_u32 s10, s10, s0
	v_mfma_f32_16x16x16_bf16 a[4:7], v[34:35], v[8:9], a[4:7]
	ds_read_b64 v[4:5], v31 offset:22528
	ds_read_b64 v[6:7], v32 offset:22528
	;; [unrolled: 1-line block ×3, first 2 shown]
	s_addc_u32 s11, s11, s1
	s_lshl_b64 s[0:1], s[2:3], 2
	v_mfma_f32_16x16x16_bf16 a[8:11], v[34:35], v[12:13], a[8:11]
	s_add_u32 s0, s10, s0
	s_addc_u32 s1, s11, s1
	s_load_dword s12, s[0:1], 0x0
	v_mfma_f32_16x16x16_bf16 a[12:15], v[34:35], v[16:17], a[12:15]
	s_and_b64 vcc, exec, s[30:31]
	s_waitcnt lgkmcnt(0)
	v_mfma_f32_16x16x16_bf16 a[0:3], v[36:37], v[2:3], a[0:3]
	v_mfma_f32_16x16x16_bf16 a[4:7], v[36:37], v[4:5], a[4:7]
	;; [unrolled: 1-line block ×4, first 2 shown]
	s_cbranch_vccz .LBB223_42
; %bb.32:
	v_lshlrev_b32_e32 v20, 1, v25
	s_and_b64 vcc, exec, s[6:7]
	s_cbranch_vccz .LBB223_43
; %bb.33:
	v_cmp_gt_i32_e32 vcc, s43, v20
	v_mov_b32_e32 v6, 0
	v_mov_b32_e32 v2, 0
	;; [unrolled: 1-line block ×5, first 2 shown]
	s_and_saveexec_b64 s[0:1], vcc
	s_cbranch_execz .LBB223_35
; %bb.34:
	v_mad_i64_i32 v[2:3], s[2:3], s19, v20, 0
	v_lshl_add_u64 v[2:3], v[2:3], 1, s[4:5]
	v_lshlrev_b32_e32 v4, 1, v18
	v_mov_b32_e32 v5, 0
	v_lshl_add_u64 v[2:3], v[2:3], 0, v[4:5]
	global_load_dwordx4 v[2:5], v[2:3], off
.LBB223_35:
	s_or_b64 exec, exec, s[0:1]
	v_or_b32_e32 v21, 1, v20
	v_cmp_gt_i32_e64 s[0:1], s43, v21
	v_mov_b32_e32 v7, 0
	v_mov_b32_e32 v8, 0
	;; [unrolled: 1-line block ×3, first 2 shown]
	s_and_saveexec_b64 s[2:3], s[0:1]
	s_cbranch_execz .LBB223_37
; %bb.36:
	v_mad_i64_i32 v[6:7], s[16:17], s19, v21, 0
	v_lshl_add_u64 v[6:7], v[6:7], 1, s[4:5]
	v_lshlrev_b32_e32 v8, 1, v18
	v_mov_b32_e32 v9, 0
	v_lshl_add_u64 v[6:7], v[6:7], 0, v[8:9]
	global_load_dwordx4 v[6:9], v[6:7], off
.LBB223_37:
	s_or_b64 exec, exec, s[2:3]
	v_mov_b32_e32 v17, 0
	v_mov_b32_e32 v10, 0
	;; [unrolled: 1-line block ×5, first 2 shown]
	s_and_saveexec_b64 s[2:3], vcc
	s_cbranch_execz .LBB223_39
; %bb.38:
	v_mad_i64_i32 v[10:11], s[16:17], s19, v20, 0
	v_lshl_add_u64 v[10:11], v[10:11], 1, s[4:5]
	v_lshlrev_b32_e32 v12, 1, v18
	v_mov_b32_e32 v13, 0
	v_lshl_add_u64 v[10:11], v[10:11], 0, v[12:13]
	global_load_dwordx4 v[10:13], v[10:11], off offset:128
.LBB223_39:
	s_or_b64 exec, exec, s[2:3]
	v_mov_b32_e32 v16, 0
	v_mov_b32_e32 v15, 0
	;; [unrolled: 1-line block ×3, first 2 shown]
	s_and_saveexec_b64 s[2:3], s[0:1]
	s_cbranch_execz .LBB223_41
; %bb.40:
	v_mad_i64_i32 v[14:15], s[0:1], s19, v21, 0
	v_lshl_add_u64 v[14:15], v[14:15], 1, s[4:5]
	v_lshlrev_b32_e32 v16, 1, v18
	v_mov_b32_e32 v17, 0
	v_lshl_add_u64 v[14:15], v[14:15], 0, v[16:17]
	global_load_dwordx4 v[14:17], v[14:15], off offset:128
.LBB223_41:
	s_or_b64 exec, exec, s[2:3]
	s_branch .LBB223_45
.LBB223_42:
                                        ; implicit-def: $vgpr5
                                        ; implicit-def: $vgpr9
                                        ; implicit-def: $vgpr13
                                        ; implicit-def: $vgpr17
	v_lshrrev_b32_e32 v34, 2, v86
	s_branch .LBB223_46
.LBB223_43:
                                        ; implicit-def: $vgpr5
                                        ; implicit-def: $vgpr9
                                        ; implicit-def: $vgpr13
                                        ; implicit-def: $vgpr17
	s_cbranch_execz .LBB223_45
; %bb.44:
	s_waitcnt vmcnt(0)
	v_mad_u64_u32 v[2:3], s[0:1], v20, s19, v[18:19]
	v_lshlrev_b32_e32 v20, 1, v2
	s_lshl_b32 s2, s19, 7
	s_and_b32 s1, s5, 0xffff
	s_mov_b32 s3, 0x20000
	s_mov_b32 s0, s4
	v_add_lshl_u32 v21, v2, s19, 1
	s_movk_i32 s13, 0x80
	buffer_load_dwordx4 v[2:5], v20, s[0:3], 0 offen
	buffer_load_dwordx4 v[10:13], v20, s[0:3], s13 offen
	;; [unrolled: 1-line block ×4, first 2 shown]
.LBB223_45:
	v_lshrrev_b32_e32 v34, 2, v86
	s_cbranch_execnz .LBB223_58
.LBB223_46:
	s_and_b64 vcc, exec, s[6:7]
	s_cbranch_vccz .LBB223_56
; %bb.47:
	s_waitcnt vmcnt(0)
	v_lshlrev_b32_e32 v7, 1, v25
	v_cmp_gt_i32_e32 vcc, s43, v7
	v_mov_b32_e32 v6, 0
	v_lshlrev_b32_e32 v14, 9, v25
	v_mov_b32_e32 v2, 0
	v_mov_b32_e32 v3, 0
	;; [unrolled: 1-line block ×4, first 2 shown]
	s_and_saveexec_b64 s[0:1], vcc
	s_cbranch_execz .LBB223_49
; %bb.48:
	v_mov_b32_e32 v15, 0
	v_lshl_add_u64 v[2:3], s[4:5], 0, v[14:15]
	v_lshlrev_b32_e32 v4, 1, v18
	v_mov_b32_e32 v5, v15
	v_lshl_add_u64 v[2:3], v[2:3], 0, v[4:5]
	global_load_dwordx4 v[2:5], v[2:3], off
.LBB223_49:
	s_or_b64 exec, exec, s[0:1]
	v_or_b32_e32 v7, 1, v7
	v_cmp_gt_i32_e64 s[0:1], s43, v7
	v_lshlrev_b32_e32 v20, 8, v7
	v_mov_b32_e32 v7, 0
	v_mov_b32_e32 v8, 0
	;; [unrolled: 1-line block ×3, first 2 shown]
	s_and_saveexec_b64 s[2:3], s[0:1]
	s_cbranch_execz .LBB223_51
; %bb.50:
	v_mov_b32_e32 v21, 0
	v_lshl_add_u64 v[6:7], s[4:5], 0, v[20:21]
	v_lshlrev_b32_e32 v8, 1, v18
	v_mov_b32_e32 v9, v21
	v_lshl_add_u64 v[6:7], v[6:7], 0, v[8:9]
	global_load_dwordx4 v[6:9], v[6:7], off
.LBB223_51:
	s_or_b64 exec, exec, s[2:3]
	v_mov_b32_e32 v17, 0
	v_mov_b32_e32 v10, 0
	;; [unrolled: 1-line block ×5, first 2 shown]
	s_and_saveexec_b64 s[2:3], vcc
	s_cbranch_execz .LBB223_53
; %bb.52:
	v_mov_b32_e32 v15, 0
	v_lshl_add_u64 v[10:11], s[4:5], 0, v[14:15]
	v_lshlrev_b32_e32 v14, 1, v18
	v_lshl_add_u64 v[10:11], v[10:11], 0, v[14:15]
	global_load_dwordx4 v[10:13], v[10:11], off offset:128
.LBB223_53:
	s_or_b64 exec, exec, s[2:3]
	v_mov_b32_e32 v16, 0
	v_mov_b32_e32 v15, 0
	;; [unrolled: 1-line block ×3, first 2 shown]
	s_and_saveexec_b64 s[2:3], s[0:1]
	s_cbranch_execz .LBB223_55
; %bb.54:
	v_mov_b32_e32 v21, 0
	v_lshl_add_u64 v[14:15], s[4:5], 0, v[20:21]
	v_lshlrev_b32_e32 v20, 1, v18
	v_lshl_add_u64 v[14:15], v[14:15], 0, v[20:21]
	global_load_dwordx4 v[14:17], v[14:15], off offset:128
.LBB223_55:
	s_or_b64 exec, exec, s[2:3]
	s_branch .LBB223_58
.LBB223_56:
                                        ; implicit-def: $vgpr5
                                        ; implicit-def: $vgpr9
                                        ; implicit-def: $vgpr13
                                        ; implicit-def: $vgpr17
	s_cbranch_execz .LBB223_58
; %bb.57:
	s_waitcnt vmcnt(0)
	v_lshlrev_b32_e32 v2, 1, v18
	v_lshl_or_b32 v18, v25, 9, v2
	s_and_b32 s5, s5, 0xffff
	s_mov_b32 s7, 0x20000
	s_movk_i32 s6, 0x4000
	s_movk_i32 s0, 0x80
	buffer_load_dwordx4 v[2:5], v18, s[4:7], 0 offen
	buffer_load_dwordx4 v[6:9], v18, s[4:7], 0 offen offset:256
	buffer_load_dwordx4 v[10:13], v18, s[4:7], s0 offen
	buffer_load_dwordx4 v[14:17], v18, s[4:7], s0 offen offset:256
.LBB223_58:
	ds_read_b64 v[20:21], v27 offset:57344
	v_add_u32_e32 v18, 0x6000, v26
	ds_read2_b64 v[36:39], v18 offset1:16
	ds_read_b64 v[54:55], v28 offset:57344
	ds_read_b64 v[28:29], v29 offset:57344
	;; [unrolled: 1-line block ×3, first 2 shown]
	ds_read2st64_b64 v[40:43], v26 offset0:52 offset1:56
	s_mov_b32 s0, 0x1000504
	s_mov_b32 s1, 0x3020706
	s_waitcnt lgkmcnt(4)
	v_mfma_f32_16x16x16_bf16 a[0:3], v[20:21], v[36:37], a[0:3]
	v_mfma_f32_16x16x16_bf16 a[4:7], v[20:21], v[38:39], a[4:7]
	ds_read2_b64 v[36:39], v18 offset0:32 offset1:48
	v_and_b32_e32 v18, 6, v0
	v_xor_b32_e32 v25, v25, v18
	s_waitcnt lgkmcnt(0)
	v_mfma_f32_16x16x16_bf16 a[8:11], v[20:21], v[36:37], a[8:11]
	v_lshlrev_b32_e32 v25, 2, v25
	v_and_b32_e32 v0, 1, v0
	v_xor_b32_e32 v35, 0x440, v25
	v_mfma_f32_16x16x16_bf16 a[12:15], v[20:21], v[38:39], a[12:15]
	ds_read2st64_b64 v[36:39], v31 offset0:52 offset1:56
	ds_read2st64_b64 v[46:49], v32 offset0:52 offset1:56
	;; [unrolled: 1-line block ×3, first 2 shown]
	v_cmp_eq_u32_e32 vcc, 0, v0
	ds_read_b64 v[20:21], v26 offset:30720
	ds_read_b64 v[26:27], v31 offset:30720
	;; [unrolled: 1-line block ×4, first 2 shown]
	v_mfma_f32_16x16x16_bf16 a[0:3], v[54:55], v[40:41], a[0:3]
	v_cndmask_b32_e32 v0, v35, v25, vcc
	v_lshl_or_b32 v0, v18, 10, v0
	s_waitcnt vmcnt(0)
	v_perm_b32 v18, v2, v6, s0
	s_waitcnt lgkmcnt(6)
	v_mfma_f32_16x16x16_bf16 a[4:7], v[54:55], v[36:37], a[4:7]
	v_perm_b32 v25, v10, v14, s0
	ds_write2st64_b32 v0, v18, v25 offset0:128 offset1:160
	v_xor_b32_e32 v18, 8, v0
	s_waitcnt lgkmcnt(6)
	v_mfma_f32_16x16x16_bf16 a[8:11], v[54:55], v[46:47], a[8:11]
	v_perm_b32 v2, v2, v6, s1
	v_perm_b32 v6, v10, v14, s1
	v_add_u32_e32 v10, 0x80, v18
	s_waitcnt lgkmcnt(5)
	v_mfma_f32_16x16x16_bf16 a[12:15], v[54:55], v[50:51], a[12:15]
	ds_write2st64_b32 v10, v2, v6 offset0:128 offset1:160
	v_xor_b32_e32 v2, 16, v0
	v_perm_b32 v6, v3, v7, s0
	v_mfma_f32_16x16x16_bf16 a[0:3], v[28:29], v[42:43], a[0:3]
	v_perm_b32 v10, v11, v15, s0
	ds_write2st64_b32 v2, v6, v10 offset0:129 offset1:161
	v_xor_b32_e32 v2, 24, v0
	v_mfma_f32_16x16x16_bf16 a[4:7], v[28:29], v[38:39], a[4:7]
	v_perm_b32 v3, v3, v7, s1
	v_perm_b32 v6, v11, v15, s1
	v_add_u32_e32 v2, 0x80, v2
	v_mfma_f32_16x16x16_bf16 a[16:19], v[28:29], v[48:49], a[8:11]
	ds_write2st64_b32 v2, v3, v6 offset0:129 offset1:161
	v_xor_b32_e32 v2, 32, v0
	v_perm_b32 v3, v4, v8, s0
	v_mfma_f32_16x16x16_bf16 a[20:23], v[28:29], v[52:53], a[12:15]
	v_perm_b32 v6, v12, v16, s0
	ds_write2st64_b32 v2, v3, v6 offset0:130 offset1:162
	v_xor_b32_e32 v2, 40, v0
	s_waitcnt lgkmcnt(8)
	v_mfma_f32_16x16x16_bf16 a[12:15], v[56:57], v[20:21], a[0:3]
	v_perm_b32 v3, v4, v8, s1
	v_perm_b32 v4, v12, v16, s1
	v_add_u32_e32 v2, 0x80, v2
	s_waitcnt lgkmcnt(7)
	v_mfma_f32_16x16x16_bf16 a[8:11], v[56:57], v[26:27], a[4:7]
	ds_write2st64_b32 v2, v3, v4 offset0:130 offset1:162
	v_xor_b32_e32 v2, 48, v0
	v_perm_b32 v3, v5, v9, s0
	s_waitcnt lgkmcnt(7)
	v_mfma_f32_16x16x16_bf16 a[4:7], v[56:57], v[30:31], a[16:19]
	v_perm_b32 v4, v13, v17, s0
	v_xor_b32_e32 v0, 56, v0
	v_and_or_b32 v21, v34, 12, v1
	s_waitcnt lgkmcnt(6)
	v_mfma_f32_16x16x16_bf16 a[0:3], v[56:57], v[32:33], a[20:23]
	ds_write2st64_b32 v2, v3, v4 offset0:131 offset1:163
	v_perm_b32 v2, v5, v9, s1
	v_perm_b32 v3, v13, v17, s1
	v_add_u32_e32 v0, 0x80, v0
	v_cmp_gt_i32_e32 vcc, s43, v21
	v_mov_b32_e32 v16, 0
	v_mov_b32_e32 v18, 0
	ds_write2st64_b32 v0, v2, v3 offset0:131 offset1:163
	s_and_saveexec_b64 s[0:1], vcc
	s_cbranch_execz .LBB223_60
; %bb.59:
	v_add_u32_e32 v0, s42, v21
	v_ashrrev_i32_e32 v1, 31, v0
	v_mul_lo_u32 v2, v1, s34
	v_mul_lo_u32 v3, v0, s35
	v_mad_u64_u32 v[0:1], s[2:3], v0, s34, 0
	v_add3_u32 v1, v1, v3, v2
	v_lshl_add_u64 v[0:1], v[0:1], 2, s[10:11]
	global_load_dword v0, v[0:1], off
	s_waitcnt vmcnt(0)
	v_sub_f32_e32 v0, s12, v0
	v_mul_f32_e32 v0, 0x3fb8aa3b, v0
	v_exp_f32_e32 v18, v0
.LBB223_60:
	s_or_b64 exec, exec, s[0:1]
	v_or_b32_e32 v10, 1, v21
	v_cmp_gt_i32_e64 s[0:1], s43, v10
	s_and_saveexec_b64 s[2:3], s[0:1]
	s_cbranch_execz .LBB223_62
; %bb.61:
	v_add_u32_e32 v0, s42, v10
	v_ashrrev_i32_e32 v1, 31, v0
	v_mul_lo_u32 v2, v1, s34
	v_mul_lo_u32 v3, v0, s35
	v_mad_u64_u32 v[0:1], s[4:5], v0, s34, 0
	v_add3_u32 v1, v1, v3, v2
	v_lshl_add_u64 v[0:1], v[0:1], 2, s[10:11]
	global_load_dword v0, v[0:1], off
	s_waitcnt vmcnt(0)
	v_sub_f32_e32 v0, s12, v0
	v_mul_f32_e32 v0, 0x3fb8aa3b, v0
	v_exp_f32_e32 v16, v0
.LBB223_62:
	s_or_b64 exec, exec, s[2:3]
	v_or_b32_e32 v12, 2, v21
	v_cmp_gt_i32_e64 s[2:3], s43, v12
	v_mov_b32_e32 v17, 0
	v_mov_b32_e32 v20, 0
	s_and_saveexec_b64 s[4:5], s[2:3]
	s_cbranch_execz .LBB223_64
; %bb.63:
	v_add_u32_e32 v0, s42, v12
	v_ashrrev_i32_e32 v1, 31, v0
	v_mul_lo_u32 v2, v1, s34
	v_mul_lo_u32 v3, v0, s35
	v_mad_u64_u32 v[0:1], s[6:7], v0, s34, 0
	v_add3_u32 v1, v1, v3, v2
	v_lshl_add_u64 v[0:1], v[0:1], 2, s[10:11]
	global_load_dword v0, v[0:1], off
	s_waitcnt vmcnt(0)
	v_sub_f32_e32 v0, s12, v0
	v_mul_f32_e32 v0, 0x3fb8aa3b, v0
	v_exp_f32_e32 v20, v0
.LBB223_64:
	s_or_b64 exec, exec, s[4:5]
	v_or_b32_e32 v14, 3, v21
	v_cmp_gt_i32_e64 s[4:5], s43, v14
	s_and_saveexec_b64 s[6:7], s[4:5]
	s_cbranch_execz .LBB223_66
; %bb.65:
	v_add_u32_e32 v0, s42, v14
	v_ashrrev_i32_e32 v1, 31, v0
	v_mul_lo_u32 v2, v1, s34
	v_mul_lo_u32 v3, v0, s35
	v_mad_u64_u32 v[0:1], s[16:17], v0, s34, 0
	v_add3_u32 v1, v1, v3, v2
	v_lshl_add_u64 v[0:1], v[0:1], 2, s[10:11]
	global_load_dword v0, v[0:1], off
	s_waitcnt vmcnt(0)
	v_sub_f32_e32 v0, s12, v0
	v_mul_f32_e32 v0, 0x3fb8aa3b, v0
	v_exp_f32_e32 v17, v0
.LBB223_66:
	s_or_b64 exec, exec, s[6:7]
	s_add_u32 s6, s8, s28
	v_or_b32_e32 v4, s36, v45
	s_addc_u32 s7, s9, s29
	s_add_u32 s8, s14, s28
	v_ashrrev_i32_e32 v5, 31, v4
	v_accvgpr_read_b32 v0, a12
	s_addc_u32 s9, s15, s29
	v_lshlrev_b64 v[4:5], 1, v[4:5]
	v_accvgpr_read_b32 v1, a13
	v_accvgpr_read_b32 v2, a14
	;; [unrolled: 1-line block ×3, first 2 shown]
	v_lshl_add_u64 v[6:7], s[6:7], 0, v[4:5]
	v_lshl_add_u64 v[4:5], s[8:9], 0, v[4:5]
	v_mov_b32_e32 v11, 0
	v_lshlrev_b32_e32 v8, 8, v21
	v_mov_b32_e32 v9, 0
	s_and_saveexec_b64 s[6:7], vcc
	s_cbranch_execz .LBB223_68
; %bb.67:
	v_mov_b32_e32 v9, 0
	v_lshl_add_u64 v[26:27], v[6:7], 0, v[8:9]
	global_load_ushort v13, v[26:27], off
	v_lshl_add_u64 v[26:27], v[4:5], 0, v[8:9]
	s_waitcnt vmcnt(0)
	v_lshlrev_b32_e32 v9, 16, v13
	v_sub_f32_e32 v0, v9, v0
	global_store_short_d16_hi v[26:27], v0, off
	v_mul_f32_e32 v0, v18, v0
	v_lshrrev_b32_e32 v9, 16, v0
.LBB223_68:
	s_or_b64 exec, exec, s[6:7]
	v_lshlrev_b32_e32 v10, 8, v10
	s_and_saveexec_b64 s[6:7], s[0:1]
	s_cbranch_execz .LBB223_70
; %bb.69:
	v_mov_b32_e32 v11, 0
	v_lshl_add_u64 v[26:27], v[6:7], 0, v[10:11]
	global_load_ushort v0, v[26:27], off
	v_lshl_add_u64 v[26:27], v[4:5], 0, v[10:11]
	s_waitcnt vmcnt(0)
	v_lshlrev_b32_e32 v0, 16, v0
	v_sub_f32_e32 v0, v0, v1
	global_store_short_d16_hi v[26:27], v0, off
	v_mul_f32_e32 v0, v16, v0
	v_lshrrev_b32_e32 v11, 16, v0
.LBB223_70:
	s_or_b64 exec, exec, s[6:7]
	v_mov_b32_e32 v15, 0
	v_lshlrev_b32_e32 v12, 8, v12
	v_mov_b32_e32 v13, 0
	s_and_saveexec_b64 s[6:7], s[2:3]
	s_cbranch_execz .LBB223_72
; %bb.71:
	v_mov_b32_e32 v13, 0
	v_lshl_add_u64 v[0:1], v[6:7], 0, v[12:13]
	global_load_ushort v25, v[0:1], off
	v_lshl_add_u64 v[0:1], v[4:5], 0, v[12:13]
	s_waitcnt vmcnt(0)
	v_lshlrev_b32_e32 v13, 16, v25
	v_sub_f32_e32 v2, v13, v2
	global_store_short_d16_hi v[0:1], v2, off
	v_mul_f32_e32 v0, v20, v2
	v_lshrrev_b32_e32 v13, 16, v0
.LBB223_72:
	s_or_b64 exec, exec, s[6:7]
	v_lshlrev_b32_e32 v14, 8, v14
	s_and_saveexec_b64 s[6:7], s[4:5]
	s_cbranch_execz .LBB223_74
; %bb.73:
	v_mov_b32_e32 v15, 0
	v_lshl_add_u64 v[0:1], v[6:7], 0, v[14:15]
	global_load_ushort v2, v[0:1], off
	v_lshl_add_u64 v[0:1], v[4:5], 0, v[14:15]
	s_waitcnt vmcnt(0)
	v_lshlrev_b32_e32 v2, 16, v2
	v_sub_f32_e32 v2, v2, v3
	global_store_short_d16_hi v[0:1], v2, off
	v_mul_f32_e32 v0, v17, v2
	v_lshrrev_b32_e32 v15, 16, v0
.LBB223_74:
	s_or_b64 exec, exec, s[6:7]
	v_lshlrev_b32_e32 v21, 6, v21
	s_mov_b32 s6, 0x5040100
	v_perm_b32 v26, v11, v9, s6
	v_or_b32_e32 v9, v21, v24
	v_accvgpr_read_b32 v0, a8
	v_perm_b32 v27, v15, v13, s6
	v_lshlrev_b32_e32 v9, 1, v9
	v_accvgpr_read_b32 v1, a9
	v_accvgpr_read_b32 v2, a10
	;; [unrolled: 1-line block ×3, first 2 shown]
	ds_write_b64 v9, v[26:27] offset:24576
	v_mov_b32_e32 v11, 0
	v_mov_b32_e32 v9, 0
	s_and_saveexec_b64 s[6:7], vcc
	s_cbranch_execz .LBB223_76
; %bb.75:
	v_mov_b32_e32 v9, 0
	v_lshl_add_u64 v[24:25], v[6:7], 0, v[8:9]
	global_load_ushort v13, v[24:25], off offset:32
	v_lshl_add_u64 v[24:25], v[4:5], 0, v[8:9]
	s_waitcnt vmcnt(0)
	v_lshlrev_b32_e32 v9, 16, v13
	v_sub_f32_e32 v0, v9, v0
	global_store_short_d16_hi v[24:25], v0, off offset:32
	v_mul_f32_e32 v0, v18, v0
	v_lshrrev_b32_e32 v9, 16, v0
.LBB223_76:
	s_or_b64 exec, exec, s[6:7]
	s_and_saveexec_b64 s[6:7], s[0:1]
	s_cbranch_execz .LBB223_78
; %bb.77:
	v_mov_b32_e32 v11, 0
	v_lshl_add_u64 v[24:25], v[6:7], 0, v[10:11]
	global_load_ushort v0, v[24:25], off offset:32
	v_lshl_add_u64 v[24:25], v[4:5], 0, v[10:11]
	s_waitcnt vmcnt(0)
	v_lshlrev_b32_e32 v0, 16, v0
	v_sub_f32_e32 v0, v0, v1
	global_store_short_d16_hi v[24:25], v0, off offset:32
	v_mul_f32_e32 v0, v16, v0
	v_lshrrev_b32_e32 v11, 16, v0
.LBB223_78:
	s_or_b64 exec, exec, s[6:7]
	v_mov_b32_e32 v15, 0
	v_mov_b32_e32 v13, 0
	s_and_saveexec_b64 s[6:7], s[2:3]
	s_cbranch_execz .LBB223_80
; %bb.79:
	v_mov_b32_e32 v13, 0
	v_lshl_add_u64 v[0:1], v[6:7], 0, v[12:13]
	global_load_ushort v24, v[0:1], off offset:32
	v_lshl_add_u64 v[0:1], v[4:5], 0, v[12:13]
	s_waitcnt vmcnt(0)
	v_lshlrev_b32_e32 v13, 16, v24
	v_sub_f32_e32 v2, v13, v2
	global_store_short_d16_hi v[0:1], v2, off offset:32
	v_mul_f32_e32 v0, v20, v2
	v_lshrrev_b32_e32 v13, 16, v0
.LBB223_80:
	s_or_b64 exec, exec, s[6:7]
	s_and_saveexec_b64 s[6:7], s[4:5]
	s_cbranch_execz .LBB223_82
; %bb.81:
	v_mov_b32_e32 v15, 0
	v_lshl_add_u64 v[0:1], v[6:7], 0, v[14:15]
	global_load_ushort v2, v[0:1], off offset:32
	v_lshl_add_u64 v[0:1], v[4:5], 0, v[14:15]
	s_waitcnt vmcnt(0)
	v_lshlrev_b32_e32 v2, 16, v2
	v_sub_f32_e32 v2, v2, v3
	global_store_short_d16_hi v[0:1], v2, off offset:32
	v_mul_f32_e32 v0, v17, v2
	v_lshrrev_b32_e32 v15, 16, v0
.LBB223_82:
	s_or_b64 exec, exec, s[6:7]
	s_mov_b32 s6, 0x5040100
	v_perm_b32 v24, v11, v9, s6
	v_or_b32_e32 v9, v21, v23
	v_accvgpr_read_b32 v0, a4
	v_perm_b32 v25, v15, v13, s6
	v_lshlrev_b32_e32 v9, 1, v9
	v_accvgpr_read_b32 v1, a5
	v_accvgpr_read_b32 v2, a6
	;; [unrolled: 1-line block ×3, first 2 shown]
	ds_write_b64 v9, v[24:25] offset:24576
	v_mov_b32_e32 v11, 0
	v_mov_b32_e32 v9, 0
	s_and_saveexec_b64 s[6:7], vcc
	s_cbranch_execz .LBB223_84
; %bb.83:
	v_mov_b32_e32 v9, 0
	v_lshl_add_u64 v[24:25], v[6:7], 0, v[8:9]
	global_load_ushort v13, v[24:25], off offset:64
	v_lshl_add_u64 v[24:25], v[4:5], 0, v[8:9]
	s_waitcnt vmcnt(0)
	v_lshlrev_b32_e32 v9, 16, v13
	v_sub_f32_e32 v0, v9, v0
	global_store_short_d16_hi v[24:25], v0, off offset:64
	v_mul_f32_e32 v0, v18, v0
	v_lshrrev_b32_e32 v9, 16, v0
.LBB223_84:
	s_or_b64 exec, exec, s[6:7]
	s_and_saveexec_b64 s[6:7], s[0:1]
	s_cbranch_execz .LBB223_86
; %bb.85:
	v_mov_b32_e32 v11, 0
	v_lshl_add_u64 v[24:25], v[6:7], 0, v[10:11]
	global_load_ushort v0, v[24:25], off offset:64
	v_lshl_add_u64 v[24:25], v[4:5], 0, v[10:11]
	s_waitcnt vmcnt(0)
	v_lshlrev_b32_e32 v0, 16, v0
	v_sub_f32_e32 v0, v0, v1
	global_store_short_d16_hi v[24:25], v0, off offset:64
	v_mul_f32_e32 v0, v16, v0
	v_lshrrev_b32_e32 v11, 16, v0
.LBB223_86:
	s_or_b64 exec, exec, s[6:7]
	v_mov_b32_e32 v15, 0
	v_mov_b32_e32 v13, 0
	s_and_saveexec_b64 s[6:7], s[2:3]
	s_cbranch_execz .LBB223_88
; %bb.87:
	v_mov_b32_e32 v13, 0
	v_lshl_add_u64 v[0:1], v[6:7], 0, v[12:13]
	global_load_ushort v23, v[0:1], off offset:64
	v_lshl_add_u64 v[0:1], v[4:5], 0, v[12:13]
	s_waitcnt vmcnt(0)
	v_lshlrev_b32_e32 v13, 16, v23
	v_sub_f32_e32 v2, v13, v2
	global_store_short_d16_hi v[0:1], v2, off offset:64
	v_mul_f32_e32 v0, v20, v2
	v_lshrrev_b32_e32 v13, 16, v0
.LBB223_88:
	s_or_b64 exec, exec, s[6:7]
	s_and_saveexec_b64 s[6:7], s[4:5]
	s_cbranch_execz .LBB223_90
; %bb.89:
	v_mov_b32_e32 v15, 0
	v_lshl_add_u64 v[0:1], v[6:7], 0, v[14:15]
	global_load_ushort v2, v[0:1], off offset:64
	v_lshl_add_u64 v[0:1], v[4:5], 0, v[14:15]
	s_waitcnt vmcnt(0)
	v_lshlrev_b32_e32 v2, 16, v2
	v_sub_f32_e32 v2, v2, v3
	global_store_short_d16_hi v[0:1], v2, off offset:64
	v_mul_f32_e32 v0, v17, v2
	v_lshrrev_b32_e32 v15, 16, v0
.LBB223_90:
	s_or_b64 exec, exec, s[6:7]
	s_mov_b32 s6, 0x5040100
	v_perm_b32 v24, v11, v9, s6
	v_or_b32_e32 v9, v21, v22
	v_accvgpr_read_b32 v0, a0
	v_perm_b32 v25, v15, v13, s6
	v_lshlrev_b32_e32 v9, 1, v9
	v_accvgpr_read_b32 v1, a1
	v_accvgpr_read_b32 v2, a2
	v_accvgpr_read_b32 v3, a3
	ds_write_b64 v9, v[24:25] offset:24576
	v_mov_b32_e32 v11, 0
	v_mov_b32_e32 v9, 0
	s_and_saveexec_b64 s[6:7], vcc
	s_cbranch_execz .LBB223_92
; %bb.91:
	v_mov_b32_e32 v9, 0
	v_lshl_add_u64 v[22:23], v[6:7], 0, v[8:9]
	global_load_ushort v13, v[22:23], off offset:96
	v_lshl_add_u64 v[8:9], v[4:5], 0, v[8:9]
	s_waitcnt vmcnt(0)
	v_lshlrev_b32_e32 v13, 16, v13
	v_sub_f32_e32 v0, v13, v0
	global_store_short_d16_hi v[8:9], v0, off offset:96
	v_mul_f32_e32 v0, v18, v0
	v_lshrrev_b32_e32 v9, 16, v0
.LBB223_92:
	s_or_b64 exec, exec, s[6:7]
	s_and_saveexec_b64 s[6:7], s[0:1]
	s_cbranch_execz .LBB223_94
; %bb.93:
	v_mov_b32_e32 v11, 0
	v_lshl_add_u64 v[22:23], v[6:7], 0, v[10:11]
	global_load_ushort v0, v[22:23], off offset:96
	v_lshl_add_u64 v[10:11], v[4:5], 0, v[10:11]
	s_waitcnt vmcnt(0)
	v_lshlrev_b32_e32 v0, 16, v0
	v_sub_f32_e32 v0, v0, v1
	global_store_short_d16_hi v[10:11], v0, off offset:96
	v_mul_f32_e32 v0, v16, v0
	v_lshrrev_b32_e32 v11, 16, v0
.LBB223_94:
	s_or_b64 exec, exec, s[6:7]
	v_mov_b32_e32 v0, 0
	v_mov_b32_e32 v1, 0
	s_and_saveexec_b64 s[0:1], s[2:3]
	s_cbranch_execz .LBB223_96
; %bb.95:
	v_mov_b32_e32 v13, 0
	v_lshl_add_u64 v[22:23], v[6:7], 0, v[12:13]
	global_load_ushort v1, v[22:23], off offset:96
	v_lshl_add_u64 v[12:13], v[4:5], 0, v[12:13]
	s_waitcnt vmcnt(0)
	v_lshlrev_b32_e32 v1, 16, v1
	v_sub_f32_e32 v1, v1, v2
	global_store_short_d16_hi v[12:13], v1, off offset:96
	v_mul_f32_e32 v1, v20, v1
	v_lshrrev_b32_e32 v1, 16, v1
.LBB223_96:
	s_or_b64 exec, exec, s[0:1]
	s_and_saveexec_b64 s[0:1], s[4:5]
	s_cbranch_execz .LBB223_98
; %bb.97:
	v_mov_b32_e32 v15, 0
	v_lshl_add_u64 v[6:7], v[6:7], 0, v[14:15]
	global_load_ushort v0, v[6:7], off offset:96
	v_lshl_add_u64 v[4:5], v[4:5], 0, v[14:15]
	s_waitcnt vmcnt(0)
	v_lshlrev_b32_e32 v0, 16, v0
	v_sub_f32_e32 v0, v0, v3
	global_store_short_d16_hi v[4:5], v0, off offset:96
	v_mul_f32_e32 v0, v17, v0
	v_lshrrev_b32_e32 v0, 16, v0
.LBB223_98:
	s_or_b64 exec, exec, s[0:1]
	s_mov_b32 s0, 0x5040100
	v_or_b32_e32 v2, v21, v19
	v_perm_b32 v1, v0, v1, s0
	v_perm_b32 v0, v11, v9, s0
	v_lshlrev_b32_e32 v2, 1, v2
	ds_write_b64 v2, v[0:1] offset:24576
	s_waitcnt lgkmcnt(0)
	s_barrier
.LBB223_99:
	s_endpgm
	.section	.rodata,"a",@progbits
	.p2align	6, 0x0
	.amdhsa_kernel _ZN12_GLOBAL__N_139chunk_gated_delta_rule_fwd_h_hip_kernelILi64ELb0ELb0ELb1ELb0ELb0ELb1ELb0ELb0EEEvPK12hip_bfloat16S3_S3_PKfS5_PKvPS1_S8_PvPKiSB_iiiiilll
		.amdhsa_group_segment_fixed_size 65536
		.amdhsa_private_segment_fixed_size 0
		.amdhsa_kernarg_size 136
		.amdhsa_user_sgpr_count 2
		.amdhsa_user_sgpr_dispatch_ptr 0
		.amdhsa_user_sgpr_queue_ptr 0
		.amdhsa_user_sgpr_kernarg_segment_ptr 1
		.amdhsa_user_sgpr_dispatch_id 0
		.amdhsa_user_sgpr_kernarg_preload_length 0
		.amdhsa_user_sgpr_kernarg_preload_offset 0
		.amdhsa_user_sgpr_private_segment_size 0
		.amdhsa_uses_dynamic_stack 0
		.amdhsa_enable_private_segment 0
		.amdhsa_system_sgpr_workgroup_id_x 1
		.amdhsa_system_sgpr_workgroup_id_y 1
		.amdhsa_system_sgpr_workgroup_id_z 0
		.amdhsa_system_sgpr_workgroup_info 0
		.amdhsa_system_vgpr_workitem_id 0
		.amdhsa_next_free_vgpr 232
		.amdhsa_next_free_sgpr 68
		.amdhsa_accum_offset 192
		.amdhsa_reserve_vcc 1
		.amdhsa_float_round_mode_32 0
		.amdhsa_float_round_mode_16_64 0
		.amdhsa_float_denorm_mode_32 3
		.amdhsa_float_denorm_mode_16_64 3
		.amdhsa_dx10_clamp 1
		.amdhsa_ieee_mode 1
		.amdhsa_fp16_overflow 0
		.amdhsa_tg_split 0
		.amdhsa_exception_fp_ieee_invalid_op 0
		.amdhsa_exception_fp_denorm_src 0
		.amdhsa_exception_fp_ieee_div_zero 0
		.amdhsa_exception_fp_ieee_overflow 0
		.amdhsa_exception_fp_ieee_underflow 0
		.amdhsa_exception_fp_ieee_inexact 0
		.amdhsa_exception_int_div_zero 0
	.end_amdhsa_kernel
	.section	.text._ZN12_GLOBAL__N_139chunk_gated_delta_rule_fwd_h_hip_kernelILi64ELb0ELb0ELb1ELb0ELb0ELb1ELb0ELb0EEEvPK12hip_bfloat16S3_S3_PKfS5_PKvPS1_S8_PvPKiSB_iiiiilll,"axG",@progbits,_ZN12_GLOBAL__N_139chunk_gated_delta_rule_fwd_h_hip_kernelILi64ELb0ELb0ELb1ELb0ELb0ELb1ELb0ELb0EEEvPK12hip_bfloat16S3_S3_PKfS5_PKvPS1_S8_PvPKiSB_iiiiilll,comdat
.Lfunc_end223:
	.size	_ZN12_GLOBAL__N_139chunk_gated_delta_rule_fwd_h_hip_kernelILi64ELb0ELb0ELb1ELb0ELb0ELb1ELb0ELb0EEEvPK12hip_bfloat16S3_S3_PKfS5_PKvPS1_S8_PvPKiSB_iiiiilll, .Lfunc_end223-_ZN12_GLOBAL__N_139chunk_gated_delta_rule_fwd_h_hip_kernelILi64ELb0ELb0ELb1ELb0ELb0ELb1ELb0ELb0EEEvPK12hip_bfloat16S3_S3_PKfS5_PKvPS1_S8_PvPKiSB_iiiiilll
                                        ; -- End function
	.section	.AMDGPU.csdata,"",@progbits
; Kernel info:
; codeLenInByte = 11608
; NumSgprs: 74
; NumVgprs: 192
; NumAgprs: 40
; TotalNumVgprs: 232
; ScratchSize: 0
; MemoryBound: 0
; FloatMode: 240
; IeeeMode: 1
; LDSByteSize: 65536 bytes/workgroup (compile time only)
; SGPRBlocks: 9
; VGPRBlocks: 28
; NumSGPRsForWavesPerEU: 74
; NumVGPRsForWavesPerEU: 232
; AccumOffset: 192
; Occupancy: 1
; WaveLimiterHint : 1
; COMPUTE_PGM_RSRC2:SCRATCH_EN: 0
; COMPUTE_PGM_RSRC2:USER_SGPR: 2
; COMPUTE_PGM_RSRC2:TRAP_HANDLER: 0
; COMPUTE_PGM_RSRC2:TGID_X_EN: 1
; COMPUTE_PGM_RSRC2:TGID_Y_EN: 1
; COMPUTE_PGM_RSRC2:TGID_Z_EN: 0
; COMPUTE_PGM_RSRC2:TIDIG_COMP_CNT: 0
; COMPUTE_PGM_RSRC3_GFX90A:ACCUM_OFFSET: 47
; COMPUTE_PGM_RSRC3_GFX90A:TG_SPLIT: 0
	.section	.text._ZN12_GLOBAL__N_139chunk_gated_delta_rule_fwd_h_hip_kernelILi64ELb0ELb0ELb0ELb0ELb0ELb1ELb0ELb0EEEvPK12hip_bfloat16S3_S3_PKfS5_PKvPS1_S8_PvPKiSB_iiiiilll,"axG",@progbits,_ZN12_GLOBAL__N_139chunk_gated_delta_rule_fwd_h_hip_kernelILi64ELb0ELb0ELb0ELb0ELb0ELb1ELb0ELb0EEEvPK12hip_bfloat16S3_S3_PKfS5_PKvPS1_S8_PvPKiSB_iiiiilll,comdat
	.globl	_ZN12_GLOBAL__N_139chunk_gated_delta_rule_fwd_h_hip_kernelILi64ELb0ELb0ELb0ELb0ELb0ELb1ELb0ELb0EEEvPK12hip_bfloat16S3_S3_PKfS5_PKvPS1_S8_PvPKiSB_iiiiilll ; -- Begin function _ZN12_GLOBAL__N_139chunk_gated_delta_rule_fwd_h_hip_kernelILi64ELb0ELb0ELb0ELb0ELb0ELb1ELb0ELb0EEEvPK12hip_bfloat16S3_S3_PKfS5_PKvPS1_S8_PvPKiSB_iiiiilll
	.p2align	8
	.type	_ZN12_GLOBAL__N_139chunk_gated_delta_rule_fwd_h_hip_kernelILi64ELb0ELb0ELb0ELb0ELb0ELb1ELb0ELb0EEEvPK12hip_bfloat16S3_S3_PKfS5_PKvPS1_S8_PvPKiSB_iiiiilll,@function
_ZN12_GLOBAL__N_139chunk_gated_delta_rule_fwd_h_hip_kernelILi64ELb0ELb0ELb0ELb0ELb0ELb1ELb0ELb0EEEvPK12hip_bfloat16S3_S3_PKfS5_PKvPS1_S8_PvPKiSB_iiiiilll: ; @_ZN12_GLOBAL__N_139chunk_gated_delta_rule_fwd_h_hip_kernelILi64ELb0ELb0ELb0ELb0ELb0ELb1ELb0ELb0EEEvPK12hip_bfloat16S3_S3_PKfS5_PKvPS1_S8_PvPKiSB_iiiiilll
; %bb.0:
	s_load_dwordx4 s[12:15], s[0:1], 0x5c
	s_load_dwordx2 s[36:37], s[0:1], 0x30
	s_abs_i32 s18, s3
	s_ashr_i32 s17, s3, 31
	s_load_dwordx8 s[4:11], s[0:1], 0x0
	s_waitcnt lgkmcnt(0)
	s_abs_i32 s16, s13
	v_cvt_f32_u32_e32 v1, s16
	s_sub_i32 s20, 0, s16
	s_ashr_i32 s19, s13, 31
	s_xor_b32 s17, s17, s19
	v_rcp_iflag_f32_e32 v1, v1
	v_lshrrev_b32_e32 v85, 6, v0
	v_bfe_u32 v86, v0, 4, 2
	v_lshlrev_b32_e32 v2, 2, v86
	v_mul_f32_e32 v1, 0x4f7ffffe, v1
	v_cvt_u32_f32_e32 v1, v1
	v_and_b32_e32 v84, 63, v0
	v_mov_b32_e32 v47, 0
	v_and_b32_e32 v45, 15, v0
	v_readfirstlane_b32 s21, v1
	s_mul_i32 s20, s20, s21
	s_mul_hi_u32 s20, s21, s20
	s_add_i32 s21, s21, s20
	s_mul_hi_u32 s20, s18, s21
	s_mul_i32 s21, s20, s16
	s_sub_i32 s18, s18, s21
	s_add_i32 s22, s20, 1
	s_sub_i32 s21, s18, s16
	s_cmp_ge_u32 s18, s16
	s_cselect_b32 s20, s22, s20
	s_cselect_b32 s18, s21, s18
	s_add_i32 s21, s20, 1
	s_cmp_ge_u32 s18, s16
	s_cselect_b32 s18, s21, s20
	s_abs_i32 s20, s14
	v_cvt_f32_u32_e32 v1, s20
	s_xor_b32 s18, s18, s17
	s_ashr_i32 s46, s12, 31
	s_sub_i32 s48, s18, s17
	v_rcp_iflag_f32_e32 v1, v1
	s_lshr_b32 s17, s46, 26
	s_add_i32 s17, s12, s17
	s_ashr_i32 s49, s14, 31
	v_mul_f32_e32 v1, 0x4f7ffffe, v1
	v_cvt_u32_f32_e32 v1, v1
	s_ashr_i32 s47, s17, 6
	s_xor_b32 s17, s19, s49
	s_sub_i32 s18, 0, s20
	v_readfirstlane_b32 s19, v1
	s_mul_i32 s18, s18, s19
	s_mul_hi_u32 s18, s19, s18
	s_add_i32 s19, s19, s18
	s_mul_hi_u32 s18, s16, s19
	s_mul_i32 s19, s18, s20
	s_mul_i32 s45, s48, s13
	s_sub_i32 s16, s16, s19
	s_sub_i32 s33, s3, s45
	s_add_i32 s3, s12, 63
	s_add_i32 s19, s18, 1
	s_sub_i32 s21, s16, s20
	s_cmp_ge_u32 s16, s20
	s_cselect_b32 s18, s19, s18
	s_cselect_b32 s16, s21, s16
	s_add_i32 s19, s18, 1
	s_cmp_ge_u32 s16, s20
	s_cselect_b32 s16, s19, s18
	s_xor_b32 s16, s16, s17
	s_sub_i32 s20, s16, s17
	s_abs_i32 s21, s20
	v_cvt_f32_u32_e32 v1, s21
	s_sub_i32 s23, 0, s21
	s_abs_i32 s22, s33
	s_xor_b32 s20, s33, s20
	v_rcp_iflag_f32_e32 v1, v1
	s_ashr_i32 s20, s20, 31
	s_load_dwordx2 s[28:29], s[0:1], 0x80
	s_load_dwordx4 s[16:19], s[0:1], 0x70
	s_mul_hi_i32 s51, s48, s13
	v_mul_f32_e32 v1, 0x4f7ffffe, v1
	v_cvt_u32_f32_e32 v1, v1
	v_lshrrev_b32_e32 v88, 3, v84
	v_lshlrev_b32_e32 v87, 3, v0
	s_waitcnt lgkmcnt(0)
	s_mul_i32 s17, s48, s17
	v_readfirstlane_b32 s24, v1
	s_mul_i32 s23, s23, s24
	s_mul_hi_u32 s23, s24, s23
	s_add_i32 s24, s24, s23
	s_mul_hi_u32 s23, s22, s24
	s_mul_i32 s24, s23, s21
	s_sub_i32 s22, s22, s24
	s_add_i32 s24, s23, 1
	s_sub_i32 s25, s22, s21
	s_cmp_ge_u32 s22, s21
	s_cselect_b32 s23, s24, s23
	s_cselect_b32 s22, s25, s22
	s_add_i32 s24, s23, 1
	s_cmp_ge_u32 s22, s21
	s_cselect_b32 s21, s24, s23
	s_xor_b32 s21, s21, s20
	s_sub_i32 s52, s21, s20
	s_ashr_i32 s20, s3, 31
	s_lshr_b32 s20, s20, 26
	v_lshlrev_b32_e32 v1, 4, v85
	s_add_i32 s3, s3, s20
	v_or_b32_e32 v89, v2, v1
	s_ashr_i32 s3, s3, 6
	s_lshl_b32 s30, s2, 6
	s_mul_i32 s50, s48, s3
	v_or_b32_e32 v90, 64, v89
	s_cmp_lt_i32 s12, 64
	s_mul_hi_u32 s44, s48, s16
	s_mul_i32 s34, s48, s16
	v_mov_b32_e32 v46, v47
	v_mov_b32_e32 v53, v47
	v_mov_b32_e32 v52, v47
	v_mov_b32_e32 v51, v47
	v_mov_b32_e32 v50, v47
	v_mov_b32_e32 v49, v47
	v_mov_b32_e32 v48, v47
	v_mov_b32_e32 v61, v47
	v_mov_b32_e32 v60, v47
	v_mov_b32_e32 v59, v47
	v_mov_b32_e32 v58, v47
	v_mov_b32_e32 v57, v47
	v_mov_b32_e32 v56, v47
	v_mov_b32_e32 v55, v47
	v_mov_b32_e32 v54, v47
	v_mov_b32_e32 v69, v47
	v_mov_b32_e32 v68, v47
	v_mov_b32_e32 v67, v47
	v_mov_b32_e32 v66, v47
	v_mov_b32_e32 v65, v47
	v_mov_b32_e32 v64, v47
	v_mov_b32_e32 v63, v47
	v_mov_b32_e32 v62, v47
	v_mov_b32_e32 v77, v47
	v_mov_b32_e32 v76, v47
	v_mov_b32_e32 v75, v47
	v_mov_b32_e32 v74, v47
	v_mov_b32_e32 v73, v47
	v_mov_b32_e32 v72, v47
	v_mov_b32_e32 v71, v47
	v_mov_b32_e32 v70, v47
	s_cbranch_scc1 .LBB224_18
; %bb.1:
	s_ashr_i32 s24, s48, 31
	s_ashr_i32 s54, s33, 31
	s_add_u32 s2, s45, s33
	s_addc_u32 s3, s51, s54
	s_mul_i32 s3, s12, s3
	s_mul_hi_u32 s20, s12, s2
	s_add_i32 s39, s20, s3
	s_mul_i32 s38, s12, s2
	s_lshl_b64 s[2:3], s[38:39], 8
	v_and_b32_e32 v92, 56, v87
	s_add_u32 s20, s6, s2
	v_lshl_or_b32 v91, v85, 3, v88
	v_lshlrev_b32_e32 v3, 1, v92
	s_addc_u32 s2, s7, s3
	v_lshl_or_b32 v93, v91, 8, v3
	s_and_b32 s21, s2, 0xffff
	s_mov_b32 s23, 0x20000
	s_movk_i32 s22, 0x4000
	s_movk_i32 s2, 0x80
	v_or_b32_e32 v94, 0x2000, v93
	buffer_load_dwordx4 v[4:7], v93, s[20:23], 0 offen
	buffer_load_dwordx4 v[8:11], v93, s[20:23], s2 offen
	;; [unrolled: 1-line block ×4, first 2 shown]
	v_lshlrev_b32_e32 v20, 3, v91
	v_and_or_b32 v22, v0, 7, v20
	v_and_b32_e32 v20, 0x78, v20
	v_lshlrev_b32_e32 v22, 4, v22
	v_xor_b32_e32 v95, v22, v20
	v_mul_lo_u32 v21, v91, s15
	v_or_b32_e32 v96, 0x1000, v95
	s_cmpk_eq_i32 s15, 0x80
	s_mov_b32 s53, s14
	v_xor_b32_e32 v20, 8, v95
	v_xor_b32_e32 v22, 8, v96
	s_cselect_b64 s[2:3], -1, 0
	s_cmpk_lg_i32 s15, 0x80
	s_waitcnt vmcnt(3)
	ds_write_b64 v95, v[4:5] offset:49152
	ds_write_b64 v20, v[6:7] offset:49152
	s_waitcnt vmcnt(2)
	ds_write_b64 v95, v[8:9] offset:57344
	ds_write_b64 v20, v[10:11] offset:57344
	;; [unrolled: 3-line block ×4, first 2 shown]
	v_lshl_add_u32 v4, v21, 1, v92
	s_cbranch_scc0 .LBB224_3
; %bb.2:
	v_lshlrev_b32_e32 v6, 1, v4
	v_add_lshl_u32 v5, v4, s15, 1
	s_lshl_b32 s22, s15, 7
	s_load_dwordx2 s[40:41], s[0:1], 0x20
	v_lshl_or_b32 v3, v91, 9, v3
	s_cbranch_execz .LBB224_4
	s_branch .LBB224_5
.LBB224_3:
                                        ; implicit-def: $vgpr5
                                        ; implicit-def: $vgpr6
                                        ; implicit-def: $sgpr22
	s_load_dwordx2 s[40:41], s[0:1], 0x20
	v_lshl_or_b32 v3, v91, 9, v3
.LBB224_4:
	v_or_b32_e32 v5, 0x100, v3
	s_movk_i32 s22, 0x4000
	v_mov_b32_e32 v6, v3
.LBB224_5:
	s_mul_hi_u32 s0, s14, s12
	s_mul_i32 s1, s49, s12
	s_add_i32 s0, s0, s1
	s_mul_i32 s1, s14, s12
	s_mul_i32 s20, s1, s24
	s_mul_hi_u32 s21, s1, s48
	s_add_i32 s20, s21, s20
	s_mul_i32 s0, s0, s48
	s_add_i32 s20, s20, s0
	s_mul_i32 s1, s1, s48
	s_ashr_i32 s55, s52, 31
	s_add_u32 s0, s1, s52
	s_addc_u32 s1, s20, s55
	s_lshl_b64 s[0:1], s[0:1], 8
	s_add_u32 s20, s4, s0
	s_addc_u32 s0, s5, s1
	s_and_b32 s21, s0, 0xffff
	s_movk_i32 s56, 0x80
	buffer_load_dwordx4 v[8:11], v6, s[20:23], 0 offen
	buffer_load_dwordx4 v[12:15], v6, s[20:23], s56 offen
	;; [unrolled: 1-line block ×4, first 2 shown]
	v_and_b32_e32 v5, 6, v0
	v_lshlrev_b32_e32 v6, 7, v89
	v_xor_b32_e32 v27, v91, v5
	v_and_b32_e32 v7, 1, v0
	v_lshl_or_b32 v30, v45, 3, v6
	v_lshlrev_b32_e32 v27, 2, v27
	v_or_b32_e32 v97, 0x4000, v30
	v_or_b32_e32 v98, 0x6000, v30
	v_xor_b32_e32 v30, 0x440, v27
	v_cmp_eq_u32_e32 vcc, 0, v7
	v_lshlrev_b32_e32 v24, 2, v45
	s_mov_b32 s59, 0x1000504
	v_cndmask_b32_e32 v7, v30, v27, vcc
	v_xor_b32_e32 v28, v89, v24
	v_xor_b32_e32 v29, v90, v24
	v_lshl_or_b32 v5, v5, 10, v7
	s_mov_b32 s60, 0x3020706
	s_mul_i32 s0, s24, s12
	s_mul_hi_u32 s1, s48, s12
	v_lshlrev_b32_e32 v25, 8, v45
	v_or_b32_e32 v26, 16, v45
	v_lshlrev_b32_e32 v28, 1, v28
	v_lshlrev_b32_e32 v29, 1, v29
	v_xor_b32_e32 v7, 8, v5
	v_xor_b32_e32 v27, 24, v5
	v_xor_b32_e32 v32, 40, v5
	v_xor_b32_e32 v34, 56, v5
	v_or_b32_e32 v100, v25, v28
	v_or_b32_e32 v101, v25, v29
	v_xor_b32_e32 v25, 16, v5
	v_xor_b32_e32 v30, 32, v5
	;; [unrolled: 1-line block ×3, first 2 shown]
	v_add_u32_e32 v7, 0x80, v7
	v_add_u32_e32 v27, 0x80, v27
	;; [unrolled: 1-line block ×4, first 2 shown]
	s_add_i32 s61, s1, s0
	s_add_i32 s0, s44, s17
	s_mul_i32 s24, s24, s16
	s_add_i32 s35, s0, s24
	s_mul_i32 s0, s33, s19
	s_mul_hi_u32 s1, s33, s18
	s_add_i32 s0, s1, s0
	s_mul_i32 s1, s54, s18
	s_add_i32 s1, s0, s1
	s_lshl_b64 s[20:21], s[34:35], 2
	s_mul_i32 s0, s33, s18
	s_add_u32 s20, s10, s20
	s_addc_u32 s21, s11, s21
	s_lshl_b64 s[0:1], s[0:1], 2
	s_add_u32 s42, s20, s0
	s_movk_i32 s0, 0xf8
	s_addc_u32 s43, s21, s1
	s_ashr_i32 s31, s30, 31
	s_lshl_b32 s26, s15, 7
	v_mov_b32_e32 v79, 0
	s_movk_i32 s20, 0x100
	v_lshlrev_b32_e32 v78, 4, v45
	s_mul_i32 s57, s48, s12
	v_lshl_or_b32 v31, v26, 3, v6
	s_mov_b32 s58, 0
	v_or_b32_e32 v99, 0x4000, v31
	s_movk_i32 s22, 0x4000
	v_or_b32_e32 v102, 0x6000, v31
	v_add_u32_e32 v134, v1, v2
	s_mov_b32 s35, 0x7060302
	s_movk_i32 s62, 0x2000
	s_movk_i32 s63, 0x3000
	v_mov_b32_e32 v144, 0x3fb8aa3b
	s_mov_b32 s65, 0
	v_mov_b32_e32 v70, v79
	v_mov_b32_e32 v71, v79
	;; [unrolled: 1-line block ×8, first 2 shown]
	s_waitcnt vmcnt(1)
	v_perm_b32 v35, v8, v16, s59
	s_waitcnt vmcnt(0)
	v_perm_b32 v36, v12, v20, s59
	v_perm_b32 v8, v8, v16, s60
	;; [unrolled: 1-line block ×15, first 2 shown]
	ds_write2st64_b32 v5, v35, v36 offset0:128 offset1:160
	ds_write2st64_b32 v7, v8, v12 offset0:128 offset1:160
	;; [unrolled: 1-line block ×8, first 2 shown]
	v_lshlrev_b32_e32 v5, 8, v26
	v_or_b32_e32 v103, v5, v28
	v_or_b32_e32 v104, v5, v29
	;; [unrolled: 1-line block ×3, first 2 shown]
	v_lshl_or_b32 v7, v5, 3, v6
	v_lshlrev_b32_e32 v5, 8, v5
	v_or_b32_e32 v107, v5, v28
	v_or_b32_e32 v108, v5, v29
	v_or_b32_e32 v5, 48, v45
	v_or_b32_e32 v105, 0x4000, v7
	v_or_b32_e32 v106, 0x6000, v7
	v_lshl_or_b32 v7, v5, 3, v6
	v_lshlrev_b32_e32 v5, 8, v5
	v_or_b32_e32 v111, v5, v28
	v_or_b32_e32 v112, v5, v29
	;; [unrolled: 1-line block ×3, first 2 shown]
	v_lshlrev_b32_e32 v5, 3, v5
	v_lshrrev_b32_e32 v9, 5, v84
	v_and_or_b32 v9, v5, s0, v9
	v_lshlrev_b32_e32 v9, 4, v9
	v_lshlrev_b32_e32 v11, 11, v85
	v_and_b32_e32 v5, 0x78, v5
	v_or_b32_e32 v14, 32, v9
	v_and_b32_e32 v8, 0x1000, v11
	v_xor_b32_e32 v10, v9, v5
	v_lshrrev_b32_e32 v12, 1, v84
	v_xor_b32_e32 v14, v14, v5
	v_or_b32_e32 v10, v10, v8
	v_and_b32_e32 v12, 8, v12
	v_or_b32_e32 v14, v14, v8
	v_xor_b32_e32 v113, v10, v12
	v_lshlrev_b32_e32 v10, 8, v86
	v_xor_b32_e32 v115, v14, v12
	v_or_b32_e32 v14, 64, v9
	v_or_b32_e32 v9, 0x60, v9
	;; [unrolled: 1-line block ×3, first 2 shown]
	v_xor_b32_e32 v14, v14, v5
	v_xor_b32_e32 v5, v9, v5
	v_lshlrev_b32_e32 v13, 1, v13
	v_or_b32_e32 v14, v14, v8
	v_or_b32_e32 v5, v5, v8
	s_lshl_b64 s[0:1], s[30:31], 8
	v_or_b32_e32 v114, 0x4000, v13
	v_or_b32_e32 v116, 0x4080, v13
	;; [unrolled: 1-line block ×4, first 2 shown]
	v_xor_b32_e32 v119, v14, v12
	v_xor_b32_e32 v120, v5, v12
	v_or_b32_e32 v121, 0x6000, v13
	v_or_b32_e32 v122, 0x6080, v13
	;; [unrolled: 1-line block ×4, first 2 shown]
	v_lshlrev_b32_e32 v12, 1, v4
	v_add_lshl_u32 v13, v4, s15, 1
	s_add_u32 s0, s36, s0
	v_lshlrev_b32_e32 v4, 1, v45
	v_lshrrev_b32_e32 v15, 4, v0
	s_addc_u32 s1, s37, s1
	v_or_b32_e32 v5, 1, v4
	v_lshlrev_b32_e32 v18, 2, v0
	v_or_b32_e32 v14, 0x100, v3
	v_xor_b32_e32 v16, v15, v4
	v_xor_b32_e32 v17, v5, v15
	v_lshl_add_u64 v[4:5], s[0:1], 0, v[78:79]
	v_lshlrev_b32_e32 v78, 8, v15
	v_lshrrev_b32_e32 v19, 1, v0
	v_and_or_b32 v10, v18, 60, v10
	v_cndmask_b32_e64 v131, v12, v3, s[2:3]
	v_mov_b32_e32 v3, 0xa000
	v_mov_b32_e32 v12, 0x8000
	v_cmp_gt_u32_e64 s[0:1], s20, v0
	v_lshl_or_b32 v125, v16, 3, v78
	v_and_b32_e32 v16, 8, v0
	v_and_b32_e32 v19, 24, v19
	v_lshlrev_b32_e32 v10, 1, v10
	v_cndmask_b32_e64 v3, v3, v12, s[0:1]
	v_lshlrev_b32_e32 v12, 3, v85
	v_or_b32_e32 v127, 0x6000, v10
	v_or_b32_e32 v128, 0x6080, v10
	;; [unrolled: 1-line block ×4, first 2 shown]
	v_mov_b32_e32 v10, 0x400
	v_cmp_eq_u32_e32 vcc, 0, v16
	v_cndmask_b32_e64 v132, v13, v14, s[2:3]
	v_xor_b32_e32 v13, v12, v19
	v_and_b32_e32 v15, 7, v0
	v_cndmask_b32_e64 v16, v10, 64, vcc
	v_or_b32_e32 v14, 0x440, v13
	v_lshl_or_b32 v126, v17, 3, v78
	v_lshlrev_b32_e32 v17, 3, v15
	v_or_b32_e32 v18, 32, v19
	v_or_b32_e32 v20, 0x60, v19
	v_cndmask_b32_e32 v14, v14, v13, vcc
	v_or3_b32 v13, v11, v16, v13
	v_lshlrev_b32_e32 v15, 7, v15
	v_xor_b32_e32 v18, v12, v18
	v_xor_b32_e32 v13, v13, v17
	;; [unrolled: 1-line block ×3, first 2 shown]
	v_or_b32_e32 v21, 0x440, v18
	v_or_b32_e32 v133, v13, v15
	v_xor_b32_e32 v13, 0x440, v12
	v_cndmask_b32_e32 v18, v21, v18, vcc
	v_cndmask_b32_e32 v12, v13, v12, vcc
	v_or_b32_e32 v109, 0x4000, v7
	v_or_b32_e32 v110, 0x6000, v7
	v_lshrrev_b32_e32 v7, 2, v84
	v_or_b32_e32 v14, v14, v11
	v_or_b32_e32 v18, v18, v11
	;; [unrolled: 1-line block ×3, first 2 shown]
	v_and_b32_e32 v7, 12, v7
	v_or_b32_e32 v8, s30, v45
	v_xor_b32_e32 v14, v14, v17
	v_xor_b32_e32 v18, v18, v17
	v_xor_b32_e32 v11, v11, v17
	v_ashrrev_i32_e32 v9, 31, v8
	v_or_b32_e32 v10, v1, v7
	v_add_u32_e32 v19, v3, v14
	v_add_u32_e32 v21, v3, v18
	;; [unrolled: 1-line block ×3, first 2 shown]
	v_or3_b32 v12, v1, v7, 64
	v_add_u32_e32 v7, 0xa000, v14
	v_add_u32_e32 v14, 0xa000, v18
	;; [unrolled: 1-line block ×3, first 2 shown]
	v_lshl_add_u64 v[80:81], v[8:9], 1, s[8:9]
	v_lshl_add_u64 v[82:83], v[4:5], 0, v[78:79]
	s_add_i32 s31, s57, 63
	v_lshlrev_b32_e32 v78, 1, v6
	v_lshlrev_b32_e32 v135, 2, v10
	v_add_u32_e32 v136, v19, v15
	v_add_u32_e32 v137, v21, v15
	;; [unrolled: 1-line block ×4, first 2 shown]
	v_lshlrev_b32_e32 v140, 2, v12
	v_add_u32_e32 v141, v7, v15
	v_add_u32_e32 v142, v14, v15
	;; [unrolled: 1-line block ×3, first 2 shown]
	v_mov_b32_e32 v62, v79
	v_mov_b32_e32 v63, v79
	;; [unrolled: 1-line block ×24, first 2 shown]
	s_waitcnt lgkmcnt(0)
	s_barrier
.LBB224_6:                              ; =>This Inner Loop Header: Depth=1
	s_add_i32 s64, s65, 1
	s_cmp_lt_i32 s64, s47
	s_mov_b64 s[24:25], 0
	s_cselect_b64 s[2:3], -1, 0
	s_cmp_ge_i32 s64, s47
	s_mov_b64 s[20:21], 0
	s_cbranch_scc1 .LBB224_8
; %bb.7:                                ;   in Loop: Header=BB224_6 Depth=1
	s_add_i32 s0, s58, 64
	s_add_u32 s0, s38, s0
	s_addc_u32 s1, s39, 0
	s_lshl_b64 s[0:1], s[0:1], 8
	s_add_u32 s20, s6, s0
	s_addc_u32 s21, s7, s1
.LBB224_8:                              ;   in Loop: Header=BB224_6 Depth=1
	v_cndmask_b32_e64 v2, 0, 1, s[2:3]
	v_cmp_ne_u32_e64 s[0:1], 1, v2
	s_andn2_b64 vcc, exec, s[2:3]
	s_cbranch_vccnz .LBB224_10
; %bb.9:                                ;   in Loop: Header=BB224_6 Depth=1
	s_add_i32 s2, s58, 64
	s_add_u32 s2, s57, s2
	s_addc_u32 s3, s61, 0
	s_mul_i32 s24, s2, s49
	s_mul_hi_u32 s25, s2, s53
	s_add_i32 s24, s25, s24
	s_mul_i32 s3, s3, s53
	s_add_i32 s24, s24, s3
	s_mul_i32 s2, s2, s53
	s_add_u32 s2, s2, s52
	s_addc_u32 s3, s24, s55
	s_lshl_b64 s[2:3], s[2:3], 8
	s_add_u32 s24, s4, s2
	s_addc_u32 s25, s5, s3
.LBB224_10:                             ;   in Loop: Header=BB224_6 Depth=1
	v_perm_b32 v3, v77, v76, s35
	v_perm_b32 v2, v75, v74, s35
	v_perm_b32 v5, v73, v72, s35
	v_perm_b32 v4, v71, v70, s35
	ds_write_b64 v97, v[2:3]
	ds_write_b64 v98, v[4:5]
	ds_write_b64 v100, v[2:3]
	ds_write_b64 v101, v[4:5]
	v_perm_b32 v3, v69, v68, s35
	v_perm_b32 v2, v67, v66, s35
	v_perm_b32 v5, v65, v64, s35
	v_perm_b32 v4, v63, v62, s35
	ds_write_b64 v99, v[2:3]
	ds_write_b64 v102, v[4:5]
	ds_write_b64 v103, v[2:3]
	ds_write_b64 v104, v[4:5]
	;; [unrolled: 8-line block ×4, first 2 shown]
	s_waitcnt lgkmcnt(0)
	s_barrier
	ds_read_b64 v[6:7], v113 offset:49152
	ds_read2_b64 v[2:5], v114 offset1:16
	ds_read_b64 v[18:19], v116 offset:6144
	ds_read_b64 v[20:21], v114 offset:6144
	s_waitcnt lgkmcnt(2)
	v_mfma_f32_16x16x16_bf16 a[0:3], v[6:7], v[2:3], 0
	ds_read_b64 v[22:23], v115 offset:49152
	ds_read2st64_b64 v[10:13], v117 offset0:4 offset1:8
	ds_read2st64_b64 v[14:17], v118 offset0:4 offset1:8
	v_mfma_f32_16x16x16_bf16 a[4:7], v[6:7], v[4:5], 0
	ds_read2_b64 v[2:5], v114 offset0:32 offset1:48
	s_add_i32 s2, s58, 63
	s_mul_i32 s3, s2, s29
	s_waitcnt lgkmcnt(0)
	v_mfma_f32_16x16x16_bf16 a[8:11], v[6:7], v[2:3], 0
	s_mul_hi_u32 s27, s2, s28
	s_add_i32 s3, s27, s3
	s_mul_i32 s2, s2, s28
	v_mfma_f32_16x16x16_bf16 a[12:15], v[6:7], v[4:5], 0
	ds_read2st64_b64 v[2:5], v114 offset0:4 offset1:8
	ds_read2st64_b64 v[6:9], v116 offset0:4 offset1:8
	s_lshl_b64 s[2:3], s[2:3], 2
	s_waitcnt lgkmcnt(1)
	v_mfma_f32_16x16x16_bf16 a[0:3], v[22:23], v[2:3], a[0:3]
	s_add_u32 s2, s42, s2
	s_addc_u32 s3, s43, s3
	s_and_b64 vcc, exec, s[0:1]
	s_waitcnt lgkmcnt(0)
	v_mfma_f32_16x16x16_bf16 a[4:7], v[22:23], v[6:7], a[4:7]
	v_mov_b32_e32 v147, 0
	v_mov_b32_e32 v146, 0
	;; [unrolled: 1-line block ×3, first 2 shown]
	v_mfma_f32_16x16x16_bf16 a[8:11], v[22:23], v[10:11], a[8:11]
	ds_read_b64 v[2:3], v119 offset:49152
	ds_read_b64 v[6:7], v120 offset:49152
	;; [unrolled: 1-line block ×3, first 2 shown]
	v_mfma_f32_16x16x16_bf16 a[12:15], v[22:23], v[14:15], a[12:15]
	v_mov_b32_e32 v14, 0
	v_mov_b32_e32 v15, 0
	s_waitcnt lgkmcnt(2)
	v_mfma_f32_16x16x16_bf16 a[0:3], v[2:3], v[4:5], a[0:3]
	v_mov_b32_e32 v4, 0
	v_mov_b32_e32 v5, 0
	v_mfma_f32_16x16x16_bf16 a[16:19], v[2:3], v[8:9], a[4:7]
	v_mov_b32_e32 v8, 0
	v_mov_b32_e32 v9, 0
	;; [unrolled: 3-line block ×3, first 2 shown]
	v_mfma_f32_16x16x16_bf16 a[24:27], v[2:3], v[16:17], a[12:15]
	ds_read_b64 v[2:3], v117 offset:6144
	v_mov_b32_e32 v16, 0
	v_mov_b32_e32 v17, 0
	s_waitcnt lgkmcnt(2)
	v_mfma_f32_16x16x16_bf16 a[4:7], v[6:7], v[20:21], a[0:3]
	v_mfma_f32_16x16x16_bf16 a[8:11], v[6:7], v[18:19], a[16:19]
	s_waitcnt lgkmcnt(0)
	v_mfma_f32_16x16x16_bf16 a[12:15], v[6:7], v[2:3], a[20:23]
	v_mov_b32_e32 v2, 0
	v_mov_b32_e32 v3, 0
	v_mfma_f32_16x16x16_bf16 a[0:3], v[6:7], v[10:11], a[24:27]
	v_mov_b32_e32 v6, 0
	v_mov_b32_e32 v7, 0
	;; [unrolled: 1-line block ×4, first 2 shown]
	s_cbranch_vccnz .LBB224_12
; %bb.11:                               ;   in Loop: Header=BB224_6 Depth=1
	s_and_b32 s21, s21, 0xffff
	buffer_load_dwordx4 v[14:17], v93, s[20:23], 0 offen
	buffer_load_dwordx4 v[10:13], v93, s[20:23], s56 offen
	;; [unrolled: 1-line block ×4, first 2 shown]
	v_mov_b32_e32 v146, v95
	v_mov_b32_e32 v145, v96
.LBB224_12:                             ;   in Loop: Header=BB224_6 Depth=1
	ds_read_b64 v[34:35], v113 offset:57344
	ds_read2_b64 v[18:21], v121 offset1:16
	ds_read_b64 v[36:37], v115 offset:57344
	ds_read_b64 v[38:39], v119 offset:57344
	;; [unrolled: 1-line block ×3, first 2 shown]
	v_add_u32_e32 v42, s58, v134
	s_waitcnt lgkmcnt(3)
	v_mfma_f32_16x16x16_bf16 a[4:7], v[34:35], v[18:19], a[4:7]
	v_mfma_f32_16x16x16_bf16 a[8:11], v[34:35], v[20:21], a[8:11]
	ds_read2_b64 v[18:21], v121 offset0:32 offset1:48
	ds_read2st64_b64 v[22:25], v121 offset0:4 offset1:8
	ds_read2st64_b64 v[26:29], v122 offset0:4 offset1:8
	;; [unrolled: 1-line block ×3, first 2 shown]
	s_waitcnt lgkmcnt(3)
	v_mfma_f32_16x16x16_bf16 a[12:15], v[34:35], v[18:19], a[12:15]
	v_ashrrev_i32_e32 v18, 31, v42
	v_mfma_f32_16x16x16_bf16 a[0:3], v[34:35], v[20:21], a[0:3]
	v_mul_lo_u32 v20, v18, s28
	v_mul_lo_u32 v21, v42, s29
	v_mad_u64_u32 v[18:19], s[20:21], v42, s28, 0
	v_add3_u32 v19, v19, v21, v20
	v_add_u32_e32 v20, 1, v42
	v_ashrrev_i32_e32 v21, 31, v20
	s_waitcnt lgkmcnt(2)
	v_mfma_f32_16x16x16_bf16 a[4:7], v[36:37], v[22:23], a[4:7]
	v_mul_lo_u32 v22, v21, s28
	v_mul_lo_u32 v23, v20, s29
	v_mad_u64_u32 v[20:21], s[20:21], v20, s28, 0
	v_add3_u32 v21, v21, v23, v22
	v_add_u32_e32 v22, 2, v42
	v_ashrrev_i32_e32 v23, 31, v22
	s_waitcnt lgkmcnt(1)
	v_mfma_f32_16x16x16_bf16 a[8:11], v[36:37], v[26:27], a[8:11]
	v_mul_lo_u32 v26, v23, s28
	v_mul_lo_u32 v27, v22, s29
	v_mad_u64_u32 v[22:23], s[20:21], v22, s28, 0
	v_lshl_add_u64 v[18:19], v[18:19], 2, s[42:43]
	v_add3_u32 v23, v23, v27, v26
	v_add_u32_e32 v26, 3, v42
	v_ashrrev_i32_e32 v27, 31, v26
	global_load_dword v35, v[18:19], off
	v_mad_u64_u32 v[18:19], s[20:21], v26, s28, 0
	v_mul_lo_u32 v27, v27, s28
	v_mul_lo_u32 v34, v26, s29
	s_add_u32 s20, s38, s58
	v_add3_u32 v19, v19, v34, v27
	s_addc_u32 s21, s39, 0
	v_lshl_add_u64 v[20:21], v[20:21], 2, s[42:43]
	v_lshl_add_u64 v[22:23], v[22:23], 2, s[42:43]
	;; [unrolled: 1-line block ×3, first 2 shown]
	s_lshl_b64 s[20:21], s[20:21], 8
	global_load_dword v34, v[20:21], off
	global_load_dword v42, v[22:23], off
	global_load_dword v43, v[18:19], off
	v_lshl_add_u64 v[18:19], v[80:81], 0, s[20:21]
	v_lshl_add_u64 v[22:23], v[18:19], 0, v[78:79]
	global_load_ushort v44, v[22:23], off offset:256
	global_load_ushort v148, v[22:23], off
	ds_read2st64_b64 v[18:21], v124 offset0:4 offset1:8
	global_load_ushort v149, v[22:23], off offset:768
	global_load_ushort v150, v[22:23], off offset:512
	s_waitcnt lgkmcnt(1)
	v_mfma_f32_16x16x16_bf16 a[12:15], v[36:37], v[30:31], a[12:15]
	s_and_b64 vcc, exec, s[0:1]
	s_waitcnt vmcnt(3)
	v_lshlrev_b32_e32 v31, 16, v44
	s_waitcnt lgkmcnt(0)
	v_mfma_f32_16x16x16_bf16 a[0:3], v[36:37], v[18:19], a[0:3]
	global_load_ushort v36, v[22:23], off offset:288
	global_load_ushort v37, v[22:23], off offset:32
	;; [unrolled: 1-line block ×8, first 2 shown]
	v_mfma_f32_16x16x16_bf16 a[4:7], v[38:39], v[24:25], a[4:7]
	ds_read_b64 v[18:19], v121 offset:6144
	s_waitcnt vmcnt(10)
	v_lshlrev_b32_e32 v30, 16, v148
	v_mov_b32_e32 v148, 0
	v_mfma_f32_16x16x16_bf16 a[8:11], v[38:39], v[28:29], a[8:11]
	v_mfma_f32_16x16x16_bf16 a[12:15], v[38:39], v[32:33], a[12:15]
	;; [unrolled: 1-line block ×3, first 2 shown]
	global_load_ushort v38, v[22:23], off offset:352
	global_load_ushort v39, v[22:23], off offset:96
	ds_read_b64 v[20:21], v122 offset:6144
	ds_read_b64 v[24:25], v123 offset:6144
	;; [unrolled: 1-line block ×3, first 2 shown]
	global_load_ushort v157, v[22:23], off offset:864
	global_load_ushort v158, v[22:23], off offset:608
	s_load_dword s2, s[2:3], 0x0
	s_waitcnt lgkmcnt(0)
	v_mfma_f32_16x16x16_bf16 a[4:7], v[40:41], v[18:19], a[4:7]
	v_sub_f32_e32 v28, s2, v42
	v_mfma_f32_16x16x16_bf16 a[0:3], v[40:41], v[26:27], a[0:3]
	v_sub_f32_e32 v26, s2, v35
	v_sub_f32_e32 v27, s2, v34
	;; [unrolled: 1-line block ×3, first 2 shown]
	v_mul_f32_e32 v26, 0x3fb8aa3b, v26
	v_mul_f32_e32 v27, 0x3fb8aa3b, v27
	;; [unrolled: 1-line block ×4, first 2 shown]
	v_mfma_f32_16x16x16_bf16 a[8:11], v[40:41], v[20:21], a[8:11]
	v_exp_f32_e32 v26, v26
	v_exp_f32_e32 v27, v27
	;; [unrolled: 1-line block ×4, first 2 shown]
	v_accvgpr_read_b32 v33, a5
	v_accvgpr_read_b32 v32, a4
	;; [unrolled: 1-line block ×4, first 2 shown]
	v_pk_add_f32 v[30:31], v[30:31], v[32:33] neg_lo:[0,1] neg_hi:[0,1]
	s_waitcnt vmcnt(13)
	v_lshlrev_b32_e32 v33, 16, v149
	s_waitcnt vmcnt(12)
	v_lshlrev_b32_e32 v32, 16, v150
	v_pk_add_f32 v[18:19], v[32:33], v[18:19] neg_lo:[0,1] neg_hi:[0,1]
	v_pk_mul_f32 v[30:31], v[26:27], v[30:31]
	v_pk_mul_f32 v[18:19], v[28:29], v[18:19]
	v_accvgpr_read_b32 v33, a9
	v_perm_b32 v19, v19, v18, s35
	v_perm_b32 v18, v31, v30, s35
	v_accvgpr_read_b32 v32, a8
	v_accvgpr_read_b32 v21, a11
	v_mfma_f32_16x16x16_bf16 a[12:15], v[40:41], v[24:25], a[12:15]
	v_accvgpr_read_b32 v20, a10
	v_accvgpr_read_b32 v25, a3
	;; [unrolled: 1-line block ×3, first 2 shown]
	s_waitcnt vmcnt(11)
	v_lshlrev_b32_e32 v31, 16, v36
	s_waitcnt vmcnt(10)
	v_lshlrev_b32_e32 v30, 16, v37
	v_pk_add_f32 v[30:31], v[30:31], v[32:33] neg_lo:[0,1] neg_hi:[0,1]
	s_waitcnt vmcnt(9)
	v_lshlrev_b32_e32 v33, 16, v151
	s_waitcnt vmcnt(8)
	v_lshlrev_b32_e32 v32, 16, v152
	v_pk_add_f32 v[20:21], v[32:33], v[20:21] neg_lo:[0,1] neg_hi:[0,1]
	v_pk_mul_f32 v[30:31], v[26:27], v[30:31]
	v_pk_mul_f32 v[20:21], v[28:29], v[20:21]
	v_accvgpr_read_b32 v23, a15
	v_perm_b32 v21, v21, v20, s35
	v_perm_b32 v20, v31, v30, s35
	ds_write2_b64 v98, v[18:19], v[20:21] offset1:16
	v_accvgpr_read_b32 v21, a13
	s_waitcnt vmcnt(7)
	v_lshlrev_b32_e32 v19, 16, v153
	s_waitcnt vmcnt(6)
	v_lshlrev_b32_e32 v18, 16, v154
	v_accvgpr_read_b32 v20, a12
	v_accvgpr_read_b32 v22, a14
	v_pk_add_f32 v[18:19], v[18:19], v[20:21] neg_lo:[0,1] neg_hi:[0,1]
	s_waitcnt vmcnt(5)
	v_lshlrev_b32_e32 v21, 16, v155
	s_waitcnt vmcnt(4)
	v_lshlrev_b32_e32 v20, 16, v156
	v_pk_add_f32 v[20:21], v[20:21], v[22:23] neg_lo:[0,1] neg_hi:[0,1]
	v_pk_mul_f32 v[18:19], v[26:27], v[18:19]
	v_pk_mul_f32 v[20:21], v[28:29], v[20:21]
	v_accvgpr_read_b32 v23, a1
	v_perm_b32 v21, v21, v20, s35
	v_perm_b32 v20, v19, v18, s35
	s_waitcnt vmcnt(3)
	v_lshlrev_b32_e32 v19, 16, v38
	s_waitcnt vmcnt(2)
	v_lshlrev_b32_e32 v18, 16, v39
	v_accvgpr_read_b32 v22, a0
	v_pk_add_f32 v[18:19], v[18:19], v[22:23] neg_lo:[0,1] neg_hi:[0,1]
	s_waitcnt vmcnt(1)
	v_lshlrev_b32_e32 v23, 16, v157
	s_waitcnt vmcnt(0)
	v_lshlrev_b32_e32 v22, 16, v158
	v_pk_add_f32 v[22:23], v[22:23], v[24:25] neg_lo:[0,1] neg_hi:[0,1]
	v_pk_mul_f32 v[18:19], v[26:27], v[18:19]
	v_pk_mul_f32 v[22:23], v[28:29], v[22:23]
	v_mov_b32_e32 v24, 0
	v_perm_b32 v23, v23, v22, s35
	v_perm_b32 v22, v19, v18, s35
	ds_write2_b64 v98, v[20:21], v[22:23] offset0:32 offset1:48
	v_mov_b32_e32 v18, 0
	v_mov_b32_e32 v19, 0
	v_mov_b32_e32 v20, 0
	v_mov_b32_e32 v21, 0
	v_mov_b32_e32 v22, 0
	v_mov_b32_e32 v23, 0
	v_mov_b32_e32 v25, 0
	v_mov_b32_e32 v26, 0
	v_mov_b32_e32 v27, 0
	v_mov_b32_e32 v28, 0
	v_mov_b32_e32 v29, 0
	v_mov_b32_e32 v30, 0
	v_mov_b32_e32 v31, 0
	v_mov_b32_e32 v32, 0
	v_mov_b32_e32 v33, 0
	s_cbranch_vccnz .LBB224_14
; %bb.13:                               ;   in Loop: Header=BB224_6 Depth=1
	s_and_b32 s25, s25, 0xffff
	s_mov_b32 s27, s23
	buffer_load_dwordx4 v[30:33], v131, s[24:27], 0 offen
	buffer_load_dwordx4 v[22:25], v131, s[24:27], s56 offen
	;; [unrolled: 1-line block ×4, first 2 shown]
	v_mov_b32_e32 v147, v92
	v_mov_b32_e32 v148, v91
.LBB224_14:                             ;   in Loop: Header=BB224_6 Depth=1
	s_waitcnt lgkmcnt(0)
	s_barrier
	ds_read_b64 v[42:43], v136
	ds_read2_b64 v[34:37], v127 offset1:16
	ds_read_b64 v[166:167], v137
	ds_read_b64 v[168:169], v138
	;; [unrolled: 1-line block ×3, first 2 shown]
	ds_read2_b64 v[38:41], v127 offset0:32 offset1:48
	ds_read2st64_b64 v[150:153], v127 offset0:4 offset1:8
	ds_read2st64_b64 v[154:157], v128 offset0:4 offset1:8
	;; [unrolled: 1-line block ×4, first 2 shown]
	s_waitcnt lgkmcnt(8)
	v_mfma_f32_16x16x16_bf16 a[0:3], v[42:43], v[34:35], 0
	s_add_i32 s3, s50, s65
	s_mul_hi_i32 s21, s3, s13
	s_mul_i32 s3, s3, s13
	v_mfma_f32_16x16x16_bf16 a[4:7], v[42:43], v[36:37], 0
	s_add_u32 s20, s3, s33
	s_addc_u32 s21, s21, s54
	s_add_i32 s3, s31, s58
	s_waitcnt lgkmcnt(4)
	v_mfma_f32_16x16x16_bf16 a[8:11], v[42:43], v[38:39], 0
	s_lshl_b64 s[20:21], s[20:21], 15
	s_mul_hi_i32 s25, s3, s13
	s_mul_i32 s3, s3, s13
	v_mfma_f32_16x16x16_bf16 a[12:15], v[42:43], v[40:41], 0
	ds_read_b64 v[42:43], v127 offset:6144
	ds_read_b64 v[178:179], v128 offset:6144
	;; [unrolled: 1-line block ×4, first 2 shown]
	s_add_u32 s24, s3, s33
	s_waitcnt lgkmcnt(7)
	v_mfma_f32_16x16x16_bf16 a[0:3], v[166:167], v[150:151], a[0:3]
	s_addc_u32 s25, s25, s54
	s_lshl_b64 s[24:25], s[24:25], 9
	s_add_u32 s24, s40, s24
	s_waitcnt lgkmcnt(6)
	v_mfma_f32_16x16x16_bf16 a[4:7], v[166:167], v[154:155], a[4:7]
	s_addc_u32 s25, s41, s25
	v_lshl_add_u64 v[188:189], v[82:83], 0, s[20:21]
	s_waitcnt lgkmcnt(5)
	v_mfma_f32_16x16x16_bf16 a[8:11], v[166:167], v[158:159], a[8:11]
	s_waitcnt lgkmcnt(4)
	v_mfma_f32_16x16x16_bf16 a[12:15], v[166:167], v[162:163], a[12:15]
	ds_read_b64 v[166:167], v141
	ds_read_b64 v[176:177], v142
	;; [unrolled: 1-line block ×3, first 2 shown]
	s_waitcnt lgkmcnt(2)
	v_mfma_f32_16x16x16_bf16 a[16:19], v[166:167], v[34:35], 0
	v_mfma_f32_16x16x16_bf16 a[20:23], v[166:167], v[36:37], 0
	global_load_dwordx4 v[34:37], v140, s[24:25]
	v_mfma_f32_16x16x16_bf16 a[24:27], v[166:167], v[38:39], 0
	v_mfma_f32_16x16x16_bf16 a[28:31], v[166:167], v[40:41], 0
	global_load_dwordx4 v[38:41], v135, s[24:25]
	v_mfma_f32_16x16x16_bf16 a[0:3], v[168:169], v[152:153], a[0:3]
	v_mfma_f32_16x16x16_bf16 a[4:7], v[168:169], v[156:157], a[4:7]
	;; [unrolled: 1-line block ×8, first 2 shown]
	ds_read2st64_b64 v[166:169], v125 offset1:8
	ds_read2st64_b64 v[170:173], v126 offset1:8
	ds_read_b64 v[186:187], v133 offset:40960
	s_waitcnt lgkmcnt(2)
	v_mov_b32_e32 v174, v166
	v_mfma_f32_16x16x16_bf16 a[16:19], v[176:177], v[150:151], a[16:19]
	v_mov_b32_e32 v175, v167
	v_mfma_f32_16x16x16_bf16 a[20:23], v[176:177], v[154:155], a[20:23]
	v_mfma_f32_16x16x16_bf16 a[24:27], v[176:177], v[158:159], a[24:27]
	;; [unrolled: 1-line block ×3, first 2 shown]
	v_add_co_u32_e32 v162, vcc, s62, v188
	s_waitcnt lgkmcnt(1)
	v_mov_b32_e32 v176, v170
	s_waitcnt lgkmcnt(0)
	v_mfma_f32_16x16x16_bf16 a[16:19], v[186:187], v[152:153], a[16:19]
	ds_read2st64_b64 v[150:153], v125 offset0:16 offset1:24
	v_addc_co_u32_e32 v163, vcc, 0, v189, vcc
	v_mfma_f32_16x16x16_bf16 a[20:23], v[186:187], v[156:157], a[20:23]
	ds_read2st64_b64 v[154:157], v126 offset0:16 offset1:24
	v_mov_b32_e32 v177, v171
	v_mov_b32_e32 v170, v168
	v_mfma_f32_16x16x16_bf16 a[32:35], v[186:187], v[160:161], a[24:27]
	v_mov_b32_e32 v171, v169
	s_waitcnt lgkmcnt(0)
	v_mov_b32_e32 v160, v154
	v_mov_b32_e32 v161, v155
	v_mfma_f32_16x16x16_bf16 a[36:39], v[186:187], v[164:165], a[28:31]
	v_mov_b32_e32 v154, v152
	v_mov_b32_e32 v155, v153
	;; [unrolled: 1-line block ×3, first 2 shown]
	v_mfma_f32_16x16x16_bf16 a[24:27], v[184:185], v[42:43], a[16:19]
	v_add_co_u32_e32 v42, vcc, s63, v188
	v_mov_b32_e32 v159, v151
	v_mfma_f32_16x16x16_bf16 a[28:31], v[184:185], v[178:179], a[20:23]
	v_addc_co_u32_e32 v43, vcc, 0, v189, vcc
	global_store_dwordx4 v[42:43], v[154:157], off
	v_mfma_f32_16x16x16_bf16 a[16:19], v[184:185], v[180:181], a[32:35]
	s_waitcnt vmcnt(2)
	v_mov_b32_e32 v44, v37
	v_mov_b32_e32 v43, v36
	;; [unrolled: 1-line block ×3, first 2 shown]
	v_mfma_f32_16x16x16_bf16 a[20:23], v[184:185], v[182:183], a[36:39]
	s_and_b64 vcc, exec, s[0:1]
	global_store_dwordx4 v[188:189], v[174:177], off
	global_store_dwordx4 v[162:163], v[170:173], off offset:-4096
	global_store_dwordx4 v[162:163], v[158:161], off
	s_cbranch_vccnz .LBB224_16
; %bb.15:                               ;   in Loop: Header=BB224_6 Depth=1
	v_lshrrev_b32_e32 v35, 3, v147
	v_and_b32_e32 v35, 6, v35
	v_xor_b32_e32 v36, v35, v148
	v_lshlrev_b32_e32 v36, 2, v36
	v_and_b32_e32 v37, 8, v147
	v_xor_b32_e32 v147, 0x440, v36
	v_cmp_eq_u32_e32 vcc, 0, v37
	v_perm_b32 v37, v22, v18, s59
	s_nop 0
	v_cndmask_b32_e32 v36, v147, v36, vcc
	v_lshl_or_b32 v35, v35, 10, v36
	v_perm_b32 v36, v30, v26, s59
	s_barrier
	ds_write2st64_b32 v35, v36, v37 offset0:128 offset1:160
	v_xor_b32_e32 v36, 8, v35
	v_perm_b32 v26, v30, v26, s60
	v_perm_b32 v18, v22, v18, s60
	v_add_u32_e32 v22, 0x80, v36
	ds_write2st64_b32 v22, v26, v18 offset0:128 offset1:160
	v_xor_b32_e32 v18, 16, v35
	v_perm_b32 v22, v31, v27, s59
	v_perm_b32 v26, v23, v19, s59
	ds_write2st64_b32 v18, v22, v26 offset0:129 offset1:161
	v_xor_b32_e32 v18, 24, v35
	v_perm_b32 v22, v31, v27, s60
	v_perm_b32 v19, v23, v19, s60
	v_add_u32_e32 v18, 0x80, v18
	ds_write2st64_b32 v18, v22, v19 offset0:129 offset1:161
	v_xor_b32_e32 v18, 32, v35
	v_perm_b32 v19, v32, v28, s59
	v_perm_b32 v22, v24, v20, s59
	;; [unrolled: 9-line block ×3, first 2 shown]
	ds_write2st64_b32 v18, v19, v20 offset0:131 offset1:163
	v_xor_b32_e32 v18, 56, v35
	v_perm_b32 v19, v33, v29, s60
	v_perm_b32 v20, v25, v21, s60
	v_add_u32_e32 v18, 0x80, v18
	ds_write2st64_b32 v18, v19, v20 offset0:131 offset1:163
	ds_write_b64 v146, v[14:15] offset:49152
	v_xor_b32_e32 v14, 8, v146
	ds_write_b64 v14, v[16:17] offset:49152
	ds_write_b64 v146, v[10:11] offset:57344
	;; [unrolled: 1-line block ×4, first 2 shown]
	v_xor_b32_e32 v6, 8, v145
	ds_write_b64 v6, v[8:9] offset:49152
	ds_write_b64 v145, v[2:3] offset:57344
	;; [unrolled: 1-line block ×3, first 2 shown]
.LBB224_16:                             ;   in Loop: Header=BB224_6 Depth=1
	v_mul_f32_e32 v26, s2, v144
	v_exp_f32_e32 v36, v26
	s_waitcnt vmcnt(4)
	v_mul_f32_e32 v26, 0x3fb8aa3b, v38
	v_exp_f32_e32 v38, v26
	v_mul_f32_e32 v26, 0x3fb8aa3b, v39
	v_exp_f32_e32 v39, v26
	;; [unrolled: 2-line block ×4, first 2 shown]
	v_accvgpr_read_b32 v5, a3
	v_accvgpr_read_b32 v4, a2
	;; [unrolled: 1-line block ×4, first 2 shown]
	v_pk_mul_f32 v[38:39], v[36:37], v[38:39] op_sel_hi:[0,1]
	v_pk_mul_f32 v[40:41], v[36:37], v[40:41] op_sel_hi:[0,1]
	v_pk_fma_f32 v[74:75], v[74:75], v[38:39], v[2:3]
	v_pk_fma_f32 v[76:77], v[76:77], v[40:41], v[4:5]
	v_mul_f32_e32 v2, 0x3fb8aa3b, v34
	v_mul_f32_e32 v3, 0x3fb8aa3b, v42
	;; [unrolled: 1-line block ×4, first 2 shown]
	v_exp_f32_e32 v2, v2
	v_exp_f32_e32 v3, v3
	;; [unrolled: 1-line block ×4, first 2 shown]
	v_accvgpr_read_b32 v9, a7
	v_accvgpr_read_b32 v13, a11
	;; [unrolled: 1-line block ×28, first 2 shown]
	v_pk_mul_f32 v[2:3], v[36:37], v[2:3] op_sel_hi:[0,1]
	v_pk_mul_f32 v[4:5], v[36:37], v[4:5] op_sel_hi:[0,1]
	s_add_i32 s58, s58, 64
	v_pk_fma_f32 v[66:67], v[38:39], v[66:67], v[6:7]
	v_pk_fma_f32 v[68:69], v[40:41], v[68:69], v[8:9]
	;; [unrolled: 1-line block ×13, first 2 shown]
	s_cmp_eq_u32 s47, s64
	v_pk_fma_f32 v[50:51], v[4:5], v[50:51], v[32:33]
	s_cbranch_scc1 .LBB224_18
; %bb.17:                               ;   in Loop: Header=BB224_6 Depth=1
	s_mov_b32 s65, s64
	s_branch .LBB224_6
.LBB224_18:
	s_lshl_b32 s40, s47, 6
	s_sub_i32 s41, s12, s40
	s_cmp_gt_i32 s41, 0
	s_cbranch_scc0 .LBB224_99
; %bb.19:
	s_ashr_i32 s35, s48, 31
	s_ashr_i32 s2, s40, 31
	s_cmpk_lg_i32 s15, 0x80
	s_cselect_b64 s[26:27], -1, 0
	s_and_b64 vcc, exec, s[26:27]
	s_cbranch_vccz .LBB224_21
; %bb.20:
	s_mul_i32 s1, s48, s12
	s_mul_hi_i32 s0, s48, s12
	s_add_u32 s1, s1, s40
	s_addc_u32 s0, s0, s2
	s_mul_i32 s3, s1, s49
	s_mul_hi_u32 s20, s1, s14
	s_add_i32 s3, s20, s3
	s_mul_i32 s0, s0, s14
	s_add_i32 s3, s3, s0
	s_mul_i32 s1, s1, s14
	s_ashr_i32 s0, s52, 31
	s_add_u32 s38, s1, s52
	s_addc_u32 s39, s3, s0
	s_cbranch_execz .LBB224_22
	s_branch .LBB224_23
.LBB224_21:
                                        ; implicit-def: $sgpr38_sgpr39
.LBB224_22:
	s_mul_hi_i32 s0, s48, s14
	s_mul_i32 s48, s48, s14
	s_ashr_i32 s1, s52, 31
	s_add_u32 s3, s48, s52
	s_addc_u32 s0, s0, s1
	s_mul_i32 s1, s3, s46
	s_mul_hi_u32 s14, s3, s12
	s_add_i32 s1, s14, s1
	s_mul_i32 s0, s0, s12
	s_add_i32 s1, s1, s0
	s_mul_i32 s3, s3, s12
	s_add_u32 s38, s3, s40
	s_addc_u32 s39, s1, s2
.LBB224_23:
	s_add_i32 s3, s50, s47
	s_ashr_i32 s14, s33, 31
	s_add_u32 s0, s45, s33
	s_addc_u32 s1, s51, s14
	s_mul_i32 s20, s0, s46
	s_mul_hi_u32 s21, s0, s12
	s_add_i32 s20, s21, s20
	s_mul_i32 s1, s1, s12
	s_add_i32 s20, s20, s1
	s_mul_i32 s0, s0, s12
	s_add_u32 s0, s0, s40
	v_lshlrev_b32_e32 v6, 6, v89
	v_lshlrev_b32_e32 v24, 2, v45
	s_addc_u32 s1, s20, s2
	s_mov_b32 s2, 0x7060302
	v_or_b32_e32 v9, v6, v24
	v_xor_b32_e32 v7, v89, v24
	v_perm_b32 v3, v77, v76, s2
	v_perm_b32 v2, v75, v74, s2
	;; [unrolled: 1-line block ×4, first 2 shown]
	v_lshlrev_b32_e32 v9, 1, v9
	v_xor_b32_e32 v8, v90, v24
	ds_write2st64_b64 v9, v[2:3], v[4:5] offset0:32 offset1:48
	v_lshlrev_b32_e32 v7, 1, v7
	v_lshlrev_b32_e32 v9, 8, v45
	v_or_b32_e32 v10, v7, v9
	v_lshlrev_b32_e32 v8, 1, v8
	ds_write_b64 v10, v[2:3]
	v_or_b32_e32 v2, v8, v9
	v_or_b32_e32 v9, 16, v45
	v_lshlrev_b32_e32 v23, 2, v9
	v_or_b32_e32 v10, v6, v23
	ds_write_b64 v2, v[4:5]
	v_perm_b32 v3, v69, v68, s2
	v_perm_b32 v2, v67, v66, s2
	;; [unrolled: 1-line block ×4, first 2 shown]
	v_lshlrev_b32_e32 v10, 1, v10
	v_lshlrev_b32_e32 v9, 8, v9
	ds_write2st64_b64 v10, v[2:3], v[4:5] offset0:32 offset1:48
	v_or_b32_e32 v10, v7, v9
	ds_write_b64 v10, v[2:3]
	v_or_b32_e32 v2, v8, v9
	v_or_b32_e32 v9, 32, v45
	v_lshlrev_b32_e32 v22, 2, v9
	v_or_b32_e32 v10, v6, v22
	s_lshl_b64 s[24:25], s[0:1], 8
	ds_write_b64 v2, v[4:5]
	v_perm_b32 v3, v61, v60, s2
	v_perm_b32 v2, v59, v58, s2
	v_perm_b32 v5, v57, v56, s2
	v_perm_b32 v4, v55, v54, s2
	v_lshlrev_b32_e32 v10, 1, v10
	v_lshlrev_b32_e32 v9, 8, v9
	s_add_u32 s0, s6, s24
	ds_write2st64_b64 v10, v[2:3], v[4:5] offset0:32 offset1:48
	v_or_b32_e32 v10, v7, v9
	s_addc_u32 s1, s7, s25
	ds_write_b64 v10, v[2:3]
	v_or_b32_e32 v2, v8, v9
	v_or_b32_e32 v9, 48, v45
	s_mul_hi_i32 s6, s3, s13
	s_mul_i32 s3, s3, s13
	ds_write_b64 v2, v[4:5]
	v_perm_b32 v3, v47, v46, s2
	v_perm_b32 v2, v53, v52, s2
	;; [unrolled: 1-line block ×4, first 2 shown]
	v_lshlrev_b32_e32 v19, 2, v9
	s_add_u32 s2, s3, s33
	v_or_b32_e32 v6, v6, v19
	s_addc_u32 s3, s6, s14
	v_lshlrev_b32_e32 v6, 1, v6
	s_ashr_i32 s31, s30, 31
	s_lshl_b64 s[2:3], s[2:3], 15
	ds_write2st64_b64 v6, v[2:3], v[4:5] offset0:32 offset1:48
	v_lshlrev_b32_e32 v6, 8, v9
	s_add_u32 s6, s36, s2
	v_or_b32_e32 v7, v7, v6
	s_addc_u32 s7, s37, s3
	s_lshl_b64 s[2:3], s[30:31], 8
	ds_write_b64 v7, v[2:3]
	v_or_b32_e32 v2, v8, v6
	s_add_u32 s2, s6, s2
	v_lshlrev_b32_e32 v3, 1, v45
	ds_write_b64 v2, v[4:5]
	v_lshrrev_b32_e32 v2, 4, v0
	s_addc_u32 s3, s7, s3
	v_or_b32_e32 v4, 1, v3
	v_lshlrev_b32_e32 v10, 4, v45
	v_mov_b32_e32 v11, 0
	v_xor_b32_e32 v3, v2, v3
	v_xor_b32_e32 v6, v4, v2
	v_lshl_add_u64 v[12:13], s[2:3], 0, v[10:11]
	v_lshlrev_b32_e32 v10, 8, v2
	v_lshl_or_b32 v16, v3, 3, v10
	v_lshl_or_b32 v17, v6, 3, v10
	s_waitcnt lgkmcnt(0)
	s_barrier
	ds_read2st64_b64 v[2:5], v16 offset1:8
	ds_read2st64_b64 v[6:9], v17 offset1:8
	v_lshl_add_u64 v[14:15], v[12:13], 0, v[10:11]
	s_movk_i32 s2, 0x2000
	s_cmp_lg_u32 s41, 64
	s_waitcnt lgkmcnt(1)
	v_mov_b32_e32 v10, v2
	v_mov_b32_e32 v11, v3
	s_waitcnt lgkmcnt(0)
	v_mov_b32_e32 v12, v6
	v_mov_b32_e32 v13, v7
	global_store_dwordx4 v[14:15], v[10:13], off
	v_mov_b32_e32 v6, v4
	v_mov_b32_e32 v7, v5
	ds_read2st64_b64 v[2:5], v16 offset0:16 offset1:24
	ds_read2st64_b64 v[10:13], v17 offset0:16 offset1:24
	v_add_co_u32_e32 v16, vcc, s2, v14
	s_cselect_b64 s[6:7], -1, 0
	s_nop 0
	v_addc_co_u32_e32 v17, vcc, 0, v15, vcc
	global_store_dwordx4 v[16:17], v[6:9], off offset:-4096
	v_lshl_or_b32 v25, v85, 3, v88
	s_mov_b32 s20, 0
	s_waitcnt lgkmcnt(1)
	v_mov_b32_e32 v6, v2
	v_add_co_u32_e32 v2, vcc, 0x3000, v14
	v_mov_b32_e32 v7, v3
	s_nop 0
	v_addc_co_u32_e32 v3, vcc, 0, v15, vcc
	s_waitcnt lgkmcnt(0)
	v_mov_b32_e32 v8, v10
	v_mov_b32_e32 v9, v11
	v_mov_b32_e32 v10, v4
	v_mov_b32_e32 v11, v5
	v_or_b32_e32 v20, 32, v25
	v_and_b32_e32 v18, 56, v87
	s_and_b64 vcc, exec, s[6:7]
	global_store_dwordx4 v[16:17], v[6:9], off
	global_store_dwordx4 v[2:3], v[10:13], off
	s_cbranch_vccz .LBB224_29
; %bb.24:
	s_mov_b32 s21, s20
	s_mov_b32 s22, s20
	;; [unrolled: 1-line block ×3, first 2 shown]
	v_mov_b64_e32 v[6:7], s[20:21]
	v_mov_b64_e32 v[8:9], s[22:23]
	v_mov_b64_e32 v[2:3], v[6:7]
	v_cmp_gt_i32_e32 vcc, s41, v25
	v_mov_b64_e32 v[4:5], v[8:9]
	s_and_saveexec_b64 s[2:3], vcc
	s_cbranch_execz .LBB224_26
; %bb.25:
	v_lshlrev_b32_e32 v2, 8, v25
	v_mov_b32_e32 v3, 0
	v_lshl_add_u64 v[4:5], s[0:1], 0, v[2:3]
	v_lshlrev_b32_e32 v2, 1, v18
	v_lshl_add_u64 v[10:11], v[4:5], 0, v[2:3]
	global_load_dwordx4 v[6:9], v[10:11], off
	global_load_dwordx4 v[2:5], v[10:11], off offset:128
.LBB224_26:
	s_or_b64 exec, exec, s[2:3]
	s_mov_b32 s21, s20
	s_mov_b32 s22, s20
	;; [unrolled: 1-line block ×3, first 2 shown]
	v_mov_b64_e32 v[14:15], s[20:21]
	v_mov_b64_e32 v[16:17], s[22:23]
	;; [unrolled: 1-line block ×3, first 2 shown]
	v_cmp_gt_i32_e32 vcc, s41, v20
	v_lshlrev_b32_e32 v21, 7, v20
	v_mov_b64_e32 v[12:13], v[16:17]
	s_and_saveexec_b64 s[2:3], vcc
	s_cbranch_execz .LBB224_28
; %bb.27:
	v_lshlrev_b32_e32 v10, 1, v21
	v_mov_b32_e32 v11, 0
	v_lshl_add_u64 v[12:13], s[0:1], 0, v[10:11]
	v_lshlrev_b32_e32 v10, 1, v18
	v_lshl_add_u64 v[26:27], v[12:13], 0, v[10:11]
	global_load_dwordx4 v[14:17], v[26:27], off
	global_load_dwordx4 v[10:13], v[26:27], off offset:128
.LBB224_28:
	s_or_b64 exec, exec, s[2:3]
	v_lshrrev_b32_e32 v26, 3, v18
	v_lshlrev_b32_e32 v27, 3, v25
	v_or_b32_e32 v26, v27, v26
	v_lshlrev_b32_e32 v26, 4, v26
	v_and_b32_e32 v27, 0x78, v27
	v_xor_b32_e32 v26, v26, v27
	s_branch .LBB224_31
.LBB224_29:
                                        ; implicit-def: $vgpr26
                                        ; implicit-def: $vgpr21
                                        ; implicit-def: $vgpr6_vgpr7_vgpr8_vgpr9
                                        ; implicit-def: $vgpr2_vgpr3_vgpr4_vgpr5
                                        ; implicit-def: $vgpr14_vgpr15_vgpr16_vgpr17
                                        ; implicit-def: $vgpr10_vgpr11_vgpr12_vgpr13
	s_cbranch_execz .LBB224_31
; %bb.30:
	s_waitcnt vmcnt(0)
	v_lshlrev_b32_e32 v2, 1, v18
	v_lshl_or_b32 v21, v25, 8, v2
	s_and_b32 s1, s1, 0xffff
	s_mov_b32 s3, 0x20000
	s_movk_i32 s2, 0x4000
	v_lshl_or_b32 v26, v20, 8, v2
	s_movk_i32 s13, 0x80
	buffer_load_dwordx4 v[6:9], v21, s[0:3], 0 offen
	buffer_load_dwordx4 v[2:5], v21, s[0:3], s13 offen
	;; [unrolled: 1-line block ×4, first 2 shown]
	v_lshrrev_b32_e32 v21, 3, v18
	v_lshlrev_b32_e32 v26, 3, v25
	v_or_b32_e32 v21, v26, v21
	v_lshlrev_b32_e32 v21, 4, v21
	v_and_b32_e32 v26, 0x78, v26
	v_xor_b32_e32 v26, v21, v26
	v_lshlrev_b32_e32 v21, 7, v20
.LBB224_31:
	s_movk_i32 s0, 0x1000
	v_and_or_b32 v20, v21, s0, v26
	s_waitcnt vmcnt(1)
	ds_write_b64 v26, v[6:7] offset:49152
	v_xor_b32_e32 v6, 8, v26
	ds_write_b64 v6, v[8:9] offset:49152
	s_waitcnt vmcnt(0)
	ds_write_b64 v26, v[2:3] offset:57344
	ds_write_b64 v6, v[4:5] offset:57344
	;; [unrolled: 1-line block ×3, first 2 shown]
	v_xor_b32_e32 v2, 8, v20
	ds_write_b64 v2, v[16:17] offset:49152
	ds_write_b64 v20, v[10:11] offset:57344
	;; [unrolled: 1-line block ×3, first 2 shown]
	v_or_b32_e32 v2, v1, v45
	v_lshlrev_b32_e32 v3, 11, v85
	v_lshlrev_b32_e32 v2, 3, v2
	v_and_b32_e32 v6, 0x1000, v3
	v_lshrrev_b32_e32 v3, 5, v84
	s_movk_i32 s0, 0xf8
	v_and_or_b32 v3, v2, s0, v3
	v_lshlrev_b32_e32 v7, 4, v3
	v_and_b32_e32 v8, 0x78, v2
	v_or_b32_e32 v10, 32, v7
	v_lshrrev_b32_e32 v3, 1, v84
	v_xor_b32_e32 v10, v10, v8
	v_xor_b32_e32 v2, v7, v8
	v_and_b32_e32 v9, 8, v3
	v_or_b32_e32 v10, v10, v6
	v_or_b32_e32 v2, v2, v6
	v_xor_b32_e32 v28, v10, v9
	v_or_b32_e32 v10, 64, v7
	v_xor_b32_e32 v27, v2, v9
	v_xor_b32_e32 v10, v10, v8
	s_waitcnt lgkmcnt(0)
	s_barrier
	v_or_b32_e32 v13, v10, v6
	ds_read_b64 v[10:11], v27 offset:49152
	v_lshl_or_b32 v14, v86, 8, v24
	v_lshlrev_b32_e32 v26, 1, v14
	v_add_u32_e32 v12, 0x4000, v26
	ds_read2_b64 v[2:5], v12 offset1:16
	v_or_b32_e32 v7, 0x60, v7
	v_xor_b32_e32 v7, v7, v8
	v_or_b32_e32 v6, v7, v6
	v_xor_b32_e32 v29, v13, v9
	v_xor_b32_e32 v30, v6, v9
	ds_read_b64 v[20:21], v28 offset:49152
	ds_read_b64 v[34:35], v29 offset:49152
	ds_read_b64 v[36:37], v30 offset:49152
	s_waitcnt lgkmcnt(3)
	v_mfma_f32_16x16x16_bf16 a[0:3], v[10:11], v[2:3], 0
	ds_read2_b64 v[6:9], v12 offset0:32 offset1:48
	s_lshl_b64 s[0:1], s[38:39], 8
	s_add_u32 s4, s4, s0
	v_mfma_f32_16x16x16_bf16 a[4:7], v[10:11], v[4:5], 0
	ds_read2st64_b64 v[2:5], v26 offset0:36 offset1:40
	s_addc_u32 s5, s5, s1
	s_add_i32 s2, s12, -1
	s_waitcnt lgkmcnt(1)
	v_mfma_f32_16x16x16_bf16 a[8:11], v[10:11], v[6:7], 0
	v_or_b32_e32 v6, 64, v14
	v_lshlrev_b32_e32 v31, 1, v6
	s_add_i32 s0, s44, s17
	s_waitcnt lgkmcnt(0)
	v_mfma_f32_16x16x16_bf16 a[0:3], v[20:21], v[2:3], a[0:3]
	v_or_b32_e32 v2, 0x80, v14
	v_lshlrev_b32_e32 v32, 1, v2
	v_or_b32_e32 v2, 0xc0, v14
	v_mfma_f32_16x16x16_bf16 a[12:15], v[10:11], v[8:9], 0
	ds_read2st64_b64 v[6:9], v31 offset0:36 offset1:40
	v_lshlrev_b32_e32 v33, 1, v2
	ds_read2st64_b64 v[10:13], v32 offset0:36 offset1:40
	ds_read2st64_b64 v[14:17], v33 offset0:36 offset1:40
	s_mul_i32 s35, s35, s16
	s_add_i32 s35, s0, s35
	s_mul_i32 s0, s33, s19
	s_mul_hi_u32 s1, s33, s18
	s_ashr_i32 s3, s2, 31
	s_mul_i32 s12, s2, s29
	s_mul_hi_u32 s13, s2, s28
	s_waitcnt lgkmcnt(2)
	v_mfma_f32_16x16x16_bf16 a[4:7], v[20:21], v[6:7], a[4:7]
	s_add_i32 s0, s1, s0
	s_mul_i32 s1, s14, s18
	s_add_i32 s12, s13, s12
	s_mul_i32 s3, s3, s28
	s_waitcnt lgkmcnt(1)
	v_mfma_f32_16x16x16_bf16 a[8:11], v[20:21], v[10:11], a[8:11]
	s_add_i32 s1, s0, s1
	s_add_i32 s3, s12, s3
	s_lshl_b64 s[12:13], s[34:35], 2
	s_waitcnt lgkmcnt(0)
	v_mfma_f32_16x16x16_bf16 a[12:15], v[20:21], v[14:15], a[12:15]
	s_mul_i32 s0, s33, s18
	s_add_u32 s10, s10, s12
	s_addc_u32 s11, s11, s13
	s_lshl_b64 s[0:1], s[0:1], 2
	v_mfma_f32_16x16x16_bf16 a[0:3], v[34:35], v[4:5], a[0:3]
	s_mul_i32 s2, s2, s28
	ds_read_b64 v[2:3], v26 offset:22528
	s_add_u32 s10, s10, s0
	v_mfma_f32_16x16x16_bf16 a[4:7], v[34:35], v[8:9], a[4:7]
	ds_read_b64 v[4:5], v31 offset:22528
	ds_read_b64 v[6:7], v32 offset:22528
	ds_read_b64 v[8:9], v33 offset:22528
	s_addc_u32 s11, s11, s1
	s_lshl_b64 s[0:1], s[2:3], 2
	v_mfma_f32_16x16x16_bf16 a[8:11], v[34:35], v[12:13], a[8:11]
	s_add_u32 s0, s10, s0
	s_addc_u32 s1, s11, s1
	s_load_dword s12, s[0:1], 0x0
	v_mfma_f32_16x16x16_bf16 a[12:15], v[34:35], v[16:17], a[12:15]
	s_and_b64 vcc, exec, s[26:27]
	s_waitcnt lgkmcnt(0)
	v_mfma_f32_16x16x16_bf16 a[0:3], v[36:37], v[2:3], a[0:3]
	v_mfma_f32_16x16x16_bf16 a[4:7], v[36:37], v[4:5], a[4:7]
	;; [unrolled: 1-line block ×4, first 2 shown]
	s_cbranch_vccz .LBB224_42
; %bb.32:
	v_lshlrev_b32_e32 v20, 1, v25
	s_and_b64 vcc, exec, s[6:7]
	s_cbranch_vccz .LBB224_43
; %bb.33:
	v_cmp_gt_i32_e32 vcc, s41, v20
	v_mov_b32_e32 v6, 0
	v_mov_b32_e32 v2, 0
	;; [unrolled: 1-line block ×5, first 2 shown]
	s_and_saveexec_b64 s[0:1], vcc
	s_cbranch_execz .LBB224_35
; %bb.34:
	v_mad_i64_i32 v[2:3], s[2:3], s15, v20, 0
	v_lshl_add_u64 v[2:3], v[2:3], 1, s[4:5]
	v_lshlrev_b32_e32 v4, 1, v18
	v_mov_b32_e32 v5, 0
	v_lshl_add_u64 v[2:3], v[2:3], 0, v[4:5]
	global_load_dwordx4 v[2:5], v[2:3], off
.LBB224_35:
	s_or_b64 exec, exec, s[0:1]
	v_or_b32_e32 v21, 1, v20
	v_cmp_gt_i32_e64 s[0:1], s41, v21
	v_mov_b32_e32 v7, 0
	v_mov_b32_e32 v8, 0
	;; [unrolled: 1-line block ×3, first 2 shown]
	s_and_saveexec_b64 s[2:3], s[0:1]
	s_cbranch_execz .LBB224_37
; %bb.36:
	v_mad_i64_i32 v[6:7], s[16:17], s15, v21, 0
	v_lshl_add_u64 v[6:7], v[6:7], 1, s[4:5]
	v_lshlrev_b32_e32 v8, 1, v18
	v_mov_b32_e32 v9, 0
	v_lshl_add_u64 v[6:7], v[6:7], 0, v[8:9]
	global_load_dwordx4 v[6:9], v[6:7], off
.LBB224_37:
	s_or_b64 exec, exec, s[2:3]
	v_mov_b32_e32 v17, 0
	v_mov_b32_e32 v10, 0
	;; [unrolled: 1-line block ×5, first 2 shown]
	s_and_saveexec_b64 s[2:3], vcc
	s_cbranch_execz .LBB224_39
; %bb.38:
	v_mad_i64_i32 v[10:11], s[16:17], s15, v20, 0
	v_lshl_add_u64 v[10:11], v[10:11], 1, s[4:5]
	v_lshlrev_b32_e32 v12, 1, v18
	v_mov_b32_e32 v13, 0
	v_lshl_add_u64 v[10:11], v[10:11], 0, v[12:13]
	global_load_dwordx4 v[10:13], v[10:11], off offset:128
.LBB224_39:
	s_or_b64 exec, exec, s[2:3]
	v_mov_b32_e32 v16, 0
	v_mov_b32_e32 v15, 0
	;; [unrolled: 1-line block ×3, first 2 shown]
	s_and_saveexec_b64 s[2:3], s[0:1]
	s_cbranch_execz .LBB224_41
; %bb.40:
	v_mad_i64_i32 v[14:15], s[0:1], s15, v21, 0
	v_lshl_add_u64 v[14:15], v[14:15], 1, s[4:5]
	v_lshlrev_b32_e32 v16, 1, v18
	v_mov_b32_e32 v17, 0
	v_lshl_add_u64 v[14:15], v[14:15], 0, v[16:17]
	global_load_dwordx4 v[14:17], v[14:15], off offset:128
.LBB224_41:
	s_or_b64 exec, exec, s[2:3]
	s_branch .LBB224_45
.LBB224_42:
                                        ; implicit-def: $vgpr5
                                        ; implicit-def: $vgpr9
                                        ; implicit-def: $vgpr13
                                        ; implicit-def: $vgpr17
	v_lshrrev_b32_e32 v34, 2, v84
	s_branch .LBB224_46
.LBB224_43:
                                        ; implicit-def: $vgpr5
                                        ; implicit-def: $vgpr9
                                        ; implicit-def: $vgpr13
                                        ; implicit-def: $vgpr17
	s_cbranch_execz .LBB224_45
; %bb.44:
	s_waitcnt vmcnt(0)
	v_mad_u64_u32 v[2:3], s[0:1], v20, s15, v[18:19]
	v_lshlrev_b32_e32 v20, 1, v2
	s_lshl_b32 s2, s15, 7
	s_and_b32 s1, s5, 0xffff
	s_mov_b32 s3, 0x20000
	s_mov_b32 s0, s4
	v_add_lshl_u32 v21, v2, s15, 1
	s_movk_i32 s13, 0x80
	buffer_load_dwordx4 v[2:5], v20, s[0:3], 0 offen
	buffer_load_dwordx4 v[10:13], v20, s[0:3], s13 offen
	;; [unrolled: 1-line block ×4, first 2 shown]
.LBB224_45:
	v_lshrrev_b32_e32 v34, 2, v84
	s_cbranch_execnz .LBB224_58
.LBB224_46:
	s_and_b64 vcc, exec, s[6:7]
	s_cbranch_vccz .LBB224_56
; %bb.47:
	s_waitcnt vmcnt(0)
	v_lshlrev_b32_e32 v7, 1, v25
	v_cmp_gt_i32_e32 vcc, s41, v7
	v_mov_b32_e32 v6, 0
	v_lshlrev_b32_e32 v14, 9, v25
	v_mov_b32_e32 v2, 0
	v_mov_b32_e32 v3, 0
	;; [unrolled: 1-line block ×4, first 2 shown]
	s_and_saveexec_b64 s[0:1], vcc
	s_cbranch_execz .LBB224_49
; %bb.48:
	v_mov_b32_e32 v15, 0
	v_lshl_add_u64 v[2:3], s[4:5], 0, v[14:15]
	v_lshlrev_b32_e32 v4, 1, v18
	v_mov_b32_e32 v5, v15
	v_lshl_add_u64 v[2:3], v[2:3], 0, v[4:5]
	global_load_dwordx4 v[2:5], v[2:3], off
.LBB224_49:
	s_or_b64 exec, exec, s[0:1]
	v_or_b32_e32 v7, 1, v7
	v_cmp_gt_i32_e64 s[0:1], s41, v7
	v_lshlrev_b32_e32 v20, 8, v7
	v_mov_b32_e32 v7, 0
	v_mov_b32_e32 v8, 0
	;; [unrolled: 1-line block ×3, first 2 shown]
	s_and_saveexec_b64 s[2:3], s[0:1]
	s_cbranch_execz .LBB224_51
; %bb.50:
	v_mov_b32_e32 v21, 0
	v_lshl_add_u64 v[6:7], s[4:5], 0, v[20:21]
	v_lshlrev_b32_e32 v8, 1, v18
	v_mov_b32_e32 v9, v21
	v_lshl_add_u64 v[6:7], v[6:7], 0, v[8:9]
	global_load_dwordx4 v[6:9], v[6:7], off
.LBB224_51:
	s_or_b64 exec, exec, s[2:3]
	v_mov_b32_e32 v17, 0
	v_mov_b32_e32 v10, 0
	;; [unrolled: 1-line block ×5, first 2 shown]
	s_and_saveexec_b64 s[2:3], vcc
	s_cbranch_execz .LBB224_53
; %bb.52:
	v_mov_b32_e32 v15, 0
	v_lshl_add_u64 v[10:11], s[4:5], 0, v[14:15]
	v_lshlrev_b32_e32 v14, 1, v18
	v_lshl_add_u64 v[10:11], v[10:11], 0, v[14:15]
	global_load_dwordx4 v[10:13], v[10:11], off offset:128
.LBB224_53:
	s_or_b64 exec, exec, s[2:3]
	v_mov_b32_e32 v16, 0
	v_mov_b32_e32 v15, 0
	;; [unrolled: 1-line block ×3, first 2 shown]
	s_and_saveexec_b64 s[2:3], s[0:1]
	s_cbranch_execz .LBB224_55
; %bb.54:
	v_mov_b32_e32 v21, 0
	v_lshl_add_u64 v[14:15], s[4:5], 0, v[20:21]
	v_lshlrev_b32_e32 v20, 1, v18
	v_lshl_add_u64 v[14:15], v[14:15], 0, v[20:21]
	global_load_dwordx4 v[14:17], v[14:15], off offset:128
.LBB224_55:
	s_or_b64 exec, exec, s[2:3]
	s_branch .LBB224_58
.LBB224_56:
                                        ; implicit-def: $vgpr5
                                        ; implicit-def: $vgpr9
                                        ; implicit-def: $vgpr13
                                        ; implicit-def: $vgpr17
	s_cbranch_execz .LBB224_58
; %bb.57:
	s_waitcnt vmcnt(0)
	v_lshlrev_b32_e32 v2, 1, v18
	v_lshl_or_b32 v18, v25, 9, v2
	s_and_b32 s5, s5, 0xffff
	s_mov_b32 s7, 0x20000
	s_movk_i32 s6, 0x4000
	s_movk_i32 s0, 0x80
	buffer_load_dwordx4 v[2:5], v18, s[4:7], 0 offen
	buffer_load_dwordx4 v[6:9], v18, s[4:7], 0 offen offset:256
	buffer_load_dwordx4 v[10:13], v18, s[4:7], s0 offen
	buffer_load_dwordx4 v[14:17], v18, s[4:7], s0 offen offset:256
.LBB224_58:
	ds_read_b64 v[20:21], v27 offset:57344
	v_add_u32_e32 v18, 0x6000, v26
	ds_read2_b64 v[36:39], v18 offset1:16
	ds_read_b64 v[54:55], v28 offset:57344
	ds_read_b64 v[28:29], v29 offset:57344
	;; [unrolled: 1-line block ×3, first 2 shown]
	ds_read2st64_b64 v[40:43], v26 offset0:52 offset1:56
	s_mov_b32 s0, 0x1000504
	s_mov_b32 s1, 0x3020706
	s_waitcnt lgkmcnt(4)
	v_mfma_f32_16x16x16_bf16 a[0:3], v[20:21], v[36:37], a[0:3]
	v_mfma_f32_16x16x16_bf16 a[4:7], v[20:21], v[38:39], a[4:7]
	ds_read2_b64 v[36:39], v18 offset0:32 offset1:48
	v_and_b32_e32 v18, 6, v0
	v_xor_b32_e32 v25, v25, v18
	s_waitcnt lgkmcnt(0)
	v_mfma_f32_16x16x16_bf16 a[8:11], v[20:21], v[36:37], a[8:11]
	v_lshlrev_b32_e32 v25, 2, v25
	v_and_b32_e32 v0, 1, v0
	v_xor_b32_e32 v35, 0x440, v25
	v_mfma_f32_16x16x16_bf16 a[12:15], v[20:21], v[38:39], a[12:15]
	ds_read2st64_b64 v[36:39], v31 offset0:52 offset1:56
	ds_read2st64_b64 v[46:49], v32 offset0:52 offset1:56
	;; [unrolled: 1-line block ×3, first 2 shown]
	v_cmp_eq_u32_e32 vcc, 0, v0
	ds_read_b64 v[20:21], v26 offset:30720
	ds_read_b64 v[26:27], v31 offset:30720
	;; [unrolled: 1-line block ×4, first 2 shown]
	v_mfma_f32_16x16x16_bf16 a[0:3], v[54:55], v[40:41], a[0:3]
	v_cndmask_b32_e32 v0, v35, v25, vcc
	v_lshl_or_b32 v0, v18, 10, v0
	s_waitcnt vmcnt(0)
	v_perm_b32 v18, v2, v6, s0
	s_waitcnt lgkmcnt(6)
	v_mfma_f32_16x16x16_bf16 a[4:7], v[54:55], v[36:37], a[4:7]
	v_perm_b32 v25, v10, v14, s0
	ds_write2st64_b32 v0, v18, v25 offset0:128 offset1:160
	v_xor_b32_e32 v18, 8, v0
	s_waitcnt lgkmcnt(6)
	v_mfma_f32_16x16x16_bf16 a[8:11], v[54:55], v[46:47], a[8:11]
	v_perm_b32 v2, v2, v6, s1
	v_perm_b32 v6, v10, v14, s1
	v_add_u32_e32 v10, 0x80, v18
	s_waitcnt lgkmcnt(5)
	v_mfma_f32_16x16x16_bf16 a[12:15], v[54:55], v[50:51], a[12:15]
	ds_write2st64_b32 v10, v2, v6 offset0:128 offset1:160
	v_xor_b32_e32 v2, 16, v0
	v_perm_b32 v6, v3, v7, s0
	v_mfma_f32_16x16x16_bf16 a[0:3], v[28:29], v[42:43], a[0:3]
	v_perm_b32 v10, v11, v15, s0
	ds_write2st64_b32 v2, v6, v10 offset0:129 offset1:161
	v_xor_b32_e32 v2, 24, v0
	v_mfma_f32_16x16x16_bf16 a[4:7], v[28:29], v[38:39], a[4:7]
	v_perm_b32 v3, v3, v7, s1
	v_perm_b32 v6, v11, v15, s1
	v_add_u32_e32 v2, 0x80, v2
	v_mfma_f32_16x16x16_bf16 a[16:19], v[28:29], v[48:49], a[8:11]
	ds_write2st64_b32 v2, v3, v6 offset0:129 offset1:161
	v_xor_b32_e32 v2, 32, v0
	v_perm_b32 v3, v4, v8, s0
	v_mfma_f32_16x16x16_bf16 a[20:23], v[28:29], v[52:53], a[12:15]
	v_perm_b32 v6, v12, v16, s0
	ds_write2st64_b32 v2, v3, v6 offset0:130 offset1:162
	v_xor_b32_e32 v2, 40, v0
	s_waitcnt lgkmcnt(8)
	v_mfma_f32_16x16x16_bf16 a[12:15], v[56:57], v[20:21], a[0:3]
	v_perm_b32 v3, v4, v8, s1
	v_perm_b32 v4, v12, v16, s1
	v_add_u32_e32 v2, 0x80, v2
	s_waitcnt lgkmcnt(7)
	v_mfma_f32_16x16x16_bf16 a[8:11], v[56:57], v[26:27], a[4:7]
	ds_write2st64_b32 v2, v3, v4 offset0:130 offset1:162
	v_xor_b32_e32 v2, 48, v0
	v_perm_b32 v3, v5, v9, s0
	s_waitcnt lgkmcnt(7)
	v_mfma_f32_16x16x16_bf16 a[4:7], v[56:57], v[30:31], a[16:19]
	v_perm_b32 v4, v13, v17, s0
	v_xor_b32_e32 v0, 56, v0
	v_and_or_b32 v18, v34, 12, v1
	s_waitcnt lgkmcnt(6)
	v_mfma_f32_16x16x16_bf16 a[0:3], v[56:57], v[32:33], a[20:23]
	ds_write2st64_b32 v2, v3, v4 offset0:131 offset1:163
	v_perm_b32 v2, v5, v9, s1
	v_perm_b32 v3, v13, v17, s1
	v_add_u32_e32 v0, 0x80, v0
	v_cmp_gt_i32_e32 vcc, s41, v18
	v_mov_b32_e32 v14, 0
	v_mov_b32_e32 v16, 0
	ds_write2st64_b32 v0, v2, v3 offset0:131 offset1:163
	s_and_saveexec_b64 s[0:1], vcc
	s_cbranch_execz .LBB224_60
; %bb.59:
	v_add_u32_e32 v0, s40, v18
	v_ashrrev_i32_e32 v1, 31, v0
	v_mul_lo_u32 v2, v1, s28
	v_mul_lo_u32 v3, v0, s29
	v_mad_u64_u32 v[0:1], s[2:3], v0, s28, 0
	v_add3_u32 v1, v1, v3, v2
	v_lshl_add_u64 v[0:1], v[0:1], 2, s[10:11]
	global_load_dword v0, v[0:1], off
	s_waitcnt vmcnt(0)
	v_sub_f32_e32 v0, s12, v0
	v_mul_f32_e32 v0, 0x3fb8aa3b, v0
	v_exp_f32_e32 v16, v0
.LBB224_60:
	s_or_b64 exec, exec, s[0:1]
	v_or_b32_e32 v8, 1, v18
	v_cmp_gt_i32_e64 s[0:1], s41, v8
	s_and_saveexec_b64 s[2:3], s[0:1]
	s_cbranch_execz .LBB224_62
; %bb.61:
	v_add_u32_e32 v0, s40, v8
	v_ashrrev_i32_e32 v1, 31, v0
	v_mul_lo_u32 v2, v1, s28
	v_mul_lo_u32 v3, v0, s29
	v_mad_u64_u32 v[0:1], s[4:5], v0, s28, 0
	v_add3_u32 v1, v1, v3, v2
	v_lshl_add_u64 v[0:1], v[0:1], 2, s[10:11]
	global_load_dword v0, v[0:1], off
	s_waitcnt vmcnt(0)
	v_sub_f32_e32 v0, s12, v0
	v_mul_f32_e32 v0, 0x3fb8aa3b, v0
	v_exp_f32_e32 v14, v0
.LBB224_62:
	s_or_b64 exec, exec, s[2:3]
	v_or_b32_e32 v10, 2, v18
	v_cmp_gt_i32_e64 s[2:3], s41, v10
	v_mov_b32_e32 v15, 0
	v_mov_b32_e32 v17, 0
	s_and_saveexec_b64 s[4:5], s[2:3]
	s_cbranch_execz .LBB224_64
; %bb.63:
	v_add_u32_e32 v0, s40, v10
	v_ashrrev_i32_e32 v1, 31, v0
	v_mul_lo_u32 v2, v1, s28
	v_mul_lo_u32 v3, v0, s29
	v_mad_u64_u32 v[0:1], s[6:7], v0, s28, 0
	v_add3_u32 v1, v1, v3, v2
	v_lshl_add_u64 v[0:1], v[0:1], 2, s[10:11]
	global_load_dword v0, v[0:1], off
	s_waitcnt vmcnt(0)
	v_sub_f32_e32 v0, s12, v0
	v_mul_f32_e32 v0, 0x3fb8aa3b, v0
	v_exp_f32_e32 v17, v0
.LBB224_64:
	s_or_b64 exec, exec, s[4:5]
	v_or_b32_e32 v12, 3, v18
	v_cmp_gt_i32_e64 s[4:5], s41, v12
	s_and_saveexec_b64 s[6:7], s[4:5]
	s_cbranch_execz .LBB224_66
; %bb.65:
	v_add_u32_e32 v0, s40, v12
	v_ashrrev_i32_e32 v1, 31, v0
	v_mul_lo_u32 v2, v1, s28
	v_mul_lo_u32 v3, v0, s29
	v_mad_u64_u32 v[0:1], s[14:15], v0, s28, 0
	v_add3_u32 v1, v1, v3, v2
	v_lshl_add_u64 v[0:1], v[0:1], 2, s[10:11]
	global_load_dword v0, v[0:1], off
	s_waitcnt vmcnt(0)
	v_sub_f32_e32 v0, s12, v0
	v_mul_f32_e32 v0, 0x3fb8aa3b, v0
	v_exp_f32_e32 v15, v0
.LBB224_66:
	s_or_b64 exec, exec, s[6:7]
	v_or_b32_e32 v4, s30, v45
	s_add_u32 s6, s8, s24
	v_accvgpr_read_b32 v0, a12
	s_addc_u32 s7, s9, s25
	v_ashrrev_i32_e32 v5, 31, v4
	v_accvgpr_read_b32 v1, a13
	v_accvgpr_read_b32 v2, a14
	;; [unrolled: 1-line block ×3, first 2 shown]
	v_lshl_add_u64 v[4:5], v[4:5], 1, s[6:7]
	v_mov_b32_e32 v9, 0
	v_lshlrev_b32_e32 v6, 8, v18
	v_mov_b32_e32 v7, 0
	s_and_saveexec_b64 s[6:7], vcc
	s_cbranch_execz .LBB224_68
; %bb.67:
	v_mov_b32_e32 v7, 0
	v_lshl_add_u64 v[20:21], v[4:5], 0, v[6:7]
	global_load_ushort v7, v[20:21], off
	s_waitcnt vmcnt(0)
	v_lshlrev_b32_e32 v7, 16, v7
	v_sub_f32_e32 v0, v7, v0
	v_mul_f32_e32 v0, v16, v0
	v_lshrrev_b32_e32 v7, 16, v0
.LBB224_68:
	s_or_b64 exec, exec, s[6:7]
	v_lshlrev_b32_e32 v8, 8, v8
	s_and_saveexec_b64 s[6:7], s[0:1]
	s_cbranch_execz .LBB224_70
; %bb.69:
	v_mov_b32_e32 v9, 0
	v_lshl_add_u64 v[20:21], v[4:5], 0, v[8:9]
	global_load_ushort v0, v[20:21], off
	s_waitcnt vmcnt(0)
	v_lshlrev_b32_e32 v0, 16, v0
	v_sub_f32_e32 v0, v0, v1
	v_mul_f32_e32 v0, v14, v0
	v_lshrrev_b32_e32 v9, 16, v0
.LBB224_70:
	s_or_b64 exec, exec, s[6:7]
	v_mov_b32_e32 v13, 0
	v_lshlrev_b32_e32 v10, 8, v10
	v_mov_b32_e32 v11, 0
	s_and_saveexec_b64 s[6:7], s[2:3]
	s_cbranch_execz .LBB224_72
; %bb.71:
	v_mov_b32_e32 v11, 0
	v_lshl_add_u64 v[0:1], v[4:5], 0, v[10:11]
	global_load_ushort v0, v[0:1], off
	s_waitcnt vmcnt(0)
	v_lshlrev_b32_e32 v0, 16, v0
	v_sub_f32_e32 v0, v0, v2
	v_mul_f32_e32 v0, v17, v0
	v_lshrrev_b32_e32 v11, 16, v0
.LBB224_72:
	s_or_b64 exec, exec, s[6:7]
	v_lshlrev_b32_e32 v12, 8, v12
	s_and_saveexec_b64 s[6:7], s[4:5]
	s_cbranch_execz .LBB224_74
; %bb.73:
	v_mov_b32_e32 v13, 0
	v_lshl_add_u64 v[0:1], v[4:5], 0, v[12:13]
	global_load_ushort v0, v[0:1], off
	s_waitcnt vmcnt(0)
	v_lshlrev_b32_e32 v0, 16, v0
	v_sub_f32_e32 v0, v0, v3
	v_mul_f32_e32 v0, v15, v0
	v_lshrrev_b32_e32 v13, 16, v0
.LBB224_74:
	s_or_b64 exec, exec, s[6:7]
	v_lshlrev_b32_e32 v18, 6, v18
	s_mov_b32 s6, 0x5040100
	v_perm_b32 v20, v9, v7, s6
	v_or_b32_e32 v7, v18, v24
	v_accvgpr_read_b32 v0, a8
	v_perm_b32 v21, v13, v11, s6
	v_lshlrev_b32_e32 v7, 1, v7
	v_accvgpr_read_b32 v1, a9
	v_accvgpr_read_b32 v2, a10
	;; [unrolled: 1-line block ×3, first 2 shown]
	ds_write_b64 v7, v[20:21] offset:24576
	v_mov_b32_e32 v9, 0
	v_mov_b32_e32 v7, 0
	s_and_saveexec_b64 s[6:7], vcc
	s_cbranch_execz .LBB224_76
; %bb.75:
	v_mov_b32_e32 v7, 0
	v_lshl_add_u64 v[20:21], v[4:5], 0, v[6:7]
	global_load_ushort v7, v[20:21], off offset:32
	s_waitcnt vmcnt(0)
	v_lshlrev_b32_e32 v7, 16, v7
	v_sub_f32_e32 v0, v7, v0
	v_mul_f32_e32 v0, v16, v0
	v_lshrrev_b32_e32 v7, 16, v0
.LBB224_76:
	s_or_b64 exec, exec, s[6:7]
	s_and_saveexec_b64 s[6:7], s[0:1]
	s_cbranch_execz .LBB224_78
; %bb.77:
	v_mov_b32_e32 v9, 0
	v_lshl_add_u64 v[20:21], v[4:5], 0, v[8:9]
	global_load_ushort v0, v[20:21], off offset:32
	s_waitcnt vmcnt(0)
	v_lshlrev_b32_e32 v0, 16, v0
	v_sub_f32_e32 v0, v0, v1
	v_mul_f32_e32 v0, v14, v0
	v_lshrrev_b32_e32 v9, 16, v0
.LBB224_78:
	s_or_b64 exec, exec, s[6:7]
	v_mov_b32_e32 v13, 0
	v_mov_b32_e32 v11, 0
	s_and_saveexec_b64 s[6:7], s[2:3]
	s_cbranch_execz .LBB224_80
; %bb.79:
	v_mov_b32_e32 v11, 0
	v_lshl_add_u64 v[0:1], v[4:5], 0, v[10:11]
	global_load_ushort v0, v[0:1], off offset:32
	s_waitcnt vmcnt(0)
	v_lshlrev_b32_e32 v0, 16, v0
	v_sub_f32_e32 v0, v0, v2
	v_mul_f32_e32 v0, v17, v0
	v_lshrrev_b32_e32 v11, 16, v0
.LBB224_80:
	s_or_b64 exec, exec, s[6:7]
	s_and_saveexec_b64 s[6:7], s[4:5]
	s_cbranch_execz .LBB224_82
; %bb.81:
	v_mov_b32_e32 v13, 0
	v_lshl_add_u64 v[0:1], v[4:5], 0, v[12:13]
	global_load_ushort v0, v[0:1], off offset:32
	s_waitcnt vmcnt(0)
	v_lshlrev_b32_e32 v0, 16, v0
	v_sub_f32_e32 v0, v0, v3
	v_mul_f32_e32 v0, v15, v0
	v_lshrrev_b32_e32 v13, 16, v0
.LBB224_82:
	s_or_b64 exec, exec, s[6:7]
	s_mov_b32 s6, 0x5040100
	v_perm_b32 v20, v9, v7, s6
	v_or_b32_e32 v7, v18, v23
	v_accvgpr_read_b32 v0, a4
	v_perm_b32 v21, v13, v11, s6
	v_lshlrev_b32_e32 v7, 1, v7
	v_accvgpr_read_b32 v1, a5
	v_accvgpr_read_b32 v2, a6
	;; [unrolled: 1-line block ×3, first 2 shown]
	ds_write_b64 v7, v[20:21] offset:24576
	v_mov_b32_e32 v9, 0
	v_mov_b32_e32 v7, 0
	s_and_saveexec_b64 s[6:7], vcc
	s_cbranch_execz .LBB224_84
; %bb.83:
	v_mov_b32_e32 v7, 0
	v_lshl_add_u64 v[20:21], v[4:5], 0, v[6:7]
	global_load_ushort v7, v[20:21], off offset:64
	s_waitcnt vmcnt(0)
	v_lshlrev_b32_e32 v7, 16, v7
	v_sub_f32_e32 v0, v7, v0
	v_mul_f32_e32 v0, v16, v0
	v_lshrrev_b32_e32 v7, 16, v0
.LBB224_84:
	s_or_b64 exec, exec, s[6:7]
	s_and_saveexec_b64 s[6:7], s[0:1]
	s_cbranch_execz .LBB224_86
; %bb.85:
	v_mov_b32_e32 v9, 0
	v_lshl_add_u64 v[20:21], v[4:5], 0, v[8:9]
	global_load_ushort v0, v[20:21], off offset:64
	s_waitcnt vmcnt(0)
	v_lshlrev_b32_e32 v0, 16, v0
	v_sub_f32_e32 v0, v0, v1
	v_mul_f32_e32 v0, v14, v0
	v_lshrrev_b32_e32 v9, 16, v0
.LBB224_86:
	s_or_b64 exec, exec, s[6:7]
	v_mov_b32_e32 v13, 0
	v_mov_b32_e32 v11, 0
	s_and_saveexec_b64 s[6:7], s[2:3]
	s_cbranch_execz .LBB224_88
; %bb.87:
	v_mov_b32_e32 v11, 0
	v_lshl_add_u64 v[0:1], v[4:5], 0, v[10:11]
	global_load_ushort v0, v[0:1], off offset:64
	s_waitcnt vmcnt(0)
	v_lshlrev_b32_e32 v0, 16, v0
	v_sub_f32_e32 v0, v0, v2
	v_mul_f32_e32 v0, v17, v0
	v_lshrrev_b32_e32 v11, 16, v0
.LBB224_88:
	s_or_b64 exec, exec, s[6:7]
	s_and_saveexec_b64 s[6:7], s[4:5]
	s_cbranch_execz .LBB224_90
; %bb.89:
	v_mov_b32_e32 v13, 0
	v_lshl_add_u64 v[0:1], v[4:5], 0, v[12:13]
	global_load_ushort v0, v[0:1], off offset:64
	s_waitcnt vmcnt(0)
	v_lshlrev_b32_e32 v0, 16, v0
	v_sub_f32_e32 v0, v0, v3
	v_mul_f32_e32 v0, v15, v0
	v_lshrrev_b32_e32 v13, 16, v0
.LBB224_90:
	s_or_b64 exec, exec, s[6:7]
	s_mov_b32 s6, 0x5040100
	v_perm_b32 v20, v9, v7, s6
	v_or_b32_e32 v7, v18, v22
	v_accvgpr_read_b32 v0, a0
	v_perm_b32 v21, v13, v11, s6
	v_lshlrev_b32_e32 v7, 1, v7
	v_accvgpr_read_b32 v1, a1
	v_accvgpr_read_b32 v2, a2
	;; [unrolled: 1-line block ×3, first 2 shown]
	ds_write_b64 v7, v[20:21] offset:24576
	v_mov_b32_e32 v9, 0
	v_mov_b32_e32 v7, 0
	s_and_saveexec_b64 s[6:7], vcc
	s_cbranch_execz .LBB224_92
; %bb.91:
	v_mov_b32_e32 v7, 0
	v_lshl_add_u64 v[6:7], v[4:5], 0, v[6:7]
	global_load_ushort v6, v[6:7], off offset:96
	s_waitcnt vmcnt(0)
	v_lshlrev_b32_e32 v6, 16, v6
	v_sub_f32_e32 v0, v6, v0
	v_mul_f32_e32 v0, v16, v0
	v_lshrrev_b32_e32 v7, 16, v0
.LBB224_92:
	s_or_b64 exec, exec, s[6:7]
	s_and_saveexec_b64 s[6:7], s[0:1]
	s_cbranch_execz .LBB224_94
; %bb.93:
	v_mov_b32_e32 v9, 0
	v_lshl_add_u64 v[8:9], v[4:5], 0, v[8:9]
	global_load_ushort v0, v[8:9], off offset:96
	s_waitcnt vmcnt(0)
	v_lshlrev_b32_e32 v0, 16, v0
	v_sub_f32_e32 v0, v0, v1
	v_mul_f32_e32 v0, v14, v0
	v_lshrrev_b32_e32 v9, 16, v0
.LBB224_94:
	s_or_b64 exec, exec, s[6:7]
	v_mov_b32_e32 v0, 0
	v_mov_b32_e32 v1, 0
	s_and_saveexec_b64 s[0:1], s[2:3]
	s_cbranch_execz .LBB224_96
; %bb.95:
	v_mov_b32_e32 v11, 0
	v_lshl_add_u64 v[10:11], v[4:5], 0, v[10:11]
	global_load_ushort v1, v[10:11], off offset:96
	s_waitcnt vmcnt(0)
	v_lshlrev_b32_e32 v1, 16, v1
	v_sub_f32_e32 v1, v1, v2
	v_mul_f32_e32 v1, v17, v1
	v_lshrrev_b32_e32 v1, 16, v1
.LBB224_96:
	s_or_b64 exec, exec, s[0:1]
	s_and_saveexec_b64 s[0:1], s[4:5]
	s_cbranch_execz .LBB224_98
; %bb.97:
	v_mov_b32_e32 v13, 0
	v_lshl_add_u64 v[4:5], v[4:5], 0, v[12:13]
	global_load_ushort v0, v[4:5], off offset:96
	s_waitcnt vmcnt(0)
	v_lshlrev_b32_e32 v0, 16, v0
	v_sub_f32_e32 v0, v0, v3
	v_mul_f32_e32 v0, v15, v0
	v_lshrrev_b32_e32 v0, 16, v0
.LBB224_98:
	s_or_b64 exec, exec, s[0:1]
	s_mov_b32 s0, 0x5040100
	v_or_b32_e32 v2, v18, v19
	v_perm_b32 v1, v0, v1, s0
	v_perm_b32 v0, v9, v7, s0
	v_lshlrev_b32_e32 v2, 1, v2
	ds_write_b64 v2, v[0:1] offset:24576
	s_waitcnt lgkmcnt(0)
	s_barrier
.LBB224_99:
	s_endpgm
	.section	.rodata,"a",@progbits
	.p2align	6, 0x0
	.amdhsa_kernel _ZN12_GLOBAL__N_139chunk_gated_delta_rule_fwd_h_hip_kernelILi64ELb0ELb0ELb0ELb0ELb0ELb1ELb0ELb0EEEvPK12hip_bfloat16S3_S3_PKfS5_PKvPS1_S8_PvPKiSB_iiiiilll
		.amdhsa_group_segment_fixed_size 65536
		.amdhsa_private_segment_fixed_size 0
		.amdhsa_kernarg_size 136
		.amdhsa_user_sgpr_count 2
		.amdhsa_user_sgpr_dispatch_ptr 0
		.amdhsa_user_sgpr_queue_ptr 0
		.amdhsa_user_sgpr_kernarg_segment_ptr 1
		.amdhsa_user_sgpr_dispatch_id 0
		.amdhsa_user_sgpr_kernarg_preload_length 0
		.amdhsa_user_sgpr_kernarg_preload_offset 0
		.amdhsa_user_sgpr_private_segment_size 0
		.amdhsa_uses_dynamic_stack 0
		.amdhsa_enable_private_segment 0
		.amdhsa_system_sgpr_workgroup_id_x 1
		.amdhsa_system_sgpr_workgroup_id_y 1
		.amdhsa_system_sgpr_workgroup_id_z 0
		.amdhsa_system_sgpr_workgroup_info 0
		.amdhsa_system_vgpr_workitem_id 0
		.amdhsa_next_free_vgpr 232
		.amdhsa_next_free_sgpr 66
		.amdhsa_accum_offset 192
		.amdhsa_reserve_vcc 1
		.amdhsa_float_round_mode_32 0
		.amdhsa_float_round_mode_16_64 0
		.amdhsa_float_denorm_mode_32 3
		.amdhsa_float_denorm_mode_16_64 3
		.amdhsa_dx10_clamp 1
		.amdhsa_ieee_mode 1
		.amdhsa_fp16_overflow 0
		.amdhsa_tg_split 0
		.amdhsa_exception_fp_ieee_invalid_op 0
		.amdhsa_exception_fp_denorm_src 0
		.amdhsa_exception_fp_ieee_div_zero 0
		.amdhsa_exception_fp_ieee_overflow 0
		.amdhsa_exception_fp_ieee_underflow 0
		.amdhsa_exception_fp_ieee_inexact 0
		.amdhsa_exception_int_div_zero 0
	.end_amdhsa_kernel
	.section	.text._ZN12_GLOBAL__N_139chunk_gated_delta_rule_fwd_h_hip_kernelILi64ELb0ELb0ELb0ELb0ELb0ELb1ELb0ELb0EEEvPK12hip_bfloat16S3_S3_PKfS5_PKvPS1_S8_PvPKiSB_iiiiilll,"axG",@progbits,_ZN12_GLOBAL__N_139chunk_gated_delta_rule_fwd_h_hip_kernelILi64ELb0ELb0ELb0ELb0ELb0ELb1ELb0ELb0EEEvPK12hip_bfloat16S3_S3_PKfS5_PKvPS1_S8_PvPKiSB_iiiiilll,comdat
.Lfunc_end224:
	.size	_ZN12_GLOBAL__N_139chunk_gated_delta_rule_fwd_h_hip_kernelILi64ELb0ELb0ELb0ELb0ELb0ELb1ELb0ELb0EEEvPK12hip_bfloat16S3_S3_PKfS5_PKvPS1_S8_PvPKiSB_iiiiilll, .Lfunc_end224-_ZN12_GLOBAL__N_139chunk_gated_delta_rule_fwd_h_hip_kernelILi64ELb0ELb0ELb0ELb0ELb0ELb1ELb0ELb0EEEvPK12hip_bfloat16S3_S3_PKfS5_PKvPS1_S8_PvPKiSB_iiiiilll
                                        ; -- End function
	.section	.AMDGPU.csdata,"",@progbits
; Kernel info:
; codeLenInByte = 11160
; NumSgprs: 72
; NumVgprs: 190
; NumAgprs: 40
; TotalNumVgprs: 232
; ScratchSize: 0
; MemoryBound: 0
; FloatMode: 240
; IeeeMode: 1
; LDSByteSize: 65536 bytes/workgroup (compile time only)
; SGPRBlocks: 8
; VGPRBlocks: 28
; NumSGPRsForWavesPerEU: 72
; NumVGPRsForWavesPerEU: 232
; AccumOffset: 192
; Occupancy: 1
; WaveLimiterHint : 1
; COMPUTE_PGM_RSRC2:SCRATCH_EN: 0
; COMPUTE_PGM_RSRC2:USER_SGPR: 2
; COMPUTE_PGM_RSRC2:TRAP_HANDLER: 0
; COMPUTE_PGM_RSRC2:TGID_X_EN: 1
; COMPUTE_PGM_RSRC2:TGID_Y_EN: 1
; COMPUTE_PGM_RSRC2:TGID_Z_EN: 0
; COMPUTE_PGM_RSRC2:TIDIG_COMP_CNT: 0
; COMPUTE_PGM_RSRC3_GFX90A:ACCUM_OFFSET: 47
; COMPUTE_PGM_RSRC3_GFX90A:TG_SPLIT: 0
	.section	.text._ZN12_GLOBAL__N_139chunk_gated_delta_rule_fwd_h_hip_kernelILi64ELb1ELb1ELb1ELb1ELb0ELb0ELb1ELb0EEEvPK12hip_bfloat16S3_S3_PKfS5_PKvPS1_S8_PvPKiSB_iiiiilll,"axG",@progbits,_ZN12_GLOBAL__N_139chunk_gated_delta_rule_fwd_h_hip_kernelILi64ELb1ELb1ELb1ELb1ELb0ELb0ELb1ELb0EEEvPK12hip_bfloat16S3_S3_PKfS5_PKvPS1_S8_PvPKiSB_iiiiilll,comdat
	.globl	_ZN12_GLOBAL__N_139chunk_gated_delta_rule_fwd_h_hip_kernelILi64ELb1ELb1ELb1ELb1ELb0ELb0ELb1ELb0EEEvPK12hip_bfloat16S3_S3_PKfS5_PKvPS1_S8_PvPKiSB_iiiiilll ; -- Begin function _ZN12_GLOBAL__N_139chunk_gated_delta_rule_fwd_h_hip_kernelILi64ELb1ELb1ELb1ELb1ELb0ELb0ELb1ELb0EEEvPK12hip_bfloat16S3_S3_PKfS5_PKvPS1_S8_PvPKiSB_iiiiilll
	.p2align	8
	.type	_ZN12_GLOBAL__N_139chunk_gated_delta_rule_fwd_h_hip_kernelILi64ELb1ELb1ELb1ELb1ELb0ELb0ELb1ELb0EEEvPK12hip_bfloat16S3_S3_PKfS5_PKvPS1_S8_PvPKiSB_iiiiilll,@function
_ZN12_GLOBAL__N_139chunk_gated_delta_rule_fwd_h_hip_kernelILi64ELb1ELb1ELb1ELb1ELb0ELb0ELb1ELb0EEEvPK12hip_bfloat16S3_S3_PKfS5_PKvPS1_S8_PvPKiSB_iiiiilll: ; @_ZN12_GLOBAL__N_139chunk_gated_delta_rule_fwd_h_hip_kernelILi64ELb1ELb1ELb1ELb1ELb0ELb0ELb1ELb0EEEvPK12hip_bfloat16S3_S3_PKfS5_PKvPS1_S8_PvPKiSB_iiiiilll
; %bb.0:
	s_load_dwordx4 s[20:23], s[0:1], 0x5c
	s_load_dwordx4 s[4:7], s[0:1], 0x48
	s_abs_i32 s9, s3
	s_ashr_i32 s8, s3, 31
	v_and_b32_e32 v88, 15, v0
	s_waitcnt lgkmcnt(0)
	s_abs_i32 s10, s21
	v_cvt_f32_u32_e32 v1, s10
	s_sub_i32 s12, 0, s10
	s_ashr_i32 s11, s21, 31
	s_xor_b32 s8, s8, s11
	v_rcp_iflag_f32_e32 v1, v1
	v_bfe_u32 v87, v0, 4, 2
	v_mov_b32_e32 v67, 0
	v_lshlrev_b32_e32 v89, 3, v0
	v_mul_f32_e32 v1, 0x4f7ffffe, v1
	v_cvt_u32_f32_e32 v1, v1
	s_nop 0
	v_readfirstlane_b32 s13, v1
	s_mul_i32 s12, s12, s13
	s_mul_hi_u32 s12, s13, s12
	s_add_i32 s13, s13, s12
	s_mul_hi_u32 s12, s9, s13
	s_mul_i32 s13, s12, s10
	s_sub_i32 s9, s9, s13
	s_add_i32 s14, s12, 1
	s_sub_i32 s13, s9, s10
	s_cmp_ge_u32 s9, s10
	s_cselect_b32 s12, s14, s12
	s_cselect_b32 s9, s13, s9
	s_add_i32 s13, s12, 1
	s_cmp_ge_u32 s9, s10
	s_cselect_b32 s9, s13, s12
	s_xor_b32 s9, s9, s8
	s_sub_i32 s24, s9, s8
	s_mul_i32 s12, s24, s21
	s_ashr_i32 s25, s24, 31
	s_sub_i32 s51, s3, s12
	s_lshl_b64 s[8:9], s[24:25], 2
	s_add_u32 s4, s4, s8
	s_addc_u32 s5, s5, s9
	s_add_u32 s26, s6, s8
	s_addc_u32 s27, s7, s9
	s_abs_i32 s3, s22
	v_cvt_f32_u32_e32 v1, s3
	s_load_dwordx2 s[38:39], s[4:5], 0x0
	s_sub_i32 s5, 0, s3
	s_lshl_b32 s2, s2, 6
	v_rcp_iflag_f32_e32 v1, v1
	v_or_b32_e32 v76, s2, v88
	s_waitcnt lgkmcnt(0)
	s_sub_i32 s54, s39, s38
	s_ashr_i32 s4, s54, 31
	v_mul_f32_e32 v1, 0x4f7ffffe, v1
	v_cvt_u32_f32_e32 v1, v1
	s_lshr_b32 s4, s4, 26
	s_add_i32 s4, s54, s4
	s_ashr_i32 s53, s4, 6
	v_readfirstlane_b32 s6, v1
	s_mul_i32 s5, s5, s6
	s_mul_hi_u32 s5, s6, s5
	s_add_i32 s6, s6, s5
	s_mul_hi_u32 s5, s10, s6
	s_mul_i32 s6, s5, s3
	s_ashr_i32 s4, s22, 31
	s_sub_i32 s6, s10, s6
	s_xor_b32 s4, s11, s4
	s_add_i32 s7, s5, 1
	s_sub_i32 s8, s6, s3
	s_cmp_ge_u32 s6, s3
	s_cselect_b32 s5, s7, s5
	s_cselect_b32 s6, s8, s6
	s_add_i32 s7, s5, 1
	s_cmp_ge_u32 s6, s3
	s_cselect_b32 s3, s7, s5
	s_xor_b32 s3, s3, s4
	s_sub_i32 s3, s3, s4
	s_abs_i32 s13, s3
	v_cvt_f32_u32_e32 v1, s13
	s_sub_i32 s15, 0, s13
	s_abs_i32 s14, s51
	s_xor_b32 s3, s51, s3
	v_rcp_iflag_f32_e32 v2, v1
	s_ashr_i32 s3, s3, 31
	s_load_dwordx8 s[4:11], s[0:1], 0x28
	v_lshrrev_b32_e32 v1, 6, v0
	v_mul_f32_e32 v2, 0x4f7ffffe, v2
	v_cvt_u32_f32_e32 v2, v2
	v_lshlrev_b32_e32 v86, 4, v1
	v_lshlrev_b32_e32 v68, 7, v76
	v_lshl_or_b32 v91, v87, 2, v86
	v_readfirstlane_b32 s16, v2
	s_mul_i32 s15, s15, s16
	s_mul_hi_u32 s15, s16, s15
	s_add_i32 s16, s16, s15
	s_mul_hi_u32 s15, s14, s16
	s_mul_i32 s16, s15, s13
	s_sub_i32 s14, s14, s16
	s_add_i32 s16, s15, 1
	s_sub_i32 s17, s14, s13
	s_cmp_ge_u32 s14, s13
	s_cselect_b32 s15, s16, s15
	s_cselect_b32 s14, s17, s14
	s_add_i32 s16, s15, 1
	s_cmp_ge_u32 s14, s13
	s_cselect_b32 s13, s16, s15
	s_xor_b32 s13, s13, s3
	s_sub_i32 s55, s13, s3
	s_ashr_i32 s52, s51, 31
	s_mul_hi_i32 s3, s24, s21
	s_add_u32 s12, s12, s51
	s_addc_u32 s13, s3, s52
	s_lshl_b64 s[34:35], s[12:13], 16
	s_waitcnt lgkmcnt(0)
	s_add_u32 s4, s4, s34
	s_addc_u32 s5, s5, s35
	v_ashrrev_i32_e32 v69, 31, v68
	v_lshl_add_u64 v[2:3], v[68:69], 2, s[4:5]
	v_lshlrev_b32_e32 v66, 2, v91
	v_or_b32_e32 v70, 0x800, v68
	v_lshl_add_u64 v[10:11], v[2:3], 0, v[66:67]
	v_ashrrev_i32_e32 v71, 31, v70
	global_load_dwordx4 v[6:9], v[10:11], off
	global_load_dwordx4 v[2:5], v[10:11], off offset:256
	v_lshl_add_u64 v[10:11], v[70:71], 2, s[4:5]
	v_or_b32_e32 v72, 0x1000, v68
	v_lshl_add_u64 v[18:19], v[10:11], 0, v[66:67]
	v_ashrrev_i32_e32 v73, 31, v72
	global_load_dwordx4 v[14:17], v[18:19], off
	global_load_dwordx4 v[10:13], v[18:19], off offset:256
	v_lshl_add_u64 v[18:19], v[72:73], 2, s[4:5]
	v_or_b32_e32 v74, 0x1800, v68
	v_lshl_add_u64 v[26:27], v[18:19], 0, v[66:67]
	v_ashrrev_i32_e32 v75, 31, v74
	global_load_dwordx4 v[22:25], v[26:27], off
	global_load_dwordx4 v[18:21], v[26:27], off offset:256
	v_lshl_add_u64 v[26:27], v[74:75], 2, s[4:5]
	v_lshl_add_u64 v[34:35], v[26:27], 0, v[66:67]
	global_load_dwordx4 v[30:33], v[34:35], off
	global_load_dwordx4 v[26:29], v[34:35], off offset:256
	s_load_dwordx8 s[12:19], s[0:1], 0x0
	s_load_dwordx2 s[36:37], s[0:1], 0x80
	s_load_dwordx4 s[28:31], s[0:1], 0x70
	s_load_dword s56, s[26:27], 0x0
	v_and_b32_e32 v67, 63, v0
	v_or_b32_e32 v92, 64, v91
	s_cmp_lt_i32 s54, 64
	s_mul_hi_i32 s57, s51, s20
	s_mul_i32 s58, s51, s20
	v_lshrrev_b32_e32 v90, 3, v67
	s_waitcnt lgkmcnt(0)
	s_mul_i32 s33, s24, s29
	s_mul_hi_u32 s47, s24, s28
	s_mul_i32 s46, s25, s28
	s_mul_i32 s42, s24, s28
	s_mul_i32 s48, s51, s31
	s_mul_hi_u32 s49, s51, s30
	s_mul_i32 s50, s52, s30
	s_mul_i32 s40, s51, s30
	s_cbranch_scc1 .LBB225_18
; %bb.1:
	s_ashr_i32 s1, s38, 31
	s_add_u32 s0, s58, s38
	s_addc_u32 s1, s57, s1
	s_lshl_b64 s[0:1], s[0:1], 8
	v_and_b32_e32 v94, 56, v89
	s_add_u32 s24, s14, s0
	v_lshl_or_b32 v93, v1, 3, v90
	v_lshlrev_b32_e32 v34, 1, v94
	s_addc_u32 s0, s15, s1
	v_lshl_or_b32 v95, v93, 8, v34
	s_and_b32 s25, s0, 0xffff
	s_mov_b32 s27, 0x20000
	s_movk_i32 s26, 0x4000
	s_movk_i32 s0, 0x80
	v_or_b32_e32 v96, 0x2000, v95
	buffer_load_dwordx4 v[36:39], v95, s[24:27], 0 offen
	buffer_load_dwordx4 v[40:43], v95, s[24:27], s0 offen
	;; [unrolled: 1-line block ×4, first 2 shown]
	v_lshlrev_b32_e32 v35, 3, v93
	v_and_or_b32 v53, v0, 7, v35
	v_and_b32_e32 v35, 0x78, v35
	v_lshlrev_b32_e32 v53, 4, v53
	v_xor_b32_e32 v97, v53, v35
	v_mul_lo_u32 v52, v93, s23
	v_or_b32_e32 v98, 0x1000, v97
	v_xor_b32_e32 v35, 8, v97
	s_cmpk_eq_i32 s23, 0x80
	s_mov_b32 s59, s38
	v_xor_b32_e32 v53, 8, v98
	s_cselect_b64 s[0:1], -1, 0
	s_cmpk_lg_i32 s23, 0x80
	s_waitcnt vmcnt(3)
	ds_write_b64 v97, v[36:37] offset:49152
	ds_write_b64 v35, v[38:39] offset:49152
	s_waitcnt vmcnt(2)
	ds_write_b64 v97, v[40:41] offset:57344
	ds_write_b64 v35, v[42:43] offset:57344
	;; [unrolled: 3-line block ×4, first 2 shown]
	v_lshl_add_u32 v35, v52, 1, v94
	s_cbranch_scc0 .LBB225_3
; %bb.2:
	v_lshlrev_b32_e32 v37, 1, v35
	v_add_lshl_u32 v36, v35, s23, 1
	s_lshl_b32 s26, s23, 7
	v_lshl_or_b32 v34, v93, 9, v34
	s_cbranch_execz .LBB225_4
	s_branch .LBB225_5
.LBB225_3:
                                        ; implicit-def: $vgpr36
                                        ; implicit-def: $vgpr37
                                        ; implicit-def: $sgpr26
	v_lshl_or_b32 v34, v93, 9, v34
.LBB225_4:
	v_or_b32_e32 v36, 0x100, v34
	s_movk_i32 s26, 0x4000
	v_mov_b32_e32 v37, v34
.LBB225_5:
	s_mul_i32 s4, s38, s22
	s_ashr_i32 s60, s55, 31
	s_mul_hi_i32 s3, s38, s22
	s_add_u32 s4, s4, s55
	s_addc_u32 s5, s3, s60
	s_lshl_b64 s[4:5], s[4:5], 8
	s_add_u32 s24, s12, s4
	s_addc_u32 s3, s13, s5
	s_and_b32 s25, s3, 0xffff
	s_movk_i32 s61, 0x80
	buffer_load_dwordx4 v[38:41], v37, s[24:27], 0 offen
	buffer_load_dwordx4 v[42:45], v37, s[24:27], s61 offen
	;; [unrolled: 1-line block ×4, first 2 shown]
	v_and_b32_e32 v37, 6, v0
	v_lshlrev_b32_e32 v36, 7, v91
	v_xor_b32_e32 v59, v93, v37
	v_and_b32_e32 v54, 1, v0
	v_lshl_or_b32 v62, v88, 3, v36
	v_lshlrev_b32_e32 v59, 2, v59
	v_lshlrev_b32_e32 v55, 2, v88
	v_or_b32_e32 v99, 0x4000, v62
	v_or_b32_e32 v100, 0x6000, v62
	v_xor_b32_e32 v62, 0x440, v59
	v_cmp_eq_u32_e32 vcc, 0, v54
	v_or_b32_e32 v57, 16, v88
	v_or_b32_e32 v58, 32, v88
	v_xor_b32_e32 v60, v91, v55
	v_xor_b32_e32 v61, v92, v55
	v_cndmask_b32_e32 v54, v62, v59, vcc
	s_mov_b32 s62, 0x1000504
	v_lshl_or_b32 v63, v57, 3, v36
	v_lshlrev_b32_e32 v57, 8, v57
	v_lshl_or_b32 v64, v58, 3, v36
	v_lshlrev_b32_e32 v60, 1, v60
	v_lshlrev_b32_e32 v61, 1, v61
	v_lshl_or_b32 v37, v37, 10, v54
	s_add_i32 s3, s47, s33
	s_mov_b32 s63, 0x3020706
	v_lshlrev_b32_e32 v56, 8, v88
	v_or_b32_e32 v103, 0x4000, v64
	v_or_b32_e32 v104, 0x6000, v64
	;; [unrolled: 1-line block ×4, first 2 shown]
	v_xor_b32_e32 v54, 8, v37
	v_xor_b32_e32 v57, 24, v37
	;; [unrolled: 1-line block ×4, first 2 shown]
	s_add_i32 s43, s3, s46
	s_add_i32 s3, s49, s48
	v_or_b32_e32 v101, 0x4000, v63
	v_or_b32_e32 v102, 0x6000, v63
	;; [unrolled: 1-line block ×4, first 2 shown]
	v_xor_b32_e32 v56, 16, v37
	v_xor_b32_e32 v59, 32, v37
	;; [unrolled: 1-line block ×3, first 2 shown]
	v_add_u32_e32 v54, 0x80, v54
	v_add_u32_e32 v57, 0x80, v57
	;; [unrolled: 1-line block ×4, first 2 shown]
	s_add_i32 s41, s3, s50
	s_lshl_b64 s[4:5], s[42:43], 2
	s_add_u32 s3, s18, s4
	s_addc_u32 s24, s19, s5
	s_lshl_b64 s[4:5], s[40:41], 2
	s_add_u32 s4, s3, s4
	s_movk_i32 s3, 0xf8
	s_addc_u32 s5, s24, s5
	s_lshl_b32 s30, s23, 7
	s_movk_i32 s28, 0x100
	v_mov_b32_e32 v79, 0
	v_lshlrev_b32_e32 v78, 4, v88
	v_cmp_gt_u32_e32 vcc, s28, v0
	v_lshlrev_b32_e32 v58, 8, v58
	s_mov_b32 s64, 0
	s_movk_i32 s26, 0x4000
	v_or_b32_e32 v109, v58, v60
	v_or_b32_e32 v110, v58, v61
	s_movk_i32 s41, 0x2000
	s_movk_i32 s43, 0x3000
	v_mov_b32_e32 v142, 0x3fb8aa3b
	s_waitcnt vmcnt(1)
	v_perm_b32 v65, v38, v46, s62
	s_waitcnt vmcnt(0)
	v_perm_b32 v77, v42, v50, s62
	v_perm_b32 v38, v38, v46, s63
	;; [unrolled: 1-line block ×15, first 2 shown]
	ds_write2st64_b32 v37, v65, v77 offset0:128 offset1:160
	ds_write2st64_b32 v54, v38, v42 offset0:128 offset1:160
	;; [unrolled: 1-line block ×8, first 2 shown]
	v_or_b32_e32 v37, 48, v88
	v_lshl_or_b32 v38, v37, 3, v36
	v_lshlrev_b32_e32 v37, 8, v37
	v_or_b32_e32 v113, v37, v60
	v_or_b32_e32 v114, v37, v61
	;; [unrolled: 1-line block ×3, first 2 shown]
	v_lshlrev_b32_e32 v37, 3, v37
	v_lshrrev_b32_e32 v39, 5, v67
	v_and_or_b32 v39, v37, s3, v39
	v_lshlrev_b32_e32 v39, 4, v39
	v_lshlrev_b32_e32 v40, 11, v1
	v_and_b32_e32 v37, 0x78, v37
	v_or_b32_e32 v45, 32, v39
	v_or_b32_e32 v111, 0x4000, v38
	;; [unrolled: 1-line block ×3, first 2 shown]
	v_and_b32_e32 v38, 0x1000, v40
	v_xor_b32_e32 v41, v39, v37
	v_lshrrev_b32_e32 v42, 1, v0
	v_xor_b32_e32 v45, v45, v37
	v_or_b32_e32 v41, v41, v38
	v_and_b32_e32 v43, 8, v42
	v_or_b32_e32 v45, v45, v38
	v_xor_b32_e32 v115, v41, v43
	v_lshlrev_b32_e32 v41, 8, v87
	v_xor_b32_e32 v117, v45, v43
	v_or_b32_e32 v45, 64, v39
	v_or_b32_e32 v39, 0x60, v39
	s_ashr_i32 s3, s2, 31
	v_or_b32_e32 v44, v41, v55
	v_xor_b32_e32 v45, v45, v37
	v_xor_b32_e32 v37, v39, v37
	s_lshl_b64 s[24:25], s[2:3], 8
	v_lshlrev_b32_e32 v44, 1, v44
	v_or_b32_e32 v45, v45, v38
	v_or_b32_e32 v37, v37, v38
	s_add_u32 s24, s6, s24
	v_lshlrev_b32_e32 v38, 1, v88
	v_or_b32_e32 v116, 0x4000, v44
	v_or_b32_e32 v118, 0x4080, v44
	;; [unrolled: 1-line block ×8, first 2 shown]
	v_lshrrev_b32_e32 v44, 4, v0
	s_addc_u32 s25, s7, s25
	v_or_b32_e32 v39, 1, v38
	v_mov_b32_e32 v48, 0xa000
	v_mov_b32_e32 v49, 0x8000
	v_xor_b32_e32 v121, v45, v43
	v_xor_b32_e32 v45, v44, v38
	;; [unrolled: 1-line block ×3, first 2 shown]
	v_lshl_add_u64 v[38:39], s[24:25], 0, v[78:79]
	v_lshlrev_b32_e32 v78, 8, v44
	v_cndmask_b32_e32 v48, v48, v49, vcc
	v_lshlrev_b32_e32 v49, 3, v1
	v_and_b32_e32 v42, 24, v42
	v_lshl_or_b32 v127, v45, 3, v78
	v_and_b32_e32 v45, 8, v0
	v_xor_b32_e32 v50, v49, v42
	v_or_b32_e32 v51, 0x440, v50
	v_cmp_eq_u32_e32 vcc, 0, v45
	v_and_b32_e32 v44, 7, v0
	v_lshl_or_b32 v128, v46, 3, v78
	v_cndmask_b32_e32 v45, v51, v50, vcc
	v_lshlrev_b32_e32 v46, 3, v44
	v_lshlrev_b32_e32 v44, 7, v44
	v_or_b32_e32 v45, v45, v40
	v_lshlrev_b32_e32 v47, 2, v0
	v_xad_u32 v129, v45, v46, v44
	v_or_b32_e32 v45, 32, v42
	v_and_or_b32 v41, v47, 60, v41
	v_xor_b32_e32 v45, v49, v45
	v_lshlrev_b32_e32 v41, 1, v41
	v_or_b32_e32 v47, 0x440, v45
	v_or_b32_e32 v130, 0x6000, v41
	v_cndmask_b32_e32 v45, v47, v45, vcc
	v_or_b32_e32 v132, 0x6080, v41
	v_or_b32_e32 v133, 0x6100, v41
	;; [unrolled: 1-line block ×5, first 2 shown]
	v_xor_b32_e32 v41, v49, v41
	v_xad_u32 v131, v45, v46, v44
	v_xor_b32_e32 v45, 0x440, v41
	v_cndmask_b32_e32 v41, v45, v41, vcc
	v_or_b32_e32 v41, v41, v40
	v_xad_u32 v135, v41, v46, v44
	v_or_b32_e32 v41, 0x60, v42
	v_xor_b32_e32 v41, v49, v41
	v_xor_b32_e32 v42, 0x440, v41
	v_cndmask_b32_e32 v41, v42, v41, vcc
	v_xor_b32_e32 v122, v37, v43
	v_ashrrev_i32_e32 v77, 31, v76
	v_lshlrev_b32_e32 v37, 1, v35
	v_add_lshl_u32 v35, v35, s23, 1
	v_or_b32_e32 v43, 0x100, v34
	v_or_b32_e32 v40, v41, v40
	v_xad_u32 v136, v40, v46, v44
	v_cndmask_b32_e64 v137, v37, v34, s[0:1]
	v_cndmask_b32_e64 v138, v35, v43, s[0:1]
	v_lshlrev_b64 v[34:35], 1, v[76:77]
	v_lshl_add_u64 v[80:81], s[16:17], 0, v[34:35]
	v_lshl_add_u64 v[82:83], s[8:9], 0, v[34:35]
	;; [unrolled: 1-line block ×3, first 2 shown]
	s_mov_b32 s3, 0x7060302
	v_lshlrev_b32_e32 v78, 1, v36
	v_add_u32_e32 v77, v48, v129
	v_add_u32_e32 v139, v48, v131
	;; [unrolled: 1-line block ×4, first 2 shown]
	s_waitcnt lgkmcnt(0)
	s_barrier
.LBB225_6:                              ; =>This Inner Loop Header: Depth=1
	s_add_i32 s65, s64, 1
	s_cmp_lt_i32 s65, s53
	s_mov_b64 s[28:29], 0
	s_cselect_b64 s[44:45], -1, 0
	s_cmp_ge_i32 s65, s53
	s_mov_b64 s[24:25], 0
	s_cbranch_scc1 .LBB225_8
; %bb.7:                                ;   in Loop: Header=BB225_6 Depth=1
	s_add_i32 s0, s59, 64
	s_ashr_i32 s1, s0, 31
	s_add_u32 s0, s58, s0
	s_addc_u32 s1, s57, s1
	s_lshl_b64 s[0:1], s[0:1], 8
	s_add_u32 s24, s14, s0
	s_addc_u32 s25, s15, s1
.LBB225_8:                              ;   in Loop: Header=BB225_6 Depth=1
	v_cndmask_b32_e64 v34, 0, 1, s[44:45]
	v_cmp_ne_u32_e64 s[0:1], 1, v34
	s_andn2_b64 vcc, exec, s[44:45]
	s_cbranch_vccnz .LBB225_10
; %bb.9:                                ;   in Loop: Header=BB225_6 Depth=1
	s_add_i32 s28, s59, 64
	s_mul_hi_i32 s29, s28, s22
	s_mul_i32 s28, s28, s22
	s_add_u32 s28, s28, s55
	s_addc_u32 s29, s29, s60
	s_lshl_b64 s[28:29], s[28:29], 8
	s_add_u32 s28, s12, s28
	s_addc_u32 s29, s13, s29
.LBB225_10:                             ;   in Loop: Header=BB225_6 Depth=1
	v_perm_b32 v35, v9, v8, s3
	v_perm_b32 v34, v7, v6, s3
	v_perm_b32 v37, v5, v4, s3
	v_perm_b32 v36, v3, v2, s3
	ds_write_b64 v99, v[34:35]
	ds_write_b64 v100, v[36:37]
	ds_write_b64 v105, v[34:35]
	ds_write_b64 v106, v[36:37]
	v_perm_b32 v35, v17, v16, s3
	v_perm_b32 v34, v15, v14, s3
	v_perm_b32 v37, v13, v12, s3
	v_perm_b32 v36, v11, v10, s3
	ds_write_b64 v101, v[34:35]
	ds_write_b64 v102, v[36:37]
	ds_write_b64 v107, v[34:35]
	ds_write_b64 v108, v[36:37]
	v_perm_b32 v35, v25, v24, s3
	v_perm_b32 v34, v23, v22, s3
	v_perm_b32 v37, v21, v20, s3
	v_perm_b32 v36, v19, v18, s3
	ds_write_b64 v103, v[34:35]
	ds_write_b64 v104, v[36:37]
	ds_write_b64 v109, v[34:35]
	ds_write_b64 v110, v[36:37]
	v_perm_b32 v35, v33, v32, s3
	v_perm_b32 v34, v31, v30, s3
	v_perm_b32 v37, v29, v28, s3
	v_perm_b32 v36, v27, v26, s3
	ds_write_b64 v111, v[34:35]
	ds_write_b64 v112, v[36:37]
	ds_write_b64 v113, v[34:35]
	ds_write_b64 v114, v[36:37]
	s_waitcnt lgkmcnt(0)
	s_barrier
	ds_read_b64 v[38:39], v115 offset:49152
	ds_read2_b64 v[34:37], v116 offset1:16
	ds_read_b64 v[50:51], v118 offset:6144
	ds_read_b64 v[52:53], v116 offset:6144
	s_waitcnt lgkmcnt(2)
	v_mfma_f32_16x16x16_bf16 a[0:3], v[38:39], v[34:35], 0
	ds_read_b64 v[54:55], v117 offset:49152
	ds_read2st64_b64 v[42:45], v119 offset0:4 offset1:8
	ds_read2st64_b64 v[46:49], v120 offset0:4 offset1:8
	v_mfma_f32_16x16x16_bf16 a[4:7], v[38:39], v[36:37], 0
	ds_read2_b64 v[34:37], v116 offset0:32 offset1:48
	s_add_i32 s31, s59, 63
	s_ashr_i32 s44, s31, 31
	s_waitcnt lgkmcnt(0)
	v_mfma_f32_16x16x16_bf16 a[8:11], v[38:39], v[34:35], 0
	s_mul_i32 s45, s31, s37
	s_mul_hi_u32 s66, s31, s36
	s_add_i32 s45, s66, s45
	v_mfma_f32_16x16x16_bf16 a[12:15], v[38:39], v[36:37], 0
	ds_read2st64_b64 v[34:37], v116 offset0:4 offset1:8
	ds_read2st64_b64 v[38:41], v118 offset0:4 offset1:8
	s_mul_i32 s44, s44, s36
	s_waitcnt lgkmcnt(1)
	v_mfma_f32_16x16x16_bf16 a[0:3], v[54:55], v[34:35], a[0:3]
	s_add_i32 s45, s45, s44
	s_mul_i32 s44, s31, s36
	s_lshl_b64 s[44:45], s[44:45], 2
	s_waitcnt lgkmcnt(0)
	v_mfma_f32_16x16x16_bf16 a[4:7], v[54:55], v[38:39], a[4:7]
	s_add_u32 s44, s4, s44
	s_addc_u32 s45, s5, s45
	s_and_b64 vcc, exec, s[0:1]
	v_mfma_f32_16x16x16_bf16 a[8:11], v[54:55], v[42:43], a[8:11]
	ds_read_b64 v[34:35], v121 offset:49152
	ds_read_b64 v[38:39], v122 offset:49152
	;; [unrolled: 1-line block ×3, first 2 shown]
	v_mov_b32_e32 v145, 0
	v_mov_b32_e32 v144, 0
	v_mfma_f32_16x16x16_bf16 a[12:15], v[54:55], v[46:47], a[12:15]
	v_mov_b32_e32 v143, 0
	v_mov_b32_e32 v46, 0
	;; [unrolled: 1-line block ×3, first 2 shown]
	s_waitcnt lgkmcnt(2)
	v_mfma_f32_16x16x16_bf16 a[0:3], v[34:35], v[36:37], a[0:3]
	v_mov_b32_e32 v36, 0
	v_mov_b32_e32 v37, 0
	v_mfma_f32_16x16x16_bf16 a[4:7], v[34:35], v[40:41], a[4:7]
	v_mov_b32_e32 v40, 0
	v_mov_b32_e32 v41, 0
	;; [unrolled: 3-line block ×3, first 2 shown]
	v_mfma_f32_16x16x16_bf16 a[12:15], v[34:35], v[48:49], a[12:15]
	ds_read_b64 v[34:35], v119 offset:6144
	v_mov_b32_e32 v48, 0
	v_mov_b32_e32 v49, 0
	s_waitcnt lgkmcnt(2)
	v_mfma_f32_16x16x16_bf16 a[0:3], v[38:39], v[52:53], a[0:3]
	v_mfma_f32_16x16x16_bf16 a[4:7], v[38:39], v[50:51], a[4:7]
	s_waitcnt lgkmcnt(0)
	v_mfma_f32_16x16x16_bf16 a[8:11], v[38:39], v[34:35], a[8:11]
	v_mov_b32_e32 v34, 0
	v_mov_b32_e32 v35, 0
	v_mfma_f32_16x16x16_bf16 a[12:15], v[38:39], v[42:43], a[12:15]
	v_mov_b32_e32 v38, 0
	v_mov_b32_e32 v39, 0
	;; [unrolled: 1-line block ×4, first 2 shown]
	s_cbranch_vccnz .LBB225_12
; %bb.11:                               ;   in Loop: Header=BB225_6 Depth=1
	s_and_b32 s25, s25, 0xffff
	buffer_load_dwordx4 v[46:49], v95, s[24:27], 0 offen
	buffer_load_dwordx4 v[42:45], v95, s[24:27], s61 offen
	;; [unrolled: 1-line block ×4, first 2 shown]
	v_mov_b32_e32 v144, v97
	v_mov_b32_e32 v143, v98
.LBB225_12:                             ;   in Loop: Header=BB225_6 Depth=1
	ds_read_b64 v[150:151], v115 offset:57344
	ds_read2_b64 v[50:53], v123 offset1:16
	ds_read_b64 v[152:153], v117 offset:57344
	ds_read_b64 v[154:155], v121 offset:57344
	;; [unrolled: 1-line block ×3, first 2 shown]
	s_waitcnt lgkmcnt(3)
	v_mfma_f32_16x16x16_bf16 a[0:3], v[150:151], v[50:51], a[0:3]
	v_mfma_f32_16x16x16_bf16 a[4:7], v[150:151], v[52:53], a[4:7]
	ds_read2_b64 v[50:53], v123 offset0:32 offset1:48
	ds_read2st64_b64 v[54:57], v123 offset0:4 offset1:8
	ds_read2st64_b64 v[58:61], v124 offset0:4 offset1:8
	;; [unrolled: 1-line block ×4, first 2 shown]
	s_waitcnt lgkmcnt(4)
	v_mfma_f32_16x16x16_bf16 a[8:11], v[150:151], v[50:51], a[8:11]
	v_mfma_f32_16x16x16_bf16 a[12:15], v[150:151], v[52:53], a[12:15]
	v_add_u32_e32 v150, s59, v91
	v_ashrrev_i32_e32 v50, 31, v150
	v_mul_lo_u32 v52, v50, s36
	v_mul_lo_u32 v53, v150, s37
	v_mad_u64_u32 v[50:51], s[24:25], v150, s36, 0
	v_add3_u32 v51, v51, v53, v52
	v_add_u32_e32 v52, 1, v150
	v_ashrrev_i32_e32 v53, 31, v52
	s_waitcnt lgkmcnt(3)
	v_mfma_f32_16x16x16_bf16 a[0:3], v[152:153], v[54:55], a[0:3]
	v_mul_lo_u32 v54, v53, s36
	v_mul_lo_u32 v55, v52, s37
	v_mad_u64_u32 v[52:53], s[24:25], v52, s36, 0
	v_add3_u32 v53, v53, v55, v54
	v_add_u32_e32 v54, 2, v150
	v_ashrrev_i32_e32 v55, 31, v54
	s_waitcnt lgkmcnt(2)
	v_mfma_f32_16x16x16_bf16 a[4:7], v[152:153], v[58:59], a[4:7]
	v_mul_lo_u32 v58, v55, s36
	v_mul_lo_u32 v59, v54, s37
	v_mad_u64_u32 v[54:55], s[24:25], v54, s36, 0
	v_lshl_add_u64 v[50:51], v[50:51], 2, s[4:5]
	v_lshl_add_u64 v[52:53], v[52:53], 2, s[4:5]
	v_add3_u32 v55, v55, v59, v58
	v_add_u32_e32 v58, 3, v150
	s_waitcnt lgkmcnt(1)
	v_mfma_f32_16x16x16_bf16 a[8:11], v[152:153], v[62:63], a[8:11]
	global_load_dword v63, v[50:51], off
	v_ashrrev_i32_e32 v59, 31, v58
	v_mul_lo_u32 v59, v59, s36
	s_waitcnt lgkmcnt(0)
	v_mfma_f32_16x16x16_bf16 a[12:15], v[152:153], v[146:147], a[12:15]
	global_load_dword v146, v[52:53], off
	v_mad_u64_u32 v[50:51], s[24:25], v58, s36, 0
	s_ashr_i32 s25, s59, 31
	v_mul_lo_u32 v62, v58, s37
	s_add_u32 s24, s58, s59
	v_lshl_add_u64 v[54:55], v[54:55], 2, s[4:5]
	v_add3_u32 v51, v51, v62, v59
	s_addc_u32 s25, s57, s25
	v_lshl_add_u64 v[50:51], v[50:51], 2, s[4:5]
	global_load_dword v62, v[54:55], off
	global_load_dword v147, v[50:51], off
	s_lshl_b64 s[24:25], s[24:25], 8
	v_lshl_add_u64 v[50:51], v[80:81], 0, s[24:25]
	v_lshl_add_u64 v[50:51], v[50:51], 0, v[78:79]
	global_load_ushort v150, v[50:51], off offset:256
	global_load_ushort v151, v[50:51], off
	global_load_ushort v152, v[50:51], off offset:768
	global_load_ushort v153, v[50:51], off offset:512
	;; [unrolled: 1-line block ×6, first 2 shown]
	s_load_dword s44, s[44:45], 0x0
	v_mfma_f32_16x16x16_bf16 a[12:15], v[154:155], v[148:149], a[12:15]
	global_load_ushort v148, v[50:51], off offset:320
	global_load_ushort v149, v[50:51], off offset:64
	s_and_b64 vcc, exec, s[0:1]
	v_mfma_f32_16x16x16_bf16 a[0:3], v[154:155], v[56:57], a[0:3]
	ds_read_b64 v[52:53], v123 offset:6144
	ds_read_b64 v[54:55], v124 offset:6144
	;; [unrolled: 1-line block ×4, first 2 shown]
	v_mfma_f32_16x16x16_bf16 a[4:7], v[154:155], v[60:61], a[4:7]
	s_waitcnt vmcnt(11) lgkmcnt(0)
	v_sub_f32_e32 v60, s44, v62
	v_mfma_f32_16x16x16_bf16 a[8:11], v[154:155], v[64:65], a[8:11]
	global_load_ushort v154, v[50:51], off offset:832
	global_load_ushort v155, v[50:51], off offset:576
	;; [unrolled: 1-line block ×6, first 2 shown]
	v_mfma_f32_16x16x16_bf16 a[0:3], v[156:157], v[52:53], a[0:3]
	s_waitcnt vmcnt(16)
	v_sub_f32_e32 v61, s44, v147
	v_mul_f32_e32 v60, 0x3fb8aa3b, v60
	v_mul_f32_e32 v61, 0x3fb8aa3b, v61
	v_exp_f32_e32 v60, v60
	v_exp_f32_e32 v61, v61
	s_waitcnt vmcnt(15)
	v_lshlrev_b32_e32 v65, 16, v150
	s_waitcnt vmcnt(14)
	v_lshlrev_b32_e32 v64, 16, v151
	v_accvgpr_read_b32 v53, a3
	v_accvgpr_read_b32 v52, a2
	v_mfma_f32_16x16x16_bf16 a[2:5], v[156:157], v[54:55], a[4:7]
	v_mfma_f32_16x16x16_bf16 a[6:9], v[156:157], v[56:57], a[8:11]
	s_nop 5
	v_accvgpr_read_b32 v55, a5
	v_accvgpr_read_b32 v54, a4
	v_accvgpr_read_b32 v51, a9
	v_accvgpr_read_b32 v50, a8
	v_mfma_f32_16x16x16_bf16 a[8:11], v[156:157], v[58:59], a[12:15]
	v_sub_f32_e32 v58, s44, v63
	v_sub_f32_e32 v59, s44, v146
	v_mul_f32_e32 v58, 0x3fb8aa3b, v58
	v_mul_f32_e32 v59, 0x3fb8aa3b, v59
	v_exp_f32_e32 v58, v58
	v_exp_f32_e32 v59, v59
	v_accvgpr_read_b32 v147, a1
	v_accvgpr_read_b32 v146, a0
	v_lshl_add_u64 v[62:63], v[82:83], 0, s[24:25]
	v_pk_add_f32 v[64:65], v[64:65], v[146:147] neg_lo:[0,1] neg_hi:[0,1]
	s_waitcnt vmcnt(13)
	v_lshlrev_b32_e32 v147, 16, v152
	s_waitcnt vmcnt(12)
	v_lshlrev_b32_e32 v146, 16, v153
	v_lshl_add_u64 v[62:63], v[62:63], 0, v[78:79]
	v_pk_add_f32 v[52:53], v[146:147], v[52:53] neg_lo:[0,1] neg_hi:[0,1]
	global_store_short_d16_hi v[62:63], v64, off
	global_store_short_d16_hi v[62:63], v65, off offset:256
	global_store_short_d16_hi v[62:63], v52, off offset:512
	global_store_short_d16_hi v[62:63], v53, off offset:768
	v_pk_mul_f32 v[64:65], v[58:59], v[64:65]
	v_pk_mul_f32 v[52:53], v[60:61], v[52:53]
	v_accvgpr_read_b32 v147, a3
	v_perm_b32 v53, v53, v52, s3
	v_perm_b32 v52, v65, v64, s3
	s_waitcnt vmcnt(15)
	v_lshlrev_b32_e32 v65, 16, v158
	s_waitcnt vmcnt(14)
	v_lshlrev_b32_e32 v64, 16, v159
	v_accvgpr_read_b32 v146, a2
	v_pk_add_f32 v[64:65], v[64:65], v[146:147] neg_lo:[0,1] neg_hi:[0,1]
	s_waitcnt vmcnt(13)
	v_lshlrev_b32_e32 v147, 16, v160
	s_waitcnt vmcnt(12)
	v_lshlrev_b32_e32 v146, 16, v161
	v_pk_add_f32 v[54:55], v[146:147], v[54:55] neg_lo:[0,1] neg_hi:[0,1]
	global_store_short_d16_hi v[62:63], v64, off offset:32
	global_store_short_d16_hi v[62:63], v65, off offset:288
	;; [unrolled: 1-line block ×4, first 2 shown]
	v_pk_mul_f32 v[64:65], v[58:59], v[64:65]
	v_pk_mul_f32 v[54:55], v[60:61], v[54:55]
	v_accvgpr_read_b32 v57, a11
	v_perm_b32 v55, v55, v54, s3
	v_perm_b32 v54, v65, v64, s3
	ds_write2_b64 v100, v[52:53], v[54:55] offset1:16
	v_accvgpr_read_b32 v55, a7
	s_waitcnt vmcnt(15)
	v_lshlrev_b32_e32 v53, 16, v148
	s_waitcnt vmcnt(14)
	v_lshlrev_b32_e32 v52, 16, v149
	v_accvgpr_read_b32 v54, a6
	v_pk_add_f32 v[52:53], v[52:53], v[54:55] neg_lo:[0,1] neg_hi:[0,1]
	global_store_short_d16_hi v[62:63], v52, off offset:64
	global_store_short_d16_hi v[62:63], v53, off offset:320
	v_pk_mul_f32 v[52:53], v[58:59], v[52:53]
	v_accvgpr_read_b32 v56, a10
	v_perm_b32 v52, v53, v52, s3
	v_mov_b32_e32 v146, 0
	v_mov_b32_e32 v64, 0
	;; [unrolled: 1-line block ×3, first 2 shown]
	s_waitcnt vmcnt(15)
	v_lshlrev_b32_e32 v55, 16, v154
	s_waitcnt vmcnt(14)
	v_lshlrev_b32_e32 v54, 16, v155
	v_pk_add_f32 v[50:51], v[54:55], v[50:51] neg_lo:[0,1] neg_hi:[0,1]
	global_store_short_d16_hi v[62:63], v50, off offset:576
	global_store_short_d16_hi v[62:63], v51, off offset:832
	v_pk_mul_f32 v[50:51], v[60:61], v[50:51]
	v_accvgpr_read_b32 v55, a9
	v_perm_b32 v53, v51, v50, s3
	s_waitcnt vmcnt(15)
	v_lshlrev_b32_e32 v51, 16, v162
	s_waitcnt vmcnt(14)
	v_lshlrev_b32_e32 v50, 16, v163
	v_accvgpr_read_b32 v54, a8
	v_pk_add_f32 v[50:51], v[50:51], v[54:55] neg_lo:[0,1] neg_hi:[0,1]
	s_waitcnt vmcnt(13)
	v_lshlrev_b32_e32 v55, 16, v164
	s_waitcnt vmcnt(12)
	v_lshlrev_b32_e32 v54, 16, v165
	v_pk_add_f32 v[54:55], v[54:55], v[56:57] neg_lo:[0,1] neg_hi:[0,1]
	global_store_short_d16_hi v[62:63], v50, off offset:96
	global_store_short_d16_hi v[62:63], v51, off offset:352
	;; [unrolled: 1-line block ×4, first 2 shown]
	v_pk_mul_f32 v[50:51], v[58:59], v[50:51]
	v_pk_mul_f32 v[54:55], v[60:61], v[54:55]
	v_mov_b32_e32 v56, 0
	v_perm_b32 v55, v55, v54, s3
	v_perm_b32 v54, v51, v50, s3
	ds_write2_b64 v100, v[52:53], v[54:55] offset0:32 offset1:48
	v_mov_b32_e32 v50, 0
	v_mov_b32_e32 v51, 0
	v_mov_b32_e32 v52, 0
	v_mov_b32_e32 v53, 0
	v_mov_b32_e32 v54, 0
	v_mov_b32_e32 v55, 0
	v_mov_b32_e32 v57, 0
	v_mov_b32_e32 v58, 0
	v_mov_b32_e32 v59, 0
	v_mov_b32_e32 v60, 0
	v_mov_b32_e32 v61, 0
	v_mov_b32_e32 v62, 0
	v_mov_b32_e32 v63, 0
	s_cbranch_vccnz .LBB225_14
; %bb.13:                               ;   in Loop: Header=BB225_6 Depth=1
	s_and_b32 s29, s29, 0xffff
	s_mov_b32 s31, s27
	buffer_load_dwordx4 v[62:65], v137, s[28:31], 0 offen
	buffer_load_dwordx4 v[54:57], v137, s[28:31], s61 offen
	;; [unrolled: 1-line block ×4, first 2 shown]
	v_mov_b32_e32 v145, v94
	v_mov_b32_e32 v146, v93
.LBB225_14:                             ;   in Loop: Header=BB225_6 Depth=1
	s_waitcnt lgkmcnt(0)
	s_barrier
	ds_read_b64 v[156:157], v77
	ds_read2_b64 v[148:151], v130 offset1:16
	ds_read_b64 v[172:173], v139
	ds_read_b64 v[174:175], v140
	;; [unrolled: 1-line block ×3, first 2 shown]
	ds_read2_b64 v[152:155], v130 offset0:32 offset1:48
	s_waitcnt lgkmcnt(4)
	v_mfma_f32_16x16x16_bf16 a[0:3], v[156:157], v[148:149], 0
	ds_read2st64_b64 v[160:163], v132 offset0:4 offset1:8
	ds_read2st64_b64 v[164:167], v133 offset0:4 offset1:8
	;; [unrolled: 1-line block ×3, first 2 shown]
	v_mfma_f32_16x16x16_bf16 a[4:7], v[156:157], v[150:151], 0
	s_add_i32 s24, s56, s64
	s_mul_hi_i32 s25, s24, s21
	s_mul_i32 s24, s24, s21
	s_waitcnt lgkmcnt(3)
	v_mfma_f32_16x16x16_bf16 a[8:11], v[156:157], v[152:153], 0
	s_add_u32 s24, s24, s51
	s_addc_u32 s25, s25, s52
	s_lshl_b64 s[24:25], s[24:25], 15
	v_mfma_f32_16x16x16_bf16 a[12:15], v[156:157], v[154:155], 0
	ds_read2st64_b64 v[156:159], v130 offset0:4 offset1:8
	s_waitcnt lgkmcnt(0)
	v_mfma_f32_16x16x16_bf16 a[0:3], v[172:173], v[156:157], a[0:3]
	v_mfma_f32_16x16x16_bf16 a[4:7], v[172:173], v[160:161], a[4:7]
	;; [unrolled: 1-line block ×8, first 2 shown]
	ds_read_b64 v[172:173], v130 offset:6144
	ds_read_b64 v[174:175], v131 offset:40960
	;; [unrolled: 1-line block ×8, first 2 shown]
	s_waitcnt lgkmcnt(5)
	v_mfma_f32_16x16x16_bf16 a[16:19], v[178:179], v[148:149], 0
	v_mfma_f32_16x16x16_bf16 a[20:23], v[178:179], v[150:151], 0
	ds_read2st64_b64 v[148:151], v127 offset1:8
	v_mfma_f32_16x16x16_bf16 a[24:27], v[178:179], v[152:153], 0
	v_mfma_f32_16x16x16_bf16 a[28:31], v[178:179], v[154:155], 0
	ds_read2st64_b64 v[152:155], v128 offset1:8
	v_mfma_f32_16x16x16_bf16 a[16:19], v[174:175], v[156:157], a[16:19]
	s_waitcnt lgkmcnt(1)
	v_mov_b32_e32 v156, v148
	v_mov_b32_e32 v157, v149
	v_mfma_f32_16x16x16_bf16 a[20:23], v[174:175], v[160:161], a[20:23]
	v_lshl_add_u64 v[160:161], v[84:85], 0, s[24:25]
	v_mfma_f32_16x16x16_bf16 a[24:27], v[174:175], v[164:165], a[24:27]
	v_mfma_f32_16x16x16_bf16 a[28:31], v[174:175], v[168:169], a[28:31]
	;; [unrolled: 1-line block ×3, first 2 shown]
	s_waitcnt lgkmcnt(0)
	v_mov_b32_e32 v158, v152
	v_mov_b32_e32 v159, v153
	;; [unrolled: 1-line block ×3, first 2 shown]
	v_mfma_f32_16x16x16_bf16 a[32:35], v[186:187], v[162:163], a[20:23]
	v_mov_b32_e32 v153, v151
	ds_read2st64_b64 v[148:151], v127 offset0:16 offset1:24
	global_store_dwordx4 v[160:161], v[156:159], off
	v_mfma_f32_16x16x16_bf16 a[24:27], v[186:187], v[166:167], a[24:27]
	ds_read2st64_b64 v[156:159], v128 offset0:16 offset1:24
	v_add_co_u32_e32 v162, vcc, s41, v160
	v_mfma_f32_16x16x16_bf16 a[28:31], v[186:187], v[170:171], a[28:31]
	s_nop 0
	v_addc_co_u32_e32 v163, vcc, 0, v161, vcc
	global_store_dwordx4 v[162:163], v[152:155], off offset:-4096
	v_mfma_f32_16x16x16_bf16 a[0:3], v[176:177], v[172:173], a[0:3]
	s_waitcnt lgkmcnt(1)
	v_mov_b32_e32 v152, v148
	v_add_co_u32_e32 v148, vcc, s43, v160
	v_mfma_f32_16x16x16_bf16 a[4:7], v[176:177], v[180:181], a[4:7]
	v_mov_b32_e32 v153, v149
	v_addc_co_u32_e32 v149, vcc, 0, v161, vcc
	v_mfma_f32_16x16x16_bf16 a[8:11], v[176:177], v[182:183], a[8:11]
	s_waitcnt lgkmcnt(0)
	v_mov_b32_e32 v154, v156
	v_mov_b32_e32 v155, v157
	;; [unrolled: 1-line block ×3, first 2 shown]
	v_mfma_f32_16x16x16_bf16 a[12:15], v[176:177], v[184:185], a[12:15]
	v_mov_b32_e32 v157, v151
	s_and_b64 vcc, exec, s[0:1]
	global_store_dwordx4 v[162:163], v[152:155], off
	v_mfma_f32_16x16x16_bf16 a[20:23], v[188:189], v[172:173], a[16:19]
	global_store_dwordx4 v[148:149], v[156:159], off
	v_mfma_f32_16x16x16_bf16 a[16:19], v[188:189], v[180:181], a[32:35]
	v_mfma_f32_16x16x16_bf16 a[24:27], v[188:189], v[182:183], a[24:27]
	;; [unrolled: 1-line block ×3, first 2 shown]
	s_cbranch_vccnz .LBB225_16
; %bb.15:                               ;   in Loop: Header=BB225_6 Depth=1
	v_lshrrev_b32_e32 v147, 3, v145
	v_and_b32_e32 v147, 6, v147
	v_xor_b32_e32 v146, v147, v146
	v_lshlrev_b32_e32 v146, 2, v146
	v_and_b32_e32 v145, 8, v145
	v_xor_b32_e32 v148, 0x440, v146
	v_cmp_eq_u32_e32 vcc, 0, v145
	s_barrier
	s_nop 0
	v_cndmask_b32_e32 v145, v148, v146, vcc
	v_lshl_or_b32 v145, v147, 10, v145
	s_waitcnt vmcnt(5)
	v_perm_b32 v146, v62, v58, s62
	s_waitcnt vmcnt(4)
	v_perm_b32 v147, v54, v50, s62
	ds_write2st64_b32 v145, v146, v147 offset0:128 offset1:160
	v_xor_b32_e32 v146, 8, v145
	v_perm_b32 v58, v62, v58, s63
	v_perm_b32 v50, v54, v50, s63
	v_add_u32_e32 v54, 0x80, v146
	ds_write2st64_b32 v54, v58, v50 offset0:128 offset1:160
	v_xor_b32_e32 v50, 16, v145
	v_perm_b32 v54, v63, v59, s62
	v_perm_b32 v58, v55, v51, s62
	ds_write2st64_b32 v50, v54, v58 offset0:129 offset1:161
	v_xor_b32_e32 v50, 24, v145
	v_perm_b32 v54, v63, v59, s63
	v_perm_b32 v51, v55, v51, s63
	v_add_u32_e32 v50, 0x80, v50
	ds_write2st64_b32 v50, v54, v51 offset0:129 offset1:161
	v_xor_b32_e32 v50, 32, v145
	v_perm_b32 v51, v64, v60, s62
	;; [unrolled: 9-line block ×3, first 2 shown]
	v_perm_b32 v52, v57, v53, s62
	ds_write2st64_b32 v50, v51, v52 offset0:131 offset1:163
	v_xor_b32_e32 v50, 56, v145
	v_perm_b32 v51, v65, v61, s63
	v_perm_b32 v52, v57, v53, s63
	v_add_u32_e32 v50, 0x80, v50
	ds_write2st64_b32 v50, v51, v52 offset0:131 offset1:163
	ds_write_b64 v144, v[46:47] offset:49152
	v_xor_b32_e32 v46, 8, v144
	ds_write_b64 v46, v[48:49] offset:49152
	ds_write_b64 v144, v[42:43] offset:57344
	;; [unrolled: 1-line block ×4, first 2 shown]
	v_xor_b32_e32 v38, 8, v143
	ds_write_b64 v38, v[40:41] offset:49152
	ds_write_b64 v143, v[34:35] offset:57344
	;; [unrolled: 1-line block ×3, first 2 shown]
.LBB225_16:                             ;   in Loop: Header=BB225_6 Depth=1
	s_waitcnt vmcnt(6)
	v_mul_f32_e32 v54, s44, v142
	v_exp_f32_e32 v144, v54
	v_accvgpr_read_b32 v37, a3
	v_accvgpr_read_b32 v41, a7
	;; [unrolled: 1-line block ×4, first 2 shown]
	s_waitcnt vmcnt(4)
	v_accvgpr_read_b32 v53, a23
	v_accvgpr_read_b32 v57, a19
	;; [unrolled: 1-line block ×28, first 2 shown]
	s_add_i32 s59, s59, 64
	v_pk_fma_f32 v[6:7], v[6:7], v[144:145], v[34:35] op_sel_hi:[1,0,1]
	v_pk_fma_f32 v[8:9], v[8:9], v[144:145], v[36:37] op_sel_hi:[1,0,1]
	;; [unrolled: 1-line block ×15, first 2 shown]
	s_cmp_eq_u32 s53, s65
	v_pk_fma_f32 v[28:29], v[28:29], v[144:145], v[64:65] op_sel_hi:[1,0,1]
	s_cbranch_scc1 .LBB225_18
; %bb.17:                               ;   in Loop: Header=BB225_6 Depth=1
	s_mov_b32 s64, s65
	s_branch .LBB225_6
.LBB225_18:
	s_lshl_b32 s30, s53, 6
	s_sub_i32 s31, s54, s30
	s_cmp_gt_i32 s31, 0
	s_cbranch_scc0 .LBB225_99
; %bb.19:
	s_add_i32 s30, s30, s38
	s_ashr_i32 s3, s30, 31
	s_cmpk_lg_i32 s23, 0x80
	s_cselect_b64 s[26:27], -1, 0
	s_and_b64 vcc, exec, s[26:27]
	s_cbranch_vccz .LBB225_21
; %bb.20:
	s_mul_i32 s1, s30, s22
	s_ashr_i32 s4, s55, 31
	s_mul_hi_i32 s0, s30, s22
	s_add_u32 s28, s1, s55
	s_addc_u32 s29, s0, s4
	s_cbranch_execz .LBB225_22
	s_branch .LBB225_23
.LBB225_21:
                                        ; implicit-def: $sgpr28_sgpr29
.LBB225_22:
	s_mul_i32 s1, s55, s20
	s_mul_hi_i32 s0, s55, s20
	s_add_u32 s28, s1, s30
	s_addc_u32 s29, s0, s3
.LBB225_23:
	s_add_i32 s4, s53, s56
	s_add_u32 s0, s58, s30
	v_lshlrev_b32_e32 v38, 6, v91
	v_lshlrev_b32_e32 v56, 2, v88
	s_addc_u32 s1, s57, s3
	s_mov_b32 s3, 0x7060302
	v_or_b32_e32 v41, v38, v56
	v_xor_b32_e32 v39, v91, v56
	s_waitcnt vmcnt(7)
	v_perm_b32 v35, v9, v8, s3
	v_perm_b32 v34, v7, v6, s3
	s_waitcnt vmcnt(6)
	v_perm_b32 v37, v5, v4, s3
	v_perm_b32 v36, v3, v2, s3
	v_lshlrev_b32_e32 v41, 1, v41
	v_xor_b32_e32 v40, v92, v56
	ds_write2st64_b64 v41, v[34:35], v[36:37] offset0:32 offset1:48
	v_lshlrev_b32_e32 v39, 1, v39
	v_lshlrev_b32_e32 v41, 8, v88
	v_or_b32_e32 v42, v39, v41
	v_lshlrev_b32_e32 v40, 1, v40
	ds_write_b64 v42, v[34:35]
	v_or_b32_e32 v34, v40, v41
	v_or_b32_e32 v41, 16, v88
	v_lshlrev_b32_e32 v55, 2, v41
	v_or_b32_e32 v42, v38, v55
	ds_write_b64 v34, v[36:37]
	s_waitcnt vmcnt(5)
	v_perm_b32 v35, v17, v16, s3
	v_perm_b32 v34, v15, v14, s3
	s_waitcnt vmcnt(4)
	v_perm_b32 v37, v13, v12, s3
	v_perm_b32 v36, v11, v10, s3
	v_lshlrev_b32_e32 v42, 1, v42
	v_lshlrev_b32_e32 v41, 8, v41
	ds_write2st64_b64 v42, v[34:35], v[36:37] offset0:32 offset1:48
	v_or_b32_e32 v42, v39, v41
	ds_write_b64 v42, v[34:35]
	v_or_b32_e32 v34, v40, v41
	v_or_b32_e32 v41, 32, v88
	v_lshlrev_b32_e32 v54, 2, v41
	v_or_b32_e32 v42, v38, v54
	ds_write_b64 v34, v[36:37]
	s_waitcnt vmcnt(3)
	v_perm_b32 v35, v25, v24, s3
	v_perm_b32 v34, v23, v22, s3
	s_waitcnt vmcnt(2)
	v_perm_b32 v37, v21, v20, s3
	v_perm_b32 v36, v19, v18, s3
	v_lshlrev_b32_e32 v42, 1, v42
	v_lshlrev_b32_e32 v41, 8, v41
	s_lshl_b64 s[24:25], s[0:1], 8
	ds_write2st64_b64 v42, v[34:35], v[36:37] offset0:32 offset1:48
	v_or_b32_e32 v42, v39, v41
	s_add_u32 s0, s14, s24
	ds_write_b64 v42, v[34:35]
	v_or_b32_e32 v34, v40, v41
	s_addc_u32 s1, s15, s25
	ds_write_b64 v34, v[36:37]
	s_waitcnt vmcnt(1)
	v_perm_b32 v35, v33, v32, s3
	v_perm_b32 v34, v31, v30, s3
	s_waitcnt vmcnt(0)
	v_perm_b32 v37, v29, v28, s3
	v_perm_b32 v36, v27, v26, s3
	v_or_b32_e32 v41, 48, v88
	s_mul_hi_i32 s3, s4, s21
	s_mul_i32 s4, s4, s21
	v_lshlrev_b32_e32 v51, 2, v41
	s_add_u32 s4, s4, s51
	v_or_b32_e32 v38, v38, v51
	s_addc_u32 s5, s3, s52
	v_lshlrev_b32_e32 v38, 1, v38
	s_ashr_i32 s3, s2, 31
	s_lshl_b64 s[4:5], s[4:5], 15
	ds_write2st64_b64 v38, v[34:35], v[36:37] offset0:32 offset1:48
	v_lshlrev_b32_e32 v38, 8, v41
	s_add_u32 s4, s6, s4
	v_or_b32_e32 v39, v39, v38
	s_addc_u32 s5, s7, s5
	s_lshl_b64 s[2:3], s[2:3], 8
	ds_write_b64 v39, v[34:35]
	v_or_b32_e32 v34, v40, v38
	s_add_u32 s2, s4, s2
	v_lshlrev_b32_e32 v35, 1, v88
	ds_write_b64 v34, v[36:37]
	v_lshrrev_b32_e32 v34, 4, v0
	s_addc_u32 s3, s5, s3
	v_or_b32_e32 v36, 1, v35
	v_lshlrev_b32_e32 v42, 4, v88
	v_mov_b32_e32 v43, 0
	v_xor_b32_e32 v35, v34, v35
	v_xor_b32_e32 v38, v36, v34
	v_lshl_add_u64 v[44:45], s[2:3], 0, v[42:43]
	v_lshlrev_b32_e32 v42, 8, v34
	v_lshl_or_b32 v48, v35, 3, v42
	v_lshl_or_b32 v49, v38, 3, v42
	s_waitcnt lgkmcnt(0)
	s_barrier
	ds_read2st64_b64 v[34:37], v48 offset1:8
	ds_read2st64_b64 v[38:41], v49 offset1:8
	v_lshl_add_u64 v[46:47], v[44:45], 0, v[42:43]
	s_movk_i32 s2, 0x2000
	s_cmp_lg_u32 s31, 64
	s_waitcnt lgkmcnt(1)
	v_mov_b32_e32 v42, v34
	v_mov_b32_e32 v43, v35
	s_waitcnt lgkmcnt(0)
	v_mov_b32_e32 v44, v38
	v_mov_b32_e32 v45, v39
	global_store_dwordx4 v[46:47], v[42:45], off
	v_mov_b32_e32 v38, v36
	v_mov_b32_e32 v39, v37
	ds_read2st64_b64 v[34:37], v48 offset0:16 offset1:24
	ds_read2st64_b64 v[42:45], v49 offset0:16 offset1:24
	v_add_co_u32_e32 v48, vcc, s2, v46
	s_cselect_b64 s[14:15], -1, 0
	s_nop 0
	v_addc_co_u32_e32 v49, vcc, 0, v47, vcc
	global_store_dwordx4 v[48:49], v[38:41], off offset:-4096
	v_lshl_or_b32 v62, v1, 3, v90
	s_mov_b32 s4, 0
	s_waitcnt lgkmcnt(1)
	v_mov_b32_e32 v38, v34
	v_add_co_u32_e32 v34, vcc, 0x3000, v46
	v_mov_b32_e32 v39, v35
	s_nop 0
	v_addc_co_u32_e32 v35, vcc, 0, v47, vcc
	s_waitcnt lgkmcnt(0)
	v_mov_b32_e32 v40, v42
	v_mov_b32_e32 v41, v43
	;; [unrolled: 1-line block ×4, first 2 shown]
	v_or_b32_e32 v52, 32, v62
	v_and_b32_e32 v50, 56, v89
	s_and_b64 vcc, exec, s[14:15]
	global_store_dwordx4 v[48:49], v[38:41], off
	global_store_dwordx4 v[34:35], v[42:45], off
	s_cbranch_vccz .LBB225_29
; %bb.24:
	s_mov_b32 s6, s4
	s_mov_b32 s7, s4
	;; [unrolled: 1-line block ×3, first 2 shown]
	v_mov_b64_e32 v[40:41], s[6:7]
	v_mov_b64_e32 v[38:39], s[4:5]
	;; [unrolled: 1-line block ×3, first 2 shown]
	v_cmp_gt_i32_e32 vcc, s31, v62
	v_mov_b64_e32 v[36:37], v[40:41]
	s_and_saveexec_b64 s[2:3], vcc
	s_cbranch_execz .LBB225_26
; %bb.25:
	v_lshlrev_b32_e32 v34, 8, v62
	v_mov_b32_e32 v35, 0
	v_lshl_add_u64 v[36:37], s[0:1], 0, v[34:35]
	v_lshlrev_b32_e32 v34, 1, v50
	v_lshl_add_u64 v[42:43], v[36:37], 0, v[34:35]
	global_load_dwordx4 v[38:41], v[42:43], off
	global_load_dwordx4 v[34:37], v[42:43], off offset:128
.LBB225_26:
	s_or_b64 exec, exec, s[2:3]
	s_mov_b32 s6, s4
	s_mov_b32 s7, s4
	;; [unrolled: 1-line block ×3, first 2 shown]
	v_mov_b64_e32 v[48:49], s[6:7]
	v_mov_b64_e32 v[46:47], s[4:5]
	;; [unrolled: 1-line block ×3, first 2 shown]
	v_cmp_gt_i32_e32 vcc, s31, v52
	v_lshlrev_b32_e32 v53, 7, v52
	v_mov_b64_e32 v[44:45], v[48:49]
	s_and_saveexec_b64 s[2:3], vcc
	s_cbranch_execz .LBB225_28
; %bb.27:
	v_lshlrev_b32_e32 v42, 1, v53
	v_mov_b32_e32 v43, 0
	v_lshl_add_u64 v[44:45], s[0:1], 0, v[42:43]
	v_lshlrev_b32_e32 v42, 1, v50
	v_lshl_add_u64 v[58:59], v[44:45], 0, v[42:43]
	global_load_dwordx4 v[46:49], v[58:59], off
	global_load_dwordx4 v[42:45], v[58:59], off offset:128
.LBB225_28:
	s_or_b64 exec, exec, s[2:3]
	v_lshrrev_b32_e32 v57, 3, v50
	v_lshlrev_b32_e32 v58, 3, v62
	v_or_b32_e32 v57, v58, v57
	v_lshlrev_b32_e32 v57, 4, v57
	v_and_b32_e32 v58, 0x78, v58
	v_xor_b32_e32 v57, v57, v58
	s_branch .LBB225_31
.LBB225_29:
                                        ; implicit-def: $vgpr57
                                        ; implicit-def: $vgpr53
                                        ; implicit-def: $vgpr38_vgpr39_vgpr40_vgpr41
                                        ; implicit-def: $vgpr34_vgpr35_vgpr36_vgpr37
                                        ; implicit-def: $vgpr46_vgpr47_vgpr48_vgpr49
                                        ; implicit-def: $vgpr42_vgpr43_vgpr44_vgpr45
	s_cbranch_execz .LBB225_31
; %bb.30:
	s_waitcnt vmcnt(0)
	v_lshlrev_b32_e32 v34, 1, v50
	v_lshl_or_b32 v53, v62, 8, v34
	s_and_b32 s1, s1, 0xffff
	s_mov_b32 s3, 0x20000
	s_movk_i32 s2, 0x4000
	v_lshl_or_b32 v57, v52, 8, v34
	s_movk_i32 s4, 0x80
	buffer_load_dwordx4 v[38:41], v53, s[0:3], 0 offen
	buffer_load_dwordx4 v[34:37], v53, s[0:3], s4 offen
	;; [unrolled: 1-line block ×4, first 2 shown]
	v_lshrrev_b32_e32 v53, 3, v50
	v_lshlrev_b32_e32 v57, 3, v62
	v_or_b32_e32 v53, v57, v53
	v_lshlrev_b32_e32 v53, 4, v53
	v_and_b32_e32 v57, 0x78, v57
	v_xor_b32_e32 v57, v53, v57
	v_lshlrev_b32_e32 v53, 7, v52
.LBB225_31:
	s_movk_i32 s0, 0x1000
	v_and_or_b32 v52, v53, s0, v57
	s_waitcnt vmcnt(1)
	ds_write_b64 v57, v[38:39] offset:49152
	v_xor_b32_e32 v38, 8, v57
	ds_write_b64 v38, v[40:41] offset:49152
	s_waitcnt vmcnt(0)
	ds_write_b64 v57, v[34:35] offset:57344
	ds_write_b64 v38, v[36:37] offset:57344
	ds_write_b64 v52, v[46:47] offset:49152
	v_xor_b32_e32 v34, 8, v52
	ds_write_b64 v34, v[48:49] offset:49152
	ds_write_b64 v52, v[42:43] offset:57344
	;; [unrolled: 1-line block ×3, first 2 shown]
	v_or_b32_e32 v34, v86, v88
	v_lshlrev_b32_e32 v34, 3, v34
	v_lshrrev_b32_e32 v35, 5, v67
	s_movk_i32 s0, 0xf8
	v_and_or_b32 v35, v34, s0, v35
	v_lshlrev_b32_e32 v39, 4, v35
	v_lshlrev_b32_e32 v57, 11, v1
	v_and_b32_e32 v40, 0x78, v34
	v_or_b32_e32 v42, 32, v39
	v_and_b32_e32 v38, 0x1000, v57
	v_lshrrev_b32_e32 v35, 1, v67
	v_xor_b32_e32 v42, v42, v40
	v_xor_b32_e32 v34, v39, v40
	v_and_b32_e32 v41, 8, v35
	v_or_b32_e32 v42, v42, v38
	v_or_b32_e32 v34, v34, v38
	v_xor_b32_e32 v64, v42, v41
	v_or_b32_e32 v42, 64, v39
	v_xor_b32_e32 v63, v34, v41
	v_xor_b32_e32 v42, v42, v40
	s_waitcnt lgkmcnt(0)
	s_barrier
	v_or_b32_e32 v45, v42, v38
	ds_read_b64 v[42:43], v63 offset:49152
	v_lshl_or_b32 v46, v87, 8, v56
	v_lshlrev_b32_e32 v58, 1, v46
	v_add_u32_e32 v44, 0x4000, v58
	ds_read2_b64 v[34:37], v44 offset1:16
	v_or_b32_e32 v39, 0x60, v39
	v_xor_b32_e32 v39, v39, v40
	v_or_b32_e32 v38, v39, v38
	v_xor_b32_e32 v65, v45, v41
	v_xor_b32_e32 v77, v38, v41
	ds_read_b64 v[52:53], v64 offset:49152
	ds_read_b64 v[78:79], v65 offset:49152
	;; [unrolled: 1-line block ×3, first 2 shown]
	s_waitcnt lgkmcnt(3)
	v_mfma_f32_16x16x16_bf16 a[0:3], v[42:43], v[34:35], 0
	ds_read2st64_b64 v[38:41], v58 offset0:36 offset1:40
	s_lshl_b64 s[0:1], s[28:29], 8
	s_add_u32 s4, s12, s0
	v_mfma_f32_16x16x16_bf16 a[4:7], v[42:43], v[36:37], 0
	ds_read2_b64 v[34:37], v44 offset0:32 offset1:48
	s_addc_u32 s5, s13, s1
	s_add_i32 s1, s47, s33
	s_waitcnt lgkmcnt(0)
	v_mfma_f32_16x16x16_bf16 a[8:11], v[42:43], v[34:35], 0
	v_or_b32_e32 v34, 64, v46
	v_lshlrev_b32_e32 v59, 1, v34
	s_add_i32 s0, s39, -1
	v_mfma_f32_16x16x16_bf16 a[12:15], v[42:43], v[36:37], 0
	ds_read2st64_b64 v[34:37], v59 offset0:36 offset1:40
	s_add_i32 s43, s1, s46
	s_add_i32 s1, s49, s48
	v_mfma_f32_16x16x16_bf16 a[0:3], v[52:53], v[38:39], a[0:3]
	v_or_b32_e32 v38, 0x80, v46
	v_lshlrev_b32_e32 v60, 1, v38
	ds_read2st64_b64 v[42:45], v60 offset0:36 offset1:40
	s_waitcnt lgkmcnt(1)
	v_mfma_f32_16x16x16_bf16 a[4:7], v[52:53], v[34:35], a[4:7]
	v_or_b32_e32 v34, 0xc0, v46
	v_lshlrev_b32_e32 v61, 1, v34
	ds_read2st64_b64 v[46:49], v61 offset0:36 offset1:40
	s_add_i32 s41, s1, s50
	s_ashr_i32 s1, s0, 31
	s_mul_i32 s2, s0, s37
	s_mul_hi_u32 s3, s0, s36
	s_add_i32 s2, s3, s2
	s_mul_i32 s1, s1, s36
	s_waitcnt lgkmcnt(1)
	v_mfma_f32_16x16x16_bf16 a[8:11], v[52:53], v[42:43], a[8:11]
	s_add_i32 s1, s2, s1
	s_lshl_b64 s[2:3], s[42:43], 2
	s_add_u32 s6, s18, s2
	s_waitcnt lgkmcnt(0)
	v_mfma_f32_16x16x16_bf16 a[12:15], v[52:53], v[46:47], a[12:15]
	s_addc_u32 s7, s19, s3
	s_lshl_b64 s[2:3], s[40:41], 2
	s_mul_i32 s0, s0, s36
	v_mfma_f32_16x16x16_bf16 a[0:3], v[78:79], v[40:41], a[0:3]
	ds_read_b64 v[34:35], v58 offset:22528
	s_add_u32 s12, s6, s2
	s_addc_u32 s13, s7, s3
	v_mfma_f32_16x16x16_bf16 a[4:7], v[78:79], v[36:37], a[4:7]
	ds_read_b64 v[36:37], v59 offset:22528
	ds_read_b64 v[38:39], v60 offset:22528
	;; [unrolled: 1-line block ×3, first 2 shown]
	s_lshl_b64 s[0:1], s[0:1], 2
	s_add_u32 s0, s12, s0
	v_mfma_f32_16x16x16_bf16 a[8:11], v[78:79], v[44:45], a[8:11]
	s_addc_u32 s1, s13, s1
	s_load_dword s18, s[0:1], 0x0
	s_and_b64 vcc, exec, s[26:27]
	v_mfma_f32_16x16x16_bf16 a[12:15], v[78:79], v[48:49], a[12:15]
	s_waitcnt lgkmcnt(0)
	v_mfma_f32_16x16x16_bf16 a[0:3], v[80:81], v[34:35], a[0:3]
	v_mfma_f32_16x16x16_bf16 a[4:7], v[80:81], v[36:37], a[4:7]
	;; [unrolled: 1-line block ×4, first 2 shown]
	s_cbranch_vccz .LBB225_42
; %bb.32:
	v_lshlrev_b32_e32 v52, 1, v62
	s_and_b64 vcc, exec, s[14:15]
	s_cbranch_vccz .LBB225_43
; %bb.33:
	v_cmp_gt_i32_e32 vcc, s31, v52
	v_mov_b32_e32 v38, 0
	v_mov_b32_e32 v34, 0
	;; [unrolled: 1-line block ×5, first 2 shown]
	s_and_saveexec_b64 s[0:1], vcc
	s_cbranch_execz .LBB225_35
; %bb.34:
	v_mad_i64_i32 v[34:35], s[2:3], s23, v52, 0
	v_lshl_add_u64 v[34:35], v[34:35], 1, s[4:5]
	v_lshlrev_b32_e32 v36, 1, v50
	v_mov_b32_e32 v37, 0
	v_lshl_add_u64 v[34:35], v[34:35], 0, v[36:37]
	global_load_dwordx4 v[34:37], v[34:35], off
.LBB225_35:
	s_or_b64 exec, exec, s[0:1]
	v_or_b32_e32 v53, 1, v52
	v_cmp_gt_i32_e64 s[0:1], s31, v53
	v_mov_b32_e32 v39, 0
	v_mov_b32_e32 v40, 0
	;; [unrolled: 1-line block ×3, first 2 shown]
	s_and_saveexec_b64 s[2:3], s[0:1]
	s_cbranch_execz .LBB225_37
; %bb.36:
	v_mad_i64_i32 v[38:39], s[6:7], s23, v53, 0
	v_lshl_add_u64 v[38:39], v[38:39], 1, s[4:5]
	v_lshlrev_b32_e32 v40, 1, v50
	v_mov_b32_e32 v41, 0
	v_lshl_add_u64 v[38:39], v[38:39], 0, v[40:41]
	global_load_dwordx4 v[38:41], v[38:39], off
.LBB225_37:
	s_or_b64 exec, exec, s[2:3]
	v_mov_b32_e32 v49, 0
	v_mov_b32_e32 v42, 0
	;; [unrolled: 1-line block ×5, first 2 shown]
	s_and_saveexec_b64 s[2:3], vcc
	s_cbranch_execz .LBB225_39
; %bb.38:
	v_mad_i64_i32 v[42:43], s[6:7], s23, v52, 0
	v_lshl_add_u64 v[42:43], v[42:43], 1, s[4:5]
	v_lshlrev_b32_e32 v44, 1, v50
	v_mov_b32_e32 v45, 0
	v_lshl_add_u64 v[42:43], v[42:43], 0, v[44:45]
	global_load_dwordx4 v[42:45], v[42:43], off offset:128
.LBB225_39:
	s_or_b64 exec, exec, s[2:3]
	v_mov_b32_e32 v48, 0
	v_mov_b32_e32 v47, 0
	;; [unrolled: 1-line block ×3, first 2 shown]
	s_and_saveexec_b64 s[2:3], s[0:1]
	s_cbranch_execz .LBB225_41
; %bb.40:
	v_mad_i64_i32 v[46:47], s[0:1], s23, v53, 0
	v_lshl_add_u64 v[46:47], v[46:47], 1, s[4:5]
	v_lshlrev_b32_e32 v48, 1, v50
	v_mov_b32_e32 v49, 0
	v_lshl_add_u64 v[46:47], v[46:47], 0, v[48:49]
	global_load_dwordx4 v[46:49], v[46:47], off offset:128
.LBB225_41:
	s_or_b64 exec, exec, s[2:3]
	s_branch .LBB225_45
.LBB225_42:
                                        ; implicit-def: $vgpr37
                                        ; implicit-def: $vgpr41
                                        ; implicit-def: $vgpr45
                                        ; implicit-def: $vgpr49
	v_lshrrev_b32_e32 v67, 2, v67
	s_branch .LBB225_46
.LBB225_43:
                                        ; implicit-def: $vgpr37
                                        ; implicit-def: $vgpr41
                                        ; implicit-def: $vgpr45
                                        ; implicit-def: $vgpr49
	s_cbranch_execz .LBB225_45
; %bb.44:
	s_waitcnt vmcnt(0)
	v_mad_u64_u32 v[34:35], s[0:1], v52, s23, v[50:51]
	v_lshlrev_b32_e32 v52, 1, v34
	s_lshl_b32 s2, s23, 7
	s_and_b32 s1, s5, 0xffff
	s_mov_b32 s3, 0x20000
	s_mov_b32 s0, s4
	v_add_lshl_u32 v53, v34, s23, 1
	s_movk_i32 s6, 0x80
	buffer_load_dwordx4 v[34:37], v52, s[0:3], 0 offen
	buffer_load_dwordx4 v[42:45], v52, s[0:3], s6 offen
	;; [unrolled: 1-line block ×4, first 2 shown]
.LBB225_45:
	v_lshrrev_b32_e32 v67, 2, v67
	s_cbranch_execnz .LBB225_58
.LBB225_46:
	s_and_b64 vcc, exec, s[14:15]
	s_cbranch_vccz .LBB225_56
; %bb.47:
	s_waitcnt vmcnt(0)
	v_lshlrev_b32_e32 v39, 1, v62
	v_cmp_gt_i32_e32 vcc, s31, v39
	v_mov_b32_e32 v38, 0
	v_lshlrev_b32_e32 v46, 9, v62
	v_mov_b32_e32 v34, 0
	v_mov_b32_e32 v35, 0
	;; [unrolled: 1-line block ×4, first 2 shown]
	s_and_saveexec_b64 s[0:1], vcc
	s_cbranch_execz .LBB225_49
; %bb.48:
	v_mov_b32_e32 v47, 0
	v_lshl_add_u64 v[34:35], s[4:5], 0, v[46:47]
	v_lshlrev_b32_e32 v36, 1, v50
	v_mov_b32_e32 v37, v47
	v_lshl_add_u64 v[34:35], v[34:35], 0, v[36:37]
	global_load_dwordx4 v[34:37], v[34:35], off
.LBB225_49:
	s_or_b64 exec, exec, s[0:1]
	v_or_b32_e32 v39, 1, v39
	v_cmp_gt_i32_e64 s[0:1], s31, v39
	v_lshlrev_b32_e32 v52, 8, v39
	v_mov_b32_e32 v39, 0
	v_mov_b32_e32 v40, 0
	;; [unrolled: 1-line block ×3, first 2 shown]
	s_and_saveexec_b64 s[2:3], s[0:1]
	s_cbranch_execz .LBB225_51
; %bb.50:
	v_mov_b32_e32 v53, 0
	v_lshl_add_u64 v[38:39], s[4:5], 0, v[52:53]
	v_lshlrev_b32_e32 v40, 1, v50
	v_mov_b32_e32 v41, v53
	v_lshl_add_u64 v[38:39], v[38:39], 0, v[40:41]
	global_load_dwordx4 v[38:41], v[38:39], off
.LBB225_51:
	s_or_b64 exec, exec, s[2:3]
	v_mov_b32_e32 v49, 0
	v_mov_b32_e32 v42, 0
	;; [unrolled: 1-line block ×5, first 2 shown]
	s_and_saveexec_b64 s[2:3], vcc
	s_cbranch_execz .LBB225_53
; %bb.52:
	v_mov_b32_e32 v47, 0
	v_lshl_add_u64 v[42:43], s[4:5], 0, v[46:47]
	v_lshlrev_b32_e32 v46, 1, v50
	v_lshl_add_u64 v[42:43], v[42:43], 0, v[46:47]
	global_load_dwordx4 v[42:45], v[42:43], off offset:128
.LBB225_53:
	s_or_b64 exec, exec, s[2:3]
	v_mov_b32_e32 v48, 0
	v_mov_b32_e32 v47, 0
	;; [unrolled: 1-line block ×3, first 2 shown]
	s_and_saveexec_b64 s[2:3], s[0:1]
	s_cbranch_execz .LBB225_55
; %bb.54:
	v_mov_b32_e32 v53, 0
	v_lshl_add_u64 v[46:47], s[4:5], 0, v[52:53]
	v_lshlrev_b32_e32 v52, 1, v50
	v_lshl_add_u64 v[46:47], v[46:47], 0, v[52:53]
	global_load_dwordx4 v[46:49], v[46:47], off offset:128
.LBB225_55:
	s_or_b64 exec, exec, s[2:3]
	s_branch .LBB225_58
.LBB225_56:
                                        ; implicit-def: $vgpr37
                                        ; implicit-def: $vgpr41
                                        ; implicit-def: $vgpr45
                                        ; implicit-def: $vgpr49
	s_cbranch_execz .LBB225_58
; %bb.57:
	s_waitcnt vmcnt(0)
	v_lshlrev_b32_e32 v34, 1, v50
	v_lshl_or_b32 v50, v62, 9, v34
	s_and_b32 s5, s5, 0xffff
	s_mov_b32 s7, 0x20000
	s_movk_i32 s6, 0x4000
	s_movk_i32 s0, 0x80
	buffer_load_dwordx4 v[34:37], v50, s[4:7], 0 offen
	buffer_load_dwordx4 v[38:41], v50, s[4:7], 0 offen offset:256
	buffer_load_dwordx4 v[42:45], v50, s[4:7], s0 offen
	buffer_load_dwordx4 v[46:49], v50, s[4:7], s0 offen offset:256
.LBB225_58:
	ds_read_b64 v[52:53], v63 offset:57344
	v_add_u32_e32 v50, 0x6000, v58
	ds_read2_b64 v[78:81], v50 offset1:16
	ds_read_b64 v[96:97], v64 offset:57344
	ds_read_b64 v[64:65], v65 offset:57344
	;; [unrolled: 1-line block ×3, first 2 shown]
	ds_read2st64_b64 v[82:85], v58 offset0:52 offset1:56
	v_and_b32_e32 v63, 1, v0
	v_cmp_eq_u32_e32 vcc, 0, v63
	s_mov_b32 s0, 0x1000504
	s_waitcnt vmcnt(0)
	v_perm_b32 v63, v42, v46, s0
	s_mov_b32 s1, 0x3020706
	s_waitcnt lgkmcnt(4)
	v_mfma_f32_16x16x16_bf16 a[0:3], v[52:53], v[78:79], a[0:3]
	v_mfma_f32_16x16x16_bf16 a[4:7], v[52:53], v[80:81], a[4:7]
	ds_read2_b64 v[78:81], v50 offset0:32 offset1:48
	v_and_b32_e32 v50, 6, v0
	v_xor_b32_e32 v62, v62, v50
	s_waitcnt lgkmcnt(0)
	v_mfma_f32_16x16x16_bf16 a[8:11], v[52:53], v[78:79], a[8:11]
	v_lshlrev_b32_e32 v62, 2, v62
	v_xor_b32_e32 v77, 0x440, v62
	v_cndmask_b32_e32 v62, v77, v62, vcc
	v_mfma_f32_16x16x16_bf16 a[12:15], v[52:53], v[80:81], a[12:15]
	ds_read2st64_b64 v[78:81], v59 offset0:52 offset1:56
	ds_read2st64_b64 v[88:91], v60 offset0:52 offset1:56
	;; [unrolled: 1-line block ×3, first 2 shown]
	v_lshl_or_b32 v50, v50, 10, v62
	v_perm_b32 v62, v34, v38, s0
	v_mfma_f32_16x16x16_bf16 a[0:3], v[96:97], v[82:83], a[0:3]
	ds_read_b64 v[52:53], v58 offset:30720
	ds_read_b64 v[82:83], v59 offset:30720
	;; [unrolled: 1-line block ×4, first 2 shown]
	ds_write2st64_b32 v50, v62, v63 offset0:128 offset1:160
	v_xor_b32_e32 v62, 8, v50
	s_waitcnt lgkmcnt(7)
	v_mfma_f32_16x16x16_bf16 a[4:7], v[96:97], v[78:79], a[4:7]
	v_perm_b32 v34, v34, v38, s1
	v_perm_b32 v38, v42, v46, s1
	v_add_u32_e32 v42, 0x80, v62
	s_waitcnt lgkmcnt(6)
	v_mfma_f32_16x16x16_bf16 a[8:11], v[96:97], v[88:89], a[8:11]
	ds_write2st64_b32 v42, v34, v38 offset0:128 offset1:160
	v_xor_b32_e32 v34, 16, v50
	v_perm_b32 v38, v35, v39, s0
	s_waitcnt lgkmcnt(6)
	v_mfma_f32_16x16x16_bf16 a[12:15], v[96:97], v[92:93], a[12:15]
	v_perm_b32 v42, v43, v47, s0
	ds_write2st64_b32 v34, v38, v42 offset0:129 offset1:161
	v_xor_b32_e32 v34, 24, v50
	v_mfma_f32_16x16x16_bf16 a[0:3], v[64:65], v[84:85], a[0:3]
	v_perm_b32 v35, v35, v39, s1
	v_perm_b32 v38, v43, v47, s1
	v_add_u32_e32 v34, 0x80, v34
	v_mfma_f32_16x16x16_bf16 a[4:7], v[64:65], v[80:81], a[4:7]
	ds_write2st64_b32 v34, v35, v38 offset0:129 offset1:161
	v_xor_b32_e32 v34, 32, v50
	v_perm_b32 v35, v36, v40, s0
	v_mfma_f32_16x16x16_bf16 a[16:19], v[64:65], v[90:91], a[8:11]
	v_perm_b32 v38, v44, v48, s0
	ds_write2st64_b32 v34, v35, v38 offset0:130 offset1:162
	v_xor_b32_e32 v34, 40, v50
	v_mfma_f32_16x16x16_bf16 a[20:23], v[64:65], v[94:95], a[12:15]
	v_perm_b32 v35, v36, v40, s1
	v_perm_b32 v36, v44, v48, s1
	v_add_u32_e32 v34, 0x80, v34
	s_waitcnt lgkmcnt(8)
	v_mfma_f32_16x16x16_bf16 a[12:15], v[98:99], v[52:53], a[0:3]
	ds_write2st64_b32 v34, v35, v36 offset0:130 offset1:162
	v_xor_b32_e32 v34, 48, v50
	v_perm_b32 v35, v37, v41, s0
	s_waitcnt lgkmcnt(8)
	v_mfma_f32_16x16x16_bf16 a[8:11], v[98:99], v[82:83], a[4:7]
	v_perm_b32 v36, v45, v49, s0
	ds_write2st64_b32 v34, v35, v36 offset0:131 offset1:163
	v_xor_b32_e32 v34, 56, v50
	s_waitcnt lgkmcnt(8)
	v_mfma_f32_16x16x16_bf16 a[4:7], v[98:99], v[100:101], a[16:19]
	v_and_or_b32 v63, v67, 12, v86
	v_perm_b32 v35, v37, v41, s1
	v_perm_b32 v36, v45, v49, s1
	s_waitcnt lgkmcnt(7)
	v_mfma_f32_16x16x16_bf16 a[0:3], v[98:99], v[102:103], a[20:23]
	v_add_u32_e32 v34, 0x80, v34
	v_cmp_gt_i32_e32 vcc, s31, v63
	v_mov_b32_e32 v52, 0
	v_mov_b32_e32 v53, 0
	ds_write2st64_b32 v34, v35, v36 offset0:131 offset1:163
	s_and_saveexec_b64 s[0:1], vcc
	s_cbranch_execz .LBB225_60
; %bb.59:
	v_add_u32_e32 v34, s30, v63
	v_ashrrev_i32_e32 v35, 31, v34
	v_mul_lo_u32 v36, v35, s36
	v_mul_lo_u32 v37, v34, s37
	v_mad_u64_u32 v[34:35], s[2:3], v34, s36, 0
	v_add3_u32 v35, v35, v37, v36
	v_lshl_add_u64 v[34:35], v[34:35], 2, s[12:13]
	global_load_dword v34, v[34:35], off
	s_waitcnt vmcnt(0)
	v_sub_f32_e32 v34, s18, v34
	v_mul_f32_e32 v34, 0x3fb8aa3b, v34
	v_exp_f32_e32 v53, v34
.LBB225_60:
	s_or_b64 exec, exec, s[0:1]
	v_or_b32_e32 v43, 1, v63
	v_cmp_gt_i32_e64 s[2:3], s31, v43
	s_and_saveexec_b64 s[0:1], s[2:3]
	s_cbranch_execz .LBB225_62
; %bb.61:
	v_add_u32_e32 v34, s30, v43
	v_ashrrev_i32_e32 v35, 31, v34
	v_mul_lo_u32 v36, v35, s36
	v_mul_lo_u32 v37, v34, s37
	v_mad_u64_u32 v[34:35], s[4:5], v34, s36, 0
	v_add3_u32 v35, v35, v37, v36
	v_lshl_add_u64 v[34:35], v[34:35], 2, s[12:13]
	global_load_dword v34, v[34:35], off
	s_waitcnt vmcnt(0)
	v_sub_f32_e32 v34, s18, v34
	v_mul_f32_e32 v34, 0x3fb8aa3b, v34
	v_exp_f32_e32 v52, v34
.LBB225_62:
	s_or_b64 exec, exec, s[0:1]
	v_or_b32_e32 v42, 2, v63
	v_cmp_gt_i32_e64 s[4:5], s31, v42
	v_mov_b32_e32 v50, 0
	v_mov_b32_e32 v62, 0
	s_and_saveexec_b64 s[0:1], s[4:5]
	s_cbranch_execz .LBB225_64
; %bb.63:
	v_add_u32_e32 v34, s30, v42
	v_ashrrev_i32_e32 v35, 31, v34
	v_mul_lo_u32 v36, v35, s36
	v_mul_lo_u32 v37, v34, s37
	v_mad_u64_u32 v[34:35], s[6:7], v34, s36, 0
	v_add3_u32 v35, v35, v37, v36
	v_lshl_add_u64 v[34:35], v[34:35], 2, s[12:13]
	global_load_dword v34, v[34:35], off
	s_waitcnt vmcnt(0)
	v_sub_f32_e32 v34, s18, v34
	v_mul_f32_e32 v34, 0x3fb8aa3b, v34
	v_exp_f32_e32 v62, v34
.LBB225_64:
	s_or_b64 exec, exec, s[0:1]
	v_or_b32_e32 v64, 3, v63
	v_cmp_gt_i32_e64 s[0:1], s31, v64
	s_and_saveexec_b64 s[6:7], s[0:1]
	s_cbranch_execz .LBB225_66
; %bb.65:
	v_add_u32_e32 v34, s30, v64
	v_ashrrev_i32_e32 v35, 31, v34
	v_mul_lo_u32 v36, v35, s36
	v_mul_lo_u32 v37, v34, s37
	v_mad_u64_u32 v[34:35], s[14:15], v34, s36, 0
	v_add3_u32 v35, v35, v37, v36
	v_lshl_add_u64 v[34:35], v[34:35], 2, s[12:13]
	global_load_dword v34, v[34:35], off
	s_waitcnt vmcnt(0)
	v_sub_f32_e32 v34, s18, v34
	v_mul_f32_e32 v34, 0x3fb8aa3b, v34
	v_exp_f32_e32 v50, v34
.LBB225_66:
	s_or_b64 exec, exec, s[6:7]
	s_add_u32 s6, s16, s24
	s_addc_u32 s7, s17, s25
	s_add_u32 s8, s8, s24
	v_ashrrev_i32_e32 v77, 31, v76
	v_accvgpr_read_b32 v37, a15
	s_addc_u32 s9, s9, s25
	v_lshlrev_b64 v[38:39], 1, v[76:77]
	v_accvgpr_read_b32 v36, a14
	v_accvgpr_read_b32 v35, a13
	;; [unrolled: 1-line block ×3, first 2 shown]
	v_lshl_add_u64 v[40:41], s[6:7], 0, v[38:39]
	v_lshl_add_u64 v[38:39], s[8:9], 0, v[38:39]
	v_mov_b32_e32 v47, 0
	v_lshlrev_b32_e32 v44, 8, v63
	v_mov_b32_e32 v45, 0
	s_and_saveexec_b64 s[6:7], vcc
	s_cbranch_execz .LBB225_68
; %bb.67:
	v_mov_b32_e32 v45, 0
	v_lshl_add_u64 v[48:49], v[40:41], 0, v[44:45]
	global_load_ushort v46, v[48:49], off
	v_lshl_add_u64 v[48:49], v[38:39], 0, v[44:45]
	s_waitcnt vmcnt(0)
	v_lshlrev_b32_e32 v45, 16, v46
	v_sub_f32_e32 v34, v45, v34
	global_store_short_d16_hi v[48:49], v34, off
	v_mul_f32_e32 v34, v53, v34
	v_lshrrev_b32_e32 v45, 16, v34
.LBB225_68:
	s_or_b64 exec, exec, s[6:7]
	v_lshlrev_b32_e32 v46, 8, v43
	s_and_saveexec_b64 s[6:7], s[2:3]
	s_cbranch_execz .LBB225_70
; %bb.69:
	v_mov_b32_e32 v47, 0
	v_lshl_add_u64 v[48:49], v[40:41], 0, v[46:47]
	global_load_ushort v34, v[48:49], off
	v_lshl_add_u64 v[48:49], v[38:39], 0, v[46:47]
	s_waitcnt vmcnt(0)
	v_lshlrev_b32_e32 v34, 16, v34
	v_sub_f32_e32 v34, v34, v35
	global_store_short_d16_hi v[48:49], v34, off
	v_mul_f32_e32 v34, v52, v34
	v_lshrrev_b32_e32 v47, 16, v34
.LBB225_70:
	s_or_b64 exec, exec, s[6:7]
	v_mov_b32_e32 v43, 0
	v_lshlrev_b32_e32 v48, 8, v42
	v_mov_b32_e32 v49, 0
	s_and_saveexec_b64 s[6:7], s[4:5]
	s_cbranch_execz .LBB225_72
; %bb.71:
	v_mov_b32_e32 v49, 0
	v_lshl_add_u64 v[34:35], v[40:41], 0, v[48:49]
	global_load_ushort v42, v[34:35], off
	v_lshl_add_u64 v[34:35], v[38:39], 0, v[48:49]
	s_waitcnt vmcnt(0)
	v_lshlrev_b32_e32 v42, 16, v42
	v_sub_f32_e32 v36, v42, v36
	global_store_short_d16_hi v[34:35], v36, off
	v_mul_f32_e32 v34, v62, v36
	v_lshrrev_b32_e32 v49, 16, v34
.LBB225_72:
	s_or_b64 exec, exec, s[6:7]
	v_lshlrev_b32_e32 v42, 8, v64
	s_and_saveexec_b64 s[6:7], s[0:1]
	s_cbranch_execz .LBB225_74
; %bb.73:
	v_mov_b32_e32 v43, 0
	v_lshl_add_u64 v[34:35], v[40:41], 0, v[42:43]
	global_load_ushort v36, v[34:35], off
	v_lshl_add_u64 v[34:35], v[38:39], 0, v[42:43]
	s_waitcnt vmcnt(0)
	v_lshlrev_b32_e32 v36, 16, v36
	v_sub_f32_e32 v36, v36, v37
	global_store_short_d16_hi v[34:35], v36, off
	v_mul_f32_e32 v34, v50, v36
	v_lshrrev_b32_e32 v43, 16, v34
.LBB225_74:
	s_or_b64 exec, exec, s[6:7]
	v_lshlrev_b32_e32 v63, 6, v63
	s_mov_b32 s6, 0x5040100
	v_accvgpr_read_b32 v37, a11
	v_perm_b32 v65, v43, v49, s6
	v_or_b32_e32 v43, v63, v56
	v_accvgpr_read_b32 v36, a10
	v_accvgpr_read_b32 v35, a9
	;; [unrolled: 1-line block ×3, first 2 shown]
	v_perm_b32 v64, v47, v45, s6
	v_lshlrev_b32_e32 v43, 1, v43
	v_mov_b32_e32 v47, 0
	v_mov_b32_e32 v45, 0
	ds_write_b64 v43, v[64:65] offset:24576
	s_and_saveexec_b64 s[6:7], vcc
	s_cbranch_execz .LBB225_76
; %bb.75:
	v_mov_b32_e32 v45, 0
	v_lshl_add_u64 v[64:65], v[40:41], 0, v[44:45]
	global_load_ushort v43, v[64:65], off offset:32
	v_lshl_add_u64 v[64:65], v[38:39], 0, v[44:45]
	s_waitcnt vmcnt(0)
	v_lshlrev_b32_e32 v43, 16, v43
	v_sub_f32_e32 v34, v43, v34
	global_store_short_d16_hi v[64:65], v34, off offset:32
	v_mul_f32_e32 v34, v53, v34
	v_lshrrev_b32_e32 v45, 16, v34
.LBB225_76:
	s_or_b64 exec, exec, s[6:7]
	s_and_saveexec_b64 s[6:7], s[2:3]
	s_cbranch_execz .LBB225_78
; %bb.77:
	v_mov_b32_e32 v47, 0
	v_lshl_add_u64 v[64:65], v[40:41], 0, v[46:47]
	global_load_ushort v34, v[64:65], off offset:32
	v_lshl_add_u64 v[64:65], v[38:39], 0, v[46:47]
	s_waitcnt vmcnt(0)
	v_lshlrev_b32_e32 v34, 16, v34
	v_sub_f32_e32 v34, v34, v35
	global_store_short_d16_hi v[64:65], v34, off offset:32
	v_mul_f32_e32 v34, v52, v34
	v_lshrrev_b32_e32 v47, 16, v34
.LBB225_78:
	s_or_b64 exec, exec, s[6:7]
	v_mov_b32_e32 v43, 0
	v_mov_b32_e32 v49, 0
	s_and_saveexec_b64 s[6:7], s[4:5]
	s_cbranch_execz .LBB225_80
; %bb.79:
	v_mov_b32_e32 v49, 0
	v_lshl_add_u64 v[34:35], v[40:41], 0, v[48:49]
	global_load_ushort v56, v[34:35], off offset:32
	v_lshl_add_u64 v[34:35], v[38:39], 0, v[48:49]
	s_waitcnt vmcnt(0)
	v_lshlrev_b32_e32 v49, 16, v56
	v_sub_f32_e32 v36, v49, v36
	global_store_short_d16_hi v[34:35], v36, off offset:32
	v_mul_f32_e32 v34, v62, v36
	v_lshrrev_b32_e32 v49, 16, v34
.LBB225_80:
	s_or_b64 exec, exec, s[6:7]
	s_and_saveexec_b64 s[6:7], s[0:1]
	s_cbranch_execz .LBB225_82
; %bb.81:
	v_mov_b32_e32 v43, 0
	v_lshl_add_u64 v[34:35], v[40:41], 0, v[42:43]
	global_load_ushort v36, v[34:35], off offset:32
	v_lshl_add_u64 v[34:35], v[38:39], 0, v[42:43]
	s_waitcnt vmcnt(0)
	v_lshlrev_b32_e32 v36, 16, v36
	v_sub_f32_e32 v36, v36, v37
	global_store_short_d16_hi v[34:35], v36, off offset:32
	v_mul_f32_e32 v34, v50, v36
	v_lshrrev_b32_e32 v43, 16, v34
.LBB225_82:
	s_or_b64 exec, exec, s[6:7]
	s_mov_b32 s6, 0x5040100
	v_accvgpr_read_b32 v37, a7
	v_perm_b32 v65, v43, v49, s6
	v_or_b32_e32 v43, v63, v55
	v_accvgpr_read_b32 v36, a6
	v_accvgpr_read_b32 v35, a5
	;; [unrolled: 1-line block ×3, first 2 shown]
	v_perm_b32 v64, v47, v45, s6
	v_lshlrev_b32_e32 v43, 1, v43
	v_mov_b32_e32 v47, 0
	v_mov_b32_e32 v45, 0
	ds_write_b64 v43, v[64:65] offset:24576
	s_and_saveexec_b64 s[6:7], vcc
	s_cbranch_execz .LBB225_84
; %bb.83:
	v_mov_b32_e32 v45, 0
	v_lshl_add_u64 v[64:65], v[40:41], 0, v[44:45]
	global_load_ushort v43, v[64:65], off offset:64
	v_lshl_add_u64 v[64:65], v[38:39], 0, v[44:45]
	s_waitcnt vmcnt(0)
	v_lshlrev_b32_e32 v43, 16, v43
	v_sub_f32_e32 v34, v43, v34
	global_store_short_d16_hi v[64:65], v34, off offset:64
	v_mul_f32_e32 v34, v53, v34
	v_lshrrev_b32_e32 v45, 16, v34
.LBB225_84:
	s_or_b64 exec, exec, s[6:7]
	s_and_saveexec_b64 s[6:7], s[2:3]
	s_cbranch_execz .LBB225_86
; %bb.85:
	v_mov_b32_e32 v47, 0
	v_lshl_add_u64 v[64:65], v[40:41], 0, v[46:47]
	global_load_ushort v34, v[64:65], off offset:64
	v_lshl_add_u64 v[64:65], v[38:39], 0, v[46:47]
	s_waitcnt vmcnt(0)
	v_lshlrev_b32_e32 v34, 16, v34
	v_sub_f32_e32 v34, v34, v35
	global_store_short_d16_hi v[64:65], v34, off offset:64
	v_mul_f32_e32 v34, v52, v34
	v_lshrrev_b32_e32 v47, 16, v34
.LBB225_86:
	s_or_b64 exec, exec, s[6:7]
	v_mov_b32_e32 v43, 0
	v_mov_b32_e32 v49, 0
	s_and_saveexec_b64 s[6:7], s[4:5]
	s_cbranch_execz .LBB225_88
; %bb.87:
	v_mov_b32_e32 v49, 0
	v_lshl_add_u64 v[34:35], v[40:41], 0, v[48:49]
	global_load_ushort v55, v[34:35], off offset:64
	v_lshl_add_u64 v[34:35], v[38:39], 0, v[48:49]
	s_waitcnt vmcnt(0)
	v_lshlrev_b32_e32 v49, 16, v55
	v_sub_f32_e32 v36, v49, v36
	global_store_short_d16_hi v[34:35], v36, off offset:64
	v_mul_f32_e32 v34, v62, v36
	v_lshrrev_b32_e32 v49, 16, v34
.LBB225_88:
	s_or_b64 exec, exec, s[6:7]
	s_and_saveexec_b64 s[6:7], s[0:1]
	s_cbranch_execz .LBB225_90
; %bb.89:
	v_mov_b32_e32 v43, 0
	v_lshl_add_u64 v[34:35], v[40:41], 0, v[42:43]
	global_load_ushort v36, v[34:35], off offset:64
	v_lshl_add_u64 v[34:35], v[38:39], 0, v[42:43]
	s_waitcnt vmcnt(0)
	v_lshlrev_b32_e32 v36, 16, v36
	v_sub_f32_e32 v36, v36, v37
	global_store_short_d16_hi v[34:35], v36, off offset:64
	v_mul_f32_e32 v34, v50, v36
	v_lshrrev_b32_e32 v43, 16, v34
.LBB225_90:
	s_or_b64 exec, exec, s[6:7]
	s_mov_b32 s6, 0x5040100
	v_accvgpr_read_b32 v37, a3
	v_perm_b32 v65, v43, v49, s6
	v_or_b32_e32 v43, v63, v54
	v_accvgpr_read_b32 v36, a2
	v_accvgpr_read_b32 v35, a1
	;; [unrolled: 1-line block ×3, first 2 shown]
	v_perm_b32 v64, v47, v45, s6
	v_lshlrev_b32_e32 v43, 1, v43
	v_mov_b32_e32 v47, 0
	v_mov_b32_e32 v45, 0
	ds_write_b64 v43, v[64:65] offset:24576
	s_and_saveexec_b64 s[6:7], vcc
	s_cbranch_execz .LBB225_92
; %bb.91:
	v_mov_b32_e32 v45, 0
	v_lshl_add_u64 v[54:55], v[40:41], 0, v[44:45]
	global_load_ushort v43, v[54:55], off offset:96
	v_lshl_add_u64 v[44:45], v[38:39], 0, v[44:45]
	s_waitcnt vmcnt(0)
	v_lshlrev_b32_e32 v43, 16, v43
	v_sub_f32_e32 v34, v43, v34
	global_store_short_d16_hi v[44:45], v34, off offset:96
	v_mul_f32_e32 v34, v53, v34
	v_lshrrev_b32_e32 v45, 16, v34
.LBB225_92:
	s_or_b64 exec, exec, s[6:7]
	s_and_saveexec_b64 s[6:7], s[2:3]
	s_cbranch_execz .LBB225_94
; %bb.93:
	v_mov_b32_e32 v47, 0
	v_lshl_add_u64 v[54:55], v[40:41], 0, v[46:47]
	global_load_ushort v34, v[54:55], off offset:96
	v_lshl_add_u64 v[46:47], v[38:39], 0, v[46:47]
	s_waitcnt vmcnt(0)
	v_lshlrev_b32_e32 v34, 16, v34
	v_sub_f32_e32 v34, v34, v35
	global_store_short_d16_hi v[46:47], v34, off offset:96
	v_mul_f32_e32 v34, v52, v34
	v_lshrrev_b32_e32 v47, 16, v34
.LBB225_94:
	s_or_b64 exec, exec, s[6:7]
	v_mov_b32_e32 v43, 0
	v_mov_b32_e32 v46, 0
	s_and_saveexec_b64 s[2:3], s[4:5]
	s_cbranch_execz .LBB225_96
; %bb.95:
	v_mov_b32_e32 v49, 0
	v_lshl_add_u64 v[34:35], v[40:41], 0, v[48:49]
	global_load_ushort v44, v[34:35], off offset:96
	v_lshl_add_u64 v[34:35], v[38:39], 0, v[48:49]
	s_waitcnt vmcnt(0)
	v_lshlrev_b32_e32 v44, 16, v44
	v_sub_f32_e32 v36, v44, v36
	global_store_short_d16_hi v[34:35], v36, off offset:96
	v_mul_f32_e32 v34, v62, v36
	v_lshrrev_b32_e32 v46, 16, v34
.LBB225_96:
	s_or_b64 exec, exec, s[2:3]
	v_or_b32_e32 v44, 0x6000, v58
	v_or_b32_e32 v36, 0x6000, v59
	;; [unrolled: 1-line block ×4, first 2 shown]
	s_and_saveexec_b64 s[2:3], s[0:1]
	s_cbranch_execz .LBB225_98
; %bb.97:
	v_mov_b32_e32 v43, 0
	v_lshl_add_u64 v[40:41], v[40:41], 0, v[42:43]
	global_load_ushort v40, v[40:41], off offset:96
	v_lshl_add_u64 v[38:39], v[38:39], 0, v[42:43]
	s_waitcnt vmcnt(0)
	v_lshlrev_b32_e32 v40, 16, v40
	v_sub_f32_e32 v37, v40, v37
	global_store_short_d16_hi v[38:39], v37, off offset:96
	v_mul_f32_e32 v37, v50, v37
	v_lshrrev_b32_e32 v43, 16, v37
.LBB225_98:
	s_or_b64 exec, exec, s[2:3]
	s_mov_b32 s0, 0x5040100
	v_or_b32_e32 v37, v63, v51
	v_perm_b32 v39, v43, v46, s0
	v_perm_b32 v38, v47, v45, s0
	v_lshlrev_b32_e32 v37, 1, v37
	s_movk_i32 s0, 0x100
	ds_write_b64 v37, v[38:39] offset:24576
	v_and_b32_e32 v37, 7, v0
	v_and_b32_e32 v38, 8, v0
	v_cmp_gt_u32_e32 vcc, s0, v0
	v_lshrrev_b32_e32 v0, 1, v0
	v_lshlrev_b32_e32 v55, 3, v1
	v_and_b32_e32 v56, 24, v0
	v_mov_b32_e32 v39, 0xa000
	v_mov_b32_e32 v40, 0x8000
	v_xor_b32_e32 v0, v55, v56
	v_cndmask_b32_e32 v54, v39, v40, vcc
	v_or_b32_e32 v1, 0x440, v0
	v_cmp_eq_u32_e32 vcc, 0, v38
	v_lshlrev_b32_e32 v45, 3, v37
	v_lshlrev_b32_e32 v37, 7, v37
	v_cndmask_b32_e32 v0, v1, v0, vcc
	v_or_b32_e32 v0, v0, v57
	v_xad_u32 v67, v0, v45, v37
	v_or_b32_e32 v42, 32, v56
	v_add_u32_e32 v0, v54, v67
	v_xor_b32_e32 v42, v55, v42
	s_waitcnt lgkmcnt(0)
	s_barrier
	ds_read_b64 v[0:1], v0
	ds_read2_b64 v[38:41], v44 offset1:16
	ds_read2_b64 v[46:49], v44 offset0:32 offset1:48
	v_or_b32_e32 v43, 0x440, v42
	v_cndmask_b32_e32 v42, v43, v42, vcc
	v_or_b32_e32 v42, v42, v57
	v_xad_u32 v80, v42, v45, v37
	v_add_u32_e32 v42, v54, v80
	s_waitcnt lgkmcnt(1)
	v_mfma_f32_16x16x16_bf16 a[0:3], v[0:1], v[38:39], 0
	ds_read_b64 v[42:43], v42
	ds_read2st64_b64 v[50:53], v44 offset0:4 offset1:8
	ds_read2st64_b64 v[58:61], v36 offset0:4 offset1:8
	v_mfma_f32_16x16x16_bf16 a[4:7], v[0:1], v[40:41], 0
	ds_read2st64_b64 v[62:65], v35 offset0:4 offset1:8
	ds_read2st64_b64 v[76:79], v34 offset0:4 offset1:8
	s_waitcnt lgkmcnt(5)
	v_mfma_f32_16x16x16_bf16 a[8:11], v[0:1], v[46:47], 0
	v_mfma_f32_16x16x16_bf16 a[12:15], v[0:1], v[48:49], 0
	v_or_b32_e32 v0, 64, v56
	v_xor_b32_e32 v0, v55, v0
	v_xor_b32_e32 v1, 0x440, v0
	v_cndmask_b32_e32 v0, v1, v0, vcc
	v_or_b32_e32 v0, v0, v57
	v_xad_u32 v81, v0, v45, v37
	v_add_u32_e32 v0, v54, v81
	ds_read_b64 v[0:1], v0
	s_waitcnt lgkmcnt(4)
	v_mfma_f32_16x16x16_bf16 a[0:3], v[42:43], v[50:51], a[0:3]
	s_waitcnt lgkmcnt(3)
	v_mfma_f32_16x16x16_bf16 a[4:7], v[42:43], v[58:59], a[4:7]
	;; [unrolled: 2-line block ×4, first 2 shown]
	v_or_b32_e32 v42, 0x60, v56
	v_xor_b32_e32 v42, v55, v42
	v_xor_b32_e32 v43, 0x440, v42
	v_cndmask_b32_e32 v42, v43, v42, vcc
	v_or_b32_e32 v42, v42, v57
	v_xad_u32 v55, v42, v45, v37
	v_add_u32_e32 v37, v54, v55
	s_waitcnt lgkmcnt(0)
	v_mfma_f32_16x16x16_bf16 a[0:3], v[0:1], v[52:53], a[0:3]
	ds_read_b64 v[42:43], v37
	ds_read_b64 v[44:45], v44 offset:6144
	v_mfma_f32_16x16x16_bf16 a[4:7], v[0:1], v[60:61], a[4:7]
	v_mfma_f32_16x16x16_bf16 a[8:11], v[0:1], v[64:65], a[8:11]
	;; [unrolled: 1-line block ×3, first 2 shown]
	ds_read_b64 v[0:1], v36 offset:6144
	ds_read_b64 v[36:37], v35 offset:6144
	ds_read_b64 v[34:35], v34 offset:6144
	s_waitcnt lgkmcnt(3)
	v_mfma_f32_16x16x16_bf16 a[0:3], v[42:43], v[44:45], a[0:3]
	s_waitcnt lgkmcnt(2)
	v_mfma_f32_16x16x16_bf16 a[4:7], v[42:43], v[0:1], a[4:7]
	;; [unrolled: 2-line block ×4, first 2 shown]
	ds_read_b64 v[42:43], v67 offset:40960
	s_waitcnt lgkmcnt(0)
	v_mfma_f32_16x16x16_bf16 a[20:23], v[42:43], v[40:41], 0
	v_mov_b32_e32 v40, 0x3fb8aa3b
	v_mul_f32_e32 v40, s18, v40
	v_mfma_f32_16x16x16_bf16 a[16:19], v[42:43], v[38:39], 0
	ds_read_b64 v[38:39], v80 offset:40960
	v_mfma_f32_16x16x16_bf16 a[24:27], v[42:43], v[46:47], 0
	v_accvgpr_read_b32 v46, a7
	v_mfma_f32_16x16x16_bf16 a[28:31], v[42:43], v[48:49], 0
	v_exp_f32_e32 v42, v40
	v_accvgpr_read_b32 v40, a0
	v_accvgpr_read_b32 v43, a3
	s_waitcnt lgkmcnt(0)
	v_mfma_f32_16x16x16_bf16 a[16:19], v[38:39], v[50:51], a[16:19]
	v_fma_f32 v6, v6, v42, v40
	v_accvgpr_read_b32 v40, a1
	v_fma_f32 v7, v7, v42, v40
	v_accvgpr_read_b32 v40, a2
	v_fma_f32 v8, v8, v42, v40
	ds_read_b64 v[40:41], v81 offset:40960
	v_mfma_f32_16x16x16_bf16 a[20:23], v[38:39], v[58:59], a[20:23]
	v_fmac_f32_e32 v43, v9, v42
	v_accvgpr_read_b32 v9, a4
	v_fma_f32 v14, v14, v42, v9
	v_mfma_f32_16x16x16_bf16 a[24:27], v[38:39], v[62:63], a[24:27]
	v_accvgpr_read_b32 v9, a5
	v_fma_f32 v15, v15, v42, v9
	v_accvgpr_read_b32 v9, a6
	v_mfma_f32_16x16x16_bf16 a[0:3], v[38:39], v[76:77], a[28:31]
	ds_read_b64 v[38:39], v55 offset:40960
	v_fma_f32 v16, v16, v42, v9
	v_accvgpr_read_b32 v9, a8
	s_waitcnt lgkmcnt(1)
	v_mfma_f32_16x16x16_bf16 a[16:19], v[40:41], v[52:53], a[16:19]
	v_fma_f32 v22, v22, v42, v9
	v_accvgpr_read_b32 v9, a9
	v_fma_f32 v23, v23, v42, v9
	v_mfma_f32_16x16x16_bf16 a[4:7], v[40:41], v[60:61], a[20:23]
	v_accvgpr_read_b32 v9, a10
	v_fma_f32 v24, v24, v42, v9
	v_accvgpr_read_b32 v9, a12
	v_mfma_f32_16x16x16_bf16 a[20:23], v[40:41], v[64:65], a[24:27]
	v_fma_f32 v30, v30, v42, v9
	v_fmac_f32_e32 v46, v17, v42
	v_mov_b32_e32 v17, v46
	v_mfma_f32_16x16x16_bf16 a[0:3], v[40:41], v[78:79], a[0:3]
	v_accvgpr_read_b32 v40, a11
	v_fmac_f32_e32 v40, v25, v42
	s_waitcnt lgkmcnt(0)
	v_mfma_f32_16x16x16_bf16 a[8:11], v[38:39], v[44:45], a[16:19]
	v_mfma_f32_16x16x16_bf16 a[4:7], v[38:39], v[0:1], a[4:7]
	v_accvgpr_read_b32 v0, a13
	v_fma_f32 v31, v31, v42, v0
	v_accvgpr_read_b32 v0, a14
	s_nop 2
	v_accvgpr_read_b32 v1, a8
	v_fma_f32 v2, v2, v42, v1
	v_accvgpr_read_b32 v1, a9
	v_fma_f32 v3, v3, v42, v1
	v_accvgpr_read_b32 v1, a10
	v_mfma_f32_16x16x16_bf16 a[16:19], v[38:39], v[36:37], a[20:23]
	v_fma_f32 v4, v4, v42, v1
	v_accvgpr_read_b32 v1, a11
	v_fmac_f32_e32 v1, v5, v42
	v_mfma_f32_16x16x16_bf16 a[0:3], v[38:39], v[34:35], a[0:3]
	v_accvgpr_read_b32 v5, a4
	v_fma_f32 v10, v10, v42, v5
	v_accvgpr_read_b32 v5, a5
	v_fma_f32 v11, v11, v42, v5
	;; [unrolled: 2-line block ×3, first 2 shown]
	v_accvgpr_read_b32 v5, a16
	v_accvgpr_read_b32 v9, a0
	v_fma_f32 v18, v18, v42, v5
	v_accvgpr_read_b32 v5, a17
	v_fma_f32 v26, v26, v42, v9
	;; [unrolled: 2-line block ×5, first 2 shown]
	v_accvgpr_read_b32 v0, a15
	v_accvgpr_read_b32 v25, a7
	v_fma_f32 v20, v20, v42, v5
	v_accvgpr_read_b32 v5, a19
	v_fma_f32 v28, v28, v42, v9
	v_accvgpr_read_b32 v9, a3
	v_fmac_f32_e32 v0, v33, v42
	v_fmac_f32_e32 v25, v13, v42
	;; [unrolled: 1-line block ×4, first 2 shown]
	v_mov_b32_e32 v29, v9
	v_mov_b32_e32 v33, v0
	;; [unrolled: 1-line block ×7, first 2 shown]
.LBB225_99:
	s_add_u32 s0, s10, s34
	s_addc_u32 s1, s11, s35
	v_lshl_add_u64 v[0:1], v[68:69], 2, s[0:1]
	v_mov_b32_e32 v67, 0
	v_lshl_add_u64 v[0:1], v[0:1], 0, v[66:67]
	s_waitcnt vmcnt(7)
	global_store_dwordx4 v[0:1], v[6:9], off
	s_waitcnt vmcnt(7)
	global_store_dwordx4 v[0:1], v[2:5], off offset:256
	v_lshl_add_u64 v[0:1], v[70:71], 2, s[0:1]
	v_lshl_add_u64 v[0:1], v[0:1], 0, v[66:67]
	s_waitcnt vmcnt(7)
	global_store_dwordx4 v[0:1], v[14:17], off
	s_waitcnt vmcnt(7)
	global_store_dwordx4 v[0:1], v[10:13], off offset:256
	v_lshl_add_u64 v[0:1], v[72:73], 2, s[0:1]
	;; [unrolled: 6-line block ×3, first 2 shown]
	v_lshl_add_u64 v[0:1], v[0:1], 0, v[66:67]
	s_waitcnt vmcnt(7)
	global_store_dwordx4 v[0:1], v[30:33], off
	s_waitcnt vmcnt(7)
	global_store_dwordx4 v[0:1], v[26:29], off offset:256
	s_endpgm
	.section	.rodata,"a",@progbits
	.p2align	6, 0x0
	.amdhsa_kernel _ZN12_GLOBAL__N_139chunk_gated_delta_rule_fwd_h_hip_kernelILi64ELb1ELb1ELb1ELb1ELb0ELb0ELb1ELb0EEEvPK12hip_bfloat16S3_S3_PKfS5_PKvPS1_S8_PvPKiSB_iiiiilll
		.amdhsa_group_segment_fixed_size 65536
		.amdhsa_private_segment_fixed_size 0
		.amdhsa_kernarg_size 136
		.amdhsa_user_sgpr_count 2
		.amdhsa_user_sgpr_dispatch_ptr 0
		.amdhsa_user_sgpr_queue_ptr 0
		.amdhsa_user_sgpr_kernarg_segment_ptr 1
		.amdhsa_user_sgpr_dispatch_id 0
		.amdhsa_user_sgpr_kernarg_preload_length 0
		.amdhsa_user_sgpr_kernarg_preload_offset 0
		.amdhsa_user_sgpr_private_segment_size 0
		.amdhsa_uses_dynamic_stack 0
		.amdhsa_enable_private_segment 0
		.amdhsa_system_sgpr_workgroup_id_x 1
		.amdhsa_system_sgpr_workgroup_id_y 1
		.amdhsa_system_sgpr_workgroup_id_z 0
		.amdhsa_system_sgpr_workgroup_info 0
		.amdhsa_system_vgpr_workitem_id 0
		.amdhsa_next_free_vgpr 228
		.amdhsa_next_free_sgpr 67
		.amdhsa_accum_offset 192
		.amdhsa_reserve_vcc 1
		.amdhsa_float_round_mode_32 0
		.amdhsa_float_round_mode_16_64 0
		.amdhsa_float_denorm_mode_32 3
		.amdhsa_float_denorm_mode_16_64 3
		.amdhsa_dx10_clamp 1
		.amdhsa_ieee_mode 1
		.amdhsa_fp16_overflow 0
		.amdhsa_tg_split 0
		.amdhsa_exception_fp_ieee_invalid_op 0
		.amdhsa_exception_fp_denorm_src 0
		.amdhsa_exception_fp_ieee_div_zero 0
		.amdhsa_exception_fp_ieee_overflow 0
		.amdhsa_exception_fp_ieee_underflow 0
		.amdhsa_exception_fp_ieee_inexact 0
		.amdhsa_exception_int_div_zero 0
	.end_amdhsa_kernel
	.section	.text._ZN12_GLOBAL__N_139chunk_gated_delta_rule_fwd_h_hip_kernelILi64ELb1ELb1ELb1ELb1ELb0ELb0ELb1ELb0EEEvPK12hip_bfloat16S3_S3_PKfS5_PKvPS1_S8_PvPKiSB_iiiiilll,"axG",@progbits,_ZN12_GLOBAL__N_139chunk_gated_delta_rule_fwd_h_hip_kernelILi64ELb1ELb1ELb1ELb1ELb0ELb0ELb1ELb0EEEvPK12hip_bfloat16S3_S3_PKfS5_PKvPS1_S8_PvPKiSB_iiiiilll,comdat
.Lfunc_end225:
	.size	_ZN12_GLOBAL__N_139chunk_gated_delta_rule_fwd_h_hip_kernelILi64ELb1ELb1ELb1ELb1ELb0ELb0ELb1ELb0EEEvPK12hip_bfloat16S3_S3_PKfS5_PKvPS1_S8_PvPKiSB_iiiiilll, .Lfunc_end225-_ZN12_GLOBAL__N_139chunk_gated_delta_rule_fwd_h_hip_kernelILi64ELb1ELb1ELb1ELb1ELb0ELb0ELb1ELb0EEEvPK12hip_bfloat16S3_S3_PKfS5_PKvPS1_S8_PvPKiSB_iiiiilll
                                        ; -- End function
	.section	.AMDGPU.csdata,"",@progbits
; Kernel info:
; codeLenInByte = 12540
; NumSgprs: 73
; NumVgprs: 190
; NumAgprs: 36
; TotalNumVgprs: 228
; ScratchSize: 0
; MemoryBound: 0
; FloatMode: 240
; IeeeMode: 1
; LDSByteSize: 65536 bytes/workgroup (compile time only)
; SGPRBlocks: 9
; VGPRBlocks: 28
; NumSGPRsForWavesPerEU: 73
; NumVGPRsForWavesPerEU: 228
; AccumOffset: 192
; Occupancy: 1
; WaveLimiterHint : 1
; COMPUTE_PGM_RSRC2:SCRATCH_EN: 0
; COMPUTE_PGM_RSRC2:USER_SGPR: 2
; COMPUTE_PGM_RSRC2:TRAP_HANDLER: 0
; COMPUTE_PGM_RSRC2:TGID_X_EN: 1
; COMPUTE_PGM_RSRC2:TGID_Y_EN: 1
; COMPUTE_PGM_RSRC2:TGID_Z_EN: 0
; COMPUTE_PGM_RSRC2:TIDIG_COMP_CNT: 0
; COMPUTE_PGM_RSRC3_GFX90A:ACCUM_OFFSET: 47
; COMPUTE_PGM_RSRC3_GFX90A:TG_SPLIT: 0
	.section	.text._ZN12_GLOBAL__N_139chunk_gated_delta_rule_fwd_h_hip_kernelILi64ELb1ELb1ELb0ELb1ELb0ELb0ELb1ELb0EEEvPK12hip_bfloat16S3_S3_PKfS5_PKvPS1_S8_PvPKiSB_iiiiilll,"axG",@progbits,_ZN12_GLOBAL__N_139chunk_gated_delta_rule_fwd_h_hip_kernelILi64ELb1ELb1ELb0ELb1ELb0ELb0ELb1ELb0EEEvPK12hip_bfloat16S3_S3_PKfS5_PKvPS1_S8_PvPKiSB_iiiiilll,comdat
	.globl	_ZN12_GLOBAL__N_139chunk_gated_delta_rule_fwd_h_hip_kernelILi64ELb1ELb1ELb0ELb1ELb0ELb0ELb1ELb0EEEvPK12hip_bfloat16S3_S3_PKfS5_PKvPS1_S8_PvPKiSB_iiiiilll ; -- Begin function _ZN12_GLOBAL__N_139chunk_gated_delta_rule_fwd_h_hip_kernelILi64ELb1ELb1ELb0ELb1ELb0ELb0ELb1ELb0EEEvPK12hip_bfloat16S3_S3_PKfS5_PKvPS1_S8_PvPKiSB_iiiiilll
	.p2align	8
	.type	_ZN12_GLOBAL__N_139chunk_gated_delta_rule_fwd_h_hip_kernelILi64ELb1ELb1ELb0ELb1ELb0ELb0ELb1ELb0EEEvPK12hip_bfloat16S3_S3_PKfS5_PKvPS1_S8_PvPKiSB_iiiiilll,@function
_ZN12_GLOBAL__N_139chunk_gated_delta_rule_fwd_h_hip_kernelILi64ELb1ELb1ELb0ELb1ELb0ELb0ELb1ELb0EEEvPK12hip_bfloat16S3_S3_PKfS5_PKvPS1_S8_PvPKiSB_iiiiilll: ; @_ZN12_GLOBAL__N_139chunk_gated_delta_rule_fwd_h_hip_kernelILi64ELb1ELb1ELb0ELb1ELb0ELb0ELb1ELb0EEEvPK12hip_bfloat16S3_S3_PKfS5_PKvPS1_S8_PvPKiSB_iiiiilll
; %bb.0:
	s_load_dwordx4 s[16:19], s[0:1], 0x5c
	s_load_dwordx2 s[4:5], s[0:1], 0x50
	s_abs_i32 s7, s3
	s_ashr_i32 s6, s3, 31
	s_load_dwordx4 s[12:15], s[0:1], 0x40
	s_load_dwordx4 s[20:23], s[0:1], 0x28
	s_waitcnt lgkmcnt(0)
	s_abs_i32 s10, s17
	v_cvt_f32_u32_e32 v1, s10
	s_sub_i32 s8, 0, s10
	s_ashr_i32 s11, s17, 31
	s_xor_b32 s6, s6, s11
	v_rcp_iflag_f32_e32 v1, v1
	v_and_b32_e32 v86, 15, v0
	v_bfe_u32 v85, v0, 4, 2
	v_mov_b32_e32 v67, 0
	v_mul_f32_e32 v1, 0x4f7ffffe, v1
	v_cvt_u32_f32_e32 v1, v1
	v_lshlrev_b32_e32 v87, 3, v0
	v_readfirstlane_b32 s9, v1
	s_mul_i32 s8, s8, s9
	s_mul_hi_u32 s8, s9, s8
	s_add_i32 s9, s9, s8
	s_mul_hi_u32 s8, s7, s9
	s_mul_i32 s9, s8, s10
	s_sub_i32 s7, s7, s9
	s_add_i32 s24, s8, 1
	s_sub_i32 s9, s7, s10
	s_cmp_ge_u32 s7, s10
	s_cselect_b32 s8, s24, s8
	s_cselect_b32 s7, s9, s7
	s_add_i32 s9, s8, 1
	s_cmp_ge_u32 s7, s10
	s_cselect_b32 s7, s9, s8
	s_xor_b32 s7, s7, s6
	s_sub_i32 s24, s7, s6
	s_mul_i32 s28, s24, s17
	s_ashr_i32 s25, s24, 31
	s_sub_i32 s49, s3, s28
	s_lshl_b64 s[6:7], s[24:25], 2
	s_add_u32 s8, s14, s6
	s_addc_u32 s9, s15, s7
	s_add_u32 s26, s4, s6
	s_addc_u32 s27, s5, s7
	s_abs_i32 s3, s18
	v_cvt_f32_u32_e32 v1, s3
	s_load_dwordx2 s[36:37], s[8:9], 0x0
	s_sub_i32 s5, 0, s3
	s_lshl_b32 s2, s2, 6
	v_rcp_iflag_f32_e32 v1, v1
	v_or_b32_e32 v76, s2, v86
	s_waitcnt lgkmcnt(0)
	s_sub_i32 s52, s37, s36
	s_ashr_i32 s4, s52, 31
	v_mul_f32_e32 v1, 0x4f7ffffe, v1
	v_cvt_u32_f32_e32 v1, v1
	s_lshr_b32 s4, s4, 26
	s_add_i32 s4, s52, s4
	s_ashr_i32 s51, s4, 6
	v_readfirstlane_b32 s6, v1
	s_mul_i32 s5, s5, s6
	s_mul_hi_u32 s5, s6, s5
	s_add_i32 s6, s6, s5
	s_mul_hi_u32 s5, s10, s6
	s_mul_i32 s6, s5, s3
	s_ashr_i32 s4, s18, 31
	s_sub_i32 s6, s10, s6
	s_xor_b32 s4, s11, s4
	s_add_i32 s7, s5, 1
	s_sub_i32 s8, s6, s3
	s_cmp_ge_u32 s6, s3
	s_cselect_b32 s5, s7, s5
	s_cselect_b32 s6, s8, s6
	s_add_i32 s7, s5, 1
	s_cmp_ge_u32 s6, s3
	s_cselect_b32 s3, s7, s5
	s_xor_b32 s3, s3, s4
	s_sub_i32 s3, s3, s4
	s_abs_i32 s4, s3
	v_cvt_f32_u32_e32 v1, s4
	s_sub_i32 s6, 0, s4
	s_abs_i32 s5, s49
	s_xor_b32 s3, s49, s3
	v_rcp_iflag_f32_e32 v2, v1
	s_ashr_i32 s3, s3, 31
	v_lshrrev_b32_e32 v1, 6, v0
	v_lshlrev_b32_e32 v84, 4, v1
	v_mul_f32_e32 v2, 0x4f7ffffe, v2
	v_cvt_u32_f32_e32 v2, v2
	v_lshlrev_b32_e32 v68, 7, v76
	v_lshl_or_b32 v89, v85, 2, v84
	v_ashrrev_i32_e32 v69, 31, v68
	v_readfirstlane_b32 s7, v2
	s_mul_i32 s6, s6, s7
	s_mul_hi_u32 s6, s7, s6
	s_add_i32 s7, s7, s6
	s_mul_hi_u32 s6, s5, s7
	s_mul_i32 s7, s6, s4
	s_sub_i32 s5, s5, s7
	s_add_i32 s7, s6, 1
	s_sub_i32 s8, s5, s4
	s_cmp_ge_u32 s5, s4
	s_cselect_b32 s6, s7, s6
	s_cselect_b32 s5, s8, s5
	s_add_i32 s7, s6, 1
	s_cmp_ge_u32 s5, s4
	s_cselect_b32 s4, s7, s6
	s_xor_b32 s4, s4, s3
	s_sub_i32 s53, s4, s3
	s_ashr_i32 s50, s49, 31
	s_mul_hi_i32 s3, s24, s17
	s_add_u32 s4, s28, s49
	s_addc_u32 s5, s3, s50
	s_lshl_b64 s[14:15], s[4:5], 16
	s_add_u32 s4, s20, s14
	s_addc_u32 s5, s21, s15
	v_lshl_add_u64 v[2:3], v[68:69], 2, s[4:5]
	v_lshlrev_b32_e32 v66, 2, v89
	v_or_b32_e32 v70, 0x800, v68
	v_lshl_add_u64 v[10:11], v[2:3], 0, v[66:67]
	v_ashrrev_i32_e32 v71, 31, v70
	global_load_dwordx4 v[6:9], v[10:11], off
	global_load_dwordx4 v[2:5], v[10:11], off offset:256
	v_lshl_add_u64 v[10:11], v[70:71], 2, s[4:5]
	v_or_b32_e32 v72, 0x1000, v68
	v_lshl_add_u64 v[18:19], v[10:11], 0, v[66:67]
	v_ashrrev_i32_e32 v73, 31, v72
	global_load_dwordx4 v[14:17], v[18:19], off
	global_load_dwordx4 v[10:13], v[18:19], off offset:256
	v_lshl_add_u64 v[18:19], v[72:73], 2, s[4:5]
	;; [unrolled: 6-line block ×3, first 2 shown]
	v_lshl_add_u64 v[34:35], v[26:27], 0, v[66:67]
	global_load_dwordx4 v[30:33], v[34:35], off
	global_load_dwordx4 v[26:29], v[34:35], off offset:256
	s_load_dwordx8 s[4:11], s[0:1], 0x0
	s_load_dwordx2 s[34:35], s[0:1], 0x80
	s_load_dwordx4 s[28:31], s[0:1], 0x70
	s_load_dword s54, s[26:27], 0x0
	v_and_b32_e32 v67, 63, v0
	v_or_b32_e32 v90, 64, v89
	s_cmp_lt_i32 s52, 64
	s_mul_hi_i32 s55, s49, s16
	s_mul_i32 s56, s49, s16
	v_lshrrev_b32_e32 v88, 3, v67
	s_waitcnt lgkmcnt(0)
	s_mul_i32 s33, s24, s29
	s_mul_hi_u32 s45, s24, s28
	s_mul_i32 s44, s25, s28
	s_mul_i32 s40, s24, s28
	;; [unrolled: 1-line block ×3, first 2 shown]
	s_mul_hi_u32 s47, s49, s30
	s_mul_i32 s48, s50, s30
	s_mul_i32 s38, s49, s30
	s_cbranch_scc1 .LBB226_18
; %bb.1:
	s_ashr_i32 s1, s36, 31
	s_add_u32 s0, s56, s36
	s_addc_u32 s1, s55, s1
	s_lshl_b64 s[0:1], s[0:1], 8
	v_and_b32_e32 v92, 56, v87
	s_add_u32 s24, s6, s0
	v_lshl_or_b32 v91, v1, 3, v88
	v_lshlrev_b32_e32 v34, 1, v92
	s_addc_u32 s0, s7, s1
	v_lshl_or_b32 v93, v91, 8, v34
	s_and_b32 s25, s0, 0xffff
	s_mov_b32 s27, 0x20000
	s_movk_i32 s26, 0x4000
	s_movk_i32 s0, 0x80
	v_or_b32_e32 v94, 0x2000, v93
	buffer_load_dwordx4 v[36:39], v93, s[24:27], 0 offen
	buffer_load_dwordx4 v[40:43], v93, s[24:27], s0 offen
	;; [unrolled: 1-line block ×4, first 2 shown]
	v_lshlrev_b32_e32 v35, 3, v91
	v_and_or_b32 v53, v0, 7, v35
	v_and_b32_e32 v35, 0x78, v35
	v_lshlrev_b32_e32 v53, 4, v53
	v_xor_b32_e32 v95, v53, v35
	v_mul_lo_u32 v52, v91, s19
	v_or_b32_e32 v96, 0x1000, v95
	v_xor_b32_e32 v35, 8, v95
	s_cmpk_eq_i32 s19, 0x80
	s_mov_b32 s57, s36
	v_xor_b32_e32 v53, 8, v96
	s_cselect_b64 s[0:1], -1, 0
	s_cmpk_lg_i32 s19, 0x80
	s_waitcnt vmcnt(3)
	ds_write_b64 v95, v[36:37] offset:49152
	ds_write_b64 v35, v[38:39] offset:49152
	s_waitcnt vmcnt(2)
	ds_write_b64 v95, v[40:41] offset:57344
	ds_write_b64 v35, v[42:43] offset:57344
	;; [unrolled: 3-line block ×4, first 2 shown]
	v_lshl_add_u32 v35, v52, 1, v92
	s_cbranch_scc0 .LBB226_3
; %bb.2:
	v_lshlrev_b32_e32 v37, 1, v35
	v_add_lshl_u32 v36, v35, s19, 1
	s_lshl_b32 s26, s19, 7
	v_lshl_or_b32 v34, v91, 9, v34
	s_cbranch_execz .LBB226_4
	s_branch .LBB226_5
.LBB226_3:
                                        ; implicit-def: $vgpr36
                                        ; implicit-def: $vgpr37
                                        ; implicit-def: $sgpr26
	v_lshl_or_b32 v34, v91, 9, v34
.LBB226_4:
	v_or_b32_e32 v36, 0x100, v34
	s_movk_i32 s26, 0x4000
	v_mov_b32_e32 v37, v34
.LBB226_5:
	s_mul_i32 s20, s36, s18
	s_ashr_i32 s58, s53, 31
	s_mul_hi_i32 s3, s36, s18
	s_add_u32 s20, s20, s53
	s_addc_u32 s21, s3, s58
	s_lshl_b64 s[20:21], s[20:21], 8
	s_add_u32 s24, s4, s20
	s_addc_u32 s3, s5, s21
	s_and_b32 s25, s3, 0xffff
	s_movk_i32 s59, 0x80
	buffer_load_dwordx4 v[38:41], v37, s[24:27], 0 offen
	buffer_load_dwordx4 v[42:45], v37, s[24:27], s59 offen
	;; [unrolled: 1-line block ×4, first 2 shown]
	v_and_b32_e32 v37, 6, v0
	v_lshlrev_b32_e32 v36, 7, v89
	v_xor_b32_e32 v59, v91, v37
	v_and_b32_e32 v54, 1, v0
	v_lshl_or_b32 v62, v86, 3, v36
	v_lshlrev_b32_e32 v59, 2, v59
	v_lshlrev_b32_e32 v55, 2, v86
	v_or_b32_e32 v97, 0x4000, v62
	v_or_b32_e32 v98, 0x6000, v62
	v_xor_b32_e32 v62, 0x440, v59
	v_cmp_eq_u32_e32 vcc, 0, v54
	v_or_b32_e32 v57, 16, v86
	v_or_b32_e32 v58, 32, v86
	v_xor_b32_e32 v60, v89, v55
	v_xor_b32_e32 v61, v90, v55
	v_cndmask_b32_e32 v54, v62, v59, vcc
	s_mov_b32 s60, 0x1000504
	v_lshl_or_b32 v63, v57, 3, v36
	v_lshlrev_b32_e32 v57, 8, v57
	v_lshl_or_b32 v64, v58, 3, v36
	v_lshlrev_b32_e32 v60, 1, v60
	v_lshlrev_b32_e32 v61, 1, v61
	v_lshl_or_b32 v37, v37, 10, v54
	s_add_i32 s3, s45, s33
	s_mov_b32 s61, 0x3020706
	v_lshlrev_b32_e32 v56, 8, v86
	v_or_b32_e32 v101, 0x4000, v64
	v_or_b32_e32 v102, 0x6000, v64
	;; [unrolled: 1-line block ×4, first 2 shown]
	v_xor_b32_e32 v54, 8, v37
	v_xor_b32_e32 v57, 24, v37
	;; [unrolled: 1-line block ×4, first 2 shown]
	s_add_i32 s41, s3, s44
	s_add_i32 s3, s47, s46
	v_or_b32_e32 v99, 0x4000, v63
	v_or_b32_e32 v100, 0x6000, v63
	v_or_b32_e32 v103, v56, v60
	v_or_b32_e32 v104, v56, v61
	v_xor_b32_e32 v56, 16, v37
	v_xor_b32_e32 v59, 32, v37
	v_xor_b32_e32 v63, 48, v37
	v_add_u32_e32 v54, 0x80, v54
	v_add_u32_e32 v57, 0x80, v57
	;; [unrolled: 1-line block ×4, first 2 shown]
	s_add_i32 s39, s3, s48
	s_lshl_b64 s[20:21], s[40:41], 2
	s_add_u32 s3, s10, s20
	s_addc_u32 s24, s11, s21
	s_lshl_b64 s[20:21], s[38:39], 2
	s_add_u32 s20, s3, s20
	s_movk_i32 s3, 0xf8
	s_addc_u32 s21, s24, s21
	s_lshl_b32 s30, s19, 7
	s_movk_i32 s28, 0x100
	v_mov_b32_e32 v79, 0
	v_lshlrev_b32_e32 v78, 4, v86
	v_cmp_gt_u32_e32 vcc, s28, v0
	v_lshlrev_b32_e32 v58, 8, v58
	s_mov_b32 s62, 0
	s_movk_i32 s26, 0x4000
	v_or_b32_e32 v107, v58, v60
	v_or_b32_e32 v108, v58, v61
	s_movk_i32 s39, 0x2000
	s_movk_i32 s41, 0x3000
	v_mov_b32_e32 v140, 0x3fb8aa3b
	s_waitcnt vmcnt(1)
	v_perm_b32 v65, v38, v46, s60
	s_waitcnt vmcnt(0)
	v_perm_b32 v77, v42, v50, s60
	v_perm_b32 v38, v38, v46, s61
	;; [unrolled: 1-line block ×15, first 2 shown]
	ds_write2st64_b32 v37, v65, v77 offset0:128 offset1:160
	ds_write2st64_b32 v54, v38, v42 offset0:128 offset1:160
	;; [unrolled: 1-line block ×8, first 2 shown]
	v_or_b32_e32 v37, 48, v86
	v_lshl_or_b32 v38, v37, 3, v36
	v_lshlrev_b32_e32 v37, 8, v37
	v_or_b32_e32 v111, v37, v60
	v_or_b32_e32 v112, v37, v61
	;; [unrolled: 1-line block ×3, first 2 shown]
	v_lshlrev_b32_e32 v37, 3, v37
	v_lshrrev_b32_e32 v39, 5, v67
	v_and_or_b32 v39, v37, s3, v39
	v_lshlrev_b32_e32 v39, 4, v39
	v_lshlrev_b32_e32 v40, 11, v1
	v_and_b32_e32 v37, 0x78, v37
	v_or_b32_e32 v45, 32, v39
	v_or_b32_e32 v109, 0x4000, v38
	;; [unrolled: 1-line block ×3, first 2 shown]
	v_and_b32_e32 v38, 0x1000, v40
	v_xor_b32_e32 v41, v39, v37
	v_lshrrev_b32_e32 v42, 1, v0
	v_xor_b32_e32 v45, v45, v37
	v_or_b32_e32 v41, v41, v38
	v_and_b32_e32 v43, 8, v42
	v_or_b32_e32 v45, v45, v38
	v_xor_b32_e32 v113, v41, v43
	v_lshlrev_b32_e32 v41, 8, v85
	v_xor_b32_e32 v115, v45, v43
	v_or_b32_e32 v45, 64, v39
	v_or_b32_e32 v39, 0x60, v39
	s_ashr_i32 s3, s2, 31
	v_or_b32_e32 v44, v41, v55
	v_xor_b32_e32 v45, v45, v37
	v_xor_b32_e32 v37, v39, v37
	s_lshl_b64 s[24:25], s[2:3], 8
	v_lshlrev_b32_e32 v44, 1, v44
	v_or_b32_e32 v45, v45, v38
	v_or_b32_e32 v37, v37, v38
	s_add_u32 s24, s22, s24
	v_lshlrev_b32_e32 v38, 1, v86
	v_or_b32_e32 v114, 0x4000, v44
	v_or_b32_e32 v116, 0x4080, v44
	;; [unrolled: 1-line block ×8, first 2 shown]
	v_lshrrev_b32_e32 v44, 4, v0
	s_addc_u32 s25, s23, s25
	v_or_b32_e32 v39, 1, v38
	v_mov_b32_e32 v48, 0xa000
	v_mov_b32_e32 v49, 0x8000
	v_xor_b32_e32 v119, v45, v43
	v_xor_b32_e32 v45, v44, v38
	;; [unrolled: 1-line block ×3, first 2 shown]
	v_lshl_add_u64 v[38:39], s[24:25], 0, v[78:79]
	v_lshlrev_b32_e32 v78, 8, v44
	v_cndmask_b32_e32 v48, v48, v49, vcc
	v_lshlrev_b32_e32 v49, 3, v1
	v_and_b32_e32 v42, 24, v42
	v_lshl_or_b32 v125, v45, 3, v78
	v_and_b32_e32 v45, 8, v0
	v_xor_b32_e32 v50, v49, v42
	v_or_b32_e32 v51, 0x440, v50
	v_cmp_eq_u32_e32 vcc, 0, v45
	v_and_b32_e32 v44, 7, v0
	v_lshl_or_b32 v126, v46, 3, v78
	v_cndmask_b32_e32 v45, v51, v50, vcc
	v_lshlrev_b32_e32 v46, 3, v44
	v_lshlrev_b32_e32 v44, 7, v44
	v_or_b32_e32 v45, v45, v40
	v_lshlrev_b32_e32 v47, 2, v0
	v_xad_u32 v127, v45, v46, v44
	v_or_b32_e32 v45, 32, v42
	v_and_or_b32 v41, v47, 60, v41
	v_xor_b32_e32 v45, v49, v45
	v_lshlrev_b32_e32 v41, 1, v41
	v_or_b32_e32 v47, 0x440, v45
	v_or_b32_e32 v128, 0x6000, v41
	v_cndmask_b32_e32 v45, v47, v45, vcc
	v_or_b32_e32 v130, 0x6080, v41
	v_or_b32_e32 v131, 0x6100, v41
	;; [unrolled: 1-line block ×5, first 2 shown]
	v_xor_b32_e32 v41, v49, v41
	v_xad_u32 v129, v45, v46, v44
	v_xor_b32_e32 v45, 0x440, v41
	v_cndmask_b32_e32 v41, v45, v41, vcc
	v_or_b32_e32 v41, v41, v40
	v_xad_u32 v133, v41, v46, v44
	v_or_b32_e32 v41, 0x60, v42
	v_xor_b32_e32 v41, v49, v41
	v_xor_b32_e32 v42, 0x440, v41
	v_cndmask_b32_e32 v41, v42, v41, vcc
	v_or_b32_e32 v40, v41, v40
	v_xor_b32_e32 v120, v37, v43
	v_ashrrev_i32_e32 v77, 31, v76
	v_lshlrev_b32_e32 v37, 1, v35
	v_add_lshl_u32 v35, v35, s19, 1
	v_or_b32_e32 v43, 0x100, v34
	v_xad_u32 v134, v40, v46, v44
	v_cndmask_b32_e64 v135, v37, v34, s[0:1]
	v_cndmask_b32_e64 v136, v35, v43, s[0:1]
	v_lshl_add_u64 v[80:81], v[76:77], 1, s[8:9]
	v_lshl_add_u64 v[82:83], v[38:39], 0, v[78:79]
	s_mov_b32 s3, 0x7060302
	v_lshlrev_b32_e32 v78, 1, v36
	v_add_u32_e32 v77, v48, v127
	v_add_u32_e32 v137, v48, v129
	;; [unrolled: 1-line block ×4, first 2 shown]
	s_waitcnt lgkmcnt(0)
	s_barrier
.LBB226_6:                              ; =>This Inner Loop Header: Depth=1
	s_add_i32 s63, s62, 1
	s_cmp_lt_i32 s63, s51
	s_mov_b64 s[28:29], 0
	s_cselect_b64 s[42:43], -1, 0
	s_cmp_ge_i32 s63, s51
	s_mov_b64 s[24:25], 0
	s_cbranch_scc1 .LBB226_8
; %bb.7:                                ;   in Loop: Header=BB226_6 Depth=1
	s_add_i32 s0, s57, 64
	s_ashr_i32 s1, s0, 31
	s_add_u32 s0, s56, s0
	s_addc_u32 s1, s55, s1
	s_lshl_b64 s[0:1], s[0:1], 8
	s_add_u32 s24, s6, s0
	s_addc_u32 s25, s7, s1
.LBB226_8:                              ;   in Loop: Header=BB226_6 Depth=1
	v_cndmask_b32_e64 v34, 0, 1, s[42:43]
	v_cmp_ne_u32_e64 s[0:1], 1, v34
	s_andn2_b64 vcc, exec, s[42:43]
	s_cbranch_vccnz .LBB226_10
; %bb.9:                                ;   in Loop: Header=BB226_6 Depth=1
	s_add_i32 s28, s57, 64
	s_mul_hi_i32 s29, s28, s18
	s_mul_i32 s28, s28, s18
	s_add_u32 s28, s28, s53
	s_addc_u32 s29, s29, s58
	s_lshl_b64 s[28:29], s[28:29], 8
	s_add_u32 s28, s4, s28
	s_addc_u32 s29, s5, s29
.LBB226_10:                             ;   in Loop: Header=BB226_6 Depth=1
	v_perm_b32 v35, v9, v8, s3
	v_perm_b32 v34, v7, v6, s3
	v_perm_b32 v37, v5, v4, s3
	v_perm_b32 v36, v3, v2, s3
	ds_write_b64 v97, v[34:35]
	ds_write_b64 v98, v[36:37]
	ds_write_b64 v103, v[34:35]
	ds_write_b64 v104, v[36:37]
	v_perm_b32 v35, v17, v16, s3
	v_perm_b32 v34, v15, v14, s3
	v_perm_b32 v37, v13, v12, s3
	v_perm_b32 v36, v11, v10, s3
	ds_write_b64 v99, v[34:35]
	ds_write_b64 v100, v[36:37]
	ds_write_b64 v105, v[34:35]
	ds_write_b64 v106, v[36:37]
	;; [unrolled: 8-line block ×4, first 2 shown]
	s_waitcnt lgkmcnt(0)
	s_barrier
	ds_read_b64 v[38:39], v113 offset:49152
	ds_read2_b64 v[34:37], v114 offset1:16
	ds_read_b64 v[50:51], v116 offset:6144
	ds_read_b64 v[52:53], v114 offset:6144
	s_waitcnt lgkmcnt(2)
	v_mfma_f32_16x16x16_bf16 a[0:3], v[38:39], v[34:35], 0
	ds_read_b64 v[54:55], v115 offset:49152
	ds_read2st64_b64 v[42:45], v117 offset0:4 offset1:8
	ds_read2st64_b64 v[46:49], v118 offset0:4 offset1:8
	v_mfma_f32_16x16x16_bf16 a[4:7], v[38:39], v[36:37], 0
	ds_read2_b64 v[34:37], v114 offset0:32 offset1:48
	s_add_i32 s31, s57, 63
	s_ashr_i32 s42, s31, 31
	s_waitcnt lgkmcnt(0)
	v_mfma_f32_16x16x16_bf16 a[8:11], v[38:39], v[34:35], 0
	s_mul_i32 s43, s31, s35
	s_mul_hi_u32 s64, s31, s34
	s_add_i32 s43, s64, s43
	v_mfma_f32_16x16x16_bf16 a[12:15], v[38:39], v[36:37], 0
	ds_read2st64_b64 v[34:37], v114 offset0:4 offset1:8
	ds_read2st64_b64 v[38:41], v116 offset0:4 offset1:8
	s_mul_i32 s42, s42, s34
	s_waitcnt lgkmcnt(1)
	v_mfma_f32_16x16x16_bf16 a[0:3], v[54:55], v[34:35], a[0:3]
	s_add_i32 s43, s43, s42
	s_mul_i32 s42, s31, s34
	s_lshl_b64 s[42:43], s[42:43], 2
	s_waitcnt lgkmcnt(0)
	v_mfma_f32_16x16x16_bf16 a[4:7], v[54:55], v[38:39], a[4:7]
	s_add_u32 s42, s20, s42
	s_addc_u32 s43, s21, s43
	s_and_b64 vcc, exec, s[0:1]
	v_mfma_f32_16x16x16_bf16 a[8:11], v[54:55], v[42:43], a[8:11]
	ds_read_b64 v[34:35], v119 offset:49152
	ds_read_b64 v[38:39], v120 offset:49152
	;; [unrolled: 1-line block ×3, first 2 shown]
	v_mov_b32_e32 v143, 0
	v_mov_b32_e32 v142, 0
	v_mfma_f32_16x16x16_bf16 a[12:15], v[54:55], v[46:47], a[12:15]
	v_mov_b32_e32 v141, 0
	v_mov_b32_e32 v46, 0
	;; [unrolled: 1-line block ×3, first 2 shown]
	s_waitcnt lgkmcnt(2)
	v_mfma_f32_16x16x16_bf16 a[0:3], v[34:35], v[36:37], a[0:3]
	v_mov_b32_e32 v36, 0
	v_mov_b32_e32 v37, 0
	v_mfma_f32_16x16x16_bf16 a[16:19], v[34:35], v[40:41], a[4:7]
	v_mov_b32_e32 v40, 0
	v_mov_b32_e32 v41, 0
	;; [unrolled: 3-line block ×3, first 2 shown]
	v_mfma_f32_16x16x16_bf16 a[24:27], v[34:35], v[48:49], a[12:15]
	ds_read_b64 v[34:35], v117 offset:6144
	v_mov_b32_e32 v48, 0
	v_mov_b32_e32 v49, 0
	s_waitcnt lgkmcnt(2)
	v_mfma_f32_16x16x16_bf16 a[4:7], v[38:39], v[52:53], a[0:3]
	v_mfma_f32_16x16x16_bf16 a[8:11], v[38:39], v[50:51], a[16:19]
	s_waitcnt lgkmcnt(0)
	v_mfma_f32_16x16x16_bf16 a[12:15], v[38:39], v[34:35], a[20:23]
	v_mov_b32_e32 v34, 0
	v_mov_b32_e32 v35, 0
	v_mfma_f32_16x16x16_bf16 a[0:3], v[38:39], v[42:43], a[24:27]
	v_mov_b32_e32 v38, 0
	v_mov_b32_e32 v39, 0
	;; [unrolled: 1-line block ×4, first 2 shown]
	s_cbranch_vccnz .LBB226_12
; %bb.11:                               ;   in Loop: Header=BB226_6 Depth=1
	s_and_b32 s25, s25, 0xffff
	buffer_load_dwordx4 v[46:49], v93, s[24:27], 0 offen
	buffer_load_dwordx4 v[42:45], v93, s[24:27], s59 offen
	buffer_load_dwordx4 v[38:41], v94, s[24:27], 0 offen
	buffer_load_dwordx4 v[34:37], v94, s[24:27], s59 offen
	v_mov_b32_e32 v142, v95
	v_mov_b32_e32 v141, v96
.LBB226_12:                             ;   in Loop: Header=BB226_6 Depth=1
	ds_read_b64 v[144:145], v113 offset:57344
	ds_read2_b64 v[50:53], v121 offset1:16
	ds_read_b64 v[146:147], v115 offset:57344
	ds_read_b64 v[148:149], v119 offset:57344
	;; [unrolled: 1-line block ×3, first 2 shown]
	v_add_u32_e32 v152, s57, v89
	s_waitcnt lgkmcnt(3)
	v_mfma_f32_16x16x16_bf16 a[4:7], v[144:145], v[50:51], a[4:7]
	v_mfma_f32_16x16x16_bf16 a[8:11], v[144:145], v[52:53], a[8:11]
	ds_read2_b64 v[50:53], v121 offset0:32 offset1:48
	ds_read2st64_b64 v[54:57], v121 offset0:4 offset1:8
	ds_read2st64_b64 v[58:61], v122 offset0:4 offset1:8
	;; [unrolled: 1-line block ×3, first 2 shown]
	s_waitcnt lgkmcnt(3)
	v_mfma_f32_16x16x16_bf16 a[12:15], v[144:145], v[50:51], a[12:15]
	v_ashrrev_i32_e32 v50, 31, v152
	v_mfma_f32_16x16x16_bf16 a[0:3], v[144:145], v[52:53], a[0:3]
	v_mul_lo_u32 v52, v50, s34
	v_mul_lo_u32 v53, v152, s35
	v_mad_u64_u32 v[50:51], s[24:25], v152, s34, 0
	v_add3_u32 v51, v51, v53, v52
	v_add_u32_e32 v52, 1, v152
	v_ashrrev_i32_e32 v53, 31, v52
	s_waitcnt lgkmcnt(2)
	v_mfma_f32_16x16x16_bf16 a[4:7], v[146:147], v[54:55], a[4:7]
	v_mul_lo_u32 v54, v53, s34
	v_mul_lo_u32 v55, v52, s35
	v_mad_u64_u32 v[52:53], s[24:25], v52, s34, 0
	v_add3_u32 v53, v53, v55, v54
	v_add_u32_e32 v54, 2, v152
	v_ashrrev_i32_e32 v55, 31, v54
	s_waitcnt lgkmcnt(1)
	v_mfma_f32_16x16x16_bf16 a[8:11], v[146:147], v[58:59], a[8:11]
	v_mul_lo_u32 v58, v55, s34
	v_mul_lo_u32 v59, v54, s35
	v_mad_u64_u32 v[54:55], s[24:25], v54, s34, 0
	v_add3_u32 v55, v55, v59, v58
	v_add_u32_e32 v58, 3, v152
	v_ashrrev_i32_e32 v59, 31, v58
	v_mul_lo_u32 v144, v59, s34
	v_mul_lo_u32 v145, v58, s35
	v_mad_u64_u32 v[58:59], s[24:25], v58, s34, 0
	s_ashr_i32 s25, s57, 31
	s_add_u32 s24, s56, s57
	v_lshl_add_u64 v[50:51], v[50:51], 2, s[20:21]
	v_add3_u32 v59, v59, v145, v144
	s_addc_u32 s25, s55, s25
	v_lshl_add_u64 v[52:53], v[52:53], 2, s[20:21]
	global_load_dword v152, v[50:51], off
	v_lshl_add_u64 v[50:51], v[58:59], 2, s[20:21]
	s_lshl_b64 s[24:25], s[24:25], 8
	v_lshl_add_u64 v[54:55], v[54:55], 2, s[20:21]
	global_load_dword v144, v[52:53], off
	global_load_dword v145, v[54:55], off
	;; [unrolled: 1-line block ×3, first 2 shown]
	v_lshl_add_u64 v[50:51], v[80:81], 0, s[24:25]
	v_lshl_add_u64 v[54:55], v[50:51], 0, v[78:79]
	global_load_ushort v154, v[54:55], off offset:256
	global_load_ushort v155, v[54:55], off
	ds_read2st64_b64 v[50:53], v124 offset0:4 offset1:8
	global_load_ushort v156, v[54:55], off offset:768
	global_load_ushort v157, v[54:55], off offset:512
	s_waitcnt lgkmcnt(1)
	v_mfma_f32_16x16x16_bf16 a[12:15], v[146:147], v[62:63], a[12:15]
	s_and_b64 vcc, exec, s[0:1]
	s_waitcnt vmcnt(3)
	v_lshlrev_b32_e32 v63, 16, v154
	s_waitcnt lgkmcnt(0)
	v_mfma_f32_16x16x16_bf16 a[0:3], v[146:147], v[50:51], a[0:3]
	global_load_ushort v146, v[54:55], off offset:288
	global_load_ushort v147, v[54:55], off offset:32
	;; [unrolled: 1-line block ×8, first 2 shown]
	v_mfma_f32_16x16x16_bf16 a[4:7], v[148:149], v[56:57], a[4:7]
	ds_read_b64 v[50:51], v121 offset:6144
	s_waitcnt vmcnt(10)
	v_lshlrev_b32_e32 v62, 16, v155
	v_mfma_f32_16x16x16_bf16 a[8:11], v[148:149], v[60:61], a[8:11]
	v_mfma_f32_16x16x16_bf16 a[12:15], v[148:149], v[64:65], a[12:15]
	;; [unrolled: 1-line block ×3, first 2 shown]
	global_load_ushort v148, v[54:55], off offset:352
	global_load_ushort v149, v[54:55], off offset:96
	ds_read_b64 v[52:53], v122 offset:6144
	ds_read_b64 v[56:57], v123 offset:6144
	;; [unrolled: 1-line block ×3, first 2 shown]
	global_load_ushort v164, v[54:55], off offset:864
	global_load_ushort v165, v[54:55], off offset:608
	s_load_dword s24, s[42:43], 0x0
	s_waitcnt lgkmcnt(0)
	v_mfma_f32_16x16x16_bf16 a[4:7], v[150:151], v[50:51], a[4:7]
	v_sub_f32_e32 v60, s24, v145
	v_mfma_f32_16x16x16_bf16 a[0:3], v[150:151], v[58:59], a[0:3]
	v_sub_f32_e32 v58, s24, v152
	v_sub_f32_e32 v59, s24, v144
	;; [unrolled: 1-line block ×3, first 2 shown]
	v_mul_f32_e32 v58, 0x3fb8aa3b, v58
	v_mul_f32_e32 v59, 0x3fb8aa3b, v59
	;; [unrolled: 1-line block ×4, first 2 shown]
	v_mfma_f32_16x16x16_bf16 a[8:11], v[150:151], v[52:53], a[8:11]
	v_exp_f32_e32 v58, v58
	v_exp_f32_e32 v59, v59
	;; [unrolled: 1-line block ×4, first 2 shown]
	v_accvgpr_read_b32 v65, a5
	v_accvgpr_read_b32 v64, a4
	;; [unrolled: 1-line block ×4, first 2 shown]
	v_pk_add_f32 v[62:63], v[62:63], v[64:65] neg_lo:[0,1] neg_hi:[0,1]
	s_waitcnt vmcnt(13)
	v_lshlrev_b32_e32 v65, 16, v156
	s_waitcnt vmcnt(12)
	v_lshlrev_b32_e32 v64, 16, v157
	v_pk_add_f32 v[50:51], v[64:65], v[50:51] neg_lo:[0,1] neg_hi:[0,1]
	v_pk_mul_f32 v[62:63], v[58:59], v[62:63]
	v_pk_mul_f32 v[50:51], v[60:61], v[50:51]
	v_accvgpr_read_b32 v65, a9
	v_perm_b32 v51, v51, v50, s3
	v_perm_b32 v50, v63, v62, s3
	v_accvgpr_read_b32 v64, a8
	v_accvgpr_read_b32 v53, a11
	v_mfma_f32_16x16x16_bf16 a[12:15], v[150:151], v[56:57], a[12:15]
	v_accvgpr_read_b32 v52, a10
	v_accvgpr_read_b32 v57, a3
	;; [unrolled: 1-line block ×3, first 2 shown]
	v_mov_b32_e32 v144, 0
	s_waitcnt vmcnt(11)
	v_lshlrev_b32_e32 v63, 16, v146
	s_waitcnt vmcnt(10)
	v_lshlrev_b32_e32 v62, 16, v147
	v_pk_add_f32 v[62:63], v[62:63], v[64:65] neg_lo:[0,1] neg_hi:[0,1]
	s_waitcnt vmcnt(9)
	v_lshlrev_b32_e32 v65, 16, v158
	s_waitcnt vmcnt(8)
	v_lshlrev_b32_e32 v64, 16, v159
	v_pk_add_f32 v[52:53], v[64:65], v[52:53] neg_lo:[0,1] neg_hi:[0,1]
	v_pk_mul_f32 v[62:63], v[58:59], v[62:63]
	v_pk_mul_f32 v[52:53], v[60:61], v[52:53]
	v_accvgpr_read_b32 v55, a15
	v_perm_b32 v53, v53, v52, s3
	v_perm_b32 v52, v63, v62, s3
	ds_write2_b64 v98, v[50:51], v[52:53] offset1:16
	v_accvgpr_read_b32 v53, a13
	s_waitcnt vmcnt(7)
	v_lshlrev_b32_e32 v51, 16, v160
	s_waitcnt vmcnt(6)
	v_lshlrev_b32_e32 v50, 16, v161
	v_accvgpr_read_b32 v52, a12
	v_accvgpr_read_b32 v54, a14
	v_pk_add_f32 v[50:51], v[50:51], v[52:53] neg_lo:[0,1] neg_hi:[0,1]
	s_waitcnt vmcnt(5)
	v_lshlrev_b32_e32 v53, 16, v162
	s_waitcnt vmcnt(4)
	v_lshlrev_b32_e32 v52, 16, v163
	v_pk_add_f32 v[52:53], v[52:53], v[54:55] neg_lo:[0,1] neg_hi:[0,1]
	v_pk_mul_f32 v[50:51], v[58:59], v[50:51]
	v_pk_mul_f32 v[52:53], v[60:61], v[52:53]
	v_accvgpr_read_b32 v55, a1
	v_perm_b32 v53, v53, v52, s3
	v_perm_b32 v52, v51, v50, s3
	s_waitcnt vmcnt(3)
	v_lshlrev_b32_e32 v51, 16, v148
	s_waitcnt vmcnt(2)
	v_lshlrev_b32_e32 v50, 16, v149
	v_accvgpr_read_b32 v54, a0
	v_pk_add_f32 v[50:51], v[50:51], v[54:55] neg_lo:[0,1] neg_hi:[0,1]
	s_waitcnt vmcnt(1)
	v_lshlrev_b32_e32 v55, 16, v164
	s_waitcnt vmcnt(0)
	v_lshlrev_b32_e32 v54, 16, v165
	v_pk_add_f32 v[54:55], v[54:55], v[56:57] neg_lo:[0,1] neg_hi:[0,1]
	v_pk_mul_f32 v[50:51], v[58:59], v[50:51]
	v_pk_mul_f32 v[54:55], v[60:61], v[54:55]
	v_mov_b32_e32 v56, 0
	v_perm_b32 v55, v55, v54, s3
	v_perm_b32 v54, v51, v50, s3
	ds_write2_b64 v98, v[52:53], v[54:55] offset0:32 offset1:48
	v_mov_b32_e32 v50, 0
	v_mov_b32_e32 v51, 0
	;; [unrolled: 1-line block ×15, first 2 shown]
	s_cbranch_vccnz .LBB226_14
; %bb.13:                               ;   in Loop: Header=BB226_6 Depth=1
	s_and_b32 s29, s29, 0xffff
	s_mov_b32 s31, s27
	buffer_load_dwordx4 v[62:65], v135, s[28:31], 0 offen
	buffer_load_dwordx4 v[54:57], v135, s[28:31], s59 offen
	;; [unrolled: 1-line block ×4, first 2 shown]
	v_mov_b32_e32 v143, v92
	v_mov_b32_e32 v144, v91
.LBB226_14:                             ;   in Loop: Header=BB226_6 Depth=1
	s_waitcnt lgkmcnt(0)
	s_barrier
	ds_read_b64 v[154:155], v77
	ds_read2_b64 v[146:149], v128 offset1:16
	ds_read_b64 v[170:171], v137
	ds_read_b64 v[172:173], v138
	;; [unrolled: 1-line block ×3, first 2 shown]
	ds_read2_b64 v[150:153], v128 offset0:32 offset1:48
	s_waitcnt lgkmcnt(4)
	v_mfma_f32_16x16x16_bf16 a[0:3], v[154:155], v[146:147], 0
	ds_read2st64_b64 v[158:161], v130 offset0:4 offset1:8
	ds_read2st64_b64 v[162:165], v131 offset0:4 offset1:8
	ds_read2st64_b64 v[166:169], v132 offset0:4 offset1:8
	v_mfma_f32_16x16x16_bf16 a[4:7], v[154:155], v[148:149], 0
	s_add_i32 s25, s54, s62
	s_mul_hi_i32 s29, s25, s17
	s_mul_i32 s25, s25, s17
	s_waitcnt lgkmcnt(3)
	v_mfma_f32_16x16x16_bf16 a[8:11], v[154:155], v[150:151], 0
	s_add_u32 s28, s25, s49
	s_addc_u32 s29, s29, s50
	s_lshl_b64 s[28:29], s[28:29], 15
	v_mfma_f32_16x16x16_bf16 a[12:15], v[154:155], v[152:153], 0
	ds_read2st64_b64 v[154:157], v128 offset0:4 offset1:8
	s_waitcnt lgkmcnt(0)
	v_mfma_f32_16x16x16_bf16 a[0:3], v[170:171], v[154:155], a[0:3]
	v_mfma_f32_16x16x16_bf16 a[4:7], v[170:171], v[158:159], a[4:7]
	;; [unrolled: 1-line block ×8, first 2 shown]
	ds_read_b64 v[170:171], v128 offset:6144
	ds_read_b64 v[172:173], v129 offset:40960
	;; [unrolled: 1-line block ×8, first 2 shown]
	s_waitcnt lgkmcnt(5)
	v_mfma_f32_16x16x16_bf16 a[16:19], v[176:177], v[146:147], 0
	v_mfma_f32_16x16x16_bf16 a[20:23], v[176:177], v[148:149], 0
	ds_read2st64_b64 v[146:149], v125 offset1:8
	v_mfma_f32_16x16x16_bf16 a[24:27], v[176:177], v[150:151], 0
	v_mfma_f32_16x16x16_bf16 a[28:31], v[176:177], v[152:153], 0
	ds_read2st64_b64 v[150:153], v126 offset1:8
	v_mfma_f32_16x16x16_bf16 a[16:19], v[172:173], v[154:155], a[16:19]
	s_waitcnt lgkmcnt(1)
	v_mov_b32_e32 v154, v146
	v_mov_b32_e32 v155, v147
	v_mfma_f32_16x16x16_bf16 a[20:23], v[172:173], v[158:159], a[20:23]
	v_lshl_add_u64 v[158:159], v[82:83], 0, s[28:29]
	v_mfma_f32_16x16x16_bf16 a[24:27], v[172:173], v[162:163], a[24:27]
	v_mfma_f32_16x16x16_bf16 a[28:31], v[172:173], v[166:167], a[28:31]
	;; [unrolled: 1-line block ×3, first 2 shown]
	s_waitcnt lgkmcnt(0)
	v_mov_b32_e32 v156, v150
	v_mov_b32_e32 v157, v151
	;; [unrolled: 1-line block ×3, first 2 shown]
	v_mfma_f32_16x16x16_bf16 a[32:35], v[184:185], v[160:161], a[20:23]
	v_mov_b32_e32 v151, v149
	ds_read2st64_b64 v[146:149], v125 offset0:16 offset1:24
	global_store_dwordx4 v[158:159], v[154:157], off
	v_mfma_f32_16x16x16_bf16 a[24:27], v[184:185], v[164:165], a[24:27]
	ds_read2st64_b64 v[154:157], v126 offset0:16 offset1:24
	v_add_co_u32_e32 v160, vcc, s39, v158
	v_mfma_f32_16x16x16_bf16 a[28:31], v[184:185], v[168:169], a[28:31]
	s_nop 0
	v_addc_co_u32_e32 v161, vcc, 0, v159, vcc
	global_store_dwordx4 v[160:161], v[150:153], off offset:-4096
	v_mfma_f32_16x16x16_bf16 a[0:3], v[174:175], v[170:171], a[0:3]
	s_waitcnt lgkmcnt(1)
	v_mov_b32_e32 v150, v146
	v_add_co_u32_e32 v146, vcc, s41, v158
	v_mfma_f32_16x16x16_bf16 a[4:7], v[174:175], v[178:179], a[4:7]
	v_mov_b32_e32 v151, v147
	v_addc_co_u32_e32 v147, vcc, 0, v159, vcc
	v_mfma_f32_16x16x16_bf16 a[8:11], v[174:175], v[180:181], a[8:11]
	s_waitcnt lgkmcnt(0)
	v_mov_b32_e32 v152, v154
	v_mov_b32_e32 v153, v155
	;; [unrolled: 1-line block ×3, first 2 shown]
	v_mfma_f32_16x16x16_bf16 a[12:15], v[174:175], v[182:183], a[12:15]
	v_mov_b32_e32 v155, v149
	s_and_b64 vcc, exec, s[0:1]
	global_store_dwordx4 v[160:161], v[150:153], off
	v_mfma_f32_16x16x16_bf16 a[20:23], v[186:187], v[170:171], a[16:19]
	global_store_dwordx4 v[146:147], v[154:157], off
	v_mfma_f32_16x16x16_bf16 a[16:19], v[186:187], v[178:179], a[32:35]
	v_mfma_f32_16x16x16_bf16 a[24:27], v[186:187], v[180:181], a[24:27]
	v_mfma_f32_16x16x16_bf16 a[28:31], v[186:187], v[182:183], a[28:31]
	s_cbranch_vccnz .LBB226_16
; %bb.15:                               ;   in Loop: Header=BB226_6 Depth=1
	v_lshrrev_b32_e32 v145, 3, v143
	v_and_b32_e32 v145, 6, v145
	v_xor_b32_e32 v144, v145, v144
	v_lshlrev_b32_e32 v144, 2, v144
	v_and_b32_e32 v143, 8, v143
	v_xor_b32_e32 v146, 0x440, v144
	v_cmp_eq_u32_e32 vcc, 0, v143
	s_barrier
	s_nop 0
	v_cndmask_b32_e32 v143, v146, v144, vcc
	v_lshl_or_b32 v143, v145, 10, v143
	s_waitcnt vmcnt(5)
	v_perm_b32 v144, v62, v58, s60
	s_waitcnt vmcnt(4)
	v_perm_b32 v145, v54, v50, s60
	ds_write2st64_b32 v143, v144, v145 offset0:128 offset1:160
	v_xor_b32_e32 v144, 8, v143
	v_perm_b32 v58, v62, v58, s61
	v_perm_b32 v50, v54, v50, s61
	v_add_u32_e32 v54, 0x80, v144
	ds_write2st64_b32 v54, v58, v50 offset0:128 offset1:160
	v_xor_b32_e32 v50, 16, v143
	v_perm_b32 v54, v63, v59, s60
	v_perm_b32 v58, v55, v51, s60
	ds_write2st64_b32 v50, v54, v58 offset0:129 offset1:161
	v_xor_b32_e32 v50, 24, v143
	v_perm_b32 v54, v63, v59, s61
	v_perm_b32 v51, v55, v51, s61
	v_add_u32_e32 v50, 0x80, v50
	ds_write2st64_b32 v50, v54, v51 offset0:129 offset1:161
	v_xor_b32_e32 v50, 32, v143
	v_perm_b32 v51, v64, v60, s60
	;; [unrolled: 9-line block ×3, first 2 shown]
	v_perm_b32 v52, v57, v53, s60
	ds_write2st64_b32 v50, v51, v52 offset0:131 offset1:163
	v_xor_b32_e32 v50, 56, v143
	v_perm_b32 v51, v65, v61, s61
	v_perm_b32 v52, v57, v53, s61
	v_add_u32_e32 v50, 0x80, v50
	ds_write2st64_b32 v50, v51, v52 offset0:131 offset1:163
	ds_write_b64 v142, v[46:47] offset:49152
	v_xor_b32_e32 v46, 8, v142
	ds_write_b64 v46, v[48:49] offset:49152
	ds_write_b64 v142, v[42:43] offset:57344
	;; [unrolled: 1-line block ×4, first 2 shown]
	v_xor_b32_e32 v38, 8, v141
	ds_write_b64 v38, v[40:41] offset:49152
	ds_write_b64 v141, v[34:35] offset:57344
	;; [unrolled: 1-line block ×3, first 2 shown]
.LBB226_16:                             ;   in Loop: Header=BB226_6 Depth=1
	s_waitcnt vmcnt(6)
	v_mul_f32_e32 v54, s24, v140
	v_exp_f32_e32 v142, v54
	v_accvgpr_read_b32 v37, a3
	v_accvgpr_read_b32 v41, a7
	;; [unrolled: 1-line block ×4, first 2 shown]
	s_waitcnt vmcnt(4)
	v_accvgpr_read_b32 v53, a23
	v_accvgpr_read_b32 v57, a19
	;; [unrolled: 1-line block ×28, first 2 shown]
	s_add_i32 s57, s57, 64
	v_pk_fma_f32 v[6:7], v[6:7], v[142:143], v[34:35] op_sel_hi:[1,0,1]
	v_pk_fma_f32 v[8:9], v[8:9], v[142:143], v[36:37] op_sel_hi:[1,0,1]
	;; [unrolled: 1-line block ×15, first 2 shown]
	s_cmp_eq_u32 s51, s63
	v_pk_fma_f32 v[28:29], v[28:29], v[142:143], v[64:65] op_sel_hi:[1,0,1]
	s_cbranch_scc1 .LBB226_18
; %bb.17:                               ;   in Loop: Header=BB226_6 Depth=1
	s_mov_b32 s62, s63
	s_branch .LBB226_6
.LBB226_18:
	s_lshl_b32 s30, s51, 6
	s_sub_i32 s31, s52, s30
	s_cmp_gt_i32 s31, 0
	s_cbranch_scc0 .LBB226_99
; %bb.19:
	s_add_i32 s30, s30, s36
	s_ashr_i32 s3, s30, 31
	s_cmpk_lg_i32 s19, 0x80
	s_cselect_b64 s[26:27], -1, 0
	s_and_b64 vcc, exec, s[26:27]
	s_cbranch_vccz .LBB226_21
; %bb.20:
	s_mul_hi_i32 s0, s30, s18
	s_mul_i32 s1, s30, s18
	s_ashr_i32 s18, s53, 31
	s_add_u32 s28, s1, s53
	s_addc_u32 s29, s0, s18
	s_cbranch_execz .LBB226_22
	s_branch .LBB226_23
.LBB226_21:
                                        ; implicit-def: $sgpr28_sgpr29
.LBB226_22:
	s_mul_i32 s1, s53, s16
	s_mul_hi_i32 s0, s53, s16
	s_add_u32 s28, s1, s30
	s_addc_u32 s29, s0, s3
.LBB226_23:
	s_add_i32 s16, s51, s54
	s_add_u32 s0, s56, s30
	v_lshlrev_b32_e32 v38, 6, v89
	v_lshlrev_b32_e32 v56, 2, v86
	s_addc_u32 s1, s55, s3
	s_mov_b32 s3, 0x7060302
	v_or_b32_e32 v41, v38, v56
	v_xor_b32_e32 v39, v89, v56
	s_waitcnt vmcnt(7)
	v_perm_b32 v35, v9, v8, s3
	v_perm_b32 v34, v7, v6, s3
	s_waitcnt vmcnt(6)
	v_perm_b32 v37, v5, v4, s3
	v_perm_b32 v36, v3, v2, s3
	v_lshlrev_b32_e32 v41, 1, v41
	v_xor_b32_e32 v40, v90, v56
	ds_write2st64_b64 v41, v[34:35], v[36:37] offset0:32 offset1:48
	v_lshlrev_b32_e32 v39, 1, v39
	v_lshlrev_b32_e32 v41, 8, v86
	v_or_b32_e32 v42, v39, v41
	v_lshlrev_b32_e32 v40, 1, v40
	ds_write_b64 v42, v[34:35]
	v_or_b32_e32 v34, v40, v41
	v_or_b32_e32 v41, 16, v86
	v_lshlrev_b32_e32 v55, 2, v41
	v_or_b32_e32 v42, v38, v55
	ds_write_b64 v34, v[36:37]
	s_waitcnt vmcnt(5)
	v_perm_b32 v35, v17, v16, s3
	v_perm_b32 v34, v15, v14, s3
	s_waitcnt vmcnt(4)
	v_perm_b32 v37, v13, v12, s3
	v_perm_b32 v36, v11, v10, s3
	v_lshlrev_b32_e32 v42, 1, v42
	v_lshlrev_b32_e32 v41, 8, v41
	ds_write2st64_b64 v42, v[34:35], v[36:37] offset0:32 offset1:48
	v_or_b32_e32 v42, v39, v41
	ds_write_b64 v42, v[34:35]
	v_or_b32_e32 v34, v40, v41
	v_or_b32_e32 v41, 32, v86
	v_lshlrev_b32_e32 v54, 2, v41
	v_or_b32_e32 v42, v38, v54
	ds_write_b64 v34, v[36:37]
	s_waitcnt vmcnt(3)
	v_perm_b32 v35, v25, v24, s3
	v_perm_b32 v34, v23, v22, s3
	s_waitcnt vmcnt(2)
	v_perm_b32 v37, v21, v20, s3
	v_perm_b32 v36, v19, v18, s3
	v_lshlrev_b32_e32 v42, 1, v42
	v_lshlrev_b32_e32 v41, 8, v41
	s_lshl_b64 s[24:25], s[0:1], 8
	ds_write2st64_b64 v42, v[34:35], v[36:37] offset0:32 offset1:48
	v_or_b32_e32 v42, v39, v41
	s_add_u32 s0, s6, s24
	ds_write_b64 v42, v[34:35]
	v_or_b32_e32 v34, v40, v41
	s_addc_u32 s1, s7, s25
	ds_write_b64 v34, v[36:37]
	s_waitcnt vmcnt(1)
	v_perm_b32 v35, v33, v32, s3
	v_perm_b32 v34, v31, v30, s3
	s_waitcnt vmcnt(0)
	v_perm_b32 v37, v29, v28, s3
	v_perm_b32 v36, v27, v26, s3
	v_or_b32_e32 v41, 48, v86
	s_mul_hi_i32 s3, s16, s17
	s_mul_i32 s16, s16, s17
	v_lshlrev_b32_e32 v51, 2, v41
	s_add_u32 s6, s16, s49
	v_or_b32_e32 v38, v38, v51
	s_addc_u32 s7, s3, s50
	v_lshlrev_b32_e32 v38, 1, v38
	s_ashr_i32 s3, s2, 31
	s_lshl_b64 s[6:7], s[6:7], 15
	ds_write2st64_b64 v38, v[34:35], v[36:37] offset0:32 offset1:48
	v_lshlrev_b32_e32 v38, 8, v41
	s_add_u32 s6, s22, s6
	v_or_b32_e32 v39, v39, v38
	s_addc_u32 s7, s23, s7
	s_lshl_b64 s[2:3], s[2:3], 8
	ds_write_b64 v39, v[34:35]
	v_or_b32_e32 v34, v40, v38
	s_add_u32 s2, s6, s2
	v_lshlrev_b32_e32 v35, 1, v86
	ds_write_b64 v34, v[36:37]
	v_lshrrev_b32_e32 v34, 4, v0
	s_addc_u32 s3, s7, s3
	v_or_b32_e32 v36, 1, v35
	v_lshlrev_b32_e32 v42, 4, v86
	v_mov_b32_e32 v43, 0
	v_xor_b32_e32 v35, v34, v35
	v_xor_b32_e32 v38, v36, v34
	v_lshl_add_u64 v[44:45], s[2:3], 0, v[42:43]
	v_lshlrev_b32_e32 v42, 8, v34
	v_lshl_or_b32 v48, v35, 3, v42
	v_lshl_or_b32 v49, v38, 3, v42
	s_waitcnt lgkmcnt(0)
	s_barrier
	ds_read2st64_b64 v[34:37], v48 offset1:8
	ds_read2st64_b64 v[38:41], v49 offset1:8
	v_lshl_add_u64 v[46:47], v[44:45], 0, v[42:43]
	s_movk_i32 s2, 0x2000
	s_cmp_lg_u32 s31, 64
	s_waitcnt lgkmcnt(1)
	v_mov_b32_e32 v42, v34
	v_mov_b32_e32 v43, v35
	s_waitcnt lgkmcnt(0)
	v_mov_b32_e32 v44, v38
	v_mov_b32_e32 v45, v39
	global_store_dwordx4 v[46:47], v[42:45], off
	v_mov_b32_e32 v38, v36
	v_mov_b32_e32 v39, v37
	ds_read2st64_b64 v[34:37], v48 offset0:16 offset1:24
	ds_read2st64_b64 v[42:45], v49 offset0:16 offset1:24
	v_add_co_u32_e32 v48, vcc, s2, v46
	s_cselect_b64 s[6:7], -1, 0
	s_nop 0
	v_addc_co_u32_e32 v49, vcc, 0, v47, vcc
	global_store_dwordx4 v[48:49], v[38:41], off offset:-4096
	v_lshl_or_b32 v62, v1, 3, v88
	s_mov_b32 s20, 0
	s_waitcnt lgkmcnt(1)
	v_mov_b32_e32 v38, v34
	v_add_co_u32_e32 v34, vcc, 0x3000, v46
	v_mov_b32_e32 v39, v35
	s_nop 0
	v_addc_co_u32_e32 v35, vcc, 0, v47, vcc
	s_waitcnt lgkmcnt(0)
	v_mov_b32_e32 v40, v42
	v_mov_b32_e32 v41, v43
	;; [unrolled: 1-line block ×4, first 2 shown]
	v_or_b32_e32 v52, 32, v62
	v_and_b32_e32 v50, 56, v87
	s_and_b64 vcc, exec, s[6:7]
	global_store_dwordx4 v[48:49], v[38:41], off
	global_store_dwordx4 v[34:35], v[42:45], off
	s_cbranch_vccz .LBB226_29
; %bb.24:
	s_mov_b32 s22, s20
	s_mov_b32 s23, s20
	;; [unrolled: 1-line block ×3, first 2 shown]
	v_mov_b64_e32 v[40:41], s[22:23]
	v_mov_b64_e32 v[38:39], s[20:21]
	;; [unrolled: 1-line block ×3, first 2 shown]
	v_cmp_gt_i32_e32 vcc, s31, v62
	v_mov_b64_e32 v[36:37], v[40:41]
	s_and_saveexec_b64 s[2:3], vcc
	s_cbranch_execz .LBB226_26
; %bb.25:
	v_lshlrev_b32_e32 v34, 8, v62
	v_mov_b32_e32 v35, 0
	v_lshl_add_u64 v[36:37], s[0:1], 0, v[34:35]
	v_lshlrev_b32_e32 v34, 1, v50
	v_lshl_add_u64 v[42:43], v[36:37], 0, v[34:35]
	global_load_dwordx4 v[38:41], v[42:43], off
	global_load_dwordx4 v[34:37], v[42:43], off offset:128
.LBB226_26:
	s_or_b64 exec, exec, s[2:3]
	s_mov_b32 s22, s20
	s_mov_b32 s23, s20
	;; [unrolled: 1-line block ×3, first 2 shown]
	v_mov_b64_e32 v[48:49], s[22:23]
	v_mov_b64_e32 v[46:47], s[20:21]
	;; [unrolled: 1-line block ×3, first 2 shown]
	v_cmp_gt_i32_e32 vcc, s31, v52
	v_lshlrev_b32_e32 v53, 7, v52
	v_mov_b64_e32 v[44:45], v[48:49]
	s_and_saveexec_b64 s[2:3], vcc
	s_cbranch_execz .LBB226_28
; %bb.27:
	v_lshlrev_b32_e32 v42, 1, v53
	v_mov_b32_e32 v43, 0
	v_lshl_add_u64 v[44:45], s[0:1], 0, v[42:43]
	v_lshlrev_b32_e32 v42, 1, v50
	v_lshl_add_u64 v[58:59], v[44:45], 0, v[42:43]
	global_load_dwordx4 v[46:49], v[58:59], off
	global_load_dwordx4 v[42:45], v[58:59], off offset:128
.LBB226_28:
	s_or_b64 exec, exec, s[2:3]
	v_lshrrev_b32_e32 v57, 3, v50
	v_lshlrev_b32_e32 v58, 3, v62
	v_or_b32_e32 v57, v58, v57
	v_lshlrev_b32_e32 v57, 4, v57
	v_and_b32_e32 v58, 0x78, v58
	v_xor_b32_e32 v57, v57, v58
	s_branch .LBB226_31
.LBB226_29:
                                        ; implicit-def: $vgpr57
                                        ; implicit-def: $vgpr53
                                        ; implicit-def: $vgpr38_vgpr39_vgpr40_vgpr41
                                        ; implicit-def: $vgpr34_vgpr35_vgpr36_vgpr37
                                        ; implicit-def: $vgpr46_vgpr47_vgpr48_vgpr49
                                        ; implicit-def: $vgpr42_vgpr43_vgpr44_vgpr45
	s_cbranch_execz .LBB226_31
; %bb.30:
	s_waitcnt vmcnt(0)
	v_lshlrev_b32_e32 v34, 1, v50
	v_lshl_or_b32 v53, v62, 8, v34
	s_and_b32 s1, s1, 0xffff
	s_mov_b32 s3, 0x20000
	s_movk_i32 s2, 0x4000
	v_lshl_or_b32 v57, v52, 8, v34
	s_movk_i32 s16, 0x80
	buffer_load_dwordx4 v[38:41], v53, s[0:3], 0 offen
	buffer_load_dwordx4 v[34:37], v53, s[0:3], s16 offen
	;; [unrolled: 1-line block ×4, first 2 shown]
	v_lshrrev_b32_e32 v53, 3, v50
	v_lshlrev_b32_e32 v57, 3, v62
	v_or_b32_e32 v53, v57, v53
	v_lshlrev_b32_e32 v53, 4, v53
	v_and_b32_e32 v57, 0x78, v57
	v_xor_b32_e32 v57, v53, v57
	v_lshlrev_b32_e32 v53, 7, v52
.LBB226_31:
	s_movk_i32 s0, 0x1000
	v_and_or_b32 v52, v53, s0, v57
	s_waitcnt vmcnt(1)
	ds_write_b64 v57, v[38:39] offset:49152
	v_xor_b32_e32 v38, 8, v57
	ds_write_b64 v38, v[40:41] offset:49152
	s_waitcnt vmcnt(0)
	ds_write_b64 v57, v[34:35] offset:57344
	ds_write_b64 v38, v[36:37] offset:57344
	;; [unrolled: 1-line block ×3, first 2 shown]
	v_xor_b32_e32 v34, 8, v52
	ds_write_b64 v34, v[48:49] offset:49152
	ds_write_b64 v52, v[42:43] offset:57344
	;; [unrolled: 1-line block ×3, first 2 shown]
	v_or_b32_e32 v34, v84, v86
	v_lshlrev_b32_e32 v34, 3, v34
	v_lshrrev_b32_e32 v35, 5, v67
	s_movk_i32 s0, 0xf8
	v_and_or_b32 v35, v34, s0, v35
	v_lshlrev_b32_e32 v39, 4, v35
	v_lshlrev_b32_e32 v57, 11, v1
	v_and_b32_e32 v40, 0x78, v34
	v_or_b32_e32 v42, 32, v39
	v_and_b32_e32 v38, 0x1000, v57
	v_lshrrev_b32_e32 v35, 1, v67
	v_xor_b32_e32 v42, v42, v40
	v_xor_b32_e32 v34, v39, v40
	v_and_b32_e32 v41, 8, v35
	v_or_b32_e32 v42, v42, v38
	v_or_b32_e32 v34, v34, v38
	v_xor_b32_e32 v64, v42, v41
	v_or_b32_e32 v42, 64, v39
	v_xor_b32_e32 v63, v34, v41
	v_xor_b32_e32 v42, v42, v40
	s_waitcnt lgkmcnt(0)
	s_barrier
	v_or_b32_e32 v45, v42, v38
	ds_read_b64 v[42:43], v63 offset:49152
	v_lshl_or_b32 v46, v85, 8, v56
	v_lshlrev_b32_e32 v58, 1, v46
	v_add_u32_e32 v44, 0x4000, v58
	ds_read2_b64 v[34:37], v44 offset1:16
	v_or_b32_e32 v39, 0x60, v39
	v_xor_b32_e32 v39, v39, v40
	v_or_b32_e32 v38, v39, v38
	v_xor_b32_e32 v65, v45, v41
	v_xor_b32_e32 v77, v38, v41
	ds_read_b64 v[52:53], v64 offset:49152
	ds_read_b64 v[78:79], v65 offset:49152
	;; [unrolled: 1-line block ×3, first 2 shown]
	s_waitcnt lgkmcnt(3)
	v_mfma_f32_16x16x16_bf16 a[0:3], v[42:43], v[34:35], 0
	ds_read2st64_b64 v[38:41], v58 offset0:36 offset1:40
	s_lshl_b64 s[0:1], s[28:29], 8
	s_add_u32 s4, s4, s0
	v_mfma_f32_16x16x16_bf16 a[4:7], v[42:43], v[36:37], 0
	ds_read2_b64 v[34:37], v44 offset0:32 offset1:48
	s_addc_u32 s5, s5, s1
	s_add_i32 s1, s45, s33
	s_waitcnt lgkmcnt(0)
	v_mfma_f32_16x16x16_bf16 a[8:11], v[42:43], v[34:35], 0
	v_or_b32_e32 v34, 64, v46
	v_lshlrev_b32_e32 v59, 1, v34
	s_add_i32 s0, s37, -1
	v_mfma_f32_16x16x16_bf16 a[12:15], v[42:43], v[36:37], 0
	ds_read2st64_b64 v[34:37], v59 offset0:36 offset1:40
	s_add_i32 s41, s1, s44
	s_add_i32 s1, s47, s46
	v_mfma_f32_16x16x16_bf16 a[0:3], v[52:53], v[38:39], a[0:3]
	v_or_b32_e32 v38, 0x80, v46
	v_lshlrev_b32_e32 v60, 1, v38
	ds_read2st64_b64 v[42:45], v60 offset0:36 offset1:40
	s_waitcnt lgkmcnt(1)
	v_mfma_f32_16x16x16_bf16 a[4:7], v[52:53], v[34:35], a[4:7]
	v_or_b32_e32 v34, 0xc0, v46
	v_lshlrev_b32_e32 v61, 1, v34
	ds_read2st64_b64 v[46:49], v61 offset0:36 offset1:40
	s_add_i32 s39, s1, s48
	s_ashr_i32 s1, s0, 31
	s_mul_i32 s2, s0, s35
	s_mul_hi_u32 s3, s0, s34
	s_add_i32 s2, s3, s2
	s_mul_i32 s1, s1, s34
	s_waitcnt lgkmcnt(1)
	v_mfma_f32_16x16x16_bf16 a[8:11], v[52:53], v[42:43], a[8:11]
	s_add_i32 s1, s2, s1
	s_lshl_b64 s[2:3], s[40:41], 2
	s_add_u32 s10, s10, s2
	s_waitcnt lgkmcnt(0)
	v_mfma_f32_16x16x16_bf16 a[12:15], v[52:53], v[46:47], a[12:15]
	s_addc_u32 s11, s11, s3
	s_lshl_b64 s[2:3], s[38:39], 2
	s_mul_i32 s0, s0, s34
	v_mfma_f32_16x16x16_bf16 a[0:3], v[78:79], v[40:41], a[0:3]
	ds_read_b64 v[34:35], v58 offset:22528
	s_add_u32 s10, s10, s2
	s_addc_u32 s11, s11, s3
	v_mfma_f32_16x16x16_bf16 a[4:7], v[78:79], v[36:37], a[4:7]
	ds_read_b64 v[36:37], v59 offset:22528
	ds_read_b64 v[38:39], v60 offset:22528
	;; [unrolled: 1-line block ×3, first 2 shown]
	s_lshl_b64 s[0:1], s[0:1], 2
	s_add_u32 s0, s10, s0
	v_mfma_f32_16x16x16_bf16 a[8:11], v[78:79], v[44:45], a[8:11]
	s_addc_u32 s1, s11, s1
	s_load_dword s16, s[0:1], 0x0
	s_and_b64 vcc, exec, s[26:27]
	v_mfma_f32_16x16x16_bf16 a[12:15], v[78:79], v[48:49], a[12:15]
	s_waitcnt lgkmcnt(0)
	v_mfma_f32_16x16x16_bf16 a[0:3], v[80:81], v[34:35], a[0:3]
	v_mfma_f32_16x16x16_bf16 a[4:7], v[80:81], v[36:37], a[4:7]
	;; [unrolled: 1-line block ×4, first 2 shown]
	s_cbranch_vccz .LBB226_42
; %bb.32:
	v_lshlrev_b32_e32 v52, 1, v62
	s_and_b64 vcc, exec, s[6:7]
	s_cbranch_vccz .LBB226_43
; %bb.33:
	v_cmp_gt_i32_e32 vcc, s31, v52
	v_mov_b32_e32 v38, 0
	v_mov_b32_e32 v34, 0
	;; [unrolled: 1-line block ×5, first 2 shown]
	s_and_saveexec_b64 s[0:1], vcc
	s_cbranch_execz .LBB226_35
; %bb.34:
	v_mad_i64_i32 v[34:35], s[2:3], s19, v52, 0
	v_lshl_add_u64 v[34:35], v[34:35], 1, s[4:5]
	v_lshlrev_b32_e32 v36, 1, v50
	v_mov_b32_e32 v37, 0
	v_lshl_add_u64 v[34:35], v[34:35], 0, v[36:37]
	global_load_dwordx4 v[34:37], v[34:35], off
.LBB226_35:
	s_or_b64 exec, exec, s[0:1]
	v_or_b32_e32 v53, 1, v52
	v_cmp_gt_i32_e64 s[0:1], s31, v53
	v_mov_b32_e32 v39, 0
	v_mov_b32_e32 v40, 0
	;; [unrolled: 1-line block ×3, first 2 shown]
	s_and_saveexec_b64 s[2:3], s[0:1]
	s_cbranch_execz .LBB226_37
; %bb.36:
	v_mad_i64_i32 v[38:39], s[20:21], s19, v53, 0
	v_lshl_add_u64 v[38:39], v[38:39], 1, s[4:5]
	v_lshlrev_b32_e32 v40, 1, v50
	v_mov_b32_e32 v41, 0
	v_lshl_add_u64 v[38:39], v[38:39], 0, v[40:41]
	global_load_dwordx4 v[38:41], v[38:39], off
.LBB226_37:
	s_or_b64 exec, exec, s[2:3]
	v_mov_b32_e32 v49, 0
	v_mov_b32_e32 v42, 0
	;; [unrolled: 1-line block ×5, first 2 shown]
	s_and_saveexec_b64 s[2:3], vcc
	s_cbranch_execz .LBB226_39
; %bb.38:
	v_mad_i64_i32 v[42:43], s[20:21], s19, v52, 0
	v_lshl_add_u64 v[42:43], v[42:43], 1, s[4:5]
	v_lshlrev_b32_e32 v44, 1, v50
	v_mov_b32_e32 v45, 0
	v_lshl_add_u64 v[42:43], v[42:43], 0, v[44:45]
	global_load_dwordx4 v[42:45], v[42:43], off offset:128
.LBB226_39:
	s_or_b64 exec, exec, s[2:3]
	v_mov_b32_e32 v48, 0
	v_mov_b32_e32 v47, 0
	;; [unrolled: 1-line block ×3, first 2 shown]
	s_and_saveexec_b64 s[2:3], s[0:1]
	s_cbranch_execz .LBB226_41
; %bb.40:
	v_mad_i64_i32 v[46:47], s[0:1], s19, v53, 0
	v_lshl_add_u64 v[46:47], v[46:47], 1, s[4:5]
	v_lshlrev_b32_e32 v48, 1, v50
	v_mov_b32_e32 v49, 0
	v_lshl_add_u64 v[46:47], v[46:47], 0, v[48:49]
	global_load_dwordx4 v[46:49], v[46:47], off offset:128
.LBB226_41:
	s_or_b64 exec, exec, s[2:3]
	s_branch .LBB226_45
.LBB226_42:
                                        ; implicit-def: $vgpr37
                                        ; implicit-def: $vgpr41
                                        ; implicit-def: $vgpr45
                                        ; implicit-def: $vgpr49
	v_lshrrev_b32_e32 v67, 2, v67
	s_branch .LBB226_46
.LBB226_43:
                                        ; implicit-def: $vgpr37
                                        ; implicit-def: $vgpr41
                                        ; implicit-def: $vgpr45
                                        ; implicit-def: $vgpr49
	s_cbranch_execz .LBB226_45
; %bb.44:
	s_waitcnt vmcnt(0)
	v_mad_u64_u32 v[34:35], s[0:1], v52, s19, v[50:51]
	v_lshlrev_b32_e32 v52, 1, v34
	s_lshl_b32 s2, s19, 7
	s_and_b32 s1, s5, 0xffff
	s_mov_b32 s3, 0x20000
	s_mov_b32 s0, s4
	v_add_lshl_u32 v53, v34, s19, 1
	s_movk_i32 s17, 0x80
	buffer_load_dwordx4 v[34:37], v52, s[0:3], 0 offen
	buffer_load_dwordx4 v[42:45], v52, s[0:3], s17 offen
	buffer_load_dwordx4 v[38:41], v53, s[0:3], 0 offen
	buffer_load_dwordx4 v[46:49], v53, s[0:3], s17 offen
.LBB226_45:
	v_lshrrev_b32_e32 v67, 2, v67
	s_cbranch_execnz .LBB226_58
.LBB226_46:
	s_and_b64 vcc, exec, s[6:7]
	s_cbranch_vccz .LBB226_56
; %bb.47:
	s_waitcnt vmcnt(0)
	v_lshlrev_b32_e32 v39, 1, v62
	v_cmp_gt_i32_e32 vcc, s31, v39
	v_mov_b32_e32 v38, 0
	v_lshlrev_b32_e32 v46, 9, v62
	v_mov_b32_e32 v34, 0
	v_mov_b32_e32 v35, 0
	v_mov_b32_e32 v36, 0
	v_mov_b32_e32 v37, 0
	s_and_saveexec_b64 s[0:1], vcc
	s_cbranch_execz .LBB226_49
; %bb.48:
	v_mov_b32_e32 v47, 0
	v_lshl_add_u64 v[34:35], s[4:5], 0, v[46:47]
	v_lshlrev_b32_e32 v36, 1, v50
	v_mov_b32_e32 v37, v47
	v_lshl_add_u64 v[34:35], v[34:35], 0, v[36:37]
	global_load_dwordx4 v[34:37], v[34:35], off
.LBB226_49:
	s_or_b64 exec, exec, s[0:1]
	v_or_b32_e32 v39, 1, v39
	v_cmp_gt_i32_e64 s[0:1], s31, v39
	v_lshlrev_b32_e32 v52, 8, v39
	v_mov_b32_e32 v39, 0
	v_mov_b32_e32 v40, 0
	;; [unrolled: 1-line block ×3, first 2 shown]
	s_and_saveexec_b64 s[2:3], s[0:1]
	s_cbranch_execz .LBB226_51
; %bb.50:
	v_mov_b32_e32 v53, 0
	v_lshl_add_u64 v[38:39], s[4:5], 0, v[52:53]
	v_lshlrev_b32_e32 v40, 1, v50
	v_mov_b32_e32 v41, v53
	v_lshl_add_u64 v[38:39], v[38:39], 0, v[40:41]
	global_load_dwordx4 v[38:41], v[38:39], off
.LBB226_51:
	s_or_b64 exec, exec, s[2:3]
	v_mov_b32_e32 v49, 0
	v_mov_b32_e32 v42, 0
	;; [unrolled: 1-line block ×5, first 2 shown]
	s_and_saveexec_b64 s[2:3], vcc
	s_cbranch_execz .LBB226_53
; %bb.52:
	v_mov_b32_e32 v47, 0
	v_lshl_add_u64 v[42:43], s[4:5], 0, v[46:47]
	v_lshlrev_b32_e32 v46, 1, v50
	v_lshl_add_u64 v[42:43], v[42:43], 0, v[46:47]
	global_load_dwordx4 v[42:45], v[42:43], off offset:128
.LBB226_53:
	s_or_b64 exec, exec, s[2:3]
	v_mov_b32_e32 v48, 0
	v_mov_b32_e32 v47, 0
	;; [unrolled: 1-line block ×3, first 2 shown]
	s_and_saveexec_b64 s[2:3], s[0:1]
	s_cbranch_execz .LBB226_55
; %bb.54:
	v_mov_b32_e32 v53, 0
	v_lshl_add_u64 v[46:47], s[4:5], 0, v[52:53]
	v_lshlrev_b32_e32 v52, 1, v50
	v_lshl_add_u64 v[46:47], v[46:47], 0, v[52:53]
	global_load_dwordx4 v[46:49], v[46:47], off offset:128
.LBB226_55:
	s_or_b64 exec, exec, s[2:3]
	s_branch .LBB226_58
.LBB226_56:
                                        ; implicit-def: $vgpr37
                                        ; implicit-def: $vgpr41
                                        ; implicit-def: $vgpr45
                                        ; implicit-def: $vgpr49
	s_cbranch_execz .LBB226_58
; %bb.57:
	s_waitcnt vmcnt(0)
	v_lshlrev_b32_e32 v34, 1, v50
	v_lshl_or_b32 v50, v62, 9, v34
	s_and_b32 s5, s5, 0xffff
	s_mov_b32 s7, 0x20000
	s_movk_i32 s6, 0x4000
	s_movk_i32 s0, 0x80
	buffer_load_dwordx4 v[34:37], v50, s[4:7], 0 offen
	buffer_load_dwordx4 v[38:41], v50, s[4:7], 0 offen offset:256
	buffer_load_dwordx4 v[42:45], v50, s[4:7], s0 offen
	buffer_load_dwordx4 v[46:49], v50, s[4:7], s0 offen offset:256
.LBB226_58:
	ds_read_b64 v[52:53], v63 offset:57344
	v_add_u32_e32 v50, 0x6000, v58
	ds_read2_b64 v[78:81], v50 offset1:16
	ds_read_b64 v[82:83], v64 offset:57344
	ds_read_b64 v[64:65], v65 offset:57344
	;; [unrolled: 1-line block ×3, first 2 shown]
	ds_read2st64_b64 v[86:89], v58 offset0:52 offset1:56
	v_and_b32_e32 v63, 1, v0
	v_cmp_eq_u32_e32 vcc, 0, v63
	s_mov_b32 s0, 0x1000504
	s_waitcnt vmcnt(0)
	v_perm_b32 v63, v42, v46, s0
	s_mov_b32 s1, 0x3020706
	s_waitcnt lgkmcnt(4)
	v_mfma_f32_16x16x16_bf16 a[0:3], v[52:53], v[78:79], a[0:3]
	v_mfma_f32_16x16x16_bf16 a[4:7], v[52:53], v[80:81], a[4:7]
	ds_read2_b64 v[78:81], v50 offset0:32 offset1:48
	v_and_b32_e32 v50, 6, v0
	v_xor_b32_e32 v62, v62, v50
	s_waitcnt lgkmcnt(0)
	v_mfma_f32_16x16x16_bf16 a[8:11], v[52:53], v[78:79], a[8:11]
	v_lshlrev_b32_e32 v62, 2, v62
	v_xor_b32_e32 v77, 0x440, v62
	v_cndmask_b32_e32 v62, v77, v62, vcc
	v_mfma_f32_16x16x16_bf16 a[12:15], v[52:53], v[80:81], a[12:15]
	ds_read2st64_b64 v[78:81], v59 offset0:52 offset1:56
	ds_read2st64_b64 v[90:93], v60 offset0:52 offset1:56
	;; [unrolled: 1-line block ×3, first 2 shown]
	v_lshl_or_b32 v50, v50, 10, v62
	v_perm_b32 v62, v34, v38, s0
	v_mfma_f32_16x16x16_bf16 a[0:3], v[82:83], v[86:87], a[0:3]
	ds_read_b64 v[52:53], v58 offset:30720
	ds_read_b64 v[86:87], v59 offset:30720
	;; [unrolled: 1-line block ×4, first 2 shown]
	ds_write2st64_b32 v50, v62, v63 offset0:128 offset1:160
	v_xor_b32_e32 v62, 8, v50
	s_waitcnt lgkmcnt(7)
	v_mfma_f32_16x16x16_bf16 a[4:7], v[82:83], v[78:79], a[4:7]
	v_perm_b32 v34, v34, v38, s1
	v_perm_b32 v38, v42, v46, s1
	v_add_u32_e32 v42, 0x80, v62
	s_waitcnt lgkmcnt(6)
	v_mfma_f32_16x16x16_bf16 a[8:11], v[82:83], v[90:91], a[8:11]
	ds_write2st64_b32 v42, v34, v38 offset0:128 offset1:160
	v_xor_b32_e32 v34, 16, v50
	v_perm_b32 v38, v35, v39, s0
	s_waitcnt lgkmcnt(6)
	v_mfma_f32_16x16x16_bf16 a[12:15], v[82:83], v[94:95], a[12:15]
	v_perm_b32 v42, v43, v47, s0
	ds_write2st64_b32 v34, v38, v42 offset0:129 offset1:161
	v_xor_b32_e32 v34, 24, v50
	v_mfma_f32_16x16x16_bf16 a[0:3], v[64:65], v[88:89], a[0:3]
	v_perm_b32 v35, v35, v39, s1
	v_perm_b32 v38, v43, v47, s1
	v_add_u32_e32 v34, 0x80, v34
	v_mfma_f32_16x16x16_bf16 a[4:7], v[64:65], v[80:81], a[4:7]
	ds_write2st64_b32 v34, v35, v38 offset0:129 offset1:161
	v_xor_b32_e32 v34, 32, v50
	v_perm_b32 v35, v36, v40, s0
	v_mfma_f32_16x16x16_bf16 a[16:19], v[64:65], v[92:93], a[8:11]
	v_perm_b32 v38, v44, v48, s0
	ds_write2st64_b32 v34, v35, v38 offset0:130 offset1:162
	v_xor_b32_e32 v34, 40, v50
	v_mfma_f32_16x16x16_bf16 a[20:23], v[64:65], v[96:97], a[12:15]
	v_perm_b32 v35, v36, v40, s1
	v_perm_b32 v36, v44, v48, s1
	v_add_u32_e32 v34, 0x80, v34
	s_waitcnt lgkmcnt(8)
	v_mfma_f32_16x16x16_bf16 a[12:15], v[98:99], v[52:53], a[0:3]
	ds_write2st64_b32 v34, v35, v36 offset0:130 offset1:162
	v_xor_b32_e32 v34, 48, v50
	v_perm_b32 v35, v37, v41, s0
	s_waitcnt lgkmcnt(8)
	v_mfma_f32_16x16x16_bf16 a[8:11], v[98:99], v[86:87], a[4:7]
	v_perm_b32 v36, v45, v49, s0
	ds_write2st64_b32 v34, v35, v36 offset0:131 offset1:163
	v_xor_b32_e32 v34, 56, v50
	s_waitcnt lgkmcnt(8)
	v_mfma_f32_16x16x16_bf16 a[4:7], v[98:99], v[100:101], a[16:19]
	v_and_or_b32 v53, v67, 12, v84
	v_perm_b32 v35, v37, v41, s1
	v_perm_b32 v36, v45, v49, s1
	s_waitcnt lgkmcnt(7)
	v_mfma_f32_16x16x16_bf16 a[0:3], v[98:99], v[102:103], a[20:23]
	v_add_u32_e32 v34, 0x80, v34
	v_cmp_gt_i32_e32 vcc, s31, v53
	v_mov_b32_e32 v48, 0
	v_mov_b32_e32 v50, 0
	ds_write2st64_b32 v34, v35, v36 offset0:131 offset1:163
	s_and_saveexec_b64 s[0:1], vcc
	s_cbranch_execz .LBB226_60
; %bb.59:
	v_add_u32_e32 v34, s30, v53
	v_ashrrev_i32_e32 v35, 31, v34
	v_mul_lo_u32 v36, v35, s34
	v_mul_lo_u32 v37, v34, s35
	v_mad_u64_u32 v[34:35], s[2:3], v34, s34, 0
	v_add3_u32 v35, v35, v37, v36
	v_lshl_add_u64 v[34:35], v[34:35], 2, s[10:11]
	global_load_dword v34, v[34:35], off
	s_waitcnt vmcnt(0)
	v_sub_f32_e32 v34, s16, v34
	v_mul_f32_e32 v34, 0x3fb8aa3b, v34
	v_exp_f32_e32 v50, v34
.LBB226_60:
	s_or_b64 exec, exec, s[0:1]
	v_or_b32_e32 v40, 1, v53
	v_cmp_gt_i32_e64 s[0:1], s31, v40
	s_and_saveexec_b64 s[2:3], s[0:1]
	s_cbranch_execz .LBB226_62
; %bb.61:
	v_add_u32_e32 v34, s30, v40
	v_ashrrev_i32_e32 v35, 31, v34
	v_mul_lo_u32 v36, v35, s34
	v_mul_lo_u32 v37, v34, s35
	v_mad_u64_u32 v[34:35], s[4:5], v34, s34, 0
	v_add3_u32 v35, v35, v37, v36
	v_lshl_add_u64 v[34:35], v[34:35], 2, s[10:11]
	global_load_dword v34, v[34:35], off
	s_waitcnt vmcnt(0)
	v_sub_f32_e32 v34, s16, v34
	v_mul_f32_e32 v34, 0x3fb8aa3b, v34
	v_exp_f32_e32 v48, v34
.LBB226_62:
	s_or_b64 exec, exec, s[2:3]
	v_or_b32_e32 v41, 2, v53
	v_cmp_gt_i32_e64 s[2:3], s31, v41
	v_mov_b32_e32 v49, 0
	v_mov_b32_e32 v52, 0
	s_and_saveexec_b64 s[4:5], s[2:3]
	s_cbranch_execz .LBB226_64
; %bb.63:
	v_add_u32_e32 v34, s30, v41
	v_ashrrev_i32_e32 v35, 31, v34
	v_mul_lo_u32 v36, v35, s34
	v_mul_lo_u32 v37, v34, s35
	v_mad_u64_u32 v[34:35], s[6:7], v34, s34, 0
	v_add3_u32 v35, v35, v37, v36
	v_lshl_add_u64 v[34:35], v[34:35], 2, s[10:11]
	global_load_dword v34, v[34:35], off
	s_waitcnt vmcnt(0)
	v_sub_f32_e32 v34, s16, v34
	v_mul_f32_e32 v34, 0x3fb8aa3b, v34
	v_exp_f32_e32 v52, v34
.LBB226_64:
	s_or_b64 exec, exec, s[4:5]
	v_or_b32_e32 v62, 3, v53
	v_cmp_gt_i32_e64 s[4:5], s31, v62
	s_and_saveexec_b64 s[6:7], s[4:5]
	s_cbranch_execz .LBB226_66
; %bb.65:
	v_add_u32_e32 v34, s30, v62
	v_ashrrev_i32_e32 v35, 31, v34
	v_mul_lo_u32 v36, v35, s34
	v_mul_lo_u32 v37, v34, s35
	v_mad_u64_u32 v[34:35], s[18:19], v34, s34, 0
	v_add3_u32 v35, v35, v37, v36
	v_lshl_add_u64 v[34:35], v[34:35], 2, s[10:11]
	global_load_dword v34, v[34:35], off
	s_waitcnt vmcnt(0)
	v_sub_f32_e32 v34, s16, v34
	v_mul_f32_e32 v34, 0x3fb8aa3b, v34
	v_exp_f32_e32 v49, v34
.LBB226_66:
	s_or_b64 exec, exec, s[6:7]
	s_add_u32 s6, s8, s24
	v_accvgpr_read_b32 v37, a15
	s_addc_u32 s7, s9, s25
	v_ashrrev_i32_e32 v77, 31, v76
	v_accvgpr_read_b32 v36, a14
	v_accvgpr_read_b32 v35, a13
	;; [unrolled: 1-line block ×3, first 2 shown]
	v_lshl_add_u64 v[38:39], v[76:77], 1, s[6:7]
	v_mov_b32_e32 v45, 0
	v_lshlrev_b32_e32 v42, 8, v53
	v_mov_b32_e32 v43, 0
	s_and_saveexec_b64 s[6:7], vcc
	s_cbranch_execz .LBB226_68
; %bb.67:
	v_mov_b32_e32 v43, 0
	v_lshl_add_u64 v[46:47], v[38:39], 0, v[42:43]
	global_load_ushort v43, v[46:47], off
	s_waitcnt vmcnt(0)
	v_lshlrev_b32_e32 v43, 16, v43
	v_sub_f32_e32 v34, v43, v34
	v_mul_f32_e32 v34, v50, v34
	v_lshrrev_b32_e32 v43, 16, v34
.LBB226_68:
	s_or_b64 exec, exec, s[6:7]
	v_lshlrev_b32_e32 v44, 8, v40
	s_and_saveexec_b64 s[6:7], s[0:1]
	s_cbranch_execz .LBB226_70
; %bb.69:
	v_mov_b32_e32 v45, 0
	v_lshl_add_u64 v[46:47], v[38:39], 0, v[44:45]
	global_load_ushort v34, v[46:47], off
	s_waitcnt vmcnt(0)
	v_lshlrev_b32_e32 v34, 16, v34
	v_sub_f32_e32 v34, v34, v35
	v_mul_f32_e32 v34, v48, v34
	v_lshrrev_b32_e32 v45, 16, v34
.LBB226_70:
	s_or_b64 exec, exec, s[6:7]
	v_mov_b32_e32 v63, 0
	v_lshlrev_b32_e32 v46, 8, v41
	v_mov_b32_e32 v47, 0
	s_and_saveexec_b64 s[6:7], s[2:3]
	s_cbranch_execz .LBB226_72
; %bb.71:
	v_mov_b32_e32 v47, 0
	v_lshl_add_u64 v[34:35], v[38:39], 0, v[46:47]
	global_load_ushort v34, v[34:35], off
	s_waitcnt vmcnt(0)
	v_lshlrev_b32_e32 v34, 16, v34
	v_sub_f32_e32 v34, v34, v36
	v_mul_f32_e32 v34, v52, v34
	v_lshrrev_b32_e32 v47, 16, v34
.LBB226_72:
	s_or_b64 exec, exec, s[6:7]
	v_lshlrev_b32_e32 v40, 8, v62
	s_and_saveexec_b64 s[6:7], s[4:5]
	s_cbranch_execz .LBB226_74
; %bb.73:
	v_mov_b32_e32 v41, 0
	v_lshl_add_u64 v[34:35], v[38:39], 0, v[40:41]
	global_load_ushort v34, v[34:35], off
	s_waitcnt vmcnt(0)
	v_lshlrev_b32_e32 v34, 16, v34
	v_sub_f32_e32 v34, v34, v37
	v_mul_f32_e32 v34, v49, v34
	v_lshrrev_b32_e32 v63, 16, v34
.LBB226_74:
	s_or_b64 exec, exec, s[6:7]
	v_lshlrev_b32_e32 v53, 6, v53
	v_accvgpr_read_b32 v37, a11
	s_mov_b32 s6, 0x5040100
	v_or_b32_e32 v41, v53, v56
	v_accvgpr_read_b32 v36, a10
	v_accvgpr_read_b32 v35, a9
	;; [unrolled: 1-line block ×3, first 2 shown]
	v_perm_b32 v63, v63, v47, s6
	v_perm_b32 v62, v45, v43, s6
	v_lshlrev_b32_e32 v41, 1, v41
	v_mov_b32_e32 v45, 0
	v_mov_b32_e32 v43, 0
	ds_write_b64 v41, v[62:63] offset:24576
	s_and_saveexec_b64 s[6:7], vcc
	s_cbranch_execz .LBB226_76
; %bb.75:
	v_mov_b32_e32 v43, 0
	v_lshl_add_u64 v[62:63], v[38:39], 0, v[42:43]
	global_load_ushort v41, v[62:63], off offset:32
	s_waitcnt vmcnt(0)
	v_lshlrev_b32_e32 v41, 16, v41
	v_sub_f32_e32 v34, v41, v34
	v_mul_f32_e32 v34, v50, v34
	v_lshrrev_b32_e32 v43, 16, v34
.LBB226_76:
	s_or_b64 exec, exec, s[6:7]
	s_and_saveexec_b64 s[6:7], s[0:1]
	s_cbranch_execz .LBB226_78
; %bb.77:
	v_mov_b32_e32 v45, 0
	v_lshl_add_u64 v[62:63], v[38:39], 0, v[44:45]
	global_load_ushort v34, v[62:63], off offset:32
	s_waitcnt vmcnt(0)
	v_lshlrev_b32_e32 v34, 16, v34
	v_sub_f32_e32 v34, v34, v35
	v_mul_f32_e32 v34, v48, v34
	v_lshrrev_b32_e32 v45, 16, v34
.LBB226_78:
	s_or_b64 exec, exec, s[6:7]
	v_mov_b32_e32 v41, 0
	v_mov_b32_e32 v47, 0
	s_and_saveexec_b64 s[6:7], s[2:3]
	s_cbranch_execz .LBB226_80
; %bb.79:
	v_mov_b32_e32 v47, 0
	v_lshl_add_u64 v[34:35], v[38:39], 0, v[46:47]
	global_load_ushort v34, v[34:35], off offset:32
	s_waitcnt vmcnt(0)
	v_lshlrev_b32_e32 v34, 16, v34
	v_sub_f32_e32 v34, v34, v36
	v_mul_f32_e32 v34, v52, v34
	v_lshrrev_b32_e32 v47, 16, v34
.LBB226_80:
	s_or_b64 exec, exec, s[6:7]
	s_and_saveexec_b64 s[6:7], s[4:5]
	s_cbranch_execz .LBB226_82
; %bb.81:
	v_mov_b32_e32 v41, 0
	v_lshl_add_u64 v[34:35], v[38:39], 0, v[40:41]
	global_load_ushort v34, v[34:35], off offset:32
	s_waitcnt vmcnt(0)
	v_lshlrev_b32_e32 v34, 16, v34
	v_sub_f32_e32 v34, v34, v37
	v_mul_f32_e32 v34, v49, v34
	v_lshrrev_b32_e32 v41, 16, v34
.LBB226_82:
	s_or_b64 exec, exec, s[6:7]
	s_mov_b32 s6, 0x5040100
	v_accvgpr_read_b32 v37, a7
	v_perm_b32 v63, v41, v47, s6
	v_or_b32_e32 v41, v53, v55
	v_accvgpr_read_b32 v36, a6
	v_accvgpr_read_b32 v35, a5
	;; [unrolled: 1-line block ×3, first 2 shown]
	v_perm_b32 v62, v45, v43, s6
	v_lshlrev_b32_e32 v41, 1, v41
	v_mov_b32_e32 v45, 0
	v_mov_b32_e32 v43, 0
	ds_write_b64 v41, v[62:63] offset:24576
	s_and_saveexec_b64 s[6:7], vcc
	s_cbranch_execz .LBB226_84
; %bb.83:
	v_mov_b32_e32 v43, 0
	v_lshl_add_u64 v[62:63], v[38:39], 0, v[42:43]
	global_load_ushort v41, v[62:63], off offset:64
	s_waitcnt vmcnt(0)
	v_lshlrev_b32_e32 v41, 16, v41
	v_sub_f32_e32 v34, v41, v34
	v_mul_f32_e32 v34, v50, v34
	v_lshrrev_b32_e32 v43, 16, v34
.LBB226_84:
	s_or_b64 exec, exec, s[6:7]
	s_and_saveexec_b64 s[6:7], s[0:1]
	s_cbranch_execz .LBB226_86
; %bb.85:
	v_mov_b32_e32 v45, 0
	v_lshl_add_u64 v[62:63], v[38:39], 0, v[44:45]
	global_load_ushort v34, v[62:63], off offset:64
	s_waitcnt vmcnt(0)
	v_lshlrev_b32_e32 v34, 16, v34
	v_sub_f32_e32 v34, v34, v35
	v_mul_f32_e32 v34, v48, v34
	v_lshrrev_b32_e32 v45, 16, v34
.LBB226_86:
	s_or_b64 exec, exec, s[6:7]
	v_mov_b32_e32 v41, 0
	v_mov_b32_e32 v47, 0
	s_and_saveexec_b64 s[6:7], s[2:3]
	s_cbranch_execz .LBB226_88
; %bb.87:
	v_mov_b32_e32 v47, 0
	v_lshl_add_u64 v[34:35], v[38:39], 0, v[46:47]
	global_load_ushort v34, v[34:35], off offset:64
	s_waitcnt vmcnt(0)
	v_lshlrev_b32_e32 v34, 16, v34
	v_sub_f32_e32 v34, v34, v36
	v_mul_f32_e32 v34, v52, v34
	v_lshrrev_b32_e32 v47, 16, v34
.LBB226_88:
	s_or_b64 exec, exec, s[6:7]
	s_and_saveexec_b64 s[6:7], s[4:5]
	s_cbranch_execz .LBB226_90
; %bb.89:
	v_mov_b32_e32 v41, 0
	v_lshl_add_u64 v[34:35], v[38:39], 0, v[40:41]
	global_load_ushort v34, v[34:35], off offset:64
	s_waitcnt vmcnt(0)
	v_lshlrev_b32_e32 v34, 16, v34
	v_sub_f32_e32 v34, v34, v37
	v_mul_f32_e32 v34, v49, v34
	v_lshrrev_b32_e32 v41, 16, v34
.LBB226_90:
	s_or_b64 exec, exec, s[6:7]
	s_mov_b32 s6, 0x5040100
	v_accvgpr_read_b32 v37, a3
	v_perm_b32 v63, v41, v47, s6
	v_or_b32_e32 v41, v53, v54
	v_accvgpr_read_b32 v36, a2
	v_accvgpr_read_b32 v35, a1
	;; [unrolled: 1-line block ×3, first 2 shown]
	v_perm_b32 v62, v45, v43, s6
	v_lshlrev_b32_e32 v41, 1, v41
	v_mov_b32_e32 v45, 0
	v_mov_b32_e32 v43, 0
	ds_write_b64 v41, v[62:63] offset:24576
	s_and_saveexec_b64 s[6:7], vcc
	s_cbranch_execz .LBB226_92
; %bb.91:
	v_mov_b32_e32 v43, 0
	v_lshl_add_u64 v[42:43], v[38:39], 0, v[42:43]
	global_load_ushort v41, v[42:43], off offset:96
	s_waitcnt vmcnt(0)
	v_lshlrev_b32_e32 v41, 16, v41
	v_sub_f32_e32 v34, v41, v34
	v_mul_f32_e32 v34, v50, v34
	v_lshrrev_b32_e32 v43, 16, v34
.LBB226_92:
	s_or_b64 exec, exec, s[6:7]
	s_and_saveexec_b64 s[6:7], s[0:1]
	s_cbranch_execz .LBB226_94
; %bb.93:
	v_mov_b32_e32 v45, 0
	v_lshl_add_u64 v[44:45], v[38:39], 0, v[44:45]
	global_load_ushort v34, v[44:45], off offset:96
	s_waitcnt vmcnt(0)
	v_lshlrev_b32_e32 v34, 16, v34
	v_sub_f32_e32 v34, v34, v35
	v_mul_f32_e32 v34, v48, v34
	v_lshrrev_b32_e32 v45, 16, v34
.LBB226_94:
	s_or_b64 exec, exec, s[6:7]
	v_mov_b32_e32 v41, 0
	v_mov_b32_e32 v44, 0
	s_and_saveexec_b64 s[0:1], s[2:3]
	s_cbranch_execz .LBB226_96
; %bb.95:
	v_mov_b32_e32 v47, 0
	v_lshl_add_u64 v[34:35], v[38:39], 0, v[46:47]
	global_load_ushort v34, v[34:35], off offset:96
	s_waitcnt vmcnt(0)
	v_lshlrev_b32_e32 v34, 16, v34
	v_sub_f32_e32 v34, v34, v36
	v_mul_f32_e32 v34, v52, v34
	v_lshrrev_b32_e32 v44, 16, v34
.LBB226_96:
	s_or_b64 exec, exec, s[0:1]
	v_or_b32_e32 v42, 0x6000, v58
	v_or_b32_e32 v36, 0x6000, v59
	;; [unrolled: 1-line block ×4, first 2 shown]
	s_and_saveexec_b64 s[0:1], s[4:5]
	s_cbranch_execz .LBB226_98
; %bb.97:
	v_mov_b32_e32 v41, 0
	v_lshl_add_u64 v[38:39], v[38:39], 0, v[40:41]
	global_load_ushort v38, v[38:39], off offset:96
	s_waitcnt vmcnt(0)
	v_lshlrev_b32_e32 v38, 16, v38
	v_sub_f32_e32 v37, v38, v37
	v_mul_f32_e32 v37, v49, v37
	v_lshrrev_b32_e32 v41, 16, v37
.LBB226_98:
	s_or_b64 exec, exec, s[0:1]
	s_mov_b32 s0, 0x5040100
	v_or_b32_e32 v37, v53, v51
	v_perm_b32 v39, v41, v44, s0
	v_perm_b32 v38, v45, v43, s0
	v_lshlrev_b32_e32 v37, 1, v37
	s_movk_i32 s0, 0x100
	ds_write_b64 v37, v[38:39] offset:24576
	v_and_b32_e32 v37, 7, v0
	v_and_b32_e32 v38, 8, v0
	v_cmp_gt_u32_e32 vcc, s0, v0
	v_lshrrev_b32_e32 v0, 1, v0
	v_lshlrev_b32_e32 v67, 3, v1
	v_and_b32_e32 v78, 24, v0
	v_mov_b32_e32 v39, 0xa000
	v_mov_b32_e32 v40, 0x8000
	v_xor_b32_e32 v0, v67, v78
	v_or_b32_e32 v48, 32, v78
	v_cndmask_b32_e32 v56, v39, v40, vcc
	v_or_b32_e32 v1, 0x440, v0
	v_cmp_eq_u32_e32 vcc, 0, v38
	v_xor_b32_e32 v48, v67, v48
	v_or_b32_e32 v49, 0x440, v48
	v_cndmask_b32_e32 v0, v1, v0, vcc
	v_lshlrev_b32_e32 v43, 3, v37
	v_lshlrev_b32_e32 v37, 7, v37
	v_or_b32_e32 v0, v0, v57
	v_cndmask_b32_e32 v48, v49, v48, vcc
	v_xad_u32 v79, v0, v43, v37
	v_or_b32_e32 v48, v48, v57
	v_add_u32_e32 v0, v56, v79
	v_xad_u32 v80, v48, v43, v37
	s_waitcnt lgkmcnt(0)
	s_barrier
	ds_read_b64 v[0:1], v0
	ds_read2_b64 v[38:41], v42 offset1:16
	ds_read2_b64 v[44:47], v42 offset0:32 offset1:48
	v_add_u32_e32 v48, v56, v80
	ds_read_b64 v[76:77], v48
	s_waitcnt lgkmcnt(2)
	v_mfma_f32_16x16x16_bf16 a[0:3], v[0:1], v[38:39], 0
	ds_read2st64_b64 v[48:51], v42 offset0:4 offset1:8
	ds_read2st64_b64 v[52:55], v36 offset0:4 offset1:8
	;; [unrolled: 1-line block ×3, first 2 shown]
	v_mfma_f32_16x16x16_bf16 a[4:7], v[0:1], v[40:41], 0
	ds_read2st64_b64 v[62:65], v34 offset0:4 offset1:8
	s_waitcnt lgkmcnt(5)
	v_mfma_f32_16x16x16_bf16 a[8:11], v[0:1], v[44:45], 0
	v_mfma_f32_16x16x16_bf16 a[12:15], v[0:1], v[46:47], 0
	v_or_b32_e32 v0, 64, v78
	v_xor_b32_e32 v0, v67, v0
	v_xor_b32_e32 v1, 0x440, v0
	v_cndmask_b32_e32 v0, v1, v0, vcc
	v_or_b32_e32 v0, v0, v57
	s_waitcnt lgkmcnt(3)
	v_mfma_f32_16x16x16_bf16 a[0:3], v[76:77], v[48:49], a[0:3]
	s_waitcnt lgkmcnt(2)
	v_mfma_f32_16x16x16_bf16 a[4:7], v[76:77], v[52:53], a[4:7]
	;; [unrolled: 2-line block ×4, first 2 shown]
	v_xad_u32 v76, v0, v43, v37
	v_add_u32_e32 v0, v56, v76
	ds_read_b64 v[0:1], v0
	v_or_b32_e32 v77, 0x60, v78
	v_xor_b32_e32 v67, v67, v77
	v_xor_b32_e32 v77, 0x440, v67
	v_cndmask_b32_e32 v67, v77, v67, vcc
	v_or_b32_e32 v57, v67, v57
	v_xad_u32 v67, v57, v43, v37
	v_add_u32_e32 v37, v56, v67
	s_waitcnt lgkmcnt(0)
	v_mfma_f32_16x16x16_bf16 a[0:3], v[0:1], v[50:51], a[0:3]
	ds_read_b64 v[56:57], v37
	ds_read_b64 v[42:43], v42 offset:6144
	v_mfma_f32_16x16x16_bf16 a[4:7], v[0:1], v[54:55], a[4:7]
	v_mfma_f32_16x16x16_bf16 a[8:11], v[0:1], v[60:61], a[8:11]
	;; [unrolled: 1-line block ×3, first 2 shown]
	ds_read_b64 v[0:1], v36 offset:6144
	ds_read_b64 v[36:37], v35 offset:6144
	;; [unrolled: 1-line block ×3, first 2 shown]
	s_waitcnt lgkmcnt(3)
	v_mfma_f32_16x16x16_bf16 a[0:3], v[56:57], v[42:43], a[0:3]
	s_waitcnt lgkmcnt(2)
	v_mfma_f32_16x16x16_bf16 a[4:7], v[56:57], v[0:1], a[4:7]
	;; [unrolled: 2-line block ×4, first 2 shown]
	ds_read_b64 v[56:57], v79 offset:40960
	s_waitcnt lgkmcnt(0)
	v_mfma_f32_16x16x16_bf16 a[20:23], v[56:57], v[40:41], 0
	v_mov_b32_e32 v40, 0x3fb8aa3b
	v_mul_f32_e32 v40, s16, v40
	v_mfma_f32_16x16x16_bf16 a[24:27], v[56:57], v[44:45], 0
	v_exp_f32_e32 v44, v40
	v_accvgpr_read_b32 v40, a0
	v_accvgpr_read_b32 v45, a3
	v_mfma_f32_16x16x16_bf16 a[16:19], v[56:57], v[38:39], 0
	ds_read_b64 v[38:39], v80 offset:40960
	v_fma_f32 v6, v6, v44, v40
	v_accvgpr_read_b32 v40, a1
	v_fma_f32 v7, v7, v44, v40
	v_accvgpr_read_b32 v40, a2
	v_mfma_f32_16x16x16_bf16 a[28:31], v[56:57], v[46:47], 0
	v_fma_f32 v8, v8, v44, v40
	ds_read_b64 v[40:41], v76 offset:40960
	v_fmac_f32_e32 v45, v9, v44
	s_waitcnt lgkmcnt(1)
	v_mfma_f32_16x16x16_bf16 a[16:19], v[38:39], v[48:49], a[16:19]
	v_accvgpr_read_b32 v9, a4
	v_fma_f32 v14, v14, v44, v9
	v_accvgpr_read_b32 v9, a5
	v_mfma_f32_16x16x16_bf16 a[20:23], v[38:39], v[52:53], a[20:23]
	v_fma_f32 v15, v15, v44, v9
	v_accvgpr_read_b32 v9, a6
	v_fma_f32 v16, v16, v44, v9
	v_mfma_f32_16x16x16_bf16 a[24:27], v[38:39], v[58:59], a[24:27]
	v_accvgpr_read_b32 v9, a8
	v_fma_f32 v22, v22, v44, v9
	v_accvgpr_read_b32 v9, a9
	v_mfma_f32_16x16x16_bf16 a[0:3], v[38:39], v[62:63], a[28:31]
	ds_read_b64 v[38:39], v67 offset:40960
	v_accvgpr_read_b32 v46, a7
	v_fma_f32 v23, v23, v44, v9
	s_waitcnt lgkmcnt(1)
	v_mfma_f32_16x16x16_bf16 a[16:19], v[40:41], v[50:51], a[16:19]
	v_accvgpr_read_b32 v9, a10
	v_fma_f32 v24, v24, v44, v9
	v_accvgpr_read_b32 v9, a12
	v_mfma_f32_16x16x16_bf16 a[4:7], v[40:41], v[54:55], a[20:23]
	v_fma_f32 v30, v30, v44, v9
	v_fmac_f32_e32 v46, v17, v44
	v_mov_b32_e32 v17, v46
	v_mfma_f32_16x16x16_bf16 a[20:23], v[40:41], v[60:61], a[24:27]
	v_mfma_f32_16x16x16_bf16 a[0:3], v[40:41], v[64:65], a[0:3]
	v_accvgpr_read_b32 v40, a11
	v_fmac_f32_e32 v40, v25, v44
	s_waitcnt lgkmcnt(0)
	v_mfma_f32_16x16x16_bf16 a[8:11], v[38:39], v[42:43], a[16:19]
	v_mfma_f32_16x16x16_bf16 a[4:7], v[38:39], v[0:1], a[4:7]
	v_accvgpr_read_b32 v0, a13
	v_fma_f32 v31, v31, v44, v0
	v_accvgpr_read_b32 v0, a14
	s_nop 2
	v_accvgpr_read_b32 v1, a8
	v_fma_f32 v2, v2, v44, v1
	v_accvgpr_read_b32 v1, a9
	v_fma_f32 v3, v3, v44, v1
	v_accvgpr_read_b32 v1, a10
	v_mfma_f32_16x16x16_bf16 a[16:19], v[38:39], v[36:37], a[20:23]
	v_fma_f32 v4, v4, v44, v1
	v_accvgpr_read_b32 v1, a11
	v_fmac_f32_e32 v1, v5, v44
	v_mfma_f32_16x16x16_bf16 a[0:3], v[38:39], v[34:35], a[0:3]
	v_accvgpr_read_b32 v5, a4
	v_fma_f32 v10, v10, v44, v5
	v_accvgpr_read_b32 v5, a5
	v_fma_f32 v11, v11, v44, v5
	;; [unrolled: 2-line block ×3, first 2 shown]
	v_accvgpr_read_b32 v5, a16
	v_accvgpr_read_b32 v9, a0
	v_fma_f32 v18, v18, v44, v5
	v_accvgpr_read_b32 v5, a17
	v_fma_f32 v26, v26, v44, v9
	;; [unrolled: 2-line block ×5, first 2 shown]
	v_accvgpr_read_b32 v0, a15
	v_accvgpr_read_b32 v25, a7
	v_fma_f32 v20, v20, v44, v5
	v_accvgpr_read_b32 v5, a19
	v_fma_f32 v28, v28, v44, v9
	v_accvgpr_read_b32 v9, a3
	v_fmac_f32_e32 v0, v33, v44
	v_fmac_f32_e32 v25, v13, v44
	;; [unrolled: 1-line block ×4, first 2 shown]
	v_mov_b32_e32 v29, v9
	v_mov_b32_e32 v33, v0
	;; [unrolled: 1-line block ×7, first 2 shown]
.LBB226_99:
	s_add_u32 s0, s12, s14
	s_addc_u32 s1, s13, s15
	v_lshl_add_u64 v[0:1], v[68:69], 2, s[0:1]
	v_mov_b32_e32 v67, 0
	v_lshl_add_u64 v[0:1], v[0:1], 0, v[66:67]
	s_waitcnt vmcnt(7)
	global_store_dwordx4 v[0:1], v[6:9], off
	s_waitcnt vmcnt(7)
	global_store_dwordx4 v[0:1], v[2:5], off offset:256
	v_lshl_add_u64 v[0:1], v[70:71], 2, s[0:1]
	v_lshl_add_u64 v[0:1], v[0:1], 0, v[66:67]
	s_waitcnt vmcnt(7)
	global_store_dwordx4 v[0:1], v[14:17], off
	s_waitcnt vmcnt(7)
	global_store_dwordx4 v[0:1], v[10:13], off offset:256
	v_lshl_add_u64 v[0:1], v[72:73], 2, s[0:1]
	;; [unrolled: 6-line block ×3, first 2 shown]
	v_lshl_add_u64 v[0:1], v[0:1], 0, v[66:67]
	s_waitcnt vmcnt(7)
	global_store_dwordx4 v[0:1], v[30:33], off
	s_waitcnt vmcnt(7)
	global_store_dwordx4 v[0:1], v[26:29], off offset:256
	s_endpgm
	.section	.rodata,"a",@progbits
	.p2align	6, 0x0
	.amdhsa_kernel _ZN12_GLOBAL__N_139chunk_gated_delta_rule_fwd_h_hip_kernelILi64ELb1ELb1ELb0ELb1ELb0ELb0ELb1ELb0EEEvPK12hip_bfloat16S3_S3_PKfS5_PKvPS1_S8_PvPKiSB_iiiiilll
		.amdhsa_group_segment_fixed_size 65536
		.amdhsa_private_segment_fixed_size 0
		.amdhsa_kernarg_size 136
		.amdhsa_user_sgpr_count 2
		.amdhsa_user_sgpr_dispatch_ptr 0
		.amdhsa_user_sgpr_queue_ptr 0
		.amdhsa_user_sgpr_kernarg_segment_ptr 1
		.amdhsa_user_sgpr_dispatch_id 0
		.amdhsa_user_sgpr_kernarg_preload_length 0
		.amdhsa_user_sgpr_kernarg_preload_offset 0
		.amdhsa_user_sgpr_private_segment_size 0
		.amdhsa_uses_dynamic_stack 0
		.amdhsa_enable_private_segment 0
		.amdhsa_system_sgpr_workgroup_id_x 1
		.amdhsa_system_sgpr_workgroup_id_y 1
		.amdhsa_system_sgpr_workgroup_id_z 0
		.amdhsa_system_sgpr_workgroup_info 0
		.amdhsa_system_vgpr_workitem_id 0
		.amdhsa_next_free_vgpr 224
		.amdhsa_next_free_sgpr 65
		.amdhsa_accum_offset 188
		.amdhsa_reserve_vcc 1
		.amdhsa_float_round_mode_32 0
		.amdhsa_float_round_mode_16_64 0
		.amdhsa_float_denorm_mode_32 3
		.amdhsa_float_denorm_mode_16_64 3
		.amdhsa_dx10_clamp 1
		.amdhsa_ieee_mode 1
		.amdhsa_fp16_overflow 0
		.amdhsa_tg_split 0
		.amdhsa_exception_fp_ieee_invalid_op 0
		.amdhsa_exception_fp_denorm_src 0
		.amdhsa_exception_fp_ieee_div_zero 0
		.amdhsa_exception_fp_ieee_overflow 0
		.amdhsa_exception_fp_ieee_underflow 0
		.amdhsa_exception_fp_ieee_inexact 0
		.amdhsa_exception_int_div_zero 0
	.end_amdhsa_kernel
	.section	.text._ZN12_GLOBAL__N_139chunk_gated_delta_rule_fwd_h_hip_kernelILi64ELb1ELb1ELb0ELb1ELb0ELb0ELb1ELb0EEEvPK12hip_bfloat16S3_S3_PKfS5_PKvPS1_S8_PvPKiSB_iiiiilll,"axG",@progbits,_ZN12_GLOBAL__N_139chunk_gated_delta_rule_fwd_h_hip_kernelILi64ELb1ELb1ELb0ELb1ELb0ELb0ELb1ELb0EEEvPK12hip_bfloat16S3_S3_PKfS5_PKvPS1_S8_PvPKiSB_iiiiilll,comdat
.Lfunc_end226:
	.size	_ZN12_GLOBAL__N_139chunk_gated_delta_rule_fwd_h_hip_kernelILi64ELb1ELb1ELb0ELb1ELb0ELb0ELb1ELb0EEEvPK12hip_bfloat16S3_S3_PKfS5_PKvPS1_S8_PvPKiSB_iiiiilll, .Lfunc_end226-_ZN12_GLOBAL__N_139chunk_gated_delta_rule_fwd_h_hip_kernelILi64ELb1ELb1ELb0ELb1ELb0ELb0ELb1ELb0EEEvPK12hip_bfloat16S3_S3_PKfS5_PKvPS1_S8_PvPKiSB_iiiiilll
                                        ; -- End function
	.section	.AMDGPU.csdata,"",@progbits
; Kernel info:
; codeLenInByte = 12092
; NumSgprs: 71
; NumVgprs: 188
; NumAgprs: 36
; TotalNumVgprs: 224
; ScratchSize: 0
; MemoryBound: 0
; FloatMode: 240
; IeeeMode: 1
; LDSByteSize: 65536 bytes/workgroup (compile time only)
; SGPRBlocks: 8
; VGPRBlocks: 27
; NumSGPRsForWavesPerEU: 71
; NumVGPRsForWavesPerEU: 224
; AccumOffset: 188
; Occupancy: 1
; WaveLimiterHint : 1
; COMPUTE_PGM_RSRC2:SCRATCH_EN: 0
; COMPUTE_PGM_RSRC2:USER_SGPR: 2
; COMPUTE_PGM_RSRC2:TRAP_HANDLER: 0
; COMPUTE_PGM_RSRC2:TGID_X_EN: 1
; COMPUTE_PGM_RSRC2:TGID_Y_EN: 1
; COMPUTE_PGM_RSRC2:TGID_Z_EN: 0
; COMPUTE_PGM_RSRC2:TIDIG_COMP_CNT: 0
; COMPUTE_PGM_RSRC3_GFX90A:ACCUM_OFFSET: 46
; COMPUTE_PGM_RSRC3_GFX90A:TG_SPLIT: 0
	.section	.text._ZN12_GLOBAL__N_139chunk_gated_delta_rule_fwd_h_hip_kernelILi64ELb1ELb0ELb1ELb1ELb0ELb0ELb1ELb0EEEvPK12hip_bfloat16S3_S3_PKfS5_PKvPS1_S8_PvPKiSB_iiiiilll,"axG",@progbits,_ZN12_GLOBAL__N_139chunk_gated_delta_rule_fwd_h_hip_kernelILi64ELb1ELb0ELb1ELb1ELb0ELb0ELb1ELb0EEEvPK12hip_bfloat16S3_S3_PKfS5_PKvPS1_S8_PvPKiSB_iiiiilll,comdat
	.globl	_ZN12_GLOBAL__N_139chunk_gated_delta_rule_fwd_h_hip_kernelILi64ELb1ELb0ELb1ELb1ELb0ELb0ELb1ELb0EEEvPK12hip_bfloat16S3_S3_PKfS5_PKvPS1_S8_PvPKiSB_iiiiilll ; -- Begin function _ZN12_GLOBAL__N_139chunk_gated_delta_rule_fwd_h_hip_kernelILi64ELb1ELb0ELb1ELb1ELb0ELb0ELb1ELb0EEEvPK12hip_bfloat16S3_S3_PKfS5_PKvPS1_S8_PvPKiSB_iiiiilll
	.p2align	8
	.type	_ZN12_GLOBAL__N_139chunk_gated_delta_rule_fwd_h_hip_kernelILi64ELb1ELb0ELb1ELb1ELb0ELb0ELb1ELb0EEEvPK12hip_bfloat16S3_S3_PKfS5_PKvPS1_S8_PvPKiSB_iiiiilll,@function
_ZN12_GLOBAL__N_139chunk_gated_delta_rule_fwd_h_hip_kernelILi64ELb1ELb0ELb1ELb1ELb0ELb0ELb1ELb0EEEvPK12hip_bfloat16S3_S3_PKfS5_PKvPS1_S8_PvPKiSB_iiiiilll: ; @_ZN12_GLOBAL__N_139chunk_gated_delta_rule_fwd_h_hip_kernelILi64ELb1ELb0ELb1ELb1ELb0ELb0ELb1ELb0EEEvPK12hip_bfloat16S3_S3_PKfS5_PKvPS1_S8_PvPKiSB_iiiiilll
; %bb.0:
	s_load_dwordx4 s[12:15], s[0:1], 0x5c
	s_load_dwordx4 s[4:7], s[0:1], 0x48
	s_abs_i32 s9, s3
	s_ashr_i32 s8, s3, 31
	v_and_b32_e32 v79, 15, v0
	s_waitcnt lgkmcnt(0)
	s_abs_i32 s10, s13
	v_cvt_f32_u32_e32 v1, s10
	s_sub_i32 s16, 0, s10
	s_ashr_i32 s11, s13, 31
	s_xor_b32 s8, s8, s11
	v_rcp_iflag_f32_e32 v1, v1
	v_lshrrev_b32_e32 v77, 6, v0
	v_bfe_u32 v78, v0, 4, 2
	v_mov_b32_e32 v11, 0
	v_mul_f32_e32 v1, 0x4f7ffffe, v1
	v_cvt_u32_f32_e32 v1, v1
	v_and_b32_e32 v76, 63, v0
	v_lshrrev_b32_e32 v81, 3, v76
	v_lshlrev_b32_e32 v80, 3, v0
	v_readfirstlane_b32 s17, v1
	s_mul_i32 s16, s16, s17
	s_mul_hi_u32 s16, s17, s16
	s_add_i32 s17, s17, s16
	s_mul_hi_u32 s16, s9, s17
	s_mul_i32 s17, s16, s10
	s_sub_i32 s9, s9, s17
	s_add_i32 s18, s16, 1
	s_sub_i32 s17, s9, s10
	s_cmp_ge_u32 s9, s10
	s_cselect_b32 s16, s18, s16
	s_cselect_b32 s9, s17, s9
	s_add_i32 s17, s16, 1
	s_cmp_ge_u32 s9, s10
	s_cselect_b32 s9, s17, s16
	s_xor_b32 s9, s9, s8
	s_sub_i32 s20, s9, s8
	s_mul_i32 s24, s20, s13
	s_ashr_i32 s21, s20, 31
	s_sub_i32 s47, s3, s24
	s_lshl_b64 s[8:9], s[20:21], 2
	s_add_u32 s4, s4, s8
	s_addc_u32 s5, s5, s9
	s_add_u32 s22, s6, s8
	s_addc_u32 s23, s7, s9
	s_abs_i32 s3, s14
	v_cvt_f32_u32_e32 v1, s3
	s_load_dwordx2 s[34:35], s[4:5], 0x0
	s_sub_i32 s5, 0, s3
	s_lshl_b32 s2, s2, 6
	v_rcp_iflag_f32_e32 v1, v1
	s_load_dwordx4 s[16:19], s[0:1], 0x28
	s_load_dwordx2 s[28:29], s[0:1], 0x38
	s_waitcnt lgkmcnt(0)
	s_sub_i32 s50, s35, s34
	s_ashr_i32 s4, s50, 31
	v_mul_f32_e32 v1, 0x4f7ffffe, v1
	v_cvt_u32_f32_e32 v1, v1
	s_lshr_b32 s4, s4, 26
	s_add_i32 s4, s50, s4
	s_ashr_i32 s49, s4, 6
	v_readfirstlane_b32 s6, v1
	s_mul_i32 s5, s5, s6
	s_mul_hi_u32 s5, s6, s5
	s_add_i32 s6, s6, s5
	s_mul_hi_u32 s5, s10, s6
	s_mul_i32 s6, s5, s3
	s_ashr_i32 s4, s14, 31
	s_sub_i32 s6, s10, s6
	s_xor_b32 s4, s11, s4
	s_add_i32 s7, s5, 1
	s_sub_i32 s8, s6, s3
	s_cmp_ge_u32 s6, s3
	s_cselect_b32 s5, s7, s5
	s_cselect_b32 s6, s8, s6
	s_add_i32 s7, s5, 1
	s_cmp_ge_u32 s6, s3
	s_cselect_b32 s3, s7, s5
	s_xor_b32 s3, s3, s4
	s_sub_i32 s3, s3, s4
	s_abs_i32 s4, s3
	v_cvt_f32_u32_e32 v1, s4
	s_sub_i32 s6, 0, s4
	s_abs_i32 s5, s47
	s_xor_b32 s3, s47, s3
	v_rcp_iflag_f32_e32 v1, v1
	s_ashr_i32 s3, s3, 31
	v_or_b32_e32 v66, s2, v79
	v_lshlrev_b32_e32 v2, 7, v66
	v_mul_f32_e32 v1, 0x4f7ffffe, v1
	v_cvt_u32_f32_e32 v1, v1
	v_ashrrev_i32_e32 v3, 31, v2
	s_mul_hi_i32 s53, s47, s12
	s_mul_i32 s54, s47, s12
	v_readfirstlane_b32 s7, v1
	s_mul_i32 s6, s6, s7
	s_mul_hi_u32 s6, s7, s6
	s_add_i32 s7, s7, s6
	s_mul_hi_u32 s6, s5, s7
	s_mul_i32 s7, s6, s4
	s_sub_i32 s5, s5, s7
	s_add_i32 s7, s6, 1
	s_sub_i32 s8, s5, s4
	s_cmp_ge_u32 s5, s4
	s_cselect_b32 s6, s7, s6
	s_cselect_b32 s5, s8, s5
	s_add_i32 s7, s6, 1
	s_cmp_ge_u32 s5, s4
	s_cselect_b32 s4, s7, s6
	s_xor_b32 s4, s4, s3
	s_sub_i32 s51, s4, s3
	s_ashr_i32 s48, s47, 31
	s_mul_hi_i32 s3, s20, s13
	s_add_u32 s4, s24, s47
	s_addc_u32 s5, s3, s48
	s_lshl_b64 s[4:5], s[4:5], 16
	v_lshlrev_b32_e32 v1, 4, v77
	s_add_u32 s4, s16, s4
	v_lshl_or_b32 v82, v78, 2, v1
	s_addc_u32 s5, s17, s5
	v_lshl_add_u64 v[4:5], v[2:3], 2, s[4:5]
	v_lshlrev_b32_e32 v10, 2, v82
	v_lshl_add_u64 v[4:5], v[4:5], 0, v[10:11]
	global_load_dwordx4 v[22:25], v[4:5], off
	global_load_dwordx4 v[30:33], v[4:5], off offset:256
	v_or_b32_e32 v4, 0x800, v2
	v_ashrrev_i32_e32 v5, 31, v4
	v_lshl_add_u64 v[4:5], v[4:5], 2, s[4:5]
	v_lshl_add_u64 v[4:5], v[4:5], 0, v[10:11]
	global_load_dwordx4 v[14:17], v[4:5], off
	global_load_dwordx4 v[26:29], v[4:5], off offset:256
	v_or_b32_e32 v4, 0x1000, v2
	v_or_b32_e32 v2, 0x1800, v2
	v_ashrrev_i32_e32 v5, 31, v4
	v_ashrrev_i32_e32 v3, 31, v2
	v_lshl_add_u64 v[4:5], v[4:5], 2, s[4:5]
	v_lshl_add_u64 v[2:3], v[2:3], 2, s[4:5]
	;; [unrolled: 1-line block ×4, first 2 shown]
	global_load_dwordx4 v[6:9], v[4:5], off
	global_load_dwordx4 v[18:21], v[4:5], off offset:256
	s_nop 0
	global_load_dwordx4 v[2:5], v[34:35], off
	global_load_dwordx4 v[10:13], v[34:35], off offset:256
	s_load_dwordx8 s[4:11], s[0:1], 0x0
	s_load_dwordx2 s[30:31], s[0:1], 0x80
	s_load_dwordx4 s[24:27], s[0:1], 0x70
	s_load_dword s52, s[22:23], 0x0
	v_or_b32_e32 v83, 64, v82
	s_cmp_lt_i32 s50, 64
	s_waitcnt lgkmcnt(0)
	s_mul_i32 s33, s20, s25
	s_mul_hi_u32 s43, s20, s24
	s_mul_i32 s42, s21, s24
	s_mul_i32 s38, s20, s24
	;; [unrolled: 1-line block ×3, first 2 shown]
	s_mul_hi_u32 s45, s47, s26
	s_mul_i32 s46, s48, s26
	s_mul_i32 s36, s47, s26
	s_cbranch_scc1 .LBB227_18
; %bb.1:
	s_ashr_i32 s1, s34, 31
	s_add_u32 s0, s54, s34
	s_addc_u32 s1, s53, s1
	s_lshl_b64 s[0:1], s[0:1], 8
	v_and_b32_e32 v85, 56, v80
	s_add_u32 s20, s6, s0
	v_lshl_or_b32 v84, v77, 3, v81
	v_lshlrev_b32_e32 v34, 1, v85
	s_addc_u32 s0, s7, s1
	v_lshl_or_b32 v86, v84, 8, v34
	s_and_b32 s21, s0, 0xffff
	s_mov_b32 s23, 0x20000
	s_movk_i32 s22, 0x4000
	s_movk_i32 s0, 0x80
	v_or_b32_e32 v87, 0x2000, v86
	buffer_load_dwordx4 v[36:39], v86, s[20:23], 0 offen
	buffer_load_dwordx4 v[40:43], v86, s[20:23], s0 offen
	buffer_load_dwordx4 v[44:47], v87, s[20:23], 0 offen
	buffer_load_dwordx4 v[48:51], v87, s[20:23], s0 offen
	v_lshlrev_b32_e32 v35, 3, v84
	v_and_or_b32 v53, v0, 7, v35
	v_and_b32_e32 v35, 0x78, v35
	v_lshlrev_b32_e32 v53, 4, v53
	v_xor_b32_e32 v88, v53, v35
	v_mul_lo_u32 v52, v84, s15
	v_or_b32_e32 v89, 0x1000, v88
	v_xor_b32_e32 v35, 8, v88
	s_cmpk_eq_i32 s15, 0x80
	s_mov_b32 s55, s34
	v_xor_b32_e32 v53, 8, v89
	s_cselect_b64 s[0:1], -1, 0
	s_cmpk_lg_i32 s15, 0x80
	s_waitcnt vmcnt(3)
	ds_write_b64 v88, v[36:37] offset:49152
	ds_write_b64 v35, v[38:39] offset:49152
	s_waitcnt vmcnt(2)
	ds_write_b64 v88, v[40:41] offset:57344
	ds_write_b64 v35, v[42:43] offset:57344
	;; [unrolled: 3-line block ×4, first 2 shown]
	v_lshl_add_u32 v35, v52, 1, v85
	s_cbranch_scc0 .LBB227_3
; %bb.2:
	v_lshlrev_b32_e32 v37, 1, v35
	v_add_lshl_u32 v36, v35, s15, 1
	s_lshl_b32 s22, s15, 7
	v_lshl_or_b32 v34, v84, 9, v34
	s_cbranch_execz .LBB227_4
	s_branch .LBB227_5
.LBB227_3:
                                        ; implicit-def: $vgpr36
                                        ; implicit-def: $vgpr37
                                        ; implicit-def: $sgpr22
	v_lshl_or_b32 v34, v84, 9, v34
.LBB227_4:
	v_or_b32_e32 v36, 0x100, v34
	s_movk_i32 s22, 0x4000
	v_mov_b32_e32 v37, v34
.LBB227_5:
	s_mul_i32 s16, s34, s14
	s_ashr_i32 s56, s51, 31
	s_mul_hi_i32 s3, s34, s14
	s_add_u32 s16, s16, s51
	s_addc_u32 s17, s3, s56
	s_lshl_b64 s[16:17], s[16:17], 8
	s_add_u32 s20, s4, s16
	s_addc_u32 s3, s5, s17
	s_and_b32 s21, s3, 0xffff
	s_movk_i32 s57, 0x80
	buffer_load_dwordx4 v[38:41], v37, s[20:23], 0 offen
	buffer_load_dwordx4 v[42:45], v37, s[20:23], s57 offen
	;; [unrolled: 1-line block ×4, first 2 shown]
	v_and_b32_e32 v37, 6, v0
	v_lshlrev_b32_e32 v36, 7, v82
	v_xor_b32_e32 v59, v84, v37
	v_and_b32_e32 v54, 1, v0
	v_lshl_or_b32 v62, v79, 3, v36
	v_lshlrev_b32_e32 v59, 2, v59
	v_lshlrev_b32_e32 v55, 2, v79
	v_or_b32_e32 v90, 0x4000, v62
	v_or_b32_e32 v91, 0x6000, v62
	v_xor_b32_e32 v62, 0x440, v59
	v_cmp_eq_u32_e32 vcc, 0, v54
	v_or_b32_e32 v57, 16, v79
	v_or_b32_e32 v58, 32, v79
	v_xor_b32_e32 v60, v82, v55
	v_xor_b32_e32 v61, v83, v55
	v_cndmask_b32_e32 v54, v62, v59, vcc
	s_mov_b32 s58, 0x1000504
	v_lshl_or_b32 v63, v57, 3, v36
	v_lshlrev_b32_e32 v57, 8, v57
	v_lshl_or_b32 v64, v58, 3, v36
	v_lshlrev_b32_e32 v60, 1, v60
	v_lshlrev_b32_e32 v61, 1, v61
	v_lshl_or_b32 v37, v37, 10, v54
	s_add_i32 s3, s43, s33
	s_mov_b32 s59, 0x3020706
	v_lshlrev_b32_e32 v56, 8, v79
	v_or_b32_e32 v94, 0x4000, v64
	v_or_b32_e32 v95, 0x6000, v64
	;; [unrolled: 1-line block ×4, first 2 shown]
	v_xor_b32_e32 v54, 8, v37
	v_xor_b32_e32 v57, 24, v37
	;; [unrolled: 1-line block ×4, first 2 shown]
	s_add_i32 s39, s3, s42
	s_add_i32 s3, s45, s44
	v_or_b32_e32 v92, 0x4000, v63
	v_or_b32_e32 v93, 0x6000, v63
	;; [unrolled: 1-line block ×4, first 2 shown]
	v_xor_b32_e32 v56, 16, v37
	v_xor_b32_e32 v59, 32, v37
	;; [unrolled: 1-line block ×3, first 2 shown]
	v_add_u32_e32 v54, 0x80, v54
	v_add_u32_e32 v57, 0x80, v57
	;; [unrolled: 1-line block ×4, first 2 shown]
	s_add_i32 s37, s3, s46
	s_lshl_b64 s[16:17], s[38:39], 2
	s_add_u32 s3, s10, s16
	s_addc_u32 s20, s11, s17
	s_lshl_b64 s[16:17], s[36:37], 2
	s_add_u32 s16, s3, s16
	s_movk_i32 s3, 0xf8
	s_addc_u32 s17, s20, s17
	s_lshl_b32 s26, s15, 7
	s_movk_i32 s24, 0x100
	v_mov_b32_e32 v69, 0
	v_lshlrev_b32_e32 v68, 4, v79
	v_cmp_gt_u32_e32 vcc, s24, v0
	v_lshlrev_b32_e32 v58, 8, v58
	s_mov_b32 s60, 0
	s_movk_i32 s22, 0x4000
	v_or_b32_e32 v100, v58, v60
	v_or_b32_e32 v101, v58, v61
	s_movk_i32 s37, 0x2000
	s_movk_i32 s39, 0x3000
	v_mov_b32_e32 v133, 0x3fb8aa3b
	s_waitcnt vmcnt(1)
	v_perm_b32 v65, v38, v46, s58
	s_waitcnt vmcnt(0)
	v_perm_b32 v67, v42, v50, s58
	v_perm_b32 v38, v38, v46, s59
	;; [unrolled: 1-line block ×15, first 2 shown]
	ds_write2st64_b32 v37, v65, v67 offset0:128 offset1:160
	ds_write2st64_b32 v54, v38, v42 offset0:128 offset1:160
	;; [unrolled: 1-line block ×8, first 2 shown]
	v_or_b32_e32 v37, 48, v79
	v_lshl_or_b32 v38, v37, 3, v36
	v_lshlrev_b32_e32 v37, 8, v37
	v_or_b32_e32 v104, v37, v60
	v_or_b32_e32 v105, v37, v61
	;; [unrolled: 1-line block ×3, first 2 shown]
	v_lshlrev_b32_e32 v37, 3, v37
	v_lshrrev_b32_e32 v39, 5, v76
	v_and_or_b32 v39, v37, s3, v39
	v_lshlrev_b32_e32 v39, 4, v39
	v_lshlrev_b32_e32 v40, 11, v77
	v_and_b32_e32 v37, 0x78, v37
	v_or_b32_e32 v45, 32, v39
	v_or_b32_e32 v102, 0x4000, v38
	;; [unrolled: 1-line block ×3, first 2 shown]
	v_and_b32_e32 v38, 0x1000, v40
	v_xor_b32_e32 v41, v39, v37
	v_lshrrev_b32_e32 v42, 1, v0
	v_xor_b32_e32 v45, v45, v37
	v_or_b32_e32 v41, v41, v38
	v_and_b32_e32 v43, 8, v42
	v_or_b32_e32 v45, v45, v38
	v_xor_b32_e32 v106, v41, v43
	v_lshlrev_b32_e32 v41, 8, v78
	v_xor_b32_e32 v108, v45, v43
	v_or_b32_e32 v45, 64, v39
	v_or_b32_e32 v39, 0x60, v39
	s_ashr_i32 s3, s2, 31
	v_or_b32_e32 v44, v41, v55
	v_xor_b32_e32 v45, v45, v37
	v_xor_b32_e32 v37, v39, v37
	s_lshl_b64 s[20:21], s[2:3], 8
	v_lshlrev_b32_e32 v44, 1, v44
	v_or_b32_e32 v45, v45, v38
	v_or_b32_e32 v37, v37, v38
	s_add_u32 s20, s18, s20
	v_lshlrev_b32_e32 v38, 1, v79
	v_or_b32_e32 v107, 0x4000, v44
	v_or_b32_e32 v109, 0x4080, v44
	;; [unrolled: 1-line block ×8, first 2 shown]
	v_lshrrev_b32_e32 v44, 4, v0
	s_addc_u32 s21, s19, s21
	v_or_b32_e32 v39, 1, v38
	v_mov_b32_e32 v48, 0xa000
	v_mov_b32_e32 v49, 0x8000
	v_xor_b32_e32 v112, v45, v43
	v_xor_b32_e32 v45, v44, v38
	;; [unrolled: 1-line block ×3, first 2 shown]
	v_lshl_add_u64 v[38:39], s[20:21], 0, v[68:69]
	v_lshlrev_b32_e32 v68, 8, v44
	v_cndmask_b32_e32 v48, v48, v49, vcc
	v_lshlrev_b32_e32 v49, 3, v77
	v_and_b32_e32 v42, 24, v42
	v_lshl_or_b32 v118, v45, 3, v68
	v_and_b32_e32 v45, 8, v0
	v_xor_b32_e32 v50, v49, v42
	v_or_b32_e32 v51, 0x440, v50
	v_cmp_eq_u32_e32 vcc, 0, v45
	v_and_b32_e32 v44, 7, v0
	v_lshl_or_b32 v119, v46, 3, v68
	v_cndmask_b32_e32 v45, v51, v50, vcc
	v_lshlrev_b32_e32 v46, 3, v44
	v_lshlrev_b32_e32 v44, 7, v44
	v_or_b32_e32 v45, v45, v40
	v_lshlrev_b32_e32 v47, 2, v0
	v_xad_u32 v120, v45, v46, v44
	v_or_b32_e32 v45, 32, v42
	v_and_or_b32 v41, v47, 60, v41
	v_xor_b32_e32 v45, v49, v45
	v_lshlrev_b32_e32 v41, 1, v41
	v_or_b32_e32 v47, 0x440, v45
	v_or_b32_e32 v121, 0x6000, v41
	v_cndmask_b32_e32 v45, v47, v45, vcc
	v_or_b32_e32 v123, 0x6080, v41
	v_or_b32_e32 v124, 0x6100, v41
	;; [unrolled: 1-line block ×5, first 2 shown]
	v_xor_b32_e32 v41, v49, v41
	v_xad_u32 v122, v45, v46, v44
	v_xor_b32_e32 v45, 0x440, v41
	v_cndmask_b32_e32 v41, v45, v41, vcc
	v_or_b32_e32 v41, v41, v40
	v_xad_u32 v126, v41, v46, v44
	v_or_b32_e32 v41, 0x60, v42
	v_xor_b32_e32 v41, v49, v41
	v_xor_b32_e32 v42, 0x440, v41
	v_cndmask_b32_e32 v41, v42, v41, vcc
	v_xor_b32_e32 v113, v37, v43
	v_ashrrev_i32_e32 v67, 31, v66
	v_lshlrev_b32_e32 v37, 1, v35
	v_add_lshl_u32 v35, v35, s15, 1
	v_or_b32_e32 v43, 0x100, v34
	v_or_b32_e32 v40, v41, v40
	v_xad_u32 v127, v40, v46, v44
	v_cndmask_b32_e64 v128, v37, v34, s[0:1]
	v_cndmask_b32_e64 v129, v35, v43, s[0:1]
	v_lshlrev_b64 v[34:35], 1, v[66:67]
	v_lshl_add_u64 v[70:71], s[8:9], 0, v[34:35]
	v_lshl_add_u64 v[72:73], s[28:29], 0, v[34:35]
	v_lshl_add_u64 v[74:75], v[38:39], 0, v[68:69]
	s_mov_b32 s3, 0x7060302
	v_lshlrev_b32_e32 v68, 1, v36
	v_add_u32_e32 v67, v48, v120
	v_add_u32_e32 v130, v48, v122
	;; [unrolled: 1-line block ×4, first 2 shown]
	s_waitcnt lgkmcnt(0)
	s_barrier
.LBB227_6:                              ; =>This Inner Loop Header: Depth=1
	s_add_i32 s61, s60, 1
	s_cmp_lt_i32 s61, s49
	s_mov_b64 s[24:25], 0
	s_cselect_b64 s[40:41], -1, 0
	s_cmp_ge_i32 s61, s49
	s_mov_b64 s[20:21], 0
	s_cbranch_scc1 .LBB227_8
; %bb.7:                                ;   in Loop: Header=BB227_6 Depth=1
	s_add_i32 s0, s55, 64
	s_ashr_i32 s1, s0, 31
	s_add_u32 s0, s54, s0
	s_addc_u32 s1, s53, s1
	s_lshl_b64 s[0:1], s[0:1], 8
	s_add_u32 s20, s6, s0
	s_addc_u32 s21, s7, s1
.LBB227_8:                              ;   in Loop: Header=BB227_6 Depth=1
	v_cndmask_b32_e64 v34, 0, 1, s[40:41]
	v_cmp_ne_u32_e64 s[0:1], 1, v34
	s_andn2_b64 vcc, exec, s[40:41]
	s_cbranch_vccnz .LBB227_10
; %bb.9:                                ;   in Loop: Header=BB227_6 Depth=1
	s_add_i32 s24, s55, 64
	s_mul_hi_i32 s25, s24, s14
	s_mul_i32 s24, s24, s14
	s_add_u32 s24, s24, s51
	s_addc_u32 s25, s25, s56
	s_lshl_b64 s[24:25], s[24:25], 8
	s_add_u32 s24, s4, s24
	s_addc_u32 s25, s5, s25
.LBB227_10:                             ;   in Loop: Header=BB227_6 Depth=1
	v_perm_b32 v35, v25, v24, s3
	v_perm_b32 v34, v23, v22, s3
	v_perm_b32 v37, v33, v32, s3
	v_perm_b32 v36, v31, v30, s3
	ds_write_b64 v90, v[34:35]
	ds_write_b64 v91, v[36:37]
	ds_write_b64 v96, v[34:35]
	ds_write_b64 v97, v[36:37]
	v_perm_b32 v35, v17, v16, s3
	v_perm_b32 v34, v15, v14, s3
	v_perm_b32 v37, v29, v28, s3
	v_perm_b32 v36, v27, v26, s3
	ds_write_b64 v92, v[34:35]
	ds_write_b64 v93, v[36:37]
	ds_write_b64 v98, v[34:35]
	ds_write_b64 v99, v[36:37]
	;; [unrolled: 8-line block ×4, first 2 shown]
	s_waitcnt lgkmcnt(0)
	s_barrier
	ds_read_b64 v[38:39], v106 offset:49152
	ds_read2_b64 v[34:37], v107 offset1:16
	ds_read_b64 v[50:51], v109 offset:6144
	ds_read_b64 v[52:53], v107 offset:6144
	s_waitcnt lgkmcnt(2)
	v_mfma_f32_16x16x16_bf16 a[0:3], v[38:39], v[34:35], 0
	ds_read_b64 v[54:55], v108 offset:49152
	ds_read2st64_b64 v[42:45], v110 offset0:4 offset1:8
	ds_read2st64_b64 v[46:49], v111 offset0:4 offset1:8
	v_mfma_f32_16x16x16_bf16 a[4:7], v[38:39], v[36:37], 0
	ds_read2_b64 v[34:37], v107 offset0:32 offset1:48
	s_add_i32 s27, s55, 63
	s_ashr_i32 s40, s27, 31
	s_waitcnt lgkmcnt(0)
	v_mfma_f32_16x16x16_bf16 a[8:11], v[38:39], v[34:35], 0
	s_mul_i32 s41, s27, s31
	s_mul_hi_u32 s62, s27, s30
	s_add_i32 s41, s62, s41
	v_mfma_f32_16x16x16_bf16 a[12:15], v[38:39], v[36:37], 0
	ds_read2st64_b64 v[34:37], v107 offset0:4 offset1:8
	ds_read2st64_b64 v[38:41], v109 offset0:4 offset1:8
	s_mul_i32 s40, s40, s30
	s_waitcnt lgkmcnt(1)
	v_mfma_f32_16x16x16_bf16 a[0:3], v[54:55], v[34:35], a[0:3]
	s_add_i32 s41, s41, s40
	s_mul_i32 s40, s27, s30
	s_lshl_b64 s[40:41], s[40:41], 2
	s_waitcnt lgkmcnt(0)
	v_mfma_f32_16x16x16_bf16 a[4:7], v[54:55], v[38:39], a[4:7]
	s_add_u32 s40, s16, s40
	s_addc_u32 s41, s17, s41
	s_and_b64 vcc, exec, s[0:1]
	v_mfma_f32_16x16x16_bf16 a[8:11], v[54:55], v[42:43], a[8:11]
	ds_read_b64 v[34:35], v112 offset:49152
	ds_read_b64 v[38:39], v113 offset:49152
	;; [unrolled: 1-line block ×3, first 2 shown]
	v_mov_b32_e32 v136, 0
	v_mov_b32_e32 v135, 0
	v_mfma_f32_16x16x16_bf16 a[12:15], v[54:55], v[46:47], a[12:15]
	v_mov_b32_e32 v134, 0
	v_mov_b32_e32 v46, 0
	;; [unrolled: 1-line block ×3, first 2 shown]
	s_waitcnt lgkmcnt(2)
	v_mfma_f32_16x16x16_bf16 a[0:3], v[34:35], v[36:37], a[0:3]
	v_mov_b32_e32 v36, 0
	v_mov_b32_e32 v37, 0
	v_mfma_f32_16x16x16_bf16 a[4:7], v[34:35], v[40:41], a[4:7]
	v_mov_b32_e32 v40, 0
	v_mov_b32_e32 v41, 0
	;; [unrolled: 3-line block ×3, first 2 shown]
	v_mfma_f32_16x16x16_bf16 a[12:15], v[34:35], v[48:49], a[12:15]
	ds_read_b64 v[34:35], v110 offset:6144
	v_mov_b32_e32 v48, 0
	v_mov_b32_e32 v49, 0
	s_waitcnt lgkmcnt(2)
	v_mfma_f32_16x16x16_bf16 a[0:3], v[38:39], v[52:53], a[0:3]
	v_mfma_f32_16x16x16_bf16 a[4:7], v[38:39], v[50:51], a[4:7]
	s_waitcnt lgkmcnt(0)
	v_mfma_f32_16x16x16_bf16 a[8:11], v[38:39], v[34:35], a[8:11]
	v_mov_b32_e32 v34, 0
	v_mov_b32_e32 v35, 0
	v_mfma_f32_16x16x16_bf16 a[12:15], v[38:39], v[42:43], a[12:15]
	v_mov_b32_e32 v38, 0
	v_mov_b32_e32 v39, 0
	;; [unrolled: 1-line block ×4, first 2 shown]
	s_cbranch_vccnz .LBB227_12
; %bb.11:                               ;   in Loop: Header=BB227_6 Depth=1
	s_and_b32 s21, s21, 0xffff
	buffer_load_dwordx4 v[46:49], v86, s[20:23], 0 offen
	buffer_load_dwordx4 v[42:45], v86, s[20:23], s57 offen
	buffer_load_dwordx4 v[38:41], v87, s[20:23], 0 offen
	buffer_load_dwordx4 v[34:37], v87, s[20:23], s57 offen
	v_mov_b32_e32 v135, v88
	v_mov_b32_e32 v134, v89
.LBB227_12:                             ;   in Loop: Header=BB227_6 Depth=1
	ds_read_b64 v[142:143], v106 offset:57344
	ds_read2_b64 v[50:53], v114 offset1:16
	ds_read_b64 v[144:145], v108 offset:57344
	ds_read_b64 v[146:147], v112 offset:57344
	ds_read_b64 v[148:149], v113 offset:57344
	v_add_u32_e32 v137, s55, v82
	s_waitcnt lgkmcnt(3)
	v_mfma_f32_16x16x16_bf16 a[0:3], v[142:143], v[50:51], a[0:3]
	v_mfma_f32_16x16x16_bf16 a[4:7], v[142:143], v[52:53], a[4:7]
	ds_read2_b64 v[50:53], v114 offset0:32 offset1:48
	ds_read2st64_b64 v[54:57], v114 offset0:4 offset1:8
	ds_read2st64_b64 v[58:61], v115 offset0:4 offset1:8
	;; [unrolled: 1-line block ×4, first 2 shown]
	s_waitcnt lgkmcnt(4)
	v_mfma_f32_16x16x16_bf16 a[8:11], v[142:143], v[50:51], a[8:11]
	v_ashrrev_i32_e32 v50, 31, v137
	v_mfma_f32_16x16x16_bf16 a[12:15], v[142:143], v[52:53], a[12:15]
	v_mul_lo_u32 v52, v50, s30
	v_mul_lo_u32 v53, v137, s31
	v_mad_u64_u32 v[50:51], s[20:21], v137, s30, 0
	v_add3_u32 v51, v51, v53, v52
	v_add_u32_e32 v52, 1, v137
	v_ashrrev_i32_e32 v53, 31, v52
	s_waitcnt lgkmcnt(3)
	v_mfma_f32_16x16x16_bf16 a[0:3], v[144:145], v[54:55], a[0:3]
	v_mul_lo_u32 v54, v53, s30
	v_mul_lo_u32 v55, v52, s31
	v_mad_u64_u32 v[52:53], s[20:21], v52, s30, 0
	v_add3_u32 v53, v53, v55, v54
	v_add_u32_e32 v54, 2, v137
	v_ashrrev_i32_e32 v55, 31, v54
	s_waitcnt lgkmcnt(2)
	v_mfma_f32_16x16x16_bf16 a[4:7], v[144:145], v[58:59], a[4:7]
	v_mul_lo_u32 v58, v55, s30
	v_mul_lo_u32 v59, v54, s31
	v_mad_u64_u32 v[54:55], s[20:21], v54, s30, 0
	v_lshl_add_u64 v[50:51], v[50:51], 2, s[16:17]
	v_lshl_add_u64 v[52:53], v[52:53], 2, s[16:17]
	v_add3_u32 v55, v55, v59, v58
	v_add_u32_e32 v58, 3, v137
	s_waitcnt lgkmcnt(1)
	v_mfma_f32_16x16x16_bf16 a[8:11], v[144:145], v[62:63], a[8:11]
	global_load_dword v63, v[50:51], off
	global_load_dword v137, v[52:53], off
	v_mad_u64_u32 v[50:51], s[20:21], v58, s30, 0
	v_ashrrev_i32_e32 v59, 31, v58
	s_ashr_i32 s21, s55, 31
	v_mul_lo_u32 v59, v59, s30
	v_mul_lo_u32 v62, v58, s31
	s_add_u32 s20, s54, s55
	v_lshl_add_u64 v[54:55], v[54:55], 2, s[16:17]
	v_add3_u32 v51, v51, v62, v59
	s_addc_u32 s21, s53, s21
	s_waitcnt lgkmcnt(0)
	v_mfma_f32_16x16x16_bf16 a[12:15], v[144:145], v[138:139], a[12:15]
	v_lshl_add_u64 v[50:51], v[50:51], 2, s[16:17]
	global_load_dword v62, v[54:55], off
	global_load_dword v138, v[50:51], off
	s_lshl_b64 s[20:21], s[20:21], 8
	v_lshl_add_u64 v[50:51], v[70:71], 0, s[20:21]
	v_lshl_add_u64 v[50:51], v[50:51], 0, v[68:69]
	global_load_ushort v139, v[50:51], off offset:256
	global_load_ushort v142, v[50:51], off
	global_load_ushort v143, v[50:51], off offset:768
	global_load_ushort v144, v[50:51], off offset:512
	;; [unrolled: 1-line block ×6, first 2 shown]
	s_load_dword s40, s[40:41], 0x0
	v_mfma_f32_16x16x16_bf16 a[12:15], v[146:147], v[140:141], a[12:15]
	global_load_ushort v140, v[50:51], off offset:320
	global_load_ushort v141, v[50:51], off offset:64
	s_and_b64 vcc, exec, s[0:1]
	v_mfma_f32_16x16x16_bf16 a[0:3], v[146:147], v[56:57], a[0:3]
	ds_read_b64 v[52:53], v114 offset:6144
	ds_read_b64 v[54:55], v115 offset:6144
	;; [unrolled: 1-line block ×4, first 2 shown]
	v_mfma_f32_16x16x16_bf16 a[4:7], v[146:147], v[60:61], a[4:7]
	s_waitcnt vmcnt(11) lgkmcnt(0)
	v_sub_f32_e32 v60, s40, v62
	v_mfma_f32_16x16x16_bf16 a[8:11], v[146:147], v[64:65], a[8:11]
	global_load_ushort v146, v[50:51], off offset:832
	global_load_ushort v147, v[50:51], off offset:576
	;; [unrolled: 1-line block ×6, first 2 shown]
	v_mfma_f32_16x16x16_bf16 a[0:3], v[148:149], v[52:53], a[0:3]
	s_waitcnt vmcnt(16)
	v_sub_f32_e32 v61, s40, v138
	v_mul_f32_e32 v60, 0x3fb8aa3b, v60
	v_mul_f32_e32 v61, 0x3fb8aa3b, v61
	v_exp_f32_e32 v60, v60
	v_exp_f32_e32 v61, v61
	s_waitcnt vmcnt(15)
	v_lshlrev_b32_e32 v65, 16, v139
	s_waitcnt vmcnt(14)
	v_lshlrev_b32_e32 v64, 16, v142
	v_accvgpr_read_b32 v53, a3
	v_accvgpr_read_b32 v52, a2
	v_mfma_f32_16x16x16_bf16 a[2:5], v[148:149], v[54:55], a[4:7]
	v_accvgpr_read_b32 v139, a1
	v_accvgpr_read_b32 v138, a0
	v_pk_add_f32 v[64:65], v[64:65], v[138:139] neg_lo:[0,1] neg_hi:[0,1]
	v_mfma_f32_16x16x16_bf16 a[6:9], v[148:149], v[56:57], a[8:11]
	s_waitcnt vmcnt(13)
	v_lshlrev_b32_e32 v139, 16, v143
	s_waitcnt vmcnt(12)
	v_lshlrev_b32_e32 v138, 16, v144
	v_pk_add_f32 v[52:53], v[138:139], v[52:53] neg_lo:[0,1] neg_hi:[0,1]
	v_accvgpr_read_b32 v139, a3
	v_accvgpr_read_b32 v138, a2
	;; [unrolled: 1-line block ×6, first 2 shown]
	v_mfma_f32_16x16x16_bf16 a[8:11], v[148:149], v[58:59], a[12:15]
	v_sub_f32_e32 v58, s40, v63
	v_sub_f32_e32 v59, s40, v137
	v_mul_f32_e32 v58, 0x3fb8aa3b, v58
	v_mul_f32_e32 v59, 0x3fb8aa3b, v59
	v_exp_f32_e32 v58, v58
	v_exp_f32_e32 v59, v59
	v_lshl_add_u64 v[62:63], v[72:73], 0, s[20:21]
	v_lshl_add_u64 v[62:63], v[62:63], 0, v[68:69]
	global_store_short_d16_hi v[62:63], v64, off
	global_store_short_d16_hi v[62:63], v65, off offset:256
	global_store_short_d16_hi v[62:63], v52, off offset:512
	;; [unrolled: 1-line block ×3, first 2 shown]
	v_pk_mul_f32 v[64:65], v[58:59], v[64:65]
	v_pk_mul_f32 v[52:53], v[60:61], v[52:53]
	v_accvgpr_read_b32 v57, a11
	v_perm_b32 v53, v53, v52, s3
	v_perm_b32 v52, v65, v64, s3
	s_waitcnt vmcnt(15)
	v_lshlrev_b32_e32 v65, 16, v145
	s_waitcnt vmcnt(14)
	v_lshlrev_b32_e32 v64, 16, v150
	v_pk_add_f32 v[64:65], v[64:65], v[138:139] neg_lo:[0,1] neg_hi:[0,1]
	s_waitcnt vmcnt(13)
	v_lshlrev_b32_e32 v139, 16, v151
	s_waitcnt vmcnt(12)
	v_lshlrev_b32_e32 v138, 16, v152
	v_pk_add_f32 v[54:55], v[138:139], v[54:55] neg_lo:[0,1] neg_hi:[0,1]
	global_store_short_d16_hi v[62:63], v64, off offset:32
	global_store_short_d16_hi v[62:63], v65, off offset:288
	;; [unrolled: 1-line block ×4, first 2 shown]
	v_pk_mul_f32 v[64:65], v[58:59], v[64:65]
	v_pk_mul_f32 v[54:55], v[60:61], v[54:55]
	v_accvgpr_read_b32 v56, a10
	v_perm_b32 v55, v55, v54, s3
	v_perm_b32 v54, v65, v64, s3
	ds_write2_b64 v91, v[52:53], v[54:55] offset1:16
	v_accvgpr_read_b32 v55, a7
	s_waitcnt vmcnt(15)
	v_lshlrev_b32_e32 v53, 16, v140
	s_waitcnt vmcnt(14)
	v_lshlrev_b32_e32 v52, 16, v141
	v_accvgpr_read_b32 v54, a6
	v_pk_add_f32 v[52:53], v[52:53], v[54:55] neg_lo:[0,1] neg_hi:[0,1]
	global_store_short_d16_hi v[62:63], v52, off offset:64
	global_store_short_d16_hi v[62:63], v53, off offset:320
	v_pk_mul_f32 v[52:53], v[58:59], v[52:53]
	v_mov_b32_e32 v137, 0
	v_perm_b32 v52, v53, v52, s3
	v_mov_b32_e32 v64, 0
	v_mov_b32_e32 v65, 0
	s_waitcnt vmcnt(15)
	v_lshlrev_b32_e32 v55, 16, v146
	s_waitcnt vmcnt(14)
	v_lshlrev_b32_e32 v54, 16, v147
	v_pk_add_f32 v[50:51], v[54:55], v[50:51] neg_lo:[0,1] neg_hi:[0,1]
	global_store_short_d16_hi v[62:63], v50, off offset:576
	global_store_short_d16_hi v[62:63], v51, off offset:832
	v_pk_mul_f32 v[50:51], v[60:61], v[50:51]
	v_accvgpr_read_b32 v55, a9
	v_perm_b32 v53, v51, v50, s3
	s_waitcnt vmcnt(15)
	v_lshlrev_b32_e32 v51, 16, v153
	s_waitcnt vmcnt(14)
	v_lshlrev_b32_e32 v50, 16, v154
	v_accvgpr_read_b32 v54, a8
	v_pk_add_f32 v[50:51], v[50:51], v[54:55] neg_lo:[0,1] neg_hi:[0,1]
	s_waitcnt vmcnt(13)
	v_lshlrev_b32_e32 v55, 16, v155
	s_waitcnt vmcnt(12)
	v_lshlrev_b32_e32 v54, 16, v156
	v_pk_add_f32 v[54:55], v[54:55], v[56:57] neg_lo:[0,1] neg_hi:[0,1]
	global_store_short_d16_hi v[62:63], v50, off offset:96
	global_store_short_d16_hi v[62:63], v51, off offset:352
	;; [unrolled: 1-line block ×4, first 2 shown]
	v_pk_mul_f32 v[50:51], v[58:59], v[50:51]
	v_pk_mul_f32 v[54:55], v[60:61], v[54:55]
	v_mov_b32_e32 v56, 0
	v_perm_b32 v55, v55, v54, s3
	v_perm_b32 v54, v51, v50, s3
	ds_write2_b64 v91, v[52:53], v[54:55] offset0:32 offset1:48
	v_mov_b32_e32 v50, 0
	v_mov_b32_e32 v51, 0
	;; [unrolled: 1-line block ×13, first 2 shown]
	s_cbranch_vccnz .LBB227_14
; %bb.13:                               ;   in Loop: Header=BB227_6 Depth=1
	s_and_b32 s25, s25, 0xffff
	s_mov_b32 s27, s23
	buffer_load_dwordx4 v[62:65], v128, s[24:27], 0 offen
	buffer_load_dwordx4 v[54:57], v128, s[24:27], s57 offen
	;; [unrolled: 1-line block ×4, first 2 shown]
	v_mov_b32_e32 v136, v85
	v_mov_b32_e32 v137, v84
.LBB227_14:                             ;   in Loop: Header=BB227_6 Depth=1
	s_waitcnt lgkmcnt(0)
	s_barrier
	ds_read_b64 v[146:147], v67
	ds_read2_b64 v[138:141], v121 offset1:16
	ds_read_b64 v[162:163], v130
	ds_read_b64 v[164:165], v131
	;; [unrolled: 1-line block ×3, first 2 shown]
	ds_read2_b64 v[142:145], v121 offset0:32 offset1:48
	s_waitcnt lgkmcnt(4)
	v_mfma_f32_16x16x16_bf16 a[0:3], v[146:147], v[138:139], 0
	ds_read2st64_b64 v[150:153], v123 offset0:4 offset1:8
	ds_read2st64_b64 v[154:157], v124 offset0:4 offset1:8
	;; [unrolled: 1-line block ×3, first 2 shown]
	v_mfma_f32_16x16x16_bf16 a[4:7], v[146:147], v[140:141], 0
	s_add_i32 s20, s52, s60
	s_mul_hi_i32 s21, s20, s13
	s_mul_i32 s20, s20, s13
	s_waitcnt lgkmcnt(3)
	v_mfma_f32_16x16x16_bf16 a[8:11], v[146:147], v[142:143], 0
	s_add_u32 s20, s20, s47
	s_addc_u32 s21, s21, s48
	s_lshl_b64 s[20:21], s[20:21], 15
	v_mfma_f32_16x16x16_bf16 a[12:15], v[146:147], v[144:145], 0
	ds_read2st64_b64 v[146:149], v121 offset0:4 offset1:8
	s_waitcnt lgkmcnt(0)
	v_mfma_f32_16x16x16_bf16 a[0:3], v[162:163], v[146:147], a[0:3]
	v_mfma_f32_16x16x16_bf16 a[4:7], v[162:163], v[150:151], a[4:7]
	;; [unrolled: 1-line block ×8, first 2 shown]
	ds_read_b64 v[162:163], v121 offset:6144
	ds_read_b64 v[164:165], v122 offset:40960
	;; [unrolled: 1-line block ×8, first 2 shown]
	s_waitcnt lgkmcnt(5)
	v_mfma_f32_16x16x16_bf16 a[16:19], v[168:169], v[138:139], 0
	v_mfma_f32_16x16x16_bf16 a[20:23], v[168:169], v[140:141], 0
	ds_read2st64_b64 v[138:141], v118 offset1:8
	v_mfma_f32_16x16x16_bf16 a[24:27], v[168:169], v[142:143], 0
	v_mfma_f32_16x16x16_bf16 a[28:31], v[168:169], v[144:145], 0
	ds_read2st64_b64 v[142:145], v119 offset1:8
	v_mfma_f32_16x16x16_bf16 a[16:19], v[164:165], v[146:147], a[16:19]
	s_waitcnt lgkmcnt(1)
	v_mov_b32_e32 v146, v138
	v_mov_b32_e32 v147, v139
	v_mfma_f32_16x16x16_bf16 a[20:23], v[164:165], v[150:151], a[20:23]
	v_lshl_add_u64 v[150:151], v[74:75], 0, s[20:21]
	v_mfma_f32_16x16x16_bf16 a[24:27], v[164:165], v[154:155], a[24:27]
	v_mfma_f32_16x16x16_bf16 a[28:31], v[164:165], v[158:159], a[28:31]
	;; [unrolled: 1-line block ×3, first 2 shown]
	s_waitcnt lgkmcnt(0)
	v_mov_b32_e32 v148, v142
	v_mov_b32_e32 v149, v143
	v_mov_b32_e32 v142, v140
	v_mfma_f32_16x16x16_bf16 a[32:35], v[176:177], v[152:153], a[20:23]
	v_mov_b32_e32 v143, v141
	ds_read2st64_b64 v[138:141], v118 offset0:16 offset1:24
	global_store_dwordx4 v[150:151], v[146:149], off
	v_mfma_f32_16x16x16_bf16 a[24:27], v[176:177], v[156:157], a[24:27]
	ds_read2st64_b64 v[146:149], v119 offset0:16 offset1:24
	v_add_co_u32_e32 v152, vcc, s37, v150
	v_mfma_f32_16x16x16_bf16 a[28:31], v[176:177], v[160:161], a[28:31]
	s_nop 0
	v_addc_co_u32_e32 v153, vcc, 0, v151, vcc
	global_store_dwordx4 v[152:153], v[142:145], off offset:-4096
	v_mfma_f32_16x16x16_bf16 a[0:3], v[166:167], v[162:163], a[0:3]
	s_waitcnt lgkmcnt(1)
	v_mov_b32_e32 v142, v138
	v_add_co_u32_e32 v138, vcc, s39, v150
	v_mfma_f32_16x16x16_bf16 a[4:7], v[166:167], v[170:171], a[4:7]
	v_mov_b32_e32 v143, v139
	v_addc_co_u32_e32 v139, vcc, 0, v151, vcc
	v_mfma_f32_16x16x16_bf16 a[8:11], v[166:167], v[172:173], a[8:11]
	s_waitcnt lgkmcnt(0)
	v_mov_b32_e32 v144, v146
	v_mov_b32_e32 v145, v147
	;; [unrolled: 1-line block ×3, first 2 shown]
	v_mfma_f32_16x16x16_bf16 a[12:15], v[166:167], v[174:175], a[12:15]
	v_mov_b32_e32 v147, v141
	s_and_b64 vcc, exec, s[0:1]
	global_store_dwordx4 v[152:153], v[142:145], off
	v_mfma_f32_16x16x16_bf16 a[20:23], v[178:179], v[162:163], a[16:19]
	global_store_dwordx4 v[138:139], v[146:149], off
	v_mfma_f32_16x16x16_bf16 a[16:19], v[178:179], v[170:171], a[32:35]
	v_mfma_f32_16x16x16_bf16 a[24:27], v[178:179], v[172:173], a[24:27]
	;; [unrolled: 1-line block ×3, first 2 shown]
	s_cbranch_vccnz .LBB227_16
; %bb.15:                               ;   in Loop: Header=BB227_6 Depth=1
	v_lshrrev_b32_e32 v138, 3, v136
	v_and_b32_e32 v138, 6, v138
	v_xor_b32_e32 v137, v138, v137
	v_lshlrev_b32_e32 v137, 2, v137
	v_and_b32_e32 v136, 8, v136
	v_xor_b32_e32 v139, 0x440, v137
	v_cmp_eq_u32_e32 vcc, 0, v136
	s_barrier
	s_nop 0
	v_cndmask_b32_e32 v136, v139, v137, vcc
	v_lshl_or_b32 v136, v138, 10, v136
	s_waitcnt vmcnt(5)
	v_perm_b32 v137, v62, v58, s58
	s_waitcnt vmcnt(4)
	v_perm_b32 v138, v54, v50, s58
	ds_write2st64_b32 v136, v137, v138 offset0:128 offset1:160
	v_xor_b32_e32 v137, 8, v136
	v_perm_b32 v58, v62, v58, s59
	v_perm_b32 v50, v54, v50, s59
	v_add_u32_e32 v54, 0x80, v137
	ds_write2st64_b32 v54, v58, v50 offset0:128 offset1:160
	v_xor_b32_e32 v50, 16, v136
	v_perm_b32 v54, v63, v59, s58
	v_perm_b32 v58, v55, v51, s58
	ds_write2st64_b32 v50, v54, v58 offset0:129 offset1:161
	v_xor_b32_e32 v50, 24, v136
	v_perm_b32 v54, v63, v59, s59
	v_perm_b32 v51, v55, v51, s59
	v_add_u32_e32 v50, 0x80, v50
	ds_write2st64_b32 v50, v54, v51 offset0:129 offset1:161
	v_xor_b32_e32 v50, 32, v136
	v_perm_b32 v51, v64, v60, s58
	v_perm_b32 v54, v56, v52, s58
	ds_write2st64_b32 v50, v51, v54 offset0:130 offset1:162
	v_xor_b32_e32 v50, 40, v136
	v_perm_b32 v51, v64, v60, s59
	v_perm_b32 v52, v56, v52, s59
	v_add_u32_e32 v50, 0x80, v50
	ds_write2st64_b32 v50, v51, v52 offset0:130 offset1:162
	v_xor_b32_e32 v50, 48, v136
	v_perm_b32 v51, v65, v61, s58
	v_perm_b32 v52, v57, v53, s58
	ds_write2st64_b32 v50, v51, v52 offset0:131 offset1:163
	v_xor_b32_e32 v50, 56, v136
	v_perm_b32 v51, v65, v61, s59
	v_perm_b32 v52, v57, v53, s59
	v_add_u32_e32 v50, 0x80, v50
	ds_write2st64_b32 v50, v51, v52 offset0:131 offset1:163
	ds_write_b64 v135, v[46:47] offset:49152
	v_xor_b32_e32 v46, 8, v135
	ds_write_b64 v46, v[48:49] offset:49152
	ds_write_b64 v135, v[42:43] offset:57344
	;; [unrolled: 1-line block ×4, first 2 shown]
	v_xor_b32_e32 v38, 8, v134
	ds_write_b64 v38, v[40:41] offset:49152
	ds_write_b64 v134, v[34:35] offset:57344
	ds_write_b64 v38, v[36:37] offset:57344
.LBB227_16:                             ;   in Loop: Header=BB227_6 Depth=1
	s_waitcnt vmcnt(6)
	v_mul_f32_e32 v54, s40, v133
	v_exp_f32_e32 v134, v54
	v_accvgpr_read_b32 v37, a3
	v_accvgpr_read_b32 v41, a7
	;; [unrolled: 1-line block ×4, first 2 shown]
	s_waitcnt vmcnt(4)
	v_accvgpr_read_b32 v53, a23
	v_accvgpr_read_b32 v57, a19
	;; [unrolled: 1-line block ×28, first 2 shown]
	s_add_i32 s55, s55, 64
	v_pk_fma_f32 v[22:23], v[22:23], v[134:135], v[34:35] op_sel_hi:[1,0,1]
	v_pk_fma_f32 v[24:25], v[24:25], v[134:135], v[36:37] op_sel_hi:[1,0,1]
	;; [unrolled: 1-line block ×15, first 2 shown]
	s_cmp_eq_u32 s49, s61
	v_pk_fma_f32 v[12:13], v[12:13], v[134:135], v[64:65] op_sel_hi:[1,0,1]
	s_cbranch_scc1 .LBB227_18
; %bb.17:                               ;   in Loop: Header=BB227_6 Depth=1
	s_mov_b32 s60, s61
	s_branch .LBB227_6
.LBB227_18:
	s_lshl_b32 s26, s49, 6
	s_sub_i32 s27, s50, s26
	s_cmp_gt_i32 s27, 0
	s_cbranch_scc0 .LBB227_99
; %bb.19:
	s_add_i32 s26, s26, s34
	s_ashr_i32 s3, s26, 31
	s_cmpk_lg_i32 s15, 0x80
	s_cselect_b64 s[22:23], -1, 0
	s_and_b64 vcc, exec, s[22:23]
	s_cbranch_vccz .LBB227_21
; %bb.20:
	s_mul_hi_i32 s0, s26, s14
	s_mul_i32 s1, s26, s14
	s_ashr_i32 s14, s51, 31
	s_add_u32 s24, s1, s51
	s_addc_u32 s25, s0, s14
	s_cbranch_execz .LBB227_22
	s_branch .LBB227_23
.LBB227_21:
                                        ; implicit-def: $sgpr24_sgpr25
.LBB227_22:
	s_mul_i32 s1, s51, s12
	s_mul_hi_i32 s0, s51, s12
	s_add_u32 s24, s1, s26
	s_addc_u32 s25, s0, s3
.LBB227_23:
	s_add_i32 s12, s49, s52
	s_add_u32 s0, s54, s26
	s_addc_u32 s1, s53, s3
	v_lshlrev_b32_e32 v35, 6, v82
	v_lshlrev_b32_e32 v34, 2, v79
	s_mov_b32 s3, 0x7060302
	s_waitcnt vmcnt(7)
	v_perm_b32 v25, v25, v24, s3
	v_perm_b32 v24, v23, v22, s3
	s_waitcnt vmcnt(6)
	v_perm_b32 v22, v31, v30, s3
	v_or_b32_e32 v30, v35, v34
	v_xor_b32_e32 v36, v82, v34
	v_perm_b32 v23, v33, v32, s3
	v_lshlrev_b32_e32 v30, 1, v30
	ds_write2st64_b64 v30, v[24:25], v[22:23] offset0:32 offset1:48
	v_lshlrev_b32_e32 v30, 1, v36
	v_lshlrev_b32_e32 v31, 8, v79
	v_xor_b32_e32 v37, v83, v34
	v_or_b32_e32 v32, v30, v31
	ds_write_b64 v32, v[24:25]
	v_lshlrev_b32_e32 v24, 1, v37
	v_or_b32_e32 v25, v24, v31
	ds_write_b64 v25, v[22:23]
	v_or_b32_e32 v22, 16, v79
	v_lshlrev_b32_e32 v23, 2, v22
	v_or_b32_e32 v25, v35, v23
	s_waitcnt vmcnt(5)
	v_perm_b32 v17, v17, v16, s3
	v_perm_b32 v16, v15, v14, s3
	s_waitcnt vmcnt(4)
	v_perm_b32 v15, v29, v28, s3
	v_perm_b32 v14, v27, v26, s3
	v_lshlrev_b32_e32 v25, 1, v25
	v_lshlrev_b32_e32 v22, 8, v22
	ds_write2st64_b64 v25, v[16:17], v[14:15] offset0:32 offset1:48
	v_or_b32_e32 v25, v30, v22
	ds_write_b64 v25, v[16:17]
	v_or_b32_e32 v16, v24, v22
	ds_write_b64 v16, v[14:15]
	v_or_b32_e32 v14, 32, v79
	v_lshlrev_b32_e32 v22, 2, v14
	v_or_b32_e32 v15, v35, v22
	s_waitcnt vmcnt(3)
	v_perm_b32 v9, v9, v8, s3
	v_perm_b32 v8, v7, v6, s3
	s_waitcnt vmcnt(2)
	v_perm_b32 v7, v21, v20, s3
	v_perm_b32 v6, v19, v18, s3
	v_lshlrev_b32_e32 v15, 1, v15
	v_lshlrev_b32_e32 v14, 8, v14
	s_lshl_b64 s[20:21], s[0:1], 8
	ds_write2st64_b64 v15, v[8:9], v[6:7] offset0:32 offset1:48
	v_or_b32_e32 v15, v30, v14
	s_add_u32 s0, s6, s20
	ds_write_b64 v15, v[8:9]
	v_or_b32_e32 v8, v24, v14
	s_addc_u32 s1, s7, s21
	ds_write_b64 v8, v[6:7]
	s_waitcnt vmcnt(1)
	v_perm_b32 v5, v5, v4, s3
	v_perm_b32 v4, v3, v2, s3
	s_waitcnt vmcnt(0)
	v_perm_b32 v3, v13, v12, s3
	v_perm_b32 v2, v11, v10, s3
	v_or_b32_e32 v6, 48, v79
	s_mul_hi_i32 s3, s12, s13
	s_mul_i32 s12, s12, s13
	v_lshlrev_b32_e32 v19, 2, v6
	s_add_u32 s6, s12, s47
	v_or_b32_e32 v7, v35, v19
	s_addc_u32 s7, s3, s48
	v_lshlrev_b32_e32 v7, 1, v7
	v_lshlrev_b32_e32 v6, 8, v6
	s_ashr_i32 s3, s2, 31
	s_lshl_b64 s[6:7], s[6:7], 15
	ds_write2st64_b64 v7, v[4:5], v[2:3] offset0:32 offset1:48
	v_or_b32_e32 v7, v30, v6
	s_add_u32 s6, s18, s6
	ds_write_b64 v7, v[4:5]
	v_or_b32_e32 v4, v24, v6
	s_addc_u32 s7, s19, s7
	s_lshl_b64 s[2:3], s[2:3], 8
	ds_write_b64 v4, v[2:3]
	s_add_u32 s2, s6, s2
	v_lshlrev_b32_e32 v3, 1, v79
	v_lshrrev_b32_e32 v2, 4, v0
	s_addc_u32 s3, s7, s3
	v_or_b32_e32 v4, 1, v3
	v_lshlrev_b32_e32 v10, 4, v79
	v_mov_b32_e32 v11, 0
	v_xor_b32_e32 v3, v2, v3
	v_xor_b32_e32 v6, v4, v2
	v_lshl_add_u64 v[12:13], s[2:3], 0, v[10:11]
	v_lshlrev_b32_e32 v10, 8, v2
	v_lshl_or_b32 v16, v3, 3, v10
	v_lshl_or_b32 v17, v6, 3, v10
	s_waitcnt lgkmcnt(0)
	s_barrier
	ds_read2st64_b64 v[2:5], v16 offset1:8
	ds_read2st64_b64 v[6:9], v17 offset1:8
	v_lshl_add_u64 v[14:15], v[12:13], 0, v[10:11]
	s_movk_i32 s2, 0x2000
	s_cmp_lg_u32 s27, 64
	s_waitcnt lgkmcnt(1)
	v_mov_b32_e32 v10, v2
	v_mov_b32_e32 v11, v3
	s_waitcnt lgkmcnt(0)
	v_mov_b32_e32 v12, v6
	v_mov_b32_e32 v13, v7
	global_store_dwordx4 v[14:15], v[10:13], off
	v_mov_b32_e32 v6, v4
	v_mov_b32_e32 v7, v5
	ds_read2st64_b64 v[2:5], v16 offset0:16 offset1:24
	ds_read2st64_b64 v[10:13], v17 offset0:16 offset1:24
	v_add_co_u32_e32 v16, vcc, s2, v14
	s_cselect_b64 s[6:7], -1, 0
	s_nop 0
	v_addc_co_u32_e32 v17, vcc, 0, v15, vcc
	global_store_dwordx4 v[16:17], v[6:9], off offset:-4096
	v_lshl_or_b32 v24, v77, 3, v81
	s_mov_b32 s16, 0
	s_waitcnt lgkmcnt(1)
	v_mov_b32_e32 v6, v2
	v_add_co_u32_e32 v2, vcc, 0x3000, v14
	v_mov_b32_e32 v7, v3
	s_nop 0
	v_addc_co_u32_e32 v3, vcc, 0, v15, vcc
	s_waitcnt lgkmcnt(0)
	v_mov_b32_e32 v8, v10
	v_mov_b32_e32 v9, v11
	;; [unrolled: 1-line block ×4, first 2 shown]
	v_or_b32_e32 v20, 32, v24
	v_and_b32_e32 v18, 56, v80
	s_and_b64 vcc, exec, s[6:7]
	global_store_dwordx4 v[16:17], v[6:9], off
	global_store_dwordx4 v[2:3], v[10:13], off
	s_cbranch_vccz .LBB227_29
; %bb.24:
	s_mov_b32 s17, s16
	s_mov_b32 s18, s16
	;; [unrolled: 1-line block ×3, first 2 shown]
	v_mov_b64_e32 v[6:7], s[16:17]
	v_mov_b64_e32 v[8:9], s[18:19]
	;; [unrolled: 1-line block ×3, first 2 shown]
	v_cmp_gt_i32_e32 vcc, s27, v24
	v_mov_b64_e32 v[4:5], v[8:9]
	s_and_saveexec_b64 s[2:3], vcc
	s_cbranch_execz .LBB227_26
; %bb.25:
	v_lshlrev_b32_e32 v2, 8, v24
	v_mov_b32_e32 v3, 0
	v_lshl_add_u64 v[4:5], s[0:1], 0, v[2:3]
	v_lshlrev_b32_e32 v2, 1, v18
	v_lshl_add_u64 v[10:11], v[4:5], 0, v[2:3]
	global_load_dwordx4 v[6:9], v[10:11], off
	global_load_dwordx4 v[2:5], v[10:11], off offset:128
.LBB227_26:
	s_or_b64 exec, exec, s[2:3]
	s_mov_b32 s17, s16
	s_mov_b32 s18, s16
	;; [unrolled: 1-line block ×3, first 2 shown]
	v_mov_b64_e32 v[14:15], s[16:17]
	v_mov_b64_e32 v[16:17], s[18:19]
	v_mov_b64_e32 v[10:11], v[14:15]
	v_cmp_gt_i32_e32 vcc, s27, v20
	v_lshlrev_b32_e32 v21, 7, v20
	v_mov_b64_e32 v[12:13], v[16:17]
	s_and_saveexec_b64 s[2:3], vcc
	s_cbranch_execz .LBB227_28
; %bb.27:
	v_lshlrev_b32_e32 v10, 1, v21
	v_mov_b32_e32 v11, 0
	v_lshl_add_u64 v[12:13], s[0:1], 0, v[10:11]
	v_lshlrev_b32_e32 v10, 1, v18
	v_lshl_add_u64 v[26:27], v[12:13], 0, v[10:11]
	global_load_dwordx4 v[14:17], v[26:27], off
	global_load_dwordx4 v[10:13], v[26:27], off offset:128
.LBB227_28:
	s_or_b64 exec, exec, s[2:3]
	v_lshrrev_b32_e32 v25, 3, v18
	v_lshlrev_b32_e32 v26, 3, v24
	v_or_b32_e32 v25, v26, v25
	v_lshlrev_b32_e32 v25, 4, v25
	v_and_b32_e32 v26, 0x78, v26
	v_xor_b32_e32 v25, v25, v26
	s_branch .LBB227_31
.LBB227_29:
                                        ; implicit-def: $vgpr25
                                        ; implicit-def: $vgpr21
                                        ; implicit-def: $vgpr6_vgpr7_vgpr8_vgpr9
                                        ; implicit-def: $vgpr2_vgpr3_vgpr4_vgpr5
                                        ; implicit-def: $vgpr14_vgpr15_vgpr16_vgpr17
                                        ; implicit-def: $vgpr10_vgpr11_vgpr12_vgpr13
	s_cbranch_execz .LBB227_31
; %bb.30:
	s_waitcnt vmcnt(0)
	v_lshlrev_b32_e32 v2, 1, v18
	v_lshl_or_b32 v21, v24, 8, v2
	s_and_b32 s1, s1, 0xffff
	s_mov_b32 s3, 0x20000
	s_movk_i32 s2, 0x4000
	v_lshl_or_b32 v25, v20, 8, v2
	s_movk_i32 s12, 0x80
	buffer_load_dwordx4 v[6:9], v21, s[0:3], 0 offen
	buffer_load_dwordx4 v[2:5], v21, s[0:3], s12 offen
	;; [unrolled: 1-line block ×4, first 2 shown]
	v_lshrrev_b32_e32 v21, 3, v18
	v_lshlrev_b32_e32 v25, 3, v24
	v_or_b32_e32 v21, v25, v21
	v_lshlrev_b32_e32 v21, 4, v21
	v_and_b32_e32 v25, 0x78, v25
	v_xor_b32_e32 v25, v21, v25
	v_lshlrev_b32_e32 v21, 7, v20
.LBB227_31:
	s_movk_i32 s0, 0x1000
	v_and_or_b32 v20, v21, s0, v25
	s_waitcnt vmcnt(1)
	ds_write_b64 v25, v[6:7] offset:49152
	v_xor_b32_e32 v6, 8, v25
	ds_write_b64 v6, v[8:9] offset:49152
	s_waitcnt vmcnt(0)
	ds_write_b64 v25, v[2:3] offset:57344
	ds_write_b64 v6, v[4:5] offset:57344
	;; [unrolled: 1-line block ×3, first 2 shown]
	v_xor_b32_e32 v2, 8, v20
	ds_write_b64 v2, v[16:17] offset:49152
	ds_write_b64 v20, v[10:11] offset:57344
	;; [unrolled: 1-line block ×3, first 2 shown]
	v_or_b32_e32 v2, v1, v79
	v_lshlrev_b32_e32 v3, 11, v77
	v_lshlrev_b32_e32 v2, 3, v2
	v_and_b32_e32 v6, 0x1000, v3
	v_lshrrev_b32_e32 v3, 5, v76
	s_movk_i32 s0, 0xf8
	v_and_or_b32 v3, v2, s0, v3
	v_lshlrev_b32_e32 v7, 4, v3
	v_and_b32_e32 v8, 0x78, v2
	v_or_b32_e32 v10, 32, v7
	v_lshrrev_b32_e32 v3, 1, v76
	v_xor_b32_e32 v10, v10, v8
	v_xor_b32_e32 v2, v7, v8
	v_and_b32_e32 v9, 8, v3
	v_or_b32_e32 v10, v10, v6
	v_or_b32_e32 v2, v2, v6
	v_xor_b32_e32 v27, v10, v9
	v_or_b32_e32 v10, 64, v7
	v_xor_b32_e32 v26, v2, v9
	v_xor_b32_e32 v10, v10, v8
	s_waitcnt lgkmcnt(0)
	s_barrier
	v_or_b32_e32 v13, v10, v6
	ds_read_b64 v[10:11], v26 offset:49152
	v_lshl_or_b32 v14, v78, 8, v34
	v_lshlrev_b32_e32 v25, 1, v14
	v_add_u32_e32 v12, 0x4000, v25
	ds_read2_b64 v[2:5], v12 offset1:16
	v_or_b32_e32 v7, 0x60, v7
	v_xor_b32_e32 v7, v7, v8
	v_or_b32_e32 v6, v7, v6
	v_xor_b32_e32 v28, v13, v9
	v_xor_b32_e32 v29, v6, v9
	ds_read_b64 v[20:21], v27 offset:49152
	ds_read_b64 v[36:37], v28 offset:49152
	;; [unrolled: 1-line block ×3, first 2 shown]
	s_waitcnt lgkmcnt(3)
	v_mfma_f32_16x16x16_bf16 a[0:3], v[10:11], v[2:3], 0
	ds_read2st64_b64 v[6:9], v25 offset0:36 offset1:40
	s_lshl_b64 s[0:1], s[24:25], 8
	s_add_u32 s4, s4, s0
	v_mfma_f32_16x16x16_bf16 a[4:7], v[10:11], v[4:5], 0
	ds_read2_b64 v[2:5], v12 offset0:32 offset1:48
	s_addc_u32 s5, s5, s1
	s_add_i32 s1, s43, s33
	s_waitcnt lgkmcnt(0)
	v_mfma_f32_16x16x16_bf16 a[8:11], v[10:11], v[2:3], 0
	v_or_b32_e32 v2, 64, v14
	v_lshlrev_b32_e32 v30, 1, v2
	s_add_i32 s0, s35, -1
	v_mfma_f32_16x16x16_bf16 a[12:15], v[10:11], v[4:5], 0
	ds_read2st64_b64 v[2:5], v30 offset0:36 offset1:40
	s_add_i32 s39, s1, s42
	s_add_i32 s1, s45, s44
	v_mfma_f32_16x16x16_bf16 a[0:3], v[20:21], v[6:7], a[0:3]
	v_or_b32_e32 v6, 0x80, v14
	v_lshlrev_b32_e32 v31, 1, v6
	ds_read2st64_b64 v[10:13], v31 offset0:36 offset1:40
	s_waitcnt lgkmcnt(1)
	v_mfma_f32_16x16x16_bf16 a[4:7], v[20:21], v[2:3], a[4:7]
	v_or_b32_e32 v2, 0xc0, v14
	v_lshlrev_b32_e32 v32, 1, v2
	ds_read2st64_b64 v[14:17], v32 offset0:36 offset1:40
	s_add_i32 s37, s1, s46
	s_ashr_i32 s1, s0, 31
	s_mul_i32 s2, s0, s31
	s_mul_hi_u32 s3, s0, s30
	s_add_i32 s2, s3, s2
	s_mul_i32 s1, s1, s30
	s_waitcnt lgkmcnt(1)
	v_mfma_f32_16x16x16_bf16 a[8:11], v[20:21], v[10:11], a[8:11]
	s_add_i32 s1, s2, s1
	s_lshl_b64 s[2:3], s[38:39], 2
	s_add_u32 s10, s10, s2
	s_waitcnt lgkmcnt(0)
	v_mfma_f32_16x16x16_bf16 a[12:15], v[20:21], v[14:15], a[12:15]
	s_addc_u32 s11, s11, s3
	s_lshl_b64 s[2:3], s[36:37], 2
	s_mul_i32 s0, s0, s30
	v_mfma_f32_16x16x16_bf16 a[0:3], v[36:37], v[8:9], a[0:3]
	ds_read_b64 v[2:3], v25 offset:22528
	s_add_u32 s10, s10, s2
	s_addc_u32 s11, s11, s3
	v_mfma_f32_16x16x16_bf16 a[4:7], v[36:37], v[4:5], a[4:7]
	ds_read_b64 v[4:5], v30 offset:22528
	ds_read_b64 v[6:7], v31 offset:22528
	;; [unrolled: 1-line block ×3, first 2 shown]
	s_lshl_b64 s[0:1], s[0:1], 2
	s_add_u32 s0, s10, s0
	v_mfma_f32_16x16x16_bf16 a[8:11], v[36:37], v[12:13], a[8:11]
	s_addc_u32 s1, s11, s1
	s_load_dword s12, s[0:1], 0x0
	s_and_b64 vcc, exec, s[22:23]
	v_mfma_f32_16x16x16_bf16 a[12:15], v[36:37], v[16:17], a[12:15]
	s_waitcnt lgkmcnt(0)
	v_mfma_f32_16x16x16_bf16 a[0:3], v[38:39], v[2:3], a[0:3]
	v_mfma_f32_16x16x16_bf16 a[4:7], v[38:39], v[4:5], a[4:7]
	;; [unrolled: 1-line block ×4, first 2 shown]
	s_cbranch_vccz .LBB227_42
; %bb.32:
	v_lshlrev_b32_e32 v20, 1, v24
	s_and_b64 vcc, exec, s[6:7]
	s_cbranch_vccz .LBB227_43
; %bb.33:
	v_cmp_gt_i32_e32 vcc, s27, v20
	v_mov_b32_e32 v6, 0
	v_mov_b32_e32 v2, 0
	;; [unrolled: 1-line block ×5, first 2 shown]
	s_and_saveexec_b64 s[0:1], vcc
	s_cbranch_execz .LBB227_35
; %bb.34:
	v_mad_i64_i32 v[2:3], s[2:3], s15, v20, 0
	v_lshl_add_u64 v[2:3], v[2:3], 1, s[4:5]
	v_lshlrev_b32_e32 v4, 1, v18
	v_mov_b32_e32 v5, 0
	v_lshl_add_u64 v[2:3], v[2:3], 0, v[4:5]
	global_load_dwordx4 v[2:5], v[2:3], off
.LBB227_35:
	s_or_b64 exec, exec, s[0:1]
	v_or_b32_e32 v21, 1, v20
	v_cmp_gt_i32_e64 s[0:1], s27, v21
	v_mov_b32_e32 v7, 0
	v_mov_b32_e32 v8, 0
	v_mov_b32_e32 v9, 0
	s_and_saveexec_b64 s[2:3], s[0:1]
	s_cbranch_execz .LBB227_37
; %bb.36:
	v_mad_i64_i32 v[6:7], s[16:17], s15, v21, 0
	v_lshl_add_u64 v[6:7], v[6:7], 1, s[4:5]
	v_lshlrev_b32_e32 v8, 1, v18
	v_mov_b32_e32 v9, 0
	v_lshl_add_u64 v[6:7], v[6:7], 0, v[8:9]
	global_load_dwordx4 v[6:9], v[6:7], off
.LBB227_37:
	s_or_b64 exec, exec, s[2:3]
	v_mov_b32_e32 v17, 0
	v_mov_b32_e32 v10, 0
	;; [unrolled: 1-line block ×5, first 2 shown]
	s_and_saveexec_b64 s[2:3], vcc
	s_cbranch_execz .LBB227_39
; %bb.38:
	v_mad_i64_i32 v[10:11], s[16:17], s15, v20, 0
	v_lshl_add_u64 v[10:11], v[10:11], 1, s[4:5]
	v_lshlrev_b32_e32 v12, 1, v18
	v_mov_b32_e32 v13, 0
	v_lshl_add_u64 v[10:11], v[10:11], 0, v[12:13]
	global_load_dwordx4 v[10:13], v[10:11], off offset:128
.LBB227_39:
	s_or_b64 exec, exec, s[2:3]
	v_mov_b32_e32 v16, 0
	v_mov_b32_e32 v15, 0
	;; [unrolled: 1-line block ×3, first 2 shown]
	s_and_saveexec_b64 s[2:3], s[0:1]
	s_cbranch_execz .LBB227_41
; %bb.40:
	v_mad_i64_i32 v[14:15], s[0:1], s15, v21, 0
	v_lshl_add_u64 v[14:15], v[14:15], 1, s[4:5]
	v_lshlrev_b32_e32 v16, 1, v18
	v_mov_b32_e32 v17, 0
	v_lshl_add_u64 v[14:15], v[14:15], 0, v[16:17]
	global_load_dwordx4 v[14:17], v[14:15], off offset:128
.LBB227_41:
	s_or_b64 exec, exec, s[2:3]
	s_branch .LBB227_45
.LBB227_42:
                                        ; implicit-def: $vgpr5
                                        ; implicit-def: $vgpr9
                                        ; implicit-def: $vgpr13
                                        ; implicit-def: $vgpr17
	v_lshrrev_b32_e32 v33, 2, v76
	s_branch .LBB227_46
.LBB227_43:
                                        ; implicit-def: $vgpr5
                                        ; implicit-def: $vgpr9
                                        ; implicit-def: $vgpr13
                                        ; implicit-def: $vgpr17
	s_cbranch_execz .LBB227_45
; %bb.44:
	s_waitcnt vmcnt(0)
	v_mad_u64_u32 v[2:3], s[0:1], v20, s15, v[18:19]
	v_lshlrev_b32_e32 v20, 1, v2
	s_lshl_b32 s2, s15, 7
	s_and_b32 s1, s5, 0xffff
	s_mov_b32 s3, 0x20000
	s_mov_b32 s0, s4
	v_add_lshl_u32 v21, v2, s15, 1
	s_movk_i32 s13, 0x80
	buffer_load_dwordx4 v[2:5], v20, s[0:3], 0 offen
	buffer_load_dwordx4 v[10:13], v20, s[0:3], s13 offen
	;; [unrolled: 1-line block ×4, first 2 shown]
.LBB227_45:
	v_lshrrev_b32_e32 v33, 2, v76
	s_cbranch_execnz .LBB227_58
.LBB227_46:
	s_and_b64 vcc, exec, s[6:7]
	s_cbranch_vccz .LBB227_56
; %bb.47:
	s_waitcnt vmcnt(0)
	v_lshlrev_b32_e32 v7, 1, v24
	v_cmp_gt_i32_e32 vcc, s27, v7
	v_mov_b32_e32 v6, 0
	v_lshlrev_b32_e32 v14, 9, v24
	v_mov_b32_e32 v2, 0
	v_mov_b32_e32 v3, 0
	v_mov_b32_e32 v4, 0
	v_mov_b32_e32 v5, 0
	s_and_saveexec_b64 s[0:1], vcc
	s_cbranch_execz .LBB227_49
; %bb.48:
	v_mov_b32_e32 v15, 0
	v_lshl_add_u64 v[2:3], s[4:5], 0, v[14:15]
	v_lshlrev_b32_e32 v4, 1, v18
	v_mov_b32_e32 v5, v15
	v_lshl_add_u64 v[2:3], v[2:3], 0, v[4:5]
	global_load_dwordx4 v[2:5], v[2:3], off
.LBB227_49:
	s_or_b64 exec, exec, s[0:1]
	v_or_b32_e32 v7, 1, v7
	v_cmp_gt_i32_e64 s[0:1], s27, v7
	v_lshlrev_b32_e32 v20, 8, v7
	v_mov_b32_e32 v7, 0
	v_mov_b32_e32 v8, 0
	;; [unrolled: 1-line block ×3, first 2 shown]
	s_and_saveexec_b64 s[2:3], s[0:1]
	s_cbranch_execz .LBB227_51
; %bb.50:
	v_mov_b32_e32 v21, 0
	v_lshl_add_u64 v[6:7], s[4:5], 0, v[20:21]
	v_lshlrev_b32_e32 v8, 1, v18
	v_mov_b32_e32 v9, v21
	v_lshl_add_u64 v[6:7], v[6:7], 0, v[8:9]
	global_load_dwordx4 v[6:9], v[6:7], off
.LBB227_51:
	s_or_b64 exec, exec, s[2:3]
	v_mov_b32_e32 v17, 0
	v_mov_b32_e32 v10, 0
	;; [unrolled: 1-line block ×5, first 2 shown]
	s_and_saveexec_b64 s[2:3], vcc
	s_cbranch_execz .LBB227_53
; %bb.52:
	v_mov_b32_e32 v15, 0
	v_lshl_add_u64 v[10:11], s[4:5], 0, v[14:15]
	v_lshlrev_b32_e32 v14, 1, v18
	v_lshl_add_u64 v[10:11], v[10:11], 0, v[14:15]
	global_load_dwordx4 v[10:13], v[10:11], off offset:128
.LBB227_53:
	s_or_b64 exec, exec, s[2:3]
	v_mov_b32_e32 v16, 0
	v_mov_b32_e32 v15, 0
	;; [unrolled: 1-line block ×3, first 2 shown]
	s_and_saveexec_b64 s[2:3], s[0:1]
	s_cbranch_execz .LBB227_55
; %bb.54:
	v_mov_b32_e32 v21, 0
	v_lshl_add_u64 v[14:15], s[4:5], 0, v[20:21]
	v_lshlrev_b32_e32 v20, 1, v18
	v_lshl_add_u64 v[14:15], v[14:15], 0, v[20:21]
	global_load_dwordx4 v[14:17], v[14:15], off offset:128
.LBB227_55:
	s_or_b64 exec, exec, s[2:3]
	s_branch .LBB227_58
.LBB227_56:
                                        ; implicit-def: $vgpr5
                                        ; implicit-def: $vgpr9
                                        ; implicit-def: $vgpr13
                                        ; implicit-def: $vgpr17
	s_cbranch_execz .LBB227_58
; %bb.57:
	s_waitcnt vmcnt(0)
	v_lshlrev_b32_e32 v2, 1, v18
	v_lshl_or_b32 v18, v24, 9, v2
	s_and_b32 s5, s5, 0xffff
	s_mov_b32 s7, 0x20000
	s_movk_i32 s6, 0x4000
	s_movk_i32 s0, 0x80
	buffer_load_dwordx4 v[2:5], v18, s[4:7], 0 offen
	buffer_load_dwordx4 v[6:9], v18, s[4:7], 0 offen offset:256
	buffer_load_dwordx4 v[10:13], v18, s[4:7], s0 offen
	buffer_load_dwordx4 v[14:17], v18, s[4:7], s0 offen offset:256
.LBB227_58:
	ds_read_b64 v[20:21], v26 offset:57344
	v_add_u32_e32 v18, 0x6000, v25
	ds_read2_b64 v[36:39], v18 offset1:16
	ds_read_b64 v[48:49], v27 offset:57344
	ds_read_b64 v[50:51], v28 offset:57344
	;; [unrolled: 1-line block ×3, first 2 shown]
	ds_read2_b64 v[26:29], v18 offset0:32 offset1:48
	v_and_b32_e32 v18, 6, v0
	v_xor_b32_e32 v24, v24, v18
	v_lshlrev_b32_e32 v24, 2, v24
	v_and_b32_e32 v0, 1, v0
	v_cmp_eq_u32_e32 vcc, 0, v0
	s_waitcnt lgkmcnt(4)
	v_mfma_f32_16x16x16_bf16 a[0:3], v[20:21], v[36:37], a[0:3]
	s_mov_b32 s0, 0x1000504
	s_mov_b32 s1, 0x3020706
	v_mfma_f32_16x16x16_bf16 a[4:7], v[20:21], v[38:39], a[4:7]
	ds_read2st64_b64 v[36:39], v25 offset0:52 offset1:56
	s_waitcnt lgkmcnt(1)
	v_mfma_f32_16x16x16_bf16 a[8:11], v[20:21], v[26:27], a[8:11]
	v_mfma_f32_16x16x16_bf16 a[12:15], v[20:21], v[28:29], a[12:15]
	ds_read2st64_b64 v[26:29], v30 offset0:52 offset1:56
	ds_read2st64_b64 v[40:43], v31 offset0:52 offset1:56
	;; [unrolled: 1-line block ×3, first 2 shown]
	s_waitcnt lgkmcnt(3)
	v_mfma_f32_16x16x16_bf16 a[0:3], v[48:49], v[36:37], a[0:3]
	ds_read_b64 v[20:21], v25 offset:30720
	ds_read_b64 v[36:37], v30 offset:30720
	;; [unrolled: 1-line block ×4, first 2 shown]
	v_xor_b32_e32 v25, 0x440, v24
	v_cndmask_b32_e32 v0, v25, v24, vcc
	s_waitcnt lgkmcnt(6)
	v_mfma_f32_16x16x16_bf16 a[4:7], v[48:49], v[26:27], a[4:7]
	v_lshl_or_b32 v0, v18, 10, v0
	s_waitcnt vmcnt(0)
	v_perm_b32 v18, v2, v6, s0
	v_perm_b32 v24, v10, v14, s0
	s_waitcnt lgkmcnt(5)
	v_mfma_f32_16x16x16_bf16 a[8:11], v[48:49], v[40:41], a[8:11]
	ds_write2st64_b32 v0, v18, v24 offset0:128 offset1:160
	v_xor_b32_e32 v18, 8, v0
	v_perm_b32 v2, v2, v6, s1
	s_waitcnt lgkmcnt(5)
	v_mfma_f32_16x16x16_bf16 a[12:15], v[48:49], v[44:45], a[12:15]
	v_perm_b32 v6, v10, v14, s1
	v_add_u32_e32 v10, 0x80, v18
	ds_write2st64_b32 v10, v2, v6 offset0:128 offset1:160
	v_mfma_f32_16x16x16_bf16 a[0:3], v[50:51], v[38:39], a[0:3]
	v_xor_b32_e32 v2, 16, v0
	v_perm_b32 v6, v3, v7, s0
	v_perm_b32 v10, v11, v15, s0
	v_mfma_f32_16x16x16_bf16 a[4:7], v[50:51], v[28:29], a[4:7]
	ds_write2st64_b32 v2, v6, v10 offset0:129 offset1:161
	v_xor_b32_e32 v2, 24, v0
	v_perm_b32 v3, v3, v7, s1
	v_mfma_f32_16x16x16_bf16 a[16:19], v[50:51], v[42:43], a[8:11]
	v_perm_b32 v6, v11, v15, s1
	v_add_u32_e32 v2, 0x80, v2
	ds_write2st64_b32 v2, v3, v6 offset0:129 offset1:161
	v_mfma_f32_16x16x16_bf16 a[20:23], v[50:51], v[46:47], a[12:15]
	v_xor_b32_e32 v2, 32, v0
	v_perm_b32 v3, v4, v8, s0
	v_perm_b32 v6, v12, v16, s0
	s_waitcnt lgkmcnt(7)
	v_mfma_f32_16x16x16_bf16 a[12:15], v[52:53], v[20:21], a[0:3]
	ds_write2st64_b32 v2, v3, v6 offset0:130 offset1:162
	v_xor_b32_e32 v2, 40, v0
	v_perm_b32 v3, v4, v8, s1
	s_waitcnt lgkmcnt(7)
	v_mfma_f32_16x16x16_bf16 a[8:11], v[52:53], v[36:37], a[4:7]
	v_perm_b32 v4, v12, v16, s1
	v_add_u32_e32 v2, 0x80, v2
	ds_write2st64_b32 v2, v3, v4 offset0:130 offset1:162
	s_waitcnt lgkmcnt(7)
	v_mfma_f32_16x16x16_bf16 a[4:7], v[52:53], v[30:31], a[16:19]
	v_xor_b32_e32 v2, 48, v0
	v_perm_b32 v3, v5, v9, s0
	v_perm_b32 v4, v13, v17, s0
	s_waitcnt lgkmcnt(6)
	v_mfma_f32_16x16x16_bf16 a[0:3], v[52:53], v[54:55], a[20:23]
	v_xor_b32_e32 v0, 56, v0
	v_and_or_b32 v21, v33, 12, v1
	ds_write2st64_b32 v2, v3, v4 offset0:131 offset1:163
	v_perm_b32 v2, v5, v9, s1
	v_perm_b32 v3, v13, v17, s1
	v_add_u32_e32 v0, 0x80, v0
	v_cmp_gt_i32_e32 vcc, s27, v21
	v_mov_b32_e32 v16, 0
	v_mov_b32_e32 v18, 0
	ds_write2st64_b32 v0, v2, v3 offset0:131 offset1:163
	s_and_saveexec_b64 s[0:1], vcc
	s_cbranch_execz .LBB227_60
; %bb.59:
	v_add_u32_e32 v0, s26, v21
	v_ashrrev_i32_e32 v1, 31, v0
	v_mul_lo_u32 v2, v1, s30
	v_mul_lo_u32 v3, v0, s31
	v_mad_u64_u32 v[0:1], s[2:3], v0, s30, 0
	v_add3_u32 v1, v1, v3, v2
	v_lshl_add_u64 v[0:1], v[0:1], 2, s[10:11]
	global_load_dword v0, v[0:1], off
	s_waitcnt vmcnt(0)
	v_sub_f32_e32 v0, s12, v0
	v_mul_f32_e32 v0, 0x3fb8aa3b, v0
	v_exp_f32_e32 v18, v0
.LBB227_60:
	s_or_b64 exec, exec, s[0:1]
	v_or_b32_e32 v10, 1, v21
	v_cmp_gt_i32_e64 s[0:1], s27, v10
	s_and_saveexec_b64 s[2:3], s[0:1]
	s_cbranch_execz .LBB227_62
; %bb.61:
	v_add_u32_e32 v0, s26, v10
	v_ashrrev_i32_e32 v1, 31, v0
	v_mul_lo_u32 v2, v1, s30
	v_mul_lo_u32 v3, v0, s31
	v_mad_u64_u32 v[0:1], s[4:5], v0, s30, 0
	v_add3_u32 v1, v1, v3, v2
	v_lshl_add_u64 v[0:1], v[0:1], 2, s[10:11]
	global_load_dword v0, v[0:1], off
	s_waitcnt vmcnt(0)
	v_sub_f32_e32 v0, s12, v0
	v_mul_f32_e32 v0, 0x3fb8aa3b, v0
	v_exp_f32_e32 v16, v0
.LBB227_62:
	s_or_b64 exec, exec, s[2:3]
	v_or_b32_e32 v12, 2, v21
	v_cmp_gt_i32_e64 s[2:3], s27, v12
	v_mov_b32_e32 v17, 0
	v_mov_b32_e32 v20, 0
	s_and_saveexec_b64 s[4:5], s[2:3]
	s_cbranch_execz .LBB227_64
; %bb.63:
	v_add_u32_e32 v0, s26, v12
	v_ashrrev_i32_e32 v1, 31, v0
	v_mul_lo_u32 v2, v1, s30
	v_mul_lo_u32 v3, v0, s31
	v_mad_u64_u32 v[0:1], s[6:7], v0, s30, 0
	v_add3_u32 v1, v1, v3, v2
	v_lshl_add_u64 v[0:1], v[0:1], 2, s[10:11]
	global_load_dword v0, v[0:1], off
	s_waitcnt vmcnt(0)
	v_sub_f32_e32 v0, s12, v0
	v_mul_f32_e32 v0, 0x3fb8aa3b, v0
	v_exp_f32_e32 v20, v0
.LBB227_64:
	s_or_b64 exec, exec, s[4:5]
	v_or_b32_e32 v14, 3, v21
	v_cmp_gt_i32_e64 s[4:5], s27, v14
	s_and_saveexec_b64 s[6:7], s[4:5]
	s_cbranch_execz .LBB227_66
; %bb.65:
	v_add_u32_e32 v0, s26, v14
	v_ashrrev_i32_e32 v1, 31, v0
	v_mul_lo_u32 v2, v1, s30
	v_mul_lo_u32 v3, v0, s31
	v_mad_u64_u32 v[0:1], s[14:15], v0, s30, 0
	v_add3_u32 v1, v1, v3, v2
	v_lshl_add_u64 v[0:1], v[0:1], 2, s[10:11]
	global_load_dword v0, v[0:1], off
	s_waitcnt vmcnt(0)
	v_sub_f32_e32 v0, s12, v0
	v_mul_f32_e32 v0, 0x3fb8aa3b, v0
	v_exp_f32_e32 v17, v0
.LBB227_66:
	s_or_b64 exec, exec, s[6:7]
	s_add_u32 s6, s8, s20
	s_addc_u32 s7, s9, s21
	s_add_u32 s8, s28, s20
	v_ashrrev_i32_e32 v67, 31, v66
	v_accvgpr_read_b32 v0, a12
	s_addc_u32 s9, s29, s21
	v_lshlrev_b64 v[4:5], 1, v[66:67]
	v_accvgpr_read_b32 v1, a13
	v_accvgpr_read_b32 v2, a14
	;; [unrolled: 1-line block ×3, first 2 shown]
	v_lshl_add_u64 v[6:7], s[6:7], 0, v[4:5]
	v_lshl_add_u64 v[4:5], s[8:9], 0, v[4:5]
	v_mov_b32_e32 v11, 0
	v_lshlrev_b32_e32 v8, 8, v21
	v_mov_b32_e32 v9, 0
	s_and_saveexec_b64 s[6:7], vcc
	s_cbranch_execz .LBB227_68
; %bb.67:
	v_mov_b32_e32 v9, 0
	v_lshl_add_u64 v[24:25], v[6:7], 0, v[8:9]
	global_load_ushort v13, v[24:25], off
	v_lshl_add_u64 v[24:25], v[4:5], 0, v[8:9]
	s_waitcnt vmcnt(0)
	v_lshlrev_b32_e32 v9, 16, v13
	v_sub_f32_e32 v0, v9, v0
	global_store_short_d16_hi v[24:25], v0, off
	v_mul_f32_e32 v0, v18, v0
	v_lshrrev_b32_e32 v9, 16, v0
.LBB227_68:
	s_or_b64 exec, exec, s[6:7]
	v_lshlrev_b32_e32 v10, 8, v10
	s_and_saveexec_b64 s[6:7], s[0:1]
	s_cbranch_execz .LBB227_70
; %bb.69:
	v_mov_b32_e32 v11, 0
	v_lshl_add_u64 v[24:25], v[6:7], 0, v[10:11]
	global_load_ushort v0, v[24:25], off
	v_lshl_add_u64 v[24:25], v[4:5], 0, v[10:11]
	s_waitcnt vmcnt(0)
	v_lshlrev_b32_e32 v0, 16, v0
	v_sub_f32_e32 v0, v0, v1
	global_store_short_d16_hi v[24:25], v0, off
	v_mul_f32_e32 v0, v16, v0
	v_lshrrev_b32_e32 v11, 16, v0
.LBB227_70:
	s_or_b64 exec, exec, s[6:7]
	v_mov_b32_e32 v15, 0
	v_lshlrev_b32_e32 v12, 8, v12
	v_mov_b32_e32 v13, 0
	s_and_saveexec_b64 s[6:7], s[2:3]
	s_cbranch_execz .LBB227_72
; %bb.71:
	v_mov_b32_e32 v13, 0
	v_lshl_add_u64 v[0:1], v[6:7], 0, v[12:13]
	global_load_ushort v24, v[0:1], off
	v_lshl_add_u64 v[0:1], v[4:5], 0, v[12:13]
	s_waitcnt vmcnt(0)
	v_lshlrev_b32_e32 v13, 16, v24
	v_sub_f32_e32 v2, v13, v2
	global_store_short_d16_hi v[0:1], v2, off
	v_mul_f32_e32 v0, v20, v2
	v_lshrrev_b32_e32 v13, 16, v0
.LBB227_72:
	s_or_b64 exec, exec, s[6:7]
	v_lshlrev_b32_e32 v14, 8, v14
	s_and_saveexec_b64 s[6:7], s[4:5]
	s_cbranch_execz .LBB227_74
; %bb.73:
	v_mov_b32_e32 v15, 0
	v_lshl_add_u64 v[0:1], v[6:7], 0, v[14:15]
	global_load_ushort v2, v[0:1], off
	v_lshl_add_u64 v[0:1], v[4:5], 0, v[14:15]
	s_waitcnt vmcnt(0)
	v_lshlrev_b32_e32 v2, 16, v2
	v_sub_f32_e32 v2, v2, v3
	global_store_short_d16_hi v[0:1], v2, off
	v_mul_f32_e32 v0, v17, v2
	v_lshrrev_b32_e32 v15, 16, v0
.LBB227_74:
	s_or_b64 exec, exec, s[6:7]
	v_lshlrev_b32_e32 v21, 6, v21
	s_mov_b32 s6, 0x5040100
	v_perm_b32 v24, v11, v9, s6
	v_or_b32_e32 v9, v21, v34
	v_accvgpr_read_b32 v0, a8
	v_perm_b32 v25, v15, v13, s6
	v_lshlrev_b32_e32 v9, 1, v9
	v_accvgpr_read_b32 v1, a9
	v_accvgpr_read_b32 v2, a10
	;; [unrolled: 1-line block ×3, first 2 shown]
	ds_write_b64 v9, v[24:25] offset:24576
	v_mov_b32_e32 v11, 0
	v_mov_b32_e32 v9, 0
	s_and_saveexec_b64 s[6:7], vcc
	s_cbranch_execz .LBB227_76
; %bb.75:
	v_mov_b32_e32 v9, 0
	v_lshl_add_u64 v[24:25], v[6:7], 0, v[8:9]
	global_load_ushort v13, v[24:25], off offset:32
	v_lshl_add_u64 v[24:25], v[4:5], 0, v[8:9]
	s_waitcnt vmcnt(0)
	v_lshlrev_b32_e32 v9, 16, v13
	v_sub_f32_e32 v0, v9, v0
	global_store_short_d16_hi v[24:25], v0, off offset:32
	v_mul_f32_e32 v0, v18, v0
	v_lshrrev_b32_e32 v9, 16, v0
.LBB227_76:
	s_or_b64 exec, exec, s[6:7]
	s_and_saveexec_b64 s[6:7], s[0:1]
	s_cbranch_execz .LBB227_78
; %bb.77:
	v_mov_b32_e32 v11, 0
	v_lshl_add_u64 v[24:25], v[6:7], 0, v[10:11]
	global_load_ushort v0, v[24:25], off offset:32
	v_lshl_add_u64 v[24:25], v[4:5], 0, v[10:11]
	s_waitcnt vmcnt(0)
	v_lshlrev_b32_e32 v0, 16, v0
	v_sub_f32_e32 v0, v0, v1
	global_store_short_d16_hi v[24:25], v0, off offset:32
	v_mul_f32_e32 v0, v16, v0
	v_lshrrev_b32_e32 v11, 16, v0
.LBB227_78:
	s_or_b64 exec, exec, s[6:7]
	v_mov_b32_e32 v15, 0
	v_mov_b32_e32 v13, 0
	s_and_saveexec_b64 s[6:7], s[2:3]
	s_cbranch_execz .LBB227_80
; %bb.79:
	v_mov_b32_e32 v13, 0
	v_lshl_add_u64 v[0:1], v[6:7], 0, v[12:13]
	global_load_ushort v24, v[0:1], off offset:32
	v_lshl_add_u64 v[0:1], v[4:5], 0, v[12:13]
	s_waitcnt vmcnt(0)
	v_lshlrev_b32_e32 v13, 16, v24
	v_sub_f32_e32 v2, v13, v2
	global_store_short_d16_hi v[0:1], v2, off offset:32
	v_mul_f32_e32 v0, v20, v2
	v_lshrrev_b32_e32 v13, 16, v0
.LBB227_80:
	s_or_b64 exec, exec, s[6:7]
	s_and_saveexec_b64 s[6:7], s[4:5]
	s_cbranch_execz .LBB227_82
; %bb.81:
	v_mov_b32_e32 v15, 0
	v_lshl_add_u64 v[0:1], v[6:7], 0, v[14:15]
	global_load_ushort v2, v[0:1], off offset:32
	v_lshl_add_u64 v[0:1], v[4:5], 0, v[14:15]
	s_waitcnt vmcnt(0)
	v_lshlrev_b32_e32 v2, 16, v2
	v_sub_f32_e32 v2, v2, v3
	global_store_short_d16_hi v[0:1], v2, off offset:32
	v_mul_f32_e32 v0, v17, v2
	v_lshrrev_b32_e32 v15, 16, v0
.LBB227_82:
	s_or_b64 exec, exec, s[6:7]
	s_mov_b32 s6, 0x5040100
	v_perm_b32 v24, v11, v9, s6
	v_or_b32_e32 v9, v21, v23
	v_accvgpr_read_b32 v0, a4
	v_perm_b32 v25, v15, v13, s6
	v_lshlrev_b32_e32 v9, 1, v9
	v_accvgpr_read_b32 v1, a5
	v_accvgpr_read_b32 v2, a6
	v_accvgpr_read_b32 v3, a7
	ds_write_b64 v9, v[24:25] offset:24576
	v_mov_b32_e32 v11, 0
	v_mov_b32_e32 v9, 0
	s_and_saveexec_b64 s[6:7], vcc
	s_cbranch_execz .LBB227_84
; %bb.83:
	v_mov_b32_e32 v9, 0
	v_lshl_add_u64 v[24:25], v[6:7], 0, v[8:9]
	global_load_ushort v13, v[24:25], off offset:64
	v_lshl_add_u64 v[24:25], v[4:5], 0, v[8:9]
	s_waitcnt vmcnt(0)
	v_lshlrev_b32_e32 v9, 16, v13
	v_sub_f32_e32 v0, v9, v0
	global_store_short_d16_hi v[24:25], v0, off offset:64
	v_mul_f32_e32 v0, v18, v0
	v_lshrrev_b32_e32 v9, 16, v0
.LBB227_84:
	s_or_b64 exec, exec, s[6:7]
	s_and_saveexec_b64 s[6:7], s[0:1]
	s_cbranch_execz .LBB227_86
; %bb.85:
	v_mov_b32_e32 v11, 0
	v_lshl_add_u64 v[24:25], v[6:7], 0, v[10:11]
	global_load_ushort v0, v[24:25], off offset:64
	v_lshl_add_u64 v[24:25], v[4:5], 0, v[10:11]
	s_waitcnt vmcnt(0)
	v_lshlrev_b32_e32 v0, 16, v0
	v_sub_f32_e32 v0, v0, v1
	global_store_short_d16_hi v[24:25], v0, off offset:64
	v_mul_f32_e32 v0, v16, v0
	v_lshrrev_b32_e32 v11, 16, v0
.LBB227_86:
	s_or_b64 exec, exec, s[6:7]
	v_mov_b32_e32 v15, 0
	v_mov_b32_e32 v13, 0
	s_and_saveexec_b64 s[6:7], s[2:3]
	s_cbranch_execz .LBB227_88
; %bb.87:
	v_mov_b32_e32 v13, 0
	v_lshl_add_u64 v[0:1], v[6:7], 0, v[12:13]
	global_load_ushort v23, v[0:1], off offset:64
	v_lshl_add_u64 v[0:1], v[4:5], 0, v[12:13]
	s_waitcnt vmcnt(0)
	v_lshlrev_b32_e32 v13, 16, v23
	v_sub_f32_e32 v2, v13, v2
	global_store_short_d16_hi v[0:1], v2, off offset:64
	v_mul_f32_e32 v0, v20, v2
	v_lshrrev_b32_e32 v13, 16, v0
.LBB227_88:
	s_or_b64 exec, exec, s[6:7]
	s_and_saveexec_b64 s[6:7], s[4:5]
	s_cbranch_execz .LBB227_90
; %bb.89:
	v_mov_b32_e32 v15, 0
	v_lshl_add_u64 v[0:1], v[6:7], 0, v[14:15]
	global_load_ushort v2, v[0:1], off offset:64
	v_lshl_add_u64 v[0:1], v[4:5], 0, v[14:15]
	s_waitcnt vmcnt(0)
	v_lshlrev_b32_e32 v2, 16, v2
	v_sub_f32_e32 v2, v2, v3
	global_store_short_d16_hi v[0:1], v2, off offset:64
	v_mul_f32_e32 v0, v17, v2
	v_lshrrev_b32_e32 v15, 16, v0
.LBB227_90:
	s_or_b64 exec, exec, s[6:7]
	s_mov_b32 s6, 0x5040100
	v_perm_b32 v24, v11, v9, s6
	v_or_b32_e32 v9, v21, v22
	v_accvgpr_read_b32 v0, a0
	v_perm_b32 v25, v15, v13, s6
	v_lshlrev_b32_e32 v9, 1, v9
	v_accvgpr_read_b32 v1, a1
	v_accvgpr_read_b32 v2, a2
	;; [unrolled: 1-line block ×3, first 2 shown]
	ds_write_b64 v9, v[24:25] offset:24576
	v_mov_b32_e32 v11, 0
	v_mov_b32_e32 v9, 0
	s_and_saveexec_b64 s[6:7], vcc
	s_cbranch_execz .LBB227_92
; %bb.91:
	v_mov_b32_e32 v9, 0
	v_lshl_add_u64 v[22:23], v[6:7], 0, v[8:9]
	global_load_ushort v13, v[22:23], off offset:96
	v_lshl_add_u64 v[8:9], v[4:5], 0, v[8:9]
	s_waitcnt vmcnt(0)
	v_lshlrev_b32_e32 v13, 16, v13
	v_sub_f32_e32 v0, v13, v0
	global_store_short_d16_hi v[8:9], v0, off offset:96
	v_mul_f32_e32 v0, v18, v0
	v_lshrrev_b32_e32 v9, 16, v0
.LBB227_92:
	s_or_b64 exec, exec, s[6:7]
	s_and_saveexec_b64 s[6:7], s[0:1]
	s_cbranch_execz .LBB227_94
; %bb.93:
	v_mov_b32_e32 v11, 0
	v_lshl_add_u64 v[22:23], v[6:7], 0, v[10:11]
	global_load_ushort v0, v[22:23], off offset:96
	v_lshl_add_u64 v[10:11], v[4:5], 0, v[10:11]
	s_waitcnt vmcnt(0)
	v_lshlrev_b32_e32 v0, 16, v0
	v_sub_f32_e32 v0, v0, v1
	global_store_short_d16_hi v[10:11], v0, off offset:96
	v_mul_f32_e32 v0, v16, v0
	v_lshrrev_b32_e32 v11, 16, v0
.LBB227_94:
	s_or_b64 exec, exec, s[6:7]
	v_mov_b32_e32 v0, 0
	v_mov_b32_e32 v1, 0
	s_and_saveexec_b64 s[0:1], s[2:3]
	s_cbranch_execz .LBB227_96
; %bb.95:
	v_mov_b32_e32 v13, 0
	v_lshl_add_u64 v[22:23], v[6:7], 0, v[12:13]
	global_load_ushort v1, v[22:23], off offset:96
	v_lshl_add_u64 v[12:13], v[4:5], 0, v[12:13]
	s_waitcnt vmcnt(0)
	v_lshlrev_b32_e32 v1, 16, v1
	v_sub_f32_e32 v1, v1, v2
	global_store_short_d16_hi v[12:13], v1, off offset:96
	v_mul_f32_e32 v1, v20, v1
	v_lshrrev_b32_e32 v1, 16, v1
.LBB227_96:
	s_or_b64 exec, exec, s[0:1]
	s_and_saveexec_b64 s[0:1], s[4:5]
	s_cbranch_execz .LBB227_98
; %bb.97:
	v_mov_b32_e32 v15, 0
	v_lshl_add_u64 v[6:7], v[6:7], 0, v[14:15]
	global_load_ushort v0, v[6:7], off offset:96
	v_lshl_add_u64 v[4:5], v[4:5], 0, v[14:15]
	s_waitcnt vmcnt(0)
	v_lshlrev_b32_e32 v0, 16, v0
	v_sub_f32_e32 v0, v0, v3
	global_store_short_d16_hi v[4:5], v0, off offset:96
	v_mul_f32_e32 v0, v17, v0
	v_lshrrev_b32_e32 v0, 16, v0
.LBB227_98:
	s_or_b64 exec, exec, s[0:1]
	s_mov_b32 s0, 0x5040100
	v_or_b32_e32 v2, v21, v19
	v_perm_b32 v1, v0, v1, s0
	v_perm_b32 v0, v11, v9, s0
	v_lshlrev_b32_e32 v2, 1, v2
	ds_write_b64 v2, v[0:1] offset:24576
	s_waitcnt lgkmcnt(0)
	s_barrier
.LBB227_99:
	s_endpgm
	.section	.rodata,"a",@progbits
	.p2align	6, 0x0
	.amdhsa_kernel _ZN12_GLOBAL__N_139chunk_gated_delta_rule_fwd_h_hip_kernelILi64ELb1ELb0ELb1ELb1ELb0ELb0ELb1ELb0EEEvPK12hip_bfloat16S3_S3_PKfS5_PKvPS1_S8_PvPKiSB_iiiiilll
		.amdhsa_group_segment_fixed_size 65536
		.amdhsa_private_segment_fixed_size 0
		.amdhsa_kernarg_size 136
		.amdhsa_user_sgpr_count 2
		.amdhsa_user_sgpr_dispatch_ptr 0
		.amdhsa_user_sgpr_queue_ptr 0
		.amdhsa_user_sgpr_kernarg_segment_ptr 1
		.amdhsa_user_sgpr_dispatch_id 0
		.amdhsa_user_sgpr_kernarg_preload_length 0
		.amdhsa_user_sgpr_kernarg_preload_offset 0
		.amdhsa_user_sgpr_private_segment_size 0
		.amdhsa_uses_dynamic_stack 0
		.amdhsa_enable_private_segment 0
		.amdhsa_system_sgpr_workgroup_id_x 1
		.amdhsa_system_sgpr_workgroup_id_y 1
		.amdhsa_system_sgpr_workgroup_id_z 0
		.amdhsa_system_sgpr_workgroup_info 0
		.amdhsa_system_vgpr_workitem_id 0
		.amdhsa_next_free_vgpr 216
		.amdhsa_next_free_sgpr 63
		.amdhsa_accum_offset 180
		.amdhsa_reserve_vcc 1
		.amdhsa_float_round_mode_32 0
		.amdhsa_float_round_mode_16_64 0
		.amdhsa_float_denorm_mode_32 3
		.amdhsa_float_denorm_mode_16_64 3
		.amdhsa_dx10_clamp 1
		.amdhsa_ieee_mode 1
		.amdhsa_fp16_overflow 0
		.amdhsa_tg_split 0
		.amdhsa_exception_fp_ieee_invalid_op 0
		.amdhsa_exception_fp_denorm_src 0
		.amdhsa_exception_fp_ieee_div_zero 0
		.amdhsa_exception_fp_ieee_overflow 0
		.amdhsa_exception_fp_ieee_underflow 0
		.amdhsa_exception_fp_ieee_inexact 0
		.amdhsa_exception_int_div_zero 0
	.end_amdhsa_kernel
	.section	.text._ZN12_GLOBAL__N_139chunk_gated_delta_rule_fwd_h_hip_kernelILi64ELb1ELb0ELb1ELb1ELb0ELb0ELb1ELb0EEEvPK12hip_bfloat16S3_S3_PKfS5_PKvPS1_S8_PvPKiSB_iiiiilll,"axG",@progbits,_ZN12_GLOBAL__N_139chunk_gated_delta_rule_fwd_h_hip_kernelILi64ELb1ELb0ELb1ELb1ELb0ELb0ELb1ELb0EEEvPK12hip_bfloat16S3_S3_PKfS5_PKvPS1_S8_PvPKiSB_iiiiilll,comdat
.Lfunc_end227:
	.size	_ZN12_GLOBAL__N_139chunk_gated_delta_rule_fwd_h_hip_kernelILi64ELb1ELb0ELb1ELb1ELb0ELb0ELb1ELb0EEEvPK12hip_bfloat16S3_S3_PKfS5_PKvPS1_S8_PvPKiSB_iiiiilll, .Lfunc_end227-_ZN12_GLOBAL__N_139chunk_gated_delta_rule_fwd_h_hip_kernelILi64ELb1ELb0ELb1ELb1ELb0ELb0ELb1ELb0EEEvPK12hip_bfloat16S3_S3_PKfS5_PKvPS1_S8_PvPKiSB_iiiiilll
                                        ; -- End function
	.section	.AMDGPU.csdata,"",@progbits
; Kernel info:
; codeLenInByte = 11144
; NumSgprs: 69
; NumVgprs: 180
; NumAgprs: 36
; TotalNumVgprs: 216
; ScratchSize: 0
; MemoryBound: 0
; FloatMode: 240
; IeeeMode: 1
; LDSByteSize: 65536 bytes/workgroup (compile time only)
; SGPRBlocks: 8
; VGPRBlocks: 26
; NumSGPRsForWavesPerEU: 69
; NumVGPRsForWavesPerEU: 216
; AccumOffset: 180
; Occupancy: 1
; WaveLimiterHint : 1
; COMPUTE_PGM_RSRC2:SCRATCH_EN: 0
; COMPUTE_PGM_RSRC2:USER_SGPR: 2
; COMPUTE_PGM_RSRC2:TRAP_HANDLER: 0
; COMPUTE_PGM_RSRC2:TGID_X_EN: 1
; COMPUTE_PGM_RSRC2:TGID_Y_EN: 1
; COMPUTE_PGM_RSRC2:TGID_Z_EN: 0
; COMPUTE_PGM_RSRC2:TIDIG_COMP_CNT: 0
; COMPUTE_PGM_RSRC3_GFX90A:ACCUM_OFFSET: 44
; COMPUTE_PGM_RSRC3_GFX90A:TG_SPLIT: 0
	.section	.text._ZN12_GLOBAL__N_139chunk_gated_delta_rule_fwd_h_hip_kernelILi64ELb1ELb0ELb0ELb1ELb0ELb0ELb1ELb0EEEvPK12hip_bfloat16S3_S3_PKfS5_PKvPS1_S8_PvPKiSB_iiiiilll,"axG",@progbits,_ZN12_GLOBAL__N_139chunk_gated_delta_rule_fwd_h_hip_kernelILi64ELb1ELb0ELb0ELb1ELb0ELb0ELb1ELb0EEEvPK12hip_bfloat16S3_S3_PKfS5_PKvPS1_S8_PvPKiSB_iiiiilll,comdat
	.globl	_ZN12_GLOBAL__N_139chunk_gated_delta_rule_fwd_h_hip_kernelILi64ELb1ELb0ELb0ELb1ELb0ELb0ELb1ELb0EEEvPK12hip_bfloat16S3_S3_PKfS5_PKvPS1_S8_PvPKiSB_iiiiilll ; -- Begin function _ZN12_GLOBAL__N_139chunk_gated_delta_rule_fwd_h_hip_kernelILi64ELb1ELb0ELb0ELb1ELb0ELb0ELb1ELb0EEEvPK12hip_bfloat16S3_S3_PKfS5_PKvPS1_S8_PvPKiSB_iiiiilll
	.p2align	8
	.type	_ZN12_GLOBAL__N_139chunk_gated_delta_rule_fwd_h_hip_kernelILi64ELb1ELb0ELb0ELb1ELb0ELb0ELb1ELb0EEEvPK12hip_bfloat16S3_S3_PKfS5_PKvPS1_S8_PvPKiSB_iiiiilll,@function
_ZN12_GLOBAL__N_139chunk_gated_delta_rule_fwd_h_hip_kernelILi64ELb1ELb0ELb0ELb1ELb0ELb0ELb1ELb0EEEvPK12hip_bfloat16S3_S3_PKfS5_PKvPS1_S8_PvPKiSB_iiiiilll: ; @_ZN12_GLOBAL__N_139chunk_gated_delta_rule_fwd_h_hip_kernelILi64ELb1ELb0ELb0ELb1ELb0ELb0ELb1ELb0EEEvPK12hip_bfloat16S3_S3_PKfS5_PKvPS1_S8_PvPKiSB_iiiiilll
; %bb.0:
	s_load_dwordx4 s[12:15], s[0:1], 0x5c
	s_load_dwordx4 s[20:23], s[0:1], 0x70
	s_abs_i32 s9, s3
	s_ashr_i32 s8, s3, 31
	s_load_dwordx4 s[4:7], s[0:1], 0x48
	s_waitcnt lgkmcnt(0)
	s_abs_i32 s10, s13
	v_cvt_f32_u32_e32 v1, s10
	s_sub_i32 s16, 0, s10
	s_ashr_i32 s11, s13, 31
	s_xor_b32 s8, s8, s11
	v_rcp_iflag_f32_e32 v1, v1
	v_and_b32_e32 v77, 15, v0
	v_lshrrev_b32_e32 v75, 6, v0
	v_bfe_u32 v76, v0, 4, 2
	v_mul_f32_e32 v1, 0x4f7ffffe, v1
	v_cvt_u32_f32_e32 v1, v1
	v_mov_b32_e32 v11, 0
	v_and_b32_e32 v74, 63, v0
	v_lshrrev_b32_e32 v79, 3, v74
	v_readfirstlane_b32 s17, v1
	s_mul_i32 s16, s16, s17
	s_mul_hi_u32 s16, s17, s16
	s_add_i32 s17, s17, s16
	s_mul_hi_u32 s16, s9, s17
	s_mul_i32 s17, s16, s10
	s_sub_i32 s9, s9, s17
	s_add_i32 s18, s16, 1
	s_sub_i32 s17, s9, s10
	s_cmp_ge_u32 s9, s10
	s_cselect_b32 s16, s18, s16
	s_cselect_b32 s9, s17, s9
	s_add_i32 s17, s16, 1
	s_cmp_ge_u32 s9, s10
	s_cselect_b32 s9, s17, s16
	s_load_dwordx4 s[16:19], s[0:1], 0x28
	s_xor_b32 s9, s9, s8
	s_sub_i32 s24, s9, s8
	s_mul_i32 s28, s24, s13
	s_ashr_i32 s25, s24, 31
	s_sub_i32 s45, s3, s28
	s_lshl_b64 s[8:9], s[24:25], 2
	s_add_u32 s4, s4, s8
	s_addc_u32 s5, s5, s9
	s_add_u32 s26, s6, s8
	s_addc_u32 s27, s7, s9
	s_abs_i32 s3, s14
	v_cvt_f32_u32_e32 v1, s3
	s_load_dwordx2 s[30:31], s[4:5], 0x0
	s_sub_i32 s5, 0, s3
	s_lshl_b32 s2, s2, 6
	v_rcp_iflag_f32_e32 v1, v1
	v_or_b32_e32 v66, s2, v77
	s_waitcnt lgkmcnt(0)
	s_sub_i32 s48, s31, s30
	s_ashr_i32 s4, s48, 31
	v_mul_f32_e32 v1, 0x4f7ffffe, v1
	v_cvt_u32_f32_e32 v1, v1
	s_lshr_b32 s4, s4, 26
	s_add_i32 s4, s48, s4
	s_ashr_i32 s47, s4, 6
	v_readfirstlane_b32 s6, v1
	s_mul_i32 s5, s5, s6
	s_mul_hi_u32 s5, s6, s5
	s_add_i32 s6, s6, s5
	s_mul_hi_u32 s5, s10, s6
	s_mul_i32 s6, s5, s3
	s_ashr_i32 s4, s14, 31
	s_sub_i32 s6, s10, s6
	s_xor_b32 s4, s11, s4
	s_add_i32 s7, s5, 1
	s_sub_i32 s8, s6, s3
	s_cmp_ge_u32 s6, s3
	s_cselect_b32 s5, s7, s5
	s_cselect_b32 s6, s8, s6
	s_add_i32 s7, s5, 1
	s_cmp_ge_u32 s6, s3
	s_cselect_b32 s3, s7, s5
	s_xor_b32 s3, s3, s4
	s_sub_i32 s3, s3, s4
	s_abs_i32 s4, s3
	v_cvt_f32_u32_e32 v1, s4
	s_sub_i32 s6, 0, s4
	s_abs_i32 s5, s45
	s_xor_b32 s3, s45, s3
	v_rcp_iflag_f32_e32 v1, v1
	s_ashr_i32 s3, s3, 31
	v_lshlrev_b32_e32 v2, 7, v66
	v_ashrrev_i32_e32 v3, 31, v2
	v_mul_f32_e32 v1, 0x4f7ffffe, v1
	v_cvt_u32_f32_e32 v1, v1
	s_mul_hi_i32 s51, s45, s12
	s_mul_i32 s52, s45, s12
	v_lshlrev_b32_e32 v78, 3, v0
	v_readfirstlane_b32 s7, v1
	s_mul_i32 s6, s6, s7
	s_mul_hi_u32 s6, s7, s6
	s_add_i32 s7, s7, s6
	s_mul_hi_u32 s6, s5, s7
	s_mul_i32 s7, s6, s4
	s_sub_i32 s5, s5, s7
	s_add_i32 s7, s6, 1
	s_sub_i32 s8, s5, s4
	s_cmp_ge_u32 s5, s4
	s_cselect_b32 s6, s7, s6
	s_cselect_b32 s5, s8, s5
	s_add_i32 s7, s6, 1
	s_cmp_ge_u32 s5, s4
	s_cselect_b32 s4, s7, s6
	s_xor_b32 s4, s4, s3
	s_sub_i32 s49, s4, s3
	s_ashr_i32 s46, s45, 31
	s_mul_hi_i32 s3, s24, s13
	s_add_u32 s4, s28, s45
	s_addc_u32 s5, s3, s46
	s_lshl_b64 s[4:5], s[4:5], 16
	v_lshlrev_b32_e32 v1, 4, v75
	s_add_u32 s4, s16, s4
	v_lshl_or_b32 v80, v76, 2, v1
	s_addc_u32 s5, s17, s5
	v_lshl_add_u64 v[4:5], v[2:3], 2, s[4:5]
	v_lshlrev_b32_e32 v10, 2, v80
	v_lshl_add_u64 v[4:5], v[4:5], 0, v[10:11]
	global_load_dwordx4 v[22:25], v[4:5], off
	global_load_dwordx4 v[30:33], v[4:5], off offset:256
	v_or_b32_e32 v4, 0x800, v2
	v_ashrrev_i32_e32 v5, 31, v4
	v_lshl_add_u64 v[4:5], v[4:5], 2, s[4:5]
	v_lshl_add_u64 v[4:5], v[4:5], 0, v[10:11]
	global_load_dwordx4 v[14:17], v[4:5], off
	global_load_dwordx4 v[26:29], v[4:5], off offset:256
	v_or_b32_e32 v4, 0x1000, v2
	v_or_b32_e32 v2, 0x1800, v2
	v_ashrrev_i32_e32 v5, 31, v4
	v_ashrrev_i32_e32 v3, 31, v2
	v_lshl_add_u64 v[4:5], v[4:5], 2, s[4:5]
	v_lshl_add_u64 v[2:3], v[2:3], 2, s[4:5]
	;; [unrolled: 1-line block ×4, first 2 shown]
	global_load_dwordx4 v[6:9], v[4:5], off
	global_load_dwordx4 v[18:21], v[4:5], off offset:256
	s_nop 0
	global_load_dwordx4 v[2:5], v[34:35], off
	global_load_dwordx4 v[10:13], v[34:35], off offset:256
	s_load_dwordx8 s[4:11], s[0:1], 0x0
	s_load_dwordx2 s[28:29], s[0:1], 0x80
	s_load_dword s50, s[26:27], 0x0
	v_or_b32_e32 v81, 64, v80
	s_cmp_lt_i32 s48, 64
	s_mul_i32 s33, s24, s21
	s_mul_hi_u32 s41, s24, s20
	s_mul_i32 s40, s25, s20
	s_mul_i32 s36, s24, s20
	s_mul_i32 s42, s45, s23
	s_mul_hi_u32 s43, s45, s22
	s_mul_i32 s44, s46, s22
	s_mul_i32 s34, s45, s22
	s_cbranch_scc1 .LBB228_18
; %bb.1:
	s_ashr_i32 s1, s30, 31
	s_add_u32 s0, s52, s30
	s_addc_u32 s1, s51, s1
	s_lshl_b64 s[0:1], s[0:1], 8
	v_and_b32_e32 v83, 56, v78
	s_waitcnt lgkmcnt(0)
	s_add_u32 s20, s6, s0
	v_lshl_or_b32 v82, v75, 3, v79
	v_lshlrev_b32_e32 v34, 1, v83
	s_addc_u32 s0, s7, s1
	v_lshl_or_b32 v84, v82, 8, v34
	s_and_b32 s21, s0, 0xffff
	s_mov_b32 s23, 0x20000
	s_movk_i32 s22, 0x4000
	s_movk_i32 s0, 0x80
	v_or_b32_e32 v85, 0x2000, v84
	buffer_load_dwordx4 v[36:39], v84, s[20:23], 0 offen
	buffer_load_dwordx4 v[40:43], v84, s[20:23], s0 offen
	;; [unrolled: 1-line block ×4, first 2 shown]
	v_lshlrev_b32_e32 v35, 3, v82
	v_and_or_b32 v53, v0, 7, v35
	v_and_b32_e32 v35, 0x78, v35
	v_lshlrev_b32_e32 v53, 4, v53
	v_xor_b32_e32 v86, v53, v35
	v_mul_lo_u32 v52, v82, s15
	v_or_b32_e32 v87, 0x1000, v86
	v_xor_b32_e32 v35, 8, v86
	s_cmpk_eq_i32 s15, 0x80
	s_mov_b32 s53, s30
	v_xor_b32_e32 v53, 8, v87
	s_cselect_b64 s[0:1], -1, 0
	s_cmpk_lg_i32 s15, 0x80
	s_waitcnt vmcnt(3)
	ds_write_b64 v86, v[36:37] offset:49152
	ds_write_b64 v35, v[38:39] offset:49152
	s_waitcnt vmcnt(2)
	ds_write_b64 v86, v[40:41] offset:57344
	ds_write_b64 v35, v[42:43] offset:57344
	;; [unrolled: 3-line block ×4, first 2 shown]
	v_lshl_add_u32 v35, v52, 1, v83
	s_cbranch_scc0 .LBB228_3
; %bb.2:
	v_lshlrev_b32_e32 v37, 1, v35
	v_add_lshl_u32 v36, v35, s15, 1
	s_lshl_b32 s22, s15, 7
	v_lshl_or_b32 v34, v82, 9, v34
	s_cbranch_execz .LBB228_4
	s_branch .LBB228_5
.LBB228_3:
                                        ; implicit-def: $vgpr36
                                        ; implicit-def: $vgpr37
                                        ; implicit-def: $sgpr22
	v_lshl_or_b32 v34, v82, 9, v34
.LBB228_4:
	v_or_b32_e32 v36, 0x100, v34
	s_movk_i32 s22, 0x4000
	v_mov_b32_e32 v37, v34
.LBB228_5:
	s_mul_i32 s16, s30, s14
	s_ashr_i32 s54, s49, 31
	s_mul_hi_i32 s3, s30, s14
	s_add_u32 s16, s16, s49
	s_addc_u32 s17, s3, s54
	s_lshl_b64 s[16:17], s[16:17], 8
	s_add_u32 s20, s4, s16
	s_addc_u32 s3, s5, s17
	s_and_b32 s21, s3, 0xffff
	s_movk_i32 s55, 0x80
	buffer_load_dwordx4 v[38:41], v37, s[20:23], 0 offen
	buffer_load_dwordx4 v[42:45], v37, s[20:23], s55 offen
	;; [unrolled: 1-line block ×4, first 2 shown]
	v_and_b32_e32 v37, 6, v0
	v_lshlrev_b32_e32 v36, 7, v80
	v_xor_b32_e32 v59, v82, v37
	v_and_b32_e32 v54, 1, v0
	v_lshl_or_b32 v62, v77, 3, v36
	v_lshlrev_b32_e32 v59, 2, v59
	v_lshlrev_b32_e32 v55, 2, v77
	v_or_b32_e32 v88, 0x4000, v62
	v_or_b32_e32 v89, 0x6000, v62
	v_xor_b32_e32 v62, 0x440, v59
	v_cmp_eq_u32_e32 vcc, 0, v54
	v_or_b32_e32 v57, 16, v77
	v_or_b32_e32 v58, 32, v77
	v_xor_b32_e32 v60, v80, v55
	v_xor_b32_e32 v61, v81, v55
	v_cndmask_b32_e32 v54, v62, v59, vcc
	s_mov_b32 s56, 0x1000504
	v_lshl_or_b32 v63, v57, 3, v36
	v_lshlrev_b32_e32 v57, 8, v57
	v_lshl_or_b32 v64, v58, 3, v36
	v_lshlrev_b32_e32 v60, 1, v60
	v_lshlrev_b32_e32 v61, 1, v61
	v_lshl_or_b32 v37, v37, 10, v54
	s_add_i32 s3, s41, s33
	s_mov_b32 s57, 0x3020706
	v_lshlrev_b32_e32 v56, 8, v77
	v_or_b32_e32 v92, 0x4000, v64
	v_or_b32_e32 v93, 0x6000, v64
	;; [unrolled: 1-line block ×4, first 2 shown]
	v_xor_b32_e32 v54, 8, v37
	v_xor_b32_e32 v57, 24, v37
	;; [unrolled: 1-line block ×4, first 2 shown]
	s_add_i32 s37, s3, s40
	s_add_i32 s3, s43, s42
	v_or_b32_e32 v90, 0x4000, v63
	v_or_b32_e32 v91, 0x6000, v63
	;; [unrolled: 1-line block ×4, first 2 shown]
	v_xor_b32_e32 v56, 16, v37
	v_xor_b32_e32 v59, 32, v37
	;; [unrolled: 1-line block ×3, first 2 shown]
	v_add_u32_e32 v54, 0x80, v54
	v_add_u32_e32 v57, 0x80, v57
	;; [unrolled: 1-line block ×4, first 2 shown]
	s_add_i32 s35, s3, s44
	s_lshl_b64 s[16:17], s[36:37], 2
	s_add_u32 s3, s10, s16
	s_addc_u32 s20, s11, s17
	s_lshl_b64 s[16:17], s[34:35], 2
	s_add_u32 s16, s3, s16
	s_movk_i32 s3, 0xf8
	s_addc_u32 s17, s20, s17
	s_lshl_b32 s26, s15, 7
	s_movk_i32 s24, 0x100
	v_mov_b32_e32 v69, 0
	v_lshlrev_b32_e32 v68, 4, v77
	v_cmp_gt_u32_e32 vcc, s24, v0
	v_lshlrev_b32_e32 v58, 8, v58
	s_mov_b32 s58, 0
	s_movk_i32 s22, 0x4000
	v_or_b32_e32 v98, v58, v60
	v_or_b32_e32 v99, v58, v61
	s_movk_i32 s35, 0x2000
	s_movk_i32 s37, 0x3000
	v_mov_b32_e32 v131, 0x3fb8aa3b
	s_waitcnt vmcnt(1)
	v_perm_b32 v65, v38, v46, s56
	s_waitcnt vmcnt(0)
	v_perm_b32 v67, v42, v50, s56
	v_perm_b32 v38, v38, v46, s57
	;; [unrolled: 1-line block ×15, first 2 shown]
	ds_write2st64_b32 v37, v65, v67 offset0:128 offset1:160
	ds_write2st64_b32 v54, v38, v42 offset0:128 offset1:160
	;; [unrolled: 1-line block ×8, first 2 shown]
	v_or_b32_e32 v37, 48, v77
	v_lshl_or_b32 v38, v37, 3, v36
	v_lshlrev_b32_e32 v37, 8, v37
	v_or_b32_e32 v102, v37, v60
	v_or_b32_e32 v103, v37, v61
	;; [unrolled: 1-line block ×3, first 2 shown]
	v_lshlrev_b32_e32 v37, 3, v37
	v_lshrrev_b32_e32 v39, 5, v74
	v_and_or_b32 v39, v37, s3, v39
	v_lshlrev_b32_e32 v39, 4, v39
	v_lshlrev_b32_e32 v40, 11, v75
	v_and_b32_e32 v37, 0x78, v37
	v_or_b32_e32 v45, 32, v39
	v_or_b32_e32 v100, 0x4000, v38
	;; [unrolled: 1-line block ×3, first 2 shown]
	v_and_b32_e32 v38, 0x1000, v40
	v_xor_b32_e32 v41, v39, v37
	v_lshrrev_b32_e32 v42, 1, v0
	v_xor_b32_e32 v45, v45, v37
	v_or_b32_e32 v41, v41, v38
	v_and_b32_e32 v43, 8, v42
	v_or_b32_e32 v45, v45, v38
	v_xor_b32_e32 v104, v41, v43
	v_lshlrev_b32_e32 v41, 8, v76
	v_xor_b32_e32 v106, v45, v43
	v_or_b32_e32 v45, 64, v39
	v_or_b32_e32 v39, 0x60, v39
	s_ashr_i32 s3, s2, 31
	v_or_b32_e32 v44, v41, v55
	v_xor_b32_e32 v45, v45, v37
	v_xor_b32_e32 v37, v39, v37
	s_lshl_b64 s[20:21], s[2:3], 8
	v_lshlrev_b32_e32 v44, 1, v44
	v_or_b32_e32 v45, v45, v38
	v_or_b32_e32 v37, v37, v38
	s_add_u32 s20, s18, s20
	v_lshlrev_b32_e32 v38, 1, v77
	v_or_b32_e32 v105, 0x4000, v44
	v_or_b32_e32 v107, 0x4080, v44
	;; [unrolled: 1-line block ×8, first 2 shown]
	v_lshrrev_b32_e32 v44, 4, v0
	s_addc_u32 s21, s19, s21
	v_or_b32_e32 v39, 1, v38
	v_mov_b32_e32 v48, 0xa000
	v_mov_b32_e32 v49, 0x8000
	v_xor_b32_e32 v110, v45, v43
	v_xor_b32_e32 v45, v44, v38
	;; [unrolled: 1-line block ×3, first 2 shown]
	v_lshl_add_u64 v[38:39], s[20:21], 0, v[68:69]
	v_lshlrev_b32_e32 v68, 8, v44
	v_cndmask_b32_e32 v48, v48, v49, vcc
	v_lshlrev_b32_e32 v49, 3, v75
	v_and_b32_e32 v42, 24, v42
	v_lshl_or_b32 v116, v45, 3, v68
	v_and_b32_e32 v45, 8, v0
	v_xor_b32_e32 v50, v49, v42
	v_or_b32_e32 v51, 0x440, v50
	v_cmp_eq_u32_e32 vcc, 0, v45
	v_and_b32_e32 v44, 7, v0
	v_lshl_or_b32 v117, v46, 3, v68
	v_cndmask_b32_e32 v45, v51, v50, vcc
	v_lshlrev_b32_e32 v46, 3, v44
	v_lshlrev_b32_e32 v44, 7, v44
	v_or_b32_e32 v45, v45, v40
	v_lshlrev_b32_e32 v47, 2, v0
	v_xad_u32 v118, v45, v46, v44
	v_or_b32_e32 v45, 32, v42
	v_and_or_b32 v41, v47, 60, v41
	v_xor_b32_e32 v45, v49, v45
	v_lshlrev_b32_e32 v41, 1, v41
	v_or_b32_e32 v47, 0x440, v45
	v_or_b32_e32 v119, 0x6000, v41
	v_cndmask_b32_e32 v45, v47, v45, vcc
	v_or_b32_e32 v121, 0x6080, v41
	v_or_b32_e32 v122, 0x6100, v41
	;; [unrolled: 1-line block ×5, first 2 shown]
	v_xor_b32_e32 v41, v49, v41
	v_xad_u32 v120, v45, v46, v44
	v_xor_b32_e32 v45, 0x440, v41
	v_cndmask_b32_e32 v41, v45, v41, vcc
	v_or_b32_e32 v41, v41, v40
	v_xad_u32 v124, v41, v46, v44
	v_or_b32_e32 v41, 0x60, v42
	v_xor_b32_e32 v41, v49, v41
	v_xor_b32_e32 v42, 0x440, v41
	v_cndmask_b32_e32 v41, v42, v41, vcc
	v_or_b32_e32 v40, v41, v40
	v_xor_b32_e32 v111, v37, v43
	v_ashrrev_i32_e32 v67, 31, v66
	v_lshlrev_b32_e32 v37, 1, v35
	v_add_lshl_u32 v35, v35, s15, 1
	v_or_b32_e32 v43, 0x100, v34
	v_xad_u32 v125, v40, v46, v44
	v_cndmask_b32_e64 v126, v37, v34, s[0:1]
	v_cndmask_b32_e64 v127, v35, v43, s[0:1]
	v_lshl_add_u64 v[70:71], v[66:67], 1, s[8:9]
	v_lshl_add_u64 v[72:73], v[38:39], 0, v[68:69]
	s_mov_b32 s3, 0x7060302
	v_lshlrev_b32_e32 v68, 1, v36
	v_add_u32_e32 v67, v48, v118
	v_add_u32_e32 v128, v48, v120
	;; [unrolled: 1-line block ×4, first 2 shown]
	s_waitcnt lgkmcnt(0)
	s_barrier
.LBB228_6:                              ; =>This Inner Loop Header: Depth=1
	s_add_i32 s59, s58, 1
	s_cmp_lt_i32 s59, s47
	s_mov_b64 s[24:25], 0
	s_cselect_b64 s[38:39], -1, 0
	s_cmp_ge_i32 s59, s47
	s_mov_b64 s[20:21], 0
	s_cbranch_scc1 .LBB228_8
; %bb.7:                                ;   in Loop: Header=BB228_6 Depth=1
	s_add_i32 s0, s53, 64
	s_ashr_i32 s1, s0, 31
	s_add_u32 s0, s52, s0
	s_addc_u32 s1, s51, s1
	s_lshl_b64 s[0:1], s[0:1], 8
	s_add_u32 s20, s6, s0
	s_addc_u32 s21, s7, s1
.LBB228_8:                              ;   in Loop: Header=BB228_6 Depth=1
	v_cndmask_b32_e64 v34, 0, 1, s[38:39]
	v_cmp_ne_u32_e64 s[0:1], 1, v34
	s_andn2_b64 vcc, exec, s[38:39]
	s_cbranch_vccnz .LBB228_10
; %bb.9:                                ;   in Loop: Header=BB228_6 Depth=1
	s_add_i32 s24, s53, 64
	s_mul_hi_i32 s25, s24, s14
	s_mul_i32 s24, s24, s14
	s_add_u32 s24, s24, s49
	s_addc_u32 s25, s25, s54
	s_lshl_b64 s[24:25], s[24:25], 8
	s_add_u32 s24, s4, s24
	s_addc_u32 s25, s5, s25
.LBB228_10:                             ;   in Loop: Header=BB228_6 Depth=1
	v_perm_b32 v35, v25, v24, s3
	v_perm_b32 v34, v23, v22, s3
	v_perm_b32 v37, v33, v32, s3
	v_perm_b32 v36, v31, v30, s3
	ds_write_b64 v88, v[34:35]
	ds_write_b64 v89, v[36:37]
	ds_write_b64 v94, v[34:35]
	ds_write_b64 v95, v[36:37]
	v_perm_b32 v35, v17, v16, s3
	v_perm_b32 v34, v15, v14, s3
	v_perm_b32 v37, v29, v28, s3
	v_perm_b32 v36, v27, v26, s3
	ds_write_b64 v90, v[34:35]
	ds_write_b64 v91, v[36:37]
	ds_write_b64 v96, v[34:35]
	ds_write_b64 v97, v[36:37]
	;; [unrolled: 8-line block ×4, first 2 shown]
	s_waitcnt lgkmcnt(0)
	s_barrier
	ds_read_b64 v[38:39], v104 offset:49152
	ds_read2_b64 v[34:37], v105 offset1:16
	ds_read_b64 v[50:51], v107 offset:6144
	ds_read_b64 v[52:53], v105 offset:6144
	s_waitcnt lgkmcnt(2)
	v_mfma_f32_16x16x16_bf16 a[0:3], v[38:39], v[34:35], 0
	ds_read_b64 v[54:55], v106 offset:49152
	ds_read2st64_b64 v[42:45], v108 offset0:4 offset1:8
	ds_read2st64_b64 v[46:49], v109 offset0:4 offset1:8
	v_mfma_f32_16x16x16_bf16 a[4:7], v[38:39], v[36:37], 0
	ds_read2_b64 v[34:37], v105 offset0:32 offset1:48
	s_add_i32 s27, s53, 63
	s_ashr_i32 s38, s27, 31
	s_waitcnt lgkmcnt(0)
	v_mfma_f32_16x16x16_bf16 a[8:11], v[38:39], v[34:35], 0
	s_mul_i32 s39, s27, s29
	s_mul_hi_u32 s60, s27, s28
	s_add_i32 s39, s60, s39
	v_mfma_f32_16x16x16_bf16 a[12:15], v[38:39], v[36:37], 0
	ds_read2st64_b64 v[34:37], v105 offset0:4 offset1:8
	ds_read2st64_b64 v[38:41], v107 offset0:4 offset1:8
	s_mul_i32 s38, s38, s28
	s_waitcnt lgkmcnt(1)
	v_mfma_f32_16x16x16_bf16 a[0:3], v[54:55], v[34:35], a[0:3]
	s_add_i32 s39, s39, s38
	s_mul_i32 s38, s27, s28
	s_lshl_b64 s[38:39], s[38:39], 2
	s_waitcnt lgkmcnt(0)
	v_mfma_f32_16x16x16_bf16 a[4:7], v[54:55], v[38:39], a[4:7]
	s_add_u32 s38, s16, s38
	s_addc_u32 s39, s17, s39
	s_and_b64 vcc, exec, s[0:1]
	v_mfma_f32_16x16x16_bf16 a[8:11], v[54:55], v[42:43], a[8:11]
	ds_read_b64 v[34:35], v110 offset:49152
	ds_read_b64 v[38:39], v111 offset:49152
	;; [unrolled: 1-line block ×3, first 2 shown]
	v_mov_b32_e32 v134, 0
	v_mov_b32_e32 v133, 0
	v_mfma_f32_16x16x16_bf16 a[12:15], v[54:55], v[46:47], a[12:15]
	v_mov_b32_e32 v132, 0
	v_mov_b32_e32 v46, 0
	;; [unrolled: 1-line block ×3, first 2 shown]
	s_waitcnt lgkmcnt(2)
	v_mfma_f32_16x16x16_bf16 a[0:3], v[34:35], v[36:37], a[0:3]
	v_mov_b32_e32 v36, 0
	v_mov_b32_e32 v37, 0
	v_mfma_f32_16x16x16_bf16 a[16:19], v[34:35], v[40:41], a[4:7]
	v_mov_b32_e32 v40, 0
	v_mov_b32_e32 v41, 0
	;; [unrolled: 3-line block ×3, first 2 shown]
	v_mfma_f32_16x16x16_bf16 a[24:27], v[34:35], v[48:49], a[12:15]
	ds_read_b64 v[34:35], v108 offset:6144
	v_mov_b32_e32 v48, 0
	v_mov_b32_e32 v49, 0
	s_waitcnt lgkmcnt(2)
	v_mfma_f32_16x16x16_bf16 a[4:7], v[38:39], v[52:53], a[0:3]
	v_mfma_f32_16x16x16_bf16 a[8:11], v[38:39], v[50:51], a[16:19]
	s_waitcnt lgkmcnt(0)
	v_mfma_f32_16x16x16_bf16 a[12:15], v[38:39], v[34:35], a[20:23]
	v_mov_b32_e32 v34, 0
	v_mov_b32_e32 v35, 0
	v_mfma_f32_16x16x16_bf16 a[0:3], v[38:39], v[42:43], a[24:27]
	v_mov_b32_e32 v38, 0
	v_mov_b32_e32 v39, 0
	;; [unrolled: 1-line block ×4, first 2 shown]
	s_cbranch_vccnz .LBB228_12
; %bb.11:                               ;   in Loop: Header=BB228_6 Depth=1
	s_and_b32 s21, s21, 0xffff
	buffer_load_dwordx4 v[46:49], v84, s[20:23], 0 offen
	buffer_load_dwordx4 v[42:45], v84, s[20:23], s55 offen
	;; [unrolled: 1-line block ×4, first 2 shown]
	v_mov_b32_e32 v133, v86
	v_mov_b32_e32 v132, v87
.LBB228_12:                             ;   in Loop: Header=BB228_6 Depth=1
	ds_read_b64 v[136:137], v104 offset:57344
	ds_read2_b64 v[50:53], v112 offset1:16
	ds_read_b64 v[138:139], v106 offset:57344
	ds_read_b64 v[140:141], v110 offset:57344
	;; [unrolled: 1-line block ×3, first 2 shown]
	v_add_u32_e32 v135, s53, v80
	s_waitcnt lgkmcnt(3)
	v_mfma_f32_16x16x16_bf16 a[4:7], v[136:137], v[50:51], a[4:7]
	v_mfma_f32_16x16x16_bf16 a[8:11], v[136:137], v[52:53], a[8:11]
	ds_read2_b64 v[50:53], v112 offset0:32 offset1:48
	ds_read2st64_b64 v[54:57], v112 offset0:4 offset1:8
	ds_read2st64_b64 v[58:61], v113 offset0:4 offset1:8
	;; [unrolled: 1-line block ×3, first 2 shown]
	s_waitcnt lgkmcnt(3)
	v_mfma_f32_16x16x16_bf16 a[12:15], v[136:137], v[50:51], a[12:15]
	v_ashrrev_i32_e32 v50, 31, v135
	v_mfma_f32_16x16x16_bf16 a[0:3], v[136:137], v[52:53], a[0:3]
	v_mul_lo_u32 v52, v50, s28
	v_mul_lo_u32 v53, v135, s29
	v_mad_u64_u32 v[50:51], s[20:21], v135, s28, 0
	v_add3_u32 v51, v51, v53, v52
	v_add_u32_e32 v52, 1, v135
	v_ashrrev_i32_e32 v53, 31, v52
	s_waitcnt lgkmcnt(2)
	v_mfma_f32_16x16x16_bf16 a[4:7], v[138:139], v[54:55], a[4:7]
	v_mul_lo_u32 v54, v53, s28
	v_mul_lo_u32 v55, v52, s29
	v_mad_u64_u32 v[52:53], s[20:21], v52, s28, 0
	v_add3_u32 v53, v53, v55, v54
	v_add_u32_e32 v54, 2, v135
	v_ashrrev_i32_e32 v55, 31, v54
	s_waitcnt lgkmcnt(1)
	v_mfma_f32_16x16x16_bf16 a[8:11], v[138:139], v[58:59], a[8:11]
	v_mul_lo_u32 v58, v55, s28
	v_mul_lo_u32 v59, v54, s29
	v_mad_u64_u32 v[54:55], s[20:21], v54, s28, 0
	v_add3_u32 v55, v55, v59, v58
	v_add_u32_e32 v58, 3, v135
	v_ashrrev_i32_e32 v59, 31, v58
	v_mul_lo_u32 v135, v59, s28
	v_mul_lo_u32 v136, v58, s29
	v_mad_u64_u32 v[58:59], s[20:21], v58, s28, 0
	s_ashr_i32 s21, s53, 31
	s_add_u32 s20, s52, s53
	v_lshl_add_u64 v[50:51], v[50:51], 2, s[16:17]
	v_add3_u32 v59, v59, v136, v135
	s_addc_u32 s21, s51, s21
	v_lshl_add_u64 v[52:53], v[52:53], 2, s[16:17]
	global_load_dword v137, v[50:51], off
	v_lshl_add_u64 v[50:51], v[58:59], 2, s[16:17]
	s_lshl_b64 s[20:21], s[20:21], 8
	v_lshl_add_u64 v[54:55], v[54:55], 2, s[16:17]
	global_load_dword v135, v[52:53], off
	global_load_dword v136, v[54:55], off
	;; [unrolled: 1-line block ×3, first 2 shown]
	v_lshl_add_u64 v[50:51], v[70:71], 0, s[20:21]
	v_lshl_add_u64 v[54:55], v[50:51], 0, v[68:69]
	global_load_ushort v145, v[54:55], off offset:256
	global_load_ushort v146, v[54:55], off
	ds_read2st64_b64 v[50:53], v115 offset0:4 offset1:8
	global_load_ushort v147, v[54:55], off offset:768
	global_load_ushort v148, v[54:55], off offset:512
	s_waitcnt lgkmcnt(1)
	v_mfma_f32_16x16x16_bf16 a[12:15], v[138:139], v[62:63], a[12:15]
	s_and_b64 vcc, exec, s[0:1]
	s_waitcnt vmcnt(3)
	v_lshlrev_b32_e32 v63, 16, v145
	s_waitcnt lgkmcnt(0)
	v_mfma_f32_16x16x16_bf16 a[0:3], v[138:139], v[50:51], a[0:3]
	global_load_ushort v138, v[54:55], off offset:288
	global_load_ushort v139, v[54:55], off offset:32
	;; [unrolled: 1-line block ×8, first 2 shown]
	v_mfma_f32_16x16x16_bf16 a[4:7], v[140:141], v[56:57], a[4:7]
	ds_read_b64 v[50:51], v112 offset:6144
	s_waitcnt vmcnt(10)
	v_lshlrev_b32_e32 v62, 16, v146
	v_mfma_f32_16x16x16_bf16 a[8:11], v[140:141], v[60:61], a[8:11]
	v_mfma_f32_16x16x16_bf16 a[12:15], v[140:141], v[64:65], a[12:15]
	;; [unrolled: 1-line block ×3, first 2 shown]
	global_load_ushort v140, v[54:55], off offset:352
	global_load_ushort v141, v[54:55], off offset:96
	ds_read_b64 v[52:53], v113 offset:6144
	ds_read_b64 v[56:57], v114 offset:6144
	;; [unrolled: 1-line block ×3, first 2 shown]
	global_load_ushort v155, v[54:55], off offset:864
	global_load_ushort v156, v[54:55], off offset:608
	s_load_dword s20, s[38:39], 0x0
	s_waitcnt lgkmcnt(0)
	v_mfma_f32_16x16x16_bf16 a[4:7], v[142:143], v[50:51], a[4:7]
	v_sub_f32_e32 v60, s20, v136
	v_mfma_f32_16x16x16_bf16 a[0:3], v[142:143], v[58:59], a[0:3]
	v_sub_f32_e32 v58, s20, v137
	v_sub_f32_e32 v59, s20, v135
	;; [unrolled: 1-line block ×3, first 2 shown]
	v_mul_f32_e32 v58, 0x3fb8aa3b, v58
	v_mul_f32_e32 v59, 0x3fb8aa3b, v59
	v_mul_f32_e32 v60, 0x3fb8aa3b, v60
	v_mul_f32_e32 v61, 0x3fb8aa3b, v61
	v_mfma_f32_16x16x16_bf16 a[8:11], v[142:143], v[52:53], a[8:11]
	v_exp_f32_e32 v58, v58
	v_exp_f32_e32 v59, v59
	;; [unrolled: 1-line block ×4, first 2 shown]
	v_accvgpr_read_b32 v65, a5
	v_accvgpr_read_b32 v64, a4
	;; [unrolled: 1-line block ×4, first 2 shown]
	v_pk_add_f32 v[62:63], v[62:63], v[64:65] neg_lo:[0,1] neg_hi:[0,1]
	s_waitcnt vmcnt(13)
	v_lshlrev_b32_e32 v65, 16, v147
	s_waitcnt vmcnt(12)
	v_lshlrev_b32_e32 v64, 16, v148
	v_pk_add_f32 v[50:51], v[64:65], v[50:51] neg_lo:[0,1] neg_hi:[0,1]
	v_pk_mul_f32 v[62:63], v[58:59], v[62:63]
	v_pk_mul_f32 v[50:51], v[60:61], v[50:51]
	v_accvgpr_read_b32 v65, a9
	v_perm_b32 v51, v51, v50, s3
	v_perm_b32 v50, v63, v62, s3
	v_accvgpr_read_b32 v64, a8
	v_accvgpr_read_b32 v53, a11
	v_mfma_f32_16x16x16_bf16 a[12:15], v[142:143], v[56:57], a[12:15]
	v_accvgpr_read_b32 v52, a10
	v_accvgpr_read_b32 v57, a3
	;; [unrolled: 1-line block ×3, first 2 shown]
	v_mov_b32_e32 v135, 0
	s_waitcnt vmcnt(11)
	v_lshlrev_b32_e32 v63, 16, v138
	s_waitcnt vmcnt(10)
	v_lshlrev_b32_e32 v62, 16, v139
	v_pk_add_f32 v[62:63], v[62:63], v[64:65] neg_lo:[0,1] neg_hi:[0,1]
	s_waitcnt vmcnt(9)
	v_lshlrev_b32_e32 v65, 16, v149
	s_waitcnt vmcnt(8)
	v_lshlrev_b32_e32 v64, 16, v150
	v_pk_add_f32 v[52:53], v[64:65], v[52:53] neg_lo:[0,1] neg_hi:[0,1]
	v_pk_mul_f32 v[62:63], v[58:59], v[62:63]
	v_pk_mul_f32 v[52:53], v[60:61], v[52:53]
	v_accvgpr_read_b32 v55, a15
	v_perm_b32 v53, v53, v52, s3
	v_perm_b32 v52, v63, v62, s3
	ds_write2_b64 v89, v[50:51], v[52:53] offset1:16
	v_accvgpr_read_b32 v53, a13
	s_waitcnt vmcnt(7)
	v_lshlrev_b32_e32 v51, 16, v151
	s_waitcnt vmcnt(6)
	v_lshlrev_b32_e32 v50, 16, v152
	v_accvgpr_read_b32 v52, a12
	v_accvgpr_read_b32 v54, a14
	v_pk_add_f32 v[50:51], v[50:51], v[52:53] neg_lo:[0,1] neg_hi:[0,1]
	s_waitcnt vmcnt(5)
	v_lshlrev_b32_e32 v53, 16, v153
	s_waitcnt vmcnt(4)
	v_lshlrev_b32_e32 v52, 16, v154
	v_pk_add_f32 v[52:53], v[52:53], v[54:55] neg_lo:[0,1] neg_hi:[0,1]
	v_pk_mul_f32 v[50:51], v[58:59], v[50:51]
	v_pk_mul_f32 v[52:53], v[60:61], v[52:53]
	v_accvgpr_read_b32 v55, a1
	v_perm_b32 v53, v53, v52, s3
	v_perm_b32 v52, v51, v50, s3
	s_waitcnt vmcnt(3)
	v_lshlrev_b32_e32 v51, 16, v140
	s_waitcnt vmcnt(2)
	v_lshlrev_b32_e32 v50, 16, v141
	v_accvgpr_read_b32 v54, a0
	v_pk_add_f32 v[50:51], v[50:51], v[54:55] neg_lo:[0,1] neg_hi:[0,1]
	s_waitcnt vmcnt(1)
	v_lshlrev_b32_e32 v55, 16, v155
	s_waitcnt vmcnt(0)
	v_lshlrev_b32_e32 v54, 16, v156
	v_pk_add_f32 v[54:55], v[54:55], v[56:57] neg_lo:[0,1] neg_hi:[0,1]
	v_pk_mul_f32 v[50:51], v[58:59], v[50:51]
	v_pk_mul_f32 v[54:55], v[60:61], v[54:55]
	v_mov_b32_e32 v56, 0
	v_perm_b32 v55, v55, v54, s3
	v_perm_b32 v54, v51, v50, s3
	ds_write2_b64 v89, v[52:53], v[54:55] offset0:32 offset1:48
	v_mov_b32_e32 v50, 0
	v_mov_b32_e32 v51, 0
	;; [unrolled: 1-line block ×15, first 2 shown]
	s_cbranch_vccnz .LBB228_14
; %bb.13:                               ;   in Loop: Header=BB228_6 Depth=1
	s_and_b32 s25, s25, 0xffff
	s_mov_b32 s27, s23
	buffer_load_dwordx4 v[62:65], v126, s[24:27], 0 offen
	buffer_load_dwordx4 v[54:57], v126, s[24:27], s55 offen
	;; [unrolled: 1-line block ×4, first 2 shown]
	v_mov_b32_e32 v134, v83
	v_mov_b32_e32 v135, v82
.LBB228_14:                             ;   in Loop: Header=BB228_6 Depth=1
	s_waitcnt lgkmcnt(0)
	s_barrier
	ds_read_b64 v[144:145], v67
	ds_read2_b64 v[136:139], v119 offset1:16
	ds_read_b64 v[160:161], v128
	ds_read_b64 v[162:163], v129
	;; [unrolled: 1-line block ×3, first 2 shown]
	ds_read2_b64 v[140:143], v119 offset0:32 offset1:48
	s_waitcnt lgkmcnt(4)
	v_mfma_f32_16x16x16_bf16 a[0:3], v[144:145], v[136:137], 0
	ds_read2st64_b64 v[148:151], v121 offset0:4 offset1:8
	ds_read2st64_b64 v[152:155], v122 offset0:4 offset1:8
	;; [unrolled: 1-line block ×3, first 2 shown]
	v_mfma_f32_16x16x16_bf16 a[4:7], v[144:145], v[138:139], 0
	s_add_i32 s21, s50, s58
	s_mul_hi_i32 s25, s21, s13
	s_mul_i32 s21, s21, s13
	s_waitcnt lgkmcnt(3)
	v_mfma_f32_16x16x16_bf16 a[8:11], v[144:145], v[140:141], 0
	s_add_u32 s24, s21, s45
	s_addc_u32 s25, s25, s46
	s_lshl_b64 s[24:25], s[24:25], 15
	v_mfma_f32_16x16x16_bf16 a[12:15], v[144:145], v[142:143], 0
	ds_read2st64_b64 v[144:147], v119 offset0:4 offset1:8
	s_waitcnt lgkmcnt(0)
	v_mfma_f32_16x16x16_bf16 a[0:3], v[160:161], v[144:145], a[0:3]
	v_mfma_f32_16x16x16_bf16 a[4:7], v[160:161], v[148:149], a[4:7]
	;; [unrolled: 1-line block ×8, first 2 shown]
	ds_read_b64 v[160:161], v119 offset:6144
	ds_read_b64 v[162:163], v120 offset:40960
	ds_read_b64 v[166:167], v118 offset:40960
	ds_read_b64 v[168:169], v121 offset:6144
	ds_read_b64 v[170:171], v122 offset:6144
	ds_read_b64 v[172:173], v123 offset:6144
	ds_read_b64 v[174:175], v124 offset:40960
	ds_read_b64 v[176:177], v125 offset:40960
	s_waitcnt lgkmcnt(5)
	v_mfma_f32_16x16x16_bf16 a[16:19], v[166:167], v[136:137], 0
	v_mfma_f32_16x16x16_bf16 a[20:23], v[166:167], v[138:139], 0
	ds_read2st64_b64 v[136:139], v116 offset1:8
	v_mfma_f32_16x16x16_bf16 a[24:27], v[166:167], v[140:141], 0
	v_mfma_f32_16x16x16_bf16 a[28:31], v[166:167], v[142:143], 0
	ds_read2st64_b64 v[140:143], v117 offset1:8
	v_mfma_f32_16x16x16_bf16 a[16:19], v[162:163], v[144:145], a[16:19]
	s_waitcnt lgkmcnt(1)
	v_mov_b32_e32 v144, v136
	v_mov_b32_e32 v145, v137
	v_mfma_f32_16x16x16_bf16 a[20:23], v[162:163], v[148:149], a[20:23]
	v_lshl_add_u64 v[148:149], v[72:73], 0, s[24:25]
	v_mfma_f32_16x16x16_bf16 a[24:27], v[162:163], v[152:153], a[24:27]
	v_mfma_f32_16x16x16_bf16 a[28:31], v[162:163], v[156:157], a[28:31]
	;; [unrolled: 1-line block ×3, first 2 shown]
	s_waitcnt lgkmcnt(0)
	v_mov_b32_e32 v146, v140
	v_mov_b32_e32 v147, v141
	;; [unrolled: 1-line block ×3, first 2 shown]
	v_mfma_f32_16x16x16_bf16 a[32:35], v[174:175], v[150:151], a[20:23]
	v_mov_b32_e32 v141, v139
	ds_read2st64_b64 v[136:139], v116 offset0:16 offset1:24
	global_store_dwordx4 v[148:149], v[144:147], off
	v_mfma_f32_16x16x16_bf16 a[24:27], v[174:175], v[154:155], a[24:27]
	ds_read2st64_b64 v[144:147], v117 offset0:16 offset1:24
	v_add_co_u32_e32 v150, vcc, s35, v148
	v_mfma_f32_16x16x16_bf16 a[28:31], v[174:175], v[158:159], a[28:31]
	s_nop 0
	v_addc_co_u32_e32 v151, vcc, 0, v149, vcc
	global_store_dwordx4 v[150:151], v[140:143], off offset:-4096
	v_mfma_f32_16x16x16_bf16 a[0:3], v[164:165], v[160:161], a[0:3]
	s_waitcnt lgkmcnt(1)
	v_mov_b32_e32 v140, v136
	v_add_co_u32_e32 v136, vcc, s37, v148
	v_mfma_f32_16x16x16_bf16 a[4:7], v[164:165], v[168:169], a[4:7]
	v_mov_b32_e32 v141, v137
	v_addc_co_u32_e32 v137, vcc, 0, v149, vcc
	v_mfma_f32_16x16x16_bf16 a[8:11], v[164:165], v[170:171], a[8:11]
	s_waitcnt lgkmcnt(0)
	v_mov_b32_e32 v142, v144
	v_mov_b32_e32 v143, v145
	;; [unrolled: 1-line block ×3, first 2 shown]
	v_mfma_f32_16x16x16_bf16 a[12:15], v[164:165], v[172:173], a[12:15]
	v_mov_b32_e32 v145, v139
	s_and_b64 vcc, exec, s[0:1]
	global_store_dwordx4 v[150:151], v[140:143], off
	v_mfma_f32_16x16x16_bf16 a[20:23], v[176:177], v[160:161], a[16:19]
	global_store_dwordx4 v[136:137], v[144:147], off
	v_mfma_f32_16x16x16_bf16 a[16:19], v[176:177], v[168:169], a[32:35]
	v_mfma_f32_16x16x16_bf16 a[24:27], v[176:177], v[170:171], a[24:27]
	;; [unrolled: 1-line block ×3, first 2 shown]
	s_cbranch_vccnz .LBB228_16
; %bb.15:                               ;   in Loop: Header=BB228_6 Depth=1
	v_lshrrev_b32_e32 v136, 3, v134
	v_and_b32_e32 v136, 6, v136
	v_xor_b32_e32 v135, v136, v135
	v_lshlrev_b32_e32 v135, 2, v135
	v_and_b32_e32 v134, 8, v134
	v_xor_b32_e32 v137, 0x440, v135
	v_cmp_eq_u32_e32 vcc, 0, v134
	s_barrier
	s_nop 0
	v_cndmask_b32_e32 v134, v137, v135, vcc
	v_lshl_or_b32 v134, v136, 10, v134
	s_waitcnt vmcnt(5)
	v_perm_b32 v135, v62, v58, s56
	s_waitcnt vmcnt(4)
	v_perm_b32 v136, v54, v50, s56
	ds_write2st64_b32 v134, v135, v136 offset0:128 offset1:160
	v_xor_b32_e32 v135, 8, v134
	v_perm_b32 v58, v62, v58, s57
	v_perm_b32 v50, v54, v50, s57
	v_add_u32_e32 v54, 0x80, v135
	ds_write2st64_b32 v54, v58, v50 offset0:128 offset1:160
	v_xor_b32_e32 v50, 16, v134
	v_perm_b32 v54, v63, v59, s56
	v_perm_b32 v58, v55, v51, s56
	ds_write2st64_b32 v50, v54, v58 offset0:129 offset1:161
	v_xor_b32_e32 v50, 24, v134
	v_perm_b32 v54, v63, v59, s57
	v_perm_b32 v51, v55, v51, s57
	v_add_u32_e32 v50, 0x80, v50
	ds_write2st64_b32 v50, v54, v51 offset0:129 offset1:161
	v_xor_b32_e32 v50, 32, v134
	v_perm_b32 v51, v64, v60, s56
	;; [unrolled: 9-line block ×3, first 2 shown]
	v_perm_b32 v52, v57, v53, s56
	ds_write2st64_b32 v50, v51, v52 offset0:131 offset1:163
	v_xor_b32_e32 v50, 56, v134
	v_perm_b32 v51, v65, v61, s57
	v_perm_b32 v52, v57, v53, s57
	v_add_u32_e32 v50, 0x80, v50
	ds_write2st64_b32 v50, v51, v52 offset0:131 offset1:163
	ds_write_b64 v133, v[46:47] offset:49152
	v_xor_b32_e32 v46, 8, v133
	ds_write_b64 v46, v[48:49] offset:49152
	ds_write_b64 v133, v[42:43] offset:57344
	;; [unrolled: 1-line block ×4, first 2 shown]
	v_xor_b32_e32 v38, 8, v132
	ds_write_b64 v38, v[40:41] offset:49152
	ds_write_b64 v132, v[34:35] offset:57344
	;; [unrolled: 1-line block ×3, first 2 shown]
.LBB228_16:                             ;   in Loop: Header=BB228_6 Depth=1
	s_waitcnt vmcnt(6)
	v_mul_f32_e32 v54, s20, v131
	v_exp_f32_e32 v132, v54
	v_accvgpr_read_b32 v37, a3
	v_accvgpr_read_b32 v41, a7
	;; [unrolled: 1-line block ×4, first 2 shown]
	s_waitcnt vmcnt(4)
	v_accvgpr_read_b32 v53, a23
	v_accvgpr_read_b32 v57, a19
	;; [unrolled: 1-line block ×28, first 2 shown]
	s_add_i32 s53, s53, 64
	v_pk_fma_f32 v[22:23], v[22:23], v[132:133], v[34:35] op_sel_hi:[1,0,1]
	v_pk_fma_f32 v[24:25], v[24:25], v[132:133], v[36:37] op_sel_hi:[1,0,1]
	;; [unrolled: 1-line block ×15, first 2 shown]
	s_cmp_eq_u32 s47, s59
	v_pk_fma_f32 v[12:13], v[12:13], v[132:133], v[64:65] op_sel_hi:[1,0,1]
	s_cbranch_scc1 .LBB228_18
; %bb.17:                               ;   in Loop: Header=BB228_6 Depth=1
	s_mov_b32 s58, s59
	s_branch .LBB228_6
.LBB228_18:
	s_lshl_b32 s26, s47, 6
	s_sub_i32 s27, s48, s26
	s_cmp_gt_i32 s27, 0
	s_cbranch_scc0 .LBB228_99
; %bb.19:
	s_add_i32 s26, s26, s30
	s_ashr_i32 s3, s26, 31
	s_cmpk_lg_i32 s15, 0x80
	s_cselect_b64 s[22:23], -1, 0
	s_and_b64 vcc, exec, s[22:23]
	s_cbranch_vccz .LBB228_21
; %bb.20:
	s_mul_hi_i32 s0, s26, s14
	s_mul_i32 s1, s26, s14
	s_ashr_i32 s14, s49, 31
	s_add_u32 s24, s1, s49
	s_addc_u32 s25, s0, s14
	s_cbranch_execz .LBB228_22
	s_branch .LBB228_23
.LBB228_21:
                                        ; implicit-def: $sgpr24_sgpr25
.LBB228_22:
	s_mul_i32 s1, s49, s12
	s_mul_hi_i32 s0, s49, s12
	s_add_u32 s24, s1, s26
	s_addc_u32 s25, s0, s3
.LBB228_23:
	s_waitcnt lgkmcnt(0)
	s_add_i32 s12, s47, s50
	s_add_u32 s0, s52, s26
	s_addc_u32 s1, s51, s3
	v_lshlrev_b32_e32 v35, 6, v80
	v_lshlrev_b32_e32 v34, 2, v77
	s_mov_b32 s3, 0x7060302
	s_waitcnt vmcnt(7)
	v_perm_b32 v25, v25, v24, s3
	v_perm_b32 v24, v23, v22, s3
	s_waitcnt vmcnt(6)
	v_perm_b32 v22, v31, v30, s3
	v_or_b32_e32 v30, v35, v34
	v_xor_b32_e32 v36, v80, v34
	v_perm_b32 v23, v33, v32, s3
	v_lshlrev_b32_e32 v30, 1, v30
	ds_write2st64_b64 v30, v[24:25], v[22:23] offset0:32 offset1:48
	v_lshlrev_b32_e32 v30, 1, v36
	v_lshlrev_b32_e32 v31, 8, v77
	v_xor_b32_e32 v37, v81, v34
	v_or_b32_e32 v32, v30, v31
	ds_write_b64 v32, v[24:25]
	v_lshlrev_b32_e32 v24, 1, v37
	v_or_b32_e32 v25, v24, v31
	ds_write_b64 v25, v[22:23]
	v_or_b32_e32 v22, 16, v77
	v_lshlrev_b32_e32 v23, 2, v22
	v_or_b32_e32 v25, v35, v23
	s_waitcnt vmcnt(5)
	v_perm_b32 v17, v17, v16, s3
	v_perm_b32 v16, v15, v14, s3
	s_waitcnt vmcnt(4)
	v_perm_b32 v15, v29, v28, s3
	v_perm_b32 v14, v27, v26, s3
	v_lshlrev_b32_e32 v25, 1, v25
	v_lshlrev_b32_e32 v22, 8, v22
	ds_write2st64_b64 v25, v[16:17], v[14:15] offset0:32 offset1:48
	v_or_b32_e32 v25, v30, v22
	ds_write_b64 v25, v[16:17]
	v_or_b32_e32 v16, v24, v22
	ds_write_b64 v16, v[14:15]
	v_or_b32_e32 v14, 32, v77
	v_lshlrev_b32_e32 v22, 2, v14
	v_or_b32_e32 v15, v35, v22
	s_waitcnt vmcnt(3)
	v_perm_b32 v9, v9, v8, s3
	v_perm_b32 v8, v7, v6, s3
	s_waitcnt vmcnt(2)
	v_perm_b32 v7, v21, v20, s3
	v_perm_b32 v6, v19, v18, s3
	v_lshlrev_b32_e32 v15, 1, v15
	v_lshlrev_b32_e32 v14, 8, v14
	s_lshl_b64 s[20:21], s[0:1], 8
	ds_write2st64_b64 v15, v[8:9], v[6:7] offset0:32 offset1:48
	v_or_b32_e32 v15, v30, v14
	s_add_u32 s0, s6, s20
	ds_write_b64 v15, v[8:9]
	v_or_b32_e32 v8, v24, v14
	s_addc_u32 s1, s7, s21
	ds_write_b64 v8, v[6:7]
	s_waitcnt vmcnt(1)
	v_perm_b32 v5, v5, v4, s3
	v_perm_b32 v4, v3, v2, s3
	s_waitcnt vmcnt(0)
	v_perm_b32 v3, v13, v12, s3
	v_perm_b32 v2, v11, v10, s3
	v_or_b32_e32 v6, 48, v77
	s_mul_hi_i32 s3, s12, s13
	s_mul_i32 s12, s12, s13
	v_lshlrev_b32_e32 v19, 2, v6
	s_add_u32 s6, s12, s45
	v_or_b32_e32 v7, v35, v19
	s_addc_u32 s7, s3, s46
	v_lshlrev_b32_e32 v7, 1, v7
	v_lshlrev_b32_e32 v6, 8, v6
	s_ashr_i32 s3, s2, 31
	s_lshl_b64 s[6:7], s[6:7], 15
	ds_write2st64_b64 v7, v[4:5], v[2:3] offset0:32 offset1:48
	v_or_b32_e32 v7, v30, v6
	s_add_u32 s6, s18, s6
	ds_write_b64 v7, v[4:5]
	v_or_b32_e32 v4, v24, v6
	s_addc_u32 s7, s19, s7
	s_lshl_b64 s[2:3], s[2:3], 8
	ds_write_b64 v4, v[2:3]
	s_add_u32 s2, s6, s2
	v_lshlrev_b32_e32 v3, 1, v77
	v_lshrrev_b32_e32 v2, 4, v0
	s_addc_u32 s3, s7, s3
	v_or_b32_e32 v4, 1, v3
	v_lshlrev_b32_e32 v10, 4, v77
	v_mov_b32_e32 v11, 0
	v_xor_b32_e32 v3, v2, v3
	v_xor_b32_e32 v6, v4, v2
	v_lshl_add_u64 v[12:13], s[2:3], 0, v[10:11]
	v_lshlrev_b32_e32 v10, 8, v2
	v_lshl_or_b32 v16, v3, 3, v10
	v_lshl_or_b32 v17, v6, 3, v10
	s_waitcnt lgkmcnt(0)
	s_barrier
	ds_read2st64_b64 v[2:5], v16 offset1:8
	ds_read2st64_b64 v[6:9], v17 offset1:8
	v_lshl_add_u64 v[14:15], v[12:13], 0, v[10:11]
	s_movk_i32 s2, 0x2000
	s_cmp_lg_u32 s27, 64
	s_waitcnt lgkmcnt(1)
	v_mov_b32_e32 v10, v2
	v_mov_b32_e32 v11, v3
	s_waitcnt lgkmcnt(0)
	v_mov_b32_e32 v12, v6
	v_mov_b32_e32 v13, v7
	global_store_dwordx4 v[14:15], v[10:13], off
	v_mov_b32_e32 v6, v4
	v_mov_b32_e32 v7, v5
	ds_read2st64_b64 v[2:5], v16 offset0:16 offset1:24
	ds_read2st64_b64 v[10:13], v17 offset0:16 offset1:24
	v_add_co_u32_e32 v16, vcc, s2, v14
	s_cselect_b64 s[6:7], -1, 0
	s_nop 0
	v_addc_co_u32_e32 v17, vcc, 0, v15, vcc
	global_store_dwordx4 v[16:17], v[6:9], off offset:-4096
	v_lshl_or_b32 v24, v75, 3, v79
	s_mov_b32 s16, 0
	s_waitcnt lgkmcnt(1)
	v_mov_b32_e32 v6, v2
	v_add_co_u32_e32 v2, vcc, 0x3000, v14
	v_mov_b32_e32 v7, v3
	s_nop 0
	v_addc_co_u32_e32 v3, vcc, 0, v15, vcc
	s_waitcnt lgkmcnt(0)
	v_mov_b32_e32 v8, v10
	v_mov_b32_e32 v9, v11
	v_mov_b32_e32 v10, v4
	v_mov_b32_e32 v11, v5
	v_or_b32_e32 v20, 32, v24
	v_and_b32_e32 v18, 56, v78
	s_and_b64 vcc, exec, s[6:7]
	global_store_dwordx4 v[16:17], v[6:9], off
	global_store_dwordx4 v[2:3], v[10:13], off
	s_cbranch_vccz .LBB228_29
; %bb.24:
	s_mov_b32 s17, s16
	s_mov_b32 s18, s16
	;; [unrolled: 1-line block ×3, first 2 shown]
	v_mov_b64_e32 v[6:7], s[16:17]
	v_mov_b64_e32 v[8:9], s[18:19]
	;; [unrolled: 1-line block ×3, first 2 shown]
	v_cmp_gt_i32_e32 vcc, s27, v24
	v_mov_b64_e32 v[4:5], v[8:9]
	s_and_saveexec_b64 s[2:3], vcc
	s_cbranch_execz .LBB228_26
; %bb.25:
	v_lshlrev_b32_e32 v2, 8, v24
	v_mov_b32_e32 v3, 0
	v_lshl_add_u64 v[4:5], s[0:1], 0, v[2:3]
	v_lshlrev_b32_e32 v2, 1, v18
	v_lshl_add_u64 v[10:11], v[4:5], 0, v[2:3]
	global_load_dwordx4 v[6:9], v[10:11], off
	global_load_dwordx4 v[2:5], v[10:11], off offset:128
.LBB228_26:
	s_or_b64 exec, exec, s[2:3]
	s_mov_b32 s17, s16
	s_mov_b32 s18, s16
	s_mov_b32 s19, s16
	v_mov_b64_e32 v[14:15], s[16:17]
	v_mov_b64_e32 v[16:17], s[18:19]
	;; [unrolled: 1-line block ×3, first 2 shown]
	v_cmp_gt_i32_e32 vcc, s27, v20
	v_lshlrev_b32_e32 v21, 7, v20
	v_mov_b64_e32 v[12:13], v[16:17]
	s_and_saveexec_b64 s[2:3], vcc
	s_cbranch_execz .LBB228_28
; %bb.27:
	v_lshlrev_b32_e32 v10, 1, v21
	v_mov_b32_e32 v11, 0
	v_lshl_add_u64 v[12:13], s[0:1], 0, v[10:11]
	v_lshlrev_b32_e32 v10, 1, v18
	v_lshl_add_u64 v[26:27], v[12:13], 0, v[10:11]
	global_load_dwordx4 v[14:17], v[26:27], off
	global_load_dwordx4 v[10:13], v[26:27], off offset:128
.LBB228_28:
	s_or_b64 exec, exec, s[2:3]
	v_lshrrev_b32_e32 v25, 3, v18
	v_lshlrev_b32_e32 v26, 3, v24
	v_or_b32_e32 v25, v26, v25
	v_lshlrev_b32_e32 v25, 4, v25
	v_and_b32_e32 v26, 0x78, v26
	v_xor_b32_e32 v25, v25, v26
	s_branch .LBB228_31
.LBB228_29:
                                        ; implicit-def: $vgpr25
                                        ; implicit-def: $vgpr21
                                        ; implicit-def: $vgpr6_vgpr7_vgpr8_vgpr9
                                        ; implicit-def: $vgpr2_vgpr3_vgpr4_vgpr5
                                        ; implicit-def: $vgpr14_vgpr15_vgpr16_vgpr17
                                        ; implicit-def: $vgpr10_vgpr11_vgpr12_vgpr13
	s_cbranch_execz .LBB228_31
; %bb.30:
	s_waitcnt vmcnt(0)
	v_lshlrev_b32_e32 v2, 1, v18
	v_lshl_or_b32 v21, v24, 8, v2
	s_and_b32 s1, s1, 0xffff
	s_mov_b32 s3, 0x20000
	s_movk_i32 s2, 0x4000
	v_lshl_or_b32 v25, v20, 8, v2
	s_movk_i32 s12, 0x80
	buffer_load_dwordx4 v[6:9], v21, s[0:3], 0 offen
	buffer_load_dwordx4 v[2:5], v21, s[0:3], s12 offen
	;; [unrolled: 1-line block ×4, first 2 shown]
	v_lshrrev_b32_e32 v21, 3, v18
	v_lshlrev_b32_e32 v25, 3, v24
	v_or_b32_e32 v21, v25, v21
	v_lshlrev_b32_e32 v21, 4, v21
	v_and_b32_e32 v25, 0x78, v25
	v_xor_b32_e32 v25, v21, v25
	v_lshlrev_b32_e32 v21, 7, v20
.LBB228_31:
	s_movk_i32 s0, 0x1000
	v_and_or_b32 v20, v21, s0, v25
	s_waitcnt vmcnt(1)
	ds_write_b64 v25, v[6:7] offset:49152
	v_xor_b32_e32 v6, 8, v25
	ds_write_b64 v6, v[8:9] offset:49152
	s_waitcnt vmcnt(0)
	ds_write_b64 v25, v[2:3] offset:57344
	ds_write_b64 v6, v[4:5] offset:57344
	;; [unrolled: 1-line block ×3, first 2 shown]
	v_xor_b32_e32 v2, 8, v20
	ds_write_b64 v2, v[16:17] offset:49152
	ds_write_b64 v20, v[10:11] offset:57344
	;; [unrolled: 1-line block ×3, first 2 shown]
	v_or_b32_e32 v2, v1, v77
	v_lshlrev_b32_e32 v3, 11, v75
	v_lshlrev_b32_e32 v2, 3, v2
	v_and_b32_e32 v6, 0x1000, v3
	v_lshrrev_b32_e32 v3, 5, v74
	s_movk_i32 s0, 0xf8
	v_and_or_b32 v3, v2, s0, v3
	v_lshlrev_b32_e32 v7, 4, v3
	v_and_b32_e32 v8, 0x78, v2
	v_or_b32_e32 v10, 32, v7
	v_lshrrev_b32_e32 v3, 1, v74
	v_xor_b32_e32 v10, v10, v8
	v_xor_b32_e32 v2, v7, v8
	v_and_b32_e32 v9, 8, v3
	v_or_b32_e32 v10, v10, v6
	v_or_b32_e32 v2, v2, v6
	v_xor_b32_e32 v27, v10, v9
	v_or_b32_e32 v10, 64, v7
	v_xor_b32_e32 v26, v2, v9
	v_xor_b32_e32 v10, v10, v8
	s_waitcnt lgkmcnt(0)
	s_barrier
	v_or_b32_e32 v13, v10, v6
	ds_read_b64 v[10:11], v26 offset:49152
	v_lshl_or_b32 v14, v76, 8, v34
	v_lshlrev_b32_e32 v25, 1, v14
	v_add_u32_e32 v12, 0x4000, v25
	ds_read2_b64 v[2:5], v12 offset1:16
	v_or_b32_e32 v7, 0x60, v7
	v_xor_b32_e32 v7, v7, v8
	v_or_b32_e32 v6, v7, v6
	v_xor_b32_e32 v28, v13, v9
	v_xor_b32_e32 v29, v6, v9
	ds_read_b64 v[20:21], v27 offset:49152
	ds_read_b64 v[36:37], v28 offset:49152
	;; [unrolled: 1-line block ×3, first 2 shown]
	s_waitcnt lgkmcnt(3)
	v_mfma_f32_16x16x16_bf16 a[0:3], v[10:11], v[2:3], 0
	ds_read2st64_b64 v[6:9], v25 offset0:36 offset1:40
	s_lshl_b64 s[0:1], s[24:25], 8
	s_add_u32 s4, s4, s0
	v_mfma_f32_16x16x16_bf16 a[4:7], v[10:11], v[4:5], 0
	ds_read2_b64 v[2:5], v12 offset0:32 offset1:48
	s_addc_u32 s5, s5, s1
	s_add_i32 s1, s41, s33
	s_waitcnt lgkmcnt(0)
	v_mfma_f32_16x16x16_bf16 a[8:11], v[10:11], v[2:3], 0
	v_or_b32_e32 v2, 64, v14
	v_lshlrev_b32_e32 v30, 1, v2
	s_add_i32 s0, s31, -1
	v_mfma_f32_16x16x16_bf16 a[12:15], v[10:11], v[4:5], 0
	ds_read2st64_b64 v[2:5], v30 offset0:36 offset1:40
	s_add_i32 s37, s1, s40
	s_add_i32 s1, s43, s42
	v_mfma_f32_16x16x16_bf16 a[0:3], v[20:21], v[6:7], a[0:3]
	v_or_b32_e32 v6, 0x80, v14
	v_lshlrev_b32_e32 v31, 1, v6
	ds_read2st64_b64 v[10:13], v31 offset0:36 offset1:40
	s_waitcnt lgkmcnt(1)
	v_mfma_f32_16x16x16_bf16 a[4:7], v[20:21], v[2:3], a[4:7]
	v_or_b32_e32 v2, 0xc0, v14
	v_lshlrev_b32_e32 v32, 1, v2
	ds_read2st64_b64 v[14:17], v32 offset0:36 offset1:40
	s_add_i32 s35, s1, s44
	s_ashr_i32 s1, s0, 31
	s_mul_i32 s2, s0, s29
	s_mul_hi_u32 s3, s0, s28
	s_add_i32 s2, s3, s2
	s_mul_i32 s1, s1, s28
	s_waitcnt lgkmcnt(1)
	v_mfma_f32_16x16x16_bf16 a[8:11], v[20:21], v[10:11], a[8:11]
	s_add_i32 s1, s2, s1
	s_lshl_b64 s[2:3], s[36:37], 2
	s_add_u32 s10, s10, s2
	s_waitcnt lgkmcnt(0)
	v_mfma_f32_16x16x16_bf16 a[12:15], v[20:21], v[14:15], a[12:15]
	s_addc_u32 s11, s11, s3
	s_lshl_b64 s[2:3], s[34:35], 2
	s_mul_i32 s0, s0, s28
	v_mfma_f32_16x16x16_bf16 a[0:3], v[36:37], v[8:9], a[0:3]
	ds_read_b64 v[2:3], v25 offset:22528
	s_add_u32 s10, s10, s2
	s_addc_u32 s11, s11, s3
	v_mfma_f32_16x16x16_bf16 a[4:7], v[36:37], v[4:5], a[4:7]
	ds_read_b64 v[4:5], v30 offset:22528
	ds_read_b64 v[6:7], v31 offset:22528
	;; [unrolled: 1-line block ×3, first 2 shown]
	s_lshl_b64 s[0:1], s[0:1], 2
	s_add_u32 s0, s10, s0
	v_mfma_f32_16x16x16_bf16 a[8:11], v[36:37], v[12:13], a[8:11]
	s_addc_u32 s1, s11, s1
	s_load_dword s12, s[0:1], 0x0
	s_and_b64 vcc, exec, s[22:23]
	v_mfma_f32_16x16x16_bf16 a[12:15], v[36:37], v[16:17], a[12:15]
	s_waitcnt lgkmcnt(0)
	v_mfma_f32_16x16x16_bf16 a[0:3], v[38:39], v[2:3], a[0:3]
	v_mfma_f32_16x16x16_bf16 a[4:7], v[38:39], v[4:5], a[4:7]
	v_mfma_f32_16x16x16_bf16 a[8:11], v[38:39], v[6:7], a[8:11]
	v_mfma_f32_16x16x16_bf16 a[12:15], v[38:39], v[8:9], a[12:15]
	s_cbranch_vccz .LBB228_42
; %bb.32:
	v_lshlrev_b32_e32 v20, 1, v24
	s_and_b64 vcc, exec, s[6:7]
	s_cbranch_vccz .LBB228_43
; %bb.33:
	v_cmp_gt_i32_e32 vcc, s27, v20
	v_mov_b32_e32 v6, 0
	v_mov_b32_e32 v2, 0
	;; [unrolled: 1-line block ×5, first 2 shown]
	s_and_saveexec_b64 s[0:1], vcc
	s_cbranch_execz .LBB228_35
; %bb.34:
	v_mad_i64_i32 v[2:3], s[2:3], s15, v20, 0
	v_lshl_add_u64 v[2:3], v[2:3], 1, s[4:5]
	v_lshlrev_b32_e32 v4, 1, v18
	v_mov_b32_e32 v5, 0
	v_lshl_add_u64 v[2:3], v[2:3], 0, v[4:5]
	global_load_dwordx4 v[2:5], v[2:3], off
.LBB228_35:
	s_or_b64 exec, exec, s[0:1]
	v_or_b32_e32 v21, 1, v20
	v_cmp_gt_i32_e64 s[0:1], s27, v21
	v_mov_b32_e32 v7, 0
	v_mov_b32_e32 v8, 0
	;; [unrolled: 1-line block ×3, first 2 shown]
	s_and_saveexec_b64 s[2:3], s[0:1]
	s_cbranch_execz .LBB228_37
; %bb.36:
	v_mad_i64_i32 v[6:7], s[16:17], s15, v21, 0
	v_lshl_add_u64 v[6:7], v[6:7], 1, s[4:5]
	v_lshlrev_b32_e32 v8, 1, v18
	v_mov_b32_e32 v9, 0
	v_lshl_add_u64 v[6:7], v[6:7], 0, v[8:9]
	global_load_dwordx4 v[6:9], v[6:7], off
.LBB228_37:
	s_or_b64 exec, exec, s[2:3]
	v_mov_b32_e32 v17, 0
	v_mov_b32_e32 v10, 0
	;; [unrolled: 1-line block ×5, first 2 shown]
	s_and_saveexec_b64 s[2:3], vcc
	s_cbranch_execz .LBB228_39
; %bb.38:
	v_mad_i64_i32 v[10:11], s[16:17], s15, v20, 0
	v_lshl_add_u64 v[10:11], v[10:11], 1, s[4:5]
	v_lshlrev_b32_e32 v12, 1, v18
	v_mov_b32_e32 v13, 0
	v_lshl_add_u64 v[10:11], v[10:11], 0, v[12:13]
	global_load_dwordx4 v[10:13], v[10:11], off offset:128
.LBB228_39:
	s_or_b64 exec, exec, s[2:3]
	v_mov_b32_e32 v16, 0
	v_mov_b32_e32 v15, 0
	;; [unrolled: 1-line block ×3, first 2 shown]
	s_and_saveexec_b64 s[2:3], s[0:1]
	s_cbranch_execz .LBB228_41
; %bb.40:
	v_mad_i64_i32 v[14:15], s[0:1], s15, v21, 0
	v_lshl_add_u64 v[14:15], v[14:15], 1, s[4:5]
	v_lshlrev_b32_e32 v16, 1, v18
	v_mov_b32_e32 v17, 0
	v_lshl_add_u64 v[14:15], v[14:15], 0, v[16:17]
	global_load_dwordx4 v[14:17], v[14:15], off offset:128
.LBB228_41:
	s_or_b64 exec, exec, s[2:3]
	s_branch .LBB228_45
.LBB228_42:
                                        ; implicit-def: $vgpr5
                                        ; implicit-def: $vgpr9
                                        ; implicit-def: $vgpr13
                                        ; implicit-def: $vgpr17
	v_lshrrev_b32_e32 v33, 2, v74
	s_branch .LBB228_46
.LBB228_43:
                                        ; implicit-def: $vgpr5
                                        ; implicit-def: $vgpr9
                                        ; implicit-def: $vgpr13
                                        ; implicit-def: $vgpr17
	s_cbranch_execz .LBB228_45
; %bb.44:
	s_waitcnt vmcnt(0)
	v_mad_u64_u32 v[2:3], s[0:1], v20, s15, v[18:19]
	v_lshlrev_b32_e32 v20, 1, v2
	s_lshl_b32 s2, s15, 7
	s_and_b32 s1, s5, 0xffff
	s_mov_b32 s3, 0x20000
	s_mov_b32 s0, s4
	v_add_lshl_u32 v21, v2, s15, 1
	s_movk_i32 s13, 0x80
	buffer_load_dwordx4 v[2:5], v20, s[0:3], 0 offen
	buffer_load_dwordx4 v[10:13], v20, s[0:3], s13 offen
	buffer_load_dwordx4 v[6:9], v21, s[0:3], 0 offen
	buffer_load_dwordx4 v[14:17], v21, s[0:3], s13 offen
.LBB228_45:
	v_lshrrev_b32_e32 v33, 2, v74
	s_cbranch_execnz .LBB228_58
.LBB228_46:
	s_and_b64 vcc, exec, s[6:7]
	s_cbranch_vccz .LBB228_56
; %bb.47:
	s_waitcnt vmcnt(0)
	v_lshlrev_b32_e32 v7, 1, v24
	v_cmp_gt_i32_e32 vcc, s27, v7
	v_mov_b32_e32 v6, 0
	v_lshlrev_b32_e32 v14, 9, v24
	v_mov_b32_e32 v2, 0
	v_mov_b32_e32 v3, 0
	;; [unrolled: 1-line block ×4, first 2 shown]
	s_and_saveexec_b64 s[0:1], vcc
	s_cbranch_execz .LBB228_49
; %bb.48:
	v_mov_b32_e32 v15, 0
	v_lshl_add_u64 v[2:3], s[4:5], 0, v[14:15]
	v_lshlrev_b32_e32 v4, 1, v18
	v_mov_b32_e32 v5, v15
	v_lshl_add_u64 v[2:3], v[2:3], 0, v[4:5]
	global_load_dwordx4 v[2:5], v[2:3], off
.LBB228_49:
	s_or_b64 exec, exec, s[0:1]
	v_or_b32_e32 v7, 1, v7
	v_cmp_gt_i32_e64 s[0:1], s27, v7
	v_lshlrev_b32_e32 v20, 8, v7
	v_mov_b32_e32 v7, 0
	v_mov_b32_e32 v8, 0
	;; [unrolled: 1-line block ×3, first 2 shown]
	s_and_saveexec_b64 s[2:3], s[0:1]
	s_cbranch_execz .LBB228_51
; %bb.50:
	v_mov_b32_e32 v21, 0
	v_lshl_add_u64 v[6:7], s[4:5], 0, v[20:21]
	v_lshlrev_b32_e32 v8, 1, v18
	v_mov_b32_e32 v9, v21
	v_lshl_add_u64 v[6:7], v[6:7], 0, v[8:9]
	global_load_dwordx4 v[6:9], v[6:7], off
.LBB228_51:
	s_or_b64 exec, exec, s[2:3]
	v_mov_b32_e32 v17, 0
	v_mov_b32_e32 v10, 0
	;; [unrolled: 1-line block ×5, first 2 shown]
	s_and_saveexec_b64 s[2:3], vcc
	s_cbranch_execz .LBB228_53
; %bb.52:
	v_mov_b32_e32 v15, 0
	v_lshl_add_u64 v[10:11], s[4:5], 0, v[14:15]
	v_lshlrev_b32_e32 v14, 1, v18
	v_lshl_add_u64 v[10:11], v[10:11], 0, v[14:15]
	global_load_dwordx4 v[10:13], v[10:11], off offset:128
.LBB228_53:
	s_or_b64 exec, exec, s[2:3]
	v_mov_b32_e32 v16, 0
	v_mov_b32_e32 v15, 0
	;; [unrolled: 1-line block ×3, first 2 shown]
	s_and_saveexec_b64 s[2:3], s[0:1]
	s_cbranch_execz .LBB228_55
; %bb.54:
	v_mov_b32_e32 v21, 0
	v_lshl_add_u64 v[14:15], s[4:5], 0, v[20:21]
	v_lshlrev_b32_e32 v20, 1, v18
	v_lshl_add_u64 v[14:15], v[14:15], 0, v[20:21]
	global_load_dwordx4 v[14:17], v[14:15], off offset:128
.LBB228_55:
	s_or_b64 exec, exec, s[2:3]
	s_branch .LBB228_58
.LBB228_56:
                                        ; implicit-def: $vgpr5
                                        ; implicit-def: $vgpr9
                                        ; implicit-def: $vgpr13
                                        ; implicit-def: $vgpr17
	s_cbranch_execz .LBB228_58
; %bb.57:
	s_waitcnt vmcnt(0)
	v_lshlrev_b32_e32 v2, 1, v18
	v_lshl_or_b32 v18, v24, 9, v2
	s_and_b32 s5, s5, 0xffff
	s_mov_b32 s7, 0x20000
	s_movk_i32 s6, 0x4000
	s_movk_i32 s0, 0x80
	buffer_load_dwordx4 v[2:5], v18, s[4:7], 0 offen
	buffer_load_dwordx4 v[6:9], v18, s[4:7], 0 offen offset:256
	buffer_load_dwordx4 v[10:13], v18, s[4:7], s0 offen
	buffer_load_dwordx4 v[14:17], v18, s[4:7], s0 offen offset:256
.LBB228_58:
	ds_read_b64 v[20:21], v26 offset:57344
	v_add_u32_e32 v18, 0x6000, v25
	ds_read2_b64 v[36:39], v18 offset1:16
	ds_read_b64 v[48:49], v27 offset:57344
	ds_read_b64 v[50:51], v28 offset:57344
	;; [unrolled: 1-line block ×3, first 2 shown]
	ds_read2_b64 v[26:29], v18 offset0:32 offset1:48
	v_and_b32_e32 v18, 6, v0
	v_xor_b32_e32 v24, v24, v18
	v_lshlrev_b32_e32 v24, 2, v24
	v_and_b32_e32 v0, 1, v0
	v_cmp_eq_u32_e32 vcc, 0, v0
	s_waitcnt lgkmcnt(4)
	v_mfma_f32_16x16x16_bf16 a[0:3], v[20:21], v[36:37], a[0:3]
	s_mov_b32 s0, 0x1000504
	s_mov_b32 s1, 0x3020706
	v_mfma_f32_16x16x16_bf16 a[4:7], v[20:21], v[38:39], a[4:7]
	ds_read2st64_b64 v[36:39], v25 offset0:52 offset1:56
	s_waitcnt lgkmcnt(1)
	v_mfma_f32_16x16x16_bf16 a[8:11], v[20:21], v[26:27], a[8:11]
	v_mfma_f32_16x16x16_bf16 a[12:15], v[20:21], v[28:29], a[12:15]
	ds_read2st64_b64 v[26:29], v30 offset0:52 offset1:56
	ds_read2st64_b64 v[40:43], v31 offset0:52 offset1:56
	;; [unrolled: 1-line block ×3, first 2 shown]
	s_waitcnt lgkmcnt(3)
	v_mfma_f32_16x16x16_bf16 a[0:3], v[48:49], v[36:37], a[0:3]
	ds_read_b64 v[20:21], v25 offset:30720
	ds_read_b64 v[36:37], v30 offset:30720
	;; [unrolled: 1-line block ×4, first 2 shown]
	v_xor_b32_e32 v25, 0x440, v24
	v_cndmask_b32_e32 v0, v25, v24, vcc
	s_waitcnt lgkmcnt(6)
	v_mfma_f32_16x16x16_bf16 a[4:7], v[48:49], v[26:27], a[4:7]
	v_lshl_or_b32 v0, v18, 10, v0
	s_waitcnt vmcnt(0)
	v_perm_b32 v18, v2, v6, s0
	v_perm_b32 v24, v10, v14, s0
	s_waitcnt lgkmcnt(5)
	v_mfma_f32_16x16x16_bf16 a[8:11], v[48:49], v[40:41], a[8:11]
	ds_write2st64_b32 v0, v18, v24 offset0:128 offset1:160
	v_xor_b32_e32 v18, 8, v0
	v_perm_b32 v2, v2, v6, s1
	s_waitcnt lgkmcnt(5)
	v_mfma_f32_16x16x16_bf16 a[12:15], v[48:49], v[44:45], a[12:15]
	v_perm_b32 v6, v10, v14, s1
	v_add_u32_e32 v10, 0x80, v18
	ds_write2st64_b32 v10, v2, v6 offset0:128 offset1:160
	v_mfma_f32_16x16x16_bf16 a[0:3], v[50:51], v[38:39], a[0:3]
	v_xor_b32_e32 v2, 16, v0
	v_perm_b32 v6, v3, v7, s0
	v_perm_b32 v10, v11, v15, s0
	v_mfma_f32_16x16x16_bf16 a[4:7], v[50:51], v[28:29], a[4:7]
	ds_write2st64_b32 v2, v6, v10 offset0:129 offset1:161
	v_xor_b32_e32 v2, 24, v0
	v_perm_b32 v3, v3, v7, s1
	v_mfma_f32_16x16x16_bf16 a[16:19], v[50:51], v[42:43], a[8:11]
	v_perm_b32 v6, v11, v15, s1
	v_add_u32_e32 v2, 0x80, v2
	ds_write2st64_b32 v2, v3, v6 offset0:129 offset1:161
	v_mfma_f32_16x16x16_bf16 a[20:23], v[50:51], v[46:47], a[12:15]
	v_xor_b32_e32 v2, 32, v0
	v_perm_b32 v3, v4, v8, s0
	v_perm_b32 v6, v12, v16, s0
	s_waitcnt lgkmcnt(7)
	v_mfma_f32_16x16x16_bf16 a[12:15], v[52:53], v[20:21], a[0:3]
	ds_write2st64_b32 v2, v3, v6 offset0:130 offset1:162
	v_xor_b32_e32 v2, 40, v0
	v_perm_b32 v3, v4, v8, s1
	s_waitcnt lgkmcnt(7)
	v_mfma_f32_16x16x16_bf16 a[8:11], v[52:53], v[36:37], a[4:7]
	v_perm_b32 v4, v12, v16, s1
	v_add_u32_e32 v2, 0x80, v2
	ds_write2st64_b32 v2, v3, v4 offset0:130 offset1:162
	s_waitcnt lgkmcnt(7)
	v_mfma_f32_16x16x16_bf16 a[4:7], v[52:53], v[30:31], a[16:19]
	v_xor_b32_e32 v2, 48, v0
	v_perm_b32 v3, v5, v9, s0
	v_perm_b32 v4, v13, v17, s0
	s_waitcnt lgkmcnt(6)
	v_mfma_f32_16x16x16_bf16 a[0:3], v[52:53], v[54:55], a[20:23]
	v_xor_b32_e32 v0, 56, v0
	v_and_or_b32 v18, v33, 12, v1
	ds_write2st64_b32 v2, v3, v4 offset0:131 offset1:163
	v_perm_b32 v2, v5, v9, s1
	v_perm_b32 v3, v13, v17, s1
	v_add_u32_e32 v0, 0x80, v0
	v_cmp_gt_i32_e32 vcc, s27, v18
	v_mov_b32_e32 v14, 0
	v_mov_b32_e32 v16, 0
	ds_write2st64_b32 v0, v2, v3 offset0:131 offset1:163
	s_and_saveexec_b64 s[0:1], vcc
	s_cbranch_execz .LBB228_60
; %bb.59:
	v_add_u32_e32 v0, s26, v18
	v_ashrrev_i32_e32 v1, 31, v0
	v_mul_lo_u32 v2, v1, s28
	v_mul_lo_u32 v3, v0, s29
	v_mad_u64_u32 v[0:1], s[2:3], v0, s28, 0
	v_add3_u32 v1, v1, v3, v2
	v_lshl_add_u64 v[0:1], v[0:1], 2, s[10:11]
	global_load_dword v0, v[0:1], off
	s_waitcnt vmcnt(0)
	v_sub_f32_e32 v0, s12, v0
	v_mul_f32_e32 v0, 0x3fb8aa3b, v0
	v_exp_f32_e32 v16, v0
.LBB228_60:
	s_or_b64 exec, exec, s[0:1]
	v_or_b32_e32 v8, 1, v18
	v_cmp_gt_i32_e64 s[0:1], s27, v8
	s_and_saveexec_b64 s[2:3], s[0:1]
	s_cbranch_execz .LBB228_62
; %bb.61:
	v_add_u32_e32 v0, s26, v8
	v_ashrrev_i32_e32 v1, 31, v0
	v_mul_lo_u32 v2, v1, s28
	v_mul_lo_u32 v3, v0, s29
	v_mad_u64_u32 v[0:1], s[4:5], v0, s28, 0
	v_add3_u32 v1, v1, v3, v2
	v_lshl_add_u64 v[0:1], v[0:1], 2, s[10:11]
	global_load_dword v0, v[0:1], off
	s_waitcnt vmcnt(0)
	v_sub_f32_e32 v0, s12, v0
	v_mul_f32_e32 v0, 0x3fb8aa3b, v0
	v_exp_f32_e32 v14, v0
.LBB228_62:
	s_or_b64 exec, exec, s[2:3]
	v_or_b32_e32 v10, 2, v18
	v_cmp_gt_i32_e64 s[2:3], s27, v10
	v_mov_b32_e32 v15, 0
	v_mov_b32_e32 v17, 0
	s_and_saveexec_b64 s[4:5], s[2:3]
	s_cbranch_execz .LBB228_64
; %bb.63:
	v_add_u32_e32 v0, s26, v10
	v_ashrrev_i32_e32 v1, 31, v0
	v_mul_lo_u32 v2, v1, s28
	v_mul_lo_u32 v3, v0, s29
	v_mad_u64_u32 v[0:1], s[6:7], v0, s28, 0
	v_add3_u32 v1, v1, v3, v2
	v_lshl_add_u64 v[0:1], v[0:1], 2, s[10:11]
	global_load_dword v0, v[0:1], off
	s_waitcnt vmcnt(0)
	v_sub_f32_e32 v0, s12, v0
	v_mul_f32_e32 v0, 0x3fb8aa3b, v0
	v_exp_f32_e32 v17, v0
.LBB228_64:
	s_or_b64 exec, exec, s[4:5]
	v_or_b32_e32 v12, 3, v18
	v_cmp_gt_i32_e64 s[4:5], s27, v12
	s_and_saveexec_b64 s[6:7], s[4:5]
	s_cbranch_execz .LBB228_66
; %bb.65:
	v_add_u32_e32 v0, s26, v12
	v_ashrrev_i32_e32 v1, 31, v0
	v_mul_lo_u32 v2, v1, s28
	v_mul_lo_u32 v3, v0, s29
	v_mad_u64_u32 v[0:1], s[14:15], v0, s28, 0
	v_add3_u32 v1, v1, v3, v2
	v_lshl_add_u64 v[0:1], v[0:1], 2, s[10:11]
	global_load_dword v0, v[0:1], off
	s_waitcnt vmcnt(0)
	v_sub_f32_e32 v0, s12, v0
	v_mul_f32_e32 v0, 0x3fb8aa3b, v0
	v_exp_f32_e32 v15, v0
.LBB228_66:
	s_or_b64 exec, exec, s[6:7]
	s_add_u32 s6, s8, s20
	v_accvgpr_read_b32 v0, a12
	s_addc_u32 s7, s9, s21
	v_ashrrev_i32_e32 v67, 31, v66
	v_accvgpr_read_b32 v1, a13
	v_accvgpr_read_b32 v2, a14
	;; [unrolled: 1-line block ×3, first 2 shown]
	v_lshl_add_u64 v[4:5], v[66:67], 1, s[6:7]
	v_mov_b32_e32 v9, 0
	v_lshlrev_b32_e32 v6, 8, v18
	v_mov_b32_e32 v7, 0
	s_and_saveexec_b64 s[6:7], vcc
	s_cbranch_execz .LBB228_68
; %bb.67:
	v_mov_b32_e32 v7, 0
	v_lshl_add_u64 v[20:21], v[4:5], 0, v[6:7]
	global_load_ushort v7, v[20:21], off
	s_waitcnt vmcnt(0)
	v_lshlrev_b32_e32 v7, 16, v7
	v_sub_f32_e32 v0, v7, v0
	v_mul_f32_e32 v0, v16, v0
	v_lshrrev_b32_e32 v7, 16, v0
.LBB228_68:
	s_or_b64 exec, exec, s[6:7]
	v_lshlrev_b32_e32 v8, 8, v8
	s_and_saveexec_b64 s[6:7], s[0:1]
	s_cbranch_execz .LBB228_70
; %bb.69:
	v_mov_b32_e32 v9, 0
	v_lshl_add_u64 v[20:21], v[4:5], 0, v[8:9]
	global_load_ushort v0, v[20:21], off
	s_waitcnt vmcnt(0)
	v_lshlrev_b32_e32 v0, 16, v0
	v_sub_f32_e32 v0, v0, v1
	v_mul_f32_e32 v0, v14, v0
	v_lshrrev_b32_e32 v9, 16, v0
.LBB228_70:
	s_or_b64 exec, exec, s[6:7]
	v_mov_b32_e32 v13, 0
	v_lshlrev_b32_e32 v10, 8, v10
	v_mov_b32_e32 v11, 0
	s_and_saveexec_b64 s[6:7], s[2:3]
	s_cbranch_execz .LBB228_72
; %bb.71:
	v_mov_b32_e32 v11, 0
	v_lshl_add_u64 v[0:1], v[4:5], 0, v[10:11]
	global_load_ushort v0, v[0:1], off
	s_waitcnt vmcnt(0)
	v_lshlrev_b32_e32 v0, 16, v0
	v_sub_f32_e32 v0, v0, v2
	v_mul_f32_e32 v0, v17, v0
	v_lshrrev_b32_e32 v11, 16, v0
.LBB228_72:
	s_or_b64 exec, exec, s[6:7]
	v_lshlrev_b32_e32 v12, 8, v12
	s_and_saveexec_b64 s[6:7], s[4:5]
	s_cbranch_execz .LBB228_74
; %bb.73:
	v_mov_b32_e32 v13, 0
	v_lshl_add_u64 v[0:1], v[4:5], 0, v[12:13]
	global_load_ushort v0, v[0:1], off
	s_waitcnt vmcnt(0)
	v_lshlrev_b32_e32 v0, 16, v0
	v_sub_f32_e32 v0, v0, v3
	v_mul_f32_e32 v0, v15, v0
	v_lshrrev_b32_e32 v13, 16, v0
.LBB228_74:
	s_or_b64 exec, exec, s[6:7]
	v_lshlrev_b32_e32 v18, 6, v18
	s_mov_b32 s6, 0x5040100
	v_perm_b32 v20, v9, v7, s6
	v_or_b32_e32 v7, v18, v34
	v_accvgpr_read_b32 v0, a8
	v_perm_b32 v21, v13, v11, s6
	v_lshlrev_b32_e32 v7, 1, v7
	v_accvgpr_read_b32 v1, a9
	v_accvgpr_read_b32 v2, a10
	;; [unrolled: 1-line block ×3, first 2 shown]
	ds_write_b64 v7, v[20:21] offset:24576
	v_mov_b32_e32 v9, 0
	v_mov_b32_e32 v7, 0
	s_and_saveexec_b64 s[6:7], vcc
	s_cbranch_execz .LBB228_76
; %bb.75:
	v_mov_b32_e32 v7, 0
	v_lshl_add_u64 v[20:21], v[4:5], 0, v[6:7]
	global_load_ushort v7, v[20:21], off offset:32
	s_waitcnt vmcnt(0)
	v_lshlrev_b32_e32 v7, 16, v7
	v_sub_f32_e32 v0, v7, v0
	v_mul_f32_e32 v0, v16, v0
	v_lshrrev_b32_e32 v7, 16, v0
.LBB228_76:
	s_or_b64 exec, exec, s[6:7]
	s_and_saveexec_b64 s[6:7], s[0:1]
	s_cbranch_execz .LBB228_78
; %bb.77:
	v_mov_b32_e32 v9, 0
	v_lshl_add_u64 v[20:21], v[4:5], 0, v[8:9]
	global_load_ushort v0, v[20:21], off offset:32
	s_waitcnt vmcnt(0)
	v_lshlrev_b32_e32 v0, 16, v0
	v_sub_f32_e32 v0, v0, v1
	v_mul_f32_e32 v0, v14, v0
	v_lshrrev_b32_e32 v9, 16, v0
.LBB228_78:
	s_or_b64 exec, exec, s[6:7]
	v_mov_b32_e32 v13, 0
	v_mov_b32_e32 v11, 0
	s_and_saveexec_b64 s[6:7], s[2:3]
	s_cbranch_execz .LBB228_80
; %bb.79:
	v_mov_b32_e32 v11, 0
	v_lshl_add_u64 v[0:1], v[4:5], 0, v[10:11]
	global_load_ushort v0, v[0:1], off offset:32
	s_waitcnt vmcnt(0)
	v_lshlrev_b32_e32 v0, 16, v0
	v_sub_f32_e32 v0, v0, v2
	v_mul_f32_e32 v0, v17, v0
	v_lshrrev_b32_e32 v11, 16, v0
.LBB228_80:
	s_or_b64 exec, exec, s[6:7]
	s_and_saveexec_b64 s[6:7], s[4:5]
	s_cbranch_execz .LBB228_82
; %bb.81:
	v_mov_b32_e32 v13, 0
	v_lshl_add_u64 v[0:1], v[4:5], 0, v[12:13]
	global_load_ushort v0, v[0:1], off offset:32
	s_waitcnt vmcnt(0)
	v_lshlrev_b32_e32 v0, 16, v0
	v_sub_f32_e32 v0, v0, v3
	v_mul_f32_e32 v0, v15, v0
	v_lshrrev_b32_e32 v13, 16, v0
.LBB228_82:
	s_or_b64 exec, exec, s[6:7]
	s_mov_b32 s6, 0x5040100
	v_perm_b32 v20, v9, v7, s6
	v_or_b32_e32 v7, v18, v23
	v_accvgpr_read_b32 v0, a4
	v_perm_b32 v21, v13, v11, s6
	v_lshlrev_b32_e32 v7, 1, v7
	v_accvgpr_read_b32 v1, a5
	v_accvgpr_read_b32 v2, a6
	;; [unrolled: 1-line block ×3, first 2 shown]
	ds_write_b64 v7, v[20:21] offset:24576
	v_mov_b32_e32 v9, 0
	v_mov_b32_e32 v7, 0
	s_and_saveexec_b64 s[6:7], vcc
	s_cbranch_execz .LBB228_84
; %bb.83:
	v_mov_b32_e32 v7, 0
	v_lshl_add_u64 v[20:21], v[4:5], 0, v[6:7]
	global_load_ushort v7, v[20:21], off offset:64
	s_waitcnt vmcnt(0)
	v_lshlrev_b32_e32 v7, 16, v7
	v_sub_f32_e32 v0, v7, v0
	v_mul_f32_e32 v0, v16, v0
	v_lshrrev_b32_e32 v7, 16, v0
.LBB228_84:
	s_or_b64 exec, exec, s[6:7]
	s_and_saveexec_b64 s[6:7], s[0:1]
	s_cbranch_execz .LBB228_86
; %bb.85:
	v_mov_b32_e32 v9, 0
	v_lshl_add_u64 v[20:21], v[4:5], 0, v[8:9]
	global_load_ushort v0, v[20:21], off offset:64
	s_waitcnt vmcnt(0)
	v_lshlrev_b32_e32 v0, 16, v0
	v_sub_f32_e32 v0, v0, v1
	v_mul_f32_e32 v0, v14, v0
	v_lshrrev_b32_e32 v9, 16, v0
.LBB228_86:
	s_or_b64 exec, exec, s[6:7]
	v_mov_b32_e32 v13, 0
	v_mov_b32_e32 v11, 0
	s_and_saveexec_b64 s[6:7], s[2:3]
	s_cbranch_execz .LBB228_88
; %bb.87:
	v_mov_b32_e32 v11, 0
	v_lshl_add_u64 v[0:1], v[4:5], 0, v[10:11]
	global_load_ushort v0, v[0:1], off offset:64
	s_waitcnt vmcnt(0)
	v_lshlrev_b32_e32 v0, 16, v0
	v_sub_f32_e32 v0, v0, v2
	v_mul_f32_e32 v0, v17, v0
	v_lshrrev_b32_e32 v11, 16, v0
.LBB228_88:
	s_or_b64 exec, exec, s[6:7]
	s_and_saveexec_b64 s[6:7], s[4:5]
	s_cbranch_execz .LBB228_90
; %bb.89:
	v_mov_b32_e32 v13, 0
	v_lshl_add_u64 v[0:1], v[4:5], 0, v[12:13]
	global_load_ushort v0, v[0:1], off offset:64
	s_waitcnt vmcnt(0)
	v_lshlrev_b32_e32 v0, 16, v0
	v_sub_f32_e32 v0, v0, v3
	v_mul_f32_e32 v0, v15, v0
	v_lshrrev_b32_e32 v13, 16, v0
.LBB228_90:
	s_or_b64 exec, exec, s[6:7]
	s_mov_b32 s6, 0x5040100
	v_perm_b32 v20, v9, v7, s6
	v_or_b32_e32 v7, v18, v22
	v_accvgpr_read_b32 v0, a0
	v_perm_b32 v21, v13, v11, s6
	v_lshlrev_b32_e32 v7, 1, v7
	v_accvgpr_read_b32 v1, a1
	v_accvgpr_read_b32 v2, a2
	;; [unrolled: 1-line block ×3, first 2 shown]
	ds_write_b64 v7, v[20:21] offset:24576
	v_mov_b32_e32 v9, 0
	v_mov_b32_e32 v7, 0
	s_and_saveexec_b64 s[6:7], vcc
	s_cbranch_execz .LBB228_92
; %bb.91:
	v_mov_b32_e32 v7, 0
	v_lshl_add_u64 v[6:7], v[4:5], 0, v[6:7]
	global_load_ushort v6, v[6:7], off offset:96
	s_waitcnt vmcnt(0)
	v_lshlrev_b32_e32 v6, 16, v6
	v_sub_f32_e32 v0, v6, v0
	v_mul_f32_e32 v0, v16, v0
	v_lshrrev_b32_e32 v7, 16, v0
.LBB228_92:
	s_or_b64 exec, exec, s[6:7]
	s_and_saveexec_b64 s[6:7], s[0:1]
	s_cbranch_execz .LBB228_94
; %bb.93:
	v_mov_b32_e32 v9, 0
	v_lshl_add_u64 v[8:9], v[4:5], 0, v[8:9]
	global_load_ushort v0, v[8:9], off offset:96
	s_waitcnt vmcnt(0)
	v_lshlrev_b32_e32 v0, 16, v0
	v_sub_f32_e32 v0, v0, v1
	v_mul_f32_e32 v0, v14, v0
	v_lshrrev_b32_e32 v9, 16, v0
.LBB228_94:
	s_or_b64 exec, exec, s[6:7]
	v_mov_b32_e32 v0, 0
	v_mov_b32_e32 v1, 0
	s_and_saveexec_b64 s[0:1], s[2:3]
	s_cbranch_execz .LBB228_96
; %bb.95:
	v_mov_b32_e32 v11, 0
	v_lshl_add_u64 v[10:11], v[4:5], 0, v[10:11]
	global_load_ushort v1, v[10:11], off offset:96
	s_waitcnt vmcnt(0)
	v_lshlrev_b32_e32 v1, 16, v1
	v_sub_f32_e32 v1, v1, v2
	v_mul_f32_e32 v1, v17, v1
	v_lshrrev_b32_e32 v1, 16, v1
.LBB228_96:
	s_or_b64 exec, exec, s[0:1]
	s_and_saveexec_b64 s[0:1], s[4:5]
	s_cbranch_execz .LBB228_98
; %bb.97:
	v_mov_b32_e32 v13, 0
	v_lshl_add_u64 v[4:5], v[4:5], 0, v[12:13]
	global_load_ushort v0, v[4:5], off offset:96
	s_waitcnt vmcnt(0)
	v_lshlrev_b32_e32 v0, 16, v0
	v_sub_f32_e32 v0, v0, v3
	v_mul_f32_e32 v0, v15, v0
	v_lshrrev_b32_e32 v0, 16, v0
.LBB228_98:
	s_or_b64 exec, exec, s[0:1]
	s_mov_b32 s0, 0x5040100
	v_or_b32_e32 v2, v18, v19
	v_perm_b32 v1, v0, v1, s0
	v_perm_b32 v0, v9, v7, s0
	v_lshlrev_b32_e32 v2, 1, v2
	ds_write_b64 v2, v[0:1] offset:24576
	s_waitcnt lgkmcnt(0)
	s_barrier
.LBB228_99:
	s_endpgm
	.section	.rodata,"a",@progbits
	.p2align	6, 0x0
	.amdhsa_kernel _ZN12_GLOBAL__N_139chunk_gated_delta_rule_fwd_h_hip_kernelILi64ELb1ELb0ELb0ELb1ELb0ELb0ELb1ELb0EEEvPK12hip_bfloat16S3_S3_PKfS5_PKvPS1_S8_PvPKiSB_iiiiilll
		.amdhsa_group_segment_fixed_size 65536
		.amdhsa_private_segment_fixed_size 0
		.amdhsa_kernarg_size 136
		.amdhsa_user_sgpr_count 2
		.amdhsa_user_sgpr_dispatch_ptr 0
		.amdhsa_user_sgpr_queue_ptr 0
		.amdhsa_user_sgpr_kernarg_segment_ptr 1
		.amdhsa_user_sgpr_dispatch_id 0
		.amdhsa_user_sgpr_kernarg_preload_length 0
		.amdhsa_user_sgpr_kernarg_preload_offset 0
		.amdhsa_user_sgpr_private_segment_size 0
		.amdhsa_uses_dynamic_stack 0
		.amdhsa_enable_private_segment 0
		.amdhsa_system_sgpr_workgroup_id_x 1
		.amdhsa_system_sgpr_workgroup_id_y 1
		.amdhsa_system_sgpr_workgroup_id_z 0
		.amdhsa_system_sgpr_workgroup_info 0
		.amdhsa_system_vgpr_workitem_id 0
		.amdhsa_next_free_vgpr 216
		.amdhsa_next_free_sgpr 61
		.amdhsa_accum_offset 180
		.amdhsa_reserve_vcc 1
		.amdhsa_float_round_mode_32 0
		.amdhsa_float_round_mode_16_64 0
		.amdhsa_float_denorm_mode_32 3
		.amdhsa_float_denorm_mode_16_64 3
		.amdhsa_dx10_clamp 1
		.amdhsa_ieee_mode 1
		.amdhsa_fp16_overflow 0
		.amdhsa_tg_split 0
		.amdhsa_exception_fp_ieee_invalid_op 0
		.amdhsa_exception_fp_denorm_src 0
		.amdhsa_exception_fp_ieee_div_zero 0
		.amdhsa_exception_fp_ieee_overflow 0
		.amdhsa_exception_fp_ieee_underflow 0
		.amdhsa_exception_fp_ieee_inexact 0
		.amdhsa_exception_int_div_zero 0
	.end_amdhsa_kernel
	.section	.text._ZN12_GLOBAL__N_139chunk_gated_delta_rule_fwd_h_hip_kernelILi64ELb1ELb0ELb0ELb1ELb0ELb0ELb1ELb0EEEvPK12hip_bfloat16S3_S3_PKfS5_PKvPS1_S8_PvPKiSB_iiiiilll,"axG",@progbits,_ZN12_GLOBAL__N_139chunk_gated_delta_rule_fwd_h_hip_kernelILi64ELb1ELb0ELb0ELb1ELb0ELb0ELb1ELb0EEEvPK12hip_bfloat16S3_S3_PKfS5_PKvPS1_S8_PvPKiSB_iiiiilll,comdat
.Lfunc_end228:
	.size	_ZN12_GLOBAL__N_139chunk_gated_delta_rule_fwd_h_hip_kernelILi64ELb1ELb0ELb0ELb1ELb0ELb0ELb1ELb0EEEvPK12hip_bfloat16S3_S3_PKfS5_PKvPS1_S8_PvPKiSB_iiiiilll, .Lfunc_end228-_ZN12_GLOBAL__N_139chunk_gated_delta_rule_fwd_h_hip_kernelILi64ELb1ELb0ELb0ELb1ELb0ELb0ELb1ELb0EEEvPK12hip_bfloat16S3_S3_PKfS5_PKvPS1_S8_PvPKiSB_iiiiilll
                                        ; -- End function
	.section	.AMDGPU.csdata,"",@progbits
; Kernel info:
; codeLenInByte = 10696
; NumSgprs: 67
; NumVgprs: 178
; NumAgprs: 36
; TotalNumVgprs: 216
; ScratchSize: 0
; MemoryBound: 0
; FloatMode: 240
; IeeeMode: 1
; LDSByteSize: 65536 bytes/workgroup (compile time only)
; SGPRBlocks: 8
; VGPRBlocks: 26
; NumSGPRsForWavesPerEU: 67
; NumVGPRsForWavesPerEU: 216
; AccumOffset: 180
; Occupancy: 1
; WaveLimiterHint : 1
; COMPUTE_PGM_RSRC2:SCRATCH_EN: 0
; COMPUTE_PGM_RSRC2:USER_SGPR: 2
; COMPUTE_PGM_RSRC2:TRAP_HANDLER: 0
; COMPUTE_PGM_RSRC2:TGID_X_EN: 1
; COMPUTE_PGM_RSRC2:TGID_Y_EN: 1
; COMPUTE_PGM_RSRC2:TGID_Z_EN: 0
; COMPUTE_PGM_RSRC2:TIDIG_COMP_CNT: 0
; COMPUTE_PGM_RSRC3_GFX90A:ACCUM_OFFSET: 44
; COMPUTE_PGM_RSRC3_GFX90A:TG_SPLIT: 0
	.section	.text._ZN12_GLOBAL__N_139chunk_gated_delta_rule_fwd_h_hip_kernelILi64ELb0ELb1ELb1ELb1ELb0ELb0ELb1ELb0EEEvPK12hip_bfloat16S3_S3_PKfS5_PKvPS1_S8_PvPKiSB_iiiiilll,"axG",@progbits,_ZN12_GLOBAL__N_139chunk_gated_delta_rule_fwd_h_hip_kernelILi64ELb0ELb1ELb1ELb1ELb0ELb0ELb1ELb0EEEvPK12hip_bfloat16S3_S3_PKfS5_PKvPS1_S8_PvPKiSB_iiiiilll,comdat
	.globl	_ZN12_GLOBAL__N_139chunk_gated_delta_rule_fwd_h_hip_kernelILi64ELb0ELb1ELb1ELb1ELb0ELb0ELb1ELb0EEEvPK12hip_bfloat16S3_S3_PKfS5_PKvPS1_S8_PvPKiSB_iiiiilll ; -- Begin function _ZN12_GLOBAL__N_139chunk_gated_delta_rule_fwd_h_hip_kernelILi64ELb0ELb1ELb1ELb1ELb0ELb0ELb1ELb0EEEvPK12hip_bfloat16S3_S3_PKfS5_PKvPS1_S8_PvPKiSB_iiiiilll
	.p2align	8
	.type	_ZN12_GLOBAL__N_139chunk_gated_delta_rule_fwd_h_hip_kernelILi64ELb0ELb1ELb1ELb1ELb0ELb0ELb1ELb0EEEvPK12hip_bfloat16S3_S3_PKfS5_PKvPS1_S8_PvPKiSB_iiiiilll,@function
_ZN12_GLOBAL__N_139chunk_gated_delta_rule_fwd_h_hip_kernelILi64ELb0ELb1ELb1ELb1ELb0ELb0ELb1ELb0EEEvPK12hip_bfloat16S3_S3_PKfS5_PKvPS1_S8_PvPKiSB_iiiiilll: ; @_ZN12_GLOBAL__N_139chunk_gated_delta_rule_fwd_h_hip_kernelILi64ELb0ELb1ELb1ELb1ELb0ELb0ELb1ELb0EEEvPK12hip_bfloat16S3_S3_PKfS5_PKvPS1_S8_PvPKiSB_iiiiilll
; %bb.0:
	s_load_dwordx4 s[20:23], s[0:1], 0x5c
	s_abs_i32 s27, s3
	s_ashr_i32 s26, s3, 31
	s_load_dwordx2 s[24:25], s[0:1], 0x50
	s_load_dwordx8 s[4:11], s[0:1], 0x30
	s_load_dwordx8 s[12:19], s[0:1], 0x0
	s_waitcnt lgkmcnt(0)
	s_abs_i32 s30, s21
	v_cvt_f32_u32_e32 v1, s30
	s_sub_i32 s28, 0, s30
	s_ashr_i32 s33, s21, 31
	s_xor_b32 s26, s26, s33
	v_rcp_iflag_f32_e32 v1, v1
	v_lshrrev_b32_e32 v74, 6, v0
	v_bfe_u32 v77, v0, 4, 2
	v_lshlrev_b32_e32 v75, 4, v74
	v_mul_f32_e32 v1, 0x4f7ffffe, v1
	v_cvt_u32_f32_e32 v1, v1
	v_lshlrev_b32_e32 v34, 2, v77
	v_and_b32_e32 v76, 63, v0
	v_mov_b32_e32 v5, 0
	v_readfirstlane_b32 s29, v1
	s_mul_i32 s28, s28, s29
	s_mul_hi_u32 s28, s29, s28
	s_add_i32 s29, s29, s28
	s_mul_hi_u32 s28, s27, s29
	s_mul_i32 s29, s28, s30
	s_sub_i32 s27, s27, s29
	s_add_i32 s31, s28, 1
	s_sub_i32 s29, s27, s30
	s_cmp_ge_u32 s27, s30
	s_cselect_b32 s28, s31, s28
	s_cselect_b32 s27, s29, s27
	s_add_i32 s29, s28, 1
	s_cmp_ge_u32 s27, s30
	s_cselect_b32 s27, s29, s28
	s_xor_b32 s27, s27, s26
	s_sub_i32 s34, s27, s26
	s_mul_i32 s26, s34, s21
	s_ashr_i32 s35, s34, 31
	s_sub_i32 s46, s3, s26
	s_lshl_b64 s[26:27], s[34:35], 2
	s_add_u32 s10, s10, s26
	s_addc_u32 s11, s11, s27
	s_add_u32 s28, s24, s26
	s_addc_u32 s29, s25, s27
	s_abs_i32 s3, s22
	v_cvt_f32_u32_e32 v1, s3
	s_load_dwordx2 s[40:41], s[10:11], 0x0
	s_sub_i32 s11, 0, s3
	s_mov_b32 s47, s21
	v_rcp_iflag_f32_e32 v1, v1
	v_and_b32_e32 v78, 15, v0
	s_waitcnt lgkmcnt(0)
	s_sub_i32 s56, s41, s40
	s_ashr_i32 s10, s56, 31
	v_mul_f32_e32 v1, 0x4f7ffffe, v1
	v_cvt_u32_f32_e32 v1, v1
	s_lshr_b32 s10, s10, 26
	s_add_i32 s10, s56, s10
	s_ashr_i32 s51, s10, 6
	v_readfirstlane_b32 s24, v1
	s_mul_i32 s11, s11, s24
	s_mul_hi_u32 s11, s24, s11
	s_add_i32 s24, s24, s11
	s_mul_hi_u32 s11, s30, s24
	s_mul_i32 s24, s11, s3
	s_ashr_i32 s10, s22, 31
	s_sub_i32 s24, s30, s24
	s_xor_b32 s10, s33, s10
	s_add_i32 s25, s11, 1
	s_sub_i32 s26, s24, s3
	s_cmp_ge_u32 s24, s3
	s_cselect_b32 s11, s25, s11
	s_cselect_b32 s24, s26, s24
	s_add_i32 s25, s11, 1
	s_cmp_ge_u32 s24, s3
	s_cselect_b32 s3, s25, s11
	s_xor_b32 s3, s3, s10
	s_sub_i32 s3, s3, s10
	s_abs_i32 s30, s3
	v_cvt_f32_u32_e32 v1, s30
	s_load_dwordx2 s[10:11], s[0:1], 0x80
	s_load_dwordx4 s[24:27], s[0:1], 0x70
	s_load_dword s52, s[28:29], 0x0
	s_xor_b32 s0, s46, s3
	v_rcp_iflag_f32_e32 v1, v1
	s_sub_i32 s3, 0, s30
	s_abs_i32 s1, s46
	s_ashr_i32 s0, s0, 31
	v_mul_f32_e32 v1, 0x4f7ffffe, v1
	v_cvt_u32_f32_e32 v1, v1
	s_mul_hi_i32 s53, s46, s20
	s_mul_i32 s54, s46, s20
	v_lshrrev_b32_e32 v80, 3, v76
	v_readfirstlane_b32 s28, v1
	s_mul_i32 s3, s3, s28
	s_mul_hi_u32 s3, s28, s3
	s_add_i32 s28, s28, s3
	s_mul_hi_u32 s3, s1, s28
	s_mul_i32 s28, s3, s30
	s_sub_i32 s1, s1, s28
	s_add_i32 s28, s3, 1
	s_sub_i32 s29, s1, s30
	s_cmp_ge_u32 s1, s30
	s_cselect_b32 s3, s28, s3
	s_cselect_b32 s1, s29, s1
	s_add_i32 s28, s3, 1
	s_cmp_ge_u32 s1, s30
	s_cselect_b32 s1, s28, s3
	s_xor_b32 s1, s1, s0
	s_sub_i32 s55, s1, s0
	v_or_b32_e32 v1, v34, v75
	s_lshl_b32 s2, s2, 6
	v_or_b32_e32 v81, 64, v1
	s_cmp_lt_i32 s56, 64
	v_lshlrev_b32_e32 v79, 3, v0
	s_waitcnt lgkmcnt(0)
	s_mul_i32 s48, s34, s25
	s_mul_hi_u32 s49, s34, s24
	s_mul_i32 s50, s35, s24
	s_mul_i32 s24, s34, s24
	v_mov_b32_e32 v4, v5
	v_mov_b32_e32 v3, v5
	;; [unrolled: 1-line block ×31, first 2 shown]
	s_cbranch_scc1 .LBB229_18
; %bb.1:
	s_ashr_i32 s58, s46, 31
	s_ashr_i32 s1, s40, 31
	s_add_u32 s0, s54, s40
	s_addc_u32 s1, s53, s1
	s_lshl_b64 s[0:1], s[0:1], 8
	v_and_b32_e32 v83, 56, v79
	s_add_u32 s28, s14, s0
	v_lshl_or_b32 v82, v74, 3, v80
	v_lshlrev_b32_e32 v2, 1, v83
	s_addc_u32 s0, s15, s1
	v_lshl_or_b32 v84, v82, 8, v2
	s_and_b32 s29, s0, 0xffff
	s_mov_b32 s31, 0x20000
	s_movk_i32 s30, 0x4000
	s_movk_i32 s0, 0x80
	v_or_b32_e32 v85, 0x2000, v84
	buffer_load_dwordx4 v[4:7], v84, s[28:31], 0 offen
	buffer_load_dwordx4 v[8:11], v84, s[28:31], s0 offen
	buffer_load_dwordx4 v[12:15], v85, s[28:31], 0 offen
	buffer_load_dwordx4 v[16:19], v85, s[28:31], s0 offen
	v_lshlrev_b32_e32 v3, 3, v82
	v_and_or_b32 v21, v0, 7, v3
	v_and_b32_e32 v3, 0x78, v3
	v_lshlrev_b32_e32 v21, 4, v21
	v_xor_b32_e32 v86, v21, v3
	v_mul_lo_u32 v20, v82, s23
	v_or_b32_e32 v87, 0x1000, v86
	v_xor_b32_e32 v3, 8, v86
	s_cmpk_eq_i32 s23, 0x80
	s_mov_b32 s57, s40
	v_xor_b32_e32 v21, 8, v87
	s_cselect_b64 s[0:1], -1, 0
	s_cmpk_lg_i32 s23, 0x80
	s_waitcnt vmcnt(3)
	ds_write_b64 v86, v[4:5] offset:49152
	ds_write_b64 v3, v[6:7] offset:49152
	s_waitcnt vmcnt(2)
	ds_write_b64 v86, v[8:9] offset:57344
	ds_write_b64 v3, v[10:11] offset:57344
	;; [unrolled: 3-line block ×4, first 2 shown]
	v_lshl_add_u32 v3, v20, 1, v83
	s_cbranch_scc0 .LBB229_3
; %bb.2:
	v_lshlrev_b32_e32 v5, 1, v3
	v_add_lshl_u32 v4, v3, s23, 1
	s_lshl_b32 s30, s23, 7
	v_lshl_or_b32 v2, v82, 9, v2
	s_cbranch_execz .LBB229_4
	s_branch .LBB229_5
.LBB229_3:
                                        ; implicit-def: $vgpr4
                                        ; implicit-def: $vgpr5
                                        ; implicit-def: $sgpr30
	v_lshl_or_b32 v2, v82, 9, v2
.LBB229_4:
	v_or_b32_e32 v4, 0x100, v2
	s_movk_i32 s30, 0x4000
	v_mov_b32_e32 v5, v2
.LBB229_5:
	s_mul_i32 s25, s40, s22
	s_ashr_i32 s59, s55, 31
	s_mul_hi_i32 s3, s40, s22
	s_add_u32 s28, s25, s55
	s_addc_u32 s29, s3, s59
	s_lshl_b64 s[28:29], s[28:29], 8
	s_add_u32 s28, s12, s28
	s_addc_u32 s3, s13, s29
	s_and_b32 s29, s3, 0xffff
	s_movk_i32 s60, 0x80
	buffer_load_dwordx4 v[6:9], v5, s[28:31], 0 offen
	buffer_load_dwordx4 v[10:13], v5, s[28:31], s60 offen
	;; [unrolled: 1-line block ×4, first 2 shown]
	v_and_b32_e32 v5, 6, v0
	v_lshlrev_b32_e32 v4, 7, v1
	v_xor_b32_e32 v27, v82, v5
	v_and_b32_e32 v22, 1, v0
	v_lshl_or_b32 v30, v78, 3, v4
	v_lshlrev_b32_e32 v27, 2, v27
	v_lshlrev_b32_e32 v23, 2, v78
	v_or_b32_e32 v88, 0x4000, v30
	v_or_b32_e32 v89, 0x6000, v30
	v_xor_b32_e32 v30, 0x440, v27
	v_cmp_eq_u32_e32 vcc, 0, v22
	v_or_b32_e32 v25, 16, v78
	v_or_b32_e32 v26, 32, v78
	v_xor_b32_e32 v28, v1, v23
	v_xor_b32_e32 v29, v81, v23
	v_cndmask_b32_e32 v22, v30, v27, vcc
	s_add_i32 s3, s49, s48
	s_mov_b32 s61, 0x1000504
	v_lshl_or_b32 v31, v25, 3, v4
	v_lshlrev_b32_e32 v25, 8, v25
	v_lshl_or_b32 v32, v26, 3, v4
	v_lshlrev_b32_e32 v28, 1, v28
	v_lshlrev_b32_e32 v29, 1, v29
	v_lshl_or_b32 v5, v5, 10, v22
	s_add_i32 s25, s3, s50
	s_mul_i32 s3, s46, s27
	s_mul_hi_u32 s28, s46, s26
	s_mov_b32 s62, 0x3020706
	v_lshlrev_b32_e32 v24, 8, v78
	v_or_b32_e32 v92, 0x4000, v32
	v_or_b32_e32 v93, 0x6000, v32
	;; [unrolled: 1-line block ×4, first 2 shown]
	v_xor_b32_e32 v22, 8, v5
	v_xor_b32_e32 v25, 24, v5
	;; [unrolled: 1-line block ×4, first 2 shown]
	s_add_i32 s3, s28, s3
	s_mul_i32 s28, s58, s26
	v_or_b32_e32 v90, 0x4000, v31
	v_or_b32_e32 v91, 0x6000, v31
	;; [unrolled: 1-line block ×4, first 2 shown]
	v_xor_b32_e32 v24, 16, v5
	v_xor_b32_e32 v27, 32, v5
	;; [unrolled: 1-line block ×3, first 2 shown]
	v_add_u32_e32 v22, 0x80, v22
	v_add_u32_e32 v25, 0x80, v25
	;; [unrolled: 1-line block ×4, first 2 shown]
	s_add_i32 s29, s3, s28
	s_lshl_b64 s[36:37], s[24:25], 2
	s_mul_i32 s28, s46, s26
	s_add_u32 s3, s18, s36
	s_addc_u32 s25, s19, s37
	s_lshl_b64 s[28:29], s[28:29], 2
	s_add_u32 s42, s3, s28
	s_movk_i32 s3, 0xf8
	s_addc_u32 s43, s25, s29
	s_lshl_b32 s38, s23, 7
	s_movk_i32 s25, 0x100
	v_mov_b32_e32 v67, 0
	v_lshlrev_b32_e32 v66, 4, v78
	v_cmp_gt_u32_e32 vcc, s25, v0
	v_lshlrev_b32_e32 v26, 8, v26
	s_mov_b32 s63, 0
	s_movk_i32 s30, 0x4000
	v_or_b32_e32 v98, v26, v28
	v_or_b32_e32 v99, v26, v29
	v_add_u32_e32 v128, v75, v34
	s_movk_i32 s25, 0x2000
	s_movk_i32 s64, 0x3000
	v_mov_b32_e32 v133, 0x3fb8aa3b
	v_mov_b32_e32 v26, v67
	s_waitcnt vmcnt(1)
	v_perm_b32 v33, v6, v14, s61
	s_waitcnt vmcnt(0)
	v_perm_b32 v35, v10, v18, s61
	v_perm_b32 v6, v6, v14, s62
	;; [unrolled: 1-line block ×15, first 2 shown]
	ds_write2st64_b32 v5, v33, v35 offset0:128 offset1:160
	ds_write2st64_b32 v22, v6, v10 offset0:128 offset1:160
	;; [unrolled: 1-line block ×8, first 2 shown]
	v_or_b32_e32 v5, 48, v78
	v_lshl_or_b32 v6, v5, 3, v4
	v_lshlrev_b32_e32 v5, 8, v5
	v_or_b32_e32 v102, v5, v28
	v_or_b32_e32 v103, v5, v29
	;; [unrolled: 1-line block ×3, first 2 shown]
	v_lshlrev_b32_e32 v5, 3, v5
	v_lshrrev_b32_e32 v7, 5, v76
	v_and_or_b32 v7, v5, s3, v7
	v_lshlrev_b32_e32 v7, 4, v7
	v_lshlrev_b32_e32 v10, 11, v74
	v_and_b32_e32 v5, 0x78, v5
	v_or_b32_e32 v13, 32, v7
	v_or_b32_e32 v100, 0x4000, v6
	v_or_b32_e32 v101, 0x6000, v6
	v_and_b32_e32 v6, 0x1000, v10
	v_xor_b32_e32 v8, v7, v5
	v_lshrrev_b32_e32 v11, 1, v0
	v_xor_b32_e32 v13, v13, v5
	v_or_b32_e32 v8, v8, v6
	v_and_b32_e32 v9, 8, v11
	v_lshlrev_b32_e32 v12, 8, v77
	v_or_b32_e32 v13, v13, v6
	v_xor_b32_e32 v104, v8, v9
	v_or_b32_e32 v8, v12, v23
	v_xor_b32_e32 v106, v13, v9
	v_or_b32_e32 v13, 64, v7
	v_or_b32_e32 v7, 0x60, v7
	s_ashr_i32 s3, s2, 31
	v_lshlrev_b32_e32 v8, 1, v8
	v_xor_b32_e32 v13, v13, v5
	v_xor_b32_e32 v5, v7, v5
	s_lshl_b64 s[28:29], s[2:3], 8
	v_or_b32_e32 v105, 0x4000, v8
	v_or_b32_e32 v107, 0x4080, v8
	;; [unrolled: 1-line block ×10, first 2 shown]
	s_add_u32 s28, s4, s28
	v_lshlrev_b32_e32 v8, 1, v78
	v_xor_b32_e32 v110, v13, v9
	v_xor_b32_e32 v111, v5, v9
	v_lshrrev_b32_e32 v14, 4, v0
	s_addc_u32 s29, s5, s29
	v_or_b32_e32 v9, 1, v8
	v_mov_b32_e32 v18, 0xa000
	v_mov_b32_e32 v19, 0x8000
	v_xor_b32_e32 v15, v14, v8
	v_xor_b32_e32 v16, v9, v14
	v_lshl_add_u64 v[8:9], s[28:29], 0, v[66:67]
	v_lshlrev_b32_e32 v66, 8, v14
	v_cndmask_b32_e32 v18, v18, v19, vcc
	v_lshlrev_b32_e32 v19, 3, v74
	v_and_b32_e32 v11, 24, v11
	v_lshl_or_b32 v116, v15, 3, v66
	v_and_b32_e32 v15, 8, v0
	v_xor_b32_e32 v20, v19, v11
	v_or_b32_e32 v21, 0x440, v20
	v_cmp_eq_u32_e32 vcc, 0, v15
	v_and_b32_e32 v14, 7, v0
	v_lshl_or_b32 v117, v16, 3, v66
	v_cndmask_b32_e32 v15, v21, v20, vcc
	v_lshlrev_b32_e32 v16, 3, v14
	v_lshlrev_b32_e32 v14, 7, v14
	v_or_b32_e32 v15, v15, v10
	v_lshlrev_b32_e32 v17, 2, v0
	v_xad_u32 v118, v15, v16, v14
	v_or_b32_e32 v15, 32, v11
	v_and_or_b32 v12, v17, 60, v12
	v_xor_b32_e32 v15, v19, v15
	v_lshlrev_b32_e32 v12, 1, v12
	v_or_b32_e32 v17, 0x440, v15
	v_or_b32_e32 v119, 0x6000, v12
	v_cndmask_b32_e32 v15, v17, v15, vcc
	v_or_b32_e32 v121, 0x6080, v12
	v_or_b32_e32 v122, 0x6100, v12
	;; [unrolled: 1-line block ×5, first 2 shown]
	v_xor_b32_e32 v12, v19, v12
	v_xad_u32 v120, v15, v16, v14
	v_xor_b32_e32 v15, 0x440, v12
	v_cndmask_b32_e32 v12, v15, v12, vcc
	v_or_b32_e32 v11, 0x60, v11
	v_or_b32_e32 v12, v12, v10
	v_xor_b32_e32 v11, v19, v11
	v_xad_u32 v124, v12, v16, v14
	v_xor_b32_e32 v12, 0x440, v11
	v_or_b32_e32 v6, s2, v78
	v_cndmask_b32_e32 v11, v12, v11, vcc
	v_ashrrev_i32_e32 v7, 31, v6
	v_lshlrev_b32_e32 v5, 1, v3
	v_add_lshl_u32 v3, v3, s23, 1
	v_or_b32_e32 v13, 0x100, v2
	v_or_b32_e32 v10, v11, v10
	v_xad_u32 v125, v10, v16, v14
	v_cndmask_b32_e64 v126, v5, v2, s[0:1]
	v_cndmask_b32_e64 v127, v3, v13, s[0:1]
	v_lshlrev_b64 v[2:3], 1, v[6:7]
	v_lshl_add_u64 v[68:69], s[16:17], 0, v[2:3]
	v_lshl_add_u64 v[70:71], s[6:7], 0, v[2:3]
	v_lshl_add_u64 v[72:73], v[8:9], 0, v[66:67]
	s_mov_b32 s3, 0x7060302
	v_lshlrev_b32_e32 v66, 1, v4
	v_add_u32_e32 v129, v18, v118
	v_add_u32_e32 v130, v18, v120
	;; [unrolled: 1-line block ×4, first 2 shown]
	v_mov_b32_e32 v27, v67
	v_mov_b32_e32 v28, v67
	;; [unrolled: 1-line block ×31, first 2 shown]
	s_waitcnt lgkmcnt(0)
	s_barrier
.LBB229_6:                              ; =>This Inner Loop Header: Depth=1
	s_add_i32 s65, s63, 1
	s_cmp_lt_i32 s65, s51
	s_mov_b64 s[36:37], 0
	s_cselect_b64 s[44:45], -1, 0
	s_cmp_ge_i32 s65, s51
	s_mov_b64 s[28:29], 0
	s_cbranch_scc1 .LBB229_8
; %bb.7:                                ;   in Loop: Header=BB229_6 Depth=1
	s_add_i32 s0, s57, 64
	s_ashr_i32 s1, s0, 31
	s_add_u32 s0, s54, s0
	s_addc_u32 s1, s53, s1
	s_lshl_b64 s[0:1], s[0:1], 8
	s_add_u32 s28, s14, s0
	s_addc_u32 s29, s15, s1
.LBB229_8:                              ;   in Loop: Header=BB229_6 Depth=1
	v_cndmask_b32_e64 v34, 0, 1, s[44:45]
	v_cmp_ne_u32_e64 s[0:1], 1, v34
	s_andn2_b64 vcc, exec, s[44:45]
	s_cbranch_vccnz .LBB229_10
; %bb.9:                                ;   in Loop: Header=BB229_6 Depth=1
	s_add_i32 s36, s57, 64
	s_mul_hi_i32 s37, s36, s22
	s_mul_i32 s36, s36, s22
	s_add_u32 s36, s36, s55
	s_addc_u32 s37, s37, s59
	s_lshl_b64 s[36:37], s[36:37], 8
	s_add_u32 s36, s12, s36
	s_addc_u32 s37, s13, s37
.LBB229_10:                             ;   in Loop: Header=BB229_6 Depth=1
	v_perm_b32 v35, v33, v32, s3
	v_perm_b32 v34, v31, v30, s3
	v_perm_b32 v37, v29, v28, s3
	v_perm_b32 v36, v27, v26, s3
	ds_write_b64 v88, v[34:35]
	ds_write_b64 v89, v[36:37]
	ds_write_b64 v94, v[34:35]
	ds_write_b64 v95, v[36:37]
	v_perm_b32 v35, v25, v24, s3
	v_perm_b32 v34, v23, v22, s3
	v_perm_b32 v37, v21, v20, s3
	v_perm_b32 v36, v19, v18, s3
	ds_write_b64 v90, v[34:35]
	ds_write_b64 v91, v[36:37]
	ds_write_b64 v96, v[34:35]
	ds_write_b64 v97, v[36:37]
	;; [unrolled: 8-line block ×4, first 2 shown]
	s_waitcnt lgkmcnt(0)
	s_barrier
	ds_read_b64 v[38:39], v104 offset:49152
	ds_read2_b64 v[34:37], v105 offset1:16
	ds_read_b64 v[50:51], v107 offset:6144
	ds_read_b64 v[52:53], v105 offset:6144
	s_waitcnt lgkmcnt(2)
	v_mfma_f32_16x16x16_bf16 a[0:3], v[38:39], v[34:35], 0
	ds_read_b64 v[54:55], v106 offset:49152
	ds_read2st64_b64 v[42:45], v108 offset0:4 offset1:8
	ds_read2st64_b64 v[46:49], v109 offset0:4 offset1:8
	v_mfma_f32_16x16x16_bf16 a[4:7], v[38:39], v[36:37], 0
	ds_read2_b64 v[34:37], v105 offset0:32 offset1:48
	s_add_i32 s39, s57, 63
	s_ashr_i32 s44, s39, 31
	s_waitcnt lgkmcnt(0)
	v_mfma_f32_16x16x16_bf16 a[8:11], v[38:39], v[34:35], 0
	s_mul_i32 s45, s39, s11
	s_mul_hi_u32 s66, s39, s10
	s_add_i32 s45, s66, s45
	v_mfma_f32_16x16x16_bf16 a[12:15], v[38:39], v[36:37], 0
	ds_read2st64_b64 v[34:37], v105 offset0:4 offset1:8
	ds_read2st64_b64 v[38:41], v107 offset0:4 offset1:8
	s_mul_i32 s44, s44, s10
	s_waitcnt lgkmcnt(1)
	v_mfma_f32_16x16x16_bf16 a[0:3], v[54:55], v[34:35], a[0:3]
	s_add_i32 s45, s45, s44
	s_mul_i32 s44, s39, s10
	s_lshl_b64 s[44:45], s[44:45], 2
	s_waitcnt lgkmcnt(0)
	v_mfma_f32_16x16x16_bf16 a[4:7], v[54:55], v[38:39], a[4:7]
	s_add_u32 s44, s42, s44
	s_addc_u32 s45, s43, s45
	s_and_b64 vcc, exec, s[0:1]
	v_mfma_f32_16x16x16_bf16 a[8:11], v[54:55], v[42:43], a[8:11]
	ds_read_b64 v[34:35], v110 offset:49152
	ds_read_b64 v[38:39], v111 offset:49152
	;; [unrolled: 1-line block ×3, first 2 shown]
	v_mov_b32_e32 v136, 0
	v_mov_b32_e32 v135, 0
	v_mfma_f32_16x16x16_bf16 a[12:15], v[54:55], v[46:47], a[12:15]
	v_mov_b32_e32 v134, 0
	v_mov_b32_e32 v46, 0
	;; [unrolled: 1-line block ×3, first 2 shown]
	s_waitcnt lgkmcnt(2)
	v_mfma_f32_16x16x16_bf16 a[0:3], v[34:35], v[36:37], a[0:3]
	v_mov_b32_e32 v36, 0
	v_mov_b32_e32 v37, 0
	v_mfma_f32_16x16x16_bf16 a[4:7], v[34:35], v[40:41], a[4:7]
	v_mov_b32_e32 v40, 0
	v_mov_b32_e32 v41, 0
	;; [unrolled: 3-line block ×3, first 2 shown]
	v_mfma_f32_16x16x16_bf16 a[12:15], v[34:35], v[48:49], a[12:15]
	ds_read_b64 v[34:35], v108 offset:6144
	v_mov_b32_e32 v48, 0
	v_mov_b32_e32 v49, 0
	s_waitcnt lgkmcnt(2)
	v_mfma_f32_16x16x16_bf16 a[0:3], v[38:39], v[52:53], a[0:3]
	v_mfma_f32_16x16x16_bf16 a[4:7], v[38:39], v[50:51], a[4:7]
	s_waitcnt lgkmcnt(0)
	v_mfma_f32_16x16x16_bf16 a[8:11], v[38:39], v[34:35], a[8:11]
	v_mov_b32_e32 v34, 0
	v_mov_b32_e32 v35, 0
	v_mfma_f32_16x16x16_bf16 a[12:15], v[38:39], v[42:43], a[12:15]
	v_mov_b32_e32 v38, 0
	v_mov_b32_e32 v39, 0
	;; [unrolled: 1-line block ×4, first 2 shown]
	s_cbranch_vccnz .LBB229_12
; %bb.11:                               ;   in Loop: Header=BB229_6 Depth=1
	s_and_b32 s29, s29, 0xffff
	buffer_load_dwordx4 v[46:49], v84, s[28:31], 0 offen
	buffer_load_dwordx4 v[42:45], v84, s[28:31], s60 offen
	;; [unrolled: 1-line block ×4, first 2 shown]
	v_mov_b32_e32 v135, v86
	v_mov_b32_e32 v134, v87
.LBB229_12:                             ;   in Loop: Header=BB229_6 Depth=1
	ds_read_b64 v[142:143], v104 offset:57344
	ds_read2_b64 v[50:53], v112 offset1:16
	ds_read_b64 v[144:145], v106 offset:57344
	ds_read_b64 v[146:147], v110 offset:57344
	;; [unrolled: 1-line block ×3, first 2 shown]
	v_add_u32_e32 v137, s57, v128
	s_waitcnt lgkmcnt(3)
	v_mfma_f32_16x16x16_bf16 a[0:3], v[142:143], v[50:51], a[0:3]
	v_mfma_f32_16x16x16_bf16 a[4:7], v[142:143], v[52:53], a[4:7]
	ds_read2_b64 v[50:53], v112 offset0:32 offset1:48
	ds_read2st64_b64 v[54:57], v112 offset0:4 offset1:8
	ds_read2st64_b64 v[58:61], v113 offset0:4 offset1:8
	ds_read2st64_b64 v[62:65], v114 offset0:4 offset1:8
	ds_read2st64_b64 v[138:141], v115 offset0:4 offset1:8
	s_waitcnt lgkmcnt(4)
	v_mfma_f32_16x16x16_bf16 a[8:11], v[142:143], v[50:51], a[8:11]
	v_ashrrev_i32_e32 v50, 31, v137
	v_mfma_f32_16x16x16_bf16 a[12:15], v[142:143], v[52:53], a[12:15]
	v_mul_lo_u32 v52, v50, s10
	v_mul_lo_u32 v53, v137, s11
	v_mad_u64_u32 v[50:51], s[28:29], v137, s10, 0
	v_add3_u32 v51, v51, v53, v52
	v_add_u32_e32 v52, 1, v137
	v_ashrrev_i32_e32 v53, 31, v52
	s_waitcnt lgkmcnt(3)
	v_mfma_f32_16x16x16_bf16 a[0:3], v[144:145], v[54:55], a[0:3]
	v_mul_lo_u32 v54, v53, s10
	v_mul_lo_u32 v55, v52, s11
	v_mad_u64_u32 v[52:53], s[28:29], v52, s10, 0
	v_add3_u32 v53, v53, v55, v54
	v_add_u32_e32 v54, 2, v137
	v_ashrrev_i32_e32 v55, 31, v54
	s_waitcnt lgkmcnt(2)
	v_mfma_f32_16x16x16_bf16 a[4:7], v[144:145], v[58:59], a[4:7]
	v_mul_lo_u32 v58, v55, s10
	v_mul_lo_u32 v59, v54, s11
	v_mad_u64_u32 v[54:55], s[28:29], v54, s10, 0
	v_lshl_add_u64 v[50:51], v[50:51], 2, s[42:43]
	v_lshl_add_u64 v[52:53], v[52:53], 2, s[42:43]
	v_add3_u32 v55, v55, v59, v58
	v_add_u32_e32 v58, 3, v137
	s_waitcnt lgkmcnt(1)
	v_mfma_f32_16x16x16_bf16 a[8:11], v[144:145], v[62:63], a[8:11]
	global_load_dword v63, v[50:51], off
	global_load_dword v137, v[52:53], off
	v_mad_u64_u32 v[50:51], s[28:29], v58, s10, 0
	v_ashrrev_i32_e32 v59, 31, v58
	s_ashr_i32 s29, s57, 31
	v_mul_lo_u32 v59, v59, s10
	v_mul_lo_u32 v62, v58, s11
	s_add_u32 s28, s54, s57
	v_lshl_add_u64 v[54:55], v[54:55], 2, s[42:43]
	v_add3_u32 v51, v51, v62, v59
	s_addc_u32 s29, s53, s29
	s_waitcnt lgkmcnt(0)
	v_mfma_f32_16x16x16_bf16 a[12:15], v[144:145], v[138:139], a[12:15]
	v_lshl_add_u64 v[50:51], v[50:51], 2, s[42:43]
	global_load_dword v62, v[54:55], off
	global_load_dword v138, v[50:51], off
	s_lshl_b64 s[28:29], s[28:29], 8
	v_lshl_add_u64 v[50:51], v[68:69], 0, s[28:29]
	v_lshl_add_u64 v[50:51], v[50:51], 0, v[66:67]
	global_load_ushort v139, v[50:51], off offset:256
	global_load_ushort v142, v[50:51], off
	global_load_ushort v143, v[50:51], off offset:768
	global_load_ushort v144, v[50:51], off offset:512
	global_load_ushort v145, v[50:51], off offset:288
	global_load_ushort v150, v[50:51], off offset:32
	global_load_ushort v151, v[50:51], off offset:800
	global_load_ushort v152, v[50:51], off offset:544
	s_load_dword s44, s[44:45], 0x0
	v_mfma_f32_16x16x16_bf16 a[12:15], v[146:147], v[140:141], a[12:15]
	global_load_ushort v140, v[50:51], off offset:320
	global_load_ushort v141, v[50:51], off offset:64
	s_and_b64 vcc, exec, s[0:1]
	v_mfma_f32_16x16x16_bf16 a[0:3], v[146:147], v[56:57], a[0:3]
	ds_read_b64 v[52:53], v112 offset:6144
	ds_read_b64 v[54:55], v113 offset:6144
	;; [unrolled: 1-line block ×4, first 2 shown]
	v_mfma_f32_16x16x16_bf16 a[4:7], v[146:147], v[60:61], a[4:7]
	s_waitcnt vmcnt(11) lgkmcnt(0)
	v_sub_f32_e32 v60, s44, v62
	v_mfma_f32_16x16x16_bf16 a[8:11], v[146:147], v[64:65], a[8:11]
	global_load_ushort v146, v[50:51], off offset:832
	global_load_ushort v147, v[50:51], off offset:576
	;; [unrolled: 1-line block ×6, first 2 shown]
	v_mfma_f32_16x16x16_bf16 a[0:3], v[148:149], v[52:53], a[0:3]
	s_waitcnt vmcnt(16)
	v_sub_f32_e32 v61, s44, v138
	v_mul_f32_e32 v60, 0x3fb8aa3b, v60
	v_mul_f32_e32 v61, 0x3fb8aa3b, v61
	v_exp_f32_e32 v60, v60
	v_exp_f32_e32 v61, v61
	s_waitcnt vmcnt(15)
	v_lshlrev_b32_e32 v65, 16, v139
	s_waitcnt vmcnt(14)
	v_lshlrev_b32_e32 v64, 16, v142
	v_accvgpr_read_b32 v53, a3
	v_accvgpr_read_b32 v52, a2
	v_mfma_f32_16x16x16_bf16 a[2:5], v[148:149], v[54:55], a[4:7]
	v_accvgpr_read_b32 v139, a1
	v_accvgpr_read_b32 v138, a0
	v_pk_add_f32 v[64:65], v[64:65], v[138:139] neg_lo:[0,1] neg_hi:[0,1]
	v_mfma_f32_16x16x16_bf16 a[6:9], v[148:149], v[56:57], a[8:11]
	s_waitcnt vmcnt(13)
	v_lshlrev_b32_e32 v139, 16, v143
	s_waitcnt vmcnt(12)
	v_lshlrev_b32_e32 v138, 16, v144
	v_pk_add_f32 v[52:53], v[138:139], v[52:53] neg_lo:[0,1] neg_hi:[0,1]
	v_accvgpr_read_b32 v139, a3
	v_accvgpr_read_b32 v138, a2
	;; [unrolled: 1-line block ×6, first 2 shown]
	v_mfma_f32_16x16x16_bf16 a[8:11], v[148:149], v[58:59], a[12:15]
	v_sub_f32_e32 v58, s44, v63
	v_sub_f32_e32 v59, s44, v137
	v_mul_f32_e32 v58, 0x3fb8aa3b, v58
	v_mul_f32_e32 v59, 0x3fb8aa3b, v59
	v_exp_f32_e32 v58, v58
	v_exp_f32_e32 v59, v59
	v_lshl_add_u64 v[62:63], v[70:71], 0, s[28:29]
	v_lshl_add_u64 v[62:63], v[62:63], 0, v[66:67]
	global_store_short_d16_hi v[62:63], v64, off
	global_store_short_d16_hi v[62:63], v65, off offset:256
	global_store_short_d16_hi v[62:63], v52, off offset:512
	;; [unrolled: 1-line block ×3, first 2 shown]
	v_pk_mul_f32 v[64:65], v[58:59], v[64:65]
	v_pk_mul_f32 v[52:53], v[60:61], v[52:53]
	v_accvgpr_read_b32 v57, a11
	v_perm_b32 v53, v53, v52, s3
	v_perm_b32 v52, v65, v64, s3
	s_waitcnt vmcnt(15)
	v_lshlrev_b32_e32 v65, 16, v145
	s_waitcnt vmcnt(14)
	v_lshlrev_b32_e32 v64, 16, v150
	v_pk_add_f32 v[64:65], v[64:65], v[138:139] neg_lo:[0,1] neg_hi:[0,1]
	s_waitcnt vmcnt(13)
	v_lshlrev_b32_e32 v139, 16, v151
	s_waitcnt vmcnt(12)
	v_lshlrev_b32_e32 v138, 16, v152
	v_pk_add_f32 v[54:55], v[138:139], v[54:55] neg_lo:[0,1] neg_hi:[0,1]
	global_store_short_d16_hi v[62:63], v64, off offset:32
	global_store_short_d16_hi v[62:63], v65, off offset:288
	;; [unrolled: 1-line block ×4, first 2 shown]
	v_pk_mul_f32 v[64:65], v[58:59], v[64:65]
	v_pk_mul_f32 v[54:55], v[60:61], v[54:55]
	v_accvgpr_read_b32 v56, a10
	v_perm_b32 v55, v55, v54, s3
	v_perm_b32 v54, v65, v64, s3
	ds_write2_b64 v89, v[52:53], v[54:55] offset1:16
	v_accvgpr_read_b32 v55, a7
	s_waitcnt vmcnt(15)
	v_lshlrev_b32_e32 v53, 16, v140
	s_waitcnt vmcnt(14)
	v_lshlrev_b32_e32 v52, 16, v141
	v_accvgpr_read_b32 v54, a6
	v_pk_add_f32 v[52:53], v[52:53], v[54:55] neg_lo:[0,1] neg_hi:[0,1]
	global_store_short_d16_hi v[62:63], v52, off offset:64
	global_store_short_d16_hi v[62:63], v53, off offset:320
	v_pk_mul_f32 v[52:53], v[58:59], v[52:53]
	v_mov_b32_e32 v137, 0
	v_perm_b32 v52, v53, v52, s3
	v_mov_b32_e32 v64, 0
	v_mov_b32_e32 v65, 0
	s_waitcnt vmcnt(15)
	v_lshlrev_b32_e32 v55, 16, v146
	s_waitcnt vmcnt(14)
	v_lshlrev_b32_e32 v54, 16, v147
	v_pk_add_f32 v[50:51], v[54:55], v[50:51] neg_lo:[0,1] neg_hi:[0,1]
	global_store_short_d16_hi v[62:63], v50, off offset:576
	global_store_short_d16_hi v[62:63], v51, off offset:832
	v_pk_mul_f32 v[50:51], v[60:61], v[50:51]
	v_accvgpr_read_b32 v55, a9
	v_perm_b32 v53, v51, v50, s3
	s_waitcnt vmcnt(15)
	v_lshlrev_b32_e32 v51, 16, v153
	s_waitcnt vmcnt(14)
	v_lshlrev_b32_e32 v50, 16, v154
	v_accvgpr_read_b32 v54, a8
	v_pk_add_f32 v[50:51], v[50:51], v[54:55] neg_lo:[0,1] neg_hi:[0,1]
	s_waitcnt vmcnt(13)
	v_lshlrev_b32_e32 v55, 16, v155
	s_waitcnt vmcnt(12)
	v_lshlrev_b32_e32 v54, 16, v156
	v_pk_add_f32 v[54:55], v[54:55], v[56:57] neg_lo:[0,1] neg_hi:[0,1]
	global_store_short_d16_hi v[62:63], v50, off offset:96
	global_store_short_d16_hi v[62:63], v51, off offset:352
	;; [unrolled: 1-line block ×4, first 2 shown]
	v_pk_mul_f32 v[50:51], v[58:59], v[50:51]
	v_pk_mul_f32 v[54:55], v[60:61], v[54:55]
	v_mov_b32_e32 v56, 0
	v_perm_b32 v55, v55, v54, s3
	v_perm_b32 v54, v51, v50, s3
	ds_write2_b64 v89, v[52:53], v[54:55] offset0:32 offset1:48
	v_mov_b32_e32 v50, 0
	v_mov_b32_e32 v51, 0
	;; [unrolled: 1-line block ×13, first 2 shown]
	s_cbranch_vccnz .LBB229_14
; %bb.13:                               ;   in Loop: Header=BB229_6 Depth=1
	s_and_b32 s37, s37, 0xffff
	s_mov_b32 s39, s31
	buffer_load_dwordx4 v[62:65], v126, s[36:39], 0 offen
	buffer_load_dwordx4 v[54:57], v126, s[36:39], s60 offen
	;; [unrolled: 1-line block ×4, first 2 shown]
	v_mov_b32_e32 v136, v83
	v_mov_b32_e32 v137, v82
.LBB229_14:                             ;   in Loop: Header=BB229_6 Depth=1
	s_waitcnt lgkmcnt(0)
	s_barrier
	ds_read_b64 v[146:147], v129
	ds_read2_b64 v[138:141], v119 offset1:16
	ds_read_b64 v[162:163], v130
	ds_read_b64 v[164:165], v131
	;; [unrolled: 1-line block ×3, first 2 shown]
	ds_read2_b64 v[142:145], v119 offset0:32 offset1:48
	s_waitcnt lgkmcnt(4)
	v_mfma_f32_16x16x16_bf16 a[0:3], v[146:147], v[138:139], 0
	ds_read2st64_b64 v[150:153], v121 offset0:4 offset1:8
	ds_read2st64_b64 v[154:157], v122 offset0:4 offset1:8
	;; [unrolled: 1-line block ×3, first 2 shown]
	v_mfma_f32_16x16x16_bf16 a[4:7], v[146:147], v[140:141], 0
	s_add_i32 s28, s52, s63
	s_mul_hi_i32 s29, s28, s47
	s_mul_i32 s28, s28, s47
	s_waitcnt lgkmcnt(3)
	v_mfma_f32_16x16x16_bf16 a[8:11], v[146:147], v[142:143], 0
	s_add_u32 s28, s28, s46
	s_addc_u32 s29, s29, s58
	s_lshl_b64 s[28:29], s[28:29], 15
	v_mfma_f32_16x16x16_bf16 a[12:15], v[146:147], v[144:145], 0
	ds_read2st64_b64 v[146:149], v119 offset0:4 offset1:8
	s_waitcnt lgkmcnt(0)
	v_mfma_f32_16x16x16_bf16 a[0:3], v[162:163], v[146:147], a[0:3]
	v_mfma_f32_16x16x16_bf16 a[4:7], v[162:163], v[150:151], a[4:7]
	;; [unrolled: 1-line block ×8, first 2 shown]
	ds_read_b64 v[162:163], v119 offset:6144
	ds_read_b64 v[164:165], v120 offset:40960
	;; [unrolled: 1-line block ×8, first 2 shown]
	s_waitcnt lgkmcnt(5)
	v_mfma_f32_16x16x16_bf16 a[16:19], v[168:169], v[138:139], 0
	v_mfma_f32_16x16x16_bf16 a[20:23], v[168:169], v[140:141], 0
	ds_read2st64_b64 v[138:141], v116 offset1:8
	v_mfma_f32_16x16x16_bf16 a[24:27], v[168:169], v[142:143], 0
	v_mfma_f32_16x16x16_bf16 a[28:31], v[168:169], v[144:145], 0
	ds_read2st64_b64 v[142:145], v117 offset1:8
	v_mfma_f32_16x16x16_bf16 a[16:19], v[164:165], v[146:147], a[16:19]
	s_waitcnt lgkmcnt(1)
	v_mov_b32_e32 v146, v138
	v_mov_b32_e32 v147, v139
	v_mfma_f32_16x16x16_bf16 a[20:23], v[164:165], v[150:151], a[20:23]
	v_lshl_add_u64 v[150:151], v[72:73], 0, s[28:29]
	v_mfma_f32_16x16x16_bf16 a[24:27], v[164:165], v[154:155], a[24:27]
	v_mfma_f32_16x16x16_bf16 a[28:31], v[164:165], v[158:159], a[28:31]
	;; [unrolled: 1-line block ×3, first 2 shown]
	s_waitcnt lgkmcnt(0)
	v_mov_b32_e32 v148, v142
	v_mov_b32_e32 v149, v143
	;; [unrolled: 1-line block ×3, first 2 shown]
	v_mfma_f32_16x16x16_bf16 a[32:35], v[176:177], v[152:153], a[20:23]
	v_mov_b32_e32 v143, v141
	ds_read2st64_b64 v[138:141], v116 offset0:16 offset1:24
	global_store_dwordx4 v[150:151], v[146:149], off
	v_mfma_f32_16x16x16_bf16 a[24:27], v[176:177], v[156:157], a[24:27]
	ds_read2st64_b64 v[146:149], v117 offset0:16 offset1:24
	v_add_co_u32_e32 v152, vcc, s25, v150
	v_mfma_f32_16x16x16_bf16 a[28:31], v[176:177], v[160:161], a[28:31]
	s_nop 0
	v_addc_co_u32_e32 v153, vcc, 0, v151, vcc
	global_store_dwordx4 v[152:153], v[142:145], off offset:-4096
	v_mfma_f32_16x16x16_bf16 a[0:3], v[166:167], v[162:163], a[0:3]
	s_waitcnt lgkmcnt(1)
	v_mov_b32_e32 v142, v138
	v_add_co_u32_e32 v138, vcc, s64, v150
	v_mfma_f32_16x16x16_bf16 a[4:7], v[166:167], v[170:171], a[4:7]
	v_mov_b32_e32 v143, v139
	v_addc_co_u32_e32 v139, vcc, 0, v151, vcc
	v_mfma_f32_16x16x16_bf16 a[8:11], v[166:167], v[172:173], a[8:11]
	s_waitcnt lgkmcnt(0)
	v_mov_b32_e32 v144, v146
	v_mov_b32_e32 v145, v147
	;; [unrolled: 1-line block ×3, first 2 shown]
	v_mfma_f32_16x16x16_bf16 a[12:15], v[166:167], v[174:175], a[12:15]
	v_mov_b32_e32 v147, v141
	s_and_b64 vcc, exec, s[0:1]
	global_store_dwordx4 v[152:153], v[142:145], off
	v_mfma_f32_16x16x16_bf16 a[20:23], v[178:179], v[162:163], a[16:19]
	global_store_dwordx4 v[138:139], v[146:149], off
	v_mfma_f32_16x16x16_bf16 a[16:19], v[178:179], v[170:171], a[32:35]
	v_mfma_f32_16x16x16_bf16 a[24:27], v[178:179], v[172:173], a[24:27]
	;; [unrolled: 1-line block ×3, first 2 shown]
	s_cbranch_vccnz .LBB229_16
; %bb.15:                               ;   in Loop: Header=BB229_6 Depth=1
	v_lshrrev_b32_e32 v138, 3, v136
	v_and_b32_e32 v138, 6, v138
	v_xor_b32_e32 v137, v138, v137
	v_lshlrev_b32_e32 v137, 2, v137
	v_and_b32_e32 v136, 8, v136
	v_xor_b32_e32 v139, 0x440, v137
	v_cmp_eq_u32_e32 vcc, 0, v136
	s_barrier
	s_nop 0
	v_cndmask_b32_e32 v136, v139, v137, vcc
	v_lshl_or_b32 v136, v138, 10, v136
	s_waitcnt vmcnt(5)
	v_perm_b32 v137, v62, v58, s61
	s_waitcnt vmcnt(4)
	v_perm_b32 v138, v54, v50, s61
	ds_write2st64_b32 v136, v137, v138 offset0:128 offset1:160
	v_xor_b32_e32 v137, 8, v136
	v_perm_b32 v58, v62, v58, s62
	v_perm_b32 v50, v54, v50, s62
	v_add_u32_e32 v54, 0x80, v137
	ds_write2st64_b32 v54, v58, v50 offset0:128 offset1:160
	v_xor_b32_e32 v50, 16, v136
	v_perm_b32 v54, v63, v59, s61
	v_perm_b32 v58, v55, v51, s61
	ds_write2st64_b32 v50, v54, v58 offset0:129 offset1:161
	v_xor_b32_e32 v50, 24, v136
	v_perm_b32 v54, v63, v59, s62
	v_perm_b32 v51, v55, v51, s62
	v_add_u32_e32 v50, 0x80, v50
	ds_write2st64_b32 v50, v54, v51 offset0:129 offset1:161
	v_xor_b32_e32 v50, 32, v136
	v_perm_b32 v51, v64, v60, s61
	;; [unrolled: 9-line block ×3, first 2 shown]
	v_perm_b32 v52, v57, v53, s61
	ds_write2st64_b32 v50, v51, v52 offset0:131 offset1:163
	v_xor_b32_e32 v50, 56, v136
	v_perm_b32 v51, v65, v61, s62
	v_perm_b32 v52, v57, v53, s62
	v_add_u32_e32 v50, 0x80, v50
	ds_write2st64_b32 v50, v51, v52 offset0:131 offset1:163
	ds_write_b64 v135, v[46:47] offset:49152
	v_xor_b32_e32 v46, 8, v135
	ds_write_b64 v46, v[48:49] offset:49152
	ds_write_b64 v135, v[42:43] offset:57344
	ds_write_b64 v46, v[44:45] offset:57344
	ds_write_b64 v134, v[38:39] offset:49152
	v_xor_b32_e32 v38, 8, v134
	ds_write_b64 v38, v[40:41] offset:49152
	ds_write_b64 v134, v[34:35] offset:57344
	;; [unrolled: 1-line block ×3, first 2 shown]
.LBB229_16:                             ;   in Loop: Header=BB229_6 Depth=1
	s_waitcnt vmcnt(6)
	v_mul_f32_e32 v54, s44, v133
	v_exp_f32_e32 v134, v54
	v_accvgpr_read_b32 v37, a3
	v_accvgpr_read_b32 v41, a7
	;; [unrolled: 1-line block ×4, first 2 shown]
	s_waitcnt vmcnt(4)
	v_accvgpr_read_b32 v53, a23
	v_accvgpr_read_b32 v57, a19
	;; [unrolled: 1-line block ×28, first 2 shown]
	s_add_i32 s57, s57, 64
	v_pk_fma_f32 v[30:31], v[134:135], v[30:31], v[34:35] op_sel_hi:[0,1,1]
	v_pk_fma_f32 v[32:33], v[134:135], v[32:33], v[36:37] op_sel_hi:[0,1,1]
	;; [unrolled: 1-line block ×15, first 2 shown]
	s_cmp_eq_u32 s51, s65
	v_pk_fma_f32 v[8:9], v[134:135], v[8:9], v[64:65] op_sel_hi:[0,1,1]
	s_cbranch_scc1 .LBB229_18
; %bb.17:                               ;   in Loop: Header=BB229_6 Depth=1
	s_mov_b32 s63, s65
	s_branch .LBB229_6
.LBB229_18:
	s_lshl_b32 s3, s51, 6
	s_sub_i32 s56, s56, s3
	s_cmp_gt_i32 s56, 0
	v_or_b32_e32 v50, s2, v78
	s_cbranch_scc1 .LBB229_20
; %bb.19:
	s_ashr_i32 s37, s46, 31
	v_or_b32_e32 v34, s2, v78
	s_cbranch_execz .LBB229_21
	s_branch .LBB229_101
.LBB229_20:
                                        ; implicit-def: $vgpr34
                                        ; implicit-def: $sgpr36_sgpr37
.LBB229_21:
	s_add_i32 s36, s3, s40
	s_ashr_i32 s3, s36, 31
	s_cmpk_lg_i32 s23, 0x80
	s_cselect_b64 s[42:43], -1, 0
	s_and_b64 vcc, exec, s[42:43]
	s_cbranch_vccz .LBB229_23
; %bb.22:
	s_mul_hi_i32 s0, s36, s22
	s_mul_i32 s1, s36, s22
	s_ashr_i32 s22, s55, 31
	s_add_u32 s44, s1, s55
	s_addc_u32 s45, s0, s22
	s_cbranch_execz .LBB229_24
	s_branch .LBB229_25
.LBB229_23:
                                        ; implicit-def: $sgpr44_sgpr45
.LBB229_24:
	s_mul_i32 s1, s55, s20
	s_mul_hi_i32 s0, s55, s20
	s_add_u32 s44, s1, s36
	s_addc_u32 s45, s0, s3
.LBB229_25:
	s_add_i32 s20, s51, s52
	s_ashr_i32 s37, s46, 31
	s_add_u32 s0, s54, s36
	v_lshlrev_b32_e32 v38, 6, v1
	v_lshlrev_b32_e32 v58, 2, v78
	s_addc_u32 s1, s53, s3
	s_mov_b32 s3, 0x7060302
	v_or_b32_e32 v41, v38, v58
	v_xor_b32_e32 v39, v1, v58
	v_perm_b32 v35, v33, v32, s3
	v_perm_b32 v34, v31, v30, s3
	;; [unrolled: 1-line block ×4, first 2 shown]
	v_lshlrev_b32_e32 v41, 1, v41
	v_xor_b32_e32 v40, v81, v58
	ds_write2st64_b64 v41, v[34:35], v[36:37] offset0:32 offset1:48
	v_lshlrev_b32_e32 v39, 1, v39
	v_lshlrev_b32_e32 v41, 8, v78
	v_or_b32_e32 v42, v39, v41
	v_lshlrev_b32_e32 v40, 1, v40
	ds_write_b64 v42, v[34:35]
	v_or_b32_e32 v34, v40, v41
	v_or_b32_e32 v41, 16, v78
	v_lshlrev_b32_e32 v57, 2, v41
	v_or_b32_e32 v42, v38, v57
	ds_write_b64 v34, v[36:37]
	v_perm_b32 v35, v25, v24, s3
	v_perm_b32 v34, v23, v22, s3
	;; [unrolled: 1-line block ×4, first 2 shown]
	v_lshlrev_b32_e32 v42, 1, v42
	v_lshlrev_b32_e32 v41, 8, v41
	ds_write2st64_b64 v42, v[34:35], v[36:37] offset0:32 offset1:48
	v_or_b32_e32 v42, v39, v41
	ds_write_b64 v42, v[34:35]
	v_or_b32_e32 v34, v40, v41
	v_or_b32_e32 v41, 32, v78
	v_lshlrev_b32_e32 v56, 2, v41
	v_or_b32_e32 v42, v38, v56
	ds_write_b64 v34, v[36:37]
	v_perm_b32 v35, v17, v16, s3
	v_perm_b32 v34, v15, v14, s3
	;; [unrolled: 1-line block ×4, first 2 shown]
	v_lshlrev_b32_e32 v42, 1, v42
	v_lshlrev_b32_e32 v41, 8, v41
	s_lshl_b64 s[38:39], s[0:1], 8
	ds_write2st64_b64 v42, v[34:35], v[36:37] offset0:32 offset1:48
	v_or_b32_e32 v42, v39, v41
	s_add_u32 s0, s14, s38
	ds_write_b64 v42, v[34:35]
	v_or_b32_e32 v34, v40, v41
	s_addc_u32 s1, s15, s39
	ds_write_b64 v34, v[36:37]
	v_perm_b32 v35, v5, v4, s3
	v_perm_b32 v34, v3, v2, s3
	v_perm_b32 v37, v9, v8, s3
	v_perm_b32 v36, v7, v6, s3
	v_or_b32_e32 v41, 48, v78
	s_mul_hi_i32 s3, s20, s21
	s_mul_i32 s20, s20, s21
	v_lshlrev_b32_e32 v53, 2, v41
	s_add_u32 s14, s20, s46
	v_or_b32_e32 v38, v38, v53
	s_addc_u32 s15, s3, s37
	v_lshlrev_b32_e32 v38, 1, v38
	s_ashr_i32 s3, s2, 31
	s_lshl_b64 s[14:15], s[14:15], 15
	ds_write2st64_b64 v38, v[34:35], v[36:37] offset0:32 offset1:48
	v_lshlrev_b32_e32 v38, 8, v41
	s_add_u32 s4, s4, s14
	v_or_b32_e32 v39, v39, v38
	s_addc_u32 s5, s5, s15
	s_lshl_b64 s[2:3], s[2:3], 8
	ds_write_b64 v39, v[34:35]
	v_or_b32_e32 v34, v40, v38
	s_add_u32 s2, s4, s2
	v_lshlrev_b32_e32 v35, 1, v78
	ds_write_b64 v34, v[36:37]
	v_lshrrev_b32_e32 v34, 4, v0
	s_addc_u32 s3, s5, s3
	v_or_b32_e32 v36, 1, v35
	v_lshlrev_b32_e32 v42, 4, v78
	v_mov_b32_e32 v43, 0
	v_xor_b32_e32 v35, v34, v35
	v_xor_b32_e32 v38, v36, v34
	v_lshl_add_u64 v[44:45], s[2:3], 0, v[42:43]
	v_lshlrev_b32_e32 v42, 8, v34
	v_lshl_or_b32 v48, v35, 3, v42
	v_lshl_or_b32 v49, v38, 3, v42
	s_waitcnt lgkmcnt(0)
	s_barrier
	ds_read2st64_b64 v[34:37], v48 offset1:8
	ds_read2st64_b64 v[38:41], v49 offset1:8
	v_lshl_add_u64 v[46:47], v[44:45], 0, v[42:43]
	s_movk_i32 s2, 0x2000
	s_cmp_lg_u32 s56, 64
	s_waitcnt lgkmcnt(1)
	v_mov_b32_e32 v42, v34
	v_mov_b32_e32 v43, v35
	s_waitcnt lgkmcnt(0)
	v_mov_b32_e32 v44, v38
	v_mov_b32_e32 v45, v39
	global_store_dwordx4 v[46:47], v[42:45], off
	v_mov_b32_e32 v38, v36
	v_mov_b32_e32 v39, v37
	ds_read2st64_b64 v[34:37], v48 offset0:16 offset1:24
	ds_read2st64_b64 v[42:45], v49 offset0:16 offset1:24
	v_add_co_u32_e32 v48, vcc, s2, v46
	s_cselect_b64 s[4:5], -1, 0
	s_nop 0
	v_addc_co_u32_e32 v49, vcc, 0, v47, vcc
	global_store_dwordx4 v[48:49], v[38:41], off offset:-4096
	v_lshl_or_b32 v51, v74, 3, v80
	s_mov_b32 s28, 0
	s_waitcnt lgkmcnt(1)
	v_mov_b32_e32 v38, v34
	v_add_co_u32_e32 v34, vcc, 0x3000, v46
	v_mov_b32_e32 v39, v35
	s_nop 0
	v_addc_co_u32_e32 v35, vcc, 0, v47, vcc
	s_waitcnt lgkmcnt(0)
	v_mov_b32_e32 v40, v42
	v_mov_b32_e32 v41, v43
	;; [unrolled: 1-line block ×4, first 2 shown]
	v_or_b32_e32 v54, 32, v51
	v_and_b32_e32 v52, 56, v79
	s_and_b64 vcc, exec, s[4:5]
	global_store_dwordx4 v[48:49], v[38:41], off
	global_store_dwordx4 v[34:35], v[42:45], off
	s_cbranch_vccz .LBB229_31
; %bb.26:
	s_mov_b32 s30, s28
	s_mov_b32 s31, s28
	;; [unrolled: 1-line block ×3, first 2 shown]
	v_mov_b64_e32 v[40:41], s[30:31]
	v_mov_b64_e32 v[38:39], s[28:29]
	;; [unrolled: 1-line block ×3, first 2 shown]
	v_cmp_gt_i32_e32 vcc, s56, v51
	v_mov_b64_e32 v[36:37], v[40:41]
	s_and_saveexec_b64 s[2:3], vcc
	s_cbranch_execz .LBB229_28
; %bb.27:
	v_lshlrev_b32_e32 v34, 8, v51
	v_mov_b32_e32 v35, 0
	v_lshl_add_u64 v[36:37], s[0:1], 0, v[34:35]
	v_lshlrev_b32_e32 v34, 1, v52
	v_lshl_add_u64 v[42:43], v[36:37], 0, v[34:35]
	global_load_dwordx4 v[38:41], v[42:43], off
	global_load_dwordx4 v[34:37], v[42:43], off offset:128
.LBB229_28:
	s_or_b64 exec, exec, s[2:3]
	s_mov_b32 s30, s28
	s_mov_b32 s31, s28
	;; [unrolled: 1-line block ×3, first 2 shown]
	v_mov_b64_e32 v[48:49], s[30:31]
	v_mov_b64_e32 v[46:47], s[28:29]
	;; [unrolled: 1-line block ×3, first 2 shown]
	v_cmp_gt_i32_e32 vcc, s56, v54
	v_lshlrev_b32_e32 v55, 7, v54
	v_mov_b64_e32 v[44:45], v[48:49]
	s_and_saveexec_b64 s[2:3], vcc
	s_cbranch_execz .LBB229_30
; %bb.29:
	v_lshlrev_b32_e32 v42, 1, v55
	v_mov_b32_e32 v43, 0
	v_lshl_add_u64 v[44:45], s[0:1], 0, v[42:43]
	v_lshlrev_b32_e32 v42, 1, v52
	v_lshl_add_u64 v[60:61], v[44:45], 0, v[42:43]
	global_load_dwordx4 v[46:49], v[60:61], off
	global_load_dwordx4 v[42:45], v[60:61], off offset:128
.LBB229_30:
	s_or_b64 exec, exec, s[2:3]
	v_lshrrev_b32_e32 v59, 3, v52
	v_lshlrev_b32_e32 v60, 3, v51
	v_or_b32_e32 v59, v60, v59
	v_lshlrev_b32_e32 v59, 4, v59
	v_and_b32_e32 v60, 0x78, v60
	v_xor_b32_e32 v59, v59, v60
	s_branch .LBB229_33
.LBB229_31:
                                        ; implicit-def: $vgpr59
                                        ; implicit-def: $vgpr55
                                        ; implicit-def: $vgpr38_vgpr39_vgpr40_vgpr41
                                        ; implicit-def: $vgpr34_vgpr35_vgpr36_vgpr37
                                        ; implicit-def: $vgpr46_vgpr47_vgpr48_vgpr49
                                        ; implicit-def: $vgpr42_vgpr43_vgpr44_vgpr45
	s_cbranch_execz .LBB229_33
; %bb.32:
	s_waitcnt vmcnt(0)
	v_lshlrev_b32_e32 v34, 1, v52
	v_lshl_or_b32 v55, v51, 8, v34
	s_and_b32 s1, s1, 0xffff
	s_mov_b32 s3, 0x20000
	s_movk_i32 s2, 0x4000
	v_lshl_or_b32 v59, v54, 8, v34
	s_movk_i32 s14, 0x80
	buffer_load_dwordx4 v[38:41], v55, s[0:3], 0 offen
	buffer_load_dwordx4 v[34:37], v55, s[0:3], s14 offen
	;; [unrolled: 1-line block ×4, first 2 shown]
	v_lshrrev_b32_e32 v55, 3, v52
	v_lshlrev_b32_e32 v59, 3, v51
	v_or_b32_e32 v55, v59, v55
	v_lshlrev_b32_e32 v55, 4, v55
	v_and_b32_e32 v59, 0x78, v59
	v_xor_b32_e32 v59, v55, v59
	v_lshlrev_b32_e32 v55, 7, v54
.LBB229_33:
	s_movk_i32 s0, 0x1000
	v_and_or_b32 v54, v55, s0, v59
	s_waitcnt vmcnt(1)
	ds_write_b64 v59, v[38:39] offset:49152
	v_xor_b32_e32 v38, 8, v59
	ds_write_b64 v38, v[40:41] offset:49152
	s_waitcnt vmcnt(0)
	ds_write_b64 v59, v[34:35] offset:57344
	ds_write_b64 v38, v[36:37] offset:57344
	;; [unrolled: 1-line block ×3, first 2 shown]
	v_xor_b32_e32 v34, 8, v54
	ds_write_b64 v34, v[48:49] offset:49152
	ds_write_b64 v54, v[42:43] offset:57344
	;; [unrolled: 1-line block ×3, first 2 shown]
	v_or_b32_e32 v34, v75, v78
	v_lshlrev_b32_e32 v34, 3, v34
	v_lshrrev_b32_e32 v35, 5, v76
	s_movk_i32 s0, 0xf8
	v_and_or_b32 v35, v34, s0, v35
	v_lshlrev_b32_e32 v39, 4, v35
	v_lshlrev_b32_e32 v59, 11, v74
	v_and_b32_e32 v40, 0x78, v34
	v_or_b32_e32 v42, 32, v39
	v_and_b32_e32 v38, 0x1000, v59
	v_lshrrev_b32_e32 v35, 1, v76
	v_xor_b32_e32 v42, v42, v40
	v_xor_b32_e32 v34, v39, v40
	v_and_b32_e32 v41, 8, v35
	v_or_b32_e32 v42, v42, v38
	v_or_b32_e32 v34, v34, v38
	v_xor_b32_e32 v65, v42, v41
	v_or_b32_e32 v42, 64, v39
	v_xor_b32_e32 v64, v34, v41
	v_xor_b32_e32 v42, v42, v40
	s_waitcnt lgkmcnt(0)
	s_barrier
	v_or_b32_e32 v45, v42, v38
	ds_read_b64 v[42:43], v64 offset:49152
	v_lshl_or_b32 v46, v77, 8, v58
	v_lshlrev_b32_e32 v60, 1, v46
	v_add_u32_e32 v44, 0x4000, v60
	ds_read2_b64 v[34:37], v44 offset1:16
	v_or_b32_e32 v39, 0x60, v39
	v_xor_b32_e32 v39, v39, v40
	v_or_b32_e32 v38, v39, v38
	v_xor_b32_e32 v66, v45, v41
	v_xor_b32_e32 v67, v38, v41
	ds_read_b64 v[54:55], v65 offset:49152
	ds_read_b64 v[68:69], v66 offset:49152
	;; [unrolled: 1-line block ×3, first 2 shown]
	s_waitcnt lgkmcnt(3)
	v_mfma_f32_16x16x16_bf16 a[0:3], v[42:43], v[34:35], 0
	ds_read2_b64 v[38:41], v44 offset0:32 offset1:48
	s_lshl_b64 s[0:1], s[44:45], 8
	s_add_u32 s12, s12, s0
	v_mfma_f32_16x16x16_bf16 a[4:7], v[42:43], v[36:37], 0
	ds_read2st64_b64 v[34:37], v60 offset0:36 offset1:40
	s_addc_u32 s13, s13, s1
	s_add_i32 s2, s41, -1
	s_waitcnt lgkmcnt(1)
	v_mfma_f32_16x16x16_bf16 a[8:11], v[42:43], v[38:39], 0
	v_or_b32_e32 v38, 64, v46
	v_lshlrev_b32_e32 v61, 1, v38
	s_add_i32 s0, s49, s48
	s_waitcnt lgkmcnt(0)
	v_mfma_f32_16x16x16_bf16 a[0:3], v[54:55], v[34:35], a[0:3]
	v_or_b32_e32 v34, 0x80, v46
	v_lshlrev_b32_e32 v62, 1, v34
	v_or_b32_e32 v34, 0xc0, v46
	v_mfma_f32_16x16x16_bf16 a[12:15], v[42:43], v[40:41], 0
	ds_read2st64_b64 v[38:41], v61 offset0:36 offset1:40
	v_lshlrev_b32_e32 v63, 1, v34
	ds_read2st64_b64 v[42:45], v62 offset0:36 offset1:40
	ds_read2st64_b64 v[46:49], v63 offset0:36 offset1:40
	s_add_i32 s25, s0, s50
	s_mul_i32 s0, s46, s27
	s_mul_hi_u32 s1, s46, s26
	s_ashr_i32 s3, s2, 31
	s_mul_i32 s14, s2, s11
	s_mul_hi_u32 s15, s2, s10
	s_waitcnt lgkmcnt(2)
	v_mfma_f32_16x16x16_bf16 a[4:7], v[54:55], v[38:39], a[4:7]
	s_add_i32 s0, s1, s0
	s_mul_i32 s1, s37, s26
	s_add_i32 s14, s15, s14
	s_mul_i32 s3, s3, s10
	s_waitcnt lgkmcnt(1)
	v_mfma_f32_16x16x16_bf16 a[8:11], v[54:55], v[42:43], a[8:11]
	s_add_i32 s1, s0, s1
	s_add_i32 s3, s14, s3
	s_lshl_b64 s[14:15], s[24:25], 2
	s_waitcnt lgkmcnt(0)
	v_mfma_f32_16x16x16_bf16 a[12:15], v[54:55], v[46:47], a[12:15]
	s_mul_i32 s0, s46, s26
	s_add_u32 s14, s18, s14
	s_addc_u32 s15, s19, s15
	s_lshl_b64 s[0:1], s[0:1], 2
	v_mfma_f32_16x16x16_bf16 a[0:3], v[68:69], v[36:37], a[0:3]
	s_mul_i32 s2, s2, s10
	ds_read_b64 v[34:35], v60 offset:22528
	s_add_u32 s18, s14, s0
	v_mfma_f32_16x16x16_bf16 a[4:7], v[68:69], v[40:41], a[4:7]
	ds_read_b64 v[36:37], v61 offset:22528
	ds_read_b64 v[38:39], v62 offset:22528
	;; [unrolled: 1-line block ×3, first 2 shown]
	s_addc_u32 s19, s15, s1
	s_lshl_b64 s[0:1], s[2:3], 2
	v_mfma_f32_16x16x16_bf16 a[8:11], v[68:69], v[44:45], a[8:11]
	s_add_u32 s0, s18, s0
	s_addc_u32 s1, s19, s1
	s_load_dword s20, s[0:1], 0x0
	v_mfma_f32_16x16x16_bf16 a[12:15], v[68:69], v[48:49], a[12:15]
	s_and_b64 vcc, exec, s[42:43]
	s_waitcnt lgkmcnt(0)
	v_mfma_f32_16x16x16_bf16 a[0:3], v[70:71], v[34:35], a[0:3]
	v_mfma_f32_16x16x16_bf16 a[4:7], v[70:71], v[36:37], a[4:7]
	;; [unrolled: 1-line block ×4, first 2 shown]
	s_cbranch_vccz .LBB229_44
; %bb.34:
	v_lshlrev_b32_e32 v54, 1, v51
	s_and_b64 vcc, exec, s[4:5]
	s_cbranch_vccz .LBB229_45
; %bb.35:
	v_cmp_gt_i32_e32 vcc, s56, v54
	v_mov_b32_e32 v38, 0
	v_mov_b32_e32 v34, 0
	;; [unrolled: 1-line block ×5, first 2 shown]
	s_and_saveexec_b64 s[0:1], vcc
	s_cbranch_execz .LBB229_37
; %bb.36:
	v_mad_i64_i32 v[34:35], s[2:3], s23, v54, 0
	v_lshl_add_u64 v[34:35], v[34:35], 1, s[12:13]
	v_lshlrev_b32_e32 v36, 1, v52
	v_mov_b32_e32 v37, 0
	v_lshl_add_u64 v[34:35], v[34:35], 0, v[36:37]
	global_load_dwordx4 v[34:37], v[34:35], off
.LBB229_37:
	s_or_b64 exec, exec, s[0:1]
	v_or_b32_e32 v55, 1, v54
	v_cmp_gt_i32_e64 s[0:1], s56, v55
	v_mov_b32_e32 v39, 0
	v_mov_b32_e32 v40, 0
	v_mov_b32_e32 v41, 0
	s_and_saveexec_b64 s[2:3], s[0:1]
	s_cbranch_execz .LBB229_39
; %bb.38:
	v_mad_i64_i32 v[38:39], s[14:15], s23, v55, 0
	v_lshl_add_u64 v[38:39], v[38:39], 1, s[12:13]
	v_lshlrev_b32_e32 v40, 1, v52
	v_mov_b32_e32 v41, 0
	v_lshl_add_u64 v[38:39], v[38:39], 0, v[40:41]
	global_load_dwordx4 v[38:41], v[38:39], off
.LBB229_39:
	s_or_b64 exec, exec, s[2:3]
	v_mov_b32_e32 v49, 0
	v_mov_b32_e32 v42, 0
	;; [unrolled: 1-line block ×5, first 2 shown]
	s_and_saveexec_b64 s[2:3], vcc
	s_cbranch_execz .LBB229_41
; %bb.40:
	v_mad_i64_i32 v[42:43], s[14:15], s23, v54, 0
	v_lshl_add_u64 v[42:43], v[42:43], 1, s[12:13]
	v_lshlrev_b32_e32 v44, 1, v52
	v_mov_b32_e32 v45, 0
	v_lshl_add_u64 v[42:43], v[42:43], 0, v[44:45]
	global_load_dwordx4 v[42:45], v[42:43], off offset:128
.LBB229_41:
	s_or_b64 exec, exec, s[2:3]
	v_mov_b32_e32 v48, 0
	v_mov_b32_e32 v47, 0
	;; [unrolled: 1-line block ×3, first 2 shown]
	s_and_saveexec_b64 s[2:3], s[0:1]
	s_cbranch_execz .LBB229_43
; %bb.42:
	v_mad_i64_i32 v[46:47], s[0:1], s23, v55, 0
	v_lshl_add_u64 v[46:47], v[46:47], 1, s[12:13]
	v_lshlrev_b32_e32 v48, 1, v52
	v_mov_b32_e32 v49, 0
	v_lshl_add_u64 v[46:47], v[46:47], 0, v[48:49]
	global_load_dwordx4 v[46:49], v[46:47], off offset:128
.LBB229_43:
	s_or_b64 exec, exec, s[2:3]
	s_branch .LBB229_47
.LBB229_44:
                                        ; implicit-def: $vgpr37
                                        ; implicit-def: $vgpr41
                                        ; implicit-def: $vgpr45
                                        ; implicit-def: $vgpr49
	v_lshrrev_b32_e32 v68, 2, v76
	s_branch .LBB229_48
.LBB229_45:
                                        ; implicit-def: $vgpr37
                                        ; implicit-def: $vgpr41
                                        ; implicit-def: $vgpr45
                                        ; implicit-def: $vgpr49
	s_cbranch_execz .LBB229_47
; %bb.46:
	s_waitcnt vmcnt(0)
	v_mad_u64_u32 v[34:35], s[0:1], v54, s23, v[52:53]
	v_lshlrev_b32_e32 v54, 1, v34
	s_lshl_b32 s2, s23, 7
	s_and_b32 s1, s13, 0xffff
	s_mov_b32 s3, 0x20000
	s_mov_b32 s0, s12
	v_add_lshl_u32 v55, v34, s23, 1
	s_movk_i32 s14, 0x80
	buffer_load_dwordx4 v[34:37], v54, s[0:3], 0 offen
	buffer_load_dwordx4 v[42:45], v54, s[0:3], s14 offen
	;; [unrolled: 1-line block ×4, first 2 shown]
.LBB229_47:
	v_lshrrev_b32_e32 v68, 2, v76
	s_cbranch_execnz .LBB229_60
.LBB229_48:
	s_and_b64 vcc, exec, s[4:5]
	s_cbranch_vccz .LBB229_58
; %bb.49:
	s_waitcnt vmcnt(0)
	v_lshlrev_b32_e32 v39, 1, v51
	v_cmp_gt_i32_e32 vcc, s56, v39
	v_mov_b32_e32 v38, 0
	v_lshlrev_b32_e32 v46, 9, v51
	v_mov_b32_e32 v34, 0
	v_mov_b32_e32 v35, 0
	;; [unrolled: 1-line block ×4, first 2 shown]
	s_and_saveexec_b64 s[0:1], vcc
	s_cbranch_execz .LBB229_51
; %bb.50:
	v_mov_b32_e32 v47, 0
	v_lshl_add_u64 v[34:35], s[12:13], 0, v[46:47]
	v_lshlrev_b32_e32 v36, 1, v52
	v_mov_b32_e32 v37, v47
	v_lshl_add_u64 v[34:35], v[34:35], 0, v[36:37]
	global_load_dwordx4 v[34:37], v[34:35], off
.LBB229_51:
	s_or_b64 exec, exec, s[0:1]
	v_or_b32_e32 v39, 1, v39
	v_cmp_gt_i32_e64 s[0:1], s56, v39
	v_lshlrev_b32_e32 v54, 8, v39
	v_mov_b32_e32 v39, 0
	v_mov_b32_e32 v40, 0
	;; [unrolled: 1-line block ×3, first 2 shown]
	s_and_saveexec_b64 s[2:3], s[0:1]
	s_cbranch_execz .LBB229_53
; %bb.52:
	v_mov_b32_e32 v55, 0
	v_lshl_add_u64 v[38:39], s[12:13], 0, v[54:55]
	v_lshlrev_b32_e32 v40, 1, v52
	v_mov_b32_e32 v41, v55
	v_lshl_add_u64 v[38:39], v[38:39], 0, v[40:41]
	global_load_dwordx4 v[38:41], v[38:39], off
.LBB229_53:
	s_or_b64 exec, exec, s[2:3]
	v_mov_b32_e32 v49, 0
	v_mov_b32_e32 v42, 0
	;; [unrolled: 1-line block ×5, first 2 shown]
	s_and_saveexec_b64 s[2:3], vcc
	s_cbranch_execz .LBB229_55
; %bb.54:
	v_mov_b32_e32 v47, 0
	v_lshl_add_u64 v[42:43], s[12:13], 0, v[46:47]
	v_lshlrev_b32_e32 v46, 1, v52
	v_lshl_add_u64 v[42:43], v[42:43], 0, v[46:47]
	global_load_dwordx4 v[42:45], v[42:43], off offset:128
.LBB229_55:
	s_or_b64 exec, exec, s[2:3]
	v_mov_b32_e32 v48, 0
	v_mov_b32_e32 v47, 0
	;; [unrolled: 1-line block ×3, first 2 shown]
	s_and_saveexec_b64 s[2:3], s[0:1]
	s_cbranch_execz .LBB229_57
; %bb.56:
	v_mov_b32_e32 v55, 0
	v_lshl_add_u64 v[46:47], s[12:13], 0, v[54:55]
	v_lshlrev_b32_e32 v54, 1, v52
	v_lshl_add_u64 v[46:47], v[46:47], 0, v[54:55]
	global_load_dwordx4 v[46:49], v[46:47], off offset:128
.LBB229_57:
	s_or_b64 exec, exec, s[2:3]
	s_branch .LBB229_60
.LBB229_58:
                                        ; implicit-def: $vgpr37
                                        ; implicit-def: $vgpr41
                                        ; implicit-def: $vgpr45
                                        ; implicit-def: $vgpr49
	s_cbranch_execz .LBB229_60
; %bb.59:
	s_waitcnt vmcnt(0)
	v_lshlrev_b32_e32 v34, 1, v52
	v_lshl_or_b32 v52, v51, 9, v34
	s_and_b32 s13, s13, 0xffff
	s_mov_b32 s15, 0x20000
	s_movk_i32 s14, 0x4000
	s_movk_i32 s0, 0x80
	buffer_load_dwordx4 v[34:37], v52, s[12:15], 0 offen
	buffer_load_dwordx4 v[38:41], v52, s[12:15], 0 offen offset:256
	buffer_load_dwordx4 v[42:45], v52, s[12:15], s0 offen
	buffer_load_dwordx4 v[46:49], v52, s[12:15], s0 offen offset:256
.LBB229_60:
	ds_read_b64 v[54:55], v64 offset:57344
	v_add_u32_e32 v52, 0x6000, v60
	ds_read2_b64 v[70:73], v52 offset1:16
	ds_read_b64 v[84:85], v65 offset:57344
	ds_read_b64 v[86:87], v66 offset:57344
	;; [unrolled: 1-line block ×3, first 2 shown]
	ds_read2_b64 v[64:67], v52 offset0:32 offset1:48
	v_and_b32_e32 v52, 6, v0
	v_xor_b32_e32 v51, v51, v52
	v_lshlrev_b32_e32 v51, 2, v51
	s_mov_b32 s0, 0x1000504
	s_mov_b32 s1, 0x3020706
	s_waitcnt lgkmcnt(4)
	v_mfma_f32_16x16x16_bf16 a[4:7], v[54:55], v[72:73], a[4:7]
	v_mfma_f32_16x16x16_bf16 a[0:3], v[54:55], v[70:71], a[0:3]
	ds_read2st64_b64 v[70:73], v60 offset0:52 offset1:56
	s_waitcnt lgkmcnt(1)
	v_mfma_f32_16x16x16_bf16 a[8:11], v[54:55], v[64:65], a[8:11]
	v_mfma_f32_16x16x16_bf16 a[12:15], v[54:55], v[66:67], a[12:15]
	ds_read2st64_b64 v[64:67], v61 offset0:52 offset1:56
	ds_read2st64_b64 v[76:79], v62 offset0:52 offset1:56
	;; [unrolled: 1-line block ×3, first 2 shown]
	s_waitcnt lgkmcnt(2)
	v_mfma_f32_16x16x16_bf16 a[4:7], v[84:85], v[64:65], a[4:7]
	v_and_b32_e32 v64, 1, v0
	v_xor_b32_e32 v65, 0x440, v51
	v_cmp_eq_u32_e32 vcc, 0, v64
	v_mfma_f32_16x16x16_bf16 a[0:3], v[84:85], v[70:71], a[0:3]
	s_waitcnt vmcnt(0)
	v_perm_b32 v64, v42, v46, s0
	v_cndmask_b32_e32 v51, v65, v51, vcc
	v_lshl_or_b32 v51, v52, 10, v51
	s_waitcnt lgkmcnt(1)
	v_mfma_f32_16x16x16_bf16 a[8:11], v[84:85], v[76:77], a[8:11]
	v_perm_b32 v52, v34, v38, s0
	ds_read_b64 v[54:55], v60 offset:30720
	ds_read_b64 v[70:71], v61 offset:30720
	;; [unrolled: 1-line block ×4, first 2 shown]
	ds_write2st64_b32 v51, v52, v64 offset0:128 offset1:160
	s_waitcnt lgkmcnt(5)
	v_mfma_f32_16x16x16_bf16 a[12:15], v[84:85], v[80:81], a[12:15]
	v_xor_b32_e32 v52, 8, v51
	v_perm_b32 v34, v34, v38, s1
	v_perm_b32 v38, v42, v46, s1
	v_add_u32_e32 v42, 0x80, v52
	ds_write2st64_b32 v42, v34, v38 offset0:128 offset1:160
	v_xor_b32_e32 v34, 16, v51
	v_perm_b32 v38, v35, v39, s0
	v_perm_b32 v42, v43, v47, s0
	v_mfma_f32_16x16x16_bf16 a[0:3], v[86:87], v[72:73], a[0:3]
	ds_write2st64_b32 v34, v38, v42 offset0:129 offset1:161
	v_xor_b32_e32 v34, 24, v51
	v_perm_b32 v35, v35, v39, s1
	v_mfma_f32_16x16x16_bf16 a[4:7], v[86:87], v[66:67], a[4:7]
	v_perm_b32 v38, v43, v47, s1
	v_add_u32_e32 v34, 0x80, v34
	ds_write2st64_b32 v34, v35, v38 offset0:129 offset1:161
	v_mfma_f32_16x16x16_bf16 a[16:19], v[86:87], v[78:79], a[8:11]
	v_xor_b32_e32 v34, 32, v51
	v_perm_b32 v35, v36, v40, s0
	v_perm_b32 v38, v44, v48, s0
	v_mfma_f32_16x16x16_bf16 a[20:23], v[86:87], v[82:83], a[12:15]
	ds_write2st64_b32 v34, v35, v38 offset0:130 offset1:162
	v_xor_b32_e32 v34, 40, v51
	v_perm_b32 v35, v36, v40, s1
	s_waitcnt lgkmcnt(8)
	v_mfma_f32_16x16x16_bf16 a[12:15], v[88:89], v[54:55], a[0:3]
	v_perm_b32 v36, v44, v48, s1
	v_add_u32_e32 v34, 0x80, v34
	ds_write2st64_b32 v34, v35, v36 offset0:130 offset1:162
	s_waitcnt lgkmcnt(8)
	v_mfma_f32_16x16x16_bf16 a[8:11], v[88:89], v[70:71], a[4:7]
	v_xor_b32_e32 v34, 48, v51
	v_perm_b32 v35, v37, v41, s0
	v_perm_b32 v36, v45, v49, s0
	s_waitcnt lgkmcnt(7)
	v_mfma_f32_16x16x16_bf16 a[4:7], v[88:89], v[90:91], a[16:19]
	ds_write2st64_b32 v34, v35, v36 offset0:131 offset1:163
	v_xor_b32_e32 v34, 56, v51
	v_and_or_b32 v65, v68, 12, v75
	s_waitcnt lgkmcnt(7)
	v_mfma_f32_16x16x16_bf16 a[0:3], v[88:89], v[92:93], a[20:23]
	v_perm_b32 v35, v37, v41, s1
	v_perm_b32 v36, v45, v49, s1
	v_add_u32_e32 v34, 0x80, v34
	v_cmp_gt_i32_e32 vcc, s56, v65
	v_mov_b32_e32 v54, 0
	v_mov_b32_e32 v55, 0
	ds_write2st64_b32 v34, v35, v36 offset0:131 offset1:163
	s_and_saveexec_b64 s[0:1], vcc
	s_cbranch_execz .LBB229_62
; %bb.61:
	v_add_u32_e32 v34, s36, v65
	v_ashrrev_i32_e32 v35, 31, v34
	v_mul_lo_u32 v36, v35, s10
	v_mul_lo_u32 v37, v34, s11
	v_mad_u64_u32 v[34:35], s[2:3], v34, s10, 0
	v_add3_u32 v35, v35, v37, v36
	v_lshl_add_u64 v[34:35], v[34:35], 2, s[18:19]
	global_load_dword v34, v[34:35], off
	s_waitcnt vmcnt(0)
	v_sub_f32_e32 v34, s20, v34
	v_mul_f32_e32 v34, 0x3fb8aa3b, v34
	v_exp_f32_e32 v55, v34
.LBB229_62:
	s_or_b64 exec, exec, s[0:1]
	v_or_b32_e32 v43, 1, v65
	v_cmp_gt_i32_e64 s[2:3], s56, v43
	s_and_saveexec_b64 s[0:1], s[2:3]
	s_cbranch_execz .LBB229_64
; %bb.63:
	v_add_u32_e32 v34, s36, v43
	v_ashrrev_i32_e32 v35, 31, v34
	v_mul_lo_u32 v36, v35, s10
	v_mul_lo_u32 v37, v34, s11
	v_mad_u64_u32 v[34:35], s[4:5], v34, s10, 0
	v_add3_u32 v35, v35, v37, v36
	v_lshl_add_u64 v[34:35], v[34:35], 2, s[18:19]
	global_load_dword v34, v[34:35], off
	s_waitcnt vmcnt(0)
	v_sub_f32_e32 v34, s20, v34
	v_mul_f32_e32 v34, 0x3fb8aa3b, v34
	v_exp_f32_e32 v54, v34
.LBB229_64:
	s_or_b64 exec, exec, s[0:1]
	v_or_b32_e32 v42, 2, v65
	v_cmp_gt_i32_e64 s[4:5], s56, v42
	v_mov_b32_e32 v52, 0
	v_mov_b32_e32 v64, 0
	s_and_saveexec_b64 s[0:1], s[4:5]
	s_cbranch_execz .LBB229_66
; %bb.65:
	v_add_u32_e32 v34, s36, v42
	v_ashrrev_i32_e32 v35, 31, v34
	v_mul_lo_u32 v36, v35, s10
	v_mul_lo_u32 v37, v34, s11
	v_mad_u64_u32 v[34:35], s[12:13], v34, s10, 0
	v_add3_u32 v35, v35, v37, v36
	v_lshl_add_u64 v[34:35], v[34:35], 2, s[18:19]
	global_load_dword v34, v[34:35], off
	s_waitcnt vmcnt(0)
	v_sub_f32_e32 v34, s20, v34
	v_mul_f32_e32 v34, 0x3fb8aa3b, v34
	v_exp_f32_e32 v64, v34
.LBB229_66:
	s_or_b64 exec, exec, s[0:1]
	v_or_b32_e32 v66, 3, v65
	v_cmp_gt_i32_e64 s[0:1], s56, v66
	s_and_saveexec_b64 s[12:13], s[0:1]
	s_cbranch_execz .LBB229_68
; %bb.67:
	v_add_u32_e32 v34, s36, v66
	v_ashrrev_i32_e32 v35, 31, v34
	v_mul_lo_u32 v36, v35, s10
	v_mul_lo_u32 v37, v34, s11
	v_mad_u64_u32 v[34:35], s[10:11], v34, s10, 0
	v_add3_u32 v35, v35, v37, v36
	v_lshl_add_u64 v[34:35], v[34:35], 2, s[18:19]
	global_load_dword v34, v[34:35], off
	s_waitcnt vmcnt(0)
	v_sub_f32_e32 v34, s20, v34
	v_mul_f32_e32 v34, 0x3fb8aa3b, v34
	v_exp_f32_e32 v52, v34
.LBB229_68:
	s_or_b64 exec, exec, s[12:13]
	s_add_u32 s10, s16, s38
	s_addc_u32 s11, s17, s39
	s_add_u32 s6, s6, s38
	v_ashrrev_i32_e32 v51, 31, v50
	v_accvgpr_read_b32 v37, a15
	s_addc_u32 s7, s7, s39
	v_lshlrev_b64 v[38:39], 1, v[50:51]
	v_accvgpr_read_b32 v36, a14
	v_accvgpr_read_b32 v35, a13
	;; [unrolled: 1-line block ×3, first 2 shown]
	v_lshl_add_u64 v[40:41], s[10:11], 0, v[38:39]
	v_lshl_add_u64 v[38:39], s[6:7], 0, v[38:39]
	v_mov_b32_e32 v47, 0
	v_lshlrev_b32_e32 v44, 8, v65
	v_mov_b32_e32 v45, 0
	s_and_saveexec_b64 s[6:7], vcc
	s_cbranch_execz .LBB229_70
; %bb.69:
	v_mov_b32_e32 v45, 0
	v_lshl_add_u64 v[48:49], v[40:41], 0, v[44:45]
	global_load_ushort v46, v[48:49], off
	v_lshl_add_u64 v[48:49], v[38:39], 0, v[44:45]
	s_waitcnt vmcnt(0)
	v_lshlrev_b32_e32 v45, 16, v46
	v_sub_f32_e32 v34, v45, v34
	global_store_short_d16_hi v[48:49], v34, off
	v_mul_f32_e32 v34, v55, v34
	v_lshrrev_b32_e32 v45, 16, v34
.LBB229_70:
	s_or_b64 exec, exec, s[6:7]
	v_lshlrev_b32_e32 v46, 8, v43
	s_and_saveexec_b64 s[6:7], s[2:3]
	s_cbranch_execz .LBB229_72
; %bb.71:
	v_mov_b32_e32 v47, 0
	v_lshl_add_u64 v[48:49], v[40:41], 0, v[46:47]
	global_load_ushort v34, v[48:49], off
	v_lshl_add_u64 v[48:49], v[38:39], 0, v[46:47]
	s_waitcnt vmcnt(0)
	v_lshlrev_b32_e32 v34, 16, v34
	v_sub_f32_e32 v34, v34, v35
	global_store_short_d16_hi v[48:49], v34, off
	v_mul_f32_e32 v34, v54, v34
	v_lshrrev_b32_e32 v47, 16, v34
.LBB229_72:
	s_or_b64 exec, exec, s[6:7]
	v_mov_b32_e32 v43, 0
	v_lshlrev_b32_e32 v48, 8, v42
	v_mov_b32_e32 v49, 0
	s_and_saveexec_b64 s[6:7], s[4:5]
	s_cbranch_execz .LBB229_74
; %bb.73:
	v_mov_b32_e32 v49, 0
	v_lshl_add_u64 v[34:35], v[40:41], 0, v[48:49]
	global_load_ushort v42, v[34:35], off
	v_lshl_add_u64 v[34:35], v[38:39], 0, v[48:49]
	s_waitcnt vmcnt(0)
	v_lshlrev_b32_e32 v42, 16, v42
	v_sub_f32_e32 v36, v42, v36
	global_store_short_d16_hi v[34:35], v36, off
	v_mul_f32_e32 v34, v64, v36
	v_lshrrev_b32_e32 v49, 16, v34
.LBB229_74:
	s_or_b64 exec, exec, s[6:7]
	v_lshlrev_b32_e32 v42, 8, v66
	s_and_saveexec_b64 s[6:7], s[0:1]
	s_cbranch_execz .LBB229_76
; %bb.75:
	v_mov_b32_e32 v43, 0
	v_lshl_add_u64 v[34:35], v[40:41], 0, v[42:43]
	global_load_ushort v36, v[34:35], off
	v_lshl_add_u64 v[34:35], v[38:39], 0, v[42:43]
	s_waitcnt vmcnt(0)
	v_lshlrev_b32_e32 v36, 16, v36
	v_sub_f32_e32 v36, v36, v37
	global_store_short_d16_hi v[34:35], v36, off
	v_mul_f32_e32 v34, v52, v36
	v_lshrrev_b32_e32 v43, 16, v34
.LBB229_76:
	s_or_b64 exec, exec, s[6:7]
	v_lshlrev_b32_e32 v51, 6, v65
	s_mov_b32 s6, 0x5040100
	v_accvgpr_read_b32 v37, a11
	v_perm_b32 v67, v43, v49, s6
	v_or_b32_e32 v43, v51, v58
	v_accvgpr_read_b32 v36, a10
	v_accvgpr_read_b32 v35, a9
	;; [unrolled: 1-line block ×3, first 2 shown]
	v_perm_b32 v66, v47, v45, s6
	v_lshlrev_b32_e32 v43, 1, v43
	v_mov_b32_e32 v47, 0
	v_mov_b32_e32 v45, 0
	ds_write_b64 v43, v[66:67] offset:24576
	s_and_saveexec_b64 s[6:7], vcc
	s_cbranch_execz .LBB229_78
; %bb.77:
	v_mov_b32_e32 v45, 0
	v_lshl_add_u64 v[66:67], v[40:41], 0, v[44:45]
	global_load_ushort v43, v[66:67], off offset:32
	v_lshl_add_u64 v[66:67], v[38:39], 0, v[44:45]
	s_waitcnt vmcnt(0)
	v_lshlrev_b32_e32 v43, 16, v43
	v_sub_f32_e32 v34, v43, v34
	global_store_short_d16_hi v[66:67], v34, off offset:32
	v_mul_f32_e32 v34, v55, v34
	v_lshrrev_b32_e32 v45, 16, v34
.LBB229_78:
	s_or_b64 exec, exec, s[6:7]
	s_and_saveexec_b64 s[6:7], s[2:3]
	s_cbranch_execz .LBB229_80
; %bb.79:
	v_mov_b32_e32 v47, 0
	v_lshl_add_u64 v[66:67], v[40:41], 0, v[46:47]
	global_load_ushort v34, v[66:67], off offset:32
	v_lshl_add_u64 v[66:67], v[38:39], 0, v[46:47]
	s_waitcnt vmcnt(0)
	v_lshlrev_b32_e32 v34, 16, v34
	v_sub_f32_e32 v34, v34, v35
	global_store_short_d16_hi v[66:67], v34, off offset:32
	v_mul_f32_e32 v34, v54, v34
	v_lshrrev_b32_e32 v47, 16, v34
.LBB229_80:
	s_or_b64 exec, exec, s[6:7]
	v_mov_b32_e32 v43, 0
	v_mov_b32_e32 v49, 0
	s_and_saveexec_b64 s[6:7], s[4:5]
	s_cbranch_execz .LBB229_82
; %bb.81:
	v_mov_b32_e32 v49, 0
	v_lshl_add_u64 v[34:35], v[40:41], 0, v[48:49]
	global_load_ushort v58, v[34:35], off offset:32
	v_lshl_add_u64 v[34:35], v[38:39], 0, v[48:49]
	s_waitcnt vmcnt(0)
	v_lshlrev_b32_e32 v49, 16, v58
	v_sub_f32_e32 v36, v49, v36
	global_store_short_d16_hi v[34:35], v36, off offset:32
	v_mul_f32_e32 v34, v64, v36
	v_lshrrev_b32_e32 v49, 16, v34
.LBB229_82:
	s_or_b64 exec, exec, s[6:7]
	s_and_saveexec_b64 s[6:7], s[0:1]
	s_cbranch_execz .LBB229_84
; %bb.83:
	v_mov_b32_e32 v43, 0
	v_lshl_add_u64 v[34:35], v[40:41], 0, v[42:43]
	global_load_ushort v36, v[34:35], off offset:32
	v_lshl_add_u64 v[34:35], v[38:39], 0, v[42:43]
	s_waitcnt vmcnt(0)
	v_lshlrev_b32_e32 v36, 16, v36
	v_sub_f32_e32 v36, v36, v37
	global_store_short_d16_hi v[34:35], v36, off offset:32
	v_mul_f32_e32 v34, v52, v36
	v_lshrrev_b32_e32 v43, 16, v34
.LBB229_84:
	s_or_b64 exec, exec, s[6:7]
	s_mov_b32 s6, 0x5040100
	v_accvgpr_read_b32 v37, a7
	v_perm_b32 v67, v43, v49, s6
	v_or_b32_e32 v43, v51, v57
	v_accvgpr_read_b32 v36, a6
	v_accvgpr_read_b32 v35, a5
	;; [unrolled: 1-line block ×3, first 2 shown]
	v_perm_b32 v66, v47, v45, s6
	v_lshlrev_b32_e32 v43, 1, v43
	v_mov_b32_e32 v47, 0
	v_mov_b32_e32 v45, 0
	ds_write_b64 v43, v[66:67] offset:24576
	s_and_saveexec_b64 s[6:7], vcc
	s_cbranch_execz .LBB229_86
; %bb.85:
	v_mov_b32_e32 v45, 0
	v_lshl_add_u64 v[66:67], v[40:41], 0, v[44:45]
	global_load_ushort v43, v[66:67], off offset:64
	v_lshl_add_u64 v[66:67], v[38:39], 0, v[44:45]
	s_waitcnt vmcnt(0)
	v_lshlrev_b32_e32 v43, 16, v43
	v_sub_f32_e32 v34, v43, v34
	global_store_short_d16_hi v[66:67], v34, off offset:64
	v_mul_f32_e32 v34, v55, v34
	v_lshrrev_b32_e32 v45, 16, v34
.LBB229_86:
	s_or_b64 exec, exec, s[6:7]
	s_and_saveexec_b64 s[6:7], s[2:3]
	s_cbranch_execz .LBB229_88
; %bb.87:
	v_mov_b32_e32 v47, 0
	v_lshl_add_u64 v[66:67], v[40:41], 0, v[46:47]
	global_load_ushort v34, v[66:67], off offset:64
	v_lshl_add_u64 v[66:67], v[38:39], 0, v[46:47]
	s_waitcnt vmcnt(0)
	v_lshlrev_b32_e32 v34, 16, v34
	v_sub_f32_e32 v34, v34, v35
	global_store_short_d16_hi v[66:67], v34, off offset:64
	v_mul_f32_e32 v34, v54, v34
	v_lshrrev_b32_e32 v47, 16, v34
.LBB229_88:
	s_or_b64 exec, exec, s[6:7]
	v_mov_b32_e32 v43, 0
	v_mov_b32_e32 v49, 0
	s_and_saveexec_b64 s[6:7], s[4:5]
	s_cbranch_execz .LBB229_90
; %bb.89:
	v_mov_b32_e32 v49, 0
	v_lshl_add_u64 v[34:35], v[40:41], 0, v[48:49]
	global_load_ushort v57, v[34:35], off offset:64
	v_lshl_add_u64 v[34:35], v[38:39], 0, v[48:49]
	s_waitcnt vmcnt(0)
	v_lshlrev_b32_e32 v49, 16, v57
	v_sub_f32_e32 v36, v49, v36
	global_store_short_d16_hi v[34:35], v36, off offset:64
	v_mul_f32_e32 v34, v64, v36
	v_lshrrev_b32_e32 v49, 16, v34
.LBB229_90:
	s_or_b64 exec, exec, s[6:7]
	s_and_saveexec_b64 s[6:7], s[0:1]
	s_cbranch_execz .LBB229_92
; %bb.91:
	v_mov_b32_e32 v43, 0
	v_lshl_add_u64 v[34:35], v[40:41], 0, v[42:43]
	global_load_ushort v36, v[34:35], off offset:64
	v_lshl_add_u64 v[34:35], v[38:39], 0, v[42:43]
	s_waitcnt vmcnt(0)
	v_lshlrev_b32_e32 v36, 16, v36
	v_sub_f32_e32 v36, v36, v37
	global_store_short_d16_hi v[34:35], v36, off offset:64
	v_mul_f32_e32 v34, v52, v36
	v_lshrrev_b32_e32 v43, 16, v34
.LBB229_92:
	s_or_b64 exec, exec, s[6:7]
	s_mov_b32 s6, 0x5040100
	v_accvgpr_read_b32 v37, a3
	v_perm_b32 v67, v43, v49, s6
	v_or_b32_e32 v43, v51, v56
	v_accvgpr_read_b32 v36, a2
	v_accvgpr_read_b32 v35, a1
	;; [unrolled: 1-line block ×3, first 2 shown]
	v_perm_b32 v66, v47, v45, s6
	v_lshlrev_b32_e32 v43, 1, v43
	v_mov_b32_e32 v47, 0
	v_mov_b32_e32 v45, 0
	ds_write_b64 v43, v[66:67] offset:24576
	s_and_saveexec_b64 s[6:7], vcc
	s_cbranch_execz .LBB229_94
; %bb.93:
	v_mov_b32_e32 v45, 0
	v_lshl_add_u64 v[56:57], v[40:41], 0, v[44:45]
	global_load_ushort v43, v[56:57], off offset:96
	v_lshl_add_u64 v[44:45], v[38:39], 0, v[44:45]
	s_waitcnt vmcnt(0)
	v_lshlrev_b32_e32 v43, 16, v43
	v_sub_f32_e32 v34, v43, v34
	global_store_short_d16_hi v[44:45], v34, off offset:96
	v_mul_f32_e32 v34, v55, v34
	v_lshrrev_b32_e32 v45, 16, v34
.LBB229_94:
	s_or_b64 exec, exec, s[6:7]
	s_and_saveexec_b64 s[6:7], s[2:3]
	s_cbranch_execz .LBB229_96
; %bb.95:
	v_mov_b32_e32 v47, 0
	v_lshl_add_u64 v[56:57], v[40:41], 0, v[46:47]
	global_load_ushort v34, v[56:57], off offset:96
	v_lshl_add_u64 v[46:47], v[38:39], 0, v[46:47]
	s_waitcnt vmcnt(0)
	v_lshlrev_b32_e32 v34, 16, v34
	v_sub_f32_e32 v34, v34, v35
	global_store_short_d16_hi v[46:47], v34, off offset:96
	v_mul_f32_e32 v34, v54, v34
	v_lshrrev_b32_e32 v47, 16, v34
.LBB229_96:
	s_or_b64 exec, exec, s[6:7]
	v_mov_b32_e32 v43, 0
	v_mov_b32_e32 v46, 0
	s_and_saveexec_b64 s[2:3], s[4:5]
	s_cbranch_execz .LBB229_98
; %bb.97:
	v_mov_b32_e32 v49, 0
	v_lshl_add_u64 v[34:35], v[40:41], 0, v[48:49]
	global_load_ushort v44, v[34:35], off offset:96
	v_lshl_add_u64 v[34:35], v[38:39], 0, v[48:49]
	s_waitcnt vmcnt(0)
	v_lshlrev_b32_e32 v44, 16, v44
	v_sub_f32_e32 v36, v44, v36
	global_store_short_d16_hi v[34:35], v36, off offset:96
	v_mul_f32_e32 v34, v64, v36
	v_lshrrev_b32_e32 v46, 16, v34
.LBB229_98:
	s_or_b64 exec, exec, s[2:3]
	v_or_b32_e32 v44, 0x6000, v60
	v_or_b32_e32 v36, 0x6000, v61
	;; [unrolled: 1-line block ×4, first 2 shown]
	s_and_saveexec_b64 s[2:3], s[0:1]
	s_cbranch_execz .LBB229_100
; %bb.99:
	v_mov_b32_e32 v43, 0
	v_lshl_add_u64 v[40:41], v[40:41], 0, v[42:43]
	global_load_ushort v40, v[40:41], off offset:96
	v_lshl_add_u64 v[38:39], v[38:39], 0, v[42:43]
	s_waitcnt vmcnt(0)
	v_lshlrev_b32_e32 v40, 16, v40
	v_sub_f32_e32 v37, v40, v37
	global_store_short_d16_hi v[38:39], v37, off offset:96
	v_mul_f32_e32 v37, v52, v37
	v_lshrrev_b32_e32 v43, 16, v37
.LBB229_100:
	s_or_b64 exec, exec, s[2:3]
	s_mov_b32 s0, 0x5040100
	v_or_b32_e32 v37, v51, v53
	v_perm_b32 v39, v43, v46, s0
	v_perm_b32 v38, v47, v45, s0
	v_lshlrev_b32_e32 v37, 1, v37
	s_movk_i32 s0, 0x100
	ds_write_b64 v37, v[38:39] offset:24576
	v_and_b32_e32 v37, 7, v0
	v_and_b32_e32 v38, 8, v0
	v_cmp_gt_u32_e32 vcc, s0, v0
	v_lshrrev_b32_e32 v0, 1, v0
	v_mov_b32_e32 v39, 0xa000
	v_mov_b32_e32 v40, 0x8000
	v_lshlrev_b32_e32 v58, 3, v74
	v_and_b32_e32 v0, 24, v0
	v_cndmask_b32_e32 v51, v39, v40, vcc
	v_xor_b32_e32 v39, v58, v0
	v_or_b32_e32 v40, 0x440, v39
	v_cmp_eq_u32_e32 vcc, 0, v38
	v_lshlrev_b32_e32 v45, 3, v37
	v_lshlrev_b32_e32 v37, 7, v37
	v_cndmask_b32_e32 v38, v40, v39, vcc
	v_or_b32_e32 v38, v38, v59
	v_xad_u32 v72, v38, v45, v37
	v_add_u32_e32 v38, v51, v72
	s_waitcnt lgkmcnt(0)
	s_barrier
	ds_read_b64 v[42:43], v38
	ds_read2_b64 v[38:41], v44 offset1:16
	ds_read2_b64 v[46:49], v44 offset0:32 offset1:48
	v_or_b32_e32 v52, 32, v0
	v_xor_b32_e32 v52, v58, v52
	v_or_b32_e32 v53, 0x440, v52
	v_cndmask_b32_e32 v52, v53, v52, vcc
	s_waitcnt lgkmcnt(1)
	v_mfma_f32_16x16x16_bf16 a[0:3], v[42:43], v[38:39], 0
	v_or_b32_e32 v52, v52, v59
	v_xad_u32 v73, v52, v45, v37
	v_add_u32_e32 v52, v51, v73
	v_mfma_f32_16x16x16_bf16 a[4:7], v[42:43], v[40:41], 0
	ds_read_b64 v[56:57], v52
	ds_read2st64_b64 v[60:63], v36 offset0:4 offset1:8
	ds_read2st64_b64 v[64:67], v35 offset0:4 offset1:8
	s_waitcnt lgkmcnt(3)
	v_mfma_f32_16x16x16_bf16 a[8:11], v[42:43], v[46:47], 0
	ds_read2st64_b64 v[68:71], v34 offset0:4 offset1:8
	v_mfma_f32_16x16x16_bf16 a[12:15], v[42:43], v[48:49], 0
	v_or_b32_e32 v42, 64, v0
	v_xor_b32_e32 v42, v58, v42
	v_xor_b32_e32 v43, 0x440, v42
	v_cndmask_b32_e32 v42, v43, v42, vcc
	v_or_b32_e32 v42, v42, v59
	v_xad_u32 v74, v42, v45, v37
	v_add_u32_e32 v42, v51, v74
	ds_read_b64 v[42:43], v42
	ds_read2st64_b64 v[52:55], v44 offset0:4 offset1:8
	v_or_b32_e32 v0, 0x60, v0
	v_xor_b32_e32 v0, v58, v0
	s_waitcnt lgkmcnt(0)
	v_mfma_f32_16x16x16_bf16 a[0:3], v[56:57], v[52:53], a[0:3]
	v_mfma_f32_16x16x16_bf16 a[4:7], v[56:57], v[60:61], a[4:7]
	;; [unrolled: 1-line block ×4, first 2 shown]
	v_xor_b32_e32 v56, 0x440, v0
	v_cndmask_b32_e32 v0, v56, v0, vcc
	v_or_b32_e32 v0, v0, v59
	v_xad_u32 v0, v0, v45, v37
	v_add_u32_e32 v37, v51, v0
	v_mfma_f32_16x16x16_bf16 a[0:3], v[42:43], v[54:55], a[0:3]
	ds_read_b64 v[56:57], v37
	ds_read_b64 v[44:45], v44 offset:6144
	v_mfma_f32_16x16x16_bf16 a[4:7], v[42:43], v[62:63], a[4:7]
	v_mfma_f32_16x16x16_bf16 a[8:11], v[42:43], v[66:67], a[8:11]
	;; [unrolled: 1-line block ×3, first 2 shown]
	ds_read_b64 v[36:37], v36 offset:6144
	ds_read_b64 v[42:43], v35 offset:6144
	;; [unrolled: 1-line block ×3, first 2 shown]
	s_waitcnt lgkmcnt(3)
	v_mfma_f32_16x16x16_bf16 a[0:3], v[56:57], v[44:45], a[0:3]
	s_waitcnt lgkmcnt(2)
	v_mfma_f32_16x16x16_bf16 a[4:7], v[56:57], v[36:37], a[4:7]
	;; [unrolled: 2-line block ×4, first 2 shown]
	ds_read_b64 v[56:57], v72 offset:40960
	s_waitcnt lgkmcnt(0)
	v_mfma_f32_16x16x16_bf16 a[20:23], v[56:57], v[40:41], 0
	v_mov_b32_e32 v40, 0x3fb8aa3b
	v_mul_f32_e32 v40, s20, v40
	v_mfma_f32_16x16x16_bf16 a[24:27], v[56:57], v[46:47], 0
	v_exp_f32_e32 v46, v40
	v_accvgpr_read_b32 v40, a0
	v_accvgpr_read_b32 v47, a3
	v_mfma_f32_16x16x16_bf16 a[16:19], v[56:57], v[38:39], 0
	ds_read_b64 v[38:39], v73 offset:40960
	v_fma_f32 v30, v46, v30, v40
	v_accvgpr_read_b32 v40, a1
	v_fma_f32 v31, v46, v31, v40
	v_accvgpr_read_b32 v40, a2
	v_mfma_f32_16x16x16_bf16 a[28:31], v[56:57], v[48:49], 0
	v_fma_f32 v32, v46, v32, v40
	ds_read_b64 v[40:41], v74 offset:40960
	v_fmac_f32_e32 v47, v46, v33
	s_waitcnt lgkmcnt(1)
	v_mfma_f32_16x16x16_bf16 a[16:19], v[38:39], v[52:53], a[16:19]
	v_accvgpr_read_b32 v33, a4
	v_fma_f32 v22, v46, v22, v33
	v_accvgpr_read_b32 v33, a5
	v_mfma_f32_16x16x16_bf16 a[20:23], v[38:39], v[60:61], a[20:23]
	v_fma_f32 v23, v46, v23, v33
	v_accvgpr_read_b32 v33, a6
	v_accvgpr_read_b32 v48, a7
	v_mfma_f32_16x16x16_bf16 a[24:27], v[38:39], v[64:65], a[24:27]
	v_fmac_f32_e32 v48, v46, v25
	v_accvgpr_read_b32 v25, a8
	v_fma_f32 v24, v46, v24, v33
	v_mfma_f32_16x16x16_bf16 a[0:3], v[38:39], v[68:69], a[28:31]
	ds_read_b64 v[38:39], v0 offset:40960
	v_accvgpr_read_b32 v0, a9
	v_fma_f32 v15, v46, v15, v0
	s_waitcnt lgkmcnt(1)
	v_mfma_f32_16x16x16_bf16 a[4:7], v[40:41], v[62:63], a[20:23]
	v_accvgpr_read_b32 v0, a10
	v_fma_f32 v16, v46, v16, v0
	v_accvgpr_read_b32 v0, a11
	v_mfma_f32_16x16x16_bf16 a[16:19], v[40:41], v[54:55], a[16:19]
	v_fmac_f32_e32 v0, v46, v17
	v_accvgpr_read_b32 v17, a12
	v_fma_f32 v2, v46, v2, v17
	v_mfma_f32_16x16x16_bf16 a[20:23], v[40:41], v[66:67], a[24:27]
	v_accvgpr_read_b32 v17, a13
	v_fma_f32 v3, v46, v3, v17
	v_accvgpr_read_b32 v17, a14
	v_mfma_f32_16x16x16_bf16 a[0:3], v[40:41], v[70:71], a[0:3]
	v_fma_f32 v4, v46, v4, v17
	v_fma_f32 v14, v46, v14, v25
	v_mov_b32_e32 v33, v47
	s_waitcnt lgkmcnt(0)
	v_mfma_f32_16x16x16_bf16 a[4:7], v[38:39], v[36:37], a[4:7]
	v_accvgpr_read_b32 v36, a15
	v_fmac_f32_e32 v36, v46, v5
	v_mov_b32_e32 v25, v48
	v_mfma_f32_16x16x16_bf16 a[8:11], v[38:39], v[44:45], a[16:19]
	v_mfma_f32_16x16x16_bf16 a[16:19], v[38:39], v[42:43], a[20:23]
	s_nop 1
	v_accvgpr_read_b32 v17, a4
	v_fma_f32 v18, v46, v18, v17
	v_accvgpr_read_b32 v17, a5
	v_mfma_f32_16x16x16_bf16 a[0:3], v[38:39], v[34:35], a[0:3]
	v_accvgpr_read_b32 v5, a8
	v_fma_f32 v19, v46, v19, v17
	v_accvgpr_read_b32 v17, a6
	v_fma_f32 v26, v46, v26, v5
	;; [unrolled: 2-line block ×3, first 2 shown]
	v_accvgpr_read_b32 v17, a7
	v_accvgpr_read_b32 v34, a19
	v_fma_f32 v27, v46, v27, v5
	v_accvgpr_read_b32 v5, a10
	v_fmac_f32_e32 v17, v46, v21
	v_accvgpr_read_b32 v21, a16
	v_fmac_f32_e32 v34, v46, v13
	v_accvgpr_read_b32 v13, a0
	v_fma_f32 v28, v46, v28, v5
	v_accvgpr_read_b32 v5, a11
	v_fma_f32 v10, v46, v10, v21
	;; [unrolled: 2-line block ×3, first 2 shown]
	v_accvgpr_read_b32 v13, a1
	v_accvgpr_read_b32 v35, a3
	v_fmac_f32_e32 v5, v46, v29
	v_fma_f32 v11, v46, v11, v21
	v_accvgpr_read_b32 v21, a18
	v_fma_f32 v7, v46, v7, v13
	v_accvgpr_read_b32 v13, a2
	v_fmac_f32_e32 v35, v46, v9
	v_fma_f32 v12, v46, v12, v21
	v_fma_f32 v8, v46, v8, v13
	v_mov_b32_e32 v29, v5
	v_mov_b32_e32 v21, v17
	;; [unrolled: 1-line block ×7, first 2 shown]
.LBB229_101:
	s_mul_i32 s0, s47, s35
	s_mul_hi_u32 s1, s47, s34
	s_add_i32 s0, s1, s0
	s_mul_i32 s1, s33, s34
	s_add_i32 s1, s0, s1
	s_mul_i32 s0, s47, s34
	s_add_u32 s0, s0, s46
	s_addc_u32 s1, s1, s37
	s_lshl_b64 s[0:1], s[0:1], 16
	s_add_u32 s0, s8, s0
	v_lshlrev_b32_e32 v34, 7, v34
	s_addc_u32 s1, s9, s1
	v_ashrrev_i32_e32 v35, 31, v34
	v_lshl_add_u64 v[36:37], v[34:35], 2, s[0:1]
	v_lshlrev_b32_e32 v0, 2, v1
	v_mov_b32_e32 v1, 0
	v_lshl_add_u64 v[36:37], v[36:37], 0, v[0:1]
	global_store_dwordx4 v[36:37], v[30:33], off
	global_store_dwordx4 v[36:37], v[26:29], off offset:256
	s_nop 1
	v_or_b32_e32 v26, 0x800, v34
	v_ashrrev_i32_e32 v27, 31, v26
	v_lshl_add_u64 v[26:27], v[26:27], 2, s[0:1]
	v_lshl_add_u64 v[26:27], v[26:27], 0, v[0:1]
	global_store_dwordx4 v[26:27], v[22:25], off
	global_store_dwordx4 v[26:27], v[18:21], off offset:256
	s_nop 1
	v_or_b32_e32 v18, 0x1000, v34
	v_ashrrev_i32_e32 v19, 31, v18
	v_lshl_add_u64 v[18:19], v[18:19], 2, s[0:1]
	;; [unrolled: 7-line block ×3, first 2 shown]
	v_lshl_add_u64 v[0:1], v[10:11], 0, v[0:1]
	global_store_dwordx4 v[0:1], v[2:5], off
	global_store_dwordx4 v[0:1], v[6:9], off offset:256
	s_endpgm
	.section	.rodata,"a",@progbits
	.p2align	6, 0x0
	.amdhsa_kernel _ZN12_GLOBAL__N_139chunk_gated_delta_rule_fwd_h_hip_kernelILi64ELb0ELb1ELb1ELb1ELb0ELb0ELb1ELb0EEEvPK12hip_bfloat16S3_S3_PKfS5_PKvPS1_S8_PvPKiSB_iiiiilll
		.amdhsa_group_segment_fixed_size 65536
		.amdhsa_private_segment_fixed_size 0
		.amdhsa_kernarg_size 136
		.amdhsa_user_sgpr_count 2
		.amdhsa_user_sgpr_dispatch_ptr 0
		.amdhsa_user_sgpr_queue_ptr 0
		.amdhsa_user_sgpr_kernarg_segment_ptr 1
		.amdhsa_user_sgpr_dispatch_id 0
		.amdhsa_user_sgpr_kernarg_preload_length 0
		.amdhsa_user_sgpr_kernarg_preload_offset 0
		.amdhsa_user_sgpr_private_segment_size 0
		.amdhsa_uses_dynamic_stack 0
		.amdhsa_enable_private_segment 0
		.amdhsa_system_sgpr_workgroup_id_x 1
		.amdhsa_system_sgpr_workgroup_id_y 1
		.amdhsa_system_sgpr_workgroup_id_z 0
		.amdhsa_system_sgpr_workgroup_info 0
		.amdhsa_system_vgpr_workitem_id 0
		.amdhsa_next_free_vgpr 216
		.amdhsa_next_free_sgpr 67
		.amdhsa_accum_offset 180
		.amdhsa_reserve_vcc 1
		.amdhsa_float_round_mode_32 0
		.amdhsa_float_round_mode_16_64 0
		.amdhsa_float_denorm_mode_32 3
		.amdhsa_float_denorm_mode_16_64 3
		.amdhsa_dx10_clamp 1
		.amdhsa_ieee_mode 1
		.amdhsa_fp16_overflow 0
		.amdhsa_tg_split 0
		.amdhsa_exception_fp_ieee_invalid_op 0
		.amdhsa_exception_fp_denorm_src 0
		.amdhsa_exception_fp_ieee_div_zero 0
		.amdhsa_exception_fp_ieee_overflow 0
		.amdhsa_exception_fp_ieee_underflow 0
		.amdhsa_exception_fp_ieee_inexact 0
		.amdhsa_exception_int_div_zero 0
	.end_amdhsa_kernel
	.section	.text._ZN12_GLOBAL__N_139chunk_gated_delta_rule_fwd_h_hip_kernelILi64ELb0ELb1ELb1ELb1ELb0ELb0ELb1ELb0EEEvPK12hip_bfloat16S3_S3_PKfS5_PKvPS1_S8_PvPKiSB_iiiiilll,"axG",@progbits,_ZN12_GLOBAL__N_139chunk_gated_delta_rule_fwd_h_hip_kernelILi64ELb0ELb1ELb1ELb1ELb0ELb0ELb1ELb0EEEvPK12hip_bfloat16S3_S3_PKfS5_PKvPS1_S8_PvPKiSB_iiiiilll,comdat
.Lfunc_end229:
	.size	_ZN12_GLOBAL__N_139chunk_gated_delta_rule_fwd_h_hip_kernelILi64ELb0ELb1ELb1ELb1ELb0ELb0ELb1ELb0EEEvPK12hip_bfloat16S3_S3_PKfS5_PKvPS1_S8_PvPKiSB_iiiiilll, .Lfunc_end229-_ZN12_GLOBAL__N_139chunk_gated_delta_rule_fwd_h_hip_kernelILi64ELb0ELb1ELb1ELb1ELb0ELb0ELb1ELb0EEEvPK12hip_bfloat16S3_S3_PKfS5_PKvPS1_S8_PvPKiSB_iiiiilll
                                        ; -- End function
	.section	.AMDGPU.csdata,"",@progbits
; Kernel info:
; codeLenInByte = 12652
; NumSgprs: 73
; NumVgprs: 180
; NumAgprs: 36
; TotalNumVgprs: 216
; ScratchSize: 0
; MemoryBound: 0
; FloatMode: 240
; IeeeMode: 1
; LDSByteSize: 65536 bytes/workgroup (compile time only)
; SGPRBlocks: 9
; VGPRBlocks: 26
; NumSGPRsForWavesPerEU: 73
; NumVGPRsForWavesPerEU: 216
; AccumOffset: 180
; Occupancy: 1
; WaveLimiterHint : 1
; COMPUTE_PGM_RSRC2:SCRATCH_EN: 0
; COMPUTE_PGM_RSRC2:USER_SGPR: 2
; COMPUTE_PGM_RSRC2:TRAP_HANDLER: 0
; COMPUTE_PGM_RSRC2:TGID_X_EN: 1
; COMPUTE_PGM_RSRC2:TGID_Y_EN: 1
; COMPUTE_PGM_RSRC2:TGID_Z_EN: 0
; COMPUTE_PGM_RSRC2:TIDIG_COMP_CNT: 0
; COMPUTE_PGM_RSRC3_GFX90A:ACCUM_OFFSET: 44
; COMPUTE_PGM_RSRC3_GFX90A:TG_SPLIT: 0
	.section	.text._ZN12_GLOBAL__N_139chunk_gated_delta_rule_fwd_h_hip_kernelILi64ELb0ELb1ELb0ELb1ELb0ELb0ELb1ELb0EEEvPK12hip_bfloat16S3_S3_PKfS5_PKvPS1_S8_PvPKiSB_iiiiilll,"axG",@progbits,_ZN12_GLOBAL__N_139chunk_gated_delta_rule_fwd_h_hip_kernelILi64ELb0ELb1ELb0ELb1ELb0ELb0ELb1ELb0EEEvPK12hip_bfloat16S3_S3_PKfS5_PKvPS1_S8_PvPKiSB_iiiiilll,comdat
	.globl	_ZN12_GLOBAL__N_139chunk_gated_delta_rule_fwd_h_hip_kernelILi64ELb0ELb1ELb0ELb1ELb0ELb0ELb1ELb0EEEvPK12hip_bfloat16S3_S3_PKfS5_PKvPS1_S8_PvPKiSB_iiiiilll ; -- Begin function _ZN12_GLOBAL__N_139chunk_gated_delta_rule_fwd_h_hip_kernelILi64ELb0ELb1ELb0ELb1ELb0ELb0ELb1ELb0EEEvPK12hip_bfloat16S3_S3_PKfS5_PKvPS1_S8_PvPKiSB_iiiiilll
	.p2align	8
	.type	_ZN12_GLOBAL__N_139chunk_gated_delta_rule_fwd_h_hip_kernelILi64ELb0ELb1ELb0ELb1ELb0ELb0ELb1ELb0EEEvPK12hip_bfloat16S3_S3_PKfS5_PKvPS1_S8_PvPKiSB_iiiiilll,@function
_ZN12_GLOBAL__N_139chunk_gated_delta_rule_fwd_h_hip_kernelILi64ELb0ELb1ELb0ELb1ELb0ELb0ELb1ELb0EEEvPK12hip_bfloat16S3_S3_PKfS5_PKvPS1_S8_PvPKiSB_iiiiilll: ; @_ZN12_GLOBAL__N_139chunk_gated_delta_rule_fwd_h_hip_kernelILi64ELb0ELb1ELb0ELb1ELb0ELb0ELb1ELb0EEEvPK12hip_bfloat16S3_S3_PKfS5_PKvPS1_S8_PvPKiSB_iiiiilll
; %bb.0:
	s_load_dwordx4 s[16:19], s[0:1], 0x5c
	s_abs_i32 s23, s3
	s_ashr_i32 s22, s3, 31
	s_load_dwordx2 s[20:21], s[0:1], 0x50
	s_load_dwordx8 s[4:11], s[0:1], 0x0
	s_load_dwordx4 s[12:15], s[0:1], 0x40
	s_load_dwordx2 s[38:39], s[0:1], 0x30
	s_waitcnt lgkmcnt(0)
	s_abs_i32 s26, s17
	v_cvt_f32_u32_e32 v1, s26
	s_sub_i32 s24, 0, s26
	s_ashr_i32 s33, s17, 31
	s_xor_b32 s22, s22, s33
	v_rcp_iflag_f32_e32 v1, v1
	v_lshrrev_b32_e32 v72, 6, v0
	v_bfe_u32 v75, v0, 4, 2
	v_lshlrev_b32_e32 v73, 4, v72
	v_mul_f32_e32 v1, 0x4f7ffffe, v1
	v_cvt_u32_f32_e32 v1, v1
	v_lshlrev_b32_e32 v34, 2, v75
	v_and_b32_e32 v74, 63, v0
	v_mov_b32_e32 v5, 0
	v_readfirstlane_b32 s25, v1
	s_mul_i32 s24, s24, s25
	s_mul_hi_u32 s24, s25, s24
	s_add_i32 s25, s25, s24
	s_mul_hi_u32 s24, s23, s25
	s_mul_i32 s25, s24, s26
	s_sub_i32 s23, s23, s25
	s_add_i32 s27, s24, 1
	s_sub_i32 s25, s23, s26
	s_cmp_ge_u32 s23, s26
	s_cselect_b32 s24, s27, s24
	s_cselect_b32 s23, s25, s23
	s_add_i32 s25, s24, 1
	s_cmp_ge_u32 s23, s26
	s_cselect_b32 s23, s25, s24
	s_xor_b32 s23, s23, s22
	s_sub_i32 s34, s23, s22
	s_mul_i32 s22, s34, s17
	s_ashr_i32 s35, s34, 31
	s_sub_i32 s44, s3, s22
	s_lshl_b64 s[22:23], s[34:35], 2
	s_add_u32 s14, s14, s22
	s_addc_u32 s15, s15, s23
	s_add_u32 s24, s20, s22
	s_addc_u32 s25, s21, s23
	s_abs_i32 s3, s18
	v_cvt_f32_u32_e32 v1, s3
	s_load_dwordx2 s[36:37], s[14:15], 0x0
	s_sub_i32 s15, 0, s3
	s_mov_b32 s45, s17
	v_rcp_iflag_f32_e32 v1, v1
	v_and_b32_e32 v76, 15, v0
	s_waitcnt lgkmcnt(0)
	s_sub_i32 s54, s37, s36
	s_ashr_i32 s14, s54, 31
	v_mul_f32_e32 v1, 0x4f7ffffe, v1
	v_cvt_u32_f32_e32 v1, v1
	s_lshr_b32 s14, s14, 26
	s_add_i32 s14, s54, s14
	s_ashr_i32 s49, s14, 6
	v_readfirstlane_b32 s20, v1
	s_mul_i32 s15, s15, s20
	s_mul_hi_u32 s15, s20, s15
	s_add_i32 s20, s20, s15
	s_mul_hi_u32 s15, s26, s20
	s_mul_i32 s20, s15, s3
	s_ashr_i32 s14, s18, 31
	s_sub_i32 s20, s26, s20
	s_xor_b32 s14, s33, s14
	s_add_i32 s21, s15, 1
	s_sub_i32 s22, s20, s3
	s_cmp_ge_u32 s20, s3
	s_cselect_b32 s15, s21, s15
	s_cselect_b32 s20, s22, s20
	s_add_i32 s21, s15, 1
	s_cmp_ge_u32 s20, s3
	s_cselect_b32 s3, s21, s15
	s_xor_b32 s3, s3, s14
	s_sub_i32 s3, s3, s14
	s_abs_i32 s26, s3
	v_cvt_f32_u32_e32 v1, s26
	s_load_dwordx2 s[14:15], s[0:1], 0x80
	s_load_dwordx4 s[20:23], s[0:1], 0x70
	s_load_dword s50, s[24:25], 0x0
	s_xor_b32 s0, s44, s3
	v_rcp_iflag_f32_e32 v1, v1
	s_sub_i32 s3, 0, s26
	s_abs_i32 s1, s44
	s_ashr_i32 s0, s0, 31
	v_mul_f32_e32 v1, 0x4f7ffffe, v1
	v_cvt_u32_f32_e32 v1, v1
	s_mul_hi_i32 s51, s44, s16
	s_mul_i32 s52, s44, s16
	v_lshrrev_b32_e32 v78, 3, v74
	v_readfirstlane_b32 s24, v1
	s_mul_i32 s3, s3, s24
	s_mul_hi_u32 s3, s24, s3
	s_add_i32 s24, s24, s3
	s_mul_hi_u32 s3, s1, s24
	s_mul_i32 s24, s3, s26
	s_sub_i32 s1, s1, s24
	s_add_i32 s24, s3, 1
	s_sub_i32 s25, s1, s26
	s_cmp_ge_u32 s1, s26
	s_cselect_b32 s3, s24, s3
	s_cselect_b32 s1, s25, s1
	s_add_i32 s24, s3, 1
	s_cmp_ge_u32 s1, s26
	s_cselect_b32 s1, s24, s3
	s_xor_b32 s1, s1, s0
	s_sub_i32 s53, s1, s0
	v_or_b32_e32 v1, v34, v73
	s_lshl_b32 s2, s2, 6
	v_or_b32_e32 v79, 64, v1
	s_cmp_lt_i32 s54, 64
	v_lshlrev_b32_e32 v77, 3, v0
	s_waitcnt lgkmcnt(0)
	s_mul_i32 s46, s34, s21
	s_mul_hi_u32 s47, s34, s20
	s_mul_i32 s48, s35, s20
	s_mul_i32 s20, s34, s20
	v_mov_b32_e32 v4, v5
	v_mov_b32_e32 v3, v5
	;; [unrolled: 1-line block ×31, first 2 shown]
	s_cbranch_scc1 .LBB230_18
; %bb.1:
	s_ashr_i32 s56, s44, 31
	s_ashr_i32 s1, s36, 31
	s_add_u32 s0, s52, s36
	s_addc_u32 s1, s51, s1
	s_lshl_b64 s[0:1], s[0:1], 8
	v_and_b32_e32 v81, 56, v77
	s_add_u32 s24, s6, s0
	v_lshl_or_b32 v80, v72, 3, v78
	v_lshlrev_b32_e32 v2, 1, v81
	s_addc_u32 s0, s7, s1
	v_lshl_or_b32 v82, v80, 8, v2
	s_and_b32 s25, s0, 0xffff
	s_mov_b32 s27, 0x20000
	s_movk_i32 s26, 0x4000
	s_movk_i32 s0, 0x80
	v_or_b32_e32 v83, 0x2000, v82
	buffer_load_dwordx4 v[4:7], v82, s[24:27], 0 offen
	buffer_load_dwordx4 v[8:11], v82, s[24:27], s0 offen
	;; [unrolled: 1-line block ×4, first 2 shown]
	v_lshlrev_b32_e32 v3, 3, v80
	v_and_or_b32 v21, v0, 7, v3
	v_and_b32_e32 v3, 0x78, v3
	v_lshlrev_b32_e32 v21, 4, v21
	v_xor_b32_e32 v84, v21, v3
	v_mul_lo_u32 v20, v80, s19
	v_or_b32_e32 v85, 0x1000, v84
	v_xor_b32_e32 v3, 8, v84
	s_cmpk_eq_i32 s19, 0x80
	s_mov_b32 s55, s36
	v_xor_b32_e32 v21, 8, v85
	s_cselect_b64 s[0:1], -1, 0
	s_cmpk_lg_i32 s19, 0x80
	s_waitcnt vmcnt(3)
	ds_write_b64 v84, v[4:5] offset:49152
	ds_write_b64 v3, v[6:7] offset:49152
	s_waitcnt vmcnt(2)
	ds_write_b64 v84, v[8:9] offset:57344
	ds_write_b64 v3, v[10:11] offset:57344
	;; [unrolled: 3-line block ×4, first 2 shown]
	v_lshl_add_u32 v3, v20, 1, v81
	s_cbranch_scc0 .LBB230_3
; %bb.2:
	v_lshlrev_b32_e32 v5, 1, v3
	v_add_lshl_u32 v4, v3, s19, 1
	s_lshl_b32 s26, s19, 7
	v_lshl_or_b32 v2, v80, 9, v2
	s_cbranch_execz .LBB230_4
	s_branch .LBB230_5
.LBB230_3:
                                        ; implicit-def: $vgpr4
                                        ; implicit-def: $vgpr5
                                        ; implicit-def: $sgpr26
	v_lshl_or_b32 v2, v80, 9, v2
.LBB230_4:
	v_or_b32_e32 v4, 0x100, v2
	s_movk_i32 s26, 0x4000
	v_mov_b32_e32 v5, v2
.LBB230_5:
	s_mul_i32 s21, s36, s18
	s_ashr_i32 s57, s53, 31
	s_mul_hi_i32 s3, s36, s18
	s_add_u32 s24, s21, s53
	s_addc_u32 s25, s3, s57
	s_lshl_b64 s[24:25], s[24:25], 8
	s_add_u32 s24, s4, s24
	s_addc_u32 s3, s5, s25
	s_and_b32 s25, s3, 0xffff
	s_movk_i32 s58, 0x80
	buffer_load_dwordx4 v[6:9], v5, s[24:27], 0 offen
	buffer_load_dwordx4 v[10:13], v5, s[24:27], s58 offen
	buffer_load_dwordx4 v[14:17], v4, s[24:27], 0 offen
	buffer_load_dwordx4 v[18:21], v4, s[24:27], s58 offen
	v_and_b32_e32 v5, 6, v0
	v_lshlrev_b32_e32 v4, 7, v1
	v_xor_b32_e32 v27, v80, v5
	v_and_b32_e32 v22, 1, v0
	v_lshl_or_b32 v30, v76, 3, v4
	v_lshlrev_b32_e32 v27, 2, v27
	v_lshlrev_b32_e32 v23, 2, v76
	v_or_b32_e32 v86, 0x4000, v30
	v_or_b32_e32 v87, 0x6000, v30
	v_xor_b32_e32 v30, 0x440, v27
	v_cmp_eq_u32_e32 vcc, 0, v22
	v_or_b32_e32 v25, 16, v76
	v_or_b32_e32 v26, 32, v76
	v_xor_b32_e32 v28, v1, v23
	v_xor_b32_e32 v29, v79, v23
	v_cndmask_b32_e32 v22, v30, v27, vcc
	s_add_i32 s3, s47, s46
	s_mov_b32 s59, 0x1000504
	v_lshl_or_b32 v31, v25, 3, v4
	v_lshlrev_b32_e32 v25, 8, v25
	v_lshl_or_b32 v32, v26, 3, v4
	v_lshlrev_b32_e32 v28, 1, v28
	v_lshlrev_b32_e32 v29, 1, v29
	v_lshl_or_b32 v5, v5, 10, v22
	s_add_i32 s21, s3, s48
	s_mul_i32 s3, s44, s23
	s_mul_hi_u32 s24, s44, s22
	s_mov_b32 s60, 0x3020706
	v_lshlrev_b32_e32 v24, 8, v76
	v_or_b32_e32 v90, 0x4000, v32
	v_or_b32_e32 v91, 0x6000, v32
	;; [unrolled: 1-line block ×4, first 2 shown]
	v_xor_b32_e32 v22, 8, v5
	v_xor_b32_e32 v25, 24, v5
	;; [unrolled: 1-line block ×4, first 2 shown]
	s_add_i32 s3, s24, s3
	s_mul_i32 s24, s56, s22
	v_or_b32_e32 v88, 0x4000, v31
	v_or_b32_e32 v89, 0x6000, v31
	;; [unrolled: 1-line block ×4, first 2 shown]
	v_xor_b32_e32 v24, 16, v5
	v_xor_b32_e32 v27, 32, v5
	;; [unrolled: 1-line block ×3, first 2 shown]
	v_add_u32_e32 v22, 0x80, v22
	v_add_u32_e32 v25, 0x80, v25
	;; [unrolled: 1-line block ×4, first 2 shown]
	s_add_i32 s25, s3, s24
	s_lshl_b64 s[28:29], s[20:21], 2
	s_mul_i32 s24, s44, s22
	s_add_u32 s3, s10, s28
	s_addc_u32 s21, s11, s29
	s_lshl_b64 s[24:25], s[24:25], 2
	s_add_u32 s40, s3, s24
	s_movk_i32 s3, 0xf8
	s_addc_u32 s41, s21, s25
	s_lshl_b32 s30, s19, 7
	s_movk_i32 s21, 0x100
	v_mov_b32_e32 v67, 0
	v_lshlrev_b32_e32 v66, 4, v76
	v_cmp_gt_u32_e32 vcc, s21, v0
	v_lshlrev_b32_e32 v26, 8, v26
	s_mov_b32 s61, 0
	s_movk_i32 s26, 0x4000
	v_or_b32_e32 v96, v26, v28
	v_or_b32_e32 v97, v26, v29
	v_add_u32_e32 v126, v73, v34
	s_movk_i32 s21, 0x2000
	s_movk_i32 s62, 0x3000
	v_mov_b32_e32 v131, 0x3fb8aa3b
	v_mov_b32_e32 v26, v67
	s_waitcnt vmcnt(1)
	v_perm_b32 v33, v6, v14, s59
	s_waitcnt vmcnt(0)
	v_perm_b32 v35, v10, v18, s59
	v_perm_b32 v6, v6, v14, s60
	;; [unrolled: 1-line block ×15, first 2 shown]
	ds_write2st64_b32 v5, v33, v35 offset0:128 offset1:160
	ds_write2st64_b32 v22, v6, v10 offset0:128 offset1:160
	ds_write2st64_b32 v24, v14, v18 offset0:129 offset1:161
	ds_write2st64_b32 v25, v7, v11 offset0:129 offset1:161
	ds_write2st64_b32 v27, v15, v19 offset0:130 offset1:162
	ds_write2st64_b32 v30, v8, v12 offset0:130 offset1:162
	ds_write2st64_b32 v31, v16, v20 offset0:131 offset1:163
	ds_write2st64_b32 v32, v9, v13 offset0:131 offset1:163
	v_or_b32_e32 v5, 48, v76
	v_lshl_or_b32 v6, v5, 3, v4
	v_lshlrev_b32_e32 v5, 8, v5
	v_or_b32_e32 v100, v5, v28
	v_or_b32_e32 v101, v5, v29
	;; [unrolled: 1-line block ×3, first 2 shown]
	v_lshlrev_b32_e32 v5, 3, v5
	v_lshrrev_b32_e32 v7, 5, v74
	v_and_or_b32 v7, v5, s3, v7
	v_lshlrev_b32_e32 v7, 4, v7
	v_lshlrev_b32_e32 v10, 11, v72
	v_and_b32_e32 v5, 0x78, v5
	v_or_b32_e32 v13, 32, v7
	v_or_b32_e32 v98, 0x4000, v6
	;; [unrolled: 1-line block ×3, first 2 shown]
	v_and_b32_e32 v6, 0x1000, v10
	v_xor_b32_e32 v8, v7, v5
	v_lshrrev_b32_e32 v11, 1, v0
	v_xor_b32_e32 v13, v13, v5
	v_or_b32_e32 v8, v8, v6
	v_and_b32_e32 v9, 8, v11
	v_lshlrev_b32_e32 v12, 8, v75
	v_or_b32_e32 v13, v13, v6
	v_xor_b32_e32 v102, v8, v9
	v_or_b32_e32 v8, v12, v23
	v_xor_b32_e32 v104, v13, v9
	v_or_b32_e32 v13, 64, v7
	v_or_b32_e32 v7, 0x60, v7
	s_ashr_i32 s3, s2, 31
	v_lshlrev_b32_e32 v8, 1, v8
	v_xor_b32_e32 v13, v13, v5
	v_xor_b32_e32 v5, v7, v5
	s_lshl_b64 s[24:25], s[2:3], 8
	v_or_b32_e32 v103, 0x4000, v8
	v_or_b32_e32 v105, 0x4080, v8
	;; [unrolled: 1-line block ×10, first 2 shown]
	s_add_u32 s24, s38, s24
	v_lshlrev_b32_e32 v8, 1, v76
	v_xor_b32_e32 v108, v13, v9
	v_xor_b32_e32 v109, v5, v9
	v_lshrrev_b32_e32 v14, 4, v0
	s_addc_u32 s25, s39, s25
	v_or_b32_e32 v9, 1, v8
	v_mov_b32_e32 v18, 0xa000
	v_mov_b32_e32 v19, 0x8000
	v_xor_b32_e32 v15, v14, v8
	v_xor_b32_e32 v16, v9, v14
	v_lshl_add_u64 v[8:9], s[24:25], 0, v[66:67]
	v_lshlrev_b32_e32 v66, 8, v14
	v_cndmask_b32_e32 v18, v18, v19, vcc
	v_lshlrev_b32_e32 v19, 3, v72
	v_and_b32_e32 v11, 24, v11
	v_lshl_or_b32 v114, v15, 3, v66
	v_and_b32_e32 v15, 8, v0
	v_xor_b32_e32 v20, v19, v11
	v_or_b32_e32 v21, 0x440, v20
	v_cmp_eq_u32_e32 vcc, 0, v15
	v_and_b32_e32 v14, 7, v0
	v_lshl_or_b32 v115, v16, 3, v66
	v_cndmask_b32_e32 v15, v21, v20, vcc
	v_lshlrev_b32_e32 v16, 3, v14
	v_lshlrev_b32_e32 v14, 7, v14
	v_or_b32_e32 v15, v15, v10
	v_lshlrev_b32_e32 v17, 2, v0
	v_xad_u32 v116, v15, v16, v14
	v_or_b32_e32 v15, 32, v11
	v_and_or_b32 v12, v17, 60, v12
	v_xor_b32_e32 v15, v19, v15
	v_lshlrev_b32_e32 v12, 1, v12
	v_or_b32_e32 v17, 0x440, v15
	v_or_b32_e32 v117, 0x6000, v12
	v_cndmask_b32_e32 v15, v17, v15, vcc
	v_or_b32_e32 v119, 0x6080, v12
	v_or_b32_e32 v120, 0x6100, v12
	;; [unrolled: 1-line block ×5, first 2 shown]
	v_xor_b32_e32 v12, v19, v12
	v_xad_u32 v118, v15, v16, v14
	v_xor_b32_e32 v15, 0x440, v12
	v_cndmask_b32_e32 v12, v15, v12, vcc
	v_or_b32_e32 v11, 0x60, v11
	v_or_b32_e32 v12, v12, v10
	v_xor_b32_e32 v11, v19, v11
	v_xad_u32 v122, v12, v16, v14
	v_xor_b32_e32 v12, 0x440, v11
	v_cndmask_b32_e32 v11, v12, v11, vcc
	v_or_b32_e32 v6, s2, v76
	v_or_b32_e32 v10, v11, v10
	v_ashrrev_i32_e32 v7, 31, v6
	v_lshlrev_b32_e32 v5, 1, v3
	v_add_lshl_u32 v3, v3, s19, 1
	v_or_b32_e32 v13, 0x100, v2
	v_xad_u32 v123, v10, v16, v14
	v_cndmask_b32_e64 v124, v5, v2, s[0:1]
	v_cndmask_b32_e64 v125, v3, v13, s[0:1]
	v_lshl_add_u64 v[68:69], v[6:7], 1, s[8:9]
	v_lshl_add_u64 v[70:71], v[8:9], 0, v[66:67]
	s_mov_b32 s3, 0x7060302
	v_lshlrev_b32_e32 v66, 1, v4
	v_add_u32_e32 v127, v18, v116
	v_add_u32_e32 v128, v18, v118
	;; [unrolled: 1-line block ×4, first 2 shown]
	v_mov_b32_e32 v27, v67
	v_mov_b32_e32 v28, v67
	;; [unrolled: 1-line block ×31, first 2 shown]
	s_waitcnt lgkmcnt(0)
	s_barrier
.LBB230_6:                              ; =>This Inner Loop Header: Depth=1
	s_add_i32 s63, s61, 1
	s_cmp_lt_i32 s63, s49
	s_mov_b64 s[28:29], 0
	s_cselect_b64 s[42:43], -1, 0
	s_cmp_ge_i32 s63, s49
	s_mov_b64 s[24:25], 0
	s_cbranch_scc1 .LBB230_8
; %bb.7:                                ;   in Loop: Header=BB230_6 Depth=1
	s_add_i32 s0, s55, 64
	s_ashr_i32 s1, s0, 31
	s_add_u32 s0, s52, s0
	s_addc_u32 s1, s51, s1
	s_lshl_b64 s[0:1], s[0:1], 8
	s_add_u32 s24, s6, s0
	s_addc_u32 s25, s7, s1
.LBB230_8:                              ;   in Loop: Header=BB230_6 Depth=1
	v_cndmask_b32_e64 v34, 0, 1, s[42:43]
	v_cmp_ne_u32_e64 s[0:1], 1, v34
	s_andn2_b64 vcc, exec, s[42:43]
	s_cbranch_vccnz .LBB230_10
; %bb.9:                                ;   in Loop: Header=BB230_6 Depth=1
	s_add_i32 s28, s55, 64
	s_mul_hi_i32 s29, s28, s18
	s_mul_i32 s28, s28, s18
	s_add_u32 s28, s28, s53
	s_addc_u32 s29, s29, s57
	s_lshl_b64 s[28:29], s[28:29], 8
	s_add_u32 s28, s4, s28
	s_addc_u32 s29, s5, s29
.LBB230_10:                             ;   in Loop: Header=BB230_6 Depth=1
	v_perm_b32 v35, v33, v32, s3
	v_perm_b32 v34, v31, v30, s3
	v_perm_b32 v37, v29, v28, s3
	v_perm_b32 v36, v27, v26, s3
	ds_write_b64 v86, v[34:35]
	ds_write_b64 v87, v[36:37]
	ds_write_b64 v92, v[34:35]
	ds_write_b64 v93, v[36:37]
	v_perm_b32 v35, v25, v24, s3
	v_perm_b32 v34, v23, v22, s3
	v_perm_b32 v37, v21, v20, s3
	v_perm_b32 v36, v19, v18, s3
	ds_write_b64 v88, v[34:35]
	ds_write_b64 v89, v[36:37]
	ds_write_b64 v94, v[34:35]
	ds_write_b64 v95, v[36:37]
	;; [unrolled: 8-line block ×4, first 2 shown]
	s_waitcnt lgkmcnt(0)
	s_barrier
	ds_read_b64 v[38:39], v102 offset:49152
	ds_read2_b64 v[34:37], v103 offset1:16
	ds_read_b64 v[50:51], v105 offset:6144
	ds_read_b64 v[52:53], v103 offset:6144
	s_waitcnt lgkmcnt(2)
	v_mfma_f32_16x16x16_bf16 a[0:3], v[38:39], v[34:35], 0
	ds_read_b64 v[54:55], v104 offset:49152
	ds_read2st64_b64 v[42:45], v106 offset0:4 offset1:8
	ds_read2st64_b64 v[46:49], v107 offset0:4 offset1:8
	v_mfma_f32_16x16x16_bf16 a[4:7], v[38:39], v[36:37], 0
	ds_read2_b64 v[34:37], v103 offset0:32 offset1:48
	s_add_i32 s31, s55, 63
	s_ashr_i32 s42, s31, 31
	s_waitcnt lgkmcnt(0)
	v_mfma_f32_16x16x16_bf16 a[8:11], v[38:39], v[34:35], 0
	s_mul_i32 s43, s31, s15
	s_mul_hi_u32 s64, s31, s14
	s_add_i32 s43, s64, s43
	v_mfma_f32_16x16x16_bf16 a[12:15], v[38:39], v[36:37], 0
	ds_read2st64_b64 v[34:37], v103 offset0:4 offset1:8
	ds_read2st64_b64 v[38:41], v105 offset0:4 offset1:8
	s_mul_i32 s42, s42, s14
	s_waitcnt lgkmcnt(1)
	v_mfma_f32_16x16x16_bf16 a[0:3], v[54:55], v[34:35], a[0:3]
	s_add_i32 s43, s43, s42
	s_mul_i32 s42, s31, s14
	s_lshl_b64 s[42:43], s[42:43], 2
	s_waitcnt lgkmcnt(0)
	v_mfma_f32_16x16x16_bf16 a[4:7], v[54:55], v[38:39], a[4:7]
	s_add_u32 s42, s40, s42
	s_addc_u32 s43, s41, s43
	s_and_b64 vcc, exec, s[0:1]
	v_mfma_f32_16x16x16_bf16 a[8:11], v[54:55], v[42:43], a[8:11]
	ds_read_b64 v[34:35], v108 offset:49152
	ds_read_b64 v[38:39], v109 offset:49152
	;; [unrolled: 1-line block ×3, first 2 shown]
	v_mov_b32_e32 v134, 0
	v_mov_b32_e32 v133, 0
	v_mfma_f32_16x16x16_bf16 a[12:15], v[54:55], v[46:47], a[12:15]
	v_mov_b32_e32 v132, 0
	v_mov_b32_e32 v46, 0
	;; [unrolled: 1-line block ×3, first 2 shown]
	s_waitcnt lgkmcnt(2)
	v_mfma_f32_16x16x16_bf16 a[0:3], v[34:35], v[36:37], a[0:3]
	v_mov_b32_e32 v36, 0
	v_mov_b32_e32 v37, 0
	v_mfma_f32_16x16x16_bf16 a[16:19], v[34:35], v[40:41], a[4:7]
	v_mov_b32_e32 v40, 0
	v_mov_b32_e32 v41, 0
	;; [unrolled: 3-line block ×3, first 2 shown]
	v_mfma_f32_16x16x16_bf16 a[24:27], v[34:35], v[48:49], a[12:15]
	ds_read_b64 v[34:35], v106 offset:6144
	v_mov_b32_e32 v48, 0
	v_mov_b32_e32 v49, 0
	s_waitcnt lgkmcnt(2)
	v_mfma_f32_16x16x16_bf16 a[4:7], v[38:39], v[52:53], a[0:3]
	v_mfma_f32_16x16x16_bf16 a[8:11], v[38:39], v[50:51], a[16:19]
	s_waitcnt lgkmcnt(0)
	v_mfma_f32_16x16x16_bf16 a[12:15], v[38:39], v[34:35], a[20:23]
	v_mov_b32_e32 v34, 0
	v_mov_b32_e32 v35, 0
	v_mfma_f32_16x16x16_bf16 a[0:3], v[38:39], v[42:43], a[24:27]
	v_mov_b32_e32 v38, 0
	v_mov_b32_e32 v39, 0
	;; [unrolled: 1-line block ×4, first 2 shown]
	s_cbranch_vccnz .LBB230_12
; %bb.11:                               ;   in Loop: Header=BB230_6 Depth=1
	s_and_b32 s25, s25, 0xffff
	buffer_load_dwordx4 v[46:49], v82, s[24:27], 0 offen
	buffer_load_dwordx4 v[42:45], v82, s[24:27], s58 offen
	;; [unrolled: 1-line block ×4, first 2 shown]
	v_mov_b32_e32 v133, v84
	v_mov_b32_e32 v132, v85
.LBB230_12:                             ;   in Loop: Header=BB230_6 Depth=1
	ds_read_b64 v[136:137], v102 offset:57344
	ds_read2_b64 v[50:53], v110 offset1:16
	ds_read_b64 v[138:139], v104 offset:57344
	ds_read_b64 v[140:141], v108 offset:57344
	;; [unrolled: 1-line block ×3, first 2 shown]
	v_add_u32_e32 v135, s55, v126
	s_waitcnt lgkmcnt(3)
	v_mfma_f32_16x16x16_bf16 a[4:7], v[136:137], v[50:51], a[4:7]
	v_mfma_f32_16x16x16_bf16 a[8:11], v[136:137], v[52:53], a[8:11]
	ds_read2_b64 v[50:53], v110 offset0:32 offset1:48
	ds_read2st64_b64 v[54:57], v110 offset0:4 offset1:8
	ds_read2st64_b64 v[58:61], v111 offset0:4 offset1:8
	;; [unrolled: 1-line block ×3, first 2 shown]
	s_waitcnt lgkmcnt(3)
	v_mfma_f32_16x16x16_bf16 a[12:15], v[136:137], v[50:51], a[12:15]
	v_ashrrev_i32_e32 v50, 31, v135
	v_mfma_f32_16x16x16_bf16 a[0:3], v[136:137], v[52:53], a[0:3]
	v_mul_lo_u32 v52, v50, s14
	v_mul_lo_u32 v53, v135, s15
	v_mad_u64_u32 v[50:51], s[24:25], v135, s14, 0
	v_add3_u32 v51, v51, v53, v52
	v_add_u32_e32 v52, 1, v135
	v_ashrrev_i32_e32 v53, 31, v52
	s_waitcnt lgkmcnt(2)
	v_mfma_f32_16x16x16_bf16 a[4:7], v[138:139], v[54:55], a[4:7]
	v_mul_lo_u32 v54, v53, s14
	v_mul_lo_u32 v55, v52, s15
	v_mad_u64_u32 v[52:53], s[24:25], v52, s14, 0
	v_add3_u32 v53, v53, v55, v54
	v_add_u32_e32 v54, 2, v135
	v_ashrrev_i32_e32 v55, 31, v54
	s_waitcnt lgkmcnt(1)
	v_mfma_f32_16x16x16_bf16 a[8:11], v[138:139], v[58:59], a[8:11]
	v_mul_lo_u32 v58, v55, s14
	v_mul_lo_u32 v59, v54, s15
	v_mad_u64_u32 v[54:55], s[24:25], v54, s14, 0
	v_add3_u32 v55, v55, v59, v58
	v_add_u32_e32 v58, 3, v135
	v_ashrrev_i32_e32 v59, 31, v58
	v_mul_lo_u32 v135, v59, s14
	v_mul_lo_u32 v136, v58, s15
	v_mad_u64_u32 v[58:59], s[24:25], v58, s14, 0
	s_ashr_i32 s25, s55, 31
	s_add_u32 s24, s52, s55
	v_lshl_add_u64 v[50:51], v[50:51], 2, s[40:41]
	v_add3_u32 v59, v59, v136, v135
	s_addc_u32 s25, s51, s25
	v_lshl_add_u64 v[52:53], v[52:53], 2, s[40:41]
	global_load_dword v137, v[50:51], off
	v_lshl_add_u64 v[50:51], v[58:59], 2, s[40:41]
	s_lshl_b64 s[24:25], s[24:25], 8
	v_lshl_add_u64 v[54:55], v[54:55], 2, s[40:41]
	global_load_dword v135, v[52:53], off
	global_load_dword v136, v[54:55], off
	;; [unrolled: 1-line block ×3, first 2 shown]
	v_lshl_add_u64 v[50:51], v[68:69], 0, s[24:25]
	v_lshl_add_u64 v[54:55], v[50:51], 0, v[66:67]
	global_load_ushort v145, v[54:55], off offset:256
	global_load_ushort v146, v[54:55], off
	ds_read2st64_b64 v[50:53], v113 offset0:4 offset1:8
	global_load_ushort v147, v[54:55], off offset:768
	global_load_ushort v148, v[54:55], off offset:512
	s_waitcnt lgkmcnt(1)
	v_mfma_f32_16x16x16_bf16 a[12:15], v[138:139], v[62:63], a[12:15]
	s_and_b64 vcc, exec, s[0:1]
	s_waitcnt vmcnt(3)
	v_lshlrev_b32_e32 v63, 16, v145
	s_waitcnt lgkmcnt(0)
	v_mfma_f32_16x16x16_bf16 a[0:3], v[138:139], v[50:51], a[0:3]
	global_load_ushort v138, v[54:55], off offset:288
	global_load_ushort v139, v[54:55], off offset:32
	;; [unrolled: 1-line block ×8, first 2 shown]
	v_mfma_f32_16x16x16_bf16 a[4:7], v[140:141], v[56:57], a[4:7]
	ds_read_b64 v[50:51], v110 offset:6144
	s_waitcnt vmcnt(10)
	v_lshlrev_b32_e32 v62, 16, v146
	v_mfma_f32_16x16x16_bf16 a[8:11], v[140:141], v[60:61], a[8:11]
	v_mfma_f32_16x16x16_bf16 a[12:15], v[140:141], v[64:65], a[12:15]
	;; [unrolled: 1-line block ×3, first 2 shown]
	global_load_ushort v140, v[54:55], off offset:352
	global_load_ushort v141, v[54:55], off offset:96
	ds_read_b64 v[52:53], v111 offset:6144
	ds_read_b64 v[56:57], v112 offset:6144
	;; [unrolled: 1-line block ×3, first 2 shown]
	global_load_ushort v155, v[54:55], off offset:864
	global_load_ushort v156, v[54:55], off offset:608
	s_load_dword s24, s[42:43], 0x0
	s_waitcnt lgkmcnt(0)
	v_mfma_f32_16x16x16_bf16 a[4:7], v[142:143], v[50:51], a[4:7]
	v_sub_f32_e32 v60, s24, v136
	v_mfma_f32_16x16x16_bf16 a[0:3], v[142:143], v[58:59], a[0:3]
	v_sub_f32_e32 v58, s24, v137
	v_sub_f32_e32 v59, s24, v135
	;; [unrolled: 1-line block ×3, first 2 shown]
	v_mul_f32_e32 v58, 0x3fb8aa3b, v58
	v_mul_f32_e32 v59, 0x3fb8aa3b, v59
	;; [unrolled: 1-line block ×4, first 2 shown]
	v_mfma_f32_16x16x16_bf16 a[8:11], v[142:143], v[52:53], a[8:11]
	v_exp_f32_e32 v58, v58
	v_exp_f32_e32 v59, v59
	;; [unrolled: 1-line block ×4, first 2 shown]
	v_accvgpr_read_b32 v65, a5
	v_accvgpr_read_b32 v64, a4
	;; [unrolled: 1-line block ×4, first 2 shown]
	v_pk_add_f32 v[62:63], v[62:63], v[64:65] neg_lo:[0,1] neg_hi:[0,1]
	s_waitcnt vmcnt(13)
	v_lshlrev_b32_e32 v65, 16, v147
	s_waitcnt vmcnt(12)
	v_lshlrev_b32_e32 v64, 16, v148
	v_pk_add_f32 v[50:51], v[64:65], v[50:51] neg_lo:[0,1] neg_hi:[0,1]
	v_pk_mul_f32 v[62:63], v[58:59], v[62:63]
	v_pk_mul_f32 v[50:51], v[60:61], v[50:51]
	v_accvgpr_read_b32 v65, a9
	v_perm_b32 v51, v51, v50, s3
	v_perm_b32 v50, v63, v62, s3
	v_accvgpr_read_b32 v64, a8
	v_accvgpr_read_b32 v53, a11
	v_mfma_f32_16x16x16_bf16 a[12:15], v[142:143], v[56:57], a[12:15]
	v_accvgpr_read_b32 v52, a10
	v_accvgpr_read_b32 v57, a3
	v_accvgpr_read_b32 v56, a2
	v_mov_b32_e32 v135, 0
	s_waitcnt vmcnt(11)
	v_lshlrev_b32_e32 v63, 16, v138
	s_waitcnt vmcnt(10)
	v_lshlrev_b32_e32 v62, 16, v139
	v_pk_add_f32 v[62:63], v[62:63], v[64:65] neg_lo:[0,1] neg_hi:[0,1]
	s_waitcnt vmcnt(9)
	v_lshlrev_b32_e32 v65, 16, v149
	s_waitcnt vmcnt(8)
	v_lshlrev_b32_e32 v64, 16, v150
	v_pk_add_f32 v[52:53], v[64:65], v[52:53] neg_lo:[0,1] neg_hi:[0,1]
	v_pk_mul_f32 v[62:63], v[58:59], v[62:63]
	v_pk_mul_f32 v[52:53], v[60:61], v[52:53]
	v_accvgpr_read_b32 v55, a15
	v_perm_b32 v53, v53, v52, s3
	v_perm_b32 v52, v63, v62, s3
	ds_write2_b64 v87, v[50:51], v[52:53] offset1:16
	v_accvgpr_read_b32 v53, a13
	s_waitcnt vmcnt(7)
	v_lshlrev_b32_e32 v51, 16, v151
	s_waitcnt vmcnt(6)
	v_lshlrev_b32_e32 v50, 16, v152
	v_accvgpr_read_b32 v52, a12
	v_accvgpr_read_b32 v54, a14
	v_pk_add_f32 v[50:51], v[50:51], v[52:53] neg_lo:[0,1] neg_hi:[0,1]
	s_waitcnt vmcnt(5)
	v_lshlrev_b32_e32 v53, 16, v153
	s_waitcnt vmcnt(4)
	v_lshlrev_b32_e32 v52, 16, v154
	v_pk_add_f32 v[52:53], v[52:53], v[54:55] neg_lo:[0,1] neg_hi:[0,1]
	v_pk_mul_f32 v[50:51], v[58:59], v[50:51]
	v_pk_mul_f32 v[52:53], v[60:61], v[52:53]
	v_accvgpr_read_b32 v55, a1
	v_perm_b32 v53, v53, v52, s3
	v_perm_b32 v52, v51, v50, s3
	s_waitcnt vmcnt(3)
	v_lshlrev_b32_e32 v51, 16, v140
	s_waitcnt vmcnt(2)
	v_lshlrev_b32_e32 v50, 16, v141
	v_accvgpr_read_b32 v54, a0
	v_pk_add_f32 v[50:51], v[50:51], v[54:55] neg_lo:[0,1] neg_hi:[0,1]
	s_waitcnt vmcnt(1)
	v_lshlrev_b32_e32 v55, 16, v155
	s_waitcnt vmcnt(0)
	v_lshlrev_b32_e32 v54, 16, v156
	v_pk_add_f32 v[54:55], v[54:55], v[56:57] neg_lo:[0,1] neg_hi:[0,1]
	v_pk_mul_f32 v[50:51], v[58:59], v[50:51]
	v_pk_mul_f32 v[54:55], v[60:61], v[54:55]
	v_mov_b32_e32 v56, 0
	v_perm_b32 v55, v55, v54, s3
	v_perm_b32 v54, v51, v50, s3
	ds_write2_b64 v87, v[52:53], v[54:55] offset0:32 offset1:48
	v_mov_b32_e32 v50, 0
	v_mov_b32_e32 v51, 0
	;; [unrolled: 1-line block ×15, first 2 shown]
	s_cbranch_vccnz .LBB230_14
; %bb.13:                               ;   in Loop: Header=BB230_6 Depth=1
	s_and_b32 s29, s29, 0xffff
	s_mov_b32 s31, s27
	buffer_load_dwordx4 v[62:65], v124, s[28:31], 0 offen
	buffer_load_dwordx4 v[54:57], v124, s[28:31], s58 offen
	;; [unrolled: 1-line block ×4, first 2 shown]
	v_mov_b32_e32 v134, v81
	v_mov_b32_e32 v135, v80
.LBB230_14:                             ;   in Loop: Header=BB230_6 Depth=1
	s_waitcnt lgkmcnt(0)
	s_barrier
	ds_read_b64 v[144:145], v127
	ds_read2_b64 v[136:139], v117 offset1:16
	ds_read_b64 v[160:161], v128
	ds_read_b64 v[162:163], v129
	;; [unrolled: 1-line block ×3, first 2 shown]
	ds_read2_b64 v[140:143], v117 offset0:32 offset1:48
	s_waitcnt lgkmcnt(4)
	v_mfma_f32_16x16x16_bf16 a[0:3], v[144:145], v[136:137], 0
	ds_read2st64_b64 v[148:151], v119 offset0:4 offset1:8
	ds_read2st64_b64 v[152:155], v120 offset0:4 offset1:8
	;; [unrolled: 1-line block ×3, first 2 shown]
	v_mfma_f32_16x16x16_bf16 a[4:7], v[144:145], v[138:139], 0
	s_add_i32 s25, s50, s61
	s_mul_hi_i32 s29, s25, s45
	s_mul_i32 s25, s25, s45
	s_waitcnt lgkmcnt(3)
	v_mfma_f32_16x16x16_bf16 a[8:11], v[144:145], v[140:141], 0
	s_add_u32 s28, s25, s44
	s_addc_u32 s29, s29, s56
	s_lshl_b64 s[28:29], s[28:29], 15
	v_mfma_f32_16x16x16_bf16 a[12:15], v[144:145], v[142:143], 0
	ds_read2st64_b64 v[144:147], v117 offset0:4 offset1:8
	s_waitcnt lgkmcnt(0)
	v_mfma_f32_16x16x16_bf16 a[0:3], v[160:161], v[144:145], a[0:3]
	v_mfma_f32_16x16x16_bf16 a[4:7], v[160:161], v[148:149], a[4:7]
	;; [unrolled: 1-line block ×8, first 2 shown]
	ds_read_b64 v[160:161], v117 offset:6144
	ds_read_b64 v[162:163], v118 offset:40960
	;; [unrolled: 1-line block ×8, first 2 shown]
	s_waitcnt lgkmcnt(5)
	v_mfma_f32_16x16x16_bf16 a[16:19], v[166:167], v[136:137], 0
	v_mfma_f32_16x16x16_bf16 a[20:23], v[166:167], v[138:139], 0
	ds_read2st64_b64 v[136:139], v114 offset1:8
	v_mfma_f32_16x16x16_bf16 a[24:27], v[166:167], v[140:141], 0
	v_mfma_f32_16x16x16_bf16 a[28:31], v[166:167], v[142:143], 0
	ds_read2st64_b64 v[140:143], v115 offset1:8
	v_mfma_f32_16x16x16_bf16 a[16:19], v[162:163], v[144:145], a[16:19]
	s_waitcnt lgkmcnt(1)
	v_mov_b32_e32 v144, v136
	v_mov_b32_e32 v145, v137
	v_mfma_f32_16x16x16_bf16 a[20:23], v[162:163], v[148:149], a[20:23]
	v_lshl_add_u64 v[148:149], v[70:71], 0, s[28:29]
	v_mfma_f32_16x16x16_bf16 a[24:27], v[162:163], v[152:153], a[24:27]
	v_mfma_f32_16x16x16_bf16 a[28:31], v[162:163], v[156:157], a[28:31]
	;; [unrolled: 1-line block ×3, first 2 shown]
	s_waitcnt lgkmcnt(0)
	v_mov_b32_e32 v146, v140
	v_mov_b32_e32 v147, v141
	;; [unrolled: 1-line block ×3, first 2 shown]
	v_mfma_f32_16x16x16_bf16 a[32:35], v[174:175], v[150:151], a[20:23]
	v_mov_b32_e32 v141, v139
	ds_read2st64_b64 v[136:139], v114 offset0:16 offset1:24
	global_store_dwordx4 v[148:149], v[144:147], off
	v_mfma_f32_16x16x16_bf16 a[24:27], v[174:175], v[154:155], a[24:27]
	ds_read2st64_b64 v[144:147], v115 offset0:16 offset1:24
	v_add_co_u32_e32 v150, vcc, s21, v148
	v_mfma_f32_16x16x16_bf16 a[28:31], v[174:175], v[158:159], a[28:31]
	s_nop 0
	v_addc_co_u32_e32 v151, vcc, 0, v149, vcc
	global_store_dwordx4 v[150:151], v[140:143], off offset:-4096
	v_mfma_f32_16x16x16_bf16 a[0:3], v[164:165], v[160:161], a[0:3]
	s_waitcnt lgkmcnt(1)
	v_mov_b32_e32 v140, v136
	v_add_co_u32_e32 v136, vcc, s62, v148
	v_mfma_f32_16x16x16_bf16 a[4:7], v[164:165], v[168:169], a[4:7]
	v_mov_b32_e32 v141, v137
	v_addc_co_u32_e32 v137, vcc, 0, v149, vcc
	v_mfma_f32_16x16x16_bf16 a[8:11], v[164:165], v[170:171], a[8:11]
	s_waitcnt lgkmcnt(0)
	v_mov_b32_e32 v142, v144
	v_mov_b32_e32 v143, v145
	;; [unrolled: 1-line block ×3, first 2 shown]
	v_mfma_f32_16x16x16_bf16 a[12:15], v[164:165], v[172:173], a[12:15]
	v_mov_b32_e32 v145, v139
	s_and_b64 vcc, exec, s[0:1]
	global_store_dwordx4 v[150:151], v[140:143], off
	v_mfma_f32_16x16x16_bf16 a[20:23], v[176:177], v[160:161], a[16:19]
	global_store_dwordx4 v[136:137], v[144:147], off
	v_mfma_f32_16x16x16_bf16 a[16:19], v[176:177], v[168:169], a[32:35]
	v_mfma_f32_16x16x16_bf16 a[24:27], v[176:177], v[170:171], a[24:27]
	;; [unrolled: 1-line block ×3, first 2 shown]
	s_cbranch_vccnz .LBB230_16
; %bb.15:                               ;   in Loop: Header=BB230_6 Depth=1
	v_lshrrev_b32_e32 v136, 3, v134
	v_and_b32_e32 v136, 6, v136
	v_xor_b32_e32 v135, v136, v135
	v_lshlrev_b32_e32 v135, 2, v135
	v_and_b32_e32 v134, 8, v134
	v_xor_b32_e32 v137, 0x440, v135
	v_cmp_eq_u32_e32 vcc, 0, v134
	s_barrier
	s_nop 0
	v_cndmask_b32_e32 v134, v137, v135, vcc
	v_lshl_or_b32 v134, v136, 10, v134
	s_waitcnt vmcnt(5)
	v_perm_b32 v135, v62, v58, s59
	s_waitcnt vmcnt(4)
	v_perm_b32 v136, v54, v50, s59
	ds_write2st64_b32 v134, v135, v136 offset0:128 offset1:160
	v_xor_b32_e32 v135, 8, v134
	v_perm_b32 v58, v62, v58, s60
	v_perm_b32 v50, v54, v50, s60
	v_add_u32_e32 v54, 0x80, v135
	ds_write2st64_b32 v54, v58, v50 offset0:128 offset1:160
	v_xor_b32_e32 v50, 16, v134
	v_perm_b32 v54, v63, v59, s59
	v_perm_b32 v58, v55, v51, s59
	ds_write2st64_b32 v50, v54, v58 offset0:129 offset1:161
	v_xor_b32_e32 v50, 24, v134
	v_perm_b32 v54, v63, v59, s60
	v_perm_b32 v51, v55, v51, s60
	v_add_u32_e32 v50, 0x80, v50
	ds_write2st64_b32 v50, v54, v51 offset0:129 offset1:161
	v_xor_b32_e32 v50, 32, v134
	v_perm_b32 v51, v64, v60, s59
	;; [unrolled: 9-line block ×3, first 2 shown]
	v_perm_b32 v52, v57, v53, s59
	ds_write2st64_b32 v50, v51, v52 offset0:131 offset1:163
	v_xor_b32_e32 v50, 56, v134
	v_perm_b32 v51, v65, v61, s60
	v_perm_b32 v52, v57, v53, s60
	v_add_u32_e32 v50, 0x80, v50
	ds_write2st64_b32 v50, v51, v52 offset0:131 offset1:163
	ds_write_b64 v133, v[46:47] offset:49152
	v_xor_b32_e32 v46, 8, v133
	ds_write_b64 v46, v[48:49] offset:49152
	ds_write_b64 v133, v[42:43] offset:57344
	;; [unrolled: 1-line block ×4, first 2 shown]
	v_xor_b32_e32 v38, 8, v132
	ds_write_b64 v38, v[40:41] offset:49152
	ds_write_b64 v132, v[34:35] offset:57344
	;; [unrolled: 1-line block ×3, first 2 shown]
.LBB230_16:                             ;   in Loop: Header=BB230_6 Depth=1
	s_waitcnt vmcnt(6)
	v_mul_f32_e32 v54, s24, v131
	v_exp_f32_e32 v132, v54
	v_accvgpr_read_b32 v37, a3
	v_accvgpr_read_b32 v41, a7
	;; [unrolled: 1-line block ×4, first 2 shown]
	s_waitcnt vmcnt(4)
	v_accvgpr_read_b32 v53, a23
	v_accvgpr_read_b32 v57, a19
	;; [unrolled: 1-line block ×28, first 2 shown]
	s_add_i32 s55, s55, 64
	v_pk_fma_f32 v[30:31], v[132:133], v[30:31], v[34:35] op_sel_hi:[0,1,1]
	v_pk_fma_f32 v[32:33], v[132:133], v[32:33], v[36:37] op_sel_hi:[0,1,1]
	v_pk_fma_f32 v[22:23], v[132:133], v[22:23], v[38:39] op_sel_hi:[0,1,1]
	v_pk_fma_f32 v[24:25], v[132:133], v[24:25], v[40:41] op_sel_hi:[0,1,1]
	v_pk_fma_f32 v[14:15], v[132:133], v[14:15], v[42:43] op_sel_hi:[0,1,1]
	v_pk_fma_f32 v[16:17], v[132:133], v[16:17], v[44:45] op_sel_hi:[0,1,1]
	v_pk_fma_f32 v[2:3], v[132:133], v[2:3], v[46:47] op_sel_hi:[0,1,1]
	v_pk_fma_f32 v[4:5], v[132:133], v[4:5], v[48:49] op_sel_hi:[0,1,1]
	v_pk_fma_f32 v[26:27], v[132:133], v[26:27], v[50:51] op_sel_hi:[0,1,1]
	v_pk_fma_f32 v[28:29], v[132:133], v[28:29], v[52:53] op_sel_hi:[0,1,1]
	v_pk_fma_f32 v[18:19], v[132:133], v[18:19], v[54:55] op_sel_hi:[0,1,1]
	v_pk_fma_f32 v[20:21], v[132:133], v[20:21], v[56:57] op_sel_hi:[0,1,1]
	v_pk_fma_f32 v[10:11], v[132:133], v[10:11], v[58:59] op_sel_hi:[0,1,1]
	v_pk_fma_f32 v[12:13], v[132:133], v[12:13], v[60:61] op_sel_hi:[0,1,1]
	v_pk_fma_f32 v[6:7], v[132:133], v[6:7], v[62:63] op_sel_hi:[0,1,1]
	s_cmp_eq_u32 s49, s63
	v_pk_fma_f32 v[8:9], v[132:133], v[8:9], v[64:65] op_sel_hi:[0,1,1]
	s_cbranch_scc1 .LBB230_18
; %bb.17:                               ;   in Loop: Header=BB230_6 Depth=1
	s_mov_b32 s61, s63
	s_branch .LBB230_6
.LBB230_18:
	s_lshl_b32 s3, s49, 6
	s_sub_i32 s54, s54, s3
	s_cmp_gt_i32 s54, 0
	v_or_b32_e32 v50, s2, v76
	s_cbranch_scc1 .LBB230_20
; %bb.19:
	s_ashr_i32 s29, s44, 31
	v_or_b32_e32 v34, s2, v76
	s_cbranch_execz .LBB230_21
	s_branch .LBB230_101
.LBB230_20:
                                        ; implicit-def: $vgpr34
                                        ; implicit-def: $sgpr28_sgpr29
.LBB230_21:
	s_add_i32 s28, s3, s36
	s_ashr_i32 s3, s28, 31
	s_cmpk_lg_i32 s19, 0x80
	s_cselect_b64 s[40:41], -1, 0
	s_and_b64 vcc, exec, s[40:41]
	s_cbranch_vccz .LBB230_23
; %bb.22:
	s_mul_hi_i32 s0, s28, s18
	s_mul_i32 s1, s28, s18
	s_ashr_i32 s18, s53, 31
	s_add_u32 s42, s1, s53
	s_addc_u32 s43, s0, s18
	s_cbranch_execz .LBB230_24
	s_branch .LBB230_25
.LBB230_23:
                                        ; implicit-def: $sgpr42_sgpr43
.LBB230_24:
	s_mul_i32 s1, s53, s16
	s_mul_hi_i32 s0, s53, s16
	s_add_u32 s42, s1, s28
	s_addc_u32 s43, s0, s3
.LBB230_25:
	s_add_i32 s16, s49, s50
	s_ashr_i32 s29, s44, 31
	s_add_u32 s0, s52, s28
	v_lshlrev_b32_e32 v38, 6, v1
	v_lshlrev_b32_e32 v58, 2, v76
	s_addc_u32 s1, s51, s3
	s_mov_b32 s3, 0x7060302
	v_or_b32_e32 v41, v38, v58
	v_xor_b32_e32 v39, v1, v58
	v_perm_b32 v35, v33, v32, s3
	v_perm_b32 v34, v31, v30, s3
	v_perm_b32 v37, v29, v28, s3
	v_perm_b32 v36, v27, v26, s3
	v_lshlrev_b32_e32 v41, 1, v41
	v_xor_b32_e32 v40, v79, v58
	ds_write2st64_b64 v41, v[34:35], v[36:37] offset0:32 offset1:48
	v_lshlrev_b32_e32 v39, 1, v39
	v_lshlrev_b32_e32 v41, 8, v76
	v_or_b32_e32 v42, v39, v41
	v_lshlrev_b32_e32 v40, 1, v40
	ds_write_b64 v42, v[34:35]
	v_or_b32_e32 v34, v40, v41
	v_or_b32_e32 v41, 16, v76
	v_lshlrev_b32_e32 v57, 2, v41
	v_or_b32_e32 v42, v38, v57
	ds_write_b64 v34, v[36:37]
	v_perm_b32 v35, v25, v24, s3
	v_perm_b32 v34, v23, v22, s3
	;; [unrolled: 1-line block ×4, first 2 shown]
	v_lshlrev_b32_e32 v42, 1, v42
	v_lshlrev_b32_e32 v41, 8, v41
	ds_write2st64_b64 v42, v[34:35], v[36:37] offset0:32 offset1:48
	v_or_b32_e32 v42, v39, v41
	ds_write_b64 v42, v[34:35]
	v_or_b32_e32 v34, v40, v41
	v_or_b32_e32 v41, 32, v76
	v_lshlrev_b32_e32 v56, 2, v41
	v_or_b32_e32 v42, v38, v56
	ds_write_b64 v34, v[36:37]
	v_perm_b32 v35, v17, v16, s3
	v_perm_b32 v34, v15, v14, s3
	;; [unrolled: 1-line block ×4, first 2 shown]
	v_lshlrev_b32_e32 v42, 1, v42
	v_lshlrev_b32_e32 v41, 8, v41
	s_lshl_b64 s[30:31], s[0:1], 8
	ds_write2st64_b64 v42, v[34:35], v[36:37] offset0:32 offset1:48
	v_or_b32_e32 v42, v39, v41
	s_add_u32 s0, s6, s30
	ds_write_b64 v42, v[34:35]
	v_or_b32_e32 v34, v40, v41
	s_addc_u32 s1, s7, s31
	ds_write_b64 v34, v[36:37]
	v_perm_b32 v35, v5, v4, s3
	v_perm_b32 v34, v3, v2, s3
	;; [unrolled: 1-line block ×4, first 2 shown]
	v_or_b32_e32 v41, 48, v76
	s_mul_hi_i32 s3, s16, s17
	s_mul_i32 s16, s16, s17
	v_lshlrev_b32_e32 v53, 2, v41
	s_add_u32 s6, s16, s44
	v_or_b32_e32 v38, v38, v53
	s_addc_u32 s7, s3, s29
	v_lshlrev_b32_e32 v38, 1, v38
	s_ashr_i32 s3, s2, 31
	s_lshl_b64 s[6:7], s[6:7], 15
	ds_write2st64_b64 v38, v[34:35], v[36:37] offset0:32 offset1:48
	v_lshlrev_b32_e32 v38, 8, v41
	s_add_u32 s6, s38, s6
	v_or_b32_e32 v39, v39, v38
	s_addc_u32 s7, s39, s7
	s_lshl_b64 s[2:3], s[2:3], 8
	ds_write_b64 v39, v[34:35]
	v_or_b32_e32 v34, v40, v38
	s_add_u32 s2, s6, s2
	v_lshlrev_b32_e32 v35, 1, v76
	ds_write_b64 v34, v[36:37]
	v_lshrrev_b32_e32 v34, 4, v0
	s_addc_u32 s3, s7, s3
	v_or_b32_e32 v36, 1, v35
	v_lshlrev_b32_e32 v42, 4, v76
	v_mov_b32_e32 v43, 0
	v_xor_b32_e32 v35, v34, v35
	v_xor_b32_e32 v38, v36, v34
	v_lshl_add_u64 v[44:45], s[2:3], 0, v[42:43]
	v_lshlrev_b32_e32 v42, 8, v34
	v_lshl_or_b32 v48, v35, 3, v42
	v_lshl_or_b32 v49, v38, 3, v42
	s_waitcnt lgkmcnt(0)
	s_barrier
	ds_read2st64_b64 v[34:37], v48 offset1:8
	ds_read2st64_b64 v[38:41], v49 offset1:8
	v_lshl_add_u64 v[46:47], v[44:45], 0, v[42:43]
	s_movk_i32 s2, 0x2000
	s_cmp_lg_u32 s54, 64
	s_waitcnt lgkmcnt(1)
	v_mov_b32_e32 v42, v34
	v_mov_b32_e32 v43, v35
	s_waitcnt lgkmcnt(0)
	v_mov_b32_e32 v44, v38
	v_mov_b32_e32 v45, v39
	global_store_dwordx4 v[46:47], v[42:45], off
	v_mov_b32_e32 v38, v36
	v_mov_b32_e32 v39, v37
	ds_read2st64_b64 v[34:37], v48 offset0:16 offset1:24
	ds_read2st64_b64 v[42:45], v49 offset0:16 offset1:24
	v_add_co_u32_e32 v48, vcc, s2, v46
	s_cselect_b64 s[6:7], -1, 0
	s_nop 0
	v_addc_co_u32_e32 v49, vcc, 0, v47, vcc
	global_store_dwordx4 v[48:49], v[38:41], off offset:-4096
	v_lshl_or_b32 v51, v72, 3, v78
	s_mov_b32 s24, 0
	s_waitcnt lgkmcnt(1)
	v_mov_b32_e32 v38, v34
	v_add_co_u32_e32 v34, vcc, 0x3000, v46
	v_mov_b32_e32 v39, v35
	s_nop 0
	v_addc_co_u32_e32 v35, vcc, 0, v47, vcc
	s_waitcnt lgkmcnt(0)
	v_mov_b32_e32 v40, v42
	v_mov_b32_e32 v41, v43
	;; [unrolled: 1-line block ×4, first 2 shown]
	v_or_b32_e32 v54, 32, v51
	v_and_b32_e32 v52, 56, v77
	s_and_b64 vcc, exec, s[6:7]
	global_store_dwordx4 v[48:49], v[38:41], off
	global_store_dwordx4 v[34:35], v[42:45], off
	s_cbranch_vccz .LBB230_31
; %bb.26:
	s_mov_b32 s26, s24
	s_mov_b32 s27, s24
	;; [unrolled: 1-line block ×3, first 2 shown]
	v_mov_b64_e32 v[40:41], s[26:27]
	v_mov_b64_e32 v[38:39], s[24:25]
	;; [unrolled: 1-line block ×3, first 2 shown]
	v_cmp_gt_i32_e32 vcc, s54, v51
	v_mov_b64_e32 v[36:37], v[40:41]
	s_and_saveexec_b64 s[2:3], vcc
	s_cbranch_execz .LBB230_28
; %bb.27:
	v_lshlrev_b32_e32 v34, 8, v51
	v_mov_b32_e32 v35, 0
	v_lshl_add_u64 v[36:37], s[0:1], 0, v[34:35]
	v_lshlrev_b32_e32 v34, 1, v52
	v_lshl_add_u64 v[42:43], v[36:37], 0, v[34:35]
	global_load_dwordx4 v[38:41], v[42:43], off
	global_load_dwordx4 v[34:37], v[42:43], off offset:128
.LBB230_28:
	s_or_b64 exec, exec, s[2:3]
	s_mov_b32 s26, s24
	s_mov_b32 s27, s24
	;; [unrolled: 1-line block ×3, first 2 shown]
	v_mov_b64_e32 v[48:49], s[26:27]
	v_mov_b64_e32 v[46:47], s[24:25]
	;; [unrolled: 1-line block ×3, first 2 shown]
	v_cmp_gt_i32_e32 vcc, s54, v54
	v_lshlrev_b32_e32 v55, 7, v54
	v_mov_b64_e32 v[44:45], v[48:49]
	s_and_saveexec_b64 s[2:3], vcc
	s_cbranch_execz .LBB230_30
; %bb.29:
	v_lshlrev_b32_e32 v42, 1, v55
	v_mov_b32_e32 v43, 0
	v_lshl_add_u64 v[44:45], s[0:1], 0, v[42:43]
	v_lshlrev_b32_e32 v42, 1, v52
	v_lshl_add_u64 v[60:61], v[44:45], 0, v[42:43]
	global_load_dwordx4 v[46:49], v[60:61], off
	global_load_dwordx4 v[42:45], v[60:61], off offset:128
.LBB230_30:
	s_or_b64 exec, exec, s[2:3]
	v_lshrrev_b32_e32 v59, 3, v52
	v_lshlrev_b32_e32 v60, 3, v51
	v_or_b32_e32 v59, v60, v59
	v_lshlrev_b32_e32 v59, 4, v59
	v_and_b32_e32 v60, 0x78, v60
	v_xor_b32_e32 v59, v59, v60
	s_branch .LBB230_33
.LBB230_31:
                                        ; implicit-def: $vgpr59
                                        ; implicit-def: $vgpr55
                                        ; implicit-def: $vgpr38_vgpr39_vgpr40_vgpr41
                                        ; implicit-def: $vgpr34_vgpr35_vgpr36_vgpr37
                                        ; implicit-def: $vgpr46_vgpr47_vgpr48_vgpr49
                                        ; implicit-def: $vgpr42_vgpr43_vgpr44_vgpr45
	s_cbranch_execz .LBB230_33
; %bb.32:
	s_waitcnt vmcnt(0)
	v_lshlrev_b32_e32 v34, 1, v52
	v_lshl_or_b32 v55, v51, 8, v34
	s_and_b32 s1, s1, 0xffff
	s_mov_b32 s3, 0x20000
	s_movk_i32 s2, 0x4000
	v_lshl_or_b32 v59, v54, 8, v34
	s_movk_i32 s16, 0x80
	buffer_load_dwordx4 v[38:41], v55, s[0:3], 0 offen
	buffer_load_dwordx4 v[34:37], v55, s[0:3], s16 offen
	;; [unrolled: 1-line block ×4, first 2 shown]
	v_lshrrev_b32_e32 v55, 3, v52
	v_lshlrev_b32_e32 v59, 3, v51
	v_or_b32_e32 v55, v59, v55
	v_lshlrev_b32_e32 v55, 4, v55
	v_and_b32_e32 v59, 0x78, v59
	v_xor_b32_e32 v59, v55, v59
	v_lshlrev_b32_e32 v55, 7, v54
.LBB230_33:
	s_movk_i32 s0, 0x1000
	v_and_or_b32 v54, v55, s0, v59
	s_waitcnt vmcnt(1)
	ds_write_b64 v59, v[38:39] offset:49152
	v_xor_b32_e32 v38, 8, v59
	ds_write_b64 v38, v[40:41] offset:49152
	s_waitcnt vmcnt(0)
	ds_write_b64 v59, v[34:35] offset:57344
	ds_write_b64 v38, v[36:37] offset:57344
	;; [unrolled: 1-line block ×3, first 2 shown]
	v_xor_b32_e32 v34, 8, v54
	ds_write_b64 v34, v[48:49] offset:49152
	ds_write_b64 v54, v[42:43] offset:57344
	;; [unrolled: 1-line block ×3, first 2 shown]
	v_or_b32_e32 v34, v73, v76
	v_lshlrev_b32_e32 v34, 3, v34
	v_lshrrev_b32_e32 v35, 5, v74
	s_movk_i32 s0, 0xf8
	v_and_or_b32 v35, v34, s0, v35
	v_lshlrev_b32_e32 v39, 4, v35
	v_lshlrev_b32_e32 v59, 11, v72
	v_and_b32_e32 v40, 0x78, v34
	v_or_b32_e32 v42, 32, v39
	v_and_b32_e32 v38, 0x1000, v59
	v_lshrrev_b32_e32 v35, 1, v74
	v_xor_b32_e32 v42, v42, v40
	v_xor_b32_e32 v34, v39, v40
	v_and_b32_e32 v41, 8, v35
	v_or_b32_e32 v42, v42, v38
	v_or_b32_e32 v34, v34, v38
	v_xor_b32_e32 v65, v42, v41
	v_or_b32_e32 v42, 64, v39
	v_xor_b32_e32 v64, v34, v41
	v_xor_b32_e32 v42, v42, v40
	s_waitcnt lgkmcnt(0)
	s_barrier
	v_or_b32_e32 v45, v42, v38
	ds_read_b64 v[42:43], v64 offset:49152
	v_lshl_or_b32 v46, v75, 8, v58
	v_lshlrev_b32_e32 v60, 1, v46
	v_add_u32_e32 v44, 0x4000, v60
	ds_read2_b64 v[34:37], v44 offset1:16
	v_or_b32_e32 v39, 0x60, v39
	v_xor_b32_e32 v39, v39, v40
	v_or_b32_e32 v38, v39, v38
	v_xor_b32_e32 v66, v45, v41
	v_xor_b32_e32 v67, v38, v41
	ds_read_b64 v[54:55], v65 offset:49152
	ds_read_b64 v[68:69], v66 offset:49152
	;; [unrolled: 1-line block ×3, first 2 shown]
	s_waitcnt lgkmcnt(3)
	v_mfma_f32_16x16x16_bf16 a[0:3], v[42:43], v[34:35], 0
	ds_read2_b64 v[38:41], v44 offset0:32 offset1:48
	s_lshl_b64 s[0:1], s[42:43], 8
	s_add_u32 s4, s4, s0
	v_mfma_f32_16x16x16_bf16 a[4:7], v[42:43], v[36:37], 0
	ds_read2st64_b64 v[34:37], v60 offset0:36 offset1:40
	s_addc_u32 s5, s5, s1
	s_add_i32 s2, s37, -1
	s_waitcnt lgkmcnt(1)
	v_mfma_f32_16x16x16_bf16 a[8:11], v[42:43], v[38:39], 0
	v_or_b32_e32 v38, 64, v46
	v_lshlrev_b32_e32 v61, 1, v38
	s_add_i32 s0, s47, s46
	s_waitcnt lgkmcnt(0)
	v_mfma_f32_16x16x16_bf16 a[0:3], v[54:55], v[34:35], a[0:3]
	v_or_b32_e32 v34, 0x80, v46
	v_lshlrev_b32_e32 v62, 1, v34
	v_or_b32_e32 v34, 0xc0, v46
	v_mfma_f32_16x16x16_bf16 a[12:15], v[42:43], v[40:41], 0
	ds_read2st64_b64 v[38:41], v61 offset0:36 offset1:40
	v_lshlrev_b32_e32 v63, 1, v34
	ds_read2st64_b64 v[42:45], v62 offset0:36 offset1:40
	ds_read2st64_b64 v[46:49], v63 offset0:36 offset1:40
	s_add_i32 s21, s0, s48
	s_mul_i32 s0, s44, s23
	s_mul_hi_u32 s1, s44, s22
	s_ashr_i32 s3, s2, 31
	s_mul_i32 s16, s2, s15
	s_mul_hi_u32 s17, s2, s14
	s_waitcnt lgkmcnt(2)
	v_mfma_f32_16x16x16_bf16 a[4:7], v[54:55], v[38:39], a[4:7]
	s_add_i32 s0, s1, s0
	s_mul_i32 s1, s29, s22
	s_add_i32 s16, s17, s16
	s_mul_i32 s3, s3, s14
	s_waitcnt lgkmcnt(1)
	v_mfma_f32_16x16x16_bf16 a[8:11], v[54:55], v[42:43], a[8:11]
	s_add_i32 s1, s0, s1
	s_add_i32 s3, s16, s3
	s_lshl_b64 s[16:17], s[20:21], 2
	s_waitcnt lgkmcnt(0)
	v_mfma_f32_16x16x16_bf16 a[12:15], v[54:55], v[46:47], a[12:15]
	s_mul_i32 s0, s44, s22
	s_add_u32 s10, s10, s16
	s_addc_u32 s11, s11, s17
	s_lshl_b64 s[0:1], s[0:1], 2
	v_mfma_f32_16x16x16_bf16 a[0:3], v[68:69], v[36:37], a[0:3]
	s_mul_i32 s2, s2, s14
	ds_read_b64 v[34:35], v60 offset:22528
	s_add_u32 s10, s10, s0
	v_mfma_f32_16x16x16_bf16 a[4:7], v[68:69], v[40:41], a[4:7]
	ds_read_b64 v[36:37], v61 offset:22528
	ds_read_b64 v[38:39], v62 offset:22528
	;; [unrolled: 1-line block ×3, first 2 shown]
	s_addc_u32 s11, s11, s1
	s_lshl_b64 s[0:1], s[2:3], 2
	v_mfma_f32_16x16x16_bf16 a[8:11], v[68:69], v[44:45], a[8:11]
	s_add_u32 s0, s10, s0
	s_addc_u32 s1, s11, s1
	s_load_dword s16, s[0:1], 0x0
	v_mfma_f32_16x16x16_bf16 a[12:15], v[68:69], v[48:49], a[12:15]
	s_and_b64 vcc, exec, s[40:41]
	s_waitcnt lgkmcnt(0)
	v_mfma_f32_16x16x16_bf16 a[0:3], v[70:71], v[34:35], a[0:3]
	v_mfma_f32_16x16x16_bf16 a[4:7], v[70:71], v[36:37], a[4:7]
	;; [unrolled: 1-line block ×4, first 2 shown]
	s_cbranch_vccz .LBB230_44
; %bb.34:
	v_lshlrev_b32_e32 v54, 1, v51
	s_and_b64 vcc, exec, s[6:7]
	s_cbranch_vccz .LBB230_45
; %bb.35:
	v_cmp_gt_i32_e32 vcc, s54, v54
	v_mov_b32_e32 v38, 0
	v_mov_b32_e32 v34, 0
	;; [unrolled: 1-line block ×5, first 2 shown]
	s_and_saveexec_b64 s[0:1], vcc
	s_cbranch_execz .LBB230_37
; %bb.36:
	v_mad_i64_i32 v[34:35], s[2:3], s19, v54, 0
	v_lshl_add_u64 v[34:35], v[34:35], 1, s[4:5]
	v_lshlrev_b32_e32 v36, 1, v52
	v_mov_b32_e32 v37, 0
	v_lshl_add_u64 v[34:35], v[34:35], 0, v[36:37]
	global_load_dwordx4 v[34:37], v[34:35], off
.LBB230_37:
	s_or_b64 exec, exec, s[0:1]
	v_or_b32_e32 v55, 1, v54
	v_cmp_gt_i32_e64 s[0:1], s54, v55
	v_mov_b32_e32 v39, 0
	v_mov_b32_e32 v40, 0
	;; [unrolled: 1-line block ×3, first 2 shown]
	s_and_saveexec_b64 s[2:3], s[0:1]
	s_cbranch_execz .LBB230_39
; %bb.38:
	v_mad_i64_i32 v[38:39], s[20:21], s19, v55, 0
	v_lshl_add_u64 v[38:39], v[38:39], 1, s[4:5]
	v_lshlrev_b32_e32 v40, 1, v52
	v_mov_b32_e32 v41, 0
	v_lshl_add_u64 v[38:39], v[38:39], 0, v[40:41]
	global_load_dwordx4 v[38:41], v[38:39], off
.LBB230_39:
	s_or_b64 exec, exec, s[2:3]
	v_mov_b32_e32 v49, 0
	v_mov_b32_e32 v42, 0
	;; [unrolled: 1-line block ×5, first 2 shown]
	s_and_saveexec_b64 s[2:3], vcc
	s_cbranch_execz .LBB230_41
; %bb.40:
	v_mad_i64_i32 v[42:43], s[20:21], s19, v54, 0
	v_lshl_add_u64 v[42:43], v[42:43], 1, s[4:5]
	v_lshlrev_b32_e32 v44, 1, v52
	v_mov_b32_e32 v45, 0
	v_lshl_add_u64 v[42:43], v[42:43], 0, v[44:45]
	global_load_dwordx4 v[42:45], v[42:43], off offset:128
.LBB230_41:
	s_or_b64 exec, exec, s[2:3]
	v_mov_b32_e32 v48, 0
	v_mov_b32_e32 v47, 0
	v_mov_b32_e32 v46, 0
	s_and_saveexec_b64 s[2:3], s[0:1]
	s_cbranch_execz .LBB230_43
; %bb.42:
	v_mad_i64_i32 v[46:47], s[0:1], s19, v55, 0
	v_lshl_add_u64 v[46:47], v[46:47], 1, s[4:5]
	v_lshlrev_b32_e32 v48, 1, v52
	v_mov_b32_e32 v49, 0
	v_lshl_add_u64 v[46:47], v[46:47], 0, v[48:49]
	global_load_dwordx4 v[46:49], v[46:47], off offset:128
.LBB230_43:
	s_or_b64 exec, exec, s[2:3]
	s_branch .LBB230_47
.LBB230_44:
                                        ; implicit-def: $vgpr37
                                        ; implicit-def: $vgpr41
                                        ; implicit-def: $vgpr45
                                        ; implicit-def: $vgpr49
	v_lshrrev_b32_e32 v68, 2, v74
	s_branch .LBB230_48
.LBB230_45:
                                        ; implicit-def: $vgpr37
                                        ; implicit-def: $vgpr41
                                        ; implicit-def: $vgpr45
                                        ; implicit-def: $vgpr49
	s_cbranch_execz .LBB230_47
; %bb.46:
	s_waitcnt vmcnt(0)
	v_mad_u64_u32 v[34:35], s[0:1], v54, s19, v[52:53]
	v_lshlrev_b32_e32 v54, 1, v34
	s_lshl_b32 s2, s19, 7
	s_and_b32 s1, s5, 0xffff
	s_mov_b32 s3, 0x20000
	s_mov_b32 s0, s4
	v_add_lshl_u32 v55, v34, s19, 1
	s_movk_i32 s17, 0x80
	buffer_load_dwordx4 v[34:37], v54, s[0:3], 0 offen
	buffer_load_dwordx4 v[42:45], v54, s[0:3], s17 offen
	;; [unrolled: 1-line block ×4, first 2 shown]
.LBB230_47:
	v_lshrrev_b32_e32 v68, 2, v74
	s_cbranch_execnz .LBB230_60
.LBB230_48:
	s_and_b64 vcc, exec, s[6:7]
	s_cbranch_vccz .LBB230_58
; %bb.49:
	s_waitcnt vmcnt(0)
	v_lshlrev_b32_e32 v39, 1, v51
	v_cmp_gt_i32_e32 vcc, s54, v39
	v_mov_b32_e32 v38, 0
	v_lshlrev_b32_e32 v46, 9, v51
	v_mov_b32_e32 v34, 0
	v_mov_b32_e32 v35, 0
	;; [unrolled: 1-line block ×4, first 2 shown]
	s_and_saveexec_b64 s[0:1], vcc
	s_cbranch_execz .LBB230_51
; %bb.50:
	v_mov_b32_e32 v47, 0
	v_lshl_add_u64 v[34:35], s[4:5], 0, v[46:47]
	v_lshlrev_b32_e32 v36, 1, v52
	v_mov_b32_e32 v37, v47
	v_lshl_add_u64 v[34:35], v[34:35], 0, v[36:37]
	global_load_dwordx4 v[34:37], v[34:35], off
.LBB230_51:
	s_or_b64 exec, exec, s[0:1]
	v_or_b32_e32 v39, 1, v39
	v_cmp_gt_i32_e64 s[0:1], s54, v39
	v_lshlrev_b32_e32 v54, 8, v39
	v_mov_b32_e32 v39, 0
	v_mov_b32_e32 v40, 0
	;; [unrolled: 1-line block ×3, first 2 shown]
	s_and_saveexec_b64 s[2:3], s[0:1]
	s_cbranch_execz .LBB230_53
; %bb.52:
	v_mov_b32_e32 v55, 0
	v_lshl_add_u64 v[38:39], s[4:5], 0, v[54:55]
	v_lshlrev_b32_e32 v40, 1, v52
	v_mov_b32_e32 v41, v55
	v_lshl_add_u64 v[38:39], v[38:39], 0, v[40:41]
	global_load_dwordx4 v[38:41], v[38:39], off
.LBB230_53:
	s_or_b64 exec, exec, s[2:3]
	v_mov_b32_e32 v49, 0
	v_mov_b32_e32 v42, 0
	;; [unrolled: 1-line block ×5, first 2 shown]
	s_and_saveexec_b64 s[2:3], vcc
	s_cbranch_execz .LBB230_55
; %bb.54:
	v_mov_b32_e32 v47, 0
	v_lshl_add_u64 v[42:43], s[4:5], 0, v[46:47]
	v_lshlrev_b32_e32 v46, 1, v52
	v_lshl_add_u64 v[42:43], v[42:43], 0, v[46:47]
	global_load_dwordx4 v[42:45], v[42:43], off offset:128
.LBB230_55:
	s_or_b64 exec, exec, s[2:3]
	v_mov_b32_e32 v48, 0
	v_mov_b32_e32 v47, 0
	;; [unrolled: 1-line block ×3, first 2 shown]
	s_and_saveexec_b64 s[2:3], s[0:1]
	s_cbranch_execz .LBB230_57
; %bb.56:
	v_mov_b32_e32 v55, 0
	v_lshl_add_u64 v[46:47], s[4:5], 0, v[54:55]
	v_lshlrev_b32_e32 v54, 1, v52
	v_lshl_add_u64 v[46:47], v[46:47], 0, v[54:55]
	global_load_dwordx4 v[46:49], v[46:47], off offset:128
.LBB230_57:
	s_or_b64 exec, exec, s[2:3]
	s_branch .LBB230_60
.LBB230_58:
                                        ; implicit-def: $vgpr37
                                        ; implicit-def: $vgpr41
                                        ; implicit-def: $vgpr45
                                        ; implicit-def: $vgpr49
	s_cbranch_execz .LBB230_60
; %bb.59:
	s_waitcnt vmcnt(0)
	v_lshlrev_b32_e32 v34, 1, v52
	v_lshl_or_b32 v52, v51, 9, v34
	s_and_b32 s5, s5, 0xffff
	s_mov_b32 s7, 0x20000
	s_movk_i32 s6, 0x4000
	s_movk_i32 s0, 0x80
	buffer_load_dwordx4 v[34:37], v52, s[4:7], 0 offen
	buffer_load_dwordx4 v[38:41], v52, s[4:7], 0 offen offset:256
	buffer_load_dwordx4 v[42:45], v52, s[4:7], s0 offen
	buffer_load_dwordx4 v[46:49], v52, s[4:7], s0 offen offset:256
.LBB230_60:
	ds_read_b64 v[54:55], v64 offset:57344
	v_add_u32_e32 v52, 0x6000, v60
	ds_read2_b64 v[74:77], v52 offset1:16
	ds_read_b64 v[70:71], v65 offset:57344
	ds_read_b64 v[86:87], v66 offset:57344
	;; [unrolled: 1-line block ×3, first 2 shown]
	ds_read2_b64 v[64:67], v52 offset0:32 offset1:48
	v_and_b32_e32 v52, 6, v0
	v_xor_b32_e32 v51, v51, v52
	v_lshlrev_b32_e32 v51, 2, v51
	s_mov_b32 s0, 0x1000504
	s_mov_b32 s1, 0x3020706
	s_waitcnt lgkmcnt(4)
	v_mfma_f32_16x16x16_bf16 a[4:7], v[54:55], v[76:77], a[4:7]
	v_mfma_f32_16x16x16_bf16 a[0:3], v[54:55], v[74:75], a[0:3]
	ds_read2st64_b64 v[74:77], v60 offset0:52 offset1:56
	s_waitcnt lgkmcnt(1)
	v_mfma_f32_16x16x16_bf16 a[8:11], v[54:55], v[64:65], a[8:11]
	v_mfma_f32_16x16x16_bf16 a[12:15], v[54:55], v[66:67], a[12:15]
	ds_read2st64_b64 v[64:67], v61 offset0:52 offset1:56
	ds_read2st64_b64 v[78:81], v62 offset0:52 offset1:56
	;; [unrolled: 1-line block ×3, first 2 shown]
	s_waitcnt lgkmcnt(2)
	v_mfma_f32_16x16x16_bf16 a[4:7], v[70:71], v[64:65], a[4:7]
	v_and_b32_e32 v64, 1, v0
	v_xor_b32_e32 v65, 0x440, v51
	v_cmp_eq_u32_e32 vcc, 0, v64
	v_mfma_f32_16x16x16_bf16 a[0:3], v[70:71], v[74:75], a[0:3]
	s_waitcnt vmcnt(0)
	v_perm_b32 v64, v42, v46, s0
	v_cndmask_b32_e32 v51, v65, v51, vcc
	v_lshl_or_b32 v51, v52, 10, v51
	s_waitcnt lgkmcnt(1)
	v_mfma_f32_16x16x16_bf16 a[8:11], v[70:71], v[78:79], a[8:11]
	v_perm_b32 v52, v34, v38, s0
	ds_read_b64 v[54:55], v60 offset:30720
	ds_read_b64 v[74:75], v61 offset:30720
	ds_read_b64 v[90:91], v62 offset:30720
	ds_read_b64 v[92:93], v63 offset:30720
	ds_write2st64_b32 v51, v52, v64 offset0:128 offset1:160
	s_waitcnt lgkmcnt(5)
	v_mfma_f32_16x16x16_bf16 a[12:15], v[70:71], v[82:83], a[12:15]
	v_xor_b32_e32 v52, 8, v51
	v_perm_b32 v34, v34, v38, s1
	v_perm_b32 v38, v42, v46, s1
	v_add_u32_e32 v42, 0x80, v52
	ds_write2st64_b32 v42, v34, v38 offset0:128 offset1:160
	v_xor_b32_e32 v34, 16, v51
	v_perm_b32 v38, v35, v39, s0
	v_perm_b32 v42, v43, v47, s0
	v_mfma_f32_16x16x16_bf16 a[0:3], v[86:87], v[76:77], a[0:3]
	ds_write2st64_b32 v34, v38, v42 offset0:129 offset1:161
	v_xor_b32_e32 v34, 24, v51
	v_perm_b32 v35, v35, v39, s1
	v_mfma_f32_16x16x16_bf16 a[4:7], v[86:87], v[66:67], a[4:7]
	v_perm_b32 v38, v43, v47, s1
	v_add_u32_e32 v34, 0x80, v34
	ds_write2st64_b32 v34, v35, v38 offset0:129 offset1:161
	v_mfma_f32_16x16x16_bf16 a[16:19], v[86:87], v[80:81], a[8:11]
	v_xor_b32_e32 v34, 32, v51
	v_perm_b32 v35, v36, v40, s0
	v_perm_b32 v38, v44, v48, s0
	v_mfma_f32_16x16x16_bf16 a[20:23], v[86:87], v[84:85], a[12:15]
	ds_write2st64_b32 v34, v35, v38 offset0:130 offset1:162
	v_xor_b32_e32 v34, 40, v51
	v_perm_b32 v35, v36, v40, s1
	s_waitcnt lgkmcnt(8)
	v_mfma_f32_16x16x16_bf16 a[12:15], v[88:89], v[54:55], a[0:3]
	v_perm_b32 v36, v44, v48, s1
	v_add_u32_e32 v34, 0x80, v34
	ds_write2st64_b32 v34, v35, v36 offset0:130 offset1:162
	s_waitcnt lgkmcnt(8)
	v_mfma_f32_16x16x16_bf16 a[8:11], v[88:89], v[74:75], a[4:7]
	v_xor_b32_e32 v34, 48, v51
	v_perm_b32 v35, v37, v41, s0
	v_perm_b32 v36, v45, v49, s0
	s_waitcnt lgkmcnt(7)
	v_mfma_f32_16x16x16_bf16 a[4:7], v[88:89], v[90:91], a[16:19]
	ds_write2st64_b32 v34, v35, v36 offset0:131 offset1:163
	v_xor_b32_e32 v34, 56, v51
	v_and_or_b32 v55, v68, 12, v73
	s_waitcnt lgkmcnt(7)
	v_mfma_f32_16x16x16_bf16 a[0:3], v[88:89], v[92:93], a[20:23]
	v_perm_b32 v35, v37, v41, s1
	v_perm_b32 v36, v45, v49, s1
	v_add_u32_e32 v34, 0x80, v34
	v_cmp_gt_i32_e32 vcc, s54, v55
	v_mov_b32_e32 v48, 0
	v_mov_b32_e32 v52, 0
	ds_write2st64_b32 v34, v35, v36 offset0:131 offset1:163
	s_and_saveexec_b64 s[0:1], vcc
	s_cbranch_execz .LBB230_62
; %bb.61:
	v_add_u32_e32 v34, s28, v55
	v_ashrrev_i32_e32 v35, 31, v34
	v_mul_lo_u32 v36, v35, s14
	v_mul_lo_u32 v37, v34, s15
	v_mad_u64_u32 v[34:35], s[2:3], v34, s14, 0
	v_add3_u32 v35, v35, v37, v36
	v_lshl_add_u64 v[34:35], v[34:35], 2, s[10:11]
	global_load_dword v34, v[34:35], off
	s_waitcnt vmcnt(0)
	v_sub_f32_e32 v34, s16, v34
	v_mul_f32_e32 v34, 0x3fb8aa3b, v34
	v_exp_f32_e32 v52, v34
.LBB230_62:
	s_or_b64 exec, exec, s[0:1]
	v_or_b32_e32 v40, 1, v55
	v_cmp_gt_i32_e64 s[0:1], s54, v40
	s_and_saveexec_b64 s[2:3], s[0:1]
	s_cbranch_execz .LBB230_64
; %bb.63:
	v_add_u32_e32 v34, s28, v40
	v_ashrrev_i32_e32 v35, 31, v34
	v_mul_lo_u32 v36, v35, s14
	v_mul_lo_u32 v37, v34, s15
	v_mad_u64_u32 v[34:35], s[4:5], v34, s14, 0
	v_add3_u32 v35, v35, v37, v36
	v_lshl_add_u64 v[34:35], v[34:35], 2, s[10:11]
	global_load_dword v34, v[34:35], off
	s_waitcnt vmcnt(0)
	v_sub_f32_e32 v34, s16, v34
	v_mul_f32_e32 v34, 0x3fb8aa3b, v34
	v_exp_f32_e32 v48, v34
.LBB230_64:
	s_or_b64 exec, exec, s[2:3]
	v_or_b32_e32 v41, 2, v55
	v_cmp_gt_i32_e64 s[2:3], s54, v41
	v_mov_b32_e32 v49, 0
	v_mov_b32_e32 v54, 0
	s_and_saveexec_b64 s[4:5], s[2:3]
	s_cbranch_execz .LBB230_66
; %bb.65:
	v_add_u32_e32 v34, s28, v41
	v_ashrrev_i32_e32 v35, 31, v34
	v_mul_lo_u32 v36, v35, s14
	v_mul_lo_u32 v37, v34, s15
	v_mad_u64_u32 v[34:35], s[6:7], v34, s14, 0
	v_add3_u32 v35, v35, v37, v36
	v_lshl_add_u64 v[34:35], v[34:35], 2, s[10:11]
	global_load_dword v34, v[34:35], off
	s_waitcnt vmcnt(0)
	v_sub_f32_e32 v34, s16, v34
	v_mul_f32_e32 v34, 0x3fb8aa3b, v34
	v_exp_f32_e32 v54, v34
.LBB230_66:
	s_or_b64 exec, exec, s[4:5]
	v_or_b32_e32 v64, 3, v55
	v_cmp_gt_i32_e64 s[4:5], s54, v64
	s_and_saveexec_b64 s[6:7], s[4:5]
	s_cbranch_execz .LBB230_68
; %bb.67:
	v_add_u32_e32 v34, s28, v64
	v_ashrrev_i32_e32 v35, 31, v34
	v_mul_lo_u32 v36, v35, s14
	v_mul_lo_u32 v37, v34, s15
	v_mad_u64_u32 v[34:35], s[14:15], v34, s14, 0
	v_add3_u32 v35, v35, v37, v36
	v_lshl_add_u64 v[34:35], v[34:35], 2, s[10:11]
	global_load_dword v34, v[34:35], off
	s_waitcnt vmcnt(0)
	v_sub_f32_e32 v34, s16, v34
	v_mul_f32_e32 v34, 0x3fb8aa3b, v34
	v_exp_f32_e32 v49, v34
.LBB230_68:
	s_or_b64 exec, exec, s[6:7]
	s_add_u32 s6, s8, s30
	v_accvgpr_read_b32 v37, a15
	s_addc_u32 s7, s9, s31
	v_ashrrev_i32_e32 v51, 31, v50
	v_accvgpr_read_b32 v36, a14
	v_accvgpr_read_b32 v35, a13
	;; [unrolled: 1-line block ×3, first 2 shown]
	v_lshl_add_u64 v[38:39], v[50:51], 1, s[6:7]
	v_mov_b32_e32 v45, 0
	v_lshlrev_b32_e32 v42, 8, v55
	v_mov_b32_e32 v43, 0
	s_and_saveexec_b64 s[6:7], vcc
	s_cbranch_execz .LBB230_70
; %bb.69:
	v_mov_b32_e32 v43, 0
	v_lshl_add_u64 v[46:47], v[38:39], 0, v[42:43]
	global_load_ushort v43, v[46:47], off
	s_waitcnt vmcnt(0)
	v_lshlrev_b32_e32 v43, 16, v43
	v_sub_f32_e32 v34, v43, v34
	v_mul_f32_e32 v34, v52, v34
	v_lshrrev_b32_e32 v43, 16, v34
.LBB230_70:
	s_or_b64 exec, exec, s[6:7]
	v_lshlrev_b32_e32 v44, 8, v40
	s_and_saveexec_b64 s[6:7], s[0:1]
	s_cbranch_execz .LBB230_72
; %bb.71:
	v_mov_b32_e32 v45, 0
	v_lshl_add_u64 v[46:47], v[38:39], 0, v[44:45]
	global_load_ushort v34, v[46:47], off
	s_waitcnt vmcnt(0)
	v_lshlrev_b32_e32 v34, 16, v34
	v_sub_f32_e32 v34, v34, v35
	v_mul_f32_e32 v34, v48, v34
	v_lshrrev_b32_e32 v45, 16, v34
.LBB230_72:
	s_or_b64 exec, exec, s[6:7]
	v_mov_b32_e32 v65, 0
	v_lshlrev_b32_e32 v46, 8, v41
	v_mov_b32_e32 v47, 0
	s_and_saveexec_b64 s[6:7], s[2:3]
	s_cbranch_execz .LBB230_74
; %bb.73:
	v_mov_b32_e32 v47, 0
	v_lshl_add_u64 v[34:35], v[38:39], 0, v[46:47]
	global_load_ushort v34, v[34:35], off
	s_waitcnt vmcnt(0)
	v_lshlrev_b32_e32 v34, 16, v34
	v_sub_f32_e32 v34, v34, v36
	v_mul_f32_e32 v34, v54, v34
	v_lshrrev_b32_e32 v47, 16, v34
.LBB230_74:
	s_or_b64 exec, exec, s[6:7]
	v_lshlrev_b32_e32 v40, 8, v64
	s_and_saveexec_b64 s[6:7], s[4:5]
	s_cbranch_execz .LBB230_76
; %bb.75:
	v_mov_b32_e32 v41, 0
	v_lshl_add_u64 v[34:35], v[38:39], 0, v[40:41]
	global_load_ushort v34, v[34:35], off
	s_waitcnt vmcnt(0)
	v_lshlrev_b32_e32 v34, 16, v34
	v_sub_f32_e32 v34, v34, v37
	v_mul_f32_e32 v34, v49, v34
	v_lshrrev_b32_e32 v65, 16, v34
.LBB230_76:
	s_or_b64 exec, exec, s[6:7]
	v_lshlrev_b32_e32 v51, 6, v55
	v_accvgpr_read_b32 v37, a11
	s_mov_b32 s6, 0x5040100
	v_or_b32_e32 v41, v51, v58
	v_accvgpr_read_b32 v36, a10
	v_accvgpr_read_b32 v35, a9
	;; [unrolled: 1-line block ×3, first 2 shown]
	v_perm_b32 v65, v65, v47, s6
	v_perm_b32 v64, v45, v43, s6
	v_lshlrev_b32_e32 v41, 1, v41
	v_mov_b32_e32 v45, 0
	v_mov_b32_e32 v43, 0
	ds_write_b64 v41, v[64:65] offset:24576
	s_and_saveexec_b64 s[6:7], vcc
	s_cbranch_execz .LBB230_78
; %bb.77:
	v_mov_b32_e32 v43, 0
	v_lshl_add_u64 v[64:65], v[38:39], 0, v[42:43]
	global_load_ushort v41, v[64:65], off offset:32
	s_waitcnt vmcnt(0)
	v_lshlrev_b32_e32 v41, 16, v41
	v_sub_f32_e32 v34, v41, v34
	v_mul_f32_e32 v34, v52, v34
	v_lshrrev_b32_e32 v43, 16, v34
.LBB230_78:
	s_or_b64 exec, exec, s[6:7]
	s_and_saveexec_b64 s[6:7], s[0:1]
	s_cbranch_execz .LBB230_80
; %bb.79:
	v_mov_b32_e32 v45, 0
	v_lshl_add_u64 v[64:65], v[38:39], 0, v[44:45]
	global_load_ushort v34, v[64:65], off offset:32
	s_waitcnt vmcnt(0)
	v_lshlrev_b32_e32 v34, 16, v34
	v_sub_f32_e32 v34, v34, v35
	v_mul_f32_e32 v34, v48, v34
	v_lshrrev_b32_e32 v45, 16, v34
.LBB230_80:
	s_or_b64 exec, exec, s[6:7]
	v_mov_b32_e32 v41, 0
	v_mov_b32_e32 v47, 0
	s_and_saveexec_b64 s[6:7], s[2:3]
	s_cbranch_execz .LBB230_82
; %bb.81:
	v_mov_b32_e32 v47, 0
	v_lshl_add_u64 v[34:35], v[38:39], 0, v[46:47]
	global_load_ushort v34, v[34:35], off offset:32
	s_waitcnt vmcnt(0)
	v_lshlrev_b32_e32 v34, 16, v34
	v_sub_f32_e32 v34, v34, v36
	v_mul_f32_e32 v34, v54, v34
	v_lshrrev_b32_e32 v47, 16, v34
.LBB230_82:
	s_or_b64 exec, exec, s[6:7]
	s_and_saveexec_b64 s[6:7], s[4:5]
	s_cbranch_execz .LBB230_84
; %bb.83:
	v_mov_b32_e32 v41, 0
	v_lshl_add_u64 v[34:35], v[38:39], 0, v[40:41]
	global_load_ushort v34, v[34:35], off offset:32
	s_waitcnt vmcnt(0)
	v_lshlrev_b32_e32 v34, 16, v34
	v_sub_f32_e32 v34, v34, v37
	v_mul_f32_e32 v34, v49, v34
	v_lshrrev_b32_e32 v41, 16, v34
.LBB230_84:
	s_or_b64 exec, exec, s[6:7]
	s_mov_b32 s6, 0x5040100
	v_accvgpr_read_b32 v37, a7
	v_perm_b32 v65, v41, v47, s6
	v_or_b32_e32 v41, v51, v57
	v_accvgpr_read_b32 v36, a6
	v_accvgpr_read_b32 v35, a5
	;; [unrolled: 1-line block ×3, first 2 shown]
	v_perm_b32 v64, v45, v43, s6
	v_lshlrev_b32_e32 v41, 1, v41
	v_mov_b32_e32 v45, 0
	v_mov_b32_e32 v43, 0
	ds_write_b64 v41, v[64:65] offset:24576
	s_and_saveexec_b64 s[6:7], vcc
	s_cbranch_execz .LBB230_86
; %bb.85:
	v_mov_b32_e32 v43, 0
	v_lshl_add_u64 v[64:65], v[38:39], 0, v[42:43]
	global_load_ushort v41, v[64:65], off offset:64
	s_waitcnt vmcnt(0)
	v_lshlrev_b32_e32 v41, 16, v41
	v_sub_f32_e32 v34, v41, v34
	v_mul_f32_e32 v34, v52, v34
	v_lshrrev_b32_e32 v43, 16, v34
.LBB230_86:
	s_or_b64 exec, exec, s[6:7]
	s_and_saveexec_b64 s[6:7], s[0:1]
	s_cbranch_execz .LBB230_88
; %bb.87:
	v_mov_b32_e32 v45, 0
	v_lshl_add_u64 v[64:65], v[38:39], 0, v[44:45]
	global_load_ushort v34, v[64:65], off offset:64
	s_waitcnt vmcnt(0)
	v_lshlrev_b32_e32 v34, 16, v34
	v_sub_f32_e32 v34, v34, v35
	v_mul_f32_e32 v34, v48, v34
	v_lshrrev_b32_e32 v45, 16, v34
.LBB230_88:
	s_or_b64 exec, exec, s[6:7]
	v_mov_b32_e32 v41, 0
	v_mov_b32_e32 v47, 0
	s_and_saveexec_b64 s[6:7], s[2:3]
	s_cbranch_execz .LBB230_90
; %bb.89:
	v_mov_b32_e32 v47, 0
	v_lshl_add_u64 v[34:35], v[38:39], 0, v[46:47]
	global_load_ushort v34, v[34:35], off offset:64
	s_waitcnt vmcnt(0)
	v_lshlrev_b32_e32 v34, 16, v34
	v_sub_f32_e32 v34, v34, v36
	v_mul_f32_e32 v34, v54, v34
	v_lshrrev_b32_e32 v47, 16, v34
.LBB230_90:
	s_or_b64 exec, exec, s[6:7]
	s_and_saveexec_b64 s[6:7], s[4:5]
	s_cbranch_execz .LBB230_92
; %bb.91:
	v_mov_b32_e32 v41, 0
	v_lshl_add_u64 v[34:35], v[38:39], 0, v[40:41]
	global_load_ushort v34, v[34:35], off offset:64
	s_waitcnt vmcnt(0)
	v_lshlrev_b32_e32 v34, 16, v34
	v_sub_f32_e32 v34, v34, v37
	v_mul_f32_e32 v34, v49, v34
	v_lshrrev_b32_e32 v41, 16, v34
.LBB230_92:
	s_or_b64 exec, exec, s[6:7]
	s_mov_b32 s6, 0x5040100
	v_accvgpr_read_b32 v37, a3
	v_perm_b32 v65, v41, v47, s6
	v_or_b32_e32 v41, v51, v56
	v_accvgpr_read_b32 v36, a2
	v_accvgpr_read_b32 v35, a1
	v_accvgpr_read_b32 v34, a0
	v_perm_b32 v64, v45, v43, s6
	v_lshlrev_b32_e32 v41, 1, v41
	v_mov_b32_e32 v45, 0
	v_mov_b32_e32 v43, 0
	ds_write_b64 v41, v[64:65] offset:24576
	s_and_saveexec_b64 s[6:7], vcc
	s_cbranch_execz .LBB230_94
; %bb.93:
	v_mov_b32_e32 v43, 0
	v_lshl_add_u64 v[42:43], v[38:39], 0, v[42:43]
	global_load_ushort v41, v[42:43], off offset:96
	s_waitcnt vmcnt(0)
	v_lshlrev_b32_e32 v41, 16, v41
	v_sub_f32_e32 v34, v41, v34
	v_mul_f32_e32 v34, v52, v34
	v_lshrrev_b32_e32 v43, 16, v34
.LBB230_94:
	s_or_b64 exec, exec, s[6:7]
	s_and_saveexec_b64 s[6:7], s[0:1]
	s_cbranch_execz .LBB230_96
; %bb.95:
	v_mov_b32_e32 v45, 0
	v_lshl_add_u64 v[44:45], v[38:39], 0, v[44:45]
	global_load_ushort v34, v[44:45], off offset:96
	s_waitcnt vmcnt(0)
	v_lshlrev_b32_e32 v34, 16, v34
	v_sub_f32_e32 v34, v34, v35
	v_mul_f32_e32 v34, v48, v34
	v_lshrrev_b32_e32 v45, 16, v34
.LBB230_96:
	s_or_b64 exec, exec, s[6:7]
	v_mov_b32_e32 v41, 0
	v_mov_b32_e32 v44, 0
	s_and_saveexec_b64 s[0:1], s[2:3]
	s_cbranch_execz .LBB230_98
; %bb.97:
	v_mov_b32_e32 v47, 0
	v_lshl_add_u64 v[34:35], v[38:39], 0, v[46:47]
	global_load_ushort v34, v[34:35], off offset:96
	s_waitcnt vmcnt(0)
	v_lshlrev_b32_e32 v34, 16, v34
	v_sub_f32_e32 v34, v34, v36
	v_mul_f32_e32 v34, v54, v34
	v_lshrrev_b32_e32 v44, 16, v34
.LBB230_98:
	s_or_b64 exec, exec, s[0:1]
	v_or_b32_e32 v42, 0x6000, v60
	v_or_b32_e32 v36, 0x6000, v61
	;; [unrolled: 1-line block ×4, first 2 shown]
	s_and_saveexec_b64 s[0:1], s[4:5]
	s_cbranch_execz .LBB230_100
; %bb.99:
	v_mov_b32_e32 v41, 0
	v_lshl_add_u64 v[38:39], v[38:39], 0, v[40:41]
	global_load_ushort v38, v[38:39], off offset:96
	s_waitcnt vmcnt(0)
	v_lshlrev_b32_e32 v38, 16, v38
	v_sub_f32_e32 v37, v38, v37
	v_mul_f32_e32 v37, v49, v37
	v_lshrrev_b32_e32 v41, 16, v37
.LBB230_100:
	s_or_b64 exec, exec, s[0:1]
	s_mov_b32 s0, 0x5040100
	v_or_b32_e32 v37, v51, v53
	v_perm_b32 v39, v41, v44, s0
	v_perm_b32 v38, v45, v43, s0
	v_lshlrev_b32_e32 v37, 1, v37
	s_movk_i32 s0, 0x100
	ds_write_b64 v37, v[38:39] offset:24576
	v_and_b32_e32 v37, 7, v0
	v_and_b32_e32 v38, 8, v0
	v_cmp_gt_u32_e32 vcc, s0, v0
	v_lshrrev_b32_e32 v0, 1, v0
	v_mov_b32_e32 v39, 0xa000
	v_mov_b32_e32 v40, 0x8000
	v_lshlrev_b32_e32 v58, 3, v72
	v_and_b32_e32 v0, 24, v0
	v_cndmask_b32_e32 v51, v39, v40, vcc
	v_xor_b32_e32 v39, v58, v0
	v_or_b32_e32 v40, 0x440, v39
	v_cmp_eq_u32_e32 vcc, 0, v38
	v_lshlrev_b32_e32 v43, 3, v37
	v_lshlrev_b32_e32 v37, 7, v37
	v_cndmask_b32_e32 v38, v40, v39, vcc
	v_or_b32_e32 v38, v38, v59
	v_xad_u32 v72, v38, v43, v37
	v_add_u32_e32 v38, v51, v72
	s_waitcnt lgkmcnt(0)
	s_barrier
	ds_read_b64 v[48:49], v38
	ds_read2_b64 v[38:41], v42 offset1:16
	ds_read2_b64 v[44:47], v42 offset0:32 offset1:48
	v_or_b32_e32 v52, 32, v0
	v_xor_b32_e32 v52, v58, v52
	v_or_b32_e32 v53, 0x440, v52
	v_cndmask_b32_e32 v52, v53, v52, vcc
	s_waitcnt lgkmcnt(1)
	v_mfma_f32_16x16x16_bf16 a[0:3], v[48:49], v[38:39], 0
	v_or_b32_e32 v52, v52, v59
	v_xad_u32 v73, v52, v43, v37
	v_add_u32_e32 v52, v51, v73
	v_mfma_f32_16x16x16_bf16 a[4:7], v[48:49], v[40:41], 0
	ds_read_b64 v[56:57], v52
	ds_read2st64_b64 v[60:63], v36 offset0:4 offset1:8
	ds_read2st64_b64 v[64:67], v35 offset0:4 offset1:8
	s_waitcnt lgkmcnt(3)
	v_mfma_f32_16x16x16_bf16 a[8:11], v[48:49], v[44:45], 0
	ds_read2st64_b64 v[68:71], v34 offset0:4 offset1:8
	v_mfma_f32_16x16x16_bf16 a[12:15], v[48:49], v[46:47], 0
	v_or_b32_e32 v48, 64, v0
	v_xor_b32_e32 v48, v58, v48
	v_xor_b32_e32 v49, 0x440, v48
	v_cndmask_b32_e32 v48, v49, v48, vcc
	v_or_b32_e32 v48, v48, v59
	v_xad_u32 v74, v48, v43, v37
	v_add_u32_e32 v48, v51, v74
	ds_read_b64 v[48:49], v48
	ds_read2st64_b64 v[52:55], v42 offset0:4 offset1:8
	v_or_b32_e32 v0, 0x60, v0
	v_xor_b32_e32 v0, v58, v0
	s_waitcnt lgkmcnt(0)
	v_mfma_f32_16x16x16_bf16 a[0:3], v[56:57], v[52:53], a[0:3]
	v_mfma_f32_16x16x16_bf16 a[4:7], v[56:57], v[60:61], a[4:7]
	v_mfma_f32_16x16x16_bf16 a[8:11], v[56:57], v[64:65], a[8:11]
	v_mfma_f32_16x16x16_bf16 a[12:15], v[56:57], v[68:69], a[12:15]
	v_xor_b32_e32 v56, 0x440, v0
	v_cndmask_b32_e32 v0, v56, v0, vcc
	v_or_b32_e32 v0, v0, v59
	v_xad_u32 v0, v0, v43, v37
	v_add_u32_e32 v37, v51, v0
	v_mfma_f32_16x16x16_bf16 a[0:3], v[48:49], v[54:55], a[0:3]
	ds_read_b64 v[56:57], v37
	ds_read_b64 v[42:43], v42 offset:6144
	v_mfma_f32_16x16x16_bf16 a[4:7], v[48:49], v[62:63], a[4:7]
	v_mfma_f32_16x16x16_bf16 a[8:11], v[48:49], v[66:67], a[8:11]
	;; [unrolled: 1-line block ×3, first 2 shown]
	ds_read_b64 v[36:37], v36 offset:6144
	ds_read_b64 v[48:49], v35 offset:6144
	;; [unrolled: 1-line block ×3, first 2 shown]
	s_waitcnt lgkmcnt(3)
	v_mfma_f32_16x16x16_bf16 a[0:3], v[56:57], v[42:43], a[0:3]
	s_waitcnt lgkmcnt(2)
	v_mfma_f32_16x16x16_bf16 a[4:7], v[56:57], v[36:37], a[4:7]
	;; [unrolled: 2-line block ×4, first 2 shown]
	ds_read_b64 v[56:57], v72 offset:40960
	s_waitcnt lgkmcnt(0)
	v_mfma_f32_16x16x16_bf16 a[20:23], v[56:57], v[40:41], 0
	v_mov_b32_e32 v40, 0x3fb8aa3b
	v_mul_f32_e32 v40, s16, v40
	v_mfma_f32_16x16x16_bf16 a[24:27], v[56:57], v[44:45], 0
	v_exp_f32_e32 v44, v40
	v_accvgpr_read_b32 v40, a0
	v_accvgpr_read_b32 v45, a3
	v_mfma_f32_16x16x16_bf16 a[16:19], v[56:57], v[38:39], 0
	ds_read_b64 v[38:39], v73 offset:40960
	v_fma_f32 v30, v44, v30, v40
	v_accvgpr_read_b32 v40, a1
	v_fma_f32 v31, v44, v31, v40
	v_accvgpr_read_b32 v40, a2
	v_mfma_f32_16x16x16_bf16 a[28:31], v[56:57], v[46:47], 0
	v_fma_f32 v32, v44, v32, v40
	ds_read_b64 v[40:41], v74 offset:40960
	v_fmac_f32_e32 v45, v44, v33
	s_waitcnt lgkmcnt(1)
	v_mfma_f32_16x16x16_bf16 a[16:19], v[38:39], v[52:53], a[16:19]
	v_accvgpr_read_b32 v33, a4
	v_fma_f32 v22, v44, v22, v33
	v_accvgpr_read_b32 v33, a5
	v_mfma_f32_16x16x16_bf16 a[20:23], v[38:39], v[60:61], a[20:23]
	v_fma_f32 v23, v44, v23, v33
	v_accvgpr_read_b32 v33, a6
	v_accvgpr_read_b32 v46, a7
	v_mfma_f32_16x16x16_bf16 a[24:27], v[38:39], v[64:65], a[24:27]
	v_fmac_f32_e32 v46, v44, v25
	v_accvgpr_read_b32 v25, a8
	v_fma_f32 v24, v44, v24, v33
	v_mfma_f32_16x16x16_bf16 a[0:3], v[38:39], v[68:69], a[28:31]
	ds_read_b64 v[38:39], v0 offset:40960
	v_accvgpr_read_b32 v0, a9
	v_fma_f32 v15, v44, v15, v0
	s_waitcnt lgkmcnt(1)
	v_mfma_f32_16x16x16_bf16 a[4:7], v[40:41], v[62:63], a[20:23]
	v_accvgpr_read_b32 v0, a10
	v_fma_f32 v16, v44, v16, v0
	v_accvgpr_read_b32 v0, a11
	v_mfma_f32_16x16x16_bf16 a[16:19], v[40:41], v[54:55], a[16:19]
	v_fmac_f32_e32 v0, v44, v17
	v_accvgpr_read_b32 v17, a12
	v_fma_f32 v2, v44, v2, v17
	v_mfma_f32_16x16x16_bf16 a[20:23], v[40:41], v[66:67], a[24:27]
	v_accvgpr_read_b32 v17, a13
	v_fma_f32 v3, v44, v3, v17
	v_accvgpr_read_b32 v17, a14
	v_mfma_f32_16x16x16_bf16 a[0:3], v[40:41], v[70:71], a[0:3]
	v_fma_f32 v4, v44, v4, v17
	v_fma_f32 v14, v44, v14, v25
	v_mov_b32_e32 v33, v45
	s_waitcnt lgkmcnt(0)
	v_mfma_f32_16x16x16_bf16 a[4:7], v[38:39], v[36:37], a[4:7]
	v_accvgpr_read_b32 v36, a15
	v_fmac_f32_e32 v36, v44, v5
	v_mov_b32_e32 v25, v46
	v_mfma_f32_16x16x16_bf16 a[8:11], v[38:39], v[42:43], a[16:19]
	v_mfma_f32_16x16x16_bf16 a[16:19], v[38:39], v[48:49], a[20:23]
	s_nop 1
	v_accvgpr_read_b32 v17, a4
	v_fma_f32 v18, v44, v18, v17
	v_accvgpr_read_b32 v17, a5
	v_mfma_f32_16x16x16_bf16 a[0:3], v[38:39], v[34:35], a[0:3]
	v_accvgpr_read_b32 v5, a8
	v_fma_f32 v19, v44, v19, v17
	v_accvgpr_read_b32 v17, a6
	v_fma_f32 v26, v44, v26, v5
	;; [unrolled: 2-line block ×3, first 2 shown]
	v_accvgpr_read_b32 v17, a7
	v_accvgpr_read_b32 v34, a19
	v_fma_f32 v27, v44, v27, v5
	v_accvgpr_read_b32 v5, a10
	v_fmac_f32_e32 v17, v44, v21
	v_accvgpr_read_b32 v21, a16
	v_fmac_f32_e32 v34, v44, v13
	v_accvgpr_read_b32 v13, a0
	v_fma_f32 v28, v44, v28, v5
	v_accvgpr_read_b32 v5, a11
	v_fma_f32 v10, v44, v10, v21
	;; [unrolled: 2-line block ×3, first 2 shown]
	v_accvgpr_read_b32 v13, a1
	v_accvgpr_read_b32 v35, a3
	v_fmac_f32_e32 v5, v44, v29
	v_fma_f32 v11, v44, v11, v21
	v_accvgpr_read_b32 v21, a18
	v_fma_f32 v7, v44, v7, v13
	v_accvgpr_read_b32 v13, a2
	v_fmac_f32_e32 v35, v44, v9
	v_fma_f32 v12, v44, v12, v21
	v_fma_f32 v8, v44, v8, v13
	v_mov_b32_e32 v29, v5
	v_mov_b32_e32 v21, v17
	;; [unrolled: 1-line block ×7, first 2 shown]
.LBB230_101:
	s_mul_i32 s0, s45, s35
	s_mul_hi_u32 s1, s45, s34
	s_add_i32 s0, s1, s0
	s_mul_i32 s1, s33, s34
	s_add_i32 s1, s0, s1
	s_mul_i32 s0, s45, s34
	s_add_u32 s0, s0, s44
	s_addc_u32 s1, s1, s29
	s_lshl_b64 s[0:1], s[0:1], 16
	s_add_u32 s0, s12, s0
	v_lshlrev_b32_e32 v34, 7, v34
	s_addc_u32 s1, s13, s1
	v_ashrrev_i32_e32 v35, 31, v34
	v_lshl_add_u64 v[36:37], v[34:35], 2, s[0:1]
	v_lshlrev_b32_e32 v0, 2, v1
	v_mov_b32_e32 v1, 0
	v_lshl_add_u64 v[36:37], v[36:37], 0, v[0:1]
	global_store_dwordx4 v[36:37], v[30:33], off
	global_store_dwordx4 v[36:37], v[26:29], off offset:256
	s_nop 1
	v_or_b32_e32 v26, 0x800, v34
	v_ashrrev_i32_e32 v27, 31, v26
	v_lshl_add_u64 v[26:27], v[26:27], 2, s[0:1]
	v_lshl_add_u64 v[26:27], v[26:27], 0, v[0:1]
	global_store_dwordx4 v[26:27], v[22:25], off
	global_store_dwordx4 v[26:27], v[18:21], off offset:256
	s_nop 1
	v_or_b32_e32 v18, 0x1000, v34
	v_ashrrev_i32_e32 v19, 31, v18
	v_lshl_add_u64 v[18:19], v[18:19], 2, s[0:1]
	;; [unrolled: 7-line block ×3, first 2 shown]
	v_lshl_add_u64 v[0:1], v[10:11], 0, v[0:1]
	global_store_dwordx4 v[0:1], v[2:5], off
	global_store_dwordx4 v[0:1], v[6:9], off offset:256
	s_endpgm
	.section	.rodata,"a",@progbits
	.p2align	6, 0x0
	.amdhsa_kernel _ZN12_GLOBAL__N_139chunk_gated_delta_rule_fwd_h_hip_kernelILi64ELb0ELb1ELb0ELb1ELb0ELb0ELb1ELb0EEEvPK12hip_bfloat16S3_S3_PKfS5_PKvPS1_S8_PvPKiSB_iiiiilll
		.amdhsa_group_segment_fixed_size 65536
		.amdhsa_private_segment_fixed_size 0
		.amdhsa_kernarg_size 136
		.amdhsa_user_sgpr_count 2
		.amdhsa_user_sgpr_dispatch_ptr 0
		.amdhsa_user_sgpr_queue_ptr 0
		.amdhsa_user_sgpr_kernarg_segment_ptr 1
		.amdhsa_user_sgpr_dispatch_id 0
		.amdhsa_user_sgpr_kernarg_preload_length 0
		.amdhsa_user_sgpr_kernarg_preload_offset 0
		.amdhsa_user_sgpr_private_segment_size 0
		.amdhsa_uses_dynamic_stack 0
		.amdhsa_enable_private_segment 0
		.amdhsa_system_sgpr_workgroup_id_x 1
		.amdhsa_system_sgpr_workgroup_id_y 1
		.amdhsa_system_sgpr_workgroup_id_z 0
		.amdhsa_system_sgpr_workgroup_info 0
		.amdhsa_system_vgpr_workitem_id 0
		.amdhsa_next_free_vgpr 216
		.amdhsa_next_free_sgpr 65
		.amdhsa_accum_offset 180
		.amdhsa_reserve_vcc 1
		.amdhsa_float_round_mode_32 0
		.amdhsa_float_round_mode_16_64 0
		.amdhsa_float_denorm_mode_32 3
		.amdhsa_float_denorm_mode_16_64 3
		.amdhsa_dx10_clamp 1
		.amdhsa_ieee_mode 1
		.amdhsa_fp16_overflow 0
		.amdhsa_tg_split 0
		.amdhsa_exception_fp_ieee_invalid_op 0
		.amdhsa_exception_fp_denorm_src 0
		.amdhsa_exception_fp_ieee_div_zero 0
		.amdhsa_exception_fp_ieee_overflow 0
		.amdhsa_exception_fp_ieee_underflow 0
		.amdhsa_exception_fp_ieee_inexact 0
		.amdhsa_exception_int_div_zero 0
	.end_amdhsa_kernel
	.section	.text._ZN12_GLOBAL__N_139chunk_gated_delta_rule_fwd_h_hip_kernelILi64ELb0ELb1ELb0ELb1ELb0ELb0ELb1ELb0EEEvPK12hip_bfloat16S3_S3_PKfS5_PKvPS1_S8_PvPKiSB_iiiiilll,"axG",@progbits,_ZN12_GLOBAL__N_139chunk_gated_delta_rule_fwd_h_hip_kernelILi64ELb0ELb1ELb0ELb1ELb0ELb0ELb1ELb0EEEvPK12hip_bfloat16S3_S3_PKfS5_PKvPS1_S8_PvPKiSB_iiiiilll,comdat
.Lfunc_end230:
	.size	_ZN12_GLOBAL__N_139chunk_gated_delta_rule_fwd_h_hip_kernelILi64ELb0ELb1ELb0ELb1ELb0ELb0ELb1ELb0EEEvPK12hip_bfloat16S3_S3_PKfS5_PKvPS1_S8_PvPKiSB_iiiiilll, .Lfunc_end230-_ZN12_GLOBAL__N_139chunk_gated_delta_rule_fwd_h_hip_kernelILi64ELb0ELb1ELb0ELb1ELb0ELb0ELb1ELb0EEEvPK12hip_bfloat16S3_S3_PKfS5_PKvPS1_S8_PvPKiSB_iiiiilll
                                        ; -- End function
	.section	.AMDGPU.csdata,"",@progbits
; Kernel info:
; codeLenInByte = 12216
; NumSgprs: 71
; NumVgprs: 178
; NumAgprs: 36
; TotalNumVgprs: 216
; ScratchSize: 0
; MemoryBound: 0
; FloatMode: 240
; IeeeMode: 1
; LDSByteSize: 65536 bytes/workgroup (compile time only)
; SGPRBlocks: 8
; VGPRBlocks: 26
; NumSGPRsForWavesPerEU: 71
; NumVGPRsForWavesPerEU: 216
; AccumOffset: 180
; Occupancy: 1
; WaveLimiterHint : 1
; COMPUTE_PGM_RSRC2:SCRATCH_EN: 0
; COMPUTE_PGM_RSRC2:USER_SGPR: 2
; COMPUTE_PGM_RSRC2:TRAP_HANDLER: 0
; COMPUTE_PGM_RSRC2:TGID_X_EN: 1
; COMPUTE_PGM_RSRC2:TGID_Y_EN: 1
; COMPUTE_PGM_RSRC2:TGID_Z_EN: 0
; COMPUTE_PGM_RSRC2:TIDIG_COMP_CNT: 0
; COMPUTE_PGM_RSRC3_GFX90A:ACCUM_OFFSET: 44
; COMPUTE_PGM_RSRC3_GFX90A:TG_SPLIT: 0
	.section	.text._ZN12_GLOBAL__N_139chunk_gated_delta_rule_fwd_h_hip_kernelILi64ELb0ELb0ELb1ELb1ELb0ELb0ELb1ELb0EEEvPK12hip_bfloat16S3_S3_PKfS5_PKvPS1_S8_PvPKiSB_iiiiilll,"axG",@progbits,_ZN12_GLOBAL__N_139chunk_gated_delta_rule_fwd_h_hip_kernelILi64ELb0ELb0ELb1ELb1ELb0ELb0ELb1ELb0EEEvPK12hip_bfloat16S3_S3_PKfS5_PKvPS1_S8_PvPKiSB_iiiiilll,comdat
	.globl	_ZN12_GLOBAL__N_139chunk_gated_delta_rule_fwd_h_hip_kernelILi64ELb0ELb0ELb1ELb1ELb0ELb0ELb1ELb0EEEvPK12hip_bfloat16S3_S3_PKfS5_PKvPS1_S8_PvPKiSB_iiiiilll ; -- Begin function _ZN12_GLOBAL__N_139chunk_gated_delta_rule_fwd_h_hip_kernelILi64ELb0ELb0ELb1ELb1ELb0ELb0ELb1ELb0EEEvPK12hip_bfloat16S3_S3_PKfS5_PKvPS1_S8_PvPKiSB_iiiiilll
	.p2align	8
	.type	_ZN12_GLOBAL__N_139chunk_gated_delta_rule_fwd_h_hip_kernelILi64ELb0ELb0ELb1ELb1ELb0ELb0ELb1ELb0EEEvPK12hip_bfloat16S3_S3_PKfS5_PKvPS1_S8_PvPKiSB_iiiiilll,@function
_ZN12_GLOBAL__N_139chunk_gated_delta_rule_fwd_h_hip_kernelILi64ELb0ELb0ELb1ELb1ELb0ELb0ELb1ELb0EEEvPK12hip_bfloat16S3_S3_PKfS5_PKvPS1_S8_PvPKiSB_iiiiilll: ; @_ZN12_GLOBAL__N_139chunk_gated_delta_rule_fwd_h_hip_kernelILi64ELb0ELb0ELb1ELb1ELb0ELb0ELb1ELb0EEEvPK12hip_bfloat16S3_S3_PKfS5_PKvPS1_S8_PvPKiSB_iiiiilll
; %bb.0:
	s_load_dwordx4 s[16:19], s[0:1], 0x5c
	s_load_dwordx4 s[20:23], s[0:1], 0x70
	s_abs_i32 s25, s3
	s_ashr_i32 s24, s3, 31
	s_load_dwordx4 s[12:15], s[0:1], 0x30
	s_load_dwordx4 s[28:31], s[0:1], 0x48
	s_waitcnt lgkmcnt(0)
	s_abs_i32 s34, s17
	v_cvt_f32_u32_e32 v1, s34
	s_sub_i32 s26, 0, s34
	s_ashr_i32 s35, s17, 31
	s_xor_b32 s24, s24, s35
	v_rcp_iflag_f32_e32 v1, v1
	s_load_dwordx8 s[4:11], s[0:1], 0x0
	v_lshrrev_b32_e32 v76, 6, v0
	v_bfe_u32 v77, v0, 4, 2
	v_mul_f32_e32 v1, 0x4f7ffffe, v1
	v_cvt_u32_f32_e32 v1, v1
	v_lshlrev_b32_e32 v2, 2, v77
	v_and_b32_e32 v75, 63, v0
	v_mov_b32_e32 v35, 0
	v_readfirstlane_b32 s27, v1
	s_mul_i32 s26, s26, s27
	s_mul_hi_u32 s26, s27, s26
	s_add_i32 s27, s27, s26
	s_mul_hi_u32 s26, s25, s27
	s_mul_i32 s27, s26, s34
	s_sub_i32 s25, s25, s27
	s_add_i32 s33, s26, 1
	s_sub_i32 s27, s25, s34
	s_cmp_ge_u32 s25, s34
	s_cselect_b32 s26, s33, s26
	s_cselect_b32 s25, s27, s25
	s_add_i32 s27, s26, 1
	s_cmp_ge_u32 s25, s34
	s_cselect_b32 s25, s27, s26
	s_xor_b32 s25, s25, s24
	s_sub_i32 s24, s25, s24
	s_mul_i32 s25, s24, s17
	s_sub_i32 s33, s3, s25
	s_ashr_i32 s25, s24, 31
	s_lshl_b64 s[26:27], s[24:25], 2
	s_add_u32 s28, s28, s26
	s_addc_u32 s29, s29, s27
	s_add_u32 s26, s30, s26
	s_addc_u32 s27, s31, s27
	s_abs_i32 s3, s18
	v_cvt_f32_u32_e32 v1, s3
	s_load_dwordx2 s[38:39], s[28:29], 0x0
	s_sub_i32 s29, 0, s3
	s_load_dword s46, s[26:27], 0x0
	v_rcp_iflag_f32_e32 v1, v1
	v_and_b32_e32 v74, 15, v0
	s_waitcnt lgkmcnt(0)
	s_sub_i32 s47, s39, s38
	s_ashr_i32 s28, s47, 31
	v_mul_f32_e32 v1, 0x4f7ffffe, v1
	v_cvt_u32_f32_e32 v1, v1
	s_lshr_b32 s28, s28, 26
	s_add_i32 s28, s47, s28
	s_ashr_i32 s45, s28, 6
	v_readfirstlane_b32 s30, v1
	s_mul_i32 s29, s29, s30
	s_mul_hi_u32 s29, s30, s29
	s_add_i32 s30, s30, s29
	s_mul_hi_u32 s29, s34, s30
	s_mul_i32 s30, s29, s3
	s_ashr_i32 s28, s18, 31
	s_sub_i32 s30, s34, s30
	s_xor_b32 s28, s35, s28
	s_add_i32 s31, s29, 1
	s_sub_i32 s34, s30, s3
	s_cmp_ge_u32 s30, s3
	s_cselect_b32 s29, s31, s29
	s_cselect_b32 s30, s34, s30
	s_add_i32 s31, s29, 1
	s_cmp_ge_u32 s30, s3
	s_cselect_b32 s3, s31, s29
	s_xor_b32 s3, s3, s28
	s_sub_i32 s3, s3, s28
	s_abs_i32 s28, s3
	v_cvt_f32_u32_e32 v1, s28
	s_load_dwordx2 s[34:35], s[0:1], 0x80
	s_xor_b32 s0, s33, s3
	s_sub_i32 s3, 0, s28
	v_rcp_iflag_f32_e32 v1, v1
	s_abs_i32 s1, s33
	s_ashr_i32 s0, s0, 31
	s_mul_hi_i32 s48, s33, s16
	v_mul_f32_e32 v1, 0x4f7ffffe, v1
	v_cvt_u32_f32_e32 v1, v1
	s_mul_i32 s49, s33, s16
	v_lshrrev_b32_e32 v79, 3, v75
	v_lshlrev_b32_e32 v78, 3, v0
	v_readfirstlane_b32 s26, v1
	s_mul_i32 s3, s3, s26
	s_mul_hi_u32 s3, s26, s3
	s_add_i32 s26, s26, s3
	s_mul_hi_u32 s3, s1, s26
	s_mul_i32 s26, s3, s28
	s_sub_i32 s1, s1, s26
	s_add_i32 s26, s3, 1
	s_sub_i32 s27, s1, s28
	s_cmp_ge_u32 s1, s28
	s_cselect_b32 s3, s26, s3
	s_cselect_b32 s1, s27, s1
	s_add_i32 s26, s3, 1
	s_cmp_ge_u32 s1, s28
	s_cselect_b32 s1, s26, s3
	s_xor_b32 s1, s1, s0
	v_lshlrev_b32_e32 v1, 4, v76
	s_sub_i32 s50, s1, s0
	v_or_b32_e32 v80, v2, v1
	s_lshl_b32 s36, s2, 6
	v_or_b32_e32 v81, 64, v80
	s_cmp_lt_i32 s47, 64
	s_mul_i32 s42, s24, s21
	s_mul_hi_u32 s43, s24, s20
	s_mul_i32 s44, s25, s20
	s_mul_i32 s20, s24, s20
	v_mov_b32_e32 v34, v35
	v_mov_b32_e32 v41, v35
	;; [unrolled: 1-line block ×31, first 2 shown]
	s_cbranch_scc1 .LBB231_18
; %bb.1:
	s_ashr_i32 s53, s33, 31
	s_ashr_i32 s1, s38, 31
	s_add_u32 s0, s49, s38
	s_addc_u32 s1, s48, s1
	s_lshl_b64 s[0:1], s[0:1], 8
	v_and_b32_e32 v83, 56, v78
	s_add_u32 s0, s6, s0
	v_lshl_or_b32 v82, v76, 3, v79
	v_lshlrev_b32_e32 v3, 1, v83
	s_addc_u32 s1, s7, s1
	v_lshl_or_b32 v84, v82, 8, v3
	s_and_b32 s1, s1, 0xffff
	s_mov_b32 s3, 0x20000
	s_movk_i32 s2, 0x4000
	s_movk_i32 s21, 0x80
	v_or_b32_e32 v85, 0x2000, v84
	buffer_load_dwordx4 v[4:7], v84, s[0:3], 0 offen
	buffer_load_dwordx4 v[8:11], v84, s[0:3], s21 offen
	buffer_load_dwordx4 v[12:15], v85, s[0:3], 0 offen
	buffer_load_dwordx4 v[16:19], v85, s[0:3], s21 offen
	v_lshlrev_b32_e32 v20, 3, v82
	v_and_or_b32 v22, v0, 7, v20
	v_and_b32_e32 v20, 0x78, v20
	v_lshlrev_b32_e32 v22, 4, v22
	v_xor_b32_e32 v86, v22, v20
	v_mul_lo_u32 v21, v82, s19
	v_or_b32_e32 v87, 0x1000, v86
	s_cmpk_eq_i32 s19, 0x80
	s_mov_b32 s51, s17
	s_mov_b32 s52, s38
	v_xor_b32_e32 v20, 8, v86
	v_xor_b32_e32 v22, 8, v87
	s_cselect_b64 s[0:1], -1, 0
	s_cmpk_lg_i32 s19, 0x80
	s_waitcnt vmcnt(3)
	ds_write_b64 v86, v[4:5] offset:49152
	ds_write_b64 v20, v[6:7] offset:49152
	s_waitcnt vmcnt(2)
	ds_write_b64 v86, v[8:9] offset:57344
	ds_write_b64 v20, v[10:11] offset:57344
	;; [unrolled: 3-line block ×4, first 2 shown]
	v_lshl_add_u32 v4, v21, 1, v83
	s_cbranch_scc0 .LBB231_3
; %bb.2:
	v_lshlrev_b32_e32 v6, 1, v4
	v_add_lshl_u32 v5, v4, s19, 1
	s_lshl_b32 s26, s19, 7
	v_lshl_or_b32 v3, v82, 9, v3
	s_cbranch_execz .LBB231_4
	s_branch .LBB231_5
.LBB231_3:
                                        ; implicit-def: $vgpr5
                                        ; implicit-def: $vgpr6
                                        ; implicit-def: $sgpr26
	v_lshl_or_b32 v3, v82, 9, v3
.LBB231_4:
	v_or_b32_e32 v5, 0x100, v3
	s_movk_i32 s26, 0x4000
	v_mov_b32_e32 v6, v3
.LBB231_5:
	s_mul_i32 s2, s38, s18
	s_ashr_i32 s54, s50, 31
	s_mul_hi_i32 s3, s38, s18
	s_add_u32 s2, s2, s50
	s_addc_u32 s3, s3, s54
	s_lshl_b64 s[2:3], s[2:3], 8
	s_add_u32 s24, s4, s2
	s_addc_u32 s2, s5, s3
	s_and_b32 s25, s2, 0xffff
	s_mov_b32 s27, 0x20000
	s_movk_i32 s55, 0x80
	buffer_load_dwordx4 v[8:11], v6, s[24:27], 0 offen
	buffer_load_dwordx4 v[12:15], v6, s[24:27], s55 offen
	buffer_load_dwordx4 v[16:19], v5, s[24:27], 0 offen
	buffer_load_dwordx4 v[20:23], v5, s[24:27], s55 offen
	v_and_b32_e32 v5, 6, v0
	v_lshlrev_b32_e32 v6, 7, v80
	v_xor_b32_e32 v28, v82, v5
	v_and_b32_e32 v7, 1, v0
	v_lshl_or_b32 v31, v74, 3, v6
	v_lshlrev_b32_e32 v28, 2, v28
	v_lshlrev_b32_e32 v24, 2, v74
	v_or_b32_e32 v88, 0x4000, v31
	v_or_b32_e32 v89, 0x6000, v31
	v_xor_b32_e32 v31, 0x440, v28
	v_cmp_eq_u32_e32 vcc, 0, v7
	v_or_b32_e32 v26, 16, v74
	v_or_b32_e32 v27, 32, v74
	v_xor_b32_e32 v29, v80, v24
	v_xor_b32_e32 v30, v81, v24
	v_cndmask_b32_e32 v7, v31, v28, vcc
	s_add_i32 s2, s43, s42
	s_mov_b32 s56, 0x1000504
	v_lshl_or_b32 v32, v26, 3, v6
	v_lshlrev_b32_e32 v26, 8, v26
	v_lshl_or_b32 v33, v27, 3, v6
	v_lshlrev_b32_e32 v29, 1, v29
	v_lshlrev_b32_e32 v30, 1, v30
	v_lshl_or_b32 v5, v5, 10, v7
	s_add_i32 s21, s2, s44
	s_mul_i32 s2, s33, s23
	s_mul_hi_u32 s3, s33, s22
	s_mov_b32 s57, 0x3020706
	v_lshlrev_b32_e32 v25, 8, v74
	v_or_b32_e32 v92, 0x4000, v33
	v_or_b32_e32 v93, 0x6000, v33
	;; [unrolled: 1-line block ×4, first 2 shown]
	v_xor_b32_e32 v7, 8, v5
	v_xor_b32_e32 v26, 24, v5
	;; [unrolled: 1-line block ×4, first 2 shown]
	s_add_i32 s2, s3, s2
	s_mul_i32 s3, s53, s22
	v_or_b32_e32 v90, 0x4000, v32
	v_or_b32_e32 v91, 0x6000, v32
	;; [unrolled: 1-line block ×4, first 2 shown]
	v_xor_b32_e32 v25, 16, v5
	v_xor_b32_e32 v28, 32, v5
	;; [unrolled: 1-line block ×3, first 2 shown]
	v_add_u32_e32 v7, 0x80, v7
	v_add_u32_e32 v26, 0x80, v26
	;; [unrolled: 1-line block ×4, first 2 shown]
	s_add_i32 s3, s2, s3
	s_lshl_b64 s[24:25], s[20:21], 2
	s_mul_i32 s2, s33, s22
	s_add_u32 s21, s10, s24
	s_addc_u32 s24, s11, s25
	s_lshl_b64 s[2:3], s[2:3], 2
	s_add_u32 s2, s21, s2
	s_movk_i32 s21, 0xf8
	s_addc_u32 s3, s24, s3
	s_ashr_i32 s37, s36, 31
	s_lshl_b32 s30, s19, 7
	s_lshl_b64 s[24:25], s[36:37], 8
	s_add_u32 s24, s12, s24
	v_mov_b32_e32 v67, 0
	s_addc_u32 s25, s13, s25
	v_lshlrev_b32_e32 v66, 4, v74
	v_lshlrev_b32_e32 v27, 8, v27
	s_mov_b32 s58, 0
	s_movk_i32 s26, 0x4000
	v_or_b32_e32 v98, v27, v29
	v_or_b32_e32 v99, v27, v30
	v_add_u32_e32 v128, v1, v2
	s_movk_i32 s37, 0x2000
	s_movk_i32 s59, 0x3000
	v_mov_b32_e32 v133, 0x3fb8aa3b
	v_mov_b32_e32 v58, v67
	;; [unrolled: 1-line block ×4, first 2 shown]
	s_waitcnt vmcnt(1)
	v_perm_b32 v34, v8, v16, s56
	s_waitcnt vmcnt(0)
	v_perm_b32 v35, v12, v20, s56
	v_perm_b32 v8, v8, v16, s57
	;; [unrolled: 1-line block ×15, first 2 shown]
	ds_write2st64_b32 v5, v34, v35 offset0:128 offset1:160
	ds_write2st64_b32 v7, v8, v12 offset0:128 offset1:160
	;; [unrolled: 1-line block ×8, first 2 shown]
	v_or_b32_e32 v5, 48, v74
	v_lshl_or_b32 v7, v5, 3, v6
	v_lshlrev_b32_e32 v5, 8, v5
	v_or_b32_e32 v102, v5, v29
	v_or_b32_e32 v103, v5, v30
	;; [unrolled: 1-line block ×3, first 2 shown]
	v_lshlrev_b32_e32 v5, 3, v5
	v_lshrrev_b32_e32 v9, 5, v75
	v_and_or_b32 v9, v5, s21, v9
	v_lshlrev_b32_e32 v9, 4, v9
	v_or_b32_e32 v100, 0x4000, v7
	v_or_b32_e32 v101, 0x6000, v7
	v_lshlrev_b32_e32 v7, 11, v76
	v_and_b32_e32 v5, 0x78, v5
	v_or_b32_e32 v14, 32, v9
	v_and_b32_e32 v8, 0x1000, v7
	v_xor_b32_e32 v10, v9, v5
	v_lshrrev_b32_e32 v11, 1, v0
	v_xor_b32_e32 v14, v14, v5
	v_or_b32_e32 v10, v10, v8
	v_and_b32_e32 v12, 8, v11
	v_or_b32_e32 v14, v14, v8
	v_xor_b32_e32 v104, v10, v12
	v_lshlrev_b32_e32 v10, 8, v77
	v_xor_b32_e32 v106, v14, v12
	v_or_b32_e32 v14, 64, v9
	v_or_b32_e32 v9, 0x60, v9
	;; [unrolled: 1-line block ×3, first 2 shown]
	v_xor_b32_e32 v14, v14, v5
	v_xor_b32_e32 v5, v9, v5
	v_lshlrev_b32_e32 v13, 1, v13
	v_or_b32_e32 v14, v14, v8
	v_or_b32_e32 v5, v5, v8
	;; [unrolled: 1-line block ×6, first 2 shown]
	v_xor_b32_e32 v110, v14, v12
	v_xor_b32_e32 v111, v5, v12
	v_or_b32_e32 v112, 0x6000, v13
	v_or_b32_e32 v113, 0x6080, v13
	;; [unrolled: 1-line block ×4, first 2 shown]
	v_lshlrev_b32_e32 v12, 1, v4
	v_add_lshl_u32 v13, v4, s19, 1
	s_movk_i32 s21, 0x100
	v_lshlrev_b32_e32 v4, 1, v74
	v_lshrrev_b32_e32 v15, 4, v0
	v_or_b32_e32 v5, 1, v4
	v_mov_b32_e32 v19, 0xa000
	v_mov_b32_e32 v20, 0x8000
	v_cmp_gt_u32_e32 vcc, s21, v0
	v_xor_b32_e32 v16, v15, v4
	v_xor_b32_e32 v17, v5, v15
	v_lshl_add_u64 v[4:5], s[24:25], 0, v[66:67]
	v_lshlrev_b32_e32 v66, 8, v15
	v_cndmask_b32_e32 v19, v19, v20, vcc
	v_lshlrev_b32_e32 v20, 3, v76
	v_and_b32_e32 v11, 24, v11
	v_lshl_or_b32 v116, v16, 3, v66
	v_and_b32_e32 v16, 8, v0
	v_xor_b32_e32 v21, v20, v11
	v_or_b32_e32 v22, 0x440, v21
	v_cmp_eq_u32_e32 vcc, 0, v16
	v_and_b32_e32 v15, 7, v0
	v_lshl_or_b32 v117, v17, 3, v66
	v_cndmask_b32_e32 v16, v22, v21, vcc
	v_lshlrev_b32_e32 v17, 3, v15
	v_lshlrev_b32_e32 v15, 7, v15
	v_or_b32_e32 v16, v16, v7
	v_lshlrev_b32_e32 v18, 2, v0
	v_xad_u32 v118, v16, v17, v15
	v_or_b32_e32 v16, 32, v11
	v_and_or_b32 v10, v18, 60, v10
	v_xor_b32_e32 v16, v20, v16
	v_lshlrev_b32_e32 v10, 1, v10
	v_or_b32_e32 v18, 0x440, v16
	v_or_b32_e32 v119, 0x6000, v10
	v_cndmask_b32_e32 v16, v18, v16, vcc
	v_or_b32_e32 v121, 0x6080, v10
	v_or_b32_e32 v122, 0x6100, v10
	;; [unrolled: 1-line block ×5, first 2 shown]
	v_xor_b32_e32 v10, v20, v10
	v_xad_u32 v120, v16, v17, v15
	v_xor_b32_e32 v16, 0x440, v10
	v_cndmask_b32_e32 v10, v16, v10, vcc
	v_or_b32_e32 v10, v10, v7
	v_xad_u32 v124, v10, v17, v15
	v_or_b32_e32 v10, 0x60, v11
	v_xor_b32_e32 v10, v20, v10
	v_xor_b32_e32 v11, 0x440, v10
	v_or_b32_e32 v8, s36, v74
	v_cndmask_b32_e32 v10, v11, v10, vcc
	v_ashrrev_i32_e32 v9, 31, v8
	v_or_b32_e32 v7, v10, v7
	v_or_b32_e32 v14, 0x100, v3
	v_xad_u32 v125, v7, v17, v15
	v_lshlrev_b64 v[8:9], 1, v[8:9]
	v_cndmask_b32_e64 v126, v12, v3, s[0:1]
	v_cndmask_b32_e64 v127, v13, v14, s[0:1]
	v_lshl_add_u64 v[68:69], s[8:9], 0, v[8:9]
	v_lshl_add_u64 v[70:71], s[14:15], 0, v[8:9]
	;; [unrolled: 1-line block ×3, first 2 shown]
	s_mov_b32 s21, 0x7060302
	v_lshlrev_b32_e32 v66, 1, v6
	v_add_u32_e32 v129, v19, v118
	v_add_u32_e32 v130, v19, v120
	;; [unrolled: 1-line block ×4, first 2 shown]
	v_mov_b32_e32 v61, v67
	v_mov_b32_e32 v62, v67
	v_mov_b32_e32 v63, v67
	v_mov_b32_e32 v64, v67
	v_mov_b32_e32 v65, v67
	v_mov_b32_e32 v50, v67
	v_mov_b32_e32 v51, v67
	v_mov_b32_e32 v52, v67
	v_mov_b32_e32 v53, v67
	v_mov_b32_e32 v54, v67
	v_mov_b32_e32 v55, v67
	v_mov_b32_e32 v56, v67
	v_mov_b32_e32 v57, v67
	v_mov_b32_e32 v42, v67
	v_mov_b32_e32 v43, v67
	v_mov_b32_e32 v44, v67
	v_mov_b32_e32 v45, v67
	v_mov_b32_e32 v46, v67
	v_mov_b32_e32 v47, v67
	v_mov_b32_e32 v48, v67
	v_mov_b32_e32 v49, v67
	v_mov_b32_e32 v36, v67
	v_mov_b32_e32 v37, v67
	v_mov_b32_e32 v38, v67
	v_mov_b32_e32 v39, v67
	v_mov_b32_e32 v40, v67
	v_mov_b32_e32 v41, v67
	v_mov_b32_e32 v34, v67
	v_mov_b32_e32 v35, v67
	s_waitcnt lgkmcnt(0)
	s_barrier
.LBB231_6:                              ; =>This Inner Loop Header: Depth=1
	s_add_i32 s60, s58, 1
	s_cmp_lt_i32 s60, s45
	s_mov_b64 s[28:29], 0
	s_cselect_b64 s[40:41], -1, 0
	s_cmp_ge_i32 s60, s45
	s_mov_b64 s[24:25], 0
	s_cbranch_scc1 .LBB231_8
; %bb.7:                                ;   in Loop: Header=BB231_6 Depth=1
	s_add_i32 s0, s52, 64
	s_ashr_i32 s1, s0, 31
	s_add_u32 s0, s49, s0
	s_addc_u32 s1, s48, s1
	s_lshl_b64 s[0:1], s[0:1], 8
	s_add_u32 s24, s6, s0
	s_addc_u32 s25, s7, s1
.LBB231_8:                              ;   in Loop: Header=BB231_6 Depth=1
	v_cndmask_b32_e64 v2, 0, 1, s[40:41]
	v_cmp_ne_u32_e64 s[0:1], 1, v2
	s_andn2_b64 vcc, exec, s[40:41]
	s_cbranch_vccnz .LBB231_10
; %bb.9:                                ;   in Loop: Header=BB231_6 Depth=1
	s_add_i32 s28, s52, 64
	s_mul_hi_i32 s29, s28, s18
	s_mul_i32 s28, s28, s18
	s_add_u32 s28, s28, s50
	s_addc_u32 s29, s29, s54
	s_lshl_b64 s[28:29], s[28:29], 8
	s_add_u32 s28, s4, s28
	s_addc_u32 s29, s5, s29
.LBB231_10:                             ;   in Loop: Header=BB231_6 Depth=1
	v_perm_b32 v3, v65, v64, s21
	v_perm_b32 v2, v63, v62, s21
	v_perm_b32 v5, v61, v60, s21
	v_perm_b32 v4, v59, v58, s21
	ds_write_b64 v88, v[2:3]
	ds_write_b64 v89, v[4:5]
	ds_write_b64 v94, v[2:3]
	ds_write_b64 v95, v[4:5]
	v_perm_b32 v3, v57, v56, s21
	v_perm_b32 v2, v55, v54, s21
	v_perm_b32 v5, v53, v52, s21
	v_perm_b32 v4, v51, v50, s21
	ds_write_b64 v90, v[2:3]
	ds_write_b64 v91, v[4:5]
	ds_write_b64 v96, v[2:3]
	ds_write_b64 v97, v[4:5]
	;; [unrolled: 8-line block ×4, first 2 shown]
	s_waitcnt lgkmcnt(0)
	s_barrier
	ds_read_b64 v[6:7], v104 offset:49152
	ds_read2_b64 v[2:5], v105 offset1:16
	ds_read_b64 v[18:19], v107 offset:6144
	ds_read_b64 v[20:21], v105 offset:6144
	s_waitcnt lgkmcnt(2)
	v_mfma_f32_16x16x16_bf16 a[0:3], v[6:7], v[2:3], 0
	ds_read_b64 v[22:23], v106 offset:49152
	ds_read2st64_b64 v[10:13], v108 offset0:4 offset1:8
	ds_read2st64_b64 v[14:17], v109 offset0:4 offset1:8
	v_mfma_f32_16x16x16_bf16 a[4:7], v[6:7], v[4:5], 0
	ds_read2_b64 v[2:5], v105 offset0:32 offset1:48
	s_add_i32 s31, s52, 63
	s_ashr_i32 s40, s31, 31
	s_waitcnt lgkmcnt(0)
	v_mfma_f32_16x16x16_bf16 a[8:11], v[6:7], v[2:3], 0
	s_mul_i32 s41, s31, s35
	s_mul_hi_u32 s61, s31, s34
	s_add_i32 s41, s61, s41
	v_mfma_f32_16x16x16_bf16 a[12:15], v[6:7], v[4:5], 0
	ds_read2st64_b64 v[2:5], v105 offset0:4 offset1:8
	ds_read2st64_b64 v[6:9], v107 offset0:4 offset1:8
	s_mul_i32 s40, s40, s34
	s_waitcnt lgkmcnt(1)
	v_mfma_f32_16x16x16_bf16 a[0:3], v[22:23], v[2:3], a[0:3]
	s_add_i32 s41, s41, s40
	s_mul_i32 s40, s31, s34
	s_lshl_b64 s[40:41], s[40:41], 2
	s_waitcnt lgkmcnt(0)
	v_mfma_f32_16x16x16_bf16 a[4:7], v[22:23], v[6:7], a[4:7]
	s_add_u32 s40, s2, s40
	s_addc_u32 s41, s3, s41
	s_and_b64 vcc, exec, s[0:1]
	v_mfma_f32_16x16x16_bf16 a[8:11], v[22:23], v[10:11], a[8:11]
	ds_read_b64 v[2:3], v110 offset:49152
	ds_read_b64 v[6:7], v111 offset:49152
	ds_read_b64 v[10:11], v109 offset:6144
	v_mov_b32_e32 v136, 0
	v_mov_b32_e32 v135, 0
	v_mfma_f32_16x16x16_bf16 a[12:15], v[22:23], v[14:15], a[12:15]
	v_mov_b32_e32 v134, 0
	v_mov_b32_e32 v14, 0
	v_mov_b32_e32 v15, 0
	s_waitcnt lgkmcnt(2)
	v_mfma_f32_16x16x16_bf16 a[0:3], v[2:3], v[4:5], a[0:3]
	v_mov_b32_e32 v4, 0
	v_mov_b32_e32 v5, 0
	v_mfma_f32_16x16x16_bf16 a[4:7], v[2:3], v[8:9], a[4:7]
	v_mov_b32_e32 v8, 0
	v_mov_b32_e32 v9, 0
	;; [unrolled: 3-line block ×3, first 2 shown]
	v_mfma_f32_16x16x16_bf16 a[12:15], v[2:3], v[16:17], a[12:15]
	ds_read_b64 v[2:3], v108 offset:6144
	v_mov_b32_e32 v16, 0
	v_mov_b32_e32 v17, 0
	s_waitcnt lgkmcnt(2)
	v_mfma_f32_16x16x16_bf16 a[0:3], v[6:7], v[20:21], a[0:3]
	v_mfma_f32_16x16x16_bf16 a[4:7], v[6:7], v[18:19], a[4:7]
	s_waitcnt lgkmcnt(0)
	v_mfma_f32_16x16x16_bf16 a[8:11], v[6:7], v[2:3], a[8:11]
	v_mov_b32_e32 v2, 0
	v_mov_b32_e32 v3, 0
	v_mfma_f32_16x16x16_bf16 a[12:15], v[6:7], v[10:11], a[12:15]
	v_mov_b32_e32 v6, 0
	v_mov_b32_e32 v7, 0
	;; [unrolled: 1-line block ×4, first 2 shown]
	s_cbranch_vccnz .LBB231_12
; %bb.11:                               ;   in Loop: Header=BB231_6 Depth=1
	s_and_b32 s25, s25, 0xffff
	buffer_load_dwordx4 v[14:17], v84, s[24:27], 0 offen
	buffer_load_dwordx4 v[10:13], v84, s[24:27], s55 offen
	;; [unrolled: 1-line block ×4, first 2 shown]
	v_mov_b32_e32 v135, v86
	v_mov_b32_e32 v134, v87
.LBB231_12:                             ;   in Loop: Header=BB231_6 Depth=1
	ds_read_b64 v[142:143], v104 offset:57344
	ds_read2_b64 v[18:21], v112 offset1:16
	ds_read_b64 v[144:145], v106 offset:57344
	ds_read_b64 v[146:147], v110 offset:57344
	;; [unrolled: 1-line block ×3, first 2 shown]
	v_add_u32_e32 v137, s52, v128
	s_waitcnt lgkmcnt(3)
	v_mfma_f32_16x16x16_bf16 a[0:3], v[142:143], v[18:19], a[0:3]
	v_mfma_f32_16x16x16_bf16 a[4:7], v[142:143], v[20:21], a[4:7]
	ds_read2_b64 v[18:21], v112 offset0:32 offset1:48
	ds_read2st64_b64 v[22:25], v112 offset0:4 offset1:8
	ds_read2st64_b64 v[26:29], v113 offset0:4 offset1:8
	ds_read2st64_b64 v[30:33], v114 offset0:4 offset1:8
	ds_read2st64_b64 v[138:141], v115 offset0:4 offset1:8
	s_waitcnt lgkmcnt(4)
	v_mfma_f32_16x16x16_bf16 a[8:11], v[142:143], v[18:19], a[8:11]
	v_ashrrev_i32_e32 v18, 31, v137
	v_mfma_f32_16x16x16_bf16 a[12:15], v[142:143], v[20:21], a[12:15]
	v_mul_lo_u32 v20, v18, s34
	v_mul_lo_u32 v21, v137, s35
	v_mad_u64_u32 v[18:19], s[24:25], v137, s34, 0
	v_add3_u32 v19, v19, v21, v20
	v_add_u32_e32 v20, 1, v137
	v_ashrrev_i32_e32 v21, 31, v20
	s_waitcnt lgkmcnt(3)
	v_mfma_f32_16x16x16_bf16 a[0:3], v[144:145], v[22:23], a[0:3]
	v_mul_lo_u32 v22, v21, s34
	v_mul_lo_u32 v23, v20, s35
	v_mad_u64_u32 v[20:21], s[24:25], v20, s34, 0
	v_add3_u32 v21, v21, v23, v22
	v_add_u32_e32 v22, 2, v137
	v_ashrrev_i32_e32 v23, 31, v22
	s_waitcnt lgkmcnt(2)
	v_mfma_f32_16x16x16_bf16 a[4:7], v[144:145], v[26:27], a[4:7]
	v_mul_lo_u32 v26, v23, s34
	v_mul_lo_u32 v27, v22, s35
	v_mad_u64_u32 v[22:23], s[24:25], v22, s34, 0
	v_lshl_add_u64 v[18:19], v[18:19], 2, s[2:3]
	v_lshl_add_u64 v[20:21], v[20:21], 2, s[2:3]
	v_add3_u32 v23, v23, v27, v26
	v_add_u32_e32 v26, 3, v137
	s_waitcnt lgkmcnt(1)
	v_mfma_f32_16x16x16_bf16 a[8:11], v[144:145], v[30:31], a[8:11]
	global_load_dword v31, v[18:19], off
	global_load_dword v137, v[20:21], off
	v_mad_u64_u32 v[18:19], s[24:25], v26, s34, 0
	v_ashrrev_i32_e32 v27, 31, v26
	s_ashr_i32 s25, s52, 31
	v_mul_lo_u32 v27, v27, s34
	v_mul_lo_u32 v30, v26, s35
	s_add_u32 s24, s49, s52
	v_lshl_add_u64 v[22:23], v[22:23], 2, s[2:3]
	v_add3_u32 v19, v19, v30, v27
	s_addc_u32 s25, s48, s25
	s_waitcnt lgkmcnt(0)
	v_mfma_f32_16x16x16_bf16 a[12:15], v[144:145], v[138:139], a[12:15]
	v_lshl_add_u64 v[18:19], v[18:19], 2, s[2:3]
	global_load_dword v30, v[22:23], off
	global_load_dword v138, v[18:19], off
	s_lshl_b64 s[24:25], s[24:25], 8
	v_lshl_add_u64 v[18:19], v[68:69], 0, s[24:25]
	v_lshl_add_u64 v[18:19], v[18:19], 0, v[66:67]
	global_load_ushort v139, v[18:19], off offset:256
	global_load_ushort v142, v[18:19], off
	global_load_ushort v143, v[18:19], off offset:768
	global_load_ushort v144, v[18:19], off offset:512
	;; [unrolled: 1-line block ×6, first 2 shown]
	s_load_dword s40, s[40:41], 0x0
	v_mfma_f32_16x16x16_bf16 a[12:15], v[146:147], v[140:141], a[12:15]
	global_load_ushort v140, v[18:19], off offset:320
	global_load_ushort v141, v[18:19], off offset:64
	s_and_b64 vcc, exec, s[0:1]
	v_mfma_f32_16x16x16_bf16 a[0:3], v[146:147], v[24:25], a[0:3]
	ds_read_b64 v[20:21], v112 offset:6144
	ds_read_b64 v[22:23], v113 offset:6144
	;; [unrolled: 1-line block ×4, first 2 shown]
	v_mfma_f32_16x16x16_bf16 a[4:7], v[146:147], v[28:29], a[4:7]
	s_waitcnt vmcnt(11) lgkmcnt(0)
	v_sub_f32_e32 v28, s40, v30
	v_mfma_f32_16x16x16_bf16 a[8:11], v[146:147], v[32:33], a[8:11]
	global_load_ushort v146, v[18:19], off offset:832
	global_load_ushort v147, v[18:19], off offset:576
	;; [unrolled: 1-line block ×6, first 2 shown]
	v_mfma_f32_16x16x16_bf16 a[0:3], v[148:149], v[20:21], a[0:3]
	s_waitcnt vmcnt(16)
	v_sub_f32_e32 v29, s40, v138
	v_mul_f32_e32 v28, 0x3fb8aa3b, v28
	v_mul_f32_e32 v29, 0x3fb8aa3b, v29
	v_exp_f32_e32 v28, v28
	v_exp_f32_e32 v29, v29
	s_waitcnt vmcnt(15)
	v_lshlrev_b32_e32 v33, 16, v139
	s_waitcnt vmcnt(14)
	v_lshlrev_b32_e32 v32, 16, v142
	v_accvgpr_read_b32 v21, a3
	v_accvgpr_read_b32 v20, a2
	v_mfma_f32_16x16x16_bf16 a[2:5], v[148:149], v[22:23], a[4:7]
	v_accvgpr_read_b32 v139, a1
	v_accvgpr_read_b32 v138, a0
	v_pk_add_f32 v[32:33], v[32:33], v[138:139] neg_lo:[0,1] neg_hi:[0,1]
	v_mfma_f32_16x16x16_bf16 a[6:9], v[148:149], v[24:25], a[8:11]
	s_waitcnt vmcnt(13)
	v_lshlrev_b32_e32 v139, 16, v143
	s_waitcnt vmcnt(12)
	v_lshlrev_b32_e32 v138, 16, v144
	v_pk_add_f32 v[20:21], v[138:139], v[20:21] neg_lo:[0,1] neg_hi:[0,1]
	v_accvgpr_read_b32 v139, a3
	v_accvgpr_read_b32 v138, a2
	;; [unrolled: 1-line block ×6, first 2 shown]
	v_mfma_f32_16x16x16_bf16 a[8:11], v[148:149], v[26:27], a[12:15]
	v_sub_f32_e32 v26, s40, v31
	v_sub_f32_e32 v27, s40, v137
	v_mul_f32_e32 v26, 0x3fb8aa3b, v26
	v_mul_f32_e32 v27, 0x3fb8aa3b, v27
	v_exp_f32_e32 v26, v26
	v_exp_f32_e32 v27, v27
	v_lshl_add_u64 v[30:31], v[70:71], 0, s[24:25]
	v_lshl_add_u64 v[30:31], v[30:31], 0, v[66:67]
	global_store_short_d16_hi v[30:31], v32, off
	global_store_short_d16_hi v[30:31], v33, off offset:256
	global_store_short_d16_hi v[30:31], v20, off offset:512
	;; [unrolled: 1-line block ×3, first 2 shown]
	v_pk_mul_f32 v[32:33], v[26:27], v[32:33]
	v_pk_mul_f32 v[20:21], v[28:29], v[20:21]
	v_accvgpr_read_b32 v25, a11
	v_perm_b32 v21, v21, v20, s21
	v_perm_b32 v20, v33, v32, s21
	s_waitcnt vmcnt(15)
	v_lshlrev_b32_e32 v33, 16, v145
	s_waitcnt vmcnt(14)
	v_lshlrev_b32_e32 v32, 16, v150
	v_pk_add_f32 v[32:33], v[32:33], v[138:139] neg_lo:[0,1] neg_hi:[0,1]
	s_waitcnt vmcnt(13)
	v_lshlrev_b32_e32 v139, 16, v151
	s_waitcnt vmcnt(12)
	v_lshlrev_b32_e32 v138, 16, v152
	v_pk_add_f32 v[22:23], v[138:139], v[22:23] neg_lo:[0,1] neg_hi:[0,1]
	global_store_short_d16_hi v[30:31], v32, off offset:32
	global_store_short_d16_hi v[30:31], v33, off offset:288
	;; [unrolled: 1-line block ×4, first 2 shown]
	v_pk_mul_f32 v[32:33], v[26:27], v[32:33]
	v_pk_mul_f32 v[22:23], v[28:29], v[22:23]
	v_accvgpr_read_b32 v24, a10
	v_perm_b32 v23, v23, v22, s21
	v_perm_b32 v22, v33, v32, s21
	ds_write2_b64 v89, v[20:21], v[22:23] offset1:16
	v_accvgpr_read_b32 v23, a7
	s_waitcnt vmcnt(15)
	v_lshlrev_b32_e32 v21, 16, v140
	s_waitcnt vmcnt(14)
	v_lshlrev_b32_e32 v20, 16, v141
	v_accvgpr_read_b32 v22, a6
	v_pk_add_f32 v[20:21], v[20:21], v[22:23] neg_lo:[0,1] neg_hi:[0,1]
	global_store_short_d16_hi v[30:31], v20, off offset:64
	global_store_short_d16_hi v[30:31], v21, off offset:320
	v_pk_mul_f32 v[20:21], v[26:27], v[20:21]
	v_mov_b32_e32 v137, 0
	v_perm_b32 v20, v21, v20, s21
	v_mov_b32_e32 v32, 0
	v_mov_b32_e32 v33, 0
	s_waitcnt vmcnt(15)
	v_lshlrev_b32_e32 v23, 16, v146
	s_waitcnt vmcnt(14)
	v_lshlrev_b32_e32 v22, 16, v147
	v_pk_add_f32 v[18:19], v[22:23], v[18:19] neg_lo:[0,1] neg_hi:[0,1]
	global_store_short_d16_hi v[30:31], v18, off offset:576
	global_store_short_d16_hi v[30:31], v19, off offset:832
	v_pk_mul_f32 v[18:19], v[28:29], v[18:19]
	v_accvgpr_read_b32 v23, a9
	v_perm_b32 v21, v19, v18, s21
	s_waitcnt vmcnt(15)
	v_lshlrev_b32_e32 v19, 16, v153
	s_waitcnt vmcnt(14)
	v_lshlrev_b32_e32 v18, 16, v154
	v_accvgpr_read_b32 v22, a8
	v_pk_add_f32 v[18:19], v[18:19], v[22:23] neg_lo:[0,1] neg_hi:[0,1]
	s_waitcnt vmcnt(13)
	v_lshlrev_b32_e32 v23, 16, v155
	s_waitcnt vmcnt(12)
	v_lshlrev_b32_e32 v22, 16, v156
	v_pk_add_f32 v[22:23], v[22:23], v[24:25] neg_lo:[0,1] neg_hi:[0,1]
	global_store_short_d16_hi v[30:31], v18, off offset:96
	global_store_short_d16_hi v[30:31], v19, off offset:352
	;; [unrolled: 1-line block ×4, first 2 shown]
	v_pk_mul_f32 v[18:19], v[26:27], v[18:19]
	v_pk_mul_f32 v[22:23], v[28:29], v[22:23]
	v_mov_b32_e32 v24, 0
	v_perm_b32 v23, v23, v22, s21
	v_perm_b32 v22, v19, v18, s21
	ds_write2_b64 v89, v[20:21], v[22:23] offset0:32 offset1:48
	v_mov_b32_e32 v18, 0
	v_mov_b32_e32 v19, 0
	;; [unrolled: 1-line block ×13, first 2 shown]
	s_cbranch_vccnz .LBB231_14
; %bb.13:                               ;   in Loop: Header=BB231_6 Depth=1
	s_and_b32 s29, s29, 0xffff
	s_mov_b32 s31, s27
	buffer_load_dwordx4 v[30:33], v126, s[28:31], 0 offen
	buffer_load_dwordx4 v[22:25], v126, s[28:31], s55 offen
	;; [unrolled: 1-line block ×4, first 2 shown]
	v_mov_b32_e32 v136, v83
	v_mov_b32_e32 v137, v82
.LBB231_14:                             ;   in Loop: Header=BB231_6 Depth=1
	s_waitcnt lgkmcnt(0)
	s_barrier
	ds_read_b64 v[146:147], v129
	ds_read2_b64 v[138:141], v119 offset1:16
	ds_read_b64 v[162:163], v130
	ds_read_b64 v[164:165], v131
	;; [unrolled: 1-line block ×3, first 2 shown]
	ds_read2_b64 v[142:145], v119 offset0:32 offset1:48
	s_waitcnt lgkmcnt(4)
	v_mfma_f32_16x16x16_bf16 a[0:3], v[146:147], v[138:139], 0
	ds_read2st64_b64 v[150:153], v121 offset0:4 offset1:8
	ds_read2st64_b64 v[154:157], v122 offset0:4 offset1:8
	;; [unrolled: 1-line block ×3, first 2 shown]
	v_mfma_f32_16x16x16_bf16 a[4:7], v[146:147], v[140:141], 0
	s_add_i32 s24, s46, s58
	s_mul_hi_i32 s25, s24, s51
	s_mul_i32 s24, s24, s51
	s_waitcnt lgkmcnt(3)
	v_mfma_f32_16x16x16_bf16 a[8:11], v[146:147], v[142:143], 0
	s_add_u32 s24, s24, s33
	s_addc_u32 s25, s25, s53
	s_lshl_b64 s[24:25], s[24:25], 15
	v_mfma_f32_16x16x16_bf16 a[12:15], v[146:147], v[144:145], 0
	ds_read2st64_b64 v[146:149], v119 offset0:4 offset1:8
	s_waitcnt lgkmcnt(0)
	v_mfma_f32_16x16x16_bf16 a[0:3], v[162:163], v[146:147], a[0:3]
	v_mfma_f32_16x16x16_bf16 a[4:7], v[162:163], v[150:151], a[4:7]
	;; [unrolled: 1-line block ×8, first 2 shown]
	ds_read_b64 v[162:163], v119 offset:6144
	ds_read_b64 v[164:165], v120 offset:40960
	;; [unrolled: 1-line block ×8, first 2 shown]
	s_waitcnt lgkmcnt(5)
	v_mfma_f32_16x16x16_bf16 a[16:19], v[168:169], v[138:139], 0
	v_mfma_f32_16x16x16_bf16 a[20:23], v[168:169], v[140:141], 0
	ds_read2st64_b64 v[138:141], v116 offset1:8
	v_mfma_f32_16x16x16_bf16 a[24:27], v[168:169], v[142:143], 0
	v_mfma_f32_16x16x16_bf16 a[28:31], v[168:169], v[144:145], 0
	ds_read2st64_b64 v[142:145], v117 offset1:8
	v_mfma_f32_16x16x16_bf16 a[16:19], v[164:165], v[146:147], a[16:19]
	s_waitcnt lgkmcnt(1)
	v_mov_b32_e32 v146, v138
	v_mov_b32_e32 v147, v139
	v_mfma_f32_16x16x16_bf16 a[20:23], v[164:165], v[150:151], a[20:23]
	v_lshl_add_u64 v[150:151], v[72:73], 0, s[24:25]
	v_mfma_f32_16x16x16_bf16 a[24:27], v[164:165], v[154:155], a[24:27]
	v_mfma_f32_16x16x16_bf16 a[28:31], v[164:165], v[158:159], a[28:31]
	;; [unrolled: 1-line block ×3, first 2 shown]
	s_waitcnt lgkmcnt(0)
	v_mov_b32_e32 v148, v142
	v_mov_b32_e32 v149, v143
	;; [unrolled: 1-line block ×3, first 2 shown]
	v_mfma_f32_16x16x16_bf16 a[32:35], v[176:177], v[152:153], a[20:23]
	v_mov_b32_e32 v143, v141
	ds_read2st64_b64 v[138:141], v116 offset0:16 offset1:24
	global_store_dwordx4 v[150:151], v[146:149], off
	v_mfma_f32_16x16x16_bf16 a[24:27], v[176:177], v[156:157], a[24:27]
	ds_read2st64_b64 v[146:149], v117 offset0:16 offset1:24
	v_add_co_u32_e32 v152, vcc, s37, v150
	v_mfma_f32_16x16x16_bf16 a[28:31], v[176:177], v[160:161], a[28:31]
	s_nop 0
	v_addc_co_u32_e32 v153, vcc, 0, v151, vcc
	global_store_dwordx4 v[152:153], v[142:145], off offset:-4096
	v_mfma_f32_16x16x16_bf16 a[0:3], v[166:167], v[162:163], a[0:3]
	s_waitcnt lgkmcnt(1)
	v_mov_b32_e32 v142, v138
	v_add_co_u32_e32 v138, vcc, s59, v150
	v_mfma_f32_16x16x16_bf16 a[4:7], v[166:167], v[170:171], a[4:7]
	v_mov_b32_e32 v143, v139
	v_addc_co_u32_e32 v139, vcc, 0, v151, vcc
	v_mfma_f32_16x16x16_bf16 a[8:11], v[166:167], v[172:173], a[8:11]
	s_waitcnt lgkmcnt(0)
	v_mov_b32_e32 v144, v146
	v_mov_b32_e32 v145, v147
	;; [unrolled: 1-line block ×3, first 2 shown]
	v_mfma_f32_16x16x16_bf16 a[12:15], v[166:167], v[174:175], a[12:15]
	v_mov_b32_e32 v147, v141
	s_and_b64 vcc, exec, s[0:1]
	global_store_dwordx4 v[152:153], v[142:145], off
	v_mfma_f32_16x16x16_bf16 a[20:23], v[178:179], v[162:163], a[16:19]
	global_store_dwordx4 v[138:139], v[146:149], off
	v_mfma_f32_16x16x16_bf16 a[16:19], v[178:179], v[170:171], a[32:35]
	v_mfma_f32_16x16x16_bf16 a[24:27], v[178:179], v[172:173], a[24:27]
	;; [unrolled: 1-line block ×3, first 2 shown]
	s_cbranch_vccnz .LBB231_16
; %bb.15:                               ;   in Loop: Header=BB231_6 Depth=1
	v_lshrrev_b32_e32 v138, 3, v136
	v_and_b32_e32 v138, 6, v138
	v_xor_b32_e32 v137, v138, v137
	v_lshlrev_b32_e32 v137, 2, v137
	v_and_b32_e32 v136, 8, v136
	v_xor_b32_e32 v139, 0x440, v137
	v_cmp_eq_u32_e32 vcc, 0, v136
	s_barrier
	s_nop 0
	v_cndmask_b32_e32 v136, v139, v137, vcc
	v_lshl_or_b32 v136, v138, 10, v136
	s_waitcnt vmcnt(5)
	v_perm_b32 v137, v30, v26, s56
	s_waitcnt vmcnt(4)
	v_perm_b32 v138, v22, v18, s56
	ds_write2st64_b32 v136, v137, v138 offset0:128 offset1:160
	v_xor_b32_e32 v137, 8, v136
	v_perm_b32 v26, v30, v26, s57
	v_perm_b32 v18, v22, v18, s57
	v_add_u32_e32 v22, 0x80, v137
	ds_write2st64_b32 v22, v26, v18 offset0:128 offset1:160
	v_xor_b32_e32 v18, 16, v136
	v_perm_b32 v22, v31, v27, s56
	v_perm_b32 v26, v23, v19, s56
	ds_write2st64_b32 v18, v22, v26 offset0:129 offset1:161
	v_xor_b32_e32 v18, 24, v136
	v_perm_b32 v22, v31, v27, s57
	v_perm_b32 v19, v23, v19, s57
	v_add_u32_e32 v18, 0x80, v18
	ds_write2st64_b32 v18, v22, v19 offset0:129 offset1:161
	v_xor_b32_e32 v18, 32, v136
	v_perm_b32 v19, v32, v28, s56
	;; [unrolled: 9-line block ×3, first 2 shown]
	v_perm_b32 v20, v25, v21, s56
	ds_write2st64_b32 v18, v19, v20 offset0:131 offset1:163
	v_xor_b32_e32 v18, 56, v136
	v_perm_b32 v19, v33, v29, s57
	v_perm_b32 v20, v25, v21, s57
	v_add_u32_e32 v18, 0x80, v18
	ds_write2st64_b32 v18, v19, v20 offset0:131 offset1:163
	ds_write_b64 v135, v[14:15] offset:49152
	v_xor_b32_e32 v14, 8, v135
	ds_write_b64 v14, v[16:17] offset:49152
	ds_write_b64 v135, v[10:11] offset:57344
	;; [unrolled: 1-line block ×4, first 2 shown]
	v_xor_b32_e32 v6, 8, v134
	ds_write_b64 v6, v[8:9] offset:49152
	ds_write_b64 v134, v[2:3] offset:57344
	;; [unrolled: 1-line block ×3, first 2 shown]
.LBB231_16:                             ;   in Loop: Header=BB231_6 Depth=1
	s_waitcnt vmcnt(6)
	v_mul_f32_e32 v22, s40, v133
	v_exp_f32_e32 v134, v22
	v_accvgpr_read_b32 v5, a3
	v_accvgpr_read_b32 v9, a7
	;; [unrolled: 1-line block ×4, first 2 shown]
	s_waitcnt vmcnt(4)
	v_accvgpr_read_b32 v18, a20
	v_accvgpr_read_b32 v25, a19
	;; [unrolled: 1-line block ×28, first 2 shown]
	s_add_i32 s52, s52, 64
	v_pk_fma_f32 v[62:63], v[134:135], v[62:63], v[2:3] op_sel_hi:[0,1,1]
	v_pk_fma_f32 v[64:65], v[134:135], v[64:65], v[4:5] op_sel_hi:[0,1,1]
	;; [unrolled: 1-line block ×15, first 2 shown]
	s_cmp_eq_u32 s45, s60
	v_pk_fma_f32 v[38:39], v[134:135], v[38:39], v[32:33] op_sel_hi:[0,1,1]
	s_cbranch_scc1 .LBB231_18
; %bb.17:                               ;   in Loop: Header=BB231_6 Depth=1
	s_mov_b32 s58, s60
	s_branch .LBB231_6
.LBB231_18:
	s_lshl_b32 s0, s45, 6
	s_sub_i32 s47, s47, s0
	s_cmp_gt_i32 s47, 0
	s_cbranch_scc0 .LBB231_99
; %bb.19:
	s_add_i32 s38, s0, s38
	s_ashr_i32 s2, s38, 31
	s_cmpk_lg_i32 s19, 0x80
	s_cselect_b64 s[30:31], -1, 0
	s_and_b64 vcc, exec, s[30:31]
	s_cbranch_vccz .LBB231_21
; %bb.20:
	s_mul_i32 s1, s38, s18
	s_ashr_i32 s3, s50, 31
	s_mul_hi_i32 s0, s38, s18
	s_add_u32 s40, s1, s50
	s_addc_u32 s41, s0, s3
	s_cbranch_execz .LBB231_22
	s_branch .LBB231_23
.LBB231_21:
                                        ; implicit-def: $sgpr40_sgpr41
.LBB231_22:
	s_mul_i32 s1, s50, s16
	s_mul_hi_i32 s0, s50, s16
	s_add_u32 s40, s1, s38
	s_addc_u32 s41, s0, s2
.LBB231_23:
	s_add_i32 s3, s45, s46
	s_ashr_i32 s16, s33, 31
	s_add_u32 s0, s49, s38
	v_lshlrev_b32_e32 v6, 6, v80
	v_lshlrev_b32_e32 v24, 2, v74
	s_addc_u32 s1, s48, s2
	s_mov_b32 s2, 0x7060302
	v_or_b32_e32 v9, v6, v24
	v_xor_b32_e32 v7, v80, v24
	v_perm_b32 v3, v65, v64, s2
	v_perm_b32 v2, v63, v62, s2
	;; [unrolled: 1-line block ×4, first 2 shown]
	v_lshlrev_b32_e32 v9, 1, v9
	v_xor_b32_e32 v8, v81, v24
	ds_write2st64_b64 v9, v[2:3], v[4:5] offset0:32 offset1:48
	v_lshlrev_b32_e32 v7, 1, v7
	v_lshlrev_b32_e32 v9, 8, v74
	v_or_b32_e32 v10, v7, v9
	v_lshlrev_b32_e32 v8, 1, v8
	ds_write_b64 v10, v[2:3]
	v_or_b32_e32 v2, v8, v9
	v_or_b32_e32 v9, 16, v74
	v_lshlrev_b32_e32 v23, 2, v9
	v_or_b32_e32 v10, v6, v23
	ds_write_b64 v2, v[4:5]
	v_perm_b32 v3, v57, v56, s2
	v_perm_b32 v2, v55, v54, s2
	;; [unrolled: 1-line block ×4, first 2 shown]
	v_lshlrev_b32_e32 v10, 1, v10
	v_lshlrev_b32_e32 v9, 8, v9
	ds_write2st64_b64 v10, v[2:3], v[4:5] offset0:32 offset1:48
	v_or_b32_e32 v10, v7, v9
	ds_write_b64 v10, v[2:3]
	v_or_b32_e32 v2, v8, v9
	v_or_b32_e32 v9, 32, v74
	v_lshlrev_b32_e32 v22, 2, v9
	v_or_b32_e32 v10, v6, v22
	s_lshl_b64 s[28:29], s[0:1], 8
	ds_write_b64 v2, v[4:5]
	v_perm_b32 v3, v49, v48, s2
	v_perm_b32 v2, v47, v46, s2
	;; [unrolled: 1-line block ×4, first 2 shown]
	v_lshlrev_b32_e32 v10, 1, v10
	v_lshlrev_b32_e32 v9, 8, v9
	s_add_u32 s0, s6, s28
	ds_write2st64_b64 v10, v[2:3], v[4:5] offset0:32 offset1:48
	v_or_b32_e32 v10, v7, v9
	s_addc_u32 s1, s7, s29
	ds_write_b64 v10, v[2:3]
	v_or_b32_e32 v2, v8, v9
	v_or_b32_e32 v9, 48, v74
	s_mul_hi_i32 s6, s3, s17
	s_mul_i32 s3, s3, s17
	ds_write_b64 v2, v[4:5]
	v_perm_b32 v3, v35, v34, s2
	v_perm_b32 v2, v41, v40, s2
	;; [unrolled: 1-line block ×4, first 2 shown]
	v_lshlrev_b32_e32 v19, 2, v9
	s_add_u32 s2, s3, s33
	v_or_b32_e32 v6, v6, v19
	s_addc_u32 s3, s6, s16
	v_lshlrev_b32_e32 v6, 1, v6
	s_ashr_i32 s37, s36, 31
	s_lshl_b64 s[2:3], s[2:3], 15
	ds_write2st64_b64 v6, v[2:3], v[4:5] offset0:32 offset1:48
	v_lshlrev_b32_e32 v6, 8, v9
	s_add_u32 s6, s12, s2
	v_or_b32_e32 v7, v7, v6
	s_addc_u32 s7, s13, s3
	s_lshl_b64 s[2:3], s[36:37], 8
	ds_write_b64 v7, v[2:3]
	v_or_b32_e32 v2, v8, v6
	s_add_u32 s2, s6, s2
	v_lshlrev_b32_e32 v3, 1, v74
	ds_write_b64 v2, v[4:5]
	v_lshrrev_b32_e32 v2, 4, v0
	s_addc_u32 s3, s7, s3
	v_or_b32_e32 v4, 1, v3
	v_lshlrev_b32_e32 v10, 4, v74
	v_mov_b32_e32 v11, 0
	v_xor_b32_e32 v3, v2, v3
	v_xor_b32_e32 v6, v4, v2
	v_lshl_add_u64 v[12:13], s[2:3], 0, v[10:11]
	v_lshlrev_b32_e32 v10, 8, v2
	v_lshl_or_b32 v16, v3, 3, v10
	v_lshl_or_b32 v17, v6, 3, v10
	s_waitcnt lgkmcnt(0)
	s_barrier
	ds_read2st64_b64 v[2:5], v16 offset1:8
	ds_read2st64_b64 v[6:9], v17 offset1:8
	v_lshl_add_u64 v[14:15], v[12:13], 0, v[10:11]
	s_movk_i32 s2, 0x2000
	s_cmp_lg_u32 s47, 64
	s_waitcnt lgkmcnt(1)
	v_mov_b32_e32 v10, v2
	v_mov_b32_e32 v11, v3
	s_waitcnt lgkmcnt(0)
	v_mov_b32_e32 v12, v6
	v_mov_b32_e32 v13, v7
	global_store_dwordx4 v[14:15], v[10:13], off
	v_mov_b32_e32 v6, v4
	v_mov_b32_e32 v7, v5
	ds_read2st64_b64 v[2:5], v16 offset0:16 offset1:24
	ds_read2st64_b64 v[10:13], v17 offset0:16 offset1:24
	v_add_co_u32_e32 v16, vcc, s2, v14
	s_cselect_b64 s[6:7], -1, 0
	s_nop 0
	v_addc_co_u32_e32 v17, vcc, 0, v15, vcc
	global_store_dwordx4 v[16:17], v[6:9], off offset:-4096
	v_lshl_or_b32 v25, v76, 3, v79
	s_mov_b32 s24, 0
	s_waitcnt lgkmcnt(1)
	v_mov_b32_e32 v6, v2
	v_add_co_u32_e32 v2, vcc, 0x3000, v14
	v_mov_b32_e32 v7, v3
	s_nop 0
	v_addc_co_u32_e32 v3, vcc, 0, v15, vcc
	s_waitcnt lgkmcnt(0)
	v_mov_b32_e32 v8, v10
	v_mov_b32_e32 v9, v11
	v_mov_b32_e32 v10, v4
	v_mov_b32_e32 v11, v5
	v_or_b32_e32 v20, 32, v25
	v_and_b32_e32 v18, 56, v78
	s_and_b64 vcc, exec, s[6:7]
	global_store_dwordx4 v[16:17], v[6:9], off
	global_store_dwordx4 v[2:3], v[10:13], off
	s_cbranch_vccz .LBB231_29
; %bb.24:
	s_mov_b32 s25, s24
	s_mov_b32 s26, s24
	;; [unrolled: 1-line block ×3, first 2 shown]
	v_mov_b64_e32 v[6:7], s[24:25]
	v_mov_b64_e32 v[8:9], s[26:27]
	;; [unrolled: 1-line block ×3, first 2 shown]
	v_cmp_gt_i32_e32 vcc, s47, v25
	v_mov_b64_e32 v[4:5], v[8:9]
	s_and_saveexec_b64 s[2:3], vcc
	s_cbranch_execz .LBB231_26
; %bb.25:
	v_lshlrev_b32_e32 v2, 8, v25
	v_mov_b32_e32 v3, 0
	v_lshl_add_u64 v[4:5], s[0:1], 0, v[2:3]
	v_lshlrev_b32_e32 v2, 1, v18
	v_lshl_add_u64 v[10:11], v[4:5], 0, v[2:3]
	global_load_dwordx4 v[6:9], v[10:11], off
	global_load_dwordx4 v[2:5], v[10:11], off offset:128
.LBB231_26:
	s_or_b64 exec, exec, s[2:3]
	s_mov_b32 s25, s24
	s_mov_b32 s26, s24
	;; [unrolled: 1-line block ×3, first 2 shown]
	v_mov_b64_e32 v[14:15], s[24:25]
	v_mov_b64_e32 v[16:17], s[26:27]
	;; [unrolled: 1-line block ×3, first 2 shown]
	v_cmp_gt_i32_e32 vcc, s47, v20
	v_lshlrev_b32_e32 v21, 7, v20
	v_mov_b64_e32 v[12:13], v[16:17]
	s_and_saveexec_b64 s[2:3], vcc
	s_cbranch_execz .LBB231_28
; %bb.27:
	v_lshlrev_b32_e32 v10, 1, v21
	v_mov_b32_e32 v11, 0
	v_lshl_add_u64 v[12:13], s[0:1], 0, v[10:11]
	v_lshlrev_b32_e32 v10, 1, v18
	v_lshl_add_u64 v[26:27], v[12:13], 0, v[10:11]
	global_load_dwordx4 v[14:17], v[26:27], off
	global_load_dwordx4 v[10:13], v[26:27], off offset:128
.LBB231_28:
	s_or_b64 exec, exec, s[2:3]
	v_lshrrev_b32_e32 v26, 3, v18
	v_lshlrev_b32_e32 v27, 3, v25
	v_or_b32_e32 v26, v27, v26
	v_lshlrev_b32_e32 v26, 4, v26
	v_and_b32_e32 v27, 0x78, v27
	v_xor_b32_e32 v26, v26, v27
	s_branch .LBB231_31
.LBB231_29:
                                        ; implicit-def: $vgpr26
                                        ; implicit-def: $vgpr21
                                        ; implicit-def: $vgpr6_vgpr7_vgpr8_vgpr9
                                        ; implicit-def: $vgpr2_vgpr3_vgpr4_vgpr5
                                        ; implicit-def: $vgpr14_vgpr15_vgpr16_vgpr17
                                        ; implicit-def: $vgpr10_vgpr11_vgpr12_vgpr13
	s_cbranch_execz .LBB231_31
; %bb.30:
	s_waitcnt vmcnt(0)
	v_lshlrev_b32_e32 v2, 1, v18
	v_lshl_or_b32 v21, v25, 8, v2
	s_and_b32 s1, s1, 0xffff
	s_mov_b32 s3, 0x20000
	s_movk_i32 s2, 0x4000
	v_lshl_or_b32 v26, v20, 8, v2
	s_movk_i32 s12, 0x80
	buffer_load_dwordx4 v[6:9], v21, s[0:3], 0 offen
	buffer_load_dwordx4 v[2:5], v21, s[0:3], s12 offen
	;; [unrolled: 1-line block ×4, first 2 shown]
	v_lshrrev_b32_e32 v21, 3, v18
	v_lshlrev_b32_e32 v26, 3, v25
	v_or_b32_e32 v21, v26, v21
	v_lshlrev_b32_e32 v21, 4, v21
	v_and_b32_e32 v26, 0x78, v26
	v_xor_b32_e32 v26, v21, v26
	v_lshlrev_b32_e32 v21, 7, v20
.LBB231_31:
	s_movk_i32 s0, 0x1000
	v_and_or_b32 v20, v21, s0, v26
	s_waitcnt vmcnt(1)
	ds_write_b64 v26, v[6:7] offset:49152
	v_xor_b32_e32 v6, 8, v26
	ds_write_b64 v6, v[8:9] offset:49152
	s_waitcnt vmcnt(0)
	ds_write_b64 v26, v[2:3] offset:57344
	ds_write_b64 v6, v[4:5] offset:57344
	;; [unrolled: 1-line block ×3, first 2 shown]
	v_xor_b32_e32 v2, 8, v20
	ds_write_b64 v2, v[16:17] offset:49152
	ds_write_b64 v20, v[10:11] offset:57344
	;; [unrolled: 1-line block ×3, first 2 shown]
	v_or_b32_e32 v2, v1, v74
	v_lshlrev_b32_e32 v3, 11, v76
	v_lshlrev_b32_e32 v2, 3, v2
	v_and_b32_e32 v6, 0x1000, v3
	v_lshrrev_b32_e32 v3, 5, v75
	s_movk_i32 s0, 0xf8
	v_and_or_b32 v3, v2, s0, v3
	v_lshlrev_b32_e32 v7, 4, v3
	v_and_b32_e32 v8, 0x78, v2
	v_or_b32_e32 v10, 32, v7
	v_lshrrev_b32_e32 v3, 1, v75
	v_xor_b32_e32 v10, v10, v8
	v_xor_b32_e32 v2, v7, v8
	v_and_b32_e32 v9, 8, v3
	v_or_b32_e32 v10, v10, v6
	v_or_b32_e32 v2, v2, v6
	v_xor_b32_e32 v28, v10, v9
	v_or_b32_e32 v10, 64, v7
	v_xor_b32_e32 v27, v2, v9
	v_xor_b32_e32 v10, v10, v8
	s_waitcnt lgkmcnt(0)
	s_barrier
	v_or_b32_e32 v13, v10, v6
	ds_read_b64 v[10:11], v27 offset:49152
	v_lshl_or_b32 v14, v77, 8, v24
	v_lshlrev_b32_e32 v26, 1, v14
	v_add_u32_e32 v12, 0x4000, v26
	ds_read2_b64 v[2:5], v12 offset1:16
	v_or_b32_e32 v7, 0x60, v7
	v_xor_b32_e32 v7, v7, v8
	v_or_b32_e32 v6, v7, v6
	v_xor_b32_e32 v29, v13, v9
	v_xor_b32_e32 v30, v6, v9
	ds_read_b64 v[20:21], v28 offset:49152
	ds_read_b64 v[34:35], v29 offset:49152
	;; [unrolled: 1-line block ×3, first 2 shown]
	s_waitcnt lgkmcnt(3)
	v_mfma_f32_16x16x16_bf16 a[0:3], v[10:11], v[2:3], 0
	ds_read2_b64 v[6:9], v12 offset0:32 offset1:48
	s_lshl_b64 s[0:1], s[40:41], 8
	s_add_u32 s4, s4, s0
	v_mfma_f32_16x16x16_bf16 a[4:7], v[10:11], v[4:5], 0
	ds_read2st64_b64 v[2:5], v26 offset0:36 offset1:40
	s_addc_u32 s5, s5, s1
	s_add_i32 s2, s39, -1
	s_waitcnt lgkmcnt(1)
	v_mfma_f32_16x16x16_bf16 a[8:11], v[10:11], v[6:7], 0
	v_or_b32_e32 v6, 64, v14
	v_lshlrev_b32_e32 v31, 1, v6
	s_add_i32 s0, s43, s42
	s_waitcnt lgkmcnt(0)
	v_mfma_f32_16x16x16_bf16 a[0:3], v[20:21], v[2:3], a[0:3]
	v_or_b32_e32 v2, 0x80, v14
	v_lshlrev_b32_e32 v32, 1, v2
	v_or_b32_e32 v2, 0xc0, v14
	v_mfma_f32_16x16x16_bf16 a[12:15], v[10:11], v[8:9], 0
	ds_read2st64_b64 v[6:9], v31 offset0:36 offset1:40
	v_lshlrev_b32_e32 v33, 1, v2
	ds_read2st64_b64 v[10:13], v32 offset0:36 offset1:40
	ds_read2st64_b64 v[14:17], v33 offset0:36 offset1:40
	s_add_i32 s21, s0, s44
	s_mul_i32 s0, s33, s23
	s_mul_hi_u32 s1, s33, s22
	s_ashr_i32 s3, s2, 31
	s_mul_i32 s12, s2, s35
	s_mul_hi_u32 s13, s2, s34
	s_waitcnt lgkmcnt(2)
	v_mfma_f32_16x16x16_bf16 a[4:7], v[20:21], v[6:7], a[4:7]
	s_add_i32 s0, s1, s0
	s_mul_i32 s1, s16, s22
	s_add_i32 s12, s13, s12
	s_mul_i32 s3, s3, s34
	s_waitcnt lgkmcnt(1)
	v_mfma_f32_16x16x16_bf16 a[8:11], v[20:21], v[10:11], a[8:11]
	s_add_i32 s1, s0, s1
	s_add_i32 s3, s12, s3
	s_lshl_b64 s[12:13], s[20:21], 2
	s_waitcnt lgkmcnt(0)
	v_mfma_f32_16x16x16_bf16 a[12:15], v[20:21], v[14:15], a[12:15]
	s_mul_i32 s0, s33, s22
	s_add_u32 s10, s10, s12
	s_addc_u32 s11, s11, s13
	s_lshl_b64 s[0:1], s[0:1], 2
	v_mfma_f32_16x16x16_bf16 a[0:3], v[34:35], v[4:5], a[0:3]
	s_mul_i32 s2, s2, s34
	ds_read_b64 v[2:3], v26 offset:22528
	s_add_u32 s10, s10, s0
	v_mfma_f32_16x16x16_bf16 a[4:7], v[34:35], v[8:9], a[4:7]
	ds_read_b64 v[4:5], v31 offset:22528
	ds_read_b64 v[6:7], v32 offset:22528
	ds_read_b64 v[8:9], v33 offset:22528
	s_addc_u32 s11, s11, s1
	s_lshl_b64 s[0:1], s[2:3], 2
	v_mfma_f32_16x16x16_bf16 a[8:11], v[34:35], v[12:13], a[8:11]
	s_add_u32 s0, s10, s0
	s_addc_u32 s1, s11, s1
	s_load_dword s12, s[0:1], 0x0
	v_mfma_f32_16x16x16_bf16 a[12:15], v[34:35], v[16:17], a[12:15]
	s_and_b64 vcc, exec, s[30:31]
	s_waitcnt lgkmcnt(0)
	v_mfma_f32_16x16x16_bf16 a[0:3], v[36:37], v[2:3], a[0:3]
	v_mfma_f32_16x16x16_bf16 a[4:7], v[36:37], v[4:5], a[4:7]
	;; [unrolled: 1-line block ×4, first 2 shown]
	s_cbranch_vccz .LBB231_42
; %bb.32:
	v_lshlrev_b32_e32 v20, 1, v25
	s_and_b64 vcc, exec, s[6:7]
	s_cbranch_vccz .LBB231_43
; %bb.33:
	v_cmp_gt_i32_e32 vcc, s47, v20
	v_mov_b32_e32 v6, 0
	v_mov_b32_e32 v2, 0
	;; [unrolled: 1-line block ×5, first 2 shown]
	s_and_saveexec_b64 s[0:1], vcc
	s_cbranch_execz .LBB231_35
; %bb.34:
	v_mad_i64_i32 v[2:3], s[2:3], s19, v20, 0
	v_lshl_add_u64 v[2:3], v[2:3], 1, s[4:5]
	v_lshlrev_b32_e32 v4, 1, v18
	v_mov_b32_e32 v5, 0
	v_lshl_add_u64 v[2:3], v[2:3], 0, v[4:5]
	global_load_dwordx4 v[2:5], v[2:3], off
.LBB231_35:
	s_or_b64 exec, exec, s[0:1]
	v_or_b32_e32 v21, 1, v20
	v_cmp_gt_i32_e64 s[0:1], s47, v21
	v_mov_b32_e32 v7, 0
	v_mov_b32_e32 v8, 0
	;; [unrolled: 1-line block ×3, first 2 shown]
	s_and_saveexec_b64 s[2:3], s[0:1]
	s_cbranch_execz .LBB231_37
; %bb.36:
	v_mad_i64_i32 v[6:7], s[16:17], s19, v21, 0
	v_lshl_add_u64 v[6:7], v[6:7], 1, s[4:5]
	v_lshlrev_b32_e32 v8, 1, v18
	v_mov_b32_e32 v9, 0
	v_lshl_add_u64 v[6:7], v[6:7], 0, v[8:9]
	global_load_dwordx4 v[6:9], v[6:7], off
.LBB231_37:
	s_or_b64 exec, exec, s[2:3]
	v_mov_b32_e32 v17, 0
	v_mov_b32_e32 v10, 0
	;; [unrolled: 1-line block ×5, first 2 shown]
	s_and_saveexec_b64 s[2:3], vcc
	s_cbranch_execz .LBB231_39
; %bb.38:
	v_mad_i64_i32 v[10:11], s[16:17], s19, v20, 0
	v_lshl_add_u64 v[10:11], v[10:11], 1, s[4:5]
	v_lshlrev_b32_e32 v12, 1, v18
	v_mov_b32_e32 v13, 0
	v_lshl_add_u64 v[10:11], v[10:11], 0, v[12:13]
	global_load_dwordx4 v[10:13], v[10:11], off offset:128
.LBB231_39:
	s_or_b64 exec, exec, s[2:3]
	v_mov_b32_e32 v16, 0
	v_mov_b32_e32 v15, 0
	;; [unrolled: 1-line block ×3, first 2 shown]
	s_and_saveexec_b64 s[2:3], s[0:1]
	s_cbranch_execz .LBB231_41
; %bb.40:
	v_mad_i64_i32 v[14:15], s[0:1], s19, v21, 0
	v_lshl_add_u64 v[14:15], v[14:15], 1, s[4:5]
	v_lshlrev_b32_e32 v16, 1, v18
	v_mov_b32_e32 v17, 0
	v_lshl_add_u64 v[14:15], v[14:15], 0, v[16:17]
	global_load_dwordx4 v[14:17], v[14:15], off offset:128
.LBB231_41:
	s_or_b64 exec, exec, s[2:3]
	s_branch .LBB231_45
.LBB231_42:
                                        ; implicit-def: $vgpr5
                                        ; implicit-def: $vgpr9
                                        ; implicit-def: $vgpr13
                                        ; implicit-def: $vgpr17
	v_lshrrev_b32_e32 v34, 2, v75
	s_branch .LBB231_46
.LBB231_43:
                                        ; implicit-def: $vgpr5
                                        ; implicit-def: $vgpr9
                                        ; implicit-def: $vgpr13
                                        ; implicit-def: $vgpr17
	s_cbranch_execz .LBB231_45
; %bb.44:
	s_waitcnt vmcnt(0)
	v_mad_u64_u32 v[2:3], s[0:1], v20, s19, v[18:19]
	v_lshlrev_b32_e32 v20, 1, v2
	s_lshl_b32 s2, s19, 7
	s_and_b32 s1, s5, 0xffff
	s_mov_b32 s3, 0x20000
	s_mov_b32 s0, s4
	v_add_lshl_u32 v21, v2, s19, 1
	s_movk_i32 s13, 0x80
	buffer_load_dwordx4 v[2:5], v20, s[0:3], 0 offen
	buffer_load_dwordx4 v[10:13], v20, s[0:3], s13 offen
	;; [unrolled: 1-line block ×4, first 2 shown]
.LBB231_45:
	v_lshrrev_b32_e32 v34, 2, v75
	s_cbranch_execnz .LBB231_58
.LBB231_46:
	s_and_b64 vcc, exec, s[6:7]
	s_cbranch_vccz .LBB231_56
; %bb.47:
	s_waitcnt vmcnt(0)
	v_lshlrev_b32_e32 v7, 1, v25
	v_cmp_gt_i32_e32 vcc, s47, v7
	v_mov_b32_e32 v6, 0
	v_lshlrev_b32_e32 v14, 9, v25
	v_mov_b32_e32 v2, 0
	v_mov_b32_e32 v3, 0
	;; [unrolled: 1-line block ×4, first 2 shown]
	s_and_saveexec_b64 s[0:1], vcc
	s_cbranch_execz .LBB231_49
; %bb.48:
	v_mov_b32_e32 v15, 0
	v_lshl_add_u64 v[2:3], s[4:5], 0, v[14:15]
	v_lshlrev_b32_e32 v4, 1, v18
	v_mov_b32_e32 v5, v15
	v_lshl_add_u64 v[2:3], v[2:3], 0, v[4:5]
	global_load_dwordx4 v[2:5], v[2:3], off
.LBB231_49:
	s_or_b64 exec, exec, s[0:1]
	v_or_b32_e32 v7, 1, v7
	v_cmp_gt_i32_e64 s[0:1], s47, v7
	v_lshlrev_b32_e32 v20, 8, v7
	v_mov_b32_e32 v7, 0
	v_mov_b32_e32 v8, 0
	v_mov_b32_e32 v9, 0
	s_and_saveexec_b64 s[2:3], s[0:1]
	s_cbranch_execz .LBB231_51
; %bb.50:
	v_mov_b32_e32 v21, 0
	v_lshl_add_u64 v[6:7], s[4:5], 0, v[20:21]
	v_lshlrev_b32_e32 v8, 1, v18
	v_mov_b32_e32 v9, v21
	v_lshl_add_u64 v[6:7], v[6:7], 0, v[8:9]
	global_load_dwordx4 v[6:9], v[6:7], off
.LBB231_51:
	s_or_b64 exec, exec, s[2:3]
	v_mov_b32_e32 v17, 0
	v_mov_b32_e32 v10, 0
	;; [unrolled: 1-line block ×5, first 2 shown]
	s_and_saveexec_b64 s[2:3], vcc
	s_cbranch_execz .LBB231_53
; %bb.52:
	v_mov_b32_e32 v15, 0
	v_lshl_add_u64 v[10:11], s[4:5], 0, v[14:15]
	v_lshlrev_b32_e32 v14, 1, v18
	v_lshl_add_u64 v[10:11], v[10:11], 0, v[14:15]
	global_load_dwordx4 v[10:13], v[10:11], off offset:128
.LBB231_53:
	s_or_b64 exec, exec, s[2:3]
	v_mov_b32_e32 v16, 0
	v_mov_b32_e32 v15, 0
	;; [unrolled: 1-line block ×3, first 2 shown]
	s_and_saveexec_b64 s[2:3], s[0:1]
	s_cbranch_execz .LBB231_55
; %bb.54:
	v_mov_b32_e32 v21, 0
	v_lshl_add_u64 v[14:15], s[4:5], 0, v[20:21]
	v_lshlrev_b32_e32 v20, 1, v18
	v_lshl_add_u64 v[14:15], v[14:15], 0, v[20:21]
	global_load_dwordx4 v[14:17], v[14:15], off offset:128
.LBB231_55:
	s_or_b64 exec, exec, s[2:3]
	s_branch .LBB231_58
.LBB231_56:
                                        ; implicit-def: $vgpr5
                                        ; implicit-def: $vgpr9
                                        ; implicit-def: $vgpr13
                                        ; implicit-def: $vgpr17
	s_cbranch_execz .LBB231_58
; %bb.57:
	s_waitcnt vmcnt(0)
	v_lshlrev_b32_e32 v2, 1, v18
	v_lshl_or_b32 v18, v25, 9, v2
	s_and_b32 s5, s5, 0xffff
	s_mov_b32 s7, 0x20000
	s_movk_i32 s6, 0x4000
	s_movk_i32 s0, 0x80
	buffer_load_dwordx4 v[2:5], v18, s[4:7], 0 offen
	buffer_load_dwordx4 v[6:9], v18, s[4:7], 0 offen offset:256
	buffer_load_dwordx4 v[10:13], v18, s[4:7], s0 offen
	buffer_load_dwordx4 v[14:17], v18, s[4:7], s0 offen offset:256
.LBB231_58:
	ds_read_b64 v[20:21], v27 offset:57344
	v_add_u32_e32 v18, 0x6000, v26
	ds_read2_b64 v[36:39], v18 offset1:16
	ds_read_b64 v[52:53], v28 offset:57344
	ds_read_b64 v[28:29], v29 offset:57344
	;; [unrolled: 1-line block ×3, first 2 shown]
	ds_read2st64_b64 v[40:43], v26 offset0:52 offset1:56
	s_mov_b32 s0, 0x1000504
	s_mov_b32 s1, 0x3020706
	s_waitcnt lgkmcnt(4)
	v_mfma_f32_16x16x16_bf16 a[0:3], v[20:21], v[36:37], a[0:3]
	v_mfma_f32_16x16x16_bf16 a[4:7], v[20:21], v[38:39], a[4:7]
	ds_read2_b64 v[36:39], v18 offset0:32 offset1:48
	v_and_b32_e32 v18, 6, v0
	v_xor_b32_e32 v25, v25, v18
	s_waitcnt lgkmcnt(0)
	v_mfma_f32_16x16x16_bf16 a[8:11], v[20:21], v[36:37], a[8:11]
	v_lshlrev_b32_e32 v25, 2, v25
	v_and_b32_e32 v0, 1, v0
	v_xor_b32_e32 v35, 0x440, v25
	v_mfma_f32_16x16x16_bf16 a[12:15], v[20:21], v[38:39], a[12:15]
	ds_read2st64_b64 v[36:39], v31 offset0:52 offset1:56
	ds_read2st64_b64 v[44:47], v32 offset0:52 offset1:56
	;; [unrolled: 1-line block ×3, first 2 shown]
	v_cmp_eq_u32_e32 vcc, 0, v0
	ds_read_b64 v[20:21], v26 offset:30720
	ds_read_b64 v[26:27], v31 offset:30720
	;; [unrolled: 1-line block ×4, first 2 shown]
	v_mfma_f32_16x16x16_bf16 a[0:3], v[52:53], v[40:41], a[0:3]
	v_cndmask_b32_e32 v0, v35, v25, vcc
	v_lshl_or_b32 v0, v18, 10, v0
	s_waitcnt vmcnt(0)
	v_perm_b32 v18, v2, v6, s0
	s_waitcnt lgkmcnt(6)
	v_mfma_f32_16x16x16_bf16 a[4:7], v[52:53], v[36:37], a[4:7]
	v_perm_b32 v25, v10, v14, s0
	ds_write2st64_b32 v0, v18, v25 offset0:128 offset1:160
	v_xor_b32_e32 v18, 8, v0
	s_waitcnt lgkmcnt(6)
	v_mfma_f32_16x16x16_bf16 a[8:11], v[52:53], v[44:45], a[8:11]
	v_perm_b32 v2, v2, v6, s1
	v_perm_b32 v6, v10, v14, s1
	v_add_u32_e32 v10, 0x80, v18
	s_waitcnt lgkmcnt(5)
	v_mfma_f32_16x16x16_bf16 a[12:15], v[52:53], v[48:49], a[12:15]
	ds_write2st64_b32 v10, v2, v6 offset0:128 offset1:160
	v_xor_b32_e32 v2, 16, v0
	v_perm_b32 v6, v3, v7, s0
	v_mfma_f32_16x16x16_bf16 a[0:3], v[28:29], v[42:43], a[0:3]
	v_perm_b32 v10, v11, v15, s0
	ds_write2st64_b32 v2, v6, v10 offset0:129 offset1:161
	v_xor_b32_e32 v2, 24, v0
	v_mfma_f32_16x16x16_bf16 a[4:7], v[28:29], v[38:39], a[4:7]
	v_perm_b32 v3, v3, v7, s1
	v_perm_b32 v6, v11, v15, s1
	v_add_u32_e32 v2, 0x80, v2
	v_mfma_f32_16x16x16_bf16 a[16:19], v[28:29], v[46:47], a[8:11]
	ds_write2st64_b32 v2, v3, v6 offset0:129 offset1:161
	v_xor_b32_e32 v2, 32, v0
	v_perm_b32 v3, v4, v8, s0
	v_mfma_f32_16x16x16_bf16 a[20:23], v[28:29], v[50:51], a[12:15]
	v_perm_b32 v6, v12, v16, s0
	ds_write2st64_b32 v2, v3, v6 offset0:130 offset1:162
	v_xor_b32_e32 v2, 40, v0
	s_waitcnt lgkmcnt(8)
	v_mfma_f32_16x16x16_bf16 a[12:15], v[54:55], v[20:21], a[0:3]
	v_perm_b32 v3, v4, v8, s1
	v_perm_b32 v4, v12, v16, s1
	v_add_u32_e32 v2, 0x80, v2
	s_waitcnt lgkmcnt(7)
	v_mfma_f32_16x16x16_bf16 a[8:11], v[54:55], v[26:27], a[4:7]
	ds_write2st64_b32 v2, v3, v4 offset0:130 offset1:162
	v_xor_b32_e32 v2, 48, v0
	v_perm_b32 v3, v5, v9, s0
	s_waitcnt lgkmcnt(7)
	v_mfma_f32_16x16x16_bf16 a[4:7], v[54:55], v[30:31], a[16:19]
	v_perm_b32 v4, v13, v17, s0
	v_xor_b32_e32 v0, 56, v0
	v_and_or_b32 v21, v34, 12, v1
	s_waitcnt lgkmcnt(6)
	v_mfma_f32_16x16x16_bf16 a[0:3], v[54:55], v[32:33], a[20:23]
	ds_write2st64_b32 v2, v3, v4 offset0:131 offset1:163
	v_perm_b32 v2, v5, v9, s1
	v_perm_b32 v3, v13, v17, s1
	v_add_u32_e32 v0, 0x80, v0
	v_cmp_gt_i32_e32 vcc, s47, v21
	v_mov_b32_e32 v16, 0
	v_mov_b32_e32 v18, 0
	ds_write2st64_b32 v0, v2, v3 offset0:131 offset1:163
	s_and_saveexec_b64 s[0:1], vcc
	s_cbranch_execz .LBB231_60
; %bb.59:
	v_add_u32_e32 v0, s38, v21
	v_ashrrev_i32_e32 v1, 31, v0
	v_mul_lo_u32 v2, v1, s34
	v_mul_lo_u32 v3, v0, s35
	v_mad_u64_u32 v[0:1], s[2:3], v0, s34, 0
	v_add3_u32 v1, v1, v3, v2
	v_lshl_add_u64 v[0:1], v[0:1], 2, s[10:11]
	global_load_dword v0, v[0:1], off
	s_waitcnt vmcnt(0)
	v_sub_f32_e32 v0, s12, v0
	v_mul_f32_e32 v0, 0x3fb8aa3b, v0
	v_exp_f32_e32 v18, v0
.LBB231_60:
	s_or_b64 exec, exec, s[0:1]
	v_or_b32_e32 v10, 1, v21
	v_cmp_gt_i32_e64 s[0:1], s47, v10
	s_and_saveexec_b64 s[2:3], s[0:1]
	s_cbranch_execz .LBB231_62
; %bb.61:
	v_add_u32_e32 v0, s38, v10
	v_ashrrev_i32_e32 v1, 31, v0
	v_mul_lo_u32 v2, v1, s34
	v_mul_lo_u32 v3, v0, s35
	v_mad_u64_u32 v[0:1], s[4:5], v0, s34, 0
	v_add3_u32 v1, v1, v3, v2
	v_lshl_add_u64 v[0:1], v[0:1], 2, s[10:11]
	global_load_dword v0, v[0:1], off
	s_waitcnt vmcnt(0)
	v_sub_f32_e32 v0, s12, v0
	v_mul_f32_e32 v0, 0x3fb8aa3b, v0
	v_exp_f32_e32 v16, v0
.LBB231_62:
	s_or_b64 exec, exec, s[2:3]
	v_or_b32_e32 v12, 2, v21
	v_cmp_gt_i32_e64 s[2:3], s47, v12
	v_mov_b32_e32 v17, 0
	v_mov_b32_e32 v20, 0
	s_and_saveexec_b64 s[4:5], s[2:3]
	s_cbranch_execz .LBB231_64
; %bb.63:
	v_add_u32_e32 v0, s38, v12
	v_ashrrev_i32_e32 v1, 31, v0
	v_mul_lo_u32 v2, v1, s34
	v_mul_lo_u32 v3, v0, s35
	v_mad_u64_u32 v[0:1], s[6:7], v0, s34, 0
	v_add3_u32 v1, v1, v3, v2
	v_lshl_add_u64 v[0:1], v[0:1], 2, s[10:11]
	global_load_dword v0, v[0:1], off
	s_waitcnt vmcnt(0)
	v_sub_f32_e32 v0, s12, v0
	v_mul_f32_e32 v0, 0x3fb8aa3b, v0
	v_exp_f32_e32 v20, v0
.LBB231_64:
	s_or_b64 exec, exec, s[4:5]
	v_or_b32_e32 v14, 3, v21
	v_cmp_gt_i32_e64 s[4:5], s47, v14
	s_and_saveexec_b64 s[6:7], s[4:5]
	s_cbranch_execz .LBB231_66
; %bb.65:
	v_add_u32_e32 v0, s38, v14
	v_ashrrev_i32_e32 v1, 31, v0
	v_mul_lo_u32 v2, v1, s34
	v_mul_lo_u32 v3, v0, s35
	v_mad_u64_u32 v[0:1], s[16:17], v0, s34, 0
	v_add3_u32 v1, v1, v3, v2
	v_lshl_add_u64 v[0:1], v[0:1], 2, s[10:11]
	global_load_dword v0, v[0:1], off
	s_waitcnt vmcnt(0)
	v_sub_f32_e32 v0, s12, v0
	v_mul_f32_e32 v0, 0x3fb8aa3b, v0
	v_exp_f32_e32 v17, v0
.LBB231_66:
	s_or_b64 exec, exec, s[6:7]
	s_add_u32 s6, s8, s28
	v_or_b32_e32 v4, s36, v74
	s_addc_u32 s7, s9, s29
	s_add_u32 s8, s14, s28
	v_ashrrev_i32_e32 v5, 31, v4
	v_accvgpr_read_b32 v0, a12
	s_addc_u32 s9, s15, s29
	v_lshlrev_b64 v[4:5], 1, v[4:5]
	v_accvgpr_read_b32 v1, a13
	v_accvgpr_read_b32 v2, a14
	v_accvgpr_read_b32 v3, a15
	v_lshl_add_u64 v[6:7], s[6:7], 0, v[4:5]
	v_lshl_add_u64 v[4:5], s[8:9], 0, v[4:5]
	v_mov_b32_e32 v11, 0
	v_lshlrev_b32_e32 v8, 8, v21
	v_mov_b32_e32 v9, 0
	s_and_saveexec_b64 s[6:7], vcc
	s_cbranch_execz .LBB231_68
; %bb.67:
	v_mov_b32_e32 v9, 0
	v_lshl_add_u64 v[26:27], v[6:7], 0, v[8:9]
	global_load_ushort v13, v[26:27], off
	v_lshl_add_u64 v[26:27], v[4:5], 0, v[8:9]
	s_waitcnt vmcnt(0)
	v_lshlrev_b32_e32 v9, 16, v13
	v_sub_f32_e32 v0, v9, v0
	global_store_short_d16_hi v[26:27], v0, off
	v_mul_f32_e32 v0, v18, v0
	v_lshrrev_b32_e32 v9, 16, v0
.LBB231_68:
	s_or_b64 exec, exec, s[6:7]
	v_lshlrev_b32_e32 v10, 8, v10
	s_and_saveexec_b64 s[6:7], s[0:1]
	s_cbranch_execz .LBB231_70
; %bb.69:
	v_mov_b32_e32 v11, 0
	v_lshl_add_u64 v[26:27], v[6:7], 0, v[10:11]
	global_load_ushort v0, v[26:27], off
	v_lshl_add_u64 v[26:27], v[4:5], 0, v[10:11]
	s_waitcnt vmcnt(0)
	v_lshlrev_b32_e32 v0, 16, v0
	v_sub_f32_e32 v0, v0, v1
	global_store_short_d16_hi v[26:27], v0, off
	v_mul_f32_e32 v0, v16, v0
	v_lshrrev_b32_e32 v11, 16, v0
.LBB231_70:
	s_or_b64 exec, exec, s[6:7]
	v_mov_b32_e32 v15, 0
	v_lshlrev_b32_e32 v12, 8, v12
	v_mov_b32_e32 v13, 0
	s_and_saveexec_b64 s[6:7], s[2:3]
	s_cbranch_execz .LBB231_72
; %bb.71:
	v_mov_b32_e32 v13, 0
	v_lshl_add_u64 v[0:1], v[6:7], 0, v[12:13]
	global_load_ushort v25, v[0:1], off
	v_lshl_add_u64 v[0:1], v[4:5], 0, v[12:13]
	s_waitcnt vmcnt(0)
	v_lshlrev_b32_e32 v13, 16, v25
	v_sub_f32_e32 v2, v13, v2
	global_store_short_d16_hi v[0:1], v2, off
	v_mul_f32_e32 v0, v20, v2
	v_lshrrev_b32_e32 v13, 16, v0
.LBB231_72:
	s_or_b64 exec, exec, s[6:7]
	v_lshlrev_b32_e32 v14, 8, v14
	s_and_saveexec_b64 s[6:7], s[4:5]
	s_cbranch_execz .LBB231_74
; %bb.73:
	v_mov_b32_e32 v15, 0
	v_lshl_add_u64 v[0:1], v[6:7], 0, v[14:15]
	global_load_ushort v2, v[0:1], off
	v_lshl_add_u64 v[0:1], v[4:5], 0, v[14:15]
	s_waitcnt vmcnt(0)
	v_lshlrev_b32_e32 v2, 16, v2
	v_sub_f32_e32 v2, v2, v3
	global_store_short_d16_hi v[0:1], v2, off
	v_mul_f32_e32 v0, v17, v2
	v_lshrrev_b32_e32 v15, 16, v0
.LBB231_74:
	s_or_b64 exec, exec, s[6:7]
	v_lshlrev_b32_e32 v21, 6, v21
	s_mov_b32 s6, 0x5040100
	v_perm_b32 v26, v11, v9, s6
	v_or_b32_e32 v9, v21, v24
	v_accvgpr_read_b32 v0, a8
	v_perm_b32 v27, v15, v13, s6
	v_lshlrev_b32_e32 v9, 1, v9
	v_accvgpr_read_b32 v1, a9
	v_accvgpr_read_b32 v2, a10
	v_accvgpr_read_b32 v3, a11
	ds_write_b64 v9, v[26:27] offset:24576
	v_mov_b32_e32 v11, 0
	v_mov_b32_e32 v9, 0
	s_and_saveexec_b64 s[6:7], vcc
	s_cbranch_execz .LBB231_76
; %bb.75:
	v_mov_b32_e32 v9, 0
	v_lshl_add_u64 v[24:25], v[6:7], 0, v[8:9]
	global_load_ushort v13, v[24:25], off offset:32
	v_lshl_add_u64 v[24:25], v[4:5], 0, v[8:9]
	s_waitcnt vmcnt(0)
	v_lshlrev_b32_e32 v9, 16, v13
	v_sub_f32_e32 v0, v9, v0
	global_store_short_d16_hi v[24:25], v0, off offset:32
	v_mul_f32_e32 v0, v18, v0
	v_lshrrev_b32_e32 v9, 16, v0
.LBB231_76:
	s_or_b64 exec, exec, s[6:7]
	s_and_saveexec_b64 s[6:7], s[0:1]
	s_cbranch_execz .LBB231_78
; %bb.77:
	v_mov_b32_e32 v11, 0
	v_lshl_add_u64 v[24:25], v[6:7], 0, v[10:11]
	global_load_ushort v0, v[24:25], off offset:32
	v_lshl_add_u64 v[24:25], v[4:5], 0, v[10:11]
	s_waitcnt vmcnt(0)
	v_lshlrev_b32_e32 v0, 16, v0
	v_sub_f32_e32 v0, v0, v1
	global_store_short_d16_hi v[24:25], v0, off offset:32
	v_mul_f32_e32 v0, v16, v0
	v_lshrrev_b32_e32 v11, 16, v0
.LBB231_78:
	s_or_b64 exec, exec, s[6:7]
	v_mov_b32_e32 v15, 0
	v_mov_b32_e32 v13, 0
	s_and_saveexec_b64 s[6:7], s[2:3]
	s_cbranch_execz .LBB231_80
; %bb.79:
	v_mov_b32_e32 v13, 0
	v_lshl_add_u64 v[0:1], v[6:7], 0, v[12:13]
	global_load_ushort v24, v[0:1], off offset:32
	v_lshl_add_u64 v[0:1], v[4:5], 0, v[12:13]
	s_waitcnt vmcnt(0)
	v_lshlrev_b32_e32 v13, 16, v24
	v_sub_f32_e32 v2, v13, v2
	global_store_short_d16_hi v[0:1], v2, off offset:32
	v_mul_f32_e32 v0, v20, v2
	v_lshrrev_b32_e32 v13, 16, v0
.LBB231_80:
	s_or_b64 exec, exec, s[6:7]
	s_and_saveexec_b64 s[6:7], s[4:5]
	s_cbranch_execz .LBB231_82
; %bb.81:
	v_mov_b32_e32 v15, 0
	v_lshl_add_u64 v[0:1], v[6:7], 0, v[14:15]
	global_load_ushort v2, v[0:1], off offset:32
	v_lshl_add_u64 v[0:1], v[4:5], 0, v[14:15]
	s_waitcnt vmcnt(0)
	v_lshlrev_b32_e32 v2, 16, v2
	v_sub_f32_e32 v2, v2, v3
	global_store_short_d16_hi v[0:1], v2, off offset:32
	v_mul_f32_e32 v0, v17, v2
	v_lshrrev_b32_e32 v15, 16, v0
.LBB231_82:
	s_or_b64 exec, exec, s[6:7]
	s_mov_b32 s6, 0x5040100
	v_perm_b32 v24, v11, v9, s6
	v_or_b32_e32 v9, v21, v23
	v_accvgpr_read_b32 v0, a4
	v_perm_b32 v25, v15, v13, s6
	v_lshlrev_b32_e32 v9, 1, v9
	v_accvgpr_read_b32 v1, a5
	v_accvgpr_read_b32 v2, a6
	;; [unrolled: 1-line block ×3, first 2 shown]
	ds_write_b64 v9, v[24:25] offset:24576
	v_mov_b32_e32 v11, 0
	v_mov_b32_e32 v9, 0
	s_and_saveexec_b64 s[6:7], vcc
	s_cbranch_execz .LBB231_84
; %bb.83:
	v_mov_b32_e32 v9, 0
	v_lshl_add_u64 v[24:25], v[6:7], 0, v[8:9]
	global_load_ushort v13, v[24:25], off offset:64
	v_lshl_add_u64 v[24:25], v[4:5], 0, v[8:9]
	s_waitcnt vmcnt(0)
	v_lshlrev_b32_e32 v9, 16, v13
	v_sub_f32_e32 v0, v9, v0
	global_store_short_d16_hi v[24:25], v0, off offset:64
	v_mul_f32_e32 v0, v18, v0
	v_lshrrev_b32_e32 v9, 16, v0
.LBB231_84:
	s_or_b64 exec, exec, s[6:7]
	s_and_saveexec_b64 s[6:7], s[0:1]
	s_cbranch_execz .LBB231_86
; %bb.85:
	v_mov_b32_e32 v11, 0
	v_lshl_add_u64 v[24:25], v[6:7], 0, v[10:11]
	global_load_ushort v0, v[24:25], off offset:64
	v_lshl_add_u64 v[24:25], v[4:5], 0, v[10:11]
	s_waitcnt vmcnt(0)
	v_lshlrev_b32_e32 v0, 16, v0
	v_sub_f32_e32 v0, v0, v1
	global_store_short_d16_hi v[24:25], v0, off offset:64
	v_mul_f32_e32 v0, v16, v0
	v_lshrrev_b32_e32 v11, 16, v0
.LBB231_86:
	s_or_b64 exec, exec, s[6:7]
	v_mov_b32_e32 v15, 0
	v_mov_b32_e32 v13, 0
	s_and_saveexec_b64 s[6:7], s[2:3]
	s_cbranch_execz .LBB231_88
; %bb.87:
	v_mov_b32_e32 v13, 0
	v_lshl_add_u64 v[0:1], v[6:7], 0, v[12:13]
	global_load_ushort v23, v[0:1], off offset:64
	v_lshl_add_u64 v[0:1], v[4:5], 0, v[12:13]
	s_waitcnt vmcnt(0)
	v_lshlrev_b32_e32 v13, 16, v23
	v_sub_f32_e32 v2, v13, v2
	global_store_short_d16_hi v[0:1], v2, off offset:64
	v_mul_f32_e32 v0, v20, v2
	v_lshrrev_b32_e32 v13, 16, v0
.LBB231_88:
	s_or_b64 exec, exec, s[6:7]
	s_and_saveexec_b64 s[6:7], s[4:5]
	s_cbranch_execz .LBB231_90
; %bb.89:
	v_mov_b32_e32 v15, 0
	v_lshl_add_u64 v[0:1], v[6:7], 0, v[14:15]
	global_load_ushort v2, v[0:1], off offset:64
	v_lshl_add_u64 v[0:1], v[4:5], 0, v[14:15]
	s_waitcnt vmcnt(0)
	v_lshlrev_b32_e32 v2, 16, v2
	v_sub_f32_e32 v2, v2, v3
	global_store_short_d16_hi v[0:1], v2, off offset:64
	v_mul_f32_e32 v0, v17, v2
	v_lshrrev_b32_e32 v15, 16, v0
.LBB231_90:
	s_or_b64 exec, exec, s[6:7]
	s_mov_b32 s6, 0x5040100
	v_perm_b32 v24, v11, v9, s6
	v_or_b32_e32 v9, v21, v22
	v_accvgpr_read_b32 v0, a0
	v_perm_b32 v25, v15, v13, s6
	v_lshlrev_b32_e32 v9, 1, v9
	v_accvgpr_read_b32 v1, a1
	v_accvgpr_read_b32 v2, a2
	;; [unrolled: 1-line block ×3, first 2 shown]
	ds_write_b64 v9, v[24:25] offset:24576
	v_mov_b32_e32 v11, 0
	v_mov_b32_e32 v9, 0
	s_and_saveexec_b64 s[6:7], vcc
	s_cbranch_execz .LBB231_92
; %bb.91:
	v_mov_b32_e32 v9, 0
	v_lshl_add_u64 v[22:23], v[6:7], 0, v[8:9]
	global_load_ushort v13, v[22:23], off offset:96
	v_lshl_add_u64 v[8:9], v[4:5], 0, v[8:9]
	s_waitcnt vmcnt(0)
	v_lshlrev_b32_e32 v13, 16, v13
	v_sub_f32_e32 v0, v13, v0
	global_store_short_d16_hi v[8:9], v0, off offset:96
	v_mul_f32_e32 v0, v18, v0
	v_lshrrev_b32_e32 v9, 16, v0
.LBB231_92:
	s_or_b64 exec, exec, s[6:7]
	s_and_saveexec_b64 s[6:7], s[0:1]
	s_cbranch_execz .LBB231_94
; %bb.93:
	v_mov_b32_e32 v11, 0
	v_lshl_add_u64 v[22:23], v[6:7], 0, v[10:11]
	global_load_ushort v0, v[22:23], off offset:96
	v_lshl_add_u64 v[10:11], v[4:5], 0, v[10:11]
	s_waitcnt vmcnt(0)
	v_lshlrev_b32_e32 v0, 16, v0
	v_sub_f32_e32 v0, v0, v1
	global_store_short_d16_hi v[10:11], v0, off offset:96
	v_mul_f32_e32 v0, v16, v0
	v_lshrrev_b32_e32 v11, 16, v0
.LBB231_94:
	s_or_b64 exec, exec, s[6:7]
	v_mov_b32_e32 v0, 0
	v_mov_b32_e32 v1, 0
	s_and_saveexec_b64 s[0:1], s[2:3]
	s_cbranch_execz .LBB231_96
; %bb.95:
	v_mov_b32_e32 v13, 0
	v_lshl_add_u64 v[22:23], v[6:7], 0, v[12:13]
	global_load_ushort v1, v[22:23], off offset:96
	v_lshl_add_u64 v[12:13], v[4:5], 0, v[12:13]
	s_waitcnt vmcnt(0)
	v_lshlrev_b32_e32 v1, 16, v1
	v_sub_f32_e32 v1, v1, v2
	global_store_short_d16_hi v[12:13], v1, off offset:96
	v_mul_f32_e32 v1, v20, v1
	v_lshrrev_b32_e32 v1, 16, v1
.LBB231_96:
	s_or_b64 exec, exec, s[0:1]
	s_and_saveexec_b64 s[0:1], s[4:5]
	s_cbranch_execz .LBB231_98
; %bb.97:
	v_mov_b32_e32 v15, 0
	v_lshl_add_u64 v[6:7], v[6:7], 0, v[14:15]
	global_load_ushort v0, v[6:7], off offset:96
	v_lshl_add_u64 v[4:5], v[4:5], 0, v[14:15]
	s_waitcnt vmcnt(0)
	v_lshlrev_b32_e32 v0, 16, v0
	v_sub_f32_e32 v0, v0, v3
	global_store_short_d16_hi v[4:5], v0, off offset:96
	v_mul_f32_e32 v0, v17, v0
	v_lshrrev_b32_e32 v0, 16, v0
.LBB231_98:
	s_or_b64 exec, exec, s[0:1]
	s_mov_b32 s0, 0x5040100
	v_or_b32_e32 v2, v21, v19
	v_perm_b32 v1, v0, v1, s0
	v_perm_b32 v0, v11, v9, s0
	v_lshlrev_b32_e32 v2, 1, v2
	ds_write_b64 v2, v[0:1] offset:24576
	s_waitcnt lgkmcnt(0)
	s_barrier
.LBB231_99:
	s_endpgm
	.section	.rodata,"a",@progbits
	.p2align	6, 0x0
	.amdhsa_kernel _ZN12_GLOBAL__N_139chunk_gated_delta_rule_fwd_h_hip_kernelILi64ELb0ELb0ELb1ELb1ELb0ELb0ELb1ELb0EEEvPK12hip_bfloat16S3_S3_PKfS5_PKvPS1_S8_PvPKiSB_iiiiilll
		.amdhsa_group_segment_fixed_size 65536
		.amdhsa_private_segment_fixed_size 0
		.amdhsa_kernarg_size 136
		.amdhsa_user_sgpr_count 2
		.amdhsa_user_sgpr_dispatch_ptr 0
		.amdhsa_user_sgpr_queue_ptr 0
		.amdhsa_user_sgpr_kernarg_segment_ptr 1
		.amdhsa_user_sgpr_dispatch_id 0
		.amdhsa_user_sgpr_kernarg_preload_length 0
		.amdhsa_user_sgpr_kernarg_preload_offset 0
		.amdhsa_user_sgpr_private_segment_size 0
		.amdhsa_uses_dynamic_stack 0
		.amdhsa_enable_private_segment 0
		.amdhsa_system_sgpr_workgroup_id_x 1
		.amdhsa_system_sgpr_workgroup_id_y 1
		.amdhsa_system_sgpr_workgroup_id_z 0
		.amdhsa_system_sgpr_workgroup_info 0
		.amdhsa_system_vgpr_workitem_id 0
		.amdhsa_next_free_vgpr 216
		.amdhsa_next_free_sgpr 62
		.amdhsa_accum_offset 180
		.amdhsa_reserve_vcc 1
		.amdhsa_float_round_mode_32 0
		.amdhsa_float_round_mode_16_64 0
		.amdhsa_float_denorm_mode_32 3
		.amdhsa_float_denorm_mode_16_64 3
		.amdhsa_dx10_clamp 1
		.amdhsa_ieee_mode 1
		.amdhsa_fp16_overflow 0
		.amdhsa_tg_split 0
		.amdhsa_exception_fp_ieee_invalid_op 0
		.amdhsa_exception_fp_denorm_src 0
		.amdhsa_exception_fp_ieee_div_zero 0
		.amdhsa_exception_fp_ieee_overflow 0
		.amdhsa_exception_fp_ieee_underflow 0
		.amdhsa_exception_fp_ieee_inexact 0
		.amdhsa_exception_int_div_zero 0
	.end_amdhsa_kernel
	.section	.text._ZN12_GLOBAL__N_139chunk_gated_delta_rule_fwd_h_hip_kernelILi64ELb0ELb0ELb1ELb1ELb0ELb0ELb1ELb0EEEvPK12hip_bfloat16S3_S3_PKfS5_PKvPS1_S8_PvPKiSB_iiiiilll,"axG",@progbits,_ZN12_GLOBAL__N_139chunk_gated_delta_rule_fwd_h_hip_kernelILi64ELb0ELb0ELb1ELb1ELb0ELb0ELb1ELb0EEEvPK12hip_bfloat16S3_S3_PKfS5_PKvPS1_S8_PvPKiSB_iiiiilll,comdat
.Lfunc_end231:
	.size	_ZN12_GLOBAL__N_139chunk_gated_delta_rule_fwd_h_hip_kernelILi64ELb0ELb0ELb1ELb1ELb0ELb0ELb1ELb0EEEvPK12hip_bfloat16S3_S3_PKfS5_PKvPS1_S8_PvPKiSB_iiiiilll, .Lfunc_end231-_ZN12_GLOBAL__N_139chunk_gated_delta_rule_fwd_h_hip_kernelILi64ELb0ELb0ELb1ELb1ELb0ELb0ELb1ELb0EEEvPK12hip_bfloat16S3_S3_PKfS5_PKvPS1_S8_PvPKiSB_iiiiilll
                                        ; -- End function
	.section	.AMDGPU.csdata,"",@progbits
; Kernel info:
; codeLenInByte = 11188
; NumSgprs: 68
; NumVgprs: 180
; NumAgprs: 36
; TotalNumVgprs: 216
; ScratchSize: 0
; MemoryBound: 0
; FloatMode: 240
; IeeeMode: 1
; LDSByteSize: 65536 bytes/workgroup (compile time only)
; SGPRBlocks: 8
; VGPRBlocks: 26
; NumSGPRsForWavesPerEU: 68
; NumVGPRsForWavesPerEU: 216
; AccumOffset: 180
; Occupancy: 1
; WaveLimiterHint : 1
; COMPUTE_PGM_RSRC2:SCRATCH_EN: 0
; COMPUTE_PGM_RSRC2:USER_SGPR: 2
; COMPUTE_PGM_RSRC2:TRAP_HANDLER: 0
; COMPUTE_PGM_RSRC2:TGID_X_EN: 1
; COMPUTE_PGM_RSRC2:TGID_Y_EN: 1
; COMPUTE_PGM_RSRC2:TGID_Z_EN: 0
; COMPUTE_PGM_RSRC2:TIDIG_COMP_CNT: 0
; COMPUTE_PGM_RSRC3_GFX90A:ACCUM_OFFSET: 44
; COMPUTE_PGM_RSRC3_GFX90A:TG_SPLIT: 0
	.section	.text._ZN12_GLOBAL__N_139chunk_gated_delta_rule_fwd_h_hip_kernelILi64ELb0ELb0ELb0ELb1ELb0ELb0ELb1ELb0EEEvPK12hip_bfloat16S3_S3_PKfS5_PKvPS1_S8_PvPKiSB_iiiiilll,"axG",@progbits,_ZN12_GLOBAL__N_139chunk_gated_delta_rule_fwd_h_hip_kernelILi64ELb0ELb0ELb0ELb1ELb0ELb0ELb1ELb0EEEvPK12hip_bfloat16S3_S3_PKfS5_PKvPS1_S8_PvPKiSB_iiiiilll,comdat
	.globl	_ZN12_GLOBAL__N_139chunk_gated_delta_rule_fwd_h_hip_kernelILi64ELb0ELb0ELb0ELb1ELb0ELb0ELb1ELb0EEEvPK12hip_bfloat16S3_S3_PKfS5_PKvPS1_S8_PvPKiSB_iiiiilll ; -- Begin function _ZN12_GLOBAL__N_139chunk_gated_delta_rule_fwd_h_hip_kernelILi64ELb0ELb0ELb0ELb1ELb0ELb0ELb1ELb0EEEvPK12hip_bfloat16S3_S3_PKfS5_PKvPS1_S8_PvPKiSB_iiiiilll
	.p2align	8
	.type	_ZN12_GLOBAL__N_139chunk_gated_delta_rule_fwd_h_hip_kernelILi64ELb0ELb0ELb0ELb1ELb0ELb0ELb1ELb0EEEvPK12hip_bfloat16S3_S3_PKfS5_PKvPS1_S8_PvPKiSB_iiiiilll,@function
_ZN12_GLOBAL__N_139chunk_gated_delta_rule_fwd_h_hip_kernelILi64ELb0ELb0ELb0ELb1ELb0ELb0ELb1ELb0EEEvPK12hip_bfloat16S3_S3_PKfS5_PKvPS1_S8_PvPKiSB_iiiiilll: ; @_ZN12_GLOBAL__N_139chunk_gated_delta_rule_fwd_h_hip_kernelILi64ELb0ELb0ELb0ELb1ELb0ELb0ELb1ELb0EEEvPK12hip_bfloat16S3_S3_PKfS5_PKvPS1_S8_PvPKiSB_iiiiilll
; %bb.0:
	s_load_dwordx4 s[12:15], s[0:1], 0x5c
	s_load_dwordx4 s[16:19], s[0:1], 0x70
	s_abs_i32 s21, s3
	s_ashr_i32 s20, s3, 31
	s_load_dwordx2 s[36:37], s[0:1], 0x30
	s_load_dwordx4 s[24:27], s[0:1], 0x48
	s_waitcnt lgkmcnt(0)
	s_abs_i32 s28, s13
	v_cvt_f32_u32_e32 v1, s28
	s_sub_i32 s22, 0, s28
	s_ashr_i32 s29, s13, 31
	s_xor_b32 s20, s20, s29
	v_rcp_iflag_f32_e32 v1, v1
	s_load_dwordx8 s[4:11], s[0:1], 0x0
	v_lshrrev_b32_e32 v74, 6, v0
	v_bfe_u32 v75, v0, 4, 2
	v_mul_f32_e32 v1, 0x4f7ffffe, v1
	v_cvt_u32_f32_e32 v1, v1
	v_lshlrev_b32_e32 v2, 2, v75
	v_and_b32_e32 v73, 63, v0
	v_mov_b32_e32 v35, 0
	v_readfirstlane_b32 s23, v1
	s_mul_i32 s22, s22, s23
	s_mul_hi_u32 s22, s23, s22
	s_add_i32 s23, s23, s22
	s_mul_hi_u32 s22, s21, s23
	s_mul_i32 s23, s22, s28
	s_sub_i32 s21, s21, s23
	s_add_i32 s30, s22, 1
	s_sub_i32 s23, s21, s28
	s_cmp_ge_u32 s21, s28
	s_cselect_b32 s22, s30, s22
	s_cselect_b32 s21, s23, s21
	s_add_i32 s23, s22, 1
	s_cmp_ge_u32 s21, s28
	s_cselect_b32 s21, s23, s22
	s_xor_b32 s21, s21, s20
	s_sub_i32 s20, s21, s20
	s_mul_i32 s21, s20, s13
	s_sub_i32 s33, s3, s21
	s_ashr_i32 s21, s20, 31
	s_lshl_b64 s[22:23], s[20:21], 2
	s_add_u32 s24, s24, s22
	s_addc_u32 s25, s25, s23
	s_add_u32 s22, s26, s22
	s_addc_u32 s23, s27, s23
	s_abs_i32 s3, s14
	v_cvt_f32_u32_e32 v1, s3
	s_load_dwordx2 s[34:35], s[24:25], 0x0
	s_sub_i32 s25, 0, s3
	s_load_dword s44, s[22:23], 0x0
	v_rcp_iflag_f32_e32 v1, v1
	v_and_b32_e32 v72, 15, v0
	s_waitcnt lgkmcnt(0)
	s_sub_i32 s45, s35, s34
	s_ashr_i32 s24, s45, 31
	v_mul_f32_e32 v1, 0x4f7ffffe, v1
	v_cvt_u32_f32_e32 v1, v1
	s_lshr_b32 s24, s24, 26
	s_add_i32 s24, s45, s24
	s_ashr_i32 s43, s24, 6
	v_readfirstlane_b32 s26, v1
	s_mul_i32 s25, s25, s26
	s_mul_hi_u32 s25, s26, s25
	s_add_i32 s26, s26, s25
	s_mul_hi_u32 s25, s28, s26
	s_mul_i32 s26, s25, s3
	s_ashr_i32 s24, s14, 31
	s_sub_i32 s26, s28, s26
	s_xor_b32 s24, s29, s24
	s_add_i32 s27, s25, 1
	s_sub_i32 s28, s26, s3
	s_cmp_ge_u32 s26, s3
	s_cselect_b32 s25, s27, s25
	s_cselect_b32 s26, s28, s26
	s_add_i32 s27, s25, 1
	s_cmp_ge_u32 s26, s3
	s_cselect_b32 s3, s27, s25
	s_xor_b32 s3, s3, s24
	s_sub_i32 s3, s3, s24
	s_abs_i32 s24, s3
	v_cvt_f32_u32_e32 v1, s24
	s_load_dwordx2 s[28:29], s[0:1], 0x80
	s_xor_b32 s0, s33, s3
	s_sub_i32 s3, 0, s24
	v_rcp_iflag_f32_e32 v1, v1
	s_abs_i32 s1, s33
	s_ashr_i32 s0, s0, 31
	s_mul_hi_i32 s46, s33, s12
	v_mul_f32_e32 v1, 0x4f7ffffe, v1
	v_cvt_u32_f32_e32 v1, v1
	s_mul_i32 s47, s33, s12
	v_lshrrev_b32_e32 v77, 3, v73
	v_lshlrev_b32_e32 v76, 3, v0
	v_readfirstlane_b32 s22, v1
	s_mul_i32 s3, s3, s22
	s_mul_hi_u32 s3, s22, s3
	s_add_i32 s22, s22, s3
	s_mul_hi_u32 s3, s1, s22
	s_mul_i32 s22, s3, s24
	s_sub_i32 s1, s1, s22
	s_add_i32 s22, s3, 1
	s_sub_i32 s23, s1, s24
	s_cmp_ge_u32 s1, s24
	s_cselect_b32 s3, s22, s3
	s_cselect_b32 s1, s23, s1
	s_add_i32 s22, s3, 1
	s_cmp_ge_u32 s1, s24
	s_cselect_b32 s1, s22, s3
	s_xor_b32 s1, s1, s0
	v_lshlrev_b32_e32 v1, 4, v74
	s_sub_i32 s48, s1, s0
	v_or_b32_e32 v78, v2, v1
	s_lshl_b32 s30, s2, 6
	v_or_b32_e32 v79, 64, v78
	s_cmp_lt_i32 s45, 64
	s_mul_i32 s40, s20, s17
	s_mul_hi_u32 s41, s20, s16
	s_mul_i32 s42, s21, s16
	s_mul_i32 s16, s20, s16
	v_mov_b32_e32 v34, v35
	v_mov_b32_e32 v41, v35
	;; [unrolled: 1-line block ×31, first 2 shown]
	s_cbranch_scc1 .LBB232_18
; %bb.1:
	s_ashr_i32 s51, s33, 31
	s_ashr_i32 s1, s34, 31
	s_add_u32 s0, s47, s34
	s_addc_u32 s1, s46, s1
	s_lshl_b64 s[0:1], s[0:1], 8
	v_and_b32_e32 v81, 56, v76
	s_add_u32 s0, s6, s0
	v_lshl_or_b32 v80, v74, 3, v77
	v_lshlrev_b32_e32 v3, 1, v81
	s_addc_u32 s1, s7, s1
	v_lshl_or_b32 v82, v80, 8, v3
	s_and_b32 s1, s1, 0xffff
	s_mov_b32 s3, 0x20000
	s_movk_i32 s2, 0x4000
	s_movk_i32 s17, 0x80
	v_or_b32_e32 v83, 0x2000, v82
	buffer_load_dwordx4 v[4:7], v82, s[0:3], 0 offen
	buffer_load_dwordx4 v[8:11], v82, s[0:3], s17 offen
	;; [unrolled: 1-line block ×4, first 2 shown]
	v_lshlrev_b32_e32 v20, 3, v80
	v_and_or_b32 v22, v0, 7, v20
	v_and_b32_e32 v20, 0x78, v20
	v_lshlrev_b32_e32 v22, 4, v22
	v_xor_b32_e32 v84, v22, v20
	v_mul_lo_u32 v21, v80, s15
	v_or_b32_e32 v85, 0x1000, v84
	s_cmpk_eq_i32 s15, 0x80
	s_mov_b32 s49, s13
	s_mov_b32 s50, s34
	v_xor_b32_e32 v20, 8, v84
	v_xor_b32_e32 v22, 8, v85
	s_cselect_b64 s[0:1], -1, 0
	s_cmpk_lg_i32 s15, 0x80
	s_waitcnt vmcnt(3)
	ds_write_b64 v84, v[4:5] offset:49152
	ds_write_b64 v20, v[6:7] offset:49152
	s_waitcnt vmcnt(2)
	ds_write_b64 v84, v[8:9] offset:57344
	ds_write_b64 v20, v[10:11] offset:57344
	;; [unrolled: 3-line block ×4, first 2 shown]
	v_lshl_add_u32 v4, v21, 1, v81
	s_cbranch_scc0 .LBB232_3
; %bb.2:
	v_lshlrev_b32_e32 v6, 1, v4
	v_add_lshl_u32 v5, v4, s15, 1
	s_lshl_b32 s22, s15, 7
	v_lshl_or_b32 v3, v80, 9, v3
	s_cbranch_execz .LBB232_4
	s_branch .LBB232_5
.LBB232_3:
                                        ; implicit-def: $vgpr5
                                        ; implicit-def: $vgpr6
                                        ; implicit-def: $sgpr22
	v_lshl_or_b32 v3, v80, 9, v3
.LBB232_4:
	v_or_b32_e32 v5, 0x100, v3
	s_movk_i32 s22, 0x4000
	v_mov_b32_e32 v6, v3
.LBB232_5:
	s_mul_i32 s2, s34, s14
	s_ashr_i32 s52, s48, 31
	s_mul_hi_i32 s3, s34, s14
	s_add_u32 s2, s2, s48
	s_addc_u32 s3, s3, s52
	s_lshl_b64 s[2:3], s[2:3], 8
	s_add_u32 s20, s4, s2
	s_addc_u32 s2, s5, s3
	s_and_b32 s21, s2, 0xffff
	s_mov_b32 s23, 0x20000
	s_movk_i32 s53, 0x80
	buffer_load_dwordx4 v[8:11], v6, s[20:23], 0 offen
	buffer_load_dwordx4 v[12:15], v6, s[20:23], s53 offen
	;; [unrolled: 1-line block ×4, first 2 shown]
	v_and_b32_e32 v5, 6, v0
	v_lshlrev_b32_e32 v6, 7, v78
	v_xor_b32_e32 v28, v80, v5
	v_and_b32_e32 v7, 1, v0
	v_lshl_or_b32 v31, v72, 3, v6
	v_lshlrev_b32_e32 v28, 2, v28
	v_lshlrev_b32_e32 v24, 2, v72
	v_or_b32_e32 v86, 0x4000, v31
	v_or_b32_e32 v87, 0x6000, v31
	v_xor_b32_e32 v31, 0x440, v28
	v_cmp_eq_u32_e32 vcc, 0, v7
	v_or_b32_e32 v26, 16, v72
	v_or_b32_e32 v27, 32, v72
	v_xor_b32_e32 v29, v78, v24
	v_xor_b32_e32 v30, v79, v24
	v_cndmask_b32_e32 v7, v31, v28, vcc
	s_add_i32 s2, s41, s40
	s_mov_b32 s54, 0x1000504
	v_lshl_or_b32 v32, v26, 3, v6
	v_lshlrev_b32_e32 v26, 8, v26
	v_lshl_or_b32 v33, v27, 3, v6
	v_lshlrev_b32_e32 v29, 1, v29
	v_lshlrev_b32_e32 v30, 1, v30
	v_lshl_or_b32 v5, v5, 10, v7
	s_add_i32 s17, s2, s42
	s_mul_i32 s2, s33, s19
	s_mul_hi_u32 s3, s33, s18
	s_mov_b32 s55, 0x3020706
	v_lshlrev_b32_e32 v25, 8, v72
	v_or_b32_e32 v90, 0x4000, v33
	v_or_b32_e32 v91, 0x6000, v33
	;; [unrolled: 1-line block ×4, first 2 shown]
	v_xor_b32_e32 v7, 8, v5
	v_xor_b32_e32 v26, 24, v5
	;; [unrolled: 1-line block ×4, first 2 shown]
	s_add_i32 s2, s3, s2
	s_mul_i32 s3, s51, s18
	v_or_b32_e32 v88, 0x4000, v32
	v_or_b32_e32 v89, 0x6000, v32
	;; [unrolled: 1-line block ×4, first 2 shown]
	v_xor_b32_e32 v25, 16, v5
	v_xor_b32_e32 v28, 32, v5
	;; [unrolled: 1-line block ×3, first 2 shown]
	v_add_u32_e32 v7, 0x80, v7
	v_add_u32_e32 v26, 0x80, v26
	;; [unrolled: 1-line block ×4, first 2 shown]
	s_add_i32 s3, s2, s3
	s_lshl_b64 s[20:21], s[16:17], 2
	s_mul_i32 s2, s33, s18
	s_add_u32 s17, s10, s20
	s_addc_u32 s20, s11, s21
	s_lshl_b64 s[2:3], s[2:3], 2
	s_add_u32 s2, s17, s2
	s_movk_i32 s17, 0xf8
	s_addc_u32 s3, s20, s3
	s_ashr_i32 s31, s30, 31
	s_lshl_b32 s26, s15, 7
	s_lshl_b64 s[20:21], s[30:31], 8
	s_add_u32 s20, s36, s20
	v_mov_b32_e32 v67, 0
	s_addc_u32 s21, s37, s21
	v_lshlrev_b32_e32 v66, 4, v72
	v_lshlrev_b32_e32 v27, 8, v27
	s_mov_b32 s56, 0
	s_movk_i32 s22, 0x4000
	v_or_b32_e32 v96, v27, v29
	v_or_b32_e32 v97, v27, v30
	v_add_u32_e32 v126, v1, v2
	s_movk_i32 s31, 0x2000
	s_movk_i32 s57, 0x3000
	v_mov_b32_e32 v131, 0x3fb8aa3b
	v_mov_b32_e32 v58, v67
	;; [unrolled: 1-line block ×4, first 2 shown]
	s_waitcnt vmcnt(1)
	v_perm_b32 v34, v8, v16, s54
	s_waitcnt vmcnt(0)
	v_perm_b32 v35, v12, v20, s54
	v_perm_b32 v8, v8, v16, s55
	;; [unrolled: 1-line block ×15, first 2 shown]
	ds_write2st64_b32 v5, v34, v35 offset0:128 offset1:160
	ds_write2st64_b32 v7, v8, v12 offset0:128 offset1:160
	;; [unrolled: 1-line block ×8, first 2 shown]
	v_or_b32_e32 v5, 48, v72
	v_lshl_or_b32 v7, v5, 3, v6
	v_lshlrev_b32_e32 v5, 8, v5
	v_or_b32_e32 v100, v5, v29
	v_or_b32_e32 v101, v5, v30
	;; [unrolled: 1-line block ×3, first 2 shown]
	v_lshlrev_b32_e32 v5, 3, v5
	v_lshrrev_b32_e32 v9, 5, v73
	v_and_or_b32 v9, v5, s17, v9
	v_lshlrev_b32_e32 v9, 4, v9
	v_or_b32_e32 v98, 0x4000, v7
	v_or_b32_e32 v99, 0x6000, v7
	v_lshlrev_b32_e32 v7, 11, v74
	v_and_b32_e32 v5, 0x78, v5
	v_or_b32_e32 v14, 32, v9
	v_and_b32_e32 v8, 0x1000, v7
	v_xor_b32_e32 v10, v9, v5
	v_lshrrev_b32_e32 v11, 1, v0
	v_xor_b32_e32 v14, v14, v5
	v_or_b32_e32 v10, v10, v8
	v_and_b32_e32 v12, 8, v11
	v_or_b32_e32 v14, v14, v8
	v_xor_b32_e32 v102, v10, v12
	v_lshlrev_b32_e32 v10, 8, v75
	v_xor_b32_e32 v104, v14, v12
	v_or_b32_e32 v14, 64, v9
	v_or_b32_e32 v9, 0x60, v9
	;; [unrolled: 1-line block ×3, first 2 shown]
	v_xor_b32_e32 v14, v14, v5
	v_xor_b32_e32 v5, v9, v5
	v_lshlrev_b32_e32 v13, 1, v13
	v_or_b32_e32 v14, v14, v8
	v_or_b32_e32 v5, v5, v8
	;; [unrolled: 1-line block ×6, first 2 shown]
	v_xor_b32_e32 v108, v14, v12
	v_xor_b32_e32 v109, v5, v12
	v_or_b32_e32 v110, 0x6000, v13
	v_or_b32_e32 v111, 0x6080, v13
	;; [unrolled: 1-line block ×4, first 2 shown]
	v_lshlrev_b32_e32 v12, 1, v4
	v_add_lshl_u32 v13, v4, s15, 1
	s_movk_i32 s17, 0x100
	v_lshlrev_b32_e32 v4, 1, v72
	v_lshrrev_b32_e32 v15, 4, v0
	v_or_b32_e32 v5, 1, v4
	v_mov_b32_e32 v19, 0xa000
	v_mov_b32_e32 v20, 0x8000
	v_cmp_gt_u32_e32 vcc, s17, v0
	v_xor_b32_e32 v16, v15, v4
	v_xor_b32_e32 v17, v5, v15
	v_lshl_add_u64 v[4:5], s[20:21], 0, v[66:67]
	v_lshlrev_b32_e32 v66, 8, v15
	v_cndmask_b32_e32 v19, v19, v20, vcc
	v_lshlrev_b32_e32 v20, 3, v74
	v_and_b32_e32 v11, 24, v11
	v_lshl_or_b32 v114, v16, 3, v66
	v_and_b32_e32 v16, 8, v0
	v_xor_b32_e32 v21, v20, v11
	v_or_b32_e32 v22, 0x440, v21
	v_cmp_eq_u32_e32 vcc, 0, v16
	v_and_b32_e32 v15, 7, v0
	v_lshl_or_b32 v115, v17, 3, v66
	v_cndmask_b32_e32 v16, v22, v21, vcc
	v_lshlrev_b32_e32 v17, 3, v15
	v_lshlrev_b32_e32 v15, 7, v15
	v_or_b32_e32 v16, v16, v7
	v_lshlrev_b32_e32 v18, 2, v0
	v_xad_u32 v116, v16, v17, v15
	v_or_b32_e32 v16, 32, v11
	v_and_or_b32 v10, v18, 60, v10
	v_xor_b32_e32 v16, v20, v16
	v_lshlrev_b32_e32 v10, 1, v10
	v_or_b32_e32 v18, 0x440, v16
	v_or_b32_e32 v117, 0x6000, v10
	v_cndmask_b32_e32 v16, v18, v16, vcc
	v_or_b32_e32 v119, 0x6080, v10
	v_or_b32_e32 v120, 0x6100, v10
	;; [unrolled: 1-line block ×5, first 2 shown]
	v_xor_b32_e32 v10, v20, v10
	v_xad_u32 v118, v16, v17, v15
	v_xor_b32_e32 v16, 0x440, v10
	v_cndmask_b32_e32 v10, v16, v10, vcc
	v_or_b32_e32 v10, v10, v7
	v_xad_u32 v122, v10, v17, v15
	v_or_b32_e32 v10, 0x60, v11
	v_xor_b32_e32 v10, v20, v10
	v_xor_b32_e32 v11, 0x440, v10
	v_cndmask_b32_e32 v10, v11, v10, vcc
	v_or_b32_e32 v8, s30, v72
	v_or_b32_e32 v7, v10, v7
	v_ashrrev_i32_e32 v9, 31, v8
	v_or_b32_e32 v14, 0x100, v3
	v_xad_u32 v123, v7, v17, v15
	v_cndmask_b32_e64 v124, v12, v3, s[0:1]
	v_cndmask_b32_e64 v125, v13, v14, s[0:1]
	v_lshl_add_u64 v[68:69], v[8:9], 1, s[8:9]
	v_lshl_add_u64 v[70:71], v[4:5], 0, v[66:67]
	s_mov_b32 s17, 0x7060302
	v_lshlrev_b32_e32 v66, 1, v6
	v_add_u32_e32 v127, v19, v116
	v_add_u32_e32 v128, v19, v118
	;; [unrolled: 1-line block ×4, first 2 shown]
	v_mov_b32_e32 v61, v67
	v_mov_b32_e32 v62, v67
	;; [unrolled: 1-line block ×29, first 2 shown]
	s_waitcnt lgkmcnt(0)
	s_barrier
.LBB232_6:                              ; =>This Inner Loop Header: Depth=1
	s_add_i32 s58, s56, 1
	s_cmp_lt_i32 s58, s43
	s_mov_b64 s[24:25], 0
	s_cselect_b64 s[38:39], -1, 0
	s_cmp_ge_i32 s58, s43
	s_mov_b64 s[20:21], 0
	s_cbranch_scc1 .LBB232_8
; %bb.7:                                ;   in Loop: Header=BB232_6 Depth=1
	s_add_i32 s0, s50, 64
	s_ashr_i32 s1, s0, 31
	s_add_u32 s0, s47, s0
	s_addc_u32 s1, s46, s1
	s_lshl_b64 s[0:1], s[0:1], 8
	s_add_u32 s20, s6, s0
	s_addc_u32 s21, s7, s1
.LBB232_8:                              ;   in Loop: Header=BB232_6 Depth=1
	v_cndmask_b32_e64 v2, 0, 1, s[38:39]
	v_cmp_ne_u32_e64 s[0:1], 1, v2
	s_andn2_b64 vcc, exec, s[38:39]
	s_cbranch_vccnz .LBB232_10
; %bb.9:                                ;   in Loop: Header=BB232_6 Depth=1
	s_add_i32 s24, s50, 64
	s_mul_hi_i32 s25, s24, s14
	s_mul_i32 s24, s24, s14
	s_add_u32 s24, s24, s48
	s_addc_u32 s25, s25, s52
	s_lshl_b64 s[24:25], s[24:25], 8
	s_add_u32 s24, s4, s24
	s_addc_u32 s25, s5, s25
.LBB232_10:                             ;   in Loop: Header=BB232_6 Depth=1
	v_perm_b32 v3, v65, v64, s17
	v_perm_b32 v2, v63, v62, s17
	v_perm_b32 v5, v61, v60, s17
	v_perm_b32 v4, v59, v58, s17
	ds_write_b64 v86, v[2:3]
	ds_write_b64 v87, v[4:5]
	ds_write_b64 v92, v[2:3]
	ds_write_b64 v93, v[4:5]
	v_perm_b32 v3, v57, v56, s17
	v_perm_b32 v2, v55, v54, s17
	v_perm_b32 v5, v53, v52, s17
	v_perm_b32 v4, v51, v50, s17
	ds_write_b64 v88, v[2:3]
	ds_write_b64 v89, v[4:5]
	ds_write_b64 v94, v[2:3]
	ds_write_b64 v95, v[4:5]
	;; [unrolled: 8-line block ×4, first 2 shown]
	s_waitcnt lgkmcnt(0)
	s_barrier
	ds_read_b64 v[6:7], v102 offset:49152
	ds_read2_b64 v[2:5], v103 offset1:16
	ds_read_b64 v[18:19], v105 offset:6144
	ds_read_b64 v[20:21], v103 offset:6144
	s_waitcnt lgkmcnt(2)
	v_mfma_f32_16x16x16_bf16 a[0:3], v[6:7], v[2:3], 0
	ds_read_b64 v[22:23], v104 offset:49152
	ds_read2st64_b64 v[10:13], v106 offset0:4 offset1:8
	ds_read2st64_b64 v[14:17], v107 offset0:4 offset1:8
	v_mfma_f32_16x16x16_bf16 a[4:7], v[6:7], v[4:5], 0
	ds_read2_b64 v[2:5], v103 offset0:32 offset1:48
	s_add_i32 s27, s50, 63
	s_ashr_i32 s38, s27, 31
	s_waitcnt lgkmcnt(0)
	v_mfma_f32_16x16x16_bf16 a[8:11], v[6:7], v[2:3], 0
	s_mul_i32 s39, s27, s29
	s_mul_hi_u32 s59, s27, s28
	s_add_i32 s39, s59, s39
	v_mfma_f32_16x16x16_bf16 a[12:15], v[6:7], v[4:5], 0
	ds_read2st64_b64 v[2:5], v103 offset0:4 offset1:8
	ds_read2st64_b64 v[6:9], v105 offset0:4 offset1:8
	s_mul_i32 s38, s38, s28
	s_waitcnt lgkmcnt(1)
	v_mfma_f32_16x16x16_bf16 a[0:3], v[22:23], v[2:3], a[0:3]
	s_add_i32 s39, s39, s38
	s_mul_i32 s38, s27, s28
	s_lshl_b64 s[38:39], s[38:39], 2
	s_waitcnt lgkmcnt(0)
	v_mfma_f32_16x16x16_bf16 a[4:7], v[22:23], v[6:7], a[4:7]
	s_add_u32 s38, s2, s38
	s_addc_u32 s39, s3, s39
	s_and_b64 vcc, exec, s[0:1]
	v_mfma_f32_16x16x16_bf16 a[8:11], v[22:23], v[10:11], a[8:11]
	ds_read_b64 v[2:3], v108 offset:49152
	ds_read_b64 v[6:7], v109 offset:49152
	;; [unrolled: 1-line block ×3, first 2 shown]
	v_mov_b32_e32 v134, 0
	v_mov_b32_e32 v133, 0
	v_mfma_f32_16x16x16_bf16 a[12:15], v[22:23], v[14:15], a[12:15]
	v_mov_b32_e32 v132, 0
	v_mov_b32_e32 v14, 0
	;; [unrolled: 1-line block ×3, first 2 shown]
	s_waitcnt lgkmcnt(2)
	v_mfma_f32_16x16x16_bf16 a[0:3], v[2:3], v[4:5], a[0:3]
	v_mov_b32_e32 v4, 0
	v_mov_b32_e32 v5, 0
	v_mfma_f32_16x16x16_bf16 a[16:19], v[2:3], v[8:9], a[4:7]
	v_mov_b32_e32 v8, 0
	v_mov_b32_e32 v9, 0
	;; [unrolled: 3-line block ×3, first 2 shown]
	v_mfma_f32_16x16x16_bf16 a[24:27], v[2:3], v[16:17], a[12:15]
	ds_read_b64 v[2:3], v106 offset:6144
	v_mov_b32_e32 v16, 0
	v_mov_b32_e32 v17, 0
	s_waitcnt lgkmcnt(2)
	v_mfma_f32_16x16x16_bf16 a[4:7], v[6:7], v[20:21], a[0:3]
	v_mfma_f32_16x16x16_bf16 a[8:11], v[6:7], v[18:19], a[16:19]
	s_waitcnt lgkmcnt(0)
	v_mfma_f32_16x16x16_bf16 a[12:15], v[6:7], v[2:3], a[20:23]
	v_mov_b32_e32 v2, 0
	v_mov_b32_e32 v3, 0
	v_mfma_f32_16x16x16_bf16 a[0:3], v[6:7], v[10:11], a[24:27]
	v_mov_b32_e32 v6, 0
	v_mov_b32_e32 v7, 0
	;; [unrolled: 1-line block ×4, first 2 shown]
	s_cbranch_vccnz .LBB232_12
; %bb.11:                               ;   in Loop: Header=BB232_6 Depth=1
	s_and_b32 s21, s21, 0xffff
	buffer_load_dwordx4 v[14:17], v82, s[20:23], 0 offen
	buffer_load_dwordx4 v[10:13], v82, s[20:23], s53 offen
	;; [unrolled: 1-line block ×4, first 2 shown]
	v_mov_b32_e32 v133, v84
	v_mov_b32_e32 v132, v85
.LBB232_12:                             ;   in Loop: Header=BB232_6 Depth=1
	ds_read_b64 v[136:137], v102 offset:57344
	ds_read2_b64 v[18:21], v110 offset1:16
	ds_read_b64 v[138:139], v104 offset:57344
	ds_read_b64 v[140:141], v108 offset:57344
	;; [unrolled: 1-line block ×3, first 2 shown]
	v_add_u32_e32 v135, s50, v126
	s_waitcnt lgkmcnt(3)
	v_mfma_f32_16x16x16_bf16 a[4:7], v[136:137], v[18:19], a[4:7]
	v_mfma_f32_16x16x16_bf16 a[8:11], v[136:137], v[20:21], a[8:11]
	ds_read2_b64 v[18:21], v110 offset0:32 offset1:48
	ds_read2st64_b64 v[22:25], v110 offset0:4 offset1:8
	ds_read2st64_b64 v[26:29], v111 offset0:4 offset1:8
	;; [unrolled: 1-line block ×3, first 2 shown]
	s_waitcnt lgkmcnt(3)
	v_mfma_f32_16x16x16_bf16 a[12:15], v[136:137], v[18:19], a[12:15]
	v_ashrrev_i32_e32 v18, 31, v135
	v_mfma_f32_16x16x16_bf16 a[0:3], v[136:137], v[20:21], a[0:3]
	v_mul_lo_u32 v20, v18, s28
	v_mul_lo_u32 v21, v135, s29
	v_mad_u64_u32 v[18:19], s[20:21], v135, s28, 0
	v_add3_u32 v19, v19, v21, v20
	v_add_u32_e32 v20, 1, v135
	v_ashrrev_i32_e32 v21, 31, v20
	s_waitcnt lgkmcnt(2)
	v_mfma_f32_16x16x16_bf16 a[4:7], v[138:139], v[22:23], a[4:7]
	v_mul_lo_u32 v22, v21, s28
	v_mul_lo_u32 v23, v20, s29
	v_mad_u64_u32 v[20:21], s[20:21], v20, s28, 0
	v_add3_u32 v21, v21, v23, v22
	v_add_u32_e32 v22, 2, v135
	v_ashrrev_i32_e32 v23, 31, v22
	s_waitcnt lgkmcnt(1)
	v_mfma_f32_16x16x16_bf16 a[8:11], v[138:139], v[26:27], a[8:11]
	v_mul_lo_u32 v26, v23, s28
	v_mul_lo_u32 v27, v22, s29
	v_mad_u64_u32 v[22:23], s[20:21], v22, s28, 0
	v_add3_u32 v23, v23, v27, v26
	v_add_u32_e32 v26, 3, v135
	v_ashrrev_i32_e32 v27, 31, v26
	v_mul_lo_u32 v135, v27, s28
	v_mul_lo_u32 v136, v26, s29
	v_mad_u64_u32 v[26:27], s[20:21], v26, s28, 0
	s_ashr_i32 s21, s50, 31
	s_add_u32 s20, s47, s50
	v_lshl_add_u64 v[18:19], v[18:19], 2, s[2:3]
	v_add3_u32 v27, v27, v136, v135
	s_addc_u32 s21, s46, s21
	v_lshl_add_u64 v[20:21], v[20:21], 2, s[2:3]
	global_load_dword v137, v[18:19], off
	v_lshl_add_u64 v[18:19], v[26:27], 2, s[2:3]
	s_lshl_b64 s[20:21], s[20:21], 8
	v_lshl_add_u64 v[22:23], v[22:23], 2, s[2:3]
	global_load_dword v135, v[20:21], off
	global_load_dword v136, v[22:23], off
	global_load_dword v144, v[18:19], off
	v_lshl_add_u64 v[18:19], v[68:69], 0, s[20:21]
	v_lshl_add_u64 v[22:23], v[18:19], 0, v[66:67]
	global_load_ushort v145, v[22:23], off offset:256
	global_load_ushort v146, v[22:23], off
	ds_read2st64_b64 v[18:21], v113 offset0:4 offset1:8
	global_load_ushort v147, v[22:23], off offset:768
	global_load_ushort v148, v[22:23], off offset:512
	s_waitcnt lgkmcnt(1)
	v_mfma_f32_16x16x16_bf16 a[12:15], v[138:139], v[30:31], a[12:15]
	s_and_b64 vcc, exec, s[0:1]
	s_waitcnt vmcnt(3)
	v_lshlrev_b32_e32 v31, 16, v145
	s_waitcnt lgkmcnt(0)
	v_mfma_f32_16x16x16_bf16 a[0:3], v[138:139], v[18:19], a[0:3]
	global_load_ushort v138, v[22:23], off offset:288
	global_load_ushort v139, v[22:23], off offset:32
	;; [unrolled: 1-line block ×8, first 2 shown]
	v_mfma_f32_16x16x16_bf16 a[4:7], v[140:141], v[24:25], a[4:7]
	ds_read_b64 v[18:19], v110 offset:6144
	s_waitcnt vmcnt(10)
	v_lshlrev_b32_e32 v30, 16, v146
	v_mfma_f32_16x16x16_bf16 a[8:11], v[140:141], v[28:29], a[8:11]
	v_mfma_f32_16x16x16_bf16 a[12:15], v[140:141], v[32:33], a[12:15]
	;; [unrolled: 1-line block ×3, first 2 shown]
	global_load_ushort v140, v[22:23], off offset:352
	global_load_ushort v141, v[22:23], off offset:96
	ds_read_b64 v[20:21], v111 offset:6144
	ds_read_b64 v[24:25], v112 offset:6144
	;; [unrolled: 1-line block ×3, first 2 shown]
	global_load_ushort v155, v[22:23], off offset:864
	global_load_ushort v156, v[22:23], off offset:608
	s_load_dword s20, s[38:39], 0x0
	s_waitcnt lgkmcnt(0)
	v_mfma_f32_16x16x16_bf16 a[4:7], v[142:143], v[18:19], a[4:7]
	v_sub_f32_e32 v28, s20, v136
	v_mfma_f32_16x16x16_bf16 a[0:3], v[142:143], v[26:27], a[0:3]
	v_sub_f32_e32 v26, s20, v137
	v_sub_f32_e32 v27, s20, v135
	;; [unrolled: 1-line block ×3, first 2 shown]
	v_mul_f32_e32 v26, 0x3fb8aa3b, v26
	v_mul_f32_e32 v27, 0x3fb8aa3b, v27
	;; [unrolled: 1-line block ×4, first 2 shown]
	v_mfma_f32_16x16x16_bf16 a[8:11], v[142:143], v[20:21], a[8:11]
	v_exp_f32_e32 v26, v26
	v_exp_f32_e32 v27, v27
	v_exp_f32_e32 v28, v28
	v_exp_f32_e32 v29, v29
	v_accvgpr_read_b32 v33, a5
	v_accvgpr_read_b32 v32, a4
	;; [unrolled: 1-line block ×4, first 2 shown]
	v_pk_add_f32 v[30:31], v[30:31], v[32:33] neg_lo:[0,1] neg_hi:[0,1]
	s_waitcnt vmcnt(13)
	v_lshlrev_b32_e32 v33, 16, v147
	s_waitcnt vmcnt(12)
	v_lshlrev_b32_e32 v32, 16, v148
	v_pk_add_f32 v[18:19], v[32:33], v[18:19] neg_lo:[0,1] neg_hi:[0,1]
	v_pk_mul_f32 v[30:31], v[26:27], v[30:31]
	v_pk_mul_f32 v[18:19], v[28:29], v[18:19]
	v_accvgpr_read_b32 v33, a9
	v_perm_b32 v19, v19, v18, s17
	v_perm_b32 v18, v31, v30, s17
	v_accvgpr_read_b32 v32, a8
	v_accvgpr_read_b32 v21, a11
	v_mfma_f32_16x16x16_bf16 a[12:15], v[142:143], v[24:25], a[12:15]
	v_accvgpr_read_b32 v20, a10
	v_accvgpr_read_b32 v25, a3
	;; [unrolled: 1-line block ×3, first 2 shown]
	v_mov_b32_e32 v135, 0
	s_waitcnt vmcnt(11)
	v_lshlrev_b32_e32 v31, 16, v138
	s_waitcnt vmcnt(10)
	v_lshlrev_b32_e32 v30, 16, v139
	v_pk_add_f32 v[30:31], v[30:31], v[32:33] neg_lo:[0,1] neg_hi:[0,1]
	s_waitcnt vmcnt(9)
	v_lshlrev_b32_e32 v33, 16, v149
	s_waitcnt vmcnt(8)
	v_lshlrev_b32_e32 v32, 16, v150
	v_pk_add_f32 v[20:21], v[32:33], v[20:21] neg_lo:[0,1] neg_hi:[0,1]
	v_pk_mul_f32 v[30:31], v[26:27], v[30:31]
	v_pk_mul_f32 v[20:21], v[28:29], v[20:21]
	v_accvgpr_read_b32 v23, a15
	v_perm_b32 v21, v21, v20, s17
	v_perm_b32 v20, v31, v30, s17
	ds_write2_b64 v87, v[18:19], v[20:21] offset1:16
	v_accvgpr_read_b32 v21, a13
	s_waitcnt vmcnt(7)
	v_lshlrev_b32_e32 v19, 16, v151
	s_waitcnt vmcnt(6)
	v_lshlrev_b32_e32 v18, 16, v152
	v_accvgpr_read_b32 v20, a12
	v_accvgpr_read_b32 v22, a14
	v_pk_add_f32 v[18:19], v[18:19], v[20:21] neg_lo:[0,1] neg_hi:[0,1]
	s_waitcnt vmcnt(5)
	v_lshlrev_b32_e32 v21, 16, v153
	s_waitcnt vmcnt(4)
	v_lshlrev_b32_e32 v20, 16, v154
	v_pk_add_f32 v[20:21], v[20:21], v[22:23] neg_lo:[0,1] neg_hi:[0,1]
	v_pk_mul_f32 v[18:19], v[26:27], v[18:19]
	v_pk_mul_f32 v[20:21], v[28:29], v[20:21]
	v_accvgpr_read_b32 v23, a1
	v_perm_b32 v21, v21, v20, s17
	v_perm_b32 v20, v19, v18, s17
	s_waitcnt vmcnt(3)
	v_lshlrev_b32_e32 v19, 16, v140
	s_waitcnt vmcnt(2)
	v_lshlrev_b32_e32 v18, 16, v141
	v_accvgpr_read_b32 v22, a0
	v_pk_add_f32 v[18:19], v[18:19], v[22:23] neg_lo:[0,1] neg_hi:[0,1]
	s_waitcnt vmcnt(1)
	v_lshlrev_b32_e32 v23, 16, v155
	s_waitcnt vmcnt(0)
	v_lshlrev_b32_e32 v22, 16, v156
	v_pk_add_f32 v[22:23], v[22:23], v[24:25] neg_lo:[0,1] neg_hi:[0,1]
	v_pk_mul_f32 v[18:19], v[26:27], v[18:19]
	v_pk_mul_f32 v[22:23], v[28:29], v[22:23]
	v_mov_b32_e32 v24, 0
	v_perm_b32 v23, v23, v22, s17
	v_perm_b32 v22, v19, v18, s17
	ds_write2_b64 v87, v[20:21], v[22:23] offset0:32 offset1:48
	v_mov_b32_e32 v18, 0
	v_mov_b32_e32 v19, 0
	;; [unrolled: 1-line block ×15, first 2 shown]
	s_cbranch_vccnz .LBB232_14
; %bb.13:                               ;   in Loop: Header=BB232_6 Depth=1
	s_and_b32 s25, s25, 0xffff
	s_mov_b32 s27, s23
	buffer_load_dwordx4 v[30:33], v124, s[24:27], 0 offen
	buffer_load_dwordx4 v[22:25], v124, s[24:27], s53 offen
	;; [unrolled: 1-line block ×4, first 2 shown]
	v_mov_b32_e32 v134, v81
	v_mov_b32_e32 v135, v80
.LBB232_14:                             ;   in Loop: Header=BB232_6 Depth=1
	s_waitcnt lgkmcnt(0)
	s_barrier
	ds_read_b64 v[144:145], v127
	ds_read2_b64 v[136:139], v117 offset1:16
	ds_read_b64 v[160:161], v128
	ds_read_b64 v[162:163], v129
	;; [unrolled: 1-line block ×3, first 2 shown]
	ds_read2_b64 v[140:143], v117 offset0:32 offset1:48
	s_waitcnt lgkmcnt(4)
	v_mfma_f32_16x16x16_bf16 a[0:3], v[144:145], v[136:137], 0
	ds_read2st64_b64 v[148:151], v119 offset0:4 offset1:8
	ds_read2st64_b64 v[152:155], v120 offset0:4 offset1:8
	;; [unrolled: 1-line block ×3, first 2 shown]
	v_mfma_f32_16x16x16_bf16 a[4:7], v[144:145], v[138:139], 0
	s_add_i32 s21, s44, s56
	s_mul_hi_i32 s25, s21, s49
	s_mul_i32 s21, s21, s49
	s_waitcnt lgkmcnt(3)
	v_mfma_f32_16x16x16_bf16 a[8:11], v[144:145], v[140:141], 0
	s_add_u32 s24, s21, s33
	s_addc_u32 s25, s25, s51
	s_lshl_b64 s[24:25], s[24:25], 15
	v_mfma_f32_16x16x16_bf16 a[12:15], v[144:145], v[142:143], 0
	ds_read2st64_b64 v[144:147], v117 offset0:4 offset1:8
	s_waitcnt lgkmcnt(0)
	v_mfma_f32_16x16x16_bf16 a[0:3], v[160:161], v[144:145], a[0:3]
	v_mfma_f32_16x16x16_bf16 a[4:7], v[160:161], v[148:149], a[4:7]
	;; [unrolled: 1-line block ×8, first 2 shown]
	ds_read_b64 v[160:161], v117 offset:6144
	ds_read_b64 v[162:163], v118 offset:40960
	;; [unrolled: 1-line block ×8, first 2 shown]
	s_waitcnt lgkmcnt(5)
	v_mfma_f32_16x16x16_bf16 a[16:19], v[166:167], v[136:137], 0
	v_mfma_f32_16x16x16_bf16 a[20:23], v[166:167], v[138:139], 0
	ds_read2st64_b64 v[136:139], v114 offset1:8
	v_mfma_f32_16x16x16_bf16 a[24:27], v[166:167], v[140:141], 0
	v_mfma_f32_16x16x16_bf16 a[28:31], v[166:167], v[142:143], 0
	ds_read2st64_b64 v[140:143], v115 offset1:8
	v_mfma_f32_16x16x16_bf16 a[16:19], v[162:163], v[144:145], a[16:19]
	s_waitcnt lgkmcnt(1)
	v_mov_b32_e32 v144, v136
	v_mov_b32_e32 v145, v137
	v_mfma_f32_16x16x16_bf16 a[20:23], v[162:163], v[148:149], a[20:23]
	v_lshl_add_u64 v[148:149], v[70:71], 0, s[24:25]
	v_mfma_f32_16x16x16_bf16 a[24:27], v[162:163], v[152:153], a[24:27]
	v_mfma_f32_16x16x16_bf16 a[28:31], v[162:163], v[156:157], a[28:31]
	v_mfma_f32_16x16x16_bf16 a[16:19], v[174:175], v[146:147], a[16:19]
	s_waitcnt lgkmcnt(0)
	v_mov_b32_e32 v146, v140
	v_mov_b32_e32 v147, v141
	;; [unrolled: 1-line block ×3, first 2 shown]
	v_mfma_f32_16x16x16_bf16 a[32:35], v[174:175], v[150:151], a[20:23]
	v_mov_b32_e32 v141, v139
	ds_read2st64_b64 v[136:139], v114 offset0:16 offset1:24
	global_store_dwordx4 v[148:149], v[144:147], off
	v_mfma_f32_16x16x16_bf16 a[24:27], v[174:175], v[154:155], a[24:27]
	ds_read2st64_b64 v[144:147], v115 offset0:16 offset1:24
	v_add_co_u32_e32 v150, vcc, s31, v148
	v_mfma_f32_16x16x16_bf16 a[28:31], v[174:175], v[158:159], a[28:31]
	s_nop 0
	v_addc_co_u32_e32 v151, vcc, 0, v149, vcc
	global_store_dwordx4 v[150:151], v[140:143], off offset:-4096
	v_mfma_f32_16x16x16_bf16 a[0:3], v[164:165], v[160:161], a[0:3]
	s_waitcnt lgkmcnt(1)
	v_mov_b32_e32 v140, v136
	v_add_co_u32_e32 v136, vcc, s57, v148
	v_mfma_f32_16x16x16_bf16 a[4:7], v[164:165], v[168:169], a[4:7]
	v_mov_b32_e32 v141, v137
	v_addc_co_u32_e32 v137, vcc, 0, v149, vcc
	v_mfma_f32_16x16x16_bf16 a[8:11], v[164:165], v[170:171], a[8:11]
	s_waitcnt lgkmcnt(0)
	v_mov_b32_e32 v142, v144
	v_mov_b32_e32 v143, v145
	;; [unrolled: 1-line block ×3, first 2 shown]
	v_mfma_f32_16x16x16_bf16 a[12:15], v[164:165], v[172:173], a[12:15]
	v_mov_b32_e32 v145, v139
	s_and_b64 vcc, exec, s[0:1]
	global_store_dwordx4 v[150:151], v[140:143], off
	v_mfma_f32_16x16x16_bf16 a[20:23], v[176:177], v[160:161], a[16:19]
	global_store_dwordx4 v[136:137], v[144:147], off
	v_mfma_f32_16x16x16_bf16 a[16:19], v[176:177], v[168:169], a[32:35]
	v_mfma_f32_16x16x16_bf16 a[24:27], v[176:177], v[170:171], a[24:27]
	;; [unrolled: 1-line block ×3, first 2 shown]
	s_cbranch_vccnz .LBB232_16
; %bb.15:                               ;   in Loop: Header=BB232_6 Depth=1
	v_lshrrev_b32_e32 v136, 3, v134
	v_and_b32_e32 v136, 6, v136
	v_xor_b32_e32 v135, v136, v135
	v_lshlrev_b32_e32 v135, 2, v135
	v_and_b32_e32 v134, 8, v134
	v_xor_b32_e32 v137, 0x440, v135
	v_cmp_eq_u32_e32 vcc, 0, v134
	s_barrier
	s_nop 0
	v_cndmask_b32_e32 v134, v137, v135, vcc
	v_lshl_or_b32 v134, v136, 10, v134
	s_waitcnt vmcnt(5)
	v_perm_b32 v135, v30, v26, s54
	s_waitcnt vmcnt(4)
	v_perm_b32 v136, v22, v18, s54
	ds_write2st64_b32 v134, v135, v136 offset0:128 offset1:160
	v_xor_b32_e32 v135, 8, v134
	v_perm_b32 v26, v30, v26, s55
	v_perm_b32 v18, v22, v18, s55
	v_add_u32_e32 v22, 0x80, v135
	ds_write2st64_b32 v22, v26, v18 offset0:128 offset1:160
	v_xor_b32_e32 v18, 16, v134
	v_perm_b32 v22, v31, v27, s54
	v_perm_b32 v26, v23, v19, s54
	ds_write2st64_b32 v18, v22, v26 offset0:129 offset1:161
	v_xor_b32_e32 v18, 24, v134
	v_perm_b32 v22, v31, v27, s55
	v_perm_b32 v19, v23, v19, s55
	v_add_u32_e32 v18, 0x80, v18
	ds_write2st64_b32 v18, v22, v19 offset0:129 offset1:161
	v_xor_b32_e32 v18, 32, v134
	v_perm_b32 v19, v32, v28, s54
	v_perm_b32 v22, v24, v20, s54
	ds_write2st64_b32 v18, v19, v22 offset0:130 offset1:162
	v_xor_b32_e32 v18, 40, v134
	v_perm_b32 v19, v32, v28, s55
	v_perm_b32 v20, v24, v20, s55
	v_add_u32_e32 v18, 0x80, v18
	ds_write2st64_b32 v18, v19, v20 offset0:130 offset1:162
	v_xor_b32_e32 v18, 48, v134
	v_perm_b32 v19, v33, v29, s54
	v_perm_b32 v20, v25, v21, s54
	ds_write2st64_b32 v18, v19, v20 offset0:131 offset1:163
	v_xor_b32_e32 v18, 56, v134
	v_perm_b32 v19, v33, v29, s55
	v_perm_b32 v20, v25, v21, s55
	v_add_u32_e32 v18, 0x80, v18
	ds_write2st64_b32 v18, v19, v20 offset0:131 offset1:163
	ds_write_b64 v133, v[14:15] offset:49152
	v_xor_b32_e32 v14, 8, v133
	ds_write_b64 v14, v[16:17] offset:49152
	ds_write_b64 v133, v[10:11] offset:57344
	;; [unrolled: 1-line block ×4, first 2 shown]
	v_xor_b32_e32 v6, 8, v132
	ds_write_b64 v6, v[8:9] offset:49152
	ds_write_b64 v132, v[2:3] offset:57344
	;; [unrolled: 1-line block ×3, first 2 shown]
.LBB232_16:                             ;   in Loop: Header=BB232_6 Depth=1
	s_waitcnt vmcnt(6)
	v_mul_f32_e32 v22, s20, v131
	v_exp_f32_e32 v132, v22
	v_accvgpr_read_b32 v5, a3
	v_accvgpr_read_b32 v9, a7
	;; [unrolled: 1-line block ×4, first 2 shown]
	s_waitcnt vmcnt(4)
	v_accvgpr_read_b32 v18, a20
	v_accvgpr_read_b32 v25, a19
	;; [unrolled: 1-line block ×28, first 2 shown]
	s_add_i32 s50, s50, 64
	v_pk_fma_f32 v[62:63], v[132:133], v[62:63], v[2:3] op_sel_hi:[0,1,1]
	v_pk_fma_f32 v[64:65], v[132:133], v[64:65], v[4:5] op_sel_hi:[0,1,1]
	;; [unrolled: 1-line block ×15, first 2 shown]
	s_cmp_eq_u32 s43, s58
	v_pk_fma_f32 v[38:39], v[132:133], v[38:39], v[32:33] op_sel_hi:[0,1,1]
	s_cbranch_scc1 .LBB232_18
; %bb.17:                               ;   in Loop: Header=BB232_6 Depth=1
	s_mov_b32 s56, s58
	s_branch .LBB232_6
.LBB232_18:
	s_lshl_b32 s0, s43, 6
	s_sub_i32 s45, s45, s0
	s_cmp_gt_i32 s45, 0
	s_cbranch_scc0 .LBB232_99
; %bb.19:
	s_add_i32 s34, s0, s34
	s_ashr_i32 s2, s34, 31
	s_cmpk_lg_i32 s15, 0x80
	s_cselect_b64 s[26:27], -1, 0
	s_and_b64 vcc, exec, s[26:27]
	s_cbranch_vccz .LBB232_21
; %bb.20:
	s_mul_i32 s1, s34, s14
	s_ashr_i32 s3, s48, 31
	s_mul_hi_i32 s0, s34, s14
	s_add_u32 s38, s1, s48
	s_addc_u32 s39, s0, s3
	s_cbranch_execz .LBB232_22
	s_branch .LBB232_23
.LBB232_21:
                                        ; implicit-def: $sgpr38_sgpr39
.LBB232_22:
	s_mul_i32 s1, s48, s12
	s_mul_hi_i32 s0, s48, s12
	s_add_u32 s38, s1, s34
	s_addc_u32 s39, s0, s2
.LBB232_23:
	s_add_i32 s3, s43, s44
	s_ashr_i32 s12, s33, 31
	s_add_u32 s0, s47, s34
	v_lshlrev_b32_e32 v6, 6, v78
	v_lshlrev_b32_e32 v24, 2, v72
	s_addc_u32 s1, s46, s2
	s_mov_b32 s2, 0x7060302
	v_or_b32_e32 v9, v6, v24
	v_xor_b32_e32 v7, v78, v24
	v_perm_b32 v3, v65, v64, s2
	v_perm_b32 v2, v63, v62, s2
	;; [unrolled: 1-line block ×4, first 2 shown]
	v_lshlrev_b32_e32 v9, 1, v9
	v_xor_b32_e32 v8, v79, v24
	ds_write2st64_b64 v9, v[2:3], v[4:5] offset0:32 offset1:48
	v_lshlrev_b32_e32 v7, 1, v7
	v_lshlrev_b32_e32 v9, 8, v72
	v_or_b32_e32 v10, v7, v9
	v_lshlrev_b32_e32 v8, 1, v8
	ds_write_b64 v10, v[2:3]
	v_or_b32_e32 v2, v8, v9
	v_or_b32_e32 v9, 16, v72
	v_lshlrev_b32_e32 v23, 2, v9
	v_or_b32_e32 v10, v6, v23
	ds_write_b64 v2, v[4:5]
	v_perm_b32 v3, v57, v56, s2
	v_perm_b32 v2, v55, v54, s2
	;; [unrolled: 1-line block ×4, first 2 shown]
	v_lshlrev_b32_e32 v10, 1, v10
	v_lshlrev_b32_e32 v9, 8, v9
	ds_write2st64_b64 v10, v[2:3], v[4:5] offset0:32 offset1:48
	v_or_b32_e32 v10, v7, v9
	ds_write_b64 v10, v[2:3]
	v_or_b32_e32 v2, v8, v9
	v_or_b32_e32 v9, 32, v72
	v_lshlrev_b32_e32 v22, 2, v9
	v_or_b32_e32 v10, v6, v22
	s_lshl_b64 s[24:25], s[0:1], 8
	ds_write_b64 v2, v[4:5]
	v_perm_b32 v3, v49, v48, s2
	v_perm_b32 v2, v47, v46, s2
	;; [unrolled: 1-line block ×4, first 2 shown]
	v_lshlrev_b32_e32 v10, 1, v10
	v_lshlrev_b32_e32 v9, 8, v9
	s_add_u32 s0, s6, s24
	ds_write2st64_b64 v10, v[2:3], v[4:5] offset0:32 offset1:48
	v_or_b32_e32 v10, v7, v9
	s_addc_u32 s1, s7, s25
	ds_write_b64 v10, v[2:3]
	v_or_b32_e32 v2, v8, v9
	v_or_b32_e32 v9, 48, v72
	s_mul_hi_i32 s6, s3, s13
	s_mul_i32 s3, s3, s13
	ds_write_b64 v2, v[4:5]
	v_perm_b32 v3, v35, v34, s2
	v_perm_b32 v2, v41, v40, s2
	;; [unrolled: 1-line block ×4, first 2 shown]
	v_lshlrev_b32_e32 v19, 2, v9
	s_add_u32 s2, s3, s33
	v_or_b32_e32 v6, v6, v19
	s_addc_u32 s3, s6, s12
	v_lshlrev_b32_e32 v6, 1, v6
	s_ashr_i32 s31, s30, 31
	s_lshl_b64 s[2:3], s[2:3], 15
	ds_write2st64_b64 v6, v[2:3], v[4:5] offset0:32 offset1:48
	v_lshlrev_b32_e32 v6, 8, v9
	s_add_u32 s6, s36, s2
	v_or_b32_e32 v7, v7, v6
	s_addc_u32 s7, s37, s3
	s_lshl_b64 s[2:3], s[30:31], 8
	ds_write_b64 v7, v[2:3]
	v_or_b32_e32 v2, v8, v6
	s_add_u32 s2, s6, s2
	v_lshlrev_b32_e32 v3, 1, v72
	ds_write_b64 v2, v[4:5]
	v_lshrrev_b32_e32 v2, 4, v0
	s_addc_u32 s3, s7, s3
	v_or_b32_e32 v4, 1, v3
	v_lshlrev_b32_e32 v10, 4, v72
	v_mov_b32_e32 v11, 0
	v_xor_b32_e32 v3, v2, v3
	v_xor_b32_e32 v6, v4, v2
	v_lshl_add_u64 v[12:13], s[2:3], 0, v[10:11]
	v_lshlrev_b32_e32 v10, 8, v2
	v_lshl_or_b32 v16, v3, 3, v10
	v_lshl_or_b32 v17, v6, 3, v10
	s_waitcnt lgkmcnt(0)
	s_barrier
	ds_read2st64_b64 v[2:5], v16 offset1:8
	ds_read2st64_b64 v[6:9], v17 offset1:8
	v_lshl_add_u64 v[14:15], v[12:13], 0, v[10:11]
	s_movk_i32 s2, 0x2000
	s_cmp_lg_u32 s45, 64
	s_waitcnt lgkmcnt(1)
	v_mov_b32_e32 v10, v2
	v_mov_b32_e32 v11, v3
	s_waitcnt lgkmcnt(0)
	v_mov_b32_e32 v12, v6
	v_mov_b32_e32 v13, v7
	global_store_dwordx4 v[14:15], v[10:13], off
	v_mov_b32_e32 v6, v4
	v_mov_b32_e32 v7, v5
	ds_read2st64_b64 v[2:5], v16 offset0:16 offset1:24
	ds_read2st64_b64 v[10:13], v17 offset0:16 offset1:24
	v_add_co_u32_e32 v16, vcc, s2, v14
	s_cselect_b64 s[6:7], -1, 0
	s_nop 0
	v_addc_co_u32_e32 v17, vcc, 0, v15, vcc
	global_store_dwordx4 v[16:17], v[6:9], off offset:-4096
	v_lshl_or_b32 v25, v74, 3, v77
	s_mov_b32 s20, 0
	s_waitcnt lgkmcnt(1)
	v_mov_b32_e32 v6, v2
	v_add_co_u32_e32 v2, vcc, 0x3000, v14
	v_mov_b32_e32 v7, v3
	s_nop 0
	v_addc_co_u32_e32 v3, vcc, 0, v15, vcc
	s_waitcnt lgkmcnt(0)
	v_mov_b32_e32 v8, v10
	v_mov_b32_e32 v9, v11
	;; [unrolled: 1-line block ×4, first 2 shown]
	v_or_b32_e32 v20, 32, v25
	v_and_b32_e32 v18, 56, v76
	s_and_b64 vcc, exec, s[6:7]
	global_store_dwordx4 v[16:17], v[6:9], off
	global_store_dwordx4 v[2:3], v[10:13], off
	s_cbranch_vccz .LBB232_29
; %bb.24:
	s_mov_b32 s21, s20
	s_mov_b32 s22, s20
	;; [unrolled: 1-line block ×3, first 2 shown]
	v_mov_b64_e32 v[6:7], s[20:21]
	v_mov_b64_e32 v[8:9], s[22:23]
	;; [unrolled: 1-line block ×3, first 2 shown]
	v_cmp_gt_i32_e32 vcc, s45, v25
	v_mov_b64_e32 v[4:5], v[8:9]
	s_and_saveexec_b64 s[2:3], vcc
	s_cbranch_execz .LBB232_26
; %bb.25:
	v_lshlrev_b32_e32 v2, 8, v25
	v_mov_b32_e32 v3, 0
	v_lshl_add_u64 v[4:5], s[0:1], 0, v[2:3]
	v_lshlrev_b32_e32 v2, 1, v18
	v_lshl_add_u64 v[10:11], v[4:5], 0, v[2:3]
	global_load_dwordx4 v[6:9], v[10:11], off
	global_load_dwordx4 v[2:5], v[10:11], off offset:128
.LBB232_26:
	s_or_b64 exec, exec, s[2:3]
	s_mov_b32 s21, s20
	s_mov_b32 s22, s20
	;; [unrolled: 1-line block ×3, first 2 shown]
	v_mov_b64_e32 v[14:15], s[20:21]
	v_mov_b64_e32 v[16:17], s[22:23]
	;; [unrolled: 1-line block ×3, first 2 shown]
	v_cmp_gt_i32_e32 vcc, s45, v20
	v_lshlrev_b32_e32 v21, 7, v20
	v_mov_b64_e32 v[12:13], v[16:17]
	s_and_saveexec_b64 s[2:3], vcc
	s_cbranch_execz .LBB232_28
; %bb.27:
	v_lshlrev_b32_e32 v10, 1, v21
	v_mov_b32_e32 v11, 0
	v_lshl_add_u64 v[12:13], s[0:1], 0, v[10:11]
	v_lshlrev_b32_e32 v10, 1, v18
	v_lshl_add_u64 v[26:27], v[12:13], 0, v[10:11]
	global_load_dwordx4 v[14:17], v[26:27], off
	global_load_dwordx4 v[10:13], v[26:27], off offset:128
.LBB232_28:
	s_or_b64 exec, exec, s[2:3]
	v_lshrrev_b32_e32 v26, 3, v18
	v_lshlrev_b32_e32 v27, 3, v25
	v_or_b32_e32 v26, v27, v26
	v_lshlrev_b32_e32 v26, 4, v26
	v_and_b32_e32 v27, 0x78, v27
	v_xor_b32_e32 v26, v26, v27
	s_branch .LBB232_31
.LBB232_29:
                                        ; implicit-def: $vgpr26
                                        ; implicit-def: $vgpr21
                                        ; implicit-def: $vgpr6_vgpr7_vgpr8_vgpr9
                                        ; implicit-def: $vgpr2_vgpr3_vgpr4_vgpr5
                                        ; implicit-def: $vgpr14_vgpr15_vgpr16_vgpr17
                                        ; implicit-def: $vgpr10_vgpr11_vgpr12_vgpr13
	s_cbranch_execz .LBB232_31
; %bb.30:
	s_waitcnt vmcnt(0)
	v_lshlrev_b32_e32 v2, 1, v18
	v_lshl_or_b32 v21, v25, 8, v2
	s_and_b32 s1, s1, 0xffff
	s_mov_b32 s3, 0x20000
	s_movk_i32 s2, 0x4000
	v_lshl_or_b32 v26, v20, 8, v2
	s_movk_i32 s13, 0x80
	buffer_load_dwordx4 v[6:9], v21, s[0:3], 0 offen
	buffer_load_dwordx4 v[2:5], v21, s[0:3], s13 offen
	;; [unrolled: 1-line block ×4, first 2 shown]
	v_lshrrev_b32_e32 v21, 3, v18
	v_lshlrev_b32_e32 v26, 3, v25
	v_or_b32_e32 v21, v26, v21
	v_lshlrev_b32_e32 v21, 4, v21
	v_and_b32_e32 v26, 0x78, v26
	v_xor_b32_e32 v26, v21, v26
	v_lshlrev_b32_e32 v21, 7, v20
.LBB232_31:
	s_movk_i32 s0, 0x1000
	v_and_or_b32 v20, v21, s0, v26
	s_waitcnt vmcnt(1)
	ds_write_b64 v26, v[6:7] offset:49152
	v_xor_b32_e32 v6, 8, v26
	ds_write_b64 v6, v[8:9] offset:49152
	s_waitcnt vmcnt(0)
	ds_write_b64 v26, v[2:3] offset:57344
	ds_write_b64 v6, v[4:5] offset:57344
	;; [unrolled: 1-line block ×3, first 2 shown]
	v_xor_b32_e32 v2, 8, v20
	ds_write_b64 v2, v[16:17] offset:49152
	ds_write_b64 v20, v[10:11] offset:57344
	;; [unrolled: 1-line block ×3, first 2 shown]
	v_or_b32_e32 v2, v1, v72
	v_lshlrev_b32_e32 v3, 11, v74
	v_lshlrev_b32_e32 v2, 3, v2
	v_and_b32_e32 v6, 0x1000, v3
	v_lshrrev_b32_e32 v3, 5, v73
	s_movk_i32 s0, 0xf8
	v_and_or_b32 v3, v2, s0, v3
	v_lshlrev_b32_e32 v7, 4, v3
	v_and_b32_e32 v8, 0x78, v2
	v_or_b32_e32 v10, 32, v7
	v_lshrrev_b32_e32 v3, 1, v73
	v_xor_b32_e32 v10, v10, v8
	v_xor_b32_e32 v2, v7, v8
	v_and_b32_e32 v9, 8, v3
	v_or_b32_e32 v10, v10, v6
	v_or_b32_e32 v2, v2, v6
	v_xor_b32_e32 v28, v10, v9
	v_or_b32_e32 v10, 64, v7
	v_xor_b32_e32 v27, v2, v9
	v_xor_b32_e32 v10, v10, v8
	s_waitcnt lgkmcnt(0)
	s_barrier
	v_or_b32_e32 v13, v10, v6
	ds_read_b64 v[10:11], v27 offset:49152
	v_lshl_or_b32 v14, v75, 8, v24
	v_lshlrev_b32_e32 v26, 1, v14
	v_add_u32_e32 v12, 0x4000, v26
	ds_read2_b64 v[2:5], v12 offset1:16
	v_or_b32_e32 v7, 0x60, v7
	v_xor_b32_e32 v7, v7, v8
	v_or_b32_e32 v6, v7, v6
	v_xor_b32_e32 v29, v13, v9
	v_xor_b32_e32 v30, v6, v9
	ds_read_b64 v[20:21], v28 offset:49152
	ds_read_b64 v[34:35], v29 offset:49152
	ds_read_b64 v[36:37], v30 offset:49152
	s_waitcnt lgkmcnt(3)
	v_mfma_f32_16x16x16_bf16 a[0:3], v[10:11], v[2:3], 0
	ds_read2_b64 v[6:9], v12 offset0:32 offset1:48
	s_lshl_b64 s[0:1], s[38:39], 8
	s_add_u32 s4, s4, s0
	v_mfma_f32_16x16x16_bf16 a[4:7], v[10:11], v[4:5], 0
	ds_read2st64_b64 v[2:5], v26 offset0:36 offset1:40
	s_addc_u32 s5, s5, s1
	s_add_i32 s0, s41, s40
	s_waitcnt lgkmcnt(1)
	v_mfma_f32_16x16x16_bf16 a[8:11], v[10:11], v[6:7], 0
	v_or_b32_e32 v6, 64, v14
	v_lshlrev_b32_e32 v31, 1, v6
	s_add_i32 s2, s35, -1
	s_waitcnt lgkmcnt(0)
	v_mfma_f32_16x16x16_bf16 a[0:3], v[20:21], v[2:3], a[0:3]
	v_or_b32_e32 v2, 0x80, v14
	v_lshlrev_b32_e32 v32, 1, v2
	v_or_b32_e32 v2, 0xc0, v14
	v_mfma_f32_16x16x16_bf16 a[12:15], v[10:11], v[8:9], 0
	ds_read2st64_b64 v[6:9], v31 offset0:36 offset1:40
	v_lshlrev_b32_e32 v33, 1, v2
	ds_read2st64_b64 v[10:13], v32 offset0:36 offset1:40
	ds_read2st64_b64 v[14:17], v33 offset0:36 offset1:40
	s_add_i32 s17, s0, s42
	s_mul_i32 s0, s33, s19
	s_mul_hi_u32 s1, s33, s18
	s_add_i32 s0, s1, s0
	s_mul_i32 s1, s12, s18
	s_ashr_i32 s3, s2, 31
	s_mul_i32 s12, s2, s29
	s_mul_hi_u32 s13, s2, s28
	s_waitcnt lgkmcnt(2)
	v_mfma_f32_16x16x16_bf16 a[4:7], v[20:21], v[6:7], a[4:7]
	s_add_i32 s12, s13, s12
	s_mul_i32 s3, s3, s28
	s_add_i32 s1, s0, s1
	s_waitcnt lgkmcnt(1)
	v_mfma_f32_16x16x16_bf16 a[8:11], v[20:21], v[10:11], a[8:11]
	s_add_i32 s3, s12, s3
	s_lshl_b64 s[12:13], s[16:17], 2
	s_mul_i32 s0, s33, s18
	s_waitcnt lgkmcnt(0)
	v_mfma_f32_16x16x16_bf16 a[12:15], v[20:21], v[14:15], a[12:15]
	s_add_u32 s10, s10, s12
	s_addc_u32 s11, s11, s13
	s_lshl_b64 s[0:1], s[0:1], 2
	v_mfma_f32_16x16x16_bf16 a[0:3], v[34:35], v[4:5], a[0:3]
	s_mul_i32 s2, s2, s28
	ds_read_b64 v[2:3], v26 offset:22528
	s_add_u32 s10, s10, s0
	v_mfma_f32_16x16x16_bf16 a[4:7], v[34:35], v[8:9], a[4:7]
	ds_read_b64 v[4:5], v31 offset:22528
	ds_read_b64 v[6:7], v32 offset:22528
	;; [unrolled: 1-line block ×3, first 2 shown]
	s_addc_u32 s11, s11, s1
	s_lshl_b64 s[0:1], s[2:3], 2
	v_mfma_f32_16x16x16_bf16 a[8:11], v[34:35], v[12:13], a[8:11]
	s_add_u32 s0, s10, s0
	s_addc_u32 s1, s11, s1
	s_load_dword s12, s[0:1], 0x0
	v_mfma_f32_16x16x16_bf16 a[12:15], v[34:35], v[16:17], a[12:15]
	s_and_b64 vcc, exec, s[26:27]
	s_waitcnt lgkmcnt(0)
	v_mfma_f32_16x16x16_bf16 a[0:3], v[36:37], v[2:3], a[0:3]
	v_mfma_f32_16x16x16_bf16 a[4:7], v[36:37], v[4:5], a[4:7]
	;; [unrolled: 1-line block ×4, first 2 shown]
	s_cbranch_vccz .LBB232_42
; %bb.32:
	v_lshlrev_b32_e32 v20, 1, v25
	s_and_b64 vcc, exec, s[6:7]
	s_cbranch_vccz .LBB232_43
; %bb.33:
	v_cmp_gt_i32_e32 vcc, s45, v20
	v_mov_b32_e32 v6, 0
	v_mov_b32_e32 v2, 0
	;; [unrolled: 1-line block ×5, first 2 shown]
	s_and_saveexec_b64 s[0:1], vcc
	s_cbranch_execz .LBB232_35
; %bb.34:
	v_mad_i64_i32 v[2:3], s[2:3], s15, v20, 0
	v_lshl_add_u64 v[2:3], v[2:3], 1, s[4:5]
	v_lshlrev_b32_e32 v4, 1, v18
	v_mov_b32_e32 v5, 0
	v_lshl_add_u64 v[2:3], v[2:3], 0, v[4:5]
	global_load_dwordx4 v[2:5], v[2:3], off
.LBB232_35:
	s_or_b64 exec, exec, s[0:1]
	v_or_b32_e32 v21, 1, v20
	v_cmp_gt_i32_e64 s[0:1], s45, v21
	v_mov_b32_e32 v7, 0
	v_mov_b32_e32 v8, 0
	;; [unrolled: 1-line block ×3, first 2 shown]
	s_and_saveexec_b64 s[2:3], s[0:1]
	s_cbranch_execz .LBB232_37
; %bb.36:
	v_mad_i64_i32 v[6:7], s[16:17], s15, v21, 0
	v_lshl_add_u64 v[6:7], v[6:7], 1, s[4:5]
	v_lshlrev_b32_e32 v8, 1, v18
	v_mov_b32_e32 v9, 0
	v_lshl_add_u64 v[6:7], v[6:7], 0, v[8:9]
	global_load_dwordx4 v[6:9], v[6:7], off
.LBB232_37:
	s_or_b64 exec, exec, s[2:3]
	v_mov_b32_e32 v17, 0
	v_mov_b32_e32 v10, 0
	;; [unrolled: 1-line block ×5, first 2 shown]
	s_and_saveexec_b64 s[2:3], vcc
	s_cbranch_execz .LBB232_39
; %bb.38:
	v_mad_i64_i32 v[10:11], s[16:17], s15, v20, 0
	v_lshl_add_u64 v[10:11], v[10:11], 1, s[4:5]
	v_lshlrev_b32_e32 v12, 1, v18
	v_mov_b32_e32 v13, 0
	v_lshl_add_u64 v[10:11], v[10:11], 0, v[12:13]
	global_load_dwordx4 v[10:13], v[10:11], off offset:128
.LBB232_39:
	s_or_b64 exec, exec, s[2:3]
	v_mov_b32_e32 v16, 0
	v_mov_b32_e32 v15, 0
	;; [unrolled: 1-line block ×3, first 2 shown]
	s_and_saveexec_b64 s[2:3], s[0:1]
	s_cbranch_execz .LBB232_41
; %bb.40:
	v_mad_i64_i32 v[14:15], s[0:1], s15, v21, 0
	v_lshl_add_u64 v[14:15], v[14:15], 1, s[4:5]
	v_lshlrev_b32_e32 v16, 1, v18
	v_mov_b32_e32 v17, 0
	v_lshl_add_u64 v[14:15], v[14:15], 0, v[16:17]
	global_load_dwordx4 v[14:17], v[14:15], off offset:128
.LBB232_41:
	s_or_b64 exec, exec, s[2:3]
	s_branch .LBB232_45
.LBB232_42:
                                        ; implicit-def: $vgpr5
                                        ; implicit-def: $vgpr9
                                        ; implicit-def: $vgpr13
                                        ; implicit-def: $vgpr17
	v_lshrrev_b32_e32 v34, 2, v73
	s_branch .LBB232_46
.LBB232_43:
                                        ; implicit-def: $vgpr5
                                        ; implicit-def: $vgpr9
                                        ; implicit-def: $vgpr13
                                        ; implicit-def: $vgpr17
	s_cbranch_execz .LBB232_45
; %bb.44:
	s_waitcnt vmcnt(0)
	v_mad_u64_u32 v[2:3], s[0:1], v20, s15, v[18:19]
	v_lshlrev_b32_e32 v20, 1, v2
	s_lshl_b32 s2, s15, 7
	s_and_b32 s1, s5, 0xffff
	s_mov_b32 s3, 0x20000
	s_mov_b32 s0, s4
	v_add_lshl_u32 v21, v2, s15, 1
	s_movk_i32 s13, 0x80
	buffer_load_dwordx4 v[2:5], v20, s[0:3], 0 offen
	buffer_load_dwordx4 v[10:13], v20, s[0:3], s13 offen
	;; [unrolled: 1-line block ×4, first 2 shown]
.LBB232_45:
	v_lshrrev_b32_e32 v34, 2, v73
	s_cbranch_execnz .LBB232_58
.LBB232_46:
	s_and_b64 vcc, exec, s[6:7]
	s_cbranch_vccz .LBB232_56
; %bb.47:
	s_waitcnt vmcnt(0)
	v_lshlrev_b32_e32 v7, 1, v25
	v_cmp_gt_i32_e32 vcc, s45, v7
	v_mov_b32_e32 v6, 0
	v_lshlrev_b32_e32 v14, 9, v25
	v_mov_b32_e32 v2, 0
	v_mov_b32_e32 v3, 0
	;; [unrolled: 1-line block ×4, first 2 shown]
	s_and_saveexec_b64 s[0:1], vcc
	s_cbranch_execz .LBB232_49
; %bb.48:
	v_mov_b32_e32 v15, 0
	v_lshl_add_u64 v[2:3], s[4:5], 0, v[14:15]
	v_lshlrev_b32_e32 v4, 1, v18
	v_mov_b32_e32 v5, v15
	v_lshl_add_u64 v[2:3], v[2:3], 0, v[4:5]
	global_load_dwordx4 v[2:5], v[2:3], off
.LBB232_49:
	s_or_b64 exec, exec, s[0:1]
	v_or_b32_e32 v7, 1, v7
	v_cmp_gt_i32_e64 s[0:1], s45, v7
	v_lshlrev_b32_e32 v20, 8, v7
	v_mov_b32_e32 v7, 0
	v_mov_b32_e32 v8, 0
	;; [unrolled: 1-line block ×3, first 2 shown]
	s_and_saveexec_b64 s[2:3], s[0:1]
	s_cbranch_execz .LBB232_51
; %bb.50:
	v_mov_b32_e32 v21, 0
	v_lshl_add_u64 v[6:7], s[4:5], 0, v[20:21]
	v_lshlrev_b32_e32 v8, 1, v18
	v_mov_b32_e32 v9, v21
	v_lshl_add_u64 v[6:7], v[6:7], 0, v[8:9]
	global_load_dwordx4 v[6:9], v[6:7], off
.LBB232_51:
	s_or_b64 exec, exec, s[2:3]
	v_mov_b32_e32 v17, 0
	v_mov_b32_e32 v10, 0
	v_mov_b32_e32 v11, 0
	v_mov_b32_e32 v12, 0
	v_mov_b32_e32 v13, 0
	s_and_saveexec_b64 s[2:3], vcc
	s_cbranch_execz .LBB232_53
; %bb.52:
	v_mov_b32_e32 v15, 0
	v_lshl_add_u64 v[10:11], s[4:5], 0, v[14:15]
	v_lshlrev_b32_e32 v14, 1, v18
	v_lshl_add_u64 v[10:11], v[10:11], 0, v[14:15]
	global_load_dwordx4 v[10:13], v[10:11], off offset:128
.LBB232_53:
	s_or_b64 exec, exec, s[2:3]
	v_mov_b32_e32 v16, 0
	v_mov_b32_e32 v15, 0
	;; [unrolled: 1-line block ×3, first 2 shown]
	s_and_saveexec_b64 s[2:3], s[0:1]
	s_cbranch_execz .LBB232_55
; %bb.54:
	v_mov_b32_e32 v21, 0
	v_lshl_add_u64 v[14:15], s[4:5], 0, v[20:21]
	v_lshlrev_b32_e32 v20, 1, v18
	v_lshl_add_u64 v[14:15], v[14:15], 0, v[20:21]
	global_load_dwordx4 v[14:17], v[14:15], off offset:128
.LBB232_55:
	s_or_b64 exec, exec, s[2:3]
	s_branch .LBB232_58
.LBB232_56:
                                        ; implicit-def: $vgpr5
                                        ; implicit-def: $vgpr9
                                        ; implicit-def: $vgpr13
                                        ; implicit-def: $vgpr17
	s_cbranch_execz .LBB232_58
; %bb.57:
	s_waitcnt vmcnt(0)
	v_lshlrev_b32_e32 v2, 1, v18
	v_lshl_or_b32 v18, v25, 9, v2
	s_and_b32 s5, s5, 0xffff
	s_mov_b32 s7, 0x20000
	s_movk_i32 s6, 0x4000
	s_movk_i32 s0, 0x80
	buffer_load_dwordx4 v[2:5], v18, s[4:7], 0 offen
	buffer_load_dwordx4 v[6:9], v18, s[4:7], 0 offen offset:256
	buffer_load_dwordx4 v[10:13], v18, s[4:7], s0 offen
	buffer_load_dwordx4 v[14:17], v18, s[4:7], s0 offen offset:256
.LBB232_58:
	ds_read_b64 v[20:21], v27 offset:57344
	v_add_u32_e32 v18, 0x6000, v26
	ds_read2_b64 v[36:39], v18 offset1:16
	ds_read_b64 v[52:53], v28 offset:57344
	ds_read_b64 v[28:29], v29 offset:57344
	;; [unrolled: 1-line block ×3, first 2 shown]
	ds_read2st64_b64 v[40:43], v26 offset0:52 offset1:56
	s_mov_b32 s0, 0x1000504
	s_mov_b32 s1, 0x3020706
	s_waitcnt lgkmcnt(4)
	v_mfma_f32_16x16x16_bf16 a[0:3], v[20:21], v[36:37], a[0:3]
	v_mfma_f32_16x16x16_bf16 a[4:7], v[20:21], v[38:39], a[4:7]
	ds_read2_b64 v[36:39], v18 offset0:32 offset1:48
	v_and_b32_e32 v18, 6, v0
	v_xor_b32_e32 v25, v25, v18
	s_waitcnt lgkmcnt(0)
	v_mfma_f32_16x16x16_bf16 a[8:11], v[20:21], v[36:37], a[8:11]
	v_lshlrev_b32_e32 v25, 2, v25
	v_and_b32_e32 v0, 1, v0
	v_xor_b32_e32 v35, 0x440, v25
	v_mfma_f32_16x16x16_bf16 a[12:15], v[20:21], v[38:39], a[12:15]
	ds_read2st64_b64 v[36:39], v31 offset0:52 offset1:56
	ds_read2st64_b64 v[44:47], v32 offset0:52 offset1:56
	;; [unrolled: 1-line block ×3, first 2 shown]
	v_cmp_eq_u32_e32 vcc, 0, v0
	ds_read_b64 v[20:21], v26 offset:30720
	ds_read_b64 v[26:27], v31 offset:30720
	;; [unrolled: 1-line block ×4, first 2 shown]
	v_mfma_f32_16x16x16_bf16 a[0:3], v[52:53], v[40:41], a[0:3]
	v_cndmask_b32_e32 v0, v35, v25, vcc
	v_lshl_or_b32 v0, v18, 10, v0
	s_waitcnt vmcnt(0)
	v_perm_b32 v18, v2, v6, s0
	s_waitcnt lgkmcnt(6)
	v_mfma_f32_16x16x16_bf16 a[4:7], v[52:53], v[36:37], a[4:7]
	v_perm_b32 v25, v10, v14, s0
	ds_write2st64_b32 v0, v18, v25 offset0:128 offset1:160
	v_xor_b32_e32 v18, 8, v0
	s_waitcnt lgkmcnt(6)
	v_mfma_f32_16x16x16_bf16 a[8:11], v[52:53], v[44:45], a[8:11]
	v_perm_b32 v2, v2, v6, s1
	v_perm_b32 v6, v10, v14, s1
	v_add_u32_e32 v10, 0x80, v18
	s_waitcnt lgkmcnt(5)
	v_mfma_f32_16x16x16_bf16 a[12:15], v[52:53], v[48:49], a[12:15]
	ds_write2st64_b32 v10, v2, v6 offset0:128 offset1:160
	v_xor_b32_e32 v2, 16, v0
	v_perm_b32 v6, v3, v7, s0
	v_mfma_f32_16x16x16_bf16 a[0:3], v[28:29], v[42:43], a[0:3]
	v_perm_b32 v10, v11, v15, s0
	ds_write2st64_b32 v2, v6, v10 offset0:129 offset1:161
	v_xor_b32_e32 v2, 24, v0
	v_mfma_f32_16x16x16_bf16 a[4:7], v[28:29], v[38:39], a[4:7]
	v_perm_b32 v3, v3, v7, s1
	v_perm_b32 v6, v11, v15, s1
	v_add_u32_e32 v2, 0x80, v2
	v_mfma_f32_16x16x16_bf16 a[16:19], v[28:29], v[46:47], a[8:11]
	ds_write2st64_b32 v2, v3, v6 offset0:129 offset1:161
	v_xor_b32_e32 v2, 32, v0
	v_perm_b32 v3, v4, v8, s0
	v_mfma_f32_16x16x16_bf16 a[20:23], v[28:29], v[50:51], a[12:15]
	v_perm_b32 v6, v12, v16, s0
	ds_write2st64_b32 v2, v3, v6 offset0:130 offset1:162
	v_xor_b32_e32 v2, 40, v0
	s_waitcnt lgkmcnt(8)
	v_mfma_f32_16x16x16_bf16 a[12:15], v[54:55], v[20:21], a[0:3]
	v_perm_b32 v3, v4, v8, s1
	v_perm_b32 v4, v12, v16, s1
	v_add_u32_e32 v2, 0x80, v2
	s_waitcnt lgkmcnt(7)
	v_mfma_f32_16x16x16_bf16 a[8:11], v[54:55], v[26:27], a[4:7]
	ds_write2st64_b32 v2, v3, v4 offset0:130 offset1:162
	v_xor_b32_e32 v2, 48, v0
	v_perm_b32 v3, v5, v9, s0
	s_waitcnt lgkmcnt(7)
	v_mfma_f32_16x16x16_bf16 a[4:7], v[54:55], v[30:31], a[16:19]
	v_perm_b32 v4, v13, v17, s0
	v_xor_b32_e32 v0, 56, v0
	v_and_or_b32 v18, v34, 12, v1
	s_waitcnt lgkmcnt(6)
	v_mfma_f32_16x16x16_bf16 a[0:3], v[54:55], v[32:33], a[20:23]
	ds_write2st64_b32 v2, v3, v4 offset0:131 offset1:163
	v_perm_b32 v2, v5, v9, s1
	v_perm_b32 v3, v13, v17, s1
	v_add_u32_e32 v0, 0x80, v0
	v_cmp_gt_i32_e32 vcc, s45, v18
	v_mov_b32_e32 v14, 0
	v_mov_b32_e32 v16, 0
	ds_write2st64_b32 v0, v2, v3 offset0:131 offset1:163
	s_and_saveexec_b64 s[0:1], vcc
	s_cbranch_execz .LBB232_60
; %bb.59:
	v_add_u32_e32 v0, s34, v18
	v_ashrrev_i32_e32 v1, 31, v0
	v_mul_lo_u32 v2, v1, s28
	v_mul_lo_u32 v3, v0, s29
	v_mad_u64_u32 v[0:1], s[2:3], v0, s28, 0
	v_add3_u32 v1, v1, v3, v2
	v_lshl_add_u64 v[0:1], v[0:1], 2, s[10:11]
	global_load_dword v0, v[0:1], off
	s_waitcnt vmcnt(0)
	v_sub_f32_e32 v0, s12, v0
	v_mul_f32_e32 v0, 0x3fb8aa3b, v0
	v_exp_f32_e32 v16, v0
.LBB232_60:
	s_or_b64 exec, exec, s[0:1]
	v_or_b32_e32 v8, 1, v18
	v_cmp_gt_i32_e64 s[0:1], s45, v8
	s_and_saveexec_b64 s[2:3], s[0:1]
	s_cbranch_execz .LBB232_62
; %bb.61:
	v_add_u32_e32 v0, s34, v8
	v_ashrrev_i32_e32 v1, 31, v0
	v_mul_lo_u32 v2, v1, s28
	v_mul_lo_u32 v3, v0, s29
	v_mad_u64_u32 v[0:1], s[4:5], v0, s28, 0
	v_add3_u32 v1, v1, v3, v2
	v_lshl_add_u64 v[0:1], v[0:1], 2, s[10:11]
	global_load_dword v0, v[0:1], off
	s_waitcnt vmcnt(0)
	v_sub_f32_e32 v0, s12, v0
	v_mul_f32_e32 v0, 0x3fb8aa3b, v0
	v_exp_f32_e32 v14, v0
.LBB232_62:
	s_or_b64 exec, exec, s[2:3]
	v_or_b32_e32 v10, 2, v18
	v_cmp_gt_i32_e64 s[2:3], s45, v10
	v_mov_b32_e32 v15, 0
	v_mov_b32_e32 v17, 0
	s_and_saveexec_b64 s[4:5], s[2:3]
	s_cbranch_execz .LBB232_64
; %bb.63:
	v_add_u32_e32 v0, s34, v10
	v_ashrrev_i32_e32 v1, 31, v0
	v_mul_lo_u32 v2, v1, s28
	v_mul_lo_u32 v3, v0, s29
	v_mad_u64_u32 v[0:1], s[6:7], v0, s28, 0
	v_add3_u32 v1, v1, v3, v2
	v_lshl_add_u64 v[0:1], v[0:1], 2, s[10:11]
	global_load_dword v0, v[0:1], off
	s_waitcnt vmcnt(0)
	v_sub_f32_e32 v0, s12, v0
	v_mul_f32_e32 v0, 0x3fb8aa3b, v0
	v_exp_f32_e32 v17, v0
.LBB232_64:
	s_or_b64 exec, exec, s[4:5]
	v_or_b32_e32 v12, 3, v18
	v_cmp_gt_i32_e64 s[4:5], s45, v12
	s_and_saveexec_b64 s[6:7], s[4:5]
	s_cbranch_execz .LBB232_66
; %bb.65:
	v_add_u32_e32 v0, s34, v12
	v_ashrrev_i32_e32 v1, 31, v0
	v_mul_lo_u32 v2, v1, s28
	v_mul_lo_u32 v3, v0, s29
	v_mad_u64_u32 v[0:1], s[14:15], v0, s28, 0
	v_add3_u32 v1, v1, v3, v2
	v_lshl_add_u64 v[0:1], v[0:1], 2, s[10:11]
	global_load_dword v0, v[0:1], off
	s_waitcnt vmcnt(0)
	v_sub_f32_e32 v0, s12, v0
	v_mul_f32_e32 v0, 0x3fb8aa3b, v0
	v_exp_f32_e32 v15, v0
.LBB232_66:
	s_or_b64 exec, exec, s[6:7]
	v_or_b32_e32 v4, s30, v72
	s_add_u32 s6, s8, s24
	v_accvgpr_read_b32 v0, a12
	s_addc_u32 s7, s9, s25
	v_ashrrev_i32_e32 v5, 31, v4
	v_accvgpr_read_b32 v1, a13
	v_accvgpr_read_b32 v2, a14
	;; [unrolled: 1-line block ×3, first 2 shown]
	v_lshl_add_u64 v[4:5], v[4:5], 1, s[6:7]
	v_mov_b32_e32 v9, 0
	v_lshlrev_b32_e32 v6, 8, v18
	v_mov_b32_e32 v7, 0
	s_and_saveexec_b64 s[6:7], vcc
	s_cbranch_execz .LBB232_68
; %bb.67:
	v_mov_b32_e32 v7, 0
	v_lshl_add_u64 v[20:21], v[4:5], 0, v[6:7]
	global_load_ushort v7, v[20:21], off
	s_waitcnt vmcnt(0)
	v_lshlrev_b32_e32 v7, 16, v7
	v_sub_f32_e32 v0, v7, v0
	v_mul_f32_e32 v0, v16, v0
	v_lshrrev_b32_e32 v7, 16, v0
.LBB232_68:
	s_or_b64 exec, exec, s[6:7]
	v_lshlrev_b32_e32 v8, 8, v8
	s_and_saveexec_b64 s[6:7], s[0:1]
	s_cbranch_execz .LBB232_70
; %bb.69:
	v_mov_b32_e32 v9, 0
	v_lshl_add_u64 v[20:21], v[4:5], 0, v[8:9]
	global_load_ushort v0, v[20:21], off
	s_waitcnt vmcnt(0)
	v_lshlrev_b32_e32 v0, 16, v0
	v_sub_f32_e32 v0, v0, v1
	v_mul_f32_e32 v0, v14, v0
	v_lshrrev_b32_e32 v9, 16, v0
.LBB232_70:
	s_or_b64 exec, exec, s[6:7]
	v_mov_b32_e32 v13, 0
	v_lshlrev_b32_e32 v10, 8, v10
	v_mov_b32_e32 v11, 0
	s_and_saveexec_b64 s[6:7], s[2:3]
	s_cbranch_execz .LBB232_72
; %bb.71:
	v_mov_b32_e32 v11, 0
	v_lshl_add_u64 v[0:1], v[4:5], 0, v[10:11]
	global_load_ushort v0, v[0:1], off
	s_waitcnt vmcnt(0)
	v_lshlrev_b32_e32 v0, 16, v0
	v_sub_f32_e32 v0, v0, v2
	v_mul_f32_e32 v0, v17, v0
	v_lshrrev_b32_e32 v11, 16, v0
.LBB232_72:
	s_or_b64 exec, exec, s[6:7]
	v_lshlrev_b32_e32 v12, 8, v12
	s_and_saveexec_b64 s[6:7], s[4:5]
	s_cbranch_execz .LBB232_74
; %bb.73:
	v_mov_b32_e32 v13, 0
	v_lshl_add_u64 v[0:1], v[4:5], 0, v[12:13]
	global_load_ushort v0, v[0:1], off
	s_waitcnt vmcnt(0)
	v_lshlrev_b32_e32 v0, 16, v0
	v_sub_f32_e32 v0, v0, v3
	v_mul_f32_e32 v0, v15, v0
	v_lshrrev_b32_e32 v13, 16, v0
.LBB232_74:
	s_or_b64 exec, exec, s[6:7]
	v_lshlrev_b32_e32 v18, 6, v18
	s_mov_b32 s6, 0x5040100
	v_perm_b32 v20, v9, v7, s6
	v_or_b32_e32 v7, v18, v24
	v_accvgpr_read_b32 v0, a8
	v_perm_b32 v21, v13, v11, s6
	v_lshlrev_b32_e32 v7, 1, v7
	v_accvgpr_read_b32 v1, a9
	v_accvgpr_read_b32 v2, a10
	;; [unrolled: 1-line block ×3, first 2 shown]
	ds_write_b64 v7, v[20:21] offset:24576
	v_mov_b32_e32 v9, 0
	v_mov_b32_e32 v7, 0
	s_and_saveexec_b64 s[6:7], vcc
	s_cbranch_execz .LBB232_76
; %bb.75:
	v_mov_b32_e32 v7, 0
	v_lshl_add_u64 v[20:21], v[4:5], 0, v[6:7]
	global_load_ushort v7, v[20:21], off offset:32
	s_waitcnt vmcnt(0)
	v_lshlrev_b32_e32 v7, 16, v7
	v_sub_f32_e32 v0, v7, v0
	v_mul_f32_e32 v0, v16, v0
	v_lshrrev_b32_e32 v7, 16, v0
.LBB232_76:
	s_or_b64 exec, exec, s[6:7]
	s_and_saveexec_b64 s[6:7], s[0:1]
	s_cbranch_execz .LBB232_78
; %bb.77:
	v_mov_b32_e32 v9, 0
	v_lshl_add_u64 v[20:21], v[4:5], 0, v[8:9]
	global_load_ushort v0, v[20:21], off offset:32
	s_waitcnt vmcnt(0)
	v_lshlrev_b32_e32 v0, 16, v0
	v_sub_f32_e32 v0, v0, v1
	v_mul_f32_e32 v0, v14, v0
	v_lshrrev_b32_e32 v9, 16, v0
.LBB232_78:
	s_or_b64 exec, exec, s[6:7]
	v_mov_b32_e32 v13, 0
	v_mov_b32_e32 v11, 0
	s_and_saveexec_b64 s[6:7], s[2:3]
	s_cbranch_execz .LBB232_80
; %bb.79:
	v_mov_b32_e32 v11, 0
	v_lshl_add_u64 v[0:1], v[4:5], 0, v[10:11]
	global_load_ushort v0, v[0:1], off offset:32
	s_waitcnt vmcnt(0)
	v_lshlrev_b32_e32 v0, 16, v0
	v_sub_f32_e32 v0, v0, v2
	v_mul_f32_e32 v0, v17, v0
	v_lshrrev_b32_e32 v11, 16, v0
.LBB232_80:
	s_or_b64 exec, exec, s[6:7]
	s_and_saveexec_b64 s[6:7], s[4:5]
	s_cbranch_execz .LBB232_82
; %bb.81:
	v_mov_b32_e32 v13, 0
	v_lshl_add_u64 v[0:1], v[4:5], 0, v[12:13]
	global_load_ushort v0, v[0:1], off offset:32
	s_waitcnt vmcnt(0)
	v_lshlrev_b32_e32 v0, 16, v0
	v_sub_f32_e32 v0, v0, v3
	v_mul_f32_e32 v0, v15, v0
	v_lshrrev_b32_e32 v13, 16, v0
.LBB232_82:
	s_or_b64 exec, exec, s[6:7]
	s_mov_b32 s6, 0x5040100
	v_perm_b32 v20, v9, v7, s6
	v_or_b32_e32 v7, v18, v23
	v_accvgpr_read_b32 v0, a4
	v_perm_b32 v21, v13, v11, s6
	v_lshlrev_b32_e32 v7, 1, v7
	v_accvgpr_read_b32 v1, a5
	v_accvgpr_read_b32 v2, a6
	;; [unrolled: 1-line block ×3, first 2 shown]
	ds_write_b64 v7, v[20:21] offset:24576
	v_mov_b32_e32 v9, 0
	v_mov_b32_e32 v7, 0
	s_and_saveexec_b64 s[6:7], vcc
	s_cbranch_execz .LBB232_84
; %bb.83:
	v_mov_b32_e32 v7, 0
	v_lshl_add_u64 v[20:21], v[4:5], 0, v[6:7]
	global_load_ushort v7, v[20:21], off offset:64
	s_waitcnt vmcnt(0)
	v_lshlrev_b32_e32 v7, 16, v7
	v_sub_f32_e32 v0, v7, v0
	v_mul_f32_e32 v0, v16, v0
	v_lshrrev_b32_e32 v7, 16, v0
.LBB232_84:
	s_or_b64 exec, exec, s[6:7]
	s_and_saveexec_b64 s[6:7], s[0:1]
	s_cbranch_execz .LBB232_86
; %bb.85:
	v_mov_b32_e32 v9, 0
	v_lshl_add_u64 v[20:21], v[4:5], 0, v[8:9]
	global_load_ushort v0, v[20:21], off offset:64
	s_waitcnt vmcnt(0)
	v_lshlrev_b32_e32 v0, 16, v0
	v_sub_f32_e32 v0, v0, v1
	v_mul_f32_e32 v0, v14, v0
	v_lshrrev_b32_e32 v9, 16, v0
.LBB232_86:
	s_or_b64 exec, exec, s[6:7]
	v_mov_b32_e32 v13, 0
	v_mov_b32_e32 v11, 0
	s_and_saveexec_b64 s[6:7], s[2:3]
	s_cbranch_execz .LBB232_88
; %bb.87:
	v_mov_b32_e32 v11, 0
	v_lshl_add_u64 v[0:1], v[4:5], 0, v[10:11]
	global_load_ushort v0, v[0:1], off offset:64
	s_waitcnt vmcnt(0)
	v_lshlrev_b32_e32 v0, 16, v0
	v_sub_f32_e32 v0, v0, v2
	v_mul_f32_e32 v0, v17, v0
	v_lshrrev_b32_e32 v11, 16, v0
.LBB232_88:
	s_or_b64 exec, exec, s[6:7]
	s_and_saveexec_b64 s[6:7], s[4:5]
	s_cbranch_execz .LBB232_90
; %bb.89:
	v_mov_b32_e32 v13, 0
	v_lshl_add_u64 v[0:1], v[4:5], 0, v[12:13]
	global_load_ushort v0, v[0:1], off offset:64
	s_waitcnt vmcnt(0)
	v_lshlrev_b32_e32 v0, 16, v0
	v_sub_f32_e32 v0, v0, v3
	v_mul_f32_e32 v0, v15, v0
	v_lshrrev_b32_e32 v13, 16, v0
.LBB232_90:
	s_or_b64 exec, exec, s[6:7]
	s_mov_b32 s6, 0x5040100
	v_perm_b32 v20, v9, v7, s6
	v_or_b32_e32 v7, v18, v22
	v_accvgpr_read_b32 v0, a0
	v_perm_b32 v21, v13, v11, s6
	v_lshlrev_b32_e32 v7, 1, v7
	v_accvgpr_read_b32 v1, a1
	v_accvgpr_read_b32 v2, a2
	v_accvgpr_read_b32 v3, a3
	ds_write_b64 v7, v[20:21] offset:24576
	v_mov_b32_e32 v9, 0
	v_mov_b32_e32 v7, 0
	s_and_saveexec_b64 s[6:7], vcc
	s_cbranch_execz .LBB232_92
; %bb.91:
	v_mov_b32_e32 v7, 0
	v_lshl_add_u64 v[6:7], v[4:5], 0, v[6:7]
	global_load_ushort v6, v[6:7], off offset:96
	s_waitcnt vmcnt(0)
	v_lshlrev_b32_e32 v6, 16, v6
	v_sub_f32_e32 v0, v6, v0
	v_mul_f32_e32 v0, v16, v0
	v_lshrrev_b32_e32 v7, 16, v0
.LBB232_92:
	s_or_b64 exec, exec, s[6:7]
	s_and_saveexec_b64 s[6:7], s[0:1]
	s_cbranch_execz .LBB232_94
; %bb.93:
	v_mov_b32_e32 v9, 0
	v_lshl_add_u64 v[8:9], v[4:5], 0, v[8:9]
	global_load_ushort v0, v[8:9], off offset:96
	s_waitcnt vmcnt(0)
	v_lshlrev_b32_e32 v0, 16, v0
	v_sub_f32_e32 v0, v0, v1
	v_mul_f32_e32 v0, v14, v0
	v_lshrrev_b32_e32 v9, 16, v0
.LBB232_94:
	s_or_b64 exec, exec, s[6:7]
	v_mov_b32_e32 v0, 0
	v_mov_b32_e32 v1, 0
	s_and_saveexec_b64 s[0:1], s[2:3]
	s_cbranch_execz .LBB232_96
; %bb.95:
	v_mov_b32_e32 v11, 0
	v_lshl_add_u64 v[10:11], v[4:5], 0, v[10:11]
	global_load_ushort v1, v[10:11], off offset:96
	s_waitcnt vmcnt(0)
	v_lshlrev_b32_e32 v1, 16, v1
	v_sub_f32_e32 v1, v1, v2
	v_mul_f32_e32 v1, v17, v1
	v_lshrrev_b32_e32 v1, 16, v1
.LBB232_96:
	s_or_b64 exec, exec, s[0:1]
	s_and_saveexec_b64 s[0:1], s[4:5]
	s_cbranch_execz .LBB232_98
; %bb.97:
	v_mov_b32_e32 v13, 0
	v_lshl_add_u64 v[4:5], v[4:5], 0, v[12:13]
	global_load_ushort v0, v[4:5], off offset:96
	s_waitcnt vmcnt(0)
	v_lshlrev_b32_e32 v0, 16, v0
	v_sub_f32_e32 v0, v0, v3
	v_mul_f32_e32 v0, v15, v0
	v_lshrrev_b32_e32 v0, 16, v0
.LBB232_98:
	s_or_b64 exec, exec, s[0:1]
	s_mov_b32 s0, 0x5040100
	v_or_b32_e32 v2, v18, v19
	v_perm_b32 v1, v0, v1, s0
	v_perm_b32 v0, v9, v7, s0
	v_lshlrev_b32_e32 v2, 1, v2
	ds_write_b64 v2, v[0:1] offset:24576
	s_waitcnt lgkmcnt(0)
	s_barrier
.LBB232_99:
	s_endpgm
	.section	.rodata,"a",@progbits
	.p2align	6, 0x0
	.amdhsa_kernel _ZN12_GLOBAL__N_139chunk_gated_delta_rule_fwd_h_hip_kernelILi64ELb0ELb0ELb0ELb1ELb0ELb0ELb1ELb0EEEvPK12hip_bfloat16S3_S3_PKfS5_PKvPS1_S8_PvPKiSB_iiiiilll
		.amdhsa_group_segment_fixed_size 65536
		.amdhsa_private_segment_fixed_size 0
		.amdhsa_kernarg_size 136
		.amdhsa_user_sgpr_count 2
		.amdhsa_user_sgpr_dispatch_ptr 0
		.amdhsa_user_sgpr_queue_ptr 0
		.amdhsa_user_sgpr_kernarg_segment_ptr 1
		.amdhsa_user_sgpr_dispatch_id 0
		.amdhsa_user_sgpr_kernarg_preload_length 0
		.amdhsa_user_sgpr_kernarg_preload_offset 0
		.amdhsa_user_sgpr_private_segment_size 0
		.amdhsa_uses_dynamic_stack 0
		.amdhsa_enable_private_segment 0
		.amdhsa_system_sgpr_workgroup_id_x 1
		.amdhsa_system_sgpr_workgroup_id_y 1
		.amdhsa_system_sgpr_workgroup_id_z 0
		.amdhsa_system_sgpr_workgroup_info 0
		.amdhsa_system_vgpr_workitem_id 0
		.amdhsa_next_free_vgpr 216
		.amdhsa_next_free_sgpr 60
		.amdhsa_accum_offset 180
		.amdhsa_reserve_vcc 1
		.amdhsa_float_round_mode_32 0
		.amdhsa_float_round_mode_16_64 0
		.amdhsa_float_denorm_mode_32 3
		.amdhsa_float_denorm_mode_16_64 3
		.amdhsa_dx10_clamp 1
		.amdhsa_ieee_mode 1
		.amdhsa_fp16_overflow 0
		.amdhsa_tg_split 0
		.amdhsa_exception_fp_ieee_invalid_op 0
		.amdhsa_exception_fp_denorm_src 0
		.amdhsa_exception_fp_ieee_div_zero 0
		.amdhsa_exception_fp_ieee_overflow 0
		.amdhsa_exception_fp_ieee_underflow 0
		.amdhsa_exception_fp_ieee_inexact 0
		.amdhsa_exception_int_div_zero 0
	.end_amdhsa_kernel
	.section	.text._ZN12_GLOBAL__N_139chunk_gated_delta_rule_fwd_h_hip_kernelILi64ELb0ELb0ELb0ELb1ELb0ELb0ELb1ELb0EEEvPK12hip_bfloat16S3_S3_PKfS5_PKvPS1_S8_PvPKiSB_iiiiilll,"axG",@progbits,_ZN12_GLOBAL__N_139chunk_gated_delta_rule_fwd_h_hip_kernelILi64ELb0ELb0ELb0ELb1ELb0ELb0ELb1ELb0EEEvPK12hip_bfloat16S3_S3_PKfS5_PKvPS1_S8_PvPKiSB_iiiiilll,comdat
.Lfunc_end232:
	.size	_ZN12_GLOBAL__N_139chunk_gated_delta_rule_fwd_h_hip_kernelILi64ELb0ELb0ELb0ELb1ELb0ELb0ELb1ELb0EEEvPK12hip_bfloat16S3_S3_PKfS5_PKvPS1_S8_PvPKiSB_iiiiilll, .Lfunc_end232-_ZN12_GLOBAL__N_139chunk_gated_delta_rule_fwd_h_hip_kernelILi64ELb0ELb0ELb0ELb1ELb0ELb0ELb1ELb0EEEvPK12hip_bfloat16S3_S3_PKfS5_PKvPS1_S8_PvPKiSB_iiiiilll
                                        ; -- End function
	.section	.AMDGPU.csdata,"",@progbits
; Kernel info:
; codeLenInByte = 10744
; NumSgprs: 66
; NumVgprs: 178
; NumAgprs: 36
; TotalNumVgprs: 216
; ScratchSize: 0
; MemoryBound: 0
; FloatMode: 240
; IeeeMode: 1
; LDSByteSize: 65536 bytes/workgroup (compile time only)
; SGPRBlocks: 8
; VGPRBlocks: 26
; NumSGPRsForWavesPerEU: 66
; NumVGPRsForWavesPerEU: 216
; AccumOffset: 180
; Occupancy: 1
; WaveLimiterHint : 1
; COMPUTE_PGM_RSRC2:SCRATCH_EN: 0
; COMPUTE_PGM_RSRC2:USER_SGPR: 2
; COMPUTE_PGM_RSRC2:TRAP_HANDLER: 0
; COMPUTE_PGM_RSRC2:TGID_X_EN: 1
; COMPUTE_PGM_RSRC2:TGID_Y_EN: 1
; COMPUTE_PGM_RSRC2:TGID_Z_EN: 0
; COMPUTE_PGM_RSRC2:TIDIG_COMP_CNT: 0
; COMPUTE_PGM_RSRC3_GFX90A:ACCUM_OFFSET: 44
; COMPUTE_PGM_RSRC3_GFX90A:TG_SPLIT: 0
	.section	.text._ZN12_GLOBAL__N_139chunk_gated_delta_rule_fwd_h_hip_kernelILi64ELb1ELb1ELb1ELb0ELb0ELb0ELb1ELb0EEEvPK12hip_bfloat16S3_S3_PKfS5_PKvPS1_S8_PvPKiSB_iiiiilll,"axG",@progbits,_ZN12_GLOBAL__N_139chunk_gated_delta_rule_fwd_h_hip_kernelILi64ELb1ELb1ELb1ELb0ELb0ELb0ELb1ELb0EEEvPK12hip_bfloat16S3_S3_PKfS5_PKvPS1_S8_PvPKiSB_iiiiilll,comdat
	.globl	_ZN12_GLOBAL__N_139chunk_gated_delta_rule_fwd_h_hip_kernelILi64ELb1ELb1ELb1ELb0ELb0ELb0ELb1ELb0EEEvPK12hip_bfloat16S3_S3_PKfS5_PKvPS1_S8_PvPKiSB_iiiiilll ; -- Begin function _ZN12_GLOBAL__N_139chunk_gated_delta_rule_fwd_h_hip_kernelILi64ELb1ELb1ELb1ELb0ELb0ELb0ELb1ELb0EEEvPK12hip_bfloat16S3_S3_PKfS5_PKvPS1_S8_PvPKiSB_iiiiilll
	.p2align	8
	.type	_ZN12_GLOBAL__N_139chunk_gated_delta_rule_fwd_h_hip_kernelILi64ELb1ELb1ELb1ELb0ELb0ELb0ELb1ELb0EEEvPK12hip_bfloat16S3_S3_PKfS5_PKvPS1_S8_PvPKiSB_iiiiilll,@function
_ZN12_GLOBAL__N_139chunk_gated_delta_rule_fwd_h_hip_kernelILi64ELb1ELb1ELb1ELb0ELb0ELb0ELb1ELb0EEEvPK12hip_bfloat16S3_S3_PKfS5_PKvPS1_S8_PvPKiSB_iiiiilll: ; @_ZN12_GLOBAL__N_139chunk_gated_delta_rule_fwd_h_hip_kernelILi64ELb1ELb1ELb1ELb0ELb0ELb0ELb1ELb0EEEvPK12hip_bfloat16S3_S3_PKfS5_PKvPS1_S8_PvPKiSB_iiiiilll
; %bb.0:
	s_load_dwordx4 s[20:23], s[0:1], 0x5c
	s_load_dwordx4 s[24:27], s[0:1], 0x70
	s_abs_i32 s6, s3
	s_ashr_i32 s5, s3, 31
	v_and_b32_e32 v88, 15, v0
	s_waitcnt lgkmcnt(0)
	s_abs_i32 s4, s21
	v_cvt_f32_u32_e32 v1, s4
	s_sub_i32 s8, 0, s4
	s_ashr_i32 s7, s21, 31
	s_xor_b32 s5, s5, s7
	v_rcp_iflag_f32_e32 v1, v1
	v_bfe_u32 v87, v0, 4, 2
	v_mov_b32_e32 v67, 0
	v_lshlrev_b32_e32 v89, 3, v0
	v_mul_f32_e32 v1, 0x4f7ffffe, v1
	v_cvt_u32_f32_e32 v1, v1
	s_nop 0
	v_readfirstlane_b32 s9, v1
	s_mul_i32 s8, s8, s9
	s_mul_hi_u32 s8, s9, s8
	s_add_i32 s9, s9, s8
	s_mul_hi_u32 s8, s6, s9
	s_mul_i32 s9, s8, s4
	s_sub_i32 s6, s6, s9
	s_add_i32 s10, s8, 1
	s_sub_i32 s9, s6, s4
	s_cmp_ge_u32 s6, s4
	s_cselect_b32 s8, s10, s8
	s_cselect_b32 s6, s9, s6
	s_add_i32 s9, s8, 1
	s_cmp_ge_u32 s6, s4
	s_cselect_b32 s6, s9, s8
	s_xor_b32 s6, s6, s5
	s_add_i32 s8, s20, 63
	s_sub_i32 s55, s6, s5
	s_ashr_i32 s9, s8, 31
	s_mul_i32 s12, s55, s21
	s_sub_i32 s52, s3, s12
	s_lshr_b32 s3, s9, 26
	s_add_i32 s8, s8, s3
	s_abs_i32 s3, s22
	v_cvt_f32_u32_e32 v1, s3
	s_ashr_i32 s54, s20, 31
	s_lshr_b32 s5, s54, 26
	s_add_i32 s5, s20, s5
	v_rcp_iflag_f32_e32 v1, v1
	s_ashr_i32 s57, s22, 31
	s_ashr_i32 s56, s5, 6
	s_xor_b32 s5, s7, s57
	v_mul_f32_e32 v1, 0x4f7ffffe, v1
	v_cvt_u32_f32_e32 v1, v1
	s_sub_i32 s6, 0, s3
	s_ashr_i32 s28, s8, 6
	s_lshl_b32 s2, s2, 6
	v_readfirstlane_b32 s7, v1
	s_mul_i32 s6, s6, s7
	s_mul_hi_u32 s6, s7, s6
	s_add_i32 s7, s7, s6
	s_mul_hi_u32 s6, s4, s7
	s_mul_i32 s7, s6, s3
	s_sub_i32 s4, s4, s7
	s_add_i32 s7, s6, 1
	s_sub_i32 s8, s4, s3
	s_cmp_ge_u32 s4, s3
	s_cselect_b32 s6, s7, s6
	s_cselect_b32 s4, s8, s4
	s_add_i32 s7, s6, 1
	s_cmp_ge_u32 s4, s3
	s_cselect_b32 s3, s7, s6
	s_xor_b32 s3, s3, s5
	s_sub_i32 s3, s3, s5
	s_abs_i32 s13, s3
	v_cvt_f32_u32_e32 v1, s13
	s_sub_i32 s15, 0, s13
	s_abs_i32 s14, s52
	s_xor_b32 s3, s52, s3
	v_rcp_iflag_f32_e32 v2, v1
	s_ashr_i32 s3, s3, 31
	s_load_dwordx8 s[4:11], s[0:1], 0x28
	v_lshrrev_b32_e32 v1, 6, v0
	v_mul_f32_e32 v2, 0x4f7ffffe, v2
	v_cvt_u32_f32_e32 v2, v2
	v_or_b32_e32 v76, s2, v88
	v_lshlrev_b32_e32 v86, 4, v1
	v_lshlrev_b32_e32 v68, 7, v76
	v_readfirstlane_b32 s16, v2
	s_mul_i32 s15, s15, s16
	s_mul_hi_u32 s15, s16, s15
	s_add_i32 s16, s16, s15
	s_mul_hi_u32 s15, s14, s16
	s_mul_i32 s16, s15, s13
	s_sub_i32 s14, s14, s16
	s_add_i32 s16, s15, 1
	s_sub_i32 s17, s14, s13
	s_cmp_ge_u32 s14, s13
	s_cselect_b32 s15, s16, s15
	s_cselect_b32 s14, s17, s14
	s_add_i32 s16, s15, 1
	s_cmp_ge_u32 s14, s13
	s_cselect_b32 s13, s16, s15
	s_xor_b32 s13, s13, s3
	s_sub_i32 s58, s13, s3
	s_ashr_i32 s3, s55, 31
	s_ashr_i32 s53, s52, 31
	s_mul_hi_i32 s13, s55, s21
	s_add_u32 s42, s12, s52
	s_addc_u32 s43, s13, s53
	s_lshl_b64 s[34:35], s[42:43], 16
	s_waitcnt lgkmcnt(0)
	s_add_u32 s4, s4, s34
	v_lshl_or_b32 v91, v87, 2, v86
	s_addc_u32 s5, s5, s35
	v_ashrrev_i32_e32 v69, 31, v68
	v_lshl_add_u64 v[2:3], v[68:69], 2, s[4:5]
	v_lshlrev_b32_e32 v66, 2, v91
	v_or_b32_e32 v70, 0x800, v68
	v_lshl_add_u64 v[10:11], v[2:3], 0, v[66:67]
	v_ashrrev_i32_e32 v71, 31, v70
	global_load_dwordx4 v[6:9], v[10:11], off
	global_load_dwordx4 v[2:5], v[10:11], off offset:256
	v_lshl_add_u64 v[10:11], v[70:71], 2, s[4:5]
	v_or_b32_e32 v72, 0x1000, v68
	v_lshl_add_u64 v[18:19], v[10:11], 0, v[66:67]
	v_ashrrev_i32_e32 v73, 31, v72
	global_load_dwordx4 v[14:17], v[18:19], off
	global_load_dwordx4 v[10:13], v[18:19], off offset:256
	v_lshl_add_u64 v[18:19], v[72:73], 2, s[4:5]
	;; [unrolled: 6-line block ×3, first 2 shown]
	v_lshl_add_u64 v[34:35], v[26:27], 0, v[66:67]
	global_load_dwordx4 v[30:33], v[34:35], off
	global_load_dwordx4 v[26:29], v[34:35], off offset:256
	s_load_dwordx8 s[12:19], s[0:1], 0x0
	s_load_dwordx2 s[36:37], s[0:1], 0x80
	v_and_b32_e32 v67, 63, v0
	s_mul_i32 s59, s55, s28
	v_or_b32_e32 v92, 64, v91
	s_cmp_lt_i32 s20, 64
	v_lshrrev_b32_e32 v90, 3, v67
	s_mul_i32 s60, s43, s20
	s_mul_hi_u32 s61, s42, s20
	s_mul_i32 s4, s42, s20
	s_mul_i32 s33, s55, s25
	s_mul_hi_u32 s48, s55, s24
	s_mul_i32 s43, s3, s24
	s_mul_i32 s40, s55, s24
	;; [unrolled: 1-line block ×3, first 2 shown]
	s_mul_hi_u32 s50, s52, s26
	s_mul_i32 s51, s53, s26
	s_mul_i32 s38, s52, s26
	s_cbranch_scc1 .LBB233_18
; %bb.1:
	s_add_i32 s5, s61, s60
	s_lshl_b64 s[0:1], s[4:5], 8
	v_and_b32_e32 v94, 56, v89
	s_waitcnt lgkmcnt(0)
	s_add_u32 s24, s14, s0
	v_lshl_or_b32 v93, v1, 3, v90
	v_lshlrev_b32_e32 v34, 1, v94
	s_addc_u32 s0, s15, s1
	v_lshl_or_b32 v95, v93, 8, v34
	s_and_b32 s25, s0, 0xffff
	s_mov_b32 s27, 0x20000
	s_movk_i32 s26, 0x4000
	s_movk_i32 s0, 0x80
	v_or_b32_e32 v96, 0x2000, v95
	buffer_load_dwordx4 v[36:39], v95, s[24:27], 0 offen
	buffer_load_dwordx4 v[40:43], v95, s[24:27], s0 offen
	;; [unrolled: 1-line block ×4, first 2 shown]
	v_lshlrev_b32_e32 v35, 3, v93
	v_and_or_b32 v53, v0, 7, v35
	v_and_b32_e32 v35, 0x78, v35
	v_lshlrev_b32_e32 v53, 4, v53
	v_xor_b32_e32 v97, v53, v35
	v_mul_lo_u32 v52, v93, s23
	v_or_b32_e32 v98, 0x1000, v97
	v_xor_b32_e32 v35, 8, v97
	s_cmpk_eq_i32 s23, 0x80
	s_mov_b32 s62, s22
	v_xor_b32_e32 v53, 8, v98
	s_cselect_b64 s[0:1], -1, 0
	s_cmpk_lg_i32 s23, 0x80
	s_waitcnt vmcnt(3)
	ds_write_b64 v97, v[36:37] offset:49152
	ds_write_b64 v35, v[38:39] offset:49152
	s_waitcnt vmcnt(2)
	ds_write_b64 v97, v[40:41] offset:57344
	ds_write_b64 v35, v[42:43] offset:57344
	;; [unrolled: 3-line block ×4, first 2 shown]
	v_lshl_add_u32 v35, v52, 1, v94
	s_cbranch_scc0 .LBB233_3
; %bb.2:
	v_lshlrev_b32_e32 v37, 1, v35
	v_add_lshl_u32 v36, v35, s23, 1
	s_lshl_b32 s26, s23, 7
	v_lshl_or_b32 v34, v93, 9, v34
	s_cbranch_execz .LBB233_4
	s_branch .LBB233_5
.LBB233_3:
                                        ; implicit-def: $vgpr36
                                        ; implicit-def: $vgpr37
                                        ; implicit-def: $sgpr26
	v_lshl_or_b32 v34, v93, 9, v34
.LBB233_4:
	v_or_b32_e32 v36, 0x100, v34
	s_movk_i32 s26, 0x4000
	v_mov_b32_e32 v37, v34
.LBB233_5:
	s_mul_hi_u32 s24, s22, s20
	s_mul_i32 s25, s57, s20
	s_add_i32 s24, s24, s25
	s_mul_i32 s25, s22, s20
	s_mul_i32 s27, s25, s3
	s_mul_hi_u32 s28, s25, s55
	s_add_i32 s27, s28, s27
	s_mul_i32 s24, s24, s55
	s_add_i32 s27, s27, s24
	s_mul_i32 s25, s25, s55
	s_ashr_i32 s63, s58, 31
	s_add_u32 s24, s25, s58
	s_addc_u32 s25, s27, s63
	s_lshl_b64 s[24:25], s[24:25], 8
	s_add_u32 s24, s12, s24
	s_addc_u32 s25, s13, s25
	s_and_b32 s25, s25, 0xffff
	s_mov_b32 s27, 0x20000
	s_movk_i32 s64, 0x80
	buffer_load_dwordx4 v[38:41], v37, s[24:27], 0 offen
	buffer_load_dwordx4 v[42:45], v37, s[24:27], s64 offen
	;; [unrolled: 1-line block ×4, first 2 shown]
	v_and_b32_e32 v37, 6, v0
	v_lshlrev_b32_e32 v36, 7, v91
	v_xor_b32_e32 v58, v93, v37
	v_and_b32_e32 v54, 1, v0
	v_lshl_or_b32 v61, v88, 3, v36
	v_lshlrev_b32_e32 v58, 2, v58
	v_or_b32_e32 v99, 0x4000, v61
	v_or_b32_e32 v100, 0x6000, v61
	v_xor_b32_e32 v61, 0x440, v58
	v_cmp_eq_u32_e32 vcc, 0, v54
	v_lshlrev_b32_e32 v55, 2, v88
	s_mov_b32 s66, 0x1000504
	v_cndmask_b32_e32 v54, v61, v58, vcc
	v_xor_b32_e32 v59, v91, v55
	v_xor_b32_e32 v60, v92, v55
	v_lshl_or_b32 v37, v37, 10, v54
	s_mov_b32 s67, 0x3020706
	v_lshlrev_b32_e32 v56, 8, v88
	v_or_b32_e32 v57, 16, v88
	v_lshlrev_b32_e32 v59, 1, v59
	v_lshlrev_b32_e32 v60, 1, v60
	v_xor_b32_e32 v54, 8, v37
	v_xor_b32_e32 v58, 24, v37
	v_xor_b32_e32 v63, 40, v37
	v_xor_b32_e32 v65, 56, v37
	s_mul_i32 s3, s3, s20
	s_mul_hi_u32 s24, s55, s20
	v_or_b32_e32 v102, v56, v59
	v_or_b32_e32 v103, v56, v60
	v_xor_b32_e32 v56, 16, v37
	v_xor_b32_e32 v61, 32, v37
	;; [unrolled: 1-line block ×3, first 2 shown]
	v_add_u32_e32 v54, 0x80, v54
	v_add_u32_e32 v58, 0x80, v58
	v_add_u32_e32 v63, 0x80, v63
	v_add_u32_e32 v65, 0x80, v65
	s_add_i32 s69, s24, s3
	s_add_i32 s3, s48, s33
	;; [unrolled: 1-line block ×5, first 2 shown]
	s_lshl_b64 s[24:25], s[40:41], 2
	s_add_u32 s3, s18, s24
	s_addc_u32 s28, s19, s25
	s_lshl_b64 s[24:25], s[38:39], 2
	s_add_u32 s44, s3, s24
	s_movk_i32 s3, 0xf8
	s_addc_u32 s45, s28, s25
	s_lshl_b32 s30, s23, 7
	s_movk_i32 s28, 0x100
	v_mov_b32_e32 v79, 0
	v_cmp_gt_u32_e32 vcc, s28, v0
	v_lshl_or_b32 v62, v57, 3, v36
	s_mov_b32 s65, 0
	s_mul_i32 s68, s55, s20
	v_or_b32_e32 v101, 0x4000, v62
	s_movk_i32 s26, 0x4000
	v_or_b32_e32 v104, 0x6000, v62
	s_movk_i32 s39, 0x2000
	s_movk_i32 s41, 0x3000
	v_mov_b32_e32 v142, 0x3fb8aa3b
	s_mov_b32 s71, 0
	s_waitcnt vmcnt(1)
	v_perm_b32 v77, v38, v46, s66
	s_waitcnt vmcnt(0)
	v_perm_b32 v78, v42, v50, s66
	v_perm_b32 v38, v38, v46, s67
	;; [unrolled: 1-line block ×15, first 2 shown]
	ds_write2st64_b32 v37, v77, v78 offset0:128 offset1:160
	ds_write2st64_b32 v54, v38, v42 offset0:128 offset1:160
	;; [unrolled: 1-line block ×8, first 2 shown]
	v_lshlrev_b32_e32 v37, 8, v57
	v_or_b32_e32 v105, v37, v59
	v_or_b32_e32 v106, v37, v60
	;; [unrolled: 1-line block ×3, first 2 shown]
	v_lshl_or_b32 v38, v37, 3, v36
	v_lshlrev_b32_e32 v37, 8, v37
	v_or_b32_e32 v109, v37, v59
	v_or_b32_e32 v110, v37, v60
	;; [unrolled: 1-line block ×5, first 2 shown]
	v_lshl_or_b32 v38, v37, 3, v36
	v_lshlrev_b32_e32 v37, 8, v37
	v_or_b32_e32 v113, v37, v59
	v_or_b32_e32 v114, v37, v60
	;; [unrolled: 1-line block ×3, first 2 shown]
	v_lshlrev_b32_e32 v37, 3, v37
	v_lshrrev_b32_e32 v39, 5, v67
	v_and_or_b32 v39, v37, s3, v39
	v_lshlrev_b32_e32 v39, 4, v39
	v_lshlrev_b32_e32 v40, 11, v1
	v_and_b32_e32 v37, 0x78, v37
	v_or_b32_e32 v45, 32, v39
	v_or_b32_e32 v111, 0x4000, v38
	;; [unrolled: 1-line block ×3, first 2 shown]
	v_and_b32_e32 v38, 0x1000, v40
	v_xor_b32_e32 v41, v39, v37
	v_lshrrev_b32_e32 v42, 1, v0
	v_xor_b32_e32 v45, v45, v37
	v_or_b32_e32 v41, v41, v38
	v_and_b32_e32 v43, 8, v42
	v_or_b32_e32 v45, v45, v38
	v_xor_b32_e32 v115, v41, v43
	v_lshlrev_b32_e32 v41, 8, v87
	v_xor_b32_e32 v117, v45, v43
	v_or_b32_e32 v45, 64, v39
	v_or_b32_e32 v39, 0x60, v39
	s_ashr_i32 s3, s2, 31
	v_or_b32_e32 v44, v41, v55
	v_xor_b32_e32 v45, v45, v37
	v_xor_b32_e32 v37, v39, v37
	s_lshl_b64 s[24:25], s[2:3], 8
	v_lshlrev_b32_e32 v44, 1, v44
	v_or_b32_e32 v45, v45, v38
	v_or_b32_e32 v37, v37, v38
	s_add_u32 s24, s6, s24
	v_lshlrev_b32_e32 v38, 1, v88
	v_or_b32_e32 v116, 0x4000, v44
	v_or_b32_e32 v118, 0x4080, v44
	;; [unrolled: 1-line block ×8, first 2 shown]
	v_lshrrev_b32_e32 v44, 4, v0
	s_addc_u32 s25, s7, s25
	v_or_b32_e32 v39, 1, v38
	v_lshlrev_b32_e32 v78, 4, v88
	v_mov_b32_e32 v48, 0xa000
	v_mov_b32_e32 v49, 0x8000
	v_xor_b32_e32 v121, v45, v43
	v_xor_b32_e32 v45, v44, v38
	;; [unrolled: 1-line block ×3, first 2 shown]
	v_lshl_add_u64 v[38:39], s[24:25], 0, v[78:79]
	v_lshlrev_b32_e32 v78, 8, v44
	v_cndmask_b32_e32 v48, v48, v49, vcc
	v_lshlrev_b32_e32 v49, 3, v1
	v_and_b32_e32 v42, 24, v42
	v_lshl_or_b32 v127, v45, 3, v78
	v_and_b32_e32 v45, 8, v0
	v_xor_b32_e32 v50, v49, v42
	v_or_b32_e32 v51, 0x440, v50
	v_cmp_eq_u32_e32 vcc, 0, v45
	v_and_b32_e32 v44, 7, v0
	v_lshl_or_b32 v128, v46, 3, v78
	v_cndmask_b32_e32 v45, v51, v50, vcc
	v_lshlrev_b32_e32 v46, 3, v44
	v_lshlrev_b32_e32 v44, 7, v44
	v_or_b32_e32 v45, v45, v40
	v_lshlrev_b32_e32 v47, 2, v0
	v_xad_u32 v129, v45, v46, v44
	v_or_b32_e32 v45, 32, v42
	v_and_or_b32 v41, v47, 60, v41
	v_xor_b32_e32 v45, v49, v45
	v_lshlrev_b32_e32 v41, 1, v41
	v_or_b32_e32 v47, 0x440, v45
	v_or_b32_e32 v130, 0x6000, v41
	v_cndmask_b32_e32 v45, v47, v45, vcc
	v_or_b32_e32 v132, 0x6080, v41
	v_or_b32_e32 v133, 0x6100, v41
	;; [unrolled: 1-line block ×5, first 2 shown]
	v_xor_b32_e32 v41, v49, v41
	v_xad_u32 v131, v45, v46, v44
	v_xor_b32_e32 v45, 0x440, v41
	v_cndmask_b32_e32 v41, v45, v41, vcc
	v_or_b32_e32 v41, v41, v40
	v_xad_u32 v135, v41, v46, v44
	v_or_b32_e32 v41, 0x60, v42
	v_xor_b32_e32 v41, v49, v41
	v_xor_b32_e32 v42, 0x440, v41
	v_cndmask_b32_e32 v41, v42, v41, vcc
	v_xor_b32_e32 v122, v37, v43
	v_ashrrev_i32_e32 v77, 31, v76
	v_lshlrev_b32_e32 v37, 1, v35
	v_add_lshl_u32 v35, v35, s23, 1
	v_or_b32_e32 v43, 0x100, v34
	v_or_b32_e32 v40, v41, v40
	v_xad_u32 v136, v40, v46, v44
	v_cndmask_b32_e64 v137, v37, v34, s[0:1]
	v_cndmask_b32_e64 v138, v35, v43, s[0:1]
	v_lshlrev_b64 v[34:35], 1, v[76:77]
	v_lshl_add_u64 v[80:81], s[16:17], 0, v[34:35]
	v_lshl_add_u64 v[82:83], s[8:9], 0, v[34:35]
	;; [unrolled: 1-line block ×3, first 2 shown]
	s_mov_b32 s3, 0x7060302
	v_lshlrev_b32_e32 v78, 1, v36
	v_add_u32_e32 v77, v48, v129
	v_add_u32_e32 v139, v48, v131
	;; [unrolled: 1-line block ×4, first 2 shown]
	s_waitcnt lgkmcnt(0)
	s_barrier
.LBB233_6:                              ; =>This Inner Loop Header: Depth=1
	s_add_i32 s70, s71, 1
	s_cmp_lt_i32 s70, s56
	s_mov_b64 s[28:29], 0
	s_cselect_b64 s[46:47], -1, 0
	s_cmp_ge_i32 s70, s56
	s_mov_b64 s[24:25], 0
	s_cbranch_scc1 .LBB233_8
; %bb.7:                                ;   in Loop: Header=BB233_6 Depth=1
	s_add_i32 s0, s65, 64
	s_add_u32 s0, s4, s0
	s_addc_u32 s1, s5, 0
	s_lshl_b64 s[0:1], s[0:1], 8
	s_add_u32 s24, s14, s0
	s_addc_u32 s25, s15, s1
.LBB233_8:                              ;   in Loop: Header=BB233_6 Depth=1
	v_cndmask_b32_e64 v34, 0, 1, s[46:47]
	v_cmp_ne_u32_e64 s[0:1], 1, v34
	s_andn2_b64 vcc, exec, s[46:47]
	s_cbranch_vccnz .LBB233_10
; %bb.9:                                ;   in Loop: Header=BB233_6 Depth=1
	s_add_i32 s28, s65, 64
	s_add_u32 s28, s68, s28
	s_addc_u32 s29, s69, 0
	s_mul_i32 s31, s28, s57
	s_mul_hi_u32 s46, s28, s62
	s_add_i32 s31, s46, s31
	s_mul_i32 s29, s29, s62
	s_add_i32 s31, s31, s29
	s_mul_i32 s28, s28, s62
	s_add_u32 s28, s28, s58
	s_addc_u32 s29, s31, s63
	s_lshl_b64 s[28:29], s[28:29], 8
	s_add_u32 s28, s12, s28
	s_addc_u32 s29, s13, s29
.LBB233_10:                             ;   in Loop: Header=BB233_6 Depth=1
	v_perm_b32 v35, v9, v8, s3
	v_perm_b32 v34, v7, v6, s3
	v_perm_b32 v37, v5, v4, s3
	v_perm_b32 v36, v3, v2, s3
	ds_write_b64 v99, v[34:35]
	ds_write_b64 v100, v[36:37]
	ds_write_b64 v102, v[34:35]
	ds_write_b64 v103, v[36:37]
	v_perm_b32 v35, v17, v16, s3
	v_perm_b32 v34, v15, v14, s3
	v_perm_b32 v37, v13, v12, s3
	v_perm_b32 v36, v11, v10, s3
	ds_write_b64 v101, v[34:35]
	ds_write_b64 v104, v[36:37]
	ds_write_b64 v105, v[34:35]
	ds_write_b64 v106, v[36:37]
	;; [unrolled: 8-line block ×4, first 2 shown]
	s_waitcnt lgkmcnt(0)
	s_barrier
	ds_read_b64 v[38:39], v115 offset:49152
	ds_read2_b64 v[34:37], v116 offset1:16
	ds_read_b64 v[50:51], v118 offset:6144
	ds_read_b64 v[52:53], v116 offset:6144
	s_waitcnt lgkmcnt(2)
	v_mfma_f32_16x16x16_bf16 a[0:3], v[38:39], v[34:35], 0
	ds_read_b64 v[54:55], v117 offset:49152
	ds_read2st64_b64 v[42:45], v119 offset0:4 offset1:8
	ds_read2st64_b64 v[46:49], v120 offset0:4 offset1:8
	v_mfma_f32_16x16x16_bf16 a[4:7], v[38:39], v[36:37], 0
	ds_read2_b64 v[34:37], v116 offset0:32 offset1:48
	s_add_i32 s31, s65, 63
	s_mul_i32 s46, s31, s37
	s_waitcnt lgkmcnt(0)
	v_mfma_f32_16x16x16_bf16 a[8:11], v[38:39], v[34:35], 0
	s_mul_hi_u32 s47, s31, s36
	s_add_i32 s47, s47, s46
	s_mul_i32 s46, s31, s36
	v_mfma_f32_16x16x16_bf16 a[12:15], v[38:39], v[36:37], 0
	ds_read2st64_b64 v[34:37], v116 offset0:4 offset1:8
	ds_read2st64_b64 v[38:41], v118 offset0:4 offset1:8
	s_lshl_b64 s[46:47], s[46:47], 2
	s_waitcnt lgkmcnt(1)
	v_mfma_f32_16x16x16_bf16 a[0:3], v[54:55], v[34:35], a[0:3]
	s_add_u32 s46, s44, s46
	s_addc_u32 s47, s45, s47
	s_and_b64 vcc, exec, s[0:1]
	s_waitcnt lgkmcnt(0)
	v_mfma_f32_16x16x16_bf16 a[4:7], v[54:55], v[38:39], a[4:7]
	v_mov_b32_e32 v145, 0
	v_mov_b32_e32 v144, 0
	;; [unrolled: 1-line block ×3, first 2 shown]
	v_mfma_f32_16x16x16_bf16 a[8:11], v[54:55], v[42:43], a[8:11]
	ds_read_b64 v[34:35], v121 offset:49152
	ds_read_b64 v[38:39], v122 offset:49152
	;; [unrolled: 1-line block ×3, first 2 shown]
	v_mfma_f32_16x16x16_bf16 a[12:15], v[54:55], v[46:47], a[12:15]
	v_mov_b32_e32 v46, 0
	v_mov_b32_e32 v47, 0
	s_waitcnt lgkmcnt(2)
	v_mfma_f32_16x16x16_bf16 a[0:3], v[34:35], v[36:37], a[0:3]
	v_mov_b32_e32 v36, 0
	v_mov_b32_e32 v37, 0
	v_mfma_f32_16x16x16_bf16 a[4:7], v[34:35], v[40:41], a[4:7]
	v_mov_b32_e32 v40, 0
	v_mov_b32_e32 v41, 0
	;; [unrolled: 3-line block ×3, first 2 shown]
	v_mfma_f32_16x16x16_bf16 a[12:15], v[34:35], v[48:49], a[12:15]
	ds_read_b64 v[34:35], v119 offset:6144
	v_mov_b32_e32 v48, 0
	v_mov_b32_e32 v49, 0
	s_waitcnt lgkmcnt(2)
	v_mfma_f32_16x16x16_bf16 a[0:3], v[38:39], v[52:53], a[0:3]
	v_mfma_f32_16x16x16_bf16 a[4:7], v[38:39], v[50:51], a[4:7]
	s_waitcnt lgkmcnt(0)
	v_mfma_f32_16x16x16_bf16 a[8:11], v[38:39], v[34:35], a[8:11]
	v_mov_b32_e32 v34, 0
	v_mov_b32_e32 v35, 0
	v_mfma_f32_16x16x16_bf16 a[12:15], v[38:39], v[42:43], a[12:15]
	v_mov_b32_e32 v38, 0
	v_mov_b32_e32 v39, 0
	;; [unrolled: 1-line block ×4, first 2 shown]
	s_cbranch_vccnz .LBB233_12
; %bb.11:                               ;   in Loop: Header=BB233_6 Depth=1
	s_and_b32 s25, s25, 0xffff
	buffer_load_dwordx4 v[46:49], v95, s[24:27], 0 offen
	buffer_load_dwordx4 v[42:45], v95, s[24:27], s64 offen
	;; [unrolled: 1-line block ×4, first 2 shown]
	v_mov_b32_e32 v144, v97
	v_mov_b32_e32 v143, v98
.LBB233_12:                             ;   in Loop: Header=BB233_6 Depth=1
	ds_read_b64 v[150:151], v115 offset:57344
	ds_read2_b64 v[50:53], v123 offset1:16
	ds_read_b64 v[152:153], v117 offset:57344
	ds_read_b64 v[154:155], v121 offset:57344
	;; [unrolled: 1-line block ×3, first 2 shown]
	s_waitcnt lgkmcnt(3)
	v_mfma_f32_16x16x16_bf16 a[0:3], v[150:151], v[50:51], a[0:3]
	v_mfma_f32_16x16x16_bf16 a[4:7], v[150:151], v[52:53], a[4:7]
	ds_read2_b64 v[50:53], v123 offset0:32 offset1:48
	ds_read2st64_b64 v[54:57], v123 offset0:4 offset1:8
	ds_read2st64_b64 v[58:61], v124 offset0:4 offset1:8
	;; [unrolled: 1-line block ×4, first 2 shown]
	s_waitcnt lgkmcnt(4)
	v_mfma_f32_16x16x16_bf16 a[8:11], v[150:151], v[50:51], a[8:11]
	v_mfma_f32_16x16x16_bf16 a[12:15], v[150:151], v[52:53], a[12:15]
	v_add_u32_e32 v150, s65, v91
	v_ashrrev_i32_e32 v50, 31, v150
	v_mul_lo_u32 v52, v50, s36
	v_mul_lo_u32 v53, v150, s37
	v_mad_u64_u32 v[50:51], s[24:25], v150, s36, 0
	v_add3_u32 v51, v51, v53, v52
	v_add_u32_e32 v52, 1, v150
	v_ashrrev_i32_e32 v53, 31, v52
	s_waitcnt lgkmcnt(3)
	v_mfma_f32_16x16x16_bf16 a[0:3], v[152:153], v[54:55], a[0:3]
	v_mul_lo_u32 v54, v53, s36
	v_mul_lo_u32 v55, v52, s37
	v_mad_u64_u32 v[52:53], s[24:25], v52, s36, 0
	v_add3_u32 v53, v53, v55, v54
	v_add_u32_e32 v54, 2, v150
	v_ashrrev_i32_e32 v55, 31, v54
	s_waitcnt lgkmcnt(2)
	v_mfma_f32_16x16x16_bf16 a[4:7], v[152:153], v[58:59], a[4:7]
	v_mul_lo_u32 v58, v55, s36
	v_mul_lo_u32 v59, v54, s37
	v_mad_u64_u32 v[54:55], s[24:25], v54, s36, 0
	v_add3_u32 v55, v55, v59, v58
	v_add_u32_e32 v58, 3, v150
	v_lshl_add_u64 v[50:51], v[50:51], 2, s[44:45]
	v_lshl_add_u64 v[52:53], v[52:53], 2, s[44:45]
	v_ashrrev_i32_e32 v59, 31, v58
	s_waitcnt lgkmcnt(1)
	v_mfma_f32_16x16x16_bf16 a[8:11], v[152:153], v[62:63], a[8:11]
	v_mul_lo_u32 v59, v59, s36
	global_load_dword v62, v[50:51], off
	v_mul_lo_u32 v63, v58, s37
	s_waitcnt lgkmcnt(0)
	v_mfma_f32_16x16x16_bf16 a[12:15], v[152:153], v[146:147], a[12:15]
	global_load_dword v146, v[52:53], off
	v_mad_u64_u32 v[50:51], s[24:25], v58, s36, 0
	v_add3_u32 v51, v51, v63, v59
	s_add_u32 s24, s4, s65
	v_lshl_add_u64 v[54:55], v[54:55], 2, s[44:45]
	v_lshl_add_u64 v[50:51], v[50:51], 2, s[44:45]
	s_addc_u32 s25, s5, 0
	global_load_dword v63, v[54:55], off
	global_load_dword v147, v[50:51], off
	s_lshl_b64 s[24:25], s[24:25], 8
	v_lshl_add_u64 v[50:51], v[80:81], 0, s[24:25]
	v_lshl_add_u64 v[50:51], v[50:51], 0, v[78:79]
	global_load_ushort v150, v[50:51], off offset:256
	global_load_ushort v151, v[50:51], off
	global_load_ushort v152, v[50:51], off offset:768
	global_load_ushort v153, v[50:51], off offset:512
	;; [unrolled: 1-line block ×6, first 2 shown]
	s_load_dword s46, s[46:47], 0x0
	v_mfma_f32_16x16x16_bf16 a[12:15], v[154:155], v[148:149], a[12:15]
	global_load_ushort v148, v[50:51], off offset:320
	global_load_ushort v149, v[50:51], off offset:64
	s_and_b64 vcc, exec, s[0:1]
	v_mfma_f32_16x16x16_bf16 a[0:3], v[154:155], v[56:57], a[0:3]
	ds_read_b64 v[52:53], v123 offset:6144
	ds_read_b64 v[54:55], v124 offset:6144
	;; [unrolled: 1-line block ×4, first 2 shown]
	v_mfma_f32_16x16x16_bf16 a[4:7], v[154:155], v[60:61], a[4:7]
	s_waitcnt vmcnt(11) lgkmcnt(0)
	v_sub_f32_e32 v60, s46, v63
	v_mfma_f32_16x16x16_bf16 a[8:11], v[154:155], v[64:65], a[8:11]
	global_load_ushort v154, v[50:51], off offset:832
	global_load_ushort v155, v[50:51], off offset:576
	;; [unrolled: 1-line block ×6, first 2 shown]
	v_mfma_f32_16x16x16_bf16 a[0:3], v[156:157], v[52:53], a[0:3]
	s_waitcnt vmcnt(16)
	v_sub_f32_e32 v61, s46, v147
	v_mul_f32_e32 v60, 0x3fb8aa3b, v60
	v_mul_f32_e32 v61, 0x3fb8aa3b, v61
	v_exp_f32_e32 v60, v60
	v_exp_f32_e32 v61, v61
	s_waitcnt vmcnt(15)
	v_lshlrev_b32_e32 v65, 16, v150
	s_waitcnt vmcnt(14)
	v_lshlrev_b32_e32 v64, 16, v151
	v_accvgpr_read_b32 v53, a3
	v_accvgpr_read_b32 v52, a2
	v_mfma_f32_16x16x16_bf16 a[2:5], v[156:157], v[54:55], a[4:7]
	v_mfma_f32_16x16x16_bf16 a[6:9], v[156:157], v[56:57], a[8:11]
	s_nop 5
	v_accvgpr_read_b32 v55, a5
	v_accvgpr_read_b32 v54, a4
	;; [unrolled: 1-line block ×4, first 2 shown]
	v_mfma_f32_16x16x16_bf16 a[8:11], v[156:157], v[58:59], a[12:15]
	v_sub_f32_e32 v58, s46, v62
	v_sub_f32_e32 v59, s46, v146
	v_mul_f32_e32 v58, 0x3fb8aa3b, v58
	v_mul_f32_e32 v59, 0x3fb8aa3b, v59
	v_exp_f32_e32 v58, v58
	v_exp_f32_e32 v59, v59
	v_accvgpr_read_b32 v147, a1
	v_accvgpr_read_b32 v146, a0
	v_lshl_add_u64 v[62:63], v[82:83], 0, s[24:25]
	v_pk_add_f32 v[64:65], v[64:65], v[146:147] neg_lo:[0,1] neg_hi:[0,1]
	s_waitcnt vmcnt(13)
	v_lshlrev_b32_e32 v147, 16, v152
	s_waitcnt vmcnt(12)
	v_lshlrev_b32_e32 v146, 16, v153
	v_lshl_add_u64 v[62:63], v[62:63], 0, v[78:79]
	v_pk_add_f32 v[52:53], v[146:147], v[52:53] neg_lo:[0,1] neg_hi:[0,1]
	global_store_short_d16_hi v[62:63], v64, off
	global_store_short_d16_hi v[62:63], v65, off offset:256
	global_store_short_d16_hi v[62:63], v52, off offset:512
	;; [unrolled: 1-line block ×3, first 2 shown]
	v_pk_mul_f32 v[64:65], v[58:59], v[64:65]
	v_pk_mul_f32 v[52:53], v[60:61], v[52:53]
	v_accvgpr_read_b32 v147, a3
	v_perm_b32 v53, v53, v52, s3
	v_perm_b32 v52, v65, v64, s3
	s_waitcnt vmcnt(15)
	v_lshlrev_b32_e32 v65, 16, v158
	s_waitcnt vmcnt(14)
	v_lshlrev_b32_e32 v64, 16, v159
	v_accvgpr_read_b32 v146, a2
	v_pk_add_f32 v[64:65], v[64:65], v[146:147] neg_lo:[0,1] neg_hi:[0,1]
	s_waitcnt vmcnt(13)
	v_lshlrev_b32_e32 v147, 16, v160
	s_waitcnt vmcnt(12)
	v_lshlrev_b32_e32 v146, 16, v161
	v_pk_add_f32 v[54:55], v[146:147], v[54:55] neg_lo:[0,1] neg_hi:[0,1]
	global_store_short_d16_hi v[62:63], v64, off offset:32
	global_store_short_d16_hi v[62:63], v65, off offset:288
	;; [unrolled: 1-line block ×4, first 2 shown]
	v_pk_mul_f32 v[64:65], v[58:59], v[64:65]
	v_pk_mul_f32 v[54:55], v[60:61], v[54:55]
	v_accvgpr_read_b32 v57, a11
	v_perm_b32 v55, v55, v54, s3
	v_perm_b32 v54, v65, v64, s3
	ds_write2_b64 v100, v[52:53], v[54:55] offset1:16
	v_accvgpr_read_b32 v55, a7
	s_waitcnt vmcnt(15)
	v_lshlrev_b32_e32 v53, 16, v148
	s_waitcnt vmcnt(14)
	v_lshlrev_b32_e32 v52, 16, v149
	v_accvgpr_read_b32 v54, a6
	v_pk_add_f32 v[52:53], v[52:53], v[54:55] neg_lo:[0,1] neg_hi:[0,1]
	global_store_short_d16_hi v[62:63], v52, off offset:64
	global_store_short_d16_hi v[62:63], v53, off offset:320
	v_pk_mul_f32 v[52:53], v[58:59], v[52:53]
	v_accvgpr_read_b32 v56, a10
	v_perm_b32 v52, v53, v52, s3
	v_mov_b32_e32 v146, 0
	v_mov_b32_e32 v64, 0
	v_mov_b32_e32 v65, 0
	s_waitcnt vmcnt(15)
	v_lshlrev_b32_e32 v55, 16, v154
	s_waitcnt vmcnt(14)
	v_lshlrev_b32_e32 v54, 16, v155
	v_pk_add_f32 v[50:51], v[54:55], v[50:51] neg_lo:[0,1] neg_hi:[0,1]
	global_store_short_d16_hi v[62:63], v50, off offset:576
	global_store_short_d16_hi v[62:63], v51, off offset:832
	v_pk_mul_f32 v[50:51], v[60:61], v[50:51]
	v_accvgpr_read_b32 v55, a9
	v_perm_b32 v53, v51, v50, s3
	s_waitcnt vmcnt(15)
	v_lshlrev_b32_e32 v51, 16, v162
	s_waitcnt vmcnt(14)
	v_lshlrev_b32_e32 v50, 16, v163
	v_accvgpr_read_b32 v54, a8
	v_pk_add_f32 v[50:51], v[50:51], v[54:55] neg_lo:[0,1] neg_hi:[0,1]
	s_waitcnt vmcnt(13)
	v_lshlrev_b32_e32 v55, 16, v164
	s_waitcnt vmcnt(12)
	v_lshlrev_b32_e32 v54, 16, v165
	v_pk_add_f32 v[54:55], v[54:55], v[56:57] neg_lo:[0,1] neg_hi:[0,1]
	global_store_short_d16_hi v[62:63], v50, off offset:96
	global_store_short_d16_hi v[62:63], v51, off offset:352
	;; [unrolled: 1-line block ×4, first 2 shown]
	v_pk_mul_f32 v[50:51], v[58:59], v[50:51]
	v_pk_mul_f32 v[54:55], v[60:61], v[54:55]
	v_mov_b32_e32 v56, 0
	v_perm_b32 v55, v55, v54, s3
	v_perm_b32 v54, v51, v50, s3
	ds_write2_b64 v100, v[52:53], v[54:55] offset0:32 offset1:48
	v_mov_b32_e32 v50, 0
	v_mov_b32_e32 v51, 0
	;; [unrolled: 1-line block ×13, first 2 shown]
	s_cbranch_vccnz .LBB233_14
; %bb.13:                               ;   in Loop: Header=BB233_6 Depth=1
	s_and_b32 s29, s29, 0xffff
	s_mov_b32 s31, s27
	buffer_load_dwordx4 v[62:65], v137, s[28:31], 0 offen
	buffer_load_dwordx4 v[54:57], v137, s[28:31], s64 offen
	;; [unrolled: 1-line block ×4, first 2 shown]
	v_mov_b32_e32 v145, v94
	v_mov_b32_e32 v146, v93
.LBB233_14:                             ;   in Loop: Header=BB233_6 Depth=1
	s_waitcnt lgkmcnt(0)
	s_barrier
	ds_read_b64 v[156:157], v77
	ds_read2_b64 v[148:151], v130 offset1:16
	ds_read_b64 v[172:173], v139
	ds_read_b64 v[174:175], v140
	;; [unrolled: 1-line block ×3, first 2 shown]
	ds_read2_b64 v[152:155], v130 offset0:32 offset1:48
	s_waitcnt lgkmcnt(4)
	v_mfma_f32_16x16x16_bf16 a[0:3], v[156:157], v[148:149], 0
	ds_read2st64_b64 v[160:163], v132 offset0:4 offset1:8
	ds_read2st64_b64 v[164:167], v133 offset0:4 offset1:8
	;; [unrolled: 1-line block ×3, first 2 shown]
	v_mfma_f32_16x16x16_bf16 a[4:7], v[156:157], v[150:151], 0
	s_add_i32 s24, s59, s71
	s_mul_hi_i32 s25, s24, s21
	s_mul_i32 s24, s24, s21
	s_waitcnt lgkmcnt(3)
	v_mfma_f32_16x16x16_bf16 a[8:11], v[156:157], v[152:153], 0
	s_add_u32 s24, s24, s52
	s_addc_u32 s25, s25, s53
	s_lshl_b64 s[24:25], s[24:25], 15
	v_mfma_f32_16x16x16_bf16 a[12:15], v[156:157], v[154:155], 0
	ds_read2st64_b64 v[156:159], v130 offset0:4 offset1:8
	s_waitcnt lgkmcnt(0)
	v_mfma_f32_16x16x16_bf16 a[0:3], v[172:173], v[156:157], a[0:3]
	v_mfma_f32_16x16x16_bf16 a[4:7], v[172:173], v[160:161], a[4:7]
	;; [unrolled: 1-line block ×8, first 2 shown]
	ds_read_b64 v[172:173], v130 offset:6144
	ds_read_b64 v[174:175], v131 offset:40960
	;; [unrolled: 1-line block ×8, first 2 shown]
	s_waitcnt lgkmcnt(5)
	v_mfma_f32_16x16x16_bf16 a[16:19], v[178:179], v[148:149], 0
	v_mfma_f32_16x16x16_bf16 a[20:23], v[178:179], v[150:151], 0
	ds_read2st64_b64 v[148:151], v127 offset1:8
	v_mfma_f32_16x16x16_bf16 a[24:27], v[178:179], v[152:153], 0
	v_mfma_f32_16x16x16_bf16 a[28:31], v[178:179], v[154:155], 0
	ds_read2st64_b64 v[152:155], v128 offset1:8
	v_mfma_f32_16x16x16_bf16 a[16:19], v[174:175], v[156:157], a[16:19]
	s_waitcnt lgkmcnt(1)
	v_mov_b32_e32 v156, v148
	v_mov_b32_e32 v157, v149
	v_mfma_f32_16x16x16_bf16 a[20:23], v[174:175], v[160:161], a[20:23]
	v_lshl_add_u64 v[160:161], v[84:85], 0, s[24:25]
	v_mfma_f32_16x16x16_bf16 a[24:27], v[174:175], v[164:165], a[24:27]
	v_mfma_f32_16x16x16_bf16 a[28:31], v[174:175], v[168:169], a[28:31]
	;; [unrolled: 1-line block ×3, first 2 shown]
	s_waitcnt lgkmcnt(0)
	v_mov_b32_e32 v158, v152
	v_mov_b32_e32 v159, v153
	;; [unrolled: 1-line block ×3, first 2 shown]
	v_mfma_f32_16x16x16_bf16 a[32:35], v[186:187], v[162:163], a[20:23]
	v_mov_b32_e32 v153, v151
	ds_read2st64_b64 v[148:151], v127 offset0:16 offset1:24
	global_store_dwordx4 v[160:161], v[156:159], off
	v_mfma_f32_16x16x16_bf16 a[24:27], v[186:187], v[166:167], a[24:27]
	ds_read2st64_b64 v[156:159], v128 offset0:16 offset1:24
	v_add_co_u32_e32 v162, vcc, s39, v160
	v_mfma_f32_16x16x16_bf16 a[28:31], v[186:187], v[170:171], a[28:31]
	s_nop 0
	v_addc_co_u32_e32 v163, vcc, 0, v161, vcc
	global_store_dwordx4 v[162:163], v[152:155], off offset:-4096
	v_mfma_f32_16x16x16_bf16 a[0:3], v[176:177], v[172:173], a[0:3]
	s_waitcnt lgkmcnt(1)
	v_mov_b32_e32 v152, v148
	v_add_co_u32_e32 v148, vcc, s41, v160
	v_mfma_f32_16x16x16_bf16 a[4:7], v[176:177], v[180:181], a[4:7]
	v_mov_b32_e32 v153, v149
	v_addc_co_u32_e32 v149, vcc, 0, v161, vcc
	v_mfma_f32_16x16x16_bf16 a[8:11], v[176:177], v[182:183], a[8:11]
	s_waitcnt lgkmcnt(0)
	v_mov_b32_e32 v154, v156
	v_mov_b32_e32 v155, v157
	;; [unrolled: 1-line block ×3, first 2 shown]
	v_mfma_f32_16x16x16_bf16 a[12:15], v[176:177], v[184:185], a[12:15]
	v_mov_b32_e32 v157, v151
	s_and_b64 vcc, exec, s[0:1]
	global_store_dwordx4 v[162:163], v[152:155], off
	v_mfma_f32_16x16x16_bf16 a[20:23], v[188:189], v[172:173], a[16:19]
	global_store_dwordx4 v[148:149], v[156:159], off
	v_mfma_f32_16x16x16_bf16 a[16:19], v[188:189], v[180:181], a[32:35]
	v_mfma_f32_16x16x16_bf16 a[24:27], v[188:189], v[182:183], a[24:27]
	;; [unrolled: 1-line block ×3, first 2 shown]
	s_cbranch_vccnz .LBB233_16
; %bb.15:                               ;   in Loop: Header=BB233_6 Depth=1
	v_lshrrev_b32_e32 v147, 3, v145
	v_and_b32_e32 v147, 6, v147
	v_xor_b32_e32 v146, v147, v146
	v_lshlrev_b32_e32 v146, 2, v146
	v_and_b32_e32 v145, 8, v145
	v_xor_b32_e32 v148, 0x440, v146
	v_cmp_eq_u32_e32 vcc, 0, v145
	s_barrier
	s_nop 0
	v_cndmask_b32_e32 v145, v148, v146, vcc
	v_lshl_or_b32 v145, v147, 10, v145
	s_waitcnt vmcnt(5)
	v_perm_b32 v146, v62, v58, s66
	s_waitcnt vmcnt(4)
	v_perm_b32 v147, v54, v50, s66
	ds_write2st64_b32 v145, v146, v147 offset0:128 offset1:160
	v_xor_b32_e32 v146, 8, v145
	v_perm_b32 v58, v62, v58, s67
	v_perm_b32 v50, v54, v50, s67
	v_add_u32_e32 v54, 0x80, v146
	ds_write2st64_b32 v54, v58, v50 offset0:128 offset1:160
	v_xor_b32_e32 v50, 16, v145
	v_perm_b32 v54, v63, v59, s66
	v_perm_b32 v58, v55, v51, s66
	ds_write2st64_b32 v50, v54, v58 offset0:129 offset1:161
	v_xor_b32_e32 v50, 24, v145
	v_perm_b32 v54, v63, v59, s67
	v_perm_b32 v51, v55, v51, s67
	v_add_u32_e32 v50, 0x80, v50
	ds_write2st64_b32 v50, v54, v51 offset0:129 offset1:161
	v_xor_b32_e32 v50, 32, v145
	v_perm_b32 v51, v64, v60, s66
	;; [unrolled: 9-line block ×3, first 2 shown]
	v_perm_b32 v52, v57, v53, s66
	ds_write2st64_b32 v50, v51, v52 offset0:131 offset1:163
	v_xor_b32_e32 v50, 56, v145
	v_perm_b32 v51, v65, v61, s67
	v_perm_b32 v52, v57, v53, s67
	v_add_u32_e32 v50, 0x80, v50
	ds_write2st64_b32 v50, v51, v52 offset0:131 offset1:163
	ds_write_b64 v144, v[46:47] offset:49152
	v_xor_b32_e32 v46, 8, v144
	ds_write_b64 v46, v[48:49] offset:49152
	ds_write_b64 v144, v[42:43] offset:57344
	;; [unrolled: 1-line block ×4, first 2 shown]
	v_xor_b32_e32 v38, 8, v143
	ds_write_b64 v38, v[40:41] offset:49152
	ds_write_b64 v143, v[34:35] offset:57344
	;; [unrolled: 1-line block ×3, first 2 shown]
.LBB233_16:                             ;   in Loop: Header=BB233_6 Depth=1
	s_waitcnt vmcnt(6)
	v_mul_f32_e32 v54, s46, v142
	v_exp_f32_e32 v144, v54
	v_accvgpr_read_b32 v37, a3
	v_accvgpr_read_b32 v41, a7
	;; [unrolled: 1-line block ×4, first 2 shown]
	s_waitcnt vmcnt(4)
	v_accvgpr_read_b32 v53, a23
	v_accvgpr_read_b32 v57, a19
	;; [unrolled: 1-line block ×28, first 2 shown]
	s_add_i32 s65, s65, 64
	v_pk_fma_f32 v[6:7], v[6:7], v[144:145], v[34:35] op_sel_hi:[1,0,1]
	v_pk_fma_f32 v[8:9], v[8:9], v[144:145], v[36:37] op_sel_hi:[1,0,1]
	;; [unrolled: 1-line block ×15, first 2 shown]
	s_cmp_eq_u32 s56, s70
	v_pk_fma_f32 v[28:29], v[28:29], v[144:145], v[64:65] op_sel_hi:[1,0,1]
	s_cbranch_scc1 .LBB233_18
; %bb.17:                               ;   in Loop: Header=BB233_6 Depth=1
	s_mov_b32 s71, s70
	s_branch .LBB233_6
.LBB233_18:
	s_lshl_b32 s30, s56, 6
	s_sub_i32 s31, s20, s30
	s_cmp_gt_i32 s31, 0
	s_cbranch_scc0 .LBB233_99
; %bb.19:
	s_ashr_i32 s3, s30, 31
	s_cmpk_lg_i32 s23, 0x80
	s_cselect_b64 s[26:27], -1, 0
	s_and_b64 vcc, exec, s[26:27]
	s_cbranch_vccz .LBB233_21
; %bb.20:
	s_mul_i32 s1, s55, s20
	s_mul_hi_i32 s0, s55, s20
	s_add_u32 s1, s1, s30
	s_addc_u32 s0, s0, s3
	s_mul_i32 s5, s1, s57
	s_mul_hi_u32 s24, s1, s22
	s_add_i32 s5, s24, s5
	s_mul_i32 s0, s0, s22
	s_add_i32 s5, s5, s0
	s_mul_i32 s1, s1, s22
	s_ashr_i32 s0, s58, 31
	s_add_u32 s28, s1, s58
	s_addc_u32 s29, s5, s0
	s_cbranch_execz .LBB233_22
	s_branch .LBB233_23
.LBB233_21:
                                        ; implicit-def: $sgpr28_sgpr29
.LBB233_22:
	s_mul_hi_i32 s0, s55, s22
	s_mul_i32 s55, s55, s22
	s_ashr_i32 s1, s58, 31
	s_add_u32 s5, s55, s58
	s_addc_u32 s0, s0, s1
	s_mul_i32 s1, s5, s54
	s_mul_hi_u32 s22, s5, s20
	s_add_i32 s1, s22, s1
	s_mul_i32 s0, s0, s20
	s_add_i32 s1, s1, s0
	s_mul_i32 s5, s5, s20
	s_add_u32 s28, s5, s30
	s_addc_u32 s29, s1, s3
.LBB233_23:
	s_mul_i32 s0, s42, s54
	s_add_i32 s0, s61, s0
	s_add_i32 s5, s59, s56
	;; [unrolled: 1-line block ×3, first 2 shown]
	s_add_u32 s0, s4, s30
	v_lshlrev_b32_e32 v38, 6, v91
	v_lshlrev_b32_e32 v56, 2, v88
	s_addc_u32 s1, s1, s3
	s_mov_b32 s3, 0x7060302
	v_or_b32_e32 v41, v38, v56
	v_xor_b32_e32 v39, v91, v56
	s_waitcnt vmcnt(7)
	v_perm_b32 v35, v9, v8, s3
	v_perm_b32 v34, v7, v6, s3
	s_waitcnt vmcnt(6)
	v_perm_b32 v37, v5, v4, s3
	v_perm_b32 v36, v3, v2, s3
	v_lshlrev_b32_e32 v41, 1, v41
	v_xor_b32_e32 v40, v92, v56
	ds_write2st64_b64 v41, v[34:35], v[36:37] offset0:32 offset1:48
	v_lshlrev_b32_e32 v39, 1, v39
	v_lshlrev_b32_e32 v41, 8, v88
	v_or_b32_e32 v42, v39, v41
	v_lshlrev_b32_e32 v40, 1, v40
	ds_write_b64 v42, v[34:35]
	v_or_b32_e32 v34, v40, v41
	v_or_b32_e32 v41, 16, v88
	v_lshlrev_b32_e32 v55, 2, v41
	v_or_b32_e32 v42, v38, v55
	ds_write_b64 v34, v[36:37]
	s_waitcnt vmcnt(5)
	v_perm_b32 v35, v17, v16, s3
	v_perm_b32 v34, v15, v14, s3
	s_waitcnt vmcnt(4)
	v_perm_b32 v37, v13, v12, s3
	v_perm_b32 v36, v11, v10, s3
	v_lshlrev_b32_e32 v42, 1, v42
	v_lshlrev_b32_e32 v41, 8, v41
	ds_write2st64_b64 v42, v[34:35], v[36:37] offset0:32 offset1:48
	v_or_b32_e32 v42, v39, v41
	ds_write_b64 v42, v[34:35]
	v_or_b32_e32 v34, v40, v41
	v_or_b32_e32 v41, 32, v88
	v_lshlrev_b32_e32 v54, 2, v41
	v_or_b32_e32 v42, v38, v54
	ds_write_b64 v34, v[36:37]
	s_waitcnt vmcnt(3)
	v_perm_b32 v35, v25, v24, s3
	v_perm_b32 v34, v23, v22, s3
	s_waitcnt vmcnt(2)
	v_perm_b32 v37, v21, v20, s3
	v_perm_b32 v36, v19, v18, s3
	v_lshlrev_b32_e32 v42, 1, v42
	v_lshlrev_b32_e32 v41, 8, v41
	s_lshl_b64 s[24:25], s[0:1], 8
	ds_write2st64_b64 v42, v[34:35], v[36:37] offset0:32 offset1:48
	v_or_b32_e32 v42, v39, v41
	s_waitcnt lgkmcnt(0)
	s_add_u32 s0, s14, s24
	ds_write_b64 v42, v[34:35]
	v_or_b32_e32 v34, v40, v41
	s_addc_u32 s1, s15, s25
	ds_write_b64 v34, v[36:37]
	s_waitcnt vmcnt(1)
	v_perm_b32 v35, v33, v32, s3
	v_perm_b32 v34, v31, v30, s3
	s_waitcnt vmcnt(0)
	v_perm_b32 v37, v29, v28, s3
	v_perm_b32 v36, v27, v26, s3
	v_or_b32_e32 v41, 48, v88
	s_mul_hi_i32 s3, s5, s21
	s_mul_i32 s5, s5, s21
	v_lshlrev_b32_e32 v51, 2, v41
	s_add_u32 s4, s5, s52
	v_or_b32_e32 v38, v38, v51
	s_addc_u32 s5, s3, s53
	v_lshlrev_b32_e32 v38, 1, v38
	s_ashr_i32 s3, s2, 31
	s_lshl_b64 s[4:5], s[4:5], 15
	ds_write2st64_b64 v38, v[34:35], v[36:37] offset0:32 offset1:48
	v_lshlrev_b32_e32 v38, 8, v41
	s_add_u32 s4, s6, s4
	v_or_b32_e32 v39, v39, v38
	s_addc_u32 s5, s7, s5
	s_lshl_b64 s[2:3], s[2:3], 8
	ds_write_b64 v39, v[34:35]
	v_or_b32_e32 v34, v40, v38
	s_add_u32 s2, s4, s2
	v_lshlrev_b32_e32 v35, 1, v88
	ds_write_b64 v34, v[36:37]
	v_lshrrev_b32_e32 v34, 4, v0
	s_addc_u32 s3, s5, s3
	v_or_b32_e32 v36, 1, v35
	v_lshlrev_b32_e32 v42, 4, v88
	v_mov_b32_e32 v43, 0
	v_xor_b32_e32 v35, v34, v35
	v_xor_b32_e32 v38, v36, v34
	v_lshl_add_u64 v[44:45], s[2:3], 0, v[42:43]
	v_lshlrev_b32_e32 v42, 8, v34
	v_lshl_or_b32 v48, v35, 3, v42
	v_lshl_or_b32 v49, v38, 3, v42
	s_waitcnt lgkmcnt(0)
	s_barrier
	ds_read2st64_b64 v[34:37], v48 offset1:8
	ds_read2st64_b64 v[38:41], v49 offset1:8
	v_lshl_add_u64 v[46:47], v[44:45], 0, v[42:43]
	s_movk_i32 s2, 0x2000
	s_cmp_lg_u32 s31, 64
	s_waitcnt lgkmcnt(1)
	v_mov_b32_e32 v42, v34
	v_mov_b32_e32 v43, v35
	s_waitcnt lgkmcnt(0)
	v_mov_b32_e32 v44, v38
	v_mov_b32_e32 v45, v39
	global_store_dwordx4 v[46:47], v[42:45], off
	v_mov_b32_e32 v38, v36
	v_mov_b32_e32 v39, v37
	ds_read2st64_b64 v[34:37], v48 offset0:16 offset1:24
	ds_read2st64_b64 v[42:45], v49 offset0:16 offset1:24
	v_add_co_u32_e32 v48, vcc, s2, v46
	s_cselect_b64 s[14:15], -1, 0
	s_nop 0
	v_addc_co_u32_e32 v49, vcc, 0, v47, vcc
	global_store_dwordx4 v[48:49], v[38:41], off offset:-4096
	v_lshl_or_b32 v62, v1, 3, v90
	s_mov_b32 s4, 0
	s_waitcnt lgkmcnt(1)
	v_mov_b32_e32 v38, v34
	v_add_co_u32_e32 v34, vcc, 0x3000, v46
	v_mov_b32_e32 v39, v35
	s_nop 0
	v_addc_co_u32_e32 v35, vcc, 0, v47, vcc
	s_waitcnt lgkmcnt(0)
	v_mov_b32_e32 v40, v42
	v_mov_b32_e32 v41, v43
	;; [unrolled: 1-line block ×4, first 2 shown]
	v_or_b32_e32 v52, 32, v62
	v_and_b32_e32 v50, 56, v89
	s_and_b64 vcc, exec, s[14:15]
	global_store_dwordx4 v[48:49], v[38:41], off
	global_store_dwordx4 v[34:35], v[42:45], off
	s_cbranch_vccz .LBB233_29
; %bb.24:
	s_mov_b32 s6, s4
	s_mov_b32 s7, s4
	;; [unrolled: 1-line block ×3, first 2 shown]
	v_mov_b64_e32 v[40:41], s[6:7]
	v_mov_b64_e32 v[38:39], s[4:5]
	;; [unrolled: 1-line block ×3, first 2 shown]
	v_cmp_gt_i32_e32 vcc, s31, v62
	v_mov_b64_e32 v[36:37], v[40:41]
	s_and_saveexec_b64 s[2:3], vcc
	s_cbranch_execz .LBB233_26
; %bb.25:
	v_lshlrev_b32_e32 v34, 8, v62
	v_mov_b32_e32 v35, 0
	v_lshl_add_u64 v[36:37], s[0:1], 0, v[34:35]
	v_lshlrev_b32_e32 v34, 1, v50
	v_lshl_add_u64 v[42:43], v[36:37], 0, v[34:35]
	global_load_dwordx4 v[38:41], v[42:43], off
	global_load_dwordx4 v[34:37], v[42:43], off offset:128
.LBB233_26:
	s_or_b64 exec, exec, s[2:3]
	s_mov_b32 s6, s4
	s_mov_b32 s7, s4
	;; [unrolled: 1-line block ×3, first 2 shown]
	v_mov_b64_e32 v[48:49], s[6:7]
	v_mov_b64_e32 v[46:47], s[4:5]
	;; [unrolled: 1-line block ×3, first 2 shown]
	v_cmp_gt_i32_e32 vcc, s31, v52
	v_lshlrev_b32_e32 v53, 7, v52
	v_mov_b64_e32 v[44:45], v[48:49]
	s_and_saveexec_b64 s[2:3], vcc
	s_cbranch_execz .LBB233_28
; %bb.27:
	v_lshlrev_b32_e32 v42, 1, v53
	v_mov_b32_e32 v43, 0
	v_lshl_add_u64 v[44:45], s[0:1], 0, v[42:43]
	v_lshlrev_b32_e32 v42, 1, v50
	v_lshl_add_u64 v[58:59], v[44:45], 0, v[42:43]
	global_load_dwordx4 v[46:49], v[58:59], off
	global_load_dwordx4 v[42:45], v[58:59], off offset:128
.LBB233_28:
	s_or_b64 exec, exec, s[2:3]
	v_lshrrev_b32_e32 v57, 3, v50
	v_lshlrev_b32_e32 v58, 3, v62
	v_or_b32_e32 v57, v58, v57
	v_lshlrev_b32_e32 v57, 4, v57
	v_and_b32_e32 v58, 0x78, v58
	v_xor_b32_e32 v57, v57, v58
	s_branch .LBB233_31
.LBB233_29:
                                        ; implicit-def: $vgpr57
                                        ; implicit-def: $vgpr53
                                        ; implicit-def: $vgpr38_vgpr39_vgpr40_vgpr41
                                        ; implicit-def: $vgpr34_vgpr35_vgpr36_vgpr37
                                        ; implicit-def: $vgpr46_vgpr47_vgpr48_vgpr49
                                        ; implicit-def: $vgpr42_vgpr43_vgpr44_vgpr45
	s_cbranch_execz .LBB233_31
; %bb.30:
	s_waitcnt vmcnt(0)
	v_lshlrev_b32_e32 v34, 1, v50
	v_lshl_or_b32 v53, v62, 8, v34
	s_and_b32 s1, s1, 0xffff
	s_mov_b32 s3, 0x20000
	s_movk_i32 s2, 0x4000
	v_lshl_or_b32 v57, v52, 8, v34
	s_movk_i32 s4, 0x80
	buffer_load_dwordx4 v[38:41], v53, s[0:3], 0 offen
	buffer_load_dwordx4 v[34:37], v53, s[0:3], s4 offen
	;; [unrolled: 1-line block ×4, first 2 shown]
	v_lshrrev_b32_e32 v53, 3, v50
	v_lshlrev_b32_e32 v57, 3, v62
	v_or_b32_e32 v53, v57, v53
	v_lshlrev_b32_e32 v53, 4, v53
	v_and_b32_e32 v57, 0x78, v57
	v_xor_b32_e32 v57, v53, v57
	v_lshlrev_b32_e32 v53, 7, v52
.LBB233_31:
	s_movk_i32 s0, 0x1000
	v_and_or_b32 v52, v53, s0, v57
	s_waitcnt vmcnt(1)
	ds_write_b64 v57, v[38:39] offset:49152
	v_xor_b32_e32 v38, 8, v57
	ds_write_b64 v38, v[40:41] offset:49152
	s_waitcnt vmcnt(0)
	ds_write_b64 v57, v[34:35] offset:57344
	ds_write_b64 v38, v[36:37] offset:57344
	;; [unrolled: 1-line block ×3, first 2 shown]
	v_xor_b32_e32 v34, 8, v52
	ds_write_b64 v34, v[48:49] offset:49152
	ds_write_b64 v52, v[42:43] offset:57344
	;; [unrolled: 1-line block ×3, first 2 shown]
	v_or_b32_e32 v34, v86, v88
	v_lshlrev_b32_e32 v34, 3, v34
	v_lshrrev_b32_e32 v35, 5, v67
	s_movk_i32 s0, 0xf8
	v_and_or_b32 v35, v34, s0, v35
	v_lshlrev_b32_e32 v39, 4, v35
	v_lshlrev_b32_e32 v57, 11, v1
	v_and_b32_e32 v40, 0x78, v34
	v_or_b32_e32 v42, 32, v39
	v_and_b32_e32 v38, 0x1000, v57
	v_lshrrev_b32_e32 v35, 1, v67
	v_xor_b32_e32 v42, v42, v40
	v_xor_b32_e32 v34, v39, v40
	v_and_b32_e32 v41, 8, v35
	v_or_b32_e32 v42, v42, v38
	v_or_b32_e32 v34, v34, v38
	v_xor_b32_e32 v64, v42, v41
	v_or_b32_e32 v42, 64, v39
	v_xor_b32_e32 v63, v34, v41
	v_xor_b32_e32 v42, v42, v40
	s_waitcnt lgkmcnt(0)
	s_barrier
	v_or_b32_e32 v45, v42, v38
	ds_read_b64 v[42:43], v63 offset:49152
	v_lshl_or_b32 v46, v87, 8, v56
	v_lshlrev_b32_e32 v58, 1, v46
	v_add_u32_e32 v44, 0x4000, v58
	ds_read2_b64 v[34:37], v44 offset1:16
	v_or_b32_e32 v39, 0x60, v39
	v_xor_b32_e32 v39, v39, v40
	v_or_b32_e32 v38, v39, v38
	v_xor_b32_e32 v65, v45, v41
	v_xor_b32_e32 v77, v38, v41
	ds_read_b64 v[52:53], v64 offset:49152
	ds_read_b64 v[78:79], v65 offset:49152
	;; [unrolled: 1-line block ×3, first 2 shown]
	s_waitcnt lgkmcnt(3)
	v_mfma_f32_16x16x16_bf16 a[0:3], v[42:43], v[34:35], 0
	ds_read2st64_b64 v[38:41], v58 offset0:36 offset1:40
	s_lshl_b64 s[0:1], s[28:29], 8
	s_add_u32 s4, s12, s0
	v_mfma_f32_16x16x16_bf16 a[4:7], v[42:43], v[36:37], 0
	ds_read2_b64 v[34:37], v44 offset0:32 offset1:48
	s_addc_u32 s5, s13, s1
	s_add_i32 s1, s48, s33
	s_waitcnt lgkmcnt(0)
	v_mfma_f32_16x16x16_bf16 a[8:11], v[42:43], v[34:35], 0
	v_or_b32_e32 v34, 64, v46
	v_lshlrev_b32_e32 v59, 1, v34
	s_add_i32 s0, s20, -1
	v_mfma_f32_16x16x16_bf16 a[12:15], v[42:43], v[36:37], 0
	ds_read2st64_b64 v[34:37], v59 offset0:36 offset1:40
	s_add_i32 s41, s1, s43
	s_add_i32 s1, s50, s49
	v_mfma_f32_16x16x16_bf16 a[0:3], v[52:53], v[38:39], a[0:3]
	v_or_b32_e32 v38, 0x80, v46
	v_lshlrev_b32_e32 v60, 1, v38
	ds_read2st64_b64 v[42:45], v60 offset0:36 offset1:40
	s_waitcnt lgkmcnt(1)
	v_mfma_f32_16x16x16_bf16 a[4:7], v[52:53], v[34:35], a[4:7]
	v_or_b32_e32 v34, 0xc0, v46
	v_lshlrev_b32_e32 v61, 1, v34
	ds_read2st64_b64 v[46:49], v61 offset0:36 offset1:40
	s_add_i32 s39, s1, s51
	s_ashr_i32 s1, s0, 31
	s_mul_i32 s2, s0, s37
	s_mul_hi_u32 s3, s0, s36
	s_add_i32 s2, s3, s2
	s_mul_i32 s1, s1, s36
	s_waitcnt lgkmcnt(1)
	v_mfma_f32_16x16x16_bf16 a[8:11], v[52:53], v[42:43], a[8:11]
	s_add_i32 s1, s2, s1
	s_lshl_b64 s[2:3], s[40:41], 2
	s_add_u32 s6, s18, s2
	s_waitcnt lgkmcnt(0)
	v_mfma_f32_16x16x16_bf16 a[12:15], v[52:53], v[46:47], a[12:15]
	s_addc_u32 s7, s19, s3
	s_lshl_b64 s[2:3], s[38:39], 2
	s_mul_i32 s0, s0, s36
	v_mfma_f32_16x16x16_bf16 a[0:3], v[78:79], v[40:41], a[0:3]
	ds_read_b64 v[34:35], v58 offset:22528
	s_add_u32 s12, s6, s2
	s_addc_u32 s13, s7, s3
	v_mfma_f32_16x16x16_bf16 a[4:7], v[78:79], v[36:37], a[4:7]
	ds_read_b64 v[36:37], v59 offset:22528
	ds_read_b64 v[38:39], v60 offset:22528
	;; [unrolled: 1-line block ×3, first 2 shown]
	s_lshl_b64 s[0:1], s[0:1], 2
	s_add_u32 s0, s12, s0
	v_mfma_f32_16x16x16_bf16 a[8:11], v[78:79], v[44:45], a[8:11]
	s_addc_u32 s1, s13, s1
	s_load_dword s18, s[0:1], 0x0
	s_and_b64 vcc, exec, s[26:27]
	v_mfma_f32_16x16x16_bf16 a[12:15], v[78:79], v[48:49], a[12:15]
	s_waitcnt lgkmcnt(0)
	v_mfma_f32_16x16x16_bf16 a[0:3], v[80:81], v[34:35], a[0:3]
	v_mfma_f32_16x16x16_bf16 a[4:7], v[80:81], v[36:37], a[4:7]
	;; [unrolled: 1-line block ×4, first 2 shown]
	s_cbranch_vccz .LBB233_42
; %bb.32:
	v_lshlrev_b32_e32 v52, 1, v62
	s_and_b64 vcc, exec, s[14:15]
	s_cbranch_vccz .LBB233_43
; %bb.33:
	v_cmp_gt_i32_e32 vcc, s31, v52
	v_mov_b32_e32 v38, 0
	v_mov_b32_e32 v34, 0
	;; [unrolled: 1-line block ×5, first 2 shown]
	s_and_saveexec_b64 s[0:1], vcc
	s_cbranch_execz .LBB233_35
; %bb.34:
	v_mad_i64_i32 v[34:35], s[2:3], s23, v52, 0
	v_lshl_add_u64 v[34:35], v[34:35], 1, s[4:5]
	v_lshlrev_b32_e32 v36, 1, v50
	v_mov_b32_e32 v37, 0
	v_lshl_add_u64 v[34:35], v[34:35], 0, v[36:37]
	global_load_dwordx4 v[34:37], v[34:35], off
.LBB233_35:
	s_or_b64 exec, exec, s[0:1]
	v_or_b32_e32 v53, 1, v52
	v_cmp_gt_i32_e64 s[0:1], s31, v53
	v_mov_b32_e32 v39, 0
	v_mov_b32_e32 v40, 0
	;; [unrolled: 1-line block ×3, first 2 shown]
	s_and_saveexec_b64 s[2:3], s[0:1]
	s_cbranch_execz .LBB233_37
; %bb.36:
	v_mad_i64_i32 v[38:39], s[6:7], s23, v53, 0
	v_lshl_add_u64 v[38:39], v[38:39], 1, s[4:5]
	v_lshlrev_b32_e32 v40, 1, v50
	v_mov_b32_e32 v41, 0
	v_lshl_add_u64 v[38:39], v[38:39], 0, v[40:41]
	global_load_dwordx4 v[38:41], v[38:39], off
.LBB233_37:
	s_or_b64 exec, exec, s[2:3]
	v_mov_b32_e32 v49, 0
	v_mov_b32_e32 v42, 0
	;; [unrolled: 1-line block ×5, first 2 shown]
	s_and_saveexec_b64 s[2:3], vcc
	s_cbranch_execz .LBB233_39
; %bb.38:
	v_mad_i64_i32 v[42:43], s[6:7], s23, v52, 0
	v_lshl_add_u64 v[42:43], v[42:43], 1, s[4:5]
	v_lshlrev_b32_e32 v44, 1, v50
	v_mov_b32_e32 v45, 0
	v_lshl_add_u64 v[42:43], v[42:43], 0, v[44:45]
	global_load_dwordx4 v[42:45], v[42:43], off offset:128
.LBB233_39:
	s_or_b64 exec, exec, s[2:3]
	v_mov_b32_e32 v48, 0
	v_mov_b32_e32 v47, 0
	;; [unrolled: 1-line block ×3, first 2 shown]
	s_and_saveexec_b64 s[2:3], s[0:1]
	s_cbranch_execz .LBB233_41
; %bb.40:
	v_mad_i64_i32 v[46:47], s[0:1], s23, v53, 0
	v_lshl_add_u64 v[46:47], v[46:47], 1, s[4:5]
	v_lshlrev_b32_e32 v48, 1, v50
	v_mov_b32_e32 v49, 0
	v_lshl_add_u64 v[46:47], v[46:47], 0, v[48:49]
	global_load_dwordx4 v[46:49], v[46:47], off offset:128
.LBB233_41:
	s_or_b64 exec, exec, s[2:3]
	s_branch .LBB233_45
.LBB233_42:
                                        ; implicit-def: $vgpr37
                                        ; implicit-def: $vgpr41
                                        ; implicit-def: $vgpr45
                                        ; implicit-def: $vgpr49
	v_lshrrev_b32_e32 v67, 2, v67
	s_branch .LBB233_46
.LBB233_43:
                                        ; implicit-def: $vgpr37
                                        ; implicit-def: $vgpr41
                                        ; implicit-def: $vgpr45
                                        ; implicit-def: $vgpr49
	s_cbranch_execz .LBB233_45
; %bb.44:
	s_waitcnt vmcnt(0)
	v_mad_u64_u32 v[34:35], s[0:1], v52, s23, v[50:51]
	v_lshlrev_b32_e32 v52, 1, v34
	s_lshl_b32 s2, s23, 7
	s_and_b32 s1, s5, 0xffff
	s_mov_b32 s3, 0x20000
	s_mov_b32 s0, s4
	v_add_lshl_u32 v53, v34, s23, 1
	s_movk_i32 s6, 0x80
	buffer_load_dwordx4 v[34:37], v52, s[0:3], 0 offen
	buffer_load_dwordx4 v[42:45], v52, s[0:3], s6 offen
	;; [unrolled: 1-line block ×4, first 2 shown]
.LBB233_45:
	v_lshrrev_b32_e32 v67, 2, v67
	s_cbranch_execnz .LBB233_58
.LBB233_46:
	s_and_b64 vcc, exec, s[14:15]
	s_cbranch_vccz .LBB233_56
; %bb.47:
	s_waitcnt vmcnt(0)
	v_lshlrev_b32_e32 v39, 1, v62
	v_cmp_gt_i32_e32 vcc, s31, v39
	v_mov_b32_e32 v38, 0
	v_lshlrev_b32_e32 v46, 9, v62
	v_mov_b32_e32 v34, 0
	v_mov_b32_e32 v35, 0
	;; [unrolled: 1-line block ×4, first 2 shown]
	s_and_saveexec_b64 s[0:1], vcc
	s_cbranch_execz .LBB233_49
; %bb.48:
	v_mov_b32_e32 v47, 0
	v_lshl_add_u64 v[34:35], s[4:5], 0, v[46:47]
	v_lshlrev_b32_e32 v36, 1, v50
	v_mov_b32_e32 v37, v47
	v_lshl_add_u64 v[34:35], v[34:35], 0, v[36:37]
	global_load_dwordx4 v[34:37], v[34:35], off
.LBB233_49:
	s_or_b64 exec, exec, s[0:1]
	v_or_b32_e32 v39, 1, v39
	v_cmp_gt_i32_e64 s[0:1], s31, v39
	v_lshlrev_b32_e32 v52, 8, v39
	v_mov_b32_e32 v39, 0
	v_mov_b32_e32 v40, 0
	;; [unrolled: 1-line block ×3, first 2 shown]
	s_and_saveexec_b64 s[2:3], s[0:1]
	s_cbranch_execz .LBB233_51
; %bb.50:
	v_mov_b32_e32 v53, 0
	v_lshl_add_u64 v[38:39], s[4:5], 0, v[52:53]
	v_lshlrev_b32_e32 v40, 1, v50
	v_mov_b32_e32 v41, v53
	v_lshl_add_u64 v[38:39], v[38:39], 0, v[40:41]
	global_load_dwordx4 v[38:41], v[38:39], off
.LBB233_51:
	s_or_b64 exec, exec, s[2:3]
	v_mov_b32_e32 v49, 0
	v_mov_b32_e32 v42, 0
	;; [unrolled: 1-line block ×5, first 2 shown]
	s_and_saveexec_b64 s[2:3], vcc
	s_cbranch_execz .LBB233_53
; %bb.52:
	v_mov_b32_e32 v47, 0
	v_lshl_add_u64 v[42:43], s[4:5], 0, v[46:47]
	v_lshlrev_b32_e32 v46, 1, v50
	v_lshl_add_u64 v[42:43], v[42:43], 0, v[46:47]
	global_load_dwordx4 v[42:45], v[42:43], off offset:128
.LBB233_53:
	s_or_b64 exec, exec, s[2:3]
	v_mov_b32_e32 v48, 0
	v_mov_b32_e32 v47, 0
	;; [unrolled: 1-line block ×3, first 2 shown]
	s_and_saveexec_b64 s[2:3], s[0:1]
	s_cbranch_execz .LBB233_55
; %bb.54:
	v_mov_b32_e32 v53, 0
	v_lshl_add_u64 v[46:47], s[4:5], 0, v[52:53]
	v_lshlrev_b32_e32 v52, 1, v50
	v_lshl_add_u64 v[46:47], v[46:47], 0, v[52:53]
	global_load_dwordx4 v[46:49], v[46:47], off offset:128
.LBB233_55:
	s_or_b64 exec, exec, s[2:3]
	s_branch .LBB233_58
.LBB233_56:
                                        ; implicit-def: $vgpr37
                                        ; implicit-def: $vgpr41
                                        ; implicit-def: $vgpr45
                                        ; implicit-def: $vgpr49
	s_cbranch_execz .LBB233_58
; %bb.57:
	s_waitcnt vmcnt(0)
	v_lshlrev_b32_e32 v34, 1, v50
	v_lshl_or_b32 v50, v62, 9, v34
	s_and_b32 s5, s5, 0xffff
	s_mov_b32 s7, 0x20000
	s_movk_i32 s6, 0x4000
	s_movk_i32 s0, 0x80
	buffer_load_dwordx4 v[34:37], v50, s[4:7], 0 offen
	buffer_load_dwordx4 v[38:41], v50, s[4:7], 0 offen offset:256
	buffer_load_dwordx4 v[42:45], v50, s[4:7], s0 offen
	buffer_load_dwordx4 v[46:49], v50, s[4:7], s0 offen offset:256
.LBB233_58:
	ds_read_b64 v[52:53], v63 offset:57344
	v_add_u32_e32 v50, 0x6000, v58
	ds_read2_b64 v[78:81], v50 offset1:16
	ds_read_b64 v[96:97], v64 offset:57344
	ds_read_b64 v[64:65], v65 offset:57344
	;; [unrolled: 1-line block ×3, first 2 shown]
	ds_read2st64_b64 v[82:85], v58 offset0:52 offset1:56
	v_and_b32_e32 v63, 1, v0
	v_cmp_eq_u32_e32 vcc, 0, v63
	s_mov_b32 s0, 0x1000504
	s_waitcnt vmcnt(0)
	v_perm_b32 v63, v42, v46, s0
	s_mov_b32 s1, 0x3020706
	s_waitcnt lgkmcnt(4)
	v_mfma_f32_16x16x16_bf16 a[0:3], v[52:53], v[78:79], a[0:3]
	v_mfma_f32_16x16x16_bf16 a[4:7], v[52:53], v[80:81], a[4:7]
	ds_read2_b64 v[78:81], v50 offset0:32 offset1:48
	v_and_b32_e32 v50, 6, v0
	v_xor_b32_e32 v62, v62, v50
	s_waitcnt lgkmcnt(0)
	v_mfma_f32_16x16x16_bf16 a[8:11], v[52:53], v[78:79], a[8:11]
	v_lshlrev_b32_e32 v62, 2, v62
	v_xor_b32_e32 v77, 0x440, v62
	v_cndmask_b32_e32 v62, v77, v62, vcc
	v_mfma_f32_16x16x16_bf16 a[12:15], v[52:53], v[80:81], a[12:15]
	ds_read2st64_b64 v[78:81], v59 offset0:52 offset1:56
	ds_read2st64_b64 v[88:91], v60 offset0:52 offset1:56
	;; [unrolled: 1-line block ×3, first 2 shown]
	v_lshl_or_b32 v50, v50, 10, v62
	v_perm_b32 v62, v34, v38, s0
	v_mfma_f32_16x16x16_bf16 a[0:3], v[96:97], v[82:83], a[0:3]
	ds_read_b64 v[52:53], v58 offset:30720
	ds_read_b64 v[82:83], v59 offset:30720
	;; [unrolled: 1-line block ×4, first 2 shown]
	ds_write2st64_b32 v50, v62, v63 offset0:128 offset1:160
	v_xor_b32_e32 v62, 8, v50
	s_waitcnt lgkmcnt(7)
	v_mfma_f32_16x16x16_bf16 a[4:7], v[96:97], v[78:79], a[4:7]
	v_perm_b32 v34, v34, v38, s1
	v_perm_b32 v38, v42, v46, s1
	v_add_u32_e32 v42, 0x80, v62
	s_waitcnt lgkmcnt(6)
	v_mfma_f32_16x16x16_bf16 a[8:11], v[96:97], v[88:89], a[8:11]
	ds_write2st64_b32 v42, v34, v38 offset0:128 offset1:160
	v_xor_b32_e32 v34, 16, v50
	v_perm_b32 v38, v35, v39, s0
	s_waitcnt lgkmcnt(6)
	v_mfma_f32_16x16x16_bf16 a[12:15], v[96:97], v[92:93], a[12:15]
	v_perm_b32 v42, v43, v47, s0
	ds_write2st64_b32 v34, v38, v42 offset0:129 offset1:161
	v_xor_b32_e32 v34, 24, v50
	v_mfma_f32_16x16x16_bf16 a[0:3], v[64:65], v[84:85], a[0:3]
	v_perm_b32 v35, v35, v39, s1
	v_perm_b32 v38, v43, v47, s1
	v_add_u32_e32 v34, 0x80, v34
	v_mfma_f32_16x16x16_bf16 a[4:7], v[64:65], v[80:81], a[4:7]
	ds_write2st64_b32 v34, v35, v38 offset0:129 offset1:161
	v_xor_b32_e32 v34, 32, v50
	v_perm_b32 v35, v36, v40, s0
	v_mfma_f32_16x16x16_bf16 a[16:19], v[64:65], v[90:91], a[8:11]
	v_perm_b32 v38, v44, v48, s0
	ds_write2st64_b32 v34, v35, v38 offset0:130 offset1:162
	v_xor_b32_e32 v34, 40, v50
	v_mfma_f32_16x16x16_bf16 a[20:23], v[64:65], v[94:95], a[12:15]
	v_perm_b32 v35, v36, v40, s1
	v_perm_b32 v36, v44, v48, s1
	v_add_u32_e32 v34, 0x80, v34
	s_waitcnt lgkmcnt(8)
	v_mfma_f32_16x16x16_bf16 a[12:15], v[98:99], v[52:53], a[0:3]
	ds_write2st64_b32 v34, v35, v36 offset0:130 offset1:162
	v_xor_b32_e32 v34, 48, v50
	v_perm_b32 v35, v37, v41, s0
	s_waitcnt lgkmcnt(8)
	v_mfma_f32_16x16x16_bf16 a[8:11], v[98:99], v[82:83], a[4:7]
	v_perm_b32 v36, v45, v49, s0
	ds_write2st64_b32 v34, v35, v36 offset0:131 offset1:163
	v_xor_b32_e32 v34, 56, v50
	s_waitcnt lgkmcnt(8)
	v_mfma_f32_16x16x16_bf16 a[4:7], v[98:99], v[100:101], a[16:19]
	v_and_or_b32 v63, v67, 12, v86
	v_perm_b32 v35, v37, v41, s1
	v_perm_b32 v36, v45, v49, s1
	s_waitcnt lgkmcnt(7)
	v_mfma_f32_16x16x16_bf16 a[0:3], v[98:99], v[102:103], a[20:23]
	v_add_u32_e32 v34, 0x80, v34
	v_cmp_gt_i32_e32 vcc, s31, v63
	v_mov_b32_e32 v52, 0
	v_mov_b32_e32 v53, 0
	ds_write2st64_b32 v34, v35, v36 offset0:131 offset1:163
	s_and_saveexec_b64 s[0:1], vcc
	s_cbranch_execz .LBB233_60
; %bb.59:
	v_add_u32_e32 v34, s30, v63
	v_ashrrev_i32_e32 v35, 31, v34
	v_mul_lo_u32 v36, v35, s36
	v_mul_lo_u32 v37, v34, s37
	v_mad_u64_u32 v[34:35], s[2:3], v34, s36, 0
	v_add3_u32 v35, v35, v37, v36
	v_lshl_add_u64 v[34:35], v[34:35], 2, s[12:13]
	global_load_dword v34, v[34:35], off
	s_waitcnt vmcnt(0)
	v_sub_f32_e32 v34, s18, v34
	v_mul_f32_e32 v34, 0x3fb8aa3b, v34
	v_exp_f32_e32 v53, v34
.LBB233_60:
	s_or_b64 exec, exec, s[0:1]
	v_or_b32_e32 v43, 1, v63
	v_cmp_gt_i32_e64 s[2:3], s31, v43
	s_and_saveexec_b64 s[0:1], s[2:3]
	s_cbranch_execz .LBB233_62
; %bb.61:
	v_add_u32_e32 v34, s30, v43
	v_ashrrev_i32_e32 v35, 31, v34
	v_mul_lo_u32 v36, v35, s36
	v_mul_lo_u32 v37, v34, s37
	v_mad_u64_u32 v[34:35], s[4:5], v34, s36, 0
	v_add3_u32 v35, v35, v37, v36
	v_lshl_add_u64 v[34:35], v[34:35], 2, s[12:13]
	global_load_dword v34, v[34:35], off
	s_waitcnt vmcnt(0)
	v_sub_f32_e32 v34, s18, v34
	v_mul_f32_e32 v34, 0x3fb8aa3b, v34
	v_exp_f32_e32 v52, v34
.LBB233_62:
	s_or_b64 exec, exec, s[0:1]
	v_or_b32_e32 v42, 2, v63
	v_cmp_gt_i32_e64 s[4:5], s31, v42
	v_mov_b32_e32 v50, 0
	v_mov_b32_e32 v62, 0
	s_and_saveexec_b64 s[0:1], s[4:5]
	s_cbranch_execz .LBB233_64
; %bb.63:
	v_add_u32_e32 v34, s30, v42
	v_ashrrev_i32_e32 v35, 31, v34
	v_mul_lo_u32 v36, v35, s36
	v_mul_lo_u32 v37, v34, s37
	v_mad_u64_u32 v[34:35], s[6:7], v34, s36, 0
	v_add3_u32 v35, v35, v37, v36
	v_lshl_add_u64 v[34:35], v[34:35], 2, s[12:13]
	global_load_dword v34, v[34:35], off
	s_waitcnt vmcnt(0)
	v_sub_f32_e32 v34, s18, v34
	v_mul_f32_e32 v34, 0x3fb8aa3b, v34
	v_exp_f32_e32 v62, v34
.LBB233_64:
	s_or_b64 exec, exec, s[0:1]
	v_or_b32_e32 v64, 3, v63
	v_cmp_gt_i32_e64 s[0:1], s31, v64
	s_and_saveexec_b64 s[6:7], s[0:1]
	s_cbranch_execz .LBB233_66
; %bb.65:
	v_add_u32_e32 v34, s30, v64
	v_ashrrev_i32_e32 v35, 31, v34
	v_mul_lo_u32 v36, v35, s36
	v_mul_lo_u32 v37, v34, s37
	v_mad_u64_u32 v[34:35], s[14:15], v34, s36, 0
	v_add3_u32 v35, v35, v37, v36
	v_lshl_add_u64 v[34:35], v[34:35], 2, s[12:13]
	global_load_dword v34, v[34:35], off
	s_waitcnt vmcnt(0)
	v_sub_f32_e32 v34, s18, v34
	v_mul_f32_e32 v34, 0x3fb8aa3b, v34
	v_exp_f32_e32 v50, v34
.LBB233_66:
	s_or_b64 exec, exec, s[6:7]
	s_add_u32 s6, s16, s24
	s_addc_u32 s7, s17, s25
	s_add_u32 s8, s8, s24
	v_ashrrev_i32_e32 v77, 31, v76
	v_accvgpr_read_b32 v37, a15
	s_addc_u32 s9, s9, s25
	v_lshlrev_b64 v[38:39], 1, v[76:77]
	v_accvgpr_read_b32 v36, a14
	v_accvgpr_read_b32 v35, a13
	;; [unrolled: 1-line block ×3, first 2 shown]
	v_lshl_add_u64 v[40:41], s[6:7], 0, v[38:39]
	v_lshl_add_u64 v[38:39], s[8:9], 0, v[38:39]
	v_mov_b32_e32 v47, 0
	v_lshlrev_b32_e32 v44, 8, v63
	v_mov_b32_e32 v45, 0
	s_and_saveexec_b64 s[6:7], vcc
	s_cbranch_execz .LBB233_68
; %bb.67:
	v_mov_b32_e32 v45, 0
	v_lshl_add_u64 v[48:49], v[40:41], 0, v[44:45]
	global_load_ushort v46, v[48:49], off
	v_lshl_add_u64 v[48:49], v[38:39], 0, v[44:45]
	s_waitcnt vmcnt(0)
	v_lshlrev_b32_e32 v45, 16, v46
	v_sub_f32_e32 v34, v45, v34
	global_store_short_d16_hi v[48:49], v34, off
	v_mul_f32_e32 v34, v53, v34
	v_lshrrev_b32_e32 v45, 16, v34
.LBB233_68:
	s_or_b64 exec, exec, s[6:7]
	v_lshlrev_b32_e32 v46, 8, v43
	s_and_saveexec_b64 s[6:7], s[2:3]
	s_cbranch_execz .LBB233_70
; %bb.69:
	v_mov_b32_e32 v47, 0
	v_lshl_add_u64 v[48:49], v[40:41], 0, v[46:47]
	global_load_ushort v34, v[48:49], off
	v_lshl_add_u64 v[48:49], v[38:39], 0, v[46:47]
	s_waitcnt vmcnt(0)
	v_lshlrev_b32_e32 v34, 16, v34
	v_sub_f32_e32 v34, v34, v35
	global_store_short_d16_hi v[48:49], v34, off
	v_mul_f32_e32 v34, v52, v34
	v_lshrrev_b32_e32 v47, 16, v34
.LBB233_70:
	s_or_b64 exec, exec, s[6:7]
	v_mov_b32_e32 v43, 0
	v_lshlrev_b32_e32 v48, 8, v42
	v_mov_b32_e32 v49, 0
	s_and_saveexec_b64 s[6:7], s[4:5]
	s_cbranch_execz .LBB233_72
; %bb.71:
	v_mov_b32_e32 v49, 0
	v_lshl_add_u64 v[34:35], v[40:41], 0, v[48:49]
	global_load_ushort v42, v[34:35], off
	v_lshl_add_u64 v[34:35], v[38:39], 0, v[48:49]
	s_waitcnt vmcnt(0)
	v_lshlrev_b32_e32 v42, 16, v42
	v_sub_f32_e32 v36, v42, v36
	global_store_short_d16_hi v[34:35], v36, off
	v_mul_f32_e32 v34, v62, v36
	v_lshrrev_b32_e32 v49, 16, v34
.LBB233_72:
	s_or_b64 exec, exec, s[6:7]
	v_lshlrev_b32_e32 v42, 8, v64
	s_and_saveexec_b64 s[6:7], s[0:1]
	s_cbranch_execz .LBB233_74
; %bb.73:
	v_mov_b32_e32 v43, 0
	v_lshl_add_u64 v[34:35], v[40:41], 0, v[42:43]
	global_load_ushort v36, v[34:35], off
	v_lshl_add_u64 v[34:35], v[38:39], 0, v[42:43]
	s_waitcnt vmcnt(0)
	v_lshlrev_b32_e32 v36, 16, v36
	v_sub_f32_e32 v36, v36, v37
	global_store_short_d16_hi v[34:35], v36, off
	v_mul_f32_e32 v34, v50, v36
	v_lshrrev_b32_e32 v43, 16, v34
.LBB233_74:
	s_or_b64 exec, exec, s[6:7]
	v_lshlrev_b32_e32 v63, 6, v63
	s_mov_b32 s6, 0x5040100
	v_accvgpr_read_b32 v37, a11
	v_perm_b32 v65, v43, v49, s6
	v_or_b32_e32 v43, v63, v56
	v_accvgpr_read_b32 v36, a10
	v_accvgpr_read_b32 v35, a9
	;; [unrolled: 1-line block ×3, first 2 shown]
	v_perm_b32 v64, v47, v45, s6
	v_lshlrev_b32_e32 v43, 1, v43
	v_mov_b32_e32 v47, 0
	v_mov_b32_e32 v45, 0
	ds_write_b64 v43, v[64:65] offset:24576
	s_and_saveexec_b64 s[6:7], vcc
	s_cbranch_execz .LBB233_76
; %bb.75:
	v_mov_b32_e32 v45, 0
	v_lshl_add_u64 v[64:65], v[40:41], 0, v[44:45]
	global_load_ushort v43, v[64:65], off offset:32
	v_lshl_add_u64 v[64:65], v[38:39], 0, v[44:45]
	s_waitcnt vmcnt(0)
	v_lshlrev_b32_e32 v43, 16, v43
	v_sub_f32_e32 v34, v43, v34
	global_store_short_d16_hi v[64:65], v34, off offset:32
	v_mul_f32_e32 v34, v53, v34
	v_lshrrev_b32_e32 v45, 16, v34
.LBB233_76:
	s_or_b64 exec, exec, s[6:7]
	s_and_saveexec_b64 s[6:7], s[2:3]
	s_cbranch_execz .LBB233_78
; %bb.77:
	v_mov_b32_e32 v47, 0
	v_lshl_add_u64 v[64:65], v[40:41], 0, v[46:47]
	global_load_ushort v34, v[64:65], off offset:32
	v_lshl_add_u64 v[64:65], v[38:39], 0, v[46:47]
	s_waitcnt vmcnt(0)
	v_lshlrev_b32_e32 v34, 16, v34
	v_sub_f32_e32 v34, v34, v35
	global_store_short_d16_hi v[64:65], v34, off offset:32
	v_mul_f32_e32 v34, v52, v34
	v_lshrrev_b32_e32 v47, 16, v34
.LBB233_78:
	s_or_b64 exec, exec, s[6:7]
	v_mov_b32_e32 v43, 0
	v_mov_b32_e32 v49, 0
	s_and_saveexec_b64 s[6:7], s[4:5]
	s_cbranch_execz .LBB233_80
; %bb.79:
	v_mov_b32_e32 v49, 0
	v_lshl_add_u64 v[34:35], v[40:41], 0, v[48:49]
	global_load_ushort v56, v[34:35], off offset:32
	v_lshl_add_u64 v[34:35], v[38:39], 0, v[48:49]
	s_waitcnt vmcnt(0)
	v_lshlrev_b32_e32 v49, 16, v56
	v_sub_f32_e32 v36, v49, v36
	global_store_short_d16_hi v[34:35], v36, off offset:32
	v_mul_f32_e32 v34, v62, v36
	v_lshrrev_b32_e32 v49, 16, v34
.LBB233_80:
	s_or_b64 exec, exec, s[6:7]
	s_and_saveexec_b64 s[6:7], s[0:1]
	s_cbranch_execz .LBB233_82
; %bb.81:
	v_mov_b32_e32 v43, 0
	v_lshl_add_u64 v[34:35], v[40:41], 0, v[42:43]
	global_load_ushort v36, v[34:35], off offset:32
	v_lshl_add_u64 v[34:35], v[38:39], 0, v[42:43]
	s_waitcnt vmcnt(0)
	v_lshlrev_b32_e32 v36, 16, v36
	v_sub_f32_e32 v36, v36, v37
	global_store_short_d16_hi v[34:35], v36, off offset:32
	v_mul_f32_e32 v34, v50, v36
	v_lshrrev_b32_e32 v43, 16, v34
.LBB233_82:
	s_or_b64 exec, exec, s[6:7]
	s_mov_b32 s6, 0x5040100
	v_accvgpr_read_b32 v37, a7
	v_perm_b32 v65, v43, v49, s6
	v_or_b32_e32 v43, v63, v55
	v_accvgpr_read_b32 v36, a6
	v_accvgpr_read_b32 v35, a5
	v_accvgpr_read_b32 v34, a4
	v_perm_b32 v64, v47, v45, s6
	v_lshlrev_b32_e32 v43, 1, v43
	v_mov_b32_e32 v47, 0
	v_mov_b32_e32 v45, 0
	ds_write_b64 v43, v[64:65] offset:24576
	s_and_saveexec_b64 s[6:7], vcc
	s_cbranch_execz .LBB233_84
; %bb.83:
	v_mov_b32_e32 v45, 0
	v_lshl_add_u64 v[64:65], v[40:41], 0, v[44:45]
	global_load_ushort v43, v[64:65], off offset:64
	v_lshl_add_u64 v[64:65], v[38:39], 0, v[44:45]
	s_waitcnt vmcnt(0)
	v_lshlrev_b32_e32 v43, 16, v43
	v_sub_f32_e32 v34, v43, v34
	global_store_short_d16_hi v[64:65], v34, off offset:64
	v_mul_f32_e32 v34, v53, v34
	v_lshrrev_b32_e32 v45, 16, v34
.LBB233_84:
	s_or_b64 exec, exec, s[6:7]
	s_and_saveexec_b64 s[6:7], s[2:3]
	s_cbranch_execz .LBB233_86
; %bb.85:
	v_mov_b32_e32 v47, 0
	v_lshl_add_u64 v[64:65], v[40:41], 0, v[46:47]
	global_load_ushort v34, v[64:65], off offset:64
	v_lshl_add_u64 v[64:65], v[38:39], 0, v[46:47]
	s_waitcnt vmcnt(0)
	v_lshlrev_b32_e32 v34, 16, v34
	v_sub_f32_e32 v34, v34, v35
	global_store_short_d16_hi v[64:65], v34, off offset:64
	v_mul_f32_e32 v34, v52, v34
	v_lshrrev_b32_e32 v47, 16, v34
.LBB233_86:
	s_or_b64 exec, exec, s[6:7]
	v_mov_b32_e32 v43, 0
	v_mov_b32_e32 v49, 0
	s_and_saveexec_b64 s[6:7], s[4:5]
	s_cbranch_execz .LBB233_88
; %bb.87:
	v_mov_b32_e32 v49, 0
	v_lshl_add_u64 v[34:35], v[40:41], 0, v[48:49]
	global_load_ushort v55, v[34:35], off offset:64
	v_lshl_add_u64 v[34:35], v[38:39], 0, v[48:49]
	s_waitcnt vmcnt(0)
	v_lshlrev_b32_e32 v49, 16, v55
	v_sub_f32_e32 v36, v49, v36
	global_store_short_d16_hi v[34:35], v36, off offset:64
	v_mul_f32_e32 v34, v62, v36
	v_lshrrev_b32_e32 v49, 16, v34
.LBB233_88:
	s_or_b64 exec, exec, s[6:7]
	s_and_saveexec_b64 s[6:7], s[0:1]
	s_cbranch_execz .LBB233_90
; %bb.89:
	v_mov_b32_e32 v43, 0
	v_lshl_add_u64 v[34:35], v[40:41], 0, v[42:43]
	global_load_ushort v36, v[34:35], off offset:64
	v_lshl_add_u64 v[34:35], v[38:39], 0, v[42:43]
	s_waitcnt vmcnt(0)
	v_lshlrev_b32_e32 v36, 16, v36
	v_sub_f32_e32 v36, v36, v37
	global_store_short_d16_hi v[34:35], v36, off offset:64
	v_mul_f32_e32 v34, v50, v36
	v_lshrrev_b32_e32 v43, 16, v34
.LBB233_90:
	s_or_b64 exec, exec, s[6:7]
	s_mov_b32 s6, 0x5040100
	v_accvgpr_read_b32 v37, a3
	v_perm_b32 v65, v43, v49, s6
	v_or_b32_e32 v43, v63, v54
	v_accvgpr_read_b32 v36, a2
	v_accvgpr_read_b32 v35, a1
	;; [unrolled: 1-line block ×3, first 2 shown]
	v_perm_b32 v64, v47, v45, s6
	v_lshlrev_b32_e32 v43, 1, v43
	v_mov_b32_e32 v47, 0
	v_mov_b32_e32 v45, 0
	ds_write_b64 v43, v[64:65] offset:24576
	s_and_saveexec_b64 s[6:7], vcc
	s_cbranch_execz .LBB233_92
; %bb.91:
	v_mov_b32_e32 v45, 0
	v_lshl_add_u64 v[54:55], v[40:41], 0, v[44:45]
	global_load_ushort v43, v[54:55], off offset:96
	v_lshl_add_u64 v[44:45], v[38:39], 0, v[44:45]
	s_waitcnt vmcnt(0)
	v_lshlrev_b32_e32 v43, 16, v43
	v_sub_f32_e32 v34, v43, v34
	global_store_short_d16_hi v[44:45], v34, off offset:96
	v_mul_f32_e32 v34, v53, v34
	v_lshrrev_b32_e32 v45, 16, v34
.LBB233_92:
	s_or_b64 exec, exec, s[6:7]
	s_and_saveexec_b64 s[6:7], s[2:3]
	s_cbranch_execz .LBB233_94
; %bb.93:
	v_mov_b32_e32 v47, 0
	v_lshl_add_u64 v[54:55], v[40:41], 0, v[46:47]
	global_load_ushort v34, v[54:55], off offset:96
	v_lshl_add_u64 v[46:47], v[38:39], 0, v[46:47]
	s_waitcnt vmcnt(0)
	v_lshlrev_b32_e32 v34, 16, v34
	v_sub_f32_e32 v34, v34, v35
	global_store_short_d16_hi v[46:47], v34, off offset:96
	v_mul_f32_e32 v34, v52, v34
	v_lshrrev_b32_e32 v47, 16, v34
.LBB233_94:
	s_or_b64 exec, exec, s[6:7]
	v_mov_b32_e32 v43, 0
	v_mov_b32_e32 v46, 0
	s_and_saveexec_b64 s[2:3], s[4:5]
	s_cbranch_execz .LBB233_96
; %bb.95:
	v_mov_b32_e32 v49, 0
	v_lshl_add_u64 v[34:35], v[40:41], 0, v[48:49]
	global_load_ushort v44, v[34:35], off offset:96
	v_lshl_add_u64 v[34:35], v[38:39], 0, v[48:49]
	s_waitcnt vmcnt(0)
	v_lshlrev_b32_e32 v44, 16, v44
	v_sub_f32_e32 v36, v44, v36
	global_store_short_d16_hi v[34:35], v36, off offset:96
	v_mul_f32_e32 v34, v62, v36
	v_lshrrev_b32_e32 v46, 16, v34
.LBB233_96:
	s_or_b64 exec, exec, s[2:3]
	v_or_b32_e32 v44, 0x6000, v58
	v_or_b32_e32 v36, 0x6000, v59
	;; [unrolled: 1-line block ×4, first 2 shown]
	s_and_saveexec_b64 s[2:3], s[0:1]
	s_cbranch_execz .LBB233_98
; %bb.97:
	v_mov_b32_e32 v43, 0
	v_lshl_add_u64 v[40:41], v[40:41], 0, v[42:43]
	global_load_ushort v40, v[40:41], off offset:96
	v_lshl_add_u64 v[38:39], v[38:39], 0, v[42:43]
	s_waitcnt vmcnt(0)
	v_lshlrev_b32_e32 v40, 16, v40
	v_sub_f32_e32 v37, v40, v37
	global_store_short_d16_hi v[38:39], v37, off offset:96
	v_mul_f32_e32 v37, v50, v37
	v_lshrrev_b32_e32 v43, 16, v37
.LBB233_98:
	s_or_b64 exec, exec, s[2:3]
	s_mov_b32 s0, 0x5040100
	v_or_b32_e32 v37, v63, v51
	v_perm_b32 v39, v43, v46, s0
	v_perm_b32 v38, v47, v45, s0
	v_lshlrev_b32_e32 v37, 1, v37
	s_movk_i32 s0, 0x100
	ds_write_b64 v37, v[38:39] offset:24576
	v_and_b32_e32 v37, 7, v0
	v_and_b32_e32 v38, 8, v0
	v_cmp_gt_u32_e32 vcc, s0, v0
	v_lshrrev_b32_e32 v0, 1, v0
	v_lshlrev_b32_e32 v55, 3, v1
	v_and_b32_e32 v56, 24, v0
	v_mov_b32_e32 v39, 0xa000
	v_mov_b32_e32 v40, 0x8000
	v_xor_b32_e32 v0, v55, v56
	v_cndmask_b32_e32 v54, v39, v40, vcc
	v_or_b32_e32 v1, 0x440, v0
	v_cmp_eq_u32_e32 vcc, 0, v38
	v_lshlrev_b32_e32 v45, 3, v37
	v_lshlrev_b32_e32 v37, 7, v37
	v_cndmask_b32_e32 v0, v1, v0, vcc
	v_or_b32_e32 v0, v0, v57
	v_xad_u32 v67, v0, v45, v37
	v_or_b32_e32 v42, 32, v56
	v_add_u32_e32 v0, v54, v67
	v_xor_b32_e32 v42, v55, v42
	s_waitcnt lgkmcnt(0)
	s_barrier
	ds_read_b64 v[0:1], v0
	ds_read2_b64 v[38:41], v44 offset1:16
	ds_read2_b64 v[46:49], v44 offset0:32 offset1:48
	v_or_b32_e32 v43, 0x440, v42
	v_cndmask_b32_e32 v42, v43, v42, vcc
	v_or_b32_e32 v42, v42, v57
	v_xad_u32 v80, v42, v45, v37
	v_add_u32_e32 v42, v54, v80
	s_waitcnt lgkmcnt(1)
	v_mfma_f32_16x16x16_bf16 a[0:3], v[0:1], v[38:39], 0
	ds_read_b64 v[42:43], v42
	ds_read2st64_b64 v[50:53], v44 offset0:4 offset1:8
	ds_read2st64_b64 v[58:61], v36 offset0:4 offset1:8
	v_mfma_f32_16x16x16_bf16 a[4:7], v[0:1], v[40:41], 0
	ds_read2st64_b64 v[62:65], v35 offset0:4 offset1:8
	ds_read2st64_b64 v[76:79], v34 offset0:4 offset1:8
	s_waitcnt lgkmcnt(5)
	v_mfma_f32_16x16x16_bf16 a[8:11], v[0:1], v[46:47], 0
	v_mfma_f32_16x16x16_bf16 a[12:15], v[0:1], v[48:49], 0
	v_or_b32_e32 v0, 64, v56
	v_xor_b32_e32 v0, v55, v0
	v_xor_b32_e32 v1, 0x440, v0
	v_cndmask_b32_e32 v0, v1, v0, vcc
	v_or_b32_e32 v0, v0, v57
	v_xad_u32 v81, v0, v45, v37
	v_add_u32_e32 v0, v54, v81
	ds_read_b64 v[0:1], v0
	s_waitcnt lgkmcnt(4)
	v_mfma_f32_16x16x16_bf16 a[0:3], v[42:43], v[50:51], a[0:3]
	s_waitcnt lgkmcnt(3)
	v_mfma_f32_16x16x16_bf16 a[4:7], v[42:43], v[58:59], a[4:7]
	;; [unrolled: 2-line block ×4, first 2 shown]
	v_or_b32_e32 v42, 0x60, v56
	v_xor_b32_e32 v42, v55, v42
	v_xor_b32_e32 v43, 0x440, v42
	v_cndmask_b32_e32 v42, v43, v42, vcc
	v_or_b32_e32 v42, v42, v57
	v_xad_u32 v55, v42, v45, v37
	v_add_u32_e32 v37, v54, v55
	s_waitcnt lgkmcnt(0)
	v_mfma_f32_16x16x16_bf16 a[0:3], v[0:1], v[52:53], a[0:3]
	ds_read_b64 v[42:43], v37
	ds_read_b64 v[44:45], v44 offset:6144
	v_mfma_f32_16x16x16_bf16 a[4:7], v[0:1], v[60:61], a[4:7]
	v_mfma_f32_16x16x16_bf16 a[8:11], v[0:1], v[64:65], a[8:11]
	;; [unrolled: 1-line block ×3, first 2 shown]
	ds_read_b64 v[0:1], v36 offset:6144
	ds_read_b64 v[36:37], v35 offset:6144
	;; [unrolled: 1-line block ×3, first 2 shown]
	s_waitcnt lgkmcnt(3)
	v_mfma_f32_16x16x16_bf16 a[0:3], v[42:43], v[44:45], a[0:3]
	s_waitcnt lgkmcnt(2)
	v_mfma_f32_16x16x16_bf16 a[4:7], v[42:43], v[0:1], a[4:7]
	;; [unrolled: 2-line block ×4, first 2 shown]
	ds_read_b64 v[42:43], v67 offset:40960
	s_waitcnt lgkmcnt(0)
	v_mfma_f32_16x16x16_bf16 a[20:23], v[42:43], v[40:41], 0
	v_mov_b32_e32 v40, 0x3fb8aa3b
	v_mul_f32_e32 v40, s18, v40
	v_mfma_f32_16x16x16_bf16 a[16:19], v[42:43], v[38:39], 0
	ds_read_b64 v[38:39], v80 offset:40960
	v_mfma_f32_16x16x16_bf16 a[24:27], v[42:43], v[46:47], 0
	v_accvgpr_read_b32 v46, a7
	v_mfma_f32_16x16x16_bf16 a[28:31], v[42:43], v[48:49], 0
	v_exp_f32_e32 v42, v40
	v_accvgpr_read_b32 v40, a0
	v_accvgpr_read_b32 v43, a3
	s_waitcnt lgkmcnt(0)
	v_mfma_f32_16x16x16_bf16 a[16:19], v[38:39], v[50:51], a[16:19]
	v_fma_f32 v6, v6, v42, v40
	v_accvgpr_read_b32 v40, a1
	v_fma_f32 v7, v7, v42, v40
	v_accvgpr_read_b32 v40, a2
	v_fma_f32 v8, v8, v42, v40
	ds_read_b64 v[40:41], v81 offset:40960
	v_mfma_f32_16x16x16_bf16 a[20:23], v[38:39], v[58:59], a[20:23]
	v_fmac_f32_e32 v43, v9, v42
	v_accvgpr_read_b32 v9, a4
	v_fma_f32 v14, v14, v42, v9
	v_mfma_f32_16x16x16_bf16 a[24:27], v[38:39], v[62:63], a[24:27]
	v_accvgpr_read_b32 v9, a5
	v_fma_f32 v15, v15, v42, v9
	v_accvgpr_read_b32 v9, a6
	v_mfma_f32_16x16x16_bf16 a[0:3], v[38:39], v[76:77], a[28:31]
	ds_read_b64 v[38:39], v55 offset:40960
	v_fma_f32 v16, v16, v42, v9
	v_accvgpr_read_b32 v9, a8
	s_waitcnt lgkmcnt(1)
	v_mfma_f32_16x16x16_bf16 a[16:19], v[40:41], v[52:53], a[16:19]
	v_fma_f32 v22, v22, v42, v9
	v_accvgpr_read_b32 v9, a9
	v_fma_f32 v23, v23, v42, v9
	v_mfma_f32_16x16x16_bf16 a[4:7], v[40:41], v[60:61], a[20:23]
	v_accvgpr_read_b32 v9, a10
	v_fma_f32 v24, v24, v42, v9
	v_accvgpr_read_b32 v9, a12
	v_mfma_f32_16x16x16_bf16 a[20:23], v[40:41], v[64:65], a[24:27]
	v_fma_f32 v30, v30, v42, v9
	v_fmac_f32_e32 v46, v17, v42
	v_mov_b32_e32 v17, v46
	v_mfma_f32_16x16x16_bf16 a[0:3], v[40:41], v[78:79], a[0:3]
	v_accvgpr_read_b32 v40, a11
	v_fmac_f32_e32 v40, v25, v42
	s_waitcnt lgkmcnt(0)
	v_mfma_f32_16x16x16_bf16 a[8:11], v[38:39], v[44:45], a[16:19]
	v_mfma_f32_16x16x16_bf16 a[4:7], v[38:39], v[0:1], a[4:7]
	v_accvgpr_read_b32 v0, a13
	v_fma_f32 v31, v31, v42, v0
	v_accvgpr_read_b32 v0, a14
	s_nop 2
	v_accvgpr_read_b32 v1, a8
	v_fma_f32 v2, v2, v42, v1
	v_accvgpr_read_b32 v1, a9
	v_fma_f32 v3, v3, v42, v1
	v_accvgpr_read_b32 v1, a10
	v_mfma_f32_16x16x16_bf16 a[16:19], v[38:39], v[36:37], a[20:23]
	v_fma_f32 v4, v4, v42, v1
	v_accvgpr_read_b32 v1, a11
	v_fmac_f32_e32 v1, v5, v42
	v_mfma_f32_16x16x16_bf16 a[0:3], v[38:39], v[34:35], a[0:3]
	v_accvgpr_read_b32 v5, a4
	v_fma_f32 v10, v10, v42, v5
	v_accvgpr_read_b32 v5, a5
	v_fma_f32 v11, v11, v42, v5
	;; [unrolled: 2-line block ×3, first 2 shown]
	v_accvgpr_read_b32 v5, a16
	v_accvgpr_read_b32 v9, a0
	v_fma_f32 v18, v18, v42, v5
	v_accvgpr_read_b32 v5, a17
	v_fma_f32 v26, v26, v42, v9
	;; [unrolled: 2-line block ×5, first 2 shown]
	v_accvgpr_read_b32 v0, a15
	v_accvgpr_read_b32 v25, a7
	v_fma_f32 v20, v20, v42, v5
	v_accvgpr_read_b32 v5, a19
	v_fma_f32 v28, v28, v42, v9
	v_accvgpr_read_b32 v9, a3
	v_fmac_f32_e32 v0, v33, v42
	v_fmac_f32_e32 v25, v13, v42
	;; [unrolled: 1-line block ×4, first 2 shown]
	v_mov_b32_e32 v29, v9
	v_mov_b32_e32 v33, v0
	;; [unrolled: 1-line block ×7, first 2 shown]
.LBB233_99:
	s_add_u32 s0, s10, s34
	s_addc_u32 s1, s11, s35
	v_lshl_add_u64 v[0:1], v[68:69], 2, s[0:1]
	v_mov_b32_e32 v67, 0
	v_lshl_add_u64 v[0:1], v[0:1], 0, v[66:67]
	s_waitcnt vmcnt(7)
	global_store_dwordx4 v[0:1], v[6:9], off
	s_waitcnt vmcnt(7)
	global_store_dwordx4 v[0:1], v[2:5], off offset:256
	v_lshl_add_u64 v[0:1], v[70:71], 2, s[0:1]
	v_lshl_add_u64 v[0:1], v[0:1], 0, v[66:67]
	s_waitcnt vmcnt(7)
	global_store_dwordx4 v[0:1], v[14:17], off
	s_waitcnt vmcnt(7)
	global_store_dwordx4 v[0:1], v[10:13], off offset:256
	v_lshl_add_u64 v[0:1], v[72:73], 2, s[0:1]
	;; [unrolled: 6-line block ×3, first 2 shown]
	v_lshl_add_u64 v[0:1], v[0:1], 0, v[66:67]
	s_waitcnt vmcnt(7)
	global_store_dwordx4 v[0:1], v[30:33], off
	s_waitcnt vmcnt(7)
	global_store_dwordx4 v[0:1], v[26:29], off offset:256
	s_endpgm
	.section	.rodata,"a",@progbits
	.p2align	6, 0x0
	.amdhsa_kernel _ZN12_GLOBAL__N_139chunk_gated_delta_rule_fwd_h_hip_kernelILi64ELb1ELb1ELb1ELb0ELb0ELb0ELb1ELb0EEEvPK12hip_bfloat16S3_S3_PKfS5_PKvPS1_S8_PvPKiSB_iiiiilll
		.amdhsa_group_segment_fixed_size 65536
		.amdhsa_private_segment_fixed_size 0
		.amdhsa_kernarg_size 136
		.amdhsa_user_sgpr_count 2
		.amdhsa_user_sgpr_dispatch_ptr 0
		.amdhsa_user_sgpr_queue_ptr 0
		.amdhsa_user_sgpr_kernarg_segment_ptr 1
		.amdhsa_user_sgpr_dispatch_id 0
		.amdhsa_user_sgpr_kernarg_preload_length 0
		.amdhsa_user_sgpr_kernarg_preload_offset 0
		.amdhsa_user_sgpr_private_segment_size 0
		.amdhsa_uses_dynamic_stack 0
		.amdhsa_enable_private_segment 0
		.amdhsa_system_sgpr_workgroup_id_x 1
		.amdhsa_system_sgpr_workgroup_id_y 1
		.amdhsa_system_sgpr_workgroup_id_z 0
		.amdhsa_system_sgpr_workgroup_info 0
		.amdhsa_system_vgpr_workitem_id 0
		.amdhsa_next_free_vgpr 228
		.amdhsa_next_free_sgpr 72
		.amdhsa_accum_offset 192
		.amdhsa_reserve_vcc 1
		.amdhsa_float_round_mode_32 0
		.amdhsa_float_round_mode_16_64 0
		.amdhsa_float_denorm_mode_32 3
		.amdhsa_float_denorm_mode_16_64 3
		.amdhsa_dx10_clamp 1
		.amdhsa_ieee_mode 1
		.amdhsa_fp16_overflow 0
		.amdhsa_tg_split 0
		.amdhsa_exception_fp_ieee_invalid_op 0
		.amdhsa_exception_fp_denorm_src 0
		.amdhsa_exception_fp_ieee_div_zero 0
		.amdhsa_exception_fp_ieee_overflow 0
		.amdhsa_exception_fp_ieee_underflow 0
		.amdhsa_exception_fp_ieee_inexact 0
		.amdhsa_exception_int_div_zero 0
	.end_amdhsa_kernel
	.section	.text._ZN12_GLOBAL__N_139chunk_gated_delta_rule_fwd_h_hip_kernelILi64ELb1ELb1ELb1ELb0ELb0ELb0ELb1ELb0EEEvPK12hip_bfloat16S3_S3_PKfS5_PKvPS1_S8_PvPKiSB_iiiiilll,"axG",@progbits,_ZN12_GLOBAL__N_139chunk_gated_delta_rule_fwd_h_hip_kernelILi64ELb1ELb1ELb1ELb0ELb0ELb0ELb1ELb0EEEvPK12hip_bfloat16S3_S3_PKfS5_PKvPS1_S8_PvPKiSB_iiiiilll,comdat
.Lfunc_end233:
	.size	_ZN12_GLOBAL__N_139chunk_gated_delta_rule_fwd_h_hip_kernelILi64ELb1ELb1ELb1ELb0ELb0ELb0ELb1ELb0EEEvPK12hip_bfloat16S3_S3_PKfS5_PKvPS1_S8_PvPKiSB_iiiiilll, .Lfunc_end233-_ZN12_GLOBAL__N_139chunk_gated_delta_rule_fwd_h_hip_kernelILi64ELb1ELb1ELb1ELb0ELb0ELb0ELb1ELb0EEEvPK12hip_bfloat16S3_S3_PKfS5_PKvPS1_S8_PvPKiSB_iiiiilll
                                        ; -- End function
	.section	.AMDGPU.csdata,"",@progbits
; Kernel info:
; codeLenInByte = 12652
; NumSgprs: 78
; NumVgprs: 190
; NumAgprs: 36
; TotalNumVgprs: 228
; ScratchSize: 0
; MemoryBound: 0
; FloatMode: 240
; IeeeMode: 1
; LDSByteSize: 65536 bytes/workgroup (compile time only)
; SGPRBlocks: 9
; VGPRBlocks: 28
; NumSGPRsForWavesPerEU: 78
; NumVGPRsForWavesPerEU: 228
; AccumOffset: 192
; Occupancy: 1
; WaveLimiterHint : 1
; COMPUTE_PGM_RSRC2:SCRATCH_EN: 0
; COMPUTE_PGM_RSRC2:USER_SGPR: 2
; COMPUTE_PGM_RSRC2:TRAP_HANDLER: 0
; COMPUTE_PGM_RSRC2:TGID_X_EN: 1
; COMPUTE_PGM_RSRC2:TGID_Y_EN: 1
; COMPUTE_PGM_RSRC2:TGID_Z_EN: 0
; COMPUTE_PGM_RSRC2:TIDIG_COMP_CNT: 0
; COMPUTE_PGM_RSRC3_GFX90A:ACCUM_OFFSET: 47
; COMPUTE_PGM_RSRC3_GFX90A:TG_SPLIT: 0
	.section	.text._ZN12_GLOBAL__N_139chunk_gated_delta_rule_fwd_h_hip_kernelILi64ELb1ELb1ELb0ELb0ELb0ELb0ELb1ELb0EEEvPK12hip_bfloat16S3_S3_PKfS5_PKvPS1_S8_PvPKiSB_iiiiilll,"axG",@progbits,_ZN12_GLOBAL__N_139chunk_gated_delta_rule_fwd_h_hip_kernelILi64ELb1ELb1ELb0ELb0ELb0ELb0ELb1ELb0EEEvPK12hip_bfloat16S3_S3_PKfS5_PKvPS1_S8_PvPKiSB_iiiiilll,comdat
	.globl	_ZN12_GLOBAL__N_139chunk_gated_delta_rule_fwd_h_hip_kernelILi64ELb1ELb1ELb0ELb0ELb0ELb0ELb1ELb0EEEvPK12hip_bfloat16S3_S3_PKfS5_PKvPS1_S8_PvPKiSB_iiiiilll ; -- Begin function _ZN12_GLOBAL__N_139chunk_gated_delta_rule_fwd_h_hip_kernelILi64ELb1ELb1ELb0ELb0ELb0ELb0ELb1ELb0EEEvPK12hip_bfloat16S3_S3_PKfS5_PKvPS1_S8_PvPKiSB_iiiiilll
	.p2align	8
	.type	_ZN12_GLOBAL__N_139chunk_gated_delta_rule_fwd_h_hip_kernelILi64ELb1ELb1ELb0ELb0ELb0ELb0ELb1ELb0EEEvPK12hip_bfloat16S3_S3_PKfS5_PKvPS1_S8_PvPKiSB_iiiiilll,@function
_ZN12_GLOBAL__N_139chunk_gated_delta_rule_fwd_h_hip_kernelILi64ELb1ELb1ELb0ELb0ELb0ELb0ELb1ELb0EEEvPK12hip_bfloat16S3_S3_PKfS5_PKvPS1_S8_PvPKiSB_iiiiilll: ; @_ZN12_GLOBAL__N_139chunk_gated_delta_rule_fwd_h_hip_kernelILi64ELb1ELb1ELb0ELb0ELb0ELb0ELb1ELb0EEEvPK12hip_bfloat16S3_S3_PKfS5_PKvPS1_S8_PvPKiSB_iiiiilll
; %bb.0:
	s_load_dwordx4 s[12:15], s[0:1], 0x5c
	s_load_dwordx4 s[20:23], s[0:1], 0x70
	s_abs_i32 s6, s3
	s_ashr_i32 s5, s3, 31
	s_load_dwordx4 s[16:19], s[0:1], 0x28
	s_waitcnt lgkmcnt(0)
	s_abs_i32 s4, s13
	v_cvt_f32_u32_e32 v1, s4
	s_sub_i32 s8, 0, s4
	s_ashr_i32 s7, s13, 31
	s_xor_b32 s5, s5, s7
	v_rcp_iflag_f32_e32 v1, v1
	v_and_b32_e32 v86, 15, v0
	v_bfe_u32 v85, v0, 4, 2
	v_mov_b32_e32 v67, 0
	v_mul_f32_e32 v1, 0x4f7ffffe, v1
	v_cvt_u32_f32_e32 v1, v1
	v_lshlrev_b32_e32 v87, 3, v0
	v_readfirstlane_b32 s9, v1
	s_mul_i32 s8, s8, s9
	s_mul_hi_u32 s8, s9, s8
	s_add_i32 s9, s9, s8
	s_mul_hi_u32 s8, s6, s9
	s_mul_i32 s9, s8, s4
	s_sub_i32 s6, s6, s9
	s_add_i32 s10, s8, 1
	s_sub_i32 s9, s6, s4
	s_cmp_ge_u32 s6, s4
	s_cselect_b32 s8, s10, s8
	s_cselect_b32 s6, s9, s6
	s_add_i32 s9, s8, 1
	s_cmp_ge_u32 s6, s4
	s_cselect_b32 s6, s9, s8
	s_xor_b32 s6, s6, s5
	s_add_i32 s8, s12, 63
	s_sub_i32 s53, s6, s5
	s_ashr_i32 s9, s8, 31
	s_mul_i32 s5, s53, s13
	s_sub_i32 s50, s3, s5
	s_lshr_b32 s3, s9, 26
	s_add_i32 s8, s8, s3
	s_abs_i32 s3, s14
	v_cvt_f32_u32_e32 v1, s3
	s_ashr_i32 s52, s12, 31
	s_lshr_b32 s6, s52, 26
	s_add_i32 s6, s12, s6
	v_rcp_iflag_f32_e32 v1, v1
	s_ashr_i32 s55, s14, 31
	s_ashr_i32 s24, s8, 6
	s_ashr_i32 s54, s6, 6
	v_mul_f32_e32 v1, 0x4f7ffffe, v1
	v_cvt_u32_f32_e32 v1, v1
	s_xor_b32 s6, s7, s55
	s_sub_i32 s7, 0, s3
	s_lshl_b32 s2, s2, 6
	v_readfirstlane_b32 s8, v1
	s_mul_i32 s7, s7, s8
	s_mul_hi_u32 s7, s8, s7
	s_add_i32 s8, s8, s7
	s_mul_hi_u32 s7, s4, s8
	s_mul_i32 s8, s7, s3
	s_sub_i32 s4, s4, s8
	s_add_i32 s8, s7, 1
	s_sub_i32 s9, s4, s3
	s_cmp_ge_u32 s4, s3
	s_cselect_b32 s7, s8, s7
	s_cselect_b32 s4, s9, s4
	s_add_i32 s8, s7, 1
	s_cmp_ge_u32 s4, s3
	s_cselect_b32 s3, s8, s7
	s_xor_b32 s3, s3, s6
	s_sub_i32 s3, s3, s6
	s_abs_i32 s4, s3
	v_cvt_f32_u32_e32 v1, s4
	s_sub_i32 s7, 0, s4
	s_abs_i32 s6, s50
	s_xor_b32 s3, s50, s3
	v_rcp_iflag_f32_e32 v2, v1
	s_ashr_i32 s3, s3, 31
	v_lshrrev_b32_e32 v1, 6, v0
	v_or_b32_e32 v76, s2, v86
	v_mul_f32_e32 v2, 0x4f7ffffe, v2
	v_cvt_u32_f32_e32 v2, v2
	v_lshlrev_b32_e32 v84, 4, v1
	v_lshlrev_b32_e32 v68, 7, v76
	v_lshl_or_b32 v89, v85, 2, v84
	v_readfirstlane_b32 s8, v2
	s_mul_i32 s7, s7, s8
	s_mul_hi_u32 s7, s8, s7
	s_add_i32 s8, s8, s7
	s_mul_hi_u32 s7, s6, s8
	s_mul_i32 s8, s7, s4
	s_sub_i32 s6, s6, s8
	s_add_i32 s8, s7, 1
	s_sub_i32 s9, s6, s4
	s_cmp_ge_u32 s6, s4
	s_cselect_b32 s7, s8, s7
	s_cselect_b32 s6, s9, s6
	s_add_i32 s8, s7, 1
	s_cmp_ge_u32 s6, s4
	s_cselect_b32 s4, s8, s7
	s_xor_b32 s4, s4, s3
	s_sub_i32 s56, s4, s3
	s_ashr_i32 s3, s53, 31
	s_ashr_i32 s51, s50, 31
	s_mul_hi_i32 s4, s53, s13
	s_add_u32 s40, s5, s50
	s_addc_u32 s41, s4, s51
	s_lshl_b64 s[28:29], s[40:41], 16
	s_add_u32 s4, s16, s28
	s_addc_u32 s5, s17, s29
	v_ashrrev_i32_e32 v69, 31, v68
	v_lshl_add_u64 v[2:3], v[68:69], 2, s[4:5]
	v_lshlrev_b32_e32 v66, 2, v89
	v_or_b32_e32 v70, 0x800, v68
	v_lshl_add_u64 v[10:11], v[2:3], 0, v[66:67]
	v_ashrrev_i32_e32 v71, 31, v70
	global_load_dwordx4 v[6:9], v[10:11], off
	global_load_dwordx4 v[2:5], v[10:11], off offset:256
	v_lshl_add_u64 v[10:11], v[70:71], 2, s[4:5]
	v_or_b32_e32 v72, 0x1000, v68
	v_lshl_add_u64 v[18:19], v[10:11], 0, v[66:67]
	v_ashrrev_i32_e32 v73, 31, v72
	global_load_dwordx4 v[14:17], v[18:19], off
	global_load_dwordx4 v[10:13], v[18:19], off offset:256
	v_lshl_add_u64 v[18:19], v[72:73], 2, s[4:5]
	v_or_b32_e32 v74, 0x1800, v68
	v_lshl_add_u64 v[26:27], v[18:19], 0, v[66:67]
	v_ashrrev_i32_e32 v75, 31, v74
	global_load_dwordx4 v[22:25], v[26:27], off
	global_load_dwordx4 v[18:21], v[26:27], off offset:256
	v_lshl_add_u64 v[26:27], v[74:75], 2, s[4:5]
	v_lshl_add_u64 v[34:35], v[26:27], 0, v[66:67]
	global_load_dwordx4 v[30:33], v[34:35], off
	global_load_dwordx4 v[26:29], v[34:35], off offset:256
	s_load_dwordx2 s[30:31], s[0:1], 0x40
	s_load_dwordx8 s[4:11], s[0:1], 0x0
	s_load_dwordx2 s[34:35], s[0:1], 0x80
	v_and_b32_e32 v67, 63, v0
	s_mul_i32 s57, s53, s24
	v_or_b32_e32 v90, 64, v89
	s_cmp_lt_i32 s12, 64
	v_lshrrev_b32_e32 v88, 3, v67
	s_mul_i32 s58, s41, s12
	s_mul_hi_u32 s59, s40, s12
	s_mul_i32 s16, s40, s12
	s_mul_i32 s33, s53, s21
	s_mul_hi_u32 s46, s53, s20
	s_mul_i32 s41, s3, s20
	s_mul_i32 s38, s53, s20
	s_mul_i32 s47, s50, s23
	s_mul_hi_u32 s48, s50, s22
	s_mul_i32 s49, s51, s22
	s_mul_i32 s36, s50, s22
	s_cbranch_scc1 .LBB234_18
; %bb.1:
	s_add_i32 s17, s59, s58
	s_lshl_b64 s[0:1], s[16:17], 8
	v_and_b32_e32 v92, 56, v87
	s_waitcnt lgkmcnt(0)
	s_add_u32 s20, s6, s0
	v_lshl_or_b32 v91, v1, 3, v88
	v_lshlrev_b32_e32 v34, 1, v92
	s_addc_u32 s0, s7, s1
	v_lshl_or_b32 v93, v91, 8, v34
	s_and_b32 s21, s0, 0xffff
	s_mov_b32 s23, 0x20000
	s_movk_i32 s22, 0x4000
	s_movk_i32 s0, 0x80
	v_or_b32_e32 v94, 0x2000, v93
	buffer_load_dwordx4 v[36:39], v93, s[20:23], 0 offen
	buffer_load_dwordx4 v[40:43], v93, s[20:23], s0 offen
	;; [unrolled: 1-line block ×4, first 2 shown]
	v_lshlrev_b32_e32 v35, 3, v91
	v_and_or_b32 v53, v0, 7, v35
	v_and_b32_e32 v35, 0x78, v35
	v_lshlrev_b32_e32 v53, 4, v53
	v_xor_b32_e32 v95, v53, v35
	v_mul_lo_u32 v52, v91, s15
	v_or_b32_e32 v96, 0x1000, v95
	v_xor_b32_e32 v35, 8, v95
	s_cmpk_eq_i32 s15, 0x80
	s_mov_b32 s60, s14
	v_xor_b32_e32 v53, 8, v96
	s_cselect_b64 s[0:1], -1, 0
	s_cmpk_lg_i32 s15, 0x80
	s_waitcnt vmcnt(3)
	ds_write_b64 v95, v[36:37] offset:49152
	ds_write_b64 v35, v[38:39] offset:49152
	s_waitcnt vmcnt(2)
	ds_write_b64 v95, v[40:41] offset:57344
	ds_write_b64 v35, v[42:43] offset:57344
	;; [unrolled: 3-line block ×4, first 2 shown]
	v_lshl_add_u32 v35, v52, 1, v92
	s_cbranch_scc0 .LBB234_3
; %bb.2:
	v_lshlrev_b32_e32 v37, 1, v35
	v_add_lshl_u32 v36, v35, s15, 1
	s_lshl_b32 s22, s15, 7
	v_lshl_or_b32 v34, v91, 9, v34
	s_cbranch_execz .LBB234_4
	s_branch .LBB234_5
.LBB234_3:
                                        ; implicit-def: $vgpr36
                                        ; implicit-def: $vgpr37
                                        ; implicit-def: $sgpr22
	v_lshl_or_b32 v34, v91, 9, v34
.LBB234_4:
	v_or_b32_e32 v36, 0x100, v34
	s_movk_i32 s22, 0x4000
	v_mov_b32_e32 v37, v34
.LBB234_5:
	s_mul_hi_u32 s20, s14, s12
	s_mul_i32 s21, s55, s12
	s_add_i32 s20, s20, s21
	s_mul_i32 s21, s14, s12
	s_mul_i32 s23, s21, s3
	s_mul_hi_u32 s24, s21, s53
	s_add_i32 s23, s24, s23
	s_mul_i32 s20, s20, s53
	s_add_i32 s23, s23, s20
	s_mul_i32 s21, s21, s53
	s_ashr_i32 s61, s56, 31
	s_add_u32 s20, s21, s56
	s_addc_u32 s21, s23, s61
	s_lshl_b64 s[20:21], s[20:21], 8
	s_add_u32 s20, s4, s20
	s_addc_u32 s21, s5, s21
	s_and_b32 s21, s21, 0xffff
	s_mov_b32 s23, 0x20000
	s_movk_i32 s62, 0x80
	buffer_load_dwordx4 v[38:41], v37, s[20:23], 0 offen
	buffer_load_dwordx4 v[42:45], v37, s[20:23], s62 offen
	;; [unrolled: 1-line block ×4, first 2 shown]
	v_and_b32_e32 v37, 6, v0
	v_lshlrev_b32_e32 v36, 7, v89
	v_xor_b32_e32 v58, v91, v37
	v_and_b32_e32 v54, 1, v0
	v_lshl_or_b32 v61, v86, 3, v36
	v_lshlrev_b32_e32 v58, 2, v58
	v_or_b32_e32 v97, 0x4000, v61
	v_or_b32_e32 v98, 0x6000, v61
	v_xor_b32_e32 v61, 0x440, v58
	v_cmp_eq_u32_e32 vcc, 0, v54
	v_lshlrev_b32_e32 v55, 2, v86
	s_mov_b32 s64, 0x1000504
	v_cndmask_b32_e32 v54, v61, v58, vcc
	v_xor_b32_e32 v59, v89, v55
	v_xor_b32_e32 v60, v90, v55
	v_lshl_or_b32 v37, v37, 10, v54
	s_mov_b32 s65, 0x3020706
	v_lshlrev_b32_e32 v56, 8, v86
	v_or_b32_e32 v57, 16, v86
	v_lshlrev_b32_e32 v59, 1, v59
	v_lshlrev_b32_e32 v60, 1, v60
	v_xor_b32_e32 v54, 8, v37
	v_xor_b32_e32 v58, 24, v37
	;; [unrolled: 1-line block ×4, first 2 shown]
	s_mul_i32 s3, s3, s12
	s_mul_hi_u32 s20, s53, s12
	v_or_b32_e32 v100, v56, v59
	v_or_b32_e32 v101, v56, v60
	v_xor_b32_e32 v56, 16, v37
	v_xor_b32_e32 v61, 32, v37
	;; [unrolled: 1-line block ×3, first 2 shown]
	v_add_u32_e32 v54, 0x80, v54
	v_add_u32_e32 v58, 0x80, v58
	;; [unrolled: 1-line block ×4, first 2 shown]
	s_add_i32 s67, s20, s3
	s_add_i32 s3, s46, s33
	;; [unrolled: 1-line block ×5, first 2 shown]
	s_lshl_b64 s[20:21], s[38:39], 2
	s_add_u32 s3, s10, s20
	s_addc_u32 s24, s11, s21
	s_lshl_b64 s[20:21], s[36:37], 2
	s_add_u32 s42, s3, s20
	s_movk_i32 s3, 0xf8
	s_addc_u32 s43, s24, s21
	s_lshl_b32 s26, s15, 7
	s_movk_i32 s24, 0x100
	v_mov_b32_e32 v79, 0
	v_cmp_gt_u32_e32 vcc, s24, v0
	v_lshl_or_b32 v62, v57, 3, v36
	s_mov_b32 s63, 0
	s_mul_i32 s66, s53, s12
	v_or_b32_e32 v99, 0x4000, v62
	s_movk_i32 s22, 0x4000
	v_or_b32_e32 v102, 0x6000, v62
	s_movk_i32 s37, 0x2000
	s_movk_i32 s39, 0x3000
	v_mov_b32_e32 v140, 0x3fb8aa3b
	s_mov_b32 s69, 0
	s_waitcnt vmcnt(1)
	v_perm_b32 v77, v38, v46, s64
	s_waitcnt vmcnt(0)
	v_perm_b32 v78, v42, v50, s64
	v_perm_b32 v38, v38, v46, s65
	v_perm_b32 v42, v42, v50, s65
	v_perm_b32 v46, v39, v47, s64
	v_perm_b32 v50, v43, v51, s64
	v_perm_b32 v39, v39, v47, s65
	v_perm_b32 v43, v43, v51, s65
	v_perm_b32 v47, v40, v48, s64
	v_perm_b32 v51, v44, v52, s64
	v_perm_b32 v40, v40, v48, s65
	v_perm_b32 v44, v44, v52, s65
	v_perm_b32 v48, v41, v49, s64
	v_perm_b32 v52, v45, v53, s64
	v_perm_b32 v41, v41, v49, s65
	v_perm_b32 v45, v45, v53, s65
	ds_write2st64_b32 v37, v77, v78 offset0:128 offset1:160
	ds_write2st64_b32 v54, v38, v42 offset0:128 offset1:160
	;; [unrolled: 1-line block ×8, first 2 shown]
	v_lshlrev_b32_e32 v37, 8, v57
	v_or_b32_e32 v103, v37, v59
	v_or_b32_e32 v104, v37, v60
	;; [unrolled: 1-line block ×3, first 2 shown]
	v_lshl_or_b32 v38, v37, 3, v36
	v_lshlrev_b32_e32 v37, 8, v37
	v_or_b32_e32 v107, v37, v59
	v_or_b32_e32 v108, v37, v60
	;; [unrolled: 1-line block ×5, first 2 shown]
	v_lshl_or_b32 v38, v37, 3, v36
	v_lshlrev_b32_e32 v37, 8, v37
	v_or_b32_e32 v111, v37, v59
	v_or_b32_e32 v112, v37, v60
	;; [unrolled: 1-line block ×3, first 2 shown]
	v_lshlrev_b32_e32 v37, 3, v37
	v_lshrrev_b32_e32 v39, 5, v67
	v_and_or_b32 v39, v37, s3, v39
	v_lshlrev_b32_e32 v39, 4, v39
	v_lshlrev_b32_e32 v40, 11, v1
	v_and_b32_e32 v37, 0x78, v37
	v_or_b32_e32 v45, 32, v39
	v_or_b32_e32 v109, 0x4000, v38
	;; [unrolled: 1-line block ×3, first 2 shown]
	v_and_b32_e32 v38, 0x1000, v40
	v_xor_b32_e32 v41, v39, v37
	v_lshrrev_b32_e32 v42, 1, v0
	v_xor_b32_e32 v45, v45, v37
	v_or_b32_e32 v41, v41, v38
	v_and_b32_e32 v43, 8, v42
	v_or_b32_e32 v45, v45, v38
	v_xor_b32_e32 v113, v41, v43
	v_lshlrev_b32_e32 v41, 8, v85
	v_xor_b32_e32 v115, v45, v43
	v_or_b32_e32 v45, 64, v39
	v_or_b32_e32 v39, 0x60, v39
	s_ashr_i32 s3, s2, 31
	v_or_b32_e32 v44, v41, v55
	v_xor_b32_e32 v45, v45, v37
	v_xor_b32_e32 v37, v39, v37
	s_lshl_b64 s[20:21], s[2:3], 8
	v_lshlrev_b32_e32 v44, 1, v44
	v_or_b32_e32 v45, v45, v38
	v_or_b32_e32 v37, v37, v38
	s_add_u32 s20, s18, s20
	v_lshlrev_b32_e32 v38, 1, v86
	v_or_b32_e32 v114, 0x4000, v44
	v_or_b32_e32 v116, 0x4080, v44
	;; [unrolled: 1-line block ×8, first 2 shown]
	v_lshrrev_b32_e32 v44, 4, v0
	s_addc_u32 s21, s19, s21
	v_or_b32_e32 v39, 1, v38
	v_lshlrev_b32_e32 v78, 4, v86
	v_mov_b32_e32 v48, 0xa000
	v_mov_b32_e32 v49, 0x8000
	v_xor_b32_e32 v119, v45, v43
	v_xor_b32_e32 v45, v44, v38
	;; [unrolled: 1-line block ×3, first 2 shown]
	v_lshl_add_u64 v[38:39], s[20:21], 0, v[78:79]
	v_lshlrev_b32_e32 v78, 8, v44
	v_cndmask_b32_e32 v48, v48, v49, vcc
	v_lshlrev_b32_e32 v49, 3, v1
	v_and_b32_e32 v42, 24, v42
	v_lshl_or_b32 v125, v45, 3, v78
	v_and_b32_e32 v45, 8, v0
	v_xor_b32_e32 v50, v49, v42
	v_or_b32_e32 v51, 0x440, v50
	v_cmp_eq_u32_e32 vcc, 0, v45
	v_and_b32_e32 v44, 7, v0
	v_lshl_or_b32 v126, v46, 3, v78
	v_cndmask_b32_e32 v45, v51, v50, vcc
	v_lshlrev_b32_e32 v46, 3, v44
	v_lshlrev_b32_e32 v44, 7, v44
	v_or_b32_e32 v45, v45, v40
	v_lshlrev_b32_e32 v47, 2, v0
	v_xad_u32 v127, v45, v46, v44
	v_or_b32_e32 v45, 32, v42
	v_and_or_b32 v41, v47, 60, v41
	v_xor_b32_e32 v45, v49, v45
	v_lshlrev_b32_e32 v41, 1, v41
	v_or_b32_e32 v47, 0x440, v45
	v_or_b32_e32 v128, 0x6000, v41
	v_cndmask_b32_e32 v45, v47, v45, vcc
	v_or_b32_e32 v130, 0x6080, v41
	v_or_b32_e32 v131, 0x6100, v41
	;; [unrolled: 1-line block ×5, first 2 shown]
	v_xor_b32_e32 v41, v49, v41
	v_xad_u32 v129, v45, v46, v44
	v_xor_b32_e32 v45, 0x440, v41
	v_cndmask_b32_e32 v41, v45, v41, vcc
	v_or_b32_e32 v41, v41, v40
	v_xad_u32 v133, v41, v46, v44
	v_or_b32_e32 v41, 0x60, v42
	v_xor_b32_e32 v41, v49, v41
	v_xor_b32_e32 v42, 0x440, v41
	v_cndmask_b32_e32 v41, v42, v41, vcc
	v_or_b32_e32 v40, v41, v40
	v_xor_b32_e32 v120, v37, v43
	v_ashrrev_i32_e32 v77, 31, v76
	v_lshlrev_b32_e32 v37, 1, v35
	v_add_lshl_u32 v35, v35, s15, 1
	v_or_b32_e32 v43, 0x100, v34
	v_xad_u32 v134, v40, v46, v44
	v_cndmask_b32_e64 v135, v37, v34, s[0:1]
	v_cndmask_b32_e64 v136, v35, v43, s[0:1]
	v_lshl_add_u64 v[80:81], v[76:77], 1, s[8:9]
	v_lshl_add_u64 v[82:83], v[38:39], 0, v[78:79]
	s_mov_b32 s3, 0x7060302
	v_lshlrev_b32_e32 v78, 1, v36
	v_add_u32_e32 v77, v48, v127
	v_add_u32_e32 v137, v48, v129
	;; [unrolled: 1-line block ×4, first 2 shown]
	s_waitcnt lgkmcnt(0)
	s_barrier
.LBB234_6:                              ; =>This Inner Loop Header: Depth=1
	s_add_i32 s68, s69, 1
	s_cmp_lt_i32 s68, s54
	s_mov_b64 s[24:25], 0
	s_cselect_b64 s[44:45], -1, 0
	s_cmp_ge_i32 s68, s54
	s_mov_b64 s[20:21], 0
	s_cbranch_scc1 .LBB234_8
; %bb.7:                                ;   in Loop: Header=BB234_6 Depth=1
	s_add_i32 s0, s63, 64
	s_add_u32 s0, s16, s0
	s_addc_u32 s1, s17, 0
	s_lshl_b64 s[0:1], s[0:1], 8
	s_add_u32 s20, s6, s0
	s_addc_u32 s21, s7, s1
.LBB234_8:                              ;   in Loop: Header=BB234_6 Depth=1
	v_cndmask_b32_e64 v34, 0, 1, s[44:45]
	v_cmp_ne_u32_e64 s[0:1], 1, v34
	s_andn2_b64 vcc, exec, s[44:45]
	s_cbranch_vccnz .LBB234_10
; %bb.9:                                ;   in Loop: Header=BB234_6 Depth=1
	s_add_i32 s24, s63, 64
	s_add_u32 s24, s66, s24
	s_addc_u32 s25, s67, 0
	s_mul_i32 s27, s24, s55
	s_mul_hi_u32 s44, s24, s60
	s_add_i32 s27, s44, s27
	s_mul_i32 s25, s25, s60
	s_add_i32 s27, s27, s25
	s_mul_i32 s24, s24, s60
	s_add_u32 s24, s24, s56
	s_addc_u32 s25, s27, s61
	s_lshl_b64 s[24:25], s[24:25], 8
	s_add_u32 s24, s4, s24
	s_addc_u32 s25, s5, s25
.LBB234_10:                             ;   in Loop: Header=BB234_6 Depth=1
	v_perm_b32 v35, v9, v8, s3
	v_perm_b32 v34, v7, v6, s3
	v_perm_b32 v37, v5, v4, s3
	v_perm_b32 v36, v3, v2, s3
	ds_write_b64 v97, v[34:35]
	ds_write_b64 v98, v[36:37]
	ds_write_b64 v100, v[34:35]
	ds_write_b64 v101, v[36:37]
	v_perm_b32 v35, v17, v16, s3
	v_perm_b32 v34, v15, v14, s3
	v_perm_b32 v37, v13, v12, s3
	v_perm_b32 v36, v11, v10, s3
	ds_write_b64 v99, v[34:35]
	ds_write_b64 v102, v[36:37]
	ds_write_b64 v103, v[34:35]
	ds_write_b64 v104, v[36:37]
	;; [unrolled: 8-line block ×4, first 2 shown]
	s_waitcnt lgkmcnt(0)
	s_barrier
	ds_read_b64 v[38:39], v113 offset:49152
	ds_read2_b64 v[34:37], v114 offset1:16
	ds_read_b64 v[50:51], v116 offset:6144
	ds_read_b64 v[52:53], v114 offset:6144
	s_waitcnt lgkmcnt(2)
	v_mfma_f32_16x16x16_bf16 a[0:3], v[38:39], v[34:35], 0
	ds_read_b64 v[54:55], v115 offset:49152
	ds_read2st64_b64 v[42:45], v117 offset0:4 offset1:8
	ds_read2st64_b64 v[46:49], v118 offset0:4 offset1:8
	v_mfma_f32_16x16x16_bf16 a[4:7], v[38:39], v[36:37], 0
	ds_read2_b64 v[34:37], v114 offset0:32 offset1:48
	s_add_i32 s27, s63, 63
	s_mul_i32 s44, s27, s35
	s_waitcnt lgkmcnt(0)
	v_mfma_f32_16x16x16_bf16 a[8:11], v[38:39], v[34:35], 0
	s_mul_hi_u32 s45, s27, s34
	s_add_i32 s45, s45, s44
	s_mul_i32 s44, s27, s34
	v_mfma_f32_16x16x16_bf16 a[12:15], v[38:39], v[36:37], 0
	ds_read2st64_b64 v[34:37], v114 offset0:4 offset1:8
	ds_read2st64_b64 v[38:41], v116 offset0:4 offset1:8
	s_lshl_b64 s[44:45], s[44:45], 2
	s_waitcnt lgkmcnt(1)
	v_mfma_f32_16x16x16_bf16 a[0:3], v[54:55], v[34:35], a[0:3]
	s_add_u32 s44, s42, s44
	s_addc_u32 s45, s43, s45
	s_and_b64 vcc, exec, s[0:1]
	s_waitcnt lgkmcnt(0)
	v_mfma_f32_16x16x16_bf16 a[4:7], v[54:55], v[38:39], a[4:7]
	v_mov_b32_e32 v143, 0
	v_mov_b32_e32 v142, 0
	;; [unrolled: 1-line block ×3, first 2 shown]
	v_mfma_f32_16x16x16_bf16 a[8:11], v[54:55], v[42:43], a[8:11]
	ds_read_b64 v[34:35], v119 offset:49152
	ds_read_b64 v[38:39], v120 offset:49152
	;; [unrolled: 1-line block ×3, first 2 shown]
	v_mfma_f32_16x16x16_bf16 a[12:15], v[54:55], v[46:47], a[12:15]
	v_mov_b32_e32 v46, 0
	v_mov_b32_e32 v47, 0
	s_waitcnt lgkmcnt(2)
	v_mfma_f32_16x16x16_bf16 a[0:3], v[34:35], v[36:37], a[0:3]
	v_mov_b32_e32 v36, 0
	v_mov_b32_e32 v37, 0
	v_mfma_f32_16x16x16_bf16 a[16:19], v[34:35], v[40:41], a[4:7]
	v_mov_b32_e32 v40, 0
	v_mov_b32_e32 v41, 0
	;; [unrolled: 3-line block ×3, first 2 shown]
	v_mfma_f32_16x16x16_bf16 a[24:27], v[34:35], v[48:49], a[12:15]
	ds_read_b64 v[34:35], v117 offset:6144
	v_mov_b32_e32 v48, 0
	v_mov_b32_e32 v49, 0
	s_waitcnt lgkmcnt(2)
	v_mfma_f32_16x16x16_bf16 a[4:7], v[38:39], v[52:53], a[0:3]
	v_mfma_f32_16x16x16_bf16 a[8:11], v[38:39], v[50:51], a[16:19]
	s_waitcnt lgkmcnt(0)
	v_mfma_f32_16x16x16_bf16 a[12:15], v[38:39], v[34:35], a[20:23]
	v_mov_b32_e32 v34, 0
	v_mov_b32_e32 v35, 0
	v_mfma_f32_16x16x16_bf16 a[0:3], v[38:39], v[42:43], a[24:27]
	v_mov_b32_e32 v38, 0
	v_mov_b32_e32 v39, 0
	;; [unrolled: 1-line block ×4, first 2 shown]
	s_cbranch_vccnz .LBB234_12
; %bb.11:                               ;   in Loop: Header=BB234_6 Depth=1
	s_and_b32 s21, s21, 0xffff
	buffer_load_dwordx4 v[46:49], v93, s[20:23], 0 offen
	buffer_load_dwordx4 v[42:45], v93, s[20:23], s62 offen
	;; [unrolled: 1-line block ×4, first 2 shown]
	v_mov_b32_e32 v142, v95
	v_mov_b32_e32 v141, v96
.LBB234_12:                             ;   in Loop: Header=BB234_6 Depth=1
	ds_read_b64 v[144:145], v113 offset:57344
	ds_read2_b64 v[50:53], v121 offset1:16
	ds_read_b64 v[146:147], v115 offset:57344
	ds_read_b64 v[148:149], v119 offset:57344
	;; [unrolled: 1-line block ×3, first 2 shown]
	v_add_u32_e32 v152, s63, v89
	s_waitcnt lgkmcnt(3)
	v_mfma_f32_16x16x16_bf16 a[4:7], v[144:145], v[50:51], a[4:7]
	v_mfma_f32_16x16x16_bf16 a[8:11], v[144:145], v[52:53], a[8:11]
	ds_read2_b64 v[50:53], v121 offset0:32 offset1:48
	ds_read2st64_b64 v[54:57], v121 offset0:4 offset1:8
	ds_read2st64_b64 v[58:61], v122 offset0:4 offset1:8
	;; [unrolled: 1-line block ×3, first 2 shown]
	s_waitcnt lgkmcnt(3)
	v_mfma_f32_16x16x16_bf16 a[12:15], v[144:145], v[50:51], a[12:15]
	v_ashrrev_i32_e32 v50, 31, v152
	v_mfma_f32_16x16x16_bf16 a[0:3], v[144:145], v[52:53], a[0:3]
	v_mul_lo_u32 v52, v50, s34
	v_mul_lo_u32 v53, v152, s35
	v_mad_u64_u32 v[50:51], s[20:21], v152, s34, 0
	v_add3_u32 v51, v51, v53, v52
	v_add_u32_e32 v52, 1, v152
	v_ashrrev_i32_e32 v53, 31, v52
	s_waitcnt lgkmcnt(2)
	v_mfma_f32_16x16x16_bf16 a[4:7], v[146:147], v[54:55], a[4:7]
	v_mul_lo_u32 v54, v53, s34
	v_mul_lo_u32 v55, v52, s35
	v_mad_u64_u32 v[52:53], s[20:21], v52, s34, 0
	v_add3_u32 v53, v53, v55, v54
	v_add_u32_e32 v54, 2, v152
	v_ashrrev_i32_e32 v55, 31, v54
	s_waitcnt lgkmcnt(1)
	v_mfma_f32_16x16x16_bf16 a[8:11], v[146:147], v[58:59], a[8:11]
	v_mul_lo_u32 v58, v55, s34
	v_mul_lo_u32 v59, v54, s35
	v_mad_u64_u32 v[54:55], s[20:21], v54, s34, 0
	v_lshl_add_u64 v[50:51], v[50:51], 2, s[42:43]
	v_add3_u32 v55, v55, v59, v58
	v_add_u32_e32 v58, 3, v152
	v_ashrrev_i32_e32 v59, 31, v58
	global_load_dword v145, v[50:51], off
	v_mad_u64_u32 v[50:51], s[20:21], v58, s34, 0
	v_mul_lo_u32 v59, v59, s34
	v_mul_lo_u32 v144, v58, s35
	s_add_u32 s20, s16, s63
	v_add3_u32 v51, v51, v144, v59
	s_addc_u32 s21, s17, 0
	v_lshl_add_u64 v[52:53], v[52:53], 2, s[42:43]
	v_lshl_add_u64 v[54:55], v[54:55], 2, s[42:43]
	;; [unrolled: 1-line block ×3, first 2 shown]
	s_lshl_b64 s[20:21], s[20:21], 8
	global_load_dword v144, v[52:53], off
	global_load_dword v152, v[54:55], off
	;; [unrolled: 1-line block ×3, first 2 shown]
	v_lshl_add_u64 v[50:51], v[80:81], 0, s[20:21]
	v_lshl_add_u64 v[54:55], v[50:51], 0, v[78:79]
	global_load_ushort v154, v[54:55], off offset:256
	global_load_ushort v155, v[54:55], off
	ds_read2st64_b64 v[50:53], v124 offset0:4 offset1:8
	global_load_ushort v156, v[54:55], off offset:768
	global_load_ushort v157, v[54:55], off offset:512
	s_waitcnt lgkmcnt(1)
	v_mfma_f32_16x16x16_bf16 a[12:15], v[146:147], v[62:63], a[12:15]
	s_and_b64 vcc, exec, s[0:1]
	s_waitcnt vmcnt(3)
	v_lshlrev_b32_e32 v63, 16, v154
	s_waitcnt lgkmcnt(0)
	v_mfma_f32_16x16x16_bf16 a[0:3], v[146:147], v[50:51], a[0:3]
	global_load_ushort v146, v[54:55], off offset:288
	global_load_ushort v147, v[54:55], off offset:32
	global_load_ushort v158, v[54:55], off offset:800
	global_load_ushort v159, v[54:55], off offset:544
	global_load_ushort v160, v[54:55], off offset:320
	global_load_ushort v161, v[54:55], off offset:64
	global_load_ushort v162, v[54:55], off offset:832
	global_load_ushort v163, v[54:55], off offset:576
	v_mfma_f32_16x16x16_bf16 a[4:7], v[148:149], v[56:57], a[4:7]
	ds_read_b64 v[50:51], v121 offset:6144
	s_waitcnt vmcnt(10)
	v_lshlrev_b32_e32 v62, 16, v155
	v_mfma_f32_16x16x16_bf16 a[8:11], v[148:149], v[60:61], a[8:11]
	v_mfma_f32_16x16x16_bf16 a[12:15], v[148:149], v[64:65], a[12:15]
	;; [unrolled: 1-line block ×3, first 2 shown]
	global_load_ushort v148, v[54:55], off offset:352
	global_load_ushort v149, v[54:55], off offset:96
	ds_read_b64 v[52:53], v122 offset:6144
	ds_read_b64 v[56:57], v123 offset:6144
	;; [unrolled: 1-line block ×3, first 2 shown]
	global_load_ushort v164, v[54:55], off offset:864
	global_load_ushort v165, v[54:55], off offset:608
	s_load_dword s20, s[44:45], 0x0
	s_waitcnt lgkmcnt(0)
	v_mfma_f32_16x16x16_bf16 a[4:7], v[150:151], v[50:51], a[4:7]
	v_sub_f32_e32 v60, s20, v152
	v_mfma_f32_16x16x16_bf16 a[0:3], v[150:151], v[58:59], a[0:3]
	v_sub_f32_e32 v58, s20, v145
	v_sub_f32_e32 v59, s20, v144
	;; [unrolled: 1-line block ×3, first 2 shown]
	v_mul_f32_e32 v58, 0x3fb8aa3b, v58
	v_mul_f32_e32 v59, 0x3fb8aa3b, v59
	;; [unrolled: 1-line block ×4, first 2 shown]
	v_mfma_f32_16x16x16_bf16 a[8:11], v[150:151], v[52:53], a[8:11]
	v_exp_f32_e32 v58, v58
	v_exp_f32_e32 v59, v59
	v_exp_f32_e32 v60, v60
	v_exp_f32_e32 v61, v61
	v_accvgpr_read_b32 v65, a5
	v_accvgpr_read_b32 v64, a4
	;; [unrolled: 1-line block ×4, first 2 shown]
	v_pk_add_f32 v[62:63], v[62:63], v[64:65] neg_lo:[0,1] neg_hi:[0,1]
	s_waitcnt vmcnt(13)
	v_lshlrev_b32_e32 v65, 16, v156
	s_waitcnt vmcnt(12)
	v_lshlrev_b32_e32 v64, 16, v157
	v_pk_add_f32 v[50:51], v[64:65], v[50:51] neg_lo:[0,1] neg_hi:[0,1]
	v_pk_mul_f32 v[62:63], v[58:59], v[62:63]
	v_pk_mul_f32 v[50:51], v[60:61], v[50:51]
	v_accvgpr_read_b32 v65, a9
	v_perm_b32 v51, v51, v50, s3
	v_perm_b32 v50, v63, v62, s3
	v_accvgpr_read_b32 v64, a8
	v_accvgpr_read_b32 v53, a11
	v_mfma_f32_16x16x16_bf16 a[12:15], v[150:151], v[56:57], a[12:15]
	v_accvgpr_read_b32 v52, a10
	v_accvgpr_read_b32 v57, a3
	;; [unrolled: 1-line block ×3, first 2 shown]
	v_mov_b32_e32 v144, 0
	s_waitcnt vmcnt(11)
	v_lshlrev_b32_e32 v63, 16, v146
	s_waitcnt vmcnt(10)
	v_lshlrev_b32_e32 v62, 16, v147
	v_pk_add_f32 v[62:63], v[62:63], v[64:65] neg_lo:[0,1] neg_hi:[0,1]
	s_waitcnt vmcnt(9)
	v_lshlrev_b32_e32 v65, 16, v158
	s_waitcnt vmcnt(8)
	v_lshlrev_b32_e32 v64, 16, v159
	v_pk_add_f32 v[52:53], v[64:65], v[52:53] neg_lo:[0,1] neg_hi:[0,1]
	v_pk_mul_f32 v[62:63], v[58:59], v[62:63]
	v_pk_mul_f32 v[52:53], v[60:61], v[52:53]
	v_accvgpr_read_b32 v55, a15
	v_perm_b32 v53, v53, v52, s3
	v_perm_b32 v52, v63, v62, s3
	ds_write2_b64 v98, v[50:51], v[52:53] offset1:16
	v_accvgpr_read_b32 v53, a13
	s_waitcnt vmcnt(7)
	v_lshlrev_b32_e32 v51, 16, v160
	s_waitcnt vmcnt(6)
	v_lshlrev_b32_e32 v50, 16, v161
	v_accvgpr_read_b32 v52, a12
	v_accvgpr_read_b32 v54, a14
	v_pk_add_f32 v[50:51], v[50:51], v[52:53] neg_lo:[0,1] neg_hi:[0,1]
	s_waitcnt vmcnt(5)
	v_lshlrev_b32_e32 v53, 16, v162
	s_waitcnt vmcnt(4)
	v_lshlrev_b32_e32 v52, 16, v163
	v_pk_add_f32 v[52:53], v[52:53], v[54:55] neg_lo:[0,1] neg_hi:[0,1]
	v_pk_mul_f32 v[50:51], v[58:59], v[50:51]
	v_pk_mul_f32 v[52:53], v[60:61], v[52:53]
	v_accvgpr_read_b32 v55, a1
	v_perm_b32 v53, v53, v52, s3
	v_perm_b32 v52, v51, v50, s3
	s_waitcnt vmcnt(3)
	v_lshlrev_b32_e32 v51, 16, v148
	s_waitcnt vmcnt(2)
	v_lshlrev_b32_e32 v50, 16, v149
	v_accvgpr_read_b32 v54, a0
	v_pk_add_f32 v[50:51], v[50:51], v[54:55] neg_lo:[0,1] neg_hi:[0,1]
	s_waitcnt vmcnt(1)
	v_lshlrev_b32_e32 v55, 16, v164
	s_waitcnt vmcnt(0)
	v_lshlrev_b32_e32 v54, 16, v165
	v_pk_add_f32 v[54:55], v[54:55], v[56:57] neg_lo:[0,1] neg_hi:[0,1]
	v_pk_mul_f32 v[50:51], v[58:59], v[50:51]
	v_pk_mul_f32 v[54:55], v[60:61], v[54:55]
	v_mov_b32_e32 v56, 0
	v_perm_b32 v55, v55, v54, s3
	v_perm_b32 v54, v51, v50, s3
	ds_write2_b64 v98, v[52:53], v[54:55] offset0:32 offset1:48
	v_mov_b32_e32 v50, 0
	v_mov_b32_e32 v51, 0
	;; [unrolled: 1-line block ×15, first 2 shown]
	s_cbranch_vccnz .LBB234_14
; %bb.13:                               ;   in Loop: Header=BB234_6 Depth=1
	s_and_b32 s25, s25, 0xffff
	s_mov_b32 s27, s23
	buffer_load_dwordx4 v[62:65], v135, s[24:27], 0 offen
	buffer_load_dwordx4 v[54:57], v135, s[24:27], s62 offen
	buffer_load_dwordx4 v[58:61], v136, s[24:27], 0 offen
	buffer_load_dwordx4 v[50:53], v136, s[24:27], s62 offen
	v_mov_b32_e32 v143, v92
	v_mov_b32_e32 v144, v91
.LBB234_14:                             ;   in Loop: Header=BB234_6 Depth=1
	s_waitcnt lgkmcnt(0)
	s_barrier
	ds_read_b64 v[154:155], v77
	ds_read2_b64 v[146:149], v128 offset1:16
	ds_read_b64 v[170:171], v137
	ds_read_b64 v[172:173], v138
	;; [unrolled: 1-line block ×3, first 2 shown]
	ds_read2_b64 v[150:153], v128 offset0:32 offset1:48
	s_waitcnt lgkmcnt(4)
	v_mfma_f32_16x16x16_bf16 a[0:3], v[154:155], v[146:147], 0
	ds_read2st64_b64 v[158:161], v130 offset0:4 offset1:8
	ds_read2st64_b64 v[162:165], v131 offset0:4 offset1:8
	;; [unrolled: 1-line block ×3, first 2 shown]
	v_mfma_f32_16x16x16_bf16 a[4:7], v[154:155], v[148:149], 0
	s_add_i32 s21, s57, s69
	s_mul_hi_i32 s25, s21, s13
	s_mul_i32 s21, s21, s13
	s_waitcnt lgkmcnt(3)
	v_mfma_f32_16x16x16_bf16 a[8:11], v[154:155], v[150:151], 0
	s_add_u32 s24, s21, s50
	s_addc_u32 s25, s25, s51
	s_lshl_b64 s[24:25], s[24:25], 15
	v_mfma_f32_16x16x16_bf16 a[12:15], v[154:155], v[152:153], 0
	ds_read2st64_b64 v[154:157], v128 offset0:4 offset1:8
	s_waitcnt lgkmcnt(0)
	v_mfma_f32_16x16x16_bf16 a[0:3], v[170:171], v[154:155], a[0:3]
	v_mfma_f32_16x16x16_bf16 a[4:7], v[170:171], v[158:159], a[4:7]
	;; [unrolled: 1-line block ×8, first 2 shown]
	ds_read_b64 v[170:171], v128 offset:6144
	ds_read_b64 v[172:173], v129 offset:40960
	;; [unrolled: 1-line block ×8, first 2 shown]
	s_waitcnt lgkmcnt(5)
	v_mfma_f32_16x16x16_bf16 a[16:19], v[176:177], v[146:147], 0
	v_mfma_f32_16x16x16_bf16 a[20:23], v[176:177], v[148:149], 0
	ds_read2st64_b64 v[146:149], v125 offset1:8
	v_mfma_f32_16x16x16_bf16 a[24:27], v[176:177], v[150:151], 0
	v_mfma_f32_16x16x16_bf16 a[28:31], v[176:177], v[152:153], 0
	ds_read2st64_b64 v[150:153], v126 offset1:8
	v_mfma_f32_16x16x16_bf16 a[16:19], v[172:173], v[154:155], a[16:19]
	s_waitcnt lgkmcnt(1)
	v_mov_b32_e32 v154, v146
	v_mov_b32_e32 v155, v147
	v_mfma_f32_16x16x16_bf16 a[20:23], v[172:173], v[158:159], a[20:23]
	v_lshl_add_u64 v[158:159], v[82:83], 0, s[24:25]
	v_mfma_f32_16x16x16_bf16 a[24:27], v[172:173], v[162:163], a[24:27]
	v_mfma_f32_16x16x16_bf16 a[28:31], v[172:173], v[166:167], a[28:31]
	v_mfma_f32_16x16x16_bf16 a[16:19], v[184:185], v[156:157], a[16:19]
	s_waitcnt lgkmcnt(0)
	v_mov_b32_e32 v156, v150
	v_mov_b32_e32 v157, v151
	;; [unrolled: 1-line block ×3, first 2 shown]
	v_mfma_f32_16x16x16_bf16 a[32:35], v[184:185], v[160:161], a[20:23]
	v_mov_b32_e32 v151, v149
	ds_read2st64_b64 v[146:149], v125 offset0:16 offset1:24
	global_store_dwordx4 v[158:159], v[154:157], off
	v_mfma_f32_16x16x16_bf16 a[24:27], v[184:185], v[164:165], a[24:27]
	ds_read2st64_b64 v[154:157], v126 offset0:16 offset1:24
	v_add_co_u32_e32 v160, vcc, s37, v158
	v_mfma_f32_16x16x16_bf16 a[28:31], v[184:185], v[168:169], a[28:31]
	s_nop 0
	v_addc_co_u32_e32 v161, vcc, 0, v159, vcc
	global_store_dwordx4 v[160:161], v[150:153], off offset:-4096
	v_mfma_f32_16x16x16_bf16 a[0:3], v[174:175], v[170:171], a[0:3]
	s_waitcnt lgkmcnt(1)
	v_mov_b32_e32 v150, v146
	v_add_co_u32_e32 v146, vcc, s39, v158
	v_mfma_f32_16x16x16_bf16 a[4:7], v[174:175], v[178:179], a[4:7]
	v_mov_b32_e32 v151, v147
	v_addc_co_u32_e32 v147, vcc, 0, v159, vcc
	v_mfma_f32_16x16x16_bf16 a[8:11], v[174:175], v[180:181], a[8:11]
	s_waitcnt lgkmcnt(0)
	v_mov_b32_e32 v152, v154
	v_mov_b32_e32 v153, v155
	;; [unrolled: 1-line block ×3, first 2 shown]
	v_mfma_f32_16x16x16_bf16 a[12:15], v[174:175], v[182:183], a[12:15]
	v_mov_b32_e32 v155, v149
	s_and_b64 vcc, exec, s[0:1]
	global_store_dwordx4 v[160:161], v[150:153], off
	v_mfma_f32_16x16x16_bf16 a[20:23], v[186:187], v[170:171], a[16:19]
	global_store_dwordx4 v[146:147], v[154:157], off
	v_mfma_f32_16x16x16_bf16 a[16:19], v[186:187], v[178:179], a[32:35]
	v_mfma_f32_16x16x16_bf16 a[24:27], v[186:187], v[180:181], a[24:27]
	;; [unrolled: 1-line block ×3, first 2 shown]
	s_cbranch_vccnz .LBB234_16
; %bb.15:                               ;   in Loop: Header=BB234_6 Depth=1
	v_lshrrev_b32_e32 v145, 3, v143
	v_and_b32_e32 v145, 6, v145
	v_xor_b32_e32 v144, v145, v144
	v_lshlrev_b32_e32 v144, 2, v144
	v_and_b32_e32 v143, 8, v143
	v_xor_b32_e32 v146, 0x440, v144
	v_cmp_eq_u32_e32 vcc, 0, v143
	s_barrier
	s_nop 0
	v_cndmask_b32_e32 v143, v146, v144, vcc
	v_lshl_or_b32 v143, v145, 10, v143
	s_waitcnt vmcnt(5)
	v_perm_b32 v144, v62, v58, s64
	s_waitcnt vmcnt(4)
	v_perm_b32 v145, v54, v50, s64
	ds_write2st64_b32 v143, v144, v145 offset0:128 offset1:160
	v_xor_b32_e32 v144, 8, v143
	v_perm_b32 v58, v62, v58, s65
	v_perm_b32 v50, v54, v50, s65
	v_add_u32_e32 v54, 0x80, v144
	ds_write2st64_b32 v54, v58, v50 offset0:128 offset1:160
	v_xor_b32_e32 v50, 16, v143
	v_perm_b32 v54, v63, v59, s64
	v_perm_b32 v58, v55, v51, s64
	ds_write2st64_b32 v50, v54, v58 offset0:129 offset1:161
	v_xor_b32_e32 v50, 24, v143
	v_perm_b32 v54, v63, v59, s65
	v_perm_b32 v51, v55, v51, s65
	v_add_u32_e32 v50, 0x80, v50
	ds_write2st64_b32 v50, v54, v51 offset0:129 offset1:161
	v_xor_b32_e32 v50, 32, v143
	v_perm_b32 v51, v64, v60, s64
	;; [unrolled: 9-line block ×3, first 2 shown]
	v_perm_b32 v52, v57, v53, s64
	ds_write2st64_b32 v50, v51, v52 offset0:131 offset1:163
	v_xor_b32_e32 v50, 56, v143
	v_perm_b32 v51, v65, v61, s65
	v_perm_b32 v52, v57, v53, s65
	v_add_u32_e32 v50, 0x80, v50
	ds_write2st64_b32 v50, v51, v52 offset0:131 offset1:163
	ds_write_b64 v142, v[46:47] offset:49152
	v_xor_b32_e32 v46, 8, v142
	ds_write_b64 v46, v[48:49] offset:49152
	ds_write_b64 v142, v[42:43] offset:57344
	;; [unrolled: 1-line block ×4, first 2 shown]
	v_xor_b32_e32 v38, 8, v141
	ds_write_b64 v38, v[40:41] offset:49152
	ds_write_b64 v141, v[34:35] offset:57344
	;; [unrolled: 1-line block ×3, first 2 shown]
.LBB234_16:                             ;   in Loop: Header=BB234_6 Depth=1
	s_waitcnt vmcnt(6)
	v_mul_f32_e32 v54, s20, v140
	v_exp_f32_e32 v142, v54
	v_accvgpr_read_b32 v37, a3
	v_accvgpr_read_b32 v41, a7
	;; [unrolled: 1-line block ×4, first 2 shown]
	s_waitcnt vmcnt(4)
	v_accvgpr_read_b32 v53, a23
	v_accvgpr_read_b32 v57, a19
	;; [unrolled: 1-line block ×28, first 2 shown]
	s_add_i32 s63, s63, 64
	v_pk_fma_f32 v[6:7], v[6:7], v[142:143], v[34:35] op_sel_hi:[1,0,1]
	v_pk_fma_f32 v[8:9], v[8:9], v[142:143], v[36:37] op_sel_hi:[1,0,1]
	v_pk_fma_f32 v[14:15], v[14:15], v[142:143], v[38:39] op_sel_hi:[1,0,1]
	v_pk_fma_f32 v[16:17], v[16:17], v[142:143], v[40:41] op_sel_hi:[1,0,1]
	v_pk_fma_f32 v[22:23], v[22:23], v[142:143], v[42:43] op_sel_hi:[1,0,1]
	v_pk_fma_f32 v[24:25], v[24:25], v[142:143], v[44:45] op_sel_hi:[1,0,1]
	v_pk_fma_f32 v[30:31], v[30:31], v[142:143], v[46:47] op_sel_hi:[1,0,1]
	v_pk_fma_f32 v[32:33], v[32:33], v[142:143], v[48:49] op_sel_hi:[1,0,1]
	v_pk_fma_f32 v[2:3], v[2:3], v[142:143], v[50:51] op_sel_hi:[1,0,1]
	v_pk_fma_f32 v[4:5], v[4:5], v[142:143], v[52:53] op_sel_hi:[1,0,1]
	v_pk_fma_f32 v[10:11], v[10:11], v[142:143], v[54:55] op_sel_hi:[1,0,1]
	v_pk_fma_f32 v[12:13], v[12:13], v[142:143], v[56:57] op_sel_hi:[1,0,1]
	v_pk_fma_f32 v[18:19], v[18:19], v[142:143], v[58:59] op_sel_hi:[1,0,1]
	v_pk_fma_f32 v[20:21], v[20:21], v[142:143], v[60:61] op_sel_hi:[1,0,1]
	v_pk_fma_f32 v[26:27], v[26:27], v[142:143], v[62:63] op_sel_hi:[1,0,1]
	s_cmp_eq_u32 s54, s68
	v_pk_fma_f32 v[28:29], v[28:29], v[142:143], v[64:65] op_sel_hi:[1,0,1]
	s_cbranch_scc1 .LBB234_18
; %bb.17:                               ;   in Loop: Header=BB234_6 Depth=1
	s_mov_b32 s69, s68
	s_branch .LBB234_6
.LBB234_18:
	s_lshl_b32 s26, s54, 6
	s_sub_i32 s27, s12, s26
	s_cmp_gt_i32 s27, 0
	s_cbranch_scc0 .LBB234_99
; %bb.19:
	s_ashr_i32 s3, s26, 31
	s_cmpk_lg_i32 s15, 0x80
	s_cselect_b64 s[22:23], -1, 0
	s_and_b64 vcc, exec, s[22:23]
	s_cbranch_vccz .LBB234_21
; %bb.20:
	s_mul_i32 s1, s53, s12
	s_mul_hi_i32 s0, s53, s12
	s_add_u32 s1, s1, s26
	s_addc_u32 s0, s0, s3
	s_mul_i32 s17, s1, s55
	s_mul_hi_u32 s20, s1, s14
	s_add_i32 s17, s20, s17
	s_mul_i32 s0, s0, s14
	s_add_i32 s17, s17, s0
	s_mul_i32 s1, s1, s14
	s_ashr_i32 s0, s56, 31
	s_add_u32 s24, s1, s56
	s_addc_u32 s25, s17, s0
	s_cbranch_execz .LBB234_22
	s_branch .LBB234_23
.LBB234_21:
                                        ; implicit-def: $sgpr24_sgpr25
.LBB234_22:
	s_mul_hi_i32 s0, s53, s14
	s_mul_i32 s53, s53, s14
	s_ashr_i32 s1, s56, 31
	s_add_u32 s14, s53, s56
	s_addc_u32 s0, s0, s1
	s_mul_i32 s1, s14, s52
	s_mul_hi_u32 s17, s14, s12
	s_add_i32 s1, s17, s1
	s_mul_i32 s0, s0, s12
	s_add_i32 s1, s1, s0
	s_mul_i32 s14, s14, s12
	s_add_u32 s24, s14, s26
	s_addc_u32 s25, s1, s3
.LBB234_23:
	s_mul_i32 s0, s40, s52
	s_add_i32 s0, s59, s0
	s_add_i32 s14, s57, s54
	;; [unrolled: 1-line block ×3, first 2 shown]
	s_add_u32 s0, s16, s26
	v_lshlrev_b32_e32 v38, 6, v89
	v_lshlrev_b32_e32 v56, 2, v86
	s_addc_u32 s1, s1, s3
	s_mov_b32 s3, 0x7060302
	v_or_b32_e32 v41, v38, v56
	v_xor_b32_e32 v39, v89, v56
	s_waitcnt vmcnt(7)
	v_perm_b32 v35, v9, v8, s3
	v_perm_b32 v34, v7, v6, s3
	s_waitcnt vmcnt(6)
	v_perm_b32 v37, v5, v4, s3
	v_perm_b32 v36, v3, v2, s3
	v_lshlrev_b32_e32 v41, 1, v41
	v_xor_b32_e32 v40, v90, v56
	ds_write2st64_b64 v41, v[34:35], v[36:37] offset0:32 offset1:48
	v_lshlrev_b32_e32 v39, 1, v39
	v_lshlrev_b32_e32 v41, 8, v86
	v_or_b32_e32 v42, v39, v41
	v_lshlrev_b32_e32 v40, 1, v40
	ds_write_b64 v42, v[34:35]
	v_or_b32_e32 v34, v40, v41
	v_or_b32_e32 v41, 16, v86
	v_lshlrev_b32_e32 v55, 2, v41
	v_or_b32_e32 v42, v38, v55
	ds_write_b64 v34, v[36:37]
	s_waitcnt vmcnt(5)
	v_perm_b32 v35, v17, v16, s3
	v_perm_b32 v34, v15, v14, s3
	s_waitcnt vmcnt(4)
	v_perm_b32 v37, v13, v12, s3
	v_perm_b32 v36, v11, v10, s3
	v_lshlrev_b32_e32 v42, 1, v42
	v_lshlrev_b32_e32 v41, 8, v41
	ds_write2st64_b64 v42, v[34:35], v[36:37] offset0:32 offset1:48
	v_or_b32_e32 v42, v39, v41
	ds_write_b64 v42, v[34:35]
	v_or_b32_e32 v34, v40, v41
	v_or_b32_e32 v41, 32, v86
	v_lshlrev_b32_e32 v54, 2, v41
	v_or_b32_e32 v42, v38, v54
	ds_write_b64 v34, v[36:37]
	s_waitcnt vmcnt(3)
	v_perm_b32 v35, v25, v24, s3
	v_perm_b32 v34, v23, v22, s3
	s_waitcnt vmcnt(2)
	v_perm_b32 v37, v21, v20, s3
	v_perm_b32 v36, v19, v18, s3
	v_lshlrev_b32_e32 v42, 1, v42
	v_lshlrev_b32_e32 v41, 8, v41
	s_lshl_b64 s[20:21], s[0:1], 8
	ds_write2st64_b64 v42, v[34:35], v[36:37] offset0:32 offset1:48
	v_or_b32_e32 v42, v39, v41
	s_waitcnt lgkmcnt(0)
	s_add_u32 s0, s6, s20
	ds_write_b64 v42, v[34:35]
	v_or_b32_e32 v34, v40, v41
	s_addc_u32 s1, s7, s21
	ds_write_b64 v34, v[36:37]
	s_waitcnt vmcnt(1)
	v_perm_b32 v35, v33, v32, s3
	v_perm_b32 v34, v31, v30, s3
	s_waitcnt vmcnt(0)
	v_perm_b32 v37, v29, v28, s3
	v_perm_b32 v36, v27, v26, s3
	v_or_b32_e32 v41, 48, v86
	s_mul_hi_i32 s3, s14, s13
	s_mul_i32 s14, s14, s13
	v_lshlrev_b32_e32 v51, 2, v41
	s_add_u32 s6, s14, s50
	v_or_b32_e32 v38, v38, v51
	s_addc_u32 s7, s3, s51
	v_lshlrev_b32_e32 v38, 1, v38
	s_ashr_i32 s3, s2, 31
	s_lshl_b64 s[6:7], s[6:7], 15
	ds_write2st64_b64 v38, v[34:35], v[36:37] offset0:32 offset1:48
	v_lshlrev_b32_e32 v38, 8, v41
	s_add_u32 s6, s18, s6
	v_or_b32_e32 v39, v39, v38
	s_addc_u32 s7, s19, s7
	s_lshl_b64 s[2:3], s[2:3], 8
	ds_write_b64 v39, v[34:35]
	v_or_b32_e32 v34, v40, v38
	s_add_u32 s2, s6, s2
	v_lshlrev_b32_e32 v35, 1, v86
	ds_write_b64 v34, v[36:37]
	v_lshrrev_b32_e32 v34, 4, v0
	s_addc_u32 s3, s7, s3
	v_or_b32_e32 v36, 1, v35
	v_lshlrev_b32_e32 v42, 4, v86
	v_mov_b32_e32 v43, 0
	v_xor_b32_e32 v35, v34, v35
	v_xor_b32_e32 v38, v36, v34
	v_lshl_add_u64 v[44:45], s[2:3], 0, v[42:43]
	v_lshlrev_b32_e32 v42, 8, v34
	v_lshl_or_b32 v48, v35, 3, v42
	v_lshl_or_b32 v49, v38, 3, v42
	s_waitcnt lgkmcnt(0)
	s_barrier
	ds_read2st64_b64 v[34:37], v48 offset1:8
	ds_read2st64_b64 v[38:41], v49 offset1:8
	v_lshl_add_u64 v[46:47], v[44:45], 0, v[42:43]
	s_movk_i32 s2, 0x2000
	s_cmp_lg_u32 s27, 64
	s_waitcnt lgkmcnt(1)
	v_mov_b32_e32 v42, v34
	v_mov_b32_e32 v43, v35
	s_waitcnt lgkmcnt(0)
	v_mov_b32_e32 v44, v38
	v_mov_b32_e32 v45, v39
	global_store_dwordx4 v[46:47], v[42:45], off
	v_mov_b32_e32 v38, v36
	v_mov_b32_e32 v39, v37
	ds_read2st64_b64 v[34:37], v48 offset0:16 offset1:24
	ds_read2st64_b64 v[42:45], v49 offset0:16 offset1:24
	v_add_co_u32_e32 v48, vcc, s2, v46
	s_cselect_b64 s[6:7], -1, 0
	s_nop 0
	v_addc_co_u32_e32 v49, vcc, 0, v47, vcc
	global_store_dwordx4 v[48:49], v[38:41], off offset:-4096
	v_lshl_or_b32 v62, v1, 3, v88
	s_mov_b32 s16, 0
	s_waitcnt lgkmcnt(1)
	v_mov_b32_e32 v38, v34
	v_add_co_u32_e32 v34, vcc, 0x3000, v46
	v_mov_b32_e32 v39, v35
	s_nop 0
	v_addc_co_u32_e32 v35, vcc, 0, v47, vcc
	s_waitcnt lgkmcnt(0)
	v_mov_b32_e32 v40, v42
	v_mov_b32_e32 v41, v43
	;; [unrolled: 1-line block ×4, first 2 shown]
	v_or_b32_e32 v52, 32, v62
	v_and_b32_e32 v50, 56, v87
	s_and_b64 vcc, exec, s[6:7]
	global_store_dwordx4 v[48:49], v[38:41], off
	global_store_dwordx4 v[34:35], v[42:45], off
	s_cbranch_vccz .LBB234_29
; %bb.24:
	s_mov_b32 s18, s16
	s_mov_b32 s19, s16
	;; [unrolled: 1-line block ×3, first 2 shown]
	v_mov_b64_e32 v[40:41], s[18:19]
	v_mov_b64_e32 v[38:39], s[16:17]
	;; [unrolled: 1-line block ×3, first 2 shown]
	v_cmp_gt_i32_e32 vcc, s27, v62
	v_mov_b64_e32 v[36:37], v[40:41]
	s_and_saveexec_b64 s[2:3], vcc
	s_cbranch_execz .LBB234_26
; %bb.25:
	v_lshlrev_b32_e32 v34, 8, v62
	v_mov_b32_e32 v35, 0
	v_lshl_add_u64 v[36:37], s[0:1], 0, v[34:35]
	v_lshlrev_b32_e32 v34, 1, v50
	v_lshl_add_u64 v[42:43], v[36:37], 0, v[34:35]
	global_load_dwordx4 v[38:41], v[42:43], off
	global_load_dwordx4 v[34:37], v[42:43], off offset:128
.LBB234_26:
	s_or_b64 exec, exec, s[2:3]
	s_mov_b32 s18, s16
	s_mov_b32 s19, s16
	;; [unrolled: 1-line block ×3, first 2 shown]
	v_mov_b64_e32 v[48:49], s[18:19]
	v_mov_b64_e32 v[46:47], s[16:17]
	;; [unrolled: 1-line block ×3, first 2 shown]
	v_cmp_gt_i32_e32 vcc, s27, v52
	v_lshlrev_b32_e32 v53, 7, v52
	v_mov_b64_e32 v[44:45], v[48:49]
	s_and_saveexec_b64 s[2:3], vcc
	s_cbranch_execz .LBB234_28
; %bb.27:
	v_lshlrev_b32_e32 v42, 1, v53
	v_mov_b32_e32 v43, 0
	v_lshl_add_u64 v[44:45], s[0:1], 0, v[42:43]
	v_lshlrev_b32_e32 v42, 1, v50
	v_lshl_add_u64 v[58:59], v[44:45], 0, v[42:43]
	global_load_dwordx4 v[46:49], v[58:59], off
	global_load_dwordx4 v[42:45], v[58:59], off offset:128
.LBB234_28:
	s_or_b64 exec, exec, s[2:3]
	v_lshrrev_b32_e32 v57, 3, v50
	v_lshlrev_b32_e32 v58, 3, v62
	v_or_b32_e32 v57, v58, v57
	v_lshlrev_b32_e32 v57, 4, v57
	v_and_b32_e32 v58, 0x78, v58
	v_xor_b32_e32 v57, v57, v58
	s_branch .LBB234_31
.LBB234_29:
                                        ; implicit-def: $vgpr57
                                        ; implicit-def: $vgpr53
                                        ; implicit-def: $vgpr38_vgpr39_vgpr40_vgpr41
                                        ; implicit-def: $vgpr34_vgpr35_vgpr36_vgpr37
                                        ; implicit-def: $vgpr46_vgpr47_vgpr48_vgpr49
                                        ; implicit-def: $vgpr42_vgpr43_vgpr44_vgpr45
	s_cbranch_execz .LBB234_31
; %bb.30:
	s_waitcnt vmcnt(0)
	v_lshlrev_b32_e32 v34, 1, v50
	v_lshl_or_b32 v53, v62, 8, v34
	s_and_b32 s1, s1, 0xffff
	s_mov_b32 s3, 0x20000
	s_movk_i32 s2, 0x4000
	v_lshl_or_b32 v57, v52, 8, v34
	s_movk_i32 s13, 0x80
	buffer_load_dwordx4 v[38:41], v53, s[0:3], 0 offen
	buffer_load_dwordx4 v[34:37], v53, s[0:3], s13 offen
	;; [unrolled: 1-line block ×4, first 2 shown]
	v_lshrrev_b32_e32 v53, 3, v50
	v_lshlrev_b32_e32 v57, 3, v62
	v_or_b32_e32 v53, v57, v53
	v_lshlrev_b32_e32 v53, 4, v53
	v_and_b32_e32 v57, 0x78, v57
	v_xor_b32_e32 v57, v53, v57
	v_lshlrev_b32_e32 v53, 7, v52
.LBB234_31:
	s_movk_i32 s0, 0x1000
	v_and_or_b32 v52, v53, s0, v57
	s_waitcnt vmcnt(1)
	ds_write_b64 v57, v[38:39] offset:49152
	v_xor_b32_e32 v38, 8, v57
	ds_write_b64 v38, v[40:41] offset:49152
	s_waitcnt vmcnt(0)
	ds_write_b64 v57, v[34:35] offset:57344
	ds_write_b64 v38, v[36:37] offset:57344
	;; [unrolled: 1-line block ×3, first 2 shown]
	v_xor_b32_e32 v34, 8, v52
	ds_write_b64 v34, v[48:49] offset:49152
	ds_write_b64 v52, v[42:43] offset:57344
	;; [unrolled: 1-line block ×3, first 2 shown]
	v_or_b32_e32 v34, v84, v86
	v_lshlrev_b32_e32 v34, 3, v34
	v_lshrrev_b32_e32 v35, 5, v67
	s_movk_i32 s0, 0xf8
	v_and_or_b32 v35, v34, s0, v35
	v_lshlrev_b32_e32 v39, 4, v35
	v_lshlrev_b32_e32 v57, 11, v1
	v_and_b32_e32 v40, 0x78, v34
	v_or_b32_e32 v42, 32, v39
	v_and_b32_e32 v38, 0x1000, v57
	v_lshrrev_b32_e32 v35, 1, v67
	v_xor_b32_e32 v42, v42, v40
	v_xor_b32_e32 v34, v39, v40
	v_and_b32_e32 v41, 8, v35
	v_or_b32_e32 v42, v42, v38
	v_or_b32_e32 v34, v34, v38
	v_xor_b32_e32 v64, v42, v41
	v_or_b32_e32 v42, 64, v39
	v_xor_b32_e32 v63, v34, v41
	v_xor_b32_e32 v42, v42, v40
	s_waitcnt lgkmcnt(0)
	s_barrier
	v_or_b32_e32 v45, v42, v38
	ds_read_b64 v[42:43], v63 offset:49152
	v_lshl_or_b32 v46, v85, 8, v56
	v_lshlrev_b32_e32 v58, 1, v46
	v_add_u32_e32 v44, 0x4000, v58
	ds_read2_b64 v[34:37], v44 offset1:16
	v_or_b32_e32 v39, 0x60, v39
	v_xor_b32_e32 v39, v39, v40
	v_or_b32_e32 v38, v39, v38
	v_xor_b32_e32 v65, v45, v41
	v_xor_b32_e32 v77, v38, v41
	ds_read_b64 v[52:53], v64 offset:49152
	ds_read_b64 v[78:79], v65 offset:49152
	;; [unrolled: 1-line block ×3, first 2 shown]
	s_waitcnt lgkmcnt(3)
	v_mfma_f32_16x16x16_bf16 a[0:3], v[42:43], v[34:35], 0
	ds_read2st64_b64 v[38:41], v58 offset0:36 offset1:40
	s_lshl_b64 s[0:1], s[24:25], 8
	s_add_u32 s4, s4, s0
	v_mfma_f32_16x16x16_bf16 a[4:7], v[42:43], v[36:37], 0
	ds_read2_b64 v[34:37], v44 offset0:32 offset1:48
	s_addc_u32 s5, s5, s1
	s_add_i32 s1, s46, s33
	s_waitcnt lgkmcnt(0)
	v_mfma_f32_16x16x16_bf16 a[8:11], v[42:43], v[34:35], 0
	v_or_b32_e32 v34, 64, v46
	v_lshlrev_b32_e32 v59, 1, v34
	s_add_i32 s0, s12, -1
	v_mfma_f32_16x16x16_bf16 a[12:15], v[42:43], v[36:37], 0
	ds_read2st64_b64 v[34:37], v59 offset0:36 offset1:40
	s_add_i32 s39, s1, s41
	s_add_i32 s1, s48, s47
	v_mfma_f32_16x16x16_bf16 a[0:3], v[52:53], v[38:39], a[0:3]
	v_or_b32_e32 v38, 0x80, v46
	v_lshlrev_b32_e32 v60, 1, v38
	ds_read2st64_b64 v[42:45], v60 offset0:36 offset1:40
	s_waitcnt lgkmcnt(1)
	v_mfma_f32_16x16x16_bf16 a[4:7], v[52:53], v[34:35], a[4:7]
	v_or_b32_e32 v34, 0xc0, v46
	v_lshlrev_b32_e32 v61, 1, v34
	ds_read2st64_b64 v[46:49], v61 offset0:36 offset1:40
	s_add_i32 s37, s1, s49
	s_ashr_i32 s1, s0, 31
	s_mul_i32 s2, s0, s35
	s_mul_hi_u32 s3, s0, s34
	s_add_i32 s2, s3, s2
	s_mul_i32 s1, s1, s34
	s_waitcnt lgkmcnt(1)
	v_mfma_f32_16x16x16_bf16 a[8:11], v[52:53], v[42:43], a[8:11]
	s_add_i32 s1, s2, s1
	s_lshl_b64 s[2:3], s[38:39], 2
	s_add_u32 s10, s10, s2
	s_waitcnt lgkmcnt(0)
	v_mfma_f32_16x16x16_bf16 a[12:15], v[52:53], v[46:47], a[12:15]
	s_addc_u32 s11, s11, s3
	s_lshl_b64 s[2:3], s[36:37], 2
	s_mul_i32 s0, s0, s34
	v_mfma_f32_16x16x16_bf16 a[0:3], v[78:79], v[40:41], a[0:3]
	ds_read_b64 v[34:35], v58 offset:22528
	s_add_u32 s10, s10, s2
	s_addc_u32 s11, s11, s3
	v_mfma_f32_16x16x16_bf16 a[4:7], v[78:79], v[36:37], a[4:7]
	ds_read_b64 v[36:37], v59 offset:22528
	ds_read_b64 v[38:39], v60 offset:22528
	;; [unrolled: 1-line block ×3, first 2 shown]
	s_lshl_b64 s[0:1], s[0:1], 2
	s_add_u32 s0, s10, s0
	v_mfma_f32_16x16x16_bf16 a[8:11], v[78:79], v[44:45], a[8:11]
	s_addc_u32 s1, s11, s1
	s_load_dword s12, s[0:1], 0x0
	s_and_b64 vcc, exec, s[22:23]
	v_mfma_f32_16x16x16_bf16 a[12:15], v[78:79], v[48:49], a[12:15]
	s_waitcnt lgkmcnt(0)
	v_mfma_f32_16x16x16_bf16 a[0:3], v[80:81], v[34:35], a[0:3]
	v_mfma_f32_16x16x16_bf16 a[4:7], v[80:81], v[36:37], a[4:7]
	;; [unrolled: 1-line block ×4, first 2 shown]
	s_cbranch_vccz .LBB234_42
; %bb.32:
	v_lshlrev_b32_e32 v52, 1, v62
	s_and_b64 vcc, exec, s[6:7]
	s_cbranch_vccz .LBB234_43
; %bb.33:
	v_cmp_gt_i32_e32 vcc, s27, v52
	v_mov_b32_e32 v38, 0
	v_mov_b32_e32 v34, 0
	;; [unrolled: 1-line block ×5, first 2 shown]
	s_and_saveexec_b64 s[0:1], vcc
	s_cbranch_execz .LBB234_35
; %bb.34:
	v_mad_i64_i32 v[34:35], s[2:3], s15, v52, 0
	v_lshl_add_u64 v[34:35], v[34:35], 1, s[4:5]
	v_lshlrev_b32_e32 v36, 1, v50
	v_mov_b32_e32 v37, 0
	v_lshl_add_u64 v[34:35], v[34:35], 0, v[36:37]
	global_load_dwordx4 v[34:37], v[34:35], off
.LBB234_35:
	s_or_b64 exec, exec, s[0:1]
	v_or_b32_e32 v53, 1, v52
	v_cmp_gt_i32_e64 s[0:1], s27, v53
	v_mov_b32_e32 v39, 0
	v_mov_b32_e32 v40, 0
	;; [unrolled: 1-line block ×3, first 2 shown]
	s_and_saveexec_b64 s[2:3], s[0:1]
	s_cbranch_execz .LBB234_37
; %bb.36:
	v_mad_i64_i32 v[38:39], s[16:17], s15, v53, 0
	v_lshl_add_u64 v[38:39], v[38:39], 1, s[4:5]
	v_lshlrev_b32_e32 v40, 1, v50
	v_mov_b32_e32 v41, 0
	v_lshl_add_u64 v[38:39], v[38:39], 0, v[40:41]
	global_load_dwordx4 v[38:41], v[38:39], off
.LBB234_37:
	s_or_b64 exec, exec, s[2:3]
	v_mov_b32_e32 v49, 0
	v_mov_b32_e32 v42, 0
	;; [unrolled: 1-line block ×5, first 2 shown]
	s_and_saveexec_b64 s[2:3], vcc
	s_cbranch_execz .LBB234_39
; %bb.38:
	v_mad_i64_i32 v[42:43], s[16:17], s15, v52, 0
	v_lshl_add_u64 v[42:43], v[42:43], 1, s[4:5]
	v_lshlrev_b32_e32 v44, 1, v50
	v_mov_b32_e32 v45, 0
	v_lshl_add_u64 v[42:43], v[42:43], 0, v[44:45]
	global_load_dwordx4 v[42:45], v[42:43], off offset:128
.LBB234_39:
	s_or_b64 exec, exec, s[2:3]
	v_mov_b32_e32 v48, 0
	v_mov_b32_e32 v47, 0
	;; [unrolled: 1-line block ×3, first 2 shown]
	s_and_saveexec_b64 s[2:3], s[0:1]
	s_cbranch_execz .LBB234_41
; %bb.40:
	v_mad_i64_i32 v[46:47], s[0:1], s15, v53, 0
	v_lshl_add_u64 v[46:47], v[46:47], 1, s[4:5]
	v_lshlrev_b32_e32 v48, 1, v50
	v_mov_b32_e32 v49, 0
	v_lshl_add_u64 v[46:47], v[46:47], 0, v[48:49]
	global_load_dwordx4 v[46:49], v[46:47], off offset:128
.LBB234_41:
	s_or_b64 exec, exec, s[2:3]
	s_branch .LBB234_45
.LBB234_42:
                                        ; implicit-def: $vgpr37
                                        ; implicit-def: $vgpr41
                                        ; implicit-def: $vgpr45
                                        ; implicit-def: $vgpr49
	v_lshrrev_b32_e32 v67, 2, v67
	s_branch .LBB234_46
.LBB234_43:
                                        ; implicit-def: $vgpr37
                                        ; implicit-def: $vgpr41
                                        ; implicit-def: $vgpr45
                                        ; implicit-def: $vgpr49
	s_cbranch_execz .LBB234_45
; %bb.44:
	s_waitcnt vmcnt(0)
	v_mad_u64_u32 v[34:35], s[0:1], v52, s15, v[50:51]
	v_lshlrev_b32_e32 v52, 1, v34
	s_lshl_b32 s2, s15, 7
	s_and_b32 s1, s5, 0xffff
	s_mov_b32 s3, 0x20000
	s_mov_b32 s0, s4
	v_add_lshl_u32 v53, v34, s15, 1
	s_movk_i32 s13, 0x80
	buffer_load_dwordx4 v[34:37], v52, s[0:3], 0 offen
	buffer_load_dwordx4 v[42:45], v52, s[0:3], s13 offen
	buffer_load_dwordx4 v[38:41], v53, s[0:3], 0 offen
	buffer_load_dwordx4 v[46:49], v53, s[0:3], s13 offen
.LBB234_45:
	v_lshrrev_b32_e32 v67, 2, v67
	s_cbranch_execnz .LBB234_58
.LBB234_46:
	s_and_b64 vcc, exec, s[6:7]
	s_cbranch_vccz .LBB234_56
; %bb.47:
	s_waitcnt vmcnt(0)
	v_lshlrev_b32_e32 v39, 1, v62
	v_cmp_gt_i32_e32 vcc, s27, v39
	v_mov_b32_e32 v38, 0
	v_lshlrev_b32_e32 v46, 9, v62
	v_mov_b32_e32 v34, 0
	v_mov_b32_e32 v35, 0
	;; [unrolled: 1-line block ×4, first 2 shown]
	s_and_saveexec_b64 s[0:1], vcc
	s_cbranch_execz .LBB234_49
; %bb.48:
	v_mov_b32_e32 v47, 0
	v_lshl_add_u64 v[34:35], s[4:5], 0, v[46:47]
	v_lshlrev_b32_e32 v36, 1, v50
	v_mov_b32_e32 v37, v47
	v_lshl_add_u64 v[34:35], v[34:35], 0, v[36:37]
	global_load_dwordx4 v[34:37], v[34:35], off
.LBB234_49:
	s_or_b64 exec, exec, s[0:1]
	v_or_b32_e32 v39, 1, v39
	v_cmp_gt_i32_e64 s[0:1], s27, v39
	v_lshlrev_b32_e32 v52, 8, v39
	v_mov_b32_e32 v39, 0
	v_mov_b32_e32 v40, 0
	;; [unrolled: 1-line block ×3, first 2 shown]
	s_and_saveexec_b64 s[2:3], s[0:1]
	s_cbranch_execz .LBB234_51
; %bb.50:
	v_mov_b32_e32 v53, 0
	v_lshl_add_u64 v[38:39], s[4:5], 0, v[52:53]
	v_lshlrev_b32_e32 v40, 1, v50
	v_mov_b32_e32 v41, v53
	v_lshl_add_u64 v[38:39], v[38:39], 0, v[40:41]
	global_load_dwordx4 v[38:41], v[38:39], off
.LBB234_51:
	s_or_b64 exec, exec, s[2:3]
	v_mov_b32_e32 v49, 0
	v_mov_b32_e32 v42, 0
	;; [unrolled: 1-line block ×5, first 2 shown]
	s_and_saveexec_b64 s[2:3], vcc
	s_cbranch_execz .LBB234_53
; %bb.52:
	v_mov_b32_e32 v47, 0
	v_lshl_add_u64 v[42:43], s[4:5], 0, v[46:47]
	v_lshlrev_b32_e32 v46, 1, v50
	v_lshl_add_u64 v[42:43], v[42:43], 0, v[46:47]
	global_load_dwordx4 v[42:45], v[42:43], off offset:128
.LBB234_53:
	s_or_b64 exec, exec, s[2:3]
	v_mov_b32_e32 v48, 0
	v_mov_b32_e32 v47, 0
	;; [unrolled: 1-line block ×3, first 2 shown]
	s_and_saveexec_b64 s[2:3], s[0:1]
	s_cbranch_execz .LBB234_55
; %bb.54:
	v_mov_b32_e32 v53, 0
	v_lshl_add_u64 v[46:47], s[4:5], 0, v[52:53]
	v_lshlrev_b32_e32 v52, 1, v50
	v_lshl_add_u64 v[46:47], v[46:47], 0, v[52:53]
	global_load_dwordx4 v[46:49], v[46:47], off offset:128
.LBB234_55:
	s_or_b64 exec, exec, s[2:3]
	s_branch .LBB234_58
.LBB234_56:
                                        ; implicit-def: $vgpr37
                                        ; implicit-def: $vgpr41
                                        ; implicit-def: $vgpr45
                                        ; implicit-def: $vgpr49
	s_cbranch_execz .LBB234_58
; %bb.57:
	s_waitcnt vmcnt(0)
	v_lshlrev_b32_e32 v34, 1, v50
	v_lshl_or_b32 v50, v62, 9, v34
	s_and_b32 s5, s5, 0xffff
	s_mov_b32 s7, 0x20000
	s_movk_i32 s6, 0x4000
	s_movk_i32 s0, 0x80
	buffer_load_dwordx4 v[34:37], v50, s[4:7], 0 offen
	buffer_load_dwordx4 v[38:41], v50, s[4:7], 0 offen offset:256
	buffer_load_dwordx4 v[42:45], v50, s[4:7], s0 offen
	buffer_load_dwordx4 v[46:49], v50, s[4:7], s0 offen offset:256
.LBB234_58:
	ds_read_b64 v[52:53], v63 offset:57344
	v_add_u32_e32 v50, 0x6000, v58
	ds_read2_b64 v[78:81], v50 offset1:16
	ds_read_b64 v[82:83], v64 offset:57344
	ds_read_b64 v[64:65], v65 offset:57344
	;; [unrolled: 1-line block ×3, first 2 shown]
	ds_read2st64_b64 v[86:89], v58 offset0:52 offset1:56
	v_and_b32_e32 v63, 1, v0
	v_cmp_eq_u32_e32 vcc, 0, v63
	s_mov_b32 s0, 0x1000504
	s_waitcnt vmcnt(0)
	v_perm_b32 v63, v42, v46, s0
	s_mov_b32 s1, 0x3020706
	s_waitcnt lgkmcnt(4)
	v_mfma_f32_16x16x16_bf16 a[0:3], v[52:53], v[78:79], a[0:3]
	v_mfma_f32_16x16x16_bf16 a[4:7], v[52:53], v[80:81], a[4:7]
	ds_read2_b64 v[78:81], v50 offset0:32 offset1:48
	v_and_b32_e32 v50, 6, v0
	v_xor_b32_e32 v62, v62, v50
	s_waitcnt lgkmcnt(0)
	v_mfma_f32_16x16x16_bf16 a[8:11], v[52:53], v[78:79], a[8:11]
	v_lshlrev_b32_e32 v62, 2, v62
	v_xor_b32_e32 v77, 0x440, v62
	v_cndmask_b32_e32 v62, v77, v62, vcc
	v_mfma_f32_16x16x16_bf16 a[12:15], v[52:53], v[80:81], a[12:15]
	ds_read2st64_b64 v[78:81], v59 offset0:52 offset1:56
	ds_read2st64_b64 v[90:93], v60 offset0:52 offset1:56
	;; [unrolled: 1-line block ×3, first 2 shown]
	v_lshl_or_b32 v50, v50, 10, v62
	v_perm_b32 v62, v34, v38, s0
	v_mfma_f32_16x16x16_bf16 a[0:3], v[82:83], v[86:87], a[0:3]
	ds_read_b64 v[52:53], v58 offset:30720
	ds_read_b64 v[86:87], v59 offset:30720
	;; [unrolled: 1-line block ×4, first 2 shown]
	ds_write2st64_b32 v50, v62, v63 offset0:128 offset1:160
	v_xor_b32_e32 v62, 8, v50
	s_waitcnt lgkmcnt(7)
	v_mfma_f32_16x16x16_bf16 a[4:7], v[82:83], v[78:79], a[4:7]
	v_perm_b32 v34, v34, v38, s1
	v_perm_b32 v38, v42, v46, s1
	v_add_u32_e32 v42, 0x80, v62
	s_waitcnt lgkmcnt(6)
	v_mfma_f32_16x16x16_bf16 a[8:11], v[82:83], v[90:91], a[8:11]
	ds_write2st64_b32 v42, v34, v38 offset0:128 offset1:160
	v_xor_b32_e32 v34, 16, v50
	v_perm_b32 v38, v35, v39, s0
	s_waitcnt lgkmcnt(6)
	v_mfma_f32_16x16x16_bf16 a[12:15], v[82:83], v[94:95], a[12:15]
	v_perm_b32 v42, v43, v47, s0
	ds_write2st64_b32 v34, v38, v42 offset0:129 offset1:161
	v_xor_b32_e32 v34, 24, v50
	v_mfma_f32_16x16x16_bf16 a[0:3], v[64:65], v[88:89], a[0:3]
	v_perm_b32 v35, v35, v39, s1
	v_perm_b32 v38, v43, v47, s1
	v_add_u32_e32 v34, 0x80, v34
	v_mfma_f32_16x16x16_bf16 a[4:7], v[64:65], v[80:81], a[4:7]
	ds_write2st64_b32 v34, v35, v38 offset0:129 offset1:161
	v_xor_b32_e32 v34, 32, v50
	v_perm_b32 v35, v36, v40, s0
	v_mfma_f32_16x16x16_bf16 a[16:19], v[64:65], v[92:93], a[8:11]
	v_perm_b32 v38, v44, v48, s0
	ds_write2st64_b32 v34, v35, v38 offset0:130 offset1:162
	v_xor_b32_e32 v34, 40, v50
	v_mfma_f32_16x16x16_bf16 a[20:23], v[64:65], v[96:97], a[12:15]
	v_perm_b32 v35, v36, v40, s1
	v_perm_b32 v36, v44, v48, s1
	v_add_u32_e32 v34, 0x80, v34
	s_waitcnt lgkmcnt(8)
	v_mfma_f32_16x16x16_bf16 a[12:15], v[98:99], v[52:53], a[0:3]
	ds_write2st64_b32 v34, v35, v36 offset0:130 offset1:162
	v_xor_b32_e32 v34, 48, v50
	v_perm_b32 v35, v37, v41, s0
	s_waitcnt lgkmcnt(8)
	v_mfma_f32_16x16x16_bf16 a[8:11], v[98:99], v[86:87], a[4:7]
	v_perm_b32 v36, v45, v49, s0
	ds_write2st64_b32 v34, v35, v36 offset0:131 offset1:163
	v_xor_b32_e32 v34, 56, v50
	s_waitcnt lgkmcnt(8)
	v_mfma_f32_16x16x16_bf16 a[4:7], v[98:99], v[100:101], a[16:19]
	v_and_or_b32 v53, v67, 12, v84
	v_perm_b32 v35, v37, v41, s1
	v_perm_b32 v36, v45, v49, s1
	s_waitcnt lgkmcnt(7)
	v_mfma_f32_16x16x16_bf16 a[0:3], v[98:99], v[102:103], a[20:23]
	v_add_u32_e32 v34, 0x80, v34
	v_cmp_gt_i32_e32 vcc, s27, v53
	v_mov_b32_e32 v48, 0
	v_mov_b32_e32 v50, 0
	ds_write2st64_b32 v34, v35, v36 offset0:131 offset1:163
	s_and_saveexec_b64 s[0:1], vcc
	s_cbranch_execz .LBB234_60
; %bb.59:
	v_add_u32_e32 v34, s26, v53
	v_ashrrev_i32_e32 v35, 31, v34
	v_mul_lo_u32 v36, v35, s34
	v_mul_lo_u32 v37, v34, s35
	v_mad_u64_u32 v[34:35], s[2:3], v34, s34, 0
	v_add3_u32 v35, v35, v37, v36
	v_lshl_add_u64 v[34:35], v[34:35], 2, s[10:11]
	global_load_dword v34, v[34:35], off
	s_waitcnt vmcnt(0)
	v_sub_f32_e32 v34, s12, v34
	v_mul_f32_e32 v34, 0x3fb8aa3b, v34
	v_exp_f32_e32 v50, v34
.LBB234_60:
	s_or_b64 exec, exec, s[0:1]
	v_or_b32_e32 v40, 1, v53
	v_cmp_gt_i32_e64 s[0:1], s27, v40
	s_and_saveexec_b64 s[2:3], s[0:1]
	s_cbranch_execz .LBB234_62
; %bb.61:
	v_add_u32_e32 v34, s26, v40
	v_ashrrev_i32_e32 v35, 31, v34
	v_mul_lo_u32 v36, v35, s34
	v_mul_lo_u32 v37, v34, s35
	v_mad_u64_u32 v[34:35], s[4:5], v34, s34, 0
	v_add3_u32 v35, v35, v37, v36
	v_lshl_add_u64 v[34:35], v[34:35], 2, s[10:11]
	global_load_dword v34, v[34:35], off
	s_waitcnt vmcnt(0)
	v_sub_f32_e32 v34, s12, v34
	v_mul_f32_e32 v34, 0x3fb8aa3b, v34
	v_exp_f32_e32 v48, v34
.LBB234_62:
	s_or_b64 exec, exec, s[2:3]
	v_or_b32_e32 v41, 2, v53
	v_cmp_gt_i32_e64 s[2:3], s27, v41
	v_mov_b32_e32 v49, 0
	v_mov_b32_e32 v52, 0
	s_and_saveexec_b64 s[4:5], s[2:3]
	s_cbranch_execz .LBB234_64
; %bb.63:
	v_add_u32_e32 v34, s26, v41
	v_ashrrev_i32_e32 v35, 31, v34
	v_mul_lo_u32 v36, v35, s34
	v_mul_lo_u32 v37, v34, s35
	v_mad_u64_u32 v[34:35], s[6:7], v34, s34, 0
	v_add3_u32 v35, v35, v37, v36
	v_lshl_add_u64 v[34:35], v[34:35], 2, s[10:11]
	global_load_dword v34, v[34:35], off
	s_waitcnt vmcnt(0)
	v_sub_f32_e32 v34, s12, v34
	v_mul_f32_e32 v34, 0x3fb8aa3b, v34
	v_exp_f32_e32 v52, v34
.LBB234_64:
	s_or_b64 exec, exec, s[4:5]
	v_or_b32_e32 v62, 3, v53
	v_cmp_gt_i32_e64 s[4:5], s27, v62
	s_and_saveexec_b64 s[6:7], s[4:5]
	s_cbranch_execz .LBB234_66
; %bb.65:
	v_add_u32_e32 v34, s26, v62
	v_ashrrev_i32_e32 v35, 31, v34
	v_mul_lo_u32 v36, v35, s34
	v_mul_lo_u32 v37, v34, s35
	v_mad_u64_u32 v[34:35], s[14:15], v34, s34, 0
	v_add3_u32 v35, v35, v37, v36
	v_lshl_add_u64 v[34:35], v[34:35], 2, s[10:11]
	global_load_dword v34, v[34:35], off
	s_waitcnt vmcnt(0)
	v_sub_f32_e32 v34, s12, v34
	v_mul_f32_e32 v34, 0x3fb8aa3b, v34
	v_exp_f32_e32 v49, v34
.LBB234_66:
	s_or_b64 exec, exec, s[6:7]
	s_add_u32 s6, s8, s20
	v_accvgpr_read_b32 v37, a15
	s_addc_u32 s7, s9, s21
	v_ashrrev_i32_e32 v77, 31, v76
	v_accvgpr_read_b32 v36, a14
	v_accvgpr_read_b32 v35, a13
	;; [unrolled: 1-line block ×3, first 2 shown]
	v_lshl_add_u64 v[38:39], v[76:77], 1, s[6:7]
	v_mov_b32_e32 v45, 0
	v_lshlrev_b32_e32 v42, 8, v53
	v_mov_b32_e32 v43, 0
	s_and_saveexec_b64 s[6:7], vcc
	s_cbranch_execz .LBB234_68
; %bb.67:
	v_mov_b32_e32 v43, 0
	v_lshl_add_u64 v[46:47], v[38:39], 0, v[42:43]
	global_load_ushort v43, v[46:47], off
	s_waitcnt vmcnt(0)
	v_lshlrev_b32_e32 v43, 16, v43
	v_sub_f32_e32 v34, v43, v34
	v_mul_f32_e32 v34, v50, v34
	v_lshrrev_b32_e32 v43, 16, v34
.LBB234_68:
	s_or_b64 exec, exec, s[6:7]
	v_lshlrev_b32_e32 v44, 8, v40
	s_and_saveexec_b64 s[6:7], s[0:1]
	s_cbranch_execz .LBB234_70
; %bb.69:
	v_mov_b32_e32 v45, 0
	v_lshl_add_u64 v[46:47], v[38:39], 0, v[44:45]
	global_load_ushort v34, v[46:47], off
	s_waitcnt vmcnt(0)
	v_lshlrev_b32_e32 v34, 16, v34
	v_sub_f32_e32 v34, v34, v35
	v_mul_f32_e32 v34, v48, v34
	v_lshrrev_b32_e32 v45, 16, v34
.LBB234_70:
	s_or_b64 exec, exec, s[6:7]
	v_mov_b32_e32 v63, 0
	v_lshlrev_b32_e32 v46, 8, v41
	v_mov_b32_e32 v47, 0
	s_and_saveexec_b64 s[6:7], s[2:3]
	s_cbranch_execz .LBB234_72
; %bb.71:
	v_mov_b32_e32 v47, 0
	v_lshl_add_u64 v[34:35], v[38:39], 0, v[46:47]
	global_load_ushort v34, v[34:35], off
	s_waitcnt vmcnt(0)
	v_lshlrev_b32_e32 v34, 16, v34
	v_sub_f32_e32 v34, v34, v36
	v_mul_f32_e32 v34, v52, v34
	v_lshrrev_b32_e32 v47, 16, v34
.LBB234_72:
	s_or_b64 exec, exec, s[6:7]
	v_lshlrev_b32_e32 v40, 8, v62
	s_and_saveexec_b64 s[6:7], s[4:5]
	s_cbranch_execz .LBB234_74
; %bb.73:
	v_mov_b32_e32 v41, 0
	v_lshl_add_u64 v[34:35], v[38:39], 0, v[40:41]
	global_load_ushort v34, v[34:35], off
	s_waitcnt vmcnt(0)
	v_lshlrev_b32_e32 v34, 16, v34
	v_sub_f32_e32 v34, v34, v37
	v_mul_f32_e32 v34, v49, v34
	v_lshrrev_b32_e32 v63, 16, v34
.LBB234_74:
	s_or_b64 exec, exec, s[6:7]
	v_lshlrev_b32_e32 v53, 6, v53
	v_accvgpr_read_b32 v37, a11
	s_mov_b32 s6, 0x5040100
	v_or_b32_e32 v41, v53, v56
	v_accvgpr_read_b32 v36, a10
	v_accvgpr_read_b32 v35, a9
	;; [unrolled: 1-line block ×3, first 2 shown]
	v_perm_b32 v63, v63, v47, s6
	v_perm_b32 v62, v45, v43, s6
	v_lshlrev_b32_e32 v41, 1, v41
	v_mov_b32_e32 v45, 0
	v_mov_b32_e32 v43, 0
	ds_write_b64 v41, v[62:63] offset:24576
	s_and_saveexec_b64 s[6:7], vcc
	s_cbranch_execz .LBB234_76
; %bb.75:
	v_mov_b32_e32 v43, 0
	v_lshl_add_u64 v[62:63], v[38:39], 0, v[42:43]
	global_load_ushort v41, v[62:63], off offset:32
	s_waitcnt vmcnt(0)
	v_lshlrev_b32_e32 v41, 16, v41
	v_sub_f32_e32 v34, v41, v34
	v_mul_f32_e32 v34, v50, v34
	v_lshrrev_b32_e32 v43, 16, v34
.LBB234_76:
	s_or_b64 exec, exec, s[6:7]
	s_and_saveexec_b64 s[6:7], s[0:1]
	s_cbranch_execz .LBB234_78
; %bb.77:
	v_mov_b32_e32 v45, 0
	v_lshl_add_u64 v[62:63], v[38:39], 0, v[44:45]
	global_load_ushort v34, v[62:63], off offset:32
	s_waitcnt vmcnt(0)
	v_lshlrev_b32_e32 v34, 16, v34
	v_sub_f32_e32 v34, v34, v35
	v_mul_f32_e32 v34, v48, v34
	v_lshrrev_b32_e32 v45, 16, v34
.LBB234_78:
	s_or_b64 exec, exec, s[6:7]
	v_mov_b32_e32 v41, 0
	v_mov_b32_e32 v47, 0
	s_and_saveexec_b64 s[6:7], s[2:3]
	s_cbranch_execz .LBB234_80
; %bb.79:
	v_mov_b32_e32 v47, 0
	v_lshl_add_u64 v[34:35], v[38:39], 0, v[46:47]
	global_load_ushort v34, v[34:35], off offset:32
	s_waitcnt vmcnt(0)
	v_lshlrev_b32_e32 v34, 16, v34
	v_sub_f32_e32 v34, v34, v36
	v_mul_f32_e32 v34, v52, v34
	v_lshrrev_b32_e32 v47, 16, v34
.LBB234_80:
	s_or_b64 exec, exec, s[6:7]
	s_and_saveexec_b64 s[6:7], s[4:5]
	s_cbranch_execz .LBB234_82
; %bb.81:
	v_mov_b32_e32 v41, 0
	v_lshl_add_u64 v[34:35], v[38:39], 0, v[40:41]
	global_load_ushort v34, v[34:35], off offset:32
	s_waitcnt vmcnt(0)
	v_lshlrev_b32_e32 v34, 16, v34
	v_sub_f32_e32 v34, v34, v37
	v_mul_f32_e32 v34, v49, v34
	v_lshrrev_b32_e32 v41, 16, v34
.LBB234_82:
	s_or_b64 exec, exec, s[6:7]
	s_mov_b32 s6, 0x5040100
	v_accvgpr_read_b32 v37, a7
	v_perm_b32 v63, v41, v47, s6
	v_or_b32_e32 v41, v53, v55
	v_accvgpr_read_b32 v36, a6
	v_accvgpr_read_b32 v35, a5
	;; [unrolled: 1-line block ×3, first 2 shown]
	v_perm_b32 v62, v45, v43, s6
	v_lshlrev_b32_e32 v41, 1, v41
	v_mov_b32_e32 v45, 0
	v_mov_b32_e32 v43, 0
	ds_write_b64 v41, v[62:63] offset:24576
	s_and_saveexec_b64 s[6:7], vcc
	s_cbranch_execz .LBB234_84
; %bb.83:
	v_mov_b32_e32 v43, 0
	v_lshl_add_u64 v[62:63], v[38:39], 0, v[42:43]
	global_load_ushort v41, v[62:63], off offset:64
	s_waitcnt vmcnt(0)
	v_lshlrev_b32_e32 v41, 16, v41
	v_sub_f32_e32 v34, v41, v34
	v_mul_f32_e32 v34, v50, v34
	v_lshrrev_b32_e32 v43, 16, v34
.LBB234_84:
	s_or_b64 exec, exec, s[6:7]
	s_and_saveexec_b64 s[6:7], s[0:1]
	s_cbranch_execz .LBB234_86
; %bb.85:
	v_mov_b32_e32 v45, 0
	v_lshl_add_u64 v[62:63], v[38:39], 0, v[44:45]
	global_load_ushort v34, v[62:63], off offset:64
	s_waitcnt vmcnt(0)
	v_lshlrev_b32_e32 v34, 16, v34
	v_sub_f32_e32 v34, v34, v35
	v_mul_f32_e32 v34, v48, v34
	v_lshrrev_b32_e32 v45, 16, v34
.LBB234_86:
	s_or_b64 exec, exec, s[6:7]
	v_mov_b32_e32 v41, 0
	v_mov_b32_e32 v47, 0
	s_and_saveexec_b64 s[6:7], s[2:3]
	s_cbranch_execz .LBB234_88
; %bb.87:
	v_mov_b32_e32 v47, 0
	v_lshl_add_u64 v[34:35], v[38:39], 0, v[46:47]
	global_load_ushort v34, v[34:35], off offset:64
	s_waitcnt vmcnt(0)
	v_lshlrev_b32_e32 v34, 16, v34
	v_sub_f32_e32 v34, v34, v36
	v_mul_f32_e32 v34, v52, v34
	v_lshrrev_b32_e32 v47, 16, v34
.LBB234_88:
	s_or_b64 exec, exec, s[6:7]
	s_and_saveexec_b64 s[6:7], s[4:5]
	s_cbranch_execz .LBB234_90
; %bb.89:
	v_mov_b32_e32 v41, 0
	v_lshl_add_u64 v[34:35], v[38:39], 0, v[40:41]
	global_load_ushort v34, v[34:35], off offset:64
	s_waitcnt vmcnt(0)
	v_lshlrev_b32_e32 v34, 16, v34
	v_sub_f32_e32 v34, v34, v37
	v_mul_f32_e32 v34, v49, v34
	v_lshrrev_b32_e32 v41, 16, v34
.LBB234_90:
	s_or_b64 exec, exec, s[6:7]
	s_mov_b32 s6, 0x5040100
	v_accvgpr_read_b32 v37, a3
	v_perm_b32 v63, v41, v47, s6
	v_or_b32_e32 v41, v53, v54
	v_accvgpr_read_b32 v36, a2
	v_accvgpr_read_b32 v35, a1
	;; [unrolled: 1-line block ×3, first 2 shown]
	v_perm_b32 v62, v45, v43, s6
	v_lshlrev_b32_e32 v41, 1, v41
	v_mov_b32_e32 v45, 0
	v_mov_b32_e32 v43, 0
	ds_write_b64 v41, v[62:63] offset:24576
	s_and_saveexec_b64 s[6:7], vcc
	s_cbranch_execz .LBB234_92
; %bb.91:
	v_mov_b32_e32 v43, 0
	v_lshl_add_u64 v[42:43], v[38:39], 0, v[42:43]
	global_load_ushort v41, v[42:43], off offset:96
	s_waitcnt vmcnt(0)
	v_lshlrev_b32_e32 v41, 16, v41
	v_sub_f32_e32 v34, v41, v34
	v_mul_f32_e32 v34, v50, v34
	v_lshrrev_b32_e32 v43, 16, v34
.LBB234_92:
	s_or_b64 exec, exec, s[6:7]
	s_and_saveexec_b64 s[6:7], s[0:1]
	s_cbranch_execz .LBB234_94
; %bb.93:
	v_mov_b32_e32 v45, 0
	v_lshl_add_u64 v[44:45], v[38:39], 0, v[44:45]
	global_load_ushort v34, v[44:45], off offset:96
	s_waitcnt vmcnt(0)
	v_lshlrev_b32_e32 v34, 16, v34
	v_sub_f32_e32 v34, v34, v35
	v_mul_f32_e32 v34, v48, v34
	v_lshrrev_b32_e32 v45, 16, v34
.LBB234_94:
	s_or_b64 exec, exec, s[6:7]
	v_mov_b32_e32 v41, 0
	v_mov_b32_e32 v44, 0
	s_and_saveexec_b64 s[0:1], s[2:3]
	s_cbranch_execz .LBB234_96
; %bb.95:
	v_mov_b32_e32 v47, 0
	v_lshl_add_u64 v[34:35], v[38:39], 0, v[46:47]
	global_load_ushort v34, v[34:35], off offset:96
	s_waitcnt vmcnt(0)
	v_lshlrev_b32_e32 v34, 16, v34
	v_sub_f32_e32 v34, v34, v36
	v_mul_f32_e32 v34, v52, v34
	v_lshrrev_b32_e32 v44, 16, v34
.LBB234_96:
	s_or_b64 exec, exec, s[0:1]
	v_or_b32_e32 v42, 0x6000, v58
	v_or_b32_e32 v36, 0x6000, v59
	v_or_b32_e32 v35, 0x6000, v60
	v_or_b32_e32 v34, 0x6000, v61
	s_and_saveexec_b64 s[0:1], s[4:5]
	s_cbranch_execz .LBB234_98
; %bb.97:
	v_mov_b32_e32 v41, 0
	v_lshl_add_u64 v[38:39], v[38:39], 0, v[40:41]
	global_load_ushort v38, v[38:39], off offset:96
	s_waitcnt vmcnt(0)
	v_lshlrev_b32_e32 v38, 16, v38
	v_sub_f32_e32 v37, v38, v37
	v_mul_f32_e32 v37, v49, v37
	v_lshrrev_b32_e32 v41, 16, v37
.LBB234_98:
	s_or_b64 exec, exec, s[0:1]
	s_mov_b32 s0, 0x5040100
	v_or_b32_e32 v37, v53, v51
	v_perm_b32 v39, v41, v44, s0
	v_perm_b32 v38, v45, v43, s0
	v_lshlrev_b32_e32 v37, 1, v37
	s_movk_i32 s0, 0x100
	ds_write_b64 v37, v[38:39] offset:24576
	v_and_b32_e32 v37, 7, v0
	v_and_b32_e32 v38, 8, v0
	v_cmp_gt_u32_e32 vcc, s0, v0
	v_lshrrev_b32_e32 v0, 1, v0
	v_lshlrev_b32_e32 v67, 3, v1
	v_and_b32_e32 v78, 24, v0
	v_mov_b32_e32 v39, 0xa000
	v_mov_b32_e32 v40, 0x8000
	v_xor_b32_e32 v0, v67, v78
	v_or_b32_e32 v48, 32, v78
	v_cndmask_b32_e32 v56, v39, v40, vcc
	v_or_b32_e32 v1, 0x440, v0
	v_cmp_eq_u32_e32 vcc, 0, v38
	v_xor_b32_e32 v48, v67, v48
	v_or_b32_e32 v49, 0x440, v48
	v_cndmask_b32_e32 v0, v1, v0, vcc
	v_lshlrev_b32_e32 v43, 3, v37
	v_lshlrev_b32_e32 v37, 7, v37
	v_or_b32_e32 v0, v0, v57
	v_cndmask_b32_e32 v48, v49, v48, vcc
	v_xad_u32 v79, v0, v43, v37
	v_or_b32_e32 v48, v48, v57
	v_add_u32_e32 v0, v56, v79
	v_xad_u32 v80, v48, v43, v37
	s_waitcnt lgkmcnt(0)
	s_barrier
	ds_read_b64 v[0:1], v0
	ds_read2_b64 v[38:41], v42 offset1:16
	ds_read2_b64 v[44:47], v42 offset0:32 offset1:48
	v_add_u32_e32 v48, v56, v80
	ds_read_b64 v[76:77], v48
	s_waitcnt lgkmcnt(2)
	v_mfma_f32_16x16x16_bf16 a[0:3], v[0:1], v[38:39], 0
	ds_read2st64_b64 v[48:51], v42 offset0:4 offset1:8
	ds_read2st64_b64 v[52:55], v36 offset0:4 offset1:8
	;; [unrolled: 1-line block ×3, first 2 shown]
	v_mfma_f32_16x16x16_bf16 a[4:7], v[0:1], v[40:41], 0
	ds_read2st64_b64 v[62:65], v34 offset0:4 offset1:8
	s_waitcnt lgkmcnt(5)
	v_mfma_f32_16x16x16_bf16 a[8:11], v[0:1], v[44:45], 0
	v_mfma_f32_16x16x16_bf16 a[12:15], v[0:1], v[46:47], 0
	v_or_b32_e32 v0, 64, v78
	v_xor_b32_e32 v0, v67, v0
	v_xor_b32_e32 v1, 0x440, v0
	v_cndmask_b32_e32 v0, v1, v0, vcc
	v_or_b32_e32 v0, v0, v57
	s_waitcnt lgkmcnt(3)
	v_mfma_f32_16x16x16_bf16 a[0:3], v[76:77], v[48:49], a[0:3]
	s_waitcnt lgkmcnt(2)
	v_mfma_f32_16x16x16_bf16 a[4:7], v[76:77], v[52:53], a[4:7]
	;; [unrolled: 2-line block ×4, first 2 shown]
	v_xad_u32 v76, v0, v43, v37
	v_add_u32_e32 v0, v56, v76
	ds_read_b64 v[0:1], v0
	v_or_b32_e32 v77, 0x60, v78
	v_xor_b32_e32 v67, v67, v77
	v_xor_b32_e32 v77, 0x440, v67
	v_cndmask_b32_e32 v67, v77, v67, vcc
	v_or_b32_e32 v57, v67, v57
	v_xad_u32 v67, v57, v43, v37
	v_add_u32_e32 v37, v56, v67
	s_waitcnt lgkmcnt(0)
	v_mfma_f32_16x16x16_bf16 a[0:3], v[0:1], v[50:51], a[0:3]
	ds_read_b64 v[56:57], v37
	ds_read_b64 v[42:43], v42 offset:6144
	v_mfma_f32_16x16x16_bf16 a[4:7], v[0:1], v[54:55], a[4:7]
	v_mfma_f32_16x16x16_bf16 a[8:11], v[0:1], v[60:61], a[8:11]
	;; [unrolled: 1-line block ×3, first 2 shown]
	ds_read_b64 v[0:1], v36 offset:6144
	ds_read_b64 v[36:37], v35 offset:6144
	;; [unrolled: 1-line block ×3, first 2 shown]
	s_waitcnt lgkmcnt(3)
	v_mfma_f32_16x16x16_bf16 a[0:3], v[56:57], v[42:43], a[0:3]
	s_waitcnt lgkmcnt(2)
	v_mfma_f32_16x16x16_bf16 a[4:7], v[56:57], v[0:1], a[4:7]
	;; [unrolled: 2-line block ×4, first 2 shown]
	ds_read_b64 v[56:57], v79 offset:40960
	s_waitcnt lgkmcnt(0)
	v_mfma_f32_16x16x16_bf16 a[20:23], v[56:57], v[40:41], 0
	v_mov_b32_e32 v40, 0x3fb8aa3b
	v_mul_f32_e32 v40, s12, v40
	v_mfma_f32_16x16x16_bf16 a[24:27], v[56:57], v[44:45], 0
	v_exp_f32_e32 v44, v40
	v_accvgpr_read_b32 v40, a0
	v_accvgpr_read_b32 v45, a3
	v_mfma_f32_16x16x16_bf16 a[16:19], v[56:57], v[38:39], 0
	ds_read_b64 v[38:39], v80 offset:40960
	v_fma_f32 v6, v6, v44, v40
	v_accvgpr_read_b32 v40, a1
	v_fma_f32 v7, v7, v44, v40
	v_accvgpr_read_b32 v40, a2
	v_mfma_f32_16x16x16_bf16 a[28:31], v[56:57], v[46:47], 0
	v_fma_f32 v8, v8, v44, v40
	ds_read_b64 v[40:41], v76 offset:40960
	v_fmac_f32_e32 v45, v9, v44
	s_waitcnt lgkmcnt(1)
	v_mfma_f32_16x16x16_bf16 a[16:19], v[38:39], v[48:49], a[16:19]
	v_accvgpr_read_b32 v9, a4
	v_fma_f32 v14, v14, v44, v9
	v_accvgpr_read_b32 v9, a5
	v_mfma_f32_16x16x16_bf16 a[20:23], v[38:39], v[52:53], a[20:23]
	v_fma_f32 v15, v15, v44, v9
	v_accvgpr_read_b32 v9, a6
	v_fma_f32 v16, v16, v44, v9
	v_mfma_f32_16x16x16_bf16 a[24:27], v[38:39], v[58:59], a[24:27]
	v_accvgpr_read_b32 v9, a8
	v_fma_f32 v22, v22, v44, v9
	v_accvgpr_read_b32 v9, a9
	v_mfma_f32_16x16x16_bf16 a[0:3], v[38:39], v[62:63], a[28:31]
	ds_read_b64 v[38:39], v67 offset:40960
	v_accvgpr_read_b32 v46, a7
	v_fma_f32 v23, v23, v44, v9
	s_waitcnt lgkmcnt(1)
	v_mfma_f32_16x16x16_bf16 a[16:19], v[40:41], v[50:51], a[16:19]
	v_accvgpr_read_b32 v9, a10
	v_fma_f32 v24, v24, v44, v9
	v_accvgpr_read_b32 v9, a12
	v_mfma_f32_16x16x16_bf16 a[4:7], v[40:41], v[54:55], a[20:23]
	v_fma_f32 v30, v30, v44, v9
	v_fmac_f32_e32 v46, v17, v44
	v_mov_b32_e32 v17, v46
	v_mfma_f32_16x16x16_bf16 a[20:23], v[40:41], v[60:61], a[24:27]
	v_mfma_f32_16x16x16_bf16 a[0:3], v[40:41], v[64:65], a[0:3]
	v_accvgpr_read_b32 v40, a11
	v_fmac_f32_e32 v40, v25, v44
	s_waitcnt lgkmcnt(0)
	v_mfma_f32_16x16x16_bf16 a[8:11], v[38:39], v[42:43], a[16:19]
	v_mfma_f32_16x16x16_bf16 a[4:7], v[38:39], v[0:1], a[4:7]
	v_accvgpr_read_b32 v0, a13
	v_fma_f32 v31, v31, v44, v0
	v_accvgpr_read_b32 v0, a14
	s_nop 2
	v_accvgpr_read_b32 v1, a8
	v_fma_f32 v2, v2, v44, v1
	v_accvgpr_read_b32 v1, a9
	v_fma_f32 v3, v3, v44, v1
	v_accvgpr_read_b32 v1, a10
	v_mfma_f32_16x16x16_bf16 a[16:19], v[38:39], v[36:37], a[20:23]
	v_fma_f32 v4, v4, v44, v1
	v_accvgpr_read_b32 v1, a11
	v_fmac_f32_e32 v1, v5, v44
	v_mfma_f32_16x16x16_bf16 a[0:3], v[38:39], v[34:35], a[0:3]
	v_accvgpr_read_b32 v5, a4
	v_fma_f32 v10, v10, v44, v5
	v_accvgpr_read_b32 v5, a5
	v_fma_f32 v11, v11, v44, v5
	v_accvgpr_read_b32 v5, a6
	v_fma_f32 v12, v12, v44, v5
	v_accvgpr_read_b32 v5, a16
	v_accvgpr_read_b32 v9, a0
	v_fma_f32 v18, v18, v44, v5
	v_accvgpr_read_b32 v5, a17
	v_fma_f32 v26, v26, v44, v9
	;; [unrolled: 2-line block ×5, first 2 shown]
	v_accvgpr_read_b32 v0, a15
	v_accvgpr_read_b32 v25, a7
	v_fma_f32 v20, v20, v44, v5
	v_accvgpr_read_b32 v5, a19
	v_fma_f32 v28, v28, v44, v9
	v_accvgpr_read_b32 v9, a3
	v_fmac_f32_e32 v0, v33, v44
	v_fmac_f32_e32 v25, v13, v44
	;; [unrolled: 1-line block ×4, first 2 shown]
	v_mov_b32_e32 v29, v9
	v_mov_b32_e32 v33, v0
	;; [unrolled: 1-line block ×7, first 2 shown]
.LBB234_99:
	s_waitcnt lgkmcnt(0)
	s_add_u32 s0, s30, s28
	s_addc_u32 s1, s31, s29
	v_lshl_add_u64 v[0:1], v[68:69], 2, s[0:1]
	v_mov_b32_e32 v67, 0
	v_lshl_add_u64 v[0:1], v[0:1], 0, v[66:67]
	s_waitcnt vmcnt(7)
	global_store_dwordx4 v[0:1], v[6:9], off
	s_waitcnt vmcnt(7)
	global_store_dwordx4 v[0:1], v[2:5], off offset:256
	v_lshl_add_u64 v[0:1], v[70:71], 2, s[0:1]
	v_lshl_add_u64 v[0:1], v[0:1], 0, v[66:67]
	s_waitcnt vmcnt(7)
	global_store_dwordx4 v[0:1], v[14:17], off
	s_waitcnt vmcnt(7)
	global_store_dwordx4 v[0:1], v[10:13], off offset:256
	v_lshl_add_u64 v[0:1], v[72:73], 2, s[0:1]
	;; [unrolled: 6-line block ×3, first 2 shown]
	v_lshl_add_u64 v[0:1], v[0:1], 0, v[66:67]
	s_waitcnt vmcnt(7)
	global_store_dwordx4 v[0:1], v[30:33], off
	s_waitcnt vmcnt(7)
	global_store_dwordx4 v[0:1], v[26:29], off offset:256
	s_endpgm
	.section	.rodata,"a",@progbits
	.p2align	6, 0x0
	.amdhsa_kernel _ZN12_GLOBAL__N_139chunk_gated_delta_rule_fwd_h_hip_kernelILi64ELb1ELb1ELb0ELb0ELb0ELb0ELb1ELb0EEEvPK12hip_bfloat16S3_S3_PKfS5_PKvPS1_S8_PvPKiSB_iiiiilll
		.amdhsa_group_segment_fixed_size 65536
		.amdhsa_private_segment_fixed_size 0
		.amdhsa_kernarg_size 136
		.amdhsa_user_sgpr_count 2
		.amdhsa_user_sgpr_dispatch_ptr 0
		.amdhsa_user_sgpr_queue_ptr 0
		.amdhsa_user_sgpr_kernarg_segment_ptr 1
		.amdhsa_user_sgpr_dispatch_id 0
		.amdhsa_user_sgpr_kernarg_preload_length 0
		.amdhsa_user_sgpr_kernarg_preload_offset 0
		.amdhsa_user_sgpr_private_segment_size 0
		.amdhsa_uses_dynamic_stack 0
		.amdhsa_enable_private_segment 0
		.amdhsa_system_sgpr_workgroup_id_x 1
		.amdhsa_system_sgpr_workgroup_id_y 1
		.amdhsa_system_sgpr_workgroup_id_z 0
		.amdhsa_system_sgpr_workgroup_info 0
		.amdhsa_system_vgpr_workitem_id 0
		.amdhsa_next_free_vgpr 224
		.amdhsa_next_free_sgpr 70
		.amdhsa_accum_offset 188
		.amdhsa_reserve_vcc 1
		.amdhsa_float_round_mode_32 0
		.amdhsa_float_round_mode_16_64 0
		.amdhsa_float_denorm_mode_32 3
		.amdhsa_float_denorm_mode_16_64 3
		.amdhsa_dx10_clamp 1
		.amdhsa_ieee_mode 1
		.amdhsa_fp16_overflow 0
		.amdhsa_tg_split 0
		.amdhsa_exception_fp_ieee_invalid_op 0
		.amdhsa_exception_fp_denorm_src 0
		.amdhsa_exception_fp_ieee_div_zero 0
		.amdhsa_exception_fp_ieee_overflow 0
		.amdhsa_exception_fp_ieee_underflow 0
		.amdhsa_exception_fp_ieee_inexact 0
		.amdhsa_exception_int_div_zero 0
	.end_amdhsa_kernel
	.section	.text._ZN12_GLOBAL__N_139chunk_gated_delta_rule_fwd_h_hip_kernelILi64ELb1ELb1ELb0ELb0ELb0ELb0ELb1ELb0EEEvPK12hip_bfloat16S3_S3_PKfS5_PKvPS1_S8_PvPKiSB_iiiiilll,"axG",@progbits,_ZN12_GLOBAL__N_139chunk_gated_delta_rule_fwd_h_hip_kernelILi64ELb1ELb1ELb0ELb0ELb0ELb0ELb1ELb0EEEvPK12hip_bfloat16S3_S3_PKfS5_PKvPS1_S8_PvPKiSB_iiiiilll,comdat
.Lfunc_end234:
	.size	_ZN12_GLOBAL__N_139chunk_gated_delta_rule_fwd_h_hip_kernelILi64ELb1ELb1ELb0ELb0ELb0ELb0ELb1ELb0EEEvPK12hip_bfloat16S3_S3_PKfS5_PKvPS1_S8_PvPKiSB_iiiiilll, .Lfunc_end234-_ZN12_GLOBAL__N_139chunk_gated_delta_rule_fwd_h_hip_kernelILi64ELb1ELb1ELb0ELb0ELb0ELb0ELb1ELb0EEEvPK12hip_bfloat16S3_S3_PKfS5_PKvPS1_S8_PvPKiSB_iiiiilll
                                        ; -- End function
	.section	.AMDGPU.csdata,"",@progbits
; Kernel info:
; codeLenInByte = 12208
; NumSgprs: 76
; NumVgprs: 188
; NumAgprs: 36
; TotalNumVgprs: 224
; ScratchSize: 0
; MemoryBound: 0
; FloatMode: 240
; IeeeMode: 1
; LDSByteSize: 65536 bytes/workgroup (compile time only)
; SGPRBlocks: 9
; VGPRBlocks: 27
; NumSGPRsForWavesPerEU: 76
; NumVGPRsForWavesPerEU: 224
; AccumOffset: 188
; Occupancy: 1
; WaveLimiterHint : 1
; COMPUTE_PGM_RSRC2:SCRATCH_EN: 0
; COMPUTE_PGM_RSRC2:USER_SGPR: 2
; COMPUTE_PGM_RSRC2:TRAP_HANDLER: 0
; COMPUTE_PGM_RSRC2:TGID_X_EN: 1
; COMPUTE_PGM_RSRC2:TGID_Y_EN: 1
; COMPUTE_PGM_RSRC2:TGID_Z_EN: 0
; COMPUTE_PGM_RSRC2:TIDIG_COMP_CNT: 0
; COMPUTE_PGM_RSRC3_GFX90A:ACCUM_OFFSET: 46
; COMPUTE_PGM_RSRC3_GFX90A:TG_SPLIT: 0
	.section	.text._ZN12_GLOBAL__N_139chunk_gated_delta_rule_fwd_h_hip_kernelILi64ELb1ELb0ELb1ELb0ELb0ELb0ELb1ELb0EEEvPK12hip_bfloat16S3_S3_PKfS5_PKvPS1_S8_PvPKiSB_iiiiilll,"axG",@progbits,_ZN12_GLOBAL__N_139chunk_gated_delta_rule_fwd_h_hip_kernelILi64ELb1ELb0ELb1ELb0ELb0ELb0ELb1ELb0EEEvPK12hip_bfloat16S3_S3_PKfS5_PKvPS1_S8_PvPKiSB_iiiiilll,comdat
	.globl	_ZN12_GLOBAL__N_139chunk_gated_delta_rule_fwd_h_hip_kernelILi64ELb1ELb0ELb1ELb0ELb0ELb0ELb1ELb0EEEvPK12hip_bfloat16S3_S3_PKfS5_PKvPS1_S8_PvPKiSB_iiiiilll ; -- Begin function _ZN12_GLOBAL__N_139chunk_gated_delta_rule_fwd_h_hip_kernelILi64ELb1ELb0ELb1ELb0ELb0ELb0ELb1ELb0EEEvPK12hip_bfloat16S3_S3_PKfS5_PKvPS1_S8_PvPKiSB_iiiiilll
	.p2align	8
	.type	_ZN12_GLOBAL__N_139chunk_gated_delta_rule_fwd_h_hip_kernelILi64ELb1ELb0ELb1ELb0ELb0ELb0ELb1ELb0EEEvPK12hip_bfloat16S3_S3_PKfS5_PKvPS1_S8_PvPKiSB_iiiiilll,@function
_ZN12_GLOBAL__N_139chunk_gated_delta_rule_fwd_h_hip_kernelILi64ELb1ELb0ELb1ELb0ELb0ELb0ELb1ELb0EEEvPK12hip_bfloat16S3_S3_PKfS5_PKvPS1_S8_PvPKiSB_iiiiilll: ; @_ZN12_GLOBAL__N_139chunk_gated_delta_rule_fwd_h_hip_kernelILi64ELb1ELb0ELb1ELb0ELb0ELb0ELb1ELb0EEEvPK12hip_bfloat16S3_S3_PKfS5_PKvPS1_S8_PvPKiSB_iiiiilll
; %bb.0:
	s_load_dwordx4 s[12:15], s[0:1], 0x5c
	s_load_dwordx4 s[20:23], s[0:1], 0x70
	s_abs_i32 s6, s3
	s_ashr_i32 s5, s3, 31
	s_load_dwordx4 s[16:19], s[0:1], 0x28
	s_load_dwordx2 s[28:29], s[0:1], 0x38
	s_waitcnt lgkmcnt(0)
	s_abs_i32 s4, s13
	v_cvt_f32_u32_e32 v1, s4
	s_sub_i32 s8, 0, s4
	s_ashr_i32 s7, s13, 31
	s_xor_b32 s5, s5, s7
	v_rcp_iflag_f32_e32 v1, v1
	v_and_b32_e32 v79, 15, v0
	v_lshrrev_b32_e32 v77, 6, v0
	v_bfe_u32 v78, v0, 4, 2
	v_mul_f32_e32 v1, 0x4f7ffffe, v1
	v_cvt_u32_f32_e32 v1, v1
	v_mov_b32_e32 v11, 0
	v_and_b32_e32 v76, 63, v0
	v_lshrrev_b32_e32 v81, 3, v76
	v_readfirstlane_b32 s9, v1
	s_mul_i32 s8, s8, s9
	s_mul_hi_u32 s8, s9, s8
	s_add_i32 s9, s9, s8
	s_mul_hi_u32 s8, s6, s9
	s_mul_i32 s9, s8, s4
	s_sub_i32 s6, s6, s9
	s_add_i32 s10, s8, 1
	s_sub_i32 s9, s6, s4
	s_cmp_ge_u32 s6, s4
	s_cselect_b32 s8, s10, s8
	s_cselect_b32 s6, s9, s6
	s_add_i32 s9, s8, 1
	s_cmp_ge_u32 s6, s4
	s_cselect_b32 s6, s9, s8
	s_xor_b32 s6, s6, s5
	s_add_i32 s8, s12, 63
	s_sub_i32 s51, s6, s5
	s_ashr_i32 s9, s8, 31
	s_mul_i32 s5, s51, s13
	s_sub_i32 s48, s3, s5
	s_lshr_b32 s3, s9, 26
	s_add_i32 s8, s8, s3
	s_abs_i32 s3, s14
	v_cvt_f32_u32_e32 v1, s3
	s_ashr_i32 s50, s12, 31
	s_lshr_b32 s6, s50, 26
	s_add_i32 s6, s12, s6
	v_rcp_iflag_f32_e32 v1, v1
	s_ashr_i32 s53, s14, 31
	s_ashr_i32 s24, s8, 6
	;; [unrolled: 1-line block ×3, first 2 shown]
	v_mul_f32_e32 v1, 0x4f7ffffe, v1
	v_cvt_u32_f32_e32 v1, v1
	s_xor_b32 s6, s7, s53
	s_sub_i32 s7, 0, s3
	s_lshl_b32 s2, s2, 6
	v_readfirstlane_b32 s8, v1
	s_mul_i32 s7, s7, s8
	s_mul_hi_u32 s7, s8, s7
	s_add_i32 s8, s8, s7
	s_mul_hi_u32 s7, s4, s8
	s_mul_i32 s8, s7, s3
	s_sub_i32 s4, s4, s8
	s_add_i32 s8, s7, 1
	s_sub_i32 s9, s4, s3
	s_cmp_ge_u32 s4, s3
	s_cselect_b32 s7, s8, s7
	s_cselect_b32 s4, s9, s4
	s_add_i32 s8, s7, 1
	s_cmp_ge_u32 s4, s3
	s_cselect_b32 s3, s8, s7
	s_xor_b32 s3, s3, s6
	s_sub_i32 s3, s3, s6
	s_abs_i32 s4, s3
	v_cvt_f32_u32_e32 v1, s4
	s_sub_i32 s7, 0, s4
	s_abs_i32 s6, s48
	s_xor_b32 s3, s48, s3
	v_rcp_iflag_f32_e32 v1, v1
	s_ashr_i32 s3, s3, 31
	v_or_b32_e32 v66, s2, v79
	v_lshlrev_b32_e32 v2, 7, v66
	v_mul_f32_e32 v1, 0x4f7ffffe, v1
	v_cvt_u32_f32_e32 v1, v1
	v_ashrrev_i32_e32 v3, 31, v2
	s_mul_i32 s55, s51, s24
	v_lshlrev_b32_e32 v80, 3, v0
	v_readfirstlane_b32 s8, v1
	s_mul_i32 s7, s7, s8
	s_mul_hi_u32 s7, s8, s7
	s_add_i32 s8, s8, s7
	s_mul_hi_u32 s7, s6, s8
	s_mul_i32 s8, s7, s4
	s_sub_i32 s6, s6, s8
	s_add_i32 s8, s7, 1
	s_sub_i32 s9, s6, s4
	s_cmp_ge_u32 s6, s4
	s_cselect_b32 s7, s8, s7
	s_cselect_b32 s6, s9, s6
	s_add_i32 s8, s7, 1
	s_cmp_ge_u32 s6, s4
	s_cselect_b32 s4, s8, s7
	s_xor_b32 s4, s4, s3
	s_sub_i32 s54, s4, s3
	s_ashr_i32 s3, s51, 31
	s_ashr_i32 s49, s48, 31
	s_mul_hi_i32 s4, s51, s13
	s_add_u32 s38, s5, s48
	s_addc_u32 s39, s4, s49
	s_lshl_b64 s[4:5], s[38:39], 16
	v_lshlrev_b32_e32 v1, 4, v77
	s_add_u32 s4, s16, s4
	v_lshl_or_b32 v82, v78, 2, v1
	s_addc_u32 s5, s17, s5
	v_lshl_add_u64 v[4:5], v[2:3], 2, s[4:5]
	v_lshlrev_b32_e32 v10, 2, v82
	v_lshl_add_u64 v[4:5], v[4:5], 0, v[10:11]
	global_load_dwordx4 v[22:25], v[4:5], off
	global_load_dwordx4 v[30:33], v[4:5], off offset:256
	v_or_b32_e32 v4, 0x800, v2
	v_ashrrev_i32_e32 v5, 31, v4
	v_lshl_add_u64 v[4:5], v[4:5], 2, s[4:5]
	v_lshl_add_u64 v[4:5], v[4:5], 0, v[10:11]
	global_load_dwordx4 v[14:17], v[4:5], off
	global_load_dwordx4 v[26:29], v[4:5], off offset:256
	v_or_b32_e32 v4, 0x1000, v2
	v_or_b32_e32 v2, 0x1800, v2
	v_ashrrev_i32_e32 v5, 31, v4
	v_ashrrev_i32_e32 v3, 31, v2
	v_lshl_add_u64 v[4:5], v[4:5], 2, s[4:5]
	v_lshl_add_u64 v[2:3], v[2:3], 2, s[4:5]
	;; [unrolled: 1-line block ×4, first 2 shown]
	global_load_dwordx4 v[6:9], v[4:5], off
	global_load_dwordx4 v[18:21], v[4:5], off offset:256
	s_nop 0
	global_load_dwordx4 v[2:5], v[34:35], off
	global_load_dwordx4 v[10:13], v[34:35], off offset:256
	s_load_dwordx8 s[4:11], s[0:1], 0x0
	s_load_dwordx2 s[30:31], s[0:1], 0x80
	v_or_b32_e32 v83, 64, v82
	s_cmp_lt_i32 s12, 64
	s_mul_i32 s56, s39, s12
	s_mul_hi_u32 s57, s38, s12
	s_mul_i32 s16, s38, s12
	s_mul_i32 s33, s51, s21
	s_mul_hi_u32 s44, s51, s20
	s_mul_i32 s39, s3, s20
	s_mul_i32 s36, s51, s20
	;; [unrolled: 1-line block ×3, first 2 shown]
	s_mul_hi_u32 s46, s48, s22
	s_mul_i32 s47, s49, s22
	s_mul_i32 s34, s48, s22
	s_cbranch_scc1 .LBB235_18
; %bb.1:
	s_add_i32 s17, s57, s56
	s_lshl_b64 s[0:1], s[16:17], 8
	v_and_b32_e32 v85, 56, v80
	s_waitcnt lgkmcnt(0)
	s_add_u32 s20, s6, s0
	v_lshl_or_b32 v84, v77, 3, v81
	v_lshlrev_b32_e32 v34, 1, v85
	s_addc_u32 s0, s7, s1
	v_lshl_or_b32 v86, v84, 8, v34
	s_and_b32 s21, s0, 0xffff
	s_mov_b32 s23, 0x20000
	s_movk_i32 s22, 0x4000
	s_movk_i32 s0, 0x80
	v_or_b32_e32 v87, 0x2000, v86
	buffer_load_dwordx4 v[36:39], v86, s[20:23], 0 offen
	buffer_load_dwordx4 v[40:43], v86, s[20:23], s0 offen
	buffer_load_dwordx4 v[44:47], v87, s[20:23], 0 offen
	buffer_load_dwordx4 v[48:51], v87, s[20:23], s0 offen
	v_lshlrev_b32_e32 v35, 3, v84
	v_and_or_b32 v53, v0, 7, v35
	v_and_b32_e32 v35, 0x78, v35
	v_lshlrev_b32_e32 v53, 4, v53
	v_xor_b32_e32 v88, v53, v35
	v_mul_lo_u32 v52, v84, s15
	v_or_b32_e32 v89, 0x1000, v88
	v_xor_b32_e32 v35, 8, v88
	s_cmpk_eq_i32 s15, 0x80
	s_mov_b32 s58, s14
	v_xor_b32_e32 v53, 8, v89
	s_cselect_b64 s[0:1], -1, 0
	s_cmpk_lg_i32 s15, 0x80
	s_waitcnt vmcnt(3)
	ds_write_b64 v88, v[36:37] offset:49152
	ds_write_b64 v35, v[38:39] offset:49152
	s_waitcnt vmcnt(2)
	ds_write_b64 v88, v[40:41] offset:57344
	ds_write_b64 v35, v[42:43] offset:57344
	s_waitcnt vmcnt(1)
	ds_write_b64 v88, v[44:45] offset:53248
	ds_write_b64 v53, v[46:47] offset:49152
	s_waitcnt vmcnt(0)
	ds_write_b64 v88, v[48:49] offset:61440
	ds_write_b64 v53, v[50:51] offset:57344
	v_lshl_add_u32 v35, v52, 1, v85
	s_cbranch_scc0 .LBB235_3
; %bb.2:
	v_lshlrev_b32_e32 v37, 1, v35
	v_add_lshl_u32 v36, v35, s15, 1
	s_lshl_b32 s22, s15, 7
	v_lshl_or_b32 v34, v84, 9, v34
	s_cbranch_execz .LBB235_4
	s_branch .LBB235_5
.LBB235_3:
                                        ; implicit-def: $vgpr36
                                        ; implicit-def: $vgpr37
                                        ; implicit-def: $sgpr22
	v_lshl_or_b32 v34, v84, 9, v34
.LBB235_4:
	v_or_b32_e32 v36, 0x100, v34
	s_movk_i32 s22, 0x4000
	v_mov_b32_e32 v37, v34
.LBB235_5:
	s_mul_hi_u32 s20, s14, s12
	s_mul_i32 s21, s53, s12
	s_add_i32 s20, s20, s21
	s_mul_i32 s21, s14, s12
	s_mul_i32 s23, s21, s3
	s_mul_hi_u32 s24, s21, s51
	s_add_i32 s23, s24, s23
	s_mul_i32 s20, s20, s51
	s_add_i32 s23, s23, s20
	s_mul_i32 s21, s21, s51
	s_ashr_i32 s59, s54, 31
	s_add_u32 s20, s21, s54
	s_addc_u32 s21, s23, s59
	s_lshl_b64 s[20:21], s[20:21], 8
	s_add_u32 s20, s4, s20
	s_addc_u32 s21, s5, s21
	s_and_b32 s21, s21, 0xffff
	s_mov_b32 s23, 0x20000
	s_movk_i32 s60, 0x80
	buffer_load_dwordx4 v[38:41], v37, s[20:23], 0 offen
	buffer_load_dwordx4 v[42:45], v37, s[20:23], s60 offen
	;; [unrolled: 1-line block ×4, first 2 shown]
	v_and_b32_e32 v37, 6, v0
	v_lshlrev_b32_e32 v36, 7, v82
	v_xor_b32_e32 v58, v84, v37
	v_and_b32_e32 v54, 1, v0
	v_lshl_or_b32 v61, v79, 3, v36
	v_lshlrev_b32_e32 v58, 2, v58
	v_or_b32_e32 v90, 0x4000, v61
	v_or_b32_e32 v91, 0x6000, v61
	v_xor_b32_e32 v61, 0x440, v58
	v_cmp_eq_u32_e32 vcc, 0, v54
	v_lshlrev_b32_e32 v55, 2, v79
	s_mov_b32 s62, 0x1000504
	v_cndmask_b32_e32 v54, v61, v58, vcc
	v_xor_b32_e32 v59, v82, v55
	v_xor_b32_e32 v60, v83, v55
	v_lshl_or_b32 v37, v37, 10, v54
	s_mov_b32 s63, 0x3020706
	v_lshlrev_b32_e32 v56, 8, v79
	v_or_b32_e32 v57, 16, v79
	v_lshlrev_b32_e32 v59, 1, v59
	v_lshlrev_b32_e32 v60, 1, v60
	v_xor_b32_e32 v54, 8, v37
	v_xor_b32_e32 v58, 24, v37
	;; [unrolled: 1-line block ×4, first 2 shown]
	s_mul_i32 s3, s3, s12
	s_mul_hi_u32 s20, s51, s12
	v_or_b32_e32 v93, v56, v59
	v_or_b32_e32 v94, v56, v60
	v_xor_b32_e32 v56, 16, v37
	v_xor_b32_e32 v61, 32, v37
	;; [unrolled: 1-line block ×3, first 2 shown]
	v_add_u32_e32 v54, 0x80, v54
	v_add_u32_e32 v58, 0x80, v58
	;; [unrolled: 1-line block ×4, first 2 shown]
	s_add_i32 s65, s20, s3
	s_add_i32 s3, s44, s33
	;; [unrolled: 1-line block ×5, first 2 shown]
	s_lshl_b64 s[20:21], s[36:37], 2
	s_add_u32 s3, s10, s20
	s_addc_u32 s24, s11, s21
	s_lshl_b64 s[20:21], s[34:35], 2
	s_add_u32 s40, s3, s20
	s_movk_i32 s3, 0xf8
	s_addc_u32 s41, s24, s21
	s_lshl_b32 s26, s15, 7
	s_movk_i32 s24, 0x100
	v_mov_b32_e32 v69, 0
	v_cmp_gt_u32_e32 vcc, s24, v0
	v_lshl_or_b32 v62, v57, 3, v36
	s_mov_b32 s61, 0
	s_mul_i32 s64, s51, s12
	v_or_b32_e32 v92, 0x4000, v62
	s_movk_i32 s22, 0x4000
	v_or_b32_e32 v95, 0x6000, v62
	s_movk_i32 s35, 0x2000
	s_movk_i32 s37, 0x3000
	v_mov_b32_e32 v133, 0x3fb8aa3b
	s_mov_b32 s67, 0
	s_waitcnt vmcnt(1)
	v_perm_b32 v67, v38, v46, s62
	s_waitcnt vmcnt(0)
	v_perm_b32 v68, v42, v50, s62
	v_perm_b32 v38, v38, v46, s63
	;; [unrolled: 1-line block ×15, first 2 shown]
	ds_write2st64_b32 v37, v67, v68 offset0:128 offset1:160
	ds_write2st64_b32 v54, v38, v42 offset0:128 offset1:160
	;; [unrolled: 1-line block ×8, first 2 shown]
	v_lshlrev_b32_e32 v37, 8, v57
	v_or_b32_e32 v96, v37, v59
	v_or_b32_e32 v97, v37, v60
	;; [unrolled: 1-line block ×3, first 2 shown]
	v_lshl_or_b32 v38, v37, 3, v36
	v_lshlrev_b32_e32 v37, 8, v37
	v_or_b32_e32 v100, v37, v59
	v_or_b32_e32 v101, v37, v60
	;; [unrolled: 1-line block ×5, first 2 shown]
	v_lshl_or_b32 v38, v37, 3, v36
	v_lshlrev_b32_e32 v37, 8, v37
	v_or_b32_e32 v104, v37, v59
	v_or_b32_e32 v105, v37, v60
	;; [unrolled: 1-line block ×3, first 2 shown]
	v_lshlrev_b32_e32 v37, 3, v37
	v_lshrrev_b32_e32 v39, 5, v76
	v_and_or_b32 v39, v37, s3, v39
	v_lshlrev_b32_e32 v39, 4, v39
	v_lshlrev_b32_e32 v40, 11, v77
	v_and_b32_e32 v37, 0x78, v37
	v_or_b32_e32 v45, 32, v39
	v_or_b32_e32 v102, 0x4000, v38
	;; [unrolled: 1-line block ×3, first 2 shown]
	v_and_b32_e32 v38, 0x1000, v40
	v_xor_b32_e32 v41, v39, v37
	v_lshrrev_b32_e32 v42, 1, v0
	v_xor_b32_e32 v45, v45, v37
	v_or_b32_e32 v41, v41, v38
	v_and_b32_e32 v43, 8, v42
	v_or_b32_e32 v45, v45, v38
	v_xor_b32_e32 v106, v41, v43
	v_lshlrev_b32_e32 v41, 8, v78
	v_xor_b32_e32 v108, v45, v43
	v_or_b32_e32 v45, 64, v39
	v_or_b32_e32 v39, 0x60, v39
	s_ashr_i32 s3, s2, 31
	v_or_b32_e32 v44, v41, v55
	v_xor_b32_e32 v45, v45, v37
	v_xor_b32_e32 v37, v39, v37
	s_lshl_b64 s[20:21], s[2:3], 8
	v_lshlrev_b32_e32 v44, 1, v44
	v_or_b32_e32 v45, v45, v38
	v_or_b32_e32 v37, v37, v38
	s_add_u32 s20, s18, s20
	v_lshlrev_b32_e32 v38, 1, v79
	v_or_b32_e32 v107, 0x4000, v44
	v_or_b32_e32 v109, 0x4080, v44
	;; [unrolled: 1-line block ×8, first 2 shown]
	v_lshrrev_b32_e32 v44, 4, v0
	s_addc_u32 s21, s19, s21
	v_or_b32_e32 v39, 1, v38
	v_lshlrev_b32_e32 v68, 4, v79
	v_mov_b32_e32 v48, 0xa000
	v_mov_b32_e32 v49, 0x8000
	v_xor_b32_e32 v112, v45, v43
	v_xor_b32_e32 v45, v44, v38
	;; [unrolled: 1-line block ×3, first 2 shown]
	v_lshl_add_u64 v[38:39], s[20:21], 0, v[68:69]
	v_lshlrev_b32_e32 v68, 8, v44
	v_cndmask_b32_e32 v48, v48, v49, vcc
	v_lshlrev_b32_e32 v49, 3, v77
	v_and_b32_e32 v42, 24, v42
	v_lshl_or_b32 v118, v45, 3, v68
	v_and_b32_e32 v45, 8, v0
	v_xor_b32_e32 v50, v49, v42
	v_or_b32_e32 v51, 0x440, v50
	v_cmp_eq_u32_e32 vcc, 0, v45
	v_and_b32_e32 v44, 7, v0
	v_lshl_or_b32 v119, v46, 3, v68
	v_cndmask_b32_e32 v45, v51, v50, vcc
	v_lshlrev_b32_e32 v46, 3, v44
	v_lshlrev_b32_e32 v44, 7, v44
	v_or_b32_e32 v45, v45, v40
	v_lshlrev_b32_e32 v47, 2, v0
	v_xad_u32 v120, v45, v46, v44
	v_or_b32_e32 v45, 32, v42
	v_and_or_b32 v41, v47, 60, v41
	v_xor_b32_e32 v45, v49, v45
	v_lshlrev_b32_e32 v41, 1, v41
	v_or_b32_e32 v47, 0x440, v45
	v_or_b32_e32 v121, 0x6000, v41
	v_cndmask_b32_e32 v45, v47, v45, vcc
	v_or_b32_e32 v123, 0x6080, v41
	v_or_b32_e32 v124, 0x6100, v41
	;; [unrolled: 1-line block ×5, first 2 shown]
	v_xor_b32_e32 v41, v49, v41
	v_xad_u32 v122, v45, v46, v44
	v_xor_b32_e32 v45, 0x440, v41
	v_cndmask_b32_e32 v41, v45, v41, vcc
	v_or_b32_e32 v41, v41, v40
	v_xad_u32 v126, v41, v46, v44
	v_or_b32_e32 v41, 0x60, v42
	v_xor_b32_e32 v41, v49, v41
	v_xor_b32_e32 v42, 0x440, v41
	v_cndmask_b32_e32 v41, v42, v41, vcc
	v_xor_b32_e32 v113, v37, v43
	v_ashrrev_i32_e32 v67, 31, v66
	v_lshlrev_b32_e32 v37, 1, v35
	v_add_lshl_u32 v35, v35, s15, 1
	v_or_b32_e32 v43, 0x100, v34
	v_or_b32_e32 v40, v41, v40
	v_xad_u32 v127, v40, v46, v44
	v_cndmask_b32_e64 v128, v37, v34, s[0:1]
	v_cndmask_b32_e64 v129, v35, v43, s[0:1]
	v_lshlrev_b64 v[34:35], 1, v[66:67]
	v_lshl_add_u64 v[70:71], s[8:9], 0, v[34:35]
	v_lshl_add_u64 v[72:73], s[28:29], 0, v[34:35]
	;; [unrolled: 1-line block ×3, first 2 shown]
	s_mov_b32 s3, 0x7060302
	v_lshlrev_b32_e32 v68, 1, v36
	v_add_u32_e32 v67, v48, v120
	v_add_u32_e32 v130, v48, v122
	;; [unrolled: 1-line block ×4, first 2 shown]
	s_waitcnt lgkmcnt(0)
	s_barrier
.LBB235_6:                              ; =>This Inner Loop Header: Depth=1
	s_add_i32 s66, s67, 1
	s_cmp_lt_i32 s66, s52
	s_mov_b64 s[24:25], 0
	s_cselect_b64 s[42:43], -1, 0
	s_cmp_ge_i32 s66, s52
	s_mov_b64 s[20:21], 0
	s_cbranch_scc1 .LBB235_8
; %bb.7:                                ;   in Loop: Header=BB235_6 Depth=1
	s_add_i32 s0, s61, 64
	s_add_u32 s0, s16, s0
	s_addc_u32 s1, s17, 0
	s_lshl_b64 s[0:1], s[0:1], 8
	s_add_u32 s20, s6, s0
	s_addc_u32 s21, s7, s1
.LBB235_8:                              ;   in Loop: Header=BB235_6 Depth=1
	v_cndmask_b32_e64 v34, 0, 1, s[42:43]
	v_cmp_ne_u32_e64 s[0:1], 1, v34
	s_andn2_b64 vcc, exec, s[42:43]
	s_cbranch_vccnz .LBB235_10
; %bb.9:                                ;   in Loop: Header=BB235_6 Depth=1
	s_add_i32 s24, s61, 64
	s_add_u32 s24, s64, s24
	s_addc_u32 s25, s65, 0
	s_mul_i32 s27, s24, s53
	s_mul_hi_u32 s42, s24, s58
	s_add_i32 s27, s42, s27
	s_mul_i32 s25, s25, s58
	s_add_i32 s27, s27, s25
	s_mul_i32 s24, s24, s58
	s_add_u32 s24, s24, s54
	s_addc_u32 s25, s27, s59
	s_lshl_b64 s[24:25], s[24:25], 8
	s_add_u32 s24, s4, s24
	s_addc_u32 s25, s5, s25
.LBB235_10:                             ;   in Loop: Header=BB235_6 Depth=1
	v_perm_b32 v35, v25, v24, s3
	v_perm_b32 v34, v23, v22, s3
	v_perm_b32 v37, v33, v32, s3
	v_perm_b32 v36, v31, v30, s3
	ds_write_b64 v90, v[34:35]
	ds_write_b64 v91, v[36:37]
	ds_write_b64 v93, v[34:35]
	ds_write_b64 v94, v[36:37]
	v_perm_b32 v35, v17, v16, s3
	v_perm_b32 v34, v15, v14, s3
	v_perm_b32 v37, v29, v28, s3
	v_perm_b32 v36, v27, v26, s3
	ds_write_b64 v92, v[34:35]
	ds_write_b64 v95, v[36:37]
	ds_write_b64 v96, v[34:35]
	ds_write_b64 v97, v[36:37]
	;; [unrolled: 8-line block ×4, first 2 shown]
	s_waitcnt lgkmcnt(0)
	s_barrier
	ds_read_b64 v[38:39], v106 offset:49152
	ds_read2_b64 v[34:37], v107 offset1:16
	ds_read_b64 v[50:51], v109 offset:6144
	ds_read_b64 v[52:53], v107 offset:6144
	s_waitcnt lgkmcnt(2)
	v_mfma_f32_16x16x16_bf16 a[0:3], v[38:39], v[34:35], 0
	ds_read_b64 v[54:55], v108 offset:49152
	ds_read2st64_b64 v[42:45], v110 offset0:4 offset1:8
	ds_read2st64_b64 v[46:49], v111 offset0:4 offset1:8
	v_mfma_f32_16x16x16_bf16 a[4:7], v[38:39], v[36:37], 0
	ds_read2_b64 v[34:37], v107 offset0:32 offset1:48
	s_add_i32 s27, s61, 63
	s_mul_i32 s42, s27, s31
	s_waitcnt lgkmcnt(0)
	v_mfma_f32_16x16x16_bf16 a[8:11], v[38:39], v[34:35], 0
	s_mul_hi_u32 s43, s27, s30
	s_add_i32 s43, s43, s42
	s_mul_i32 s42, s27, s30
	v_mfma_f32_16x16x16_bf16 a[12:15], v[38:39], v[36:37], 0
	ds_read2st64_b64 v[34:37], v107 offset0:4 offset1:8
	ds_read2st64_b64 v[38:41], v109 offset0:4 offset1:8
	s_lshl_b64 s[42:43], s[42:43], 2
	s_waitcnt lgkmcnt(1)
	v_mfma_f32_16x16x16_bf16 a[0:3], v[54:55], v[34:35], a[0:3]
	s_add_u32 s42, s40, s42
	s_addc_u32 s43, s41, s43
	s_and_b64 vcc, exec, s[0:1]
	s_waitcnt lgkmcnt(0)
	v_mfma_f32_16x16x16_bf16 a[4:7], v[54:55], v[38:39], a[4:7]
	v_mov_b32_e32 v136, 0
	v_mov_b32_e32 v135, 0
	;; [unrolled: 1-line block ×3, first 2 shown]
	v_mfma_f32_16x16x16_bf16 a[8:11], v[54:55], v[42:43], a[8:11]
	ds_read_b64 v[34:35], v112 offset:49152
	ds_read_b64 v[38:39], v113 offset:49152
	;; [unrolled: 1-line block ×3, first 2 shown]
	v_mfma_f32_16x16x16_bf16 a[12:15], v[54:55], v[46:47], a[12:15]
	v_mov_b32_e32 v46, 0
	v_mov_b32_e32 v47, 0
	s_waitcnt lgkmcnt(2)
	v_mfma_f32_16x16x16_bf16 a[0:3], v[34:35], v[36:37], a[0:3]
	v_mov_b32_e32 v36, 0
	v_mov_b32_e32 v37, 0
	v_mfma_f32_16x16x16_bf16 a[4:7], v[34:35], v[40:41], a[4:7]
	v_mov_b32_e32 v40, 0
	v_mov_b32_e32 v41, 0
	;; [unrolled: 3-line block ×3, first 2 shown]
	v_mfma_f32_16x16x16_bf16 a[12:15], v[34:35], v[48:49], a[12:15]
	ds_read_b64 v[34:35], v110 offset:6144
	v_mov_b32_e32 v48, 0
	v_mov_b32_e32 v49, 0
	s_waitcnt lgkmcnt(2)
	v_mfma_f32_16x16x16_bf16 a[0:3], v[38:39], v[52:53], a[0:3]
	v_mfma_f32_16x16x16_bf16 a[4:7], v[38:39], v[50:51], a[4:7]
	s_waitcnt lgkmcnt(0)
	v_mfma_f32_16x16x16_bf16 a[8:11], v[38:39], v[34:35], a[8:11]
	v_mov_b32_e32 v34, 0
	v_mov_b32_e32 v35, 0
	v_mfma_f32_16x16x16_bf16 a[12:15], v[38:39], v[42:43], a[12:15]
	v_mov_b32_e32 v38, 0
	v_mov_b32_e32 v39, 0
	;; [unrolled: 1-line block ×4, first 2 shown]
	s_cbranch_vccnz .LBB235_12
; %bb.11:                               ;   in Loop: Header=BB235_6 Depth=1
	s_and_b32 s21, s21, 0xffff
	buffer_load_dwordx4 v[46:49], v86, s[20:23], 0 offen
	buffer_load_dwordx4 v[42:45], v86, s[20:23], s60 offen
	;; [unrolled: 1-line block ×4, first 2 shown]
	v_mov_b32_e32 v135, v88
	v_mov_b32_e32 v134, v89
.LBB235_12:                             ;   in Loop: Header=BB235_6 Depth=1
	ds_read_b64 v[142:143], v106 offset:57344
	ds_read2_b64 v[50:53], v114 offset1:16
	ds_read_b64 v[144:145], v108 offset:57344
	ds_read_b64 v[146:147], v112 offset:57344
	;; [unrolled: 1-line block ×3, first 2 shown]
	v_add_u32_e32 v137, s61, v82
	s_waitcnt lgkmcnt(3)
	v_mfma_f32_16x16x16_bf16 a[0:3], v[142:143], v[50:51], a[0:3]
	v_mfma_f32_16x16x16_bf16 a[4:7], v[142:143], v[52:53], a[4:7]
	ds_read2_b64 v[50:53], v114 offset0:32 offset1:48
	ds_read2st64_b64 v[54:57], v114 offset0:4 offset1:8
	ds_read2st64_b64 v[58:61], v115 offset0:4 offset1:8
	;; [unrolled: 1-line block ×4, first 2 shown]
	s_waitcnt lgkmcnt(4)
	v_mfma_f32_16x16x16_bf16 a[8:11], v[142:143], v[50:51], a[8:11]
	v_ashrrev_i32_e32 v50, 31, v137
	v_mfma_f32_16x16x16_bf16 a[12:15], v[142:143], v[52:53], a[12:15]
	v_mul_lo_u32 v52, v50, s30
	v_mul_lo_u32 v53, v137, s31
	v_mad_u64_u32 v[50:51], s[20:21], v137, s30, 0
	v_add3_u32 v51, v51, v53, v52
	v_add_u32_e32 v52, 1, v137
	v_ashrrev_i32_e32 v53, 31, v52
	s_waitcnt lgkmcnt(3)
	v_mfma_f32_16x16x16_bf16 a[0:3], v[144:145], v[54:55], a[0:3]
	v_mul_lo_u32 v54, v53, s30
	v_mul_lo_u32 v55, v52, s31
	v_mad_u64_u32 v[52:53], s[20:21], v52, s30, 0
	v_add3_u32 v53, v53, v55, v54
	v_add_u32_e32 v54, 2, v137
	v_ashrrev_i32_e32 v55, 31, v54
	s_waitcnt lgkmcnt(2)
	v_mfma_f32_16x16x16_bf16 a[4:7], v[144:145], v[58:59], a[4:7]
	v_mul_lo_u32 v58, v55, s30
	v_mul_lo_u32 v59, v54, s31
	v_mad_u64_u32 v[54:55], s[20:21], v54, s30, 0
	v_add3_u32 v55, v55, v59, v58
	v_add_u32_e32 v58, 3, v137
	v_lshl_add_u64 v[50:51], v[50:51], 2, s[40:41]
	v_lshl_add_u64 v[52:53], v[52:53], 2, s[40:41]
	v_ashrrev_i32_e32 v59, 31, v58
	s_waitcnt lgkmcnt(1)
	v_mfma_f32_16x16x16_bf16 a[8:11], v[144:145], v[62:63], a[8:11]
	v_mul_lo_u32 v59, v59, s30
	global_load_dword v62, v[50:51], off
	global_load_dword v137, v[52:53], off
	v_mul_lo_u32 v63, v58, s31
	v_mad_u64_u32 v[50:51], s[20:21], v58, s30, 0
	v_add3_u32 v51, v51, v63, v59
	s_add_u32 s20, s16, s61
	v_lshl_add_u64 v[54:55], v[54:55], 2, s[40:41]
	v_lshl_add_u64 v[50:51], v[50:51], 2, s[40:41]
	s_addc_u32 s21, s17, 0
	s_waitcnt lgkmcnt(0)
	v_mfma_f32_16x16x16_bf16 a[12:15], v[144:145], v[138:139], a[12:15]
	global_load_dword v63, v[54:55], off
	global_load_dword v138, v[50:51], off
	s_lshl_b64 s[20:21], s[20:21], 8
	v_lshl_add_u64 v[50:51], v[70:71], 0, s[20:21]
	v_lshl_add_u64 v[50:51], v[50:51], 0, v[68:69]
	global_load_ushort v139, v[50:51], off offset:256
	global_load_ushort v142, v[50:51], off
	global_load_ushort v143, v[50:51], off offset:768
	global_load_ushort v144, v[50:51], off offset:512
	;; [unrolled: 1-line block ×6, first 2 shown]
	s_load_dword s42, s[42:43], 0x0
	v_mfma_f32_16x16x16_bf16 a[12:15], v[146:147], v[140:141], a[12:15]
	global_load_ushort v140, v[50:51], off offset:320
	global_load_ushort v141, v[50:51], off offset:64
	s_and_b64 vcc, exec, s[0:1]
	v_mfma_f32_16x16x16_bf16 a[0:3], v[146:147], v[56:57], a[0:3]
	ds_read_b64 v[52:53], v114 offset:6144
	ds_read_b64 v[54:55], v115 offset:6144
	;; [unrolled: 1-line block ×4, first 2 shown]
	v_mfma_f32_16x16x16_bf16 a[4:7], v[146:147], v[60:61], a[4:7]
	s_waitcnt vmcnt(11) lgkmcnt(0)
	v_sub_f32_e32 v60, s42, v63
	v_mfma_f32_16x16x16_bf16 a[8:11], v[146:147], v[64:65], a[8:11]
	global_load_ushort v146, v[50:51], off offset:832
	global_load_ushort v147, v[50:51], off offset:576
	;; [unrolled: 1-line block ×6, first 2 shown]
	v_mfma_f32_16x16x16_bf16 a[0:3], v[148:149], v[52:53], a[0:3]
	s_waitcnt vmcnt(16)
	v_sub_f32_e32 v61, s42, v138
	v_mul_f32_e32 v60, 0x3fb8aa3b, v60
	v_mul_f32_e32 v61, 0x3fb8aa3b, v61
	v_exp_f32_e32 v60, v60
	v_exp_f32_e32 v61, v61
	s_waitcnt vmcnt(15)
	v_lshlrev_b32_e32 v65, 16, v139
	s_waitcnt vmcnt(14)
	v_lshlrev_b32_e32 v64, 16, v142
	v_accvgpr_read_b32 v53, a3
	v_accvgpr_read_b32 v52, a2
	v_mfma_f32_16x16x16_bf16 a[2:5], v[148:149], v[54:55], a[4:7]
	v_accvgpr_read_b32 v139, a1
	v_accvgpr_read_b32 v138, a0
	v_pk_add_f32 v[64:65], v[64:65], v[138:139] neg_lo:[0,1] neg_hi:[0,1]
	v_mfma_f32_16x16x16_bf16 a[6:9], v[148:149], v[56:57], a[8:11]
	s_waitcnt vmcnt(13)
	v_lshlrev_b32_e32 v139, 16, v143
	s_waitcnt vmcnt(12)
	v_lshlrev_b32_e32 v138, 16, v144
	v_pk_add_f32 v[52:53], v[138:139], v[52:53] neg_lo:[0,1] neg_hi:[0,1]
	v_accvgpr_read_b32 v139, a3
	v_accvgpr_read_b32 v138, a2
	;; [unrolled: 1-line block ×6, first 2 shown]
	v_mfma_f32_16x16x16_bf16 a[8:11], v[148:149], v[58:59], a[12:15]
	v_sub_f32_e32 v58, s42, v62
	v_sub_f32_e32 v59, s42, v137
	v_mul_f32_e32 v58, 0x3fb8aa3b, v58
	v_mul_f32_e32 v59, 0x3fb8aa3b, v59
	v_exp_f32_e32 v58, v58
	v_exp_f32_e32 v59, v59
	v_lshl_add_u64 v[62:63], v[72:73], 0, s[20:21]
	v_lshl_add_u64 v[62:63], v[62:63], 0, v[68:69]
	global_store_short_d16_hi v[62:63], v64, off
	global_store_short_d16_hi v[62:63], v65, off offset:256
	global_store_short_d16_hi v[62:63], v52, off offset:512
	;; [unrolled: 1-line block ×3, first 2 shown]
	v_pk_mul_f32 v[64:65], v[58:59], v[64:65]
	v_pk_mul_f32 v[52:53], v[60:61], v[52:53]
	v_accvgpr_read_b32 v57, a11
	v_perm_b32 v53, v53, v52, s3
	v_perm_b32 v52, v65, v64, s3
	s_waitcnt vmcnt(15)
	v_lshlrev_b32_e32 v65, 16, v145
	s_waitcnt vmcnt(14)
	v_lshlrev_b32_e32 v64, 16, v150
	v_pk_add_f32 v[64:65], v[64:65], v[138:139] neg_lo:[0,1] neg_hi:[0,1]
	s_waitcnt vmcnt(13)
	v_lshlrev_b32_e32 v139, 16, v151
	s_waitcnt vmcnt(12)
	v_lshlrev_b32_e32 v138, 16, v152
	v_pk_add_f32 v[54:55], v[138:139], v[54:55] neg_lo:[0,1] neg_hi:[0,1]
	global_store_short_d16_hi v[62:63], v64, off offset:32
	global_store_short_d16_hi v[62:63], v65, off offset:288
	;; [unrolled: 1-line block ×4, first 2 shown]
	v_pk_mul_f32 v[64:65], v[58:59], v[64:65]
	v_pk_mul_f32 v[54:55], v[60:61], v[54:55]
	v_accvgpr_read_b32 v56, a10
	v_perm_b32 v55, v55, v54, s3
	v_perm_b32 v54, v65, v64, s3
	ds_write2_b64 v91, v[52:53], v[54:55] offset1:16
	v_accvgpr_read_b32 v55, a7
	s_waitcnt vmcnt(15)
	v_lshlrev_b32_e32 v53, 16, v140
	s_waitcnt vmcnt(14)
	v_lshlrev_b32_e32 v52, 16, v141
	v_accvgpr_read_b32 v54, a6
	v_pk_add_f32 v[52:53], v[52:53], v[54:55] neg_lo:[0,1] neg_hi:[0,1]
	global_store_short_d16_hi v[62:63], v52, off offset:64
	global_store_short_d16_hi v[62:63], v53, off offset:320
	v_pk_mul_f32 v[52:53], v[58:59], v[52:53]
	v_mov_b32_e32 v137, 0
	v_perm_b32 v52, v53, v52, s3
	v_mov_b32_e32 v64, 0
	v_mov_b32_e32 v65, 0
	s_waitcnt vmcnt(15)
	v_lshlrev_b32_e32 v55, 16, v146
	s_waitcnt vmcnt(14)
	v_lshlrev_b32_e32 v54, 16, v147
	v_pk_add_f32 v[50:51], v[54:55], v[50:51] neg_lo:[0,1] neg_hi:[0,1]
	global_store_short_d16_hi v[62:63], v50, off offset:576
	global_store_short_d16_hi v[62:63], v51, off offset:832
	v_pk_mul_f32 v[50:51], v[60:61], v[50:51]
	v_accvgpr_read_b32 v55, a9
	v_perm_b32 v53, v51, v50, s3
	s_waitcnt vmcnt(15)
	v_lshlrev_b32_e32 v51, 16, v153
	s_waitcnt vmcnt(14)
	v_lshlrev_b32_e32 v50, 16, v154
	v_accvgpr_read_b32 v54, a8
	v_pk_add_f32 v[50:51], v[50:51], v[54:55] neg_lo:[0,1] neg_hi:[0,1]
	s_waitcnt vmcnt(13)
	v_lshlrev_b32_e32 v55, 16, v155
	s_waitcnt vmcnt(12)
	v_lshlrev_b32_e32 v54, 16, v156
	v_pk_add_f32 v[54:55], v[54:55], v[56:57] neg_lo:[0,1] neg_hi:[0,1]
	global_store_short_d16_hi v[62:63], v50, off offset:96
	global_store_short_d16_hi v[62:63], v51, off offset:352
	;; [unrolled: 1-line block ×4, first 2 shown]
	v_pk_mul_f32 v[50:51], v[58:59], v[50:51]
	v_pk_mul_f32 v[54:55], v[60:61], v[54:55]
	v_mov_b32_e32 v56, 0
	v_perm_b32 v55, v55, v54, s3
	v_perm_b32 v54, v51, v50, s3
	ds_write2_b64 v91, v[52:53], v[54:55] offset0:32 offset1:48
	v_mov_b32_e32 v50, 0
	v_mov_b32_e32 v51, 0
	;; [unrolled: 1-line block ×13, first 2 shown]
	s_cbranch_vccnz .LBB235_14
; %bb.13:                               ;   in Loop: Header=BB235_6 Depth=1
	s_and_b32 s25, s25, 0xffff
	s_mov_b32 s27, s23
	buffer_load_dwordx4 v[62:65], v128, s[24:27], 0 offen
	buffer_load_dwordx4 v[54:57], v128, s[24:27], s60 offen
	buffer_load_dwordx4 v[58:61], v129, s[24:27], 0 offen
	buffer_load_dwordx4 v[50:53], v129, s[24:27], s60 offen
	v_mov_b32_e32 v136, v85
	v_mov_b32_e32 v137, v84
.LBB235_14:                             ;   in Loop: Header=BB235_6 Depth=1
	s_waitcnt lgkmcnt(0)
	s_barrier
	ds_read_b64 v[146:147], v67
	ds_read2_b64 v[138:141], v121 offset1:16
	ds_read_b64 v[162:163], v130
	ds_read_b64 v[164:165], v131
	;; [unrolled: 1-line block ×3, first 2 shown]
	ds_read2_b64 v[142:145], v121 offset0:32 offset1:48
	s_waitcnt lgkmcnt(4)
	v_mfma_f32_16x16x16_bf16 a[0:3], v[146:147], v[138:139], 0
	ds_read2st64_b64 v[150:153], v123 offset0:4 offset1:8
	ds_read2st64_b64 v[154:157], v124 offset0:4 offset1:8
	;; [unrolled: 1-line block ×3, first 2 shown]
	v_mfma_f32_16x16x16_bf16 a[4:7], v[146:147], v[140:141], 0
	s_add_i32 s20, s55, s67
	s_mul_hi_i32 s21, s20, s13
	s_mul_i32 s20, s20, s13
	s_waitcnt lgkmcnt(3)
	v_mfma_f32_16x16x16_bf16 a[8:11], v[146:147], v[142:143], 0
	s_add_u32 s20, s20, s48
	s_addc_u32 s21, s21, s49
	s_lshl_b64 s[20:21], s[20:21], 15
	v_mfma_f32_16x16x16_bf16 a[12:15], v[146:147], v[144:145], 0
	ds_read2st64_b64 v[146:149], v121 offset0:4 offset1:8
	s_waitcnt lgkmcnt(0)
	v_mfma_f32_16x16x16_bf16 a[0:3], v[162:163], v[146:147], a[0:3]
	v_mfma_f32_16x16x16_bf16 a[4:7], v[162:163], v[150:151], a[4:7]
	;; [unrolled: 1-line block ×8, first 2 shown]
	ds_read_b64 v[162:163], v121 offset:6144
	ds_read_b64 v[164:165], v122 offset:40960
	;; [unrolled: 1-line block ×8, first 2 shown]
	s_waitcnt lgkmcnt(5)
	v_mfma_f32_16x16x16_bf16 a[16:19], v[168:169], v[138:139], 0
	v_mfma_f32_16x16x16_bf16 a[20:23], v[168:169], v[140:141], 0
	ds_read2st64_b64 v[138:141], v118 offset1:8
	v_mfma_f32_16x16x16_bf16 a[24:27], v[168:169], v[142:143], 0
	v_mfma_f32_16x16x16_bf16 a[28:31], v[168:169], v[144:145], 0
	ds_read2st64_b64 v[142:145], v119 offset1:8
	v_mfma_f32_16x16x16_bf16 a[16:19], v[164:165], v[146:147], a[16:19]
	s_waitcnt lgkmcnt(1)
	v_mov_b32_e32 v146, v138
	v_mov_b32_e32 v147, v139
	v_mfma_f32_16x16x16_bf16 a[20:23], v[164:165], v[150:151], a[20:23]
	v_lshl_add_u64 v[150:151], v[74:75], 0, s[20:21]
	v_mfma_f32_16x16x16_bf16 a[24:27], v[164:165], v[154:155], a[24:27]
	v_mfma_f32_16x16x16_bf16 a[28:31], v[164:165], v[158:159], a[28:31]
	;; [unrolled: 1-line block ×3, first 2 shown]
	s_waitcnt lgkmcnt(0)
	v_mov_b32_e32 v148, v142
	v_mov_b32_e32 v149, v143
	;; [unrolled: 1-line block ×3, first 2 shown]
	v_mfma_f32_16x16x16_bf16 a[32:35], v[176:177], v[152:153], a[20:23]
	v_mov_b32_e32 v143, v141
	ds_read2st64_b64 v[138:141], v118 offset0:16 offset1:24
	global_store_dwordx4 v[150:151], v[146:149], off
	v_mfma_f32_16x16x16_bf16 a[24:27], v[176:177], v[156:157], a[24:27]
	ds_read2st64_b64 v[146:149], v119 offset0:16 offset1:24
	v_add_co_u32_e32 v152, vcc, s35, v150
	v_mfma_f32_16x16x16_bf16 a[28:31], v[176:177], v[160:161], a[28:31]
	s_nop 0
	v_addc_co_u32_e32 v153, vcc, 0, v151, vcc
	global_store_dwordx4 v[152:153], v[142:145], off offset:-4096
	v_mfma_f32_16x16x16_bf16 a[0:3], v[166:167], v[162:163], a[0:3]
	s_waitcnt lgkmcnt(1)
	v_mov_b32_e32 v142, v138
	v_add_co_u32_e32 v138, vcc, s37, v150
	v_mfma_f32_16x16x16_bf16 a[4:7], v[166:167], v[170:171], a[4:7]
	v_mov_b32_e32 v143, v139
	v_addc_co_u32_e32 v139, vcc, 0, v151, vcc
	v_mfma_f32_16x16x16_bf16 a[8:11], v[166:167], v[172:173], a[8:11]
	s_waitcnt lgkmcnt(0)
	v_mov_b32_e32 v144, v146
	v_mov_b32_e32 v145, v147
	;; [unrolled: 1-line block ×3, first 2 shown]
	v_mfma_f32_16x16x16_bf16 a[12:15], v[166:167], v[174:175], a[12:15]
	v_mov_b32_e32 v147, v141
	s_and_b64 vcc, exec, s[0:1]
	global_store_dwordx4 v[152:153], v[142:145], off
	v_mfma_f32_16x16x16_bf16 a[20:23], v[178:179], v[162:163], a[16:19]
	global_store_dwordx4 v[138:139], v[146:149], off
	v_mfma_f32_16x16x16_bf16 a[16:19], v[178:179], v[170:171], a[32:35]
	v_mfma_f32_16x16x16_bf16 a[24:27], v[178:179], v[172:173], a[24:27]
	;; [unrolled: 1-line block ×3, first 2 shown]
	s_cbranch_vccnz .LBB235_16
; %bb.15:                               ;   in Loop: Header=BB235_6 Depth=1
	v_lshrrev_b32_e32 v138, 3, v136
	v_and_b32_e32 v138, 6, v138
	v_xor_b32_e32 v137, v138, v137
	v_lshlrev_b32_e32 v137, 2, v137
	v_and_b32_e32 v136, 8, v136
	v_xor_b32_e32 v139, 0x440, v137
	v_cmp_eq_u32_e32 vcc, 0, v136
	s_barrier
	s_nop 0
	v_cndmask_b32_e32 v136, v139, v137, vcc
	v_lshl_or_b32 v136, v138, 10, v136
	s_waitcnt vmcnt(5)
	v_perm_b32 v137, v62, v58, s62
	s_waitcnt vmcnt(4)
	v_perm_b32 v138, v54, v50, s62
	ds_write2st64_b32 v136, v137, v138 offset0:128 offset1:160
	v_xor_b32_e32 v137, 8, v136
	v_perm_b32 v58, v62, v58, s63
	v_perm_b32 v50, v54, v50, s63
	v_add_u32_e32 v54, 0x80, v137
	ds_write2st64_b32 v54, v58, v50 offset0:128 offset1:160
	v_xor_b32_e32 v50, 16, v136
	v_perm_b32 v54, v63, v59, s62
	v_perm_b32 v58, v55, v51, s62
	ds_write2st64_b32 v50, v54, v58 offset0:129 offset1:161
	v_xor_b32_e32 v50, 24, v136
	v_perm_b32 v54, v63, v59, s63
	v_perm_b32 v51, v55, v51, s63
	v_add_u32_e32 v50, 0x80, v50
	ds_write2st64_b32 v50, v54, v51 offset0:129 offset1:161
	v_xor_b32_e32 v50, 32, v136
	v_perm_b32 v51, v64, v60, s62
	;; [unrolled: 9-line block ×3, first 2 shown]
	v_perm_b32 v52, v57, v53, s62
	ds_write2st64_b32 v50, v51, v52 offset0:131 offset1:163
	v_xor_b32_e32 v50, 56, v136
	v_perm_b32 v51, v65, v61, s63
	v_perm_b32 v52, v57, v53, s63
	v_add_u32_e32 v50, 0x80, v50
	ds_write2st64_b32 v50, v51, v52 offset0:131 offset1:163
	ds_write_b64 v135, v[46:47] offset:49152
	v_xor_b32_e32 v46, 8, v135
	ds_write_b64 v46, v[48:49] offset:49152
	ds_write_b64 v135, v[42:43] offset:57344
	;; [unrolled: 1-line block ×4, first 2 shown]
	v_xor_b32_e32 v38, 8, v134
	ds_write_b64 v38, v[40:41] offset:49152
	ds_write_b64 v134, v[34:35] offset:57344
	;; [unrolled: 1-line block ×3, first 2 shown]
.LBB235_16:                             ;   in Loop: Header=BB235_6 Depth=1
	s_waitcnt vmcnt(6)
	v_mul_f32_e32 v54, s42, v133
	v_exp_f32_e32 v134, v54
	v_accvgpr_read_b32 v37, a3
	v_accvgpr_read_b32 v41, a7
	;; [unrolled: 1-line block ×4, first 2 shown]
	s_waitcnt vmcnt(4)
	v_accvgpr_read_b32 v53, a23
	v_accvgpr_read_b32 v57, a19
	;; [unrolled: 1-line block ×28, first 2 shown]
	s_add_i32 s61, s61, 64
	v_pk_fma_f32 v[22:23], v[22:23], v[134:135], v[34:35] op_sel_hi:[1,0,1]
	v_pk_fma_f32 v[24:25], v[24:25], v[134:135], v[36:37] op_sel_hi:[1,0,1]
	;; [unrolled: 1-line block ×15, first 2 shown]
	s_cmp_eq_u32 s52, s66
	v_pk_fma_f32 v[12:13], v[12:13], v[134:135], v[64:65] op_sel_hi:[1,0,1]
	s_cbranch_scc1 .LBB235_18
; %bb.17:                               ;   in Loop: Header=BB235_6 Depth=1
	s_mov_b32 s67, s66
	s_branch .LBB235_6
.LBB235_18:
	s_lshl_b32 s26, s52, 6
	s_sub_i32 s27, s12, s26
	s_cmp_gt_i32 s27, 0
	s_cbranch_scc0 .LBB235_99
; %bb.19:
	s_ashr_i32 s3, s26, 31
	s_cmpk_lg_i32 s15, 0x80
	s_cselect_b64 s[22:23], -1, 0
	s_and_b64 vcc, exec, s[22:23]
	s_cbranch_vccz .LBB235_21
; %bb.20:
	s_mul_i32 s1, s51, s12
	s_mul_hi_i32 s0, s51, s12
	s_add_u32 s1, s1, s26
	s_addc_u32 s0, s0, s3
	s_mul_i32 s17, s1, s53
	s_mul_hi_u32 s20, s1, s14
	s_add_i32 s17, s20, s17
	s_mul_i32 s0, s0, s14
	s_add_i32 s17, s17, s0
	s_mul_i32 s1, s1, s14
	s_ashr_i32 s0, s54, 31
	s_add_u32 s24, s1, s54
	s_addc_u32 s25, s17, s0
	s_cbranch_execz .LBB235_22
	s_branch .LBB235_23
.LBB235_21:
                                        ; implicit-def: $sgpr24_sgpr25
.LBB235_22:
	s_mul_hi_i32 s0, s51, s14
	s_mul_i32 s51, s51, s14
	s_ashr_i32 s1, s54, 31
	s_add_u32 s14, s51, s54
	s_addc_u32 s0, s0, s1
	s_mul_i32 s1, s14, s50
	s_mul_hi_u32 s17, s14, s12
	s_add_i32 s1, s17, s1
	s_mul_i32 s0, s0, s12
	s_add_i32 s1, s1, s0
	s_mul_i32 s14, s14, s12
	s_add_u32 s24, s14, s26
	s_addc_u32 s25, s1, s3
.LBB235_23:
	s_mul_i32 s0, s38, s50
	s_add_i32 s0, s57, s0
	s_add_i32 s14, s55, s52
	;; [unrolled: 1-line block ×3, first 2 shown]
	s_add_u32 s0, s16, s26
	s_addc_u32 s1, s1, s3
	v_lshlrev_b32_e32 v35, 6, v82
	v_lshlrev_b32_e32 v34, 2, v79
	s_mov_b32 s3, 0x7060302
	s_waitcnt vmcnt(7)
	v_perm_b32 v25, v25, v24, s3
	v_perm_b32 v24, v23, v22, s3
	s_waitcnt vmcnt(6)
	v_perm_b32 v22, v31, v30, s3
	v_or_b32_e32 v30, v35, v34
	v_xor_b32_e32 v36, v82, v34
	v_perm_b32 v23, v33, v32, s3
	v_lshlrev_b32_e32 v30, 1, v30
	ds_write2st64_b64 v30, v[24:25], v[22:23] offset0:32 offset1:48
	v_lshlrev_b32_e32 v30, 1, v36
	v_lshlrev_b32_e32 v31, 8, v79
	v_xor_b32_e32 v37, v83, v34
	v_or_b32_e32 v32, v30, v31
	ds_write_b64 v32, v[24:25]
	v_lshlrev_b32_e32 v24, 1, v37
	v_or_b32_e32 v25, v24, v31
	ds_write_b64 v25, v[22:23]
	v_or_b32_e32 v22, 16, v79
	v_lshlrev_b32_e32 v23, 2, v22
	v_or_b32_e32 v25, v35, v23
	s_waitcnt vmcnt(5)
	v_perm_b32 v17, v17, v16, s3
	v_perm_b32 v16, v15, v14, s3
	s_waitcnt vmcnt(4)
	v_perm_b32 v15, v29, v28, s3
	v_perm_b32 v14, v27, v26, s3
	v_lshlrev_b32_e32 v25, 1, v25
	v_lshlrev_b32_e32 v22, 8, v22
	ds_write2st64_b64 v25, v[16:17], v[14:15] offset0:32 offset1:48
	v_or_b32_e32 v25, v30, v22
	ds_write_b64 v25, v[16:17]
	v_or_b32_e32 v16, v24, v22
	ds_write_b64 v16, v[14:15]
	v_or_b32_e32 v14, 32, v79
	v_lshlrev_b32_e32 v22, 2, v14
	v_or_b32_e32 v15, v35, v22
	s_waitcnt vmcnt(3)
	v_perm_b32 v9, v9, v8, s3
	v_perm_b32 v8, v7, v6, s3
	s_waitcnt vmcnt(2)
	v_perm_b32 v7, v21, v20, s3
	v_perm_b32 v6, v19, v18, s3
	v_lshlrev_b32_e32 v15, 1, v15
	v_lshlrev_b32_e32 v14, 8, v14
	s_lshl_b64 s[20:21], s[0:1], 8
	ds_write2st64_b64 v15, v[8:9], v[6:7] offset0:32 offset1:48
	v_or_b32_e32 v15, v30, v14
	s_waitcnt lgkmcnt(0)
	s_add_u32 s0, s6, s20
	ds_write_b64 v15, v[8:9]
	v_or_b32_e32 v8, v24, v14
	s_addc_u32 s1, s7, s21
	ds_write_b64 v8, v[6:7]
	s_waitcnt vmcnt(1)
	v_perm_b32 v5, v5, v4, s3
	v_perm_b32 v4, v3, v2, s3
	s_waitcnt vmcnt(0)
	v_perm_b32 v3, v13, v12, s3
	v_perm_b32 v2, v11, v10, s3
	v_or_b32_e32 v6, 48, v79
	s_mul_hi_i32 s3, s14, s13
	s_mul_i32 s14, s14, s13
	v_lshlrev_b32_e32 v19, 2, v6
	s_add_u32 s6, s14, s48
	v_or_b32_e32 v7, v35, v19
	s_addc_u32 s7, s3, s49
	v_lshlrev_b32_e32 v7, 1, v7
	v_lshlrev_b32_e32 v6, 8, v6
	s_ashr_i32 s3, s2, 31
	s_lshl_b64 s[6:7], s[6:7], 15
	ds_write2st64_b64 v7, v[4:5], v[2:3] offset0:32 offset1:48
	v_or_b32_e32 v7, v30, v6
	s_add_u32 s6, s18, s6
	ds_write_b64 v7, v[4:5]
	v_or_b32_e32 v4, v24, v6
	s_addc_u32 s7, s19, s7
	s_lshl_b64 s[2:3], s[2:3], 8
	ds_write_b64 v4, v[2:3]
	s_add_u32 s2, s6, s2
	v_lshlrev_b32_e32 v3, 1, v79
	v_lshrrev_b32_e32 v2, 4, v0
	s_addc_u32 s3, s7, s3
	v_or_b32_e32 v4, 1, v3
	v_lshlrev_b32_e32 v10, 4, v79
	v_mov_b32_e32 v11, 0
	v_xor_b32_e32 v3, v2, v3
	v_xor_b32_e32 v6, v4, v2
	v_lshl_add_u64 v[12:13], s[2:3], 0, v[10:11]
	v_lshlrev_b32_e32 v10, 8, v2
	v_lshl_or_b32 v16, v3, 3, v10
	v_lshl_or_b32 v17, v6, 3, v10
	s_waitcnt lgkmcnt(0)
	s_barrier
	ds_read2st64_b64 v[2:5], v16 offset1:8
	ds_read2st64_b64 v[6:9], v17 offset1:8
	v_lshl_add_u64 v[14:15], v[12:13], 0, v[10:11]
	s_movk_i32 s2, 0x2000
	s_cmp_lg_u32 s27, 64
	s_waitcnt lgkmcnt(1)
	v_mov_b32_e32 v10, v2
	v_mov_b32_e32 v11, v3
	s_waitcnt lgkmcnt(0)
	v_mov_b32_e32 v12, v6
	v_mov_b32_e32 v13, v7
	global_store_dwordx4 v[14:15], v[10:13], off
	v_mov_b32_e32 v6, v4
	v_mov_b32_e32 v7, v5
	ds_read2st64_b64 v[2:5], v16 offset0:16 offset1:24
	ds_read2st64_b64 v[10:13], v17 offset0:16 offset1:24
	v_add_co_u32_e32 v16, vcc, s2, v14
	s_cselect_b64 s[6:7], -1, 0
	s_nop 0
	v_addc_co_u32_e32 v17, vcc, 0, v15, vcc
	global_store_dwordx4 v[16:17], v[6:9], off offset:-4096
	v_lshl_or_b32 v24, v77, 3, v81
	s_mov_b32 s16, 0
	s_waitcnt lgkmcnt(1)
	v_mov_b32_e32 v6, v2
	v_add_co_u32_e32 v2, vcc, 0x3000, v14
	v_mov_b32_e32 v7, v3
	s_nop 0
	v_addc_co_u32_e32 v3, vcc, 0, v15, vcc
	s_waitcnt lgkmcnt(0)
	v_mov_b32_e32 v8, v10
	v_mov_b32_e32 v9, v11
	;; [unrolled: 1-line block ×4, first 2 shown]
	v_or_b32_e32 v20, 32, v24
	v_and_b32_e32 v18, 56, v80
	s_and_b64 vcc, exec, s[6:7]
	global_store_dwordx4 v[16:17], v[6:9], off
	global_store_dwordx4 v[2:3], v[10:13], off
	s_cbranch_vccz .LBB235_29
; %bb.24:
	s_mov_b32 s17, s16
	s_mov_b32 s18, s16
	;; [unrolled: 1-line block ×3, first 2 shown]
	v_mov_b64_e32 v[6:7], s[16:17]
	v_mov_b64_e32 v[8:9], s[18:19]
	;; [unrolled: 1-line block ×3, first 2 shown]
	v_cmp_gt_i32_e32 vcc, s27, v24
	v_mov_b64_e32 v[4:5], v[8:9]
	s_and_saveexec_b64 s[2:3], vcc
	s_cbranch_execz .LBB235_26
; %bb.25:
	v_lshlrev_b32_e32 v2, 8, v24
	v_mov_b32_e32 v3, 0
	v_lshl_add_u64 v[4:5], s[0:1], 0, v[2:3]
	v_lshlrev_b32_e32 v2, 1, v18
	v_lshl_add_u64 v[10:11], v[4:5], 0, v[2:3]
	global_load_dwordx4 v[6:9], v[10:11], off
	global_load_dwordx4 v[2:5], v[10:11], off offset:128
.LBB235_26:
	s_or_b64 exec, exec, s[2:3]
	s_mov_b32 s17, s16
	s_mov_b32 s18, s16
	;; [unrolled: 1-line block ×3, first 2 shown]
	v_mov_b64_e32 v[14:15], s[16:17]
	v_mov_b64_e32 v[16:17], s[18:19]
	;; [unrolled: 1-line block ×3, first 2 shown]
	v_cmp_gt_i32_e32 vcc, s27, v20
	v_lshlrev_b32_e32 v21, 7, v20
	v_mov_b64_e32 v[12:13], v[16:17]
	s_and_saveexec_b64 s[2:3], vcc
	s_cbranch_execz .LBB235_28
; %bb.27:
	v_lshlrev_b32_e32 v10, 1, v21
	v_mov_b32_e32 v11, 0
	v_lshl_add_u64 v[12:13], s[0:1], 0, v[10:11]
	v_lshlrev_b32_e32 v10, 1, v18
	v_lshl_add_u64 v[26:27], v[12:13], 0, v[10:11]
	global_load_dwordx4 v[14:17], v[26:27], off
	global_load_dwordx4 v[10:13], v[26:27], off offset:128
.LBB235_28:
	s_or_b64 exec, exec, s[2:3]
	v_lshrrev_b32_e32 v25, 3, v18
	v_lshlrev_b32_e32 v26, 3, v24
	v_or_b32_e32 v25, v26, v25
	v_lshlrev_b32_e32 v25, 4, v25
	v_and_b32_e32 v26, 0x78, v26
	v_xor_b32_e32 v25, v25, v26
	s_branch .LBB235_31
.LBB235_29:
                                        ; implicit-def: $vgpr25
                                        ; implicit-def: $vgpr21
                                        ; implicit-def: $vgpr6_vgpr7_vgpr8_vgpr9
                                        ; implicit-def: $vgpr2_vgpr3_vgpr4_vgpr5
                                        ; implicit-def: $vgpr14_vgpr15_vgpr16_vgpr17
                                        ; implicit-def: $vgpr10_vgpr11_vgpr12_vgpr13
	s_cbranch_execz .LBB235_31
; %bb.30:
	s_waitcnt vmcnt(0)
	v_lshlrev_b32_e32 v2, 1, v18
	v_lshl_or_b32 v21, v24, 8, v2
	s_and_b32 s1, s1, 0xffff
	s_mov_b32 s3, 0x20000
	s_movk_i32 s2, 0x4000
	v_lshl_or_b32 v25, v20, 8, v2
	s_movk_i32 s13, 0x80
	buffer_load_dwordx4 v[6:9], v21, s[0:3], 0 offen
	buffer_load_dwordx4 v[2:5], v21, s[0:3], s13 offen
	;; [unrolled: 1-line block ×4, first 2 shown]
	v_lshrrev_b32_e32 v21, 3, v18
	v_lshlrev_b32_e32 v25, 3, v24
	v_or_b32_e32 v21, v25, v21
	v_lshlrev_b32_e32 v21, 4, v21
	v_and_b32_e32 v25, 0x78, v25
	v_xor_b32_e32 v25, v21, v25
	v_lshlrev_b32_e32 v21, 7, v20
.LBB235_31:
	s_movk_i32 s0, 0x1000
	v_and_or_b32 v20, v21, s0, v25
	s_waitcnt vmcnt(1)
	ds_write_b64 v25, v[6:7] offset:49152
	v_xor_b32_e32 v6, 8, v25
	ds_write_b64 v6, v[8:9] offset:49152
	s_waitcnt vmcnt(0)
	ds_write_b64 v25, v[2:3] offset:57344
	ds_write_b64 v6, v[4:5] offset:57344
	;; [unrolled: 1-line block ×3, first 2 shown]
	v_xor_b32_e32 v2, 8, v20
	ds_write_b64 v2, v[16:17] offset:49152
	ds_write_b64 v20, v[10:11] offset:57344
	;; [unrolled: 1-line block ×3, first 2 shown]
	v_or_b32_e32 v2, v1, v79
	v_lshlrev_b32_e32 v3, 11, v77
	v_lshlrev_b32_e32 v2, 3, v2
	v_and_b32_e32 v6, 0x1000, v3
	v_lshrrev_b32_e32 v3, 5, v76
	s_movk_i32 s0, 0xf8
	v_and_or_b32 v3, v2, s0, v3
	v_lshlrev_b32_e32 v7, 4, v3
	v_and_b32_e32 v8, 0x78, v2
	v_or_b32_e32 v10, 32, v7
	v_lshrrev_b32_e32 v3, 1, v76
	v_xor_b32_e32 v10, v10, v8
	v_xor_b32_e32 v2, v7, v8
	v_and_b32_e32 v9, 8, v3
	v_or_b32_e32 v10, v10, v6
	v_or_b32_e32 v2, v2, v6
	v_xor_b32_e32 v27, v10, v9
	v_or_b32_e32 v10, 64, v7
	v_xor_b32_e32 v26, v2, v9
	v_xor_b32_e32 v10, v10, v8
	s_waitcnt lgkmcnt(0)
	s_barrier
	v_or_b32_e32 v13, v10, v6
	ds_read_b64 v[10:11], v26 offset:49152
	v_lshl_or_b32 v14, v78, 8, v34
	v_lshlrev_b32_e32 v25, 1, v14
	v_add_u32_e32 v12, 0x4000, v25
	ds_read2_b64 v[2:5], v12 offset1:16
	v_or_b32_e32 v7, 0x60, v7
	v_xor_b32_e32 v7, v7, v8
	v_or_b32_e32 v6, v7, v6
	v_xor_b32_e32 v28, v13, v9
	v_xor_b32_e32 v29, v6, v9
	ds_read_b64 v[20:21], v27 offset:49152
	ds_read_b64 v[36:37], v28 offset:49152
	;; [unrolled: 1-line block ×3, first 2 shown]
	s_waitcnt lgkmcnt(3)
	v_mfma_f32_16x16x16_bf16 a[0:3], v[10:11], v[2:3], 0
	ds_read2st64_b64 v[6:9], v25 offset0:36 offset1:40
	s_lshl_b64 s[0:1], s[24:25], 8
	s_add_u32 s4, s4, s0
	v_mfma_f32_16x16x16_bf16 a[4:7], v[10:11], v[4:5], 0
	ds_read2_b64 v[2:5], v12 offset0:32 offset1:48
	s_addc_u32 s5, s5, s1
	s_add_i32 s1, s44, s33
	s_waitcnt lgkmcnt(0)
	v_mfma_f32_16x16x16_bf16 a[8:11], v[10:11], v[2:3], 0
	v_or_b32_e32 v2, 64, v14
	v_lshlrev_b32_e32 v30, 1, v2
	s_add_i32 s0, s12, -1
	v_mfma_f32_16x16x16_bf16 a[12:15], v[10:11], v[4:5], 0
	ds_read2st64_b64 v[2:5], v30 offset0:36 offset1:40
	s_add_i32 s37, s1, s39
	s_add_i32 s1, s46, s45
	v_mfma_f32_16x16x16_bf16 a[0:3], v[20:21], v[6:7], a[0:3]
	v_or_b32_e32 v6, 0x80, v14
	v_lshlrev_b32_e32 v31, 1, v6
	ds_read2st64_b64 v[10:13], v31 offset0:36 offset1:40
	s_waitcnt lgkmcnt(1)
	v_mfma_f32_16x16x16_bf16 a[4:7], v[20:21], v[2:3], a[4:7]
	v_or_b32_e32 v2, 0xc0, v14
	v_lshlrev_b32_e32 v32, 1, v2
	ds_read2st64_b64 v[14:17], v32 offset0:36 offset1:40
	s_add_i32 s35, s1, s47
	s_ashr_i32 s1, s0, 31
	s_mul_i32 s2, s0, s31
	s_mul_hi_u32 s3, s0, s30
	s_add_i32 s2, s3, s2
	s_mul_i32 s1, s1, s30
	s_waitcnt lgkmcnt(1)
	v_mfma_f32_16x16x16_bf16 a[8:11], v[20:21], v[10:11], a[8:11]
	s_add_i32 s1, s2, s1
	s_lshl_b64 s[2:3], s[36:37], 2
	s_add_u32 s10, s10, s2
	s_waitcnt lgkmcnt(0)
	v_mfma_f32_16x16x16_bf16 a[12:15], v[20:21], v[14:15], a[12:15]
	s_addc_u32 s11, s11, s3
	s_lshl_b64 s[2:3], s[34:35], 2
	s_mul_i32 s0, s0, s30
	v_mfma_f32_16x16x16_bf16 a[0:3], v[36:37], v[8:9], a[0:3]
	ds_read_b64 v[2:3], v25 offset:22528
	s_add_u32 s10, s10, s2
	s_addc_u32 s11, s11, s3
	v_mfma_f32_16x16x16_bf16 a[4:7], v[36:37], v[4:5], a[4:7]
	ds_read_b64 v[4:5], v30 offset:22528
	ds_read_b64 v[6:7], v31 offset:22528
	;; [unrolled: 1-line block ×3, first 2 shown]
	s_lshl_b64 s[0:1], s[0:1], 2
	s_add_u32 s0, s10, s0
	v_mfma_f32_16x16x16_bf16 a[8:11], v[36:37], v[12:13], a[8:11]
	s_addc_u32 s1, s11, s1
	s_load_dword s12, s[0:1], 0x0
	s_and_b64 vcc, exec, s[22:23]
	v_mfma_f32_16x16x16_bf16 a[12:15], v[36:37], v[16:17], a[12:15]
	s_waitcnt lgkmcnt(0)
	v_mfma_f32_16x16x16_bf16 a[0:3], v[38:39], v[2:3], a[0:3]
	v_mfma_f32_16x16x16_bf16 a[4:7], v[38:39], v[4:5], a[4:7]
	;; [unrolled: 1-line block ×4, first 2 shown]
	s_cbranch_vccz .LBB235_42
; %bb.32:
	v_lshlrev_b32_e32 v20, 1, v24
	s_and_b64 vcc, exec, s[6:7]
	s_cbranch_vccz .LBB235_43
; %bb.33:
	v_cmp_gt_i32_e32 vcc, s27, v20
	v_mov_b32_e32 v6, 0
	v_mov_b32_e32 v2, 0
	;; [unrolled: 1-line block ×5, first 2 shown]
	s_and_saveexec_b64 s[0:1], vcc
	s_cbranch_execz .LBB235_35
; %bb.34:
	v_mad_i64_i32 v[2:3], s[2:3], s15, v20, 0
	v_lshl_add_u64 v[2:3], v[2:3], 1, s[4:5]
	v_lshlrev_b32_e32 v4, 1, v18
	v_mov_b32_e32 v5, 0
	v_lshl_add_u64 v[2:3], v[2:3], 0, v[4:5]
	global_load_dwordx4 v[2:5], v[2:3], off
.LBB235_35:
	s_or_b64 exec, exec, s[0:1]
	v_or_b32_e32 v21, 1, v20
	v_cmp_gt_i32_e64 s[0:1], s27, v21
	v_mov_b32_e32 v7, 0
	v_mov_b32_e32 v8, 0
	;; [unrolled: 1-line block ×3, first 2 shown]
	s_and_saveexec_b64 s[2:3], s[0:1]
	s_cbranch_execz .LBB235_37
; %bb.36:
	v_mad_i64_i32 v[6:7], s[16:17], s15, v21, 0
	v_lshl_add_u64 v[6:7], v[6:7], 1, s[4:5]
	v_lshlrev_b32_e32 v8, 1, v18
	v_mov_b32_e32 v9, 0
	v_lshl_add_u64 v[6:7], v[6:7], 0, v[8:9]
	global_load_dwordx4 v[6:9], v[6:7], off
.LBB235_37:
	s_or_b64 exec, exec, s[2:3]
	v_mov_b32_e32 v17, 0
	v_mov_b32_e32 v10, 0
	;; [unrolled: 1-line block ×5, first 2 shown]
	s_and_saveexec_b64 s[2:3], vcc
	s_cbranch_execz .LBB235_39
; %bb.38:
	v_mad_i64_i32 v[10:11], s[16:17], s15, v20, 0
	v_lshl_add_u64 v[10:11], v[10:11], 1, s[4:5]
	v_lshlrev_b32_e32 v12, 1, v18
	v_mov_b32_e32 v13, 0
	v_lshl_add_u64 v[10:11], v[10:11], 0, v[12:13]
	global_load_dwordx4 v[10:13], v[10:11], off offset:128
.LBB235_39:
	s_or_b64 exec, exec, s[2:3]
	v_mov_b32_e32 v16, 0
	v_mov_b32_e32 v15, 0
	;; [unrolled: 1-line block ×3, first 2 shown]
	s_and_saveexec_b64 s[2:3], s[0:1]
	s_cbranch_execz .LBB235_41
; %bb.40:
	v_mad_i64_i32 v[14:15], s[0:1], s15, v21, 0
	v_lshl_add_u64 v[14:15], v[14:15], 1, s[4:5]
	v_lshlrev_b32_e32 v16, 1, v18
	v_mov_b32_e32 v17, 0
	v_lshl_add_u64 v[14:15], v[14:15], 0, v[16:17]
	global_load_dwordx4 v[14:17], v[14:15], off offset:128
.LBB235_41:
	s_or_b64 exec, exec, s[2:3]
	s_branch .LBB235_45
.LBB235_42:
                                        ; implicit-def: $vgpr5
                                        ; implicit-def: $vgpr9
                                        ; implicit-def: $vgpr13
                                        ; implicit-def: $vgpr17
	v_lshrrev_b32_e32 v33, 2, v76
	s_branch .LBB235_46
.LBB235_43:
                                        ; implicit-def: $vgpr5
                                        ; implicit-def: $vgpr9
                                        ; implicit-def: $vgpr13
                                        ; implicit-def: $vgpr17
	s_cbranch_execz .LBB235_45
; %bb.44:
	s_waitcnt vmcnt(0)
	v_mad_u64_u32 v[2:3], s[0:1], v20, s15, v[18:19]
	v_lshlrev_b32_e32 v20, 1, v2
	s_lshl_b32 s2, s15, 7
	s_and_b32 s1, s5, 0xffff
	s_mov_b32 s3, 0x20000
	s_mov_b32 s0, s4
	v_add_lshl_u32 v21, v2, s15, 1
	s_movk_i32 s13, 0x80
	buffer_load_dwordx4 v[2:5], v20, s[0:3], 0 offen
	buffer_load_dwordx4 v[10:13], v20, s[0:3], s13 offen
	;; [unrolled: 1-line block ×4, first 2 shown]
.LBB235_45:
	v_lshrrev_b32_e32 v33, 2, v76
	s_cbranch_execnz .LBB235_58
.LBB235_46:
	s_and_b64 vcc, exec, s[6:7]
	s_cbranch_vccz .LBB235_56
; %bb.47:
	s_waitcnt vmcnt(0)
	v_lshlrev_b32_e32 v7, 1, v24
	v_cmp_gt_i32_e32 vcc, s27, v7
	v_mov_b32_e32 v6, 0
	v_lshlrev_b32_e32 v14, 9, v24
	v_mov_b32_e32 v2, 0
	v_mov_b32_e32 v3, 0
	;; [unrolled: 1-line block ×4, first 2 shown]
	s_and_saveexec_b64 s[0:1], vcc
	s_cbranch_execz .LBB235_49
; %bb.48:
	v_mov_b32_e32 v15, 0
	v_lshl_add_u64 v[2:3], s[4:5], 0, v[14:15]
	v_lshlrev_b32_e32 v4, 1, v18
	v_mov_b32_e32 v5, v15
	v_lshl_add_u64 v[2:3], v[2:3], 0, v[4:5]
	global_load_dwordx4 v[2:5], v[2:3], off
.LBB235_49:
	s_or_b64 exec, exec, s[0:1]
	v_or_b32_e32 v7, 1, v7
	v_cmp_gt_i32_e64 s[0:1], s27, v7
	v_lshlrev_b32_e32 v20, 8, v7
	v_mov_b32_e32 v7, 0
	v_mov_b32_e32 v8, 0
	;; [unrolled: 1-line block ×3, first 2 shown]
	s_and_saveexec_b64 s[2:3], s[0:1]
	s_cbranch_execz .LBB235_51
; %bb.50:
	v_mov_b32_e32 v21, 0
	v_lshl_add_u64 v[6:7], s[4:5], 0, v[20:21]
	v_lshlrev_b32_e32 v8, 1, v18
	v_mov_b32_e32 v9, v21
	v_lshl_add_u64 v[6:7], v[6:7], 0, v[8:9]
	global_load_dwordx4 v[6:9], v[6:7], off
.LBB235_51:
	s_or_b64 exec, exec, s[2:3]
	v_mov_b32_e32 v17, 0
	v_mov_b32_e32 v10, 0
	;; [unrolled: 1-line block ×5, first 2 shown]
	s_and_saveexec_b64 s[2:3], vcc
	s_cbranch_execz .LBB235_53
; %bb.52:
	v_mov_b32_e32 v15, 0
	v_lshl_add_u64 v[10:11], s[4:5], 0, v[14:15]
	v_lshlrev_b32_e32 v14, 1, v18
	v_lshl_add_u64 v[10:11], v[10:11], 0, v[14:15]
	global_load_dwordx4 v[10:13], v[10:11], off offset:128
.LBB235_53:
	s_or_b64 exec, exec, s[2:3]
	v_mov_b32_e32 v16, 0
	v_mov_b32_e32 v15, 0
	;; [unrolled: 1-line block ×3, first 2 shown]
	s_and_saveexec_b64 s[2:3], s[0:1]
	s_cbranch_execz .LBB235_55
; %bb.54:
	v_mov_b32_e32 v21, 0
	v_lshl_add_u64 v[14:15], s[4:5], 0, v[20:21]
	v_lshlrev_b32_e32 v20, 1, v18
	v_lshl_add_u64 v[14:15], v[14:15], 0, v[20:21]
	global_load_dwordx4 v[14:17], v[14:15], off offset:128
.LBB235_55:
	s_or_b64 exec, exec, s[2:3]
	s_branch .LBB235_58
.LBB235_56:
                                        ; implicit-def: $vgpr5
                                        ; implicit-def: $vgpr9
                                        ; implicit-def: $vgpr13
                                        ; implicit-def: $vgpr17
	s_cbranch_execz .LBB235_58
; %bb.57:
	s_waitcnt vmcnt(0)
	v_lshlrev_b32_e32 v2, 1, v18
	v_lshl_or_b32 v18, v24, 9, v2
	s_and_b32 s5, s5, 0xffff
	s_mov_b32 s7, 0x20000
	s_movk_i32 s6, 0x4000
	s_movk_i32 s0, 0x80
	buffer_load_dwordx4 v[2:5], v18, s[4:7], 0 offen
	buffer_load_dwordx4 v[6:9], v18, s[4:7], 0 offen offset:256
	buffer_load_dwordx4 v[10:13], v18, s[4:7], s0 offen
	buffer_load_dwordx4 v[14:17], v18, s[4:7], s0 offen offset:256
.LBB235_58:
	ds_read_b64 v[20:21], v26 offset:57344
	v_add_u32_e32 v18, 0x6000, v25
	ds_read2_b64 v[36:39], v18 offset1:16
	ds_read_b64 v[48:49], v27 offset:57344
	ds_read_b64 v[50:51], v28 offset:57344
	;; [unrolled: 1-line block ×3, first 2 shown]
	ds_read2_b64 v[26:29], v18 offset0:32 offset1:48
	v_and_b32_e32 v18, 6, v0
	v_xor_b32_e32 v24, v24, v18
	v_lshlrev_b32_e32 v24, 2, v24
	v_and_b32_e32 v0, 1, v0
	v_cmp_eq_u32_e32 vcc, 0, v0
	s_waitcnt lgkmcnt(4)
	v_mfma_f32_16x16x16_bf16 a[0:3], v[20:21], v[36:37], a[0:3]
	s_mov_b32 s0, 0x1000504
	s_mov_b32 s1, 0x3020706
	v_mfma_f32_16x16x16_bf16 a[4:7], v[20:21], v[38:39], a[4:7]
	ds_read2st64_b64 v[36:39], v25 offset0:52 offset1:56
	s_waitcnt lgkmcnt(1)
	v_mfma_f32_16x16x16_bf16 a[8:11], v[20:21], v[26:27], a[8:11]
	v_mfma_f32_16x16x16_bf16 a[12:15], v[20:21], v[28:29], a[12:15]
	ds_read2st64_b64 v[26:29], v30 offset0:52 offset1:56
	ds_read2st64_b64 v[40:43], v31 offset0:52 offset1:56
	;; [unrolled: 1-line block ×3, first 2 shown]
	s_waitcnt lgkmcnt(3)
	v_mfma_f32_16x16x16_bf16 a[0:3], v[48:49], v[36:37], a[0:3]
	ds_read_b64 v[20:21], v25 offset:30720
	ds_read_b64 v[36:37], v30 offset:30720
	;; [unrolled: 1-line block ×4, first 2 shown]
	v_xor_b32_e32 v25, 0x440, v24
	v_cndmask_b32_e32 v0, v25, v24, vcc
	s_waitcnt lgkmcnt(6)
	v_mfma_f32_16x16x16_bf16 a[4:7], v[48:49], v[26:27], a[4:7]
	v_lshl_or_b32 v0, v18, 10, v0
	s_waitcnt vmcnt(0)
	v_perm_b32 v18, v2, v6, s0
	v_perm_b32 v24, v10, v14, s0
	s_waitcnt lgkmcnt(5)
	v_mfma_f32_16x16x16_bf16 a[8:11], v[48:49], v[40:41], a[8:11]
	ds_write2st64_b32 v0, v18, v24 offset0:128 offset1:160
	v_xor_b32_e32 v18, 8, v0
	v_perm_b32 v2, v2, v6, s1
	s_waitcnt lgkmcnt(5)
	v_mfma_f32_16x16x16_bf16 a[12:15], v[48:49], v[44:45], a[12:15]
	v_perm_b32 v6, v10, v14, s1
	v_add_u32_e32 v10, 0x80, v18
	ds_write2st64_b32 v10, v2, v6 offset0:128 offset1:160
	v_mfma_f32_16x16x16_bf16 a[0:3], v[50:51], v[38:39], a[0:3]
	v_xor_b32_e32 v2, 16, v0
	v_perm_b32 v6, v3, v7, s0
	v_perm_b32 v10, v11, v15, s0
	v_mfma_f32_16x16x16_bf16 a[4:7], v[50:51], v[28:29], a[4:7]
	ds_write2st64_b32 v2, v6, v10 offset0:129 offset1:161
	v_xor_b32_e32 v2, 24, v0
	v_perm_b32 v3, v3, v7, s1
	v_mfma_f32_16x16x16_bf16 a[16:19], v[50:51], v[42:43], a[8:11]
	v_perm_b32 v6, v11, v15, s1
	v_add_u32_e32 v2, 0x80, v2
	ds_write2st64_b32 v2, v3, v6 offset0:129 offset1:161
	v_mfma_f32_16x16x16_bf16 a[20:23], v[50:51], v[46:47], a[12:15]
	v_xor_b32_e32 v2, 32, v0
	v_perm_b32 v3, v4, v8, s0
	v_perm_b32 v6, v12, v16, s0
	s_waitcnt lgkmcnt(7)
	v_mfma_f32_16x16x16_bf16 a[12:15], v[52:53], v[20:21], a[0:3]
	ds_write2st64_b32 v2, v3, v6 offset0:130 offset1:162
	v_xor_b32_e32 v2, 40, v0
	v_perm_b32 v3, v4, v8, s1
	s_waitcnt lgkmcnt(7)
	v_mfma_f32_16x16x16_bf16 a[8:11], v[52:53], v[36:37], a[4:7]
	v_perm_b32 v4, v12, v16, s1
	v_add_u32_e32 v2, 0x80, v2
	ds_write2st64_b32 v2, v3, v4 offset0:130 offset1:162
	s_waitcnt lgkmcnt(7)
	v_mfma_f32_16x16x16_bf16 a[4:7], v[52:53], v[30:31], a[16:19]
	v_xor_b32_e32 v2, 48, v0
	v_perm_b32 v3, v5, v9, s0
	v_perm_b32 v4, v13, v17, s0
	s_waitcnt lgkmcnt(6)
	v_mfma_f32_16x16x16_bf16 a[0:3], v[52:53], v[54:55], a[20:23]
	v_xor_b32_e32 v0, 56, v0
	v_and_or_b32 v21, v33, 12, v1
	ds_write2st64_b32 v2, v3, v4 offset0:131 offset1:163
	v_perm_b32 v2, v5, v9, s1
	v_perm_b32 v3, v13, v17, s1
	v_add_u32_e32 v0, 0x80, v0
	v_cmp_gt_i32_e32 vcc, s27, v21
	v_mov_b32_e32 v16, 0
	v_mov_b32_e32 v18, 0
	ds_write2st64_b32 v0, v2, v3 offset0:131 offset1:163
	s_and_saveexec_b64 s[0:1], vcc
	s_cbranch_execz .LBB235_60
; %bb.59:
	v_add_u32_e32 v0, s26, v21
	v_ashrrev_i32_e32 v1, 31, v0
	v_mul_lo_u32 v2, v1, s30
	v_mul_lo_u32 v3, v0, s31
	v_mad_u64_u32 v[0:1], s[2:3], v0, s30, 0
	v_add3_u32 v1, v1, v3, v2
	v_lshl_add_u64 v[0:1], v[0:1], 2, s[10:11]
	global_load_dword v0, v[0:1], off
	s_waitcnt vmcnt(0)
	v_sub_f32_e32 v0, s12, v0
	v_mul_f32_e32 v0, 0x3fb8aa3b, v0
	v_exp_f32_e32 v18, v0
.LBB235_60:
	s_or_b64 exec, exec, s[0:1]
	v_or_b32_e32 v10, 1, v21
	v_cmp_gt_i32_e64 s[0:1], s27, v10
	s_and_saveexec_b64 s[2:3], s[0:1]
	s_cbranch_execz .LBB235_62
; %bb.61:
	v_add_u32_e32 v0, s26, v10
	v_ashrrev_i32_e32 v1, 31, v0
	v_mul_lo_u32 v2, v1, s30
	v_mul_lo_u32 v3, v0, s31
	v_mad_u64_u32 v[0:1], s[4:5], v0, s30, 0
	v_add3_u32 v1, v1, v3, v2
	v_lshl_add_u64 v[0:1], v[0:1], 2, s[10:11]
	global_load_dword v0, v[0:1], off
	s_waitcnt vmcnt(0)
	v_sub_f32_e32 v0, s12, v0
	v_mul_f32_e32 v0, 0x3fb8aa3b, v0
	v_exp_f32_e32 v16, v0
.LBB235_62:
	s_or_b64 exec, exec, s[2:3]
	v_or_b32_e32 v12, 2, v21
	v_cmp_gt_i32_e64 s[2:3], s27, v12
	v_mov_b32_e32 v17, 0
	v_mov_b32_e32 v20, 0
	s_and_saveexec_b64 s[4:5], s[2:3]
	s_cbranch_execz .LBB235_64
; %bb.63:
	v_add_u32_e32 v0, s26, v12
	v_ashrrev_i32_e32 v1, 31, v0
	v_mul_lo_u32 v2, v1, s30
	v_mul_lo_u32 v3, v0, s31
	v_mad_u64_u32 v[0:1], s[6:7], v0, s30, 0
	v_add3_u32 v1, v1, v3, v2
	v_lshl_add_u64 v[0:1], v[0:1], 2, s[10:11]
	global_load_dword v0, v[0:1], off
	s_waitcnt vmcnt(0)
	v_sub_f32_e32 v0, s12, v0
	v_mul_f32_e32 v0, 0x3fb8aa3b, v0
	v_exp_f32_e32 v20, v0
.LBB235_64:
	s_or_b64 exec, exec, s[4:5]
	v_or_b32_e32 v14, 3, v21
	v_cmp_gt_i32_e64 s[4:5], s27, v14
	s_and_saveexec_b64 s[6:7], s[4:5]
	s_cbranch_execz .LBB235_66
; %bb.65:
	v_add_u32_e32 v0, s26, v14
	v_ashrrev_i32_e32 v1, 31, v0
	v_mul_lo_u32 v2, v1, s30
	v_mul_lo_u32 v3, v0, s31
	v_mad_u64_u32 v[0:1], s[14:15], v0, s30, 0
	v_add3_u32 v1, v1, v3, v2
	v_lshl_add_u64 v[0:1], v[0:1], 2, s[10:11]
	global_load_dword v0, v[0:1], off
	s_waitcnt vmcnt(0)
	v_sub_f32_e32 v0, s12, v0
	v_mul_f32_e32 v0, 0x3fb8aa3b, v0
	v_exp_f32_e32 v17, v0
.LBB235_66:
	s_or_b64 exec, exec, s[6:7]
	s_add_u32 s6, s8, s20
	s_addc_u32 s7, s9, s21
	s_add_u32 s8, s28, s20
	v_ashrrev_i32_e32 v67, 31, v66
	v_accvgpr_read_b32 v0, a12
	s_addc_u32 s9, s29, s21
	v_lshlrev_b64 v[4:5], 1, v[66:67]
	v_accvgpr_read_b32 v1, a13
	v_accvgpr_read_b32 v2, a14
	;; [unrolled: 1-line block ×3, first 2 shown]
	v_lshl_add_u64 v[6:7], s[6:7], 0, v[4:5]
	v_lshl_add_u64 v[4:5], s[8:9], 0, v[4:5]
	v_mov_b32_e32 v11, 0
	v_lshlrev_b32_e32 v8, 8, v21
	v_mov_b32_e32 v9, 0
	s_and_saveexec_b64 s[6:7], vcc
	s_cbranch_execz .LBB235_68
; %bb.67:
	v_mov_b32_e32 v9, 0
	v_lshl_add_u64 v[24:25], v[6:7], 0, v[8:9]
	global_load_ushort v13, v[24:25], off
	v_lshl_add_u64 v[24:25], v[4:5], 0, v[8:9]
	s_waitcnt vmcnt(0)
	v_lshlrev_b32_e32 v9, 16, v13
	v_sub_f32_e32 v0, v9, v0
	global_store_short_d16_hi v[24:25], v0, off
	v_mul_f32_e32 v0, v18, v0
	v_lshrrev_b32_e32 v9, 16, v0
.LBB235_68:
	s_or_b64 exec, exec, s[6:7]
	v_lshlrev_b32_e32 v10, 8, v10
	s_and_saveexec_b64 s[6:7], s[0:1]
	s_cbranch_execz .LBB235_70
; %bb.69:
	v_mov_b32_e32 v11, 0
	v_lshl_add_u64 v[24:25], v[6:7], 0, v[10:11]
	global_load_ushort v0, v[24:25], off
	v_lshl_add_u64 v[24:25], v[4:5], 0, v[10:11]
	s_waitcnt vmcnt(0)
	v_lshlrev_b32_e32 v0, 16, v0
	v_sub_f32_e32 v0, v0, v1
	global_store_short_d16_hi v[24:25], v0, off
	v_mul_f32_e32 v0, v16, v0
	v_lshrrev_b32_e32 v11, 16, v0
.LBB235_70:
	s_or_b64 exec, exec, s[6:7]
	v_mov_b32_e32 v15, 0
	v_lshlrev_b32_e32 v12, 8, v12
	v_mov_b32_e32 v13, 0
	s_and_saveexec_b64 s[6:7], s[2:3]
	s_cbranch_execz .LBB235_72
; %bb.71:
	v_mov_b32_e32 v13, 0
	v_lshl_add_u64 v[0:1], v[6:7], 0, v[12:13]
	global_load_ushort v24, v[0:1], off
	v_lshl_add_u64 v[0:1], v[4:5], 0, v[12:13]
	s_waitcnt vmcnt(0)
	v_lshlrev_b32_e32 v13, 16, v24
	v_sub_f32_e32 v2, v13, v2
	global_store_short_d16_hi v[0:1], v2, off
	v_mul_f32_e32 v0, v20, v2
	v_lshrrev_b32_e32 v13, 16, v0
.LBB235_72:
	s_or_b64 exec, exec, s[6:7]
	v_lshlrev_b32_e32 v14, 8, v14
	s_and_saveexec_b64 s[6:7], s[4:5]
	s_cbranch_execz .LBB235_74
; %bb.73:
	v_mov_b32_e32 v15, 0
	v_lshl_add_u64 v[0:1], v[6:7], 0, v[14:15]
	global_load_ushort v2, v[0:1], off
	v_lshl_add_u64 v[0:1], v[4:5], 0, v[14:15]
	s_waitcnt vmcnt(0)
	v_lshlrev_b32_e32 v2, 16, v2
	v_sub_f32_e32 v2, v2, v3
	global_store_short_d16_hi v[0:1], v2, off
	v_mul_f32_e32 v0, v17, v2
	v_lshrrev_b32_e32 v15, 16, v0
.LBB235_74:
	s_or_b64 exec, exec, s[6:7]
	v_lshlrev_b32_e32 v21, 6, v21
	s_mov_b32 s6, 0x5040100
	v_perm_b32 v24, v11, v9, s6
	v_or_b32_e32 v9, v21, v34
	v_accvgpr_read_b32 v0, a8
	v_perm_b32 v25, v15, v13, s6
	v_lshlrev_b32_e32 v9, 1, v9
	v_accvgpr_read_b32 v1, a9
	v_accvgpr_read_b32 v2, a10
	;; [unrolled: 1-line block ×3, first 2 shown]
	ds_write_b64 v9, v[24:25] offset:24576
	v_mov_b32_e32 v11, 0
	v_mov_b32_e32 v9, 0
	s_and_saveexec_b64 s[6:7], vcc
	s_cbranch_execz .LBB235_76
; %bb.75:
	v_mov_b32_e32 v9, 0
	v_lshl_add_u64 v[24:25], v[6:7], 0, v[8:9]
	global_load_ushort v13, v[24:25], off offset:32
	v_lshl_add_u64 v[24:25], v[4:5], 0, v[8:9]
	s_waitcnt vmcnt(0)
	v_lshlrev_b32_e32 v9, 16, v13
	v_sub_f32_e32 v0, v9, v0
	global_store_short_d16_hi v[24:25], v0, off offset:32
	v_mul_f32_e32 v0, v18, v0
	v_lshrrev_b32_e32 v9, 16, v0
.LBB235_76:
	s_or_b64 exec, exec, s[6:7]
	s_and_saveexec_b64 s[6:7], s[0:1]
	s_cbranch_execz .LBB235_78
; %bb.77:
	v_mov_b32_e32 v11, 0
	v_lshl_add_u64 v[24:25], v[6:7], 0, v[10:11]
	global_load_ushort v0, v[24:25], off offset:32
	v_lshl_add_u64 v[24:25], v[4:5], 0, v[10:11]
	s_waitcnt vmcnt(0)
	v_lshlrev_b32_e32 v0, 16, v0
	v_sub_f32_e32 v0, v0, v1
	global_store_short_d16_hi v[24:25], v0, off offset:32
	v_mul_f32_e32 v0, v16, v0
	v_lshrrev_b32_e32 v11, 16, v0
.LBB235_78:
	s_or_b64 exec, exec, s[6:7]
	v_mov_b32_e32 v15, 0
	v_mov_b32_e32 v13, 0
	s_and_saveexec_b64 s[6:7], s[2:3]
	s_cbranch_execz .LBB235_80
; %bb.79:
	v_mov_b32_e32 v13, 0
	v_lshl_add_u64 v[0:1], v[6:7], 0, v[12:13]
	global_load_ushort v24, v[0:1], off offset:32
	v_lshl_add_u64 v[0:1], v[4:5], 0, v[12:13]
	s_waitcnt vmcnt(0)
	v_lshlrev_b32_e32 v13, 16, v24
	v_sub_f32_e32 v2, v13, v2
	global_store_short_d16_hi v[0:1], v2, off offset:32
	v_mul_f32_e32 v0, v20, v2
	v_lshrrev_b32_e32 v13, 16, v0
.LBB235_80:
	s_or_b64 exec, exec, s[6:7]
	s_and_saveexec_b64 s[6:7], s[4:5]
	s_cbranch_execz .LBB235_82
; %bb.81:
	v_mov_b32_e32 v15, 0
	v_lshl_add_u64 v[0:1], v[6:7], 0, v[14:15]
	global_load_ushort v2, v[0:1], off offset:32
	v_lshl_add_u64 v[0:1], v[4:5], 0, v[14:15]
	s_waitcnt vmcnt(0)
	v_lshlrev_b32_e32 v2, 16, v2
	v_sub_f32_e32 v2, v2, v3
	global_store_short_d16_hi v[0:1], v2, off offset:32
	v_mul_f32_e32 v0, v17, v2
	v_lshrrev_b32_e32 v15, 16, v0
.LBB235_82:
	s_or_b64 exec, exec, s[6:7]
	s_mov_b32 s6, 0x5040100
	v_perm_b32 v24, v11, v9, s6
	v_or_b32_e32 v9, v21, v23
	v_accvgpr_read_b32 v0, a4
	v_perm_b32 v25, v15, v13, s6
	v_lshlrev_b32_e32 v9, 1, v9
	v_accvgpr_read_b32 v1, a5
	v_accvgpr_read_b32 v2, a6
	;; [unrolled: 1-line block ×3, first 2 shown]
	ds_write_b64 v9, v[24:25] offset:24576
	v_mov_b32_e32 v11, 0
	v_mov_b32_e32 v9, 0
	s_and_saveexec_b64 s[6:7], vcc
	s_cbranch_execz .LBB235_84
; %bb.83:
	v_mov_b32_e32 v9, 0
	v_lshl_add_u64 v[24:25], v[6:7], 0, v[8:9]
	global_load_ushort v13, v[24:25], off offset:64
	v_lshl_add_u64 v[24:25], v[4:5], 0, v[8:9]
	s_waitcnt vmcnt(0)
	v_lshlrev_b32_e32 v9, 16, v13
	v_sub_f32_e32 v0, v9, v0
	global_store_short_d16_hi v[24:25], v0, off offset:64
	v_mul_f32_e32 v0, v18, v0
	v_lshrrev_b32_e32 v9, 16, v0
.LBB235_84:
	s_or_b64 exec, exec, s[6:7]
	s_and_saveexec_b64 s[6:7], s[0:1]
	s_cbranch_execz .LBB235_86
; %bb.85:
	v_mov_b32_e32 v11, 0
	v_lshl_add_u64 v[24:25], v[6:7], 0, v[10:11]
	global_load_ushort v0, v[24:25], off offset:64
	v_lshl_add_u64 v[24:25], v[4:5], 0, v[10:11]
	s_waitcnt vmcnt(0)
	v_lshlrev_b32_e32 v0, 16, v0
	v_sub_f32_e32 v0, v0, v1
	global_store_short_d16_hi v[24:25], v0, off offset:64
	v_mul_f32_e32 v0, v16, v0
	v_lshrrev_b32_e32 v11, 16, v0
.LBB235_86:
	s_or_b64 exec, exec, s[6:7]
	v_mov_b32_e32 v15, 0
	v_mov_b32_e32 v13, 0
	s_and_saveexec_b64 s[6:7], s[2:3]
	s_cbranch_execz .LBB235_88
; %bb.87:
	v_mov_b32_e32 v13, 0
	v_lshl_add_u64 v[0:1], v[6:7], 0, v[12:13]
	global_load_ushort v23, v[0:1], off offset:64
	v_lshl_add_u64 v[0:1], v[4:5], 0, v[12:13]
	s_waitcnt vmcnt(0)
	v_lshlrev_b32_e32 v13, 16, v23
	v_sub_f32_e32 v2, v13, v2
	global_store_short_d16_hi v[0:1], v2, off offset:64
	v_mul_f32_e32 v0, v20, v2
	v_lshrrev_b32_e32 v13, 16, v0
.LBB235_88:
	s_or_b64 exec, exec, s[6:7]
	s_and_saveexec_b64 s[6:7], s[4:5]
	s_cbranch_execz .LBB235_90
; %bb.89:
	v_mov_b32_e32 v15, 0
	v_lshl_add_u64 v[0:1], v[6:7], 0, v[14:15]
	global_load_ushort v2, v[0:1], off offset:64
	v_lshl_add_u64 v[0:1], v[4:5], 0, v[14:15]
	s_waitcnt vmcnt(0)
	v_lshlrev_b32_e32 v2, 16, v2
	v_sub_f32_e32 v2, v2, v3
	global_store_short_d16_hi v[0:1], v2, off offset:64
	v_mul_f32_e32 v0, v17, v2
	v_lshrrev_b32_e32 v15, 16, v0
.LBB235_90:
	s_or_b64 exec, exec, s[6:7]
	s_mov_b32 s6, 0x5040100
	v_perm_b32 v24, v11, v9, s6
	v_or_b32_e32 v9, v21, v22
	v_accvgpr_read_b32 v0, a0
	v_perm_b32 v25, v15, v13, s6
	v_lshlrev_b32_e32 v9, 1, v9
	v_accvgpr_read_b32 v1, a1
	v_accvgpr_read_b32 v2, a2
	;; [unrolled: 1-line block ×3, first 2 shown]
	ds_write_b64 v9, v[24:25] offset:24576
	v_mov_b32_e32 v11, 0
	v_mov_b32_e32 v9, 0
	s_and_saveexec_b64 s[6:7], vcc
	s_cbranch_execz .LBB235_92
; %bb.91:
	v_mov_b32_e32 v9, 0
	v_lshl_add_u64 v[22:23], v[6:7], 0, v[8:9]
	global_load_ushort v13, v[22:23], off offset:96
	v_lshl_add_u64 v[8:9], v[4:5], 0, v[8:9]
	s_waitcnt vmcnt(0)
	v_lshlrev_b32_e32 v13, 16, v13
	v_sub_f32_e32 v0, v13, v0
	global_store_short_d16_hi v[8:9], v0, off offset:96
	v_mul_f32_e32 v0, v18, v0
	v_lshrrev_b32_e32 v9, 16, v0
.LBB235_92:
	s_or_b64 exec, exec, s[6:7]
	s_and_saveexec_b64 s[6:7], s[0:1]
	s_cbranch_execz .LBB235_94
; %bb.93:
	v_mov_b32_e32 v11, 0
	v_lshl_add_u64 v[22:23], v[6:7], 0, v[10:11]
	global_load_ushort v0, v[22:23], off offset:96
	v_lshl_add_u64 v[10:11], v[4:5], 0, v[10:11]
	s_waitcnt vmcnt(0)
	v_lshlrev_b32_e32 v0, 16, v0
	v_sub_f32_e32 v0, v0, v1
	global_store_short_d16_hi v[10:11], v0, off offset:96
	v_mul_f32_e32 v0, v16, v0
	v_lshrrev_b32_e32 v11, 16, v0
.LBB235_94:
	s_or_b64 exec, exec, s[6:7]
	v_mov_b32_e32 v0, 0
	v_mov_b32_e32 v1, 0
	s_and_saveexec_b64 s[0:1], s[2:3]
	s_cbranch_execz .LBB235_96
; %bb.95:
	v_mov_b32_e32 v13, 0
	v_lshl_add_u64 v[22:23], v[6:7], 0, v[12:13]
	global_load_ushort v1, v[22:23], off offset:96
	v_lshl_add_u64 v[12:13], v[4:5], 0, v[12:13]
	s_waitcnt vmcnt(0)
	v_lshlrev_b32_e32 v1, 16, v1
	v_sub_f32_e32 v1, v1, v2
	global_store_short_d16_hi v[12:13], v1, off offset:96
	v_mul_f32_e32 v1, v20, v1
	v_lshrrev_b32_e32 v1, 16, v1
.LBB235_96:
	s_or_b64 exec, exec, s[0:1]
	s_and_saveexec_b64 s[0:1], s[4:5]
	s_cbranch_execz .LBB235_98
; %bb.97:
	v_mov_b32_e32 v15, 0
	v_lshl_add_u64 v[6:7], v[6:7], 0, v[14:15]
	global_load_ushort v0, v[6:7], off offset:96
	v_lshl_add_u64 v[4:5], v[4:5], 0, v[14:15]
	s_waitcnt vmcnt(0)
	v_lshlrev_b32_e32 v0, 16, v0
	v_sub_f32_e32 v0, v0, v3
	global_store_short_d16_hi v[4:5], v0, off offset:96
	v_mul_f32_e32 v0, v17, v0
	v_lshrrev_b32_e32 v0, 16, v0
.LBB235_98:
	s_or_b64 exec, exec, s[0:1]
	s_mov_b32 s0, 0x5040100
	v_or_b32_e32 v2, v21, v19
	v_perm_b32 v1, v0, v1, s0
	v_perm_b32 v0, v11, v9, s0
	v_lshlrev_b32_e32 v2, 1, v2
	ds_write_b64 v2, v[0:1] offset:24576
	s_waitcnt lgkmcnt(0)
	s_barrier
.LBB235_99:
	s_endpgm
	.section	.rodata,"a",@progbits
	.p2align	6, 0x0
	.amdhsa_kernel _ZN12_GLOBAL__N_139chunk_gated_delta_rule_fwd_h_hip_kernelILi64ELb1ELb0ELb1ELb0ELb0ELb0ELb1ELb0EEEvPK12hip_bfloat16S3_S3_PKfS5_PKvPS1_S8_PvPKiSB_iiiiilll
		.amdhsa_group_segment_fixed_size 65536
		.amdhsa_private_segment_fixed_size 0
		.amdhsa_kernarg_size 136
		.amdhsa_user_sgpr_count 2
		.amdhsa_user_sgpr_dispatch_ptr 0
		.amdhsa_user_sgpr_queue_ptr 0
		.amdhsa_user_sgpr_kernarg_segment_ptr 1
		.amdhsa_user_sgpr_dispatch_id 0
		.amdhsa_user_sgpr_kernarg_preload_length 0
		.amdhsa_user_sgpr_kernarg_preload_offset 0
		.amdhsa_user_sgpr_private_segment_size 0
		.amdhsa_uses_dynamic_stack 0
		.amdhsa_enable_private_segment 0
		.amdhsa_system_sgpr_workgroup_id_x 1
		.amdhsa_system_sgpr_workgroup_id_y 1
		.amdhsa_system_sgpr_workgroup_id_z 0
		.amdhsa_system_sgpr_workgroup_info 0
		.amdhsa_system_vgpr_workitem_id 0
		.amdhsa_next_free_vgpr 216
		.amdhsa_next_free_sgpr 68
		.amdhsa_accum_offset 180
		.amdhsa_reserve_vcc 1
		.amdhsa_float_round_mode_32 0
		.amdhsa_float_round_mode_16_64 0
		.amdhsa_float_denorm_mode_32 3
		.amdhsa_float_denorm_mode_16_64 3
		.amdhsa_dx10_clamp 1
		.amdhsa_ieee_mode 1
		.amdhsa_fp16_overflow 0
		.amdhsa_tg_split 0
		.amdhsa_exception_fp_ieee_invalid_op 0
		.amdhsa_exception_fp_denorm_src 0
		.amdhsa_exception_fp_ieee_div_zero 0
		.amdhsa_exception_fp_ieee_overflow 0
		.amdhsa_exception_fp_ieee_underflow 0
		.amdhsa_exception_fp_ieee_inexact 0
		.amdhsa_exception_int_div_zero 0
	.end_amdhsa_kernel
	.section	.text._ZN12_GLOBAL__N_139chunk_gated_delta_rule_fwd_h_hip_kernelILi64ELb1ELb0ELb1ELb0ELb0ELb0ELb1ELb0EEEvPK12hip_bfloat16S3_S3_PKfS5_PKvPS1_S8_PvPKiSB_iiiiilll,"axG",@progbits,_ZN12_GLOBAL__N_139chunk_gated_delta_rule_fwd_h_hip_kernelILi64ELb1ELb0ELb1ELb0ELb0ELb0ELb1ELb0EEEvPK12hip_bfloat16S3_S3_PKfS5_PKvPS1_S8_PvPKiSB_iiiiilll,comdat
.Lfunc_end235:
	.size	_ZN12_GLOBAL__N_139chunk_gated_delta_rule_fwd_h_hip_kernelILi64ELb1ELb0ELb1ELb0ELb0ELb0ELb1ELb0EEEvPK12hip_bfloat16S3_S3_PKfS5_PKvPS1_S8_PvPKiSB_iiiiilll, .Lfunc_end235-_ZN12_GLOBAL__N_139chunk_gated_delta_rule_fwd_h_hip_kernelILi64ELb1ELb0ELb1ELb0ELb0ELb0ELb1ELb0EEEvPK12hip_bfloat16S3_S3_PKfS5_PKvPS1_S8_PvPKiSB_iiiiilll
                                        ; -- End function
	.section	.AMDGPU.csdata,"",@progbits
; Kernel info:
; codeLenInByte = 11256
; NumSgprs: 74
; NumVgprs: 180
; NumAgprs: 36
; TotalNumVgprs: 216
; ScratchSize: 0
; MemoryBound: 0
; FloatMode: 240
; IeeeMode: 1
; LDSByteSize: 65536 bytes/workgroup (compile time only)
; SGPRBlocks: 9
; VGPRBlocks: 26
; NumSGPRsForWavesPerEU: 74
; NumVGPRsForWavesPerEU: 216
; AccumOffset: 180
; Occupancy: 1
; WaveLimiterHint : 1
; COMPUTE_PGM_RSRC2:SCRATCH_EN: 0
; COMPUTE_PGM_RSRC2:USER_SGPR: 2
; COMPUTE_PGM_RSRC2:TRAP_HANDLER: 0
; COMPUTE_PGM_RSRC2:TGID_X_EN: 1
; COMPUTE_PGM_RSRC2:TGID_Y_EN: 1
; COMPUTE_PGM_RSRC2:TGID_Z_EN: 0
; COMPUTE_PGM_RSRC2:TIDIG_COMP_CNT: 0
; COMPUTE_PGM_RSRC3_GFX90A:ACCUM_OFFSET: 44
; COMPUTE_PGM_RSRC3_GFX90A:TG_SPLIT: 0
	.section	.text._ZN12_GLOBAL__N_139chunk_gated_delta_rule_fwd_h_hip_kernelILi64ELb1ELb0ELb0ELb0ELb0ELb0ELb1ELb0EEEvPK12hip_bfloat16S3_S3_PKfS5_PKvPS1_S8_PvPKiSB_iiiiilll,"axG",@progbits,_ZN12_GLOBAL__N_139chunk_gated_delta_rule_fwd_h_hip_kernelILi64ELb1ELb0ELb0ELb0ELb0ELb0ELb1ELb0EEEvPK12hip_bfloat16S3_S3_PKfS5_PKvPS1_S8_PvPKiSB_iiiiilll,comdat
	.globl	_ZN12_GLOBAL__N_139chunk_gated_delta_rule_fwd_h_hip_kernelILi64ELb1ELb0ELb0ELb0ELb0ELb0ELb1ELb0EEEvPK12hip_bfloat16S3_S3_PKfS5_PKvPS1_S8_PvPKiSB_iiiiilll ; -- Begin function _ZN12_GLOBAL__N_139chunk_gated_delta_rule_fwd_h_hip_kernelILi64ELb1ELb0ELb0ELb0ELb0ELb0ELb1ELb0EEEvPK12hip_bfloat16S3_S3_PKfS5_PKvPS1_S8_PvPKiSB_iiiiilll
	.p2align	8
	.type	_ZN12_GLOBAL__N_139chunk_gated_delta_rule_fwd_h_hip_kernelILi64ELb1ELb0ELb0ELb0ELb0ELb0ELb1ELb0EEEvPK12hip_bfloat16S3_S3_PKfS5_PKvPS1_S8_PvPKiSB_iiiiilll,@function
_ZN12_GLOBAL__N_139chunk_gated_delta_rule_fwd_h_hip_kernelILi64ELb1ELb0ELb0ELb0ELb0ELb0ELb1ELb0EEEvPK12hip_bfloat16S3_S3_PKfS5_PKvPS1_S8_PvPKiSB_iiiiilll: ; @_ZN12_GLOBAL__N_139chunk_gated_delta_rule_fwd_h_hip_kernelILi64ELb1ELb0ELb0ELb0ELb0ELb0ELb1ELb0EEEvPK12hip_bfloat16S3_S3_PKfS5_PKvPS1_S8_PvPKiSB_iiiiilll
; %bb.0:
	s_load_dwordx4 s[12:15], s[0:1], 0x5c
	s_load_dwordx4 s[16:19], s[0:1], 0x28
	s_abs_i32 s6, s3
	s_ashr_i32 s5, s3, 31
	v_and_b32_e32 v77, 15, v0
	s_waitcnt lgkmcnt(0)
	s_abs_i32 s4, s13
	v_cvt_f32_u32_e32 v1, s4
	s_sub_i32 s8, 0, s4
	s_ashr_i32 s7, s13, 31
	s_xor_b32 s5, s5, s7
	v_rcp_iflag_f32_e32 v1, v1
	v_lshrrev_b32_e32 v75, 6, v0
	v_bfe_u32 v76, v0, 4, 2
	v_mov_b32_e32 v11, 0
	v_mul_f32_e32 v1, 0x4f7ffffe, v1
	v_cvt_u32_f32_e32 v1, v1
	v_and_b32_e32 v74, 63, v0
	v_lshrrev_b32_e32 v79, 3, v74
	v_lshlrev_b32_e32 v78, 3, v0
	v_readfirstlane_b32 s9, v1
	s_mul_i32 s8, s8, s9
	s_mul_hi_u32 s8, s9, s8
	s_add_i32 s9, s9, s8
	s_mul_hi_u32 s8, s6, s9
	s_mul_i32 s9, s8, s4
	s_sub_i32 s6, s6, s9
	s_add_i32 s10, s8, 1
	s_sub_i32 s9, s6, s4
	s_cmp_ge_u32 s6, s4
	s_cselect_b32 s8, s10, s8
	s_cselect_b32 s6, s9, s6
	s_add_i32 s9, s8, 1
	s_cmp_ge_u32 s6, s4
	s_cselect_b32 s6, s9, s8
	s_xor_b32 s6, s6, s5
	s_sub_i32 s49, s6, s5
	s_mul_i32 s6, s49, s13
	s_sub_i32 s46, s3, s6
	s_abs_i32 s3, s14
	v_cvt_f32_u32_e32 v1, s3
	s_add_i32 s8, s12, 63
	s_ashr_i32 s9, s8, 31
	s_lshr_b32 s5, s9, 26
	v_rcp_iflag_f32_e32 v1, v1
	s_ashr_i32 s48, s12, 31
	s_add_i32 s8, s8, s5
	s_lshr_b32 s5, s48, 26
	v_mul_f32_e32 v1, 0x4f7ffffe, v1
	v_cvt_u32_f32_e32 v1, v1
	s_add_i32 s5, s12, s5
	s_ashr_i32 s51, s14, 31
	s_ashr_i32 s24, s8, 6
	;; [unrolled: 1-line block ×3, first 2 shown]
	s_xor_b32 s5, s7, s51
	s_sub_i32 s7, 0, s3
	v_readfirstlane_b32 s8, v1
	s_mul_i32 s7, s7, s8
	s_mul_hi_u32 s7, s8, s7
	s_add_i32 s8, s8, s7
	s_mul_hi_u32 s7, s4, s8
	s_mul_i32 s8, s7, s3
	s_sub_i32 s4, s4, s8
	s_lshl_b32 s2, s2, 6
	s_add_i32 s8, s7, 1
	s_sub_i32 s9, s4, s3
	s_cmp_ge_u32 s4, s3
	s_cselect_b32 s7, s8, s7
	s_cselect_b32 s4, s9, s4
	s_add_i32 s8, s7, 1
	s_cmp_ge_u32 s4, s3
	s_cselect_b32 s3, s8, s7
	s_xor_b32 s3, s3, s5
	s_sub_i32 s3, s3, s5
	s_abs_i32 s4, s3
	v_cvt_f32_u32_e32 v1, s4
	s_sub_i32 s7, 0, s4
	s_abs_i32 s5, s46
	s_xor_b32 s3, s46, s3
	v_rcp_iflag_f32_e32 v1, v1
	s_ashr_i32 s3, s3, 31
	v_or_b32_e32 v66, s2, v77
	v_lshlrev_b32_e32 v2, 7, v66
	v_mul_f32_e32 v1, 0x4f7ffffe, v1
	v_cvt_u32_f32_e32 v1, v1
	v_ashrrev_i32_e32 v3, 31, v2
	s_mul_i32 s53, s49, s24
	v_readfirstlane_b32 s8, v1
	s_mul_i32 s7, s7, s8
	s_mul_hi_u32 s7, s8, s7
	s_add_i32 s8, s8, s7
	s_mul_hi_u32 s7, s5, s8
	s_mul_i32 s8, s7, s4
	s_sub_i32 s5, s5, s8
	s_add_i32 s8, s7, 1
	s_sub_i32 s9, s5, s4
	s_cmp_ge_u32 s5, s4
	s_cselect_b32 s7, s8, s7
	s_cselect_b32 s5, s9, s5
	s_add_i32 s8, s7, 1
	s_cmp_ge_u32 s5, s4
	s_cselect_b32 s4, s8, s7
	s_xor_b32 s4, s4, s3
	s_sub_i32 s52, s4, s3
	s_ashr_i32 s3, s49, 31
	s_ashr_i32 s47, s46, 31
	s_mul_hi_i32 s4, s49, s13
	s_add_u32 s36, s6, s46
	s_addc_u32 s37, s4, s47
	s_lshl_b64 s[4:5], s[36:37], 16
	v_lshlrev_b32_e32 v1, 4, v75
	s_add_u32 s4, s16, s4
	v_lshl_or_b32 v80, v76, 2, v1
	s_addc_u32 s5, s17, s5
	v_lshl_add_u64 v[4:5], v[2:3], 2, s[4:5]
	v_lshlrev_b32_e32 v10, 2, v80
	v_lshl_add_u64 v[4:5], v[4:5], 0, v[10:11]
	global_load_dwordx4 v[22:25], v[4:5], off
	global_load_dwordx4 v[30:33], v[4:5], off offset:256
	v_or_b32_e32 v4, 0x800, v2
	v_ashrrev_i32_e32 v5, 31, v4
	v_lshl_add_u64 v[4:5], v[4:5], 2, s[4:5]
	v_lshl_add_u64 v[4:5], v[4:5], 0, v[10:11]
	global_load_dwordx4 v[14:17], v[4:5], off
	global_load_dwordx4 v[26:29], v[4:5], off offset:256
	v_or_b32_e32 v4, 0x1000, v2
	v_or_b32_e32 v2, 0x1800, v2
	v_ashrrev_i32_e32 v5, 31, v4
	v_ashrrev_i32_e32 v3, 31, v2
	v_lshl_add_u64 v[4:5], v[4:5], 2, s[4:5]
	v_lshl_add_u64 v[2:3], v[2:3], 2, s[4:5]
	;; [unrolled: 1-line block ×4, first 2 shown]
	global_load_dwordx4 v[6:9], v[4:5], off
	global_load_dwordx4 v[18:21], v[4:5], off offset:256
	s_nop 0
	global_load_dwordx4 v[2:5], v[34:35], off
	global_load_dwordx4 v[10:13], v[34:35], off offset:256
	s_load_dwordx8 s[4:11], s[0:1], 0x0
	s_load_dwordx2 s[28:29], s[0:1], 0x80
	s_load_dwordx4 s[20:23], s[0:1], 0x70
	v_or_b32_e32 v81, 64, v80
	s_cmp_lt_i32 s12, 64
	s_mul_i32 s54, s37, s12
	s_mul_hi_u32 s55, s36, s12
	s_mul_i32 s16, s36, s12
	s_waitcnt lgkmcnt(0)
	s_mul_i32 s33, s49, s21
	s_mul_hi_u32 s42, s49, s20
	s_mul_i32 s37, s3, s20
	s_mul_i32 s34, s49, s20
	;; [unrolled: 1-line block ×3, first 2 shown]
	s_mul_hi_u32 s44, s46, s22
	s_mul_i32 s45, s47, s22
	s_mul_i32 s30, s46, s22
	s_cbranch_scc1 .LBB236_18
; %bb.1:
	s_add_i32 s17, s55, s54
	s_lshl_b64 s[0:1], s[16:17], 8
	v_and_b32_e32 v83, 56, v78
	s_add_u32 s20, s6, s0
	v_lshl_or_b32 v82, v75, 3, v79
	v_lshlrev_b32_e32 v34, 1, v83
	s_addc_u32 s0, s7, s1
	v_lshl_or_b32 v84, v82, 8, v34
	s_and_b32 s21, s0, 0xffff
	s_mov_b32 s23, 0x20000
	s_movk_i32 s22, 0x4000
	s_movk_i32 s0, 0x80
	v_or_b32_e32 v85, 0x2000, v84
	buffer_load_dwordx4 v[36:39], v84, s[20:23], 0 offen
	buffer_load_dwordx4 v[40:43], v84, s[20:23], s0 offen
	;; [unrolled: 1-line block ×4, first 2 shown]
	v_lshlrev_b32_e32 v35, 3, v82
	v_and_or_b32 v53, v0, 7, v35
	v_and_b32_e32 v35, 0x78, v35
	v_lshlrev_b32_e32 v53, 4, v53
	v_xor_b32_e32 v86, v53, v35
	v_mul_lo_u32 v52, v82, s15
	v_or_b32_e32 v87, 0x1000, v86
	v_xor_b32_e32 v35, 8, v86
	s_cmpk_eq_i32 s15, 0x80
	s_mov_b32 s56, s14
	v_xor_b32_e32 v53, 8, v87
	s_cselect_b64 s[0:1], -1, 0
	s_cmpk_lg_i32 s15, 0x80
	s_waitcnt vmcnt(3)
	ds_write_b64 v86, v[36:37] offset:49152
	ds_write_b64 v35, v[38:39] offset:49152
	s_waitcnt vmcnt(2)
	ds_write_b64 v86, v[40:41] offset:57344
	ds_write_b64 v35, v[42:43] offset:57344
	;; [unrolled: 3-line block ×4, first 2 shown]
	v_lshl_add_u32 v35, v52, 1, v83
	s_cbranch_scc0 .LBB236_3
; %bb.2:
	v_lshlrev_b32_e32 v37, 1, v35
	v_add_lshl_u32 v36, v35, s15, 1
	s_lshl_b32 s22, s15, 7
	v_lshl_or_b32 v34, v82, 9, v34
	s_cbranch_execz .LBB236_4
	s_branch .LBB236_5
.LBB236_3:
                                        ; implicit-def: $vgpr36
                                        ; implicit-def: $vgpr37
                                        ; implicit-def: $sgpr22
	v_lshl_or_b32 v34, v82, 9, v34
.LBB236_4:
	v_or_b32_e32 v36, 0x100, v34
	s_movk_i32 s22, 0x4000
	v_mov_b32_e32 v37, v34
.LBB236_5:
	s_mul_hi_u32 s20, s14, s12
	s_mul_i32 s21, s51, s12
	s_add_i32 s20, s20, s21
	s_mul_i32 s21, s14, s12
	s_mul_i32 s23, s21, s3
	s_mul_hi_u32 s24, s21, s49
	s_add_i32 s23, s24, s23
	s_mul_i32 s20, s20, s49
	s_add_i32 s23, s23, s20
	s_mul_i32 s21, s21, s49
	s_ashr_i32 s57, s52, 31
	s_add_u32 s20, s21, s52
	s_addc_u32 s21, s23, s57
	s_lshl_b64 s[20:21], s[20:21], 8
	s_add_u32 s20, s4, s20
	s_addc_u32 s21, s5, s21
	s_and_b32 s21, s21, 0xffff
	s_mov_b32 s23, 0x20000
	s_movk_i32 s58, 0x80
	buffer_load_dwordx4 v[38:41], v37, s[20:23], 0 offen
	buffer_load_dwordx4 v[42:45], v37, s[20:23], s58 offen
	;; [unrolled: 1-line block ×4, first 2 shown]
	v_and_b32_e32 v37, 6, v0
	v_lshlrev_b32_e32 v36, 7, v80
	v_xor_b32_e32 v58, v82, v37
	v_and_b32_e32 v54, 1, v0
	v_lshl_or_b32 v61, v77, 3, v36
	v_lshlrev_b32_e32 v58, 2, v58
	v_or_b32_e32 v88, 0x4000, v61
	v_or_b32_e32 v89, 0x6000, v61
	v_xor_b32_e32 v61, 0x440, v58
	v_cmp_eq_u32_e32 vcc, 0, v54
	v_lshlrev_b32_e32 v55, 2, v77
	s_mov_b32 s60, 0x1000504
	v_cndmask_b32_e32 v54, v61, v58, vcc
	v_xor_b32_e32 v59, v80, v55
	v_xor_b32_e32 v60, v81, v55
	v_lshl_or_b32 v37, v37, 10, v54
	s_mov_b32 s61, 0x3020706
	v_lshlrev_b32_e32 v56, 8, v77
	v_or_b32_e32 v57, 16, v77
	v_lshlrev_b32_e32 v59, 1, v59
	v_lshlrev_b32_e32 v60, 1, v60
	v_xor_b32_e32 v54, 8, v37
	v_xor_b32_e32 v58, 24, v37
	;; [unrolled: 1-line block ×4, first 2 shown]
	s_mul_i32 s3, s3, s12
	s_mul_hi_u32 s20, s49, s12
	v_or_b32_e32 v91, v56, v59
	v_or_b32_e32 v92, v56, v60
	v_xor_b32_e32 v56, 16, v37
	v_xor_b32_e32 v61, 32, v37
	;; [unrolled: 1-line block ×3, first 2 shown]
	v_add_u32_e32 v54, 0x80, v54
	v_add_u32_e32 v58, 0x80, v58
	;; [unrolled: 1-line block ×4, first 2 shown]
	s_add_i32 s63, s20, s3
	s_add_i32 s3, s42, s33
	;; [unrolled: 1-line block ×5, first 2 shown]
	s_lshl_b64 s[20:21], s[34:35], 2
	s_add_u32 s3, s10, s20
	s_addc_u32 s24, s11, s21
	s_lshl_b64 s[20:21], s[30:31], 2
	s_add_u32 s38, s3, s20
	s_movk_i32 s3, 0xf8
	s_addc_u32 s39, s24, s21
	s_lshl_b32 s26, s15, 7
	s_movk_i32 s24, 0x100
	v_mov_b32_e32 v69, 0
	v_cmp_gt_u32_e32 vcc, s24, v0
	v_lshl_or_b32 v62, v57, 3, v36
	s_mov_b32 s59, 0
	s_mul_i32 s62, s49, s12
	v_or_b32_e32 v90, 0x4000, v62
	s_movk_i32 s22, 0x4000
	v_or_b32_e32 v93, 0x6000, v62
	s_movk_i32 s31, 0x2000
	s_movk_i32 s35, 0x3000
	v_mov_b32_e32 v131, 0x3fb8aa3b
	s_mov_b32 s65, 0
	s_waitcnt vmcnt(1)
	v_perm_b32 v67, v38, v46, s60
	s_waitcnt vmcnt(0)
	v_perm_b32 v68, v42, v50, s60
	v_perm_b32 v38, v38, v46, s61
	;; [unrolled: 1-line block ×15, first 2 shown]
	ds_write2st64_b32 v37, v67, v68 offset0:128 offset1:160
	ds_write2st64_b32 v54, v38, v42 offset0:128 offset1:160
	;; [unrolled: 1-line block ×8, first 2 shown]
	v_lshlrev_b32_e32 v37, 8, v57
	v_or_b32_e32 v94, v37, v59
	v_or_b32_e32 v95, v37, v60
	;; [unrolled: 1-line block ×3, first 2 shown]
	v_lshl_or_b32 v38, v37, 3, v36
	v_lshlrev_b32_e32 v37, 8, v37
	v_or_b32_e32 v98, v37, v59
	v_or_b32_e32 v99, v37, v60
	v_or_b32_e32 v37, 48, v77
	v_or_b32_e32 v96, 0x4000, v38
	v_or_b32_e32 v97, 0x6000, v38
	v_lshl_or_b32 v38, v37, 3, v36
	v_lshlrev_b32_e32 v37, 8, v37
	v_or_b32_e32 v102, v37, v59
	v_or_b32_e32 v103, v37, v60
	;; [unrolled: 1-line block ×3, first 2 shown]
	v_lshlrev_b32_e32 v37, 3, v37
	v_lshrrev_b32_e32 v39, 5, v74
	v_and_or_b32 v39, v37, s3, v39
	v_lshlrev_b32_e32 v39, 4, v39
	v_lshlrev_b32_e32 v40, 11, v75
	v_and_b32_e32 v37, 0x78, v37
	v_or_b32_e32 v45, 32, v39
	v_or_b32_e32 v100, 0x4000, v38
	;; [unrolled: 1-line block ×3, first 2 shown]
	v_and_b32_e32 v38, 0x1000, v40
	v_xor_b32_e32 v41, v39, v37
	v_lshrrev_b32_e32 v42, 1, v0
	v_xor_b32_e32 v45, v45, v37
	v_or_b32_e32 v41, v41, v38
	v_and_b32_e32 v43, 8, v42
	v_or_b32_e32 v45, v45, v38
	v_xor_b32_e32 v104, v41, v43
	v_lshlrev_b32_e32 v41, 8, v76
	v_xor_b32_e32 v106, v45, v43
	v_or_b32_e32 v45, 64, v39
	v_or_b32_e32 v39, 0x60, v39
	s_ashr_i32 s3, s2, 31
	v_or_b32_e32 v44, v41, v55
	v_xor_b32_e32 v45, v45, v37
	v_xor_b32_e32 v37, v39, v37
	s_lshl_b64 s[20:21], s[2:3], 8
	v_lshlrev_b32_e32 v44, 1, v44
	v_or_b32_e32 v45, v45, v38
	v_or_b32_e32 v37, v37, v38
	s_add_u32 s20, s18, s20
	v_lshlrev_b32_e32 v38, 1, v77
	v_or_b32_e32 v105, 0x4000, v44
	v_or_b32_e32 v107, 0x4080, v44
	;; [unrolled: 1-line block ×8, first 2 shown]
	v_lshrrev_b32_e32 v44, 4, v0
	s_addc_u32 s21, s19, s21
	v_or_b32_e32 v39, 1, v38
	v_lshlrev_b32_e32 v68, 4, v77
	v_mov_b32_e32 v48, 0xa000
	v_mov_b32_e32 v49, 0x8000
	v_xor_b32_e32 v110, v45, v43
	v_xor_b32_e32 v45, v44, v38
	;; [unrolled: 1-line block ×3, first 2 shown]
	v_lshl_add_u64 v[38:39], s[20:21], 0, v[68:69]
	v_lshlrev_b32_e32 v68, 8, v44
	v_cndmask_b32_e32 v48, v48, v49, vcc
	v_lshlrev_b32_e32 v49, 3, v75
	v_and_b32_e32 v42, 24, v42
	v_lshl_or_b32 v116, v45, 3, v68
	v_and_b32_e32 v45, 8, v0
	v_xor_b32_e32 v50, v49, v42
	v_or_b32_e32 v51, 0x440, v50
	v_cmp_eq_u32_e32 vcc, 0, v45
	v_and_b32_e32 v44, 7, v0
	v_lshl_or_b32 v117, v46, 3, v68
	v_cndmask_b32_e32 v45, v51, v50, vcc
	v_lshlrev_b32_e32 v46, 3, v44
	v_lshlrev_b32_e32 v44, 7, v44
	v_or_b32_e32 v45, v45, v40
	v_lshlrev_b32_e32 v47, 2, v0
	v_xad_u32 v118, v45, v46, v44
	v_or_b32_e32 v45, 32, v42
	v_and_or_b32 v41, v47, 60, v41
	v_xor_b32_e32 v45, v49, v45
	v_lshlrev_b32_e32 v41, 1, v41
	v_or_b32_e32 v47, 0x440, v45
	v_or_b32_e32 v119, 0x6000, v41
	v_cndmask_b32_e32 v45, v47, v45, vcc
	v_or_b32_e32 v121, 0x6080, v41
	v_or_b32_e32 v122, 0x6100, v41
	;; [unrolled: 1-line block ×5, first 2 shown]
	v_xor_b32_e32 v41, v49, v41
	v_xad_u32 v120, v45, v46, v44
	v_xor_b32_e32 v45, 0x440, v41
	v_cndmask_b32_e32 v41, v45, v41, vcc
	v_or_b32_e32 v41, v41, v40
	v_xad_u32 v124, v41, v46, v44
	v_or_b32_e32 v41, 0x60, v42
	v_xor_b32_e32 v41, v49, v41
	v_xor_b32_e32 v42, 0x440, v41
	v_cndmask_b32_e32 v41, v42, v41, vcc
	v_or_b32_e32 v40, v41, v40
	v_xor_b32_e32 v111, v37, v43
	v_ashrrev_i32_e32 v67, 31, v66
	v_lshlrev_b32_e32 v37, 1, v35
	v_add_lshl_u32 v35, v35, s15, 1
	v_or_b32_e32 v43, 0x100, v34
	v_xad_u32 v125, v40, v46, v44
	v_cndmask_b32_e64 v126, v37, v34, s[0:1]
	v_cndmask_b32_e64 v127, v35, v43, s[0:1]
	v_lshl_add_u64 v[70:71], v[66:67], 1, s[8:9]
	v_lshl_add_u64 v[72:73], v[38:39], 0, v[68:69]
	s_mov_b32 s3, 0x7060302
	v_lshlrev_b32_e32 v68, 1, v36
	v_add_u32_e32 v67, v48, v118
	v_add_u32_e32 v128, v48, v120
	;; [unrolled: 1-line block ×4, first 2 shown]
	s_waitcnt lgkmcnt(0)
	s_barrier
.LBB236_6:                              ; =>This Inner Loop Header: Depth=1
	s_add_i32 s64, s65, 1
	s_cmp_lt_i32 s64, s50
	s_mov_b64 s[24:25], 0
	s_cselect_b64 s[40:41], -1, 0
	s_cmp_ge_i32 s64, s50
	s_mov_b64 s[20:21], 0
	s_cbranch_scc1 .LBB236_8
; %bb.7:                                ;   in Loop: Header=BB236_6 Depth=1
	s_add_i32 s0, s59, 64
	s_add_u32 s0, s16, s0
	s_addc_u32 s1, s17, 0
	s_lshl_b64 s[0:1], s[0:1], 8
	s_add_u32 s20, s6, s0
	s_addc_u32 s21, s7, s1
.LBB236_8:                              ;   in Loop: Header=BB236_6 Depth=1
	v_cndmask_b32_e64 v34, 0, 1, s[40:41]
	v_cmp_ne_u32_e64 s[0:1], 1, v34
	s_andn2_b64 vcc, exec, s[40:41]
	s_cbranch_vccnz .LBB236_10
; %bb.9:                                ;   in Loop: Header=BB236_6 Depth=1
	s_add_i32 s24, s59, 64
	s_add_u32 s24, s62, s24
	s_addc_u32 s25, s63, 0
	s_mul_i32 s27, s24, s51
	s_mul_hi_u32 s40, s24, s56
	s_add_i32 s27, s40, s27
	s_mul_i32 s25, s25, s56
	s_add_i32 s27, s27, s25
	s_mul_i32 s24, s24, s56
	s_add_u32 s24, s24, s52
	s_addc_u32 s25, s27, s57
	s_lshl_b64 s[24:25], s[24:25], 8
	s_add_u32 s24, s4, s24
	s_addc_u32 s25, s5, s25
.LBB236_10:                             ;   in Loop: Header=BB236_6 Depth=1
	v_perm_b32 v35, v25, v24, s3
	v_perm_b32 v34, v23, v22, s3
	v_perm_b32 v37, v33, v32, s3
	v_perm_b32 v36, v31, v30, s3
	ds_write_b64 v88, v[34:35]
	ds_write_b64 v89, v[36:37]
	ds_write_b64 v91, v[34:35]
	ds_write_b64 v92, v[36:37]
	v_perm_b32 v35, v17, v16, s3
	v_perm_b32 v34, v15, v14, s3
	v_perm_b32 v37, v29, v28, s3
	v_perm_b32 v36, v27, v26, s3
	ds_write_b64 v90, v[34:35]
	ds_write_b64 v93, v[36:37]
	ds_write_b64 v94, v[34:35]
	ds_write_b64 v95, v[36:37]
	;; [unrolled: 8-line block ×4, first 2 shown]
	s_waitcnt lgkmcnt(0)
	s_barrier
	ds_read_b64 v[38:39], v104 offset:49152
	ds_read2_b64 v[34:37], v105 offset1:16
	ds_read_b64 v[50:51], v107 offset:6144
	ds_read_b64 v[52:53], v105 offset:6144
	s_waitcnt lgkmcnt(2)
	v_mfma_f32_16x16x16_bf16 a[0:3], v[38:39], v[34:35], 0
	ds_read_b64 v[54:55], v106 offset:49152
	ds_read2st64_b64 v[42:45], v108 offset0:4 offset1:8
	ds_read2st64_b64 v[46:49], v109 offset0:4 offset1:8
	v_mfma_f32_16x16x16_bf16 a[4:7], v[38:39], v[36:37], 0
	ds_read2_b64 v[34:37], v105 offset0:32 offset1:48
	s_add_i32 s27, s59, 63
	s_mul_i32 s40, s27, s29
	s_waitcnt lgkmcnt(0)
	v_mfma_f32_16x16x16_bf16 a[8:11], v[38:39], v[34:35], 0
	s_mul_hi_u32 s41, s27, s28
	s_add_i32 s41, s41, s40
	s_mul_i32 s40, s27, s28
	v_mfma_f32_16x16x16_bf16 a[12:15], v[38:39], v[36:37], 0
	ds_read2st64_b64 v[34:37], v105 offset0:4 offset1:8
	ds_read2st64_b64 v[38:41], v107 offset0:4 offset1:8
	s_lshl_b64 s[40:41], s[40:41], 2
	s_waitcnt lgkmcnt(1)
	v_mfma_f32_16x16x16_bf16 a[0:3], v[54:55], v[34:35], a[0:3]
	s_add_u32 s40, s38, s40
	s_addc_u32 s41, s39, s41
	s_and_b64 vcc, exec, s[0:1]
	s_waitcnt lgkmcnt(0)
	v_mfma_f32_16x16x16_bf16 a[4:7], v[54:55], v[38:39], a[4:7]
	v_mov_b32_e32 v134, 0
	v_mov_b32_e32 v133, 0
	;; [unrolled: 1-line block ×3, first 2 shown]
	v_mfma_f32_16x16x16_bf16 a[8:11], v[54:55], v[42:43], a[8:11]
	ds_read_b64 v[34:35], v110 offset:49152
	ds_read_b64 v[38:39], v111 offset:49152
	;; [unrolled: 1-line block ×3, first 2 shown]
	v_mfma_f32_16x16x16_bf16 a[12:15], v[54:55], v[46:47], a[12:15]
	v_mov_b32_e32 v46, 0
	v_mov_b32_e32 v47, 0
	s_waitcnt lgkmcnt(2)
	v_mfma_f32_16x16x16_bf16 a[0:3], v[34:35], v[36:37], a[0:3]
	v_mov_b32_e32 v36, 0
	v_mov_b32_e32 v37, 0
	v_mfma_f32_16x16x16_bf16 a[16:19], v[34:35], v[40:41], a[4:7]
	v_mov_b32_e32 v40, 0
	v_mov_b32_e32 v41, 0
	;; [unrolled: 3-line block ×3, first 2 shown]
	v_mfma_f32_16x16x16_bf16 a[24:27], v[34:35], v[48:49], a[12:15]
	ds_read_b64 v[34:35], v108 offset:6144
	v_mov_b32_e32 v48, 0
	v_mov_b32_e32 v49, 0
	s_waitcnt lgkmcnt(2)
	v_mfma_f32_16x16x16_bf16 a[4:7], v[38:39], v[52:53], a[0:3]
	v_mfma_f32_16x16x16_bf16 a[8:11], v[38:39], v[50:51], a[16:19]
	s_waitcnt lgkmcnt(0)
	v_mfma_f32_16x16x16_bf16 a[12:15], v[38:39], v[34:35], a[20:23]
	v_mov_b32_e32 v34, 0
	v_mov_b32_e32 v35, 0
	v_mfma_f32_16x16x16_bf16 a[0:3], v[38:39], v[42:43], a[24:27]
	v_mov_b32_e32 v38, 0
	v_mov_b32_e32 v39, 0
	;; [unrolled: 1-line block ×4, first 2 shown]
	s_cbranch_vccnz .LBB236_12
; %bb.11:                               ;   in Loop: Header=BB236_6 Depth=1
	s_and_b32 s21, s21, 0xffff
	buffer_load_dwordx4 v[46:49], v84, s[20:23], 0 offen
	buffer_load_dwordx4 v[42:45], v84, s[20:23], s58 offen
	;; [unrolled: 1-line block ×4, first 2 shown]
	v_mov_b32_e32 v133, v86
	v_mov_b32_e32 v132, v87
.LBB236_12:                             ;   in Loop: Header=BB236_6 Depth=1
	ds_read_b64 v[136:137], v104 offset:57344
	ds_read2_b64 v[50:53], v112 offset1:16
	ds_read_b64 v[138:139], v106 offset:57344
	ds_read_b64 v[140:141], v110 offset:57344
	;; [unrolled: 1-line block ×3, first 2 shown]
	v_add_u32_e32 v135, s59, v80
	s_waitcnt lgkmcnt(3)
	v_mfma_f32_16x16x16_bf16 a[4:7], v[136:137], v[50:51], a[4:7]
	v_mfma_f32_16x16x16_bf16 a[8:11], v[136:137], v[52:53], a[8:11]
	ds_read2_b64 v[50:53], v112 offset0:32 offset1:48
	ds_read2st64_b64 v[54:57], v112 offset0:4 offset1:8
	ds_read2st64_b64 v[58:61], v113 offset0:4 offset1:8
	;; [unrolled: 1-line block ×3, first 2 shown]
	s_waitcnt lgkmcnt(3)
	v_mfma_f32_16x16x16_bf16 a[12:15], v[136:137], v[50:51], a[12:15]
	v_ashrrev_i32_e32 v50, 31, v135
	v_mfma_f32_16x16x16_bf16 a[0:3], v[136:137], v[52:53], a[0:3]
	v_mul_lo_u32 v52, v50, s28
	v_mul_lo_u32 v53, v135, s29
	v_mad_u64_u32 v[50:51], s[20:21], v135, s28, 0
	v_add3_u32 v51, v51, v53, v52
	v_add_u32_e32 v52, 1, v135
	v_ashrrev_i32_e32 v53, 31, v52
	s_waitcnt lgkmcnt(2)
	v_mfma_f32_16x16x16_bf16 a[4:7], v[138:139], v[54:55], a[4:7]
	v_mul_lo_u32 v54, v53, s28
	v_mul_lo_u32 v55, v52, s29
	v_mad_u64_u32 v[52:53], s[20:21], v52, s28, 0
	v_add3_u32 v53, v53, v55, v54
	v_add_u32_e32 v54, 2, v135
	v_ashrrev_i32_e32 v55, 31, v54
	s_waitcnt lgkmcnt(1)
	v_mfma_f32_16x16x16_bf16 a[8:11], v[138:139], v[58:59], a[8:11]
	v_mul_lo_u32 v58, v55, s28
	v_mul_lo_u32 v59, v54, s29
	v_mad_u64_u32 v[54:55], s[20:21], v54, s28, 0
	v_lshl_add_u64 v[50:51], v[50:51], 2, s[38:39]
	v_add3_u32 v55, v55, v59, v58
	v_add_u32_e32 v58, 3, v135
	v_ashrrev_i32_e32 v59, 31, v58
	global_load_dword v136, v[50:51], off
	v_mad_u64_u32 v[50:51], s[20:21], v58, s28, 0
	v_mul_lo_u32 v59, v59, s28
	v_mul_lo_u32 v135, v58, s29
	s_add_u32 s20, s16, s59
	v_add3_u32 v51, v51, v135, v59
	s_addc_u32 s21, s17, 0
	v_lshl_add_u64 v[52:53], v[52:53], 2, s[38:39]
	v_lshl_add_u64 v[54:55], v[54:55], 2, s[38:39]
	;; [unrolled: 1-line block ×3, first 2 shown]
	s_lshl_b64 s[20:21], s[20:21], 8
	global_load_dword v135, v[52:53], off
	global_load_dword v137, v[54:55], off
	;; [unrolled: 1-line block ×3, first 2 shown]
	v_lshl_add_u64 v[50:51], v[70:71], 0, s[20:21]
	v_lshl_add_u64 v[54:55], v[50:51], 0, v[68:69]
	global_load_ushort v145, v[54:55], off offset:256
	global_load_ushort v146, v[54:55], off
	ds_read2st64_b64 v[50:53], v115 offset0:4 offset1:8
	global_load_ushort v147, v[54:55], off offset:768
	global_load_ushort v148, v[54:55], off offset:512
	s_waitcnt lgkmcnt(1)
	v_mfma_f32_16x16x16_bf16 a[12:15], v[138:139], v[62:63], a[12:15]
	s_and_b64 vcc, exec, s[0:1]
	s_waitcnt vmcnt(3)
	v_lshlrev_b32_e32 v63, 16, v145
	s_waitcnt lgkmcnt(0)
	v_mfma_f32_16x16x16_bf16 a[0:3], v[138:139], v[50:51], a[0:3]
	global_load_ushort v138, v[54:55], off offset:288
	global_load_ushort v139, v[54:55], off offset:32
	;; [unrolled: 1-line block ×8, first 2 shown]
	v_mfma_f32_16x16x16_bf16 a[4:7], v[140:141], v[56:57], a[4:7]
	ds_read_b64 v[50:51], v112 offset:6144
	s_waitcnt vmcnt(10)
	v_lshlrev_b32_e32 v62, 16, v146
	v_mfma_f32_16x16x16_bf16 a[8:11], v[140:141], v[60:61], a[8:11]
	v_mfma_f32_16x16x16_bf16 a[12:15], v[140:141], v[64:65], a[12:15]
	;; [unrolled: 1-line block ×3, first 2 shown]
	global_load_ushort v140, v[54:55], off offset:352
	global_load_ushort v141, v[54:55], off offset:96
	ds_read_b64 v[52:53], v113 offset:6144
	ds_read_b64 v[56:57], v114 offset:6144
	;; [unrolled: 1-line block ×3, first 2 shown]
	global_load_ushort v155, v[54:55], off offset:864
	global_load_ushort v156, v[54:55], off offset:608
	s_load_dword s20, s[40:41], 0x0
	s_waitcnt lgkmcnt(0)
	v_mfma_f32_16x16x16_bf16 a[4:7], v[142:143], v[50:51], a[4:7]
	v_sub_f32_e32 v60, s20, v137
	v_mfma_f32_16x16x16_bf16 a[0:3], v[142:143], v[58:59], a[0:3]
	v_sub_f32_e32 v58, s20, v136
	v_sub_f32_e32 v59, s20, v135
	;; [unrolled: 1-line block ×3, first 2 shown]
	v_mul_f32_e32 v58, 0x3fb8aa3b, v58
	v_mul_f32_e32 v59, 0x3fb8aa3b, v59
	;; [unrolled: 1-line block ×4, first 2 shown]
	v_mfma_f32_16x16x16_bf16 a[8:11], v[142:143], v[52:53], a[8:11]
	v_exp_f32_e32 v58, v58
	v_exp_f32_e32 v59, v59
	;; [unrolled: 1-line block ×4, first 2 shown]
	v_accvgpr_read_b32 v65, a5
	v_accvgpr_read_b32 v64, a4
	;; [unrolled: 1-line block ×4, first 2 shown]
	v_pk_add_f32 v[62:63], v[62:63], v[64:65] neg_lo:[0,1] neg_hi:[0,1]
	s_waitcnt vmcnt(13)
	v_lshlrev_b32_e32 v65, 16, v147
	s_waitcnt vmcnt(12)
	v_lshlrev_b32_e32 v64, 16, v148
	v_pk_add_f32 v[50:51], v[64:65], v[50:51] neg_lo:[0,1] neg_hi:[0,1]
	v_pk_mul_f32 v[62:63], v[58:59], v[62:63]
	v_pk_mul_f32 v[50:51], v[60:61], v[50:51]
	v_accvgpr_read_b32 v65, a9
	v_perm_b32 v51, v51, v50, s3
	v_perm_b32 v50, v63, v62, s3
	v_accvgpr_read_b32 v64, a8
	v_accvgpr_read_b32 v53, a11
	v_mfma_f32_16x16x16_bf16 a[12:15], v[142:143], v[56:57], a[12:15]
	v_accvgpr_read_b32 v52, a10
	v_accvgpr_read_b32 v57, a3
	;; [unrolled: 1-line block ×3, first 2 shown]
	v_mov_b32_e32 v135, 0
	s_waitcnt vmcnt(11)
	v_lshlrev_b32_e32 v63, 16, v138
	s_waitcnt vmcnt(10)
	v_lshlrev_b32_e32 v62, 16, v139
	v_pk_add_f32 v[62:63], v[62:63], v[64:65] neg_lo:[0,1] neg_hi:[0,1]
	s_waitcnt vmcnt(9)
	v_lshlrev_b32_e32 v65, 16, v149
	s_waitcnt vmcnt(8)
	v_lshlrev_b32_e32 v64, 16, v150
	v_pk_add_f32 v[52:53], v[64:65], v[52:53] neg_lo:[0,1] neg_hi:[0,1]
	v_pk_mul_f32 v[62:63], v[58:59], v[62:63]
	v_pk_mul_f32 v[52:53], v[60:61], v[52:53]
	v_accvgpr_read_b32 v55, a15
	v_perm_b32 v53, v53, v52, s3
	v_perm_b32 v52, v63, v62, s3
	ds_write2_b64 v89, v[50:51], v[52:53] offset1:16
	v_accvgpr_read_b32 v53, a13
	s_waitcnt vmcnt(7)
	v_lshlrev_b32_e32 v51, 16, v151
	s_waitcnt vmcnt(6)
	v_lshlrev_b32_e32 v50, 16, v152
	v_accvgpr_read_b32 v52, a12
	v_accvgpr_read_b32 v54, a14
	v_pk_add_f32 v[50:51], v[50:51], v[52:53] neg_lo:[0,1] neg_hi:[0,1]
	s_waitcnt vmcnt(5)
	v_lshlrev_b32_e32 v53, 16, v153
	s_waitcnt vmcnt(4)
	v_lshlrev_b32_e32 v52, 16, v154
	v_pk_add_f32 v[52:53], v[52:53], v[54:55] neg_lo:[0,1] neg_hi:[0,1]
	v_pk_mul_f32 v[50:51], v[58:59], v[50:51]
	v_pk_mul_f32 v[52:53], v[60:61], v[52:53]
	v_accvgpr_read_b32 v55, a1
	v_perm_b32 v53, v53, v52, s3
	v_perm_b32 v52, v51, v50, s3
	s_waitcnt vmcnt(3)
	v_lshlrev_b32_e32 v51, 16, v140
	s_waitcnt vmcnt(2)
	v_lshlrev_b32_e32 v50, 16, v141
	v_accvgpr_read_b32 v54, a0
	v_pk_add_f32 v[50:51], v[50:51], v[54:55] neg_lo:[0,1] neg_hi:[0,1]
	s_waitcnt vmcnt(1)
	v_lshlrev_b32_e32 v55, 16, v155
	s_waitcnt vmcnt(0)
	v_lshlrev_b32_e32 v54, 16, v156
	v_pk_add_f32 v[54:55], v[54:55], v[56:57] neg_lo:[0,1] neg_hi:[0,1]
	v_pk_mul_f32 v[50:51], v[58:59], v[50:51]
	v_pk_mul_f32 v[54:55], v[60:61], v[54:55]
	v_mov_b32_e32 v56, 0
	v_perm_b32 v55, v55, v54, s3
	v_perm_b32 v54, v51, v50, s3
	ds_write2_b64 v89, v[52:53], v[54:55] offset0:32 offset1:48
	v_mov_b32_e32 v50, 0
	v_mov_b32_e32 v51, 0
	;; [unrolled: 1-line block ×15, first 2 shown]
	s_cbranch_vccnz .LBB236_14
; %bb.13:                               ;   in Loop: Header=BB236_6 Depth=1
	s_and_b32 s25, s25, 0xffff
	s_mov_b32 s27, s23
	buffer_load_dwordx4 v[62:65], v126, s[24:27], 0 offen
	buffer_load_dwordx4 v[54:57], v126, s[24:27], s58 offen
	;; [unrolled: 1-line block ×4, first 2 shown]
	v_mov_b32_e32 v134, v83
	v_mov_b32_e32 v135, v82
.LBB236_14:                             ;   in Loop: Header=BB236_6 Depth=1
	s_waitcnt lgkmcnt(0)
	s_barrier
	ds_read_b64 v[144:145], v67
	ds_read2_b64 v[136:139], v119 offset1:16
	ds_read_b64 v[160:161], v128
	ds_read_b64 v[162:163], v129
	;; [unrolled: 1-line block ×3, first 2 shown]
	ds_read2_b64 v[140:143], v119 offset0:32 offset1:48
	s_waitcnt lgkmcnt(4)
	v_mfma_f32_16x16x16_bf16 a[0:3], v[144:145], v[136:137], 0
	ds_read2st64_b64 v[148:151], v121 offset0:4 offset1:8
	ds_read2st64_b64 v[152:155], v122 offset0:4 offset1:8
	;; [unrolled: 1-line block ×3, first 2 shown]
	v_mfma_f32_16x16x16_bf16 a[4:7], v[144:145], v[138:139], 0
	s_add_i32 s21, s53, s65
	s_mul_hi_i32 s25, s21, s13
	s_mul_i32 s21, s21, s13
	s_waitcnt lgkmcnt(3)
	v_mfma_f32_16x16x16_bf16 a[8:11], v[144:145], v[140:141], 0
	s_add_u32 s24, s21, s46
	s_addc_u32 s25, s25, s47
	s_lshl_b64 s[24:25], s[24:25], 15
	v_mfma_f32_16x16x16_bf16 a[12:15], v[144:145], v[142:143], 0
	ds_read2st64_b64 v[144:147], v119 offset0:4 offset1:8
	s_waitcnt lgkmcnt(0)
	v_mfma_f32_16x16x16_bf16 a[0:3], v[160:161], v[144:145], a[0:3]
	v_mfma_f32_16x16x16_bf16 a[4:7], v[160:161], v[148:149], a[4:7]
	v_mfma_f32_16x16x16_bf16 a[8:11], v[160:161], v[152:153], a[8:11]
	v_mfma_f32_16x16x16_bf16 a[12:15], v[160:161], v[156:157], a[12:15]
	v_mfma_f32_16x16x16_bf16 a[0:3], v[162:163], v[146:147], a[0:3]
	v_mfma_f32_16x16x16_bf16 a[4:7], v[162:163], v[150:151], a[4:7]
	v_mfma_f32_16x16x16_bf16 a[8:11], v[162:163], v[154:155], a[8:11]
	v_mfma_f32_16x16x16_bf16 a[12:15], v[162:163], v[158:159], a[12:15]
	ds_read_b64 v[160:161], v119 offset:6144
	ds_read_b64 v[162:163], v120 offset:40960
	;; [unrolled: 1-line block ×8, first 2 shown]
	s_waitcnt lgkmcnt(5)
	v_mfma_f32_16x16x16_bf16 a[16:19], v[166:167], v[136:137], 0
	v_mfma_f32_16x16x16_bf16 a[20:23], v[166:167], v[138:139], 0
	ds_read2st64_b64 v[136:139], v116 offset1:8
	v_mfma_f32_16x16x16_bf16 a[24:27], v[166:167], v[140:141], 0
	v_mfma_f32_16x16x16_bf16 a[28:31], v[166:167], v[142:143], 0
	ds_read2st64_b64 v[140:143], v117 offset1:8
	v_mfma_f32_16x16x16_bf16 a[16:19], v[162:163], v[144:145], a[16:19]
	s_waitcnt lgkmcnt(1)
	v_mov_b32_e32 v144, v136
	v_mov_b32_e32 v145, v137
	v_mfma_f32_16x16x16_bf16 a[20:23], v[162:163], v[148:149], a[20:23]
	v_lshl_add_u64 v[148:149], v[72:73], 0, s[24:25]
	v_mfma_f32_16x16x16_bf16 a[24:27], v[162:163], v[152:153], a[24:27]
	v_mfma_f32_16x16x16_bf16 a[28:31], v[162:163], v[156:157], a[28:31]
	;; [unrolled: 1-line block ×3, first 2 shown]
	s_waitcnt lgkmcnt(0)
	v_mov_b32_e32 v146, v140
	v_mov_b32_e32 v147, v141
	;; [unrolled: 1-line block ×3, first 2 shown]
	v_mfma_f32_16x16x16_bf16 a[32:35], v[174:175], v[150:151], a[20:23]
	v_mov_b32_e32 v141, v139
	ds_read2st64_b64 v[136:139], v116 offset0:16 offset1:24
	global_store_dwordx4 v[148:149], v[144:147], off
	v_mfma_f32_16x16x16_bf16 a[24:27], v[174:175], v[154:155], a[24:27]
	ds_read2st64_b64 v[144:147], v117 offset0:16 offset1:24
	v_add_co_u32_e32 v150, vcc, s31, v148
	v_mfma_f32_16x16x16_bf16 a[28:31], v[174:175], v[158:159], a[28:31]
	s_nop 0
	v_addc_co_u32_e32 v151, vcc, 0, v149, vcc
	global_store_dwordx4 v[150:151], v[140:143], off offset:-4096
	v_mfma_f32_16x16x16_bf16 a[0:3], v[164:165], v[160:161], a[0:3]
	s_waitcnt lgkmcnt(1)
	v_mov_b32_e32 v140, v136
	v_add_co_u32_e32 v136, vcc, s35, v148
	v_mfma_f32_16x16x16_bf16 a[4:7], v[164:165], v[168:169], a[4:7]
	v_mov_b32_e32 v141, v137
	v_addc_co_u32_e32 v137, vcc, 0, v149, vcc
	v_mfma_f32_16x16x16_bf16 a[8:11], v[164:165], v[170:171], a[8:11]
	s_waitcnt lgkmcnt(0)
	v_mov_b32_e32 v142, v144
	v_mov_b32_e32 v143, v145
	;; [unrolled: 1-line block ×3, first 2 shown]
	v_mfma_f32_16x16x16_bf16 a[12:15], v[164:165], v[172:173], a[12:15]
	v_mov_b32_e32 v145, v139
	s_and_b64 vcc, exec, s[0:1]
	global_store_dwordx4 v[150:151], v[140:143], off
	v_mfma_f32_16x16x16_bf16 a[20:23], v[176:177], v[160:161], a[16:19]
	global_store_dwordx4 v[136:137], v[144:147], off
	v_mfma_f32_16x16x16_bf16 a[16:19], v[176:177], v[168:169], a[32:35]
	v_mfma_f32_16x16x16_bf16 a[24:27], v[176:177], v[170:171], a[24:27]
	;; [unrolled: 1-line block ×3, first 2 shown]
	s_cbranch_vccnz .LBB236_16
; %bb.15:                               ;   in Loop: Header=BB236_6 Depth=1
	v_lshrrev_b32_e32 v136, 3, v134
	v_and_b32_e32 v136, 6, v136
	v_xor_b32_e32 v135, v136, v135
	v_lshlrev_b32_e32 v135, 2, v135
	v_and_b32_e32 v134, 8, v134
	v_xor_b32_e32 v137, 0x440, v135
	v_cmp_eq_u32_e32 vcc, 0, v134
	s_barrier
	s_nop 0
	v_cndmask_b32_e32 v134, v137, v135, vcc
	v_lshl_or_b32 v134, v136, 10, v134
	s_waitcnt vmcnt(5)
	v_perm_b32 v135, v62, v58, s60
	s_waitcnt vmcnt(4)
	v_perm_b32 v136, v54, v50, s60
	ds_write2st64_b32 v134, v135, v136 offset0:128 offset1:160
	v_xor_b32_e32 v135, 8, v134
	v_perm_b32 v58, v62, v58, s61
	v_perm_b32 v50, v54, v50, s61
	v_add_u32_e32 v54, 0x80, v135
	ds_write2st64_b32 v54, v58, v50 offset0:128 offset1:160
	v_xor_b32_e32 v50, 16, v134
	v_perm_b32 v54, v63, v59, s60
	v_perm_b32 v58, v55, v51, s60
	ds_write2st64_b32 v50, v54, v58 offset0:129 offset1:161
	v_xor_b32_e32 v50, 24, v134
	v_perm_b32 v54, v63, v59, s61
	v_perm_b32 v51, v55, v51, s61
	v_add_u32_e32 v50, 0x80, v50
	ds_write2st64_b32 v50, v54, v51 offset0:129 offset1:161
	v_xor_b32_e32 v50, 32, v134
	v_perm_b32 v51, v64, v60, s60
	;; [unrolled: 9-line block ×3, first 2 shown]
	v_perm_b32 v52, v57, v53, s60
	ds_write2st64_b32 v50, v51, v52 offset0:131 offset1:163
	v_xor_b32_e32 v50, 56, v134
	v_perm_b32 v51, v65, v61, s61
	v_perm_b32 v52, v57, v53, s61
	v_add_u32_e32 v50, 0x80, v50
	ds_write2st64_b32 v50, v51, v52 offset0:131 offset1:163
	ds_write_b64 v133, v[46:47] offset:49152
	v_xor_b32_e32 v46, 8, v133
	ds_write_b64 v46, v[48:49] offset:49152
	ds_write_b64 v133, v[42:43] offset:57344
	ds_write_b64 v46, v[44:45] offset:57344
	ds_write_b64 v132, v[38:39] offset:49152
	v_xor_b32_e32 v38, 8, v132
	ds_write_b64 v38, v[40:41] offset:49152
	ds_write_b64 v132, v[34:35] offset:57344
	;; [unrolled: 1-line block ×3, first 2 shown]
.LBB236_16:                             ;   in Loop: Header=BB236_6 Depth=1
	s_waitcnt vmcnt(6)
	v_mul_f32_e32 v54, s20, v131
	v_exp_f32_e32 v132, v54
	v_accvgpr_read_b32 v37, a3
	v_accvgpr_read_b32 v41, a7
	v_accvgpr_read_b32 v45, a11
	v_accvgpr_read_b32 v49, a15
	s_waitcnt vmcnt(4)
	v_accvgpr_read_b32 v53, a23
	v_accvgpr_read_b32 v57, a19
	;; [unrolled: 1-line block ×28, first 2 shown]
	s_add_i32 s59, s59, 64
	v_pk_fma_f32 v[22:23], v[22:23], v[132:133], v[34:35] op_sel_hi:[1,0,1]
	v_pk_fma_f32 v[24:25], v[24:25], v[132:133], v[36:37] op_sel_hi:[1,0,1]
	;; [unrolled: 1-line block ×15, first 2 shown]
	s_cmp_eq_u32 s50, s64
	v_pk_fma_f32 v[12:13], v[12:13], v[132:133], v[64:65] op_sel_hi:[1,0,1]
	s_cbranch_scc1 .LBB236_18
; %bb.17:                               ;   in Loop: Header=BB236_6 Depth=1
	s_mov_b32 s65, s64
	s_branch .LBB236_6
.LBB236_18:
	s_lshl_b32 s26, s50, 6
	s_sub_i32 s27, s12, s26
	s_cmp_gt_i32 s27, 0
	s_cbranch_scc0 .LBB236_99
; %bb.19:
	s_ashr_i32 s3, s26, 31
	s_cmpk_lg_i32 s15, 0x80
	s_cselect_b64 s[22:23], -1, 0
	s_and_b64 vcc, exec, s[22:23]
	s_cbranch_vccz .LBB236_21
; %bb.20:
	s_mul_i32 s1, s49, s12
	s_mul_hi_i32 s0, s49, s12
	s_add_u32 s1, s1, s26
	s_addc_u32 s0, s0, s3
	s_mul_i32 s17, s1, s51
	s_mul_hi_u32 s20, s1, s14
	s_add_i32 s17, s20, s17
	s_mul_i32 s0, s0, s14
	s_add_i32 s17, s17, s0
	s_mul_i32 s1, s1, s14
	s_ashr_i32 s0, s52, 31
	s_add_u32 s24, s1, s52
	s_addc_u32 s25, s17, s0
	s_cbranch_execz .LBB236_22
	s_branch .LBB236_23
.LBB236_21:
                                        ; implicit-def: $sgpr24_sgpr25
.LBB236_22:
	s_mul_hi_i32 s0, s49, s14
	s_mul_i32 s49, s49, s14
	s_ashr_i32 s1, s52, 31
	s_add_u32 s14, s49, s52
	s_addc_u32 s0, s0, s1
	s_mul_i32 s1, s14, s48
	s_mul_hi_u32 s17, s14, s12
	s_add_i32 s1, s17, s1
	s_mul_i32 s0, s0, s12
	s_add_i32 s1, s1, s0
	s_mul_i32 s14, s14, s12
	s_add_u32 s24, s14, s26
	s_addc_u32 s25, s1, s3
.LBB236_23:
	s_mul_i32 s0, s36, s48
	s_add_i32 s0, s55, s0
	s_add_i32 s14, s53, s50
	;; [unrolled: 1-line block ×3, first 2 shown]
	s_add_u32 s0, s16, s26
	s_addc_u32 s1, s1, s3
	v_lshlrev_b32_e32 v35, 6, v80
	v_lshlrev_b32_e32 v34, 2, v77
	s_mov_b32 s3, 0x7060302
	s_waitcnt vmcnt(7)
	v_perm_b32 v25, v25, v24, s3
	v_perm_b32 v24, v23, v22, s3
	s_waitcnt vmcnt(6)
	v_perm_b32 v22, v31, v30, s3
	v_or_b32_e32 v30, v35, v34
	v_xor_b32_e32 v36, v80, v34
	v_perm_b32 v23, v33, v32, s3
	v_lshlrev_b32_e32 v30, 1, v30
	ds_write2st64_b64 v30, v[24:25], v[22:23] offset0:32 offset1:48
	v_lshlrev_b32_e32 v30, 1, v36
	v_lshlrev_b32_e32 v31, 8, v77
	v_xor_b32_e32 v37, v81, v34
	v_or_b32_e32 v32, v30, v31
	ds_write_b64 v32, v[24:25]
	v_lshlrev_b32_e32 v24, 1, v37
	v_or_b32_e32 v25, v24, v31
	ds_write_b64 v25, v[22:23]
	v_or_b32_e32 v22, 16, v77
	v_lshlrev_b32_e32 v23, 2, v22
	v_or_b32_e32 v25, v35, v23
	s_waitcnt vmcnt(5)
	v_perm_b32 v17, v17, v16, s3
	v_perm_b32 v16, v15, v14, s3
	s_waitcnt vmcnt(4)
	v_perm_b32 v15, v29, v28, s3
	v_perm_b32 v14, v27, v26, s3
	v_lshlrev_b32_e32 v25, 1, v25
	v_lshlrev_b32_e32 v22, 8, v22
	ds_write2st64_b64 v25, v[16:17], v[14:15] offset0:32 offset1:48
	v_or_b32_e32 v25, v30, v22
	ds_write_b64 v25, v[16:17]
	v_or_b32_e32 v16, v24, v22
	ds_write_b64 v16, v[14:15]
	v_or_b32_e32 v14, 32, v77
	v_lshlrev_b32_e32 v22, 2, v14
	v_or_b32_e32 v15, v35, v22
	s_waitcnt vmcnt(3)
	v_perm_b32 v9, v9, v8, s3
	v_perm_b32 v8, v7, v6, s3
	s_waitcnt vmcnt(2)
	v_perm_b32 v7, v21, v20, s3
	v_perm_b32 v6, v19, v18, s3
	v_lshlrev_b32_e32 v15, 1, v15
	v_lshlrev_b32_e32 v14, 8, v14
	s_lshl_b64 s[20:21], s[0:1], 8
	ds_write2st64_b64 v15, v[8:9], v[6:7] offset0:32 offset1:48
	v_or_b32_e32 v15, v30, v14
	s_add_u32 s0, s6, s20
	ds_write_b64 v15, v[8:9]
	v_or_b32_e32 v8, v24, v14
	s_addc_u32 s1, s7, s21
	ds_write_b64 v8, v[6:7]
	s_waitcnt vmcnt(1)
	v_perm_b32 v5, v5, v4, s3
	v_perm_b32 v4, v3, v2, s3
	s_waitcnt vmcnt(0)
	v_perm_b32 v3, v13, v12, s3
	v_perm_b32 v2, v11, v10, s3
	v_or_b32_e32 v6, 48, v77
	s_mul_hi_i32 s3, s14, s13
	s_mul_i32 s14, s14, s13
	v_lshlrev_b32_e32 v19, 2, v6
	s_add_u32 s6, s14, s46
	v_or_b32_e32 v7, v35, v19
	s_addc_u32 s7, s3, s47
	v_lshlrev_b32_e32 v7, 1, v7
	v_lshlrev_b32_e32 v6, 8, v6
	s_ashr_i32 s3, s2, 31
	s_lshl_b64 s[6:7], s[6:7], 15
	ds_write2st64_b64 v7, v[4:5], v[2:3] offset0:32 offset1:48
	v_or_b32_e32 v7, v30, v6
	s_add_u32 s6, s18, s6
	ds_write_b64 v7, v[4:5]
	v_or_b32_e32 v4, v24, v6
	s_addc_u32 s7, s19, s7
	s_lshl_b64 s[2:3], s[2:3], 8
	ds_write_b64 v4, v[2:3]
	s_add_u32 s2, s6, s2
	v_lshlrev_b32_e32 v3, 1, v77
	v_lshrrev_b32_e32 v2, 4, v0
	s_addc_u32 s3, s7, s3
	v_or_b32_e32 v4, 1, v3
	v_lshlrev_b32_e32 v10, 4, v77
	v_mov_b32_e32 v11, 0
	v_xor_b32_e32 v3, v2, v3
	v_xor_b32_e32 v6, v4, v2
	v_lshl_add_u64 v[12:13], s[2:3], 0, v[10:11]
	v_lshlrev_b32_e32 v10, 8, v2
	v_lshl_or_b32 v16, v3, 3, v10
	v_lshl_or_b32 v17, v6, 3, v10
	s_waitcnt lgkmcnt(0)
	s_barrier
	ds_read2st64_b64 v[2:5], v16 offset1:8
	ds_read2st64_b64 v[6:9], v17 offset1:8
	v_lshl_add_u64 v[14:15], v[12:13], 0, v[10:11]
	s_movk_i32 s2, 0x2000
	s_cmp_lg_u32 s27, 64
	s_waitcnt lgkmcnt(1)
	v_mov_b32_e32 v10, v2
	v_mov_b32_e32 v11, v3
	s_waitcnt lgkmcnt(0)
	v_mov_b32_e32 v12, v6
	v_mov_b32_e32 v13, v7
	global_store_dwordx4 v[14:15], v[10:13], off
	v_mov_b32_e32 v6, v4
	v_mov_b32_e32 v7, v5
	ds_read2st64_b64 v[2:5], v16 offset0:16 offset1:24
	ds_read2st64_b64 v[10:13], v17 offset0:16 offset1:24
	v_add_co_u32_e32 v16, vcc, s2, v14
	s_cselect_b64 s[6:7], -1, 0
	s_nop 0
	v_addc_co_u32_e32 v17, vcc, 0, v15, vcc
	global_store_dwordx4 v[16:17], v[6:9], off offset:-4096
	v_lshl_or_b32 v24, v75, 3, v79
	s_mov_b32 s16, 0
	s_waitcnt lgkmcnt(1)
	v_mov_b32_e32 v6, v2
	v_add_co_u32_e32 v2, vcc, 0x3000, v14
	v_mov_b32_e32 v7, v3
	s_nop 0
	v_addc_co_u32_e32 v3, vcc, 0, v15, vcc
	s_waitcnt lgkmcnt(0)
	v_mov_b32_e32 v8, v10
	v_mov_b32_e32 v9, v11
	;; [unrolled: 1-line block ×4, first 2 shown]
	v_or_b32_e32 v20, 32, v24
	v_and_b32_e32 v18, 56, v78
	s_and_b64 vcc, exec, s[6:7]
	global_store_dwordx4 v[16:17], v[6:9], off
	global_store_dwordx4 v[2:3], v[10:13], off
	s_cbranch_vccz .LBB236_29
; %bb.24:
	s_mov_b32 s17, s16
	s_mov_b32 s18, s16
	;; [unrolled: 1-line block ×3, first 2 shown]
	v_mov_b64_e32 v[6:7], s[16:17]
	v_mov_b64_e32 v[8:9], s[18:19]
	;; [unrolled: 1-line block ×3, first 2 shown]
	v_cmp_gt_i32_e32 vcc, s27, v24
	v_mov_b64_e32 v[4:5], v[8:9]
	s_and_saveexec_b64 s[2:3], vcc
	s_cbranch_execz .LBB236_26
; %bb.25:
	v_lshlrev_b32_e32 v2, 8, v24
	v_mov_b32_e32 v3, 0
	v_lshl_add_u64 v[4:5], s[0:1], 0, v[2:3]
	v_lshlrev_b32_e32 v2, 1, v18
	v_lshl_add_u64 v[10:11], v[4:5], 0, v[2:3]
	global_load_dwordx4 v[6:9], v[10:11], off
	global_load_dwordx4 v[2:5], v[10:11], off offset:128
.LBB236_26:
	s_or_b64 exec, exec, s[2:3]
	s_mov_b32 s17, s16
	s_mov_b32 s18, s16
	;; [unrolled: 1-line block ×3, first 2 shown]
	v_mov_b64_e32 v[14:15], s[16:17]
	v_mov_b64_e32 v[16:17], s[18:19]
	;; [unrolled: 1-line block ×3, first 2 shown]
	v_cmp_gt_i32_e32 vcc, s27, v20
	v_lshlrev_b32_e32 v21, 7, v20
	v_mov_b64_e32 v[12:13], v[16:17]
	s_and_saveexec_b64 s[2:3], vcc
	s_cbranch_execz .LBB236_28
; %bb.27:
	v_lshlrev_b32_e32 v10, 1, v21
	v_mov_b32_e32 v11, 0
	v_lshl_add_u64 v[12:13], s[0:1], 0, v[10:11]
	v_lshlrev_b32_e32 v10, 1, v18
	v_lshl_add_u64 v[26:27], v[12:13], 0, v[10:11]
	global_load_dwordx4 v[14:17], v[26:27], off
	global_load_dwordx4 v[10:13], v[26:27], off offset:128
.LBB236_28:
	s_or_b64 exec, exec, s[2:3]
	v_lshrrev_b32_e32 v25, 3, v18
	v_lshlrev_b32_e32 v26, 3, v24
	v_or_b32_e32 v25, v26, v25
	v_lshlrev_b32_e32 v25, 4, v25
	v_and_b32_e32 v26, 0x78, v26
	v_xor_b32_e32 v25, v25, v26
	s_branch .LBB236_31
.LBB236_29:
                                        ; implicit-def: $vgpr25
                                        ; implicit-def: $vgpr21
                                        ; implicit-def: $vgpr6_vgpr7_vgpr8_vgpr9
                                        ; implicit-def: $vgpr2_vgpr3_vgpr4_vgpr5
                                        ; implicit-def: $vgpr14_vgpr15_vgpr16_vgpr17
                                        ; implicit-def: $vgpr10_vgpr11_vgpr12_vgpr13
	s_cbranch_execz .LBB236_31
; %bb.30:
	s_waitcnt vmcnt(0)
	v_lshlrev_b32_e32 v2, 1, v18
	v_lshl_or_b32 v21, v24, 8, v2
	s_and_b32 s1, s1, 0xffff
	s_mov_b32 s3, 0x20000
	s_movk_i32 s2, 0x4000
	v_lshl_or_b32 v25, v20, 8, v2
	s_movk_i32 s13, 0x80
	buffer_load_dwordx4 v[6:9], v21, s[0:3], 0 offen
	buffer_load_dwordx4 v[2:5], v21, s[0:3], s13 offen
	;; [unrolled: 1-line block ×4, first 2 shown]
	v_lshrrev_b32_e32 v21, 3, v18
	v_lshlrev_b32_e32 v25, 3, v24
	v_or_b32_e32 v21, v25, v21
	v_lshlrev_b32_e32 v21, 4, v21
	v_and_b32_e32 v25, 0x78, v25
	v_xor_b32_e32 v25, v21, v25
	v_lshlrev_b32_e32 v21, 7, v20
.LBB236_31:
	s_movk_i32 s0, 0x1000
	v_and_or_b32 v20, v21, s0, v25
	s_waitcnt vmcnt(1)
	ds_write_b64 v25, v[6:7] offset:49152
	v_xor_b32_e32 v6, 8, v25
	ds_write_b64 v6, v[8:9] offset:49152
	s_waitcnt vmcnt(0)
	ds_write_b64 v25, v[2:3] offset:57344
	ds_write_b64 v6, v[4:5] offset:57344
	;; [unrolled: 1-line block ×3, first 2 shown]
	v_xor_b32_e32 v2, 8, v20
	ds_write_b64 v2, v[16:17] offset:49152
	ds_write_b64 v20, v[10:11] offset:57344
	;; [unrolled: 1-line block ×3, first 2 shown]
	v_or_b32_e32 v2, v1, v77
	v_lshlrev_b32_e32 v3, 11, v75
	v_lshlrev_b32_e32 v2, 3, v2
	v_and_b32_e32 v6, 0x1000, v3
	v_lshrrev_b32_e32 v3, 5, v74
	s_movk_i32 s0, 0xf8
	v_and_or_b32 v3, v2, s0, v3
	v_lshlrev_b32_e32 v7, 4, v3
	v_and_b32_e32 v8, 0x78, v2
	v_or_b32_e32 v10, 32, v7
	v_lshrrev_b32_e32 v3, 1, v74
	v_xor_b32_e32 v10, v10, v8
	v_xor_b32_e32 v2, v7, v8
	v_and_b32_e32 v9, 8, v3
	v_or_b32_e32 v10, v10, v6
	v_or_b32_e32 v2, v2, v6
	v_xor_b32_e32 v27, v10, v9
	v_or_b32_e32 v10, 64, v7
	v_xor_b32_e32 v26, v2, v9
	v_xor_b32_e32 v10, v10, v8
	s_waitcnt lgkmcnt(0)
	s_barrier
	v_or_b32_e32 v13, v10, v6
	ds_read_b64 v[10:11], v26 offset:49152
	v_lshl_or_b32 v14, v76, 8, v34
	v_lshlrev_b32_e32 v25, 1, v14
	v_add_u32_e32 v12, 0x4000, v25
	ds_read2_b64 v[2:5], v12 offset1:16
	v_or_b32_e32 v7, 0x60, v7
	v_xor_b32_e32 v7, v7, v8
	v_or_b32_e32 v6, v7, v6
	v_xor_b32_e32 v28, v13, v9
	v_xor_b32_e32 v29, v6, v9
	ds_read_b64 v[20:21], v27 offset:49152
	ds_read_b64 v[36:37], v28 offset:49152
	ds_read_b64 v[38:39], v29 offset:49152
	s_waitcnt lgkmcnt(3)
	v_mfma_f32_16x16x16_bf16 a[0:3], v[10:11], v[2:3], 0
	ds_read2st64_b64 v[6:9], v25 offset0:36 offset1:40
	s_lshl_b64 s[0:1], s[24:25], 8
	s_add_u32 s4, s4, s0
	v_mfma_f32_16x16x16_bf16 a[4:7], v[10:11], v[4:5], 0
	ds_read2_b64 v[2:5], v12 offset0:32 offset1:48
	s_addc_u32 s5, s5, s1
	s_add_i32 s1, s42, s33
	s_waitcnt lgkmcnt(0)
	v_mfma_f32_16x16x16_bf16 a[8:11], v[10:11], v[2:3], 0
	v_or_b32_e32 v2, 64, v14
	v_lshlrev_b32_e32 v30, 1, v2
	s_add_i32 s0, s12, -1
	v_mfma_f32_16x16x16_bf16 a[12:15], v[10:11], v[4:5], 0
	ds_read2st64_b64 v[2:5], v30 offset0:36 offset1:40
	s_add_i32 s35, s1, s37
	s_add_i32 s1, s44, s43
	v_mfma_f32_16x16x16_bf16 a[0:3], v[20:21], v[6:7], a[0:3]
	v_or_b32_e32 v6, 0x80, v14
	v_lshlrev_b32_e32 v31, 1, v6
	ds_read2st64_b64 v[10:13], v31 offset0:36 offset1:40
	s_waitcnt lgkmcnt(1)
	v_mfma_f32_16x16x16_bf16 a[4:7], v[20:21], v[2:3], a[4:7]
	v_or_b32_e32 v2, 0xc0, v14
	v_lshlrev_b32_e32 v32, 1, v2
	ds_read2st64_b64 v[14:17], v32 offset0:36 offset1:40
	s_add_i32 s31, s1, s45
	s_ashr_i32 s1, s0, 31
	s_mul_i32 s2, s0, s29
	s_mul_hi_u32 s3, s0, s28
	s_add_i32 s2, s3, s2
	s_mul_i32 s1, s1, s28
	s_waitcnt lgkmcnt(1)
	v_mfma_f32_16x16x16_bf16 a[8:11], v[20:21], v[10:11], a[8:11]
	s_add_i32 s1, s2, s1
	s_lshl_b64 s[2:3], s[34:35], 2
	s_add_u32 s10, s10, s2
	s_waitcnt lgkmcnt(0)
	v_mfma_f32_16x16x16_bf16 a[12:15], v[20:21], v[14:15], a[12:15]
	s_addc_u32 s11, s11, s3
	s_lshl_b64 s[2:3], s[30:31], 2
	s_mul_i32 s0, s0, s28
	v_mfma_f32_16x16x16_bf16 a[0:3], v[36:37], v[8:9], a[0:3]
	ds_read_b64 v[2:3], v25 offset:22528
	s_add_u32 s10, s10, s2
	s_addc_u32 s11, s11, s3
	v_mfma_f32_16x16x16_bf16 a[4:7], v[36:37], v[4:5], a[4:7]
	ds_read_b64 v[4:5], v30 offset:22528
	ds_read_b64 v[6:7], v31 offset:22528
	;; [unrolled: 1-line block ×3, first 2 shown]
	s_lshl_b64 s[0:1], s[0:1], 2
	s_add_u32 s0, s10, s0
	v_mfma_f32_16x16x16_bf16 a[8:11], v[36:37], v[12:13], a[8:11]
	s_addc_u32 s1, s11, s1
	s_load_dword s12, s[0:1], 0x0
	s_and_b64 vcc, exec, s[22:23]
	v_mfma_f32_16x16x16_bf16 a[12:15], v[36:37], v[16:17], a[12:15]
	s_waitcnt lgkmcnt(0)
	v_mfma_f32_16x16x16_bf16 a[0:3], v[38:39], v[2:3], a[0:3]
	v_mfma_f32_16x16x16_bf16 a[4:7], v[38:39], v[4:5], a[4:7]
	;; [unrolled: 1-line block ×4, first 2 shown]
	s_cbranch_vccz .LBB236_42
; %bb.32:
	v_lshlrev_b32_e32 v20, 1, v24
	s_and_b64 vcc, exec, s[6:7]
	s_cbranch_vccz .LBB236_43
; %bb.33:
	v_cmp_gt_i32_e32 vcc, s27, v20
	v_mov_b32_e32 v6, 0
	v_mov_b32_e32 v2, 0
	;; [unrolled: 1-line block ×5, first 2 shown]
	s_and_saveexec_b64 s[0:1], vcc
	s_cbranch_execz .LBB236_35
; %bb.34:
	v_mad_i64_i32 v[2:3], s[2:3], s15, v20, 0
	v_lshl_add_u64 v[2:3], v[2:3], 1, s[4:5]
	v_lshlrev_b32_e32 v4, 1, v18
	v_mov_b32_e32 v5, 0
	v_lshl_add_u64 v[2:3], v[2:3], 0, v[4:5]
	global_load_dwordx4 v[2:5], v[2:3], off
.LBB236_35:
	s_or_b64 exec, exec, s[0:1]
	v_or_b32_e32 v21, 1, v20
	v_cmp_gt_i32_e64 s[0:1], s27, v21
	v_mov_b32_e32 v7, 0
	v_mov_b32_e32 v8, 0
	;; [unrolled: 1-line block ×3, first 2 shown]
	s_and_saveexec_b64 s[2:3], s[0:1]
	s_cbranch_execz .LBB236_37
; %bb.36:
	v_mad_i64_i32 v[6:7], s[16:17], s15, v21, 0
	v_lshl_add_u64 v[6:7], v[6:7], 1, s[4:5]
	v_lshlrev_b32_e32 v8, 1, v18
	v_mov_b32_e32 v9, 0
	v_lshl_add_u64 v[6:7], v[6:7], 0, v[8:9]
	global_load_dwordx4 v[6:9], v[6:7], off
.LBB236_37:
	s_or_b64 exec, exec, s[2:3]
	v_mov_b32_e32 v17, 0
	v_mov_b32_e32 v10, 0
	;; [unrolled: 1-line block ×5, first 2 shown]
	s_and_saveexec_b64 s[2:3], vcc
	s_cbranch_execz .LBB236_39
; %bb.38:
	v_mad_i64_i32 v[10:11], s[16:17], s15, v20, 0
	v_lshl_add_u64 v[10:11], v[10:11], 1, s[4:5]
	v_lshlrev_b32_e32 v12, 1, v18
	v_mov_b32_e32 v13, 0
	v_lshl_add_u64 v[10:11], v[10:11], 0, v[12:13]
	global_load_dwordx4 v[10:13], v[10:11], off offset:128
.LBB236_39:
	s_or_b64 exec, exec, s[2:3]
	v_mov_b32_e32 v16, 0
	v_mov_b32_e32 v15, 0
	;; [unrolled: 1-line block ×3, first 2 shown]
	s_and_saveexec_b64 s[2:3], s[0:1]
	s_cbranch_execz .LBB236_41
; %bb.40:
	v_mad_i64_i32 v[14:15], s[0:1], s15, v21, 0
	v_lshl_add_u64 v[14:15], v[14:15], 1, s[4:5]
	v_lshlrev_b32_e32 v16, 1, v18
	v_mov_b32_e32 v17, 0
	v_lshl_add_u64 v[14:15], v[14:15], 0, v[16:17]
	global_load_dwordx4 v[14:17], v[14:15], off offset:128
.LBB236_41:
	s_or_b64 exec, exec, s[2:3]
	s_branch .LBB236_45
.LBB236_42:
                                        ; implicit-def: $vgpr5
                                        ; implicit-def: $vgpr9
                                        ; implicit-def: $vgpr13
                                        ; implicit-def: $vgpr17
	v_lshrrev_b32_e32 v33, 2, v74
	s_branch .LBB236_46
.LBB236_43:
                                        ; implicit-def: $vgpr5
                                        ; implicit-def: $vgpr9
                                        ; implicit-def: $vgpr13
                                        ; implicit-def: $vgpr17
	s_cbranch_execz .LBB236_45
; %bb.44:
	s_waitcnt vmcnt(0)
	v_mad_u64_u32 v[2:3], s[0:1], v20, s15, v[18:19]
	v_lshlrev_b32_e32 v20, 1, v2
	s_lshl_b32 s2, s15, 7
	s_and_b32 s1, s5, 0xffff
	s_mov_b32 s3, 0x20000
	s_mov_b32 s0, s4
	v_add_lshl_u32 v21, v2, s15, 1
	s_movk_i32 s13, 0x80
	buffer_load_dwordx4 v[2:5], v20, s[0:3], 0 offen
	buffer_load_dwordx4 v[10:13], v20, s[0:3], s13 offen
	;; [unrolled: 1-line block ×4, first 2 shown]
.LBB236_45:
	v_lshrrev_b32_e32 v33, 2, v74
	s_cbranch_execnz .LBB236_58
.LBB236_46:
	s_and_b64 vcc, exec, s[6:7]
	s_cbranch_vccz .LBB236_56
; %bb.47:
	s_waitcnt vmcnt(0)
	v_lshlrev_b32_e32 v7, 1, v24
	v_cmp_gt_i32_e32 vcc, s27, v7
	v_mov_b32_e32 v6, 0
	v_lshlrev_b32_e32 v14, 9, v24
	v_mov_b32_e32 v2, 0
	v_mov_b32_e32 v3, 0
	v_mov_b32_e32 v4, 0
	v_mov_b32_e32 v5, 0
	s_and_saveexec_b64 s[0:1], vcc
	s_cbranch_execz .LBB236_49
; %bb.48:
	v_mov_b32_e32 v15, 0
	v_lshl_add_u64 v[2:3], s[4:5], 0, v[14:15]
	v_lshlrev_b32_e32 v4, 1, v18
	v_mov_b32_e32 v5, v15
	v_lshl_add_u64 v[2:3], v[2:3], 0, v[4:5]
	global_load_dwordx4 v[2:5], v[2:3], off
.LBB236_49:
	s_or_b64 exec, exec, s[0:1]
	v_or_b32_e32 v7, 1, v7
	v_cmp_gt_i32_e64 s[0:1], s27, v7
	v_lshlrev_b32_e32 v20, 8, v7
	v_mov_b32_e32 v7, 0
	v_mov_b32_e32 v8, 0
	;; [unrolled: 1-line block ×3, first 2 shown]
	s_and_saveexec_b64 s[2:3], s[0:1]
	s_cbranch_execz .LBB236_51
; %bb.50:
	v_mov_b32_e32 v21, 0
	v_lshl_add_u64 v[6:7], s[4:5], 0, v[20:21]
	v_lshlrev_b32_e32 v8, 1, v18
	v_mov_b32_e32 v9, v21
	v_lshl_add_u64 v[6:7], v[6:7], 0, v[8:9]
	global_load_dwordx4 v[6:9], v[6:7], off
.LBB236_51:
	s_or_b64 exec, exec, s[2:3]
	v_mov_b32_e32 v17, 0
	v_mov_b32_e32 v10, 0
	;; [unrolled: 1-line block ×5, first 2 shown]
	s_and_saveexec_b64 s[2:3], vcc
	s_cbranch_execz .LBB236_53
; %bb.52:
	v_mov_b32_e32 v15, 0
	v_lshl_add_u64 v[10:11], s[4:5], 0, v[14:15]
	v_lshlrev_b32_e32 v14, 1, v18
	v_lshl_add_u64 v[10:11], v[10:11], 0, v[14:15]
	global_load_dwordx4 v[10:13], v[10:11], off offset:128
.LBB236_53:
	s_or_b64 exec, exec, s[2:3]
	v_mov_b32_e32 v16, 0
	v_mov_b32_e32 v15, 0
	;; [unrolled: 1-line block ×3, first 2 shown]
	s_and_saveexec_b64 s[2:3], s[0:1]
	s_cbranch_execz .LBB236_55
; %bb.54:
	v_mov_b32_e32 v21, 0
	v_lshl_add_u64 v[14:15], s[4:5], 0, v[20:21]
	v_lshlrev_b32_e32 v20, 1, v18
	v_lshl_add_u64 v[14:15], v[14:15], 0, v[20:21]
	global_load_dwordx4 v[14:17], v[14:15], off offset:128
.LBB236_55:
	s_or_b64 exec, exec, s[2:3]
	s_branch .LBB236_58
.LBB236_56:
                                        ; implicit-def: $vgpr5
                                        ; implicit-def: $vgpr9
                                        ; implicit-def: $vgpr13
                                        ; implicit-def: $vgpr17
	s_cbranch_execz .LBB236_58
; %bb.57:
	s_waitcnt vmcnt(0)
	v_lshlrev_b32_e32 v2, 1, v18
	v_lshl_or_b32 v18, v24, 9, v2
	s_and_b32 s5, s5, 0xffff
	s_mov_b32 s7, 0x20000
	s_movk_i32 s6, 0x4000
	s_movk_i32 s0, 0x80
	buffer_load_dwordx4 v[2:5], v18, s[4:7], 0 offen
	buffer_load_dwordx4 v[6:9], v18, s[4:7], 0 offen offset:256
	buffer_load_dwordx4 v[10:13], v18, s[4:7], s0 offen
	buffer_load_dwordx4 v[14:17], v18, s[4:7], s0 offen offset:256
.LBB236_58:
	ds_read_b64 v[20:21], v26 offset:57344
	v_add_u32_e32 v18, 0x6000, v25
	ds_read2_b64 v[36:39], v18 offset1:16
	ds_read_b64 v[48:49], v27 offset:57344
	ds_read_b64 v[50:51], v28 offset:57344
	;; [unrolled: 1-line block ×3, first 2 shown]
	ds_read2_b64 v[26:29], v18 offset0:32 offset1:48
	v_and_b32_e32 v18, 6, v0
	v_xor_b32_e32 v24, v24, v18
	v_lshlrev_b32_e32 v24, 2, v24
	v_and_b32_e32 v0, 1, v0
	v_cmp_eq_u32_e32 vcc, 0, v0
	s_waitcnt lgkmcnt(4)
	v_mfma_f32_16x16x16_bf16 a[0:3], v[20:21], v[36:37], a[0:3]
	s_mov_b32 s0, 0x1000504
	s_mov_b32 s1, 0x3020706
	v_mfma_f32_16x16x16_bf16 a[4:7], v[20:21], v[38:39], a[4:7]
	ds_read2st64_b64 v[36:39], v25 offset0:52 offset1:56
	s_waitcnt lgkmcnt(1)
	v_mfma_f32_16x16x16_bf16 a[8:11], v[20:21], v[26:27], a[8:11]
	v_mfma_f32_16x16x16_bf16 a[12:15], v[20:21], v[28:29], a[12:15]
	ds_read2st64_b64 v[26:29], v30 offset0:52 offset1:56
	ds_read2st64_b64 v[40:43], v31 offset0:52 offset1:56
	ds_read2st64_b64 v[44:47], v32 offset0:52 offset1:56
	s_waitcnt lgkmcnt(3)
	v_mfma_f32_16x16x16_bf16 a[0:3], v[48:49], v[36:37], a[0:3]
	ds_read_b64 v[20:21], v25 offset:30720
	ds_read_b64 v[36:37], v30 offset:30720
	;; [unrolled: 1-line block ×4, first 2 shown]
	v_xor_b32_e32 v25, 0x440, v24
	v_cndmask_b32_e32 v0, v25, v24, vcc
	s_waitcnt lgkmcnt(6)
	v_mfma_f32_16x16x16_bf16 a[4:7], v[48:49], v[26:27], a[4:7]
	v_lshl_or_b32 v0, v18, 10, v0
	s_waitcnt vmcnt(0)
	v_perm_b32 v18, v2, v6, s0
	v_perm_b32 v24, v10, v14, s0
	s_waitcnt lgkmcnt(5)
	v_mfma_f32_16x16x16_bf16 a[8:11], v[48:49], v[40:41], a[8:11]
	ds_write2st64_b32 v0, v18, v24 offset0:128 offset1:160
	v_xor_b32_e32 v18, 8, v0
	v_perm_b32 v2, v2, v6, s1
	s_waitcnt lgkmcnt(5)
	v_mfma_f32_16x16x16_bf16 a[12:15], v[48:49], v[44:45], a[12:15]
	v_perm_b32 v6, v10, v14, s1
	v_add_u32_e32 v10, 0x80, v18
	ds_write2st64_b32 v10, v2, v6 offset0:128 offset1:160
	v_mfma_f32_16x16x16_bf16 a[0:3], v[50:51], v[38:39], a[0:3]
	v_xor_b32_e32 v2, 16, v0
	v_perm_b32 v6, v3, v7, s0
	v_perm_b32 v10, v11, v15, s0
	v_mfma_f32_16x16x16_bf16 a[4:7], v[50:51], v[28:29], a[4:7]
	ds_write2st64_b32 v2, v6, v10 offset0:129 offset1:161
	v_xor_b32_e32 v2, 24, v0
	v_perm_b32 v3, v3, v7, s1
	v_mfma_f32_16x16x16_bf16 a[16:19], v[50:51], v[42:43], a[8:11]
	v_perm_b32 v6, v11, v15, s1
	v_add_u32_e32 v2, 0x80, v2
	ds_write2st64_b32 v2, v3, v6 offset0:129 offset1:161
	v_mfma_f32_16x16x16_bf16 a[20:23], v[50:51], v[46:47], a[12:15]
	v_xor_b32_e32 v2, 32, v0
	v_perm_b32 v3, v4, v8, s0
	v_perm_b32 v6, v12, v16, s0
	s_waitcnt lgkmcnt(7)
	v_mfma_f32_16x16x16_bf16 a[12:15], v[52:53], v[20:21], a[0:3]
	ds_write2st64_b32 v2, v3, v6 offset0:130 offset1:162
	v_xor_b32_e32 v2, 40, v0
	v_perm_b32 v3, v4, v8, s1
	s_waitcnt lgkmcnt(7)
	v_mfma_f32_16x16x16_bf16 a[8:11], v[52:53], v[36:37], a[4:7]
	v_perm_b32 v4, v12, v16, s1
	v_add_u32_e32 v2, 0x80, v2
	ds_write2st64_b32 v2, v3, v4 offset0:130 offset1:162
	s_waitcnt lgkmcnt(7)
	v_mfma_f32_16x16x16_bf16 a[4:7], v[52:53], v[30:31], a[16:19]
	v_xor_b32_e32 v2, 48, v0
	v_perm_b32 v3, v5, v9, s0
	v_perm_b32 v4, v13, v17, s0
	s_waitcnt lgkmcnt(6)
	v_mfma_f32_16x16x16_bf16 a[0:3], v[52:53], v[54:55], a[20:23]
	v_xor_b32_e32 v0, 56, v0
	v_and_or_b32 v18, v33, 12, v1
	ds_write2st64_b32 v2, v3, v4 offset0:131 offset1:163
	v_perm_b32 v2, v5, v9, s1
	v_perm_b32 v3, v13, v17, s1
	v_add_u32_e32 v0, 0x80, v0
	v_cmp_gt_i32_e32 vcc, s27, v18
	v_mov_b32_e32 v14, 0
	v_mov_b32_e32 v16, 0
	ds_write2st64_b32 v0, v2, v3 offset0:131 offset1:163
	s_and_saveexec_b64 s[0:1], vcc
	s_cbranch_execz .LBB236_60
; %bb.59:
	v_add_u32_e32 v0, s26, v18
	v_ashrrev_i32_e32 v1, 31, v0
	v_mul_lo_u32 v2, v1, s28
	v_mul_lo_u32 v3, v0, s29
	v_mad_u64_u32 v[0:1], s[2:3], v0, s28, 0
	v_add3_u32 v1, v1, v3, v2
	v_lshl_add_u64 v[0:1], v[0:1], 2, s[10:11]
	global_load_dword v0, v[0:1], off
	s_waitcnt vmcnt(0)
	v_sub_f32_e32 v0, s12, v0
	v_mul_f32_e32 v0, 0x3fb8aa3b, v0
	v_exp_f32_e32 v16, v0
.LBB236_60:
	s_or_b64 exec, exec, s[0:1]
	v_or_b32_e32 v8, 1, v18
	v_cmp_gt_i32_e64 s[0:1], s27, v8
	s_and_saveexec_b64 s[2:3], s[0:1]
	s_cbranch_execz .LBB236_62
; %bb.61:
	v_add_u32_e32 v0, s26, v8
	v_ashrrev_i32_e32 v1, 31, v0
	v_mul_lo_u32 v2, v1, s28
	v_mul_lo_u32 v3, v0, s29
	v_mad_u64_u32 v[0:1], s[4:5], v0, s28, 0
	v_add3_u32 v1, v1, v3, v2
	v_lshl_add_u64 v[0:1], v[0:1], 2, s[10:11]
	global_load_dword v0, v[0:1], off
	s_waitcnt vmcnt(0)
	v_sub_f32_e32 v0, s12, v0
	v_mul_f32_e32 v0, 0x3fb8aa3b, v0
	v_exp_f32_e32 v14, v0
.LBB236_62:
	s_or_b64 exec, exec, s[2:3]
	v_or_b32_e32 v10, 2, v18
	v_cmp_gt_i32_e64 s[2:3], s27, v10
	v_mov_b32_e32 v15, 0
	v_mov_b32_e32 v17, 0
	s_and_saveexec_b64 s[4:5], s[2:3]
	s_cbranch_execz .LBB236_64
; %bb.63:
	v_add_u32_e32 v0, s26, v10
	v_ashrrev_i32_e32 v1, 31, v0
	v_mul_lo_u32 v2, v1, s28
	v_mul_lo_u32 v3, v0, s29
	v_mad_u64_u32 v[0:1], s[6:7], v0, s28, 0
	v_add3_u32 v1, v1, v3, v2
	v_lshl_add_u64 v[0:1], v[0:1], 2, s[10:11]
	global_load_dword v0, v[0:1], off
	s_waitcnt vmcnt(0)
	v_sub_f32_e32 v0, s12, v0
	v_mul_f32_e32 v0, 0x3fb8aa3b, v0
	v_exp_f32_e32 v17, v0
.LBB236_64:
	s_or_b64 exec, exec, s[4:5]
	v_or_b32_e32 v12, 3, v18
	v_cmp_gt_i32_e64 s[4:5], s27, v12
	s_and_saveexec_b64 s[6:7], s[4:5]
	s_cbranch_execz .LBB236_66
; %bb.65:
	v_add_u32_e32 v0, s26, v12
	v_ashrrev_i32_e32 v1, 31, v0
	v_mul_lo_u32 v2, v1, s28
	v_mul_lo_u32 v3, v0, s29
	v_mad_u64_u32 v[0:1], s[14:15], v0, s28, 0
	v_add3_u32 v1, v1, v3, v2
	v_lshl_add_u64 v[0:1], v[0:1], 2, s[10:11]
	global_load_dword v0, v[0:1], off
	s_waitcnt vmcnt(0)
	v_sub_f32_e32 v0, s12, v0
	v_mul_f32_e32 v0, 0x3fb8aa3b, v0
	v_exp_f32_e32 v15, v0
.LBB236_66:
	s_or_b64 exec, exec, s[6:7]
	s_add_u32 s6, s8, s20
	v_accvgpr_read_b32 v0, a12
	s_addc_u32 s7, s9, s21
	v_ashrrev_i32_e32 v67, 31, v66
	v_accvgpr_read_b32 v1, a13
	v_accvgpr_read_b32 v2, a14
	;; [unrolled: 1-line block ×3, first 2 shown]
	v_lshl_add_u64 v[4:5], v[66:67], 1, s[6:7]
	v_mov_b32_e32 v9, 0
	v_lshlrev_b32_e32 v6, 8, v18
	v_mov_b32_e32 v7, 0
	s_and_saveexec_b64 s[6:7], vcc
	s_cbranch_execz .LBB236_68
; %bb.67:
	v_mov_b32_e32 v7, 0
	v_lshl_add_u64 v[20:21], v[4:5], 0, v[6:7]
	global_load_ushort v7, v[20:21], off
	s_waitcnt vmcnt(0)
	v_lshlrev_b32_e32 v7, 16, v7
	v_sub_f32_e32 v0, v7, v0
	v_mul_f32_e32 v0, v16, v0
	v_lshrrev_b32_e32 v7, 16, v0
.LBB236_68:
	s_or_b64 exec, exec, s[6:7]
	v_lshlrev_b32_e32 v8, 8, v8
	s_and_saveexec_b64 s[6:7], s[0:1]
	s_cbranch_execz .LBB236_70
; %bb.69:
	v_mov_b32_e32 v9, 0
	v_lshl_add_u64 v[20:21], v[4:5], 0, v[8:9]
	global_load_ushort v0, v[20:21], off
	s_waitcnt vmcnt(0)
	v_lshlrev_b32_e32 v0, 16, v0
	v_sub_f32_e32 v0, v0, v1
	v_mul_f32_e32 v0, v14, v0
	v_lshrrev_b32_e32 v9, 16, v0
.LBB236_70:
	s_or_b64 exec, exec, s[6:7]
	v_mov_b32_e32 v13, 0
	v_lshlrev_b32_e32 v10, 8, v10
	v_mov_b32_e32 v11, 0
	s_and_saveexec_b64 s[6:7], s[2:3]
	s_cbranch_execz .LBB236_72
; %bb.71:
	v_mov_b32_e32 v11, 0
	v_lshl_add_u64 v[0:1], v[4:5], 0, v[10:11]
	global_load_ushort v0, v[0:1], off
	s_waitcnt vmcnt(0)
	v_lshlrev_b32_e32 v0, 16, v0
	v_sub_f32_e32 v0, v0, v2
	v_mul_f32_e32 v0, v17, v0
	v_lshrrev_b32_e32 v11, 16, v0
.LBB236_72:
	s_or_b64 exec, exec, s[6:7]
	v_lshlrev_b32_e32 v12, 8, v12
	s_and_saveexec_b64 s[6:7], s[4:5]
	s_cbranch_execz .LBB236_74
; %bb.73:
	v_mov_b32_e32 v13, 0
	v_lshl_add_u64 v[0:1], v[4:5], 0, v[12:13]
	global_load_ushort v0, v[0:1], off
	s_waitcnt vmcnt(0)
	v_lshlrev_b32_e32 v0, 16, v0
	v_sub_f32_e32 v0, v0, v3
	v_mul_f32_e32 v0, v15, v0
	v_lshrrev_b32_e32 v13, 16, v0
.LBB236_74:
	s_or_b64 exec, exec, s[6:7]
	v_lshlrev_b32_e32 v18, 6, v18
	s_mov_b32 s6, 0x5040100
	v_perm_b32 v20, v9, v7, s6
	v_or_b32_e32 v7, v18, v34
	v_accvgpr_read_b32 v0, a8
	v_perm_b32 v21, v13, v11, s6
	v_lshlrev_b32_e32 v7, 1, v7
	v_accvgpr_read_b32 v1, a9
	v_accvgpr_read_b32 v2, a10
	;; [unrolled: 1-line block ×3, first 2 shown]
	ds_write_b64 v7, v[20:21] offset:24576
	v_mov_b32_e32 v9, 0
	v_mov_b32_e32 v7, 0
	s_and_saveexec_b64 s[6:7], vcc
	s_cbranch_execz .LBB236_76
; %bb.75:
	v_mov_b32_e32 v7, 0
	v_lshl_add_u64 v[20:21], v[4:5], 0, v[6:7]
	global_load_ushort v7, v[20:21], off offset:32
	s_waitcnt vmcnt(0)
	v_lshlrev_b32_e32 v7, 16, v7
	v_sub_f32_e32 v0, v7, v0
	v_mul_f32_e32 v0, v16, v0
	v_lshrrev_b32_e32 v7, 16, v0
.LBB236_76:
	s_or_b64 exec, exec, s[6:7]
	s_and_saveexec_b64 s[6:7], s[0:1]
	s_cbranch_execz .LBB236_78
; %bb.77:
	v_mov_b32_e32 v9, 0
	v_lshl_add_u64 v[20:21], v[4:5], 0, v[8:9]
	global_load_ushort v0, v[20:21], off offset:32
	s_waitcnt vmcnt(0)
	v_lshlrev_b32_e32 v0, 16, v0
	v_sub_f32_e32 v0, v0, v1
	v_mul_f32_e32 v0, v14, v0
	v_lshrrev_b32_e32 v9, 16, v0
.LBB236_78:
	s_or_b64 exec, exec, s[6:7]
	v_mov_b32_e32 v13, 0
	v_mov_b32_e32 v11, 0
	s_and_saveexec_b64 s[6:7], s[2:3]
	s_cbranch_execz .LBB236_80
; %bb.79:
	v_mov_b32_e32 v11, 0
	v_lshl_add_u64 v[0:1], v[4:5], 0, v[10:11]
	global_load_ushort v0, v[0:1], off offset:32
	s_waitcnt vmcnt(0)
	v_lshlrev_b32_e32 v0, 16, v0
	v_sub_f32_e32 v0, v0, v2
	v_mul_f32_e32 v0, v17, v0
	v_lshrrev_b32_e32 v11, 16, v0
.LBB236_80:
	s_or_b64 exec, exec, s[6:7]
	s_and_saveexec_b64 s[6:7], s[4:5]
	s_cbranch_execz .LBB236_82
; %bb.81:
	v_mov_b32_e32 v13, 0
	v_lshl_add_u64 v[0:1], v[4:5], 0, v[12:13]
	global_load_ushort v0, v[0:1], off offset:32
	s_waitcnt vmcnt(0)
	v_lshlrev_b32_e32 v0, 16, v0
	v_sub_f32_e32 v0, v0, v3
	v_mul_f32_e32 v0, v15, v0
	v_lshrrev_b32_e32 v13, 16, v0
.LBB236_82:
	s_or_b64 exec, exec, s[6:7]
	s_mov_b32 s6, 0x5040100
	v_perm_b32 v20, v9, v7, s6
	v_or_b32_e32 v7, v18, v23
	v_accvgpr_read_b32 v0, a4
	v_perm_b32 v21, v13, v11, s6
	v_lshlrev_b32_e32 v7, 1, v7
	v_accvgpr_read_b32 v1, a5
	v_accvgpr_read_b32 v2, a6
	;; [unrolled: 1-line block ×3, first 2 shown]
	ds_write_b64 v7, v[20:21] offset:24576
	v_mov_b32_e32 v9, 0
	v_mov_b32_e32 v7, 0
	s_and_saveexec_b64 s[6:7], vcc
	s_cbranch_execz .LBB236_84
; %bb.83:
	v_mov_b32_e32 v7, 0
	v_lshl_add_u64 v[20:21], v[4:5], 0, v[6:7]
	global_load_ushort v7, v[20:21], off offset:64
	s_waitcnt vmcnt(0)
	v_lshlrev_b32_e32 v7, 16, v7
	v_sub_f32_e32 v0, v7, v0
	v_mul_f32_e32 v0, v16, v0
	v_lshrrev_b32_e32 v7, 16, v0
.LBB236_84:
	s_or_b64 exec, exec, s[6:7]
	s_and_saveexec_b64 s[6:7], s[0:1]
	s_cbranch_execz .LBB236_86
; %bb.85:
	v_mov_b32_e32 v9, 0
	v_lshl_add_u64 v[20:21], v[4:5], 0, v[8:9]
	global_load_ushort v0, v[20:21], off offset:64
	s_waitcnt vmcnt(0)
	v_lshlrev_b32_e32 v0, 16, v0
	v_sub_f32_e32 v0, v0, v1
	v_mul_f32_e32 v0, v14, v0
	v_lshrrev_b32_e32 v9, 16, v0
.LBB236_86:
	s_or_b64 exec, exec, s[6:7]
	v_mov_b32_e32 v13, 0
	v_mov_b32_e32 v11, 0
	s_and_saveexec_b64 s[6:7], s[2:3]
	s_cbranch_execz .LBB236_88
; %bb.87:
	v_mov_b32_e32 v11, 0
	v_lshl_add_u64 v[0:1], v[4:5], 0, v[10:11]
	global_load_ushort v0, v[0:1], off offset:64
	s_waitcnt vmcnt(0)
	v_lshlrev_b32_e32 v0, 16, v0
	v_sub_f32_e32 v0, v0, v2
	v_mul_f32_e32 v0, v17, v0
	v_lshrrev_b32_e32 v11, 16, v0
.LBB236_88:
	s_or_b64 exec, exec, s[6:7]
	s_and_saveexec_b64 s[6:7], s[4:5]
	s_cbranch_execz .LBB236_90
; %bb.89:
	v_mov_b32_e32 v13, 0
	v_lshl_add_u64 v[0:1], v[4:5], 0, v[12:13]
	global_load_ushort v0, v[0:1], off offset:64
	s_waitcnt vmcnt(0)
	v_lshlrev_b32_e32 v0, 16, v0
	v_sub_f32_e32 v0, v0, v3
	v_mul_f32_e32 v0, v15, v0
	v_lshrrev_b32_e32 v13, 16, v0
.LBB236_90:
	s_or_b64 exec, exec, s[6:7]
	s_mov_b32 s6, 0x5040100
	v_perm_b32 v20, v9, v7, s6
	v_or_b32_e32 v7, v18, v22
	v_accvgpr_read_b32 v0, a0
	v_perm_b32 v21, v13, v11, s6
	v_lshlrev_b32_e32 v7, 1, v7
	v_accvgpr_read_b32 v1, a1
	v_accvgpr_read_b32 v2, a2
	;; [unrolled: 1-line block ×3, first 2 shown]
	ds_write_b64 v7, v[20:21] offset:24576
	v_mov_b32_e32 v9, 0
	v_mov_b32_e32 v7, 0
	s_and_saveexec_b64 s[6:7], vcc
	s_cbranch_execz .LBB236_92
; %bb.91:
	v_mov_b32_e32 v7, 0
	v_lshl_add_u64 v[6:7], v[4:5], 0, v[6:7]
	global_load_ushort v6, v[6:7], off offset:96
	s_waitcnt vmcnt(0)
	v_lshlrev_b32_e32 v6, 16, v6
	v_sub_f32_e32 v0, v6, v0
	v_mul_f32_e32 v0, v16, v0
	v_lshrrev_b32_e32 v7, 16, v0
.LBB236_92:
	s_or_b64 exec, exec, s[6:7]
	s_and_saveexec_b64 s[6:7], s[0:1]
	s_cbranch_execz .LBB236_94
; %bb.93:
	v_mov_b32_e32 v9, 0
	v_lshl_add_u64 v[8:9], v[4:5], 0, v[8:9]
	global_load_ushort v0, v[8:9], off offset:96
	s_waitcnt vmcnt(0)
	v_lshlrev_b32_e32 v0, 16, v0
	v_sub_f32_e32 v0, v0, v1
	v_mul_f32_e32 v0, v14, v0
	v_lshrrev_b32_e32 v9, 16, v0
.LBB236_94:
	s_or_b64 exec, exec, s[6:7]
	v_mov_b32_e32 v0, 0
	v_mov_b32_e32 v1, 0
	s_and_saveexec_b64 s[0:1], s[2:3]
	s_cbranch_execz .LBB236_96
; %bb.95:
	v_mov_b32_e32 v11, 0
	v_lshl_add_u64 v[10:11], v[4:5], 0, v[10:11]
	global_load_ushort v1, v[10:11], off offset:96
	s_waitcnt vmcnt(0)
	v_lshlrev_b32_e32 v1, 16, v1
	v_sub_f32_e32 v1, v1, v2
	v_mul_f32_e32 v1, v17, v1
	v_lshrrev_b32_e32 v1, 16, v1
.LBB236_96:
	s_or_b64 exec, exec, s[0:1]
	s_and_saveexec_b64 s[0:1], s[4:5]
	s_cbranch_execz .LBB236_98
; %bb.97:
	v_mov_b32_e32 v13, 0
	v_lshl_add_u64 v[4:5], v[4:5], 0, v[12:13]
	global_load_ushort v0, v[4:5], off offset:96
	s_waitcnt vmcnt(0)
	v_lshlrev_b32_e32 v0, 16, v0
	v_sub_f32_e32 v0, v0, v3
	v_mul_f32_e32 v0, v15, v0
	v_lshrrev_b32_e32 v0, 16, v0
.LBB236_98:
	s_or_b64 exec, exec, s[0:1]
	s_mov_b32 s0, 0x5040100
	v_or_b32_e32 v2, v18, v19
	v_perm_b32 v1, v0, v1, s0
	v_perm_b32 v0, v9, v7, s0
	v_lshlrev_b32_e32 v2, 1, v2
	ds_write_b64 v2, v[0:1] offset:24576
	s_waitcnt lgkmcnt(0)
	s_barrier
.LBB236_99:
	s_endpgm
	.section	.rodata,"a",@progbits
	.p2align	6, 0x0
	.amdhsa_kernel _ZN12_GLOBAL__N_139chunk_gated_delta_rule_fwd_h_hip_kernelILi64ELb1ELb0ELb0ELb0ELb0ELb0ELb1ELb0EEEvPK12hip_bfloat16S3_S3_PKfS5_PKvPS1_S8_PvPKiSB_iiiiilll
		.amdhsa_group_segment_fixed_size 65536
		.amdhsa_private_segment_fixed_size 0
		.amdhsa_kernarg_size 136
		.amdhsa_user_sgpr_count 2
		.amdhsa_user_sgpr_dispatch_ptr 0
		.amdhsa_user_sgpr_queue_ptr 0
		.amdhsa_user_sgpr_kernarg_segment_ptr 1
		.amdhsa_user_sgpr_dispatch_id 0
		.amdhsa_user_sgpr_kernarg_preload_length 0
		.amdhsa_user_sgpr_kernarg_preload_offset 0
		.amdhsa_user_sgpr_private_segment_size 0
		.amdhsa_uses_dynamic_stack 0
		.amdhsa_enable_private_segment 0
		.amdhsa_system_sgpr_workgroup_id_x 1
		.amdhsa_system_sgpr_workgroup_id_y 1
		.amdhsa_system_sgpr_workgroup_id_z 0
		.amdhsa_system_sgpr_workgroup_info 0
		.amdhsa_system_vgpr_workitem_id 0
		.amdhsa_next_free_vgpr 216
		.amdhsa_next_free_sgpr 66
		.amdhsa_accum_offset 180
		.amdhsa_reserve_vcc 1
		.amdhsa_float_round_mode_32 0
		.amdhsa_float_round_mode_16_64 0
		.amdhsa_float_denorm_mode_32 3
		.amdhsa_float_denorm_mode_16_64 3
		.amdhsa_dx10_clamp 1
		.amdhsa_ieee_mode 1
		.amdhsa_fp16_overflow 0
		.amdhsa_tg_split 0
		.amdhsa_exception_fp_ieee_invalid_op 0
		.amdhsa_exception_fp_denorm_src 0
		.amdhsa_exception_fp_ieee_div_zero 0
		.amdhsa_exception_fp_ieee_overflow 0
		.amdhsa_exception_fp_ieee_underflow 0
		.amdhsa_exception_fp_ieee_inexact 0
		.amdhsa_exception_int_div_zero 0
	.end_amdhsa_kernel
	.section	.text._ZN12_GLOBAL__N_139chunk_gated_delta_rule_fwd_h_hip_kernelILi64ELb1ELb0ELb0ELb0ELb0ELb0ELb1ELb0EEEvPK12hip_bfloat16S3_S3_PKfS5_PKvPS1_S8_PvPKiSB_iiiiilll,"axG",@progbits,_ZN12_GLOBAL__N_139chunk_gated_delta_rule_fwd_h_hip_kernelILi64ELb1ELb0ELb0ELb0ELb0ELb0ELb1ELb0EEEvPK12hip_bfloat16S3_S3_PKfS5_PKvPS1_S8_PvPKiSB_iiiiilll,comdat
.Lfunc_end236:
	.size	_ZN12_GLOBAL__N_139chunk_gated_delta_rule_fwd_h_hip_kernelILi64ELb1ELb0ELb0ELb0ELb0ELb0ELb1ELb0EEEvPK12hip_bfloat16S3_S3_PKfS5_PKvPS1_S8_PvPKiSB_iiiiilll, .Lfunc_end236-_ZN12_GLOBAL__N_139chunk_gated_delta_rule_fwd_h_hip_kernelILi64ELb1ELb0ELb0ELb0ELb0ELb0ELb1ELb0EEEvPK12hip_bfloat16S3_S3_PKfS5_PKvPS1_S8_PvPKiSB_iiiiilll
                                        ; -- End function
	.section	.AMDGPU.csdata,"",@progbits
; Kernel info:
; codeLenInByte = 10800
; NumSgprs: 72
; NumVgprs: 178
; NumAgprs: 36
; TotalNumVgprs: 216
; ScratchSize: 0
; MemoryBound: 0
; FloatMode: 240
; IeeeMode: 1
; LDSByteSize: 65536 bytes/workgroup (compile time only)
; SGPRBlocks: 8
; VGPRBlocks: 26
; NumSGPRsForWavesPerEU: 72
; NumVGPRsForWavesPerEU: 216
; AccumOffset: 180
; Occupancy: 1
; WaveLimiterHint : 1
; COMPUTE_PGM_RSRC2:SCRATCH_EN: 0
; COMPUTE_PGM_RSRC2:USER_SGPR: 2
; COMPUTE_PGM_RSRC2:TRAP_HANDLER: 0
; COMPUTE_PGM_RSRC2:TGID_X_EN: 1
; COMPUTE_PGM_RSRC2:TGID_Y_EN: 1
; COMPUTE_PGM_RSRC2:TGID_Z_EN: 0
; COMPUTE_PGM_RSRC2:TIDIG_COMP_CNT: 0
; COMPUTE_PGM_RSRC3_GFX90A:ACCUM_OFFSET: 44
; COMPUTE_PGM_RSRC3_GFX90A:TG_SPLIT: 0
	.section	.text._ZN12_GLOBAL__N_139chunk_gated_delta_rule_fwd_h_hip_kernelILi64ELb0ELb1ELb1ELb0ELb0ELb0ELb1ELb0EEEvPK12hip_bfloat16S3_S3_PKfS5_PKvPS1_S8_PvPKiSB_iiiiilll,"axG",@progbits,_ZN12_GLOBAL__N_139chunk_gated_delta_rule_fwd_h_hip_kernelILi64ELb0ELb1ELb1ELb0ELb0ELb0ELb1ELb0EEEvPK12hip_bfloat16S3_S3_PKfS5_PKvPS1_S8_PvPKiSB_iiiiilll,comdat
	.globl	_ZN12_GLOBAL__N_139chunk_gated_delta_rule_fwd_h_hip_kernelILi64ELb0ELb1ELb1ELb0ELb0ELb0ELb1ELb0EEEvPK12hip_bfloat16S3_S3_PKfS5_PKvPS1_S8_PvPKiSB_iiiiilll ; -- Begin function _ZN12_GLOBAL__N_139chunk_gated_delta_rule_fwd_h_hip_kernelILi64ELb0ELb1ELb1ELb0ELb0ELb0ELb1ELb0EEEvPK12hip_bfloat16S3_S3_PKfS5_PKvPS1_S8_PvPKiSB_iiiiilll
	.p2align	8
	.type	_ZN12_GLOBAL__N_139chunk_gated_delta_rule_fwd_h_hip_kernelILi64ELb0ELb1ELb1ELb0ELb0ELb0ELb1ELb0EEEvPK12hip_bfloat16S3_S3_PKfS5_PKvPS1_S8_PvPKiSB_iiiiilll,@function
_ZN12_GLOBAL__N_139chunk_gated_delta_rule_fwd_h_hip_kernelILi64ELb0ELb1ELb1ELb0ELb0ELb0ELb1ELb0EEEvPK12hip_bfloat16S3_S3_PKfS5_PKvPS1_S8_PvPKiSB_iiiiilll: ; @_ZN12_GLOBAL__N_139chunk_gated_delta_rule_fwd_h_hip_kernelILi64ELb0ELb1ELb1ELb0ELb0ELb0ELb1ELb0EEEvPK12hip_bfloat16S3_S3_PKfS5_PKvPS1_S8_PvPKiSB_iiiiilll
; %bb.0:
	s_load_dwordx4 s[16:19], s[0:1], 0x5c
	s_load_dwordx4 s[20:23], s[0:1], 0x70
	s_abs_i32 s14, s3
	s_ashr_i32 s13, s3, 31
	s_load_dwordx8 s[4:11], s[0:1], 0x0
	s_waitcnt lgkmcnt(0)
	s_abs_i32 s12, s17
	v_cvt_f32_u32_e32 v1, s12
	s_sub_i32 s24, 0, s12
	s_ashr_i32 s15, s17, 31
	s_xor_b32 s13, s13, s15
	v_rcp_iflag_f32_e32 v1, v1
	v_lshrrev_b32_e32 v74, 6, v0
	v_bfe_u32 v77, v0, 4, 2
	v_lshlrev_b32_e32 v75, 4, v74
	v_mul_f32_e32 v1, 0x4f7ffffe, v1
	v_cvt_u32_f32_e32 v1, v1
	v_lshlrev_b32_e32 v34, 2, v77
	v_and_b32_e32 v76, 63, v0
	v_mov_b32_e32 v5, 0
	v_readfirstlane_b32 s25, v1
	s_mul_i32 s24, s24, s25
	s_mul_hi_u32 s24, s25, s24
	s_add_i32 s25, s25, s24
	s_mul_hi_u32 s24, s14, s25
	s_mul_i32 s25, s24, s12
	s_sub_i32 s14, s14, s25
	s_add_i32 s26, s24, 1
	s_sub_i32 s25, s14, s12
	s_cmp_ge_u32 s14, s12
	s_cselect_b32 s24, s26, s24
	s_cselect_b32 s14, s25, s14
	s_add_i32 s25, s24, 1
	s_cmp_ge_u32 s14, s12
	s_cselect_b32 s14, s25, s24
	s_xor_b32 s14, s14, s13
	s_sub_i32 s49, s14, s13
	s_abs_i32 s13, s18
	v_cvt_f32_u32_e32 v1, s13
	s_add_i32 s24, s16, 63
	s_mul_i32 s47, s49, s17
	s_sub_i32 s33, s3, s47
	v_rcp_iflag_f32_e32 v1, v1
	s_ashr_i32 s3, s24, 31
	s_ashr_i32 s48, s16, 31
	s_lshr_b32 s3, s3, 26
	v_mul_f32_e32 v1, 0x4f7ffffe, v1
	v_cvt_u32_f32_e32 v1, v1
	s_lshr_b32 s14, s48, 26
	s_add_i32 s24, s24, s3
	s_add_i32 s14, s16, s14
	s_ashr_i32 s51, s18, 31
	s_ashr_i32 s3, s24, 6
	;; [unrolled: 1-line block ×3, first 2 shown]
	s_xor_b32 s14, s15, s51
	s_sub_i32 s15, 0, s13
	v_readfirstlane_b32 s24, v1
	s_mul_i32 s15, s15, s24
	s_mul_hi_u32 s15, s24, s15
	s_add_i32 s24, s24, s15
	s_mul_hi_u32 s15, s12, s24
	s_mul_i32 s24, s15, s13
	s_sub_i32 s12, s12, s24
	s_add_i32 s24, s15, 1
	s_sub_i32 s25, s12, s13
	s_cmp_ge_u32 s12, s13
	s_cselect_b32 s15, s24, s15
	s_cselect_b32 s12, s25, s12
	s_add_i32 s24, s15, 1
	s_cmp_ge_u32 s12, s13
	s_cselect_b32 s12, s24, s15
	s_xor_b32 s12, s12, s14
	s_sub_i32 s24, s12, s14
	s_abs_i32 s25, s24
	v_cvt_f32_u32_e32 v1, s25
	s_load_dwordx2 s[34:35], s[0:1], 0x40
	s_load_dwordx4 s[12:15], s[0:1], 0x30
	s_load_dwordx2 s[36:37], s[0:1], 0x80
	s_xor_b32 s0, s33, s24
	s_sub_i32 s24, 0, s25
	v_rcp_iflag_f32_e32 v1, v1
	s_abs_i32 s1, s33
	s_ashr_i32 s0, s0, 31
	s_mul_i32 s52, s49, s3
	v_mul_f32_e32 v1, 0x4f7ffffe, v1
	v_cvt_u32_f32_e32 v1, v1
	v_and_b32_e32 v78, 15, v0
	s_mul_hi_i32 s53, s49, s17
	v_lshrrev_b32_e32 v80, 3, v76
	v_readfirstlane_b32 s26, v1
	s_mul_i32 s24, s24, s26
	s_mul_hi_u32 s24, s26, s24
	s_add_i32 s26, s26, s24
	s_mul_hi_u32 s24, s1, s26
	s_mul_i32 s26, s24, s25
	s_sub_i32 s1, s1, s26
	s_add_i32 s26, s24, 1
	s_sub_i32 s27, s1, s25
	s_cmp_ge_u32 s1, s25
	s_cselect_b32 s24, s26, s24
	s_cselect_b32 s1, s27, s1
	s_add_i32 s26, s24, 1
	s_cmp_ge_u32 s1, s25
	s_cselect_b32 s1, s26, s24
	s_xor_b32 s1, s1, s0
	s_sub_i32 s54, s1, s0
	v_or_b32_e32 v1, v34, v75
	s_lshl_b32 s2, s2, 6
	v_or_b32_e32 v81, 64, v1
	s_cmp_lt_i32 s16, 64
	v_lshlrev_b32_e32 v79, 3, v0
	s_mul_i32 s21, s49, s21
	s_mul_hi_u32 s46, s49, s20
	s_mul_i32 s38, s49, s20
	v_mov_b32_e32 v4, v5
	v_mov_b32_e32 v3, v5
	v_mov_b32_e32 v2, v5
	v_mov_b32_e32 v9, v5
	v_mov_b32_e32 v8, v5
	v_mov_b32_e32 v7, v5
	v_mov_b32_e32 v6, v5
	v_mov_b32_e32 v17, v5
	v_mov_b32_e32 v16, v5
	v_mov_b32_e32 v15, v5
	v_mov_b32_e32 v14, v5
	v_mov_b32_e32 v13, v5
	v_mov_b32_e32 v12, v5
	v_mov_b32_e32 v11, v5
	v_mov_b32_e32 v10, v5
	v_mov_b32_e32 v25, v5
	v_mov_b32_e32 v24, v5
	v_mov_b32_e32 v23, v5
	v_mov_b32_e32 v22, v5
	v_mov_b32_e32 v21, v5
	v_mov_b32_e32 v20, v5
	v_mov_b32_e32 v19, v5
	v_mov_b32_e32 v18, v5
	v_mov_b32_e32 v33, v5
	v_mov_b32_e32 v32, v5
	v_mov_b32_e32 v31, v5
	v_mov_b32_e32 v30, v5
	v_mov_b32_e32 v29, v5
	v_mov_b32_e32 v28, v5
	v_mov_b32_e32 v27, v5
	v_mov_b32_e32 v26, v5
	s_cbranch_scc1 .LBB237_18
; %bb.1:
	s_ashr_i32 s3, s49, 31
	s_ashr_i32 s56, s33, 31
	s_add_u32 s0, s47, s33
	s_addc_u32 s1, s53, s56
	s_mul_i32 s1, s16, s1
	s_mul_hi_u32 s24, s16, s0
	s_add_i32 s41, s24, s1
	s_mul_i32 s40, s16, s0
	s_lshl_b64 s[0:1], s[40:41], 8
	v_and_b32_e32 v83, 56, v79
	s_add_u32 s24, s6, s0
	v_lshl_or_b32 v82, v74, 3, v80
	v_lshlrev_b32_e32 v2, 1, v83
	s_addc_u32 s0, s7, s1
	v_lshl_or_b32 v84, v82, 8, v2
	s_and_b32 s25, s0, 0xffff
	s_mov_b32 s27, 0x20000
	s_movk_i32 s26, 0x4000
	s_movk_i32 s0, 0x80
	v_or_b32_e32 v85, 0x2000, v84
	buffer_load_dwordx4 v[4:7], v84, s[24:27], 0 offen
	buffer_load_dwordx4 v[8:11], v84, s[24:27], s0 offen
	;; [unrolled: 1-line block ×4, first 2 shown]
	v_lshlrev_b32_e32 v3, 3, v82
	v_and_or_b32 v21, v0, 7, v3
	v_and_b32_e32 v3, 0x78, v3
	v_lshlrev_b32_e32 v21, 4, v21
	v_xor_b32_e32 v86, v21, v3
	v_mul_lo_u32 v20, v82, s19
	v_or_b32_e32 v87, 0x1000, v86
	v_xor_b32_e32 v3, 8, v86
	s_cmpk_eq_i32 s19, 0x80
	s_mov_b32 s55, s18
	v_xor_b32_e32 v21, 8, v87
	s_cselect_b64 s[0:1], -1, 0
	s_cmpk_lg_i32 s19, 0x80
	s_waitcnt vmcnt(3)
	ds_write_b64 v86, v[4:5] offset:49152
	ds_write_b64 v3, v[6:7] offset:49152
	s_waitcnt vmcnt(2)
	ds_write_b64 v86, v[8:9] offset:57344
	ds_write_b64 v3, v[10:11] offset:57344
	;; [unrolled: 3-line block ×4, first 2 shown]
	v_lshl_add_u32 v3, v20, 1, v83
	s_cbranch_scc0 .LBB237_3
; %bb.2:
	v_lshlrev_b32_e32 v5, 1, v3
	v_add_lshl_u32 v4, v3, s19, 1
	s_lshl_b32 s26, s19, 7
	v_lshl_or_b32 v2, v82, 9, v2
	s_cbranch_execz .LBB237_4
	s_branch .LBB237_5
.LBB237_3:
                                        ; implicit-def: $vgpr4
                                        ; implicit-def: $vgpr5
                                        ; implicit-def: $sgpr26
	v_lshl_or_b32 v2, v82, 9, v2
.LBB237_4:
	v_or_b32_e32 v4, 0x100, v2
	s_movk_i32 s26, 0x4000
	v_mov_b32_e32 v5, v2
.LBB237_5:
	s_mul_hi_u32 s24, s18, s16
	s_mul_i32 s25, s51, s16
	s_add_i32 s24, s24, s25
	s_mul_i32 s25, s18, s16
	s_mul_i32 s27, s25, s3
	s_mul_hi_u32 s28, s25, s49
	s_add_i32 s27, s28, s27
	s_mul_i32 s24, s24, s49
	s_add_i32 s27, s27, s24
	s_mul_i32 s25, s25, s49
	s_ashr_i32 s57, s54, 31
	s_add_u32 s24, s25, s54
	s_addc_u32 s25, s27, s57
	s_lshl_b64 s[24:25], s[24:25], 8
	s_add_u32 s24, s4, s24
	s_addc_u32 s25, s5, s25
	s_and_b32 s25, s25, 0xffff
	s_mov_b32 s27, 0x20000
	s_movk_i32 s58, 0x80
	buffer_load_dwordx4 v[6:9], v5, s[24:27], 0 offen
	buffer_load_dwordx4 v[10:13], v5, s[24:27], s58 offen
	;; [unrolled: 1-line block ×4, first 2 shown]
	v_and_b32_e32 v5, 6, v0
	v_lshlrev_b32_e32 v4, 7, v1
	v_xor_b32_e32 v26, v82, v5
	v_and_b32_e32 v22, 1, v0
	v_lshl_or_b32 v29, v78, 3, v4
	v_lshlrev_b32_e32 v26, 2, v26
	v_or_b32_e32 v88, 0x4000, v29
	v_or_b32_e32 v89, 0x6000, v29
	v_xor_b32_e32 v29, 0x440, v26
	v_cmp_eq_u32_e32 vcc, 0, v22
	v_lshlrev_b32_e32 v23, 2, v78
	s_mov_b32 s60, 0x1000504
	v_cndmask_b32_e32 v22, v29, v26, vcc
	v_xor_b32_e32 v27, v1, v23
	v_xor_b32_e32 v28, v81, v23
	v_lshl_or_b32 v5, v5, 10, v22
	s_mov_b32 s61, 0x3020706
	s_mul_i32 s24, s3, s16
	s_mul_hi_u32 s25, s49, s16
	v_lshlrev_b32_e32 v24, 8, v78
	v_or_b32_e32 v25, 16, v78
	v_lshlrev_b32_e32 v27, 1, v27
	v_lshlrev_b32_e32 v28, 1, v28
	v_xor_b32_e32 v22, 8, v5
	v_xor_b32_e32 v26, 24, v5
	;; [unrolled: 1-line block ×4, first 2 shown]
	v_or_b32_e32 v91, v24, v27
	v_or_b32_e32 v92, v24, v28
	v_xor_b32_e32 v24, 16, v5
	v_xor_b32_e32 v29, 32, v5
	;; [unrolled: 1-line block ×3, first 2 shown]
	v_add_u32_e32 v22, 0x80, v22
	v_add_u32_e32 v26, 0x80, v26
	;; [unrolled: 1-line block ×4, first 2 shown]
	s_add_i32 s63, s25, s24
	s_add_i32 s24, s46, s21
	s_mul_i32 s3, s3, s20
	s_add_i32 s39, s24, s3
	s_mul_i32 s3, s33, s23
	s_mul_hi_u32 s24, s33, s22
	s_add_i32 s3, s24, s3
	s_mul_i32 s24, s56, s22
	s_add_i32 s25, s3, s24
	s_lshl_b64 s[28:29], s[38:39], 2
	s_mul_i32 s24, s33, s22
	s_add_u32 s3, s10, s28
	s_addc_u32 s28, s11, s29
	s_lshl_b64 s[24:25], s[24:25], 2
	s_add_u32 s42, s3, s24
	s_movk_i32 s3, 0xf8
	s_addc_u32 s43, s28, s25
	s_lshl_b32 s30, s19, 7
	s_movk_i32 s28, 0x100
	v_mov_b32_e32 v67, 0
	v_lshlrev_b32_e32 v66, 4, v78
	v_cmp_gt_u32_e32 vcc, s28, v0
	v_lshl_or_b32 v30, v25, 3, v4
	s_mov_b32 s59, 0
	s_mul_i32 s62, s49, s16
	v_or_b32_e32 v90, 0x4000, v30
	s_movk_i32 s26, 0x4000
	v_or_b32_e32 v93, 0x6000, v30
	v_add_u32_e32 v128, v75, v34
	s_movk_i32 s39, 0x2000
	s_movk_i32 s64, 0x3000
	v_mov_b32_e32 v133, 0x3fb8aa3b
	s_mov_b32 s66, 0
	v_mov_b32_e32 v30, v67
	s_waitcnt vmcnt(1)
	v_perm_b32 v35, v6, v14, s60
	s_waitcnt vmcnt(0)
	v_perm_b32 v36, v10, v18, s60
	v_perm_b32 v6, v6, v14, s61
	v_perm_b32 v10, v10, v18, s61
	v_perm_b32 v14, v7, v15, s60
	v_perm_b32 v18, v11, v19, s60
	v_perm_b32 v7, v7, v15, s61
	v_perm_b32 v11, v11, v19, s61
	v_perm_b32 v15, v8, v16, s60
	v_perm_b32 v19, v12, v20, s60
	v_perm_b32 v8, v8, v16, s61
	v_perm_b32 v12, v12, v20, s61
	v_perm_b32 v16, v9, v17, s60
	v_perm_b32 v20, v13, v21, s60
	v_perm_b32 v9, v9, v17, s61
	v_perm_b32 v13, v13, v21, s61
	ds_write2st64_b32 v5, v35, v36 offset0:128 offset1:160
	ds_write2st64_b32 v22, v6, v10 offset0:128 offset1:160
	;; [unrolled: 1-line block ×8, first 2 shown]
	v_lshlrev_b32_e32 v5, 8, v25
	v_or_b32_e32 v94, v5, v27
	v_or_b32_e32 v95, v5, v28
	v_or_b32_e32 v5, 32, v78
	v_lshl_or_b32 v6, v5, 3, v4
	v_lshlrev_b32_e32 v5, 8, v5
	v_or_b32_e32 v98, v5, v27
	v_or_b32_e32 v99, v5, v28
	;; [unrolled: 1-line block ×5, first 2 shown]
	v_lshl_or_b32 v6, v5, 3, v4
	v_lshlrev_b32_e32 v5, 8, v5
	v_or_b32_e32 v102, v5, v27
	v_or_b32_e32 v103, v5, v28
	;; [unrolled: 1-line block ×3, first 2 shown]
	v_lshlrev_b32_e32 v5, 3, v5
	v_lshrrev_b32_e32 v7, 5, v76
	v_and_or_b32 v7, v5, s3, v7
	v_lshlrev_b32_e32 v7, 4, v7
	v_lshlrev_b32_e32 v10, 11, v74
	v_and_b32_e32 v5, 0x78, v5
	v_or_b32_e32 v13, 32, v7
	v_or_b32_e32 v100, 0x4000, v6
	;; [unrolled: 1-line block ×3, first 2 shown]
	v_and_b32_e32 v6, 0x1000, v10
	v_xor_b32_e32 v8, v7, v5
	v_lshrrev_b32_e32 v11, 1, v0
	v_xor_b32_e32 v13, v13, v5
	v_or_b32_e32 v8, v8, v6
	v_and_b32_e32 v9, 8, v11
	v_lshlrev_b32_e32 v12, 8, v77
	v_or_b32_e32 v13, v13, v6
	v_xor_b32_e32 v104, v8, v9
	v_or_b32_e32 v8, v12, v23
	v_xor_b32_e32 v106, v13, v9
	v_or_b32_e32 v13, 64, v7
	v_or_b32_e32 v7, 0x60, v7
	s_ashr_i32 s3, s2, 31
	v_lshlrev_b32_e32 v8, 1, v8
	v_xor_b32_e32 v13, v13, v5
	v_xor_b32_e32 v5, v7, v5
	s_lshl_b64 s[24:25], s[2:3], 8
	v_or_b32_e32 v105, 0x4000, v8
	v_or_b32_e32 v107, 0x4080, v8
	;; [unrolled: 1-line block ×10, first 2 shown]
	s_waitcnt lgkmcnt(0)
	s_add_u32 s24, s12, s24
	v_lshlrev_b32_e32 v8, 1, v78
	v_xor_b32_e32 v110, v13, v9
	v_xor_b32_e32 v111, v5, v9
	v_lshrrev_b32_e32 v14, 4, v0
	s_addc_u32 s25, s13, s25
	v_or_b32_e32 v9, 1, v8
	v_mov_b32_e32 v18, 0xa000
	v_mov_b32_e32 v19, 0x8000
	v_xor_b32_e32 v15, v14, v8
	v_xor_b32_e32 v16, v9, v14
	v_lshl_add_u64 v[8:9], s[24:25], 0, v[66:67]
	v_lshlrev_b32_e32 v66, 8, v14
	v_cndmask_b32_e32 v18, v18, v19, vcc
	v_lshlrev_b32_e32 v19, 3, v74
	v_and_b32_e32 v11, 24, v11
	v_lshl_or_b32 v116, v15, 3, v66
	v_and_b32_e32 v15, 8, v0
	v_xor_b32_e32 v20, v19, v11
	v_or_b32_e32 v21, 0x440, v20
	v_cmp_eq_u32_e32 vcc, 0, v15
	v_and_b32_e32 v14, 7, v0
	v_lshl_or_b32 v117, v16, 3, v66
	v_cndmask_b32_e32 v15, v21, v20, vcc
	v_lshlrev_b32_e32 v16, 3, v14
	v_lshlrev_b32_e32 v14, 7, v14
	v_or_b32_e32 v15, v15, v10
	v_lshlrev_b32_e32 v17, 2, v0
	v_xad_u32 v118, v15, v16, v14
	v_or_b32_e32 v15, 32, v11
	v_and_or_b32 v12, v17, 60, v12
	v_xor_b32_e32 v15, v19, v15
	v_lshlrev_b32_e32 v12, 1, v12
	v_or_b32_e32 v17, 0x440, v15
	v_or_b32_e32 v119, 0x6000, v12
	v_cndmask_b32_e32 v15, v17, v15, vcc
	v_or_b32_e32 v121, 0x6080, v12
	v_or_b32_e32 v122, 0x6100, v12
	;; [unrolled: 1-line block ×5, first 2 shown]
	v_xor_b32_e32 v12, v19, v12
	v_xad_u32 v120, v15, v16, v14
	v_xor_b32_e32 v15, 0x440, v12
	v_cndmask_b32_e32 v12, v15, v12, vcc
	v_or_b32_e32 v11, 0x60, v11
	v_or_b32_e32 v12, v12, v10
	v_xor_b32_e32 v11, v19, v11
	v_xad_u32 v124, v12, v16, v14
	v_xor_b32_e32 v12, 0x440, v11
	v_or_b32_e32 v6, s2, v78
	v_cndmask_b32_e32 v11, v12, v11, vcc
	v_ashrrev_i32_e32 v7, 31, v6
	v_lshlrev_b32_e32 v5, 1, v3
	v_add_lshl_u32 v3, v3, s19, 1
	v_or_b32_e32 v13, 0x100, v2
	v_or_b32_e32 v10, v11, v10
	v_xad_u32 v125, v10, v16, v14
	v_cndmask_b32_e64 v126, v5, v2, s[0:1]
	v_cndmask_b32_e64 v127, v3, v13, s[0:1]
	v_lshlrev_b64 v[2:3], 1, v[6:7]
	v_lshl_add_u64 v[68:69], s[8:9], 0, v[2:3]
	v_lshl_add_u64 v[70:71], s[14:15], 0, v[2:3]
	;; [unrolled: 1-line block ×3, first 2 shown]
	s_mov_b32 s3, 0x7060302
	v_lshlrev_b32_e32 v66, 1, v4
	v_add_u32_e32 v129, v18, v118
	v_add_u32_e32 v130, v18, v120
	;; [unrolled: 1-line block ×4, first 2 shown]
	v_mov_b32_e32 v26, v67
	v_mov_b32_e32 v27, v67
	;; [unrolled: 1-line block ×31, first 2 shown]
	s_barrier
.LBB237_6:                              ; =>This Inner Loop Header: Depth=1
	s_add_i32 s65, s66, 1
	s_cmp_lt_i32 s65, s50
	s_mov_b64 s[28:29], 0
	s_cselect_b64 s[44:45], -1, 0
	s_cmp_ge_i32 s65, s50
	s_mov_b64 s[24:25], 0
	s_cbranch_scc1 .LBB237_8
; %bb.7:                                ;   in Loop: Header=BB237_6 Depth=1
	s_add_i32 s0, s59, 64
	s_add_u32 s0, s40, s0
	s_addc_u32 s1, s41, 0
	s_lshl_b64 s[0:1], s[0:1], 8
	s_add_u32 s24, s6, s0
	s_addc_u32 s25, s7, s1
.LBB237_8:                              ;   in Loop: Header=BB237_6 Depth=1
	v_cndmask_b32_e64 v34, 0, 1, s[44:45]
	v_cmp_ne_u32_e64 s[0:1], 1, v34
	s_andn2_b64 vcc, exec, s[44:45]
	s_cbranch_vccnz .LBB237_10
; %bb.9:                                ;   in Loop: Header=BB237_6 Depth=1
	s_add_i32 s28, s59, 64
	s_add_u32 s28, s62, s28
	s_addc_u32 s29, s63, 0
	s_mul_i32 s31, s28, s51
	s_mul_hi_u32 s44, s28, s55
	s_add_i32 s31, s44, s31
	s_mul_i32 s29, s29, s55
	s_add_i32 s31, s31, s29
	s_mul_i32 s28, s28, s55
	s_add_u32 s28, s28, s54
	s_addc_u32 s29, s31, s57
	s_lshl_b64 s[28:29], s[28:29], 8
	s_add_u32 s28, s4, s28
	s_addc_u32 s29, s5, s29
.LBB237_10:                             ;   in Loop: Header=BB237_6 Depth=1
	v_perm_b32 v35, v33, v32, s3
	v_perm_b32 v34, v31, v30, s3
	v_perm_b32 v37, v29, v28, s3
	v_perm_b32 v36, v27, v26, s3
	ds_write_b64 v88, v[34:35]
	ds_write_b64 v89, v[36:37]
	ds_write_b64 v91, v[34:35]
	ds_write_b64 v92, v[36:37]
	v_perm_b32 v35, v25, v24, s3
	v_perm_b32 v34, v23, v22, s3
	v_perm_b32 v37, v21, v20, s3
	v_perm_b32 v36, v19, v18, s3
	ds_write_b64 v90, v[34:35]
	ds_write_b64 v93, v[36:37]
	ds_write_b64 v94, v[34:35]
	ds_write_b64 v95, v[36:37]
	v_perm_b32 v35, v17, v16, s3
	v_perm_b32 v34, v15, v14, s3
	v_perm_b32 v37, v13, v12, s3
	v_perm_b32 v36, v11, v10, s3
	ds_write_b64 v96, v[34:35]
	ds_write_b64 v97, v[36:37]
	ds_write_b64 v98, v[34:35]
	ds_write_b64 v99, v[36:37]
	v_perm_b32 v35, v5, v4, s3
	v_perm_b32 v34, v3, v2, s3
	v_perm_b32 v37, v9, v8, s3
	v_perm_b32 v36, v7, v6, s3
	ds_write_b64 v100, v[34:35]
	ds_write_b64 v101, v[36:37]
	ds_write_b64 v102, v[34:35]
	ds_write_b64 v103, v[36:37]
	s_waitcnt lgkmcnt(0)
	s_barrier
	ds_read_b64 v[38:39], v104 offset:49152
	ds_read2_b64 v[34:37], v105 offset1:16
	ds_read_b64 v[50:51], v107 offset:6144
	ds_read_b64 v[52:53], v105 offset:6144
	s_waitcnt lgkmcnt(2)
	v_mfma_f32_16x16x16_bf16 a[0:3], v[38:39], v[34:35], 0
	ds_read_b64 v[54:55], v106 offset:49152
	ds_read2st64_b64 v[42:45], v108 offset0:4 offset1:8
	ds_read2st64_b64 v[46:49], v109 offset0:4 offset1:8
	v_mfma_f32_16x16x16_bf16 a[4:7], v[38:39], v[36:37], 0
	ds_read2_b64 v[34:37], v105 offset0:32 offset1:48
	s_add_i32 s31, s59, 63
	s_mul_i32 s44, s31, s37
	s_waitcnt lgkmcnt(0)
	v_mfma_f32_16x16x16_bf16 a[8:11], v[38:39], v[34:35], 0
	s_mul_hi_u32 s45, s31, s36
	s_add_i32 s45, s45, s44
	s_mul_i32 s44, s31, s36
	v_mfma_f32_16x16x16_bf16 a[12:15], v[38:39], v[36:37], 0
	ds_read2st64_b64 v[34:37], v105 offset0:4 offset1:8
	ds_read2st64_b64 v[38:41], v107 offset0:4 offset1:8
	s_lshl_b64 s[44:45], s[44:45], 2
	s_waitcnt lgkmcnt(1)
	v_mfma_f32_16x16x16_bf16 a[0:3], v[54:55], v[34:35], a[0:3]
	s_add_u32 s44, s42, s44
	s_addc_u32 s45, s43, s45
	s_and_b64 vcc, exec, s[0:1]
	s_waitcnt lgkmcnt(0)
	v_mfma_f32_16x16x16_bf16 a[4:7], v[54:55], v[38:39], a[4:7]
	v_mov_b32_e32 v136, 0
	v_mov_b32_e32 v135, 0
	;; [unrolled: 1-line block ×3, first 2 shown]
	v_mfma_f32_16x16x16_bf16 a[8:11], v[54:55], v[42:43], a[8:11]
	ds_read_b64 v[34:35], v110 offset:49152
	ds_read_b64 v[38:39], v111 offset:49152
	;; [unrolled: 1-line block ×3, first 2 shown]
	v_mfma_f32_16x16x16_bf16 a[12:15], v[54:55], v[46:47], a[12:15]
	v_mov_b32_e32 v46, 0
	v_mov_b32_e32 v47, 0
	s_waitcnt lgkmcnt(2)
	v_mfma_f32_16x16x16_bf16 a[0:3], v[34:35], v[36:37], a[0:3]
	v_mov_b32_e32 v36, 0
	v_mov_b32_e32 v37, 0
	v_mfma_f32_16x16x16_bf16 a[4:7], v[34:35], v[40:41], a[4:7]
	v_mov_b32_e32 v40, 0
	v_mov_b32_e32 v41, 0
	;; [unrolled: 3-line block ×3, first 2 shown]
	v_mfma_f32_16x16x16_bf16 a[12:15], v[34:35], v[48:49], a[12:15]
	ds_read_b64 v[34:35], v108 offset:6144
	v_mov_b32_e32 v48, 0
	v_mov_b32_e32 v49, 0
	s_waitcnt lgkmcnt(2)
	v_mfma_f32_16x16x16_bf16 a[0:3], v[38:39], v[52:53], a[0:3]
	v_mfma_f32_16x16x16_bf16 a[4:7], v[38:39], v[50:51], a[4:7]
	s_waitcnt lgkmcnt(0)
	v_mfma_f32_16x16x16_bf16 a[8:11], v[38:39], v[34:35], a[8:11]
	v_mov_b32_e32 v34, 0
	v_mov_b32_e32 v35, 0
	v_mfma_f32_16x16x16_bf16 a[12:15], v[38:39], v[42:43], a[12:15]
	v_mov_b32_e32 v38, 0
	v_mov_b32_e32 v39, 0
	;; [unrolled: 1-line block ×4, first 2 shown]
	s_cbranch_vccnz .LBB237_12
; %bb.11:                               ;   in Loop: Header=BB237_6 Depth=1
	s_and_b32 s25, s25, 0xffff
	buffer_load_dwordx4 v[46:49], v84, s[24:27], 0 offen
	buffer_load_dwordx4 v[42:45], v84, s[24:27], s58 offen
	buffer_load_dwordx4 v[38:41], v85, s[24:27], 0 offen
	buffer_load_dwordx4 v[34:37], v85, s[24:27], s58 offen
	v_mov_b32_e32 v135, v86
	v_mov_b32_e32 v134, v87
.LBB237_12:                             ;   in Loop: Header=BB237_6 Depth=1
	ds_read_b64 v[142:143], v104 offset:57344
	ds_read2_b64 v[50:53], v112 offset1:16
	ds_read_b64 v[144:145], v106 offset:57344
	ds_read_b64 v[146:147], v110 offset:57344
	;; [unrolled: 1-line block ×3, first 2 shown]
	v_add_u32_e32 v137, s59, v128
	s_waitcnt lgkmcnt(3)
	v_mfma_f32_16x16x16_bf16 a[0:3], v[142:143], v[50:51], a[0:3]
	v_mfma_f32_16x16x16_bf16 a[4:7], v[142:143], v[52:53], a[4:7]
	ds_read2_b64 v[50:53], v112 offset0:32 offset1:48
	ds_read2st64_b64 v[54:57], v112 offset0:4 offset1:8
	ds_read2st64_b64 v[58:61], v113 offset0:4 offset1:8
	;; [unrolled: 1-line block ×4, first 2 shown]
	s_waitcnt lgkmcnt(4)
	v_mfma_f32_16x16x16_bf16 a[8:11], v[142:143], v[50:51], a[8:11]
	v_ashrrev_i32_e32 v50, 31, v137
	v_mfma_f32_16x16x16_bf16 a[12:15], v[142:143], v[52:53], a[12:15]
	v_mul_lo_u32 v52, v50, s36
	v_mul_lo_u32 v53, v137, s37
	v_mad_u64_u32 v[50:51], s[24:25], v137, s36, 0
	v_add3_u32 v51, v51, v53, v52
	v_add_u32_e32 v52, 1, v137
	v_ashrrev_i32_e32 v53, 31, v52
	s_waitcnt lgkmcnt(3)
	v_mfma_f32_16x16x16_bf16 a[0:3], v[144:145], v[54:55], a[0:3]
	v_mul_lo_u32 v54, v53, s36
	v_mul_lo_u32 v55, v52, s37
	v_mad_u64_u32 v[52:53], s[24:25], v52, s36, 0
	v_add3_u32 v53, v53, v55, v54
	v_add_u32_e32 v54, 2, v137
	v_ashrrev_i32_e32 v55, 31, v54
	s_waitcnt lgkmcnt(2)
	v_mfma_f32_16x16x16_bf16 a[4:7], v[144:145], v[58:59], a[4:7]
	v_mul_lo_u32 v58, v55, s36
	v_mul_lo_u32 v59, v54, s37
	v_mad_u64_u32 v[54:55], s[24:25], v54, s36, 0
	v_add3_u32 v55, v55, v59, v58
	v_add_u32_e32 v58, 3, v137
	v_lshl_add_u64 v[50:51], v[50:51], 2, s[42:43]
	v_lshl_add_u64 v[52:53], v[52:53], 2, s[42:43]
	v_ashrrev_i32_e32 v59, 31, v58
	s_waitcnt lgkmcnt(1)
	v_mfma_f32_16x16x16_bf16 a[8:11], v[144:145], v[62:63], a[8:11]
	v_mul_lo_u32 v59, v59, s36
	global_load_dword v62, v[50:51], off
	global_load_dword v137, v[52:53], off
	v_mul_lo_u32 v63, v58, s37
	v_mad_u64_u32 v[50:51], s[24:25], v58, s36, 0
	v_add3_u32 v51, v51, v63, v59
	s_add_u32 s24, s40, s59
	v_lshl_add_u64 v[54:55], v[54:55], 2, s[42:43]
	v_lshl_add_u64 v[50:51], v[50:51], 2, s[42:43]
	s_addc_u32 s25, s41, 0
	s_waitcnt lgkmcnt(0)
	v_mfma_f32_16x16x16_bf16 a[12:15], v[144:145], v[138:139], a[12:15]
	global_load_dword v63, v[54:55], off
	global_load_dword v138, v[50:51], off
	s_lshl_b64 s[24:25], s[24:25], 8
	v_lshl_add_u64 v[50:51], v[68:69], 0, s[24:25]
	v_lshl_add_u64 v[50:51], v[50:51], 0, v[66:67]
	global_load_ushort v139, v[50:51], off offset:256
	global_load_ushort v142, v[50:51], off
	global_load_ushort v143, v[50:51], off offset:768
	global_load_ushort v144, v[50:51], off offset:512
	;; [unrolled: 1-line block ×6, first 2 shown]
	s_load_dword s44, s[44:45], 0x0
	v_mfma_f32_16x16x16_bf16 a[12:15], v[146:147], v[140:141], a[12:15]
	global_load_ushort v140, v[50:51], off offset:320
	global_load_ushort v141, v[50:51], off offset:64
	s_and_b64 vcc, exec, s[0:1]
	v_mfma_f32_16x16x16_bf16 a[0:3], v[146:147], v[56:57], a[0:3]
	ds_read_b64 v[52:53], v112 offset:6144
	ds_read_b64 v[54:55], v113 offset:6144
	;; [unrolled: 1-line block ×4, first 2 shown]
	v_mfma_f32_16x16x16_bf16 a[4:7], v[146:147], v[60:61], a[4:7]
	s_waitcnt vmcnt(11) lgkmcnt(0)
	v_sub_f32_e32 v60, s44, v63
	v_mfma_f32_16x16x16_bf16 a[8:11], v[146:147], v[64:65], a[8:11]
	global_load_ushort v146, v[50:51], off offset:832
	global_load_ushort v147, v[50:51], off offset:576
	;; [unrolled: 1-line block ×6, first 2 shown]
	v_mfma_f32_16x16x16_bf16 a[0:3], v[148:149], v[52:53], a[0:3]
	s_waitcnt vmcnt(16)
	v_sub_f32_e32 v61, s44, v138
	v_mul_f32_e32 v60, 0x3fb8aa3b, v60
	v_mul_f32_e32 v61, 0x3fb8aa3b, v61
	v_exp_f32_e32 v60, v60
	v_exp_f32_e32 v61, v61
	s_waitcnt vmcnt(15)
	v_lshlrev_b32_e32 v65, 16, v139
	s_waitcnt vmcnt(14)
	v_lshlrev_b32_e32 v64, 16, v142
	v_accvgpr_read_b32 v53, a3
	v_accvgpr_read_b32 v52, a2
	v_mfma_f32_16x16x16_bf16 a[2:5], v[148:149], v[54:55], a[4:7]
	v_accvgpr_read_b32 v139, a1
	v_accvgpr_read_b32 v138, a0
	v_pk_add_f32 v[64:65], v[64:65], v[138:139] neg_lo:[0,1] neg_hi:[0,1]
	v_mfma_f32_16x16x16_bf16 a[6:9], v[148:149], v[56:57], a[8:11]
	s_waitcnt vmcnt(13)
	v_lshlrev_b32_e32 v139, 16, v143
	s_waitcnt vmcnt(12)
	v_lshlrev_b32_e32 v138, 16, v144
	v_pk_add_f32 v[52:53], v[138:139], v[52:53] neg_lo:[0,1] neg_hi:[0,1]
	v_accvgpr_read_b32 v139, a3
	v_accvgpr_read_b32 v138, a2
	;; [unrolled: 1-line block ×6, first 2 shown]
	v_mfma_f32_16x16x16_bf16 a[8:11], v[148:149], v[58:59], a[12:15]
	v_sub_f32_e32 v58, s44, v62
	v_sub_f32_e32 v59, s44, v137
	v_mul_f32_e32 v58, 0x3fb8aa3b, v58
	v_mul_f32_e32 v59, 0x3fb8aa3b, v59
	v_exp_f32_e32 v58, v58
	v_exp_f32_e32 v59, v59
	v_lshl_add_u64 v[62:63], v[70:71], 0, s[24:25]
	v_lshl_add_u64 v[62:63], v[62:63], 0, v[66:67]
	global_store_short_d16_hi v[62:63], v64, off
	global_store_short_d16_hi v[62:63], v65, off offset:256
	global_store_short_d16_hi v[62:63], v52, off offset:512
	;; [unrolled: 1-line block ×3, first 2 shown]
	v_pk_mul_f32 v[64:65], v[58:59], v[64:65]
	v_pk_mul_f32 v[52:53], v[60:61], v[52:53]
	v_accvgpr_read_b32 v57, a11
	v_perm_b32 v53, v53, v52, s3
	v_perm_b32 v52, v65, v64, s3
	s_waitcnt vmcnt(15)
	v_lshlrev_b32_e32 v65, 16, v145
	s_waitcnt vmcnt(14)
	v_lshlrev_b32_e32 v64, 16, v150
	v_pk_add_f32 v[64:65], v[64:65], v[138:139] neg_lo:[0,1] neg_hi:[0,1]
	s_waitcnt vmcnt(13)
	v_lshlrev_b32_e32 v139, 16, v151
	s_waitcnt vmcnt(12)
	v_lshlrev_b32_e32 v138, 16, v152
	v_pk_add_f32 v[54:55], v[138:139], v[54:55] neg_lo:[0,1] neg_hi:[0,1]
	global_store_short_d16_hi v[62:63], v64, off offset:32
	global_store_short_d16_hi v[62:63], v65, off offset:288
	;; [unrolled: 1-line block ×4, first 2 shown]
	v_pk_mul_f32 v[64:65], v[58:59], v[64:65]
	v_pk_mul_f32 v[54:55], v[60:61], v[54:55]
	v_accvgpr_read_b32 v56, a10
	v_perm_b32 v55, v55, v54, s3
	v_perm_b32 v54, v65, v64, s3
	ds_write2_b64 v89, v[52:53], v[54:55] offset1:16
	v_accvgpr_read_b32 v55, a7
	s_waitcnt vmcnt(15)
	v_lshlrev_b32_e32 v53, 16, v140
	s_waitcnt vmcnt(14)
	v_lshlrev_b32_e32 v52, 16, v141
	v_accvgpr_read_b32 v54, a6
	v_pk_add_f32 v[52:53], v[52:53], v[54:55] neg_lo:[0,1] neg_hi:[0,1]
	global_store_short_d16_hi v[62:63], v52, off offset:64
	global_store_short_d16_hi v[62:63], v53, off offset:320
	v_pk_mul_f32 v[52:53], v[58:59], v[52:53]
	v_mov_b32_e32 v137, 0
	v_perm_b32 v52, v53, v52, s3
	v_mov_b32_e32 v64, 0
	v_mov_b32_e32 v65, 0
	s_waitcnt vmcnt(15)
	v_lshlrev_b32_e32 v55, 16, v146
	s_waitcnt vmcnt(14)
	v_lshlrev_b32_e32 v54, 16, v147
	v_pk_add_f32 v[50:51], v[54:55], v[50:51] neg_lo:[0,1] neg_hi:[0,1]
	global_store_short_d16_hi v[62:63], v50, off offset:576
	global_store_short_d16_hi v[62:63], v51, off offset:832
	v_pk_mul_f32 v[50:51], v[60:61], v[50:51]
	v_accvgpr_read_b32 v55, a9
	v_perm_b32 v53, v51, v50, s3
	s_waitcnt vmcnt(15)
	v_lshlrev_b32_e32 v51, 16, v153
	s_waitcnt vmcnt(14)
	v_lshlrev_b32_e32 v50, 16, v154
	v_accvgpr_read_b32 v54, a8
	v_pk_add_f32 v[50:51], v[50:51], v[54:55] neg_lo:[0,1] neg_hi:[0,1]
	s_waitcnt vmcnt(13)
	v_lshlrev_b32_e32 v55, 16, v155
	s_waitcnt vmcnt(12)
	v_lshlrev_b32_e32 v54, 16, v156
	v_pk_add_f32 v[54:55], v[54:55], v[56:57] neg_lo:[0,1] neg_hi:[0,1]
	global_store_short_d16_hi v[62:63], v50, off offset:96
	global_store_short_d16_hi v[62:63], v51, off offset:352
	;; [unrolled: 1-line block ×4, first 2 shown]
	v_pk_mul_f32 v[50:51], v[58:59], v[50:51]
	v_pk_mul_f32 v[54:55], v[60:61], v[54:55]
	v_mov_b32_e32 v56, 0
	v_perm_b32 v55, v55, v54, s3
	v_perm_b32 v54, v51, v50, s3
	ds_write2_b64 v89, v[52:53], v[54:55] offset0:32 offset1:48
	v_mov_b32_e32 v50, 0
	v_mov_b32_e32 v51, 0
	;; [unrolled: 1-line block ×13, first 2 shown]
	s_cbranch_vccnz .LBB237_14
; %bb.13:                               ;   in Loop: Header=BB237_6 Depth=1
	s_and_b32 s29, s29, 0xffff
	s_mov_b32 s31, s27
	buffer_load_dwordx4 v[62:65], v126, s[28:31], 0 offen
	buffer_load_dwordx4 v[54:57], v126, s[28:31], s58 offen
	;; [unrolled: 1-line block ×4, first 2 shown]
	v_mov_b32_e32 v136, v83
	v_mov_b32_e32 v137, v82
.LBB237_14:                             ;   in Loop: Header=BB237_6 Depth=1
	s_waitcnt lgkmcnt(0)
	s_barrier
	ds_read_b64 v[146:147], v129
	ds_read2_b64 v[138:141], v119 offset1:16
	ds_read_b64 v[162:163], v130
	ds_read_b64 v[164:165], v131
	;; [unrolled: 1-line block ×3, first 2 shown]
	ds_read2_b64 v[142:145], v119 offset0:32 offset1:48
	s_waitcnt lgkmcnt(4)
	v_mfma_f32_16x16x16_bf16 a[0:3], v[146:147], v[138:139], 0
	ds_read2st64_b64 v[150:153], v121 offset0:4 offset1:8
	ds_read2st64_b64 v[154:157], v122 offset0:4 offset1:8
	;; [unrolled: 1-line block ×3, first 2 shown]
	v_mfma_f32_16x16x16_bf16 a[4:7], v[146:147], v[140:141], 0
	s_add_i32 s24, s52, s66
	s_mul_hi_i32 s25, s24, s17
	s_mul_i32 s24, s24, s17
	s_waitcnt lgkmcnt(3)
	v_mfma_f32_16x16x16_bf16 a[8:11], v[146:147], v[142:143], 0
	s_add_u32 s24, s24, s33
	s_addc_u32 s25, s25, s56
	s_lshl_b64 s[24:25], s[24:25], 15
	v_mfma_f32_16x16x16_bf16 a[12:15], v[146:147], v[144:145], 0
	ds_read2st64_b64 v[146:149], v119 offset0:4 offset1:8
	s_waitcnt lgkmcnt(0)
	v_mfma_f32_16x16x16_bf16 a[0:3], v[162:163], v[146:147], a[0:3]
	v_mfma_f32_16x16x16_bf16 a[4:7], v[162:163], v[150:151], a[4:7]
	;; [unrolled: 1-line block ×8, first 2 shown]
	ds_read_b64 v[162:163], v119 offset:6144
	ds_read_b64 v[164:165], v120 offset:40960
	;; [unrolled: 1-line block ×8, first 2 shown]
	s_waitcnt lgkmcnt(5)
	v_mfma_f32_16x16x16_bf16 a[16:19], v[168:169], v[138:139], 0
	v_mfma_f32_16x16x16_bf16 a[20:23], v[168:169], v[140:141], 0
	ds_read2st64_b64 v[138:141], v116 offset1:8
	v_mfma_f32_16x16x16_bf16 a[24:27], v[168:169], v[142:143], 0
	v_mfma_f32_16x16x16_bf16 a[28:31], v[168:169], v[144:145], 0
	ds_read2st64_b64 v[142:145], v117 offset1:8
	v_mfma_f32_16x16x16_bf16 a[16:19], v[164:165], v[146:147], a[16:19]
	s_waitcnt lgkmcnt(1)
	v_mov_b32_e32 v146, v138
	v_mov_b32_e32 v147, v139
	v_mfma_f32_16x16x16_bf16 a[20:23], v[164:165], v[150:151], a[20:23]
	v_lshl_add_u64 v[150:151], v[72:73], 0, s[24:25]
	v_mfma_f32_16x16x16_bf16 a[24:27], v[164:165], v[154:155], a[24:27]
	v_mfma_f32_16x16x16_bf16 a[28:31], v[164:165], v[158:159], a[28:31]
	;; [unrolled: 1-line block ×3, first 2 shown]
	s_waitcnt lgkmcnt(0)
	v_mov_b32_e32 v148, v142
	v_mov_b32_e32 v149, v143
	;; [unrolled: 1-line block ×3, first 2 shown]
	v_mfma_f32_16x16x16_bf16 a[32:35], v[176:177], v[152:153], a[20:23]
	v_mov_b32_e32 v143, v141
	ds_read2st64_b64 v[138:141], v116 offset0:16 offset1:24
	global_store_dwordx4 v[150:151], v[146:149], off
	v_mfma_f32_16x16x16_bf16 a[24:27], v[176:177], v[156:157], a[24:27]
	ds_read2st64_b64 v[146:149], v117 offset0:16 offset1:24
	v_add_co_u32_e32 v152, vcc, s39, v150
	v_mfma_f32_16x16x16_bf16 a[28:31], v[176:177], v[160:161], a[28:31]
	s_nop 0
	v_addc_co_u32_e32 v153, vcc, 0, v151, vcc
	global_store_dwordx4 v[152:153], v[142:145], off offset:-4096
	v_mfma_f32_16x16x16_bf16 a[0:3], v[166:167], v[162:163], a[0:3]
	s_waitcnt lgkmcnt(1)
	v_mov_b32_e32 v142, v138
	v_add_co_u32_e32 v138, vcc, s64, v150
	v_mfma_f32_16x16x16_bf16 a[4:7], v[166:167], v[170:171], a[4:7]
	v_mov_b32_e32 v143, v139
	v_addc_co_u32_e32 v139, vcc, 0, v151, vcc
	v_mfma_f32_16x16x16_bf16 a[8:11], v[166:167], v[172:173], a[8:11]
	s_waitcnt lgkmcnt(0)
	v_mov_b32_e32 v144, v146
	v_mov_b32_e32 v145, v147
	;; [unrolled: 1-line block ×3, first 2 shown]
	v_mfma_f32_16x16x16_bf16 a[12:15], v[166:167], v[174:175], a[12:15]
	v_mov_b32_e32 v147, v141
	s_and_b64 vcc, exec, s[0:1]
	global_store_dwordx4 v[152:153], v[142:145], off
	v_mfma_f32_16x16x16_bf16 a[20:23], v[178:179], v[162:163], a[16:19]
	global_store_dwordx4 v[138:139], v[146:149], off
	v_mfma_f32_16x16x16_bf16 a[16:19], v[178:179], v[170:171], a[32:35]
	v_mfma_f32_16x16x16_bf16 a[24:27], v[178:179], v[172:173], a[24:27]
	;; [unrolled: 1-line block ×3, first 2 shown]
	s_cbranch_vccnz .LBB237_16
; %bb.15:                               ;   in Loop: Header=BB237_6 Depth=1
	v_lshrrev_b32_e32 v138, 3, v136
	v_and_b32_e32 v138, 6, v138
	v_xor_b32_e32 v137, v138, v137
	v_lshlrev_b32_e32 v137, 2, v137
	v_and_b32_e32 v136, 8, v136
	v_xor_b32_e32 v139, 0x440, v137
	v_cmp_eq_u32_e32 vcc, 0, v136
	s_barrier
	s_nop 0
	v_cndmask_b32_e32 v136, v139, v137, vcc
	v_lshl_or_b32 v136, v138, 10, v136
	s_waitcnt vmcnt(5)
	v_perm_b32 v137, v62, v58, s60
	s_waitcnt vmcnt(4)
	v_perm_b32 v138, v54, v50, s60
	ds_write2st64_b32 v136, v137, v138 offset0:128 offset1:160
	v_xor_b32_e32 v137, 8, v136
	v_perm_b32 v58, v62, v58, s61
	v_perm_b32 v50, v54, v50, s61
	v_add_u32_e32 v54, 0x80, v137
	ds_write2st64_b32 v54, v58, v50 offset0:128 offset1:160
	v_xor_b32_e32 v50, 16, v136
	v_perm_b32 v54, v63, v59, s60
	v_perm_b32 v58, v55, v51, s60
	ds_write2st64_b32 v50, v54, v58 offset0:129 offset1:161
	v_xor_b32_e32 v50, 24, v136
	v_perm_b32 v54, v63, v59, s61
	v_perm_b32 v51, v55, v51, s61
	v_add_u32_e32 v50, 0x80, v50
	ds_write2st64_b32 v50, v54, v51 offset0:129 offset1:161
	v_xor_b32_e32 v50, 32, v136
	v_perm_b32 v51, v64, v60, s60
	;; [unrolled: 9-line block ×3, first 2 shown]
	v_perm_b32 v52, v57, v53, s60
	ds_write2st64_b32 v50, v51, v52 offset0:131 offset1:163
	v_xor_b32_e32 v50, 56, v136
	v_perm_b32 v51, v65, v61, s61
	v_perm_b32 v52, v57, v53, s61
	v_add_u32_e32 v50, 0x80, v50
	ds_write2st64_b32 v50, v51, v52 offset0:131 offset1:163
	ds_write_b64 v135, v[46:47] offset:49152
	v_xor_b32_e32 v46, 8, v135
	ds_write_b64 v46, v[48:49] offset:49152
	ds_write_b64 v135, v[42:43] offset:57344
	;; [unrolled: 1-line block ×4, first 2 shown]
	v_xor_b32_e32 v38, 8, v134
	ds_write_b64 v38, v[40:41] offset:49152
	ds_write_b64 v134, v[34:35] offset:57344
	;; [unrolled: 1-line block ×3, first 2 shown]
.LBB237_16:                             ;   in Loop: Header=BB237_6 Depth=1
	s_waitcnt vmcnt(6)
	v_mul_f32_e32 v54, s44, v133
	v_exp_f32_e32 v134, v54
	v_accvgpr_read_b32 v37, a3
	v_accvgpr_read_b32 v41, a7
	;; [unrolled: 1-line block ×4, first 2 shown]
	s_waitcnt vmcnt(4)
	v_accvgpr_read_b32 v53, a23
	v_accvgpr_read_b32 v57, a19
	;; [unrolled: 1-line block ×28, first 2 shown]
	s_add_i32 s59, s59, 64
	v_pk_fma_f32 v[30:31], v[134:135], v[30:31], v[34:35] op_sel_hi:[0,1,1]
	v_pk_fma_f32 v[32:33], v[134:135], v[32:33], v[36:37] op_sel_hi:[0,1,1]
	;; [unrolled: 1-line block ×15, first 2 shown]
	s_cmp_eq_u32 s50, s65
	v_pk_fma_f32 v[8:9], v[134:135], v[8:9], v[64:65] op_sel_hi:[0,1,1]
	s_cbranch_scc1 .LBB237_18
; %bb.17:                               ;   in Loop: Header=BB237_6 Depth=1
	s_mov_b32 s66, s65
	s_branch .LBB237_6
.LBB237_18:
	s_lshl_b32 s44, s50, 6
	s_sub_i32 s45, s16, s44
	s_cmp_gt_i32 s45, 0
	v_or_b32_e32 v50, s2, v78
	s_cbranch_scc1 .LBB237_20
; %bb.19:
	s_ashr_i32 s0, s33, 31
	s_add_u32 s28, s47, s33
	s_addc_u32 s29, s53, s0
	v_or_b32_e32 v34, s2, v78
	s_cbranch_execz .LBB237_21
	s_branch .LBB237_101
.LBB237_20:
                                        ; implicit-def: $sgpr28_sgpr29
                                        ; implicit-def: $vgpr34
.LBB237_21:
	s_ashr_i32 s39, s49, 31
	s_ashr_i32 s3, s44, 31
	s_cmpk_lg_i32 s19, 0x80
	s_cselect_b64 s[40:41], -1, 0
	s_and_b64 vcc, exec, s[40:41]
	s_cbranch_vccz .LBB237_23
; %bb.22:
	s_mul_i32 s1, s49, s16
	s_mul_hi_i32 s0, s49, s16
	s_add_u32 s1, s1, s44
	s_addc_u32 s0, s0, s3
	s_mul_i32 s24, s1, s51
	s_mul_hi_u32 s25, s1, s18
	s_add_i32 s24, s25, s24
	s_mul_i32 s0, s0, s18
	s_add_i32 s24, s24, s0
	s_mul_i32 s1, s1, s18
	s_ashr_i32 s0, s54, 31
	s_add_u32 s42, s1, s54
	s_addc_u32 s43, s24, s0
	s_cbranch_execz .LBB237_24
	s_branch .LBB237_25
.LBB237_23:
                                        ; implicit-def: $sgpr42_sgpr43
.LBB237_24:
	s_mul_hi_i32 s0, s49, s18
	s_mul_i32 s49, s49, s18
	s_ashr_i32 s1, s54, 31
	s_add_u32 s18, s49, s54
	s_addc_u32 s0, s0, s1
	s_mul_i32 s1, s18, s48
	s_mul_hi_u32 s24, s18, s16
	s_add_i32 s1, s24, s1
	s_mul_i32 s0, s0, s16
	s_add_i32 s1, s1, s0
	s_mul_i32 s18, s18, s16
	s_add_u32 s42, s18, s44
	s_addc_u32 s43, s1, s3
.LBB237_25:
	s_add_i32 s24, s52, s50
	s_ashr_i32 s18, s33, 31
	s_add_u32 s28, s47, s33
	s_addc_u32 s29, s53, s18
	s_mul_i32 s0, s28, s48
	s_mul_hi_u32 s1, s28, s16
	s_add_i32 s0, s1, s0
	s_mul_i32 s1, s29, s16
	s_add_i32 s1, s0, s1
	s_mul_i32 s0, s28, s16
	s_add_u32 s0, s0, s44
	v_lshlrev_b32_e32 v38, 6, v1
	v_lshlrev_b32_e32 v58, 2, v78
	s_addc_u32 s1, s1, s3
	s_mov_b32 s3, 0x7060302
	v_or_b32_e32 v41, v38, v58
	v_xor_b32_e32 v39, v1, v58
	v_perm_b32 v35, v33, v32, s3
	v_perm_b32 v34, v31, v30, s3
	;; [unrolled: 1-line block ×4, first 2 shown]
	v_lshlrev_b32_e32 v41, 1, v41
	v_xor_b32_e32 v40, v81, v58
	ds_write2st64_b64 v41, v[34:35], v[36:37] offset0:32 offset1:48
	v_lshlrev_b32_e32 v39, 1, v39
	v_lshlrev_b32_e32 v41, 8, v78
	v_or_b32_e32 v42, v39, v41
	v_lshlrev_b32_e32 v40, 1, v40
	ds_write_b64 v42, v[34:35]
	v_or_b32_e32 v34, v40, v41
	v_or_b32_e32 v41, 16, v78
	v_lshlrev_b32_e32 v57, 2, v41
	v_or_b32_e32 v42, v38, v57
	ds_write_b64 v34, v[36:37]
	v_perm_b32 v35, v25, v24, s3
	v_perm_b32 v34, v23, v22, s3
	;; [unrolled: 1-line block ×4, first 2 shown]
	v_lshlrev_b32_e32 v42, 1, v42
	v_lshlrev_b32_e32 v41, 8, v41
	ds_write2st64_b64 v42, v[34:35], v[36:37] offset0:32 offset1:48
	v_or_b32_e32 v42, v39, v41
	ds_write_b64 v42, v[34:35]
	v_or_b32_e32 v34, v40, v41
	v_or_b32_e32 v41, 32, v78
	v_lshlrev_b32_e32 v56, 2, v41
	v_or_b32_e32 v42, v38, v56
	ds_write_b64 v34, v[36:37]
	v_perm_b32 v35, v17, v16, s3
	v_perm_b32 v34, v15, v14, s3
	;; [unrolled: 1-line block ×4, first 2 shown]
	v_lshlrev_b32_e32 v42, 1, v42
	v_lshlrev_b32_e32 v41, 8, v41
	s_lshl_b64 s[30:31], s[0:1], 8
	ds_write2st64_b64 v42, v[34:35], v[36:37] offset0:32 offset1:48
	v_or_b32_e32 v42, v39, v41
	s_add_u32 s0, s6, s30
	ds_write_b64 v42, v[34:35]
	v_or_b32_e32 v34, v40, v41
	s_addc_u32 s1, s7, s31
	ds_write_b64 v34, v[36:37]
	v_perm_b32 v35, v5, v4, s3
	v_perm_b32 v34, v3, v2, s3
	;; [unrolled: 1-line block ×4, first 2 shown]
	v_or_b32_e32 v41, 48, v78
	s_mul_hi_i32 s3, s24, s17
	s_mul_i32 s24, s24, s17
	v_lshlrev_b32_e32 v53, 2, v41
	s_add_u32 s6, s24, s33
	v_or_b32_e32 v38, v38, v53
	s_addc_u32 s7, s3, s18
	v_lshlrev_b32_e32 v38, 1, v38
	s_ashr_i32 s3, s2, 31
	s_lshl_b64 s[6:7], s[6:7], 15
	ds_write2st64_b64 v38, v[34:35], v[36:37] offset0:32 offset1:48
	v_lshlrev_b32_e32 v38, 8, v41
	s_waitcnt lgkmcnt(0)
	s_add_u32 s6, s12, s6
	v_or_b32_e32 v39, v39, v38
	s_addc_u32 s7, s13, s7
	s_lshl_b64 s[2:3], s[2:3], 8
	ds_write_b64 v39, v[34:35]
	v_or_b32_e32 v34, v40, v38
	s_add_u32 s2, s6, s2
	v_lshlrev_b32_e32 v35, 1, v78
	ds_write_b64 v34, v[36:37]
	v_lshrrev_b32_e32 v34, 4, v0
	s_addc_u32 s3, s7, s3
	v_or_b32_e32 v36, 1, v35
	v_lshlrev_b32_e32 v42, 4, v78
	v_mov_b32_e32 v43, 0
	v_xor_b32_e32 v35, v34, v35
	v_xor_b32_e32 v38, v36, v34
	v_lshl_add_u64 v[44:45], s[2:3], 0, v[42:43]
	v_lshlrev_b32_e32 v42, 8, v34
	v_lshl_or_b32 v48, v35, 3, v42
	v_lshl_or_b32 v49, v38, 3, v42
	s_waitcnt lgkmcnt(0)
	s_barrier
	ds_read2st64_b64 v[34:37], v48 offset1:8
	ds_read2st64_b64 v[38:41], v49 offset1:8
	v_lshl_add_u64 v[46:47], v[44:45], 0, v[42:43]
	s_movk_i32 s2, 0x2000
	s_cmp_lg_u32 s45, 64
	s_waitcnt lgkmcnt(1)
	v_mov_b32_e32 v42, v34
	v_mov_b32_e32 v43, v35
	s_waitcnt lgkmcnt(0)
	v_mov_b32_e32 v44, v38
	v_mov_b32_e32 v45, v39
	global_store_dwordx4 v[46:47], v[42:45], off
	v_mov_b32_e32 v38, v36
	v_mov_b32_e32 v39, v37
	ds_read2st64_b64 v[34:37], v48 offset0:16 offset1:24
	ds_read2st64_b64 v[42:45], v49 offset0:16 offset1:24
	v_add_co_u32_e32 v48, vcc, s2, v46
	s_cselect_b64 s[6:7], -1, 0
	s_nop 0
	v_addc_co_u32_e32 v49, vcc, 0, v47, vcc
	global_store_dwordx4 v[48:49], v[38:41], off offset:-4096
	v_lshl_or_b32 v51, v74, 3, v80
	s_mov_b32 s24, 0
	s_waitcnt lgkmcnt(1)
	v_mov_b32_e32 v38, v34
	v_add_co_u32_e32 v34, vcc, 0x3000, v46
	v_mov_b32_e32 v39, v35
	s_nop 0
	v_addc_co_u32_e32 v35, vcc, 0, v47, vcc
	s_waitcnt lgkmcnt(0)
	v_mov_b32_e32 v40, v42
	v_mov_b32_e32 v41, v43
	;; [unrolled: 1-line block ×4, first 2 shown]
	v_or_b32_e32 v54, 32, v51
	v_and_b32_e32 v52, 56, v79
	s_and_b64 vcc, exec, s[6:7]
	global_store_dwordx4 v[48:49], v[38:41], off
	global_store_dwordx4 v[34:35], v[42:45], off
	s_cbranch_vccz .LBB237_31
; %bb.26:
	s_mov_b32 s26, s24
	s_mov_b32 s27, s24
	;; [unrolled: 1-line block ×3, first 2 shown]
	v_mov_b64_e32 v[40:41], s[26:27]
	v_mov_b64_e32 v[38:39], s[24:25]
	;; [unrolled: 1-line block ×3, first 2 shown]
	v_cmp_gt_i32_e32 vcc, s45, v51
	v_mov_b64_e32 v[36:37], v[40:41]
	s_and_saveexec_b64 s[2:3], vcc
	s_cbranch_execz .LBB237_28
; %bb.27:
	v_lshlrev_b32_e32 v34, 8, v51
	v_mov_b32_e32 v35, 0
	v_lshl_add_u64 v[36:37], s[0:1], 0, v[34:35]
	v_lshlrev_b32_e32 v34, 1, v52
	v_lshl_add_u64 v[42:43], v[36:37], 0, v[34:35]
	global_load_dwordx4 v[38:41], v[42:43], off
	global_load_dwordx4 v[34:37], v[42:43], off offset:128
.LBB237_28:
	s_or_b64 exec, exec, s[2:3]
	s_mov_b32 s26, s24
	s_mov_b32 s27, s24
	;; [unrolled: 1-line block ×3, first 2 shown]
	v_mov_b64_e32 v[48:49], s[26:27]
	v_mov_b64_e32 v[46:47], s[24:25]
	;; [unrolled: 1-line block ×3, first 2 shown]
	v_cmp_gt_i32_e32 vcc, s45, v54
	v_lshlrev_b32_e32 v55, 7, v54
	v_mov_b64_e32 v[44:45], v[48:49]
	s_and_saveexec_b64 s[2:3], vcc
	s_cbranch_execz .LBB237_30
; %bb.29:
	v_lshlrev_b32_e32 v42, 1, v55
	v_mov_b32_e32 v43, 0
	v_lshl_add_u64 v[44:45], s[0:1], 0, v[42:43]
	v_lshlrev_b32_e32 v42, 1, v52
	v_lshl_add_u64 v[60:61], v[44:45], 0, v[42:43]
	global_load_dwordx4 v[46:49], v[60:61], off
	global_load_dwordx4 v[42:45], v[60:61], off offset:128
.LBB237_30:
	s_or_b64 exec, exec, s[2:3]
	v_lshrrev_b32_e32 v59, 3, v52
	v_lshlrev_b32_e32 v60, 3, v51
	v_or_b32_e32 v59, v60, v59
	v_lshlrev_b32_e32 v59, 4, v59
	v_and_b32_e32 v60, 0x78, v60
	v_xor_b32_e32 v59, v59, v60
	s_branch .LBB237_33
.LBB237_31:
                                        ; implicit-def: $vgpr59
                                        ; implicit-def: $vgpr55
                                        ; implicit-def: $vgpr38_vgpr39_vgpr40_vgpr41
                                        ; implicit-def: $vgpr34_vgpr35_vgpr36_vgpr37
                                        ; implicit-def: $vgpr46_vgpr47_vgpr48_vgpr49
                                        ; implicit-def: $vgpr42_vgpr43_vgpr44_vgpr45
	s_cbranch_execz .LBB237_33
; %bb.32:
	s_waitcnt vmcnt(0)
	v_lshlrev_b32_e32 v34, 1, v52
	v_lshl_or_b32 v55, v51, 8, v34
	s_and_b32 s1, s1, 0xffff
	s_mov_b32 s3, 0x20000
	s_movk_i32 s2, 0x4000
	v_lshl_or_b32 v59, v54, 8, v34
	s_movk_i32 s12, 0x80
	buffer_load_dwordx4 v[38:41], v55, s[0:3], 0 offen
	buffer_load_dwordx4 v[34:37], v55, s[0:3], s12 offen
	buffer_load_dwordx4 v[46:49], v59, s[0:3], 0 offen
	buffer_load_dwordx4 v[42:45], v59, s[0:3], s12 offen
	v_lshrrev_b32_e32 v55, 3, v52
	v_lshlrev_b32_e32 v59, 3, v51
	v_or_b32_e32 v55, v59, v55
	v_lshlrev_b32_e32 v55, 4, v55
	v_and_b32_e32 v59, 0x78, v59
	v_xor_b32_e32 v59, v55, v59
	v_lshlrev_b32_e32 v55, 7, v54
.LBB237_33:
	s_movk_i32 s0, 0x1000
	v_and_or_b32 v54, v55, s0, v59
	s_waitcnt vmcnt(1)
	ds_write_b64 v59, v[38:39] offset:49152
	v_xor_b32_e32 v38, 8, v59
	ds_write_b64 v38, v[40:41] offset:49152
	s_waitcnt vmcnt(0)
	ds_write_b64 v59, v[34:35] offset:57344
	ds_write_b64 v38, v[36:37] offset:57344
	;; [unrolled: 1-line block ×3, first 2 shown]
	v_xor_b32_e32 v34, 8, v54
	ds_write_b64 v34, v[48:49] offset:49152
	ds_write_b64 v54, v[42:43] offset:57344
	;; [unrolled: 1-line block ×3, first 2 shown]
	v_or_b32_e32 v34, v75, v78
	v_lshlrev_b32_e32 v34, 3, v34
	v_lshrrev_b32_e32 v35, 5, v76
	s_movk_i32 s0, 0xf8
	v_and_or_b32 v35, v34, s0, v35
	v_lshlrev_b32_e32 v39, 4, v35
	v_lshlrev_b32_e32 v59, 11, v74
	v_and_b32_e32 v40, 0x78, v34
	v_or_b32_e32 v42, 32, v39
	v_and_b32_e32 v38, 0x1000, v59
	v_lshrrev_b32_e32 v35, 1, v76
	v_xor_b32_e32 v42, v42, v40
	v_xor_b32_e32 v34, v39, v40
	v_and_b32_e32 v41, 8, v35
	v_or_b32_e32 v42, v42, v38
	v_or_b32_e32 v34, v34, v38
	v_xor_b32_e32 v65, v42, v41
	v_or_b32_e32 v42, 64, v39
	v_xor_b32_e32 v64, v34, v41
	v_xor_b32_e32 v42, v42, v40
	s_waitcnt lgkmcnt(0)
	s_barrier
	v_or_b32_e32 v45, v42, v38
	ds_read_b64 v[42:43], v64 offset:49152
	v_lshl_or_b32 v46, v77, 8, v58
	v_lshlrev_b32_e32 v60, 1, v46
	v_add_u32_e32 v44, 0x4000, v60
	ds_read2_b64 v[34:37], v44 offset1:16
	v_or_b32_e32 v39, 0x60, v39
	v_xor_b32_e32 v39, v39, v40
	v_or_b32_e32 v38, v39, v38
	v_xor_b32_e32 v66, v45, v41
	v_xor_b32_e32 v67, v38, v41
	ds_read_b64 v[54:55], v65 offset:49152
	ds_read_b64 v[68:69], v66 offset:49152
	;; [unrolled: 1-line block ×3, first 2 shown]
	s_waitcnt lgkmcnt(3)
	v_mfma_f32_16x16x16_bf16 a[0:3], v[42:43], v[34:35], 0
	ds_read2_b64 v[38:41], v44 offset0:32 offset1:48
	s_lshl_b64 s[0:1], s[42:43], 8
	s_add_u32 s4, s4, s0
	v_mfma_f32_16x16x16_bf16 a[4:7], v[42:43], v[36:37], 0
	ds_read2st64_b64 v[34:37], v60 offset0:36 offset1:40
	s_addc_u32 s5, s5, s1
	s_add_i32 s2, s16, -1
	s_waitcnt lgkmcnt(1)
	v_mfma_f32_16x16x16_bf16 a[8:11], v[42:43], v[38:39], 0
	v_or_b32_e32 v38, 64, v46
	v_lshlrev_b32_e32 v61, 1, v38
	s_add_i32 s0, s46, s21
	s_waitcnt lgkmcnt(0)
	v_mfma_f32_16x16x16_bf16 a[0:3], v[54:55], v[34:35], a[0:3]
	v_or_b32_e32 v34, 0x80, v46
	v_lshlrev_b32_e32 v62, 1, v34
	v_or_b32_e32 v34, 0xc0, v46
	v_mfma_f32_16x16x16_bf16 a[12:15], v[42:43], v[40:41], 0
	ds_read2st64_b64 v[38:41], v61 offset0:36 offset1:40
	v_lshlrev_b32_e32 v63, 1, v34
	ds_read2st64_b64 v[42:45], v62 offset0:36 offset1:40
	ds_read2st64_b64 v[46:49], v63 offset0:36 offset1:40
	s_mul_i32 s39, s39, s20
	s_add_i32 s39, s0, s39
	s_mul_i32 s0, s33, s23
	s_mul_hi_u32 s1, s33, s22
	s_ashr_i32 s3, s2, 31
	s_mul_i32 s12, s2, s37
	s_mul_hi_u32 s13, s2, s36
	s_waitcnt lgkmcnt(2)
	v_mfma_f32_16x16x16_bf16 a[4:7], v[54:55], v[38:39], a[4:7]
	s_add_i32 s0, s1, s0
	s_mul_i32 s1, s18, s22
	s_add_i32 s12, s13, s12
	s_mul_i32 s3, s3, s36
	s_waitcnt lgkmcnt(1)
	v_mfma_f32_16x16x16_bf16 a[8:11], v[54:55], v[42:43], a[8:11]
	s_add_i32 s1, s0, s1
	s_add_i32 s3, s12, s3
	s_lshl_b64 s[12:13], s[38:39], 2
	s_waitcnt lgkmcnt(0)
	v_mfma_f32_16x16x16_bf16 a[12:15], v[54:55], v[46:47], a[12:15]
	s_mul_i32 s0, s33, s22
	s_add_u32 s10, s10, s12
	s_addc_u32 s11, s11, s13
	s_lshl_b64 s[0:1], s[0:1], 2
	v_mfma_f32_16x16x16_bf16 a[0:3], v[68:69], v[36:37], a[0:3]
	s_mul_i32 s2, s2, s36
	ds_read_b64 v[34:35], v60 offset:22528
	s_add_u32 s10, s10, s0
	v_mfma_f32_16x16x16_bf16 a[4:7], v[68:69], v[40:41], a[4:7]
	ds_read_b64 v[36:37], v61 offset:22528
	ds_read_b64 v[38:39], v62 offset:22528
	;; [unrolled: 1-line block ×3, first 2 shown]
	s_addc_u32 s11, s11, s1
	s_lshl_b64 s[0:1], s[2:3], 2
	v_mfma_f32_16x16x16_bf16 a[8:11], v[68:69], v[44:45], a[8:11]
	s_add_u32 s0, s10, s0
	s_addc_u32 s1, s11, s1
	s_load_dword s12, s[0:1], 0x0
	v_mfma_f32_16x16x16_bf16 a[12:15], v[68:69], v[48:49], a[12:15]
	s_and_b64 vcc, exec, s[40:41]
	s_waitcnt lgkmcnt(0)
	v_mfma_f32_16x16x16_bf16 a[0:3], v[70:71], v[34:35], a[0:3]
	v_mfma_f32_16x16x16_bf16 a[4:7], v[70:71], v[36:37], a[4:7]
	;; [unrolled: 1-line block ×4, first 2 shown]
	s_cbranch_vccz .LBB237_44
; %bb.34:
	v_lshlrev_b32_e32 v54, 1, v51
	s_and_b64 vcc, exec, s[6:7]
	s_cbranch_vccz .LBB237_45
; %bb.35:
	v_cmp_gt_i32_e32 vcc, s45, v54
	v_mov_b32_e32 v38, 0
	v_mov_b32_e32 v34, 0
	;; [unrolled: 1-line block ×5, first 2 shown]
	s_and_saveexec_b64 s[0:1], vcc
	s_cbranch_execz .LBB237_37
; %bb.36:
	v_mad_i64_i32 v[34:35], s[2:3], s19, v54, 0
	v_lshl_add_u64 v[34:35], v[34:35], 1, s[4:5]
	v_lshlrev_b32_e32 v36, 1, v52
	v_mov_b32_e32 v37, 0
	v_lshl_add_u64 v[34:35], v[34:35], 0, v[36:37]
	global_load_dwordx4 v[34:37], v[34:35], off
.LBB237_37:
	s_or_b64 exec, exec, s[0:1]
	v_or_b32_e32 v55, 1, v54
	v_cmp_gt_i32_e64 s[0:1], s45, v55
	v_mov_b32_e32 v39, 0
	v_mov_b32_e32 v40, 0
	;; [unrolled: 1-line block ×3, first 2 shown]
	s_and_saveexec_b64 s[2:3], s[0:1]
	s_cbranch_execz .LBB237_39
; %bb.38:
	v_mad_i64_i32 v[38:39], s[16:17], s19, v55, 0
	v_lshl_add_u64 v[38:39], v[38:39], 1, s[4:5]
	v_lshlrev_b32_e32 v40, 1, v52
	v_mov_b32_e32 v41, 0
	v_lshl_add_u64 v[38:39], v[38:39], 0, v[40:41]
	global_load_dwordx4 v[38:41], v[38:39], off
.LBB237_39:
	s_or_b64 exec, exec, s[2:3]
	v_mov_b32_e32 v49, 0
	v_mov_b32_e32 v42, 0
	;; [unrolled: 1-line block ×5, first 2 shown]
	s_and_saveexec_b64 s[2:3], vcc
	s_cbranch_execz .LBB237_41
; %bb.40:
	v_mad_i64_i32 v[42:43], s[16:17], s19, v54, 0
	v_lshl_add_u64 v[42:43], v[42:43], 1, s[4:5]
	v_lshlrev_b32_e32 v44, 1, v52
	v_mov_b32_e32 v45, 0
	v_lshl_add_u64 v[42:43], v[42:43], 0, v[44:45]
	global_load_dwordx4 v[42:45], v[42:43], off offset:128
.LBB237_41:
	s_or_b64 exec, exec, s[2:3]
	v_mov_b32_e32 v48, 0
	v_mov_b32_e32 v47, 0
	;; [unrolled: 1-line block ×3, first 2 shown]
	s_and_saveexec_b64 s[2:3], s[0:1]
	s_cbranch_execz .LBB237_43
; %bb.42:
	v_mad_i64_i32 v[46:47], s[0:1], s19, v55, 0
	v_lshl_add_u64 v[46:47], v[46:47], 1, s[4:5]
	v_lshlrev_b32_e32 v48, 1, v52
	v_mov_b32_e32 v49, 0
	v_lshl_add_u64 v[46:47], v[46:47], 0, v[48:49]
	global_load_dwordx4 v[46:49], v[46:47], off offset:128
.LBB237_43:
	s_or_b64 exec, exec, s[2:3]
	s_branch .LBB237_47
.LBB237_44:
                                        ; implicit-def: $vgpr37
                                        ; implicit-def: $vgpr41
                                        ; implicit-def: $vgpr45
                                        ; implicit-def: $vgpr49
	v_lshrrev_b32_e32 v68, 2, v76
	s_branch .LBB237_48
.LBB237_45:
                                        ; implicit-def: $vgpr37
                                        ; implicit-def: $vgpr41
                                        ; implicit-def: $vgpr45
                                        ; implicit-def: $vgpr49
	s_cbranch_execz .LBB237_47
; %bb.46:
	s_waitcnt vmcnt(0)
	v_mad_u64_u32 v[34:35], s[0:1], v54, s19, v[52:53]
	v_lshlrev_b32_e32 v54, 1, v34
	s_lshl_b32 s2, s19, 7
	s_and_b32 s1, s5, 0xffff
	s_mov_b32 s3, 0x20000
	s_mov_b32 s0, s4
	v_add_lshl_u32 v55, v34, s19, 1
	s_movk_i32 s13, 0x80
	buffer_load_dwordx4 v[34:37], v54, s[0:3], 0 offen
	buffer_load_dwordx4 v[42:45], v54, s[0:3], s13 offen
	;; [unrolled: 1-line block ×4, first 2 shown]
.LBB237_47:
	v_lshrrev_b32_e32 v68, 2, v76
	s_cbranch_execnz .LBB237_60
.LBB237_48:
	s_and_b64 vcc, exec, s[6:7]
	s_cbranch_vccz .LBB237_58
; %bb.49:
	s_waitcnt vmcnt(0)
	v_lshlrev_b32_e32 v39, 1, v51
	v_cmp_gt_i32_e32 vcc, s45, v39
	v_mov_b32_e32 v38, 0
	v_lshlrev_b32_e32 v46, 9, v51
	v_mov_b32_e32 v34, 0
	v_mov_b32_e32 v35, 0
	v_mov_b32_e32 v36, 0
	v_mov_b32_e32 v37, 0
	s_and_saveexec_b64 s[0:1], vcc
	s_cbranch_execz .LBB237_51
; %bb.50:
	v_mov_b32_e32 v47, 0
	v_lshl_add_u64 v[34:35], s[4:5], 0, v[46:47]
	v_lshlrev_b32_e32 v36, 1, v52
	v_mov_b32_e32 v37, v47
	v_lshl_add_u64 v[34:35], v[34:35], 0, v[36:37]
	global_load_dwordx4 v[34:37], v[34:35], off
.LBB237_51:
	s_or_b64 exec, exec, s[0:1]
	v_or_b32_e32 v39, 1, v39
	v_cmp_gt_i32_e64 s[0:1], s45, v39
	v_lshlrev_b32_e32 v54, 8, v39
	v_mov_b32_e32 v39, 0
	v_mov_b32_e32 v40, 0
	;; [unrolled: 1-line block ×3, first 2 shown]
	s_and_saveexec_b64 s[2:3], s[0:1]
	s_cbranch_execz .LBB237_53
; %bb.52:
	v_mov_b32_e32 v55, 0
	v_lshl_add_u64 v[38:39], s[4:5], 0, v[54:55]
	v_lshlrev_b32_e32 v40, 1, v52
	v_mov_b32_e32 v41, v55
	v_lshl_add_u64 v[38:39], v[38:39], 0, v[40:41]
	global_load_dwordx4 v[38:41], v[38:39], off
.LBB237_53:
	s_or_b64 exec, exec, s[2:3]
	v_mov_b32_e32 v49, 0
	v_mov_b32_e32 v42, 0
	;; [unrolled: 1-line block ×5, first 2 shown]
	s_and_saveexec_b64 s[2:3], vcc
	s_cbranch_execz .LBB237_55
; %bb.54:
	v_mov_b32_e32 v47, 0
	v_lshl_add_u64 v[42:43], s[4:5], 0, v[46:47]
	v_lshlrev_b32_e32 v46, 1, v52
	v_lshl_add_u64 v[42:43], v[42:43], 0, v[46:47]
	global_load_dwordx4 v[42:45], v[42:43], off offset:128
.LBB237_55:
	s_or_b64 exec, exec, s[2:3]
	v_mov_b32_e32 v48, 0
	v_mov_b32_e32 v47, 0
	;; [unrolled: 1-line block ×3, first 2 shown]
	s_and_saveexec_b64 s[2:3], s[0:1]
	s_cbranch_execz .LBB237_57
; %bb.56:
	v_mov_b32_e32 v55, 0
	v_lshl_add_u64 v[46:47], s[4:5], 0, v[54:55]
	v_lshlrev_b32_e32 v54, 1, v52
	v_lshl_add_u64 v[46:47], v[46:47], 0, v[54:55]
	global_load_dwordx4 v[46:49], v[46:47], off offset:128
.LBB237_57:
	s_or_b64 exec, exec, s[2:3]
	s_branch .LBB237_60
.LBB237_58:
                                        ; implicit-def: $vgpr37
                                        ; implicit-def: $vgpr41
                                        ; implicit-def: $vgpr45
                                        ; implicit-def: $vgpr49
	s_cbranch_execz .LBB237_60
; %bb.59:
	s_waitcnt vmcnt(0)
	v_lshlrev_b32_e32 v34, 1, v52
	v_lshl_or_b32 v52, v51, 9, v34
	s_and_b32 s5, s5, 0xffff
	s_mov_b32 s7, 0x20000
	s_movk_i32 s6, 0x4000
	s_movk_i32 s0, 0x80
	buffer_load_dwordx4 v[34:37], v52, s[4:7], 0 offen
	buffer_load_dwordx4 v[38:41], v52, s[4:7], 0 offen offset:256
	buffer_load_dwordx4 v[42:45], v52, s[4:7], s0 offen
	buffer_load_dwordx4 v[46:49], v52, s[4:7], s0 offen offset:256
.LBB237_60:
	ds_read_b64 v[54:55], v64 offset:57344
	v_add_u32_e32 v52, 0x6000, v60
	ds_read2_b64 v[70:73], v52 offset1:16
	ds_read_b64 v[84:85], v65 offset:57344
	ds_read_b64 v[86:87], v66 offset:57344
	;; [unrolled: 1-line block ×3, first 2 shown]
	ds_read2_b64 v[64:67], v52 offset0:32 offset1:48
	v_and_b32_e32 v52, 6, v0
	v_xor_b32_e32 v51, v51, v52
	v_lshlrev_b32_e32 v51, 2, v51
	s_mov_b32 s0, 0x1000504
	s_mov_b32 s1, 0x3020706
	s_waitcnt lgkmcnt(4)
	v_mfma_f32_16x16x16_bf16 a[4:7], v[54:55], v[72:73], a[4:7]
	v_mfma_f32_16x16x16_bf16 a[0:3], v[54:55], v[70:71], a[0:3]
	ds_read2st64_b64 v[70:73], v60 offset0:52 offset1:56
	s_waitcnt lgkmcnt(1)
	v_mfma_f32_16x16x16_bf16 a[8:11], v[54:55], v[64:65], a[8:11]
	v_mfma_f32_16x16x16_bf16 a[12:15], v[54:55], v[66:67], a[12:15]
	ds_read2st64_b64 v[64:67], v61 offset0:52 offset1:56
	ds_read2st64_b64 v[76:79], v62 offset0:52 offset1:56
	;; [unrolled: 1-line block ×3, first 2 shown]
	s_waitcnt lgkmcnt(2)
	v_mfma_f32_16x16x16_bf16 a[4:7], v[84:85], v[64:65], a[4:7]
	v_and_b32_e32 v64, 1, v0
	v_xor_b32_e32 v65, 0x440, v51
	v_cmp_eq_u32_e32 vcc, 0, v64
	v_mfma_f32_16x16x16_bf16 a[0:3], v[84:85], v[70:71], a[0:3]
	s_waitcnt vmcnt(0)
	v_perm_b32 v64, v42, v46, s0
	v_cndmask_b32_e32 v51, v65, v51, vcc
	v_lshl_or_b32 v51, v52, 10, v51
	s_waitcnt lgkmcnt(1)
	v_mfma_f32_16x16x16_bf16 a[8:11], v[84:85], v[76:77], a[8:11]
	v_perm_b32 v52, v34, v38, s0
	ds_read_b64 v[54:55], v60 offset:30720
	ds_read_b64 v[70:71], v61 offset:30720
	;; [unrolled: 1-line block ×4, first 2 shown]
	ds_write2st64_b32 v51, v52, v64 offset0:128 offset1:160
	s_waitcnt lgkmcnt(5)
	v_mfma_f32_16x16x16_bf16 a[12:15], v[84:85], v[80:81], a[12:15]
	v_xor_b32_e32 v52, 8, v51
	v_perm_b32 v34, v34, v38, s1
	v_perm_b32 v38, v42, v46, s1
	v_add_u32_e32 v42, 0x80, v52
	ds_write2st64_b32 v42, v34, v38 offset0:128 offset1:160
	v_xor_b32_e32 v34, 16, v51
	v_perm_b32 v38, v35, v39, s0
	v_perm_b32 v42, v43, v47, s0
	v_mfma_f32_16x16x16_bf16 a[0:3], v[86:87], v[72:73], a[0:3]
	ds_write2st64_b32 v34, v38, v42 offset0:129 offset1:161
	v_xor_b32_e32 v34, 24, v51
	v_perm_b32 v35, v35, v39, s1
	v_mfma_f32_16x16x16_bf16 a[4:7], v[86:87], v[66:67], a[4:7]
	v_perm_b32 v38, v43, v47, s1
	v_add_u32_e32 v34, 0x80, v34
	ds_write2st64_b32 v34, v35, v38 offset0:129 offset1:161
	v_mfma_f32_16x16x16_bf16 a[16:19], v[86:87], v[78:79], a[8:11]
	v_xor_b32_e32 v34, 32, v51
	v_perm_b32 v35, v36, v40, s0
	v_perm_b32 v38, v44, v48, s0
	v_mfma_f32_16x16x16_bf16 a[20:23], v[86:87], v[82:83], a[12:15]
	ds_write2st64_b32 v34, v35, v38 offset0:130 offset1:162
	v_xor_b32_e32 v34, 40, v51
	v_perm_b32 v35, v36, v40, s1
	s_waitcnt lgkmcnt(8)
	v_mfma_f32_16x16x16_bf16 a[12:15], v[88:89], v[54:55], a[0:3]
	v_perm_b32 v36, v44, v48, s1
	v_add_u32_e32 v34, 0x80, v34
	ds_write2st64_b32 v34, v35, v36 offset0:130 offset1:162
	s_waitcnt lgkmcnt(8)
	v_mfma_f32_16x16x16_bf16 a[8:11], v[88:89], v[70:71], a[4:7]
	v_xor_b32_e32 v34, 48, v51
	v_perm_b32 v35, v37, v41, s0
	v_perm_b32 v36, v45, v49, s0
	s_waitcnt lgkmcnt(7)
	v_mfma_f32_16x16x16_bf16 a[4:7], v[88:89], v[90:91], a[16:19]
	ds_write2st64_b32 v34, v35, v36 offset0:131 offset1:163
	v_xor_b32_e32 v34, 56, v51
	v_and_or_b32 v65, v68, 12, v75
	s_waitcnt lgkmcnt(7)
	v_mfma_f32_16x16x16_bf16 a[0:3], v[88:89], v[92:93], a[20:23]
	v_perm_b32 v35, v37, v41, s1
	v_perm_b32 v36, v45, v49, s1
	v_add_u32_e32 v34, 0x80, v34
	v_cmp_gt_i32_e32 vcc, s45, v65
	v_mov_b32_e32 v54, 0
	v_mov_b32_e32 v55, 0
	ds_write2st64_b32 v34, v35, v36 offset0:131 offset1:163
	s_and_saveexec_b64 s[0:1], vcc
	s_cbranch_execz .LBB237_62
; %bb.61:
	v_add_u32_e32 v34, s44, v65
	v_ashrrev_i32_e32 v35, 31, v34
	v_mul_lo_u32 v36, v35, s36
	v_mul_lo_u32 v37, v34, s37
	v_mad_u64_u32 v[34:35], s[2:3], v34, s36, 0
	v_add3_u32 v35, v35, v37, v36
	v_lshl_add_u64 v[34:35], v[34:35], 2, s[10:11]
	global_load_dword v34, v[34:35], off
	s_waitcnt vmcnt(0)
	v_sub_f32_e32 v34, s12, v34
	v_mul_f32_e32 v34, 0x3fb8aa3b, v34
	v_exp_f32_e32 v55, v34
.LBB237_62:
	s_or_b64 exec, exec, s[0:1]
	v_or_b32_e32 v43, 1, v65
	v_cmp_gt_i32_e64 s[2:3], s45, v43
	s_and_saveexec_b64 s[0:1], s[2:3]
	s_cbranch_execz .LBB237_64
; %bb.63:
	v_add_u32_e32 v34, s44, v43
	v_ashrrev_i32_e32 v35, 31, v34
	v_mul_lo_u32 v36, v35, s36
	v_mul_lo_u32 v37, v34, s37
	v_mad_u64_u32 v[34:35], s[4:5], v34, s36, 0
	v_add3_u32 v35, v35, v37, v36
	v_lshl_add_u64 v[34:35], v[34:35], 2, s[10:11]
	global_load_dword v34, v[34:35], off
	s_waitcnt vmcnt(0)
	v_sub_f32_e32 v34, s12, v34
	v_mul_f32_e32 v34, 0x3fb8aa3b, v34
	v_exp_f32_e32 v54, v34
.LBB237_64:
	s_or_b64 exec, exec, s[0:1]
	v_or_b32_e32 v42, 2, v65
	v_cmp_gt_i32_e64 s[4:5], s45, v42
	v_mov_b32_e32 v52, 0
	v_mov_b32_e32 v64, 0
	s_and_saveexec_b64 s[0:1], s[4:5]
	s_cbranch_execz .LBB237_66
; %bb.65:
	v_add_u32_e32 v34, s44, v42
	v_ashrrev_i32_e32 v35, 31, v34
	v_mul_lo_u32 v36, v35, s36
	v_mul_lo_u32 v37, v34, s37
	v_mad_u64_u32 v[34:35], s[6:7], v34, s36, 0
	v_add3_u32 v35, v35, v37, v36
	v_lshl_add_u64 v[34:35], v[34:35], 2, s[10:11]
	global_load_dword v34, v[34:35], off
	s_waitcnt vmcnt(0)
	v_sub_f32_e32 v34, s12, v34
	v_mul_f32_e32 v34, 0x3fb8aa3b, v34
	v_exp_f32_e32 v64, v34
.LBB237_66:
	s_or_b64 exec, exec, s[0:1]
	v_or_b32_e32 v66, 3, v65
	v_cmp_gt_i32_e64 s[0:1], s45, v66
	s_and_saveexec_b64 s[6:7], s[0:1]
	s_cbranch_execz .LBB237_68
; %bb.67:
	v_add_u32_e32 v34, s44, v66
	v_ashrrev_i32_e32 v35, 31, v34
	v_mul_lo_u32 v36, v35, s36
	v_mul_lo_u32 v37, v34, s37
	v_mad_u64_u32 v[34:35], s[16:17], v34, s36, 0
	v_add3_u32 v35, v35, v37, v36
	v_lshl_add_u64 v[34:35], v[34:35], 2, s[10:11]
	global_load_dword v34, v[34:35], off
	s_waitcnt vmcnt(0)
	v_sub_f32_e32 v34, s12, v34
	v_mul_f32_e32 v34, 0x3fb8aa3b, v34
	v_exp_f32_e32 v52, v34
.LBB237_68:
	s_or_b64 exec, exec, s[6:7]
	s_add_u32 s6, s8, s30
	s_addc_u32 s7, s9, s31
	s_add_u32 s8, s14, s30
	v_ashrrev_i32_e32 v51, 31, v50
	v_accvgpr_read_b32 v37, a15
	s_addc_u32 s9, s15, s31
	v_lshlrev_b64 v[38:39], 1, v[50:51]
	v_accvgpr_read_b32 v36, a14
	v_accvgpr_read_b32 v35, a13
	;; [unrolled: 1-line block ×3, first 2 shown]
	v_lshl_add_u64 v[40:41], s[6:7], 0, v[38:39]
	v_lshl_add_u64 v[38:39], s[8:9], 0, v[38:39]
	v_mov_b32_e32 v47, 0
	v_lshlrev_b32_e32 v44, 8, v65
	v_mov_b32_e32 v45, 0
	s_and_saveexec_b64 s[6:7], vcc
	s_cbranch_execz .LBB237_70
; %bb.69:
	v_mov_b32_e32 v45, 0
	v_lshl_add_u64 v[48:49], v[40:41], 0, v[44:45]
	global_load_ushort v46, v[48:49], off
	v_lshl_add_u64 v[48:49], v[38:39], 0, v[44:45]
	s_waitcnt vmcnt(0)
	v_lshlrev_b32_e32 v45, 16, v46
	v_sub_f32_e32 v34, v45, v34
	global_store_short_d16_hi v[48:49], v34, off
	v_mul_f32_e32 v34, v55, v34
	v_lshrrev_b32_e32 v45, 16, v34
.LBB237_70:
	s_or_b64 exec, exec, s[6:7]
	v_lshlrev_b32_e32 v46, 8, v43
	s_and_saveexec_b64 s[6:7], s[2:3]
	s_cbranch_execz .LBB237_72
; %bb.71:
	v_mov_b32_e32 v47, 0
	v_lshl_add_u64 v[48:49], v[40:41], 0, v[46:47]
	global_load_ushort v34, v[48:49], off
	v_lshl_add_u64 v[48:49], v[38:39], 0, v[46:47]
	s_waitcnt vmcnt(0)
	v_lshlrev_b32_e32 v34, 16, v34
	v_sub_f32_e32 v34, v34, v35
	global_store_short_d16_hi v[48:49], v34, off
	v_mul_f32_e32 v34, v54, v34
	v_lshrrev_b32_e32 v47, 16, v34
.LBB237_72:
	s_or_b64 exec, exec, s[6:7]
	v_mov_b32_e32 v43, 0
	v_lshlrev_b32_e32 v48, 8, v42
	v_mov_b32_e32 v49, 0
	s_and_saveexec_b64 s[6:7], s[4:5]
	s_cbranch_execz .LBB237_74
; %bb.73:
	v_mov_b32_e32 v49, 0
	v_lshl_add_u64 v[34:35], v[40:41], 0, v[48:49]
	global_load_ushort v42, v[34:35], off
	v_lshl_add_u64 v[34:35], v[38:39], 0, v[48:49]
	s_waitcnt vmcnt(0)
	v_lshlrev_b32_e32 v42, 16, v42
	v_sub_f32_e32 v36, v42, v36
	global_store_short_d16_hi v[34:35], v36, off
	v_mul_f32_e32 v34, v64, v36
	v_lshrrev_b32_e32 v49, 16, v34
.LBB237_74:
	s_or_b64 exec, exec, s[6:7]
	v_lshlrev_b32_e32 v42, 8, v66
	s_and_saveexec_b64 s[6:7], s[0:1]
	s_cbranch_execz .LBB237_76
; %bb.75:
	v_mov_b32_e32 v43, 0
	v_lshl_add_u64 v[34:35], v[40:41], 0, v[42:43]
	global_load_ushort v36, v[34:35], off
	v_lshl_add_u64 v[34:35], v[38:39], 0, v[42:43]
	s_waitcnt vmcnt(0)
	v_lshlrev_b32_e32 v36, 16, v36
	v_sub_f32_e32 v36, v36, v37
	global_store_short_d16_hi v[34:35], v36, off
	v_mul_f32_e32 v34, v52, v36
	v_lshrrev_b32_e32 v43, 16, v34
.LBB237_76:
	s_or_b64 exec, exec, s[6:7]
	v_lshlrev_b32_e32 v51, 6, v65
	s_mov_b32 s6, 0x5040100
	v_accvgpr_read_b32 v37, a11
	v_perm_b32 v67, v43, v49, s6
	v_or_b32_e32 v43, v51, v58
	v_accvgpr_read_b32 v36, a10
	v_accvgpr_read_b32 v35, a9
	;; [unrolled: 1-line block ×3, first 2 shown]
	v_perm_b32 v66, v47, v45, s6
	v_lshlrev_b32_e32 v43, 1, v43
	v_mov_b32_e32 v47, 0
	v_mov_b32_e32 v45, 0
	ds_write_b64 v43, v[66:67] offset:24576
	s_and_saveexec_b64 s[6:7], vcc
	s_cbranch_execz .LBB237_78
; %bb.77:
	v_mov_b32_e32 v45, 0
	v_lshl_add_u64 v[66:67], v[40:41], 0, v[44:45]
	global_load_ushort v43, v[66:67], off offset:32
	v_lshl_add_u64 v[66:67], v[38:39], 0, v[44:45]
	s_waitcnt vmcnt(0)
	v_lshlrev_b32_e32 v43, 16, v43
	v_sub_f32_e32 v34, v43, v34
	global_store_short_d16_hi v[66:67], v34, off offset:32
	v_mul_f32_e32 v34, v55, v34
	v_lshrrev_b32_e32 v45, 16, v34
.LBB237_78:
	s_or_b64 exec, exec, s[6:7]
	s_and_saveexec_b64 s[6:7], s[2:3]
	s_cbranch_execz .LBB237_80
; %bb.79:
	v_mov_b32_e32 v47, 0
	v_lshl_add_u64 v[66:67], v[40:41], 0, v[46:47]
	global_load_ushort v34, v[66:67], off offset:32
	v_lshl_add_u64 v[66:67], v[38:39], 0, v[46:47]
	s_waitcnt vmcnt(0)
	v_lshlrev_b32_e32 v34, 16, v34
	v_sub_f32_e32 v34, v34, v35
	global_store_short_d16_hi v[66:67], v34, off offset:32
	v_mul_f32_e32 v34, v54, v34
	v_lshrrev_b32_e32 v47, 16, v34
.LBB237_80:
	s_or_b64 exec, exec, s[6:7]
	v_mov_b32_e32 v43, 0
	v_mov_b32_e32 v49, 0
	s_and_saveexec_b64 s[6:7], s[4:5]
	s_cbranch_execz .LBB237_82
; %bb.81:
	v_mov_b32_e32 v49, 0
	v_lshl_add_u64 v[34:35], v[40:41], 0, v[48:49]
	global_load_ushort v58, v[34:35], off offset:32
	v_lshl_add_u64 v[34:35], v[38:39], 0, v[48:49]
	s_waitcnt vmcnt(0)
	v_lshlrev_b32_e32 v49, 16, v58
	v_sub_f32_e32 v36, v49, v36
	global_store_short_d16_hi v[34:35], v36, off offset:32
	v_mul_f32_e32 v34, v64, v36
	v_lshrrev_b32_e32 v49, 16, v34
.LBB237_82:
	s_or_b64 exec, exec, s[6:7]
	s_and_saveexec_b64 s[6:7], s[0:1]
	s_cbranch_execz .LBB237_84
; %bb.83:
	v_mov_b32_e32 v43, 0
	v_lshl_add_u64 v[34:35], v[40:41], 0, v[42:43]
	global_load_ushort v36, v[34:35], off offset:32
	v_lshl_add_u64 v[34:35], v[38:39], 0, v[42:43]
	s_waitcnt vmcnt(0)
	v_lshlrev_b32_e32 v36, 16, v36
	v_sub_f32_e32 v36, v36, v37
	global_store_short_d16_hi v[34:35], v36, off offset:32
	v_mul_f32_e32 v34, v52, v36
	v_lshrrev_b32_e32 v43, 16, v34
.LBB237_84:
	s_or_b64 exec, exec, s[6:7]
	s_mov_b32 s6, 0x5040100
	v_accvgpr_read_b32 v37, a7
	v_perm_b32 v67, v43, v49, s6
	v_or_b32_e32 v43, v51, v57
	v_accvgpr_read_b32 v36, a6
	v_accvgpr_read_b32 v35, a5
	;; [unrolled: 1-line block ×3, first 2 shown]
	v_perm_b32 v66, v47, v45, s6
	v_lshlrev_b32_e32 v43, 1, v43
	v_mov_b32_e32 v47, 0
	v_mov_b32_e32 v45, 0
	ds_write_b64 v43, v[66:67] offset:24576
	s_and_saveexec_b64 s[6:7], vcc
	s_cbranch_execz .LBB237_86
; %bb.85:
	v_mov_b32_e32 v45, 0
	v_lshl_add_u64 v[66:67], v[40:41], 0, v[44:45]
	global_load_ushort v43, v[66:67], off offset:64
	v_lshl_add_u64 v[66:67], v[38:39], 0, v[44:45]
	s_waitcnt vmcnt(0)
	v_lshlrev_b32_e32 v43, 16, v43
	v_sub_f32_e32 v34, v43, v34
	global_store_short_d16_hi v[66:67], v34, off offset:64
	v_mul_f32_e32 v34, v55, v34
	v_lshrrev_b32_e32 v45, 16, v34
.LBB237_86:
	s_or_b64 exec, exec, s[6:7]
	s_and_saveexec_b64 s[6:7], s[2:3]
	s_cbranch_execz .LBB237_88
; %bb.87:
	v_mov_b32_e32 v47, 0
	v_lshl_add_u64 v[66:67], v[40:41], 0, v[46:47]
	global_load_ushort v34, v[66:67], off offset:64
	v_lshl_add_u64 v[66:67], v[38:39], 0, v[46:47]
	s_waitcnt vmcnt(0)
	v_lshlrev_b32_e32 v34, 16, v34
	v_sub_f32_e32 v34, v34, v35
	global_store_short_d16_hi v[66:67], v34, off offset:64
	v_mul_f32_e32 v34, v54, v34
	v_lshrrev_b32_e32 v47, 16, v34
.LBB237_88:
	s_or_b64 exec, exec, s[6:7]
	v_mov_b32_e32 v43, 0
	v_mov_b32_e32 v49, 0
	s_and_saveexec_b64 s[6:7], s[4:5]
	s_cbranch_execz .LBB237_90
; %bb.89:
	v_mov_b32_e32 v49, 0
	v_lshl_add_u64 v[34:35], v[40:41], 0, v[48:49]
	global_load_ushort v57, v[34:35], off offset:64
	v_lshl_add_u64 v[34:35], v[38:39], 0, v[48:49]
	s_waitcnt vmcnt(0)
	v_lshlrev_b32_e32 v49, 16, v57
	v_sub_f32_e32 v36, v49, v36
	global_store_short_d16_hi v[34:35], v36, off offset:64
	v_mul_f32_e32 v34, v64, v36
	v_lshrrev_b32_e32 v49, 16, v34
.LBB237_90:
	s_or_b64 exec, exec, s[6:7]
	s_and_saveexec_b64 s[6:7], s[0:1]
	s_cbranch_execz .LBB237_92
; %bb.91:
	v_mov_b32_e32 v43, 0
	v_lshl_add_u64 v[34:35], v[40:41], 0, v[42:43]
	global_load_ushort v36, v[34:35], off offset:64
	v_lshl_add_u64 v[34:35], v[38:39], 0, v[42:43]
	s_waitcnt vmcnt(0)
	v_lshlrev_b32_e32 v36, 16, v36
	v_sub_f32_e32 v36, v36, v37
	global_store_short_d16_hi v[34:35], v36, off offset:64
	v_mul_f32_e32 v34, v52, v36
	v_lshrrev_b32_e32 v43, 16, v34
.LBB237_92:
	s_or_b64 exec, exec, s[6:7]
	s_mov_b32 s6, 0x5040100
	v_accvgpr_read_b32 v37, a3
	v_perm_b32 v67, v43, v49, s6
	v_or_b32_e32 v43, v51, v56
	v_accvgpr_read_b32 v36, a2
	v_accvgpr_read_b32 v35, a1
	;; [unrolled: 1-line block ×3, first 2 shown]
	v_perm_b32 v66, v47, v45, s6
	v_lshlrev_b32_e32 v43, 1, v43
	v_mov_b32_e32 v47, 0
	v_mov_b32_e32 v45, 0
	ds_write_b64 v43, v[66:67] offset:24576
	s_and_saveexec_b64 s[6:7], vcc
	s_cbranch_execz .LBB237_94
; %bb.93:
	v_mov_b32_e32 v45, 0
	v_lshl_add_u64 v[56:57], v[40:41], 0, v[44:45]
	global_load_ushort v43, v[56:57], off offset:96
	v_lshl_add_u64 v[44:45], v[38:39], 0, v[44:45]
	s_waitcnt vmcnt(0)
	v_lshlrev_b32_e32 v43, 16, v43
	v_sub_f32_e32 v34, v43, v34
	global_store_short_d16_hi v[44:45], v34, off offset:96
	v_mul_f32_e32 v34, v55, v34
	v_lshrrev_b32_e32 v45, 16, v34
.LBB237_94:
	s_or_b64 exec, exec, s[6:7]
	s_and_saveexec_b64 s[6:7], s[2:3]
	s_cbranch_execz .LBB237_96
; %bb.95:
	v_mov_b32_e32 v47, 0
	v_lshl_add_u64 v[56:57], v[40:41], 0, v[46:47]
	global_load_ushort v34, v[56:57], off offset:96
	v_lshl_add_u64 v[46:47], v[38:39], 0, v[46:47]
	s_waitcnt vmcnt(0)
	v_lshlrev_b32_e32 v34, 16, v34
	v_sub_f32_e32 v34, v34, v35
	global_store_short_d16_hi v[46:47], v34, off offset:96
	v_mul_f32_e32 v34, v54, v34
	v_lshrrev_b32_e32 v47, 16, v34
.LBB237_96:
	s_or_b64 exec, exec, s[6:7]
	v_mov_b32_e32 v43, 0
	v_mov_b32_e32 v46, 0
	s_and_saveexec_b64 s[2:3], s[4:5]
	s_cbranch_execz .LBB237_98
; %bb.97:
	v_mov_b32_e32 v49, 0
	v_lshl_add_u64 v[34:35], v[40:41], 0, v[48:49]
	global_load_ushort v44, v[34:35], off offset:96
	v_lshl_add_u64 v[34:35], v[38:39], 0, v[48:49]
	s_waitcnt vmcnt(0)
	v_lshlrev_b32_e32 v44, 16, v44
	v_sub_f32_e32 v36, v44, v36
	global_store_short_d16_hi v[34:35], v36, off offset:96
	v_mul_f32_e32 v34, v64, v36
	v_lshrrev_b32_e32 v46, 16, v34
.LBB237_98:
	s_or_b64 exec, exec, s[2:3]
	v_or_b32_e32 v44, 0x6000, v60
	v_or_b32_e32 v36, 0x6000, v61
	;; [unrolled: 1-line block ×4, first 2 shown]
	s_and_saveexec_b64 s[2:3], s[0:1]
	s_cbranch_execz .LBB237_100
; %bb.99:
	v_mov_b32_e32 v43, 0
	v_lshl_add_u64 v[40:41], v[40:41], 0, v[42:43]
	global_load_ushort v40, v[40:41], off offset:96
	v_lshl_add_u64 v[38:39], v[38:39], 0, v[42:43]
	s_waitcnt vmcnt(0)
	v_lshlrev_b32_e32 v40, 16, v40
	v_sub_f32_e32 v37, v40, v37
	global_store_short_d16_hi v[38:39], v37, off offset:96
	v_mul_f32_e32 v37, v52, v37
	v_lshrrev_b32_e32 v43, 16, v37
.LBB237_100:
	s_or_b64 exec, exec, s[2:3]
	s_mov_b32 s0, 0x5040100
	v_or_b32_e32 v37, v51, v53
	v_perm_b32 v39, v43, v46, s0
	v_perm_b32 v38, v47, v45, s0
	v_lshlrev_b32_e32 v37, 1, v37
	s_movk_i32 s0, 0x100
	ds_write_b64 v37, v[38:39] offset:24576
	v_and_b32_e32 v37, 7, v0
	v_and_b32_e32 v38, 8, v0
	v_cmp_gt_u32_e32 vcc, s0, v0
	v_lshrrev_b32_e32 v0, 1, v0
	v_mov_b32_e32 v39, 0xa000
	v_mov_b32_e32 v40, 0x8000
	v_lshlrev_b32_e32 v58, 3, v74
	v_and_b32_e32 v0, 24, v0
	v_cndmask_b32_e32 v51, v39, v40, vcc
	v_xor_b32_e32 v39, v58, v0
	v_or_b32_e32 v40, 0x440, v39
	v_cmp_eq_u32_e32 vcc, 0, v38
	v_lshlrev_b32_e32 v45, 3, v37
	v_lshlrev_b32_e32 v37, 7, v37
	v_cndmask_b32_e32 v38, v40, v39, vcc
	v_or_b32_e32 v38, v38, v59
	v_xad_u32 v72, v38, v45, v37
	v_add_u32_e32 v38, v51, v72
	s_waitcnt lgkmcnt(0)
	s_barrier
	ds_read_b64 v[42:43], v38
	ds_read2_b64 v[38:41], v44 offset1:16
	ds_read2_b64 v[46:49], v44 offset0:32 offset1:48
	v_or_b32_e32 v52, 32, v0
	v_xor_b32_e32 v52, v58, v52
	v_or_b32_e32 v53, 0x440, v52
	v_cndmask_b32_e32 v52, v53, v52, vcc
	s_waitcnt lgkmcnt(1)
	v_mfma_f32_16x16x16_bf16 a[0:3], v[42:43], v[38:39], 0
	v_or_b32_e32 v52, v52, v59
	v_xad_u32 v73, v52, v45, v37
	v_add_u32_e32 v52, v51, v73
	v_mfma_f32_16x16x16_bf16 a[4:7], v[42:43], v[40:41], 0
	ds_read_b64 v[56:57], v52
	ds_read2st64_b64 v[60:63], v36 offset0:4 offset1:8
	ds_read2st64_b64 v[64:67], v35 offset0:4 offset1:8
	s_waitcnt lgkmcnt(3)
	v_mfma_f32_16x16x16_bf16 a[8:11], v[42:43], v[46:47], 0
	ds_read2st64_b64 v[68:71], v34 offset0:4 offset1:8
	v_mfma_f32_16x16x16_bf16 a[12:15], v[42:43], v[48:49], 0
	v_or_b32_e32 v42, 64, v0
	v_xor_b32_e32 v42, v58, v42
	v_xor_b32_e32 v43, 0x440, v42
	v_cndmask_b32_e32 v42, v43, v42, vcc
	v_or_b32_e32 v42, v42, v59
	v_xad_u32 v74, v42, v45, v37
	v_add_u32_e32 v42, v51, v74
	ds_read_b64 v[42:43], v42
	ds_read2st64_b64 v[52:55], v44 offset0:4 offset1:8
	v_or_b32_e32 v0, 0x60, v0
	v_xor_b32_e32 v0, v58, v0
	s_waitcnt lgkmcnt(0)
	v_mfma_f32_16x16x16_bf16 a[0:3], v[56:57], v[52:53], a[0:3]
	v_mfma_f32_16x16x16_bf16 a[4:7], v[56:57], v[60:61], a[4:7]
	;; [unrolled: 1-line block ×4, first 2 shown]
	v_xor_b32_e32 v56, 0x440, v0
	v_cndmask_b32_e32 v0, v56, v0, vcc
	v_or_b32_e32 v0, v0, v59
	v_xad_u32 v0, v0, v45, v37
	v_add_u32_e32 v37, v51, v0
	v_mfma_f32_16x16x16_bf16 a[0:3], v[42:43], v[54:55], a[0:3]
	ds_read_b64 v[56:57], v37
	ds_read_b64 v[44:45], v44 offset:6144
	v_mfma_f32_16x16x16_bf16 a[4:7], v[42:43], v[62:63], a[4:7]
	v_mfma_f32_16x16x16_bf16 a[8:11], v[42:43], v[66:67], a[8:11]
	;; [unrolled: 1-line block ×3, first 2 shown]
	ds_read_b64 v[36:37], v36 offset:6144
	ds_read_b64 v[42:43], v35 offset:6144
	;; [unrolled: 1-line block ×3, first 2 shown]
	s_waitcnt lgkmcnt(3)
	v_mfma_f32_16x16x16_bf16 a[0:3], v[56:57], v[44:45], a[0:3]
	s_waitcnt lgkmcnt(2)
	v_mfma_f32_16x16x16_bf16 a[4:7], v[56:57], v[36:37], a[4:7]
	;; [unrolled: 2-line block ×4, first 2 shown]
	ds_read_b64 v[56:57], v72 offset:40960
	s_waitcnt lgkmcnt(0)
	v_mfma_f32_16x16x16_bf16 a[20:23], v[56:57], v[40:41], 0
	v_mov_b32_e32 v40, 0x3fb8aa3b
	v_mul_f32_e32 v40, s12, v40
	v_mfma_f32_16x16x16_bf16 a[24:27], v[56:57], v[46:47], 0
	v_exp_f32_e32 v46, v40
	v_accvgpr_read_b32 v40, a0
	v_accvgpr_read_b32 v47, a3
	v_mfma_f32_16x16x16_bf16 a[16:19], v[56:57], v[38:39], 0
	ds_read_b64 v[38:39], v73 offset:40960
	v_fma_f32 v30, v46, v30, v40
	v_accvgpr_read_b32 v40, a1
	v_fma_f32 v31, v46, v31, v40
	v_accvgpr_read_b32 v40, a2
	v_mfma_f32_16x16x16_bf16 a[28:31], v[56:57], v[48:49], 0
	v_fma_f32 v32, v46, v32, v40
	ds_read_b64 v[40:41], v74 offset:40960
	v_fmac_f32_e32 v47, v46, v33
	s_waitcnt lgkmcnt(1)
	v_mfma_f32_16x16x16_bf16 a[16:19], v[38:39], v[52:53], a[16:19]
	v_accvgpr_read_b32 v33, a4
	v_fma_f32 v22, v46, v22, v33
	v_accvgpr_read_b32 v33, a5
	v_mfma_f32_16x16x16_bf16 a[20:23], v[38:39], v[60:61], a[20:23]
	v_fma_f32 v23, v46, v23, v33
	v_accvgpr_read_b32 v33, a6
	v_accvgpr_read_b32 v48, a7
	v_mfma_f32_16x16x16_bf16 a[24:27], v[38:39], v[64:65], a[24:27]
	v_fmac_f32_e32 v48, v46, v25
	v_accvgpr_read_b32 v25, a8
	v_fma_f32 v24, v46, v24, v33
	v_mfma_f32_16x16x16_bf16 a[0:3], v[38:39], v[68:69], a[28:31]
	ds_read_b64 v[38:39], v0 offset:40960
	v_accvgpr_read_b32 v0, a9
	v_fma_f32 v15, v46, v15, v0
	s_waitcnt lgkmcnt(1)
	v_mfma_f32_16x16x16_bf16 a[4:7], v[40:41], v[62:63], a[20:23]
	v_accvgpr_read_b32 v0, a10
	v_fma_f32 v16, v46, v16, v0
	v_accvgpr_read_b32 v0, a11
	v_mfma_f32_16x16x16_bf16 a[16:19], v[40:41], v[54:55], a[16:19]
	v_fmac_f32_e32 v0, v46, v17
	v_accvgpr_read_b32 v17, a12
	v_fma_f32 v2, v46, v2, v17
	v_mfma_f32_16x16x16_bf16 a[20:23], v[40:41], v[66:67], a[24:27]
	v_accvgpr_read_b32 v17, a13
	v_fma_f32 v3, v46, v3, v17
	v_accvgpr_read_b32 v17, a14
	v_mfma_f32_16x16x16_bf16 a[0:3], v[40:41], v[70:71], a[0:3]
	v_fma_f32 v4, v46, v4, v17
	v_fma_f32 v14, v46, v14, v25
	v_mov_b32_e32 v33, v47
	s_waitcnt lgkmcnt(0)
	v_mfma_f32_16x16x16_bf16 a[4:7], v[38:39], v[36:37], a[4:7]
	v_accvgpr_read_b32 v36, a15
	v_fmac_f32_e32 v36, v46, v5
	v_mov_b32_e32 v25, v48
	v_mfma_f32_16x16x16_bf16 a[8:11], v[38:39], v[44:45], a[16:19]
	v_mfma_f32_16x16x16_bf16 a[16:19], v[38:39], v[42:43], a[20:23]
	s_nop 1
	v_accvgpr_read_b32 v17, a4
	v_fma_f32 v18, v46, v18, v17
	v_accvgpr_read_b32 v17, a5
	v_mfma_f32_16x16x16_bf16 a[0:3], v[38:39], v[34:35], a[0:3]
	v_accvgpr_read_b32 v5, a8
	v_fma_f32 v19, v46, v19, v17
	v_accvgpr_read_b32 v17, a6
	v_fma_f32 v26, v46, v26, v5
	;; [unrolled: 2-line block ×3, first 2 shown]
	v_accvgpr_read_b32 v17, a7
	v_accvgpr_read_b32 v34, a19
	v_fma_f32 v27, v46, v27, v5
	v_accvgpr_read_b32 v5, a10
	v_fmac_f32_e32 v17, v46, v21
	v_accvgpr_read_b32 v21, a16
	v_fmac_f32_e32 v34, v46, v13
	v_accvgpr_read_b32 v13, a0
	v_fma_f32 v28, v46, v28, v5
	v_accvgpr_read_b32 v5, a11
	v_fma_f32 v10, v46, v10, v21
	;; [unrolled: 2-line block ×3, first 2 shown]
	v_accvgpr_read_b32 v13, a1
	v_accvgpr_read_b32 v35, a3
	v_fmac_f32_e32 v5, v46, v29
	v_fma_f32 v11, v46, v11, v21
	v_accvgpr_read_b32 v21, a18
	v_fma_f32 v7, v46, v7, v13
	v_accvgpr_read_b32 v13, a2
	v_fmac_f32_e32 v35, v46, v9
	v_fma_f32 v12, v46, v12, v21
	v_fma_f32 v8, v46, v8, v13
	v_mov_b32_e32 v29, v5
	v_mov_b32_e32 v21, v17
	;; [unrolled: 1-line block ×7, first 2 shown]
.LBB237_101:
	s_lshl_b64 s[0:1], s[28:29], 16
	s_waitcnt lgkmcnt(0)
	s_add_u32 s0, s34, s0
	v_lshlrev_b32_e32 v34, 7, v34
	s_addc_u32 s1, s35, s1
	v_ashrrev_i32_e32 v35, 31, v34
	v_lshl_add_u64 v[36:37], v[34:35], 2, s[0:1]
	v_lshlrev_b32_e32 v0, 2, v1
	v_mov_b32_e32 v1, 0
	v_lshl_add_u64 v[36:37], v[36:37], 0, v[0:1]
	global_store_dwordx4 v[36:37], v[30:33], off
	global_store_dwordx4 v[36:37], v[26:29], off offset:256
	s_nop 1
	v_or_b32_e32 v26, 0x800, v34
	v_ashrrev_i32_e32 v27, 31, v26
	v_lshl_add_u64 v[26:27], v[26:27], 2, s[0:1]
	v_lshl_add_u64 v[26:27], v[26:27], 0, v[0:1]
	global_store_dwordx4 v[26:27], v[22:25], off
	global_store_dwordx4 v[26:27], v[18:21], off offset:256
	s_nop 1
	v_or_b32_e32 v18, 0x1000, v34
	v_ashrrev_i32_e32 v19, 31, v18
	v_lshl_add_u64 v[18:19], v[18:19], 2, s[0:1]
	;; [unrolled: 7-line block ×3, first 2 shown]
	v_lshl_add_u64 v[0:1], v[10:11], 0, v[0:1]
	global_store_dwordx4 v[0:1], v[2:5], off
	global_store_dwordx4 v[0:1], v[6:9], off offset:256
	s_endpgm
	.section	.rodata,"a",@progbits
	.p2align	6, 0x0
	.amdhsa_kernel _ZN12_GLOBAL__N_139chunk_gated_delta_rule_fwd_h_hip_kernelILi64ELb0ELb1ELb1ELb0ELb0ELb0ELb1ELb0EEEvPK12hip_bfloat16S3_S3_PKfS5_PKvPS1_S8_PvPKiSB_iiiiilll
		.amdhsa_group_segment_fixed_size 65536
		.amdhsa_private_segment_fixed_size 0
		.amdhsa_kernarg_size 136
		.amdhsa_user_sgpr_count 2
		.amdhsa_user_sgpr_dispatch_ptr 0
		.amdhsa_user_sgpr_queue_ptr 0
		.amdhsa_user_sgpr_kernarg_segment_ptr 1
		.amdhsa_user_sgpr_dispatch_id 0
		.amdhsa_user_sgpr_kernarg_preload_length 0
		.amdhsa_user_sgpr_kernarg_preload_offset 0
		.amdhsa_user_sgpr_private_segment_size 0
		.amdhsa_uses_dynamic_stack 0
		.amdhsa_enable_private_segment 0
		.amdhsa_system_sgpr_workgroup_id_x 1
		.amdhsa_system_sgpr_workgroup_id_y 1
		.amdhsa_system_sgpr_workgroup_id_z 0
		.amdhsa_system_sgpr_workgroup_info 0
		.amdhsa_system_vgpr_workitem_id 0
		.amdhsa_next_free_vgpr 216
		.amdhsa_next_free_sgpr 67
		.amdhsa_accum_offset 180
		.amdhsa_reserve_vcc 1
		.amdhsa_float_round_mode_32 0
		.amdhsa_float_round_mode_16_64 0
		.amdhsa_float_denorm_mode_32 3
		.amdhsa_float_denorm_mode_16_64 3
		.amdhsa_dx10_clamp 1
		.amdhsa_ieee_mode 1
		.amdhsa_fp16_overflow 0
		.amdhsa_tg_split 0
		.amdhsa_exception_fp_ieee_invalid_op 0
		.amdhsa_exception_fp_denorm_src 0
		.amdhsa_exception_fp_ieee_div_zero 0
		.amdhsa_exception_fp_ieee_overflow 0
		.amdhsa_exception_fp_ieee_underflow 0
		.amdhsa_exception_fp_ieee_inexact 0
		.amdhsa_exception_int_div_zero 0
	.end_amdhsa_kernel
	.section	.text._ZN12_GLOBAL__N_139chunk_gated_delta_rule_fwd_h_hip_kernelILi64ELb0ELb1ELb1ELb0ELb0ELb0ELb1ELb0EEEvPK12hip_bfloat16S3_S3_PKfS5_PKvPS1_S8_PvPKiSB_iiiiilll,"axG",@progbits,_ZN12_GLOBAL__N_139chunk_gated_delta_rule_fwd_h_hip_kernelILi64ELb0ELb1ELb1ELb0ELb0ELb0ELb1ELb0EEEvPK12hip_bfloat16S3_S3_PKfS5_PKvPS1_S8_PvPKiSB_iiiiilll,comdat
.Lfunc_end237:
	.size	_ZN12_GLOBAL__N_139chunk_gated_delta_rule_fwd_h_hip_kernelILi64ELb0ELb1ELb1ELb0ELb0ELb0ELb1ELb0EEEvPK12hip_bfloat16S3_S3_PKfS5_PKvPS1_S8_PvPKiSB_iiiiilll, .Lfunc_end237-_ZN12_GLOBAL__N_139chunk_gated_delta_rule_fwd_h_hip_kernelILi64ELb0ELb1ELb1ELb0ELb0ELb0ELb1ELb0EEEvPK12hip_bfloat16S3_S3_PKfS5_PKvPS1_S8_PvPKiSB_iiiiilll
                                        ; -- End function
	.section	.AMDGPU.csdata,"",@progbits
; Kernel info:
; codeLenInByte = 12784
; NumSgprs: 73
; NumVgprs: 180
; NumAgprs: 36
; TotalNumVgprs: 216
; ScratchSize: 0
; MemoryBound: 0
; FloatMode: 240
; IeeeMode: 1
; LDSByteSize: 65536 bytes/workgroup (compile time only)
; SGPRBlocks: 9
; VGPRBlocks: 26
; NumSGPRsForWavesPerEU: 73
; NumVGPRsForWavesPerEU: 216
; AccumOffset: 180
; Occupancy: 1
; WaveLimiterHint : 1
; COMPUTE_PGM_RSRC2:SCRATCH_EN: 0
; COMPUTE_PGM_RSRC2:USER_SGPR: 2
; COMPUTE_PGM_RSRC2:TRAP_HANDLER: 0
; COMPUTE_PGM_RSRC2:TGID_X_EN: 1
; COMPUTE_PGM_RSRC2:TGID_Y_EN: 1
; COMPUTE_PGM_RSRC2:TGID_Z_EN: 0
; COMPUTE_PGM_RSRC2:TIDIG_COMP_CNT: 0
; COMPUTE_PGM_RSRC3_GFX90A:ACCUM_OFFSET: 44
; COMPUTE_PGM_RSRC3_GFX90A:TG_SPLIT: 0
	.section	.text._ZN12_GLOBAL__N_139chunk_gated_delta_rule_fwd_h_hip_kernelILi64ELb0ELb1ELb0ELb0ELb0ELb0ELb1ELb0EEEvPK12hip_bfloat16S3_S3_PKfS5_PKvPS1_S8_PvPKiSB_iiiiilll,"axG",@progbits,_ZN12_GLOBAL__N_139chunk_gated_delta_rule_fwd_h_hip_kernelILi64ELb0ELb1ELb0ELb0ELb0ELb0ELb1ELb0EEEvPK12hip_bfloat16S3_S3_PKfS5_PKvPS1_S8_PvPKiSB_iiiiilll,comdat
	.globl	_ZN12_GLOBAL__N_139chunk_gated_delta_rule_fwd_h_hip_kernelILi64ELb0ELb1ELb0ELb0ELb0ELb0ELb1ELb0EEEvPK12hip_bfloat16S3_S3_PKfS5_PKvPS1_S8_PvPKiSB_iiiiilll ; -- Begin function _ZN12_GLOBAL__N_139chunk_gated_delta_rule_fwd_h_hip_kernelILi64ELb0ELb1ELb0ELb0ELb0ELb0ELb1ELb0EEEvPK12hip_bfloat16S3_S3_PKfS5_PKvPS1_S8_PvPKiSB_iiiiilll
	.p2align	8
	.type	_ZN12_GLOBAL__N_139chunk_gated_delta_rule_fwd_h_hip_kernelILi64ELb0ELb1ELb0ELb0ELb0ELb0ELb1ELb0EEEvPK12hip_bfloat16S3_S3_PKfS5_PKvPS1_S8_PvPKiSB_iiiiilll,@function
_ZN12_GLOBAL__N_139chunk_gated_delta_rule_fwd_h_hip_kernelILi64ELb0ELb1ELb0ELb0ELb0ELb0ELb1ELb0EEEvPK12hip_bfloat16S3_S3_PKfS5_PKvPS1_S8_PvPKiSB_iiiiilll: ; @_ZN12_GLOBAL__N_139chunk_gated_delta_rule_fwd_h_hip_kernelILi64ELb0ELb1ELb0ELb0ELb0ELb0ELb1ELb0EEEvPK12hip_bfloat16S3_S3_PKfS5_PKvPS1_S8_PvPKiSB_iiiiilll
; %bb.0:
	s_load_dwordx4 s[12:15], s[0:1], 0x5c
	s_load_dwordx4 s[16:19], s[0:1], 0x70
	s_abs_i32 s22, s3
	s_ashr_i32 s21, s3, 31
	s_load_dwordx8 s[4:11], s[0:1], 0x0
	s_waitcnt lgkmcnt(0)
	s_abs_i32 s20, s13
	v_cvt_f32_u32_e32 v1, s20
	s_sub_i32 s24, 0, s20
	s_ashr_i32 s23, s13, 31
	s_xor_b32 s21, s21, s23
	v_rcp_iflag_f32_e32 v1, v1
	s_load_dwordx2 s[28:29], s[0:1], 0x40
	s_load_dwordx2 s[36:37], s[0:1], 0x30
	;; [unrolled: 1-line block ×3, first 2 shown]
	v_lshrrev_b32_e32 v72, 6, v0
	v_bfe_u32 v75, v0, 4, 2
	v_mul_f32_e32 v1, 0x4f7ffffe, v1
	v_cvt_u32_f32_e32 v1, v1
	v_lshlrev_b32_e32 v73, 4, v72
	v_lshlrev_b32_e32 v34, 2, v75
	v_and_b32_e32 v74, 63, v0
	v_readfirstlane_b32 s25, v1
	s_mul_i32 s24, s24, s25
	s_mul_hi_u32 s24, s25, s24
	s_add_i32 s25, s25, s24
	s_mul_hi_u32 s24, s22, s25
	s_mul_i32 s25, s24, s20
	s_sub_i32 s22, s22, s25
	s_add_i32 s26, s24, 1
	s_sub_i32 s25, s22, s20
	s_cmp_ge_u32 s22, s20
	s_cselect_b32 s24, s26, s24
	s_cselect_b32 s22, s25, s22
	s_add_i32 s25, s24, 1
	s_cmp_ge_u32 s22, s20
	s_cselect_b32 s22, s25, s24
	s_xor_b32 s22, s22, s21
	s_sub_i32 s47, s22, s21
	s_abs_i32 s21, s14
	v_cvt_f32_u32_e32 v1, s21
	s_add_i32 s24, s12, 63
	s_mul_i32 s45, s47, s13
	s_sub_i32 s33, s3, s45
	v_rcp_iflag_f32_e32 v1, v1
	s_ashr_i32 s3, s24, 31
	s_ashr_i32 s46, s12, 31
	s_lshr_b32 s3, s3, 26
	v_mul_f32_e32 v1, 0x4f7ffffe, v1
	v_cvt_u32_f32_e32 v1, v1
	s_lshr_b32 s22, s46, 26
	s_add_i32 s24, s24, s3
	s_add_i32 s22, s12, s22
	s_ashr_i32 s49, s14, 31
	s_ashr_i32 s3, s24, 6
	;; [unrolled: 1-line block ×3, first 2 shown]
	s_xor_b32 s22, s23, s49
	s_sub_i32 s23, 0, s21
	v_readfirstlane_b32 s24, v1
	s_mul_i32 s23, s23, s24
	s_mul_hi_u32 s23, s24, s23
	s_add_i32 s24, s24, s23
	s_mul_hi_u32 s23, s20, s24
	s_mul_i32 s24, s23, s21
	s_sub_i32 s20, s20, s24
	s_add_i32 s24, s23, 1
	s_sub_i32 s25, s20, s21
	s_cmp_ge_u32 s20, s21
	s_cselect_b32 s23, s24, s23
	s_cselect_b32 s20, s25, s20
	s_add_i32 s24, s23, 1
	s_cmp_ge_u32 s20, s21
	s_cselect_b32 s20, s24, s23
	s_xor_b32 s20, s20, s22
	s_sub_i32 s20, s20, s22
	s_abs_i32 s21, s20
	v_cvt_f32_u32_e32 v1, s21
	s_xor_b32 s0, s33, s20
	s_sub_i32 s20, 0, s21
	s_abs_i32 s1, s33
	v_rcp_iflag_f32_e32 v1, v1
	s_ashr_i32 s0, s0, 31
	v_mov_b32_e32 v5, 0
	s_mul_i32 s50, s47, s3
	v_mul_f32_e32 v1, 0x4f7ffffe, v1
	v_cvt_u32_f32_e32 v1, v1
	v_and_b32_e32 v76, 15, v0
	s_mul_hi_i32 s51, s47, s13
	v_lshrrev_b32_e32 v78, 3, v74
	v_readfirstlane_b32 s22, v1
	s_mul_i32 s20, s20, s22
	s_mul_hi_u32 s20, s22, s20
	s_add_i32 s22, s22, s20
	s_mul_hi_u32 s20, s1, s22
	s_mul_i32 s22, s20, s21
	s_sub_i32 s1, s1, s22
	s_add_i32 s22, s20, 1
	s_sub_i32 s23, s1, s21
	s_cmp_ge_u32 s1, s21
	s_cselect_b32 s20, s22, s20
	s_cselect_b32 s1, s23, s1
	s_add_i32 s22, s20, 1
	s_cmp_ge_u32 s1, s21
	s_cselect_b32 s1, s22, s20
	s_xor_b32 s1, s1, s0
	s_sub_i32 s52, s1, s0
	v_or_b32_e32 v1, v34, v73
	s_lshl_b32 s2, s2, 6
	v_or_b32_e32 v79, 64, v1
	s_cmp_lt_i32 s12, 64
	v_lshlrev_b32_e32 v77, 3, v0
	s_mul_i32 s17, s47, s17
	s_mul_hi_u32 s44, s47, s16
	s_mul_i32 s34, s47, s16
	v_mov_b32_e32 v4, v5
	v_mov_b32_e32 v3, v5
	;; [unrolled: 1-line block ×31, first 2 shown]
	s_cbranch_scc1 .LBB238_18
; %bb.1:
	s_ashr_i32 s3, s47, 31
	s_ashr_i32 s54, s33, 31
	s_add_u32 s0, s45, s33
	s_addc_u32 s1, s51, s54
	s_mul_i32 s1, s12, s1
	s_mul_hi_u32 s20, s12, s0
	s_add_i32 s39, s20, s1
	s_mul_i32 s38, s12, s0
	s_lshl_b64 s[0:1], s[38:39], 8
	v_and_b32_e32 v81, 56, v77
	s_add_u32 s20, s6, s0
	v_lshl_or_b32 v80, v72, 3, v78
	v_lshlrev_b32_e32 v2, 1, v81
	s_addc_u32 s0, s7, s1
	v_lshl_or_b32 v82, v80, 8, v2
	s_and_b32 s21, s0, 0xffff
	s_mov_b32 s23, 0x20000
	s_movk_i32 s22, 0x4000
	s_movk_i32 s0, 0x80
	v_or_b32_e32 v83, 0x2000, v82
	buffer_load_dwordx4 v[4:7], v82, s[20:23], 0 offen
	buffer_load_dwordx4 v[8:11], v82, s[20:23], s0 offen
	;; [unrolled: 1-line block ×4, first 2 shown]
	v_lshlrev_b32_e32 v3, 3, v80
	v_and_or_b32 v21, v0, 7, v3
	v_and_b32_e32 v3, 0x78, v3
	v_lshlrev_b32_e32 v21, 4, v21
	v_xor_b32_e32 v84, v21, v3
	v_mul_lo_u32 v20, v80, s15
	v_or_b32_e32 v85, 0x1000, v84
	v_xor_b32_e32 v3, 8, v84
	s_cmpk_eq_i32 s15, 0x80
	s_mov_b32 s53, s14
	v_xor_b32_e32 v21, 8, v85
	s_cselect_b64 s[0:1], -1, 0
	s_cmpk_lg_i32 s15, 0x80
	s_waitcnt vmcnt(3)
	ds_write_b64 v84, v[4:5] offset:49152
	ds_write_b64 v3, v[6:7] offset:49152
	s_waitcnt vmcnt(2)
	ds_write_b64 v84, v[8:9] offset:57344
	ds_write_b64 v3, v[10:11] offset:57344
	s_waitcnt vmcnt(1)
	ds_write_b64 v84, v[12:13] offset:53248
	ds_write_b64 v21, v[14:15] offset:49152
	s_waitcnt vmcnt(0)
	ds_write_b64 v84, v[16:17] offset:61440
	ds_write_b64 v21, v[18:19] offset:57344
	v_lshl_add_u32 v3, v20, 1, v81
	s_cbranch_scc0 .LBB238_3
; %bb.2:
	v_lshlrev_b32_e32 v5, 1, v3
	v_add_lshl_u32 v4, v3, s15, 1
	s_lshl_b32 s22, s15, 7
	v_lshl_or_b32 v2, v80, 9, v2
	s_cbranch_execz .LBB238_4
	s_branch .LBB238_5
.LBB238_3:
                                        ; implicit-def: $vgpr4
                                        ; implicit-def: $vgpr5
                                        ; implicit-def: $sgpr22
	v_lshl_or_b32 v2, v80, 9, v2
.LBB238_4:
	v_or_b32_e32 v4, 0x100, v2
	s_movk_i32 s22, 0x4000
	v_mov_b32_e32 v5, v2
.LBB238_5:
	s_mul_hi_u32 s20, s14, s12
	s_mul_i32 s21, s49, s12
	s_add_i32 s20, s20, s21
	s_mul_i32 s21, s14, s12
	s_mul_i32 s23, s21, s3
	s_mul_hi_u32 s24, s21, s47
	s_add_i32 s23, s24, s23
	s_mul_i32 s20, s20, s47
	s_add_i32 s23, s23, s20
	s_mul_i32 s21, s21, s47
	s_ashr_i32 s55, s52, 31
	s_add_u32 s20, s21, s52
	s_addc_u32 s21, s23, s55
	s_lshl_b64 s[20:21], s[20:21], 8
	s_add_u32 s20, s4, s20
	s_addc_u32 s21, s5, s21
	s_and_b32 s21, s21, 0xffff
	s_mov_b32 s23, 0x20000
	s_movk_i32 s56, 0x80
	buffer_load_dwordx4 v[6:9], v5, s[20:23], 0 offen
	buffer_load_dwordx4 v[10:13], v5, s[20:23], s56 offen
	;; [unrolled: 1-line block ×4, first 2 shown]
	v_and_b32_e32 v5, 6, v0
	v_lshlrev_b32_e32 v4, 7, v1
	v_xor_b32_e32 v26, v80, v5
	v_and_b32_e32 v22, 1, v0
	v_lshl_or_b32 v29, v76, 3, v4
	v_lshlrev_b32_e32 v26, 2, v26
	v_or_b32_e32 v86, 0x4000, v29
	v_or_b32_e32 v87, 0x6000, v29
	v_xor_b32_e32 v29, 0x440, v26
	v_cmp_eq_u32_e32 vcc, 0, v22
	v_lshlrev_b32_e32 v23, 2, v76
	s_mov_b32 s58, 0x1000504
	v_cndmask_b32_e32 v22, v29, v26, vcc
	v_xor_b32_e32 v27, v1, v23
	v_xor_b32_e32 v28, v79, v23
	v_lshl_or_b32 v5, v5, 10, v22
	s_mov_b32 s59, 0x3020706
	s_mul_i32 s20, s3, s12
	s_mul_hi_u32 s21, s47, s12
	v_lshlrev_b32_e32 v24, 8, v76
	v_or_b32_e32 v25, 16, v76
	v_lshlrev_b32_e32 v27, 1, v27
	v_lshlrev_b32_e32 v28, 1, v28
	v_xor_b32_e32 v22, 8, v5
	v_xor_b32_e32 v26, 24, v5
	;; [unrolled: 1-line block ×4, first 2 shown]
	v_or_b32_e32 v89, v24, v27
	v_or_b32_e32 v90, v24, v28
	v_xor_b32_e32 v24, 16, v5
	v_xor_b32_e32 v29, 32, v5
	v_xor_b32_e32 v32, 48, v5
	v_add_u32_e32 v22, 0x80, v22
	v_add_u32_e32 v26, 0x80, v26
	;; [unrolled: 1-line block ×4, first 2 shown]
	s_add_i32 s61, s21, s20
	s_add_i32 s20, s44, s17
	s_mul_i32 s3, s3, s16
	s_add_i32 s35, s20, s3
	s_mul_i32 s3, s33, s19
	s_mul_hi_u32 s20, s33, s18
	s_add_i32 s3, s20, s3
	s_mul_i32 s20, s54, s18
	s_add_i32 s21, s3, s20
	s_lshl_b64 s[24:25], s[34:35], 2
	s_mul_i32 s20, s33, s18
	s_add_u32 s3, s10, s24
	s_addc_u32 s24, s11, s25
	s_lshl_b64 s[20:21], s[20:21], 2
	s_add_u32 s40, s3, s20
	s_movk_i32 s3, 0xf8
	s_addc_u32 s41, s24, s21
	s_lshl_b32 s26, s15, 7
	s_movk_i32 s24, 0x100
	v_mov_b32_e32 v67, 0
	v_lshlrev_b32_e32 v66, 4, v76
	v_cmp_gt_u32_e32 vcc, s24, v0
	v_lshl_or_b32 v30, v25, 3, v4
	s_mov_b32 s57, 0
	s_mul_i32 s60, s47, s12
	v_or_b32_e32 v88, 0x4000, v30
	s_movk_i32 s22, 0x4000
	v_or_b32_e32 v91, 0x6000, v30
	v_add_u32_e32 v126, v73, v34
	s_movk_i32 s35, 0x2000
	s_movk_i32 s62, 0x3000
	v_mov_b32_e32 v131, 0x3fb8aa3b
	s_mov_b32 s64, 0
	v_mov_b32_e32 v30, v67
	s_waitcnt vmcnt(1)
	v_perm_b32 v35, v6, v14, s58
	s_waitcnt vmcnt(0)
	v_perm_b32 v36, v10, v18, s58
	v_perm_b32 v6, v6, v14, s59
	;; [unrolled: 1-line block ×15, first 2 shown]
	ds_write2st64_b32 v5, v35, v36 offset0:128 offset1:160
	ds_write2st64_b32 v22, v6, v10 offset0:128 offset1:160
	ds_write2st64_b32 v24, v14, v18 offset0:129 offset1:161
	ds_write2st64_b32 v26, v7, v11 offset0:129 offset1:161
	ds_write2st64_b32 v29, v15, v19 offset0:130 offset1:162
	ds_write2st64_b32 v31, v8, v12 offset0:130 offset1:162
	ds_write2st64_b32 v32, v16, v20 offset0:131 offset1:163
	ds_write2st64_b32 v33, v9, v13 offset0:131 offset1:163
	v_lshlrev_b32_e32 v5, 8, v25
	v_or_b32_e32 v92, v5, v27
	v_or_b32_e32 v93, v5, v28
	;; [unrolled: 1-line block ×3, first 2 shown]
	v_lshl_or_b32 v6, v5, 3, v4
	v_lshlrev_b32_e32 v5, 8, v5
	v_or_b32_e32 v96, v5, v27
	v_or_b32_e32 v97, v5, v28
	;; [unrolled: 1-line block ×5, first 2 shown]
	v_lshl_or_b32 v6, v5, 3, v4
	v_lshlrev_b32_e32 v5, 8, v5
	v_or_b32_e32 v100, v5, v27
	v_or_b32_e32 v101, v5, v28
	;; [unrolled: 1-line block ×3, first 2 shown]
	v_lshlrev_b32_e32 v5, 3, v5
	v_lshrrev_b32_e32 v7, 5, v74
	v_and_or_b32 v7, v5, s3, v7
	v_lshlrev_b32_e32 v7, 4, v7
	v_lshlrev_b32_e32 v10, 11, v72
	v_and_b32_e32 v5, 0x78, v5
	v_or_b32_e32 v13, 32, v7
	v_or_b32_e32 v98, 0x4000, v6
	;; [unrolled: 1-line block ×3, first 2 shown]
	v_and_b32_e32 v6, 0x1000, v10
	v_xor_b32_e32 v8, v7, v5
	v_lshrrev_b32_e32 v11, 1, v0
	v_xor_b32_e32 v13, v13, v5
	v_or_b32_e32 v8, v8, v6
	v_and_b32_e32 v9, 8, v11
	v_lshlrev_b32_e32 v12, 8, v75
	v_or_b32_e32 v13, v13, v6
	v_xor_b32_e32 v102, v8, v9
	v_or_b32_e32 v8, v12, v23
	v_xor_b32_e32 v104, v13, v9
	v_or_b32_e32 v13, 64, v7
	v_or_b32_e32 v7, 0x60, v7
	s_ashr_i32 s3, s2, 31
	v_lshlrev_b32_e32 v8, 1, v8
	v_xor_b32_e32 v13, v13, v5
	v_xor_b32_e32 v5, v7, v5
	s_lshl_b64 s[20:21], s[2:3], 8
	v_or_b32_e32 v103, 0x4000, v8
	v_or_b32_e32 v105, 0x4080, v8
	;; [unrolled: 1-line block ×10, first 2 shown]
	s_waitcnt lgkmcnt(0)
	s_add_u32 s20, s36, s20
	v_lshlrev_b32_e32 v8, 1, v76
	v_xor_b32_e32 v108, v13, v9
	v_xor_b32_e32 v109, v5, v9
	v_lshrrev_b32_e32 v14, 4, v0
	s_addc_u32 s21, s37, s21
	v_or_b32_e32 v9, 1, v8
	v_mov_b32_e32 v18, 0xa000
	v_mov_b32_e32 v19, 0x8000
	v_xor_b32_e32 v15, v14, v8
	v_xor_b32_e32 v16, v9, v14
	v_lshl_add_u64 v[8:9], s[20:21], 0, v[66:67]
	v_lshlrev_b32_e32 v66, 8, v14
	v_cndmask_b32_e32 v18, v18, v19, vcc
	v_lshlrev_b32_e32 v19, 3, v72
	v_and_b32_e32 v11, 24, v11
	v_lshl_or_b32 v114, v15, 3, v66
	v_and_b32_e32 v15, 8, v0
	v_xor_b32_e32 v20, v19, v11
	v_or_b32_e32 v21, 0x440, v20
	v_cmp_eq_u32_e32 vcc, 0, v15
	v_and_b32_e32 v14, 7, v0
	v_lshl_or_b32 v115, v16, 3, v66
	v_cndmask_b32_e32 v15, v21, v20, vcc
	v_lshlrev_b32_e32 v16, 3, v14
	v_lshlrev_b32_e32 v14, 7, v14
	v_or_b32_e32 v15, v15, v10
	v_lshlrev_b32_e32 v17, 2, v0
	v_xad_u32 v116, v15, v16, v14
	v_or_b32_e32 v15, 32, v11
	v_and_or_b32 v12, v17, 60, v12
	v_xor_b32_e32 v15, v19, v15
	v_lshlrev_b32_e32 v12, 1, v12
	v_or_b32_e32 v17, 0x440, v15
	v_or_b32_e32 v117, 0x6000, v12
	v_cndmask_b32_e32 v15, v17, v15, vcc
	v_or_b32_e32 v119, 0x6080, v12
	v_or_b32_e32 v120, 0x6100, v12
	;; [unrolled: 1-line block ×5, first 2 shown]
	v_xor_b32_e32 v12, v19, v12
	v_xad_u32 v118, v15, v16, v14
	v_xor_b32_e32 v15, 0x440, v12
	v_cndmask_b32_e32 v12, v15, v12, vcc
	v_or_b32_e32 v11, 0x60, v11
	v_or_b32_e32 v12, v12, v10
	v_xor_b32_e32 v11, v19, v11
	v_xad_u32 v122, v12, v16, v14
	v_xor_b32_e32 v12, 0x440, v11
	v_cndmask_b32_e32 v11, v12, v11, vcc
	v_or_b32_e32 v6, s2, v76
	v_or_b32_e32 v10, v11, v10
	v_ashrrev_i32_e32 v7, 31, v6
	v_lshlrev_b32_e32 v5, 1, v3
	v_add_lshl_u32 v3, v3, s15, 1
	v_or_b32_e32 v13, 0x100, v2
	v_xad_u32 v123, v10, v16, v14
	v_cndmask_b32_e64 v124, v5, v2, s[0:1]
	v_cndmask_b32_e64 v125, v3, v13, s[0:1]
	v_lshl_add_u64 v[68:69], v[6:7], 1, s[8:9]
	v_lshl_add_u64 v[70:71], v[8:9], 0, v[66:67]
	s_mov_b32 s3, 0x7060302
	v_lshlrev_b32_e32 v66, 1, v4
	v_add_u32_e32 v127, v18, v116
	v_add_u32_e32 v128, v18, v118
	;; [unrolled: 1-line block ×4, first 2 shown]
	v_mov_b32_e32 v26, v67
	v_mov_b32_e32 v27, v67
	;; [unrolled: 1-line block ×31, first 2 shown]
	s_barrier
.LBB238_6:                              ; =>This Inner Loop Header: Depth=1
	s_add_i32 s63, s64, 1
	s_cmp_lt_i32 s63, s48
	s_mov_b64 s[24:25], 0
	s_cselect_b64 s[42:43], -1, 0
	s_cmp_ge_i32 s63, s48
	s_mov_b64 s[20:21], 0
	s_cbranch_scc1 .LBB238_8
; %bb.7:                                ;   in Loop: Header=BB238_6 Depth=1
	s_add_i32 s0, s57, 64
	s_add_u32 s0, s38, s0
	s_addc_u32 s1, s39, 0
	s_lshl_b64 s[0:1], s[0:1], 8
	s_add_u32 s20, s6, s0
	s_addc_u32 s21, s7, s1
.LBB238_8:                              ;   in Loop: Header=BB238_6 Depth=1
	v_cndmask_b32_e64 v34, 0, 1, s[42:43]
	v_cmp_ne_u32_e64 s[0:1], 1, v34
	s_andn2_b64 vcc, exec, s[42:43]
	s_cbranch_vccnz .LBB238_10
; %bb.9:                                ;   in Loop: Header=BB238_6 Depth=1
	s_add_i32 s24, s57, 64
	s_add_u32 s24, s60, s24
	s_addc_u32 s25, s61, 0
	s_mul_i32 s27, s24, s49
	s_mul_hi_u32 s42, s24, s53
	s_add_i32 s27, s42, s27
	s_mul_i32 s25, s25, s53
	s_add_i32 s27, s27, s25
	s_mul_i32 s24, s24, s53
	s_add_u32 s24, s24, s52
	s_addc_u32 s25, s27, s55
	s_lshl_b64 s[24:25], s[24:25], 8
	s_add_u32 s24, s4, s24
	s_addc_u32 s25, s5, s25
.LBB238_10:                             ;   in Loop: Header=BB238_6 Depth=1
	v_perm_b32 v35, v33, v32, s3
	v_perm_b32 v34, v31, v30, s3
	v_perm_b32 v37, v29, v28, s3
	v_perm_b32 v36, v27, v26, s3
	ds_write_b64 v86, v[34:35]
	ds_write_b64 v87, v[36:37]
	ds_write_b64 v89, v[34:35]
	ds_write_b64 v90, v[36:37]
	v_perm_b32 v35, v25, v24, s3
	v_perm_b32 v34, v23, v22, s3
	v_perm_b32 v37, v21, v20, s3
	v_perm_b32 v36, v19, v18, s3
	ds_write_b64 v88, v[34:35]
	ds_write_b64 v91, v[36:37]
	ds_write_b64 v92, v[34:35]
	ds_write_b64 v93, v[36:37]
	v_perm_b32 v35, v17, v16, s3
	v_perm_b32 v34, v15, v14, s3
	v_perm_b32 v37, v13, v12, s3
	v_perm_b32 v36, v11, v10, s3
	ds_write_b64 v94, v[34:35]
	ds_write_b64 v95, v[36:37]
	ds_write_b64 v96, v[34:35]
	ds_write_b64 v97, v[36:37]
	v_perm_b32 v35, v5, v4, s3
	v_perm_b32 v34, v3, v2, s3
	v_perm_b32 v37, v9, v8, s3
	v_perm_b32 v36, v7, v6, s3
	ds_write_b64 v98, v[34:35]
	ds_write_b64 v99, v[36:37]
	ds_write_b64 v100, v[34:35]
	ds_write_b64 v101, v[36:37]
	s_waitcnt lgkmcnt(0)
	s_barrier
	ds_read_b64 v[38:39], v102 offset:49152
	ds_read2_b64 v[34:37], v103 offset1:16
	ds_read_b64 v[50:51], v105 offset:6144
	ds_read_b64 v[52:53], v103 offset:6144
	s_waitcnt lgkmcnt(2)
	v_mfma_f32_16x16x16_bf16 a[0:3], v[38:39], v[34:35], 0
	ds_read_b64 v[54:55], v104 offset:49152
	ds_read2st64_b64 v[42:45], v106 offset0:4 offset1:8
	ds_read2st64_b64 v[46:49], v107 offset0:4 offset1:8
	v_mfma_f32_16x16x16_bf16 a[4:7], v[38:39], v[36:37], 0
	ds_read2_b64 v[34:37], v103 offset0:32 offset1:48
	s_add_i32 s27, s57, 63
	s_mul_i32 s42, s27, s31
	s_waitcnt lgkmcnt(0)
	v_mfma_f32_16x16x16_bf16 a[8:11], v[38:39], v[34:35], 0
	s_mul_hi_u32 s43, s27, s30
	s_add_i32 s43, s43, s42
	s_mul_i32 s42, s27, s30
	v_mfma_f32_16x16x16_bf16 a[12:15], v[38:39], v[36:37], 0
	ds_read2st64_b64 v[34:37], v103 offset0:4 offset1:8
	ds_read2st64_b64 v[38:41], v105 offset0:4 offset1:8
	s_lshl_b64 s[42:43], s[42:43], 2
	s_waitcnt lgkmcnt(1)
	v_mfma_f32_16x16x16_bf16 a[0:3], v[54:55], v[34:35], a[0:3]
	s_add_u32 s42, s40, s42
	s_addc_u32 s43, s41, s43
	s_and_b64 vcc, exec, s[0:1]
	s_waitcnt lgkmcnt(0)
	v_mfma_f32_16x16x16_bf16 a[4:7], v[54:55], v[38:39], a[4:7]
	v_mov_b32_e32 v134, 0
	v_mov_b32_e32 v133, 0
	;; [unrolled: 1-line block ×3, first 2 shown]
	v_mfma_f32_16x16x16_bf16 a[8:11], v[54:55], v[42:43], a[8:11]
	ds_read_b64 v[34:35], v108 offset:49152
	ds_read_b64 v[38:39], v109 offset:49152
	;; [unrolled: 1-line block ×3, first 2 shown]
	v_mfma_f32_16x16x16_bf16 a[12:15], v[54:55], v[46:47], a[12:15]
	v_mov_b32_e32 v46, 0
	v_mov_b32_e32 v47, 0
	s_waitcnt lgkmcnt(2)
	v_mfma_f32_16x16x16_bf16 a[0:3], v[34:35], v[36:37], a[0:3]
	v_mov_b32_e32 v36, 0
	v_mov_b32_e32 v37, 0
	v_mfma_f32_16x16x16_bf16 a[16:19], v[34:35], v[40:41], a[4:7]
	v_mov_b32_e32 v40, 0
	v_mov_b32_e32 v41, 0
	;; [unrolled: 3-line block ×3, first 2 shown]
	v_mfma_f32_16x16x16_bf16 a[24:27], v[34:35], v[48:49], a[12:15]
	ds_read_b64 v[34:35], v106 offset:6144
	v_mov_b32_e32 v48, 0
	v_mov_b32_e32 v49, 0
	s_waitcnt lgkmcnt(2)
	v_mfma_f32_16x16x16_bf16 a[4:7], v[38:39], v[52:53], a[0:3]
	v_mfma_f32_16x16x16_bf16 a[8:11], v[38:39], v[50:51], a[16:19]
	s_waitcnt lgkmcnt(0)
	v_mfma_f32_16x16x16_bf16 a[12:15], v[38:39], v[34:35], a[20:23]
	v_mov_b32_e32 v34, 0
	v_mov_b32_e32 v35, 0
	v_mfma_f32_16x16x16_bf16 a[0:3], v[38:39], v[42:43], a[24:27]
	v_mov_b32_e32 v38, 0
	v_mov_b32_e32 v39, 0
	;; [unrolled: 1-line block ×4, first 2 shown]
	s_cbranch_vccnz .LBB238_12
; %bb.11:                               ;   in Loop: Header=BB238_6 Depth=1
	s_and_b32 s21, s21, 0xffff
	buffer_load_dwordx4 v[46:49], v82, s[20:23], 0 offen
	buffer_load_dwordx4 v[42:45], v82, s[20:23], s56 offen
	;; [unrolled: 1-line block ×4, first 2 shown]
	v_mov_b32_e32 v133, v84
	v_mov_b32_e32 v132, v85
.LBB238_12:                             ;   in Loop: Header=BB238_6 Depth=1
	ds_read_b64 v[136:137], v102 offset:57344
	ds_read2_b64 v[50:53], v110 offset1:16
	ds_read_b64 v[138:139], v104 offset:57344
	ds_read_b64 v[140:141], v108 offset:57344
	;; [unrolled: 1-line block ×3, first 2 shown]
	v_add_u32_e32 v135, s57, v126
	s_waitcnt lgkmcnt(3)
	v_mfma_f32_16x16x16_bf16 a[4:7], v[136:137], v[50:51], a[4:7]
	v_mfma_f32_16x16x16_bf16 a[8:11], v[136:137], v[52:53], a[8:11]
	ds_read2_b64 v[50:53], v110 offset0:32 offset1:48
	ds_read2st64_b64 v[54:57], v110 offset0:4 offset1:8
	ds_read2st64_b64 v[58:61], v111 offset0:4 offset1:8
	;; [unrolled: 1-line block ×3, first 2 shown]
	s_waitcnt lgkmcnt(3)
	v_mfma_f32_16x16x16_bf16 a[12:15], v[136:137], v[50:51], a[12:15]
	v_ashrrev_i32_e32 v50, 31, v135
	v_mfma_f32_16x16x16_bf16 a[0:3], v[136:137], v[52:53], a[0:3]
	v_mul_lo_u32 v52, v50, s30
	v_mul_lo_u32 v53, v135, s31
	v_mad_u64_u32 v[50:51], s[20:21], v135, s30, 0
	v_add3_u32 v51, v51, v53, v52
	v_add_u32_e32 v52, 1, v135
	v_ashrrev_i32_e32 v53, 31, v52
	s_waitcnt lgkmcnt(2)
	v_mfma_f32_16x16x16_bf16 a[4:7], v[138:139], v[54:55], a[4:7]
	v_mul_lo_u32 v54, v53, s30
	v_mul_lo_u32 v55, v52, s31
	v_mad_u64_u32 v[52:53], s[20:21], v52, s30, 0
	v_add3_u32 v53, v53, v55, v54
	v_add_u32_e32 v54, 2, v135
	v_ashrrev_i32_e32 v55, 31, v54
	s_waitcnt lgkmcnt(1)
	v_mfma_f32_16x16x16_bf16 a[8:11], v[138:139], v[58:59], a[8:11]
	v_mul_lo_u32 v58, v55, s30
	v_mul_lo_u32 v59, v54, s31
	v_mad_u64_u32 v[54:55], s[20:21], v54, s30, 0
	v_lshl_add_u64 v[50:51], v[50:51], 2, s[40:41]
	v_add3_u32 v55, v55, v59, v58
	v_add_u32_e32 v58, 3, v135
	v_ashrrev_i32_e32 v59, 31, v58
	global_load_dword v136, v[50:51], off
	v_mad_u64_u32 v[50:51], s[20:21], v58, s30, 0
	v_mul_lo_u32 v59, v59, s30
	v_mul_lo_u32 v135, v58, s31
	s_add_u32 s20, s38, s57
	v_add3_u32 v51, v51, v135, v59
	s_addc_u32 s21, s39, 0
	v_lshl_add_u64 v[52:53], v[52:53], 2, s[40:41]
	v_lshl_add_u64 v[54:55], v[54:55], 2, s[40:41]
	;; [unrolled: 1-line block ×3, first 2 shown]
	s_lshl_b64 s[20:21], s[20:21], 8
	global_load_dword v135, v[52:53], off
	global_load_dword v137, v[54:55], off
	;; [unrolled: 1-line block ×3, first 2 shown]
	v_lshl_add_u64 v[50:51], v[68:69], 0, s[20:21]
	v_lshl_add_u64 v[54:55], v[50:51], 0, v[66:67]
	global_load_ushort v145, v[54:55], off offset:256
	global_load_ushort v146, v[54:55], off
	ds_read2st64_b64 v[50:53], v113 offset0:4 offset1:8
	global_load_ushort v147, v[54:55], off offset:768
	global_load_ushort v148, v[54:55], off offset:512
	s_waitcnt lgkmcnt(1)
	v_mfma_f32_16x16x16_bf16 a[12:15], v[138:139], v[62:63], a[12:15]
	s_and_b64 vcc, exec, s[0:1]
	s_waitcnt vmcnt(3)
	v_lshlrev_b32_e32 v63, 16, v145
	s_waitcnt lgkmcnt(0)
	v_mfma_f32_16x16x16_bf16 a[0:3], v[138:139], v[50:51], a[0:3]
	global_load_ushort v138, v[54:55], off offset:288
	global_load_ushort v139, v[54:55], off offset:32
	;; [unrolled: 1-line block ×8, first 2 shown]
	v_mfma_f32_16x16x16_bf16 a[4:7], v[140:141], v[56:57], a[4:7]
	ds_read_b64 v[50:51], v110 offset:6144
	s_waitcnt vmcnt(10)
	v_lshlrev_b32_e32 v62, 16, v146
	v_mfma_f32_16x16x16_bf16 a[8:11], v[140:141], v[60:61], a[8:11]
	v_mfma_f32_16x16x16_bf16 a[12:15], v[140:141], v[64:65], a[12:15]
	v_mfma_f32_16x16x16_bf16 a[0:3], v[140:141], v[52:53], a[0:3]
	global_load_ushort v140, v[54:55], off offset:352
	global_load_ushort v141, v[54:55], off offset:96
	ds_read_b64 v[52:53], v111 offset:6144
	ds_read_b64 v[56:57], v112 offset:6144
	;; [unrolled: 1-line block ×3, first 2 shown]
	global_load_ushort v155, v[54:55], off offset:864
	global_load_ushort v156, v[54:55], off offset:608
	s_load_dword s20, s[42:43], 0x0
	s_waitcnt lgkmcnt(0)
	v_mfma_f32_16x16x16_bf16 a[4:7], v[142:143], v[50:51], a[4:7]
	v_sub_f32_e32 v60, s20, v137
	v_mfma_f32_16x16x16_bf16 a[0:3], v[142:143], v[58:59], a[0:3]
	v_sub_f32_e32 v58, s20, v136
	v_sub_f32_e32 v59, s20, v135
	;; [unrolled: 1-line block ×3, first 2 shown]
	v_mul_f32_e32 v58, 0x3fb8aa3b, v58
	v_mul_f32_e32 v59, 0x3fb8aa3b, v59
	;; [unrolled: 1-line block ×4, first 2 shown]
	v_mfma_f32_16x16x16_bf16 a[8:11], v[142:143], v[52:53], a[8:11]
	v_exp_f32_e32 v58, v58
	v_exp_f32_e32 v59, v59
	;; [unrolled: 1-line block ×4, first 2 shown]
	v_accvgpr_read_b32 v65, a5
	v_accvgpr_read_b32 v64, a4
	;; [unrolled: 1-line block ×4, first 2 shown]
	v_pk_add_f32 v[62:63], v[62:63], v[64:65] neg_lo:[0,1] neg_hi:[0,1]
	s_waitcnt vmcnt(13)
	v_lshlrev_b32_e32 v65, 16, v147
	s_waitcnt vmcnt(12)
	v_lshlrev_b32_e32 v64, 16, v148
	v_pk_add_f32 v[50:51], v[64:65], v[50:51] neg_lo:[0,1] neg_hi:[0,1]
	v_pk_mul_f32 v[62:63], v[58:59], v[62:63]
	v_pk_mul_f32 v[50:51], v[60:61], v[50:51]
	v_accvgpr_read_b32 v65, a9
	v_perm_b32 v51, v51, v50, s3
	v_perm_b32 v50, v63, v62, s3
	v_accvgpr_read_b32 v64, a8
	v_accvgpr_read_b32 v53, a11
	v_mfma_f32_16x16x16_bf16 a[12:15], v[142:143], v[56:57], a[12:15]
	v_accvgpr_read_b32 v52, a10
	v_accvgpr_read_b32 v57, a3
	;; [unrolled: 1-line block ×3, first 2 shown]
	v_mov_b32_e32 v135, 0
	s_waitcnt vmcnt(11)
	v_lshlrev_b32_e32 v63, 16, v138
	s_waitcnt vmcnt(10)
	v_lshlrev_b32_e32 v62, 16, v139
	v_pk_add_f32 v[62:63], v[62:63], v[64:65] neg_lo:[0,1] neg_hi:[0,1]
	s_waitcnt vmcnt(9)
	v_lshlrev_b32_e32 v65, 16, v149
	s_waitcnt vmcnt(8)
	v_lshlrev_b32_e32 v64, 16, v150
	v_pk_add_f32 v[52:53], v[64:65], v[52:53] neg_lo:[0,1] neg_hi:[0,1]
	v_pk_mul_f32 v[62:63], v[58:59], v[62:63]
	v_pk_mul_f32 v[52:53], v[60:61], v[52:53]
	v_accvgpr_read_b32 v55, a15
	v_perm_b32 v53, v53, v52, s3
	v_perm_b32 v52, v63, v62, s3
	ds_write2_b64 v87, v[50:51], v[52:53] offset1:16
	v_accvgpr_read_b32 v53, a13
	s_waitcnt vmcnt(7)
	v_lshlrev_b32_e32 v51, 16, v151
	s_waitcnt vmcnt(6)
	v_lshlrev_b32_e32 v50, 16, v152
	v_accvgpr_read_b32 v52, a12
	v_accvgpr_read_b32 v54, a14
	v_pk_add_f32 v[50:51], v[50:51], v[52:53] neg_lo:[0,1] neg_hi:[0,1]
	s_waitcnt vmcnt(5)
	v_lshlrev_b32_e32 v53, 16, v153
	s_waitcnt vmcnt(4)
	v_lshlrev_b32_e32 v52, 16, v154
	v_pk_add_f32 v[52:53], v[52:53], v[54:55] neg_lo:[0,1] neg_hi:[0,1]
	v_pk_mul_f32 v[50:51], v[58:59], v[50:51]
	v_pk_mul_f32 v[52:53], v[60:61], v[52:53]
	v_accvgpr_read_b32 v55, a1
	v_perm_b32 v53, v53, v52, s3
	v_perm_b32 v52, v51, v50, s3
	s_waitcnt vmcnt(3)
	v_lshlrev_b32_e32 v51, 16, v140
	s_waitcnt vmcnt(2)
	v_lshlrev_b32_e32 v50, 16, v141
	v_accvgpr_read_b32 v54, a0
	v_pk_add_f32 v[50:51], v[50:51], v[54:55] neg_lo:[0,1] neg_hi:[0,1]
	s_waitcnt vmcnt(1)
	v_lshlrev_b32_e32 v55, 16, v155
	s_waitcnt vmcnt(0)
	v_lshlrev_b32_e32 v54, 16, v156
	v_pk_add_f32 v[54:55], v[54:55], v[56:57] neg_lo:[0,1] neg_hi:[0,1]
	v_pk_mul_f32 v[50:51], v[58:59], v[50:51]
	v_pk_mul_f32 v[54:55], v[60:61], v[54:55]
	v_mov_b32_e32 v56, 0
	v_perm_b32 v55, v55, v54, s3
	v_perm_b32 v54, v51, v50, s3
	ds_write2_b64 v87, v[52:53], v[54:55] offset0:32 offset1:48
	v_mov_b32_e32 v50, 0
	v_mov_b32_e32 v51, 0
	v_mov_b32_e32 v52, 0
	v_mov_b32_e32 v53, 0
	v_mov_b32_e32 v54, 0
	v_mov_b32_e32 v55, 0
	v_mov_b32_e32 v57, 0
	v_mov_b32_e32 v58, 0
	v_mov_b32_e32 v59, 0
	v_mov_b32_e32 v60, 0
	v_mov_b32_e32 v61, 0
	v_mov_b32_e32 v62, 0
	v_mov_b32_e32 v63, 0
	v_mov_b32_e32 v64, 0
	v_mov_b32_e32 v65, 0
	s_cbranch_vccnz .LBB238_14
; %bb.13:                               ;   in Loop: Header=BB238_6 Depth=1
	s_and_b32 s25, s25, 0xffff
	s_mov_b32 s27, s23
	buffer_load_dwordx4 v[62:65], v124, s[24:27], 0 offen
	buffer_load_dwordx4 v[54:57], v124, s[24:27], s56 offen
	;; [unrolled: 1-line block ×4, first 2 shown]
	v_mov_b32_e32 v134, v81
	v_mov_b32_e32 v135, v80
.LBB238_14:                             ;   in Loop: Header=BB238_6 Depth=1
	s_waitcnt lgkmcnt(0)
	s_barrier
	ds_read_b64 v[144:145], v127
	ds_read2_b64 v[136:139], v117 offset1:16
	ds_read_b64 v[160:161], v128
	ds_read_b64 v[162:163], v129
	;; [unrolled: 1-line block ×3, first 2 shown]
	ds_read2_b64 v[140:143], v117 offset0:32 offset1:48
	s_waitcnt lgkmcnt(4)
	v_mfma_f32_16x16x16_bf16 a[0:3], v[144:145], v[136:137], 0
	ds_read2st64_b64 v[148:151], v119 offset0:4 offset1:8
	ds_read2st64_b64 v[152:155], v120 offset0:4 offset1:8
	;; [unrolled: 1-line block ×3, first 2 shown]
	v_mfma_f32_16x16x16_bf16 a[4:7], v[144:145], v[138:139], 0
	s_add_i32 s21, s50, s64
	s_mul_hi_i32 s25, s21, s13
	s_mul_i32 s21, s21, s13
	s_waitcnt lgkmcnt(3)
	v_mfma_f32_16x16x16_bf16 a[8:11], v[144:145], v[140:141], 0
	s_add_u32 s24, s21, s33
	s_addc_u32 s25, s25, s54
	s_lshl_b64 s[24:25], s[24:25], 15
	v_mfma_f32_16x16x16_bf16 a[12:15], v[144:145], v[142:143], 0
	ds_read2st64_b64 v[144:147], v117 offset0:4 offset1:8
	s_waitcnt lgkmcnt(0)
	v_mfma_f32_16x16x16_bf16 a[0:3], v[160:161], v[144:145], a[0:3]
	v_mfma_f32_16x16x16_bf16 a[4:7], v[160:161], v[148:149], a[4:7]
	;; [unrolled: 1-line block ×8, first 2 shown]
	ds_read_b64 v[160:161], v117 offset:6144
	ds_read_b64 v[162:163], v118 offset:40960
	;; [unrolled: 1-line block ×8, first 2 shown]
	s_waitcnt lgkmcnt(5)
	v_mfma_f32_16x16x16_bf16 a[16:19], v[166:167], v[136:137], 0
	v_mfma_f32_16x16x16_bf16 a[20:23], v[166:167], v[138:139], 0
	ds_read2st64_b64 v[136:139], v114 offset1:8
	v_mfma_f32_16x16x16_bf16 a[24:27], v[166:167], v[140:141], 0
	v_mfma_f32_16x16x16_bf16 a[28:31], v[166:167], v[142:143], 0
	ds_read2st64_b64 v[140:143], v115 offset1:8
	v_mfma_f32_16x16x16_bf16 a[16:19], v[162:163], v[144:145], a[16:19]
	s_waitcnt lgkmcnt(1)
	v_mov_b32_e32 v144, v136
	v_mov_b32_e32 v145, v137
	v_mfma_f32_16x16x16_bf16 a[20:23], v[162:163], v[148:149], a[20:23]
	v_lshl_add_u64 v[148:149], v[70:71], 0, s[24:25]
	v_mfma_f32_16x16x16_bf16 a[24:27], v[162:163], v[152:153], a[24:27]
	v_mfma_f32_16x16x16_bf16 a[28:31], v[162:163], v[156:157], a[28:31]
	;; [unrolled: 1-line block ×3, first 2 shown]
	s_waitcnt lgkmcnt(0)
	v_mov_b32_e32 v146, v140
	v_mov_b32_e32 v147, v141
	;; [unrolled: 1-line block ×3, first 2 shown]
	v_mfma_f32_16x16x16_bf16 a[32:35], v[174:175], v[150:151], a[20:23]
	v_mov_b32_e32 v141, v139
	ds_read2st64_b64 v[136:139], v114 offset0:16 offset1:24
	global_store_dwordx4 v[148:149], v[144:147], off
	v_mfma_f32_16x16x16_bf16 a[24:27], v[174:175], v[154:155], a[24:27]
	ds_read2st64_b64 v[144:147], v115 offset0:16 offset1:24
	v_add_co_u32_e32 v150, vcc, s35, v148
	v_mfma_f32_16x16x16_bf16 a[28:31], v[174:175], v[158:159], a[28:31]
	s_nop 0
	v_addc_co_u32_e32 v151, vcc, 0, v149, vcc
	global_store_dwordx4 v[150:151], v[140:143], off offset:-4096
	v_mfma_f32_16x16x16_bf16 a[0:3], v[164:165], v[160:161], a[0:3]
	s_waitcnt lgkmcnt(1)
	v_mov_b32_e32 v140, v136
	v_add_co_u32_e32 v136, vcc, s62, v148
	v_mfma_f32_16x16x16_bf16 a[4:7], v[164:165], v[168:169], a[4:7]
	v_mov_b32_e32 v141, v137
	v_addc_co_u32_e32 v137, vcc, 0, v149, vcc
	v_mfma_f32_16x16x16_bf16 a[8:11], v[164:165], v[170:171], a[8:11]
	s_waitcnt lgkmcnt(0)
	v_mov_b32_e32 v142, v144
	v_mov_b32_e32 v143, v145
	;; [unrolled: 1-line block ×3, first 2 shown]
	v_mfma_f32_16x16x16_bf16 a[12:15], v[164:165], v[172:173], a[12:15]
	v_mov_b32_e32 v145, v139
	s_and_b64 vcc, exec, s[0:1]
	global_store_dwordx4 v[150:151], v[140:143], off
	v_mfma_f32_16x16x16_bf16 a[20:23], v[176:177], v[160:161], a[16:19]
	global_store_dwordx4 v[136:137], v[144:147], off
	v_mfma_f32_16x16x16_bf16 a[16:19], v[176:177], v[168:169], a[32:35]
	v_mfma_f32_16x16x16_bf16 a[24:27], v[176:177], v[170:171], a[24:27]
	;; [unrolled: 1-line block ×3, first 2 shown]
	s_cbranch_vccnz .LBB238_16
; %bb.15:                               ;   in Loop: Header=BB238_6 Depth=1
	v_lshrrev_b32_e32 v136, 3, v134
	v_and_b32_e32 v136, 6, v136
	v_xor_b32_e32 v135, v136, v135
	v_lshlrev_b32_e32 v135, 2, v135
	v_and_b32_e32 v134, 8, v134
	v_xor_b32_e32 v137, 0x440, v135
	v_cmp_eq_u32_e32 vcc, 0, v134
	s_barrier
	s_nop 0
	v_cndmask_b32_e32 v134, v137, v135, vcc
	v_lshl_or_b32 v134, v136, 10, v134
	s_waitcnt vmcnt(5)
	v_perm_b32 v135, v62, v58, s58
	s_waitcnt vmcnt(4)
	v_perm_b32 v136, v54, v50, s58
	ds_write2st64_b32 v134, v135, v136 offset0:128 offset1:160
	v_xor_b32_e32 v135, 8, v134
	v_perm_b32 v58, v62, v58, s59
	v_perm_b32 v50, v54, v50, s59
	v_add_u32_e32 v54, 0x80, v135
	ds_write2st64_b32 v54, v58, v50 offset0:128 offset1:160
	v_xor_b32_e32 v50, 16, v134
	v_perm_b32 v54, v63, v59, s58
	v_perm_b32 v58, v55, v51, s58
	ds_write2st64_b32 v50, v54, v58 offset0:129 offset1:161
	v_xor_b32_e32 v50, 24, v134
	v_perm_b32 v54, v63, v59, s59
	v_perm_b32 v51, v55, v51, s59
	v_add_u32_e32 v50, 0x80, v50
	ds_write2st64_b32 v50, v54, v51 offset0:129 offset1:161
	v_xor_b32_e32 v50, 32, v134
	v_perm_b32 v51, v64, v60, s58
	;; [unrolled: 9-line block ×3, first 2 shown]
	v_perm_b32 v52, v57, v53, s58
	ds_write2st64_b32 v50, v51, v52 offset0:131 offset1:163
	v_xor_b32_e32 v50, 56, v134
	v_perm_b32 v51, v65, v61, s59
	v_perm_b32 v52, v57, v53, s59
	v_add_u32_e32 v50, 0x80, v50
	ds_write2st64_b32 v50, v51, v52 offset0:131 offset1:163
	ds_write_b64 v133, v[46:47] offset:49152
	v_xor_b32_e32 v46, 8, v133
	ds_write_b64 v46, v[48:49] offset:49152
	ds_write_b64 v133, v[42:43] offset:57344
	;; [unrolled: 1-line block ×4, first 2 shown]
	v_xor_b32_e32 v38, 8, v132
	ds_write_b64 v38, v[40:41] offset:49152
	ds_write_b64 v132, v[34:35] offset:57344
	;; [unrolled: 1-line block ×3, first 2 shown]
.LBB238_16:                             ;   in Loop: Header=BB238_6 Depth=1
	s_waitcnt vmcnt(6)
	v_mul_f32_e32 v54, s20, v131
	v_exp_f32_e32 v132, v54
	v_accvgpr_read_b32 v37, a3
	v_accvgpr_read_b32 v41, a7
	v_accvgpr_read_b32 v45, a11
	v_accvgpr_read_b32 v49, a15
	s_waitcnt vmcnt(4)
	v_accvgpr_read_b32 v53, a23
	v_accvgpr_read_b32 v57, a19
	;; [unrolled: 1-line block ×28, first 2 shown]
	s_add_i32 s57, s57, 64
	v_pk_fma_f32 v[30:31], v[132:133], v[30:31], v[34:35] op_sel_hi:[0,1,1]
	v_pk_fma_f32 v[32:33], v[132:133], v[32:33], v[36:37] op_sel_hi:[0,1,1]
	;; [unrolled: 1-line block ×15, first 2 shown]
	s_cmp_eq_u32 s48, s63
	v_pk_fma_f32 v[8:9], v[132:133], v[8:9], v[64:65] op_sel_hi:[0,1,1]
	s_cbranch_scc1 .LBB238_18
; %bb.17:                               ;   in Loop: Header=BB238_6 Depth=1
	s_mov_b32 s64, s63
	s_branch .LBB238_6
.LBB238_18:
	s_lshl_b32 s42, s48, 6
	s_sub_i32 s43, s12, s42
	s_cmp_gt_i32 s43, 0
	v_or_b32_e32 v50, s2, v76
	s_cbranch_scc1 .LBB238_20
; %bb.19:
	s_ashr_i32 s0, s33, 31
	s_add_u32 s24, s45, s33
	s_addc_u32 s25, s51, s0
	v_or_b32_e32 v34, s2, v76
	s_cbranch_execz .LBB238_21
	s_branch .LBB238_101
.LBB238_20:
                                        ; implicit-def: $sgpr24_sgpr25
                                        ; implicit-def: $vgpr34
.LBB238_21:
	s_ashr_i32 s35, s47, 31
	s_ashr_i32 s3, s42, 31
	s_cmpk_lg_i32 s15, 0x80
	s_cselect_b64 s[38:39], -1, 0
	s_and_b64 vcc, exec, s[38:39]
	s_cbranch_vccz .LBB238_23
; %bb.22:
	s_mul_i32 s1, s47, s12
	s_mul_hi_i32 s0, s47, s12
	s_add_u32 s1, s1, s42
	s_addc_u32 s0, s0, s3
	s_mul_i32 s20, s1, s49
	s_mul_hi_u32 s21, s1, s14
	s_add_i32 s20, s21, s20
	s_mul_i32 s0, s0, s14
	s_add_i32 s20, s20, s0
	s_mul_i32 s1, s1, s14
	s_ashr_i32 s0, s52, 31
	s_add_u32 s40, s1, s52
	s_addc_u32 s41, s20, s0
	s_cbranch_execz .LBB238_24
	s_branch .LBB238_25
.LBB238_23:
                                        ; implicit-def: $sgpr40_sgpr41
.LBB238_24:
	s_mul_hi_i32 s0, s47, s14
	s_mul_i32 s47, s47, s14
	s_ashr_i32 s1, s52, 31
	s_add_u32 s14, s47, s52
	s_addc_u32 s0, s0, s1
	s_mul_i32 s1, s14, s46
	s_mul_hi_u32 s20, s14, s12
	s_add_i32 s1, s20, s1
	s_mul_i32 s0, s0, s12
	s_add_i32 s1, s1, s0
	s_mul_i32 s14, s14, s12
	s_add_u32 s40, s14, s42
	s_addc_u32 s41, s1, s3
.LBB238_25:
	s_add_i32 s20, s50, s48
	s_ashr_i32 s14, s33, 31
	s_add_u32 s24, s45, s33
	s_addc_u32 s25, s51, s14
	s_mul_i32 s0, s24, s46
	s_mul_hi_u32 s1, s24, s12
	s_add_i32 s0, s1, s0
	s_mul_i32 s1, s25, s12
	s_add_i32 s1, s0, s1
	s_mul_i32 s0, s24, s12
	s_add_u32 s0, s0, s42
	v_lshlrev_b32_e32 v38, 6, v1
	v_lshlrev_b32_e32 v58, 2, v76
	s_addc_u32 s1, s1, s3
	s_mov_b32 s3, 0x7060302
	v_or_b32_e32 v41, v38, v58
	v_xor_b32_e32 v39, v1, v58
	v_perm_b32 v35, v33, v32, s3
	v_perm_b32 v34, v31, v30, s3
	v_perm_b32 v37, v29, v28, s3
	v_perm_b32 v36, v27, v26, s3
	v_lshlrev_b32_e32 v41, 1, v41
	v_xor_b32_e32 v40, v79, v58
	ds_write2st64_b64 v41, v[34:35], v[36:37] offset0:32 offset1:48
	v_lshlrev_b32_e32 v39, 1, v39
	v_lshlrev_b32_e32 v41, 8, v76
	v_or_b32_e32 v42, v39, v41
	v_lshlrev_b32_e32 v40, 1, v40
	ds_write_b64 v42, v[34:35]
	v_or_b32_e32 v34, v40, v41
	v_or_b32_e32 v41, 16, v76
	v_lshlrev_b32_e32 v57, 2, v41
	v_or_b32_e32 v42, v38, v57
	ds_write_b64 v34, v[36:37]
	v_perm_b32 v35, v25, v24, s3
	v_perm_b32 v34, v23, v22, s3
	;; [unrolled: 1-line block ×4, first 2 shown]
	v_lshlrev_b32_e32 v42, 1, v42
	v_lshlrev_b32_e32 v41, 8, v41
	ds_write2st64_b64 v42, v[34:35], v[36:37] offset0:32 offset1:48
	v_or_b32_e32 v42, v39, v41
	ds_write_b64 v42, v[34:35]
	v_or_b32_e32 v34, v40, v41
	v_or_b32_e32 v41, 32, v76
	v_lshlrev_b32_e32 v56, 2, v41
	v_or_b32_e32 v42, v38, v56
	ds_write_b64 v34, v[36:37]
	v_perm_b32 v35, v17, v16, s3
	v_perm_b32 v34, v15, v14, s3
	;; [unrolled: 1-line block ×4, first 2 shown]
	v_lshlrev_b32_e32 v42, 1, v42
	v_lshlrev_b32_e32 v41, 8, v41
	s_lshl_b64 s[26:27], s[0:1], 8
	ds_write2st64_b64 v42, v[34:35], v[36:37] offset0:32 offset1:48
	v_or_b32_e32 v42, v39, v41
	s_add_u32 s0, s6, s26
	ds_write_b64 v42, v[34:35]
	v_or_b32_e32 v34, v40, v41
	s_addc_u32 s1, s7, s27
	ds_write_b64 v34, v[36:37]
	v_perm_b32 v35, v5, v4, s3
	v_perm_b32 v34, v3, v2, s3
	;; [unrolled: 1-line block ×4, first 2 shown]
	v_or_b32_e32 v41, 48, v76
	s_mul_hi_i32 s3, s20, s13
	s_mul_i32 s20, s20, s13
	v_lshlrev_b32_e32 v53, 2, v41
	s_add_u32 s6, s20, s33
	v_or_b32_e32 v38, v38, v53
	s_addc_u32 s7, s3, s14
	v_lshlrev_b32_e32 v38, 1, v38
	s_ashr_i32 s3, s2, 31
	s_lshl_b64 s[6:7], s[6:7], 15
	ds_write2st64_b64 v38, v[34:35], v[36:37] offset0:32 offset1:48
	v_lshlrev_b32_e32 v38, 8, v41
	s_waitcnt lgkmcnt(0)
	s_add_u32 s6, s36, s6
	v_or_b32_e32 v39, v39, v38
	s_addc_u32 s7, s37, s7
	s_lshl_b64 s[2:3], s[2:3], 8
	ds_write_b64 v39, v[34:35]
	v_or_b32_e32 v34, v40, v38
	s_add_u32 s2, s6, s2
	v_lshlrev_b32_e32 v35, 1, v76
	ds_write_b64 v34, v[36:37]
	v_lshrrev_b32_e32 v34, 4, v0
	s_addc_u32 s3, s7, s3
	v_or_b32_e32 v36, 1, v35
	v_lshlrev_b32_e32 v42, 4, v76
	v_mov_b32_e32 v43, 0
	v_xor_b32_e32 v35, v34, v35
	v_xor_b32_e32 v38, v36, v34
	v_lshl_add_u64 v[44:45], s[2:3], 0, v[42:43]
	v_lshlrev_b32_e32 v42, 8, v34
	v_lshl_or_b32 v48, v35, 3, v42
	v_lshl_or_b32 v49, v38, 3, v42
	s_waitcnt lgkmcnt(0)
	s_barrier
	ds_read2st64_b64 v[34:37], v48 offset1:8
	ds_read2st64_b64 v[38:41], v49 offset1:8
	v_lshl_add_u64 v[46:47], v[44:45], 0, v[42:43]
	s_movk_i32 s2, 0x2000
	s_cmp_lg_u32 s43, 64
	s_waitcnt lgkmcnt(1)
	v_mov_b32_e32 v42, v34
	v_mov_b32_e32 v43, v35
	s_waitcnt lgkmcnt(0)
	v_mov_b32_e32 v44, v38
	v_mov_b32_e32 v45, v39
	global_store_dwordx4 v[46:47], v[42:45], off
	v_mov_b32_e32 v38, v36
	v_mov_b32_e32 v39, v37
	ds_read2st64_b64 v[34:37], v48 offset0:16 offset1:24
	ds_read2st64_b64 v[42:45], v49 offset0:16 offset1:24
	v_add_co_u32_e32 v48, vcc, s2, v46
	s_cselect_b64 s[6:7], -1, 0
	s_nop 0
	v_addc_co_u32_e32 v49, vcc, 0, v47, vcc
	global_store_dwordx4 v[48:49], v[38:41], off offset:-4096
	v_lshl_or_b32 v51, v72, 3, v78
	s_mov_b32 s20, 0
	s_waitcnt lgkmcnt(1)
	v_mov_b32_e32 v38, v34
	v_add_co_u32_e32 v34, vcc, 0x3000, v46
	v_mov_b32_e32 v39, v35
	s_nop 0
	v_addc_co_u32_e32 v35, vcc, 0, v47, vcc
	s_waitcnt lgkmcnt(0)
	v_mov_b32_e32 v40, v42
	v_mov_b32_e32 v41, v43
	;; [unrolled: 1-line block ×4, first 2 shown]
	v_or_b32_e32 v54, 32, v51
	v_and_b32_e32 v52, 56, v77
	s_and_b64 vcc, exec, s[6:7]
	global_store_dwordx4 v[48:49], v[38:41], off
	global_store_dwordx4 v[34:35], v[42:45], off
	s_cbranch_vccz .LBB238_31
; %bb.26:
	s_mov_b32 s22, s20
	s_mov_b32 s23, s20
	;; [unrolled: 1-line block ×3, first 2 shown]
	v_mov_b64_e32 v[40:41], s[22:23]
	v_mov_b64_e32 v[38:39], s[20:21]
	;; [unrolled: 1-line block ×3, first 2 shown]
	v_cmp_gt_i32_e32 vcc, s43, v51
	v_mov_b64_e32 v[36:37], v[40:41]
	s_and_saveexec_b64 s[2:3], vcc
	s_cbranch_execz .LBB238_28
; %bb.27:
	v_lshlrev_b32_e32 v34, 8, v51
	v_mov_b32_e32 v35, 0
	v_lshl_add_u64 v[36:37], s[0:1], 0, v[34:35]
	v_lshlrev_b32_e32 v34, 1, v52
	v_lshl_add_u64 v[42:43], v[36:37], 0, v[34:35]
	global_load_dwordx4 v[38:41], v[42:43], off
	global_load_dwordx4 v[34:37], v[42:43], off offset:128
.LBB238_28:
	s_or_b64 exec, exec, s[2:3]
	s_mov_b32 s22, s20
	s_mov_b32 s23, s20
	;; [unrolled: 1-line block ×3, first 2 shown]
	v_mov_b64_e32 v[48:49], s[22:23]
	v_mov_b64_e32 v[46:47], s[20:21]
	;; [unrolled: 1-line block ×3, first 2 shown]
	v_cmp_gt_i32_e32 vcc, s43, v54
	v_lshlrev_b32_e32 v55, 7, v54
	v_mov_b64_e32 v[44:45], v[48:49]
	s_and_saveexec_b64 s[2:3], vcc
	s_cbranch_execz .LBB238_30
; %bb.29:
	v_lshlrev_b32_e32 v42, 1, v55
	v_mov_b32_e32 v43, 0
	v_lshl_add_u64 v[44:45], s[0:1], 0, v[42:43]
	v_lshlrev_b32_e32 v42, 1, v52
	v_lshl_add_u64 v[60:61], v[44:45], 0, v[42:43]
	global_load_dwordx4 v[46:49], v[60:61], off
	global_load_dwordx4 v[42:45], v[60:61], off offset:128
.LBB238_30:
	s_or_b64 exec, exec, s[2:3]
	v_lshrrev_b32_e32 v59, 3, v52
	v_lshlrev_b32_e32 v60, 3, v51
	v_or_b32_e32 v59, v60, v59
	v_lshlrev_b32_e32 v59, 4, v59
	v_and_b32_e32 v60, 0x78, v60
	v_xor_b32_e32 v59, v59, v60
	s_branch .LBB238_33
.LBB238_31:
                                        ; implicit-def: $vgpr59
                                        ; implicit-def: $vgpr55
                                        ; implicit-def: $vgpr38_vgpr39_vgpr40_vgpr41
                                        ; implicit-def: $vgpr34_vgpr35_vgpr36_vgpr37
                                        ; implicit-def: $vgpr46_vgpr47_vgpr48_vgpr49
                                        ; implicit-def: $vgpr42_vgpr43_vgpr44_vgpr45
	s_cbranch_execz .LBB238_33
; %bb.32:
	s_waitcnt vmcnt(0)
	v_lshlrev_b32_e32 v34, 1, v52
	v_lshl_or_b32 v55, v51, 8, v34
	s_and_b32 s1, s1, 0xffff
	s_mov_b32 s3, 0x20000
	s_movk_i32 s2, 0x4000
	v_lshl_or_b32 v59, v54, 8, v34
	s_movk_i32 s13, 0x80
	buffer_load_dwordx4 v[38:41], v55, s[0:3], 0 offen
	buffer_load_dwordx4 v[34:37], v55, s[0:3], s13 offen
	;; [unrolled: 1-line block ×4, first 2 shown]
	v_lshrrev_b32_e32 v55, 3, v52
	v_lshlrev_b32_e32 v59, 3, v51
	v_or_b32_e32 v55, v59, v55
	v_lshlrev_b32_e32 v55, 4, v55
	v_and_b32_e32 v59, 0x78, v59
	v_xor_b32_e32 v59, v55, v59
	v_lshlrev_b32_e32 v55, 7, v54
.LBB238_33:
	s_movk_i32 s0, 0x1000
	v_and_or_b32 v54, v55, s0, v59
	s_waitcnt vmcnt(1)
	ds_write_b64 v59, v[38:39] offset:49152
	v_xor_b32_e32 v38, 8, v59
	ds_write_b64 v38, v[40:41] offset:49152
	s_waitcnt vmcnt(0)
	ds_write_b64 v59, v[34:35] offset:57344
	ds_write_b64 v38, v[36:37] offset:57344
	;; [unrolled: 1-line block ×3, first 2 shown]
	v_xor_b32_e32 v34, 8, v54
	ds_write_b64 v34, v[48:49] offset:49152
	ds_write_b64 v54, v[42:43] offset:57344
	;; [unrolled: 1-line block ×3, first 2 shown]
	v_or_b32_e32 v34, v73, v76
	v_lshlrev_b32_e32 v34, 3, v34
	v_lshrrev_b32_e32 v35, 5, v74
	s_movk_i32 s0, 0xf8
	v_and_or_b32 v35, v34, s0, v35
	v_lshlrev_b32_e32 v39, 4, v35
	v_lshlrev_b32_e32 v59, 11, v72
	v_and_b32_e32 v40, 0x78, v34
	v_or_b32_e32 v42, 32, v39
	v_and_b32_e32 v38, 0x1000, v59
	v_lshrrev_b32_e32 v35, 1, v74
	v_xor_b32_e32 v42, v42, v40
	v_xor_b32_e32 v34, v39, v40
	v_and_b32_e32 v41, 8, v35
	v_or_b32_e32 v42, v42, v38
	v_or_b32_e32 v34, v34, v38
	v_xor_b32_e32 v65, v42, v41
	v_or_b32_e32 v42, 64, v39
	v_xor_b32_e32 v64, v34, v41
	v_xor_b32_e32 v42, v42, v40
	s_waitcnt lgkmcnt(0)
	s_barrier
	v_or_b32_e32 v45, v42, v38
	ds_read_b64 v[42:43], v64 offset:49152
	v_lshl_or_b32 v46, v75, 8, v58
	v_lshlrev_b32_e32 v60, 1, v46
	v_add_u32_e32 v44, 0x4000, v60
	ds_read2_b64 v[34:37], v44 offset1:16
	v_or_b32_e32 v39, 0x60, v39
	v_xor_b32_e32 v39, v39, v40
	v_or_b32_e32 v38, v39, v38
	v_xor_b32_e32 v66, v45, v41
	v_xor_b32_e32 v67, v38, v41
	ds_read_b64 v[54:55], v65 offset:49152
	ds_read_b64 v[68:69], v66 offset:49152
	;; [unrolled: 1-line block ×3, first 2 shown]
	s_waitcnt lgkmcnt(3)
	v_mfma_f32_16x16x16_bf16 a[0:3], v[42:43], v[34:35], 0
	ds_read2_b64 v[38:41], v44 offset0:32 offset1:48
	s_lshl_b64 s[0:1], s[40:41], 8
	s_add_u32 s4, s4, s0
	v_mfma_f32_16x16x16_bf16 a[4:7], v[42:43], v[36:37], 0
	ds_read2st64_b64 v[34:37], v60 offset0:36 offset1:40
	s_addc_u32 s5, s5, s1
	s_add_i32 s2, s12, -1
	s_waitcnt lgkmcnt(1)
	v_mfma_f32_16x16x16_bf16 a[8:11], v[42:43], v[38:39], 0
	v_or_b32_e32 v38, 64, v46
	v_lshlrev_b32_e32 v61, 1, v38
	s_add_i32 s0, s44, s17
	s_waitcnt lgkmcnt(0)
	v_mfma_f32_16x16x16_bf16 a[0:3], v[54:55], v[34:35], a[0:3]
	v_or_b32_e32 v34, 0x80, v46
	v_lshlrev_b32_e32 v62, 1, v34
	v_or_b32_e32 v34, 0xc0, v46
	v_mfma_f32_16x16x16_bf16 a[12:15], v[42:43], v[40:41], 0
	ds_read2st64_b64 v[38:41], v61 offset0:36 offset1:40
	v_lshlrev_b32_e32 v63, 1, v34
	ds_read2st64_b64 v[42:45], v62 offset0:36 offset1:40
	ds_read2st64_b64 v[46:49], v63 offset0:36 offset1:40
	s_mul_i32 s35, s35, s16
	s_add_i32 s35, s0, s35
	s_mul_i32 s0, s33, s19
	s_mul_hi_u32 s1, s33, s18
	s_ashr_i32 s3, s2, 31
	s_mul_i32 s12, s2, s31
	s_mul_hi_u32 s13, s2, s30
	s_waitcnt lgkmcnt(2)
	v_mfma_f32_16x16x16_bf16 a[4:7], v[54:55], v[38:39], a[4:7]
	s_add_i32 s0, s1, s0
	s_mul_i32 s1, s14, s18
	s_add_i32 s12, s13, s12
	s_mul_i32 s3, s3, s30
	s_waitcnt lgkmcnt(1)
	v_mfma_f32_16x16x16_bf16 a[8:11], v[54:55], v[42:43], a[8:11]
	s_add_i32 s1, s0, s1
	s_add_i32 s3, s12, s3
	s_lshl_b64 s[12:13], s[34:35], 2
	s_waitcnt lgkmcnt(0)
	v_mfma_f32_16x16x16_bf16 a[12:15], v[54:55], v[46:47], a[12:15]
	s_mul_i32 s0, s33, s18
	s_add_u32 s10, s10, s12
	s_addc_u32 s11, s11, s13
	s_lshl_b64 s[0:1], s[0:1], 2
	v_mfma_f32_16x16x16_bf16 a[0:3], v[68:69], v[36:37], a[0:3]
	s_mul_i32 s2, s2, s30
	ds_read_b64 v[34:35], v60 offset:22528
	s_add_u32 s10, s10, s0
	v_mfma_f32_16x16x16_bf16 a[4:7], v[68:69], v[40:41], a[4:7]
	ds_read_b64 v[36:37], v61 offset:22528
	ds_read_b64 v[38:39], v62 offset:22528
	;; [unrolled: 1-line block ×3, first 2 shown]
	s_addc_u32 s11, s11, s1
	s_lshl_b64 s[0:1], s[2:3], 2
	v_mfma_f32_16x16x16_bf16 a[8:11], v[68:69], v[44:45], a[8:11]
	s_add_u32 s0, s10, s0
	s_addc_u32 s1, s11, s1
	s_load_dword s12, s[0:1], 0x0
	v_mfma_f32_16x16x16_bf16 a[12:15], v[68:69], v[48:49], a[12:15]
	s_and_b64 vcc, exec, s[38:39]
	s_waitcnt lgkmcnt(0)
	v_mfma_f32_16x16x16_bf16 a[0:3], v[70:71], v[34:35], a[0:3]
	v_mfma_f32_16x16x16_bf16 a[4:7], v[70:71], v[36:37], a[4:7]
	;; [unrolled: 1-line block ×4, first 2 shown]
	s_cbranch_vccz .LBB238_44
; %bb.34:
	v_lshlrev_b32_e32 v54, 1, v51
	s_and_b64 vcc, exec, s[6:7]
	s_cbranch_vccz .LBB238_45
; %bb.35:
	v_cmp_gt_i32_e32 vcc, s43, v54
	v_mov_b32_e32 v38, 0
	v_mov_b32_e32 v34, 0
	;; [unrolled: 1-line block ×5, first 2 shown]
	s_and_saveexec_b64 s[0:1], vcc
	s_cbranch_execz .LBB238_37
; %bb.36:
	v_mad_i64_i32 v[34:35], s[2:3], s15, v54, 0
	v_lshl_add_u64 v[34:35], v[34:35], 1, s[4:5]
	v_lshlrev_b32_e32 v36, 1, v52
	v_mov_b32_e32 v37, 0
	v_lshl_add_u64 v[34:35], v[34:35], 0, v[36:37]
	global_load_dwordx4 v[34:37], v[34:35], off
.LBB238_37:
	s_or_b64 exec, exec, s[0:1]
	v_or_b32_e32 v55, 1, v54
	v_cmp_gt_i32_e64 s[0:1], s43, v55
	v_mov_b32_e32 v39, 0
	v_mov_b32_e32 v40, 0
	;; [unrolled: 1-line block ×3, first 2 shown]
	s_and_saveexec_b64 s[2:3], s[0:1]
	s_cbranch_execz .LBB238_39
; %bb.38:
	v_mad_i64_i32 v[38:39], s[16:17], s15, v55, 0
	v_lshl_add_u64 v[38:39], v[38:39], 1, s[4:5]
	v_lshlrev_b32_e32 v40, 1, v52
	v_mov_b32_e32 v41, 0
	v_lshl_add_u64 v[38:39], v[38:39], 0, v[40:41]
	global_load_dwordx4 v[38:41], v[38:39], off
.LBB238_39:
	s_or_b64 exec, exec, s[2:3]
	v_mov_b32_e32 v49, 0
	v_mov_b32_e32 v42, 0
	;; [unrolled: 1-line block ×5, first 2 shown]
	s_and_saveexec_b64 s[2:3], vcc
	s_cbranch_execz .LBB238_41
; %bb.40:
	v_mad_i64_i32 v[42:43], s[16:17], s15, v54, 0
	v_lshl_add_u64 v[42:43], v[42:43], 1, s[4:5]
	v_lshlrev_b32_e32 v44, 1, v52
	v_mov_b32_e32 v45, 0
	v_lshl_add_u64 v[42:43], v[42:43], 0, v[44:45]
	global_load_dwordx4 v[42:45], v[42:43], off offset:128
.LBB238_41:
	s_or_b64 exec, exec, s[2:3]
	v_mov_b32_e32 v48, 0
	v_mov_b32_e32 v47, 0
	v_mov_b32_e32 v46, 0
	s_and_saveexec_b64 s[2:3], s[0:1]
	s_cbranch_execz .LBB238_43
; %bb.42:
	v_mad_i64_i32 v[46:47], s[0:1], s15, v55, 0
	v_lshl_add_u64 v[46:47], v[46:47], 1, s[4:5]
	v_lshlrev_b32_e32 v48, 1, v52
	v_mov_b32_e32 v49, 0
	v_lshl_add_u64 v[46:47], v[46:47], 0, v[48:49]
	global_load_dwordx4 v[46:49], v[46:47], off offset:128
.LBB238_43:
	s_or_b64 exec, exec, s[2:3]
	s_branch .LBB238_47
.LBB238_44:
                                        ; implicit-def: $vgpr37
                                        ; implicit-def: $vgpr41
                                        ; implicit-def: $vgpr45
                                        ; implicit-def: $vgpr49
	v_lshrrev_b32_e32 v68, 2, v74
	s_branch .LBB238_48
.LBB238_45:
                                        ; implicit-def: $vgpr37
                                        ; implicit-def: $vgpr41
                                        ; implicit-def: $vgpr45
                                        ; implicit-def: $vgpr49
	s_cbranch_execz .LBB238_47
; %bb.46:
	s_waitcnt vmcnt(0)
	v_mad_u64_u32 v[34:35], s[0:1], v54, s15, v[52:53]
	v_lshlrev_b32_e32 v54, 1, v34
	s_lshl_b32 s2, s15, 7
	s_and_b32 s1, s5, 0xffff
	s_mov_b32 s3, 0x20000
	s_mov_b32 s0, s4
	v_add_lshl_u32 v55, v34, s15, 1
	s_movk_i32 s13, 0x80
	buffer_load_dwordx4 v[34:37], v54, s[0:3], 0 offen
	buffer_load_dwordx4 v[42:45], v54, s[0:3], s13 offen
	;; [unrolled: 1-line block ×4, first 2 shown]
.LBB238_47:
	v_lshrrev_b32_e32 v68, 2, v74
	s_cbranch_execnz .LBB238_60
.LBB238_48:
	s_and_b64 vcc, exec, s[6:7]
	s_cbranch_vccz .LBB238_58
; %bb.49:
	s_waitcnt vmcnt(0)
	v_lshlrev_b32_e32 v39, 1, v51
	v_cmp_gt_i32_e32 vcc, s43, v39
	v_mov_b32_e32 v38, 0
	v_lshlrev_b32_e32 v46, 9, v51
	v_mov_b32_e32 v34, 0
	v_mov_b32_e32 v35, 0
	;; [unrolled: 1-line block ×4, first 2 shown]
	s_and_saveexec_b64 s[0:1], vcc
	s_cbranch_execz .LBB238_51
; %bb.50:
	v_mov_b32_e32 v47, 0
	v_lshl_add_u64 v[34:35], s[4:5], 0, v[46:47]
	v_lshlrev_b32_e32 v36, 1, v52
	v_mov_b32_e32 v37, v47
	v_lshl_add_u64 v[34:35], v[34:35], 0, v[36:37]
	global_load_dwordx4 v[34:37], v[34:35], off
.LBB238_51:
	s_or_b64 exec, exec, s[0:1]
	v_or_b32_e32 v39, 1, v39
	v_cmp_gt_i32_e64 s[0:1], s43, v39
	v_lshlrev_b32_e32 v54, 8, v39
	v_mov_b32_e32 v39, 0
	v_mov_b32_e32 v40, 0
	;; [unrolled: 1-line block ×3, first 2 shown]
	s_and_saveexec_b64 s[2:3], s[0:1]
	s_cbranch_execz .LBB238_53
; %bb.52:
	v_mov_b32_e32 v55, 0
	v_lshl_add_u64 v[38:39], s[4:5], 0, v[54:55]
	v_lshlrev_b32_e32 v40, 1, v52
	v_mov_b32_e32 v41, v55
	v_lshl_add_u64 v[38:39], v[38:39], 0, v[40:41]
	global_load_dwordx4 v[38:41], v[38:39], off
.LBB238_53:
	s_or_b64 exec, exec, s[2:3]
	v_mov_b32_e32 v49, 0
	v_mov_b32_e32 v42, 0
	;; [unrolled: 1-line block ×5, first 2 shown]
	s_and_saveexec_b64 s[2:3], vcc
	s_cbranch_execz .LBB238_55
; %bb.54:
	v_mov_b32_e32 v47, 0
	v_lshl_add_u64 v[42:43], s[4:5], 0, v[46:47]
	v_lshlrev_b32_e32 v46, 1, v52
	v_lshl_add_u64 v[42:43], v[42:43], 0, v[46:47]
	global_load_dwordx4 v[42:45], v[42:43], off offset:128
.LBB238_55:
	s_or_b64 exec, exec, s[2:3]
	v_mov_b32_e32 v48, 0
	v_mov_b32_e32 v47, 0
	;; [unrolled: 1-line block ×3, first 2 shown]
	s_and_saveexec_b64 s[2:3], s[0:1]
	s_cbranch_execz .LBB238_57
; %bb.56:
	v_mov_b32_e32 v55, 0
	v_lshl_add_u64 v[46:47], s[4:5], 0, v[54:55]
	v_lshlrev_b32_e32 v54, 1, v52
	v_lshl_add_u64 v[46:47], v[46:47], 0, v[54:55]
	global_load_dwordx4 v[46:49], v[46:47], off offset:128
.LBB238_57:
	s_or_b64 exec, exec, s[2:3]
	s_branch .LBB238_60
.LBB238_58:
                                        ; implicit-def: $vgpr37
                                        ; implicit-def: $vgpr41
                                        ; implicit-def: $vgpr45
                                        ; implicit-def: $vgpr49
	s_cbranch_execz .LBB238_60
; %bb.59:
	s_waitcnt vmcnt(0)
	v_lshlrev_b32_e32 v34, 1, v52
	v_lshl_or_b32 v52, v51, 9, v34
	s_and_b32 s5, s5, 0xffff
	s_mov_b32 s7, 0x20000
	s_movk_i32 s6, 0x4000
	s_movk_i32 s0, 0x80
	buffer_load_dwordx4 v[34:37], v52, s[4:7], 0 offen
	buffer_load_dwordx4 v[38:41], v52, s[4:7], 0 offen offset:256
	buffer_load_dwordx4 v[42:45], v52, s[4:7], s0 offen
	buffer_load_dwordx4 v[46:49], v52, s[4:7], s0 offen offset:256
.LBB238_60:
	ds_read_b64 v[54:55], v64 offset:57344
	v_add_u32_e32 v52, 0x6000, v60
	ds_read2_b64 v[74:77], v52 offset1:16
	ds_read_b64 v[70:71], v65 offset:57344
	ds_read_b64 v[86:87], v66 offset:57344
	;; [unrolled: 1-line block ×3, first 2 shown]
	ds_read2_b64 v[64:67], v52 offset0:32 offset1:48
	v_and_b32_e32 v52, 6, v0
	v_xor_b32_e32 v51, v51, v52
	v_lshlrev_b32_e32 v51, 2, v51
	s_mov_b32 s0, 0x1000504
	s_mov_b32 s1, 0x3020706
	s_waitcnt lgkmcnt(4)
	v_mfma_f32_16x16x16_bf16 a[4:7], v[54:55], v[76:77], a[4:7]
	v_mfma_f32_16x16x16_bf16 a[0:3], v[54:55], v[74:75], a[0:3]
	ds_read2st64_b64 v[74:77], v60 offset0:52 offset1:56
	s_waitcnt lgkmcnt(1)
	v_mfma_f32_16x16x16_bf16 a[8:11], v[54:55], v[64:65], a[8:11]
	v_mfma_f32_16x16x16_bf16 a[12:15], v[54:55], v[66:67], a[12:15]
	ds_read2st64_b64 v[64:67], v61 offset0:52 offset1:56
	ds_read2st64_b64 v[78:81], v62 offset0:52 offset1:56
	ds_read2st64_b64 v[82:85], v63 offset0:52 offset1:56
	s_waitcnt lgkmcnt(2)
	v_mfma_f32_16x16x16_bf16 a[4:7], v[70:71], v[64:65], a[4:7]
	v_and_b32_e32 v64, 1, v0
	v_xor_b32_e32 v65, 0x440, v51
	v_cmp_eq_u32_e32 vcc, 0, v64
	v_mfma_f32_16x16x16_bf16 a[0:3], v[70:71], v[74:75], a[0:3]
	s_waitcnt vmcnt(0)
	v_perm_b32 v64, v42, v46, s0
	v_cndmask_b32_e32 v51, v65, v51, vcc
	v_lshl_or_b32 v51, v52, 10, v51
	s_waitcnt lgkmcnt(1)
	v_mfma_f32_16x16x16_bf16 a[8:11], v[70:71], v[78:79], a[8:11]
	v_perm_b32 v52, v34, v38, s0
	ds_read_b64 v[54:55], v60 offset:30720
	ds_read_b64 v[74:75], v61 offset:30720
	;; [unrolled: 1-line block ×4, first 2 shown]
	ds_write2st64_b32 v51, v52, v64 offset0:128 offset1:160
	s_waitcnt lgkmcnt(5)
	v_mfma_f32_16x16x16_bf16 a[12:15], v[70:71], v[82:83], a[12:15]
	v_xor_b32_e32 v52, 8, v51
	v_perm_b32 v34, v34, v38, s1
	v_perm_b32 v38, v42, v46, s1
	v_add_u32_e32 v42, 0x80, v52
	ds_write2st64_b32 v42, v34, v38 offset0:128 offset1:160
	v_xor_b32_e32 v34, 16, v51
	v_perm_b32 v38, v35, v39, s0
	v_perm_b32 v42, v43, v47, s0
	v_mfma_f32_16x16x16_bf16 a[0:3], v[86:87], v[76:77], a[0:3]
	ds_write2st64_b32 v34, v38, v42 offset0:129 offset1:161
	v_xor_b32_e32 v34, 24, v51
	v_perm_b32 v35, v35, v39, s1
	v_mfma_f32_16x16x16_bf16 a[4:7], v[86:87], v[66:67], a[4:7]
	v_perm_b32 v38, v43, v47, s1
	v_add_u32_e32 v34, 0x80, v34
	ds_write2st64_b32 v34, v35, v38 offset0:129 offset1:161
	v_mfma_f32_16x16x16_bf16 a[16:19], v[86:87], v[80:81], a[8:11]
	v_xor_b32_e32 v34, 32, v51
	v_perm_b32 v35, v36, v40, s0
	v_perm_b32 v38, v44, v48, s0
	v_mfma_f32_16x16x16_bf16 a[20:23], v[86:87], v[84:85], a[12:15]
	ds_write2st64_b32 v34, v35, v38 offset0:130 offset1:162
	v_xor_b32_e32 v34, 40, v51
	v_perm_b32 v35, v36, v40, s1
	s_waitcnt lgkmcnt(8)
	v_mfma_f32_16x16x16_bf16 a[12:15], v[88:89], v[54:55], a[0:3]
	v_perm_b32 v36, v44, v48, s1
	v_add_u32_e32 v34, 0x80, v34
	ds_write2st64_b32 v34, v35, v36 offset0:130 offset1:162
	s_waitcnt lgkmcnt(8)
	v_mfma_f32_16x16x16_bf16 a[8:11], v[88:89], v[74:75], a[4:7]
	v_xor_b32_e32 v34, 48, v51
	v_perm_b32 v35, v37, v41, s0
	v_perm_b32 v36, v45, v49, s0
	s_waitcnt lgkmcnt(7)
	v_mfma_f32_16x16x16_bf16 a[4:7], v[88:89], v[90:91], a[16:19]
	ds_write2st64_b32 v34, v35, v36 offset0:131 offset1:163
	v_xor_b32_e32 v34, 56, v51
	v_and_or_b32 v55, v68, 12, v73
	s_waitcnt lgkmcnt(7)
	v_mfma_f32_16x16x16_bf16 a[0:3], v[88:89], v[92:93], a[20:23]
	v_perm_b32 v35, v37, v41, s1
	v_perm_b32 v36, v45, v49, s1
	v_add_u32_e32 v34, 0x80, v34
	v_cmp_gt_i32_e32 vcc, s43, v55
	v_mov_b32_e32 v48, 0
	v_mov_b32_e32 v52, 0
	ds_write2st64_b32 v34, v35, v36 offset0:131 offset1:163
	s_and_saveexec_b64 s[0:1], vcc
	s_cbranch_execz .LBB238_62
; %bb.61:
	v_add_u32_e32 v34, s42, v55
	v_ashrrev_i32_e32 v35, 31, v34
	v_mul_lo_u32 v36, v35, s30
	v_mul_lo_u32 v37, v34, s31
	v_mad_u64_u32 v[34:35], s[2:3], v34, s30, 0
	v_add3_u32 v35, v35, v37, v36
	v_lshl_add_u64 v[34:35], v[34:35], 2, s[10:11]
	global_load_dword v34, v[34:35], off
	s_waitcnt vmcnt(0)
	v_sub_f32_e32 v34, s12, v34
	v_mul_f32_e32 v34, 0x3fb8aa3b, v34
	v_exp_f32_e32 v52, v34
.LBB238_62:
	s_or_b64 exec, exec, s[0:1]
	v_or_b32_e32 v40, 1, v55
	v_cmp_gt_i32_e64 s[0:1], s43, v40
	s_and_saveexec_b64 s[2:3], s[0:1]
	s_cbranch_execz .LBB238_64
; %bb.63:
	v_add_u32_e32 v34, s42, v40
	v_ashrrev_i32_e32 v35, 31, v34
	v_mul_lo_u32 v36, v35, s30
	v_mul_lo_u32 v37, v34, s31
	v_mad_u64_u32 v[34:35], s[4:5], v34, s30, 0
	v_add3_u32 v35, v35, v37, v36
	v_lshl_add_u64 v[34:35], v[34:35], 2, s[10:11]
	global_load_dword v34, v[34:35], off
	s_waitcnt vmcnt(0)
	v_sub_f32_e32 v34, s12, v34
	v_mul_f32_e32 v34, 0x3fb8aa3b, v34
	v_exp_f32_e32 v48, v34
.LBB238_64:
	s_or_b64 exec, exec, s[2:3]
	v_or_b32_e32 v41, 2, v55
	v_cmp_gt_i32_e64 s[2:3], s43, v41
	v_mov_b32_e32 v49, 0
	v_mov_b32_e32 v54, 0
	s_and_saveexec_b64 s[4:5], s[2:3]
	s_cbranch_execz .LBB238_66
; %bb.65:
	v_add_u32_e32 v34, s42, v41
	v_ashrrev_i32_e32 v35, 31, v34
	v_mul_lo_u32 v36, v35, s30
	v_mul_lo_u32 v37, v34, s31
	v_mad_u64_u32 v[34:35], s[6:7], v34, s30, 0
	v_add3_u32 v35, v35, v37, v36
	v_lshl_add_u64 v[34:35], v[34:35], 2, s[10:11]
	global_load_dword v34, v[34:35], off
	s_waitcnt vmcnt(0)
	v_sub_f32_e32 v34, s12, v34
	v_mul_f32_e32 v34, 0x3fb8aa3b, v34
	v_exp_f32_e32 v54, v34
.LBB238_66:
	s_or_b64 exec, exec, s[4:5]
	v_or_b32_e32 v64, 3, v55
	v_cmp_gt_i32_e64 s[4:5], s43, v64
	s_and_saveexec_b64 s[6:7], s[4:5]
	s_cbranch_execz .LBB238_68
; %bb.67:
	v_add_u32_e32 v34, s42, v64
	v_ashrrev_i32_e32 v35, 31, v34
	v_mul_lo_u32 v36, v35, s30
	v_mul_lo_u32 v37, v34, s31
	v_mad_u64_u32 v[34:35], s[14:15], v34, s30, 0
	v_add3_u32 v35, v35, v37, v36
	v_lshl_add_u64 v[34:35], v[34:35], 2, s[10:11]
	global_load_dword v34, v[34:35], off
	s_waitcnt vmcnt(0)
	v_sub_f32_e32 v34, s12, v34
	v_mul_f32_e32 v34, 0x3fb8aa3b, v34
	v_exp_f32_e32 v49, v34
.LBB238_68:
	s_or_b64 exec, exec, s[6:7]
	s_add_u32 s6, s8, s26
	v_accvgpr_read_b32 v37, a15
	s_addc_u32 s7, s9, s27
	v_ashrrev_i32_e32 v51, 31, v50
	v_accvgpr_read_b32 v36, a14
	v_accvgpr_read_b32 v35, a13
	;; [unrolled: 1-line block ×3, first 2 shown]
	v_lshl_add_u64 v[38:39], v[50:51], 1, s[6:7]
	v_mov_b32_e32 v45, 0
	v_lshlrev_b32_e32 v42, 8, v55
	v_mov_b32_e32 v43, 0
	s_and_saveexec_b64 s[6:7], vcc
	s_cbranch_execz .LBB238_70
; %bb.69:
	v_mov_b32_e32 v43, 0
	v_lshl_add_u64 v[46:47], v[38:39], 0, v[42:43]
	global_load_ushort v43, v[46:47], off
	s_waitcnt vmcnt(0)
	v_lshlrev_b32_e32 v43, 16, v43
	v_sub_f32_e32 v34, v43, v34
	v_mul_f32_e32 v34, v52, v34
	v_lshrrev_b32_e32 v43, 16, v34
.LBB238_70:
	s_or_b64 exec, exec, s[6:7]
	v_lshlrev_b32_e32 v44, 8, v40
	s_and_saveexec_b64 s[6:7], s[0:1]
	s_cbranch_execz .LBB238_72
; %bb.71:
	v_mov_b32_e32 v45, 0
	v_lshl_add_u64 v[46:47], v[38:39], 0, v[44:45]
	global_load_ushort v34, v[46:47], off
	s_waitcnt vmcnt(0)
	v_lshlrev_b32_e32 v34, 16, v34
	v_sub_f32_e32 v34, v34, v35
	v_mul_f32_e32 v34, v48, v34
	v_lshrrev_b32_e32 v45, 16, v34
.LBB238_72:
	s_or_b64 exec, exec, s[6:7]
	v_mov_b32_e32 v65, 0
	v_lshlrev_b32_e32 v46, 8, v41
	v_mov_b32_e32 v47, 0
	s_and_saveexec_b64 s[6:7], s[2:3]
	s_cbranch_execz .LBB238_74
; %bb.73:
	v_mov_b32_e32 v47, 0
	v_lshl_add_u64 v[34:35], v[38:39], 0, v[46:47]
	global_load_ushort v34, v[34:35], off
	s_waitcnt vmcnt(0)
	v_lshlrev_b32_e32 v34, 16, v34
	v_sub_f32_e32 v34, v34, v36
	v_mul_f32_e32 v34, v54, v34
	v_lshrrev_b32_e32 v47, 16, v34
.LBB238_74:
	s_or_b64 exec, exec, s[6:7]
	v_lshlrev_b32_e32 v40, 8, v64
	s_and_saveexec_b64 s[6:7], s[4:5]
	s_cbranch_execz .LBB238_76
; %bb.75:
	v_mov_b32_e32 v41, 0
	v_lshl_add_u64 v[34:35], v[38:39], 0, v[40:41]
	global_load_ushort v34, v[34:35], off
	s_waitcnt vmcnt(0)
	v_lshlrev_b32_e32 v34, 16, v34
	v_sub_f32_e32 v34, v34, v37
	v_mul_f32_e32 v34, v49, v34
	v_lshrrev_b32_e32 v65, 16, v34
.LBB238_76:
	s_or_b64 exec, exec, s[6:7]
	v_lshlrev_b32_e32 v51, 6, v55
	v_accvgpr_read_b32 v37, a11
	s_mov_b32 s6, 0x5040100
	v_or_b32_e32 v41, v51, v58
	v_accvgpr_read_b32 v36, a10
	v_accvgpr_read_b32 v35, a9
	;; [unrolled: 1-line block ×3, first 2 shown]
	v_perm_b32 v65, v65, v47, s6
	v_perm_b32 v64, v45, v43, s6
	v_lshlrev_b32_e32 v41, 1, v41
	v_mov_b32_e32 v45, 0
	v_mov_b32_e32 v43, 0
	ds_write_b64 v41, v[64:65] offset:24576
	s_and_saveexec_b64 s[6:7], vcc
	s_cbranch_execz .LBB238_78
; %bb.77:
	v_mov_b32_e32 v43, 0
	v_lshl_add_u64 v[64:65], v[38:39], 0, v[42:43]
	global_load_ushort v41, v[64:65], off offset:32
	s_waitcnt vmcnt(0)
	v_lshlrev_b32_e32 v41, 16, v41
	v_sub_f32_e32 v34, v41, v34
	v_mul_f32_e32 v34, v52, v34
	v_lshrrev_b32_e32 v43, 16, v34
.LBB238_78:
	s_or_b64 exec, exec, s[6:7]
	s_and_saveexec_b64 s[6:7], s[0:1]
	s_cbranch_execz .LBB238_80
; %bb.79:
	v_mov_b32_e32 v45, 0
	v_lshl_add_u64 v[64:65], v[38:39], 0, v[44:45]
	global_load_ushort v34, v[64:65], off offset:32
	s_waitcnt vmcnt(0)
	v_lshlrev_b32_e32 v34, 16, v34
	v_sub_f32_e32 v34, v34, v35
	v_mul_f32_e32 v34, v48, v34
	v_lshrrev_b32_e32 v45, 16, v34
.LBB238_80:
	s_or_b64 exec, exec, s[6:7]
	v_mov_b32_e32 v41, 0
	v_mov_b32_e32 v47, 0
	s_and_saveexec_b64 s[6:7], s[2:3]
	s_cbranch_execz .LBB238_82
; %bb.81:
	v_mov_b32_e32 v47, 0
	v_lshl_add_u64 v[34:35], v[38:39], 0, v[46:47]
	global_load_ushort v34, v[34:35], off offset:32
	s_waitcnt vmcnt(0)
	v_lshlrev_b32_e32 v34, 16, v34
	v_sub_f32_e32 v34, v34, v36
	v_mul_f32_e32 v34, v54, v34
	v_lshrrev_b32_e32 v47, 16, v34
.LBB238_82:
	s_or_b64 exec, exec, s[6:7]
	s_and_saveexec_b64 s[6:7], s[4:5]
	s_cbranch_execz .LBB238_84
; %bb.83:
	v_mov_b32_e32 v41, 0
	v_lshl_add_u64 v[34:35], v[38:39], 0, v[40:41]
	global_load_ushort v34, v[34:35], off offset:32
	s_waitcnt vmcnt(0)
	v_lshlrev_b32_e32 v34, 16, v34
	v_sub_f32_e32 v34, v34, v37
	v_mul_f32_e32 v34, v49, v34
	v_lshrrev_b32_e32 v41, 16, v34
.LBB238_84:
	s_or_b64 exec, exec, s[6:7]
	s_mov_b32 s6, 0x5040100
	v_accvgpr_read_b32 v37, a7
	v_perm_b32 v65, v41, v47, s6
	v_or_b32_e32 v41, v51, v57
	v_accvgpr_read_b32 v36, a6
	v_accvgpr_read_b32 v35, a5
	;; [unrolled: 1-line block ×3, first 2 shown]
	v_perm_b32 v64, v45, v43, s6
	v_lshlrev_b32_e32 v41, 1, v41
	v_mov_b32_e32 v45, 0
	v_mov_b32_e32 v43, 0
	ds_write_b64 v41, v[64:65] offset:24576
	s_and_saveexec_b64 s[6:7], vcc
	s_cbranch_execz .LBB238_86
; %bb.85:
	v_mov_b32_e32 v43, 0
	v_lshl_add_u64 v[64:65], v[38:39], 0, v[42:43]
	global_load_ushort v41, v[64:65], off offset:64
	s_waitcnt vmcnt(0)
	v_lshlrev_b32_e32 v41, 16, v41
	v_sub_f32_e32 v34, v41, v34
	v_mul_f32_e32 v34, v52, v34
	v_lshrrev_b32_e32 v43, 16, v34
.LBB238_86:
	s_or_b64 exec, exec, s[6:7]
	s_and_saveexec_b64 s[6:7], s[0:1]
	s_cbranch_execz .LBB238_88
; %bb.87:
	v_mov_b32_e32 v45, 0
	v_lshl_add_u64 v[64:65], v[38:39], 0, v[44:45]
	global_load_ushort v34, v[64:65], off offset:64
	s_waitcnt vmcnt(0)
	v_lshlrev_b32_e32 v34, 16, v34
	v_sub_f32_e32 v34, v34, v35
	v_mul_f32_e32 v34, v48, v34
	v_lshrrev_b32_e32 v45, 16, v34
.LBB238_88:
	s_or_b64 exec, exec, s[6:7]
	v_mov_b32_e32 v41, 0
	v_mov_b32_e32 v47, 0
	s_and_saveexec_b64 s[6:7], s[2:3]
	s_cbranch_execz .LBB238_90
; %bb.89:
	v_mov_b32_e32 v47, 0
	v_lshl_add_u64 v[34:35], v[38:39], 0, v[46:47]
	global_load_ushort v34, v[34:35], off offset:64
	s_waitcnt vmcnt(0)
	v_lshlrev_b32_e32 v34, 16, v34
	v_sub_f32_e32 v34, v34, v36
	v_mul_f32_e32 v34, v54, v34
	v_lshrrev_b32_e32 v47, 16, v34
.LBB238_90:
	s_or_b64 exec, exec, s[6:7]
	s_and_saveexec_b64 s[6:7], s[4:5]
	s_cbranch_execz .LBB238_92
; %bb.91:
	v_mov_b32_e32 v41, 0
	v_lshl_add_u64 v[34:35], v[38:39], 0, v[40:41]
	global_load_ushort v34, v[34:35], off offset:64
	s_waitcnt vmcnt(0)
	v_lshlrev_b32_e32 v34, 16, v34
	v_sub_f32_e32 v34, v34, v37
	v_mul_f32_e32 v34, v49, v34
	v_lshrrev_b32_e32 v41, 16, v34
.LBB238_92:
	s_or_b64 exec, exec, s[6:7]
	s_mov_b32 s6, 0x5040100
	v_accvgpr_read_b32 v37, a3
	v_perm_b32 v65, v41, v47, s6
	v_or_b32_e32 v41, v51, v56
	v_accvgpr_read_b32 v36, a2
	v_accvgpr_read_b32 v35, a1
	;; [unrolled: 1-line block ×3, first 2 shown]
	v_perm_b32 v64, v45, v43, s6
	v_lshlrev_b32_e32 v41, 1, v41
	v_mov_b32_e32 v45, 0
	v_mov_b32_e32 v43, 0
	ds_write_b64 v41, v[64:65] offset:24576
	s_and_saveexec_b64 s[6:7], vcc
	s_cbranch_execz .LBB238_94
; %bb.93:
	v_mov_b32_e32 v43, 0
	v_lshl_add_u64 v[42:43], v[38:39], 0, v[42:43]
	global_load_ushort v41, v[42:43], off offset:96
	s_waitcnt vmcnt(0)
	v_lshlrev_b32_e32 v41, 16, v41
	v_sub_f32_e32 v34, v41, v34
	v_mul_f32_e32 v34, v52, v34
	v_lshrrev_b32_e32 v43, 16, v34
.LBB238_94:
	s_or_b64 exec, exec, s[6:7]
	s_and_saveexec_b64 s[6:7], s[0:1]
	s_cbranch_execz .LBB238_96
; %bb.95:
	v_mov_b32_e32 v45, 0
	v_lshl_add_u64 v[44:45], v[38:39], 0, v[44:45]
	global_load_ushort v34, v[44:45], off offset:96
	s_waitcnt vmcnt(0)
	v_lshlrev_b32_e32 v34, 16, v34
	v_sub_f32_e32 v34, v34, v35
	v_mul_f32_e32 v34, v48, v34
	v_lshrrev_b32_e32 v45, 16, v34
.LBB238_96:
	s_or_b64 exec, exec, s[6:7]
	v_mov_b32_e32 v41, 0
	v_mov_b32_e32 v44, 0
	s_and_saveexec_b64 s[0:1], s[2:3]
	s_cbranch_execz .LBB238_98
; %bb.97:
	v_mov_b32_e32 v47, 0
	v_lshl_add_u64 v[34:35], v[38:39], 0, v[46:47]
	global_load_ushort v34, v[34:35], off offset:96
	s_waitcnt vmcnt(0)
	v_lshlrev_b32_e32 v34, 16, v34
	v_sub_f32_e32 v34, v34, v36
	v_mul_f32_e32 v34, v54, v34
	v_lshrrev_b32_e32 v44, 16, v34
.LBB238_98:
	s_or_b64 exec, exec, s[0:1]
	v_or_b32_e32 v42, 0x6000, v60
	v_or_b32_e32 v36, 0x6000, v61
	;; [unrolled: 1-line block ×4, first 2 shown]
	s_and_saveexec_b64 s[0:1], s[4:5]
	s_cbranch_execz .LBB238_100
; %bb.99:
	v_mov_b32_e32 v41, 0
	v_lshl_add_u64 v[38:39], v[38:39], 0, v[40:41]
	global_load_ushort v38, v[38:39], off offset:96
	s_waitcnt vmcnt(0)
	v_lshlrev_b32_e32 v38, 16, v38
	v_sub_f32_e32 v37, v38, v37
	v_mul_f32_e32 v37, v49, v37
	v_lshrrev_b32_e32 v41, 16, v37
.LBB238_100:
	s_or_b64 exec, exec, s[0:1]
	s_mov_b32 s0, 0x5040100
	v_or_b32_e32 v37, v51, v53
	v_perm_b32 v39, v41, v44, s0
	v_perm_b32 v38, v45, v43, s0
	v_lshlrev_b32_e32 v37, 1, v37
	s_movk_i32 s0, 0x100
	ds_write_b64 v37, v[38:39] offset:24576
	v_and_b32_e32 v37, 7, v0
	v_and_b32_e32 v38, 8, v0
	v_cmp_gt_u32_e32 vcc, s0, v0
	v_lshrrev_b32_e32 v0, 1, v0
	v_mov_b32_e32 v39, 0xa000
	v_mov_b32_e32 v40, 0x8000
	v_lshlrev_b32_e32 v58, 3, v72
	v_and_b32_e32 v0, 24, v0
	v_cndmask_b32_e32 v51, v39, v40, vcc
	v_xor_b32_e32 v39, v58, v0
	v_or_b32_e32 v40, 0x440, v39
	v_cmp_eq_u32_e32 vcc, 0, v38
	v_lshlrev_b32_e32 v43, 3, v37
	v_lshlrev_b32_e32 v37, 7, v37
	v_cndmask_b32_e32 v38, v40, v39, vcc
	v_or_b32_e32 v38, v38, v59
	v_xad_u32 v72, v38, v43, v37
	v_add_u32_e32 v38, v51, v72
	s_waitcnt lgkmcnt(0)
	s_barrier
	ds_read_b64 v[48:49], v38
	ds_read2_b64 v[38:41], v42 offset1:16
	ds_read2_b64 v[44:47], v42 offset0:32 offset1:48
	v_or_b32_e32 v52, 32, v0
	v_xor_b32_e32 v52, v58, v52
	v_or_b32_e32 v53, 0x440, v52
	v_cndmask_b32_e32 v52, v53, v52, vcc
	s_waitcnt lgkmcnt(1)
	v_mfma_f32_16x16x16_bf16 a[0:3], v[48:49], v[38:39], 0
	v_or_b32_e32 v52, v52, v59
	v_xad_u32 v73, v52, v43, v37
	v_add_u32_e32 v52, v51, v73
	v_mfma_f32_16x16x16_bf16 a[4:7], v[48:49], v[40:41], 0
	ds_read_b64 v[56:57], v52
	ds_read2st64_b64 v[60:63], v36 offset0:4 offset1:8
	ds_read2st64_b64 v[64:67], v35 offset0:4 offset1:8
	s_waitcnt lgkmcnt(3)
	v_mfma_f32_16x16x16_bf16 a[8:11], v[48:49], v[44:45], 0
	ds_read2st64_b64 v[68:71], v34 offset0:4 offset1:8
	v_mfma_f32_16x16x16_bf16 a[12:15], v[48:49], v[46:47], 0
	v_or_b32_e32 v48, 64, v0
	v_xor_b32_e32 v48, v58, v48
	v_xor_b32_e32 v49, 0x440, v48
	v_cndmask_b32_e32 v48, v49, v48, vcc
	v_or_b32_e32 v48, v48, v59
	v_xad_u32 v74, v48, v43, v37
	v_add_u32_e32 v48, v51, v74
	ds_read_b64 v[48:49], v48
	ds_read2st64_b64 v[52:55], v42 offset0:4 offset1:8
	v_or_b32_e32 v0, 0x60, v0
	v_xor_b32_e32 v0, v58, v0
	s_waitcnt lgkmcnt(0)
	v_mfma_f32_16x16x16_bf16 a[0:3], v[56:57], v[52:53], a[0:3]
	v_mfma_f32_16x16x16_bf16 a[4:7], v[56:57], v[60:61], a[4:7]
	;; [unrolled: 1-line block ×4, first 2 shown]
	v_xor_b32_e32 v56, 0x440, v0
	v_cndmask_b32_e32 v0, v56, v0, vcc
	v_or_b32_e32 v0, v0, v59
	v_xad_u32 v0, v0, v43, v37
	v_add_u32_e32 v37, v51, v0
	v_mfma_f32_16x16x16_bf16 a[0:3], v[48:49], v[54:55], a[0:3]
	ds_read_b64 v[56:57], v37
	ds_read_b64 v[42:43], v42 offset:6144
	v_mfma_f32_16x16x16_bf16 a[4:7], v[48:49], v[62:63], a[4:7]
	v_mfma_f32_16x16x16_bf16 a[8:11], v[48:49], v[66:67], a[8:11]
	;; [unrolled: 1-line block ×3, first 2 shown]
	ds_read_b64 v[36:37], v36 offset:6144
	ds_read_b64 v[48:49], v35 offset:6144
	;; [unrolled: 1-line block ×3, first 2 shown]
	s_waitcnt lgkmcnt(3)
	v_mfma_f32_16x16x16_bf16 a[0:3], v[56:57], v[42:43], a[0:3]
	s_waitcnt lgkmcnt(2)
	v_mfma_f32_16x16x16_bf16 a[4:7], v[56:57], v[36:37], a[4:7]
	;; [unrolled: 2-line block ×4, first 2 shown]
	ds_read_b64 v[56:57], v72 offset:40960
	s_waitcnt lgkmcnt(0)
	v_mfma_f32_16x16x16_bf16 a[20:23], v[56:57], v[40:41], 0
	v_mov_b32_e32 v40, 0x3fb8aa3b
	v_mul_f32_e32 v40, s12, v40
	v_mfma_f32_16x16x16_bf16 a[24:27], v[56:57], v[44:45], 0
	v_exp_f32_e32 v44, v40
	v_accvgpr_read_b32 v40, a0
	v_accvgpr_read_b32 v45, a3
	v_mfma_f32_16x16x16_bf16 a[16:19], v[56:57], v[38:39], 0
	ds_read_b64 v[38:39], v73 offset:40960
	v_fma_f32 v30, v44, v30, v40
	v_accvgpr_read_b32 v40, a1
	v_fma_f32 v31, v44, v31, v40
	v_accvgpr_read_b32 v40, a2
	v_mfma_f32_16x16x16_bf16 a[28:31], v[56:57], v[46:47], 0
	v_fma_f32 v32, v44, v32, v40
	ds_read_b64 v[40:41], v74 offset:40960
	v_fmac_f32_e32 v45, v44, v33
	s_waitcnt lgkmcnt(1)
	v_mfma_f32_16x16x16_bf16 a[16:19], v[38:39], v[52:53], a[16:19]
	v_accvgpr_read_b32 v33, a4
	v_fma_f32 v22, v44, v22, v33
	v_accvgpr_read_b32 v33, a5
	v_mfma_f32_16x16x16_bf16 a[20:23], v[38:39], v[60:61], a[20:23]
	v_fma_f32 v23, v44, v23, v33
	v_accvgpr_read_b32 v33, a6
	v_accvgpr_read_b32 v46, a7
	v_mfma_f32_16x16x16_bf16 a[24:27], v[38:39], v[64:65], a[24:27]
	v_fmac_f32_e32 v46, v44, v25
	v_accvgpr_read_b32 v25, a8
	v_fma_f32 v24, v44, v24, v33
	v_mfma_f32_16x16x16_bf16 a[0:3], v[38:39], v[68:69], a[28:31]
	ds_read_b64 v[38:39], v0 offset:40960
	v_accvgpr_read_b32 v0, a9
	v_fma_f32 v15, v44, v15, v0
	s_waitcnt lgkmcnt(1)
	v_mfma_f32_16x16x16_bf16 a[4:7], v[40:41], v[62:63], a[20:23]
	v_accvgpr_read_b32 v0, a10
	v_fma_f32 v16, v44, v16, v0
	v_accvgpr_read_b32 v0, a11
	v_mfma_f32_16x16x16_bf16 a[16:19], v[40:41], v[54:55], a[16:19]
	v_fmac_f32_e32 v0, v44, v17
	v_accvgpr_read_b32 v17, a12
	v_fma_f32 v2, v44, v2, v17
	v_mfma_f32_16x16x16_bf16 a[20:23], v[40:41], v[66:67], a[24:27]
	v_accvgpr_read_b32 v17, a13
	v_fma_f32 v3, v44, v3, v17
	v_accvgpr_read_b32 v17, a14
	v_mfma_f32_16x16x16_bf16 a[0:3], v[40:41], v[70:71], a[0:3]
	v_fma_f32 v4, v44, v4, v17
	v_fma_f32 v14, v44, v14, v25
	v_mov_b32_e32 v33, v45
	s_waitcnt lgkmcnt(0)
	v_mfma_f32_16x16x16_bf16 a[4:7], v[38:39], v[36:37], a[4:7]
	v_accvgpr_read_b32 v36, a15
	v_fmac_f32_e32 v36, v44, v5
	v_mov_b32_e32 v25, v46
	v_mfma_f32_16x16x16_bf16 a[8:11], v[38:39], v[42:43], a[16:19]
	v_mfma_f32_16x16x16_bf16 a[16:19], v[38:39], v[48:49], a[20:23]
	s_nop 1
	v_accvgpr_read_b32 v17, a4
	v_fma_f32 v18, v44, v18, v17
	v_accvgpr_read_b32 v17, a5
	v_mfma_f32_16x16x16_bf16 a[0:3], v[38:39], v[34:35], a[0:3]
	v_accvgpr_read_b32 v5, a8
	v_fma_f32 v19, v44, v19, v17
	v_accvgpr_read_b32 v17, a6
	v_fma_f32 v26, v44, v26, v5
	;; [unrolled: 2-line block ×3, first 2 shown]
	v_accvgpr_read_b32 v17, a7
	v_accvgpr_read_b32 v34, a19
	v_fma_f32 v27, v44, v27, v5
	v_accvgpr_read_b32 v5, a10
	v_fmac_f32_e32 v17, v44, v21
	v_accvgpr_read_b32 v21, a16
	v_fmac_f32_e32 v34, v44, v13
	v_accvgpr_read_b32 v13, a0
	v_fma_f32 v28, v44, v28, v5
	v_accvgpr_read_b32 v5, a11
	v_fma_f32 v10, v44, v10, v21
	;; [unrolled: 2-line block ×3, first 2 shown]
	v_accvgpr_read_b32 v13, a1
	v_accvgpr_read_b32 v35, a3
	v_fmac_f32_e32 v5, v44, v29
	v_fma_f32 v11, v44, v11, v21
	v_accvgpr_read_b32 v21, a18
	v_fma_f32 v7, v44, v7, v13
	v_accvgpr_read_b32 v13, a2
	v_fmac_f32_e32 v35, v44, v9
	v_fma_f32 v12, v44, v12, v21
	v_fma_f32 v8, v44, v8, v13
	v_mov_b32_e32 v29, v5
	v_mov_b32_e32 v21, v17
	;; [unrolled: 1-line block ×7, first 2 shown]
.LBB238_101:
	s_lshl_b64 s[0:1], s[24:25], 16
	s_waitcnt lgkmcnt(0)
	s_add_u32 s0, s28, s0
	v_lshlrev_b32_e32 v34, 7, v34
	s_addc_u32 s1, s29, s1
	v_ashrrev_i32_e32 v35, 31, v34
	v_lshl_add_u64 v[36:37], v[34:35], 2, s[0:1]
	v_lshlrev_b32_e32 v0, 2, v1
	v_mov_b32_e32 v1, 0
	v_lshl_add_u64 v[36:37], v[36:37], 0, v[0:1]
	global_store_dwordx4 v[36:37], v[30:33], off
	global_store_dwordx4 v[36:37], v[26:29], off offset:256
	s_nop 1
	v_or_b32_e32 v26, 0x800, v34
	v_ashrrev_i32_e32 v27, 31, v26
	v_lshl_add_u64 v[26:27], v[26:27], 2, s[0:1]
	v_lshl_add_u64 v[26:27], v[26:27], 0, v[0:1]
	global_store_dwordx4 v[26:27], v[22:25], off
	global_store_dwordx4 v[26:27], v[18:21], off offset:256
	s_nop 1
	v_or_b32_e32 v18, 0x1000, v34
	v_ashrrev_i32_e32 v19, 31, v18
	v_lshl_add_u64 v[18:19], v[18:19], 2, s[0:1]
	;; [unrolled: 7-line block ×3, first 2 shown]
	v_lshl_add_u64 v[0:1], v[10:11], 0, v[0:1]
	global_store_dwordx4 v[0:1], v[2:5], off
	global_store_dwordx4 v[0:1], v[6:9], off offset:256
	s_endpgm
	.section	.rodata,"a",@progbits
	.p2align	6, 0x0
	.amdhsa_kernel _ZN12_GLOBAL__N_139chunk_gated_delta_rule_fwd_h_hip_kernelILi64ELb0ELb1ELb0ELb0ELb0ELb0ELb1ELb0EEEvPK12hip_bfloat16S3_S3_PKfS5_PKvPS1_S8_PvPKiSB_iiiiilll
		.amdhsa_group_segment_fixed_size 65536
		.amdhsa_private_segment_fixed_size 0
		.amdhsa_kernarg_size 136
		.amdhsa_user_sgpr_count 2
		.amdhsa_user_sgpr_dispatch_ptr 0
		.amdhsa_user_sgpr_queue_ptr 0
		.amdhsa_user_sgpr_kernarg_segment_ptr 1
		.amdhsa_user_sgpr_dispatch_id 0
		.amdhsa_user_sgpr_kernarg_preload_length 0
		.amdhsa_user_sgpr_kernarg_preload_offset 0
		.amdhsa_user_sgpr_private_segment_size 0
		.amdhsa_uses_dynamic_stack 0
		.amdhsa_enable_private_segment 0
		.amdhsa_system_sgpr_workgroup_id_x 1
		.amdhsa_system_sgpr_workgroup_id_y 1
		.amdhsa_system_sgpr_workgroup_id_z 0
		.amdhsa_system_sgpr_workgroup_info 0
		.amdhsa_system_vgpr_workitem_id 0
		.amdhsa_next_free_vgpr 216
		.amdhsa_next_free_sgpr 65
		.amdhsa_accum_offset 180
		.amdhsa_reserve_vcc 1
		.amdhsa_float_round_mode_32 0
		.amdhsa_float_round_mode_16_64 0
		.amdhsa_float_denorm_mode_32 3
		.amdhsa_float_denorm_mode_16_64 3
		.amdhsa_dx10_clamp 1
		.amdhsa_ieee_mode 1
		.amdhsa_fp16_overflow 0
		.amdhsa_tg_split 0
		.amdhsa_exception_fp_ieee_invalid_op 0
		.amdhsa_exception_fp_denorm_src 0
		.amdhsa_exception_fp_ieee_div_zero 0
		.amdhsa_exception_fp_ieee_overflow 0
		.amdhsa_exception_fp_ieee_underflow 0
		.amdhsa_exception_fp_ieee_inexact 0
		.amdhsa_exception_int_div_zero 0
	.end_amdhsa_kernel
	.section	.text._ZN12_GLOBAL__N_139chunk_gated_delta_rule_fwd_h_hip_kernelILi64ELb0ELb1ELb0ELb0ELb0ELb0ELb1ELb0EEEvPK12hip_bfloat16S3_S3_PKfS5_PKvPS1_S8_PvPKiSB_iiiiilll,"axG",@progbits,_ZN12_GLOBAL__N_139chunk_gated_delta_rule_fwd_h_hip_kernelILi64ELb0ELb1ELb0ELb0ELb0ELb0ELb1ELb0EEEvPK12hip_bfloat16S3_S3_PKfS5_PKvPS1_S8_PvPKiSB_iiiiilll,comdat
.Lfunc_end238:
	.size	_ZN12_GLOBAL__N_139chunk_gated_delta_rule_fwd_h_hip_kernelILi64ELb0ELb1ELb0ELb0ELb0ELb0ELb1ELb0EEEvPK12hip_bfloat16S3_S3_PKfS5_PKvPS1_S8_PvPKiSB_iiiiilll, .Lfunc_end238-_ZN12_GLOBAL__N_139chunk_gated_delta_rule_fwd_h_hip_kernelILi64ELb0ELb1ELb0ELb0ELb0ELb0ELb1ELb0EEEvPK12hip_bfloat16S3_S3_PKfS5_PKvPS1_S8_PvPKiSB_iiiiilll
                                        ; -- End function
	.section	.AMDGPU.csdata,"",@progbits
; Kernel info:
; codeLenInByte = 12340
; NumSgprs: 71
; NumVgprs: 178
; NumAgprs: 36
; TotalNumVgprs: 216
; ScratchSize: 0
; MemoryBound: 0
; FloatMode: 240
; IeeeMode: 1
; LDSByteSize: 65536 bytes/workgroup (compile time only)
; SGPRBlocks: 8
; VGPRBlocks: 26
; NumSGPRsForWavesPerEU: 71
; NumVGPRsForWavesPerEU: 216
; AccumOffset: 180
; Occupancy: 1
; WaveLimiterHint : 1
; COMPUTE_PGM_RSRC2:SCRATCH_EN: 0
; COMPUTE_PGM_RSRC2:USER_SGPR: 2
; COMPUTE_PGM_RSRC2:TRAP_HANDLER: 0
; COMPUTE_PGM_RSRC2:TGID_X_EN: 1
; COMPUTE_PGM_RSRC2:TGID_Y_EN: 1
; COMPUTE_PGM_RSRC2:TGID_Z_EN: 0
; COMPUTE_PGM_RSRC2:TIDIG_COMP_CNT: 0
; COMPUTE_PGM_RSRC3_GFX90A:ACCUM_OFFSET: 44
; COMPUTE_PGM_RSRC3_GFX90A:TG_SPLIT: 0
	.section	.text._ZN12_GLOBAL__N_139chunk_gated_delta_rule_fwd_h_hip_kernelILi64ELb0ELb0ELb1ELb0ELb0ELb0ELb1ELb0EEEvPK12hip_bfloat16S3_S3_PKfS5_PKvPS1_S8_PvPKiSB_iiiiilll,"axG",@progbits,_ZN12_GLOBAL__N_139chunk_gated_delta_rule_fwd_h_hip_kernelILi64ELb0ELb0ELb1ELb0ELb0ELb0ELb1ELb0EEEvPK12hip_bfloat16S3_S3_PKfS5_PKvPS1_S8_PvPKiSB_iiiiilll,comdat
	.globl	_ZN12_GLOBAL__N_139chunk_gated_delta_rule_fwd_h_hip_kernelILi64ELb0ELb0ELb1ELb0ELb0ELb0ELb1ELb0EEEvPK12hip_bfloat16S3_S3_PKfS5_PKvPS1_S8_PvPKiSB_iiiiilll ; -- Begin function _ZN12_GLOBAL__N_139chunk_gated_delta_rule_fwd_h_hip_kernelILi64ELb0ELb0ELb1ELb0ELb0ELb0ELb1ELb0EEEvPK12hip_bfloat16S3_S3_PKfS5_PKvPS1_S8_PvPKiSB_iiiiilll
	.p2align	8
	.type	_ZN12_GLOBAL__N_139chunk_gated_delta_rule_fwd_h_hip_kernelILi64ELb0ELb0ELb1ELb0ELb0ELb0ELb1ELb0EEEvPK12hip_bfloat16S3_S3_PKfS5_PKvPS1_S8_PvPKiSB_iiiiilll,@function
_ZN12_GLOBAL__N_139chunk_gated_delta_rule_fwd_h_hip_kernelILi64ELb0ELb0ELb1ELb0ELb0ELb0ELb1ELb0EEEvPK12hip_bfloat16S3_S3_PKfS5_PKvPS1_S8_PvPKiSB_iiiiilll: ; @_ZN12_GLOBAL__N_139chunk_gated_delta_rule_fwd_h_hip_kernelILi64ELb0ELb0ELb1ELb0ELb0ELb0ELb1ELb0EEEvPK12hip_bfloat16S3_S3_PKfS5_PKvPS1_S8_PvPKiSB_iiiiilll
; %bb.0:
	s_load_dwordx4 s[16:19], s[0:1], 0x5c
	s_load_dwordx4 s[12:15], s[0:1], 0x30
	s_abs_i32 s22, s3
	s_ashr_i32 s21, s3, 31
	s_load_dwordx8 s[4:11], s[0:1], 0x0
	s_waitcnt lgkmcnt(0)
	s_abs_i32 s20, s17
	v_cvt_f32_u32_e32 v1, s20
	s_sub_i32 s24, 0, s20
	s_ashr_i32 s23, s17, 31
	s_xor_b32 s21, s21, s23
	v_rcp_iflag_f32_e32 v1, v1
	v_lshrrev_b32_e32 v76, 6, v0
	v_bfe_u32 v77, v0, 4, 2
	v_lshlrev_b32_e32 v2, 2, v77
	v_mul_f32_e32 v1, 0x4f7ffffe, v1
	v_cvt_u32_f32_e32 v1, v1
	v_and_b32_e32 v75, 63, v0
	v_mov_b32_e32 v35, 0
	v_and_b32_e32 v74, 15, v0
	v_readfirstlane_b32 s25, v1
	s_mul_i32 s24, s24, s25
	s_mul_hi_u32 s24, s25, s24
	s_add_i32 s25, s25, s24
	s_mul_hi_u32 s24, s22, s25
	s_mul_i32 s25, s24, s20
	s_sub_i32 s22, s22, s25
	s_add_i32 s26, s24, 1
	s_sub_i32 s25, s22, s20
	s_cmp_ge_u32 s22, s20
	s_cselect_b32 s24, s26, s24
	s_cselect_b32 s22, s25, s22
	s_add_i32 s25, s24, 1
	s_cmp_ge_u32 s22, s20
	s_cselect_b32 s22, s25, s24
	s_xor_b32 s22, s22, s21
	s_sub_i32 s47, s22, s21
	s_abs_i32 s21, s18
	v_cvt_f32_u32_e32 v1, s21
	s_add_i32 s24, s16, 63
	s_mul_i32 s45, s47, s17
	s_sub_i32 s33, s3, s45
	v_rcp_iflag_f32_e32 v1, v1
	s_ashr_i32 s3, s24, 31
	s_ashr_i32 s46, s16, 31
	s_lshr_b32 s3, s3, 26
	v_mul_f32_e32 v1, 0x4f7ffffe, v1
	v_cvt_u32_f32_e32 v1, v1
	s_lshr_b32 s22, s46, 26
	s_add_i32 s24, s24, s3
	s_add_i32 s22, s16, s22
	s_ashr_i32 s49, s18, 31
	s_ashr_i32 s3, s24, 6
	;; [unrolled: 1-line block ×3, first 2 shown]
	s_xor_b32 s22, s23, s49
	s_sub_i32 s23, 0, s21
	v_readfirstlane_b32 s24, v1
	s_mul_i32 s23, s23, s24
	s_mul_hi_u32 s23, s24, s23
	s_add_i32 s24, s24, s23
	s_mul_hi_u32 s23, s20, s24
	s_mul_i32 s24, s23, s21
	s_sub_i32 s20, s20, s24
	s_add_i32 s24, s23, 1
	s_sub_i32 s25, s20, s21
	s_cmp_ge_u32 s20, s21
	s_cselect_b32 s23, s24, s23
	s_cselect_b32 s20, s25, s20
	s_add_i32 s24, s23, 1
	s_cmp_ge_u32 s20, s21
	s_cselect_b32 s20, s24, s23
	s_xor_b32 s20, s20, s22
	s_sub_i32 s24, s20, s22
	s_abs_i32 s25, s24
	v_cvt_f32_u32_e32 v1, s25
	s_load_dwordx2 s[34:35], s[0:1], 0x80
	s_load_dwordx4 s[20:23], s[0:1], 0x70
	s_xor_b32 s0, s33, s24
	s_sub_i32 s24, 0, s25
	v_rcp_iflag_f32_e32 v1, v1
	s_abs_i32 s1, s33
	s_ashr_i32 s0, s0, 31
	s_mul_i32 s50, s47, s3
	v_mul_f32_e32 v1, 0x4f7ffffe, v1
	v_cvt_u32_f32_e32 v1, v1
	s_mul_hi_i32 s51, s47, s17
	v_lshrrev_b32_e32 v79, 3, v75
	v_lshlrev_b32_e32 v78, 3, v0
	v_readfirstlane_b32 s26, v1
	s_mul_i32 s24, s24, s26
	s_mul_hi_u32 s24, s26, s24
	s_add_i32 s26, s26, s24
	s_mul_hi_u32 s24, s1, s26
	s_mul_i32 s26, s24, s25
	s_sub_i32 s1, s1, s26
	s_add_i32 s26, s24, 1
	s_sub_i32 s27, s1, s25
	s_cmp_ge_u32 s1, s25
	s_cselect_b32 s24, s26, s24
	s_cselect_b32 s1, s27, s1
	s_add_i32 s26, s24, 1
	s_cmp_ge_u32 s1, s25
	s_cselect_b32 s1, s26, s24
	s_xor_b32 s1, s1, s0
	v_lshlrev_b32_e32 v1, 4, v76
	s_sub_i32 s52, s1, s0
	v_or_b32_e32 v80, v2, v1
	s_lshl_b32 s36, s2, 6
	v_or_b32_e32 v81, 64, v80
	s_cmp_lt_i32 s16, 64
	s_waitcnt lgkmcnt(0)
	s_mul_i32 s21, s47, s21
	s_mul_hi_u32 s44, s47, s20
	s_mul_i32 s38, s47, s20
	v_mov_b32_e32 v34, v35
	v_mov_b32_e32 v41, v35
	v_mov_b32_e32 v40, v35
	v_mov_b32_e32 v39, v35
	v_mov_b32_e32 v38, v35
	v_mov_b32_e32 v37, v35
	v_mov_b32_e32 v36, v35
	v_mov_b32_e32 v49, v35
	v_mov_b32_e32 v48, v35
	v_mov_b32_e32 v47, v35
	v_mov_b32_e32 v46, v35
	v_mov_b32_e32 v45, v35
	v_mov_b32_e32 v44, v35
	v_mov_b32_e32 v43, v35
	v_mov_b32_e32 v42, v35
	v_mov_b32_e32 v57, v35
	v_mov_b32_e32 v56, v35
	v_mov_b32_e32 v55, v35
	v_mov_b32_e32 v54, v35
	v_mov_b32_e32 v53, v35
	v_mov_b32_e32 v52, v35
	v_mov_b32_e32 v51, v35
	v_mov_b32_e32 v50, v35
	v_mov_b32_e32 v65, v35
	v_mov_b32_e32 v64, v35
	v_mov_b32_e32 v63, v35
	v_mov_b32_e32 v62, v35
	v_mov_b32_e32 v61, v35
	v_mov_b32_e32 v60, v35
	v_mov_b32_e32 v59, v35
	v_mov_b32_e32 v58, v35
	s_cbranch_scc1 .LBB239_18
; %bb.1:
	s_ashr_i32 s28, s47, 31
	s_ashr_i32 s54, s33, 31
	s_add_u32 s0, s45, s33
	s_addc_u32 s1, s51, s54
	s_mul_i32 s1, s16, s1
	s_mul_hi_u32 s2, s16, s0
	s_add_i32 s3, s2, s1
	s_mul_i32 s2, s16, s0
	s_lshl_b64 s[0:1], s[2:3], 8
	v_and_b32_e32 v83, 56, v78
	s_add_u32 s24, s6, s0
	v_lshl_or_b32 v82, v76, 3, v79
	v_lshlrev_b32_e32 v3, 1, v83
	s_addc_u32 s0, s7, s1
	v_lshl_or_b32 v84, v82, 8, v3
	s_and_b32 s25, s0, 0xffff
	s_mov_b32 s27, 0x20000
	s_movk_i32 s26, 0x4000
	s_movk_i32 s0, 0x80
	v_or_b32_e32 v85, 0x2000, v84
	buffer_load_dwordx4 v[4:7], v84, s[24:27], 0 offen
	buffer_load_dwordx4 v[8:11], v84, s[24:27], s0 offen
	;; [unrolled: 1-line block ×4, first 2 shown]
	v_lshlrev_b32_e32 v20, 3, v82
	v_and_or_b32 v22, v0, 7, v20
	v_and_b32_e32 v20, 0x78, v20
	v_lshlrev_b32_e32 v22, 4, v22
	v_xor_b32_e32 v86, v22, v20
	v_mul_lo_u32 v21, v82, s19
	v_or_b32_e32 v87, 0x1000, v86
	s_cmpk_eq_i32 s19, 0x80
	s_mov_b32 s53, s18
	v_xor_b32_e32 v20, 8, v86
	v_xor_b32_e32 v22, 8, v87
	s_cselect_b64 s[0:1], -1, 0
	s_cmpk_lg_i32 s19, 0x80
	s_waitcnt vmcnt(3)
	ds_write_b64 v86, v[4:5] offset:49152
	ds_write_b64 v20, v[6:7] offset:49152
	s_waitcnt vmcnt(2)
	ds_write_b64 v86, v[8:9] offset:57344
	ds_write_b64 v20, v[10:11] offset:57344
	;; [unrolled: 3-line block ×4, first 2 shown]
	v_lshl_add_u32 v4, v21, 1, v83
	s_cbranch_scc0 .LBB239_3
; %bb.2:
	v_lshlrev_b32_e32 v6, 1, v4
	v_add_lshl_u32 v5, v4, s19, 1
	s_lshl_b32 s26, s19, 7
	v_lshl_or_b32 v3, v82, 9, v3
	s_cbranch_execz .LBB239_4
	s_branch .LBB239_5
.LBB239_3:
                                        ; implicit-def: $vgpr5
                                        ; implicit-def: $vgpr6
                                        ; implicit-def: $sgpr26
	v_lshl_or_b32 v3, v82, 9, v3
.LBB239_4:
	v_or_b32_e32 v5, 0x100, v3
	s_movk_i32 s26, 0x4000
	v_mov_b32_e32 v6, v3
.LBB239_5:
	s_mul_hi_u32 s24, s18, s16
	s_mul_i32 s25, s49, s16
	s_add_i32 s24, s24, s25
	s_mul_i32 s25, s18, s16
	s_mul_i32 s27, s25, s28
	s_mul_hi_u32 s29, s25, s47
	s_add_i32 s27, s29, s27
	s_mul_i32 s24, s24, s47
	s_add_i32 s27, s27, s24
	s_mul_i32 s25, s25, s47
	s_ashr_i32 s55, s52, 31
	s_add_u32 s24, s25, s52
	s_addc_u32 s25, s27, s55
	s_lshl_b64 s[24:25], s[24:25], 8
	s_add_u32 s24, s4, s24
	s_addc_u32 s25, s5, s25
	s_and_b32 s25, s25, 0xffff
	s_mov_b32 s27, 0x20000
	s_movk_i32 s56, 0x80
	buffer_load_dwordx4 v[8:11], v6, s[24:27], 0 offen
	buffer_load_dwordx4 v[12:15], v6, s[24:27], s56 offen
	;; [unrolled: 1-line block ×4, first 2 shown]
	v_and_b32_e32 v5, 6, v0
	v_lshlrev_b32_e32 v6, 7, v80
	v_xor_b32_e32 v27, v82, v5
	v_and_b32_e32 v7, 1, v0
	v_lshl_or_b32 v30, v74, 3, v6
	v_lshlrev_b32_e32 v27, 2, v27
	v_or_b32_e32 v88, 0x4000, v30
	v_or_b32_e32 v89, 0x6000, v30
	v_xor_b32_e32 v30, 0x440, v27
	v_cmp_eq_u32_e32 vcc, 0, v7
	v_lshlrev_b32_e32 v24, 2, v74
	s_mov_b32 s58, 0x1000504
	v_cndmask_b32_e32 v7, v30, v27, vcc
	v_xor_b32_e32 v28, v80, v24
	v_xor_b32_e32 v29, v81, v24
	v_lshl_or_b32 v5, v5, 10, v7
	s_mov_b32 s59, 0x3020706
	s_mul_i32 s24, s28, s16
	s_mul_hi_u32 s25, s47, s16
	v_lshlrev_b32_e32 v25, 8, v74
	v_or_b32_e32 v26, 16, v74
	v_lshlrev_b32_e32 v28, 1, v28
	v_lshlrev_b32_e32 v29, 1, v29
	v_xor_b32_e32 v7, 8, v5
	v_xor_b32_e32 v27, 24, v5
	;; [unrolled: 1-line block ×4, first 2 shown]
	v_or_b32_e32 v91, v25, v28
	v_or_b32_e32 v92, v25, v29
	v_xor_b32_e32 v25, 16, v5
	v_xor_b32_e32 v30, 32, v5
	;; [unrolled: 1-line block ×3, first 2 shown]
	v_add_u32_e32 v7, 0x80, v7
	v_add_u32_e32 v27, 0x80, v27
	;; [unrolled: 1-line block ×4, first 2 shown]
	s_add_i32 s61, s25, s24
	s_add_i32 s24, s44, s21
	s_mul_i32 s28, s28, s20
	s_add_i32 s39, s24, s28
	s_mul_i32 s24, s33, s23
	s_mul_hi_u32 s25, s33, s22
	s_add_i32 s24, s25, s24
	s_mul_i32 s25, s54, s22
	s_add_i32 s25, s24, s25
	s_lshl_b64 s[28:29], s[38:39], 2
	s_mul_i32 s24, s33, s22
	s_add_u32 s28, s10, s28
	s_addc_u32 s29, s11, s29
	s_lshl_b64 s[24:25], s[24:25], 2
	s_add_u32 s40, s28, s24
	s_movk_i32 s24, 0xf8
	s_addc_u32 s41, s29, s25
	s_ashr_i32 s37, s36, 31
	s_lshl_b32 s30, s19, 7
	s_movk_i32 s28, 0x100
	v_mov_b32_e32 v67, 0
	v_lshlrev_b32_e32 v66, 4, v74
	v_cmp_gt_u32_e32 vcc, s28, v0
	v_lshl_or_b32 v31, v26, 3, v6
	s_mov_b32 s57, 0
	s_mul_i32 s60, s47, s16
	v_or_b32_e32 v90, 0x4000, v31
	s_movk_i32 s26, 0x4000
	v_or_b32_e32 v93, 0x6000, v31
	v_add_u32_e32 v128, v1, v2
	s_movk_i32 s39, 0x2000
	s_movk_i32 s62, 0x3000
	v_mov_b32_e32 v133, 0x3fb8aa3b
	s_mov_b32 s64, 0
	v_mov_b32_e32 v58, v67
	v_mov_b32_e32 v59, v67
	;; [unrolled: 1-line block ×8, first 2 shown]
	s_waitcnt vmcnt(1)
	v_perm_b32 v35, v8, v16, s58
	s_waitcnt vmcnt(0)
	v_perm_b32 v36, v12, v20, s58
	v_perm_b32 v8, v8, v16, s59
	;; [unrolled: 1-line block ×15, first 2 shown]
	ds_write2st64_b32 v5, v35, v36 offset0:128 offset1:160
	ds_write2st64_b32 v7, v8, v12 offset0:128 offset1:160
	;; [unrolled: 1-line block ×8, first 2 shown]
	v_lshlrev_b32_e32 v5, 8, v26
	v_or_b32_e32 v94, v5, v28
	v_or_b32_e32 v95, v5, v29
	v_or_b32_e32 v5, 32, v74
	v_lshl_or_b32 v7, v5, 3, v6
	v_lshlrev_b32_e32 v5, 8, v5
	v_or_b32_e32 v98, v5, v28
	v_or_b32_e32 v99, v5, v29
	;; [unrolled: 1-line block ×5, first 2 shown]
	v_lshl_or_b32 v7, v5, 3, v6
	v_lshlrev_b32_e32 v5, 8, v5
	v_or_b32_e32 v102, v5, v28
	v_or_b32_e32 v103, v5, v29
	;; [unrolled: 1-line block ×3, first 2 shown]
	v_lshlrev_b32_e32 v5, 3, v5
	v_lshrrev_b32_e32 v9, 5, v75
	v_and_or_b32 v9, v5, s24, v9
	v_lshlrev_b32_e32 v9, 4, v9
	v_or_b32_e32 v100, 0x4000, v7
	v_or_b32_e32 v101, 0x6000, v7
	v_lshlrev_b32_e32 v7, 11, v76
	v_and_b32_e32 v5, 0x78, v5
	v_or_b32_e32 v14, 32, v9
	v_and_b32_e32 v8, 0x1000, v7
	v_xor_b32_e32 v10, v9, v5
	v_lshrrev_b32_e32 v11, 1, v0
	v_xor_b32_e32 v14, v14, v5
	v_or_b32_e32 v10, v10, v8
	v_and_b32_e32 v12, 8, v11
	v_or_b32_e32 v14, v14, v8
	v_xor_b32_e32 v104, v10, v12
	v_lshlrev_b32_e32 v10, 8, v77
	v_xor_b32_e32 v106, v14, v12
	v_or_b32_e32 v14, 64, v9
	v_or_b32_e32 v9, 0x60, v9
	v_or_b32_e32 v13, v10, v24
	v_xor_b32_e32 v14, v14, v5
	v_xor_b32_e32 v5, v9, v5
	v_lshlrev_b32_e32 v13, 1, v13
	v_or_b32_e32 v14, v14, v8
	v_or_b32_e32 v5, v5, v8
	s_lshl_b64 s[24:25], s[36:37], 8
	v_or_b32_e32 v105, 0x4000, v13
	v_or_b32_e32 v107, 0x4080, v13
	;; [unrolled: 1-line block ×4, first 2 shown]
	v_xor_b32_e32 v110, v14, v12
	v_xor_b32_e32 v111, v5, v12
	v_or_b32_e32 v112, 0x6000, v13
	v_or_b32_e32 v113, 0x6080, v13
	;; [unrolled: 1-line block ×4, first 2 shown]
	v_lshlrev_b32_e32 v12, 1, v4
	v_add_lshl_u32 v13, v4, s19, 1
	s_add_u32 s24, s12, s24
	v_lshlrev_b32_e32 v4, 1, v74
	v_lshrrev_b32_e32 v15, 4, v0
	s_addc_u32 s25, s13, s25
	v_or_b32_e32 v5, 1, v4
	v_mov_b32_e32 v19, 0xa000
	v_mov_b32_e32 v20, 0x8000
	v_xor_b32_e32 v16, v15, v4
	v_xor_b32_e32 v17, v5, v15
	v_lshl_add_u64 v[4:5], s[24:25], 0, v[66:67]
	v_lshlrev_b32_e32 v66, 8, v15
	v_cndmask_b32_e32 v19, v19, v20, vcc
	v_lshlrev_b32_e32 v20, 3, v76
	v_and_b32_e32 v11, 24, v11
	v_lshl_or_b32 v116, v16, 3, v66
	v_and_b32_e32 v16, 8, v0
	v_xor_b32_e32 v21, v20, v11
	v_or_b32_e32 v22, 0x440, v21
	v_cmp_eq_u32_e32 vcc, 0, v16
	v_and_b32_e32 v15, 7, v0
	v_lshl_or_b32 v117, v17, 3, v66
	v_cndmask_b32_e32 v16, v22, v21, vcc
	v_lshlrev_b32_e32 v17, 3, v15
	v_lshlrev_b32_e32 v15, 7, v15
	v_or_b32_e32 v16, v16, v7
	v_lshlrev_b32_e32 v18, 2, v0
	v_xad_u32 v118, v16, v17, v15
	v_or_b32_e32 v16, 32, v11
	v_and_or_b32 v10, v18, 60, v10
	v_xor_b32_e32 v16, v20, v16
	v_lshlrev_b32_e32 v10, 1, v10
	v_or_b32_e32 v18, 0x440, v16
	v_or_b32_e32 v119, 0x6000, v10
	v_cndmask_b32_e32 v16, v18, v16, vcc
	v_or_b32_e32 v121, 0x6080, v10
	v_or_b32_e32 v122, 0x6100, v10
	;; [unrolled: 1-line block ×5, first 2 shown]
	v_xor_b32_e32 v10, v20, v10
	v_xad_u32 v120, v16, v17, v15
	v_xor_b32_e32 v16, 0x440, v10
	v_cndmask_b32_e32 v10, v16, v10, vcc
	v_or_b32_e32 v10, v10, v7
	v_xad_u32 v124, v10, v17, v15
	v_or_b32_e32 v10, 0x60, v11
	v_xor_b32_e32 v10, v20, v10
	v_xor_b32_e32 v11, 0x440, v10
	v_or_b32_e32 v8, s36, v74
	v_cndmask_b32_e32 v10, v11, v10, vcc
	v_ashrrev_i32_e32 v9, 31, v8
	v_or_b32_e32 v7, v10, v7
	v_or_b32_e32 v14, 0x100, v3
	v_xad_u32 v125, v7, v17, v15
	v_lshlrev_b64 v[8:9], 1, v[8:9]
	v_cndmask_b32_e64 v126, v12, v3, s[0:1]
	v_cndmask_b32_e64 v127, v13, v14, s[0:1]
	v_lshl_add_u64 v[68:69], s[8:9], 0, v[8:9]
	v_lshl_add_u64 v[70:71], s[14:15], 0, v[8:9]
	;; [unrolled: 1-line block ×3, first 2 shown]
	s_mov_b32 s37, 0x7060302
	v_lshlrev_b32_e32 v66, 1, v6
	v_add_u32_e32 v129, v19, v118
	v_add_u32_e32 v130, v19, v120
	;; [unrolled: 1-line block ×4, first 2 shown]
	v_mov_b32_e32 v50, v67
	v_mov_b32_e32 v51, v67
	;; [unrolled: 1-line block ×24, first 2 shown]
	s_waitcnt lgkmcnt(0)
	s_barrier
.LBB239_6:                              ; =>This Inner Loop Header: Depth=1
	s_add_i32 s63, s64, 1
	s_cmp_lt_i32 s63, s48
	s_mov_b64 s[28:29], 0
	s_cselect_b64 s[42:43], -1, 0
	s_cmp_ge_i32 s63, s48
	s_mov_b64 s[24:25], 0
	s_cbranch_scc1 .LBB239_8
; %bb.7:                                ;   in Loop: Header=BB239_6 Depth=1
	s_add_i32 s0, s57, 64
	s_add_u32 s0, s2, s0
	s_addc_u32 s1, s3, 0
	s_lshl_b64 s[0:1], s[0:1], 8
	s_add_u32 s24, s6, s0
	s_addc_u32 s25, s7, s1
.LBB239_8:                              ;   in Loop: Header=BB239_6 Depth=1
	v_cndmask_b32_e64 v2, 0, 1, s[42:43]
	v_cmp_ne_u32_e64 s[0:1], 1, v2
	s_andn2_b64 vcc, exec, s[42:43]
	s_cbranch_vccnz .LBB239_10
; %bb.9:                                ;   in Loop: Header=BB239_6 Depth=1
	s_add_i32 s28, s57, 64
	s_add_u32 s28, s60, s28
	s_addc_u32 s29, s61, 0
	s_mul_i32 s31, s28, s49
	s_mul_hi_u32 s42, s28, s53
	s_add_i32 s31, s42, s31
	s_mul_i32 s29, s29, s53
	s_add_i32 s31, s31, s29
	s_mul_i32 s28, s28, s53
	s_add_u32 s28, s28, s52
	s_addc_u32 s29, s31, s55
	s_lshl_b64 s[28:29], s[28:29], 8
	s_add_u32 s28, s4, s28
	s_addc_u32 s29, s5, s29
.LBB239_10:                             ;   in Loop: Header=BB239_6 Depth=1
	v_perm_b32 v3, v65, v64, s37
	v_perm_b32 v2, v63, v62, s37
	v_perm_b32 v5, v61, v60, s37
	v_perm_b32 v4, v59, v58, s37
	ds_write_b64 v88, v[2:3]
	ds_write_b64 v89, v[4:5]
	ds_write_b64 v91, v[2:3]
	ds_write_b64 v92, v[4:5]
	v_perm_b32 v3, v57, v56, s37
	v_perm_b32 v2, v55, v54, s37
	v_perm_b32 v5, v53, v52, s37
	v_perm_b32 v4, v51, v50, s37
	ds_write_b64 v90, v[2:3]
	ds_write_b64 v93, v[4:5]
	ds_write_b64 v94, v[2:3]
	ds_write_b64 v95, v[4:5]
	;; [unrolled: 8-line block ×4, first 2 shown]
	s_waitcnt lgkmcnt(0)
	s_barrier
	ds_read_b64 v[6:7], v104 offset:49152
	ds_read2_b64 v[2:5], v105 offset1:16
	ds_read_b64 v[18:19], v107 offset:6144
	ds_read_b64 v[20:21], v105 offset:6144
	s_waitcnt lgkmcnt(2)
	v_mfma_f32_16x16x16_bf16 a[0:3], v[6:7], v[2:3], 0
	ds_read_b64 v[22:23], v106 offset:49152
	ds_read2st64_b64 v[10:13], v108 offset0:4 offset1:8
	ds_read2st64_b64 v[14:17], v109 offset0:4 offset1:8
	v_mfma_f32_16x16x16_bf16 a[4:7], v[6:7], v[4:5], 0
	ds_read2_b64 v[2:5], v105 offset0:32 offset1:48
	s_add_i32 s31, s57, 63
	s_mul_i32 s42, s31, s35
	s_waitcnt lgkmcnt(0)
	v_mfma_f32_16x16x16_bf16 a[8:11], v[6:7], v[2:3], 0
	s_mul_hi_u32 s43, s31, s34
	s_add_i32 s43, s43, s42
	s_mul_i32 s42, s31, s34
	v_mfma_f32_16x16x16_bf16 a[12:15], v[6:7], v[4:5], 0
	ds_read2st64_b64 v[2:5], v105 offset0:4 offset1:8
	ds_read2st64_b64 v[6:9], v107 offset0:4 offset1:8
	s_lshl_b64 s[42:43], s[42:43], 2
	s_waitcnt lgkmcnt(1)
	v_mfma_f32_16x16x16_bf16 a[0:3], v[22:23], v[2:3], a[0:3]
	s_add_u32 s42, s40, s42
	s_addc_u32 s43, s41, s43
	s_and_b64 vcc, exec, s[0:1]
	s_waitcnt lgkmcnt(0)
	v_mfma_f32_16x16x16_bf16 a[4:7], v[22:23], v[6:7], a[4:7]
	v_mov_b32_e32 v136, 0
	v_mov_b32_e32 v135, 0
	v_mov_b32_e32 v134, 0
	v_mfma_f32_16x16x16_bf16 a[8:11], v[22:23], v[10:11], a[8:11]
	ds_read_b64 v[2:3], v110 offset:49152
	ds_read_b64 v[6:7], v111 offset:49152
	;; [unrolled: 1-line block ×3, first 2 shown]
	v_mfma_f32_16x16x16_bf16 a[12:15], v[22:23], v[14:15], a[12:15]
	v_mov_b32_e32 v14, 0
	v_mov_b32_e32 v15, 0
	s_waitcnt lgkmcnt(2)
	v_mfma_f32_16x16x16_bf16 a[0:3], v[2:3], v[4:5], a[0:3]
	v_mov_b32_e32 v4, 0
	v_mov_b32_e32 v5, 0
	v_mfma_f32_16x16x16_bf16 a[4:7], v[2:3], v[8:9], a[4:7]
	v_mov_b32_e32 v8, 0
	v_mov_b32_e32 v9, 0
	v_mfma_f32_16x16x16_bf16 a[8:11], v[2:3], v[12:13], a[8:11]
	v_mov_b32_e32 v12, 0
	v_mov_b32_e32 v13, 0
	v_mfma_f32_16x16x16_bf16 a[12:15], v[2:3], v[16:17], a[12:15]
	ds_read_b64 v[2:3], v108 offset:6144
	v_mov_b32_e32 v16, 0
	v_mov_b32_e32 v17, 0
	s_waitcnt lgkmcnt(2)
	v_mfma_f32_16x16x16_bf16 a[0:3], v[6:7], v[20:21], a[0:3]
	v_mfma_f32_16x16x16_bf16 a[4:7], v[6:7], v[18:19], a[4:7]
	s_waitcnt lgkmcnt(0)
	v_mfma_f32_16x16x16_bf16 a[8:11], v[6:7], v[2:3], a[8:11]
	v_mov_b32_e32 v2, 0
	v_mov_b32_e32 v3, 0
	v_mfma_f32_16x16x16_bf16 a[12:15], v[6:7], v[10:11], a[12:15]
	v_mov_b32_e32 v6, 0
	v_mov_b32_e32 v7, 0
	;; [unrolled: 1-line block ×4, first 2 shown]
	s_cbranch_vccnz .LBB239_12
; %bb.11:                               ;   in Loop: Header=BB239_6 Depth=1
	s_and_b32 s25, s25, 0xffff
	buffer_load_dwordx4 v[14:17], v84, s[24:27], 0 offen
	buffer_load_dwordx4 v[10:13], v84, s[24:27], s56 offen
	;; [unrolled: 1-line block ×4, first 2 shown]
	v_mov_b32_e32 v135, v86
	v_mov_b32_e32 v134, v87
.LBB239_12:                             ;   in Loop: Header=BB239_6 Depth=1
	ds_read_b64 v[142:143], v104 offset:57344
	ds_read2_b64 v[18:21], v112 offset1:16
	ds_read_b64 v[144:145], v106 offset:57344
	ds_read_b64 v[146:147], v110 offset:57344
	;; [unrolled: 1-line block ×3, first 2 shown]
	v_add_u32_e32 v137, s57, v128
	s_waitcnt lgkmcnt(3)
	v_mfma_f32_16x16x16_bf16 a[0:3], v[142:143], v[18:19], a[0:3]
	v_mfma_f32_16x16x16_bf16 a[4:7], v[142:143], v[20:21], a[4:7]
	ds_read2_b64 v[18:21], v112 offset0:32 offset1:48
	ds_read2st64_b64 v[22:25], v112 offset0:4 offset1:8
	ds_read2st64_b64 v[26:29], v113 offset0:4 offset1:8
	;; [unrolled: 1-line block ×4, first 2 shown]
	s_waitcnt lgkmcnt(4)
	v_mfma_f32_16x16x16_bf16 a[8:11], v[142:143], v[18:19], a[8:11]
	v_ashrrev_i32_e32 v18, 31, v137
	v_mfma_f32_16x16x16_bf16 a[12:15], v[142:143], v[20:21], a[12:15]
	v_mul_lo_u32 v20, v18, s34
	v_mul_lo_u32 v21, v137, s35
	v_mad_u64_u32 v[18:19], s[24:25], v137, s34, 0
	v_add3_u32 v19, v19, v21, v20
	v_add_u32_e32 v20, 1, v137
	v_ashrrev_i32_e32 v21, 31, v20
	s_waitcnt lgkmcnt(3)
	v_mfma_f32_16x16x16_bf16 a[0:3], v[144:145], v[22:23], a[0:3]
	v_mul_lo_u32 v22, v21, s34
	v_mul_lo_u32 v23, v20, s35
	v_mad_u64_u32 v[20:21], s[24:25], v20, s34, 0
	v_add3_u32 v21, v21, v23, v22
	v_add_u32_e32 v22, 2, v137
	v_ashrrev_i32_e32 v23, 31, v22
	s_waitcnt lgkmcnt(2)
	v_mfma_f32_16x16x16_bf16 a[4:7], v[144:145], v[26:27], a[4:7]
	v_mul_lo_u32 v26, v23, s34
	v_mul_lo_u32 v27, v22, s35
	v_mad_u64_u32 v[22:23], s[24:25], v22, s34, 0
	v_add3_u32 v23, v23, v27, v26
	v_add_u32_e32 v26, 3, v137
	v_lshl_add_u64 v[18:19], v[18:19], 2, s[40:41]
	v_lshl_add_u64 v[20:21], v[20:21], 2, s[40:41]
	v_ashrrev_i32_e32 v27, 31, v26
	s_waitcnt lgkmcnt(1)
	v_mfma_f32_16x16x16_bf16 a[8:11], v[144:145], v[30:31], a[8:11]
	v_mul_lo_u32 v27, v27, s34
	global_load_dword v30, v[18:19], off
	global_load_dword v137, v[20:21], off
	v_mul_lo_u32 v31, v26, s35
	v_mad_u64_u32 v[18:19], s[24:25], v26, s34, 0
	v_add3_u32 v19, v19, v31, v27
	s_add_u32 s24, s2, s57
	v_lshl_add_u64 v[22:23], v[22:23], 2, s[40:41]
	v_lshl_add_u64 v[18:19], v[18:19], 2, s[40:41]
	s_addc_u32 s25, s3, 0
	s_waitcnt lgkmcnt(0)
	v_mfma_f32_16x16x16_bf16 a[12:15], v[144:145], v[138:139], a[12:15]
	global_load_dword v31, v[22:23], off
	global_load_dword v138, v[18:19], off
	s_lshl_b64 s[24:25], s[24:25], 8
	v_lshl_add_u64 v[18:19], v[68:69], 0, s[24:25]
	v_lshl_add_u64 v[18:19], v[18:19], 0, v[66:67]
	global_load_ushort v139, v[18:19], off offset:256
	global_load_ushort v142, v[18:19], off
	global_load_ushort v143, v[18:19], off offset:768
	global_load_ushort v144, v[18:19], off offset:512
	;; [unrolled: 1-line block ×6, first 2 shown]
	s_load_dword s42, s[42:43], 0x0
	v_mfma_f32_16x16x16_bf16 a[12:15], v[146:147], v[140:141], a[12:15]
	global_load_ushort v140, v[18:19], off offset:320
	global_load_ushort v141, v[18:19], off offset:64
	s_and_b64 vcc, exec, s[0:1]
	v_mfma_f32_16x16x16_bf16 a[0:3], v[146:147], v[24:25], a[0:3]
	ds_read_b64 v[20:21], v112 offset:6144
	ds_read_b64 v[22:23], v113 offset:6144
	;; [unrolled: 1-line block ×4, first 2 shown]
	v_mfma_f32_16x16x16_bf16 a[4:7], v[146:147], v[28:29], a[4:7]
	s_waitcnt vmcnt(11) lgkmcnt(0)
	v_sub_f32_e32 v28, s42, v31
	v_mfma_f32_16x16x16_bf16 a[8:11], v[146:147], v[32:33], a[8:11]
	global_load_ushort v146, v[18:19], off offset:832
	global_load_ushort v147, v[18:19], off offset:576
	;; [unrolled: 1-line block ×6, first 2 shown]
	v_mfma_f32_16x16x16_bf16 a[0:3], v[148:149], v[20:21], a[0:3]
	s_waitcnt vmcnt(16)
	v_sub_f32_e32 v29, s42, v138
	v_mul_f32_e32 v28, 0x3fb8aa3b, v28
	v_mul_f32_e32 v29, 0x3fb8aa3b, v29
	v_exp_f32_e32 v28, v28
	v_exp_f32_e32 v29, v29
	s_waitcnt vmcnt(15)
	v_lshlrev_b32_e32 v33, 16, v139
	s_waitcnt vmcnt(14)
	v_lshlrev_b32_e32 v32, 16, v142
	v_accvgpr_read_b32 v21, a3
	v_accvgpr_read_b32 v20, a2
	v_mfma_f32_16x16x16_bf16 a[2:5], v[148:149], v[22:23], a[4:7]
	v_accvgpr_read_b32 v139, a1
	v_accvgpr_read_b32 v138, a0
	v_pk_add_f32 v[32:33], v[32:33], v[138:139] neg_lo:[0,1] neg_hi:[0,1]
	v_mfma_f32_16x16x16_bf16 a[6:9], v[148:149], v[24:25], a[8:11]
	s_waitcnt vmcnt(13)
	v_lshlrev_b32_e32 v139, 16, v143
	s_waitcnt vmcnt(12)
	v_lshlrev_b32_e32 v138, 16, v144
	v_pk_add_f32 v[20:21], v[138:139], v[20:21] neg_lo:[0,1] neg_hi:[0,1]
	v_accvgpr_read_b32 v139, a3
	v_accvgpr_read_b32 v138, a2
	;; [unrolled: 1-line block ×6, first 2 shown]
	v_mfma_f32_16x16x16_bf16 a[8:11], v[148:149], v[26:27], a[12:15]
	v_sub_f32_e32 v26, s42, v30
	v_sub_f32_e32 v27, s42, v137
	v_mul_f32_e32 v26, 0x3fb8aa3b, v26
	v_mul_f32_e32 v27, 0x3fb8aa3b, v27
	v_exp_f32_e32 v26, v26
	v_exp_f32_e32 v27, v27
	v_lshl_add_u64 v[30:31], v[70:71], 0, s[24:25]
	v_lshl_add_u64 v[30:31], v[30:31], 0, v[66:67]
	global_store_short_d16_hi v[30:31], v32, off
	global_store_short_d16_hi v[30:31], v33, off offset:256
	global_store_short_d16_hi v[30:31], v20, off offset:512
	;; [unrolled: 1-line block ×3, first 2 shown]
	v_pk_mul_f32 v[32:33], v[26:27], v[32:33]
	v_pk_mul_f32 v[20:21], v[28:29], v[20:21]
	v_accvgpr_read_b32 v25, a11
	v_perm_b32 v21, v21, v20, s37
	v_perm_b32 v20, v33, v32, s37
	s_waitcnt vmcnt(15)
	v_lshlrev_b32_e32 v33, 16, v145
	s_waitcnt vmcnt(14)
	v_lshlrev_b32_e32 v32, 16, v150
	v_pk_add_f32 v[32:33], v[32:33], v[138:139] neg_lo:[0,1] neg_hi:[0,1]
	s_waitcnt vmcnt(13)
	v_lshlrev_b32_e32 v139, 16, v151
	s_waitcnt vmcnt(12)
	v_lshlrev_b32_e32 v138, 16, v152
	v_pk_add_f32 v[22:23], v[138:139], v[22:23] neg_lo:[0,1] neg_hi:[0,1]
	global_store_short_d16_hi v[30:31], v32, off offset:32
	global_store_short_d16_hi v[30:31], v33, off offset:288
	;; [unrolled: 1-line block ×4, first 2 shown]
	v_pk_mul_f32 v[32:33], v[26:27], v[32:33]
	v_pk_mul_f32 v[22:23], v[28:29], v[22:23]
	v_accvgpr_read_b32 v24, a10
	v_perm_b32 v23, v23, v22, s37
	v_perm_b32 v22, v33, v32, s37
	ds_write2_b64 v89, v[20:21], v[22:23] offset1:16
	v_accvgpr_read_b32 v23, a7
	s_waitcnt vmcnt(15)
	v_lshlrev_b32_e32 v21, 16, v140
	s_waitcnt vmcnt(14)
	v_lshlrev_b32_e32 v20, 16, v141
	v_accvgpr_read_b32 v22, a6
	v_pk_add_f32 v[20:21], v[20:21], v[22:23] neg_lo:[0,1] neg_hi:[0,1]
	global_store_short_d16_hi v[30:31], v20, off offset:64
	global_store_short_d16_hi v[30:31], v21, off offset:320
	v_pk_mul_f32 v[20:21], v[26:27], v[20:21]
	v_mov_b32_e32 v137, 0
	v_perm_b32 v20, v21, v20, s37
	v_mov_b32_e32 v32, 0
	v_mov_b32_e32 v33, 0
	s_waitcnt vmcnt(15)
	v_lshlrev_b32_e32 v23, 16, v146
	s_waitcnt vmcnt(14)
	v_lshlrev_b32_e32 v22, 16, v147
	v_pk_add_f32 v[18:19], v[22:23], v[18:19] neg_lo:[0,1] neg_hi:[0,1]
	global_store_short_d16_hi v[30:31], v18, off offset:576
	global_store_short_d16_hi v[30:31], v19, off offset:832
	v_pk_mul_f32 v[18:19], v[28:29], v[18:19]
	v_accvgpr_read_b32 v23, a9
	v_perm_b32 v21, v19, v18, s37
	s_waitcnt vmcnt(15)
	v_lshlrev_b32_e32 v19, 16, v153
	s_waitcnt vmcnt(14)
	v_lshlrev_b32_e32 v18, 16, v154
	v_accvgpr_read_b32 v22, a8
	v_pk_add_f32 v[18:19], v[18:19], v[22:23] neg_lo:[0,1] neg_hi:[0,1]
	s_waitcnt vmcnt(13)
	v_lshlrev_b32_e32 v23, 16, v155
	s_waitcnt vmcnt(12)
	v_lshlrev_b32_e32 v22, 16, v156
	v_pk_add_f32 v[22:23], v[22:23], v[24:25] neg_lo:[0,1] neg_hi:[0,1]
	global_store_short_d16_hi v[30:31], v18, off offset:96
	global_store_short_d16_hi v[30:31], v19, off offset:352
	;; [unrolled: 1-line block ×4, first 2 shown]
	v_pk_mul_f32 v[18:19], v[26:27], v[18:19]
	v_pk_mul_f32 v[22:23], v[28:29], v[22:23]
	v_mov_b32_e32 v24, 0
	v_perm_b32 v23, v23, v22, s37
	v_perm_b32 v22, v19, v18, s37
	ds_write2_b64 v89, v[20:21], v[22:23] offset0:32 offset1:48
	v_mov_b32_e32 v18, 0
	v_mov_b32_e32 v19, 0
	;; [unrolled: 1-line block ×13, first 2 shown]
	s_cbranch_vccnz .LBB239_14
; %bb.13:                               ;   in Loop: Header=BB239_6 Depth=1
	s_and_b32 s29, s29, 0xffff
	s_mov_b32 s31, s27
	buffer_load_dwordx4 v[30:33], v126, s[28:31], 0 offen
	buffer_load_dwordx4 v[22:25], v126, s[28:31], s56 offen
	;; [unrolled: 1-line block ×4, first 2 shown]
	v_mov_b32_e32 v136, v83
	v_mov_b32_e32 v137, v82
.LBB239_14:                             ;   in Loop: Header=BB239_6 Depth=1
	s_waitcnt lgkmcnt(0)
	s_barrier
	ds_read_b64 v[146:147], v129
	ds_read2_b64 v[138:141], v119 offset1:16
	ds_read_b64 v[162:163], v130
	ds_read_b64 v[164:165], v131
	;; [unrolled: 1-line block ×3, first 2 shown]
	ds_read2_b64 v[142:145], v119 offset0:32 offset1:48
	s_waitcnt lgkmcnt(4)
	v_mfma_f32_16x16x16_bf16 a[0:3], v[146:147], v[138:139], 0
	ds_read2st64_b64 v[150:153], v121 offset0:4 offset1:8
	ds_read2st64_b64 v[154:157], v122 offset0:4 offset1:8
	;; [unrolled: 1-line block ×3, first 2 shown]
	v_mfma_f32_16x16x16_bf16 a[4:7], v[146:147], v[140:141], 0
	s_add_i32 s24, s50, s64
	s_mul_hi_i32 s25, s24, s17
	s_mul_i32 s24, s24, s17
	s_waitcnt lgkmcnt(3)
	v_mfma_f32_16x16x16_bf16 a[8:11], v[146:147], v[142:143], 0
	s_add_u32 s24, s24, s33
	s_addc_u32 s25, s25, s54
	s_lshl_b64 s[24:25], s[24:25], 15
	v_mfma_f32_16x16x16_bf16 a[12:15], v[146:147], v[144:145], 0
	ds_read2st64_b64 v[146:149], v119 offset0:4 offset1:8
	s_waitcnt lgkmcnt(0)
	v_mfma_f32_16x16x16_bf16 a[0:3], v[162:163], v[146:147], a[0:3]
	v_mfma_f32_16x16x16_bf16 a[4:7], v[162:163], v[150:151], a[4:7]
	;; [unrolled: 1-line block ×8, first 2 shown]
	ds_read_b64 v[162:163], v119 offset:6144
	ds_read_b64 v[164:165], v120 offset:40960
	ds_read_b64 v[168:169], v118 offset:40960
	ds_read_b64 v[170:171], v121 offset:6144
	ds_read_b64 v[172:173], v122 offset:6144
	ds_read_b64 v[174:175], v123 offset:6144
	ds_read_b64 v[176:177], v124 offset:40960
	ds_read_b64 v[178:179], v125 offset:40960
	s_waitcnt lgkmcnt(5)
	v_mfma_f32_16x16x16_bf16 a[16:19], v[168:169], v[138:139], 0
	v_mfma_f32_16x16x16_bf16 a[20:23], v[168:169], v[140:141], 0
	ds_read2st64_b64 v[138:141], v116 offset1:8
	v_mfma_f32_16x16x16_bf16 a[24:27], v[168:169], v[142:143], 0
	v_mfma_f32_16x16x16_bf16 a[28:31], v[168:169], v[144:145], 0
	ds_read2st64_b64 v[142:145], v117 offset1:8
	v_mfma_f32_16x16x16_bf16 a[16:19], v[164:165], v[146:147], a[16:19]
	s_waitcnt lgkmcnt(1)
	v_mov_b32_e32 v146, v138
	v_mov_b32_e32 v147, v139
	v_mfma_f32_16x16x16_bf16 a[20:23], v[164:165], v[150:151], a[20:23]
	v_lshl_add_u64 v[150:151], v[72:73], 0, s[24:25]
	v_mfma_f32_16x16x16_bf16 a[24:27], v[164:165], v[154:155], a[24:27]
	v_mfma_f32_16x16x16_bf16 a[28:31], v[164:165], v[158:159], a[28:31]
	;; [unrolled: 1-line block ×3, first 2 shown]
	s_waitcnt lgkmcnt(0)
	v_mov_b32_e32 v148, v142
	v_mov_b32_e32 v149, v143
	;; [unrolled: 1-line block ×3, first 2 shown]
	v_mfma_f32_16x16x16_bf16 a[32:35], v[176:177], v[152:153], a[20:23]
	v_mov_b32_e32 v143, v141
	ds_read2st64_b64 v[138:141], v116 offset0:16 offset1:24
	global_store_dwordx4 v[150:151], v[146:149], off
	v_mfma_f32_16x16x16_bf16 a[24:27], v[176:177], v[156:157], a[24:27]
	ds_read2st64_b64 v[146:149], v117 offset0:16 offset1:24
	v_add_co_u32_e32 v152, vcc, s39, v150
	v_mfma_f32_16x16x16_bf16 a[28:31], v[176:177], v[160:161], a[28:31]
	s_nop 0
	v_addc_co_u32_e32 v153, vcc, 0, v151, vcc
	global_store_dwordx4 v[152:153], v[142:145], off offset:-4096
	v_mfma_f32_16x16x16_bf16 a[0:3], v[166:167], v[162:163], a[0:3]
	s_waitcnt lgkmcnt(1)
	v_mov_b32_e32 v142, v138
	v_add_co_u32_e32 v138, vcc, s62, v150
	v_mfma_f32_16x16x16_bf16 a[4:7], v[166:167], v[170:171], a[4:7]
	v_mov_b32_e32 v143, v139
	v_addc_co_u32_e32 v139, vcc, 0, v151, vcc
	v_mfma_f32_16x16x16_bf16 a[8:11], v[166:167], v[172:173], a[8:11]
	s_waitcnt lgkmcnt(0)
	v_mov_b32_e32 v144, v146
	v_mov_b32_e32 v145, v147
	;; [unrolled: 1-line block ×3, first 2 shown]
	v_mfma_f32_16x16x16_bf16 a[12:15], v[166:167], v[174:175], a[12:15]
	v_mov_b32_e32 v147, v141
	s_and_b64 vcc, exec, s[0:1]
	global_store_dwordx4 v[152:153], v[142:145], off
	v_mfma_f32_16x16x16_bf16 a[20:23], v[178:179], v[162:163], a[16:19]
	global_store_dwordx4 v[138:139], v[146:149], off
	v_mfma_f32_16x16x16_bf16 a[16:19], v[178:179], v[170:171], a[32:35]
	v_mfma_f32_16x16x16_bf16 a[24:27], v[178:179], v[172:173], a[24:27]
	;; [unrolled: 1-line block ×3, first 2 shown]
	s_cbranch_vccnz .LBB239_16
; %bb.15:                               ;   in Loop: Header=BB239_6 Depth=1
	v_lshrrev_b32_e32 v138, 3, v136
	v_and_b32_e32 v138, 6, v138
	v_xor_b32_e32 v137, v138, v137
	v_lshlrev_b32_e32 v137, 2, v137
	v_and_b32_e32 v136, 8, v136
	v_xor_b32_e32 v139, 0x440, v137
	v_cmp_eq_u32_e32 vcc, 0, v136
	s_barrier
	s_nop 0
	v_cndmask_b32_e32 v136, v139, v137, vcc
	v_lshl_or_b32 v136, v138, 10, v136
	s_waitcnt vmcnt(5)
	v_perm_b32 v137, v30, v26, s58
	s_waitcnt vmcnt(4)
	v_perm_b32 v138, v22, v18, s58
	ds_write2st64_b32 v136, v137, v138 offset0:128 offset1:160
	v_xor_b32_e32 v137, 8, v136
	v_perm_b32 v26, v30, v26, s59
	v_perm_b32 v18, v22, v18, s59
	v_add_u32_e32 v22, 0x80, v137
	ds_write2st64_b32 v22, v26, v18 offset0:128 offset1:160
	v_xor_b32_e32 v18, 16, v136
	v_perm_b32 v22, v31, v27, s58
	v_perm_b32 v26, v23, v19, s58
	ds_write2st64_b32 v18, v22, v26 offset0:129 offset1:161
	v_xor_b32_e32 v18, 24, v136
	v_perm_b32 v22, v31, v27, s59
	v_perm_b32 v19, v23, v19, s59
	v_add_u32_e32 v18, 0x80, v18
	ds_write2st64_b32 v18, v22, v19 offset0:129 offset1:161
	v_xor_b32_e32 v18, 32, v136
	v_perm_b32 v19, v32, v28, s58
	;; [unrolled: 9-line block ×3, first 2 shown]
	v_perm_b32 v20, v25, v21, s58
	ds_write2st64_b32 v18, v19, v20 offset0:131 offset1:163
	v_xor_b32_e32 v18, 56, v136
	v_perm_b32 v19, v33, v29, s59
	v_perm_b32 v20, v25, v21, s59
	v_add_u32_e32 v18, 0x80, v18
	ds_write2st64_b32 v18, v19, v20 offset0:131 offset1:163
	ds_write_b64 v135, v[14:15] offset:49152
	v_xor_b32_e32 v14, 8, v135
	ds_write_b64 v14, v[16:17] offset:49152
	ds_write_b64 v135, v[10:11] offset:57344
	;; [unrolled: 1-line block ×4, first 2 shown]
	v_xor_b32_e32 v6, 8, v134
	ds_write_b64 v6, v[8:9] offset:49152
	ds_write_b64 v134, v[2:3] offset:57344
	;; [unrolled: 1-line block ×3, first 2 shown]
.LBB239_16:                             ;   in Loop: Header=BB239_6 Depth=1
	s_waitcnt vmcnt(6)
	v_mul_f32_e32 v22, s42, v133
	v_exp_f32_e32 v134, v22
	v_accvgpr_read_b32 v5, a3
	v_accvgpr_read_b32 v9, a7
	;; [unrolled: 1-line block ×4, first 2 shown]
	s_waitcnt vmcnt(4)
	v_accvgpr_read_b32 v18, a20
	v_accvgpr_read_b32 v25, a19
	;; [unrolled: 1-line block ×28, first 2 shown]
	s_add_i32 s57, s57, 64
	v_pk_fma_f32 v[62:63], v[134:135], v[62:63], v[2:3] op_sel_hi:[0,1,1]
	v_pk_fma_f32 v[64:65], v[134:135], v[64:65], v[4:5] op_sel_hi:[0,1,1]
	v_pk_fma_f32 v[54:55], v[134:135], v[54:55], v[6:7] op_sel_hi:[0,1,1]
	v_pk_fma_f32 v[56:57], v[134:135], v[56:57], v[8:9] op_sel_hi:[0,1,1]
	v_pk_fma_f32 v[46:47], v[134:135], v[46:47], v[10:11] op_sel_hi:[0,1,1]
	v_pk_fma_f32 v[48:49], v[134:135], v[48:49], v[12:13] op_sel_hi:[0,1,1]
	v_pk_fma_f32 v[40:41], v[134:135], v[40:41], v[14:15] op_sel_hi:[0,1,1]
	v_pk_fma_f32 v[34:35], v[134:135], v[34:35], v[16:17] op_sel_hi:[0,1,1]
	v_pk_fma_f32 v[58:59], v[134:135], v[58:59], v[18:19] op_sel_hi:[0,1,1]
	v_pk_fma_f32 v[60:61], v[134:135], v[60:61], v[20:21] op_sel_hi:[0,1,1]
	v_pk_fma_f32 v[50:51], v[134:135], v[50:51], v[22:23] op_sel_hi:[0,1,1]
	v_pk_fma_f32 v[52:53], v[134:135], v[52:53], v[24:25] op_sel_hi:[0,1,1]
	v_pk_fma_f32 v[42:43], v[134:135], v[42:43], v[26:27] op_sel_hi:[0,1,1]
	v_pk_fma_f32 v[44:45], v[134:135], v[44:45], v[28:29] op_sel_hi:[0,1,1]
	v_pk_fma_f32 v[36:37], v[134:135], v[36:37], v[30:31] op_sel_hi:[0,1,1]
	s_cmp_eq_u32 s48, s63
	v_pk_fma_f32 v[38:39], v[134:135], v[38:39], v[32:33] op_sel_hi:[0,1,1]
	s_cbranch_scc1 .LBB239_18
; %bb.17:                               ;   in Loop: Header=BB239_6 Depth=1
	s_mov_b32 s64, s63
	s_branch .LBB239_6
.LBB239_18:
	s_lshl_b32 s42, s48, 6
	s_sub_i32 s43, s16, s42
	s_cmp_gt_i32 s43, 0
	s_cbranch_scc0 .LBB239_99
; %bb.19:
	s_ashr_i32 s39, s47, 31
	s_ashr_i32 s2, s42, 31
	s_cmpk_lg_i32 s19, 0x80
	s_cselect_b64 s[30:31], -1, 0
	s_and_b64 vcc, exec, s[30:31]
	s_cbranch_vccz .LBB239_21
; %bb.20:
	s_mul_i32 s1, s47, s16
	s_mul_hi_i32 s0, s47, s16
	s_add_u32 s1, s1, s42
	s_addc_u32 s0, s0, s2
	s_mul_i32 s3, s1, s49
	s_mul_hi_u32 s24, s1, s18
	s_add_i32 s3, s24, s3
	s_mul_i32 s0, s0, s18
	s_add_i32 s3, s3, s0
	s_mul_i32 s1, s1, s18
	s_ashr_i32 s0, s52, 31
	s_add_u32 s40, s1, s52
	s_addc_u32 s41, s3, s0
	s_cbranch_execz .LBB239_22
	s_branch .LBB239_23
.LBB239_21:
                                        ; implicit-def: $sgpr40_sgpr41
.LBB239_22:
	s_mul_hi_i32 s0, s47, s18
	s_mul_i32 s47, s47, s18
	s_ashr_i32 s1, s52, 31
	s_add_u32 s3, s47, s52
	s_addc_u32 s0, s0, s1
	s_mul_i32 s1, s3, s46
	s_mul_hi_u32 s18, s3, s16
	s_add_i32 s1, s18, s1
	s_mul_i32 s0, s0, s16
	s_add_i32 s1, s1, s0
	s_mul_i32 s3, s3, s16
	s_add_u32 s40, s3, s42
	s_addc_u32 s41, s1, s2
.LBB239_23:
	s_add_i32 s3, s50, s48
	s_ashr_i32 s18, s33, 31
	s_add_u32 s0, s45, s33
	s_addc_u32 s1, s51, s18
	s_mul_i32 s24, s0, s46
	s_mul_hi_u32 s25, s0, s16
	s_add_i32 s24, s25, s24
	s_mul_i32 s1, s1, s16
	s_add_i32 s24, s24, s1
	s_mul_i32 s0, s0, s16
	s_add_u32 s0, s0, s42
	v_lshlrev_b32_e32 v6, 6, v80
	v_lshlrev_b32_e32 v24, 2, v74
	s_addc_u32 s1, s24, s2
	s_mov_b32 s2, 0x7060302
	v_or_b32_e32 v9, v6, v24
	v_xor_b32_e32 v7, v80, v24
	v_perm_b32 v3, v65, v64, s2
	v_perm_b32 v2, v63, v62, s2
	;; [unrolled: 1-line block ×4, first 2 shown]
	v_lshlrev_b32_e32 v9, 1, v9
	v_xor_b32_e32 v8, v81, v24
	ds_write2st64_b64 v9, v[2:3], v[4:5] offset0:32 offset1:48
	v_lshlrev_b32_e32 v7, 1, v7
	v_lshlrev_b32_e32 v9, 8, v74
	v_or_b32_e32 v10, v7, v9
	v_lshlrev_b32_e32 v8, 1, v8
	ds_write_b64 v10, v[2:3]
	v_or_b32_e32 v2, v8, v9
	v_or_b32_e32 v9, 16, v74
	v_lshlrev_b32_e32 v23, 2, v9
	v_or_b32_e32 v10, v6, v23
	ds_write_b64 v2, v[4:5]
	v_perm_b32 v3, v57, v56, s2
	v_perm_b32 v2, v55, v54, s2
	;; [unrolled: 1-line block ×4, first 2 shown]
	v_lshlrev_b32_e32 v10, 1, v10
	v_lshlrev_b32_e32 v9, 8, v9
	ds_write2st64_b64 v10, v[2:3], v[4:5] offset0:32 offset1:48
	v_or_b32_e32 v10, v7, v9
	ds_write_b64 v10, v[2:3]
	v_or_b32_e32 v2, v8, v9
	v_or_b32_e32 v9, 32, v74
	v_lshlrev_b32_e32 v22, 2, v9
	v_or_b32_e32 v10, v6, v22
	s_lshl_b64 s[28:29], s[0:1], 8
	ds_write_b64 v2, v[4:5]
	v_perm_b32 v3, v49, v48, s2
	v_perm_b32 v2, v47, v46, s2
	;; [unrolled: 1-line block ×4, first 2 shown]
	v_lshlrev_b32_e32 v10, 1, v10
	v_lshlrev_b32_e32 v9, 8, v9
	s_add_u32 s0, s6, s28
	ds_write2st64_b64 v10, v[2:3], v[4:5] offset0:32 offset1:48
	v_or_b32_e32 v10, v7, v9
	s_addc_u32 s1, s7, s29
	ds_write_b64 v10, v[2:3]
	v_or_b32_e32 v2, v8, v9
	v_or_b32_e32 v9, 48, v74
	s_mul_hi_i32 s6, s3, s17
	s_mul_i32 s3, s3, s17
	ds_write_b64 v2, v[4:5]
	v_perm_b32 v3, v35, v34, s2
	v_perm_b32 v2, v41, v40, s2
	;; [unrolled: 1-line block ×4, first 2 shown]
	v_lshlrev_b32_e32 v19, 2, v9
	s_add_u32 s2, s3, s33
	v_or_b32_e32 v6, v6, v19
	s_addc_u32 s3, s6, s18
	v_lshlrev_b32_e32 v6, 1, v6
	s_ashr_i32 s37, s36, 31
	s_lshl_b64 s[2:3], s[2:3], 15
	ds_write2st64_b64 v6, v[2:3], v[4:5] offset0:32 offset1:48
	v_lshlrev_b32_e32 v6, 8, v9
	s_add_u32 s6, s12, s2
	v_or_b32_e32 v7, v7, v6
	s_addc_u32 s7, s13, s3
	s_lshl_b64 s[2:3], s[36:37], 8
	ds_write_b64 v7, v[2:3]
	v_or_b32_e32 v2, v8, v6
	s_add_u32 s2, s6, s2
	v_lshlrev_b32_e32 v3, 1, v74
	ds_write_b64 v2, v[4:5]
	v_lshrrev_b32_e32 v2, 4, v0
	s_addc_u32 s3, s7, s3
	v_or_b32_e32 v4, 1, v3
	v_lshlrev_b32_e32 v10, 4, v74
	v_mov_b32_e32 v11, 0
	v_xor_b32_e32 v3, v2, v3
	v_xor_b32_e32 v6, v4, v2
	v_lshl_add_u64 v[12:13], s[2:3], 0, v[10:11]
	v_lshlrev_b32_e32 v10, 8, v2
	v_lshl_or_b32 v16, v3, 3, v10
	v_lshl_or_b32 v17, v6, 3, v10
	s_waitcnt lgkmcnt(0)
	s_barrier
	ds_read2st64_b64 v[2:5], v16 offset1:8
	ds_read2st64_b64 v[6:9], v17 offset1:8
	v_lshl_add_u64 v[14:15], v[12:13], 0, v[10:11]
	s_movk_i32 s2, 0x2000
	s_cmp_lg_u32 s43, 64
	s_waitcnt lgkmcnt(1)
	v_mov_b32_e32 v10, v2
	v_mov_b32_e32 v11, v3
	s_waitcnt lgkmcnt(0)
	v_mov_b32_e32 v12, v6
	v_mov_b32_e32 v13, v7
	global_store_dwordx4 v[14:15], v[10:13], off
	v_mov_b32_e32 v6, v4
	v_mov_b32_e32 v7, v5
	ds_read2st64_b64 v[2:5], v16 offset0:16 offset1:24
	ds_read2st64_b64 v[10:13], v17 offset0:16 offset1:24
	v_add_co_u32_e32 v16, vcc, s2, v14
	s_cselect_b64 s[6:7], -1, 0
	s_nop 0
	v_addc_co_u32_e32 v17, vcc, 0, v15, vcc
	global_store_dwordx4 v[16:17], v[6:9], off offset:-4096
	v_lshl_or_b32 v25, v76, 3, v79
	s_mov_b32 s24, 0
	s_waitcnt lgkmcnt(1)
	v_mov_b32_e32 v6, v2
	v_add_co_u32_e32 v2, vcc, 0x3000, v14
	v_mov_b32_e32 v7, v3
	s_nop 0
	v_addc_co_u32_e32 v3, vcc, 0, v15, vcc
	s_waitcnt lgkmcnt(0)
	v_mov_b32_e32 v8, v10
	v_mov_b32_e32 v9, v11
	;; [unrolled: 1-line block ×4, first 2 shown]
	v_or_b32_e32 v20, 32, v25
	v_and_b32_e32 v18, 56, v78
	s_and_b64 vcc, exec, s[6:7]
	global_store_dwordx4 v[16:17], v[6:9], off
	global_store_dwordx4 v[2:3], v[10:13], off
	s_cbranch_vccz .LBB239_29
; %bb.24:
	s_mov_b32 s25, s24
	s_mov_b32 s26, s24
	;; [unrolled: 1-line block ×3, first 2 shown]
	v_mov_b64_e32 v[6:7], s[24:25]
	v_mov_b64_e32 v[8:9], s[26:27]
	;; [unrolled: 1-line block ×3, first 2 shown]
	v_cmp_gt_i32_e32 vcc, s43, v25
	v_mov_b64_e32 v[4:5], v[8:9]
	s_and_saveexec_b64 s[2:3], vcc
	s_cbranch_execz .LBB239_26
; %bb.25:
	v_lshlrev_b32_e32 v2, 8, v25
	v_mov_b32_e32 v3, 0
	v_lshl_add_u64 v[4:5], s[0:1], 0, v[2:3]
	v_lshlrev_b32_e32 v2, 1, v18
	v_lshl_add_u64 v[10:11], v[4:5], 0, v[2:3]
	global_load_dwordx4 v[6:9], v[10:11], off
	global_load_dwordx4 v[2:5], v[10:11], off offset:128
.LBB239_26:
	s_or_b64 exec, exec, s[2:3]
	s_mov_b32 s25, s24
	s_mov_b32 s26, s24
	s_mov_b32 s27, s24
	v_mov_b64_e32 v[14:15], s[24:25]
	v_mov_b64_e32 v[16:17], s[26:27]
	;; [unrolled: 1-line block ×3, first 2 shown]
	v_cmp_gt_i32_e32 vcc, s43, v20
	v_lshlrev_b32_e32 v21, 7, v20
	v_mov_b64_e32 v[12:13], v[16:17]
	s_and_saveexec_b64 s[2:3], vcc
	s_cbranch_execz .LBB239_28
; %bb.27:
	v_lshlrev_b32_e32 v10, 1, v21
	v_mov_b32_e32 v11, 0
	v_lshl_add_u64 v[12:13], s[0:1], 0, v[10:11]
	v_lshlrev_b32_e32 v10, 1, v18
	v_lshl_add_u64 v[26:27], v[12:13], 0, v[10:11]
	global_load_dwordx4 v[14:17], v[26:27], off
	global_load_dwordx4 v[10:13], v[26:27], off offset:128
.LBB239_28:
	s_or_b64 exec, exec, s[2:3]
	v_lshrrev_b32_e32 v26, 3, v18
	v_lshlrev_b32_e32 v27, 3, v25
	v_or_b32_e32 v26, v27, v26
	v_lshlrev_b32_e32 v26, 4, v26
	v_and_b32_e32 v27, 0x78, v27
	v_xor_b32_e32 v26, v26, v27
	s_branch .LBB239_31
.LBB239_29:
                                        ; implicit-def: $vgpr26
                                        ; implicit-def: $vgpr21
                                        ; implicit-def: $vgpr6_vgpr7_vgpr8_vgpr9
                                        ; implicit-def: $vgpr2_vgpr3_vgpr4_vgpr5
                                        ; implicit-def: $vgpr14_vgpr15_vgpr16_vgpr17
                                        ; implicit-def: $vgpr10_vgpr11_vgpr12_vgpr13
	s_cbranch_execz .LBB239_31
; %bb.30:
	s_waitcnt vmcnt(0)
	v_lshlrev_b32_e32 v2, 1, v18
	v_lshl_or_b32 v21, v25, 8, v2
	s_and_b32 s1, s1, 0xffff
	s_mov_b32 s3, 0x20000
	s_movk_i32 s2, 0x4000
	v_lshl_or_b32 v26, v20, 8, v2
	s_movk_i32 s12, 0x80
	buffer_load_dwordx4 v[6:9], v21, s[0:3], 0 offen
	buffer_load_dwordx4 v[2:5], v21, s[0:3], s12 offen
	;; [unrolled: 1-line block ×4, first 2 shown]
	v_lshrrev_b32_e32 v21, 3, v18
	v_lshlrev_b32_e32 v26, 3, v25
	v_or_b32_e32 v21, v26, v21
	v_lshlrev_b32_e32 v21, 4, v21
	v_and_b32_e32 v26, 0x78, v26
	v_xor_b32_e32 v26, v21, v26
	v_lshlrev_b32_e32 v21, 7, v20
.LBB239_31:
	s_movk_i32 s0, 0x1000
	v_and_or_b32 v20, v21, s0, v26
	s_waitcnt vmcnt(1)
	ds_write_b64 v26, v[6:7] offset:49152
	v_xor_b32_e32 v6, 8, v26
	ds_write_b64 v6, v[8:9] offset:49152
	s_waitcnt vmcnt(0)
	ds_write_b64 v26, v[2:3] offset:57344
	ds_write_b64 v6, v[4:5] offset:57344
	;; [unrolled: 1-line block ×3, first 2 shown]
	v_xor_b32_e32 v2, 8, v20
	ds_write_b64 v2, v[16:17] offset:49152
	ds_write_b64 v20, v[10:11] offset:57344
	;; [unrolled: 1-line block ×3, first 2 shown]
	v_or_b32_e32 v2, v1, v74
	v_lshlrev_b32_e32 v3, 11, v76
	v_lshlrev_b32_e32 v2, 3, v2
	v_and_b32_e32 v6, 0x1000, v3
	v_lshrrev_b32_e32 v3, 5, v75
	s_movk_i32 s0, 0xf8
	v_and_or_b32 v3, v2, s0, v3
	v_lshlrev_b32_e32 v7, 4, v3
	v_and_b32_e32 v8, 0x78, v2
	v_or_b32_e32 v10, 32, v7
	v_lshrrev_b32_e32 v3, 1, v75
	v_xor_b32_e32 v10, v10, v8
	v_xor_b32_e32 v2, v7, v8
	v_and_b32_e32 v9, 8, v3
	v_or_b32_e32 v10, v10, v6
	v_or_b32_e32 v2, v2, v6
	v_xor_b32_e32 v28, v10, v9
	v_or_b32_e32 v10, 64, v7
	v_xor_b32_e32 v27, v2, v9
	v_xor_b32_e32 v10, v10, v8
	s_waitcnt lgkmcnt(0)
	s_barrier
	v_or_b32_e32 v13, v10, v6
	ds_read_b64 v[10:11], v27 offset:49152
	v_lshl_or_b32 v14, v77, 8, v24
	v_lshlrev_b32_e32 v26, 1, v14
	v_add_u32_e32 v12, 0x4000, v26
	ds_read2_b64 v[2:5], v12 offset1:16
	v_or_b32_e32 v7, 0x60, v7
	v_xor_b32_e32 v7, v7, v8
	v_or_b32_e32 v6, v7, v6
	v_xor_b32_e32 v29, v13, v9
	v_xor_b32_e32 v30, v6, v9
	ds_read_b64 v[20:21], v28 offset:49152
	ds_read_b64 v[34:35], v29 offset:49152
	;; [unrolled: 1-line block ×3, first 2 shown]
	s_waitcnt lgkmcnt(3)
	v_mfma_f32_16x16x16_bf16 a[0:3], v[10:11], v[2:3], 0
	ds_read2_b64 v[6:9], v12 offset0:32 offset1:48
	s_lshl_b64 s[0:1], s[40:41], 8
	s_add_u32 s4, s4, s0
	v_mfma_f32_16x16x16_bf16 a[4:7], v[10:11], v[4:5], 0
	ds_read2st64_b64 v[2:5], v26 offset0:36 offset1:40
	s_addc_u32 s5, s5, s1
	s_add_i32 s2, s16, -1
	s_waitcnt lgkmcnt(1)
	v_mfma_f32_16x16x16_bf16 a[8:11], v[10:11], v[6:7], 0
	v_or_b32_e32 v6, 64, v14
	v_lshlrev_b32_e32 v31, 1, v6
	s_add_i32 s0, s44, s21
	s_waitcnt lgkmcnt(0)
	v_mfma_f32_16x16x16_bf16 a[0:3], v[20:21], v[2:3], a[0:3]
	v_or_b32_e32 v2, 0x80, v14
	v_lshlrev_b32_e32 v32, 1, v2
	v_or_b32_e32 v2, 0xc0, v14
	v_mfma_f32_16x16x16_bf16 a[12:15], v[10:11], v[8:9], 0
	ds_read2st64_b64 v[6:9], v31 offset0:36 offset1:40
	v_lshlrev_b32_e32 v33, 1, v2
	ds_read2st64_b64 v[10:13], v32 offset0:36 offset1:40
	ds_read2st64_b64 v[14:17], v33 offset0:36 offset1:40
	s_mul_i32 s39, s39, s20
	s_add_i32 s39, s0, s39
	s_mul_i32 s0, s33, s23
	s_mul_hi_u32 s1, s33, s22
	s_ashr_i32 s3, s2, 31
	s_mul_i32 s12, s2, s35
	s_mul_hi_u32 s13, s2, s34
	s_waitcnt lgkmcnt(2)
	v_mfma_f32_16x16x16_bf16 a[4:7], v[20:21], v[6:7], a[4:7]
	s_add_i32 s0, s1, s0
	s_mul_i32 s1, s18, s22
	s_add_i32 s12, s13, s12
	s_mul_i32 s3, s3, s34
	s_waitcnt lgkmcnt(1)
	v_mfma_f32_16x16x16_bf16 a[8:11], v[20:21], v[10:11], a[8:11]
	s_add_i32 s1, s0, s1
	s_add_i32 s3, s12, s3
	s_lshl_b64 s[12:13], s[38:39], 2
	s_waitcnt lgkmcnt(0)
	v_mfma_f32_16x16x16_bf16 a[12:15], v[20:21], v[14:15], a[12:15]
	s_mul_i32 s0, s33, s22
	s_add_u32 s10, s10, s12
	s_addc_u32 s11, s11, s13
	s_lshl_b64 s[0:1], s[0:1], 2
	v_mfma_f32_16x16x16_bf16 a[0:3], v[34:35], v[4:5], a[0:3]
	s_mul_i32 s2, s2, s34
	ds_read_b64 v[2:3], v26 offset:22528
	s_add_u32 s10, s10, s0
	v_mfma_f32_16x16x16_bf16 a[4:7], v[34:35], v[8:9], a[4:7]
	ds_read_b64 v[4:5], v31 offset:22528
	ds_read_b64 v[6:7], v32 offset:22528
	;; [unrolled: 1-line block ×3, first 2 shown]
	s_addc_u32 s11, s11, s1
	s_lshl_b64 s[0:1], s[2:3], 2
	v_mfma_f32_16x16x16_bf16 a[8:11], v[34:35], v[12:13], a[8:11]
	s_add_u32 s0, s10, s0
	s_addc_u32 s1, s11, s1
	s_load_dword s12, s[0:1], 0x0
	v_mfma_f32_16x16x16_bf16 a[12:15], v[34:35], v[16:17], a[12:15]
	s_and_b64 vcc, exec, s[30:31]
	s_waitcnt lgkmcnt(0)
	v_mfma_f32_16x16x16_bf16 a[0:3], v[36:37], v[2:3], a[0:3]
	v_mfma_f32_16x16x16_bf16 a[4:7], v[36:37], v[4:5], a[4:7]
	;; [unrolled: 1-line block ×4, first 2 shown]
	s_cbranch_vccz .LBB239_42
; %bb.32:
	v_lshlrev_b32_e32 v20, 1, v25
	s_and_b64 vcc, exec, s[6:7]
	s_cbranch_vccz .LBB239_43
; %bb.33:
	v_cmp_gt_i32_e32 vcc, s43, v20
	v_mov_b32_e32 v6, 0
	v_mov_b32_e32 v2, 0
	;; [unrolled: 1-line block ×5, first 2 shown]
	s_and_saveexec_b64 s[0:1], vcc
	s_cbranch_execz .LBB239_35
; %bb.34:
	v_mad_i64_i32 v[2:3], s[2:3], s19, v20, 0
	v_lshl_add_u64 v[2:3], v[2:3], 1, s[4:5]
	v_lshlrev_b32_e32 v4, 1, v18
	v_mov_b32_e32 v5, 0
	v_lshl_add_u64 v[2:3], v[2:3], 0, v[4:5]
	global_load_dwordx4 v[2:5], v[2:3], off
.LBB239_35:
	s_or_b64 exec, exec, s[0:1]
	v_or_b32_e32 v21, 1, v20
	v_cmp_gt_i32_e64 s[0:1], s43, v21
	v_mov_b32_e32 v7, 0
	v_mov_b32_e32 v8, 0
	;; [unrolled: 1-line block ×3, first 2 shown]
	s_and_saveexec_b64 s[2:3], s[0:1]
	s_cbranch_execz .LBB239_37
; %bb.36:
	v_mad_i64_i32 v[6:7], s[16:17], s19, v21, 0
	v_lshl_add_u64 v[6:7], v[6:7], 1, s[4:5]
	v_lshlrev_b32_e32 v8, 1, v18
	v_mov_b32_e32 v9, 0
	v_lshl_add_u64 v[6:7], v[6:7], 0, v[8:9]
	global_load_dwordx4 v[6:9], v[6:7], off
.LBB239_37:
	s_or_b64 exec, exec, s[2:3]
	v_mov_b32_e32 v17, 0
	v_mov_b32_e32 v10, 0
	;; [unrolled: 1-line block ×5, first 2 shown]
	s_and_saveexec_b64 s[2:3], vcc
	s_cbranch_execz .LBB239_39
; %bb.38:
	v_mad_i64_i32 v[10:11], s[16:17], s19, v20, 0
	v_lshl_add_u64 v[10:11], v[10:11], 1, s[4:5]
	v_lshlrev_b32_e32 v12, 1, v18
	v_mov_b32_e32 v13, 0
	v_lshl_add_u64 v[10:11], v[10:11], 0, v[12:13]
	global_load_dwordx4 v[10:13], v[10:11], off offset:128
.LBB239_39:
	s_or_b64 exec, exec, s[2:3]
	v_mov_b32_e32 v16, 0
	v_mov_b32_e32 v15, 0
	;; [unrolled: 1-line block ×3, first 2 shown]
	s_and_saveexec_b64 s[2:3], s[0:1]
	s_cbranch_execz .LBB239_41
; %bb.40:
	v_mad_i64_i32 v[14:15], s[0:1], s19, v21, 0
	v_lshl_add_u64 v[14:15], v[14:15], 1, s[4:5]
	v_lshlrev_b32_e32 v16, 1, v18
	v_mov_b32_e32 v17, 0
	v_lshl_add_u64 v[14:15], v[14:15], 0, v[16:17]
	global_load_dwordx4 v[14:17], v[14:15], off offset:128
.LBB239_41:
	s_or_b64 exec, exec, s[2:3]
	s_branch .LBB239_45
.LBB239_42:
                                        ; implicit-def: $vgpr5
                                        ; implicit-def: $vgpr9
                                        ; implicit-def: $vgpr13
                                        ; implicit-def: $vgpr17
	v_lshrrev_b32_e32 v34, 2, v75
	s_branch .LBB239_46
.LBB239_43:
                                        ; implicit-def: $vgpr5
                                        ; implicit-def: $vgpr9
                                        ; implicit-def: $vgpr13
                                        ; implicit-def: $vgpr17
	s_cbranch_execz .LBB239_45
; %bb.44:
	s_waitcnt vmcnt(0)
	v_mad_u64_u32 v[2:3], s[0:1], v20, s19, v[18:19]
	v_lshlrev_b32_e32 v20, 1, v2
	s_lshl_b32 s2, s19, 7
	s_and_b32 s1, s5, 0xffff
	s_mov_b32 s3, 0x20000
	s_mov_b32 s0, s4
	v_add_lshl_u32 v21, v2, s19, 1
	s_movk_i32 s13, 0x80
	buffer_load_dwordx4 v[2:5], v20, s[0:3], 0 offen
	buffer_load_dwordx4 v[10:13], v20, s[0:3], s13 offen
	;; [unrolled: 1-line block ×4, first 2 shown]
.LBB239_45:
	v_lshrrev_b32_e32 v34, 2, v75
	s_cbranch_execnz .LBB239_58
.LBB239_46:
	s_and_b64 vcc, exec, s[6:7]
	s_cbranch_vccz .LBB239_56
; %bb.47:
	s_waitcnt vmcnt(0)
	v_lshlrev_b32_e32 v7, 1, v25
	v_cmp_gt_i32_e32 vcc, s43, v7
	v_mov_b32_e32 v6, 0
	v_lshlrev_b32_e32 v14, 9, v25
	v_mov_b32_e32 v2, 0
	v_mov_b32_e32 v3, 0
	;; [unrolled: 1-line block ×4, first 2 shown]
	s_and_saveexec_b64 s[0:1], vcc
	s_cbranch_execz .LBB239_49
; %bb.48:
	v_mov_b32_e32 v15, 0
	v_lshl_add_u64 v[2:3], s[4:5], 0, v[14:15]
	v_lshlrev_b32_e32 v4, 1, v18
	v_mov_b32_e32 v5, v15
	v_lshl_add_u64 v[2:3], v[2:3], 0, v[4:5]
	global_load_dwordx4 v[2:5], v[2:3], off
.LBB239_49:
	s_or_b64 exec, exec, s[0:1]
	v_or_b32_e32 v7, 1, v7
	v_cmp_gt_i32_e64 s[0:1], s43, v7
	v_lshlrev_b32_e32 v20, 8, v7
	v_mov_b32_e32 v7, 0
	v_mov_b32_e32 v8, 0
	;; [unrolled: 1-line block ×3, first 2 shown]
	s_and_saveexec_b64 s[2:3], s[0:1]
	s_cbranch_execz .LBB239_51
; %bb.50:
	v_mov_b32_e32 v21, 0
	v_lshl_add_u64 v[6:7], s[4:5], 0, v[20:21]
	v_lshlrev_b32_e32 v8, 1, v18
	v_mov_b32_e32 v9, v21
	v_lshl_add_u64 v[6:7], v[6:7], 0, v[8:9]
	global_load_dwordx4 v[6:9], v[6:7], off
.LBB239_51:
	s_or_b64 exec, exec, s[2:3]
	v_mov_b32_e32 v17, 0
	v_mov_b32_e32 v10, 0
	;; [unrolled: 1-line block ×5, first 2 shown]
	s_and_saveexec_b64 s[2:3], vcc
	s_cbranch_execz .LBB239_53
; %bb.52:
	v_mov_b32_e32 v15, 0
	v_lshl_add_u64 v[10:11], s[4:5], 0, v[14:15]
	v_lshlrev_b32_e32 v14, 1, v18
	v_lshl_add_u64 v[10:11], v[10:11], 0, v[14:15]
	global_load_dwordx4 v[10:13], v[10:11], off offset:128
.LBB239_53:
	s_or_b64 exec, exec, s[2:3]
	v_mov_b32_e32 v16, 0
	v_mov_b32_e32 v15, 0
	;; [unrolled: 1-line block ×3, first 2 shown]
	s_and_saveexec_b64 s[2:3], s[0:1]
	s_cbranch_execz .LBB239_55
; %bb.54:
	v_mov_b32_e32 v21, 0
	v_lshl_add_u64 v[14:15], s[4:5], 0, v[20:21]
	v_lshlrev_b32_e32 v20, 1, v18
	v_lshl_add_u64 v[14:15], v[14:15], 0, v[20:21]
	global_load_dwordx4 v[14:17], v[14:15], off offset:128
.LBB239_55:
	s_or_b64 exec, exec, s[2:3]
	s_branch .LBB239_58
.LBB239_56:
                                        ; implicit-def: $vgpr5
                                        ; implicit-def: $vgpr9
                                        ; implicit-def: $vgpr13
                                        ; implicit-def: $vgpr17
	s_cbranch_execz .LBB239_58
; %bb.57:
	s_waitcnt vmcnt(0)
	v_lshlrev_b32_e32 v2, 1, v18
	v_lshl_or_b32 v18, v25, 9, v2
	s_and_b32 s5, s5, 0xffff
	s_mov_b32 s7, 0x20000
	s_movk_i32 s6, 0x4000
	s_movk_i32 s0, 0x80
	buffer_load_dwordx4 v[2:5], v18, s[4:7], 0 offen
	buffer_load_dwordx4 v[6:9], v18, s[4:7], 0 offen offset:256
	buffer_load_dwordx4 v[10:13], v18, s[4:7], s0 offen
	buffer_load_dwordx4 v[14:17], v18, s[4:7], s0 offen offset:256
.LBB239_58:
	ds_read_b64 v[20:21], v27 offset:57344
	v_add_u32_e32 v18, 0x6000, v26
	ds_read2_b64 v[36:39], v18 offset1:16
	ds_read_b64 v[52:53], v28 offset:57344
	ds_read_b64 v[28:29], v29 offset:57344
	;; [unrolled: 1-line block ×3, first 2 shown]
	ds_read2st64_b64 v[40:43], v26 offset0:52 offset1:56
	s_mov_b32 s0, 0x1000504
	s_mov_b32 s1, 0x3020706
	s_waitcnt lgkmcnt(4)
	v_mfma_f32_16x16x16_bf16 a[0:3], v[20:21], v[36:37], a[0:3]
	v_mfma_f32_16x16x16_bf16 a[4:7], v[20:21], v[38:39], a[4:7]
	ds_read2_b64 v[36:39], v18 offset0:32 offset1:48
	v_and_b32_e32 v18, 6, v0
	v_xor_b32_e32 v25, v25, v18
	s_waitcnt lgkmcnt(0)
	v_mfma_f32_16x16x16_bf16 a[8:11], v[20:21], v[36:37], a[8:11]
	v_lshlrev_b32_e32 v25, 2, v25
	v_and_b32_e32 v0, 1, v0
	v_xor_b32_e32 v35, 0x440, v25
	v_mfma_f32_16x16x16_bf16 a[12:15], v[20:21], v[38:39], a[12:15]
	ds_read2st64_b64 v[36:39], v31 offset0:52 offset1:56
	ds_read2st64_b64 v[44:47], v32 offset0:52 offset1:56
	;; [unrolled: 1-line block ×3, first 2 shown]
	v_cmp_eq_u32_e32 vcc, 0, v0
	ds_read_b64 v[20:21], v26 offset:30720
	ds_read_b64 v[26:27], v31 offset:30720
	;; [unrolled: 1-line block ×4, first 2 shown]
	v_mfma_f32_16x16x16_bf16 a[0:3], v[52:53], v[40:41], a[0:3]
	v_cndmask_b32_e32 v0, v35, v25, vcc
	v_lshl_or_b32 v0, v18, 10, v0
	s_waitcnt vmcnt(0)
	v_perm_b32 v18, v2, v6, s0
	s_waitcnt lgkmcnt(6)
	v_mfma_f32_16x16x16_bf16 a[4:7], v[52:53], v[36:37], a[4:7]
	v_perm_b32 v25, v10, v14, s0
	ds_write2st64_b32 v0, v18, v25 offset0:128 offset1:160
	v_xor_b32_e32 v18, 8, v0
	s_waitcnt lgkmcnt(6)
	v_mfma_f32_16x16x16_bf16 a[8:11], v[52:53], v[44:45], a[8:11]
	v_perm_b32 v2, v2, v6, s1
	v_perm_b32 v6, v10, v14, s1
	v_add_u32_e32 v10, 0x80, v18
	s_waitcnt lgkmcnt(5)
	v_mfma_f32_16x16x16_bf16 a[12:15], v[52:53], v[48:49], a[12:15]
	ds_write2st64_b32 v10, v2, v6 offset0:128 offset1:160
	v_xor_b32_e32 v2, 16, v0
	v_perm_b32 v6, v3, v7, s0
	v_mfma_f32_16x16x16_bf16 a[0:3], v[28:29], v[42:43], a[0:3]
	v_perm_b32 v10, v11, v15, s0
	ds_write2st64_b32 v2, v6, v10 offset0:129 offset1:161
	v_xor_b32_e32 v2, 24, v0
	v_mfma_f32_16x16x16_bf16 a[4:7], v[28:29], v[38:39], a[4:7]
	v_perm_b32 v3, v3, v7, s1
	v_perm_b32 v6, v11, v15, s1
	v_add_u32_e32 v2, 0x80, v2
	v_mfma_f32_16x16x16_bf16 a[16:19], v[28:29], v[46:47], a[8:11]
	ds_write2st64_b32 v2, v3, v6 offset0:129 offset1:161
	v_xor_b32_e32 v2, 32, v0
	v_perm_b32 v3, v4, v8, s0
	v_mfma_f32_16x16x16_bf16 a[20:23], v[28:29], v[50:51], a[12:15]
	v_perm_b32 v6, v12, v16, s0
	ds_write2st64_b32 v2, v3, v6 offset0:130 offset1:162
	v_xor_b32_e32 v2, 40, v0
	s_waitcnt lgkmcnt(8)
	v_mfma_f32_16x16x16_bf16 a[12:15], v[54:55], v[20:21], a[0:3]
	v_perm_b32 v3, v4, v8, s1
	v_perm_b32 v4, v12, v16, s1
	v_add_u32_e32 v2, 0x80, v2
	s_waitcnt lgkmcnt(7)
	v_mfma_f32_16x16x16_bf16 a[8:11], v[54:55], v[26:27], a[4:7]
	ds_write2st64_b32 v2, v3, v4 offset0:130 offset1:162
	v_xor_b32_e32 v2, 48, v0
	v_perm_b32 v3, v5, v9, s0
	s_waitcnt lgkmcnt(7)
	v_mfma_f32_16x16x16_bf16 a[4:7], v[54:55], v[30:31], a[16:19]
	v_perm_b32 v4, v13, v17, s0
	v_xor_b32_e32 v0, 56, v0
	v_and_or_b32 v21, v34, 12, v1
	s_waitcnt lgkmcnt(6)
	v_mfma_f32_16x16x16_bf16 a[0:3], v[54:55], v[32:33], a[20:23]
	ds_write2st64_b32 v2, v3, v4 offset0:131 offset1:163
	v_perm_b32 v2, v5, v9, s1
	v_perm_b32 v3, v13, v17, s1
	v_add_u32_e32 v0, 0x80, v0
	v_cmp_gt_i32_e32 vcc, s43, v21
	v_mov_b32_e32 v16, 0
	v_mov_b32_e32 v18, 0
	ds_write2st64_b32 v0, v2, v3 offset0:131 offset1:163
	s_and_saveexec_b64 s[0:1], vcc
	s_cbranch_execz .LBB239_60
; %bb.59:
	v_add_u32_e32 v0, s42, v21
	v_ashrrev_i32_e32 v1, 31, v0
	v_mul_lo_u32 v2, v1, s34
	v_mul_lo_u32 v3, v0, s35
	v_mad_u64_u32 v[0:1], s[2:3], v0, s34, 0
	v_add3_u32 v1, v1, v3, v2
	v_lshl_add_u64 v[0:1], v[0:1], 2, s[10:11]
	global_load_dword v0, v[0:1], off
	s_waitcnt vmcnt(0)
	v_sub_f32_e32 v0, s12, v0
	v_mul_f32_e32 v0, 0x3fb8aa3b, v0
	v_exp_f32_e32 v18, v0
.LBB239_60:
	s_or_b64 exec, exec, s[0:1]
	v_or_b32_e32 v10, 1, v21
	v_cmp_gt_i32_e64 s[0:1], s43, v10
	s_and_saveexec_b64 s[2:3], s[0:1]
	s_cbranch_execz .LBB239_62
; %bb.61:
	v_add_u32_e32 v0, s42, v10
	v_ashrrev_i32_e32 v1, 31, v0
	v_mul_lo_u32 v2, v1, s34
	v_mul_lo_u32 v3, v0, s35
	v_mad_u64_u32 v[0:1], s[4:5], v0, s34, 0
	v_add3_u32 v1, v1, v3, v2
	v_lshl_add_u64 v[0:1], v[0:1], 2, s[10:11]
	global_load_dword v0, v[0:1], off
	s_waitcnt vmcnt(0)
	v_sub_f32_e32 v0, s12, v0
	v_mul_f32_e32 v0, 0x3fb8aa3b, v0
	v_exp_f32_e32 v16, v0
.LBB239_62:
	s_or_b64 exec, exec, s[2:3]
	v_or_b32_e32 v12, 2, v21
	v_cmp_gt_i32_e64 s[2:3], s43, v12
	v_mov_b32_e32 v17, 0
	v_mov_b32_e32 v20, 0
	s_and_saveexec_b64 s[4:5], s[2:3]
	s_cbranch_execz .LBB239_64
; %bb.63:
	v_add_u32_e32 v0, s42, v12
	v_ashrrev_i32_e32 v1, 31, v0
	v_mul_lo_u32 v2, v1, s34
	v_mul_lo_u32 v3, v0, s35
	v_mad_u64_u32 v[0:1], s[6:7], v0, s34, 0
	v_add3_u32 v1, v1, v3, v2
	v_lshl_add_u64 v[0:1], v[0:1], 2, s[10:11]
	global_load_dword v0, v[0:1], off
	s_waitcnt vmcnt(0)
	v_sub_f32_e32 v0, s12, v0
	v_mul_f32_e32 v0, 0x3fb8aa3b, v0
	v_exp_f32_e32 v20, v0
.LBB239_64:
	s_or_b64 exec, exec, s[4:5]
	v_or_b32_e32 v14, 3, v21
	v_cmp_gt_i32_e64 s[4:5], s43, v14
	s_and_saveexec_b64 s[6:7], s[4:5]
	s_cbranch_execz .LBB239_66
; %bb.65:
	v_add_u32_e32 v0, s42, v14
	v_ashrrev_i32_e32 v1, 31, v0
	v_mul_lo_u32 v2, v1, s34
	v_mul_lo_u32 v3, v0, s35
	v_mad_u64_u32 v[0:1], s[16:17], v0, s34, 0
	v_add3_u32 v1, v1, v3, v2
	v_lshl_add_u64 v[0:1], v[0:1], 2, s[10:11]
	global_load_dword v0, v[0:1], off
	s_waitcnt vmcnt(0)
	v_sub_f32_e32 v0, s12, v0
	v_mul_f32_e32 v0, 0x3fb8aa3b, v0
	v_exp_f32_e32 v17, v0
.LBB239_66:
	s_or_b64 exec, exec, s[6:7]
	s_add_u32 s6, s8, s28
	v_or_b32_e32 v4, s36, v74
	s_addc_u32 s7, s9, s29
	s_add_u32 s8, s14, s28
	v_ashrrev_i32_e32 v5, 31, v4
	v_accvgpr_read_b32 v0, a12
	s_addc_u32 s9, s15, s29
	v_lshlrev_b64 v[4:5], 1, v[4:5]
	v_accvgpr_read_b32 v1, a13
	v_accvgpr_read_b32 v2, a14
	;; [unrolled: 1-line block ×3, first 2 shown]
	v_lshl_add_u64 v[6:7], s[6:7], 0, v[4:5]
	v_lshl_add_u64 v[4:5], s[8:9], 0, v[4:5]
	v_mov_b32_e32 v11, 0
	v_lshlrev_b32_e32 v8, 8, v21
	v_mov_b32_e32 v9, 0
	s_and_saveexec_b64 s[6:7], vcc
	s_cbranch_execz .LBB239_68
; %bb.67:
	v_mov_b32_e32 v9, 0
	v_lshl_add_u64 v[26:27], v[6:7], 0, v[8:9]
	global_load_ushort v13, v[26:27], off
	v_lshl_add_u64 v[26:27], v[4:5], 0, v[8:9]
	s_waitcnt vmcnt(0)
	v_lshlrev_b32_e32 v9, 16, v13
	v_sub_f32_e32 v0, v9, v0
	global_store_short_d16_hi v[26:27], v0, off
	v_mul_f32_e32 v0, v18, v0
	v_lshrrev_b32_e32 v9, 16, v0
.LBB239_68:
	s_or_b64 exec, exec, s[6:7]
	v_lshlrev_b32_e32 v10, 8, v10
	s_and_saveexec_b64 s[6:7], s[0:1]
	s_cbranch_execz .LBB239_70
; %bb.69:
	v_mov_b32_e32 v11, 0
	v_lshl_add_u64 v[26:27], v[6:7], 0, v[10:11]
	global_load_ushort v0, v[26:27], off
	v_lshl_add_u64 v[26:27], v[4:5], 0, v[10:11]
	s_waitcnt vmcnt(0)
	v_lshlrev_b32_e32 v0, 16, v0
	v_sub_f32_e32 v0, v0, v1
	global_store_short_d16_hi v[26:27], v0, off
	v_mul_f32_e32 v0, v16, v0
	v_lshrrev_b32_e32 v11, 16, v0
.LBB239_70:
	s_or_b64 exec, exec, s[6:7]
	v_mov_b32_e32 v15, 0
	v_lshlrev_b32_e32 v12, 8, v12
	v_mov_b32_e32 v13, 0
	s_and_saveexec_b64 s[6:7], s[2:3]
	s_cbranch_execz .LBB239_72
; %bb.71:
	v_mov_b32_e32 v13, 0
	v_lshl_add_u64 v[0:1], v[6:7], 0, v[12:13]
	global_load_ushort v25, v[0:1], off
	v_lshl_add_u64 v[0:1], v[4:5], 0, v[12:13]
	s_waitcnt vmcnt(0)
	v_lshlrev_b32_e32 v13, 16, v25
	v_sub_f32_e32 v2, v13, v2
	global_store_short_d16_hi v[0:1], v2, off
	v_mul_f32_e32 v0, v20, v2
	v_lshrrev_b32_e32 v13, 16, v0
.LBB239_72:
	s_or_b64 exec, exec, s[6:7]
	v_lshlrev_b32_e32 v14, 8, v14
	s_and_saveexec_b64 s[6:7], s[4:5]
	s_cbranch_execz .LBB239_74
; %bb.73:
	v_mov_b32_e32 v15, 0
	v_lshl_add_u64 v[0:1], v[6:7], 0, v[14:15]
	global_load_ushort v2, v[0:1], off
	v_lshl_add_u64 v[0:1], v[4:5], 0, v[14:15]
	s_waitcnt vmcnt(0)
	v_lshlrev_b32_e32 v2, 16, v2
	v_sub_f32_e32 v2, v2, v3
	global_store_short_d16_hi v[0:1], v2, off
	v_mul_f32_e32 v0, v17, v2
	v_lshrrev_b32_e32 v15, 16, v0
.LBB239_74:
	s_or_b64 exec, exec, s[6:7]
	v_lshlrev_b32_e32 v21, 6, v21
	s_mov_b32 s6, 0x5040100
	v_perm_b32 v26, v11, v9, s6
	v_or_b32_e32 v9, v21, v24
	v_accvgpr_read_b32 v0, a8
	v_perm_b32 v27, v15, v13, s6
	v_lshlrev_b32_e32 v9, 1, v9
	v_accvgpr_read_b32 v1, a9
	v_accvgpr_read_b32 v2, a10
	;; [unrolled: 1-line block ×3, first 2 shown]
	ds_write_b64 v9, v[26:27] offset:24576
	v_mov_b32_e32 v11, 0
	v_mov_b32_e32 v9, 0
	s_and_saveexec_b64 s[6:7], vcc
	s_cbranch_execz .LBB239_76
; %bb.75:
	v_mov_b32_e32 v9, 0
	v_lshl_add_u64 v[24:25], v[6:7], 0, v[8:9]
	global_load_ushort v13, v[24:25], off offset:32
	v_lshl_add_u64 v[24:25], v[4:5], 0, v[8:9]
	s_waitcnt vmcnt(0)
	v_lshlrev_b32_e32 v9, 16, v13
	v_sub_f32_e32 v0, v9, v0
	global_store_short_d16_hi v[24:25], v0, off offset:32
	v_mul_f32_e32 v0, v18, v0
	v_lshrrev_b32_e32 v9, 16, v0
.LBB239_76:
	s_or_b64 exec, exec, s[6:7]
	s_and_saveexec_b64 s[6:7], s[0:1]
	s_cbranch_execz .LBB239_78
; %bb.77:
	v_mov_b32_e32 v11, 0
	v_lshl_add_u64 v[24:25], v[6:7], 0, v[10:11]
	global_load_ushort v0, v[24:25], off offset:32
	v_lshl_add_u64 v[24:25], v[4:5], 0, v[10:11]
	s_waitcnt vmcnt(0)
	v_lshlrev_b32_e32 v0, 16, v0
	v_sub_f32_e32 v0, v0, v1
	global_store_short_d16_hi v[24:25], v0, off offset:32
	v_mul_f32_e32 v0, v16, v0
	v_lshrrev_b32_e32 v11, 16, v0
.LBB239_78:
	s_or_b64 exec, exec, s[6:7]
	v_mov_b32_e32 v15, 0
	v_mov_b32_e32 v13, 0
	s_and_saveexec_b64 s[6:7], s[2:3]
	s_cbranch_execz .LBB239_80
; %bb.79:
	v_mov_b32_e32 v13, 0
	v_lshl_add_u64 v[0:1], v[6:7], 0, v[12:13]
	global_load_ushort v24, v[0:1], off offset:32
	v_lshl_add_u64 v[0:1], v[4:5], 0, v[12:13]
	s_waitcnt vmcnt(0)
	v_lshlrev_b32_e32 v13, 16, v24
	v_sub_f32_e32 v2, v13, v2
	global_store_short_d16_hi v[0:1], v2, off offset:32
	v_mul_f32_e32 v0, v20, v2
	v_lshrrev_b32_e32 v13, 16, v0
.LBB239_80:
	s_or_b64 exec, exec, s[6:7]
	s_and_saveexec_b64 s[6:7], s[4:5]
	s_cbranch_execz .LBB239_82
; %bb.81:
	v_mov_b32_e32 v15, 0
	v_lshl_add_u64 v[0:1], v[6:7], 0, v[14:15]
	global_load_ushort v2, v[0:1], off offset:32
	v_lshl_add_u64 v[0:1], v[4:5], 0, v[14:15]
	s_waitcnt vmcnt(0)
	v_lshlrev_b32_e32 v2, 16, v2
	v_sub_f32_e32 v2, v2, v3
	global_store_short_d16_hi v[0:1], v2, off offset:32
	v_mul_f32_e32 v0, v17, v2
	v_lshrrev_b32_e32 v15, 16, v0
.LBB239_82:
	s_or_b64 exec, exec, s[6:7]
	s_mov_b32 s6, 0x5040100
	v_perm_b32 v24, v11, v9, s6
	v_or_b32_e32 v9, v21, v23
	v_accvgpr_read_b32 v0, a4
	v_perm_b32 v25, v15, v13, s6
	v_lshlrev_b32_e32 v9, 1, v9
	v_accvgpr_read_b32 v1, a5
	v_accvgpr_read_b32 v2, a6
	;; [unrolled: 1-line block ×3, first 2 shown]
	ds_write_b64 v9, v[24:25] offset:24576
	v_mov_b32_e32 v11, 0
	v_mov_b32_e32 v9, 0
	s_and_saveexec_b64 s[6:7], vcc
	s_cbranch_execz .LBB239_84
; %bb.83:
	v_mov_b32_e32 v9, 0
	v_lshl_add_u64 v[24:25], v[6:7], 0, v[8:9]
	global_load_ushort v13, v[24:25], off offset:64
	v_lshl_add_u64 v[24:25], v[4:5], 0, v[8:9]
	s_waitcnt vmcnt(0)
	v_lshlrev_b32_e32 v9, 16, v13
	v_sub_f32_e32 v0, v9, v0
	global_store_short_d16_hi v[24:25], v0, off offset:64
	v_mul_f32_e32 v0, v18, v0
	v_lshrrev_b32_e32 v9, 16, v0
.LBB239_84:
	s_or_b64 exec, exec, s[6:7]
	s_and_saveexec_b64 s[6:7], s[0:1]
	s_cbranch_execz .LBB239_86
; %bb.85:
	v_mov_b32_e32 v11, 0
	v_lshl_add_u64 v[24:25], v[6:7], 0, v[10:11]
	global_load_ushort v0, v[24:25], off offset:64
	v_lshl_add_u64 v[24:25], v[4:5], 0, v[10:11]
	s_waitcnt vmcnt(0)
	v_lshlrev_b32_e32 v0, 16, v0
	v_sub_f32_e32 v0, v0, v1
	global_store_short_d16_hi v[24:25], v0, off offset:64
	v_mul_f32_e32 v0, v16, v0
	v_lshrrev_b32_e32 v11, 16, v0
.LBB239_86:
	s_or_b64 exec, exec, s[6:7]
	v_mov_b32_e32 v15, 0
	v_mov_b32_e32 v13, 0
	s_and_saveexec_b64 s[6:7], s[2:3]
	s_cbranch_execz .LBB239_88
; %bb.87:
	v_mov_b32_e32 v13, 0
	v_lshl_add_u64 v[0:1], v[6:7], 0, v[12:13]
	global_load_ushort v23, v[0:1], off offset:64
	v_lshl_add_u64 v[0:1], v[4:5], 0, v[12:13]
	s_waitcnt vmcnt(0)
	v_lshlrev_b32_e32 v13, 16, v23
	v_sub_f32_e32 v2, v13, v2
	global_store_short_d16_hi v[0:1], v2, off offset:64
	v_mul_f32_e32 v0, v20, v2
	v_lshrrev_b32_e32 v13, 16, v0
.LBB239_88:
	s_or_b64 exec, exec, s[6:7]
	s_and_saveexec_b64 s[6:7], s[4:5]
	s_cbranch_execz .LBB239_90
; %bb.89:
	v_mov_b32_e32 v15, 0
	v_lshl_add_u64 v[0:1], v[6:7], 0, v[14:15]
	global_load_ushort v2, v[0:1], off offset:64
	v_lshl_add_u64 v[0:1], v[4:5], 0, v[14:15]
	s_waitcnt vmcnt(0)
	v_lshlrev_b32_e32 v2, 16, v2
	v_sub_f32_e32 v2, v2, v3
	global_store_short_d16_hi v[0:1], v2, off offset:64
	v_mul_f32_e32 v0, v17, v2
	v_lshrrev_b32_e32 v15, 16, v0
.LBB239_90:
	s_or_b64 exec, exec, s[6:7]
	s_mov_b32 s6, 0x5040100
	v_perm_b32 v24, v11, v9, s6
	v_or_b32_e32 v9, v21, v22
	v_accvgpr_read_b32 v0, a0
	v_perm_b32 v25, v15, v13, s6
	v_lshlrev_b32_e32 v9, 1, v9
	v_accvgpr_read_b32 v1, a1
	v_accvgpr_read_b32 v2, a2
	;; [unrolled: 1-line block ×3, first 2 shown]
	ds_write_b64 v9, v[24:25] offset:24576
	v_mov_b32_e32 v11, 0
	v_mov_b32_e32 v9, 0
	s_and_saveexec_b64 s[6:7], vcc
	s_cbranch_execz .LBB239_92
; %bb.91:
	v_mov_b32_e32 v9, 0
	v_lshl_add_u64 v[22:23], v[6:7], 0, v[8:9]
	global_load_ushort v13, v[22:23], off offset:96
	v_lshl_add_u64 v[8:9], v[4:5], 0, v[8:9]
	s_waitcnt vmcnt(0)
	v_lshlrev_b32_e32 v13, 16, v13
	v_sub_f32_e32 v0, v13, v0
	global_store_short_d16_hi v[8:9], v0, off offset:96
	v_mul_f32_e32 v0, v18, v0
	v_lshrrev_b32_e32 v9, 16, v0
.LBB239_92:
	s_or_b64 exec, exec, s[6:7]
	s_and_saveexec_b64 s[6:7], s[0:1]
	s_cbranch_execz .LBB239_94
; %bb.93:
	v_mov_b32_e32 v11, 0
	v_lshl_add_u64 v[22:23], v[6:7], 0, v[10:11]
	global_load_ushort v0, v[22:23], off offset:96
	v_lshl_add_u64 v[10:11], v[4:5], 0, v[10:11]
	s_waitcnt vmcnt(0)
	v_lshlrev_b32_e32 v0, 16, v0
	v_sub_f32_e32 v0, v0, v1
	global_store_short_d16_hi v[10:11], v0, off offset:96
	v_mul_f32_e32 v0, v16, v0
	v_lshrrev_b32_e32 v11, 16, v0
.LBB239_94:
	s_or_b64 exec, exec, s[6:7]
	v_mov_b32_e32 v0, 0
	v_mov_b32_e32 v1, 0
	s_and_saveexec_b64 s[0:1], s[2:3]
	s_cbranch_execz .LBB239_96
; %bb.95:
	v_mov_b32_e32 v13, 0
	v_lshl_add_u64 v[22:23], v[6:7], 0, v[12:13]
	global_load_ushort v1, v[22:23], off offset:96
	v_lshl_add_u64 v[12:13], v[4:5], 0, v[12:13]
	s_waitcnt vmcnt(0)
	v_lshlrev_b32_e32 v1, 16, v1
	v_sub_f32_e32 v1, v1, v2
	global_store_short_d16_hi v[12:13], v1, off offset:96
	v_mul_f32_e32 v1, v20, v1
	v_lshrrev_b32_e32 v1, 16, v1
.LBB239_96:
	s_or_b64 exec, exec, s[0:1]
	s_and_saveexec_b64 s[0:1], s[4:5]
	s_cbranch_execz .LBB239_98
; %bb.97:
	v_mov_b32_e32 v15, 0
	v_lshl_add_u64 v[6:7], v[6:7], 0, v[14:15]
	global_load_ushort v0, v[6:7], off offset:96
	v_lshl_add_u64 v[4:5], v[4:5], 0, v[14:15]
	s_waitcnt vmcnt(0)
	v_lshlrev_b32_e32 v0, 16, v0
	v_sub_f32_e32 v0, v0, v3
	global_store_short_d16_hi v[4:5], v0, off offset:96
	v_mul_f32_e32 v0, v17, v0
	v_lshrrev_b32_e32 v0, 16, v0
.LBB239_98:
	s_or_b64 exec, exec, s[0:1]
	s_mov_b32 s0, 0x5040100
	v_or_b32_e32 v2, v21, v19
	v_perm_b32 v1, v0, v1, s0
	v_perm_b32 v0, v11, v9, s0
	v_lshlrev_b32_e32 v2, 1, v2
	ds_write_b64 v2, v[0:1] offset:24576
	s_waitcnt lgkmcnt(0)
	s_barrier
.LBB239_99:
	s_endpgm
	.section	.rodata,"a",@progbits
	.p2align	6, 0x0
	.amdhsa_kernel _ZN12_GLOBAL__N_139chunk_gated_delta_rule_fwd_h_hip_kernelILi64ELb0ELb0ELb1ELb0ELb0ELb0ELb1ELb0EEEvPK12hip_bfloat16S3_S3_PKfS5_PKvPS1_S8_PvPKiSB_iiiiilll
		.amdhsa_group_segment_fixed_size 65536
		.amdhsa_private_segment_fixed_size 0
		.amdhsa_kernarg_size 136
		.amdhsa_user_sgpr_count 2
		.amdhsa_user_sgpr_dispatch_ptr 0
		.amdhsa_user_sgpr_queue_ptr 0
		.amdhsa_user_sgpr_kernarg_segment_ptr 1
		.amdhsa_user_sgpr_dispatch_id 0
		.amdhsa_user_sgpr_kernarg_preload_length 0
		.amdhsa_user_sgpr_kernarg_preload_offset 0
		.amdhsa_user_sgpr_private_segment_size 0
		.amdhsa_uses_dynamic_stack 0
		.amdhsa_enable_private_segment 0
		.amdhsa_system_sgpr_workgroup_id_x 1
		.amdhsa_system_sgpr_workgroup_id_y 1
		.amdhsa_system_sgpr_workgroup_id_z 0
		.amdhsa_system_sgpr_workgroup_info 0
		.amdhsa_system_vgpr_workitem_id 0
		.amdhsa_next_free_vgpr 216
		.amdhsa_next_free_sgpr 65
		.amdhsa_accum_offset 180
		.amdhsa_reserve_vcc 1
		.amdhsa_float_round_mode_32 0
		.amdhsa_float_round_mode_16_64 0
		.amdhsa_float_denorm_mode_32 3
		.amdhsa_float_denorm_mode_16_64 3
		.amdhsa_dx10_clamp 1
		.amdhsa_ieee_mode 1
		.amdhsa_fp16_overflow 0
		.amdhsa_tg_split 0
		.amdhsa_exception_fp_ieee_invalid_op 0
		.amdhsa_exception_fp_denorm_src 0
		.amdhsa_exception_fp_ieee_div_zero 0
		.amdhsa_exception_fp_ieee_overflow 0
		.amdhsa_exception_fp_ieee_underflow 0
		.amdhsa_exception_fp_ieee_inexact 0
		.amdhsa_exception_int_div_zero 0
	.end_amdhsa_kernel
	.section	.text._ZN12_GLOBAL__N_139chunk_gated_delta_rule_fwd_h_hip_kernelILi64ELb0ELb0ELb1ELb0ELb0ELb0ELb1ELb0EEEvPK12hip_bfloat16S3_S3_PKfS5_PKvPS1_S8_PvPKiSB_iiiiilll,"axG",@progbits,_ZN12_GLOBAL__N_139chunk_gated_delta_rule_fwd_h_hip_kernelILi64ELb0ELb0ELb1ELb0ELb0ELb0ELb1ELb0EEEvPK12hip_bfloat16S3_S3_PKfS5_PKvPS1_S8_PvPKiSB_iiiiilll,comdat
.Lfunc_end239:
	.size	_ZN12_GLOBAL__N_139chunk_gated_delta_rule_fwd_h_hip_kernelILi64ELb0ELb0ELb1ELb0ELb0ELb0ELb1ELb0EEEvPK12hip_bfloat16S3_S3_PKfS5_PKvPS1_S8_PvPKiSB_iiiiilll, .Lfunc_end239-_ZN12_GLOBAL__N_139chunk_gated_delta_rule_fwd_h_hip_kernelILi64ELb0ELb0ELb1ELb0ELb0ELb0ELb1ELb0EEEvPK12hip_bfloat16S3_S3_PKfS5_PKvPS1_S8_PvPKiSB_iiiiilll
                                        ; -- End function
	.section	.AMDGPU.csdata,"",@progbits
; Kernel info:
; codeLenInByte = 11328
; NumSgprs: 71
; NumVgprs: 180
; NumAgprs: 36
; TotalNumVgprs: 216
; ScratchSize: 0
; MemoryBound: 0
; FloatMode: 240
; IeeeMode: 1
; LDSByteSize: 65536 bytes/workgroup (compile time only)
; SGPRBlocks: 8
; VGPRBlocks: 26
; NumSGPRsForWavesPerEU: 71
; NumVGPRsForWavesPerEU: 216
; AccumOffset: 180
; Occupancy: 1
; WaveLimiterHint : 1
; COMPUTE_PGM_RSRC2:SCRATCH_EN: 0
; COMPUTE_PGM_RSRC2:USER_SGPR: 2
; COMPUTE_PGM_RSRC2:TRAP_HANDLER: 0
; COMPUTE_PGM_RSRC2:TGID_X_EN: 1
; COMPUTE_PGM_RSRC2:TGID_Y_EN: 1
; COMPUTE_PGM_RSRC2:TGID_Z_EN: 0
; COMPUTE_PGM_RSRC2:TIDIG_COMP_CNT: 0
; COMPUTE_PGM_RSRC3_GFX90A:ACCUM_OFFSET: 44
; COMPUTE_PGM_RSRC3_GFX90A:TG_SPLIT: 0
	.section	.text._ZN12_GLOBAL__N_139chunk_gated_delta_rule_fwd_h_hip_kernelILi64ELb0ELb0ELb0ELb0ELb0ELb0ELb1ELb0EEEvPK12hip_bfloat16S3_S3_PKfS5_PKvPS1_S8_PvPKiSB_iiiiilll,"axG",@progbits,_ZN12_GLOBAL__N_139chunk_gated_delta_rule_fwd_h_hip_kernelILi64ELb0ELb0ELb0ELb0ELb0ELb0ELb1ELb0EEEvPK12hip_bfloat16S3_S3_PKfS5_PKvPS1_S8_PvPKiSB_iiiiilll,comdat
	.globl	_ZN12_GLOBAL__N_139chunk_gated_delta_rule_fwd_h_hip_kernelILi64ELb0ELb0ELb0ELb0ELb0ELb0ELb1ELb0EEEvPK12hip_bfloat16S3_S3_PKfS5_PKvPS1_S8_PvPKiSB_iiiiilll ; -- Begin function _ZN12_GLOBAL__N_139chunk_gated_delta_rule_fwd_h_hip_kernelILi64ELb0ELb0ELb0ELb0ELb0ELb0ELb1ELb0EEEvPK12hip_bfloat16S3_S3_PKfS5_PKvPS1_S8_PvPKiSB_iiiiilll
	.p2align	8
	.type	_ZN12_GLOBAL__N_139chunk_gated_delta_rule_fwd_h_hip_kernelILi64ELb0ELb0ELb0ELb0ELb0ELb0ELb1ELb0EEEvPK12hip_bfloat16S3_S3_PKfS5_PKvPS1_S8_PvPKiSB_iiiiilll,@function
_ZN12_GLOBAL__N_139chunk_gated_delta_rule_fwd_h_hip_kernelILi64ELb0ELb0ELb0ELb0ELb0ELb0ELb1ELb0EEEvPK12hip_bfloat16S3_S3_PKfS5_PKvPS1_S8_PvPKiSB_iiiiilll: ; @_ZN12_GLOBAL__N_139chunk_gated_delta_rule_fwd_h_hip_kernelILi64ELb0ELb0ELb0ELb0ELb0ELb0ELb1ELb0EEEvPK12hip_bfloat16S3_S3_PKfS5_PKvPS1_S8_PvPKiSB_iiiiilll
; %bb.0:
	s_load_dwordx4 s[12:15], s[0:1], 0x5c
	s_load_dwordx2 s[36:37], s[0:1], 0x30
	s_abs_i32 s18, s3
	s_ashr_i32 s17, s3, 31
	s_load_dwordx8 s[4:11], s[0:1], 0x0
	s_waitcnt lgkmcnt(0)
	s_abs_i32 s16, s13
	v_cvt_f32_u32_e32 v1, s16
	s_sub_i32 s20, 0, s16
	s_ashr_i32 s19, s13, 31
	s_xor_b32 s17, s17, s19
	v_rcp_iflag_f32_e32 v1, v1
	v_lshrrev_b32_e32 v74, 6, v0
	v_bfe_u32 v75, v0, 4, 2
	v_lshlrev_b32_e32 v2, 2, v75
	v_mul_f32_e32 v1, 0x4f7ffffe, v1
	v_cvt_u32_f32_e32 v1, v1
	v_and_b32_e32 v73, 63, v0
	v_mov_b32_e32 v35, 0
	v_and_b32_e32 v72, 15, v0
	v_readfirstlane_b32 s21, v1
	s_mul_i32 s20, s20, s21
	s_mul_hi_u32 s20, s21, s20
	s_add_i32 s21, s21, s20
	s_mul_hi_u32 s20, s18, s21
	s_mul_i32 s21, s20, s16
	s_sub_i32 s18, s18, s21
	s_add_i32 s22, s20, 1
	s_sub_i32 s21, s18, s16
	s_cmp_ge_u32 s18, s16
	s_cselect_b32 s20, s22, s20
	s_cselect_b32 s18, s21, s18
	s_add_i32 s21, s20, 1
	s_cmp_ge_u32 s18, s16
	s_cselect_b32 s18, s21, s20
	s_xor_b32 s18, s18, s17
	s_sub_i32 s45, s18, s17
	s_abs_i32 s17, s14
	v_cvt_f32_u32_e32 v1, s17
	s_add_i32 s20, s12, 63
	s_mul_i32 s43, s45, s13
	s_sub_i32 s33, s3, s43
	v_rcp_iflag_f32_e32 v1, v1
	s_ashr_i32 s3, s20, 31
	s_ashr_i32 s44, s12, 31
	s_lshr_b32 s3, s3, 26
	v_mul_f32_e32 v1, 0x4f7ffffe, v1
	v_cvt_u32_f32_e32 v1, v1
	s_lshr_b32 s18, s44, 26
	s_add_i32 s20, s20, s3
	s_add_i32 s18, s12, s18
	s_ashr_i32 s47, s14, 31
	s_ashr_i32 s3, s20, 6
	;; [unrolled: 1-line block ×3, first 2 shown]
	s_xor_b32 s18, s19, s47
	s_sub_i32 s19, 0, s17
	v_readfirstlane_b32 s20, v1
	s_mul_i32 s19, s19, s20
	s_mul_hi_u32 s19, s20, s19
	s_add_i32 s20, s20, s19
	s_mul_hi_u32 s19, s16, s20
	s_mul_i32 s20, s19, s17
	s_sub_i32 s16, s16, s20
	s_add_i32 s20, s19, 1
	s_sub_i32 s21, s16, s17
	s_cmp_ge_u32 s16, s17
	s_cselect_b32 s19, s20, s19
	s_cselect_b32 s16, s21, s16
	s_add_i32 s20, s19, 1
	s_cmp_ge_u32 s16, s17
	s_cselect_b32 s16, s20, s19
	s_xor_b32 s16, s16, s18
	s_sub_i32 s20, s16, s18
	s_abs_i32 s21, s20
	v_cvt_f32_u32_e32 v1, s21
	s_load_dwordx2 s[28:29], s[0:1], 0x80
	s_load_dwordx4 s[16:19], s[0:1], 0x70
	s_xor_b32 s0, s33, s20
	s_sub_i32 s20, 0, s21
	v_rcp_iflag_f32_e32 v1, v1
	s_abs_i32 s1, s33
	s_ashr_i32 s0, s0, 31
	s_mul_i32 s48, s45, s3
	v_mul_f32_e32 v1, 0x4f7ffffe, v1
	v_cvt_u32_f32_e32 v1, v1
	s_mul_hi_i32 s49, s45, s13
	v_lshrrev_b32_e32 v77, 3, v73
	v_lshlrev_b32_e32 v76, 3, v0
	v_readfirstlane_b32 s22, v1
	s_mul_i32 s20, s20, s22
	s_mul_hi_u32 s20, s22, s20
	s_add_i32 s22, s22, s20
	s_mul_hi_u32 s20, s1, s22
	s_mul_i32 s22, s20, s21
	s_sub_i32 s1, s1, s22
	s_add_i32 s22, s20, 1
	s_sub_i32 s23, s1, s21
	s_cmp_ge_u32 s1, s21
	s_cselect_b32 s20, s22, s20
	s_cselect_b32 s1, s23, s1
	s_add_i32 s22, s20, 1
	s_cmp_ge_u32 s1, s21
	s_cselect_b32 s1, s22, s20
	s_xor_b32 s1, s1, s0
	v_lshlrev_b32_e32 v1, 4, v74
	s_sub_i32 s50, s1, s0
	v_or_b32_e32 v78, v2, v1
	s_lshl_b32 s30, s2, 6
	v_or_b32_e32 v79, 64, v78
	s_cmp_lt_i32 s12, 64
	s_waitcnt lgkmcnt(0)
	s_mul_i32 s17, s45, s17
	s_mul_hi_u32 s42, s45, s16
	s_mul_i32 s34, s45, s16
	v_mov_b32_e32 v34, v35
	v_mov_b32_e32 v41, v35
	;; [unrolled: 1-line block ×31, first 2 shown]
	s_cbranch_scc1 .LBB240_18
; %bb.1:
	s_ashr_i32 s24, s45, 31
	s_ashr_i32 s52, s33, 31
	s_add_u32 s0, s43, s33
	s_addc_u32 s1, s49, s52
	s_mul_i32 s1, s12, s1
	s_mul_hi_u32 s2, s12, s0
	s_add_i32 s3, s2, s1
	s_mul_i32 s2, s12, s0
	s_lshl_b64 s[0:1], s[2:3], 8
	v_and_b32_e32 v81, 56, v76
	s_add_u32 s20, s6, s0
	v_lshl_or_b32 v80, v74, 3, v77
	v_lshlrev_b32_e32 v3, 1, v81
	s_addc_u32 s0, s7, s1
	v_lshl_or_b32 v82, v80, 8, v3
	s_and_b32 s21, s0, 0xffff
	s_mov_b32 s23, 0x20000
	s_movk_i32 s22, 0x4000
	s_movk_i32 s0, 0x80
	v_or_b32_e32 v83, 0x2000, v82
	buffer_load_dwordx4 v[4:7], v82, s[20:23], 0 offen
	buffer_load_dwordx4 v[8:11], v82, s[20:23], s0 offen
	buffer_load_dwordx4 v[12:15], v83, s[20:23], 0 offen
	buffer_load_dwordx4 v[16:19], v83, s[20:23], s0 offen
	v_lshlrev_b32_e32 v20, 3, v80
	v_and_or_b32 v22, v0, 7, v20
	v_and_b32_e32 v20, 0x78, v20
	v_lshlrev_b32_e32 v22, 4, v22
	v_xor_b32_e32 v84, v22, v20
	v_mul_lo_u32 v21, v80, s15
	v_or_b32_e32 v85, 0x1000, v84
	s_cmpk_eq_i32 s15, 0x80
	s_mov_b32 s51, s14
	v_xor_b32_e32 v20, 8, v84
	v_xor_b32_e32 v22, 8, v85
	s_cselect_b64 s[0:1], -1, 0
	s_cmpk_lg_i32 s15, 0x80
	s_waitcnt vmcnt(3)
	ds_write_b64 v84, v[4:5] offset:49152
	ds_write_b64 v20, v[6:7] offset:49152
	s_waitcnt vmcnt(2)
	ds_write_b64 v84, v[8:9] offset:57344
	ds_write_b64 v20, v[10:11] offset:57344
	;; [unrolled: 3-line block ×4, first 2 shown]
	v_lshl_add_u32 v4, v21, 1, v81
	s_cbranch_scc0 .LBB240_3
; %bb.2:
	v_lshlrev_b32_e32 v6, 1, v4
	v_add_lshl_u32 v5, v4, s15, 1
	s_lshl_b32 s22, s15, 7
	v_lshl_or_b32 v3, v80, 9, v3
	s_cbranch_execz .LBB240_4
	s_branch .LBB240_5
.LBB240_3:
                                        ; implicit-def: $vgpr5
                                        ; implicit-def: $vgpr6
                                        ; implicit-def: $sgpr22
	v_lshl_or_b32 v3, v80, 9, v3
.LBB240_4:
	v_or_b32_e32 v5, 0x100, v3
	s_movk_i32 s22, 0x4000
	v_mov_b32_e32 v6, v3
.LBB240_5:
	s_mul_hi_u32 s20, s14, s12
	s_mul_i32 s21, s47, s12
	s_add_i32 s20, s20, s21
	s_mul_i32 s21, s14, s12
	s_mul_i32 s23, s21, s24
	s_mul_hi_u32 s25, s21, s45
	s_add_i32 s23, s25, s23
	s_mul_i32 s20, s20, s45
	s_add_i32 s23, s23, s20
	s_mul_i32 s21, s21, s45
	s_ashr_i32 s53, s50, 31
	s_add_u32 s20, s21, s50
	s_addc_u32 s21, s23, s53
	s_lshl_b64 s[20:21], s[20:21], 8
	s_add_u32 s20, s4, s20
	s_addc_u32 s21, s5, s21
	s_and_b32 s21, s21, 0xffff
	s_mov_b32 s23, 0x20000
	s_movk_i32 s54, 0x80
	buffer_load_dwordx4 v[8:11], v6, s[20:23], 0 offen
	buffer_load_dwordx4 v[12:15], v6, s[20:23], s54 offen
	;; [unrolled: 1-line block ×4, first 2 shown]
	v_and_b32_e32 v5, 6, v0
	v_lshlrev_b32_e32 v6, 7, v78
	v_xor_b32_e32 v27, v80, v5
	v_and_b32_e32 v7, 1, v0
	v_lshl_or_b32 v30, v72, 3, v6
	v_lshlrev_b32_e32 v27, 2, v27
	v_or_b32_e32 v86, 0x4000, v30
	v_or_b32_e32 v87, 0x6000, v30
	v_xor_b32_e32 v30, 0x440, v27
	v_cmp_eq_u32_e32 vcc, 0, v7
	v_lshlrev_b32_e32 v24, 2, v72
	s_mov_b32 s56, 0x1000504
	v_cndmask_b32_e32 v7, v30, v27, vcc
	v_xor_b32_e32 v28, v78, v24
	v_xor_b32_e32 v29, v79, v24
	v_lshl_or_b32 v5, v5, 10, v7
	s_mov_b32 s57, 0x3020706
	s_mul_i32 s20, s24, s12
	s_mul_hi_u32 s21, s45, s12
	v_lshlrev_b32_e32 v25, 8, v72
	v_or_b32_e32 v26, 16, v72
	v_lshlrev_b32_e32 v28, 1, v28
	v_lshlrev_b32_e32 v29, 1, v29
	v_xor_b32_e32 v7, 8, v5
	v_xor_b32_e32 v27, 24, v5
	;; [unrolled: 1-line block ×4, first 2 shown]
	v_or_b32_e32 v89, v25, v28
	v_or_b32_e32 v90, v25, v29
	v_xor_b32_e32 v25, 16, v5
	v_xor_b32_e32 v30, 32, v5
	;; [unrolled: 1-line block ×3, first 2 shown]
	v_add_u32_e32 v7, 0x80, v7
	v_add_u32_e32 v27, 0x80, v27
	;; [unrolled: 1-line block ×4, first 2 shown]
	s_add_i32 s59, s21, s20
	s_add_i32 s20, s42, s17
	s_mul_i32 s24, s24, s16
	s_add_i32 s35, s20, s24
	s_mul_i32 s20, s33, s19
	s_mul_hi_u32 s21, s33, s18
	s_add_i32 s20, s21, s20
	s_mul_i32 s21, s52, s18
	s_add_i32 s21, s20, s21
	s_lshl_b64 s[24:25], s[34:35], 2
	s_mul_i32 s20, s33, s18
	s_add_u32 s24, s10, s24
	s_addc_u32 s25, s11, s25
	s_lshl_b64 s[20:21], s[20:21], 2
	s_add_u32 s38, s24, s20
	s_movk_i32 s20, 0xf8
	s_addc_u32 s39, s25, s21
	s_ashr_i32 s31, s30, 31
	s_lshl_b32 s26, s15, 7
	s_movk_i32 s24, 0x100
	v_mov_b32_e32 v67, 0
	v_lshlrev_b32_e32 v66, 4, v72
	v_cmp_gt_u32_e32 vcc, s24, v0
	v_lshl_or_b32 v31, v26, 3, v6
	s_mov_b32 s55, 0
	s_mul_i32 s58, s45, s12
	v_or_b32_e32 v88, 0x4000, v31
	s_movk_i32 s22, 0x4000
	v_or_b32_e32 v91, 0x6000, v31
	v_add_u32_e32 v126, v1, v2
	s_movk_i32 s35, 0x2000
	s_movk_i32 s60, 0x3000
	v_mov_b32_e32 v131, 0x3fb8aa3b
	s_mov_b32 s62, 0
	v_mov_b32_e32 v58, v67
	v_mov_b32_e32 v59, v67
	;; [unrolled: 1-line block ×8, first 2 shown]
	s_waitcnt vmcnt(1)
	v_perm_b32 v35, v8, v16, s56
	s_waitcnt vmcnt(0)
	v_perm_b32 v36, v12, v20, s56
	v_perm_b32 v8, v8, v16, s57
	v_perm_b32 v12, v12, v20, s57
	v_perm_b32 v16, v9, v17, s56
	v_perm_b32 v20, v13, v21, s56
	v_perm_b32 v9, v9, v17, s57
	v_perm_b32 v13, v13, v21, s57
	v_perm_b32 v17, v10, v18, s56
	v_perm_b32 v21, v14, v22, s56
	v_perm_b32 v10, v10, v18, s57
	v_perm_b32 v14, v14, v22, s57
	v_perm_b32 v18, v11, v19, s56
	v_perm_b32 v22, v15, v23, s56
	v_perm_b32 v11, v11, v19, s57
	v_perm_b32 v15, v15, v23, s57
	ds_write2st64_b32 v5, v35, v36 offset0:128 offset1:160
	ds_write2st64_b32 v7, v8, v12 offset0:128 offset1:160
	;; [unrolled: 1-line block ×8, first 2 shown]
	v_lshlrev_b32_e32 v5, 8, v26
	v_or_b32_e32 v92, v5, v28
	v_or_b32_e32 v93, v5, v29
	;; [unrolled: 1-line block ×3, first 2 shown]
	v_lshl_or_b32 v7, v5, 3, v6
	v_lshlrev_b32_e32 v5, 8, v5
	v_or_b32_e32 v96, v5, v28
	v_or_b32_e32 v97, v5, v29
	;; [unrolled: 1-line block ×5, first 2 shown]
	v_lshl_or_b32 v7, v5, 3, v6
	v_lshlrev_b32_e32 v5, 8, v5
	v_or_b32_e32 v100, v5, v28
	v_or_b32_e32 v101, v5, v29
	;; [unrolled: 1-line block ×3, first 2 shown]
	v_lshlrev_b32_e32 v5, 3, v5
	v_lshrrev_b32_e32 v9, 5, v73
	v_and_or_b32 v9, v5, s20, v9
	v_lshlrev_b32_e32 v9, 4, v9
	v_or_b32_e32 v98, 0x4000, v7
	v_or_b32_e32 v99, 0x6000, v7
	v_lshlrev_b32_e32 v7, 11, v74
	v_and_b32_e32 v5, 0x78, v5
	v_or_b32_e32 v14, 32, v9
	v_and_b32_e32 v8, 0x1000, v7
	v_xor_b32_e32 v10, v9, v5
	v_lshrrev_b32_e32 v11, 1, v0
	v_xor_b32_e32 v14, v14, v5
	v_or_b32_e32 v10, v10, v8
	v_and_b32_e32 v12, 8, v11
	v_or_b32_e32 v14, v14, v8
	v_xor_b32_e32 v102, v10, v12
	v_lshlrev_b32_e32 v10, 8, v75
	v_xor_b32_e32 v104, v14, v12
	v_or_b32_e32 v14, 64, v9
	v_or_b32_e32 v9, 0x60, v9
	v_or_b32_e32 v13, v10, v24
	v_xor_b32_e32 v14, v14, v5
	v_xor_b32_e32 v5, v9, v5
	v_lshlrev_b32_e32 v13, 1, v13
	v_or_b32_e32 v14, v14, v8
	v_or_b32_e32 v5, v5, v8
	s_lshl_b64 s[20:21], s[30:31], 8
	v_or_b32_e32 v103, 0x4000, v13
	v_or_b32_e32 v105, 0x4080, v13
	;; [unrolled: 1-line block ×4, first 2 shown]
	v_xor_b32_e32 v108, v14, v12
	v_xor_b32_e32 v109, v5, v12
	v_or_b32_e32 v110, 0x6000, v13
	v_or_b32_e32 v111, 0x6080, v13
	;; [unrolled: 1-line block ×4, first 2 shown]
	v_lshlrev_b32_e32 v12, 1, v4
	v_add_lshl_u32 v13, v4, s15, 1
	s_add_u32 s20, s36, s20
	v_lshlrev_b32_e32 v4, 1, v72
	v_lshrrev_b32_e32 v15, 4, v0
	s_addc_u32 s21, s37, s21
	v_or_b32_e32 v5, 1, v4
	v_mov_b32_e32 v19, 0xa000
	v_mov_b32_e32 v20, 0x8000
	v_xor_b32_e32 v16, v15, v4
	v_xor_b32_e32 v17, v5, v15
	v_lshl_add_u64 v[4:5], s[20:21], 0, v[66:67]
	v_lshlrev_b32_e32 v66, 8, v15
	v_cndmask_b32_e32 v19, v19, v20, vcc
	v_lshlrev_b32_e32 v20, 3, v74
	v_and_b32_e32 v11, 24, v11
	v_lshl_or_b32 v114, v16, 3, v66
	v_and_b32_e32 v16, 8, v0
	v_xor_b32_e32 v21, v20, v11
	v_or_b32_e32 v22, 0x440, v21
	v_cmp_eq_u32_e32 vcc, 0, v16
	v_and_b32_e32 v15, 7, v0
	v_lshl_or_b32 v115, v17, 3, v66
	v_cndmask_b32_e32 v16, v22, v21, vcc
	v_lshlrev_b32_e32 v17, 3, v15
	v_lshlrev_b32_e32 v15, 7, v15
	v_or_b32_e32 v16, v16, v7
	v_lshlrev_b32_e32 v18, 2, v0
	v_xad_u32 v116, v16, v17, v15
	v_or_b32_e32 v16, 32, v11
	v_and_or_b32 v10, v18, 60, v10
	v_xor_b32_e32 v16, v20, v16
	v_lshlrev_b32_e32 v10, 1, v10
	v_or_b32_e32 v18, 0x440, v16
	v_or_b32_e32 v117, 0x6000, v10
	v_cndmask_b32_e32 v16, v18, v16, vcc
	v_or_b32_e32 v119, 0x6080, v10
	v_or_b32_e32 v120, 0x6100, v10
	;; [unrolled: 1-line block ×5, first 2 shown]
	v_xor_b32_e32 v10, v20, v10
	v_xad_u32 v118, v16, v17, v15
	v_xor_b32_e32 v16, 0x440, v10
	v_cndmask_b32_e32 v10, v16, v10, vcc
	v_or_b32_e32 v10, v10, v7
	v_xad_u32 v122, v10, v17, v15
	v_or_b32_e32 v10, 0x60, v11
	v_xor_b32_e32 v10, v20, v10
	v_xor_b32_e32 v11, 0x440, v10
	v_cndmask_b32_e32 v10, v11, v10, vcc
	v_or_b32_e32 v8, s30, v72
	v_or_b32_e32 v7, v10, v7
	v_ashrrev_i32_e32 v9, 31, v8
	v_or_b32_e32 v14, 0x100, v3
	v_xad_u32 v123, v7, v17, v15
	v_cndmask_b32_e64 v124, v12, v3, s[0:1]
	v_cndmask_b32_e64 v125, v13, v14, s[0:1]
	v_lshl_add_u64 v[68:69], v[8:9], 1, s[8:9]
	v_lshl_add_u64 v[70:71], v[4:5], 0, v[66:67]
	s_mov_b32 s31, 0x7060302
	v_lshlrev_b32_e32 v66, 1, v6
	v_add_u32_e32 v127, v19, v116
	v_add_u32_e32 v128, v19, v118
	;; [unrolled: 1-line block ×4, first 2 shown]
	v_mov_b32_e32 v50, v67
	v_mov_b32_e32 v51, v67
	;; [unrolled: 1-line block ×24, first 2 shown]
	s_waitcnt lgkmcnt(0)
	s_barrier
.LBB240_6:                              ; =>This Inner Loop Header: Depth=1
	s_add_i32 s61, s62, 1
	s_cmp_lt_i32 s61, s46
	s_mov_b64 s[24:25], 0
	s_cselect_b64 s[40:41], -1, 0
	s_cmp_ge_i32 s61, s46
	s_mov_b64 s[20:21], 0
	s_cbranch_scc1 .LBB240_8
; %bb.7:                                ;   in Loop: Header=BB240_6 Depth=1
	s_add_i32 s0, s55, 64
	s_add_u32 s0, s2, s0
	s_addc_u32 s1, s3, 0
	s_lshl_b64 s[0:1], s[0:1], 8
	s_add_u32 s20, s6, s0
	s_addc_u32 s21, s7, s1
.LBB240_8:                              ;   in Loop: Header=BB240_6 Depth=1
	v_cndmask_b32_e64 v2, 0, 1, s[40:41]
	v_cmp_ne_u32_e64 s[0:1], 1, v2
	s_andn2_b64 vcc, exec, s[40:41]
	s_cbranch_vccnz .LBB240_10
; %bb.9:                                ;   in Loop: Header=BB240_6 Depth=1
	s_add_i32 s24, s55, 64
	s_add_u32 s24, s58, s24
	s_addc_u32 s25, s59, 0
	s_mul_i32 s27, s24, s47
	s_mul_hi_u32 s40, s24, s51
	s_add_i32 s27, s40, s27
	s_mul_i32 s25, s25, s51
	s_add_i32 s27, s27, s25
	s_mul_i32 s24, s24, s51
	s_add_u32 s24, s24, s50
	s_addc_u32 s25, s27, s53
	s_lshl_b64 s[24:25], s[24:25], 8
	s_add_u32 s24, s4, s24
	s_addc_u32 s25, s5, s25
.LBB240_10:                             ;   in Loop: Header=BB240_6 Depth=1
	v_perm_b32 v3, v65, v64, s31
	v_perm_b32 v2, v63, v62, s31
	v_perm_b32 v5, v61, v60, s31
	v_perm_b32 v4, v59, v58, s31
	ds_write_b64 v86, v[2:3]
	ds_write_b64 v87, v[4:5]
	ds_write_b64 v89, v[2:3]
	ds_write_b64 v90, v[4:5]
	v_perm_b32 v3, v57, v56, s31
	v_perm_b32 v2, v55, v54, s31
	v_perm_b32 v5, v53, v52, s31
	v_perm_b32 v4, v51, v50, s31
	ds_write_b64 v88, v[2:3]
	ds_write_b64 v91, v[4:5]
	ds_write_b64 v92, v[2:3]
	ds_write_b64 v93, v[4:5]
	;; [unrolled: 8-line block ×4, first 2 shown]
	s_waitcnt lgkmcnt(0)
	s_barrier
	ds_read_b64 v[6:7], v102 offset:49152
	ds_read2_b64 v[2:5], v103 offset1:16
	ds_read_b64 v[18:19], v105 offset:6144
	ds_read_b64 v[20:21], v103 offset:6144
	s_waitcnt lgkmcnt(2)
	v_mfma_f32_16x16x16_bf16 a[0:3], v[6:7], v[2:3], 0
	ds_read_b64 v[22:23], v104 offset:49152
	ds_read2st64_b64 v[10:13], v106 offset0:4 offset1:8
	ds_read2st64_b64 v[14:17], v107 offset0:4 offset1:8
	v_mfma_f32_16x16x16_bf16 a[4:7], v[6:7], v[4:5], 0
	ds_read2_b64 v[2:5], v103 offset0:32 offset1:48
	s_add_i32 s27, s55, 63
	s_mul_i32 s40, s27, s29
	s_waitcnt lgkmcnt(0)
	v_mfma_f32_16x16x16_bf16 a[8:11], v[6:7], v[2:3], 0
	s_mul_hi_u32 s41, s27, s28
	s_add_i32 s41, s41, s40
	s_mul_i32 s40, s27, s28
	v_mfma_f32_16x16x16_bf16 a[12:15], v[6:7], v[4:5], 0
	ds_read2st64_b64 v[2:5], v103 offset0:4 offset1:8
	ds_read2st64_b64 v[6:9], v105 offset0:4 offset1:8
	s_lshl_b64 s[40:41], s[40:41], 2
	s_waitcnt lgkmcnt(1)
	v_mfma_f32_16x16x16_bf16 a[0:3], v[22:23], v[2:3], a[0:3]
	s_add_u32 s40, s38, s40
	s_addc_u32 s41, s39, s41
	s_and_b64 vcc, exec, s[0:1]
	s_waitcnt lgkmcnt(0)
	v_mfma_f32_16x16x16_bf16 a[4:7], v[22:23], v[6:7], a[4:7]
	v_mov_b32_e32 v134, 0
	v_mov_b32_e32 v133, 0
	;; [unrolled: 1-line block ×3, first 2 shown]
	v_mfma_f32_16x16x16_bf16 a[8:11], v[22:23], v[10:11], a[8:11]
	ds_read_b64 v[2:3], v108 offset:49152
	ds_read_b64 v[6:7], v109 offset:49152
	;; [unrolled: 1-line block ×3, first 2 shown]
	v_mfma_f32_16x16x16_bf16 a[12:15], v[22:23], v[14:15], a[12:15]
	v_mov_b32_e32 v14, 0
	v_mov_b32_e32 v15, 0
	s_waitcnt lgkmcnt(2)
	v_mfma_f32_16x16x16_bf16 a[0:3], v[2:3], v[4:5], a[0:3]
	v_mov_b32_e32 v4, 0
	v_mov_b32_e32 v5, 0
	v_mfma_f32_16x16x16_bf16 a[16:19], v[2:3], v[8:9], a[4:7]
	v_mov_b32_e32 v8, 0
	v_mov_b32_e32 v9, 0
	;; [unrolled: 3-line block ×3, first 2 shown]
	v_mfma_f32_16x16x16_bf16 a[24:27], v[2:3], v[16:17], a[12:15]
	ds_read_b64 v[2:3], v106 offset:6144
	v_mov_b32_e32 v16, 0
	v_mov_b32_e32 v17, 0
	s_waitcnt lgkmcnt(2)
	v_mfma_f32_16x16x16_bf16 a[4:7], v[6:7], v[20:21], a[0:3]
	v_mfma_f32_16x16x16_bf16 a[8:11], v[6:7], v[18:19], a[16:19]
	s_waitcnt lgkmcnt(0)
	v_mfma_f32_16x16x16_bf16 a[12:15], v[6:7], v[2:3], a[20:23]
	v_mov_b32_e32 v2, 0
	v_mov_b32_e32 v3, 0
	v_mfma_f32_16x16x16_bf16 a[0:3], v[6:7], v[10:11], a[24:27]
	v_mov_b32_e32 v6, 0
	v_mov_b32_e32 v7, 0
	;; [unrolled: 1-line block ×4, first 2 shown]
	s_cbranch_vccnz .LBB240_12
; %bb.11:                               ;   in Loop: Header=BB240_6 Depth=1
	s_and_b32 s21, s21, 0xffff
	buffer_load_dwordx4 v[14:17], v82, s[20:23], 0 offen
	buffer_load_dwordx4 v[10:13], v82, s[20:23], s54 offen
	;; [unrolled: 1-line block ×4, first 2 shown]
	v_mov_b32_e32 v133, v84
	v_mov_b32_e32 v132, v85
.LBB240_12:                             ;   in Loop: Header=BB240_6 Depth=1
	ds_read_b64 v[136:137], v102 offset:57344
	ds_read2_b64 v[18:21], v110 offset1:16
	ds_read_b64 v[138:139], v104 offset:57344
	ds_read_b64 v[140:141], v108 offset:57344
	;; [unrolled: 1-line block ×3, first 2 shown]
	v_add_u32_e32 v135, s55, v126
	s_waitcnt lgkmcnt(3)
	v_mfma_f32_16x16x16_bf16 a[4:7], v[136:137], v[18:19], a[4:7]
	v_mfma_f32_16x16x16_bf16 a[8:11], v[136:137], v[20:21], a[8:11]
	ds_read2_b64 v[18:21], v110 offset0:32 offset1:48
	ds_read2st64_b64 v[22:25], v110 offset0:4 offset1:8
	ds_read2st64_b64 v[26:29], v111 offset0:4 offset1:8
	;; [unrolled: 1-line block ×3, first 2 shown]
	s_waitcnt lgkmcnt(3)
	v_mfma_f32_16x16x16_bf16 a[12:15], v[136:137], v[18:19], a[12:15]
	v_ashrrev_i32_e32 v18, 31, v135
	v_mfma_f32_16x16x16_bf16 a[0:3], v[136:137], v[20:21], a[0:3]
	v_mul_lo_u32 v20, v18, s28
	v_mul_lo_u32 v21, v135, s29
	v_mad_u64_u32 v[18:19], s[20:21], v135, s28, 0
	v_add3_u32 v19, v19, v21, v20
	v_add_u32_e32 v20, 1, v135
	v_ashrrev_i32_e32 v21, 31, v20
	s_waitcnt lgkmcnt(2)
	v_mfma_f32_16x16x16_bf16 a[4:7], v[138:139], v[22:23], a[4:7]
	v_mul_lo_u32 v22, v21, s28
	v_mul_lo_u32 v23, v20, s29
	v_mad_u64_u32 v[20:21], s[20:21], v20, s28, 0
	v_add3_u32 v21, v21, v23, v22
	v_add_u32_e32 v22, 2, v135
	v_ashrrev_i32_e32 v23, 31, v22
	s_waitcnt lgkmcnt(1)
	v_mfma_f32_16x16x16_bf16 a[8:11], v[138:139], v[26:27], a[8:11]
	v_mul_lo_u32 v26, v23, s28
	v_mul_lo_u32 v27, v22, s29
	v_mad_u64_u32 v[22:23], s[20:21], v22, s28, 0
	v_lshl_add_u64 v[18:19], v[18:19], 2, s[38:39]
	v_add3_u32 v23, v23, v27, v26
	v_add_u32_e32 v26, 3, v135
	v_ashrrev_i32_e32 v27, 31, v26
	global_load_dword v136, v[18:19], off
	v_mad_u64_u32 v[18:19], s[20:21], v26, s28, 0
	v_mul_lo_u32 v27, v27, s28
	v_mul_lo_u32 v135, v26, s29
	s_add_u32 s20, s2, s55
	v_add3_u32 v19, v19, v135, v27
	s_addc_u32 s21, s3, 0
	v_lshl_add_u64 v[20:21], v[20:21], 2, s[38:39]
	v_lshl_add_u64 v[22:23], v[22:23], 2, s[38:39]
	;; [unrolled: 1-line block ×3, first 2 shown]
	s_lshl_b64 s[20:21], s[20:21], 8
	global_load_dword v135, v[20:21], off
	global_load_dword v137, v[22:23], off
	;; [unrolled: 1-line block ×3, first 2 shown]
	v_lshl_add_u64 v[18:19], v[68:69], 0, s[20:21]
	v_lshl_add_u64 v[22:23], v[18:19], 0, v[66:67]
	global_load_ushort v145, v[22:23], off offset:256
	global_load_ushort v146, v[22:23], off
	ds_read2st64_b64 v[18:21], v113 offset0:4 offset1:8
	global_load_ushort v147, v[22:23], off offset:768
	global_load_ushort v148, v[22:23], off offset:512
	s_waitcnt lgkmcnt(1)
	v_mfma_f32_16x16x16_bf16 a[12:15], v[138:139], v[30:31], a[12:15]
	s_and_b64 vcc, exec, s[0:1]
	s_waitcnt vmcnt(3)
	v_lshlrev_b32_e32 v31, 16, v145
	s_waitcnt lgkmcnt(0)
	v_mfma_f32_16x16x16_bf16 a[0:3], v[138:139], v[18:19], a[0:3]
	global_load_ushort v138, v[22:23], off offset:288
	global_load_ushort v139, v[22:23], off offset:32
	;; [unrolled: 1-line block ×8, first 2 shown]
	v_mfma_f32_16x16x16_bf16 a[4:7], v[140:141], v[24:25], a[4:7]
	ds_read_b64 v[18:19], v110 offset:6144
	s_waitcnt vmcnt(10)
	v_lshlrev_b32_e32 v30, 16, v146
	v_mfma_f32_16x16x16_bf16 a[8:11], v[140:141], v[28:29], a[8:11]
	v_mfma_f32_16x16x16_bf16 a[12:15], v[140:141], v[32:33], a[12:15]
	;; [unrolled: 1-line block ×3, first 2 shown]
	global_load_ushort v140, v[22:23], off offset:352
	global_load_ushort v141, v[22:23], off offset:96
	ds_read_b64 v[20:21], v111 offset:6144
	ds_read_b64 v[24:25], v112 offset:6144
	;; [unrolled: 1-line block ×3, first 2 shown]
	global_load_ushort v155, v[22:23], off offset:864
	global_load_ushort v156, v[22:23], off offset:608
	s_load_dword s20, s[40:41], 0x0
	s_waitcnt lgkmcnt(0)
	v_mfma_f32_16x16x16_bf16 a[4:7], v[142:143], v[18:19], a[4:7]
	v_sub_f32_e32 v28, s20, v137
	v_mfma_f32_16x16x16_bf16 a[0:3], v[142:143], v[26:27], a[0:3]
	v_sub_f32_e32 v26, s20, v136
	v_sub_f32_e32 v27, s20, v135
	v_sub_f32_e32 v29, s20, v144
	v_mul_f32_e32 v26, 0x3fb8aa3b, v26
	v_mul_f32_e32 v27, 0x3fb8aa3b, v27
	;; [unrolled: 1-line block ×4, first 2 shown]
	v_mfma_f32_16x16x16_bf16 a[8:11], v[142:143], v[20:21], a[8:11]
	v_exp_f32_e32 v26, v26
	v_exp_f32_e32 v27, v27
	v_exp_f32_e32 v28, v28
	v_exp_f32_e32 v29, v29
	v_accvgpr_read_b32 v33, a5
	v_accvgpr_read_b32 v32, a4
	;; [unrolled: 1-line block ×4, first 2 shown]
	v_pk_add_f32 v[30:31], v[30:31], v[32:33] neg_lo:[0,1] neg_hi:[0,1]
	s_waitcnt vmcnt(13)
	v_lshlrev_b32_e32 v33, 16, v147
	s_waitcnt vmcnt(12)
	v_lshlrev_b32_e32 v32, 16, v148
	v_pk_add_f32 v[18:19], v[32:33], v[18:19] neg_lo:[0,1] neg_hi:[0,1]
	v_pk_mul_f32 v[30:31], v[26:27], v[30:31]
	v_pk_mul_f32 v[18:19], v[28:29], v[18:19]
	v_accvgpr_read_b32 v33, a9
	v_perm_b32 v19, v19, v18, s31
	v_perm_b32 v18, v31, v30, s31
	v_accvgpr_read_b32 v32, a8
	v_accvgpr_read_b32 v21, a11
	v_mfma_f32_16x16x16_bf16 a[12:15], v[142:143], v[24:25], a[12:15]
	v_accvgpr_read_b32 v20, a10
	v_accvgpr_read_b32 v25, a3
	;; [unrolled: 1-line block ×3, first 2 shown]
	v_mov_b32_e32 v135, 0
	s_waitcnt vmcnt(11)
	v_lshlrev_b32_e32 v31, 16, v138
	s_waitcnt vmcnt(10)
	v_lshlrev_b32_e32 v30, 16, v139
	v_pk_add_f32 v[30:31], v[30:31], v[32:33] neg_lo:[0,1] neg_hi:[0,1]
	s_waitcnt vmcnt(9)
	v_lshlrev_b32_e32 v33, 16, v149
	s_waitcnt vmcnt(8)
	v_lshlrev_b32_e32 v32, 16, v150
	v_pk_add_f32 v[20:21], v[32:33], v[20:21] neg_lo:[0,1] neg_hi:[0,1]
	v_pk_mul_f32 v[30:31], v[26:27], v[30:31]
	v_pk_mul_f32 v[20:21], v[28:29], v[20:21]
	v_accvgpr_read_b32 v23, a15
	v_perm_b32 v21, v21, v20, s31
	v_perm_b32 v20, v31, v30, s31
	ds_write2_b64 v87, v[18:19], v[20:21] offset1:16
	v_accvgpr_read_b32 v21, a13
	s_waitcnt vmcnt(7)
	v_lshlrev_b32_e32 v19, 16, v151
	s_waitcnt vmcnt(6)
	v_lshlrev_b32_e32 v18, 16, v152
	v_accvgpr_read_b32 v20, a12
	v_accvgpr_read_b32 v22, a14
	v_pk_add_f32 v[18:19], v[18:19], v[20:21] neg_lo:[0,1] neg_hi:[0,1]
	s_waitcnt vmcnt(5)
	v_lshlrev_b32_e32 v21, 16, v153
	s_waitcnt vmcnt(4)
	v_lshlrev_b32_e32 v20, 16, v154
	v_pk_add_f32 v[20:21], v[20:21], v[22:23] neg_lo:[0,1] neg_hi:[0,1]
	v_pk_mul_f32 v[18:19], v[26:27], v[18:19]
	v_pk_mul_f32 v[20:21], v[28:29], v[20:21]
	v_accvgpr_read_b32 v23, a1
	v_perm_b32 v21, v21, v20, s31
	v_perm_b32 v20, v19, v18, s31
	s_waitcnt vmcnt(3)
	v_lshlrev_b32_e32 v19, 16, v140
	s_waitcnt vmcnt(2)
	v_lshlrev_b32_e32 v18, 16, v141
	v_accvgpr_read_b32 v22, a0
	v_pk_add_f32 v[18:19], v[18:19], v[22:23] neg_lo:[0,1] neg_hi:[0,1]
	s_waitcnt vmcnt(1)
	v_lshlrev_b32_e32 v23, 16, v155
	s_waitcnt vmcnt(0)
	v_lshlrev_b32_e32 v22, 16, v156
	v_pk_add_f32 v[22:23], v[22:23], v[24:25] neg_lo:[0,1] neg_hi:[0,1]
	v_pk_mul_f32 v[18:19], v[26:27], v[18:19]
	v_pk_mul_f32 v[22:23], v[28:29], v[22:23]
	v_mov_b32_e32 v24, 0
	v_perm_b32 v23, v23, v22, s31
	v_perm_b32 v22, v19, v18, s31
	ds_write2_b64 v87, v[20:21], v[22:23] offset0:32 offset1:48
	v_mov_b32_e32 v18, 0
	v_mov_b32_e32 v19, 0
	;; [unrolled: 1-line block ×15, first 2 shown]
	s_cbranch_vccnz .LBB240_14
; %bb.13:                               ;   in Loop: Header=BB240_6 Depth=1
	s_and_b32 s25, s25, 0xffff
	s_mov_b32 s27, s23
	buffer_load_dwordx4 v[30:33], v124, s[24:27], 0 offen
	buffer_load_dwordx4 v[22:25], v124, s[24:27], s54 offen
	;; [unrolled: 1-line block ×4, first 2 shown]
	v_mov_b32_e32 v134, v81
	v_mov_b32_e32 v135, v80
.LBB240_14:                             ;   in Loop: Header=BB240_6 Depth=1
	s_waitcnt lgkmcnt(0)
	s_barrier
	ds_read_b64 v[144:145], v127
	ds_read2_b64 v[136:139], v117 offset1:16
	ds_read_b64 v[160:161], v128
	ds_read_b64 v[162:163], v129
	ds_read_b64 v[164:165], v130
	ds_read2_b64 v[140:143], v117 offset0:32 offset1:48
	s_waitcnt lgkmcnt(4)
	v_mfma_f32_16x16x16_bf16 a[0:3], v[144:145], v[136:137], 0
	ds_read2st64_b64 v[148:151], v119 offset0:4 offset1:8
	ds_read2st64_b64 v[152:155], v120 offset0:4 offset1:8
	;; [unrolled: 1-line block ×3, first 2 shown]
	v_mfma_f32_16x16x16_bf16 a[4:7], v[144:145], v[138:139], 0
	s_add_i32 s21, s48, s62
	s_mul_hi_i32 s25, s21, s13
	s_mul_i32 s21, s21, s13
	s_waitcnt lgkmcnt(3)
	v_mfma_f32_16x16x16_bf16 a[8:11], v[144:145], v[140:141], 0
	s_add_u32 s24, s21, s33
	s_addc_u32 s25, s25, s52
	s_lshl_b64 s[24:25], s[24:25], 15
	v_mfma_f32_16x16x16_bf16 a[12:15], v[144:145], v[142:143], 0
	ds_read2st64_b64 v[144:147], v117 offset0:4 offset1:8
	s_waitcnt lgkmcnt(0)
	v_mfma_f32_16x16x16_bf16 a[0:3], v[160:161], v[144:145], a[0:3]
	v_mfma_f32_16x16x16_bf16 a[4:7], v[160:161], v[148:149], a[4:7]
	v_mfma_f32_16x16x16_bf16 a[8:11], v[160:161], v[152:153], a[8:11]
	v_mfma_f32_16x16x16_bf16 a[12:15], v[160:161], v[156:157], a[12:15]
	v_mfma_f32_16x16x16_bf16 a[0:3], v[162:163], v[146:147], a[0:3]
	v_mfma_f32_16x16x16_bf16 a[4:7], v[162:163], v[150:151], a[4:7]
	v_mfma_f32_16x16x16_bf16 a[8:11], v[162:163], v[154:155], a[8:11]
	v_mfma_f32_16x16x16_bf16 a[12:15], v[162:163], v[158:159], a[12:15]
	ds_read_b64 v[160:161], v117 offset:6144
	ds_read_b64 v[162:163], v118 offset:40960
	ds_read_b64 v[166:167], v116 offset:40960
	ds_read_b64 v[168:169], v119 offset:6144
	ds_read_b64 v[170:171], v120 offset:6144
	ds_read_b64 v[172:173], v121 offset:6144
	ds_read_b64 v[174:175], v122 offset:40960
	ds_read_b64 v[176:177], v123 offset:40960
	s_waitcnt lgkmcnt(5)
	v_mfma_f32_16x16x16_bf16 a[16:19], v[166:167], v[136:137], 0
	v_mfma_f32_16x16x16_bf16 a[20:23], v[166:167], v[138:139], 0
	ds_read2st64_b64 v[136:139], v114 offset1:8
	v_mfma_f32_16x16x16_bf16 a[24:27], v[166:167], v[140:141], 0
	v_mfma_f32_16x16x16_bf16 a[28:31], v[166:167], v[142:143], 0
	ds_read2st64_b64 v[140:143], v115 offset1:8
	v_mfma_f32_16x16x16_bf16 a[16:19], v[162:163], v[144:145], a[16:19]
	s_waitcnt lgkmcnt(1)
	v_mov_b32_e32 v144, v136
	v_mov_b32_e32 v145, v137
	v_mfma_f32_16x16x16_bf16 a[20:23], v[162:163], v[148:149], a[20:23]
	v_lshl_add_u64 v[148:149], v[70:71], 0, s[24:25]
	v_mfma_f32_16x16x16_bf16 a[24:27], v[162:163], v[152:153], a[24:27]
	v_mfma_f32_16x16x16_bf16 a[28:31], v[162:163], v[156:157], a[28:31]
	;; [unrolled: 1-line block ×3, first 2 shown]
	s_waitcnt lgkmcnt(0)
	v_mov_b32_e32 v146, v140
	v_mov_b32_e32 v147, v141
	;; [unrolled: 1-line block ×3, first 2 shown]
	v_mfma_f32_16x16x16_bf16 a[32:35], v[174:175], v[150:151], a[20:23]
	v_mov_b32_e32 v141, v139
	ds_read2st64_b64 v[136:139], v114 offset0:16 offset1:24
	global_store_dwordx4 v[148:149], v[144:147], off
	v_mfma_f32_16x16x16_bf16 a[24:27], v[174:175], v[154:155], a[24:27]
	ds_read2st64_b64 v[144:147], v115 offset0:16 offset1:24
	v_add_co_u32_e32 v150, vcc, s35, v148
	v_mfma_f32_16x16x16_bf16 a[28:31], v[174:175], v[158:159], a[28:31]
	s_nop 0
	v_addc_co_u32_e32 v151, vcc, 0, v149, vcc
	global_store_dwordx4 v[150:151], v[140:143], off offset:-4096
	v_mfma_f32_16x16x16_bf16 a[0:3], v[164:165], v[160:161], a[0:3]
	s_waitcnt lgkmcnt(1)
	v_mov_b32_e32 v140, v136
	v_add_co_u32_e32 v136, vcc, s60, v148
	v_mfma_f32_16x16x16_bf16 a[4:7], v[164:165], v[168:169], a[4:7]
	v_mov_b32_e32 v141, v137
	v_addc_co_u32_e32 v137, vcc, 0, v149, vcc
	v_mfma_f32_16x16x16_bf16 a[8:11], v[164:165], v[170:171], a[8:11]
	s_waitcnt lgkmcnt(0)
	v_mov_b32_e32 v142, v144
	v_mov_b32_e32 v143, v145
	;; [unrolled: 1-line block ×3, first 2 shown]
	v_mfma_f32_16x16x16_bf16 a[12:15], v[164:165], v[172:173], a[12:15]
	v_mov_b32_e32 v145, v139
	s_and_b64 vcc, exec, s[0:1]
	global_store_dwordx4 v[150:151], v[140:143], off
	v_mfma_f32_16x16x16_bf16 a[20:23], v[176:177], v[160:161], a[16:19]
	global_store_dwordx4 v[136:137], v[144:147], off
	v_mfma_f32_16x16x16_bf16 a[16:19], v[176:177], v[168:169], a[32:35]
	v_mfma_f32_16x16x16_bf16 a[24:27], v[176:177], v[170:171], a[24:27]
	;; [unrolled: 1-line block ×3, first 2 shown]
	s_cbranch_vccnz .LBB240_16
; %bb.15:                               ;   in Loop: Header=BB240_6 Depth=1
	v_lshrrev_b32_e32 v136, 3, v134
	v_and_b32_e32 v136, 6, v136
	v_xor_b32_e32 v135, v136, v135
	v_lshlrev_b32_e32 v135, 2, v135
	v_and_b32_e32 v134, 8, v134
	v_xor_b32_e32 v137, 0x440, v135
	v_cmp_eq_u32_e32 vcc, 0, v134
	s_barrier
	s_nop 0
	v_cndmask_b32_e32 v134, v137, v135, vcc
	v_lshl_or_b32 v134, v136, 10, v134
	s_waitcnt vmcnt(5)
	v_perm_b32 v135, v30, v26, s56
	s_waitcnt vmcnt(4)
	v_perm_b32 v136, v22, v18, s56
	ds_write2st64_b32 v134, v135, v136 offset0:128 offset1:160
	v_xor_b32_e32 v135, 8, v134
	v_perm_b32 v26, v30, v26, s57
	v_perm_b32 v18, v22, v18, s57
	v_add_u32_e32 v22, 0x80, v135
	ds_write2st64_b32 v22, v26, v18 offset0:128 offset1:160
	v_xor_b32_e32 v18, 16, v134
	v_perm_b32 v22, v31, v27, s56
	v_perm_b32 v26, v23, v19, s56
	ds_write2st64_b32 v18, v22, v26 offset0:129 offset1:161
	v_xor_b32_e32 v18, 24, v134
	v_perm_b32 v22, v31, v27, s57
	v_perm_b32 v19, v23, v19, s57
	v_add_u32_e32 v18, 0x80, v18
	ds_write2st64_b32 v18, v22, v19 offset0:129 offset1:161
	v_xor_b32_e32 v18, 32, v134
	v_perm_b32 v19, v32, v28, s56
	;; [unrolled: 9-line block ×3, first 2 shown]
	v_perm_b32 v20, v25, v21, s56
	ds_write2st64_b32 v18, v19, v20 offset0:131 offset1:163
	v_xor_b32_e32 v18, 56, v134
	v_perm_b32 v19, v33, v29, s57
	v_perm_b32 v20, v25, v21, s57
	v_add_u32_e32 v18, 0x80, v18
	ds_write2st64_b32 v18, v19, v20 offset0:131 offset1:163
	ds_write_b64 v133, v[14:15] offset:49152
	v_xor_b32_e32 v14, 8, v133
	ds_write_b64 v14, v[16:17] offset:49152
	ds_write_b64 v133, v[10:11] offset:57344
	;; [unrolled: 1-line block ×4, first 2 shown]
	v_xor_b32_e32 v6, 8, v132
	ds_write_b64 v6, v[8:9] offset:49152
	ds_write_b64 v132, v[2:3] offset:57344
	;; [unrolled: 1-line block ×3, first 2 shown]
.LBB240_16:                             ;   in Loop: Header=BB240_6 Depth=1
	s_waitcnt vmcnt(6)
	v_mul_f32_e32 v22, s20, v131
	v_exp_f32_e32 v132, v22
	v_accvgpr_read_b32 v5, a3
	v_accvgpr_read_b32 v9, a7
	;; [unrolled: 1-line block ×4, first 2 shown]
	s_waitcnt vmcnt(4)
	v_accvgpr_read_b32 v18, a20
	v_accvgpr_read_b32 v25, a19
	;; [unrolled: 1-line block ×28, first 2 shown]
	s_add_i32 s55, s55, 64
	v_pk_fma_f32 v[62:63], v[132:133], v[62:63], v[2:3] op_sel_hi:[0,1,1]
	v_pk_fma_f32 v[64:65], v[132:133], v[64:65], v[4:5] op_sel_hi:[0,1,1]
	;; [unrolled: 1-line block ×15, first 2 shown]
	s_cmp_eq_u32 s46, s61
	v_pk_fma_f32 v[38:39], v[132:133], v[38:39], v[32:33] op_sel_hi:[0,1,1]
	s_cbranch_scc1 .LBB240_18
; %bb.17:                               ;   in Loop: Header=BB240_6 Depth=1
	s_mov_b32 s62, s61
	s_branch .LBB240_6
.LBB240_18:
	s_lshl_b32 s40, s46, 6
	s_sub_i32 s41, s12, s40
	s_cmp_gt_i32 s41, 0
	s_cbranch_scc0 .LBB240_99
; %bb.19:
	s_ashr_i32 s35, s45, 31
	s_ashr_i32 s2, s40, 31
	s_cmpk_lg_i32 s15, 0x80
	s_cselect_b64 s[26:27], -1, 0
	s_and_b64 vcc, exec, s[26:27]
	s_cbranch_vccz .LBB240_21
; %bb.20:
	s_mul_i32 s1, s45, s12
	s_mul_hi_i32 s0, s45, s12
	s_add_u32 s1, s1, s40
	s_addc_u32 s0, s0, s2
	s_mul_i32 s3, s1, s47
	s_mul_hi_u32 s20, s1, s14
	s_add_i32 s3, s20, s3
	s_mul_i32 s0, s0, s14
	s_add_i32 s3, s3, s0
	s_mul_i32 s1, s1, s14
	s_ashr_i32 s0, s50, 31
	s_add_u32 s38, s1, s50
	s_addc_u32 s39, s3, s0
	s_cbranch_execz .LBB240_22
	s_branch .LBB240_23
.LBB240_21:
                                        ; implicit-def: $sgpr38_sgpr39
.LBB240_22:
	s_mul_hi_i32 s0, s45, s14
	s_mul_i32 s45, s45, s14
	s_ashr_i32 s1, s50, 31
	s_add_u32 s3, s45, s50
	s_addc_u32 s0, s0, s1
	s_mul_i32 s1, s3, s44
	s_mul_hi_u32 s14, s3, s12
	s_add_i32 s1, s14, s1
	s_mul_i32 s0, s0, s12
	s_add_i32 s1, s1, s0
	s_mul_i32 s3, s3, s12
	s_add_u32 s38, s3, s40
	s_addc_u32 s39, s1, s2
.LBB240_23:
	s_add_i32 s3, s48, s46
	s_ashr_i32 s14, s33, 31
	s_add_u32 s0, s43, s33
	s_addc_u32 s1, s49, s14
	s_mul_i32 s20, s0, s44
	s_mul_hi_u32 s21, s0, s12
	s_add_i32 s20, s21, s20
	s_mul_i32 s1, s1, s12
	s_add_i32 s20, s20, s1
	s_mul_i32 s0, s0, s12
	s_add_u32 s0, s0, s40
	v_lshlrev_b32_e32 v6, 6, v78
	v_lshlrev_b32_e32 v24, 2, v72
	s_addc_u32 s1, s20, s2
	s_mov_b32 s2, 0x7060302
	v_or_b32_e32 v9, v6, v24
	v_xor_b32_e32 v7, v78, v24
	v_perm_b32 v3, v65, v64, s2
	v_perm_b32 v2, v63, v62, s2
	;; [unrolled: 1-line block ×4, first 2 shown]
	v_lshlrev_b32_e32 v9, 1, v9
	v_xor_b32_e32 v8, v79, v24
	ds_write2st64_b64 v9, v[2:3], v[4:5] offset0:32 offset1:48
	v_lshlrev_b32_e32 v7, 1, v7
	v_lshlrev_b32_e32 v9, 8, v72
	v_or_b32_e32 v10, v7, v9
	v_lshlrev_b32_e32 v8, 1, v8
	ds_write_b64 v10, v[2:3]
	v_or_b32_e32 v2, v8, v9
	v_or_b32_e32 v9, 16, v72
	v_lshlrev_b32_e32 v23, 2, v9
	v_or_b32_e32 v10, v6, v23
	ds_write_b64 v2, v[4:5]
	v_perm_b32 v3, v57, v56, s2
	v_perm_b32 v2, v55, v54, s2
	v_perm_b32 v5, v53, v52, s2
	v_perm_b32 v4, v51, v50, s2
	v_lshlrev_b32_e32 v10, 1, v10
	v_lshlrev_b32_e32 v9, 8, v9
	ds_write2st64_b64 v10, v[2:3], v[4:5] offset0:32 offset1:48
	v_or_b32_e32 v10, v7, v9
	ds_write_b64 v10, v[2:3]
	v_or_b32_e32 v2, v8, v9
	v_or_b32_e32 v9, 32, v72
	v_lshlrev_b32_e32 v22, 2, v9
	v_or_b32_e32 v10, v6, v22
	s_lshl_b64 s[24:25], s[0:1], 8
	ds_write_b64 v2, v[4:5]
	v_perm_b32 v3, v49, v48, s2
	v_perm_b32 v2, v47, v46, s2
	;; [unrolled: 1-line block ×4, first 2 shown]
	v_lshlrev_b32_e32 v10, 1, v10
	v_lshlrev_b32_e32 v9, 8, v9
	s_add_u32 s0, s6, s24
	ds_write2st64_b64 v10, v[2:3], v[4:5] offset0:32 offset1:48
	v_or_b32_e32 v10, v7, v9
	s_addc_u32 s1, s7, s25
	ds_write_b64 v10, v[2:3]
	v_or_b32_e32 v2, v8, v9
	v_or_b32_e32 v9, 48, v72
	s_mul_hi_i32 s6, s3, s13
	s_mul_i32 s3, s3, s13
	ds_write_b64 v2, v[4:5]
	v_perm_b32 v3, v35, v34, s2
	v_perm_b32 v2, v41, v40, s2
	;; [unrolled: 1-line block ×4, first 2 shown]
	v_lshlrev_b32_e32 v19, 2, v9
	s_add_u32 s2, s3, s33
	v_or_b32_e32 v6, v6, v19
	s_addc_u32 s3, s6, s14
	v_lshlrev_b32_e32 v6, 1, v6
	s_ashr_i32 s31, s30, 31
	s_lshl_b64 s[2:3], s[2:3], 15
	ds_write2st64_b64 v6, v[2:3], v[4:5] offset0:32 offset1:48
	v_lshlrev_b32_e32 v6, 8, v9
	s_add_u32 s6, s36, s2
	v_or_b32_e32 v7, v7, v6
	s_addc_u32 s7, s37, s3
	s_lshl_b64 s[2:3], s[30:31], 8
	ds_write_b64 v7, v[2:3]
	v_or_b32_e32 v2, v8, v6
	s_add_u32 s2, s6, s2
	v_lshlrev_b32_e32 v3, 1, v72
	ds_write_b64 v2, v[4:5]
	v_lshrrev_b32_e32 v2, 4, v0
	s_addc_u32 s3, s7, s3
	v_or_b32_e32 v4, 1, v3
	v_lshlrev_b32_e32 v10, 4, v72
	v_mov_b32_e32 v11, 0
	v_xor_b32_e32 v3, v2, v3
	v_xor_b32_e32 v6, v4, v2
	v_lshl_add_u64 v[12:13], s[2:3], 0, v[10:11]
	v_lshlrev_b32_e32 v10, 8, v2
	v_lshl_or_b32 v16, v3, 3, v10
	v_lshl_or_b32 v17, v6, 3, v10
	s_waitcnt lgkmcnt(0)
	s_barrier
	ds_read2st64_b64 v[2:5], v16 offset1:8
	ds_read2st64_b64 v[6:9], v17 offset1:8
	v_lshl_add_u64 v[14:15], v[12:13], 0, v[10:11]
	s_movk_i32 s2, 0x2000
	s_cmp_lg_u32 s41, 64
	s_waitcnt lgkmcnt(1)
	v_mov_b32_e32 v10, v2
	v_mov_b32_e32 v11, v3
	s_waitcnt lgkmcnt(0)
	v_mov_b32_e32 v12, v6
	v_mov_b32_e32 v13, v7
	global_store_dwordx4 v[14:15], v[10:13], off
	v_mov_b32_e32 v6, v4
	v_mov_b32_e32 v7, v5
	ds_read2st64_b64 v[2:5], v16 offset0:16 offset1:24
	ds_read2st64_b64 v[10:13], v17 offset0:16 offset1:24
	v_add_co_u32_e32 v16, vcc, s2, v14
	s_cselect_b64 s[6:7], -1, 0
	s_nop 0
	v_addc_co_u32_e32 v17, vcc, 0, v15, vcc
	global_store_dwordx4 v[16:17], v[6:9], off offset:-4096
	v_lshl_or_b32 v25, v74, 3, v77
	s_mov_b32 s20, 0
	s_waitcnt lgkmcnt(1)
	v_mov_b32_e32 v6, v2
	v_add_co_u32_e32 v2, vcc, 0x3000, v14
	v_mov_b32_e32 v7, v3
	s_nop 0
	v_addc_co_u32_e32 v3, vcc, 0, v15, vcc
	s_waitcnt lgkmcnt(0)
	v_mov_b32_e32 v8, v10
	v_mov_b32_e32 v9, v11
	;; [unrolled: 1-line block ×4, first 2 shown]
	v_or_b32_e32 v20, 32, v25
	v_and_b32_e32 v18, 56, v76
	s_and_b64 vcc, exec, s[6:7]
	global_store_dwordx4 v[16:17], v[6:9], off
	global_store_dwordx4 v[2:3], v[10:13], off
	s_cbranch_vccz .LBB240_29
; %bb.24:
	s_mov_b32 s21, s20
	s_mov_b32 s22, s20
	;; [unrolled: 1-line block ×3, first 2 shown]
	v_mov_b64_e32 v[6:7], s[20:21]
	v_mov_b64_e32 v[8:9], s[22:23]
	;; [unrolled: 1-line block ×3, first 2 shown]
	v_cmp_gt_i32_e32 vcc, s41, v25
	v_mov_b64_e32 v[4:5], v[8:9]
	s_and_saveexec_b64 s[2:3], vcc
	s_cbranch_execz .LBB240_26
; %bb.25:
	v_lshlrev_b32_e32 v2, 8, v25
	v_mov_b32_e32 v3, 0
	v_lshl_add_u64 v[4:5], s[0:1], 0, v[2:3]
	v_lshlrev_b32_e32 v2, 1, v18
	v_lshl_add_u64 v[10:11], v[4:5], 0, v[2:3]
	global_load_dwordx4 v[6:9], v[10:11], off
	global_load_dwordx4 v[2:5], v[10:11], off offset:128
.LBB240_26:
	s_or_b64 exec, exec, s[2:3]
	s_mov_b32 s21, s20
	s_mov_b32 s22, s20
	;; [unrolled: 1-line block ×3, first 2 shown]
	v_mov_b64_e32 v[14:15], s[20:21]
	v_mov_b64_e32 v[16:17], s[22:23]
	;; [unrolled: 1-line block ×3, first 2 shown]
	v_cmp_gt_i32_e32 vcc, s41, v20
	v_lshlrev_b32_e32 v21, 7, v20
	v_mov_b64_e32 v[12:13], v[16:17]
	s_and_saveexec_b64 s[2:3], vcc
	s_cbranch_execz .LBB240_28
; %bb.27:
	v_lshlrev_b32_e32 v10, 1, v21
	v_mov_b32_e32 v11, 0
	v_lshl_add_u64 v[12:13], s[0:1], 0, v[10:11]
	v_lshlrev_b32_e32 v10, 1, v18
	v_lshl_add_u64 v[26:27], v[12:13], 0, v[10:11]
	global_load_dwordx4 v[14:17], v[26:27], off
	global_load_dwordx4 v[10:13], v[26:27], off offset:128
.LBB240_28:
	s_or_b64 exec, exec, s[2:3]
	v_lshrrev_b32_e32 v26, 3, v18
	v_lshlrev_b32_e32 v27, 3, v25
	v_or_b32_e32 v26, v27, v26
	v_lshlrev_b32_e32 v26, 4, v26
	v_and_b32_e32 v27, 0x78, v27
	v_xor_b32_e32 v26, v26, v27
	s_branch .LBB240_31
.LBB240_29:
                                        ; implicit-def: $vgpr26
                                        ; implicit-def: $vgpr21
                                        ; implicit-def: $vgpr6_vgpr7_vgpr8_vgpr9
                                        ; implicit-def: $vgpr2_vgpr3_vgpr4_vgpr5
                                        ; implicit-def: $vgpr14_vgpr15_vgpr16_vgpr17
                                        ; implicit-def: $vgpr10_vgpr11_vgpr12_vgpr13
	s_cbranch_execz .LBB240_31
; %bb.30:
	s_waitcnt vmcnt(0)
	v_lshlrev_b32_e32 v2, 1, v18
	v_lshl_or_b32 v21, v25, 8, v2
	s_and_b32 s1, s1, 0xffff
	s_mov_b32 s3, 0x20000
	s_movk_i32 s2, 0x4000
	v_lshl_or_b32 v26, v20, 8, v2
	s_movk_i32 s13, 0x80
	buffer_load_dwordx4 v[6:9], v21, s[0:3], 0 offen
	buffer_load_dwordx4 v[2:5], v21, s[0:3], s13 offen
	buffer_load_dwordx4 v[14:17], v26, s[0:3], 0 offen
	buffer_load_dwordx4 v[10:13], v26, s[0:3], s13 offen
	v_lshrrev_b32_e32 v21, 3, v18
	v_lshlrev_b32_e32 v26, 3, v25
	v_or_b32_e32 v21, v26, v21
	v_lshlrev_b32_e32 v21, 4, v21
	v_and_b32_e32 v26, 0x78, v26
	v_xor_b32_e32 v26, v21, v26
	v_lshlrev_b32_e32 v21, 7, v20
.LBB240_31:
	s_movk_i32 s0, 0x1000
	v_and_or_b32 v20, v21, s0, v26
	s_waitcnt vmcnt(1)
	ds_write_b64 v26, v[6:7] offset:49152
	v_xor_b32_e32 v6, 8, v26
	ds_write_b64 v6, v[8:9] offset:49152
	s_waitcnt vmcnt(0)
	ds_write_b64 v26, v[2:3] offset:57344
	ds_write_b64 v6, v[4:5] offset:57344
	;; [unrolled: 1-line block ×3, first 2 shown]
	v_xor_b32_e32 v2, 8, v20
	ds_write_b64 v2, v[16:17] offset:49152
	ds_write_b64 v20, v[10:11] offset:57344
	;; [unrolled: 1-line block ×3, first 2 shown]
	v_or_b32_e32 v2, v1, v72
	v_lshlrev_b32_e32 v3, 11, v74
	v_lshlrev_b32_e32 v2, 3, v2
	v_and_b32_e32 v6, 0x1000, v3
	v_lshrrev_b32_e32 v3, 5, v73
	s_movk_i32 s0, 0xf8
	v_and_or_b32 v3, v2, s0, v3
	v_lshlrev_b32_e32 v7, 4, v3
	v_and_b32_e32 v8, 0x78, v2
	v_or_b32_e32 v10, 32, v7
	v_lshrrev_b32_e32 v3, 1, v73
	v_xor_b32_e32 v10, v10, v8
	v_xor_b32_e32 v2, v7, v8
	v_and_b32_e32 v9, 8, v3
	v_or_b32_e32 v10, v10, v6
	v_or_b32_e32 v2, v2, v6
	v_xor_b32_e32 v28, v10, v9
	v_or_b32_e32 v10, 64, v7
	v_xor_b32_e32 v27, v2, v9
	v_xor_b32_e32 v10, v10, v8
	s_waitcnt lgkmcnt(0)
	s_barrier
	v_or_b32_e32 v13, v10, v6
	ds_read_b64 v[10:11], v27 offset:49152
	v_lshl_or_b32 v14, v75, 8, v24
	v_lshlrev_b32_e32 v26, 1, v14
	v_add_u32_e32 v12, 0x4000, v26
	ds_read2_b64 v[2:5], v12 offset1:16
	v_or_b32_e32 v7, 0x60, v7
	v_xor_b32_e32 v7, v7, v8
	v_or_b32_e32 v6, v7, v6
	v_xor_b32_e32 v29, v13, v9
	v_xor_b32_e32 v30, v6, v9
	ds_read_b64 v[20:21], v28 offset:49152
	ds_read_b64 v[34:35], v29 offset:49152
	;; [unrolled: 1-line block ×3, first 2 shown]
	s_waitcnt lgkmcnt(3)
	v_mfma_f32_16x16x16_bf16 a[0:3], v[10:11], v[2:3], 0
	ds_read2_b64 v[6:9], v12 offset0:32 offset1:48
	s_lshl_b64 s[0:1], s[38:39], 8
	s_add_u32 s4, s4, s0
	v_mfma_f32_16x16x16_bf16 a[4:7], v[10:11], v[4:5], 0
	ds_read2st64_b64 v[2:5], v26 offset0:36 offset1:40
	s_addc_u32 s5, s5, s1
	s_add_i32 s2, s12, -1
	s_waitcnt lgkmcnt(1)
	v_mfma_f32_16x16x16_bf16 a[8:11], v[10:11], v[6:7], 0
	v_or_b32_e32 v6, 64, v14
	v_lshlrev_b32_e32 v31, 1, v6
	s_add_i32 s0, s42, s17
	s_waitcnt lgkmcnt(0)
	v_mfma_f32_16x16x16_bf16 a[0:3], v[20:21], v[2:3], a[0:3]
	v_or_b32_e32 v2, 0x80, v14
	v_lshlrev_b32_e32 v32, 1, v2
	v_or_b32_e32 v2, 0xc0, v14
	v_mfma_f32_16x16x16_bf16 a[12:15], v[10:11], v[8:9], 0
	ds_read2st64_b64 v[6:9], v31 offset0:36 offset1:40
	v_lshlrev_b32_e32 v33, 1, v2
	ds_read2st64_b64 v[10:13], v32 offset0:36 offset1:40
	ds_read2st64_b64 v[14:17], v33 offset0:36 offset1:40
	s_mul_i32 s35, s35, s16
	s_add_i32 s35, s0, s35
	s_mul_i32 s0, s33, s19
	s_mul_hi_u32 s1, s33, s18
	s_ashr_i32 s3, s2, 31
	s_mul_i32 s12, s2, s29
	s_mul_hi_u32 s13, s2, s28
	s_waitcnt lgkmcnt(2)
	v_mfma_f32_16x16x16_bf16 a[4:7], v[20:21], v[6:7], a[4:7]
	s_add_i32 s0, s1, s0
	s_mul_i32 s1, s14, s18
	s_add_i32 s12, s13, s12
	s_mul_i32 s3, s3, s28
	s_waitcnt lgkmcnt(1)
	v_mfma_f32_16x16x16_bf16 a[8:11], v[20:21], v[10:11], a[8:11]
	s_add_i32 s1, s0, s1
	s_add_i32 s3, s12, s3
	s_lshl_b64 s[12:13], s[34:35], 2
	s_waitcnt lgkmcnt(0)
	v_mfma_f32_16x16x16_bf16 a[12:15], v[20:21], v[14:15], a[12:15]
	s_mul_i32 s0, s33, s18
	s_add_u32 s10, s10, s12
	s_addc_u32 s11, s11, s13
	s_lshl_b64 s[0:1], s[0:1], 2
	v_mfma_f32_16x16x16_bf16 a[0:3], v[34:35], v[4:5], a[0:3]
	s_mul_i32 s2, s2, s28
	ds_read_b64 v[2:3], v26 offset:22528
	s_add_u32 s10, s10, s0
	v_mfma_f32_16x16x16_bf16 a[4:7], v[34:35], v[8:9], a[4:7]
	ds_read_b64 v[4:5], v31 offset:22528
	ds_read_b64 v[6:7], v32 offset:22528
	;; [unrolled: 1-line block ×3, first 2 shown]
	s_addc_u32 s11, s11, s1
	s_lshl_b64 s[0:1], s[2:3], 2
	v_mfma_f32_16x16x16_bf16 a[8:11], v[34:35], v[12:13], a[8:11]
	s_add_u32 s0, s10, s0
	s_addc_u32 s1, s11, s1
	s_load_dword s12, s[0:1], 0x0
	v_mfma_f32_16x16x16_bf16 a[12:15], v[34:35], v[16:17], a[12:15]
	s_and_b64 vcc, exec, s[26:27]
	s_waitcnt lgkmcnt(0)
	v_mfma_f32_16x16x16_bf16 a[0:3], v[36:37], v[2:3], a[0:3]
	v_mfma_f32_16x16x16_bf16 a[4:7], v[36:37], v[4:5], a[4:7]
	;; [unrolled: 1-line block ×4, first 2 shown]
	s_cbranch_vccz .LBB240_42
; %bb.32:
	v_lshlrev_b32_e32 v20, 1, v25
	s_and_b64 vcc, exec, s[6:7]
	s_cbranch_vccz .LBB240_43
; %bb.33:
	v_cmp_gt_i32_e32 vcc, s41, v20
	v_mov_b32_e32 v6, 0
	v_mov_b32_e32 v2, 0
	;; [unrolled: 1-line block ×5, first 2 shown]
	s_and_saveexec_b64 s[0:1], vcc
	s_cbranch_execz .LBB240_35
; %bb.34:
	v_mad_i64_i32 v[2:3], s[2:3], s15, v20, 0
	v_lshl_add_u64 v[2:3], v[2:3], 1, s[4:5]
	v_lshlrev_b32_e32 v4, 1, v18
	v_mov_b32_e32 v5, 0
	v_lshl_add_u64 v[2:3], v[2:3], 0, v[4:5]
	global_load_dwordx4 v[2:5], v[2:3], off
.LBB240_35:
	s_or_b64 exec, exec, s[0:1]
	v_or_b32_e32 v21, 1, v20
	v_cmp_gt_i32_e64 s[0:1], s41, v21
	v_mov_b32_e32 v7, 0
	v_mov_b32_e32 v8, 0
	;; [unrolled: 1-line block ×3, first 2 shown]
	s_and_saveexec_b64 s[2:3], s[0:1]
	s_cbranch_execz .LBB240_37
; %bb.36:
	v_mad_i64_i32 v[6:7], s[16:17], s15, v21, 0
	v_lshl_add_u64 v[6:7], v[6:7], 1, s[4:5]
	v_lshlrev_b32_e32 v8, 1, v18
	v_mov_b32_e32 v9, 0
	v_lshl_add_u64 v[6:7], v[6:7], 0, v[8:9]
	global_load_dwordx4 v[6:9], v[6:7], off
.LBB240_37:
	s_or_b64 exec, exec, s[2:3]
	v_mov_b32_e32 v17, 0
	v_mov_b32_e32 v10, 0
	;; [unrolled: 1-line block ×5, first 2 shown]
	s_and_saveexec_b64 s[2:3], vcc
	s_cbranch_execz .LBB240_39
; %bb.38:
	v_mad_i64_i32 v[10:11], s[16:17], s15, v20, 0
	v_lshl_add_u64 v[10:11], v[10:11], 1, s[4:5]
	v_lshlrev_b32_e32 v12, 1, v18
	v_mov_b32_e32 v13, 0
	v_lshl_add_u64 v[10:11], v[10:11], 0, v[12:13]
	global_load_dwordx4 v[10:13], v[10:11], off offset:128
.LBB240_39:
	s_or_b64 exec, exec, s[2:3]
	v_mov_b32_e32 v16, 0
	v_mov_b32_e32 v15, 0
	;; [unrolled: 1-line block ×3, first 2 shown]
	s_and_saveexec_b64 s[2:3], s[0:1]
	s_cbranch_execz .LBB240_41
; %bb.40:
	v_mad_i64_i32 v[14:15], s[0:1], s15, v21, 0
	v_lshl_add_u64 v[14:15], v[14:15], 1, s[4:5]
	v_lshlrev_b32_e32 v16, 1, v18
	v_mov_b32_e32 v17, 0
	v_lshl_add_u64 v[14:15], v[14:15], 0, v[16:17]
	global_load_dwordx4 v[14:17], v[14:15], off offset:128
.LBB240_41:
	s_or_b64 exec, exec, s[2:3]
	s_branch .LBB240_45
.LBB240_42:
                                        ; implicit-def: $vgpr5
                                        ; implicit-def: $vgpr9
                                        ; implicit-def: $vgpr13
                                        ; implicit-def: $vgpr17
	v_lshrrev_b32_e32 v34, 2, v73
	s_branch .LBB240_46
.LBB240_43:
                                        ; implicit-def: $vgpr5
                                        ; implicit-def: $vgpr9
                                        ; implicit-def: $vgpr13
                                        ; implicit-def: $vgpr17
	s_cbranch_execz .LBB240_45
; %bb.44:
	s_waitcnt vmcnt(0)
	v_mad_u64_u32 v[2:3], s[0:1], v20, s15, v[18:19]
	v_lshlrev_b32_e32 v20, 1, v2
	s_lshl_b32 s2, s15, 7
	s_and_b32 s1, s5, 0xffff
	s_mov_b32 s3, 0x20000
	s_mov_b32 s0, s4
	v_add_lshl_u32 v21, v2, s15, 1
	s_movk_i32 s13, 0x80
	buffer_load_dwordx4 v[2:5], v20, s[0:3], 0 offen
	buffer_load_dwordx4 v[10:13], v20, s[0:3], s13 offen
	;; [unrolled: 1-line block ×4, first 2 shown]
.LBB240_45:
	v_lshrrev_b32_e32 v34, 2, v73
	s_cbranch_execnz .LBB240_58
.LBB240_46:
	s_and_b64 vcc, exec, s[6:7]
	s_cbranch_vccz .LBB240_56
; %bb.47:
	s_waitcnt vmcnt(0)
	v_lshlrev_b32_e32 v7, 1, v25
	v_cmp_gt_i32_e32 vcc, s41, v7
	v_mov_b32_e32 v6, 0
	v_lshlrev_b32_e32 v14, 9, v25
	v_mov_b32_e32 v2, 0
	v_mov_b32_e32 v3, 0
	;; [unrolled: 1-line block ×4, first 2 shown]
	s_and_saveexec_b64 s[0:1], vcc
	s_cbranch_execz .LBB240_49
; %bb.48:
	v_mov_b32_e32 v15, 0
	v_lshl_add_u64 v[2:3], s[4:5], 0, v[14:15]
	v_lshlrev_b32_e32 v4, 1, v18
	v_mov_b32_e32 v5, v15
	v_lshl_add_u64 v[2:3], v[2:3], 0, v[4:5]
	global_load_dwordx4 v[2:5], v[2:3], off
.LBB240_49:
	s_or_b64 exec, exec, s[0:1]
	v_or_b32_e32 v7, 1, v7
	v_cmp_gt_i32_e64 s[0:1], s41, v7
	v_lshlrev_b32_e32 v20, 8, v7
	v_mov_b32_e32 v7, 0
	v_mov_b32_e32 v8, 0
	v_mov_b32_e32 v9, 0
	s_and_saveexec_b64 s[2:3], s[0:1]
	s_cbranch_execz .LBB240_51
; %bb.50:
	v_mov_b32_e32 v21, 0
	v_lshl_add_u64 v[6:7], s[4:5], 0, v[20:21]
	v_lshlrev_b32_e32 v8, 1, v18
	v_mov_b32_e32 v9, v21
	v_lshl_add_u64 v[6:7], v[6:7], 0, v[8:9]
	global_load_dwordx4 v[6:9], v[6:7], off
.LBB240_51:
	s_or_b64 exec, exec, s[2:3]
	v_mov_b32_e32 v17, 0
	v_mov_b32_e32 v10, 0
	;; [unrolled: 1-line block ×5, first 2 shown]
	s_and_saveexec_b64 s[2:3], vcc
	s_cbranch_execz .LBB240_53
; %bb.52:
	v_mov_b32_e32 v15, 0
	v_lshl_add_u64 v[10:11], s[4:5], 0, v[14:15]
	v_lshlrev_b32_e32 v14, 1, v18
	v_lshl_add_u64 v[10:11], v[10:11], 0, v[14:15]
	global_load_dwordx4 v[10:13], v[10:11], off offset:128
.LBB240_53:
	s_or_b64 exec, exec, s[2:3]
	v_mov_b32_e32 v16, 0
	v_mov_b32_e32 v15, 0
	;; [unrolled: 1-line block ×3, first 2 shown]
	s_and_saveexec_b64 s[2:3], s[0:1]
	s_cbranch_execz .LBB240_55
; %bb.54:
	v_mov_b32_e32 v21, 0
	v_lshl_add_u64 v[14:15], s[4:5], 0, v[20:21]
	v_lshlrev_b32_e32 v20, 1, v18
	v_lshl_add_u64 v[14:15], v[14:15], 0, v[20:21]
	global_load_dwordx4 v[14:17], v[14:15], off offset:128
.LBB240_55:
	s_or_b64 exec, exec, s[2:3]
	s_branch .LBB240_58
.LBB240_56:
                                        ; implicit-def: $vgpr5
                                        ; implicit-def: $vgpr9
                                        ; implicit-def: $vgpr13
                                        ; implicit-def: $vgpr17
	s_cbranch_execz .LBB240_58
; %bb.57:
	s_waitcnt vmcnt(0)
	v_lshlrev_b32_e32 v2, 1, v18
	v_lshl_or_b32 v18, v25, 9, v2
	s_and_b32 s5, s5, 0xffff
	s_mov_b32 s7, 0x20000
	s_movk_i32 s6, 0x4000
	s_movk_i32 s0, 0x80
	buffer_load_dwordx4 v[2:5], v18, s[4:7], 0 offen
	buffer_load_dwordx4 v[6:9], v18, s[4:7], 0 offen offset:256
	buffer_load_dwordx4 v[10:13], v18, s[4:7], s0 offen
	buffer_load_dwordx4 v[14:17], v18, s[4:7], s0 offen offset:256
.LBB240_58:
	ds_read_b64 v[20:21], v27 offset:57344
	v_add_u32_e32 v18, 0x6000, v26
	ds_read2_b64 v[36:39], v18 offset1:16
	ds_read_b64 v[52:53], v28 offset:57344
	ds_read_b64 v[28:29], v29 offset:57344
	;; [unrolled: 1-line block ×3, first 2 shown]
	ds_read2st64_b64 v[40:43], v26 offset0:52 offset1:56
	s_mov_b32 s0, 0x1000504
	s_mov_b32 s1, 0x3020706
	s_waitcnt lgkmcnt(4)
	v_mfma_f32_16x16x16_bf16 a[0:3], v[20:21], v[36:37], a[0:3]
	v_mfma_f32_16x16x16_bf16 a[4:7], v[20:21], v[38:39], a[4:7]
	ds_read2_b64 v[36:39], v18 offset0:32 offset1:48
	v_and_b32_e32 v18, 6, v0
	v_xor_b32_e32 v25, v25, v18
	s_waitcnt lgkmcnt(0)
	v_mfma_f32_16x16x16_bf16 a[8:11], v[20:21], v[36:37], a[8:11]
	v_lshlrev_b32_e32 v25, 2, v25
	v_and_b32_e32 v0, 1, v0
	v_xor_b32_e32 v35, 0x440, v25
	v_mfma_f32_16x16x16_bf16 a[12:15], v[20:21], v[38:39], a[12:15]
	ds_read2st64_b64 v[36:39], v31 offset0:52 offset1:56
	ds_read2st64_b64 v[44:47], v32 offset0:52 offset1:56
	ds_read2st64_b64 v[48:51], v33 offset0:52 offset1:56
	v_cmp_eq_u32_e32 vcc, 0, v0
	ds_read_b64 v[20:21], v26 offset:30720
	ds_read_b64 v[26:27], v31 offset:30720
	;; [unrolled: 1-line block ×4, first 2 shown]
	v_mfma_f32_16x16x16_bf16 a[0:3], v[52:53], v[40:41], a[0:3]
	v_cndmask_b32_e32 v0, v35, v25, vcc
	v_lshl_or_b32 v0, v18, 10, v0
	s_waitcnt vmcnt(0)
	v_perm_b32 v18, v2, v6, s0
	s_waitcnt lgkmcnt(6)
	v_mfma_f32_16x16x16_bf16 a[4:7], v[52:53], v[36:37], a[4:7]
	v_perm_b32 v25, v10, v14, s0
	ds_write2st64_b32 v0, v18, v25 offset0:128 offset1:160
	v_xor_b32_e32 v18, 8, v0
	s_waitcnt lgkmcnt(6)
	v_mfma_f32_16x16x16_bf16 a[8:11], v[52:53], v[44:45], a[8:11]
	v_perm_b32 v2, v2, v6, s1
	v_perm_b32 v6, v10, v14, s1
	v_add_u32_e32 v10, 0x80, v18
	s_waitcnt lgkmcnt(5)
	v_mfma_f32_16x16x16_bf16 a[12:15], v[52:53], v[48:49], a[12:15]
	ds_write2st64_b32 v10, v2, v6 offset0:128 offset1:160
	v_xor_b32_e32 v2, 16, v0
	v_perm_b32 v6, v3, v7, s0
	v_mfma_f32_16x16x16_bf16 a[0:3], v[28:29], v[42:43], a[0:3]
	v_perm_b32 v10, v11, v15, s0
	ds_write2st64_b32 v2, v6, v10 offset0:129 offset1:161
	v_xor_b32_e32 v2, 24, v0
	v_mfma_f32_16x16x16_bf16 a[4:7], v[28:29], v[38:39], a[4:7]
	v_perm_b32 v3, v3, v7, s1
	v_perm_b32 v6, v11, v15, s1
	v_add_u32_e32 v2, 0x80, v2
	v_mfma_f32_16x16x16_bf16 a[16:19], v[28:29], v[46:47], a[8:11]
	ds_write2st64_b32 v2, v3, v6 offset0:129 offset1:161
	v_xor_b32_e32 v2, 32, v0
	v_perm_b32 v3, v4, v8, s0
	v_mfma_f32_16x16x16_bf16 a[20:23], v[28:29], v[50:51], a[12:15]
	v_perm_b32 v6, v12, v16, s0
	ds_write2st64_b32 v2, v3, v6 offset0:130 offset1:162
	v_xor_b32_e32 v2, 40, v0
	s_waitcnt lgkmcnt(8)
	v_mfma_f32_16x16x16_bf16 a[12:15], v[54:55], v[20:21], a[0:3]
	v_perm_b32 v3, v4, v8, s1
	v_perm_b32 v4, v12, v16, s1
	v_add_u32_e32 v2, 0x80, v2
	s_waitcnt lgkmcnt(7)
	v_mfma_f32_16x16x16_bf16 a[8:11], v[54:55], v[26:27], a[4:7]
	ds_write2st64_b32 v2, v3, v4 offset0:130 offset1:162
	v_xor_b32_e32 v2, 48, v0
	v_perm_b32 v3, v5, v9, s0
	s_waitcnt lgkmcnt(7)
	v_mfma_f32_16x16x16_bf16 a[4:7], v[54:55], v[30:31], a[16:19]
	v_perm_b32 v4, v13, v17, s0
	v_xor_b32_e32 v0, 56, v0
	v_and_or_b32 v18, v34, 12, v1
	s_waitcnt lgkmcnt(6)
	v_mfma_f32_16x16x16_bf16 a[0:3], v[54:55], v[32:33], a[20:23]
	ds_write2st64_b32 v2, v3, v4 offset0:131 offset1:163
	v_perm_b32 v2, v5, v9, s1
	v_perm_b32 v3, v13, v17, s1
	v_add_u32_e32 v0, 0x80, v0
	v_cmp_gt_i32_e32 vcc, s41, v18
	v_mov_b32_e32 v14, 0
	v_mov_b32_e32 v16, 0
	ds_write2st64_b32 v0, v2, v3 offset0:131 offset1:163
	s_and_saveexec_b64 s[0:1], vcc
	s_cbranch_execz .LBB240_60
; %bb.59:
	v_add_u32_e32 v0, s40, v18
	v_ashrrev_i32_e32 v1, 31, v0
	v_mul_lo_u32 v2, v1, s28
	v_mul_lo_u32 v3, v0, s29
	v_mad_u64_u32 v[0:1], s[2:3], v0, s28, 0
	v_add3_u32 v1, v1, v3, v2
	v_lshl_add_u64 v[0:1], v[0:1], 2, s[10:11]
	global_load_dword v0, v[0:1], off
	s_waitcnt vmcnt(0)
	v_sub_f32_e32 v0, s12, v0
	v_mul_f32_e32 v0, 0x3fb8aa3b, v0
	v_exp_f32_e32 v16, v0
.LBB240_60:
	s_or_b64 exec, exec, s[0:1]
	v_or_b32_e32 v8, 1, v18
	v_cmp_gt_i32_e64 s[0:1], s41, v8
	s_and_saveexec_b64 s[2:3], s[0:1]
	s_cbranch_execz .LBB240_62
; %bb.61:
	v_add_u32_e32 v0, s40, v8
	v_ashrrev_i32_e32 v1, 31, v0
	v_mul_lo_u32 v2, v1, s28
	v_mul_lo_u32 v3, v0, s29
	v_mad_u64_u32 v[0:1], s[4:5], v0, s28, 0
	v_add3_u32 v1, v1, v3, v2
	v_lshl_add_u64 v[0:1], v[0:1], 2, s[10:11]
	global_load_dword v0, v[0:1], off
	s_waitcnt vmcnt(0)
	v_sub_f32_e32 v0, s12, v0
	v_mul_f32_e32 v0, 0x3fb8aa3b, v0
	v_exp_f32_e32 v14, v0
.LBB240_62:
	s_or_b64 exec, exec, s[2:3]
	v_or_b32_e32 v10, 2, v18
	v_cmp_gt_i32_e64 s[2:3], s41, v10
	v_mov_b32_e32 v15, 0
	v_mov_b32_e32 v17, 0
	s_and_saveexec_b64 s[4:5], s[2:3]
	s_cbranch_execz .LBB240_64
; %bb.63:
	v_add_u32_e32 v0, s40, v10
	v_ashrrev_i32_e32 v1, 31, v0
	v_mul_lo_u32 v2, v1, s28
	v_mul_lo_u32 v3, v0, s29
	v_mad_u64_u32 v[0:1], s[6:7], v0, s28, 0
	v_add3_u32 v1, v1, v3, v2
	v_lshl_add_u64 v[0:1], v[0:1], 2, s[10:11]
	global_load_dword v0, v[0:1], off
	s_waitcnt vmcnt(0)
	v_sub_f32_e32 v0, s12, v0
	v_mul_f32_e32 v0, 0x3fb8aa3b, v0
	v_exp_f32_e32 v17, v0
.LBB240_64:
	s_or_b64 exec, exec, s[4:5]
	v_or_b32_e32 v12, 3, v18
	v_cmp_gt_i32_e64 s[4:5], s41, v12
	s_and_saveexec_b64 s[6:7], s[4:5]
	s_cbranch_execz .LBB240_66
; %bb.65:
	v_add_u32_e32 v0, s40, v12
	v_ashrrev_i32_e32 v1, 31, v0
	v_mul_lo_u32 v2, v1, s28
	v_mul_lo_u32 v3, v0, s29
	v_mad_u64_u32 v[0:1], s[14:15], v0, s28, 0
	v_add3_u32 v1, v1, v3, v2
	v_lshl_add_u64 v[0:1], v[0:1], 2, s[10:11]
	global_load_dword v0, v[0:1], off
	s_waitcnt vmcnt(0)
	v_sub_f32_e32 v0, s12, v0
	v_mul_f32_e32 v0, 0x3fb8aa3b, v0
	v_exp_f32_e32 v15, v0
.LBB240_66:
	s_or_b64 exec, exec, s[6:7]
	v_or_b32_e32 v4, s30, v72
	s_add_u32 s6, s8, s24
	v_accvgpr_read_b32 v0, a12
	s_addc_u32 s7, s9, s25
	v_ashrrev_i32_e32 v5, 31, v4
	v_accvgpr_read_b32 v1, a13
	v_accvgpr_read_b32 v2, a14
	;; [unrolled: 1-line block ×3, first 2 shown]
	v_lshl_add_u64 v[4:5], v[4:5], 1, s[6:7]
	v_mov_b32_e32 v9, 0
	v_lshlrev_b32_e32 v6, 8, v18
	v_mov_b32_e32 v7, 0
	s_and_saveexec_b64 s[6:7], vcc
	s_cbranch_execz .LBB240_68
; %bb.67:
	v_mov_b32_e32 v7, 0
	v_lshl_add_u64 v[20:21], v[4:5], 0, v[6:7]
	global_load_ushort v7, v[20:21], off
	s_waitcnt vmcnt(0)
	v_lshlrev_b32_e32 v7, 16, v7
	v_sub_f32_e32 v0, v7, v0
	v_mul_f32_e32 v0, v16, v0
	v_lshrrev_b32_e32 v7, 16, v0
.LBB240_68:
	s_or_b64 exec, exec, s[6:7]
	v_lshlrev_b32_e32 v8, 8, v8
	s_and_saveexec_b64 s[6:7], s[0:1]
	s_cbranch_execz .LBB240_70
; %bb.69:
	v_mov_b32_e32 v9, 0
	v_lshl_add_u64 v[20:21], v[4:5], 0, v[8:9]
	global_load_ushort v0, v[20:21], off
	s_waitcnt vmcnt(0)
	v_lshlrev_b32_e32 v0, 16, v0
	v_sub_f32_e32 v0, v0, v1
	v_mul_f32_e32 v0, v14, v0
	v_lshrrev_b32_e32 v9, 16, v0
.LBB240_70:
	s_or_b64 exec, exec, s[6:7]
	v_mov_b32_e32 v13, 0
	v_lshlrev_b32_e32 v10, 8, v10
	v_mov_b32_e32 v11, 0
	s_and_saveexec_b64 s[6:7], s[2:3]
	s_cbranch_execz .LBB240_72
; %bb.71:
	v_mov_b32_e32 v11, 0
	v_lshl_add_u64 v[0:1], v[4:5], 0, v[10:11]
	global_load_ushort v0, v[0:1], off
	s_waitcnt vmcnt(0)
	v_lshlrev_b32_e32 v0, 16, v0
	v_sub_f32_e32 v0, v0, v2
	v_mul_f32_e32 v0, v17, v0
	v_lshrrev_b32_e32 v11, 16, v0
.LBB240_72:
	s_or_b64 exec, exec, s[6:7]
	v_lshlrev_b32_e32 v12, 8, v12
	s_and_saveexec_b64 s[6:7], s[4:5]
	s_cbranch_execz .LBB240_74
; %bb.73:
	v_mov_b32_e32 v13, 0
	v_lshl_add_u64 v[0:1], v[4:5], 0, v[12:13]
	global_load_ushort v0, v[0:1], off
	s_waitcnt vmcnt(0)
	v_lshlrev_b32_e32 v0, 16, v0
	v_sub_f32_e32 v0, v0, v3
	v_mul_f32_e32 v0, v15, v0
	v_lshrrev_b32_e32 v13, 16, v0
.LBB240_74:
	s_or_b64 exec, exec, s[6:7]
	v_lshlrev_b32_e32 v18, 6, v18
	s_mov_b32 s6, 0x5040100
	v_perm_b32 v20, v9, v7, s6
	v_or_b32_e32 v7, v18, v24
	v_accvgpr_read_b32 v0, a8
	v_perm_b32 v21, v13, v11, s6
	v_lshlrev_b32_e32 v7, 1, v7
	v_accvgpr_read_b32 v1, a9
	v_accvgpr_read_b32 v2, a10
	;; [unrolled: 1-line block ×3, first 2 shown]
	ds_write_b64 v7, v[20:21] offset:24576
	v_mov_b32_e32 v9, 0
	v_mov_b32_e32 v7, 0
	s_and_saveexec_b64 s[6:7], vcc
	s_cbranch_execz .LBB240_76
; %bb.75:
	v_mov_b32_e32 v7, 0
	v_lshl_add_u64 v[20:21], v[4:5], 0, v[6:7]
	global_load_ushort v7, v[20:21], off offset:32
	s_waitcnt vmcnt(0)
	v_lshlrev_b32_e32 v7, 16, v7
	v_sub_f32_e32 v0, v7, v0
	v_mul_f32_e32 v0, v16, v0
	v_lshrrev_b32_e32 v7, 16, v0
.LBB240_76:
	s_or_b64 exec, exec, s[6:7]
	s_and_saveexec_b64 s[6:7], s[0:1]
	s_cbranch_execz .LBB240_78
; %bb.77:
	v_mov_b32_e32 v9, 0
	v_lshl_add_u64 v[20:21], v[4:5], 0, v[8:9]
	global_load_ushort v0, v[20:21], off offset:32
	s_waitcnt vmcnt(0)
	v_lshlrev_b32_e32 v0, 16, v0
	v_sub_f32_e32 v0, v0, v1
	v_mul_f32_e32 v0, v14, v0
	v_lshrrev_b32_e32 v9, 16, v0
.LBB240_78:
	s_or_b64 exec, exec, s[6:7]
	v_mov_b32_e32 v13, 0
	v_mov_b32_e32 v11, 0
	s_and_saveexec_b64 s[6:7], s[2:3]
	s_cbranch_execz .LBB240_80
; %bb.79:
	v_mov_b32_e32 v11, 0
	v_lshl_add_u64 v[0:1], v[4:5], 0, v[10:11]
	global_load_ushort v0, v[0:1], off offset:32
	s_waitcnt vmcnt(0)
	v_lshlrev_b32_e32 v0, 16, v0
	v_sub_f32_e32 v0, v0, v2
	v_mul_f32_e32 v0, v17, v0
	v_lshrrev_b32_e32 v11, 16, v0
.LBB240_80:
	s_or_b64 exec, exec, s[6:7]
	s_and_saveexec_b64 s[6:7], s[4:5]
	s_cbranch_execz .LBB240_82
; %bb.81:
	v_mov_b32_e32 v13, 0
	v_lshl_add_u64 v[0:1], v[4:5], 0, v[12:13]
	global_load_ushort v0, v[0:1], off offset:32
	s_waitcnt vmcnt(0)
	v_lshlrev_b32_e32 v0, 16, v0
	v_sub_f32_e32 v0, v0, v3
	v_mul_f32_e32 v0, v15, v0
	v_lshrrev_b32_e32 v13, 16, v0
.LBB240_82:
	s_or_b64 exec, exec, s[6:7]
	s_mov_b32 s6, 0x5040100
	v_perm_b32 v20, v9, v7, s6
	v_or_b32_e32 v7, v18, v23
	v_accvgpr_read_b32 v0, a4
	v_perm_b32 v21, v13, v11, s6
	v_lshlrev_b32_e32 v7, 1, v7
	v_accvgpr_read_b32 v1, a5
	v_accvgpr_read_b32 v2, a6
	v_accvgpr_read_b32 v3, a7
	ds_write_b64 v7, v[20:21] offset:24576
	v_mov_b32_e32 v9, 0
	v_mov_b32_e32 v7, 0
	s_and_saveexec_b64 s[6:7], vcc
	s_cbranch_execz .LBB240_84
; %bb.83:
	v_mov_b32_e32 v7, 0
	v_lshl_add_u64 v[20:21], v[4:5], 0, v[6:7]
	global_load_ushort v7, v[20:21], off offset:64
	s_waitcnt vmcnt(0)
	v_lshlrev_b32_e32 v7, 16, v7
	v_sub_f32_e32 v0, v7, v0
	v_mul_f32_e32 v0, v16, v0
	v_lshrrev_b32_e32 v7, 16, v0
.LBB240_84:
	s_or_b64 exec, exec, s[6:7]
	s_and_saveexec_b64 s[6:7], s[0:1]
	s_cbranch_execz .LBB240_86
; %bb.85:
	v_mov_b32_e32 v9, 0
	v_lshl_add_u64 v[20:21], v[4:5], 0, v[8:9]
	global_load_ushort v0, v[20:21], off offset:64
	s_waitcnt vmcnt(0)
	v_lshlrev_b32_e32 v0, 16, v0
	v_sub_f32_e32 v0, v0, v1
	v_mul_f32_e32 v0, v14, v0
	v_lshrrev_b32_e32 v9, 16, v0
.LBB240_86:
	s_or_b64 exec, exec, s[6:7]
	v_mov_b32_e32 v13, 0
	v_mov_b32_e32 v11, 0
	s_and_saveexec_b64 s[6:7], s[2:3]
	s_cbranch_execz .LBB240_88
; %bb.87:
	v_mov_b32_e32 v11, 0
	v_lshl_add_u64 v[0:1], v[4:5], 0, v[10:11]
	global_load_ushort v0, v[0:1], off offset:64
	s_waitcnt vmcnt(0)
	v_lshlrev_b32_e32 v0, 16, v0
	v_sub_f32_e32 v0, v0, v2
	v_mul_f32_e32 v0, v17, v0
	v_lshrrev_b32_e32 v11, 16, v0
.LBB240_88:
	s_or_b64 exec, exec, s[6:7]
	s_and_saveexec_b64 s[6:7], s[4:5]
	s_cbranch_execz .LBB240_90
; %bb.89:
	v_mov_b32_e32 v13, 0
	v_lshl_add_u64 v[0:1], v[4:5], 0, v[12:13]
	global_load_ushort v0, v[0:1], off offset:64
	s_waitcnt vmcnt(0)
	v_lshlrev_b32_e32 v0, 16, v0
	v_sub_f32_e32 v0, v0, v3
	v_mul_f32_e32 v0, v15, v0
	v_lshrrev_b32_e32 v13, 16, v0
.LBB240_90:
	s_or_b64 exec, exec, s[6:7]
	s_mov_b32 s6, 0x5040100
	v_perm_b32 v20, v9, v7, s6
	v_or_b32_e32 v7, v18, v22
	v_accvgpr_read_b32 v0, a0
	v_perm_b32 v21, v13, v11, s6
	v_lshlrev_b32_e32 v7, 1, v7
	v_accvgpr_read_b32 v1, a1
	v_accvgpr_read_b32 v2, a2
	v_accvgpr_read_b32 v3, a3
	ds_write_b64 v7, v[20:21] offset:24576
	v_mov_b32_e32 v9, 0
	v_mov_b32_e32 v7, 0
	s_and_saveexec_b64 s[6:7], vcc
	s_cbranch_execz .LBB240_92
; %bb.91:
	v_mov_b32_e32 v7, 0
	v_lshl_add_u64 v[6:7], v[4:5], 0, v[6:7]
	global_load_ushort v6, v[6:7], off offset:96
	s_waitcnt vmcnt(0)
	v_lshlrev_b32_e32 v6, 16, v6
	v_sub_f32_e32 v0, v6, v0
	v_mul_f32_e32 v0, v16, v0
	v_lshrrev_b32_e32 v7, 16, v0
.LBB240_92:
	s_or_b64 exec, exec, s[6:7]
	s_and_saveexec_b64 s[6:7], s[0:1]
	s_cbranch_execz .LBB240_94
; %bb.93:
	v_mov_b32_e32 v9, 0
	v_lshl_add_u64 v[8:9], v[4:5], 0, v[8:9]
	global_load_ushort v0, v[8:9], off offset:96
	s_waitcnt vmcnt(0)
	v_lshlrev_b32_e32 v0, 16, v0
	v_sub_f32_e32 v0, v0, v1
	v_mul_f32_e32 v0, v14, v0
	v_lshrrev_b32_e32 v9, 16, v0
.LBB240_94:
	s_or_b64 exec, exec, s[6:7]
	v_mov_b32_e32 v0, 0
	v_mov_b32_e32 v1, 0
	s_and_saveexec_b64 s[0:1], s[2:3]
	s_cbranch_execz .LBB240_96
; %bb.95:
	v_mov_b32_e32 v11, 0
	v_lshl_add_u64 v[10:11], v[4:5], 0, v[10:11]
	global_load_ushort v1, v[10:11], off offset:96
	s_waitcnt vmcnt(0)
	v_lshlrev_b32_e32 v1, 16, v1
	v_sub_f32_e32 v1, v1, v2
	v_mul_f32_e32 v1, v17, v1
	v_lshrrev_b32_e32 v1, 16, v1
.LBB240_96:
	s_or_b64 exec, exec, s[0:1]
	s_and_saveexec_b64 s[0:1], s[4:5]
	s_cbranch_execz .LBB240_98
; %bb.97:
	v_mov_b32_e32 v13, 0
	v_lshl_add_u64 v[4:5], v[4:5], 0, v[12:13]
	global_load_ushort v0, v[4:5], off offset:96
	s_waitcnt vmcnt(0)
	v_lshlrev_b32_e32 v0, 16, v0
	v_sub_f32_e32 v0, v0, v3
	v_mul_f32_e32 v0, v15, v0
	v_lshrrev_b32_e32 v0, 16, v0
.LBB240_98:
	s_or_b64 exec, exec, s[0:1]
	s_mov_b32 s0, 0x5040100
	v_or_b32_e32 v2, v18, v19
	v_perm_b32 v1, v0, v1, s0
	v_perm_b32 v0, v9, v7, s0
	v_lshlrev_b32_e32 v2, 1, v2
	ds_write_b64 v2, v[0:1] offset:24576
	s_waitcnt lgkmcnt(0)
	s_barrier
.LBB240_99:
	s_endpgm
	.section	.rodata,"a",@progbits
	.p2align	6, 0x0
	.amdhsa_kernel _ZN12_GLOBAL__N_139chunk_gated_delta_rule_fwd_h_hip_kernelILi64ELb0ELb0ELb0ELb0ELb0ELb0ELb1ELb0EEEvPK12hip_bfloat16S3_S3_PKfS5_PKvPS1_S8_PvPKiSB_iiiiilll
		.amdhsa_group_segment_fixed_size 65536
		.amdhsa_private_segment_fixed_size 0
		.amdhsa_kernarg_size 136
		.amdhsa_user_sgpr_count 2
		.amdhsa_user_sgpr_dispatch_ptr 0
		.amdhsa_user_sgpr_queue_ptr 0
		.amdhsa_user_sgpr_kernarg_segment_ptr 1
		.amdhsa_user_sgpr_dispatch_id 0
		.amdhsa_user_sgpr_kernarg_preload_length 0
		.amdhsa_user_sgpr_kernarg_preload_offset 0
		.amdhsa_user_sgpr_private_segment_size 0
		.amdhsa_uses_dynamic_stack 0
		.amdhsa_enable_private_segment 0
		.amdhsa_system_sgpr_workgroup_id_x 1
		.amdhsa_system_sgpr_workgroup_id_y 1
		.amdhsa_system_sgpr_workgroup_id_z 0
		.amdhsa_system_sgpr_workgroup_info 0
		.amdhsa_system_vgpr_workitem_id 0
		.amdhsa_next_free_vgpr 216
		.amdhsa_next_free_sgpr 63
		.amdhsa_accum_offset 180
		.amdhsa_reserve_vcc 1
		.amdhsa_float_round_mode_32 0
		.amdhsa_float_round_mode_16_64 0
		.amdhsa_float_denorm_mode_32 3
		.amdhsa_float_denorm_mode_16_64 3
		.amdhsa_dx10_clamp 1
		.amdhsa_ieee_mode 1
		.amdhsa_fp16_overflow 0
		.amdhsa_tg_split 0
		.amdhsa_exception_fp_ieee_invalid_op 0
		.amdhsa_exception_fp_denorm_src 0
		.amdhsa_exception_fp_ieee_div_zero 0
		.amdhsa_exception_fp_ieee_overflow 0
		.amdhsa_exception_fp_ieee_underflow 0
		.amdhsa_exception_fp_ieee_inexact 0
		.amdhsa_exception_int_div_zero 0
	.end_amdhsa_kernel
	.section	.text._ZN12_GLOBAL__N_139chunk_gated_delta_rule_fwd_h_hip_kernelILi64ELb0ELb0ELb0ELb0ELb0ELb0ELb1ELb0EEEvPK12hip_bfloat16S3_S3_PKfS5_PKvPS1_S8_PvPKiSB_iiiiilll,"axG",@progbits,_ZN12_GLOBAL__N_139chunk_gated_delta_rule_fwd_h_hip_kernelILi64ELb0ELb0ELb0ELb0ELb0ELb0ELb1ELb0EEEvPK12hip_bfloat16S3_S3_PKfS5_PKvPS1_S8_PvPKiSB_iiiiilll,comdat
.Lfunc_end240:
	.size	_ZN12_GLOBAL__N_139chunk_gated_delta_rule_fwd_h_hip_kernelILi64ELb0ELb0ELb0ELb0ELb0ELb0ELb1ELb0EEEvPK12hip_bfloat16S3_S3_PKfS5_PKvPS1_S8_PvPKiSB_iiiiilll, .Lfunc_end240-_ZN12_GLOBAL__N_139chunk_gated_delta_rule_fwd_h_hip_kernelILi64ELb0ELb0ELb0ELb0ELb0ELb0ELb1ELb0EEEvPK12hip_bfloat16S3_S3_PKfS5_PKvPS1_S8_PvPKiSB_iiiiilll
                                        ; -- End function
	.section	.AMDGPU.csdata,"",@progbits
; Kernel info:
; codeLenInByte = 10884
; NumSgprs: 69
; NumVgprs: 178
; NumAgprs: 36
; TotalNumVgprs: 216
; ScratchSize: 0
; MemoryBound: 0
; FloatMode: 240
; IeeeMode: 1
; LDSByteSize: 65536 bytes/workgroup (compile time only)
; SGPRBlocks: 8
; VGPRBlocks: 26
; NumSGPRsForWavesPerEU: 69
; NumVGPRsForWavesPerEU: 216
; AccumOffset: 180
; Occupancy: 1
; WaveLimiterHint : 1
; COMPUTE_PGM_RSRC2:SCRATCH_EN: 0
; COMPUTE_PGM_RSRC2:USER_SGPR: 2
; COMPUTE_PGM_RSRC2:TRAP_HANDLER: 0
; COMPUTE_PGM_RSRC2:TGID_X_EN: 1
; COMPUTE_PGM_RSRC2:TGID_Y_EN: 1
; COMPUTE_PGM_RSRC2:TGID_Z_EN: 0
; COMPUTE_PGM_RSRC2:TIDIG_COMP_CNT: 0
; COMPUTE_PGM_RSRC3_GFX90A:ACCUM_OFFSET: 44
; COMPUTE_PGM_RSRC3_GFX90A:TG_SPLIT: 0
	.section	.text._ZN12_GLOBAL__N_139chunk_gated_delta_rule_fwd_h_hip_kernelILi64ELb1ELb1ELb1ELb1ELb0ELb0ELb0ELb0EEEvPK12hip_bfloat16S3_S3_PKfS5_PKvPS1_S8_PvPKiSB_iiiiilll,"axG",@progbits,_ZN12_GLOBAL__N_139chunk_gated_delta_rule_fwd_h_hip_kernelILi64ELb1ELb1ELb1ELb1ELb0ELb0ELb0ELb0EEEvPK12hip_bfloat16S3_S3_PKfS5_PKvPS1_S8_PvPKiSB_iiiiilll,comdat
	.globl	_ZN12_GLOBAL__N_139chunk_gated_delta_rule_fwd_h_hip_kernelILi64ELb1ELb1ELb1ELb1ELb0ELb0ELb0ELb0EEEvPK12hip_bfloat16S3_S3_PKfS5_PKvPS1_S8_PvPKiSB_iiiiilll ; -- Begin function _ZN12_GLOBAL__N_139chunk_gated_delta_rule_fwd_h_hip_kernelILi64ELb1ELb1ELb1ELb1ELb0ELb0ELb0ELb0EEEvPK12hip_bfloat16S3_S3_PKfS5_PKvPS1_S8_PvPKiSB_iiiiilll
	.p2align	8
	.type	_ZN12_GLOBAL__N_139chunk_gated_delta_rule_fwd_h_hip_kernelILi64ELb1ELb1ELb1ELb1ELb0ELb0ELb0ELb0EEEvPK12hip_bfloat16S3_S3_PKfS5_PKvPS1_S8_PvPKiSB_iiiiilll,@function
_ZN12_GLOBAL__N_139chunk_gated_delta_rule_fwd_h_hip_kernelILi64ELb1ELb1ELb1ELb1ELb0ELb0ELb0ELb0EEEvPK12hip_bfloat16S3_S3_PKfS5_PKvPS1_S8_PvPKiSB_iiiiilll: ; @_ZN12_GLOBAL__N_139chunk_gated_delta_rule_fwd_h_hip_kernelILi64ELb1ELb1ELb1ELb1ELb0ELb0ELb0ELb0EEEvPK12hip_bfloat16S3_S3_PKfS5_PKvPS1_S8_PvPKiSB_iiiiilll
; %bb.0:
	s_load_dwordx4 s[20:23], s[0:1], 0x5c
	s_load_dwordx4 s[4:7], s[0:1], 0x48
	s_abs_i32 s9, s3
	s_ashr_i32 s8, s3, 31
	v_and_b32_e32 v88, 15, v0
	s_waitcnt lgkmcnt(0)
	s_abs_i32 s10, s21
	v_cvt_f32_u32_e32 v1, s10
	s_sub_i32 s12, 0, s10
	s_ashr_i32 s11, s21, 31
	s_xor_b32 s8, s8, s11
	v_rcp_iflag_f32_e32 v1, v1
	v_bfe_u32 v87, v0, 4, 2
	v_mov_b32_e32 v67, 0
	v_lshlrev_b32_e32 v89, 3, v0
	v_mul_f32_e32 v1, 0x4f7ffffe, v1
	v_cvt_u32_f32_e32 v1, v1
	s_nop 0
	v_readfirstlane_b32 s13, v1
	s_mul_i32 s12, s12, s13
	s_mul_hi_u32 s12, s13, s12
	s_add_i32 s13, s13, s12
	s_mul_hi_u32 s12, s9, s13
	s_mul_i32 s13, s12, s10
	s_sub_i32 s9, s9, s13
	s_add_i32 s14, s12, 1
	s_sub_i32 s13, s9, s10
	s_cmp_ge_u32 s9, s10
	s_cselect_b32 s12, s14, s12
	s_cselect_b32 s9, s13, s9
	s_add_i32 s13, s12, 1
	s_cmp_ge_u32 s9, s10
	s_cselect_b32 s9, s13, s12
	s_xor_b32 s9, s9, s8
	s_sub_i32 s24, s9, s8
	s_mul_i32 s12, s24, s21
	s_ashr_i32 s25, s24, 31
	s_sub_i32 s51, s3, s12
	s_lshl_b64 s[8:9], s[24:25], 2
	s_add_u32 s4, s4, s8
	s_addc_u32 s5, s5, s9
	s_add_u32 s26, s6, s8
	s_addc_u32 s27, s7, s9
	s_abs_i32 s3, s22
	v_cvt_f32_u32_e32 v1, s3
	s_load_dwordx2 s[38:39], s[4:5], 0x0
	s_sub_i32 s5, 0, s3
	s_lshl_b32 s2, s2, 6
	v_rcp_iflag_f32_e32 v1, v1
	v_or_b32_e32 v76, s2, v88
	s_waitcnt lgkmcnt(0)
	s_sub_i32 s54, s39, s38
	s_ashr_i32 s4, s54, 31
	v_mul_f32_e32 v1, 0x4f7ffffe, v1
	v_cvt_u32_f32_e32 v1, v1
	s_lshr_b32 s4, s4, 26
	s_add_i32 s4, s54, s4
	s_ashr_i32 s53, s4, 6
	v_readfirstlane_b32 s6, v1
	s_mul_i32 s5, s5, s6
	s_mul_hi_u32 s5, s6, s5
	s_add_i32 s6, s6, s5
	s_mul_hi_u32 s5, s10, s6
	s_mul_i32 s6, s5, s3
	s_ashr_i32 s4, s22, 31
	s_sub_i32 s6, s10, s6
	s_xor_b32 s4, s11, s4
	s_add_i32 s7, s5, 1
	s_sub_i32 s8, s6, s3
	s_cmp_ge_u32 s6, s3
	s_cselect_b32 s5, s7, s5
	s_cselect_b32 s6, s8, s6
	s_add_i32 s7, s5, 1
	s_cmp_ge_u32 s6, s3
	s_cselect_b32 s3, s7, s5
	s_xor_b32 s3, s3, s4
	s_sub_i32 s3, s3, s4
	s_abs_i32 s13, s3
	v_cvt_f32_u32_e32 v1, s13
	s_sub_i32 s15, 0, s13
	s_abs_i32 s14, s51
	s_xor_b32 s3, s51, s3
	v_rcp_iflag_f32_e32 v2, v1
	s_ashr_i32 s3, s3, 31
	s_load_dwordx8 s[4:11], s[0:1], 0x28
	v_lshrrev_b32_e32 v1, 6, v0
	v_mul_f32_e32 v2, 0x4f7ffffe, v2
	v_cvt_u32_f32_e32 v2, v2
	v_lshlrev_b32_e32 v86, 4, v1
	v_lshlrev_b32_e32 v68, 7, v76
	v_lshl_or_b32 v91, v87, 2, v86
	v_readfirstlane_b32 s16, v2
	s_mul_i32 s15, s15, s16
	s_mul_hi_u32 s15, s16, s15
	s_add_i32 s16, s16, s15
	s_mul_hi_u32 s15, s14, s16
	s_mul_i32 s16, s15, s13
	s_sub_i32 s14, s14, s16
	s_add_i32 s16, s15, 1
	s_sub_i32 s17, s14, s13
	s_cmp_ge_u32 s14, s13
	s_cselect_b32 s15, s16, s15
	s_cselect_b32 s14, s17, s14
	s_add_i32 s16, s15, 1
	s_cmp_ge_u32 s14, s13
	s_cselect_b32 s13, s16, s15
	s_xor_b32 s13, s13, s3
	s_sub_i32 s55, s13, s3
	s_ashr_i32 s52, s51, 31
	s_mul_hi_i32 s3, s24, s21
	s_add_u32 s12, s12, s51
	s_addc_u32 s13, s3, s52
	s_lshl_b64 s[34:35], s[12:13], 16
	s_waitcnt lgkmcnt(0)
	s_add_u32 s4, s4, s34
	s_addc_u32 s5, s5, s35
	v_ashrrev_i32_e32 v69, 31, v68
	v_lshl_add_u64 v[2:3], v[68:69], 2, s[4:5]
	v_lshlrev_b32_e32 v66, 2, v91
	v_or_b32_e32 v70, 0x800, v68
	v_lshl_add_u64 v[10:11], v[2:3], 0, v[66:67]
	v_ashrrev_i32_e32 v71, 31, v70
	global_load_dwordx4 v[6:9], v[10:11], off
	global_load_dwordx4 v[2:5], v[10:11], off offset:256
	v_lshl_add_u64 v[10:11], v[70:71], 2, s[4:5]
	v_or_b32_e32 v72, 0x1000, v68
	v_lshl_add_u64 v[18:19], v[10:11], 0, v[66:67]
	v_ashrrev_i32_e32 v73, 31, v72
	global_load_dwordx4 v[14:17], v[18:19], off
	global_load_dwordx4 v[10:13], v[18:19], off offset:256
	v_lshl_add_u64 v[18:19], v[72:73], 2, s[4:5]
	;; [unrolled: 6-line block ×3, first 2 shown]
	v_lshl_add_u64 v[34:35], v[26:27], 0, v[66:67]
	global_load_dwordx4 v[30:33], v[34:35], off
	global_load_dwordx4 v[26:29], v[34:35], off offset:256
	s_load_dwordx8 s[12:19], s[0:1], 0x0
	s_load_dwordx2 s[36:37], s[0:1], 0x80
	s_load_dwordx4 s[28:31], s[0:1], 0x70
	s_load_dword s56, s[26:27], 0x0
	v_and_b32_e32 v67, 63, v0
	v_or_b32_e32 v92, 64, v91
	s_cmp_lt_i32 s54, 64
	s_mul_hi_i32 s57, s51, s20
	s_mul_i32 s58, s51, s20
	v_lshrrev_b32_e32 v90, 3, v67
	s_waitcnt lgkmcnt(0)
	s_mul_i32 s33, s24, s29
	s_mul_hi_u32 s47, s24, s28
	s_mul_i32 s46, s25, s28
	s_mul_i32 s42, s24, s28
	;; [unrolled: 1-line block ×3, first 2 shown]
	s_mul_hi_u32 s49, s51, s30
	s_mul_i32 s50, s52, s30
	s_mul_i32 s40, s51, s30
	s_cbranch_scc1 .LBB241_18
; %bb.1:
	s_ashr_i32 s1, s38, 31
	s_add_u32 s0, s58, s38
	s_addc_u32 s1, s57, s1
	s_lshl_b64 s[0:1], s[0:1], 8
	v_and_b32_e32 v94, 56, v89
	s_add_u32 s24, s14, s0
	v_lshl_or_b32 v93, v1, 3, v90
	v_lshlrev_b32_e32 v34, 1, v94
	s_addc_u32 s0, s15, s1
	v_lshl_or_b32 v95, v93, 8, v34
	s_and_b32 s25, s0, 0xffff
	s_mov_b32 s27, 0x20000
	s_movk_i32 s26, 0x4000
	s_movk_i32 s0, 0x80
	v_or_b32_e32 v96, 0x2000, v95
	buffer_load_dwordx4 v[36:39], v95, s[24:27], 0 offen
	buffer_load_dwordx4 v[40:43], v95, s[24:27], s0 offen
	;; [unrolled: 1-line block ×4, first 2 shown]
	v_lshlrev_b32_e32 v35, 3, v93
	v_and_or_b32 v53, v0, 7, v35
	v_and_b32_e32 v35, 0x78, v35
	v_lshlrev_b32_e32 v53, 4, v53
	v_xor_b32_e32 v97, v53, v35
	v_mul_lo_u32 v52, v93, s23
	v_or_b32_e32 v98, 0x1000, v97
	v_xor_b32_e32 v35, 8, v97
	s_cmpk_eq_i32 s23, 0x80
	s_mov_b32 s59, s38
	v_xor_b32_e32 v53, 8, v98
	s_cselect_b64 s[0:1], -1, 0
	s_cmpk_lg_i32 s23, 0x80
	s_waitcnt vmcnt(3)
	ds_write_b64 v97, v[36:37] offset:49152
	ds_write_b64 v35, v[38:39] offset:49152
	s_waitcnt vmcnt(2)
	ds_write_b64 v97, v[40:41] offset:57344
	ds_write_b64 v35, v[42:43] offset:57344
	;; [unrolled: 3-line block ×4, first 2 shown]
	v_lshl_add_u32 v35, v52, 1, v94
	s_cbranch_scc0 .LBB241_3
; %bb.2:
	v_lshlrev_b32_e32 v37, 1, v35
	v_add_lshl_u32 v36, v35, s23, 1
	s_lshl_b32 s26, s23, 7
	v_lshl_or_b32 v34, v93, 9, v34
	s_cbranch_execz .LBB241_4
	s_branch .LBB241_5
.LBB241_3:
                                        ; implicit-def: $vgpr36
                                        ; implicit-def: $vgpr37
                                        ; implicit-def: $sgpr26
	v_lshl_or_b32 v34, v93, 9, v34
.LBB241_4:
	v_or_b32_e32 v36, 0x100, v34
	s_movk_i32 s26, 0x4000
	v_mov_b32_e32 v37, v34
.LBB241_5:
	s_mul_i32 s4, s38, s22
	s_ashr_i32 s60, s55, 31
	s_mul_hi_i32 s3, s38, s22
	s_add_u32 s4, s4, s55
	s_addc_u32 s5, s3, s60
	s_lshl_b64 s[4:5], s[4:5], 8
	s_add_u32 s24, s12, s4
	s_addc_u32 s3, s13, s5
	s_and_b32 s25, s3, 0xffff
	s_movk_i32 s61, 0x80
	buffer_load_dwordx4 v[38:41], v37, s[24:27], 0 offen
	buffer_load_dwordx4 v[42:45], v37, s[24:27], s61 offen
	;; [unrolled: 1-line block ×4, first 2 shown]
	v_and_b32_e32 v37, 6, v0
	v_lshlrev_b32_e32 v36, 7, v91
	v_xor_b32_e32 v59, v93, v37
	v_and_b32_e32 v54, 1, v0
	v_lshl_or_b32 v62, v88, 3, v36
	v_lshlrev_b32_e32 v59, 2, v59
	v_lshlrev_b32_e32 v55, 2, v88
	v_or_b32_e32 v99, 0x4000, v62
	v_or_b32_e32 v100, 0x6000, v62
	v_xor_b32_e32 v62, 0x440, v59
	v_cmp_eq_u32_e32 vcc, 0, v54
	v_or_b32_e32 v57, 16, v88
	v_or_b32_e32 v58, 32, v88
	v_xor_b32_e32 v60, v91, v55
	v_xor_b32_e32 v61, v92, v55
	v_cndmask_b32_e32 v54, v62, v59, vcc
	s_mov_b32 s62, 0x1000504
	v_lshl_or_b32 v63, v57, 3, v36
	v_lshlrev_b32_e32 v57, 8, v57
	v_lshl_or_b32 v64, v58, 3, v36
	v_lshlrev_b32_e32 v60, 1, v60
	v_lshlrev_b32_e32 v61, 1, v61
	v_lshl_or_b32 v37, v37, 10, v54
	s_add_i32 s3, s47, s33
	s_mov_b32 s63, 0x3020706
	v_lshlrev_b32_e32 v56, 8, v88
	v_or_b32_e32 v103, 0x4000, v64
	v_or_b32_e32 v104, 0x6000, v64
	;; [unrolled: 1-line block ×4, first 2 shown]
	v_xor_b32_e32 v54, 8, v37
	v_xor_b32_e32 v57, 24, v37
	;; [unrolled: 1-line block ×4, first 2 shown]
	s_add_i32 s43, s3, s46
	s_add_i32 s3, s49, s48
	v_or_b32_e32 v101, 0x4000, v63
	v_or_b32_e32 v102, 0x6000, v63
	;; [unrolled: 1-line block ×4, first 2 shown]
	v_xor_b32_e32 v56, 16, v37
	v_xor_b32_e32 v59, 32, v37
	;; [unrolled: 1-line block ×3, first 2 shown]
	v_add_u32_e32 v54, 0x80, v54
	v_add_u32_e32 v57, 0x80, v57
	;; [unrolled: 1-line block ×4, first 2 shown]
	s_add_i32 s41, s3, s50
	s_lshl_b64 s[4:5], s[42:43], 2
	s_add_u32 s3, s18, s4
	s_addc_u32 s24, s19, s5
	s_lshl_b64 s[4:5], s[40:41], 2
	s_add_u32 s4, s3, s4
	s_movk_i32 s3, 0xf8
	s_addc_u32 s5, s24, s5
	s_lshl_b32 s30, s23, 7
	s_movk_i32 s28, 0x100
	v_mov_b32_e32 v79, 0
	v_lshlrev_b32_e32 v78, 4, v88
	v_cmp_gt_u32_e32 vcc, s28, v0
	v_lshlrev_b32_e32 v58, 8, v58
	s_mov_b32 s64, 0
	s_movk_i32 s26, 0x4000
	v_or_b32_e32 v109, v58, v60
	v_or_b32_e32 v110, v58, v61
	s_movk_i32 s41, 0x2000
	s_movk_i32 s43, 0x3000
	v_mov_b32_e32 v142, 0x3fb8aa3b
	s_waitcnt vmcnt(1)
	v_perm_b32 v65, v38, v46, s62
	s_waitcnt vmcnt(0)
	v_perm_b32 v77, v42, v50, s62
	v_perm_b32 v38, v38, v46, s63
	;; [unrolled: 1-line block ×15, first 2 shown]
	ds_write2st64_b32 v37, v65, v77 offset0:128 offset1:160
	ds_write2st64_b32 v54, v38, v42 offset0:128 offset1:160
	;; [unrolled: 1-line block ×8, first 2 shown]
	v_or_b32_e32 v37, 48, v88
	v_lshl_or_b32 v38, v37, 3, v36
	v_lshlrev_b32_e32 v37, 8, v37
	v_or_b32_e32 v113, v37, v60
	v_or_b32_e32 v114, v37, v61
	;; [unrolled: 1-line block ×3, first 2 shown]
	v_lshlrev_b32_e32 v37, 3, v37
	v_lshrrev_b32_e32 v39, 5, v67
	v_and_or_b32 v39, v37, s3, v39
	v_lshlrev_b32_e32 v39, 4, v39
	v_lshlrev_b32_e32 v40, 11, v1
	v_and_b32_e32 v37, 0x78, v37
	v_or_b32_e32 v45, 32, v39
	v_or_b32_e32 v111, 0x4000, v38
	;; [unrolled: 1-line block ×3, first 2 shown]
	v_and_b32_e32 v38, 0x1000, v40
	v_xor_b32_e32 v41, v39, v37
	v_lshrrev_b32_e32 v42, 1, v0
	v_xor_b32_e32 v45, v45, v37
	v_or_b32_e32 v41, v41, v38
	v_and_b32_e32 v43, 8, v42
	v_or_b32_e32 v45, v45, v38
	v_xor_b32_e32 v115, v41, v43
	v_lshlrev_b32_e32 v41, 8, v87
	v_xor_b32_e32 v117, v45, v43
	v_or_b32_e32 v45, 64, v39
	v_or_b32_e32 v39, 0x60, v39
	s_ashr_i32 s3, s2, 31
	v_or_b32_e32 v44, v41, v55
	v_xor_b32_e32 v45, v45, v37
	v_xor_b32_e32 v37, v39, v37
	s_lshl_b64 s[24:25], s[2:3], 8
	v_lshlrev_b32_e32 v44, 1, v44
	v_or_b32_e32 v45, v45, v38
	v_or_b32_e32 v37, v37, v38
	s_add_u32 s24, s6, s24
	v_lshlrev_b32_e32 v38, 1, v88
	v_or_b32_e32 v116, 0x4000, v44
	v_or_b32_e32 v118, 0x4080, v44
	;; [unrolled: 1-line block ×8, first 2 shown]
	v_lshrrev_b32_e32 v44, 4, v0
	s_addc_u32 s25, s7, s25
	v_or_b32_e32 v39, 1, v38
	v_mov_b32_e32 v48, 0xa000
	v_mov_b32_e32 v49, 0x8000
	v_xor_b32_e32 v121, v45, v43
	v_xor_b32_e32 v45, v44, v38
	;; [unrolled: 1-line block ×3, first 2 shown]
	v_lshl_add_u64 v[38:39], s[24:25], 0, v[78:79]
	v_lshlrev_b32_e32 v78, 8, v44
	v_cndmask_b32_e32 v48, v48, v49, vcc
	v_lshlrev_b32_e32 v49, 3, v1
	v_and_b32_e32 v42, 24, v42
	v_lshl_or_b32 v127, v45, 3, v78
	v_and_b32_e32 v45, 8, v0
	v_xor_b32_e32 v50, v49, v42
	v_or_b32_e32 v51, 0x440, v50
	v_cmp_eq_u32_e32 vcc, 0, v45
	v_and_b32_e32 v44, 7, v0
	v_lshl_or_b32 v128, v46, 3, v78
	v_cndmask_b32_e32 v45, v51, v50, vcc
	v_lshlrev_b32_e32 v46, 3, v44
	v_lshlrev_b32_e32 v44, 7, v44
	v_or_b32_e32 v45, v45, v40
	v_lshlrev_b32_e32 v47, 2, v0
	v_xad_u32 v129, v45, v46, v44
	v_or_b32_e32 v45, 32, v42
	v_and_or_b32 v41, v47, 60, v41
	v_xor_b32_e32 v45, v49, v45
	v_lshlrev_b32_e32 v41, 1, v41
	v_or_b32_e32 v47, 0x440, v45
	v_or_b32_e32 v130, 0x6000, v41
	v_cndmask_b32_e32 v45, v47, v45, vcc
	v_or_b32_e32 v132, 0x6080, v41
	v_or_b32_e32 v133, 0x6100, v41
	;; [unrolled: 1-line block ×5, first 2 shown]
	v_xor_b32_e32 v41, v49, v41
	v_xad_u32 v131, v45, v46, v44
	v_xor_b32_e32 v45, 0x440, v41
	v_cndmask_b32_e32 v41, v45, v41, vcc
	v_or_b32_e32 v41, v41, v40
	v_xad_u32 v135, v41, v46, v44
	v_or_b32_e32 v41, 0x60, v42
	v_xor_b32_e32 v41, v49, v41
	v_xor_b32_e32 v42, 0x440, v41
	v_cndmask_b32_e32 v41, v42, v41, vcc
	v_xor_b32_e32 v122, v37, v43
	v_ashrrev_i32_e32 v77, 31, v76
	v_lshlrev_b32_e32 v37, 1, v35
	v_add_lshl_u32 v35, v35, s23, 1
	v_or_b32_e32 v43, 0x100, v34
	v_or_b32_e32 v40, v41, v40
	v_xad_u32 v136, v40, v46, v44
	v_cndmask_b32_e64 v137, v37, v34, s[0:1]
	v_cndmask_b32_e64 v138, v35, v43, s[0:1]
	v_lshlrev_b64 v[34:35], 1, v[76:77]
	v_lshl_add_u64 v[80:81], s[16:17], 0, v[34:35]
	v_lshl_add_u64 v[82:83], s[8:9], 0, v[34:35]
	;; [unrolled: 1-line block ×3, first 2 shown]
	s_mov_b32 s3, 0x7060302
	v_lshlrev_b32_e32 v78, 1, v36
	v_add_u32_e32 v77, v48, v129
	v_add_u32_e32 v139, v48, v131
	;; [unrolled: 1-line block ×4, first 2 shown]
	s_waitcnt lgkmcnt(0)
	s_barrier
.LBB241_6:                              ; =>This Inner Loop Header: Depth=1
	s_add_i32 s65, s64, 1
	s_cmp_lt_i32 s65, s53
	s_mov_b64 s[28:29], 0
	s_cselect_b64 s[44:45], -1, 0
	s_cmp_ge_i32 s65, s53
	s_mov_b64 s[24:25], 0
	s_cbranch_scc1 .LBB241_8
; %bb.7:                                ;   in Loop: Header=BB241_6 Depth=1
	s_add_i32 s0, s59, 64
	s_ashr_i32 s1, s0, 31
	s_add_u32 s0, s58, s0
	s_addc_u32 s1, s57, s1
	s_lshl_b64 s[0:1], s[0:1], 8
	s_add_u32 s24, s14, s0
	s_addc_u32 s25, s15, s1
.LBB241_8:                              ;   in Loop: Header=BB241_6 Depth=1
	v_cndmask_b32_e64 v34, 0, 1, s[44:45]
	v_cmp_ne_u32_e64 s[0:1], 1, v34
	s_andn2_b64 vcc, exec, s[44:45]
	s_cbranch_vccnz .LBB241_10
; %bb.9:                                ;   in Loop: Header=BB241_6 Depth=1
	s_add_i32 s28, s59, 64
	s_mul_hi_i32 s29, s28, s22
	s_mul_i32 s28, s28, s22
	s_add_u32 s28, s28, s55
	s_addc_u32 s29, s29, s60
	s_lshl_b64 s[28:29], s[28:29], 8
	s_add_u32 s28, s12, s28
	s_addc_u32 s29, s13, s29
.LBB241_10:                             ;   in Loop: Header=BB241_6 Depth=1
	v_perm_b32 v35, v9, v8, s3
	v_perm_b32 v34, v7, v6, s3
	v_perm_b32 v37, v5, v4, s3
	v_perm_b32 v36, v3, v2, s3
	ds_write_b64 v99, v[34:35]
	ds_write_b64 v100, v[36:37]
	ds_write_b64 v105, v[34:35]
	ds_write_b64 v106, v[36:37]
	v_perm_b32 v35, v17, v16, s3
	v_perm_b32 v34, v15, v14, s3
	v_perm_b32 v37, v13, v12, s3
	v_perm_b32 v36, v11, v10, s3
	ds_write_b64 v101, v[34:35]
	ds_write_b64 v102, v[36:37]
	ds_write_b64 v107, v[34:35]
	ds_write_b64 v108, v[36:37]
	v_perm_b32 v35, v25, v24, s3
	v_perm_b32 v34, v23, v22, s3
	v_perm_b32 v37, v21, v20, s3
	v_perm_b32 v36, v19, v18, s3
	ds_write_b64 v103, v[34:35]
	ds_write_b64 v104, v[36:37]
	ds_write_b64 v109, v[34:35]
	ds_write_b64 v110, v[36:37]
	v_perm_b32 v35, v33, v32, s3
	v_perm_b32 v34, v31, v30, s3
	v_perm_b32 v37, v29, v28, s3
	v_perm_b32 v36, v27, v26, s3
	ds_write_b64 v111, v[34:35]
	ds_write_b64 v112, v[36:37]
	ds_write_b64 v113, v[34:35]
	ds_write_b64 v114, v[36:37]
	s_waitcnt lgkmcnt(0)
	s_barrier
	ds_read_b64 v[38:39], v115 offset:49152
	ds_read2_b64 v[34:37], v116 offset1:16
	ds_read_b64 v[50:51], v118 offset:6144
	ds_read_b64 v[52:53], v116 offset:6144
	s_waitcnt lgkmcnt(2)
	v_mfma_f32_16x16x16_bf16 a[0:3], v[38:39], v[34:35], 0
	ds_read_b64 v[54:55], v117 offset:49152
	ds_read2st64_b64 v[42:45], v119 offset0:4 offset1:8
	ds_read2st64_b64 v[46:49], v120 offset0:4 offset1:8
	v_mfma_f32_16x16x16_bf16 a[4:7], v[38:39], v[36:37], 0
	ds_read2_b64 v[34:37], v116 offset0:32 offset1:48
	s_add_i32 s31, s59, 63
	s_ashr_i32 s44, s31, 31
	s_waitcnt lgkmcnt(0)
	v_mfma_f32_16x16x16_bf16 a[8:11], v[38:39], v[34:35], 0
	s_mul_i32 s45, s31, s37
	s_mul_hi_u32 s66, s31, s36
	s_add_i32 s45, s66, s45
	v_mfma_f32_16x16x16_bf16 a[12:15], v[38:39], v[36:37], 0
	ds_read2st64_b64 v[34:37], v116 offset0:4 offset1:8
	ds_read2st64_b64 v[38:41], v118 offset0:4 offset1:8
	s_mul_i32 s44, s44, s36
	s_waitcnt lgkmcnt(1)
	v_mfma_f32_16x16x16_bf16 a[0:3], v[54:55], v[34:35], a[0:3]
	s_add_i32 s45, s45, s44
	s_mul_i32 s44, s31, s36
	s_lshl_b64 s[44:45], s[44:45], 2
	s_waitcnt lgkmcnt(0)
	v_mfma_f32_16x16x16_bf16 a[4:7], v[54:55], v[38:39], a[4:7]
	s_add_u32 s44, s4, s44
	s_addc_u32 s45, s5, s45
	s_and_b64 vcc, exec, s[0:1]
	v_mfma_f32_16x16x16_bf16 a[8:11], v[54:55], v[42:43], a[8:11]
	ds_read_b64 v[34:35], v121 offset:49152
	ds_read_b64 v[38:39], v122 offset:49152
	ds_read_b64 v[42:43], v120 offset:6144
	v_mov_b32_e32 v145, 0
	v_mov_b32_e32 v144, 0
	v_mfma_f32_16x16x16_bf16 a[12:15], v[54:55], v[46:47], a[12:15]
	v_mov_b32_e32 v143, 0
	v_mov_b32_e32 v46, 0
	;; [unrolled: 1-line block ×3, first 2 shown]
	s_waitcnt lgkmcnt(2)
	v_mfma_f32_16x16x16_bf16 a[0:3], v[34:35], v[36:37], a[0:3]
	v_mov_b32_e32 v36, 0
	v_mov_b32_e32 v37, 0
	v_mfma_f32_16x16x16_bf16 a[4:7], v[34:35], v[40:41], a[4:7]
	v_mov_b32_e32 v40, 0
	v_mov_b32_e32 v41, 0
	;; [unrolled: 3-line block ×3, first 2 shown]
	v_mfma_f32_16x16x16_bf16 a[12:15], v[34:35], v[48:49], a[12:15]
	ds_read_b64 v[34:35], v119 offset:6144
	v_mov_b32_e32 v48, 0
	v_mov_b32_e32 v49, 0
	s_waitcnt lgkmcnt(2)
	v_mfma_f32_16x16x16_bf16 a[0:3], v[38:39], v[52:53], a[0:3]
	v_mfma_f32_16x16x16_bf16 a[4:7], v[38:39], v[50:51], a[4:7]
	s_waitcnt lgkmcnt(0)
	v_mfma_f32_16x16x16_bf16 a[8:11], v[38:39], v[34:35], a[8:11]
	v_mov_b32_e32 v34, 0
	v_mov_b32_e32 v35, 0
	v_mfma_f32_16x16x16_bf16 a[12:15], v[38:39], v[42:43], a[12:15]
	v_mov_b32_e32 v38, 0
	v_mov_b32_e32 v39, 0
	;; [unrolled: 1-line block ×4, first 2 shown]
	s_cbranch_vccnz .LBB241_12
; %bb.11:                               ;   in Loop: Header=BB241_6 Depth=1
	s_and_b32 s25, s25, 0xffff
	buffer_load_dwordx4 v[46:49], v95, s[24:27], 0 offen
	buffer_load_dwordx4 v[42:45], v95, s[24:27], s61 offen
	;; [unrolled: 1-line block ×4, first 2 shown]
	v_mov_b32_e32 v144, v97
	v_mov_b32_e32 v143, v98
.LBB241_12:                             ;   in Loop: Header=BB241_6 Depth=1
	ds_read_b64 v[150:151], v115 offset:57344
	ds_read2_b64 v[50:53], v123 offset1:16
	ds_read_b64 v[152:153], v117 offset:57344
	ds_read_b64 v[154:155], v121 offset:57344
	;; [unrolled: 1-line block ×3, first 2 shown]
	s_waitcnt lgkmcnt(3)
	v_mfma_f32_16x16x16_bf16 a[0:3], v[150:151], v[50:51], a[0:3]
	v_mfma_f32_16x16x16_bf16 a[4:7], v[150:151], v[52:53], a[4:7]
	ds_read2_b64 v[50:53], v123 offset0:32 offset1:48
	ds_read2st64_b64 v[54:57], v123 offset0:4 offset1:8
	ds_read2st64_b64 v[58:61], v124 offset0:4 offset1:8
	;; [unrolled: 1-line block ×4, first 2 shown]
	s_waitcnt lgkmcnt(4)
	v_mfma_f32_16x16x16_bf16 a[8:11], v[150:151], v[50:51], a[8:11]
	v_mfma_f32_16x16x16_bf16 a[12:15], v[150:151], v[52:53], a[12:15]
	v_add_u32_e32 v150, s59, v91
	v_ashrrev_i32_e32 v50, 31, v150
	v_mul_lo_u32 v52, v50, s36
	v_mul_lo_u32 v53, v150, s37
	v_mad_u64_u32 v[50:51], s[24:25], v150, s36, 0
	v_add3_u32 v51, v51, v53, v52
	v_add_u32_e32 v52, 1, v150
	v_ashrrev_i32_e32 v53, 31, v52
	s_waitcnt lgkmcnt(3)
	v_mfma_f32_16x16x16_bf16 a[0:3], v[152:153], v[54:55], a[0:3]
	v_mul_lo_u32 v54, v53, s36
	v_mul_lo_u32 v55, v52, s37
	v_mad_u64_u32 v[52:53], s[24:25], v52, s36, 0
	v_add3_u32 v53, v53, v55, v54
	v_add_u32_e32 v54, 2, v150
	v_ashrrev_i32_e32 v55, 31, v54
	s_waitcnt lgkmcnt(2)
	v_mfma_f32_16x16x16_bf16 a[4:7], v[152:153], v[58:59], a[4:7]
	v_mul_lo_u32 v58, v55, s36
	v_mul_lo_u32 v59, v54, s37
	v_mad_u64_u32 v[54:55], s[24:25], v54, s36, 0
	v_lshl_add_u64 v[50:51], v[50:51], 2, s[4:5]
	v_lshl_add_u64 v[52:53], v[52:53], 2, s[4:5]
	v_add3_u32 v55, v55, v59, v58
	v_add_u32_e32 v58, 3, v150
	s_waitcnt lgkmcnt(1)
	v_mfma_f32_16x16x16_bf16 a[8:11], v[152:153], v[62:63], a[8:11]
	global_load_dword v63, v[50:51], off
	v_ashrrev_i32_e32 v59, 31, v58
	v_mul_lo_u32 v59, v59, s36
	s_waitcnt lgkmcnt(0)
	v_mfma_f32_16x16x16_bf16 a[12:15], v[152:153], v[146:147], a[12:15]
	global_load_dword v146, v[52:53], off
	v_mad_u64_u32 v[50:51], s[24:25], v58, s36, 0
	s_ashr_i32 s25, s59, 31
	v_mul_lo_u32 v62, v58, s37
	s_add_u32 s24, s58, s59
	v_lshl_add_u64 v[54:55], v[54:55], 2, s[4:5]
	v_add3_u32 v51, v51, v62, v59
	s_addc_u32 s25, s57, s25
	v_lshl_add_u64 v[50:51], v[50:51], 2, s[4:5]
	global_load_dword v62, v[54:55], off
	global_load_dword v147, v[50:51], off
	s_lshl_b64 s[24:25], s[24:25], 8
	v_lshl_add_u64 v[50:51], v[80:81], 0, s[24:25]
	v_lshl_add_u64 v[50:51], v[50:51], 0, v[78:79]
	global_load_ushort v150, v[50:51], off offset:256
	global_load_ushort v151, v[50:51], off
	global_load_ushort v152, v[50:51], off offset:768
	global_load_ushort v153, v[50:51], off offset:512
	;; [unrolled: 1-line block ×6, first 2 shown]
	s_load_dword s44, s[44:45], 0x0
	v_mfma_f32_16x16x16_bf16 a[12:15], v[154:155], v[148:149], a[12:15]
	global_load_ushort v148, v[50:51], off offset:320
	global_load_ushort v149, v[50:51], off offset:64
	s_and_b64 vcc, exec, s[0:1]
	v_mfma_f32_16x16x16_bf16 a[0:3], v[154:155], v[56:57], a[0:3]
	ds_read_b64 v[52:53], v123 offset:6144
	ds_read_b64 v[54:55], v124 offset:6144
	;; [unrolled: 1-line block ×4, first 2 shown]
	v_mfma_f32_16x16x16_bf16 a[4:7], v[154:155], v[60:61], a[4:7]
	s_waitcnt vmcnt(11) lgkmcnt(0)
	v_sub_f32_e32 v60, s44, v62
	v_mfma_f32_16x16x16_bf16 a[8:11], v[154:155], v[64:65], a[8:11]
	global_load_ushort v154, v[50:51], off offset:832
	global_load_ushort v155, v[50:51], off offset:576
	;; [unrolled: 1-line block ×6, first 2 shown]
	v_mfma_f32_16x16x16_bf16 a[0:3], v[156:157], v[52:53], a[0:3]
	s_waitcnt vmcnt(16)
	v_sub_f32_e32 v61, s44, v147
	v_mul_f32_e32 v60, 0x3fb8aa3b, v60
	v_mul_f32_e32 v61, 0x3fb8aa3b, v61
	v_exp_f32_e32 v60, v60
	v_exp_f32_e32 v61, v61
	s_waitcnt vmcnt(15)
	v_lshlrev_b32_e32 v65, 16, v150
	s_waitcnt vmcnt(14)
	v_lshlrev_b32_e32 v64, 16, v151
	v_accvgpr_read_b32 v53, a3
	v_accvgpr_read_b32 v52, a2
	v_mfma_f32_16x16x16_bf16 a[2:5], v[156:157], v[54:55], a[4:7]
	v_mfma_f32_16x16x16_bf16 a[6:9], v[156:157], v[56:57], a[8:11]
	s_nop 5
	v_accvgpr_read_b32 v55, a5
	v_accvgpr_read_b32 v54, a4
	;; [unrolled: 1-line block ×4, first 2 shown]
	v_mfma_f32_16x16x16_bf16 a[8:11], v[156:157], v[58:59], a[12:15]
	v_sub_f32_e32 v58, s44, v63
	v_sub_f32_e32 v59, s44, v146
	v_mul_f32_e32 v58, 0x3fb8aa3b, v58
	v_mul_f32_e32 v59, 0x3fb8aa3b, v59
	v_exp_f32_e32 v58, v58
	v_exp_f32_e32 v59, v59
	v_accvgpr_read_b32 v147, a1
	v_accvgpr_read_b32 v146, a0
	v_lshl_add_u64 v[62:63], v[82:83], 0, s[24:25]
	v_pk_add_f32 v[64:65], v[64:65], v[146:147] neg_lo:[0,1] neg_hi:[0,1]
	s_waitcnt vmcnt(13)
	v_lshlrev_b32_e32 v147, 16, v152
	s_waitcnt vmcnt(12)
	v_lshlrev_b32_e32 v146, 16, v153
	v_lshl_add_u64 v[62:63], v[62:63], 0, v[78:79]
	v_pk_add_f32 v[52:53], v[146:147], v[52:53] neg_lo:[0,1] neg_hi:[0,1]
	global_store_short_d16_hi v[62:63], v64, off
	global_store_short_d16_hi v[62:63], v65, off offset:256
	global_store_short_d16_hi v[62:63], v52, off offset:512
	;; [unrolled: 1-line block ×3, first 2 shown]
	v_pk_mul_f32 v[64:65], v[58:59], v[64:65]
	v_pk_mul_f32 v[52:53], v[60:61], v[52:53]
	v_accvgpr_read_b32 v147, a3
	v_perm_b32 v53, v53, v52, s3
	v_perm_b32 v52, v65, v64, s3
	s_waitcnt vmcnt(15)
	v_lshlrev_b32_e32 v65, 16, v158
	s_waitcnt vmcnt(14)
	v_lshlrev_b32_e32 v64, 16, v159
	v_accvgpr_read_b32 v146, a2
	v_pk_add_f32 v[64:65], v[64:65], v[146:147] neg_lo:[0,1] neg_hi:[0,1]
	s_waitcnt vmcnt(13)
	v_lshlrev_b32_e32 v147, 16, v160
	s_waitcnt vmcnt(12)
	v_lshlrev_b32_e32 v146, 16, v161
	v_pk_add_f32 v[54:55], v[146:147], v[54:55] neg_lo:[0,1] neg_hi:[0,1]
	global_store_short_d16_hi v[62:63], v64, off offset:32
	global_store_short_d16_hi v[62:63], v65, off offset:288
	;; [unrolled: 1-line block ×4, first 2 shown]
	v_pk_mul_f32 v[64:65], v[58:59], v[64:65]
	v_pk_mul_f32 v[54:55], v[60:61], v[54:55]
	v_accvgpr_read_b32 v57, a11
	v_perm_b32 v55, v55, v54, s3
	v_perm_b32 v54, v65, v64, s3
	ds_write2_b64 v100, v[52:53], v[54:55] offset1:16
	v_accvgpr_read_b32 v55, a7
	s_waitcnt vmcnt(15)
	v_lshlrev_b32_e32 v53, 16, v148
	s_waitcnt vmcnt(14)
	v_lshlrev_b32_e32 v52, 16, v149
	v_accvgpr_read_b32 v54, a6
	v_pk_add_f32 v[52:53], v[52:53], v[54:55] neg_lo:[0,1] neg_hi:[0,1]
	global_store_short_d16_hi v[62:63], v52, off offset:64
	global_store_short_d16_hi v[62:63], v53, off offset:320
	v_pk_mul_f32 v[52:53], v[58:59], v[52:53]
	v_accvgpr_read_b32 v56, a10
	v_perm_b32 v52, v53, v52, s3
	v_mov_b32_e32 v146, 0
	v_mov_b32_e32 v64, 0
	;; [unrolled: 1-line block ×3, first 2 shown]
	s_waitcnt vmcnt(15)
	v_lshlrev_b32_e32 v55, 16, v154
	s_waitcnt vmcnt(14)
	v_lshlrev_b32_e32 v54, 16, v155
	v_pk_add_f32 v[50:51], v[54:55], v[50:51] neg_lo:[0,1] neg_hi:[0,1]
	global_store_short_d16_hi v[62:63], v50, off offset:576
	global_store_short_d16_hi v[62:63], v51, off offset:832
	v_pk_mul_f32 v[50:51], v[60:61], v[50:51]
	v_accvgpr_read_b32 v55, a9
	v_perm_b32 v53, v51, v50, s3
	s_waitcnt vmcnt(15)
	v_lshlrev_b32_e32 v51, 16, v162
	s_waitcnt vmcnt(14)
	v_lshlrev_b32_e32 v50, 16, v163
	v_accvgpr_read_b32 v54, a8
	v_pk_add_f32 v[50:51], v[50:51], v[54:55] neg_lo:[0,1] neg_hi:[0,1]
	s_waitcnt vmcnt(13)
	v_lshlrev_b32_e32 v55, 16, v164
	s_waitcnt vmcnt(12)
	v_lshlrev_b32_e32 v54, 16, v165
	v_pk_add_f32 v[54:55], v[54:55], v[56:57] neg_lo:[0,1] neg_hi:[0,1]
	global_store_short_d16_hi v[62:63], v50, off offset:96
	global_store_short_d16_hi v[62:63], v51, off offset:352
	;; [unrolled: 1-line block ×4, first 2 shown]
	v_pk_mul_f32 v[50:51], v[58:59], v[50:51]
	v_pk_mul_f32 v[54:55], v[60:61], v[54:55]
	v_mov_b32_e32 v56, 0
	v_perm_b32 v55, v55, v54, s3
	v_perm_b32 v54, v51, v50, s3
	ds_write2_b64 v100, v[52:53], v[54:55] offset0:32 offset1:48
	v_mov_b32_e32 v50, 0
	v_mov_b32_e32 v51, 0
	;; [unrolled: 1-line block ×13, first 2 shown]
	s_cbranch_vccnz .LBB241_14
; %bb.13:                               ;   in Loop: Header=BB241_6 Depth=1
	s_and_b32 s29, s29, 0xffff
	s_mov_b32 s31, s27
	buffer_load_dwordx4 v[62:65], v137, s[28:31], 0 offen
	buffer_load_dwordx4 v[54:57], v137, s[28:31], s61 offen
	;; [unrolled: 1-line block ×4, first 2 shown]
	v_mov_b32_e32 v145, v94
	v_mov_b32_e32 v146, v93
.LBB241_14:                             ;   in Loop: Header=BB241_6 Depth=1
	s_waitcnt lgkmcnt(0)
	s_barrier
	ds_read_b64 v[156:157], v77
	ds_read2_b64 v[148:151], v130 offset1:16
	ds_read_b64 v[172:173], v139
	ds_read_b64 v[174:175], v140
	;; [unrolled: 1-line block ×3, first 2 shown]
	ds_read2_b64 v[152:155], v130 offset0:32 offset1:48
	s_waitcnt lgkmcnt(4)
	v_mfma_f32_16x16x16_bf16 a[0:3], v[156:157], v[148:149], 0
	ds_read2st64_b64 v[160:163], v132 offset0:4 offset1:8
	ds_read2st64_b64 v[164:167], v133 offset0:4 offset1:8
	;; [unrolled: 1-line block ×3, first 2 shown]
	v_mfma_f32_16x16x16_bf16 a[4:7], v[156:157], v[150:151], 0
	s_add_i32 s24, s56, s64
	s_mul_hi_i32 s25, s24, s21
	s_mul_i32 s24, s24, s21
	s_waitcnt lgkmcnt(3)
	v_mfma_f32_16x16x16_bf16 a[8:11], v[156:157], v[152:153], 0
	s_add_u32 s24, s24, s51
	s_addc_u32 s25, s25, s52
	s_lshl_b64 s[24:25], s[24:25], 15
	v_mfma_f32_16x16x16_bf16 a[12:15], v[156:157], v[154:155], 0
	ds_read2st64_b64 v[156:159], v130 offset0:4 offset1:8
	s_waitcnt lgkmcnt(0)
	v_mfma_f32_16x16x16_bf16 a[0:3], v[172:173], v[156:157], a[0:3]
	v_mfma_f32_16x16x16_bf16 a[4:7], v[172:173], v[160:161], a[4:7]
	v_mfma_f32_16x16x16_bf16 a[8:11], v[172:173], v[164:165], a[8:11]
	v_mfma_f32_16x16x16_bf16 a[12:15], v[172:173], v[168:169], a[12:15]
	v_mfma_f32_16x16x16_bf16 a[0:3], v[174:175], v[158:159], a[0:3]
	v_mfma_f32_16x16x16_bf16 a[4:7], v[174:175], v[162:163], a[4:7]
	v_mfma_f32_16x16x16_bf16 a[8:11], v[174:175], v[166:167], a[8:11]
	v_mfma_f32_16x16x16_bf16 a[12:15], v[174:175], v[170:171], a[12:15]
	ds_read_b64 v[172:173], v130 offset:6144
	ds_read_b64 v[174:175], v131 offset:40960
	;; [unrolled: 1-line block ×8, first 2 shown]
	s_waitcnt lgkmcnt(5)
	v_mfma_f32_16x16x16_bf16 a[16:19], v[178:179], v[148:149], 0
	v_mfma_f32_16x16x16_bf16 a[20:23], v[178:179], v[150:151], 0
	ds_read2st64_b64 v[148:151], v127 offset1:8
	v_mfma_f32_16x16x16_bf16 a[24:27], v[178:179], v[152:153], 0
	v_mfma_f32_16x16x16_bf16 a[28:31], v[178:179], v[154:155], 0
	ds_read2st64_b64 v[152:155], v128 offset1:8
	v_mfma_f32_16x16x16_bf16 a[16:19], v[174:175], v[156:157], a[16:19]
	s_waitcnt lgkmcnt(1)
	v_mov_b32_e32 v156, v148
	v_mov_b32_e32 v157, v149
	v_mfma_f32_16x16x16_bf16 a[20:23], v[174:175], v[160:161], a[20:23]
	v_lshl_add_u64 v[160:161], v[84:85], 0, s[24:25]
	v_mfma_f32_16x16x16_bf16 a[24:27], v[174:175], v[164:165], a[24:27]
	v_mfma_f32_16x16x16_bf16 a[28:31], v[174:175], v[168:169], a[28:31]
	;; [unrolled: 1-line block ×3, first 2 shown]
	s_waitcnt lgkmcnt(0)
	v_mov_b32_e32 v158, v152
	v_mov_b32_e32 v159, v153
	;; [unrolled: 1-line block ×3, first 2 shown]
	v_mfma_f32_16x16x16_bf16 a[32:35], v[186:187], v[162:163], a[20:23]
	v_mov_b32_e32 v153, v151
	ds_read2st64_b64 v[148:151], v127 offset0:16 offset1:24
	global_store_dwordx4 v[160:161], v[156:159], off
	v_mfma_f32_16x16x16_bf16 a[24:27], v[186:187], v[166:167], a[24:27]
	ds_read2st64_b64 v[156:159], v128 offset0:16 offset1:24
	v_add_co_u32_e32 v162, vcc, s41, v160
	v_mfma_f32_16x16x16_bf16 a[28:31], v[186:187], v[170:171], a[28:31]
	s_nop 0
	v_addc_co_u32_e32 v163, vcc, 0, v161, vcc
	global_store_dwordx4 v[162:163], v[152:155], off offset:-4096
	v_mfma_f32_16x16x16_bf16 a[0:3], v[176:177], v[172:173], a[0:3]
	s_waitcnt lgkmcnt(1)
	v_mov_b32_e32 v152, v148
	v_add_co_u32_e32 v148, vcc, s43, v160
	v_mfma_f32_16x16x16_bf16 a[4:7], v[176:177], v[180:181], a[4:7]
	v_mov_b32_e32 v153, v149
	v_addc_co_u32_e32 v149, vcc, 0, v161, vcc
	v_mfma_f32_16x16x16_bf16 a[8:11], v[176:177], v[182:183], a[8:11]
	s_waitcnt lgkmcnt(0)
	v_mov_b32_e32 v154, v156
	v_mov_b32_e32 v155, v157
	;; [unrolled: 1-line block ×3, first 2 shown]
	v_mfma_f32_16x16x16_bf16 a[12:15], v[176:177], v[184:185], a[12:15]
	v_mov_b32_e32 v157, v151
	s_and_b64 vcc, exec, s[0:1]
	global_store_dwordx4 v[162:163], v[152:155], off
	v_mfma_f32_16x16x16_bf16 a[20:23], v[188:189], v[172:173], a[16:19]
	global_store_dwordx4 v[148:149], v[156:159], off
	v_mfma_f32_16x16x16_bf16 a[16:19], v[188:189], v[180:181], a[32:35]
	v_mfma_f32_16x16x16_bf16 a[24:27], v[188:189], v[182:183], a[24:27]
	;; [unrolled: 1-line block ×3, first 2 shown]
	s_cbranch_vccnz .LBB241_16
; %bb.15:                               ;   in Loop: Header=BB241_6 Depth=1
	v_lshrrev_b32_e32 v147, 3, v145
	v_and_b32_e32 v147, 6, v147
	v_xor_b32_e32 v146, v147, v146
	v_lshlrev_b32_e32 v146, 2, v146
	v_and_b32_e32 v145, 8, v145
	v_xor_b32_e32 v148, 0x440, v146
	v_cmp_eq_u32_e32 vcc, 0, v145
	s_barrier
	s_nop 0
	v_cndmask_b32_e32 v145, v148, v146, vcc
	v_lshl_or_b32 v145, v147, 10, v145
	s_waitcnt vmcnt(5)
	v_perm_b32 v146, v62, v58, s62
	s_waitcnt vmcnt(4)
	v_perm_b32 v147, v54, v50, s62
	ds_write2st64_b32 v145, v146, v147 offset0:128 offset1:160
	v_xor_b32_e32 v146, 8, v145
	v_perm_b32 v58, v62, v58, s63
	v_perm_b32 v50, v54, v50, s63
	v_add_u32_e32 v54, 0x80, v146
	ds_write2st64_b32 v54, v58, v50 offset0:128 offset1:160
	v_xor_b32_e32 v50, 16, v145
	v_perm_b32 v54, v63, v59, s62
	v_perm_b32 v58, v55, v51, s62
	ds_write2st64_b32 v50, v54, v58 offset0:129 offset1:161
	v_xor_b32_e32 v50, 24, v145
	v_perm_b32 v54, v63, v59, s63
	v_perm_b32 v51, v55, v51, s63
	v_add_u32_e32 v50, 0x80, v50
	ds_write2st64_b32 v50, v54, v51 offset0:129 offset1:161
	v_xor_b32_e32 v50, 32, v145
	v_perm_b32 v51, v64, v60, s62
	v_perm_b32 v54, v56, v52, s62
	ds_write2st64_b32 v50, v51, v54 offset0:130 offset1:162
	v_xor_b32_e32 v50, 40, v145
	v_perm_b32 v51, v64, v60, s63
	v_perm_b32 v52, v56, v52, s63
	v_add_u32_e32 v50, 0x80, v50
	ds_write2st64_b32 v50, v51, v52 offset0:130 offset1:162
	v_xor_b32_e32 v50, 48, v145
	v_perm_b32 v51, v65, v61, s62
	v_perm_b32 v52, v57, v53, s62
	ds_write2st64_b32 v50, v51, v52 offset0:131 offset1:163
	v_xor_b32_e32 v50, 56, v145
	v_perm_b32 v51, v65, v61, s63
	v_perm_b32 v52, v57, v53, s63
	v_add_u32_e32 v50, 0x80, v50
	ds_write2st64_b32 v50, v51, v52 offset0:131 offset1:163
	ds_write_b64 v144, v[46:47] offset:49152
	v_xor_b32_e32 v46, 8, v144
	ds_write_b64 v46, v[48:49] offset:49152
	ds_write_b64 v144, v[42:43] offset:57344
	;; [unrolled: 1-line block ×4, first 2 shown]
	v_xor_b32_e32 v38, 8, v143
	ds_write_b64 v38, v[40:41] offset:49152
	ds_write_b64 v143, v[34:35] offset:57344
	;; [unrolled: 1-line block ×3, first 2 shown]
.LBB241_16:                             ;   in Loop: Header=BB241_6 Depth=1
	s_waitcnt vmcnt(6)
	v_mul_f32_e32 v54, s44, v142
	v_exp_f32_e32 v144, v54
	v_accvgpr_read_b32 v37, a3
	v_accvgpr_read_b32 v41, a7
	;; [unrolled: 1-line block ×4, first 2 shown]
	s_waitcnt vmcnt(4)
	v_accvgpr_read_b32 v53, a23
	v_accvgpr_read_b32 v57, a19
	;; [unrolled: 1-line block ×28, first 2 shown]
	s_add_i32 s59, s59, 64
	v_pk_fma_f32 v[6:7], v[6:7], v[144:145], v[34:35] op_sel_hi:[1,0,1]
	v_pk_fma_f32 v[8:9], v[8:9], v[144:145], v[36:37] op_sel_hi:[1,0,1]
	;; [unrolled: 1-line block ×15, first 2 shown]
	s_cmp_eq_u32 s53, s65
	v_pk_fma_f32 v[28:29], v[28:29], v[144:145], v[64:65] op_sel_hi:[1,0,1]
	s_cbranch_scc1 .LBB241_18
; %bb.17:                               ;   in Loop: Header=BB241_6 Depth=1
	s_mov_b32 s64, s65
	s_branch .LBB241_6
.LBB241_18:
	s_lshl_b32 s30, s53, 6
	s_sub_i32 s31, s54, s30
	s_cmp_gt_i32 s31, 0
	s_cbranch_scc0 .LBB241_99
; %bb.19:
	s_add_i32 s30, s30, s38
	s_ashr_i32 s3, s30, 31
	s_cmpk_lg_i32 s23, 0x80
	s_cselect_b64 s[26:27], -1, 0
	s_and_b64 vcc, exec, s[26:27]
	s_cbranch_vccz .LBB241_21
; %bb.20:
	s_mul_i32 s1, s30, s22
	s_ashr_i32 s4, s55, 31
	s_mul_hi_i32 s0, s30, s22
	s_add_u32 s28, s1, s55
	s_addc_u32 s29, s0, s4
	s_cbranch_execz .LBB241_22
	s_branch .LBB241_23
.LBB241_21:
                                        ; implicit-def: $sgpr28_sgpr29
.LBB241_22:
	s_mul_i32 s1, s55, s20
	s_mul_hi_i32 s0, s55, s20
	s_add_u32 s28, s1, s30
	s_addc_u32 s29, s0, s3
.LBB241_23:
	s_add_i32 s4, s53, s56
	s_add_u32 s0, s58, s30
	v_lshlrev_b32_e32 v38, 6, v91
	v_lshlrev_b32_e32 v56, 2, v88
	s_addc_u32 s1, s57, s3
	s_mov_b32 s3, 0x7060302
	v_or_b32_e32 v41, v38, v56
	v_xor_b32_e32 v39, v91, v56
	s_waitcnt vmcnt(7)
	v_perm_b32 v35, v9, v8, s3
	v_perm_b32 v34, v7, v6, s3
	s_waitcnt vmcnt(6)
	v_perm_b32 v37, v5, v4, s3
	v_perm_b32 v36, v3, v2, s3
	v_lshlrev_b32_e32 v41, 1, v41
	v_xor_b32_e32 v40, v92, v56
	ds_write2st64_b64 v41, v[34:35], v[36:37] offset0:32 offset1:48
	v_lshlrev_b32_e32 v39, 1, v39
	v_lshlrev_b32_e32 v41, 8, v88
	v_or_b32_e32 v42, v39, v41
	v_lshlrev_b32_e32 v40, 1, v40
	ds_write_b64 v42, v[34:35]
	v_or_b32_e32 v34, v40, v41
	v_or_b32_e32 v41, 16, v88
	v_lshlrev_b32_e32 v55, 2, v41
	v_or_b32_e32 v42, v38, v55
	ds_write_b64 v34, v[36:37]
	s_waitcnt vmcnt(5)
	v_perm_b32 v35, v17, v16, s3
	v_perm_b32 v34, v15, v14, s3
	s_waitcnt vmcnt(4)
	v_perm_b32 v37, v13, v12, s3
	v_perm_b32 v36, v11, v10, s3
	v_lshlrev_b32_e32 v42, 1, v42
	v_lshlrev_b32_e32 v41, 8, v41
	ds_write2st64_b64 v42, v[34:35], v[36:37] offset0:32 offset1:48
	v_or_b32_e32 v42, v39, v41
	ds_write_b64 v42, v[34:35]
	v_or_b32_e32 v34, v40, v41
	v_or_b32_e32 v41, 32, v88
	v_lshlrev_b32_e32 v54, 2, v41
	v_or_b32_e32 v42, v38, v54
	ds_write_b64 v34, v[36:37]
	s_waitcnt vmcnt(3)
	v_perm_b32 v35, v25, v24, s3
	v_perm_b32 v34, v23, v22, s3
	s_waitcnt vmcnt(2)
	v_perm_b32 v37, v21, v20, s3
	v_perm_b32 v36, v19, v18, s3
	v_lshlrev_b32_e32 v42, 1, v42
	v_lshlrev_b32_e32 v41, 8, v41
	s_lshl_b64 s[24:25], s[0:1], 8
	ds_write2st64_b64 v42, v[34:35], v[36:37] offset0:32 offset1:48
	v_or_b32_e32 v42, v39, v41
	s_add_u32 s0, s14, s24
	ds_write_b64 v42, v[34:35]
	v_or_b32_e32 v34, v40, v41
	s_addc_u32 s1, s15, s25
	ds_write_b64 v34, v[36:37]
	s_waitcnt vmcnt(1)
	v_perm_b32 v35, v33, v32, s3
	v_perm_b32 v34, v31, v30, s3
	s_waitcnt vmcnt(0)
	v_perm_b32 v37, v29, v28, s3
	v_perm_b32 v36, v27, v26, s3
	v_or_b32_e32 v41, 48, v88
	s_mul_hi_i32 s3, s4, s21
	s_mul_i32 s4, s4, s21
	v_lshlrev_b32_e32 v51, 2, v41
	s_add_u32 s4, s4, s51
	v_or_b32_e32 v38, v38, v51
	s_addc_u32 s5, s3, s52
	v_lshlrev_b32_e32 v38, 1, v38
	s_ashr_i32 s3, s2, 31
	s_lshl_b64 s[4:5], s[4:5], 15
	ds_write2st64_b64 v38, v[34:35], v[36:37] offset0:32 offset1:48
	v_lshlrev_b32_e32 v38, 8, v41
	s_add_u32 s4, s6, s4
	v_or_b32_e32 v39, v39, v38
	s_addc_u32 s5, s7, s5
	s_lshl_b64 s[2:3], s[2:3], 8
	ds_write_b64 v39, v[34:35]
	v_or_b32_e32 v34, v40, v38
	s_add_u32 s2, s4, s2
	v_lshlrev_b32_e32 v35, 1, v88
	ds_write_b64 v34, v[36:37]
	v_lshrrev_b32_e32 v34, 4, v0
	s_addc_u32 s3, s5, s3
	v_or_b32_e32 v36, 1, v35
	v_lshlrev_b32_e32 v42, 4, v88
	v_mov_b32_e32 v43, 0
	v_xor_b32_e32 v35, v34, v35
	v_xor_b32_e32 v38, v36, v34
	v_lshl_add_u64 v[44:45], s[2:3], 0, v[42:43]
	v_lshlrev_b32_e32 v42, 8, v34
	v_lshl_or_b32 v48, v35, 3, v42
	v_lshl_or_b32 v49, v38, 3, v42
	s_waitcnt lgkmcnt(0)
	s_barrier
	ds_read2st64_b64 v[34:37], v48 offset1:8
	ds_read2st64_b64 v[38:41], v49 offset1:8
	v_lshl_add_u64 v[46:47], v[44:45], 0, v[42:43]
	s_movk_i32 s2, 0x2000
	s_cmp_lg_u32 s31, 64
	s_waitcnt lgkmcnt(1)
	v_mov_b32_e32 v42, v34
	v_mov_b32_e32 v43, v35
	s_waitcnt lgkmcnt(0)
	v_mov_b32_e32 v44, v38
	v_mov_b32_e32 v45, v39
	global_store_dwordx4 v[46:47], v[42:45], off
	v_mov_b32_e32 v38, v36
	v_mov_b32_e32 v39, v37
	ds_read2st64_b64 v[34:37], v48 offset0:16 offset1:24
	ds_read2st64_b64 v[42:45], v49 offset0:16 offset1:24
	v_add_co_u32_e32 v48, vcc, s2, v46
	s_cselect_b64 s[14:15], -1, 0
	s_nop 0
	v_addc_co_u32_e32 v49, vcc, 0, v47, vcc
	global_store_dwordx4 v[48:49], v[38:41], off offset:-4096
	v_lshl_or_b32 v62, v1, 3, v90
	s_mov_b32 s4, 0
	s_waitcnt lgkmcnt(1)
	v_mov_b32_e32 v38, v34
	v_add_co_u32_e32 v34, vcc, 0x3000, v46
	v_mov_b32_e32 v39, v35
	s_nop 0
	v_addc_co_u32_e32 v35, vcc, 0, v47, vcc
	s_waitcnt lgkmcnt(0)
	v_mov_b32_e32 v40, v42
	v_mov_b32_e32 v41, v43
	;; [unrolled: 1-line block ×4, first 2 shown]
	v_or_b32_e32 v52, 32, v62
	v_and_b32_e32 v50, 56, v89
	s_and_b64 vcc, exec, s[14:15]
	global_store_dwordx4 v[48:49], v[38:41], off
	global_store_dwordx4 v[34:35], v[42:45], off
	s_cbranch_vccz .LBB241_29
; %bb.24:
	s_mov_b32 s6, s4
	s_mov_b32 s7, s4
	;; [unrolled: 1-line block ×3, first 2 shown]
	v_mov_b64_e32 v[40:41], s[6:7]
	v_mov_b64_e32 v[38:39], s[4:5]
	;; [unrolled: 1-line block ×3, first 2 shown]
	v_cmp_gt_i32_e32 vcc, s31, v62
	v_mov_b64_e32 v[36:37], v[40:41]
	s_and_saveexec_b64 s[2:3], vcc
	s_cbranch_execz .LBB241_26
; %bb.25:
	v_lshlrev_b32_e32 v34, 8, v62
	v_mov_b32_e32 v35, 0
	v_lshl_add_u64 v[36:37], s[0:1], 0, v[34:35]
	v_lshlrev_b32_e32 v34, 1, v50
	v_lshl_add_u64 v[42:43], v[36:37], 0, v[34:35]
	global_load_dwordx4 v[38:41], v[42:43], off
	global_load_dwordx4 v[34:37], v[42:43], off offset:128
.LBB241_26:
	s_or_b64 exec, exec, s[2:3]
	s_mov_b32 s6, s4
	s_mov_b32 s7, s4
	;; [unrolled: 1-line block ×3, first 2 shown]
	v_mov_b64_e32 v[48:49], s[6:7]
	v_mov_b64_e32 v[46:47], s[4:5]
	;; [unrolled: 1-line block ×3, first 2 shown]
	v_cmp_gt_i32_e32 vcc, s31, v52
	v_lshlrev_b32_e32 v53, 7, v52
	v_mov_b64_e32 v[44:45], v[48:49]
	s_and_saveexec_b64 s[2:3], vcc
	s_cbranch_execz .LBB241_28
; %bb.27:
	v_lshlrev_b32_e32 v42, 1, v53
	v_mov_b32_e32 v43, 0
	v_lshl_add_u64 v[44:45], s[0:1], 0, v[42:43]
	v_lshlrev_b32_e32 v42, 1, v50
	v_lshl_add_u64 v[58:59], v[44:45], 0, v[42:43]
	global_load_dwordx4 v[46:49], v[58:59], off
	global_load_dwordx4 v[42:45], v[58:59], off offset:128
.LBB241_28:
	s_or_b64 exec, exec, s[2:3]
	v_lshrrev_b32_e32 v57, 3, v50
	v_lshlrev_b32_e32 v58, 3, v62
	v_or_b32_e32 v57, v58, v57
	v_lshlrev_b32_e32 v57, 4, v57
	v_and_b32_e32 v58, 0x78, v58
	v_xor_b32_e32 v57, v57, v58
	s_branch .LBB241_31
.LBB241_29:
                                        ; implicit-def: $vgpr57
                                        ; implicit-def: $vgpr53
                                        ; implicit-def: $vgpr38_vgpr39_vgpr40_vgpr41
                                        ; implicit-def: $vgpr34_vgpr35_vgpr36_vgpr37
                                        ; implicit-def: $vgpr46_vgpr47_vgpr48_vgpr49
                                        ; implicit-def: $vgpr42_vgpr43_vgpr44_vgpr45
	s_cbranch_execz .LBB241_31
; %bb.30:
	s_waitcnt vmcnt(0)
	v_lshlrev_b32_e32 v34, 1, v50
	v_lshl_or_b32 v53, v62, 8, v34
	s_and_b32 s1, s1, 0xffff
	s_mov_b32 s3, 0x20000
	s_movk_i32 s2, 0x4000
	v_lshl_or_b32 v57, v52, 8, v34
	s_movk_i32 s4, 0x80
	buffer_load_dwordx4 v[38:41], v53, s[0:3], 0 offen
	buffer_load_dwordx4 v[34:37], v53, s[0:3], s4 offen
	;; [unrolled: 1-line block ×4, first 2 shown]
	v_lshrrev_b32_e32 v53, 3, v50
	v_lshlrev_b32_e32 v57, 3, v62
	v_or_b32_e32 v53, v57, v53
	v_lshlrev_b32_e32 v53, 4, v53
	v_and_b32_e32 v57, 0x78, v57
	v_xor_b32_e32 v57, v53, v57
	v_lshlrev_b32_e32 v53, 7, v52
.LBB241_31:
	s_movk_i32 s0, 0x1000
	v_and_or_b32 v52, v53, s0, v57
	s_waitcnt vmcnt(1)
	ds_write_b64 v57, v[38:39] offset:49152
	v_xor_b32_e32 v38, 8, v57
	ds_write_b64 v38, v[40:41] offset:49152
	s_waitcnt vmcnt(0)
	ds_write_b64 v57, v[34:35] offset:57344
	ds_write_b64 v38, v[36:37] offset:57344
	;; [unrolled: 1-line block ×3, first 2 shown]
	v_xor_b32_e32 v34, 8, v52
	ds_write_b64 v34, v[48:49] offset:49152
	ds_write_b64 v52, v[42:43] offset:57344
	;; [unrolled: 1-line block ×3, first 2 shown]
	v_or_b32_e32 v34, v86, v88
	v_lshlrev_b32_e32 v34, 3, v34
	v_lshrrev_b32_e32 v35, 5, v67
	s_movk_i32 s0, 0xf8
	v_and_or_b32 v35, v34, s0, v35
	v_lshlrev_b32_e32 v39, 4, v35
	v_lshlrev_b32_e32 v57, 11, v1
	v_and_b32_e32 v40, 0x78, v34
	v_or_b32_e32 v42, 32, v39
	v_and_b32_e32 v38, 0x1000, v57
	v_lshrrev_b32_e32 v35, 1, v67
	v_xor_b32_e32 v42, v42, v40
	v_xor_b32_e32 v34, v39, v40
	v_and_b32_e32 v41, 8, v35
	v_or_b32_e32 v42, v42, v38
	v_or_b32_e32 v34, v34, v38
	v_xor_b32_e32 v64, v42, v41
	v_or_b32_e32 v42, 64, v39
	v_xor_b32_e32 v63, v34, v41
	v_xor_b32_e32 v42, v42, v40
	s_waitcnt lgkmcnt(0)
	s_barrier
	v_or_b32_e32 v45, v42, v38
	ds_read_b64 v[42:43], v63 offset:49152
	v_lshl_or_b32 v46, v87, 8, v56
	v_lshlrev_b32_e32 v58, 1, v46
	v_add_u32_e32 v44, 0x4000, v58
	ds_read2_b64 v[34:37], v44 offset1:16
	v_or_b32_e32 v39, 0x60, v39
	v_xor_b32_e32 v39, v39, v40
	v_or_b32_e32 v38, v39, v38
	v_xor_b32_e32 v65, v45, v41
	v_xor_b32_e32 v77, v38, v41
	ds_read_b64 v[52:53], v64 offset:49152
	ds_read_b64 v[78:79], v65 offset:49152
	;; [unrolled: 1-line block ×3, first 2 shown]
	s_waitcnt lgkmcnt(3)
	v_mfma_f32_16x16x16_bf16 a[0:3], v[42:43], v[34:35], 0
	ds_read2st64_b64 v[38:41], v58 offset0:36 offset1:40
	s_lshl_b64 s[0:1], s[28:29], 8
	s_add_u32 s4, s12, s0
	v_mfma_f32_16x16x16_bf16 a[4:7], v[42:43], v[36:37], 0
	ds_read2_b64 v[34:37], v44 offset0:32 offset1:48
	s_addc_u32 s5, s13, s1
	s_add_i32 s1, s47, s33
	s_waitcnt lgkmcnt(0)
	v_mfma_f32_16x16x16_bf16 a[8:11], v[42:43], v[34:35], 0
	v_or_b32_e32 v34, 64, v46
	v_lshlrev_b32_e32 v59, 1, v34
	s_add_i32 s0, s39, -1
	v_mfma_f32_16x16x16_bf16 a[12:15], v[42:43], v[36:37], 0
	ds_read2st64_b64 v[34:37], v59 offset0:36 offset1:40
	s_add_i32 s43, s1, s46
	s_add_i32 s1, s49, s48
	v_mfma_f32_16x16x16_bf16 a[0:3], v[52:53], v[38:39], a[0:3]
	v_or_b32_e32 v38, 0x80, v46
	v_lshlrev_b32_e32 v60, 1, v38
	ds_read2st64_b64 v[42:45], v60 offset0:36 offset1:40
	s_waitcnt lgkmcnt(1)
	v_mfma_f32_16x16x16_bf16 a[4:7], v[52:53], v[34:35], a[4:7]
	v_or_b32_e32 v34, 0xc0, v46
	v_lshlrev_b32_e32 v61, 1, v34
	ds_read2st64_b64 v[46:49], v61 offset0:36 offset1:40
	s_add_i32 s41, s1, s50
	s_ashr_i32 s1, s0, 31
	s_mul_i32 s2, s0, s37
	s_mul_hi_u32 s3, s0, s36
	s_add_i32 s2, s3, s2
	s_mul_i32 s1, s1, s36
	s_waitcnt lgkmcnt(1)
	v_mfma_f32_16x16x16_bf16 a[8:11], v[52:53], v[42:43], a[8:11]
	s_add_i32 s1, s2, s1
	s_lshl_b64 s[2:3], s[42:43], 2
	s_add_u32 s6, s18, s2
	s_waitcnt lgkmcnt(0)
	v_mfma_f32_16x16x16_bf16 a[12:15], v[52:53], v[46:47], a[12:15]
	s_addc_u32 s7, s19, s3
	s_lshl_b64 s[2:3], s[40:41], 2
	s_mul_i32 s0, s0, s36
	v_mfma_f32_16x16x16_bf16 a[0:3], v[78:79], v[40:41], a[0:3]
	ds_read_b64 v[34:35], v58 offset:22528
	s_add_u32 s12, s6, s2
	s_addc_u32 s13, s7, s3
	v_mfma_f32_16x16x16_bf16 a[4:7], v[78:79], v[36:37], a[4:7]
	ds_read_b64 v[36:37], v59 offset:22528
	ds_read_b64 v[38:39], v60 offset:22528
	;; [unrolled: 1-line block ×3, first 2 shown]
	s_lshl_b64 s[0:1], s[0:1], 2
	s_add_u32 s0, s12, s0
	v_mfma_f32_16x16x16_bf16 a[8:11], v[78:79], v[44:45], a[8:11]
	s_addc_u32 s1, s13, s1
	s_load_dword s18, s[0:1], 0x0
	s_and_b64 vcc, exec, s[26:27]
	v_mfma_f32_16x16x16_bf16 a[12:15], v[78:79], v[48:49], a[12:15]
	s_waitcnt lgkmcnt(0)
	v_mfma_f32_16x16x16_bf16 a[0:3], v[80:81], v[34:35], a[0:3]
	v_mfma_f32_16x16x16_bf16 a[4:7], v[80:81], v[36:37], a[4:7]
	;; [unrolled: 1-line block ×4, first 2 shown]
	s_cbranch_vccz .LBB241_42
; %bb.32:
	v_lshlrev_b32_e32 v52, 1, v62
	s_and_b64 vcc, exec, s[14:15]
	s_cbranch_vccz .LBB241_43
; %bb.33:
	v_cmp_gt_i32_e32 vcc, s31, v52
	v_mov_b32_e32 v38, 0
	v_mov_b32_e32 v34, 0
	;; [unrolled: 1-line block ×5, first 2 shown]
	s_and_saveexec_b64 s[0:1], vcc
	s_cbranch_execz .LBB241_35
; %bb.34:
	v_mad_i64_i32 v[34:35], s[2:3], s23, v52, 0
	v_lshl_add_u64 v[34:35], v[34:35], 1, s[4:5]
	v_lshlrev_b32_e32 v36, 1, v50
	v_mov_b32_e32 v37, 0
	v_lshl_add_u64 v[34:35], v[34:35], 0, v[36:37]
	global_load_dwordx4 v[34:37], v[34:35], off
.LBB241_35:
	s_or_b64 exec, exec, s[0:1]
	v_or_b32_e32 v53, 1, v52
	v_cmp_gt_i32_e64 s[0:1], s31, v53
	v_mov_b32_e32 v39, 0
	v_mov_b32_e32 v40, 0
	;; [unrolled: 1-line block ×3, first 2 shown]
	s_and_saveexec_b64 s[2:3], s[0:1]
	s_cbranch_execz .LBB241_37
; %bb.36:
	v_mad_i64_i32 v[38:39], s[6:7], s23, v53, 0
	v_lshl_add_u64 v[38:39], v[38:39], 1, s[4:5]
	v_lshlrev_b32_e32 v40, 1, v50
	v_mov_b32_e32 v41, 0
	v_lshl_add_u64 v[38:39], v[38:39], 0, v[40:41]
	global_load_dwordx4 v[38:41], v[38:39], off
.LBB241_37:
	s_or_b64 exec, exec, s[2:3]
	v_mov_b32_e32 v49, 0
	v_mov_b32_e32 v42, 0
	;; [unrolled: 1-line block ×5, first 2 shown]
	s_and_saveexec_b64 s[2:3], vcc
	s_cbranch_execz .LBB241_39
; %bb.38:
	v_mad_i64_i32 v[42:43], s[6:7], s23, v52, 0
	v_lshl_add_u64 v[42:43], v[42:43], 1, s[4:5]
	v_lshlrev_b32_e32 v44, 1, v50
	v_mov_b32_e32 v45, 0
	v_lshl_add_u64 v[42:43], v[42:43], 0, v[44:45]
	global_load_dwordx4 v[42:45], v[42:43], off offset:128
.LBB241_39:
	s_or_b64 exec, exec, s[2:3]
	v_mov_b32_e32 v48, 0
	v_mov_b32_e32 v47, 0
	;; [unrolled: 1-line block ×3, first 2 shown]
	s_and_saveexec_b64 s[2:3], s[0:1]
	s_cbranch_execz .LBB241_41
; %bb.40:
	v_mad_i64_i32 v[46:47], s[0:1], s23, v53, 0
	v_lshl_add_u64 v[46:47], v[46:47], 1, s[4:5]
	v_lshlrev_b32_e32 v48, 1, v50
	v_mov_b32_e32 v49, 0
	v_lshl_add_u64 v[46:47], v[46:47], 0, v[48:49]
	global_load_dwordx4 v[46:49], v[46:47], off offset:128
.LBB241_41:
	s_or_b64 exec, exec, s[2:3]
	s_branch .LBB241_45
.LBB241_42:
                                        ; implicit-def: $vgpr37
                                        ; implicit-def: $vgpr41
                                        ; implicit-def: $vgpr45
                                        ; implicit-def: $vgpr49
	v_lshrrev_b32_e32 v67, 2, v67
	s_branch .LBB241_46
.LBB241_43:
                                        ; implicit-def: $vgpr37
                                        ; implicit-def: $vgpr41
                                        ; implicit-def: $vgpr45
                                        ; implicit-def: $vgpr49
	s_cbranch_execz .LBB241_45
; %bb.44:
	s_waitcnt vmcnt(0)
	v_mad_u64_u32 v[34:35], s[0:1], v52, s23, v[50:51]
	v_lshlrev_b32_e32 v52, 1, v34
	s_lshl_b32 s2, s23, 7
	s_and_b32 s1, s5, 0xffff
	s_mov_b32 s3, 0x20000
	s_mov_b32 s0, s4
	v_add_lshl_u32 v53, v34, s23, 1
	s_movk_i32 s6, 0x80
	buffer_load_dwordx4 v[34:37], v52, s[0:3], 0 offen
	buffer_load_dwordx4 v[42:45], v52, s[0:3], s6 offen
	;; [unrolled: 1-line block ×4, first 2 shown]
.LBB241_45:
	v_lshrrev_b32_e32 v67, 2, v67
	s_cbranch_execnz .LBB241_58
.LBB241_46:
	s_and_b64 vcc, exec, s[14:15]
	s_cbranch_vccz .LBB241_56
; %bb.47:
	s_waitcnt vmcnt(0)
	v_lshlrev_b32_e32 v39, 1, v62
	v_cmp_gt_i32_e32 vcc, s31, v39
	v_mov_b32_e32 v38, 0
	v_lshlrev_b32_e32 v46, 9, v62
	v_mov_b32_e32 v34, 0
	v_mov_b32_e32 v35, 0
	v_mov_b32_e32 v36, 0
	v_mov_b32_e32 v37, 0
	s_and_saveexec_b64 s[0:1], vcc
	s_cbranch_execz .LBB241_49
; %bb.48:
	v_mov_b32_e32 v47, 0
	v_lshl_add_u64 v[34:35], s[4:5], 0, v[46:47]
	v_lshlrev_b32_e32 v36, 1, v50
	v_mov_b32_e32 v37, v47
	v_lshl_add_u64 v[34:35], v[34:35], 0, v[36:37]
	global_load_dwordx4 v[34:37], v[34:35], off
.LBB241_49:
	s_or_b64 exec, exec, s[0:1]
	v_or_b32_e32 v39, 1, v39
	v_cmp_gt_i32_e64 s[0:1], s31, v39
	v_lshlrev_b32_e32 v52, 8, v39
	v_mov_b32_e32 v39, 0
	v_mov_b32_e32 v40, 0
	v_mov_b32_e32 v41, 0
	s_and_saveexec_b64 s[2:3], s[0:1]
	s_cbranch_execz .LBB241_51
; %bb.50:
	v_mov_b32_e32 v53, 0
	v_lshl_add_u64 v[38:39], s[4:5], 0, v[52:53]
	v_lshlrev_b32_e32 v40, 1, v50
	v_mov_b32_e32 v41, v53
	v_lshl_add_u64 v[38:39], v[38:39], 0, v[40:41]
	global_load_dwordx4 v[38:41], v[38:39], off
.LBB241_51:
	s_or_b64 exec, exec, s[2:3]
	v_mov_b32_e32 v49, 0
	v_mov_b32_e32 v42, 0
	;; [unrolled: 1-line block ×5, first 2 shown]
	s_and_saveexec_b64 s[2:3], vcc
	s_cbranch_execz .LBB241_53
; %bb.52:
	v_mov_b32_e32 v47, 0
	v_lshl_add_u64 v[42:43], s[4:5], 0, v[46:47]
	v_lshlrev_b32_e32 v46, 1, v50
	v_lshl_add_u64 v[42:43], v[42:43], 0, v[46:47]
	global_load_dwordx4 v[42:45], v[42:43], off offset:128
.LBB241_53:
	s_or_b64 exec, exec, s[2:3]
	v_mov_b32_e32 v48, 0
	v_mov_b32_e32 v47, 0
	;; [unrolled: 1-line block ×3, first 2 shown]
	s_and_saveexec_b64 s[2:3], s[0:1]
	s_cbranch_execz .LBB241_55
; %bb.54:
	v_mov_b32_e32 v53, 0
	v_lshl_add_u64 v[46:47], s[4:5], 0, v[52:53]
	v_lshlrev_b32_e32 v52, 1, v50
	v_lshl_add_u64 v[46:47], v[46:47], 0, v[52:53]
	global_load_dwordx4 v[46:49], v[46:47], off offset:128
.LBB241_55:
	s_or_b64 exec, exec, s[2:3]
	s_branch .LBB241_58
.LBB241_56:
                                        ; implicit-def: $vgpr37
                                        ; implicit-def: $vgpr41
                                        ; implicit-def: $vgpr45
                                        ; implicit-def: $vgpr49
	s_cbranch_execz .LBB241_58
; %bb.57:
	s_waitcnt vmcnt(0)
	v_lshlrev_b32_e32 v34, 1, v50
	v_lshl_or_b32 v50, v62, 9, v34
	s_and_b32 s5, s5, 0xffff
	s_mov_b32 s7, 0x20000
	s_movk_i32 s6, 0x4000
	s_movk_i32 s0, 0x80
	buffer_load_dwordx4 v[34:37], v50, s[4:7], 0 offen
	buffer_load_dwordx4 v[38:41], v50, s[4:7], 0 offen offset:256
	buffer_load_dwordx4 v[42:45], v50, s[4:7], s0 offen
	buffer_load_dwordx4 v[46:49], v50, s[4:7], s0 offen offset:256
.LBB241_58:
	ds_read_b64 v[52:53], v63 offset:57344
	v_add_u32_e32 v50, 0x6000, v58
	ds_read2_b64 v[78:81], v50 offset1:16
	ds_read_b64 v[96:97], v64 offset:57344
	ds_read_b64 v[64:65], v65 offset:57344
	;; [unrolled: 1-line block ×3, first 2 shown]
	ds_read2st64_b64 v[82:85], v58 offset0:52 offset1:56
	v_and_b32_e32 v63, 1, v0
	v_cmp_eq_u32_e32 vcc, 0, v63
	s_mov_b32 s0, 0x1000504
	s_waitcnt vmcnt(0)
	v_perm_b32 v63, v42, v46, s0
	s_mov_b32 s1, 0x3020706
	s_waitcnt lgkmcnt(4)
	v_mfma_f32_16x16x16_bf16 a[0:3], v[52:53], v[78:79], a[0:3]
	v_mfma_f32_16x16x16_bf16 a[4:7], v[52:53], v[80:81], a[4:7]
	ds_read2_b64 v[78:81], v50 offset0:32 offset1:48
	v_and_b32_e32 v50, 6, v0
	v_xor_b32_e32 v62, v62, v50
	s_waitcnt lgkmcnt(0)
	v_mfma_f32_16x16x16_bf16 a[8:11], v[52:53], v[78:79], a[8:11]
	v_lshlrev_b32_e32 v62, 2, v62
	v_xor_b32_e32 v77, 0x440, v62
	v_cndmask_b32_e32 v62, v77, v62, vcc
	v_mfma_f32_16x16x16_bf16 a[12:15], v[52:53], v[80:81], a[12:15]
	ds_read2st64_b64 v[78:81], v59 offset0:52 offset1:56
	ds_read2st64_b64 v[88:91], v60 offset0:52 offset1:56
	ds_read2st64_b64 v[92:95], v61 offset0:52 offset1:56
	v_lshl_or_b32 v50, v50, 10, v62
	v_perm_b32 v62, v34, v38, s0
	v_mfma_f32_16x16x16_bf16 a[0:3], v[96:97], v[82:83], a[0:3]
	ds_read_b64 v[52:53], v58 offset:30720
	ds_read_b64 v[82:83], v59 offset:30720
	;; [unrolled: 1-line block ×4, first 2 shown]
	ds_write2st64_b32 v50, v62, v63 offset0:128 offset1:160
	v_xor_b32_e32 v62, 8, v50
	s_waitcnt lgkmcnt(7)
	v_mfma_f32_16x16x16_bf16 a[4:7], v[96:97], v[78:79], a[4:7]
	v_perm_b32 v34, v34, v38, s1
	v_perm_b32 v38, v42, v46, s1
	v_add_u32_e32 v42, 0x80, v62
	s_waitcnt lgkmcnt(6)
	v_mfma_f32_16x16x16_bf16 a[8:11], v[96:97], v[88:89], a[8:11]
	ds_write2st64_b32 v42, v34, v38 offset0:128 offset1:160
	v_xor_b32_e32 v34, 16, v50
	v_perm_b32 v38, v35, v39, s0
	s_waitcnt lgkmcnt(6)
	v_mfma_f32_16x16x16_bf16 a[12:15], v[96:97], v[92:93], a[12:15]
	v_perm_b32 v42, v43, v47, s0
	ds_write2st64_b32 v34, v38, v42 offset0:129 offset1:161
	v_xor_b32_e32 v34, 24, v50
	v_mfma_f32_16x16x16_bf16 a[0:3], v[64:65], v[84:85], a[0:3]
	v_perm_b32 v35, v35, v39, s1
	v_perm_b32 v38, v43, v47, s1
	v_add_u32_e32 v34, 0x80, v34
	v_mfma_f32_16x16x16_bf16 a[4:7], v[64:65], v[80:81], a[4:7]
	ds_write2st64_b32 v34, v35, v38 offset0:129 offset1:161
	v_xor_b32_e32 v34, 32, v50
	v_perm_b32 v35, v36, v40, s0
	v_mfma_f32_16x16x16_bf16 a[16:19], v[64:65], v[90:91], a[8:11]
	v_perm_b32 v38, v44, v48, s0
	ds_write2st64_b32 v34, v35, v38 offset0:130 offset1:162
	v_xor_b32_e32 v34, 40, v50
	v_mfma_f32_16x16x16_bf16 a[20:23], v[64:65], v[94:95], a[12:15]
	v_perm_b32 v35, v36, v40, s1
	v_perm_b32 v36, v44, v48, s1
	v_add_u32_e32 v34, 0x80, v34
	s_waitcnt lgkmcnt(8)
	v_mfma_f32_16x16x16_bf16 a[12:15], v[98:99], v[52:53], a[0:3]
	ds_write2st64_b32 v34, v35, v36 offset0:130 offset1:162
	v_xor_b32_e32 v34, 48, v50
	v_perm_b32 v35, v37, v41, s0
	s_waitcnt lgkmcnt(8)
	v_mfma_f32_16x16x16_bf16 a[8:11], v[98:99], v[82:83], a[4:7]
	v_perm_b32 v36, v45, v49, s0
	ds_write2st64_b32 v34, v35, v36 offset0:131 offset1:163
	v_xor_b32_e32 v34, 56, v50
	s_waitcnt lgkmcnt(8)
	v_mfma_f32_16x16x16_bf16 a[4:7], v[98:99], v[100:101], a[16:19]
	v_and_or_b32 v63, v67, 12, v86
	v_perm_b32 v35, v37, v41, s1
	v_perm_b32 v36, v45, v49, s1
	s_waitcnt lgkmcnt(7)
	v_mfma_f32_16x16x16_bf16 a[0:3], v[98:99], v[102:103], a[20:23]
	v_add_u32_e32 v34, 0x80, v34
	v_cmp_gt_i32_e32 vcc, s31, v63
	v_mov_b32_e32 v52, 0
	v_mov_b32_e32 v53, 0
	ds_write2st64_b32 v34, v35, v36 offset0:131 offset1:163
	s_and_saveexec_b64 s[0:1], vcc
	s_cbranch_execz .LBB241_60
; %bb.59:
	v_add_u32_e32 v34, s30, v63
	v_ashrrev_i32_e32 v35, 31, v34
	v_mul_lo_u32 v36, v35, s36
	v_mul_lo_u32 v37, v34, s37
	v_mad_u64_u32 v[34:35], s[2:3], v34, s36, 0
	v_add3_u32 v35, v35, v37, v36
	v_lshl_add_u64 v[34:35], v[34:35], 2, s[12:13]
	global_load_dword v34, v[34:35], off
	s_waitcnt vmcnt(0)
	v_sub_f32_e32 v34, s18, v34
	v_mul_f32_e32 v34, 0x3fb8aa3b, v34
	v_exp_f32_e32 v53, v34
.LBB241_60:
	s_or_b64 exec, exec, s[0:1]
	v_or_b32_e32 v43, 1, v63
	v_cmp_gt_i32_e64 s[2:3], s31, v43
	s_and_saveexec_b64 s[0:1], s[2:3]
	s_cbranch_execz .LBB241_62
; %bb.61:
	v_add_u32_e32 v34, s30, v43
	v_ashrrev_i32_e32 v35, 31, v34
	v_mul_lo_u32 v36, v35, s36
	v_mul_lo_u32 v37, v34, s37
	v_mad_u64_u32 v[34:35], s[4:5], v34, s36, 0
	v_add3_u32 v35, v35, v37, v36
	v_lshl_add_u64 v[34:35], v[34:35], 2, s[12:13]
	global_load_dword v34, v[34:35], off
	s_waitcnt vmcnt(0)
	v_sub_f32_e32 v34, s18, v34
	v_mul_f32_e32 v34, 0x3fb8aa3b, v34
	v_exp_f32_e32 v52, v34
.LBB241_62:
	s_or_b64 exec, exec, s[0:1]
	v_or_b32_e32 v42, 2, v63
	v_cmp_gt_i32_e64 s[4:5], s31, v42
	v_mov_b32_e32 v50, 0
	v_mov_b32_e32 v62, 0
	s_and_saveexec_b64 s[0:1], s[4:5]
	s_cbranch_execz .LBB241_64
; %bb.63:
	v_add_u32_e32 v34, s30, v42
	v_ashrrev_i32_e32 v35, 31, v34
	v_mul_lo_u32 v36, v35, s36
	v_mul_lo_u32 v37, v34, s37
	v_mad_u64_u32 v[34:35], s[6:7], v34, s36, 0
	v_add3_u32 v35, v35, v37, v36
	v_lshl_add_u64 v[34:35], v[34:35], 2, s[12:13]
	global_load_dword v34, v[34:35], off
	s_waitcnt vmcnt(0)
	v_sub_f32_e32 v34, s18, v34
	v_mul_f32_e32 v34, 0x3fb8aa3b, v34
	v_exp_f32_e32 v62, v34
.LBB241_64:
	s_or_b64 exec, exec, s[0:1]
	v_or_b32_e32 v64, 3, v63
	v_cmp_gt_i32_e64 s[0:1], s31, v64
	s_and_saveexec_b64 s[6:7], s[0:1]
	s_cbranch_execz .LBB241_66
; %bb.65:
	v_add_u32_e32 v34, s30, v64
	v_ashrrev_i32_e32 v35, 31, v34
	v_mul_lo_u32 v36, v35, s36
	v_mul_lo_u32 v37, v34, s37
	v_mad_u64_u32 v[34:35], s[14:15], v34, s36, 0
	v_add3_u32 v35, v35, v37, v36
	v_lshl_add_u64 v[34:35], v[34:35], 2, s[12:13]
	global_load_dword v34, v[34:35], off
	s_waitcnt vmcnt(0)
	v_sub_f32_e32 v34, s18, v34
	v_mul_f32_e32 v34, 0x3fb8aa3b, v34
	v_exp_f32_e32 v50, v34
.LBB241_66:
	s_or_b64 exec, exec, s[6:7]
	s_add_u32 s6, s16, s24
	s_addc_u32 s7, s17, s25
	s_add_u32 s8, s8, s24
	v_ashrrev_i32_e32 v77, 31, v76
	v_accvgpr_read_b32 v37, a15
	s_addc_u32 s9, s9, s25
	v_lshlrev_b64 v[38:39], 1, v[76:77]
	v_accvgpr_read_b32 v36, a14
	v_accvgpr_read_b32 v35, a13
	;; [unrolled: 1-line block ×3, first 2 shown]
	v_lshl_add_u64 v[40:41], s[6:7], 0, v[38:39]
	v_lshl_add_u64 v[38:39], s[8:9], 0, v[38:39]
	v_mov_b32_e32 v47, 0
	v_lshlrev_b32_e32 v44, 8, v63
	v_mov_b32_e32 v45, 0
	s_and_saveexec_b64 s[6:7], vcc
	s_cbranch_execz .LBB241_68
; %bb.67:
	v_mov_b32_e32 v45, 0
	v_lshl_add_u64 v[48:49], v[40:41], 0, v[44:45]
	global_load_ushort v46, v[48:49], off
	v_lshl_add_u64 v[48:49], v[38:39], 0, v[44:45]
	s_waitcnt vmcnt(0)
	v_lshlrev_b32_e32 v45, 16, v46
	v_sub_f32_e32 v34, v45, v34
	global_store_short_d16_hi v[48:49], v34, off
	v_mul_f32_e32 v34, v53, v34
	v_lshrrev_b32_e32 v45, 16, v34
.LBB241_68:
	s_or_b64 exec, exec, s[6:7]
	v_lshlrev_b32_e32 v46, 8, v43
	s_and_saveexec_b64 s[6:7], s[2:3]
	s_cbranch_execz .LBB241_70
; %bb.69:
	v_mov_b32_e32 v47, 0
	v_lshl_add_u64 v[48:49], v[40:41], 0, v[46:47]
	global_load_ushort v34, v[48:49], off
	v_lshl_add_u64 v[48:49], v[38:39], 0, v[46:47]
	s_waitcnt vmcnt(0)
	v_lshlrev_b32_e32 v34, 16, v34
	v_sub_f32_e32 v34, v34, v35
	global_store_short_d16_hi v[48:49], v34, off
	v_mul_f32_e32 v34, v52, v34
	v_lshrrev_b32_e32 v47, 16, v34
.LBB241_70:
	s_or_b64 exec, exec, s[6:7]
	v_mov_b32_e32 v43, 0
	v_lshlrev_b32_e32 v48, 8, v42
	v_mov_b32_e32 v49, 0
	s_and_saveexec_b64 s[6:7], s[4:5]
	s_cbranch_execz .LBB241_72
; %bb.71:
	v_mov_b32_e32 v49, 0
	v_lshl_add_u64 v[34:35], v[40:41], 0, v[48:49]
	global_load_ushort v42, v[34:35], off
	v_lshl_add_u64 v[34:35], v[38:39], 0, v[48:49]
	s_waitcnt vmcnt(0)
	v_lshlrev_b32_e32 v42, 16, v42
	v_sub_f32_e32 v36, v42, v36
	global_store_short_d16_hi v[34:35], v36, off
	v_mul_f32_e32 v34, v62, v36
	v_lshrrev_b32_e32 v49, 16, v34
.LBB241_72:
	s_or_b64 exec, exec, s[6:7]
	v_lshlrev_b32_e32 v42, 8, v64
	s_and_saveexec_b64 s[6:7], s[0:1]
	s_cbranch_execz .LBB241_74
; %bb.73:
	v_mov_b32_e32 v43, 0
	v_lshl_add_u64 v[34:35], v[40:41], 0, v[42:43]
	global_load_ushort v36, v[34:35], off
	v_lshl_add_u64 v[34:35], v[38:39], 0, v[42:43]
	s_waitcnt vmcnt(0)
	v_lshlrev_b32_e32 v36, 16, v36
	v_sub_f32_e32 v36, v36, v37
	global_store_short_d16_hi v[34:35], v36, off
	v_mul_f32_e32 v34, v50, v36
	v_lshrrev_b32_e32 v43, 16, v34
.LBB241_74:
	s_or_b64 exec, exec, s[6:7]
	v_lshlrev_b32_e32 v63, 6, v63
	s_mov_b32 s6, 0x5040100
	v_accvgpr_read_b32 v37, a11
	v_perm_b32 v65, v43, v49, s6
	v_or_b32_e32 v43, v63, v56
	v_accvgpr_read_b32 v36, a10
	v_accvgpr_read_b32 v35, a9
	;; [unrolled: 1-line block ×3, first 2 shown]
	v_perm_b32 v64, v47, v45, s6
	v_lshlrev_b32_e32 v43, 1, v43
	v_mov_b32_e32 v47, 0
	v_mov_b32_e32 v45, 0
	ds_write_b64 v43, v[64:65] offset:24576
	s_and_saveexec_b64 s[6:7], vcc
	s_cbranch_execz .LBB241_76
; %bb.75:
	v_mov_b32_e32 v45, 0
	v_lshl_add_u64 v[64:65], v[40:41], 0, v[44:45]
	global_load_ushort v43, v[64:65], off offset:32
	v_lshl_add_u64 v[64:65], v[38:39], 0, v[44:45]
	s_waitcnt vmcnt(0)
	v_lshlrev_b32_e32 v43, 16, v43
	v_sub_f32_e32 v34, v43, v34
	global_store_short_d16_hi v[64:65], v34, off offset:32
	v_mul_f32_e32 v34, v53, v34
	v_lshrrev_b32_e32 v45, 16, v34
.LBB241_76:
	s_or_b64 exec, exec, s[6:7]
	s_and_saveexec_b64 s[6:7], s[2:3]
	s_cbranch_execz .LBB241_78
; %bb.77:
	v_mov_b32_e32 v47, 0
	v_lshl_add_u64 v[64:65], v[40:41], 0, v[46:47]
	global_load_ushort v34, v[64:65], off offset:32
	v_lshl_add_u64 v[64:65], v[38:39], 0, v[46:47]
	s_waitcnt vmcnt(0)
	v_lshlrev_b32_e32 v34, 16, v34
	v_sub_f32_e32 v34, v34, v35
	global_store_short_d16_hi v[64:65], v34, off offset:32
	v_mul_f32_e32 v34, v52, v34
	v_lshrrev_b32_e32 v47, 16, v34
.LBB241_78:
	s_or_b64 exec, exec, s[6:7]
	v_mov_b32_e32 v43, 0
	v_mov_b32_e32 v49, 0
	s_and_saveexec_b64 s[6:7], s[4:5]
	s_cbranch_execz .LBB241_80
; %bb.79:
	v_mov_b32_e32 v49, 0
	v_lshl_add_u64 v[34:35], v[40:41], 0, v[48:49]
	global_load_ushort v56, v[34:35], off offset:32
	v_lshl_add_u64 v[34:35], v[38:39], 0, v[48:49]
	s_waitcnt vmcnt(0)
	v_lshlrev_b32_e32 v49, 16, v56
	v_sub_f32_e32 v36, v49, v36
	global_store_short_d16_hi v[34:35], v36, off offset:32
	v_mul_f32_e32 v34, v62, v36
	v_lshrrev_b32_e32 v49, 16, v34
.LBB241_80:
	s_or_b64 exec, exec, s[6:7]
	s_and_saveexec_b64 s[6:7], s[0:1]
	s_cbranch_execz .LBB241_82
; %bb.81:
	v_mov_b32_e32 v43, 0
	v_lshl_add_u64 v[34:35], v[40:41], 0, v[42:43]
	global_load_ushort v36, v[34:35], off offset:32
	v_lshl_add_u64 v[34:35], v[38:39], 0, v[42:43]
	s_waitcnt vmcnt(0)
	v_lshlrev_b32_e32 v36, 16, v36
	v_sub_f32_e32 v36, v36, v37
	global_store_short_d16_hi v[34:35], v36, off offset:32
	v_mul_f32_e32 v34, v50, v36
	v_lshrrev_b32_e32 v43, 16, v34
.LBB241_82:
	s_or_b64 exec, exec, s[6:7]
	s_mov_b32 s6, 0x5040100
	v_accvgpr_read_b32 v37, a7
	v_perm_b32 v65, v43, v49, s6
	v_or_b32_e32 v43, v63, v55
	v_accvgpr_read_b32 v36, a6
	v_accvgpr_read_b32 v35, a5
	;; [unrolled: 1-line block ×3, first 2 shown]
	v_perm_b32 v64, v47, v45, s6
	v_lshlrev_b32_e32 v43, 1, v43
	v_mov_b32_e32 v47, 0
	v_mov_b32_e32 v45, 0
	ds_write_b64 v43, v[64:65] offset:24576
	s_and_saveexec_b64 s[6:7], vcc
	s_cbranch_execz .LBB241_84
; %bb.83:
	v_mov_b32_e32 v45, 0
	v_lshl_add_u64 v[64:65], v[40:41], 0, v[44:45]
	global_load_ushort v43, v[64:65], off offset:64
	v_lshl_add_u64 v[64:65], v[38:39], 0, v[44:45]
	s_waitcnt vmcnt(0)
	v_lshlrev_b32_e32 v43, 16, v43
	v_sub_f32_e32 v34, v43, v34
	global_store_short_d16_hi v[64:65], v34, off offset:64
	v_mul_f32_e32 v34, v53, v34
	v_lshrrev_b32_e32 v45, 16, v34
.LBB241_84:
	s_or_b64 exec, exec, s[6:7]
	s_and_saveexec_b64 s[6:7], s[2:3]
	s_cbranch_execz .LBB241_86
; %bb.85:
	v_mov_b32_e32 v47, 0
	v_lshl_add_u64 v[64:65], v[40:41], 0, v[46:47]
	global_load_ushort v34, v[64:65], off offset:64
	v_lshl_add_u64 v[64:65], v[38:39], 0, v[46:47]
	s_waitcnt vmcnt(0)
	v_lshlrev_b32_e32 v34, 16, v34
	v_sub_f32_e32 v34, v34, v35
	global_store_short_d16_hi v[64:65], v34, off offset:64
	v_mul_f32_e32 v34, v52, v34
	v_lshrrev_b32_e32 v47, 16, v34
.LBB241_86:
	s_or_b64 exec, exec, s[6:7]
	v_mov_b32_e32 v43, 0
	v_mov_b32_e32 v49, 0
	s_and_saveexec_b64 s[6:7], s[4:5]
	s_cbranch_execz .LBB241_88
; %bb.87:
	v_mov_b32_e32 v49, 0
	v_lshl_add_u64 v[34:35], v[40:41], 0, v[48:49]
	global_load_ushort v55, v[34:35], off offset:64
	v_lshl_add_u64 v[34:35], v[38:39], 0, v[48:49]
	s_waitcnt vmcnt(0)
	v_lshlrev_b32_e32 v49, 16, v55
	v_sub_f32_e32 v36, v49, v36
	global_store_short_d16_hi v[34:35], v36, off offset:64
	v_mul_f32_e32 v34, v62, v36
	v_lshrrev_b32_e32 v49, 16, v34
.LBB241_88:
	s_or_b64 exec, exec, s[6:7]
	s_and_saveexec_b64 s[6:7], s[0:1]
	s_cbranch_execz .LBB241_90
; %bb.89:
	v_mov_b32_e32 v43, 0
	v_lshl_add_u64 v[34:35], v[40:41], 0, v[42:43]
	global_load_ushort v36, v[34:35], off offset:64
	v_lshl_add_u64 v[34:35], v[38:39], 0, v[42:43]
	s_waitcnt vmcnt(0)
	v_lshlrev_b32_e32 v36, 16, v36
	v_sub_f32_e32 v36, v36, v37
	global_store_short_d16_hi v[34:35], v36, off offset:64
	v_mul_f32_e32 v34, v50, v36
	v_lshrrev_b32_e32 v43, 16, v34
.LBB241_90:
	s_or_b64 exec, exec, s[6:7]
	s_mov_b32 s6, 0x5040100
	v_accvgpr_read_b32 v37, a3
	v_perm_b32 v65, v43, v49, s6
	v_or_b32_e32 v43, v63, v54
	v_accvgpr_read_b32 v36, a2
	v_accvgpr_read_b32 v35, a1
	;; [unrolled: 1-line block ×3, first 2 shown]
	v_perm_b32 v64, v47, v45, s6
	v_lshlrev_b32_e32 v43, 1, v43
	v_mov_b32_e32 v47, 0
	v_mov_b32_e32 v45, 0
	ds_write_b64 v43, v[64:65] offset:24576
	s_and_saveexec_b64 s[6:7], vcc
	s_cbranch_execz .LBB241_92
; %bb.91:
	v_mov_b32_e32 v45, 0
	v_lshl_add_u64 v[54:55], v[40:41], 0, v[44:45]
	global_load_ushort v43, v[54:55], off offset:96
	v_lshl_add_u64 v[44:45], v[38:39], 0, v[44:45]
	s_waitcnt vmcnt(0)
	v_lshlrev_b32_e32 v43, 16, v43
	v_sub_f32_e32 v34, v43, v34
	global_store_short_d16_hi v[44:45], v34, off offset:96
	v_mul_f32_e32 v34, v53, v34
	v_lshrrev_b32_e32 v45, 16, v34
.LBB241_92:
	s_or_b64 exec, exec, s[6:7]
	s_and_saveexec_b64 s[6:7], s[2:3]
	s_cbranch_execz .LBB241_94
; %bb.93:
	v_mov_b32_e32 v47, 0
	v_lshl_add_u64 v[54:55], v[40:41], 0, v[46:47]
	global_load_ushort v34, v[54:55], off offset:96
	v_lshl_add_u64 v[46:47], v[38:39], 0, v[46:47]
	s_waitcnt vmcnt(0)
	v_lshlrev_b32_e32 v34, 16, v34
	v_sub_f32_e32 v34, v34, v35
	global_store_short_d16_hi v[46:47], v34, off offset:96
	v_mul_f32_e32 v34, v52, v34
	v_lshrrev_b32_e32 v47, 16, v34
.LBB241_94:
	s_or_b64 exec, exec, s[6:7]
	v_mov_b32_e32 v43, 0
	v_mov_b32_e32 v46, 0
	s_and_saveexec_b64 s[2:3], s[4:5]
	s_cbranch_execz .LBB241_96
; %bb.95:
	v_mov_b32_e32 v49, 0
	v_lshl_add_u64 v[34:35], v[40:41], 0, v[48:49]
	global_load_ushort v44, v[34:35], off offset:96
	v_lshl_add_u64 v[34:35], v[38:39], 0, v[48:49]
	s_waitcnt vmcnt(0)
	v_lshlrev_b32_e32 v44, 16, v44
	v_sub_f32_e32 v36, v44, v36
	global_store_short_d16_hi v[34:35], v36, off offset:96
	v_mul_f32_e32 v34, v62, v36
	v_lshrrev_b32_e32 v46, 16, v34
.LBB241_96:
	s_or_b64 exec, exec, s[2:3]
	v_or_b32_e32 v44, 0x6000, v58
	v_or_b32_e32 v36, 0x6000, v59
	;; [unrolled: 1-line block ×4, first 2 shown]
	s_and_saveexec_b64 s[2:3], s[0:1]
	s_cbranch_execz .LBB241_98
; %bb.97:
	v_mov_b32_e32 v43, 0
	v_lshl_add_u64 v[40:41], v[40:41], 0, v[42:43]
	global_load_ushort v40, v[40:41], off offset:96
	v_lshl_add_u64 v[38:39], v[38:39], 0, v[42:43]
	s_waitcnt vmcnt(0)
	v_lshlrev_b32_e32 v40, 16, v40
	v_sub_f32_e32 v37, v40, v37
	global_store_short_d16_hi v[38:39], v37, off offset:96
	v_mul_f32_e32 v37, v50, v37
	v_lshrrev_b32_e32 v43, 16, v37
.LBB241_98:
	s_or_b64 exec, exec, s[2:3]
	s_mov_b32 s0, 0x5040100
	v_or_b32_e32 v37, v63, v51
	v_perm_b32 v39, v43, v46, s0
	v_perm_b32 v38, v47, v45, s0
	v_lshlrev_b32_e32 v37, 1, v37
	s_movk_i32 s0, 0x100
	ds_write_b64 v37, v[38:39] offset:24576
	v_and_b32_e32 v37, 7, v0
	v_and_b32_e32 v38, 8, v0
	v_cmp_gt_u32_e32 vcc, s0, v0
	v_lshrrev_b32_e32 v0, 1, v0
	v_lshlrev_b32_e32 v55, 3, v1
	v_and_b32_e32 v56, 24, v0
	v_mov_b32_e32 v39, 0xa000
	v_mov_b32_e32 v40, 0x8000
	v_xor_b32_e32 v0, v55, v56
	v_cndmask_b32_e32 v54, v39, v40, vcc
	v_or_b32_e32 v1, 0x440, v0
	v_cmp_eq_u32_e32 vcc, 0, v38
	v_lshlrev_b32_e32 v45, 3, v37
	v_lshlrev_b32_e32 v37, 7, v37
	v_cndmask_b32_e32 v0, v1, v0, vcc
	v_or_b32_e32 v0, v0, v57
	v_xad_u32 v67, v0, v45, v37
	v_or_b32_e32 v42, 32, v56
	v_add_u32_e32 v0, v54, v67
	v_xor_b32_e32 v42, v55, v42
	s_waitcnt lgkmcnt(0)
	s_barrier
	ds_read_b64 v[0:1], v0
	ds_read2_b64 v[38:41], v44 offset1:16
	ds_read2_b64 v[46:49], v44 offset0:32 offset1:48
	v_or_b32_e32 v43, 0x440, v42
	v_cndmask_b32_e32 v42, v43, v42, vcc
	v_or_b32_e32 v42, v42, v57
	v_xad_u32 v80, v42, v45, v37
	v_add_u32_e32 v42, v54, v80
	s_waitcnt lgkmcnt(1)
	v_mfma_f32_16x16x16_bf16 a[0:3], v[0:1], v[38:39], 0
	ds_read_b64 v[42:43], v42
	ds_read2st64_b64 v[50:53], v44 offset0:4 offset1:8
	ds_read2st64_b64 v[58:61], v36 offset0:4 offset1:8
	v_mfma_f32_16x16x16_bf16 a[4:7], v[0:1], v[40:41], 0
	ds_read2st64_b64 v[62:65], v35 offset0:4 offset1:8
	ds_read2st64_b64 v[76:79], v34 offset0:4 offset1:8
	s_waitcnt lgkmcnt(5)
	v_mfma_f32_16x16x16_bf16 a[8:11], v[0:1], v[46:47], 0
	v_mfma_f32_16x16x16_bf16 a[12:15], v[0:1], v[48:49], 0
	v_or_b32_e32 v0, 64, v56
	v_xor_b32_e32 v0, v55, v0
	v_xor_b32_e32 v1, 0x440, v0
	v_cndmask_b32_e32 v0, v1, v0, vcc
	v_or_b32_e32 v0, v0, v57
	v_xad_u32 v81, v0, v45, v37
	v_add_u32_e32 v0, v54, v81
	ds_read_b64 v[0:1], v0
	s_waitcnt lgkmcnt(4)
	v_mfma_f32_16x16x16_bf16 a[0:3], v[42:43], v[50:51], a[0:3]
	s_waitcnt lgkmcnt(3)
	v_mfma_f32_16x16x16_bf16 a[4:7], v[42:43], v[58:59], a[4:7]
	s_waitcnt lgkmcnt(2)
	v_mfma_f32_16x16x16_bf16 a[8:11], v[42:43], v[62:63], a[8:11]
	s_waitcnt lgkmcnt(1)
	v_mfma_f32_16x16x16_bf16 a[12:15], v[42:43], v[76:77], a[12:15]
	v_or_b32_e32 v42, 0x60, v56
	v_xor_b32_e32 v42, v55, v42
	v_xor_b32_e32 v43, 0x440, v42
	v_cndmask_b32_e32 v42, v43, v42, vcc
	v_or_b32_e32 v42, v42, v57
	v_xad_u32 v55, v42, v45, v37
	v_add_u32_e32 v37, v54, v55
	s_waitcnt lgkmcnt(0)
	v_mfma_f32_16x16x16_bf16 a[0:3], v[0:1], v[52:53], a[0:3]
	ds_read_b64 v[42:43], v37
	ds_read_b64 v[44:45], v44 offset:6144
	v_mfma_f32_16x16x16_bf16 a[4:7], v[0:1], v[60:61], a[4:7]
	v_mfma_f32_16x16x16_bf16 a[8:11], v[0:1], v[64:65], a[8:11]
	;; [unrolled: 1-line block ×3, first 2 shown]
	ds_read_b64 v[0:1], v36 offset:6144
	ds_read_b64 v[36:37], v35 offset:6144
	ds_read_b64 v[34:35], v34 offset:6144
	s_waitcnt lgkmcnt(3)
	v_mfma_f32_16x16x16_bf16 a[0:3], v[42:43], v[44:45], a[0:3]
	s_waitcnt lgkmcnt(2)
	v_mfma_f32_16x16x16_bf16 a[4:7], v[42:43], v[0:1], a[4:7]
	;; [unrolled: 2-line block ×4, first 2 shown]
	ds_read_b64 v[42:43], v67 offset:40960
	s_waitcnt lgkmcnt(0)
	v_mfma_f32_16x16x16_bf16 a[20:23], v[42:43], v[40:41], 0
	v_mov_b32_e32 v40, 0x3fb8aa3b
	v_mul_f32_e32 v40, s18, v40
	v_mfma_f32_16x16x16_bf16 a[16:19], v[42:43], v[38:39], 0
	ds_read_b64 v[38:39], v80 offset:40960
	v_mfma_f32_16x16x16_bf16 a[24:27], v[42:43], v[46:47], 0
	v_accvgpr_read_b32 v46, a7
	v_mfma_f32_16x16x16_bf16 a[28:31], v[42:43], v[48:49], 0
	v_exp_f32_e32 v42, v40
	v_accvgpr_read_b32 v40, a0
	v_accvgpr_read_b32 v43, a3
	s_waitcnt lgkmcnt(0)
	v_mfma_f32_16x16x16_bf16 a[16:19], v[38:39], v[50:51], a[16:19]
	v_fma_f32 v6, v6, v42, v40
	v_accvgpr_read_b32 v40, a1
	v_fma_f32 v7, v7, v42, v40
	v_accvgpr_read_b32 v40, a2
	v_fma_f32 v8, v8, v42, v40
	ds_read_b64 v[40:41], v81 offset:40960
	v_mfma_f32_16x16x16_bf16 a[20:23], v[38:39], v[58:59], a[20:23]
	v_fmac_f32_e32 v43, v9, v42
	v_accvgpr_read_b32 v9, a4
	v_fma_f32 v14, v14, v42, v9
	v_mfma_f32_16x16x16_bf16 a[24:27], v[38:39], v[62:63], a[24:27]
	v_accvgpr_read_b32 v9, a5
	v_fma_f32 v15, v15, v42, v9
	v_accvgpr_read_b32 v9, a6
	v_mfma_f32_16x16x16_bf16 a[0:3], v[38:39], v[76:77], a[28:31]
	ds_read_b64 v[38:39], v55 offset:40960
	v_fma_f32 v16, v16, v42, v9
	v_accvgpr_read_b32 v9, a8
	s_waitcnt lgkmcnt(1)
	v_mfma_f32_16x16x16_bf16 a[16:19], v[40:41], v[52:53], a[16:19]
	v_fma_f32 v22, v22, v42, v9
	v_accvgpr_read_b32 v9, a9
	v_fma_f32 v23, v23, v42, v9
	v_mfma_f32_16x16x16_bf16 a[4:7], v[40:41], v[60:61], a[20:23]
	v_accvgpr_read_b32 v9, a10
	v_fma_f32 v24, v24, v42, v9
	v_accvgpr_read_b32 v9, a12
	v_mfma_f32_16x16x16_bf16 a[20:23], v[40:41], v[64:65], a[24:27]
	v_fma_f32 v30, v30, v42, v9
	v_fmac_f32_e32 v46, v17, v42
	v_mov_b32_e32 v17, v46
	v_mfma_f32_16x16x16_bf16 a[0:3], v[40:41], v[78:79], a[0:3]
	v_accvgpr_read_b32 v40, a11
	v_fmac_f32_e32 v40, v25, v42
	s_waitcnt lgkmcnt(0)
	v_mfma_f32_16x16x16_bf16 a[8:11], v[38:39], v[44:45], a[16:19]
	v_mfma_f32_16x16x16_bf16 a[4:7], v[38:39], v[0:1], a[4:7]
	v_accvgpr_read_b32 v0, a13
	v_fma_f32 v31, v31, v42, v0
	v_accvgpr_read_b32 v0, a14
	s_nop 2
	v_accvgpr_read_b32 v1, a8
	v_fma_f32 v2, v2, v42, v1
	v_accvgpr_read_b32 v1, a9
	v_fma_f32 v3, v3, v42, v1
	v_accvgpr_read_b32 v1, a10
	v_mfma_f32_16x16x16_bf16 a[16:19], v[38:39], v[36:37], a[20:23]
	v_fma_f32 v4, v4, v42, v1
	v_accvgpr_read_b32 v1, a11
	v_fmac_f32_e32 v1, v5, v42
	v_mfma_f32_16x16x16_bf16 a[0:3], v[38:39], v[34:35], a[0:3]
	v_accvgpr_read_b32 v5, a4
	v_fma_f32 v10, v10, v42, v5
	v_accvgpr_read_b32 v5, a5
	v_fma_f32 v11, v11, v42, v5
	;; [unrolled: 2-line block ×3, first 2 shown]
	v_accvgpr_read_b32 v5, a16
	v_accvgpr_read_b32 v9, a0
	v_fma_f32 v18, v18, v42, v5
	v_accvgpr_read_b32 v5, a17
	v_fma_f32 v26, v26, v42, v9
	;; [unrolled: 2-line block ×5, first 2 shown]
	v_accvgpr_read_b32 v0, a15
	v_accvgpr_read_b32 v25, a7
	v_fma_f32 v20, v20, v42, v5
	v_accvgpr_read_b32 v5, a19
	v_fma_f32 v28, v28, v42, v9
	v_accvgpr_read_b32 v9, a3
	v_fmac_f32_e32 v0, v33, v42
	v_fmac_f32_e32 v25, v13, v42
	;; [unrolled: 1-line block ×4, first 2 shown]
	v_mov_b32_e32 v29, v9
	v_mov_b32_e32 v33, v0
	;; [unrolled: 1-line block ×7, first 2 shown]
.LBB241_99:
	s_add_u32 s0, s10, s34
	s_addc_u32 s1, s11, s35
	v_lshl_add_u64 v[0:1], v[68:69], 2, s[0:1]
	v_mov_b32_e32 v67, 0
	v_lshl_add_u64 v[0:1], v[0:1], 0, v[66:67]
	s_waitcnt vmcnt(7)
	global_store_dwordx4 v[0:1], v[6:9], off
	s_waitcnt vmcnt(7)
	global_store_dwordx4 v[0:1], v[2:5], off offset:256
	v_lshl_add_u64 v[0:1], v[70:71], 2, s[0:1]
	v_lshl_add_u64 v[0:1], v[0:1], 0, v[66:67]
	s_waitcnt vmcnt(7)
	global_store_dwordx4 v[0:1], v[14:17], off
	s_waitcnt vmcnt(7)
	global_store_dwordx4 v[0:1], v[10:13], off offset:256
	v_lshl_add_u64 v[0:1], v[72:73], 2, s[0:1]
	;; [unrolled: 6-line block ×3, first 2 shown]
	v_lshl_add_u64 v[0:1], v[0:1], 0, v[66:67]
	s_waitcnt vmcnt(7)
	global_store_dwordx4 v[0:1], v[30:33], off
	s_waitcnt vmcnt(7)
	global_store_dwordx4 v[0:1], v[26:29], off offset:256
	s_endpgm
	.section	.rodata,"a",@progbits
	.p2align	6, 0x0
	.amdhsa_kernel _ZN12_GLOBAL__N_139chunk_gated_delta_rule_fwd_h_hip_kernelILi64ELb1ELb1ELb1ELb1ELb0ELb0ELb0ELb0EEEvPK12hip_bfloat16S3_S3_PKfS5_PKvPS1_S8_PvPKiSB_iiiiilll
		.amdhsa_group_segment_fixed_size 65536
		.amdhsa_private_segment_fixed_size 0
		.amdhsa_kernarg_size 136
		.amdhsa_user_sgpr_count 2
		.amdhsa_user_sgpr_dispatch_ptr 0
		.amdhsa_user_sgpr_queue_ptr 0
		.amdhsa_user_sgpr_kernarg_segment_ptr 1
		.amdhsa_user_sgpr_dispatch_id 0
		.amdhsa_user_sgpr_kernarg_preload_length 0
		.amdhsa_user_sgpr_kernarg_preload_offset 0
		.amdhsa_user_sgpr_private_segment_size 0
		.amdhsa_uses_dynamic_stack 0
		.amdhsa_enable_private_segment 0
		.amdhsa_system_sgpr_workgroup_id_x 1
		.amdhsa_system_sgpr_workgroup_id_y 1
		.amdhsa_system_sgpr_workgroup_id_z 0
		.amdhsa_system_sgpr_workgroup_info 0
		.amdhsa_system_vgpr_workitem_id 0
		.amdhsa_next_free_vgpr 228
		.amdhsa_next_free_sgpr 67
		.amdhsa_accum_offset 192
		.amdhsa_reserve_vcc 1
		.amdhsa_float_round_mode_32 0
		.amdhsa_float_round_mode_16_64 0
		.amdhsa_float_denorm_mode_32 3
		.amdhsa_float_denorm_mode_16_64 3
		.amdhsa_dx10_clamp 1
		.amdhsa_ieee_mode 1
		.amdhsa_fp16_overflow 0
		.amdhsa_tg_split 0
		.amdhsa_exception_fp_ieee_invalid_op 0
		.amdhsa_exception_fp_denorm_src 0
		.amdhsa_exception_fp_ieee_div_zero 0
		.amdhsa_exception_fp_ieee_overflow 0
		.amdhsa_exception_fp_ieee_underflow 0
		.amdhsa_exception_fp_ieee_inexact 0
		.amdhsa_exception_int_div_zero 0
	.end_amdhsa_kernel
	.section	.text._ZN12_GLOBAL__N_139chunk_gated_delta_rule_fwd_h_hip_kernelILi64ELb1ELb1ELb1ELb1ELb0ELb0ELb0ELb0EEEvPK12hip_bfloat16S3_S3_PKfS5_PKvPS1_S8_PvPKiSB_iiiiilll,"axG",@progbits,_ZN12_GLOBAL__N_139chunk_gated_delta_rule_fwd_h_hip_kernelILi64ELb1ELb1ELb1ELb1ELb0ELb0ELb0ELb0EEEvPK12hip_bfloat16S3_S3_PKfS5_PKvPS1_S8_PvPKiSB_iiiiilll,comdat
.Lfunc_end241:
	.size	_ZN12_GLOBAL__N_139chunk_gated_delta_rule_fwd_h_hip_kernelILi64ELb1ELb1ELb1ELb1ELb0ELb0ELb0ELb0EEEvPK12hip_bfloat16S3_S3_PKfS5_PKvPS1_S8_PvPKiSB_iiiiilll, .Lfunc_end241-_ZN12_GLOBAL__N_139chunk_gated_delta_rule_fwd_h_hip_kernelILi64ELb1ELb1ELb1ELb1ELb0ELb0ELb0ELb0EEEvPK12hip_bfloat16S3_S3_PKfS5_PKvPS1_S8_PvPKiSB_iiiiilll
                                        ; -- End function
	.section	.AMDGPU.csdata,"",@progbits
; Kernel info:
; codeLenInByte = 12540
; NumSgprs: 73
; NumVgprs: 190
; NumAgprs: 36
; TotalNumVgprs: 228
; ScratchSize: 0
; MemoryBound: 0
; FloatMode: 240
; IeeeMode: 1
; LDSByteSize: 65536 bytes/workgroup (compile time only)
; SGPRBlocks: 9
; VGPRBlocks: 28
; NumSGPRsForWavesPerEU: 73
; NumVGPRsForWavesPerEU: 228
; AccumOffset: 192
; Occupancy: 1
; WaveLimiterHint : 1
; COMPUTE_PGM_RSRC2:SCRATCH_EN: 0
; COMPUTE_PGM_RSRC2:USER_SGPR: 2
; COMPUTE_PGM_RSRC2:TRAP_HANDLER: 0
; COMPUTE_PGM_RSRC2:TGID_X_EN: 1
; COMPUTE_PGM_RSRC2:TGID_Y_EN: 1
; COMPUTE_PGM_RSRC2:TGID_Z_EN: 0
; COMPUTE_PGM_RSRC2:TIDIG_COMP_CNT: 0
; COMPUTE_PGM_RSRC3_GFX90A:ACCUM_OFFSET: 47
; COMPUTE_PGM_RSRC3_GFX90A:TG_SPLIT: 0
	.section	.text._ZN12_GLOBAL__N_139chunk_gated_delta_rule_fwd_h_hip_kernelILi64ELb1ELb1ELb0ELb1ELb0ELb0ELb0ELb0EEEvPK12hip_bfloat16S3_S3_PKfS5_PKvPS1_S8_PvPKiSB_iiiiilll,"axG",@progbits,_ZN12_GLOBAL__N_139chunk_gated_delta_rule_fwd_h_hip_kernelILi64ELb1ELb1ELb0ELb1ELb0ELb0ELb0ELb0EEEvPK12hip_bfloat16S3_S3_PKfS5_PKvPS1_S8_PvPKiSB_iiiiilll,comdat
	.globl	_ZN12_GLOBAL__N_139chunk_gated_delta_rule_fwd_h_hip_kernelILi64ELb1ELb1ELb0ELb1ELb0ELb0ELb0ELb0EEEvPK12hip_bfloat16S3_S3_PKfS5_PKvPS1_S8_PvPKiSB_iiiiilll ; -- Begin function _ZN12_GLOBAL__N_139chunk_gated_delta_rule_fwd_h_hip_kernelILi64ELb1ELb1ELb0ELb1ELb0ELb0ELb0ELb0EEEvPK12hip_bfloat16S3_S3_PKfS5_PKvPS1_S8_PvPKiSB_iiiiilll
	.p2align	8
	.type	_ZN12_GLOBAL__N_139chunk_gated_delta_rule_fwd_h_hip_kernelILi64ELb1ELb1ELb0ELb1ELb0ELb0ELb0ELb0EEEvPK12hip_bfloat16S3_S3_PKfS5_PKvPS1_S8_PvPKiSB_iiiiilll,@function
_ZN12_GLOBAL__N_139chunk_gated_delta_rule_fwd_h_hip_kernelILi64ELb1ELb1ELb0ELb1ELb0ELb0ELb0ELb0EEEvPK12hip_bfloat16S3_S3_PKfS5_PKvPS1_S8_PvPKiSB_iiiiilll: ; @_ZN12_GLOBAL__N_139chunk_gated_delta_rule_fwd_h_hip_kernelILi64ELb1ELb1ELb0ELb1ELb0ELb0ELb0ELb0EEEvPK12hip_bfloat16S3_S3_PKfS5_PKvPS1_S8_PvPKiSB_iiiiilll
; %bb.0:
	s_load_dwordx4 s[16:19], s[0:1], 0x5c
	s_load_dwordx2 s[4:5], s[0:1], 0x50
	s_abs_i32 s7, s3
	s_ashr_i32 s6, s3, 31
	s_load_dwordx4 s[12:15], s[0:1], 0x40
	s_load_dwordx4 s[20:23], s[0:1], 0x28
	s_waitcnt lgkmcnt(0)
	s_abs_i32 s10, s17
	v_cvt_f32_u32_e32 v1, s10
	s_sub_i32 s8, 0, s10
	s_ashr_i32 s11, s17, 31
	s_xor_b32 s6, s6, s11
	v_rcp_iflag_f32_e32 v1, v1
	v_and_b32_e32 v86, 15, v0
	v_bfe_u32 v85, v0, 4, 2
	v_mov_b32_e32 v67, 0
	v_mul_f32_e32 v1, 0x4f7ffffe, v1
	v_cvt_u32_f32_e32 v1, v1
	v_lshlrev_b32_e32 v87, 3, v0
	v_readfirstlane_b32 s9, v1
	s_mul_i32 s8, s8, s9
	s_mul_hi_u32 s8, s9, s8
	s_add_i32 s9, s9, s8
	s_mul_hi_u32 s8, s7, s9
	s_mul_i32 s9, s8, s10
	s_sub_i32 s7, s7, s9
	s_add_i32 s24, s8, 1
	s_sub_i32 s9, s7, s10
	s_cmp_ge_u32 s7, s10
	s_cselect_b32 s8, s24, s8
	s_cselect_b32 s7, s9, s7
	s_add_i32 s9, s8, 1
	s_cmp_ge_u32 s7, s10
	s_cselect_b32 s7, s9, s8
	s_xor_b32 s7, s7, s6
	s_sub_i32 s24, s7, s6
	s_mul_i32 s28, s24, s17
	s_ashr_i32 s25, s24, 31
	s_sub_i32 s49, s3, s28
	s_lshl_b64 s[6:7], s[24:25], 2
	s_add_u32 s8, s14, s6
	s_addc_u32 s9, s15, s7
	s_add_u32 s26, s4, s6
	s_addc_u32 s27, s5, s7
	s_abs_i32 s3, s18
	v_cvt_f32_u32_e32 v1, s3
	s_load_dwordx2 s[36:37], s[8:9], 0x0
	s_sub_i32 s5, 0, s3
	s_lshl_b32 s2, s2, 6
	v_rcp_iflag_f32_e32 v1, v1
	v_or_b32_e32 v76, s2, v86
	s_waitcnt lgkmcnt(0)
	s_sub_i32 s52, s37, s36
	s_ashr_i32 s4, s52, 31
	v_mul_f32_e32 v1, 0x4f7ffffe, v1
	v_cvt_u32_f32_e32 v1, v1
	s_lshr_b32 s4, s4, 26
	s_add_i32 s4, s52, s4
	s_ashr_i32 s51, s4, 6
	v_readfirstlane_b32 s6, v1
	s_mul_i32 s5, s5, s6
	s_mul_hi_u32 s5, s6, s5
	s_add_i32 s6, s6, s5
	s_mul_hi_u32 s5, s10, s6
	s_mul_i32 s6, s5, s3
	s_ashr_i32 s4, s18, 31
	s_sub_i32 s6, s10, s6
	s_xor_b32 s4, s11, s4
	s_add_i32 s7, s5, 1
	s_sub_i32 s8, s6, s3
	s_cmp_ge_u32 s6, s3
	s_cselect_b32 s5, s7, s5
	s_cselect_b32 s6, s8, s6
	s_add_i32 s7, s5, 1
	s_cmp_ge_u32 s6, s3
	s_cselect_b32 s3, s7, s5
	s_xor_b32 s3, s3, s4
	s_sub_i32 s3, s3, s4
	s_abs_i32 s4, s3
	v_cvt_f32_u32_e32 v1, s4
	s_sub_i32 s6, 0, s4
	s_abs_i32 s5, s49
	s_xor_b32 s3, s49, s3
	v_rcp_iflag_f32_e32 v2, v1
	s_ashr_i32 s3, s3, 31
	v_lshrrev_b32_e32 v1, 6, v0
	v_lshlrev_b32_e32 v84, 4, v1
	v_mul_f32_e32 v2, 0x4f7ffffe, v2
	v_cvt_u32_f32_e32 v2, v2
	v_lshlrev_b32_e32 v68, 7, v76
	v_lshl_or_b32 v89, v85, 2, v84
	v_ashrrev_i32_e32 v69, 31, v68
	v_readfirstlane_b32 s7, v2
	s_mul_i32 s6, s6, s7
	s_mul_hi_u32 s6, s7, s6
	s_add_i32 s7, s7, s6
	s_mul_hi_u32 s6, s5, s7
	s_mul_i32 s7, s6, s4
	s_sub_i32 s5, s5, s7
	s_add_i32 s7, s6, 1
	s_sub_i32 s8, s5, s4
	s_cmp_ge_u32 s5, s4
	s_cselect_b32 s6, s7, s6
	s_cselect_b32 s5, s8, s5
	s_add_i32 s7, s6, 1
	s_cmp_ge_u32 s5, s4
	s_cselect_b32 s4, s7, s6
	s_xor_b32 s4, s4, s3
	s_sub_i32 s53, s4, s3
	s_ashr_i32 s50, s49, 31
	s_mul_hi_i32 s3, s24, s17
	s_add_u32 s4, s28, s49
	s_addc_u32 s5, s3, s50
	s_lshl_b64 s[14:15], s[4:5], 16
	s_add_u32 s4, s20, s14
	s_addc_u32 s5, s21, s15
	v_lshl_add_u64 v[2:3], v[68:69], 2, s[4:5]
	v_lshlrev_b32_e32 v66, 2, v89
	v_or_b32_e32 v70, 0x800, v68
	v_lshl_add_u64 v[10:11], v[2:3], 0, v[66:67]
	v_ashrrev_i32_e32 v71, 31, v70
	global_load_dwordx4 v[6:9], v[10:11], off
	global_load_dwordx4 v[2:5], v[10:11], off offset:256
	v_lshl_add_u64 v[10:11], v[70:71], 2, s[4:5]
	v_or_b32_e32 v72, 0x1000, v68
	v_lshl_add_u64 v[18:19], v[10:11], 0, v[66:67]
	v_ashrrev_i32_e32 v73, 31, v72
	global_load_dwordx4 v[14:17], v[18:19], off
	global_load_dwordx4 v[10:13], v[18:19], off offset:256
	v_lshl_add_u64 v[18:19], v[72:73], 2, s[4:5]
	;; [unrolled: 6-line block ×3, first 2 shown]
	v_lshl_add_u64 v[34:35], v[26:27], 0, v[66:67]
	global_load_dwordx4 v[30:33], v[34:35], off
	global_load_dwordx4 v[26:29], v[34:35], off offset:256
	s_load_dwordx8 s[4:11], s[0:1], 0x0
	s_load_dwordx2 s[34:35], s[0:1], 0x80
	s_load_dwordx4 s[28:31], s[0:1], 0x70
	s_load_dword s54, s[26:27], 0x0
	v_and_b32_e32 v67, 63, v0
	v_or_b32_e32 v90, 64, v89
	s_cmp_lt_i32 s52, 64
	s_mul_hi_i32 s55, s49, s16
	s_mul_i32 s56, s49, s16
	v_lshrrev_b32_e32 v88, 3, v67
	s_waitcnt lgkmcnt(0)
	s_mul_i32 s33, s24, s29
	s_mul_hi_u32 s45, s24, s28
	s_mul_i32 s44, s25, s28
	s_mul_i32 s40, s24, s28
	s_mul_i32 s46, s49, s31
	s_mul_hi_u32 s47, s49, s30
	s_mul_i32 s48, s50, s30
	s_mul_i32 s38, s49, s30
	s_cbranch_scc1 .LBB242_18
; %bb.1:
	s_ashr_i32 s1, s36, 31
	s_add_u32 s0, s56, s36
	s_addc_u32 s1, s55, s1
	s_lshl_b64 s[0:1], s[0:1], 8
	v_and_b32_e32 v92, 56, v87
	s_add_u32 s24, s6, s0
	v_lshl_or_b32 v91, v1, 3, v88
	v_lshlrev_b32_e32 v34, 1, v92
	s_addc_u32 s0, s7, s1
	v_lshl_or_b32 v93, v91, 8, v34
	s_and_b32 s25, s0, 0xffff
	s_mov_b32 s27, 0x20000
	s_movk_i32 s26, 0x4000
	s_movk_i32 s0, 0x80
	v_or_b32_e32 v94, 0x2000, v93
	buffer_load_dwordx4 v[36:39], v93, s[24:27], 0 offen
	buffer_load_dwordx4 v[40:43], v93, s[24:27], s0 offen
	;; [unrolled: 1-line block ×4, first 2 shown]
	v_lshlrev_b32_e32 v35, 3, v91
	v_and_or_b32 v53, v0, 7, v35
	v_and_b32_e32 v35, 0x78, v35
	v_lshlrev_b32_e32 v53, 4, v53
	v_xor_b32_e32 v95, v53, v35
	v_mul_lo_u32 v52, v91, s19
	v_or_b32_e32 v96, 0x1000, v95
	v_xor_b32_e32 v35, 8, v95
	s_cmpk_eq_i32 s19, 0x80
	s_mov_b32 s57, s36
	v_xor_b32_e32 v53, 8, v96
	s_cselect_b64 s[0:1], -1, 0
	s_cmpk_lg_i32 s19, 0x80
	s_waitcnt vmcnt(3)
	ds_write_b64 v95, v[36:37] offset:49152
	ds_write_b64 v35, v[38:39] offset:49152
	s_waitcnt vmcnt(2)
	ds_write_b64 v95, v[40:41] offset:57344
	ds_write_b64 v35, v[42:43] offset:57344
	;; [unrolled: 3-line block ×4, first 2 shown]
	v_lshl_add_u32 v35, v52, 1, v92
	s_cbranch_scc0 .LBB242_3
; %bb.2:
	v_lshlrev_b32_e32 v37, 1, v35
	v_add_lshl_u32 v36, v35, s19, 1
	s_lshl_b32 s26, s19, 7
	v_lshl_or_b32 v34, v91, 9, v34
	s_cbranch_execz .LBB242_4
	s_branch .LBB242_5
.LBB242_3:
                                        ; implicit-def: $vgpr36
                                        ; implicit-def: $vgpr37
                                        ; implicit-def: $sgpr26
	v_lshl_or_b32 v34, v91, 9, v34
.LBB242_4:
	v_or_b32_e32 v36, 0x100, v34
	s_movk_i32 s26, 0x4000
	v_mov_b32_e32 v37, v34
.LBB242_5:
	s_mul_i32 s20, s36, s18
	s_ashr_i32 s58, s53, 31
	s_mul_hi_i32 s3, s36, s18
	s_add_u32 s20, s20, s53
	s_addc_u32 s21, s3, s58
	s_lshl_b64 s[20:21], s[20:21], 8
	s_add_u32 s24, s4, s20
	s_addc_u32 s3, s5, s21
	s_and_b32 s25, s3, 0xffff
	s_movk_i32 s59, 0x80
	buffer_load_dwordx4 v[38:41], v37, s[24:27], 0 offen
	buffer_load_dwordx4 v[42:45], v37, s[24:27], s59 offen
	;; [unrolled: 1-line block ×4, first 2 shown]
	v_and_b32_e32 v37, 6, v0
	v_lshlrev_b32_e32 v36, 7, v89
	v_xor_b32_e32 v59, v91, v37
	v_and_b32_e32 v54, 1, v0
	v_lshl_or_b32 v62, v86, 3, v36
	v_lshlrev_b32_e32 v59, 2, v59
	v_lshlrev_b32_e32 v55, 2, v86
	v_or_b32_e32 v97, 0x4000, v62
	v_or_b32_e32 v98, 0x6000, v62
	v_xor_b32_e32 v62, 0x440, v59
	v_cmp_eq_u32_e32 vcc, 0, v54
	v_or_b32_e32 v57, 16, v86
	v_or_b32_e32 v58, 32, v86
	v_xor_b32_e32 v60, v89, v55
	v_xor_b32_e32 v61, v90, v55
	v_cndmask_b32_e32 v54, v62, v59, vcc
	s_mov_b32 s60, 0x1000504
	v_lshl_or_b32 v63, v57, 3, v36
	v_lshlrev_b32_e32 v57, 8, v57
	v_lshl_or_b32 v64, v58, 3, v36
	v_lshlrev_b32_e32 v60, 1, v60
	v_lshlrev_b32_e32 v61, 1, v61
	v_lshl_or_b32 v37, v37, 10, v54
	s_add_i32 s3, s45, s33
	s_mov_b32 s61, 0x3020706
	v_lshlrev_b32_e32 v56, 8, v86
	v_or_b32_e32 v101, 0x4000, v64
	v_or_b32_e32 v102, 0x6000, v64
	;; [unrolled: 1-line block ×4, first 2 shown]
	v_xor_b32_e32 v54, 8, v37
	v_xor_b32_e32 v57, 24, v37
	v_xor_b32_e32 v62, 40, v37
	v_xor_b32_e32 v64, 56, v37
	s_add_i32 s41, s3, s44
	s_add_i32 s3, s47, s46
	v_or_b32_e32 v99, 0x4000, v63
	v_or_b32_e32 v100, 0x6000, v63
	;; [unrolled: 1-line block ×4, first 2 shown]
	v_xor_b32_e32 v56, 16, v37
	v_xor_b32_e32 v59, 32, v37
	;; [unrolled: 1-line block ×3, first 2 shown]
	v_add_u32_e32 v54, 0x80, v54
	v_add_u32_e32 v57, 0x80, v57
	;; [unrolled: 1-line block ×4, first 2 shown]
	s_add_i32 s39, s3, s48
	s_lshl_b64 s[20:21], s[40:41], 2
	s_add_u32 s3, s10, s20
	s_addc_u32 s24, s11, s21
	s_lshl_b64 s[20:21], s[38:39], 2
	s_add_u32 s20, s3, s20
	s_movk_i32 s3, 0xf8
	s_addc_u32 s21, s24, s21
	s_lshl_b32 s30, s19, 7
	s_movk_i32 s28, 0x100
	v_mov_b32_e32 v79, 0
	v_lshlrev_b32_e32 v78, 4, v86
	v_cmp_gt_u32_e32 vcc, s28, v0
	v_lshlrev_b32_e32 v58, 8, v58
	s_mov_b32 s62, 0
	s_movk_i32 s26, 0x4000
	v_or_b32_e32 v107, v58, v60
	v_or_b32_e32 v108, v58, v61
	s_movk_i32 s39, 0x2000
	s_movk_i32 s41, 0x3000
	v_mov_b32_e32 v140, 0x3fb8aa3b
	s_waitcnt vmcnt(1)
	v_perm_b32 v65, v38, v46, s60
	s_waitcnt vmcnt(0)
	v_perm_b32 v77, v42, v50, s60
	v_perm_b32 v38, v38, v46, s61
	;; [unrolled: 1-line block ×15, first 2 shown]
	ds_write2st64_b32 v37, v65, v77 offset0:128 offset1:160
	ds_write2st64_b32 v54, v38, v42 offset0:128 offset1:160
	;; [unrolled: 1-line block ×8, first 2 shown]
	v_or_b32_e32 v37, 48, v86
	v_lshl_or_b32 v38, v37, 3, v36
	v_lshlrev_b32_e32 v37, 8, v37
	v_or_b32_e32 v111, v37, v60
	v_or_b32_e32 v112, v37, v61
	;; [unrolled: 1-line block ×3, first 2 shown]
	v_lshlrev_b32_e32 v37, 3, v37
	v_lshrrev_b32_e32 v39, 5, v67
	v_and_or_b32 v39, v37, s3, v39
	v_lshlrev_b32_e32 v39, 4, v39
	v_lshlrev_b32_e32 v40, 11, v1
	v_and_b32_e32 v37, 0x78, v37
	v_or_b32_e32 v45, 32, v39
	v_or_b32_e32 v109, 0x4000, v38
	;; [unrolled: 1-line block ×3, first 2 shown]
	v_and_b32_e32 v38, 0x1000, v40
	v_xor_b32_e32 v41, v39, v37
	v_lshrrev_b32_e32 v42, 1, v0
	v_xor_b32_e32 v45, v45, v37
	v_or_b32_e32 v41, v41, v38
	v_and_b32_e32 v43, 8, v42
	v_or_b32_e32 v45, v45, v38
	v_xor_b32_e32 v113, v41, v43
	v_lshlrev_b32_e32 v41, 8, v85
	v_xor_b32_e32 v115, v45, v43
	v_or_b32_e32 v45, 64, v39
	v_or_b32_e32 v39, 0x60, v39
	s_ashr_i32 s3, s2, 31
	v_or_b32_e32 v44, v41, v55
	v_xor_b32_e32 v45, v45, v37
	v_xor_b32_e32 v37, v39, v37
	s_lshl_b64 s[24:25], s[2:3], 8
	v_lshlrev_b32_e32 v44, 1, v44
	v_or_b32_e32 v45, v45, v38
	v_or_b32_e32 v37, v37, v38
	s_add_u32 s24, s22, s24
	v_lshlrev_b32_e32 v38, 1, v86
	v_or_b32_e32 v114, 0x4000, v44
	v_or_b32_e32 v116, 0x4080, v44
	;; [unrolled: 1-line block ×8, first 2 shown]
	v_lshrrev_b32_e32 v44, 4, v0
	s_addc_u32 s25, s23, s25
	v_or_b32_e32 v39, 1, v38
	v_mov_b32_e32 v48, 0xa000
	v_mov_b32_e32 v49, 0x8000
	v_xor_b32_e32 v119, v45, v43
	v_xor_b32_e32 v45, v44, v38
	v_xor_b32_e32 v46, v39, v44
	v_lshl_add_u64 v[38:39], s[24:25], 0, v[78:79]
	v_lshlrev_b32_e32 v78, 8, v44
	v_cndmask_b32_e32 v48, v48, v49, vcc
	v_lshlrev_b32_e32 v49, 3, v1
	v_and_b32_e32 v42, 24, v42
	v_lshl_or_b32 v125, v45, 3, v78
	v_and_b32_e32 v45, 8, v0
	v_xor_b32_e32 v50, v49, v42
	v_or_b32_e32 v51, 0x440, v50
	v_cmp_eq_u32_e32 vcc, 0, v45
	v_and_b32_e32 v44, 7, v0
	v_lshl_or_b32 v126, v46, 3, v78
	v_cndmask_b32_e32 v45, v51, v50, vcc
	v_lshlrev_b32_e32 v46, 3, v44
	v_lshlrev_b32_e32 v44, 7, v44
	v_or_b32_e32 v45, v45, v40
	v_lshlrev_b32_e32 v47, 2, v0
	v_xad_u32 v127, v45, v46, v44
	v_or_b32_e32 v45, 32, v42
	v_and_or_b32 v41, v47, 60, v41
	v_xor_b32_e32 v45, v49, v45
	v_lshlrev_b32_e32 v41, 1, v41
	v_or_b32_e32 v47, 0x440, v45
	v_or_b32_e32 v128, 0x6000, v41
	v_cndmask_b32_e32 v45, v47, v45, vcc
	v_or_b32_e32 v130, 0x6080, v41
	v_or_b32_e32 v131, 0x6100, v41
	;; [unrolled: 1-line block ×5, first 2 shown]
	v_xor_b32_e32 v41, v49, v41
	v_xad_u32 v129, v45, v46, v44
	v_xor_b32_e32 v45, 0x440, v41
	v_cndmask_b32_e32 v41, v45, v41, vcc
	v_or_b32_e32 v41, v41, v40
	v_xad_u32 v133, v41, v46, v44
	v_or_b32_e32 v41, 0x60, v42
	v_xor_b32_e32 v41, v49, v41
	v_xor_b32_e32 v42, 0x440, v41
	v_cndmask_b32_e32 v41, v42, v41, vcc
	v_or_b32_e32 v40, v41, v40
	v_xor_b32_e32 v120, v37, v43
	v_ashrrev_i32_e32 v77, 31, v76
	v_lshlrev_b32_e32 v37, 1, v35
	v_add_lshl_u32 v35, v35, s19, 1
	v_or_b32_e32 v43, 0x100, v34
	v_xad_u32 v134, v40, v46, v44
	v_cndmask_b32_e64 v135, v37, v34, s[0:1]
	v_cndmask_b32_e64 v136, v35, v43, s[0:1]
	v_lshl_add_u64 v[80:81], v[76:77], 1, s[8:9]
	v_lshl_add_u64 v[82:83], v[38:39], 0, v[78:79]
	s_mov_b32 s3, 0x7060302
	v_lshlrev_b32_e32 v78, 1, v36
	v_add_u32_e32 v77, v48, v127
	v_add_u32_e32 v137, v48, v129
	;; [unrolled: 1-line block ×4, first 2 shown]
	s_waitcnt lgkmcnt(0)
	s_barrier
.LBB242_6:                              ; =>This Inner Loop Header: Depth=1
	s_add_i32 s63, s62, 1
	s_cmp_lt_i32 s63, s51
	s_mov_b64 s[28:29], 0
	s_cselect_b64 s[42:43], -1, 0
	s_cmp_ge_i32 s63, s51
	s_mov_b64 s[24:25], 0
	s_cbranch_scc1 .LBB242_8
; %bb.7:                                ;   in Loop: Header=BB242_6 Depth=1
	s_add_i32 s0, s57, 64
	s_ashr_i32 s1, s0, 31
	s_add_u32 s0, s56, s0
	s_addc_u32 s1, s55, s1
	s_lshl_b64 s[0:1], s[0:1], 8
	s_add_u32 s24, s6, s0
	s_addc_u32 s25, s7, s1
.LBB242_8:                              ;   in Loop: Header=BB242_6 Depth=1
	v_cndmask_b32_e64 v34, 0, 1, s[42:43]
	v_cmp_ne_u32_e64 s[0:1], 1, v34
	s_andn2_b64 vcc, exec, s[42:43]
	s_cbranch_vccnz .LBB242_10
; %bb.9:                                ;   in Loop: Header=BB242_6 Depth=1
	s_add_i32 s28, s57, 64
	s_mul_hi_i32 s29, s28, s18
	s_mul_i32 s28, s28, s18
	s_add_u32 s28, s28, s53
	s_addc_u32 s29, s29, s58
	s_lshl_b64 s[28:29], s[28:29], 8
	s_add_u32 s28, s4, s28
	s_addc_u32 s29, s5, s29
.LBB242_10:                             ;   in Loop: Header=BB242_6 Depth=1
	v_perm_b32 v35, v9, v8, s3
	v_perm_b32 v34, v7, v6, s3
	v_perm_b32 v37, v5, v4, s3
	v_perm_b32 v36, v3, v2, s3
	ds_write_b64 v97, v[34:35]
	ds_write_b64 v98, v[36:37]
	ds_write_b64 v103, v[34:35]
	ds_write_b64 v104, v[36:37]
	v_perm_b32 v35, v17, v16, s3
	v_perm_b32 v34, v15, v14, s3
	v_perm_b32 v37, v13, v12, s3
	v_perm_b32 v36, v11, v10, s3
	ds_write_b64 v99, v[34:35]
	ds_write_b64 v100, v[36:37]
	ds_write_b64 v105, v[34:35]
	ds_write_b64 v106, v[36:37]
	;; [unrolled: 8-line block ×4, first 2 shown]
	s_waitcnt lgkmcnt(0)
	s_barrier
	ds_read_b64 v[38:39], v113 offset:49152
	ds_read2_b64 v[34:37], v114 offset1:16
	ds_read_b64 v[50:51], v116 offset:6144
	ds_read_b64 v[52:53], v114 offset:6144
	s_waitcnt lgkmcnt(2)
	v_mfma_f32_16x16x16_bf16 a[0:3], v[38:39], v[34:35], 0
	ds_read_b64 v[54:55], v115 offset:49152
	ds_read2st64_b64 v[42:45], v117 offset0:4 offset1:8
	ds_read2st64_b64 v[46:49], v118 offset0:4 offset1:8
	v_mfma_f32_16x16x16_bf16 a[4:7], v[38:39], v[36:37], 0
	ds_read2_b64 v[34:37], v114 offset0:32 offset1:48
	s_add_i32 s31, s57, 63
	s_ashr_i32 s42, s31, 31
	s_waitcnt lgkmcnt(0)
	v_mfma_f32_16x16x16_bf16 a[8:11], v[38:39], v[34:35], 0
	s_mul_i32 s43, s31, s35
	s_mul_hi_u32 s64, s31, s34
	s_add_i32 s43, s64, s43
	v_mfma_f32_16x16x16_bf16 a[12:15], v[38:39], v[36:37], 0
	ds_read2st64_b64 v[34:37], v114 offset0:4 offset1:8
	ds_read2st64_b64 v[38:41], v116 offset0:4 offset1:8
	s_mul_i32 s42, s42, s34
	s_waitcnt lgkmcnt(1)
	v_mfma_f32_16x16x16_bf16 a[0:3], v[54:55], v[34:35], a[0:3]
	s_add_i32 s43, s43, s42
	s_mul_i32 s42, s31, s34
	s_lshl_b64 s[42:43], s[42:43], 2
	s_waitcnt lgkmcnt(0)
	v_mfma_f32_16x16x16_bf16 a[4:7], v[54:55], v[38:39], a[4:7]
	s_add_u32 s42, s20, s42
	s_addc_u32 s43, s21, s43
	s_and_b64 vcc, exec, s[0:1]
	v_mfma_f32_16x16x16_bf16 a[8:11], v[54:55], v[42:43], a[8:11]
	ds_read_b64 v[34:35], v119 offset:49152
	ds_read_b64 v[38:39], v120 offset:49152
	;; [unrolled: 1-line block ×3, first 2 shown]
	v_mov_b32_e32 v143, 0
	v_mov_b32_e32 v142, 0
	v_mfma_f32_16x16x16_bf16 a[12:15], v[54:55], v[46:47], a[12:15]
	v_mov_b32_e32 v141, 0
	v_mov_b32_e32 v46, 0
	;; [unrolled: 1-line block ×3, first 2 shown]
	s_waitcnt lgkmcnt(2)
	v_mfma_f32_16x16x16_bf16 a[0:3], v[34:35], v[36:37], a[0:3]
	v_mov_b32_e32 v36, 0
	v_mov_b32_e32 v37, 0
	v_mfma_f32_16x16x16_bf16 a[16:19], v[34:35], v[40:41], a[4:7]
	v_mov_b32_e32 v40, 0
	v_mov_b32_e32 v41, 0
	;; [unrolled: 3-line block ×3, first 2 shown]
	v_mfma_f32_16x16x16_bf16 a[24:27], v[34:35], v[48:49], a[12:15]
	ds_read_b64 v[34:35], v117 offset:6144
	v_mov_b32_e32 v48, 0
	v_mov_b32_e32 v49, 0
	s_waitcnt lgkmcnt(2)
	v_mfma_f32_16x16x16_bf16 a[4:7], v[38:39], v[52:53], a[0:3]
	v_mfma_f32_16x16x16_bf16 a[8:11], v[38:39], v[50:51], a[16:19]
	s_waitcnt lgkmcnt(0)
	v_mfma_f32_16x16x16_bf16 a[12:15], v[38:39], v[34:35], a[20:23]
	v_mov_b32_e32 v34, 0
	v_mov_b32_e32 v35, 0
	v_mfma_f32_16x16x16_bf16 a[0:3], v[38:39], v[42:43], a[24:27]
	v_mov_b32_e32 v38, 0
	v_mov_b32_e32 v39, 0
	;; [unrolled: 1-line block ×4, first 2 shown]
	s_cbranch_vccnz .LBB242_12
; %bb.11:                               ;   in Loop: Header=BB242_6 Depth=1
	s_and_b32 s25, s25, 0xffff
	buffer_load_dwordx4 v[46:49], v93, s[24:27], 0 offen
	buffer_load_dwordx4 v[42:45], v93, s[24:27], s59 offen
	;; [unrolled: 1-line block ×4, first 2 shown]
	v_mov_b32_e32 v142, v95
	v_mov_b32_e32 v141, v96
.LBB242_12:                             ;   in Loop: Header=BB242_6 Depth=1
	ds_read_b64 v[144:145], v113 offset:57344
	ds_read2_b64 v[50:53], v121 offset1:16
	ds_read_b64 v[146:147], v115 offset:57344
	ds_read_b64 v[148:149], v119 offset:57344
	;; [unrolled: 1-line block ×3, first 2 shown]
	v_add_u32_e32 v152, s57, v89
	s_waitcnt lgkmcnt(3)
	v_mfma_f32_16x16x16_bf16 a[4:7], v[144:145], v[50:51], a[4:7]
	v_mfma_f32_16x16x16_bf16 a[8:11], v[144:145], v[52:53], a[8:11]
	ds_read2_b64 v[50:53], v121 offset0:32 offset1:48
	ds_read2st64_b64 v[54:57], v121 offset0:4 offset1:8
	ds_read2st64_b64 v[58:61], v122 offset0:4 offset1:8
	;; [unrolled: 1-line block ×3, first 2 shown]
	s_waitcnt lgkmcnt(3)
	v_mfma_f32_16x16x16_bf16 a[12:15], v[144:145], v[50:51], a[12:15]
	v_ashrrev_i32_e32 v50, 31, v152
	v_mfma_f32_16x16x16_bf16 a[0:3], v[144:145], v[52:53], a[0:3]
	v_mul_lo_u32 v52, v50, s34
	v_mul_lo_u32 v53, v152, s35
	v_mad_u64_u32 v[50:51], s[24:25], v152, s34, 0
	v_add3_u32 v51, v51, v53, v52
	v_add_u32_e32 v52, 1, v152
	v_ashrrev_i32_e32 v53, 31, v52
	s_waitcnt lgkmcnt(2)
	v_mfma_f32_16x16x16_bf16 a[4:7], v[146:147], v[54:55], a[4:7]
	v_mul_lo_u32 v54, v53, s34
	v_mul_lo_u32 v55, v52, s35
	v_mad_u64_u32 v[52:53], s[24:25], v52, s34, 0
	v_add3_u32 v53, v53, v55, v54
	v_add_u32_e32 v54, 2, v152
	v_ashrrev_i32_e32 v55, 31, v54
	s_waitcnt lgkmcnt(1)
	v_mfma_f32_16x16x16_bf16 a[8:11], v[146:147], v[58:59], a[8:11]
	v_mul_lo_u32 v58, v55, s34
	v_mul_lo_u32 v59, v54, s35
	v_mad_u64_u32 v[54:55], s[24:25], v54, s34, 0
	v_add3_u32 v55, v55, v59, v58
	v_add_u32_e32 v58, 3, v152
	v_ashrrev_i32_e32 v59, 31, v58
	v_mul_lo_u32 v144, v59, s34
	v_mul_lo_u32 v145, v58, s35
	v_mad_u64_u32 v[58:59], s[24:25], v58, s34, 0
	s_ashr_i32 s25, s57, 31
	s_add_u32 s24, s56, s57
	v_lshl_add_u64 v[50:51], v[50:51], 2, s[20:21]
	v_add3_u32 v59, v59, v145, v144
	s_addc_u32 s25, s55, s25
	v_lshl_add_u64 v[52:53], v[52:53], 2, s[20:21]
	global_load_dword v152, v[50:51], off
	v_lshl_add_u64 v[50:51], v[58:59], 2, s[20:21]
	s_lshl_b64 s[24:25], s[24:25], 8
	v_lshl_add_u64 v[54:55], v[54:55], 2, s[20:21]
	global_load_dword v144, v[52:53], off
	global_load_dword v145, v[54:55], off
	;; [unrolled: 1-line block ×3, first 2 shown]
	v_lshl_add_u64 v[50:51], v[80:81], 0, s[24:25]
	v_lshl_add_u64 v[54:55], v[50:51], 0, v[78:79]
	global_load_ushort v154, v[54:55], off offset:256
	global_load_ushort v155, v[54:55], off
	ds_read2st64_b64 v[50:53], v124 offset0:4 offset1:8
	global_load_ushort v156, v[54:55], off offset:768
	global_load_ushort v157, v[54:55], off offset:512
	s_waitcnt lgkmcnt(1)
	v_mfma_f32_16x16x16_bf16 a[12:15], v[146:147], v[62:63], a[12:15]
	s_and_b64 vcc, exec, s[0:1]
	s_waitcnt vmcnt(3)
	v_lshlrev_b32_e32 v63, 16, v154
	s_waitcnt lgkmcnt(0)
	v_mfma_f32_16x16x16_bf16 a[0:3], v[146:147], v[50:51], a[0:3]
	global_load_ushort v146, v[54:55], off offset:288
	global_load_ushort v147, v[54:55], off offset:32
	;; [unrolled: 1-line block ×8, first 2 shown]
	v_mfma_f32_16x16x16_bf16 a[4:7], v[148:149], v[56:57], a[4:7]
	ds_read_b64 v[50:51], v121 offset:6144
	s_waitcnt vmcnt(10)
	v_lshlrev_b32_e32 v62, 16, v155
	v_mfma_f32_16x16x16_bf16 a[8:11], v[148:149], v[60:61], a[8:11]
	v_mfma_f32_16x16x16_bf16 a[12:15], v[148:149], v[64:65], a[12:15]
	;; [unrolled: 1-line block ×3, first 2 shown]
	global_load_ushort v148, v[54:55], off offset:352
	global_load_ushort v149, v[54:55], off offset:96
	ds_read_b64 v[52:53], v122 offset:6144
	ds_read_b64 v[56:57], v123 offset:6144
	;; [unrolled: 1-line block ×3, first 2 shown]
	global_load_ushort v164, v[54:55], off offset:864
	global_load_ushort v165, v[54:55], off offset:608
	s_load_dword s24, s[42:43], 0x0
	s_waitcnt lgkmcnt(0)
	v_mfma_f32_16x16x16_bf16 a[4:7], v[150:151], v[50:51], a[4:7]
	v_sub_f32_e32 v60, s24, v145
	v_mfma_f32_16x16x16_bf16 a[0:3], v[150:151], v[58:59], a[0:3]
	v_sub_f32_e32 v58, s24, v152
	v_sub_f32_e32 v59, s24, v144
	v_sub_f32_e32 v61, s24, v153
	v_mul_f32_e32 v58, 0x3fb8aa3b, v58
	v_mul_f32_e32 v59, 0x3fb8aa3b, v59
	;; [unrolled: 1-line block ×4, first 2 shown]
	v_mfma_f32_16x16x16_bf16 a[8:11], v[150:151], v[52:53], a[8:11]
	v_exp_f32_e32 v58, v58
	v_exp_f32_e32 v59, v59
	;; [unrolled: 1-line block ×4, first 2 shown]
	v_accvgpr_read_b32 v65, a5
	v_accvgpr_read_b32 v64, a4
	;; [unrolled: 1-line block ×4, first 2 shown]
	v_pk_add_f32 v[62:63], v[62:63], v[64:65] neg_lo:[0,1] neg_hi:[0,1]
	s_waitcnt vmcnt(13)
	v_lshlrev_b32_e32 v65, 16, v156
	s_waitcnt vmcnt(12)
	v_lshlrev_b32_e32 v64, 16, v157
	v_pk_add_f32 v[50:51], v[64:65], v[50:51] neg_lo:[0,1] neg_hi:[0,1]
	v_pk_mul_f32 v[62:63], v[58:59], v[62:63]
	v_pk_mul_f32 v[50:51], v[60:61], v[50:51]
	v_accvgpr_read_b32 v65, a9
	v_perm_b32 v51, v51, v50, s3
	v_perm_b32 v50, v63, v62, s3
	v_accvgpr_read_b32 v64, a8
	v_accvgpr_read_b32 v53, a11
	v_mfma_f32_16x16x16_bf16 a[12:15], v[150:151], v[56:57], a[12:15]
	v_accvgpr_read_b32 v52, a10
	v_accvgpr_read_b32 v57, a3
	;; [unrolled: 1-line block ×3, first 2 shown]
	v_mov_b32_e32 v144, 0
	s_waitcnt vmcnt(11)
	v_lshlrev_b32_e32 v63, 16, v146
	s_waitcnt vmcnt(10)
	v_lshlrev_b32_e32 v62, 16, v147
	v_pk_add_f32 v[62:63], v[62:63], v[64:65] neg_lo:[0,1] neg_hi:[0,1]
	s_waitcnt vmcnt(9)
	v_lshlrev_b32_e32 v65, 16, v158
	s_waitcnt vmcnt(8)
	v_lshlrev_b32_e32 v64, 16, v159
	v_pk_add_f32 v[52:53], v[64:65], v[52:53] neg_lo:[0,1] neg_hi:[0,1]
	v_pk_mul_f32 v[62:63], v[58:59], v[62:63]
	v_pk_mul_f32 v[52:53], v[60:61], v[52:53]
	v_accvgpr_read_b32 v55, a15
	v_perm_b32 v53, v53, v52, s3
	v_perm_b32 v52, v63, v62, s3
	ds_write2_b64 v98, v[50:51], v[52:53] offset1:16
	v_accvgpr_read_b32 v53, a13
	s_waitcnt vmcnt(7)
	v_lshlrev_b32_e32 v51, 16, v160
	s_waitcnt vmcnt(6)
	v_lshlrev_b32_e32 v50, 16, v161
	v_accvgpr_read_b32 v52, a12
	v_accvgpr_read_b32 v54, a14
	v_pk_add_f32 v[50:51], v[50:51], v[52:53] neg_lo:[0,1] neg_hi:[0,1]
	s_waitcnt vmcnt(5)
	v_lshlrev_b32_e32 v53, 16, v162
	s_waitcnt vmcnt(4)
	v_lshlrev_b32_e32 v52, 16, v163
	v_pk_add_f32 v[52:53], v[52:53], v[54:55] neg_lo:[0,1] neg_hi:[0,1]
	v_pk_mul_f32 v[50:51], v[58:59], v[50:51]
	v_pk_mul_f32 v[52:53], v[60:61], v[52:53]
	v_accvgpr_read_b32 v55, a1
	v_perm_b32 v53, v53, v52, s3
	v_perm_b32 v52, v51, v50, s3
	s_waitcnt vmcnt(3)
	v_lshlrev_b32_e32 v51, 16, v148
	s_waitcnt vmcnt(2)
	v_lshlrev_b32_e32 v50, 16, v149
	v_accvgpr_read_b32 v54, a0
	v_pk_add_f32 v[50:51], v[50:51], v[54:55] neg_lo:[0,1] neg_hi:[0,1]
	s_waitcnt vmcnt(1)
	v_lshlrev_b32_e32 v55, 16, v164
	s_waitcnt vmcnt(0)
	v_lshlrev_b32_e32 v54, 16, v165
	v_pk_add_f32 v[54:55], v[54:55], v[56:57] neg_lo:[0,1] neg_hi:[0,1]
	v_pk_mul_f32 v[50:51], v[58:59], v[50:51]
	v_pk_mul_f32 v[54:55], v[60:61], v[54:55]
	v_mov_b32_e32 v56, 0
	v_perm_b32 v55, v55, v54, s3
	v_perm_b32 v54, v51, v50, s3
	ds_write2_b64 v98, v[52:53], v[54:55] offset0:32 offset1:48
	v_mov_b32_e32 v50, 0
	v_mov_b32_e32 v51, 0
	;; [unrolled: 1-line block ×15, first 2 shown]
	s_cbranch_vccnz .LBB242_14
; %bb.13:                               ;   in Loop: Header=BB242_6 Depth=1
	s_and_b32 s29, s29, 0xffff
	s_mov_b32 s31, s27
	buffer_load_dwordx4 v[62:65], v135, s[28:31], 0 offen
	buffer_load_dwordx4 v[54:57], v135, s[28:31], s59 offen
	buffer_load_dwordx4 v[58:61], v136, s[28:31], 0 offen
	buffer_load_dwordx4 v[50:53], v136, s[28:31], s59 offen
	v_mov_b32_e32 v143, v92
	v_mov_b32_e32 v144, v91
.LBB242_14:                             ;   in Loop: Header=BB242_6 Depth=1
	s_waitcnt lgkmcnt(0)
	s_barrier
	ds_read_b64 v[154:155], v77
	ds_read2_b64 v[146:149], v128 offset1:16
	ds_read_b64 v[170:171], v137
	ds_read_b64 v[172:173], v138
	;; [unrolled: 1-line block ×3, first 2 shown]
	ds_read2_b64 v[150:153], v128 offset0:32 offset1:48
	s_waitcnt lgkmcnt(4)
	v_mfma_f32_16x16x16_bf16 a[0:3], v[154:155], v[146:147], 0
	ds_read2st64_b64 v[158:161], v130 offset0:4 offset1:8
	ds_read2st64_b64 v[162:165], v131 offset0:4 offset1:8
	;; [unrolled: 1-line block ×3, first 2 shown]
	v_mfma_f32_16x16x16_bf16 a[4:7], v[154:155], v[148:149], 0
	s_add_i32 s25, s54, s62
	s_mul_hi_i32 s29, s25, s17
	s_mul_i32 s25, s25, s17
	s_waitcnt lgkmcnt(3)
	v_mfma_f32_16x16x16_bf16 a[8:11], v[154:155], v[150:151], 0
	s_add_u32 s28, s25, s49
	s_addc_u32 s29, s29, s50
	s_lshl_b64 s[28:29], s[28:29], 15
	v_mfma_f32_16x16x16_bf16 a[12:15], v[154:155], v[152:153], 0
	ds_read2st64_b64 v[154:157], v128 offset0:4 offset1:8
	s_waitcnt lgkmcnt(0)
	v_mfma_f32_16x16x16_bf16 a[0:3], v[170:171], v[154:155], a[0:3]
	v_mfma_f32_16x16x16_bf16 a[4:7], v[170:171], v[158:159], a[4:7]
	;; [unrolled: 1-line block ×8, first 2 shown]
	ds_read_b64 v[170:171], v128 offset:6144
	ds_read_b64 v[172:173], v129 offset:40960
	;; [unrolled: 1-line block ×8, first 2 shown]
	s_waitcnt lgkmcnt(5)
	v_mfma_f32_16x16x16_bf16 a[16:19], v[176:177], v[146:147], 0
	v_mfma_f32_16x16x16_bf16 a[20:23], v[176:177], v[148:149], 0
	ds_read2st64_b64 v[146:149], v125 offset1:8
	v_mfma_f32_16x16x16_bf16 a[24:27], v[176:177], v[150:151], 0
	v_mfma_f32_16x16x16_bf16 a[28:31], v[176:177], v[152:153], 0
	ds_read2st64_b64 v[150:153], v126 offset1:8
	v_mfma_f32_16x16x16_bf16 a[16:19], v[172:173], v[154:155], a[16:19]
	s_waitcnt lgkmcnt(1)
	v_mov_b32_e32 v154, v146
	v_mov_b32_e32 v155, v147
	v_mfma_f32_16x16x16_bf16 a[20:23], v[172:173], v[158:159], a[20:23]
	v_lshl_add_u64 v[158:159], v[82:83], 0, s[28:29]
	v_mfma_f32_16x16x16_bf16 a[24:27], v[172:173], v[162:163], a[24:27]
	v_mfma_f32_16x16x16_bf16 a[28:31], v[172:173], v[166:167], a[28:31]
	;; [unrolled: 1-line block ×3, first 2 shown]
	s_waitcnt lgkmcnt(0)
	v_mov_b32_e32 v156, v150
	v_mov_b32_e32 v157, v151
	;; [unrolled: 1-line block ×3, first 2 shown]
	v_mfma_f32_16x16x16_bf16 a[32:35], v[184:185], v[160:161], a[20:23]
	v_mov_b32_e32 v151, v149
	ds_read2st64_b64 v[146:149], v125 offset0:16 offset1:24
	global_store_dwordx4 v[158:159], v[154:157], off
	v_mfma_f32_16x16x16_bf16 a[24:27], v[184:185], v[164:165], a[24:27]
	ds_read2st64_b64 v[154:157], v126 offset0:16 offset1:24
	v_add_co_u32_e32 v160, vcc, s39, v158
	v_mfma_f32_16x16x16_bf16 a[28:31], v[184:185], v[168:169], a[28:31]
	s_nop 0
	v_addc_co_u32_e32 v161, vcc, 0, v159, vcc
	global_store_dwordx4 v[160:161], v[150:153], off offset:-4096
	v_mfma_f32_16x16x16_bf16 a[0:3], v[174:175], v[170:171], a[0:3]
	s_waitcnt lgkmcnt(1)
	v_mov_b32_e32 v150, v146
	v_add_co_u32_e32 v146, vcc, s41, v158
	v_mfma_f32_16x16x16_bf16 a[4:7], v[174:175], v[178:179], a[4:7]
	v_mov_b32_e32 v151, v147
	v_addc_co_u32_e32 v147, vcc, 0, v159, vcc
	v_mfma_f32_16x16x16_bf16 a[8:11], v[174:175], v[180:181], a[8:11]
	s_waitcnt lgkmcnt(0)
	v_mov_b32_e32 v152, v154
	v_mov_b32_e32 v153, v155
	;; [unrolled: 1-line block ×3, first 2 shown]
	v_mfma_f32_16x16x16_bf16 a[12:15], v[174:175], v[182:183], a[12:15]
	v_mov_b32_e32 v155, v149
	s_and_b64 vcc, exec, s[0:1]
	global_store_dwordx4 v[160:161], v[150:153], off
	v_mfma_f32_16x16x16_bf16 a[20:23], v[186:187], v[170:171], a[16:19]
	global_store_dwordx4 v[146:147], v[154:157], off
	v_mfma_f32_16x16x16_bf16 a[16:19], v[186:187], v[178:179], a[32:35]
	v_mfma_f32_16x16x16_bf16 a[24:27], v[186:187], v[180:181], a[24:27]
	;; [unrolled: 1-line block ×3, first 2 shown]
	s_cbranch_vccnz .LBB242_16
; %bb.15:                               ;   in Loop: Header=BB242_6 Depth=1
	v_lshrrev_b32_e32 v145, 3, v143
	v_and_b32_e32 v145, 6, v145
	v_xor_b32_e32 v144, v145, v144
	v_lshlrev_b32_e32 v144, 2, v144
	v_and_b32_e32 v143, 8, v143
	v_xor_b32_e32 v146, 0x440, v144
	v_cmp_eq_u32_e32 vcc, 0, v143
	s_barrier
	s_nop 0
	v_cndmask_b32_e32 v143, v146, v144, vcc
	v_lshl_or_b32 v143, v145, 10, v143
	s_waitcnt vmcnt(5)
	v_perm_b32 v144, v62, v58, s60
	s_waitcnt vmcnt(4)
	v_perm_b32 v145, v54, v50, s60
	ds_write2st64_b32 v143, v144, v145 offset0:128 offset1:160
	v_xor_b32_e32 v144, 8, v143
	v_perm_b32 v58, v62, v58, s61
	v_perm_b32 v50, v54, v50, s61
	v_add_u32_e32 v54, 0x80, v144
	ds_write2st64_b32 v54, v58, v50 offset0:128 offset1:160
	v_xor_b32_e32 v50, 16, v143
	v_perm_b32 v54, v63, v59, s60
	v_perm_b32 v58, v55, v51, s60
	ds_write2st64_b32 v50, v54, v58 offset0:129 offset1:161
	v_xor_b32_e32 v50, 24, v143
	v_perm_b32 v54, v63, v59, s61
	v_perm_b32 v51, v55, v51, s61
	v_add_u32_e32 v50, 0x80, v50
	ds_write2st64_b32 v50, v54, v51 offset0:129 offset1:161
	v_xor_b32_e32 v50, 32, v143
	v_perm_b32 v51, v64, v60, s60
	;; [unrolled: 9-line block ×3, first 2 shown]
	v_perm_b32 v52, v57, v53, s60
	ds_write2st64_b32 v50, v51, v52 offset0:131 offset1:163
	v_xor_b32_e32 v50, 56, v143
	v_perm_b32 v51, v65, v61, s61
	v_perm_b32 v52, v57, v53, s61
	v_add_u32_e32 v50, 0x80, v50
	ds_write2st64_b32 v50, v51, v52 offset0:131 offset1:163
	ds_write_b64 v142, v[46:47] offset:49152
	v_xor_b32_e32 v46, 8, v142
	ds_write_b64 v46, v[48:49] offset:49152
	ds_write_b64 v142, v[42:43] offset:57344
	;; [unrolled: 1-line block ×4, first 2 shown]
	v_xor_b32_e32 v38, 8, v141
	ds_write_b64 v38, v[40:41] offset:49152
	ds_write_b64 v141, v[34:35] offset:57344
	;; [unrolled: 1-line block ×3, first 2 shown]
.LBB242_16:                             ;   in Loop: Header=BB242_6 Depth=1
	s_waitcnt vmcnt(6)
	v_mul_f32_e32 v54, s24, v140
	v_exp_f32_e32 v142, v54
	v_accvgpr_read_b32 v37, a3
	v_accvgpr_read_b32 v41, a7
	;; [unrolled: 1-line block ×4, first 2 shown]
	s_waitcnt vmcnt(4)
	v_accvgpr_read_b32 v53, a23
	v_accvgpr_read_b32 v57, a19
	v_accvgpr_read_b32 v61, a27
	v_accvgpr_read_b32 v65, a31
	v_accvgpr_read_b32 v36, a2
	v_accvgpr_read_b32 v35, a1
	v_accvgpr_read_b32 v34, a0
	v_accvgpr_read_b32 v40, a6
	v_accvgpr_read_b32 v39, a5
	v_accvgpr_read_b32 v38, a4
	v_accvgpr_read_b32 v44, a10
	v_accvgpr_read_b32 v43, a9
	v_accvgpr_read_b32 v42, a8
	v_accvgpr_read_b32 v48, a14
	v_accvgpr_read_b32 v47, a13
	v_accvgpr_read_b32 v46, a12
	v_accvgpr_read_b32 v52, a22
	v_accvgpr_read_b32 v51, a21
	v_accvgpr_read_b32 v50, a20
	v_accvgpr_read_b32 v56, a18
	v_accvgpr_read_b32 v55, a17
	v_accvgpr_read_b32 v54, a16
	v_accvgpr_read_b32 v60, a26
	v_accvgpr_read_b32 v59, a25
	v_accvgpr_read_b32 v58, a24
	v_accvgpr_read_b32 v64, a30
	v_accvgpr_read_b32 v63, a29
	v_accvgpr_read_b32 v62, a28
	s_add_i32 s57, s57, 64
	v_pk_fma_f32 v[6:7], v[6:7], v[142:143], v[34:35] op_sel_hi:[1,0,1]
	v_pk_fma_f32 v[8:9], v[8:9], v[142:143], v[36:37] op_sel_hi:[1,0,1]
	v_pk_fma_f32 v[14:15], v[14:15], v[142:143], v[38:39] op_sel_hi:[1,0,1]
	v_pk_fma_f32 v[16:17], v[16:17], v[142:143], v[40:41] op_sel_hi:[1,0,1]
	v_pk_fma_f32 v[22:23], v[22:23], v[142:143], v[42:43] op_sel_hi:[1,0,1]
	v_pk_fma_f32 v[24:25], v[24:25], v[142:143], v[44:45] op_sel_hi:[1,0,1]
	v_pk_fma_f32 v[30:31], v[30:31], v[142:143], v[46:47] op_sel_hi:[1,0,1]
	v_pk_fma_f32 v[32:33], v[32:33], v[142:143], v[48:49] op_sel_hi:[1,0,1]
	v_pk_fma_f32 v[2:3], v[2:3], v[142:143], v[50:51] op_sel_hi:[1,0,1]
	v_pk_fma_f32 v[4:5], v[4:5], v[142:143], v[52:53] op_sel_hi:[1,0,1]
	v_pk_fma_f32 v[10:11], v[10:11], v[142:143], v[54:55] op_sel_hi:[1,0,1]
	v_pk_fma_f32 v[12:13], v[12:13], v[142:143], v[56:57] op_sel_hi:[1,0,1]
	v_pk_fma_f32 v[18:19], v[18:19], v[142:143], v[58:59] op_sel_hi:[1,0,1]
	v_pk_fma_f32 v[20:21], v[20:21], v[142:143], v[60:61] op_sel_hi:[1,0,1]
	v_pk_fma_f32 v[26:27], v[26:27], v[142:143], v[62:63] op_sel_hi:[1,0,1]
	s_cmp_eq_u32 s51, s63
	v_pk_fma_f32 v[28:29], v[28:29], v[142:143], v[64:65] op_sel_hi:[1,0,1]
	s_cbranch_scc1 .LBB242_18
; %bb.17:                               ;   in Loop: Header=BB242_6 Depth=1
	s_mov_b32 s62, s63
	s_branch .LBB242_6
.LBB242_18:
	s_lshl_b32 s30, s51, 6
	s_sub_i32 s31, s52, s30
	s_cmp_gt_i32 s31, 0
	s_cbranch_scc0 .LBB242_99
; %bb.19:
	s_add_i32 s30, s30, s36
	s_ashr_i32 s3, s30, 31
	s_cmpk_lg_i32 s19, 0x80
	s_cselect_b64 s[26:27], -1, 0
	s_and_b64 vcc, exec, s[26:27]
	s_cbranch_vccz .LBB242_21
; %bb.20:
	s_mul_hi_i32 s0, s30, s18
	s_mul_i32 s1, s30, s18
	s_ashr_i32 s18, s53, 31
	s_add_u32 s28, s1, s53
	s_addc_u32 s29, s0, s18
	s_cbranch_execz .LBB242_22
	s_branch .LBB242_23
.LBB242_21:
                                        ; implicit-def: $sgpr28_sgpr29
.LBB242_22:
	s_mul_i32 s1, s53, s16
	s_mul_hi_i32 s0, s53, s16
	s_add_u32 s28, s1, s30
	s_addc_u32 s29, s0, s3
.LBB242_23:
	s_add_i32 s16, s51, s54
	s_add_u32 s0, s56, s30
	v_lshlrev_b32_e32 v38, 6, v89
	v_lshlrev_b32_e32 v56, 2, v86
	s_addc_u32 s1, s55, s3
	s_mov_b32 s3, 0x7060302
	v_or_b32_e32 v41, v38, v56
	v_xor_b32_e32 v39, v89, v56
	s_waitcnt vmcnt(7)
	v_perm_b32 v35, v9, v8, s3
	v_perm_b32 v34, v7, v6, s3
	s_waitcnt vmcnt(6)
	v_perm_b32 v37, v5, v4, s3
	v_perm_b32 v36, v3, v2, s3
	v_lshlrev_b32_e32 v41, 1, v41
	v_xor_b32_e32 v40, v90, v56
	ds_write2st64_b64 v41, v[34:35], v[36:37] offset0:32 offset1:48
	v_lshlrev_b32_e32 v39, 1, v39
	v_lshlrev_b32_e32 v41, 8, v86
	v_or_b32_e32 v42, v39, v41
	v_lshlrev_b32_e32 v40, 1, v40
	ds_write_b64 v42, v[34:35]
	v_or_b32_e32 v34, v40, v41
	v_or_b32_e32 v41, 16, v86
	v_lshlrev_b32_e32 v55, 2, v41
	v_or_b32_e32 v42, v38, v55
	ds_write_b64 v34, v[36:37]
	s_waitcnt vmcnt(5)
	v_perm_b32 v35, v17, v16, s3
	v_perm_b32 v34, v15, v14, s3
	s_waitcnt vmcnt(4)
	v_perm_b32 v37, v13, v12, s3
	v_perm_b32 v36, v11, v10, s3
	v_lshlrev_b32_e32 v42, 1, v42
	v_lshlrev_b32_e32 v41, 8, v41
	ds_write2st64_b64 v42, v[34:35], v[36:37] offset0:32 offset1:48
	v_or_b32_e32 v42, v39, v41
	ds_write_b64 v42, v[34:35]
	v_or_b32_e32 v34, v40, v41
	v_or_b32_e32 v41, 32, v86
	v_lshlrev_b32_e32 v54, 2, v41
	v_or_b32_e32 v42, v38, v54
	ds_write_b64 v34, v[36:37]
	s_waitcnt vmcnt(3)
	v_perm_b32 v35, v25, v24, s3
	v_perm_b32 v34, v23, v22, s3
	s_waitcnt vmcnt(2)
	v_perm_b32 v37, v21, v20, s3
	v_perm_b32 v36, v19, v18, s3
	v_lshlrev_b32_e32 v42, 1, v42
	v_lshlrev_b32_e32 v41, 8, v41
	s_lshl_b64 s[24:25], s[0:1], 8
	ds_write2st64_b64 v42, v[34:35], v[36:37] offset0:32 offset1:48
	v_or_b32_e32 v42, v39, v41
	s_add_u32 s0, s6, s24
	ds_write_b64 v42, v[34:35]
	v_or_b32_e32 v34, v40, v41
	s_addc_u32 s1, s7, s25
	ds_write_b64 v34, v[36:37]
	s_waitcnt vmcnt(1)
	v_perm_b32 v35, v33, v32, s3
	v_perm_b32 v34, v31, v30, s3
	s_waitcnt vmcnt(0)
	v_perm_b32 v37, v29, v28, s3
	v_perm_b32 v36, v27, v26, s3
	v_or_b32_e32 v41, 48, v86
	s_mul_hi_i32 s3, s16, s17
	s_mul_i32 s16, s16, s17
	v_lshlrev_b32_e32 v51, 2, v41
	s_add_u32 s6, s16, s49
	v_or_b32_e32 v38, v38, v51
	s_addc_u32 s7, s3, s50
	v_lshlrev_b32_e32 v38, 1, v38
	s_ashr_i32 s3, s2, 31
	s_lshl_b64 s[6:7], s[6:7], 15
	ds_write2st64_b64 v38, v[34:35], v[36:37] offset0:32 offset1:48
	v_lshlrev_b32_e32 v38, 8, v41
	s_add_u32 s6, s22, s6
	v_or_b32_e32 v39, v39, v38
	s_addc_u32 s7, s23, s7
	s_lshl_b64 s[2:3], s[2:3], 8
	ds_write_b64 v39, v[34:35]
	v_or_b32_e32 v34, v40, v38
	s_add_u32 s2, s6, s2
	v_lshlrev_b32_e32 v35, 1, v86
	ds_write_b64 v34, v[36:37]
	v_lshrrev_b32_e32 v34, 4, v0
	s_addc_u32 s3, s7, s3
	v_or_b32_e32 v36, 1, v35
	v_lshlrev_b32_e32 v42, 4, v86
	v_mov_b32_e32 v43, 0
	v_xor_b32_e32 v35, v34, v35
	v_xor_b32_e32 v38, v36, v34
	v_lshl_add_u64 v[44:45], s[2:3], 0, v[42:43]
	v_lshlrev_b32_e32 v42, 8, v34
	v_lshl_or_b32 v48, v35, 3, v42
	v_lshl_or_b32 v49, v38, 3, v42
	s_waitcnt lgkmcnt(0)
	s_barrier
	ds_read2st64_b64 v[34:37], v48 offset1:8
	ds_read2st64_b64 v[38:41], v49 offset1:8
	v_lshl_add_u64 v[46:47], v[44:45], 0, v[42:43]
	s_movk_i32 s2, 0x2000
	s_cmp_lg_u32 s31, 64
	s_waitcnt lgkmcnt(1)
	v_mov_b32_e32 v42, v34
	v_mov_b32_e32 v43, v35
	s_waitcnt lgkmcnt(0)
	v_mov_b32_e32 v44, v38
	v_mov_b32_e32 v45, v39
	global_store_dwordx4 v[46:47], v[42:45], off
	v_mov_b32_e32 v38, v36
	v_mov_b32_e32 v39, v37
	ds_read2st64_b64 v[34:37], v48 offset0:16 offset1:24
	ds_read2st64_b64 v[42:45], v49 offset0:16 offset1:24
	v_add_co_u32_e32 v48, vcc, s2, v46
	s_cselect_b64 s[6:7], -1, 0
	s_nop 0
	v_addc_co_u32_e32 v49, vcc, 0, v47, vcc
	global_store_dwordx4 v[48:49], v[38:41], off offset:-4096
	v_lshl_or_b32 v62, v1, 3, v88
	s_mov_b32 s20, 0
	s_waitcnt lgkmcnt(1)
	v_mov_b32_e32 v38, v34
	v_add_co_u32_e32 v34, vcc, 0x3000, v46
	v_mov_b32_e32 v39, v35
	s_nop 0
	v_addc_co_u32_e32 v35, vcc, 0, v47, vcc
	s_waitcnt lgkmcnt(0)
	v_mov_b32_e32 v40, v42
	v_mov_b32_e32 v41, v43
	;; [unrolled: 1-line block ×4, first 2 shown]
	v_or_b32_e32 v52, 32, v62
	v_and_b32_e32 v50, 56, v87
	s_and_b64 vcc, exec, s[6:7]
	global_store_dwordx4 v[48:49], v[38:41], off
	global_store_dwordx4 v[34:35], v[42:45], off
	s_cbranch_vccz .LBB242_29
; %bb.24:
	s_mov_b32 s22, s20
	s_mov_b32 s23, s20
	;; [unrolled: 1-line block ×3, first 2 shown]
	v_mov_b64_e32 v[40:41], s[22:23]
	v_mov_b64_e32 v[38:39], s[20:21]
	;; [unrolled: 1-line block ×3, first 2 shown]
	v_cmp_gt_i32_e32 vcc, s31, v62
	v_mov_b64_e32 v[36:37], v[40:41]
	s_and_saveexec_b64 s[2:3], vcc
	s_cbranch_execz .LBB242_26
; %bb.25:
	v_lshlrev_b32_e32 v34, 8, v62
	v_mov_b32_e32 v35, 0
	v_lshl_add_u64 v[36:37], s[0:1], 0, v[34:35]
	v_lshlrev_b32_e32 v34, 1, v50
	v_lshl_add_u64 v[42:43], v[36:37], 0, v[34:35]
	global_load_dwordx4 v[38:41], v[42:43], off
	global_load_dwordx4 v[34:37], v[42:43], off offset:128
.LBB242_26:
	s_or_b64 exec, exec, s[2:3]
	s_mov_b32 s22, s20
	s_mov_b32 s23, s20
	s_mov_b32 s21, s20
	v_mov_b64_e32 v[48:49], s[22:23]
	v_mov_b64_e32 v[46:47], s[20:21]
	;; [unrolled: 1-line block ×3, first 2 shown]
	v_cmp_gt_i32_e32 vcc, s31, v52
	v_lshlrev_b32_e32 v53, 7, v52
	v_mov_b64_e32 v[44:45], v[48:49]
	s_and_saveexec_b64 s[2:3], vcc
	s_cbranch_execz .LBB242_28
; %bb.27:
	v_lshlrev_b32_e32 v42, 1, v53
	v_mov_b32_e32 v43, 0
	v_lshl_add_u64 v[44:45], s[0:1], 0, v[42:43]
	v_lshlrev_b32_e32 v42, 1, v50
	v_lshl_add_u64 v[58:59], v[44:45], 0, v[42:43]
	global_load_dwordx4 v[46:49], v[58:59], off
	global_load_dwordx4 v[42:45], v[58:59], off offset:128
.LBB242_28:
	s_or_b64 exec, exec, s[2:3]
	v_lshrrev_b32_e32 v57, 3, v50
	v_lshlrev_b32_e32 v58, 3, v62
	v_or_b32_e32 v57, v58, v57
	v_lshlrev_b32_e32 v57, 4, v57
	v_and_b32_e32 v58, 0x78, v58
	v_xor_b32_e32 v57, v57, v58
	s_branch .LBB242_31
.LBB242_29:
                                        ; implicit-def: $vgpr57
                                        ; implicit-def: $vgpr53
                                        ; implicit-def: $vgpr38_vgpr39_vgpr40_vgpr41
                                        ; implicit-def: $vgpr34_vgpr35_vgpr36_vgpr37
                                        ; implicit-def: $vgpr46_vgpr47_vgpr48_vgpr49
                                        ; implicit-def: $vgpr42_vgpr43_vgpr44_vgpr45
	s_cbranch_execz .LBB242_31
; %bb.30:
	s_waitcnt vmcnt(0)
	v_lshlrev_b32_e32 v34, 1, v50
	v_lshl_or_b32 v53, v62, 8, v34
	s_and_b32 s1, s1, 0xffff
	s_mov_b32 s3, 0x20000
	s_movk_i32 s2, 0x4000
	v_lshl_or_b32 v57, v52, 8, v34
	s_movk_i32 s16, 0x80
	buffer_load_dwordx4 v[38:41], v53, s[0:3], 0 offen
	buffer_load_dwordx4 v[34:37], v53, s[0:3], s16 offen
	;; [unrolled: 1-line block ×4, first 2 shown]
	v_lshrrev_b32_e32 v53, 3, v50
	v_lshlrev_b32_e32 v57, 3, v62
	v_or_b32_e32 v53, v57, v53
	v_lshlrev_b32_e32 v53, 4, v53
	v_and_b32_e32 v57, 0x78, v57
	v_xor_b32_e32 v57, v53, v57
	v_lshlrev_b32_e32 v53, 7, v52
.LBB242_31:
	s_movk_i32 s0, 0x1000
	v_and_or_b32 v52, v53, s0, v57
	s_waitcnt vmcnt(1)
	ds_write_b64 v57, v[38:39] offset:49152
	v_xor_b32_e32 v38, 8, v57
	ds_write_b64 v38, v[40:41] offset:49152
	s_waitcnt vmcnt(0)
	ds_write_b64 v57, v[34:35] offset:57344
	ds_write_b64 v38, v[36:37] offset:57344
	;; [unrolled: 1-line block ×3, first 2 shown]
	v_xor_b32_e32 v34, 8, v52
	ds_write_b64 v34, v[48:49] offset:49152
	ds_write_b64 v52, v[42:43] offset:57344
	;; [unrolled: 1-line block ×3, first 2 shown]
	v_or_b32_e32 v34, v84, v86
	v_lshlrev_b32_e32 v34, 3, v34
	v_lshrrev_b32_e32 v35, 5, v67
	s_movk_i32 s0, 0xf8
	v_and_or_b32 v35, v34, s0, v35
	v_lshlrev_b32_e32 v39, 4, v35
	v_lshlrev_b32_e32 v57, 11, v1
	v_and_b32_e32 v40, 0x78, v34
	v_or_b32_e32 v42, 32, v39
	v_and_b32_e32 v38, 0x1000, v57
	v_lshrrev_b32_e32 v35, 1, v67
	v_xor_b32_e32 v42, v42, v40
	v_xor_b32_e32 v34, v39, v40
	v_and_b32_e32 v41, 8, v35
	v_or_b32_e32 v42, v42, v38
	v_or_b32_e32 v34, v34, v38
	v_xor_b32_e32 v64, v42, v41
	v_or_b32_e32 v42, 64, v39
	v_xor_b32_e32 v63, v34, v41
	v_xor_b32_e32 v42, v42, v40
	s_waitcnt lgkmcnt(0)
	s_barrier
	v_or_b32_e32 v45, v42, v38
	ds_read_b64 v[42:43], v63 offset:49152
	v_lshl_or_b32 v46, v85, 8, v56
	v_lshlrev_b32_e32 v58, 1, v46
	v_add_u32_e32 v44, 0x4000, v58
	ds_read2_b64 v[34:37], v44 offset1:16
	v_or_b32_e32 v39, 0x60, v39
	v_xor_b32_e32 v39, v39, v40
	v_or_b32_e32 v38, v39, v38
	v_xor_b32_e32 v65, v45, v41
	v_xor_b32_e32 v77, v38, v41
	ds_read_b64 v[52:53], v64 offset:49152
	ds_read_b64 v[78:79], v65 offset:49152
	;; [unrolled: 1-line block ×3, first 2 shown]
	s_waitcnt lgkmcnt(3)
	v_mfma_f32_16x16x16_bf16 a[0:3], v[42:43], v[34:35], 0
	ds_read2st64_b64 v[38:41], v58 offset0:36 offset1:40
	s_lshl_b64 s[0:1], s[28:29], 8
	s_add_u32 s4, s4, s0
	v_mfma_f32_16x16x16_bf16 a[4:7], v[42:43], v[36:37], 0
	ds_read2_b64 v[34:37], v44 offset0:32 offset1:48
	s_addc_u32 s5, s5, s1
	s_add_i32 s1, s45, s33
	s_waitcnt lgkmcnt(0)
	v_mfma_f32_16x16x16_bf16 a[8:11], v[42:43], v[34:35], 0
	v_or_b32_e32 v34, 64, v46
	v_lshlrev_b32_e32 v59, 1, v34
	s_add_i32 s0, s37, -1
	v_mfma_f32_16x16x16_bf16 a[12:15], v[42:43], v[36:37], 0
	ds_read2st64_b64 v[34:37], v59 offset0:36 offset1:40
	s_add_i32 s41, s1, s44
	s_add_i32 s1, s47, s46
	v_mfma_f32_16x16x16_bf16 a[0:3], v[52:53], v[38:39], a[0:3]
	v_or_b32_e32 v38, 0x80, v46
	v_lshlrev_b32_e32 v60, 1, v38
	ds_read2st64_b64 v[42:45], v60 offset0:36 offset1:40
	s_waitcnt lgkmcnt(1)
	v_mfma_f32_16x16x16_bf16 a[4:7], v[52:53], v[34:35], a[4:7]
	v_or_b32_e32 v34, 0xc0, v46
	v_lshlrev_b32_e32 v61, 1, v34
	ds_read2st64_b64 v[46:49], v61 offset0:36 offset1:40
	s_add_i32 s39, s1, s48
	s_ashr_i32 s1, s0, 31
	s_mul_i32 s2, s0, s35
	s_mul_hi_u32 s3, s0, s34
	s_add_i32 s2, s3, s2
	s_mul_i32 s1, s1, s34
	s_waitcnt lgkmcnt(1)
	v_mfma_f32_16x16x16_bf16 a[8:11], v[52:53], v[42:43], a[8:11]
	s_add_i32 s1, s2, s1
	s_lshl_b64 s[2:3], s[40:41], 2
	s_add_u32 s10, s10, s2
	s_waitcnt lgkmcnt(0)
	v_mfma_f32_16x16x16_bf16 a[12:15], v[52:53], v[46:47], a[12:15]
	s_addc_u32 s11, s11, s3
	s_lshl_b64 s[2:3], s[38:39], 2
	s_mul_i32 s0, s0, s34
	v_mfma_f32_16x16x16_bf16 a[0:3], v[78:79], v[40:41], a[0:3]
	ds_read_b64 v[34:35], v58 offset:22528
	s_add_u32 s10, s10, s2
	s_addc_u32 s11, s11, s3
	v_mfma_f32_16x16x16_bf16 a[4:7], v[78:79], v[36:37], a[4:7]
	ds_read_b64 v[36:37], v59 offset:22528
	ds_read_b64 v[38:39], v60 offset:22528
	;; [unrolled: 1-line block ×3, first 2 shown]
	s_lshl_b64 s[0:1], s[0:1], 2
	s_add_u32 s0, s10, s0
	v_mfma_f32_16x16x16_bf16 a[8:11], v[78:79], v[44:45], a[8:11]
	s_addc_u32 s1, s11, s1
	s_load_dword s16, s[0:1], 0x0
	s_and_b64 vcc, exec, s[26:27]
	v_mfma_f32_16x16x16_bf16 a[12:15], v[78:79], v[48:49], a[12:15]
	s_waitcnt lgkmcnt(0)
	v_mfma_f32_16x16x16_bf16 a[0:3], v[80:81], v[34:35], a[0:3]
	v_mfma_f32_16x16x16_bf16 a[4:7], v[80:81], v[36:37], a[4:7]
	;; [unrolled: 1-line block ×4, first 2 shown]
	s_cbranch_vccz .LBB242_42
; %bb.32:
	v_lshlrev_b32_e32 v52, 1, v62
	s_and_b64 vcc, exec, s[6:7]
	s_cbranch_vccz .LBB242_43
; %bb.33:
	v_cmp_gt_i32_e32 vcc, s31, v52
	v_mov_b32_e32 v38, 0
	v_mov_b32_e32 v34, 0
	;; [unrolled: 1-line block ×5, first 2 shown]
	s_and_saveexec_b64 s[0:1], vcc
	s_cbranch_execz .LBB242_35
; %bb.34:
	v_mad_i64_i32 v[34:35], s[2:3], s19, v52, 0
	v_lshl_add_u64 v[34:35], v[34:35], 1, s[4:5]
	v_lshlrev_b32_e32 v36, 1, v50
	v_mov_b32_e32 v37, 0
	v_lshl_add_u64 v[34:35], v[34:35], 0, v[36:37]
	global_load_dwordx4 v[34:37], v[34:35], off
.LBB242_35:
	s_or_b64 exec, exec, s[0:1]
	v_or_b32_e32 v53, 1, v52
	v_cmp_gt_i32_e64 s[0:1], s31, v53
	v_mov_b32_e32 v39, 0
	v_mov_b32_e32 v40, 0
	v_mov_b32_e32 v41, 0
	s_and_saveexec_b64 s[2:3], s[0:1]
	s_cbranch_execz .LBB242_37
; %bb.36:
	v_mad_i64_i32 v[38:39], s[20:21], s19, v53, 0
	v_lshl_add_u64 v[38:39], v[38:39], 1, s[4:5]
	v_lshlrev_b32_e32 v40, 1, v50
	v_mov_b32_e32 v41, 0
	v_lshl_add_u64 v[38:39], v[38:39], 0, v[40:41]
	global_load_dwordx4 v[38:41], v[38:39], off
.LBB242_37:
	s_or_b64 exec, exec, s[2:3]
	v_mov_b32_e32 v49, 0
	v_mov_b32_e32 v42, 0
	;; [unrolled: 1-line block ×5, first 2 shown]
	s_and_saveexec_b64 s[2:3], vcc
	s_cbranch_execz .LBB242_39
; %bb.38:
	v_mad_i64_i32 v[42:43], s[20:21], s19, v52, 0
	v_lshl_add_u64 v[42:43], v[42:43], 1, s[4:5]
	v_lshlrev_b32_e32 v44, 1, v50
	v_mov_b32_e32 v45, 0
	v_lshl_add_u64 v[42:43], v[42:43], 0, v[44:45]
	global_load_dwordx4 v[42:45], v[42:43], off offset:128
.LBB242_39:
	s_or_b64 exec, exec, s[2:3]
	v_mov_b32_e32 v48, 0
	v_mov_b32_e32 v47, 0
	;; [unrolled: 1-line block ×3, first 2 shown]
	s_and_saveexec_b64 s[2:3], s[0:1]
	s_cbranch_execz .LBB242_41
; %bb.40:
	v_mad_i64_i32 v[46:47], s[0:1], s19, v53, 0
	v_lshl_add_u64 v[46:47], v[46:47], 1, s[4:5]
	v_lshlrev_b32_e32 v48, 1, v50
	v_mov_b32_e32 v49, 0
	v_lshl_add_u64 v[46:47], v[46:47], 0, v[48:49]
	global_load_dwordx4 v[46:49], v[46:47], off offset:128
.LBB242_41:
	s_or_b64 exec, exec, s[2:3]
	s_branch .LBB242_45
.LBB242_42:
                                        ; implicit-def: $vgpr37
                                        ; implicit-def: $vgpr41
                                        ; implicit-def: $vgpr45
                                        ; implicit-def: $vgpr49
	v_lshrrev_b32_e32 v67, 2, v67
	s_branch .LBB242_46
.LBB242_43:
                                        ; implicit-def: $vgpr37
                                        ; implicit-def: $vgpr41
                                        ; implicit-def: $vgpr45
                                        ; implicit-def: $vgpr49
	s_cbranch_execz .LBB242_45
; %bb.44:
	s_waitcnt vmcnt(0)
	v_mad_u64_u32 v[34:35], s[0:1], v52, s19, v[50:51]
	v_lshlrev_b32_e32 v52, 1, v34
	s_lshl_b32 s2, s19, 7
	s_and_b32 s1, s5, 0xffff
	s_mov_b32 s3, 0x20000
	s_mov_b32 s0, s4
	v_add_lshl_u32 v53, v34, s19, 1
	s_movk_i32 s17, 0x80
	buffer_load_dwordx4 v[34:37], v52, s[0:3], 0 offen
	buffer_load_dwordx4 v[42:45], v52, s[0:3], s17 offen
	;; [unrolled: 1-line block ×4, first 2 shown]
.LBB242_45:
	v_lshrrev_b32_e32 v67, 2, v67
	s_cbranch_execnz .LBB242_58
.LBB242_46:
	s_and_b64 vcc, exec, s[6:7]
	s_cbranch_vccz .LBB242_56
; %bb.47:
	s_waitcnt vmcnt(0)
	v_lshlrev_b32_e32 v39, 1, v62
	v_cmp_gt_i32_e32 vcc, s31, v39
	v_mov_b32_e32 v38, 0
	v_lshlrev_b32_e32 v46, 9, v62
	v_mov_b32_e32 v34, 0
	v_mov_b32_e32 v35, 0
	;; [unrolled: 1-line block ×4, first 2 shown]
	s_and_saveexec_b64 s[0:1], vcc
	s_cbranch_execz .LBB242_49
; %bb.48:
	v_mov_b32_e32 v47, 0
	v_lshl_add_u64 v[34:35], s[4:5], 0, v[46:47]
	v_lshlrev_b32_e32 v36, 1, v50
	v_mov_b32_e32 v37, v47
	v_lshl_add_u64 v[34:35], v[34:35], 0, v[36:37]
	global_load_dwordx4 v[34:37], v[34:35], off
.LBB242_49:
	s_or_b64 exec, exec, s[0:1]
	v_or_b32_e32 v39, 1, v39
	v_cmp_gt_i32_e64 s[0:1], s31, v39
	v_lshlrev_b32_e32 v52, 8, v39
	v_mov_b32_e32 v39, 0
	v_mov_b32_e32 v40, 0
	;; [unrolled: 1-line block ×3, first 2 shown]
	s_and_saveexec_b64 s[2:3], s[0:1]
	s_cbranch_execz .LBB242_51
; %bb.50:
	v_mov_b32_e32 v53, 0
	v_lshl_add_u64 v[38:39], s[4:5], 0, v[52:53]
	v_lshlrev_b32_e32 v40, 1, v50
	v_mov_b32_e32 v41, v53
	v_lshl_add_u64 v[38:39], v[38:39], 0, v[40:41]
	global_load_dwordx4 v[38:41], v[38:39], off
.LBB242_51:
	s_or_b64 exec, exec, s[2:3]
	v_mov_b32_e32 v49, 0
	v_mov_b32_e32 v42, 0
	;; [unrolled: 1-line block ×5, first 2 shown]
	s_and_saveexec_b64 s[2:3], vcc
	s_cbranch_execz .LBB242_53
; %bb.52:
	v_mov_b32_e32 v47, 0
	v_lshl_add_u64 v[42:43], s[4:5], 0, v[46:47]
	v_lshlrev_b32_e32 v46, 1, v50
	v_lshl_add_u64 v[42:43], v[42:43], 0, v[46:47]
	global_load_dwordx4 v[42:45], v[42:43], off offset:128
.LBB242_53:
	s_or_b64 exec, exec, s[2:3]
	v_mov_b32_e32 v48, 0
	v_mov_b32_e32 v47, 0
	;; [unrolled: 1-line block ×3, first 2 shown]
	s_and_saveexec_b64 s[2:3], s[0:1]
	s_cbranch_execz .LBB242_55
; %bb.54:
	v_mov_b32_e32 v53, 0
	v_lshl_add_u64 v[46:47], s[4:5], 0, v[52:53]
	v_lshlrev_b32_e32 v52, 1, v50
	v_lshl_add_u64 v[46:47], v[46:47], 0, v[52:53]
	global_load_dwordx4 v[46:49], v[46:47], off offset:128
.LBB242_55:
	s_or_b64 exec, exec, s[2:3]
	s_branch .LBB242_58
.LBB242_56:
                                        ; implicit-def: $vgpr37
                                        ; implicit-def: $vgpr41
                                        ; implicit-def: $vgpr45
                                        ; implicit-def: $vgpr49
	s_cbranch_execz .LBB242_58
; %bb.57:
	s_waitcnt vmcnt(0)
	v_lshlrev_b32_e32 v34, 1, v50
	v_lshl_or_b32 v50, v62, 9, v34
	s_and_b32 s5, s5, 0xffff
	s_mov_b32 s7, 0x20000
	s_movk_i32 s6, 0x4000
	s_movk_i32 s0, 0x80
	buffer_load_dwordx4 v[34:37], v50, s[4:7], 0 offen
	buffer_load_dwordx4 v[38:41], v50, s[4:7], 0 offen offset:256
	buffer_load_dwordx4 v[42:45], v50, s[4:7], s0 offen
	buffer_load_dwordx4 v[46:49], v50, s[4:7], s0 offen offset:256
.LBB242_58:
	ds_read_b64 v[52:53], v63 offset:57344
	v_add_u32_e32 v50, 0x6000, v58
	ds_read2_b64 v[78:81], v50 offset1:16
	ds_read_b64 v[82:83], v64 offset:57344
	ds_read_b64 v[64:65], v65 offset:57344
	;; [unrolled: 1-line block ×3, first 2 shown]
	ds_read2st64_b64 v[86:89], v58 offset0:52 offset1:56
	v_and_b32_e32 v63, 1, v0
	v_cmp_eq_u32_e32 vcc, 0, v63
	s_mov_b32 s0, 0x1000504
	s_waitcnt vmcnt(0)
	v_perm_b32 v63, v42, v46, s0
	s_mov_b32 s1, 0x3020706
	s_waitcnt lgkmcnt(4)
	v_mfma_f32_16x16x16_bf16 a[0:3], v[52:53], v[78:79], a[0:3]
	v_mfma_f32_16x16x16_bf16 a[4:7], v[52:53], v[80:81], a[4:7]
	ds_read2_b64 v[78:81], v50 offset0:32 offset1:48
	v_and_b32_e32 v50, 6, v0
	v_xor_b32_e32 v62, v62, v50
	s_waitcnt lgkmcnt(0)
	v_mfma_f32_16x16x16_bf16 a[8:11], v[52:53], v[78:79], a[8:11]
	v_lshlrev_b32_e32 v62, 2, v62
	v_xor_b32_e32 v77, 0x440, v62
	v_cndmask_b32_e32 v62, v77, v62, vcc
	v_mfma_f32_16x16x16_bf16 a[12:15], v[52:53], v[80:81], a[12:15]
	ds_read2st64_b64 v[78:81], v59 offset0:52 offset1:56
	ds_read2st64_b64 v[90:93], v60 offset0:52 offset1:56
	;; [unrolled: 1-line block ×3, first 2 shown]
	v_lshl_or_b32 v50, v50, 10, v62
	v_perm_b32 v62, v34, v38, s0
	v_mfma_f32_16x16x16_bf16 a[0:3], v[82:83], v[86:87], a[0:3]
	ds_read_b64 v[52:53], v58 offset:30720
	ds_read_b64 v[86:87], v59 offset:30720
	;; [unrolled: 1-line block ×4, first 2 shown]
	ds_write2st64_b32 v50, v62, v63 offset0:128 offset1:160
	v_xor_b32_e32 v62, 8, v50
	s_waitcnt lgkmcnt(7)
	v_mfma_f32_16x16x16_bf16 a[4:7], v[82:83], v[78:79], a[4:7]
	v_perm_b32 v34, v34, v38, s1
	v_perm_b32 v38, v42, v46, s1
	v_add_u32_e32 v42, 0x80, v62
	s_waitcnt lgkmcnt(6)
	v_mfma_f32_16x16x16_bf16 a[8:11], v[82:83], v[90:91], a[8:11]
	ds_write2st64_b32 v42, v34, v38 offset0:128 offset1:160
	v_xor_b32_e32 v34, 16, v50
	v_perm_b32 v38, v35, v39, s0
	s_waitcnt lgkmcnt(6)
	v_mfma_f32_16x16x16_bf16 a[12:15], v[82:83], v[94:95], a[12:15]
	v_perm_b32 v42, v43, v47, s0
	ds_write2st64_b32 v34, v38, v42 offset0:129 offset1:161
	v_xor_b32_e32 v34, 24, v50
	v_mfma_f32_16x16x16_bf16 a[0:3], v[64:65], v[88:89], a[0:3]
	v_perm_b32 v35, v35, v39, s1
	v_perm_b32 v38, v43, v47, s1
	v_add_u32_e32 v34, 0x80, v34
	v_mfma_f32_16x16x16_bf16 a[4:7], v[64:65], v[80:81], a[4:7]
	ds_write2st64_b32 v34, v35, v38 offset0:129 offset1:161
	v_xor_b32_e32 v34, 32, v50
	v_perm_b32 v35, v36, v40, s0
	v_mfma_f32_16x16x16_bf16 a[16:19], v[64:65], v[92:93], a[8:11]
	v_perm_b32 v38, v44, v48, s0
	ds_write2st64_b32 v34, v35, v38 offset0:130 offset1:162
	v_xor_b32_e32 v34, 40, v50
	v_mfma_f32_16x16x16_bf16 a[20:23], v[64:65], v[96:97], a[12:15]
	v_perm_b32 v35, v36, v40, s1
	v_perm_b32 v36, v44, v48, s1
	v_add_u32_e32 v34, 0x80, v34
	s_waitcnt lgkmcnt(8)
	v_mfma_f32_16x16x16_bf16 a[12:15], v[98:99], v[52:53], a[0:3]
	ds_write2st64_b32 v34, v35, v36 offset0:130 offset1:162
	v_xor_b32_e32 v34, 48, v50
	v_perm_b32 v35, v37, v41, s0
	s_waitcnt lgkmcnt(8)
	v_mfma_f32_16x16x16_bf16 a[8:11], v[98:99], v[86:87], a[4:7]
	v_perm_b32 v36, v45, v49, s0
	ds_write2st64_b32 v34, v35, v36 offset0:131 offset1:163
	v_xor_b32_e32 v34, 56, v50
	s_waitcnt lgkmcnt(8)
	v_mfma_f32_16x16x16_bf16 a[4:7], v[98:99], v[100:101], a[16:19]
	v_and_or_b32 v53, v67, 12, v84
	v_perm_b32 v35, v37, v41, s1
	v_perm_b32 v36, v45, v49, s1
	s_waitcnt lgkmcnt(7)
	v_mfma_f32_16x16x16_bf16 a[0:3], v[98:99], v[102:103], a[20:23]
	v_add_u32_e32 v34, 0x80, v34
	v_cmp_gt_i32_e32 vcc, s31, v53
	v_mov_b32_e32 v48, 0
	v_mov_b32_e32 v50, 0
	ds_write2st64_b32 v34, v35, v36 offset0:131 offset1:163
	s_and_saveexec_b64 s[0:1], vcc
	s_cbranch_execz .LBB242_60
; %bb.59:
	v_add_u32_e32 v34, s30, v53
	v_ashrrev_i32_e32 v35, 31, v34
	v_mul_lo_u32 v36, v35, s34
	v_mul_lo_u32 v37, v34, s35
	v_mad_u64_u32 v[34:35], s[2:3], v34, s34, 0
	v_add3_u32 v35, v35, v37, v36
	v_lshl_add_u64 v[34:35], v[34:35], 2, s[10:11]
	global_load_dword v34, v[34:35], off
	s_waitcnt vmcnt(0)
	v_sub_f32_e32 v34, s16, v34
	v_mul_f32_e32 v34, 0x3fb8aa3b, v34
	v_exp_f32_e32 v50, v34
.LBB242_60:
	s_or_b64 exec, exec, s[0:1]
	v_or_b32_e32 v40, 1, v53
	v_cmp_gt_i32_e64 s[0:1], s31, v40
	s_and_saveexec_b64 s[2:3], s[0:1]
	s_cbranch_execz .LBB242_62
; %bb.61:
	v_add_u32_e32 v34, s30, v40
	v_ashrrev_i32_e32 v35, 31, v34
	v_mul_lo_u32 v36, v35, s34
	v_mul_lo_u32 v37, v34, s35
	v_mad_u64_u32 v[34:35], s[4:5], v34, s34, 0
	v_add3_u32 v35, v35, v37, v36
	v_lshl_add_u64 v[34:35], v[34:35], 2, s[10:11]
	global_load_dword v34, v[34:35], off
	s_waitcnt vmcnt(0)
	v_sub_f32_e32 v34, s16, v34
	v_mul_f32_e32 v34, 0x3fb8aa3b, v34
	v_exp_f32_e32 v48, v34
.LBB242_62:
	s_or_b64 exec, exec, s[2:3]
	v_or_b32_e32 v41, 2, v53
	v_cmp_gt_i32_e64 s[2:3], s31, v41
	v_mov_b32_e32 v49, 0
	v_mov_b32_e32 v52, 0
	s_and_saveexec_b64 s[4:5], s[2:3]
	s_cbranch_execz .LBB242_64
; %bb.63:
	v_add_u32_e32 v34, s30, v41
	v_ashrrev_i32_e32 v35, 31, v34
	v_mul_lo_u32 v36, v35, s34
	v_mul_lo_u32 v37, v34, s35
	v_mad_u64_u32 v[34:35], s[6:7], v34, s34, 0
	v_add3_u32 v35, v35, v37, v36
	v_lshl_add_u64 v[34:35], v[34:35], 2, s[10:11]
	global_load_dword v34, v[34:35], off
	s_waitcnt vmcnt(0)
	v_sub_f32_e32 v34, s16, v34
	v_mul_f32_e32 v34, 0x3fb8aa3b, v34
	v_exp_f32_e32 v52, v34
.LBB242_64:
	s_or_b64 exec, exec, s[4:5]
	v_or_b32_e32 v62, 3, v53
	v_cmp_gt_i32_e64 s[4:5], s31, v62
	s_and_saveexec_b64 s[6:7], s[4:5]
	s_cbranch_execz .LBB242_66
; %bb.65:
	v_add_u32_e32 v34, s30, v62
	v_ashrrev_i32_e32 v35, 31, v34
	v_mul_lo_u32 v36, v35, s34
	v_mul_lo_u32 v37, v34, s35
	v_mad_u64_u32 v[34:35], s[18:19], v34, s34, 0
	v_add3_u32 v35, v35, v37, v36
	v_lshl_add_u64 v[34:35], v[34:35], 2, s[10:11]
	global_load_dword v34, v[34:35], off
	s_waitcnt vmcnt(0)
	v_sub_f32_e32 v34, s16, v34
	v_mul_f32_e32 v34, 0x3fb8aa3b, v34
	v_exp_f32_e32 v49, v34
.LBB242_66:
	s_or_b64 exec, exec, s[6:7]
	s_add_u32 s6, s8, s24
	v_accvgpr_read_b32 v37, a15
	s_addc_u32 s7, s9, s25
	v_ashrrev_i32_e32 v77, 31, v76
	v_accvgpr_read_b32 v36, a14
	v_accvgpr_read_b32 v35, a13
	;; [unrolled: 1-line block ×3, first 2 shown]
	v_lshl_add_u64 v[38:39], v[76:77], 1, s[6:7]
	v_mov_b32_e32 v45, 0
	v_lshlrev_b32_e32 v42, 8, v53
	v_mov_b32_e32 v43, 0
	s_and_saveexec_b64 s[6:7], vcc
	s_cbranch_execz .LBB242_68
; %bb.67:
	v_mov_b32_e32 v43, 0
	v_lshl_add_u64 v[46:47], v[38:39], 0, v[42:43]
	global_load_ushort v43, v[46:47], off
	s_waitcnt vmcnt(0)
	v_lshlrev_b32_e32 v43, 16, v43
	v_sub_f32_e32 v34, v43, v34
	v_mul_f32_e32 v34, v50, v34
	v_lshrrev_b32_e32 v43, 16, v34
.LBB242_68:
	s_or_b64 exec, exec, s[6:7]
	v_lshlrev_b32_e32 v44, 8, v40
	s_and_saveexec_b64 s[6:7], s[0:1]
	s_cbranch_execz .LBB242_70
; %bb.69:
	v_mov_b32_e32 v45, 0
	v_lshl_add_u64 v[46:47], v[38:39], 0, v[44:45]
	global_load_ushort v34, v[46:47], off
	s_waitcnt vmcnt(0)
	v_lshlrev_b32_e32 v34, 16, v34
	v_sub_f32_e32 v34, v34, v35
	v_mul_f32_e32 v34, v48, v34
	v_lshrrev_b32_e32 v45, 16, v34
.LBB242_70:
	s_or_b64 exec, exec, s[6:7]
	v_mov_b32_e32 v63, 0
	v_lshlrev_b32_e32 v46, 8, v41
	v_mov_b32_e32 v47, 0
	s_and_saveexec_b64 s[6:7], s[2:3]
	s_cbranch_execz .LBB242_72
; %bb.71:
	v_mov_b32_e32 v47, 0
	v_lshl_add_u64 v[34:35], v[38:39], 0, v[46:47]
	global_load_ushort v34, v[34:35], off
	s_waitcnt vmcnt(0)
	v_lshlrev_b32_e32 v34, 16, v34
	v_sub_f32_e32 v34, v34, v36
	v_mul_f32_e32 v34, v52, v34
	v_lshrrev_b32_e32 v47, 16, v34
.LBB242_72:
	s_or_b64 exec, exec, s[6:7]
	v_lshlrev_b32_e32 v40, 8, v62
	s_and_saveexec_b64 s[6:7], s[4:5]
	s_cbranch_execz .LBB242_74
; %bb.73:
	v_mov_b32_e32 v41, 0
	v_lshl_add_u64 v[34:35], v[38:39], 0, v[40:41]
	global_load_ushort v34, v[34:35], off
	s_waitcnt vmcnt(0)
	v_lshlrev_b32_e32 v34, 16, v34
	v_sub_f32_e32 v34, v34, v37
	v_mul_f32_e32 v34, v49, v34
	v_lshrrev_b32_e32 v63, 16, v34
.LBB242_74:
	s_or_b64 exec, exec, s[6:7]
	v_lshlrev_b32_e32 v53, 6, v53
	v_accvgpr_read_b32 v37, a11
	s_mov_b32 s6, 0x5040100
	v_or_b32_e32 v41, v53, v56
	v_accvgpr_read_b32 v36, a10
	v_accvgpr_read_b32 v35, a9
	;; [unrolled: 1-line block ×3, first 2 shown]
	v_perm_b32 v63, v63, v47, s6
	v_perm_b32 v62, v45, v43, s6
	v_lshlrev_b32_e32 v41, 1, v41
	v_mov_b32_e32 v45, 0
	v_mov_b32_e32 v43, 0
	ds_write_b64 v41, v[62:63] offset:24576
	s_and_saveexec_b64 s[6:7], vcc
	s_cbranch_execz .LBB242_76
; %bb.75:
	v_mov_b32_e32 v43, 0
	v_lshl_add_u64 v[62:63], v[38:39], 0, v[42:43]
	global_load_ushort v41, v[62:63], off offset:32
	s_waitcnt vmcnt(0)
	v_lshlrev_b32_e32 v41, 16, v41
	v_sub_f32_e32 v34, v41, v34
	v_mul_f32_e32 v34, v50, v34
	v_lshrrev_b32_e32 v43, 16, v34
.LBB242_76:
	s_or_b64 exec, exec, s[6:7]
	s_and_saveexec_b64 s[6:7], s[0:1]
	s_cbranch_execz .LBB242_78
; %bb.77:
	v_mov_b32_e32 v45, 0
	v_lshl_add_u64 v[62:63], v[38:39], 0, v[44:45]
	global_load_ushort v34, v[62:63], off offset:32
	s_waitcnt vmcnt(0)
	v_lshlrev_b32_e32 v34, 16, v34
	v_sub_f32_e32 v34, v34, v35
	v_mul_f32_e32 v34, v48, v34
	v_lshrrev_b32_e32 v45, 16, v34
.LBB242_78:
	s_or_b64 exec, exec, s[6:7]
	v_mov_b32_e32 v41, 0
	v_mov_b32_e32 v47, 0
	s_and_saveexec_b64 s[6:7], s[2:3]
	s_cbranch_execz .LBB242_80
; %bb.79:
	v_mov_b32_e32 v47, 0
	v_lshl_add_u64 v[34:35], v[38:39], 0, v[46:47]
	global_load_ushort v34, v[34:35], off offset:32
	s_waitcnt vmcnt(0)
	v_lshlrev_b32_e32 v34, 16, v34
	v_sub_f32_e32 v34, v34, v36
	v_mul_f32_e32 v34, v52, v34
	v_lshrrev_b32_e32 v47, 16, v34
.LBB242_80:
	s_or_b64 exec, exec, s[6:7]
	s_and_saveexec_b64 s[6:7], s[4:5]
	s_cbranch_execz .LBB242_82
; %bb.81:
	v_mov_b32_e32 v41, 0
	v_lshl_add_u64 v[34:35], v[38:39], 0, v[40:41]
	global_load_ushort v34, v[34:35], off offset:32
	s_waitcnt vmcnt(0)
	v_lshlrev_b32_e32 v34, 16, v34
	v_sub_f32_e32 v34, v34, v37
	v_mul_f32_e32 v34, v49, v34
	v_lshrrev_b32_e32 v41, 16, v34
.LBB242_82:
	s_or_b64 exec, exec, s[6:7]
	s_mov_b32 s6, 0x5040100
	v_accvgpr_read_b32 v37, a7
	v_perm_b32 v63, v41, v47, s6
	v_or_b32_e32 v41, v53, v55
	v_accvgpr_read_b32 v36, a6
	v_accvgpr_read_b32 v35, a5
	;; [unrolled: 1-line block ×3, first 2 shown]
	v_perm_b32 v62, v45, v43, s6
	v_lshlrev_b32_e32 v41, 1, v41
	v_mov_b32_e32 v45, 0
	v_mov_b32_e32 v43, 0
	ds_write_b64 v41, v[62:63] offset:24576
	s_and_saveexec_b64 s[6:7], vcc
	s_cbranch_execz .LBB242_84
; %bb.83:
	v_mov_b32_e32 v43, 0
	v_lshl_add_u64 v[62:63], v[38:39], 0, v[42:43]
	global_load_ushort v41, v[62:63], off offset:64
	s_waitcnt vmcnt(0)
	v_lshlrev_b32_e32 v41, 16, v41
	v_sub_f32_e32 v34, v41, v34
	v_mul_f32_e32 v34, v50, v34
	v_lshrrev_b32_e32 v43, 16, v34
.LBB242_84:
	s_or_b64 exec, exec, s[6:7]
	s_and_saveexec_b64 s[6:7], s[0:1]
	s_cbranch_execz .LBB242_86
; %bb.85:
	v_mov_b32_e32 v45, 0
	v_lshl_add_u64 v[62:63], v[38:39], 0, v[44:45]
	global_load_ushort v34, v[62:63], off offset:64
	s_waitcnt vmcnt(0)
	v_lshlrev_b32_e32 v34, 16, v34
	v_sub_f32_e32 v34, v34, v35
	v_mul_f32_e32 v34, v48, v34
	v_lshrrev_b32_e32 v45, 16, v34
.LBB242_86:
	s_or_b64 exec, exec, s[6:7]
	v_mov_b32_e32 v41, 0
	v_mov_b32_e32 v47, 0
	s_and_saveexec_b64 s[6:7], s[2:3]
	s_cbranch_execz .LBB242_88
; %bb.87:
	v_mov_b32_e32 v47, 0
	v_lshl_add_u64 v[34:35], v[38:39], 0, v[46:47]
	global_load_ushort v34, v[34:35], off offset:64
	s_waitcnt vmcnt(0)
	v_lshlrev_b32_e32 v34, 16, v34
	v_sub_f32_e32 v34, v34, v36
	v_mul_f32_e32 v34, v52, v34
	v_lshrrev_b32_e32 v47, 16, v34
.LBB242_88:
	s_or_b64 exec, exec, s[6:7]
	s_and_saveexec_b64 s[6:7], s[4:5]
	s_cbranch_execz .LBB242_90
; %bb.89:
	v_mov_b32_e32 v41, 0
	v_lshl_add_u64 v[34:35], v[38:39], 0, v[40:41]
	global_load_ushort v34, v[34:35], off offset:64
	s_waitcnt vmcnt(0)
	v_lshlrev_b32_e32 v34, 16, v34
	v_sub_f32_e32 v34, v34, v37
	v_mul_f32_e32 v34, v49, v34
	v_lshrrev_b32_e32 v41, 16, v34
.LBB242_90:
	s_or_b64 exec, exec, s[6:7]
	s_mov_b32 s6, 0x5040100
	v_accvgpr_read_b32 v37, a3
	v_perm_b32 v63, v41, v47, s6
	v_or_b32_e32 v41, v53, v54
	v_accvgpr_read_b32 v36, a2
	v_accvgpr_read_b32 v35, a1
	;; [unrolled: 1-line block ×3, first 2 shown]
	v_perm_b32 v62, v45, v43, s6
	v_lshlrev_b32_e32 v41, 1, v41
	v_mov_b32_e32 v45, 0
	v_mov_b32_e32 v43, 0
	ds_write_b64 v41, v[62:63] offset:24576
	s_and_saveexec_b64 s[6:7], vcc
	s_cbranch_execz .LBB242_92
; %bb.91:
	v_mov_b32_e32 v43, 0
	v_lshl_add_u64 v[42:43], v[38:39], 0, v[42:43]
	global_load_ushort v41, v[42:43], off offset:96
	s_waitcnt vmcnt(0)
	v_lshlrev_b32_e32 v41, 16, v41
	v_sub_f32_e32 v34, v41, v34
	v_mul_f32_e32 v34, v50, v34
	v_lshrrev_b32_e32 v43, 16, v34
.LBB242_92:
	s_or_b64 exec, exec, s[6:7]
	s_and_saveexec_b64 s[6:7], s[0:1]
	s_cbranch_execz .LBB242_94
; %bb.93:
	v_mov_b32_e32 v45, 0
	v_lshl_add_u64 v[44:45], v[38:39], 0, v[44:45]
	global_load_ushort v34, v[44:45], off offset:96
	s_waitcnt vmcnt(0)
	v_lshlrev_b32_e32 v34, 16, v34
	v_sub_f32_e32 v34, v34, v35
	v_mul_f32_e32 v34, v48, v34
	v_lshrrev_b32_e32 v45, 16, v34
.LBB242_94:
	s_or_b64 exec, exec, s[6:7]
	v_mov_b32_e32 v41, 0
	v_mov_b32_e32 v44, 0
	s_and_saveexec_b64 s[0:1], s[2:3]
	s_cbranch_execz .LBB242_96
; %bb.95:
	v_mov_b32_e32 v47, 0
	v_lshl_add_u64 v[34:35], v[38:39], 0, v[46:47]
	global_load_ushort v34, v[34:35], off offset:96
	s_waitcnt vmcnt(0)
	v_lshlrev_b32_e32 v34, 16, v34
	v_sub_f32_e32 v34, v34, v36
	v_mul_f32_e32 v34, v52, v34
	v_lshrrev_b32_e32 v44, 16, v34
.LBB242_96:
	s_or_b64 exec, exec, s[0:1]
	v_or_b32_e32 v42, 0x6000, v58
	v_or_b32_e32 v36, 0x6000, v59
	;; [unrolled: 1-line block ×4, first 2 shown]
	s_and_saveexec_b64 s[0:1], s[4:5]
	s_cbranch_execz .LBB242_98
; %bb.97:
	v_mov_b32_e32 v41, 0
	v_lshl_add_u64 v[38:39], v[38:39], 0, v[40:41]
	global_load_ushort v38, v[38:39], off offset:96
	s_waitcnt vmcnt(0)
	v_lshlrev_b32_e32 v38, 16, v38
	v_sub_f32_e32 v37, v38, v37
	v_mul_f32_e32 v37, v49, v37
	v_lshrrev_b32_e32 v41, 16, v37
.LBB242_98:
	s_or_b64 exec, exec, s[0:1]
	s_mov_b32 s0, 0x5040100
	v_or_b32_e32 v37, v53, v51
	v_perm_b32 v39, v41, v44, s0
	v_perm_b32 v38, v45, v43, s0
	v_lshlrev_b32_e32 v37, 1, v37
	s_movk_i32 s0, 0x100
	ds_write_b64 v37, v[38:39] offset:24576
	v_and_b32_e32 v37, 7, v0
	v_and_b32_e32 v38, 8, v0
	v_cmp_gt_u32_e32 vcc, s0, v0
	v_lshrrev_b32_e32 v0, 1, v0
	v_lshlrev_b32_e32 v67, 3, v1
	v_and_b32_e32 v78, 24, v0
	v_mov_b32_e32 v39, 0xa000
	v_mov_b32_e32 v40, 0x8000
	v_xor_b32_e32 v0, v67, v78
	v_or_b32_e32 v48, 32, v78
	v_cndmask_b32_e32 v56, v39, v40, vcc
	v_or_b32_e32 v1, 0x440, v0
	v_cmp_eq_u32_e32 vcc, 0, v38
	v_xor_b32_e32 v48, v67, v48
	v_or_b32_e32 v49, 0x440, v48
	v_cndmask_b32_e32 v0, v1, v0, vcc
	v_lshlrev_b32_e32 v43, 3, v37
	v_lshlrev_b32_e32 v37, 7, v37
	v_or_b32_e32 v0, v0, v57
	v_cndmask_b32_e32 v48, v49, v48, vcc
	v_xad_u32 v79, v0, v43, v37
	v_or_b32_e32 v48, v48, v57
	v_add_u32_e32 v0, v56, v79
	v_xad_u32 v80, v48, v43, v37
	s_waitcnt lgkmcnt(0)
	s_barrier
	ds_read_b64 v[0:1], v0
	ds_read2_b64 v[38:41], v42 offset1:16
	ds_read2_b64 v[44:47], v42 offset0:32 offset1:48
	v_add_u32_e32 v48, v56, v80
	ds_read_b64 v[76:77], v48
	s_waitcnt lgkmcnt(2)
	v_mfma_f32_16x16x16_bf16 a[0:3], v[0:1], v[38:39], 0
	ds_read2st64_b64 v[48:51], v42 offset0:4 offset1:8
	ds_read2st64_b64 v[52:55], v36 offset0:4 offset1:8
	;; [unrolled: 1-line block ×3, first 2 shown]
	v_mfma_f32_16x16x16_bf16 a[4:7], v[0:1], v[40:41], 0
	ds_read2st64_b64 v[62:65], v34 offset0:4 offset1:8
	s_waitcnt lgkmcnt(5)
	v_mfma_f32_16x16x16_bf16 a[8:11], v[0:1], v[44:45], 0
	v_mfma_f32_16x16x16_bf16 a[12:15], v[0:1], v[46:47], 0
	v_or_b32_e32 v0, 64, v78
	v_xor_b32_e32 v0, v67, v0
	v_xor_b32_e32 v1, 0x440, v0
	v_cndmask_b32_e32 v0, v1, v0, vcc
	v_or_b32_e32 v0, v0, v57
	s_waitcnt lgkmcnt(3)
	v_mfma_f32_16x16x16_bf16 a[0:3], v[76:77], v[48:49], a[0:3]
	s_waitcnt lgkmcnt(2)
	v_mfma_f32_16x16x16_bf16 a[4:7], v[76:77], v[52:53], a[4:7]
	;; [unrolled: 2-line block ×4, first 2 shown]
	v_xad_u32 v76, v0, v43, v37
	v_add_u32_e32 v0, v56, v76
	ds_read_b64 v[0:1], v0
	v_or_b32_e32 v77, 0x60, v78
	v_xor_b32_e32 v67, v67, v77
	v_xor_b32_e32 v77, 0x440, v67
	v_cndmask_b32_e32 v67, v77, v67, vcc
	v_or_b32_e32 v57, v67, v57
	v_xad_u32 v67, v57, v43, v37
	v_add_u32_e32 v37, v56, v67
	s_waitcnt lgkmcnt(0)
	v_mfma_f32_16x16x16_bf16 a[0:3], v[0:1], v[50:51], a[0:3]
	ds_read_b64 v[56:57], v37
	ds_read_b64 v[42:43], v42 offset:6144
	v_mfma_f32_16x16x16_bf16 a[4:7], v[0:1], v[54:55], a[4:7]
	v_mfma_f32_16x16x16_bf16 a[8:11], v[0:1], v[60:61], a[8:11]
	;; [unrolled: 1-line block ×3, first 2 shown]
	ds_read_b64 v[0:1], v36 offset:6144
	ds_read_b64 v[36:37], v35 offset:6144
	;; [unrolled: 1-line block ×3, first 2 shown]
	s_waitcnt lgkmcnt(3)
	v_mfma_f32_16x16x16_bf16 a[0:3], v[56:57], v[42:43], a[0:3]
	s_waitcnt lgkmcnt(2)
	v_mfma_f32_16x16x16_bf16 a[4:7], v[56:57], v[0:1], a[4:7]
	s_waitcnt lgkmcnt(1)
	v_mfma_f32_16x16x16_bf16 a[8:11], v[56:57], v[36:37], a[8:11]
	s_waitcnt lgkmcnt(0)
	v_mfma_f32_16x16x16_bf16 a[12:15], v[56:57], v[34:35], a[12:15]
	ds_read_b64 v[56:57], v79 offset:40960
	s_waitcnt lgkmcnt(0)
	v_mfma_f32_16x16x16_bf16 a[20:23], v[56:57], v[40:41], 0
	v_mov_b32_e32 v40, 0x3fb8aa3b
	v_mul_f32_e32 v40, s16, v40
	v_mfma_f32_16x16x16_bf16 a[24:27], v[56:57], v[44:45], 0
	v_exp_f32_e32 v44, v40
	v_accvgpr_read_b32 v40, a0
	v_accvgpr_read_b32 v45, a3
	v_mfma_f32_16x16x16_bf16 a[16:19], v[56:57], v[38:39], 0
	ds_read_b64 v[38:39], v80 offset:40960
	v_fma_f32 v6, v6, v44, v40
	v_accvgpr_read_b32 v40, a1
	v_fma_f32 v7, v7, v44, v40
	v_accvgpr_read_b32 v40, a2
	v_mfma_f32_16x16x16_bf16 a[28:31], v[56:57], v[46:47], 0
	v_fma_f32 v8, v8, v44, v40
	ds_read_b64 v[40:41], v76 offset:40960
	v_fmac_f32_e32 v45, v9, v44
	s_waitcnt lgkmcnt(1)
	v_mfma_f32_16x16x16_bf16 a[16:19], v[38:39], v[48:49], a[16:19]
	v_accvgpr_read_b32 v9, a4
	v_fma_f32 v14, v14, v44, v9
	v_accvgpr_read_b32 v9, a5
	v_mfma_f32_16x16x16_bf16 a[20:23], v[38:39], v[52:53], a[20:23]
	v_fma_f32 v15, v15, v44, v9
	v_accvgpr_read_b32 v9, a6
	v_fma_f32 v16, v16, v44, v9
	v_mfma_f32_16x16x16_bf16 a[24:27], v[38:39], v[58:59], a[24:27]
	v_accvgpr_read_b32 v9, a8
	v_fma_f32 v22, v22, v44, v9
	v_accvgpr_read_b32 v9, a9
	v_mfma_f32_16x16x16_bf16 a[0:3], v[38:39], v[62:63], a[28:31]
	ds_read_b64 v[38:39], v67 offset:40960
	v_accvgpr_read_b32 v46, a7
	v_fma_f32 v23, v23, v44, v9
	s_waitcnt lgkmcnt(1)
	v_mfma_f32_16x16x16_bf16 a[16:19], v[40:41], v[50:51], a[16:19]
	v_accvgpr_read_b32 v9, a10
	v_fma_f32 v24, v24, v44, v9
	v_accvgpr_read_b32 v9, a12
	v_mfma_f32_16x16x16_bf16 a[4:7], v[40:41], v[54:55], a[20:23]
	v_fma_f32 v30, v30, v44, v9
	v_fmac_f32_e32 v46, v17, v44
	v_mov_b32_e32 v17, v46
	v_mfma_f32_16x16x16_bf16 a[20:23], v[40:41], v[60:61], a[24:27]
	v_mfma_f32_16x16x16_bf16 a[0:3], v[40:41], v[64:65], a[0:3]
	v_accvgpr_read_b32 v40, a11
	v_fmac_f32_e32 v40, v25, v44
	s_waitcnt lgkmcnt(0)
	v_mfma_f32_16x16x16_bf16 a[8:11], v[38:39], v[42:43], a[16:19]
	v_mfma_f32_16x16x16_bf16 a[4:7], v[38:39], v[0:1], a[4:7]
	v_accvgpr_read_b32 v0, a13
	v_fma_f32 v31, v31, v44, v0
	v_accvgpr_read_b32 v0, a14
	s_nop 2
	v_accvgpr_read_b32 v1, a8
	v_fma_f32 v2, v2, v44, v1
	v_accvgpr_read_b32 v1, a9
	v_fma_f32 v3, v3, v44, v1
	v_accvgpr_read_b32 v1, a10
	v_mfma_f32_16x16x16_bf16 a[16:19], v[38:39], v[36:37], a[20:23]
	v_fma_f32 v4, v4, v44, v1
	v_accvgpr_read_b32 v1, a11
	v_fmac_f32_e32 v1, v5, v44
	v_mfma_f32_16x16x16_bf16 a[0:3], v[38:39], v[34:35], a[0:3]
	v_accvgpr_read_b32 v5, a4
	v_fma_f32 v10, v10, v44, v5
	v_accvgpr_read_b32 v5, a5
	v_fma_f32 v11, v11, v44, v5
	;; [unrolled: 2-line block ×3, first 2 shown]
	v_accvgpr_read_b32 v5, a16
	v_accvgpr_read_b32 v9, a0
	v_fma_f32 v18, v18, v44, v5
	v_accvgpr_read_b32 v5, a17
	v_fma_f32 v26, v26, v44, v9
	v_accvgpr_read_b32 v9, a1
	v_fma_f32 v19, v19, v44, v5
	v_accvgpr_read_b32 v5, a18
	v_fma_f32 v27, v27, v44, v9
	v_accvgpr_read_b32 v9, a2
	v_fma_f32 v32, v32, v44, v0
	v_accvgpr_read_b32 v0, a15
	v_accvgpr_read_b32 v25, a7
	v_fma_f32 v20, v20, v44, v5
	v_accvgpr_read_b32 v5, a19
	v_fma_f32 v28, v28, v44, v9
	v_accvgpr_read_b32 v9, a3
	v_fmac_f32_e32 v0, v33, v44
	v_fmac_f32_e32 v25, v13, v44
	;; [unrolled: 1-line block ×4, first 2 shown]
	v_mov_b32_e32 v29, v9
	v_mov_b32_e32 v33, v0
	;; [unrolled: 1-line block ×7, first 2 shown]
.LBB242_99:
	s_add_u32 s0, s12, s14
	s_addc_u32 s1, s13, s15
	v_lshl_add_u64 v[0:1], v[68:69], 2, s[0:1]
	v_mov_b32_e32 v67, 0
	v_lshl_add_u64 v[0:1], v[0:1], 0, v[66:67]
	s_waitcnt vmcnt(7)
	global_store_dwordx4 v[0:1], v[6:9], off
	s_waitcnt vmcnt(7)
	global_store_dwordx4 v[0:1], v[2:5], off offset:256
	v_lshl_add_u64 v[0:1], v[70:71], 2, s[0:1]
	v_lshl_add_u64 v[0:1], v[0:1], 0, v[66:67]
	s_waitcnt vmcnt(7)
	global_store_dwordx4 v[0:1], v[14:17], off
	s_waitcnt vmcnt(7)
	global_store_dwordx4 v[0:1], v[10:13], off offset:256
	v_lshl_add_u64 v[0:1], v[72:73], 2, s[0:1]
	;; [unrolled: 6-line block ×3, first 2 shown]
	v_lshl_add_u64 v[0:1], v[0:1], 0, v[66:67]
	s_waitcnt vmcnt(7)
	global_store_dwordx4 v[0:1], v[30:33], off
	s_waitcnt vmcnt(7)
	global_store_dwordx4 v[0:1], v[26:29], off offset:256
	s_endpgm
	.section	.rodata,"a",@progbits
	.p2align	6, 0x0
	.amdhsa_kernel _ZN12_GLOBAL__N_139chunk_gated_delta_rule_fwd_h_hip_kernelILi64ELb1ELb1ELb0ELb1ELb0ELb0ELb0ELb0EEEvPK12hip_bfloat16S3_S3_PKfS5_PKvPS1_S8_PvPKiSB_iiiiilll
		.amdhsa_group_segment_fixed_size 65536
		.amdhsa_private_segment_fixed_size 0
		.amdhsa_kernarg_size 136
		.amdhsa_user_sgpr_count 2
		.amdhsa_user_sgpr_dispatch_ptr 0
		.amdhsa_user_sgpr_queue_ptr 0
		.amdhsa_user_sgpr_kernarg_segment_ptr 1
		.amdhsa_user_sgpr_dispatch_id 0
		.amdhsa_user_sgpr_kernarg_preload_length 0
		.amdhsa_user_sgpr_kernarg_preload_offset 0
		.amdhsa_user_sgpr_private_segment_size 0
		.amdhsa_uses_dynamic_stack 0
		.amdhsa_enable_private_segment 0
		.amdhsa_system_sgpr_workgroup_id_x 1
		.amdhsa_system_sgpr_workgroup_id_y 1
		.amdhsa_system_sgpr_workgroup_id_z 0
		.amdhsa_system_sgpr_workgroup_info 0
		.amdhsa_system_vgpr_workitem_id 0
		.amdhsa_next_free_vgpr 224
		.amdhsa_next_free_sgpr 65
		.amdhsa_accum_offset 188
		.amdhsa_reserve_vcc 1
		.amdhsa_float_round_mode_32 0
		.amdhsa_float_round_mode_16_64 0
		.amdhsa_float_denorm_mode_32 3
		.amdhsa_float_denorm_mode_16_64 3
		.amdhsa_dx10_clamp 1
		.amdhsa_ieee_mode 1
		.amdhsa_fp16_overflow 0
		.amdhsa_tg_split 0
		.amdhsa_exception_fp_ieee_invalid_op 0
		.amdhsa_exception_fp_denorm_src 0
		.amdhsa_exception_fp_ieee_div_zero 0
		.amdhsa_exception_fp_ieee_overflow 0
		.amdhsa_exception_fp_ieee_underflow 0
		.amdhsa_exception_fp_ieee_inexact 0
		.amdhsa_exception_int_div_zero 0
	.end_amdhsa_kernel
	.section	.text._ZN12_GLOBAL__N_139chunk_gated_delta_rule_fwd_h_hip_kernelILi64ELb1ELb1ELb0ELb1ELb0ELb0ELb0ELb0EEEvPK12hip_bfloat16S3_S3_PKfS5_PKvPS1_S8_PvPKiSB_iiiiilll,"axG",@progbits,_ZN12_GLOBAL__N_139chunk_gated_delta_rule_fwd_h_hip_kernelILi64ELb1ELb1ELb0ELb1ELb0ELb0ELb0ELb0EEEvPK12hip_bfloat16S3_S3_PKfS5_PKvPS1_S8_PvPKiSB_iiiiilll,comdat
.Lfunc_end242:
	.size	_ZN12_GLOBAL__N_139chunk_gated_delta_rule_fwd_h_hip_kernelILi64ELb1ELb1ELb0ELb1ELb0ELb0ELb0ELb0EEEvPK12hip_bfloat16S3_S3_PKfS5_PKvPS1_S8_PvPKiSB_iiiiilll, .Lfunc_end242-_ZN12_GLOBAL__N_139chunk_gated_delta_rule_fwd_h_hip_kernelILi64ELb1ELb1ELb0ELb1ELb0ELb0ELb0ELb0EEEvPK12hip_bfloat16S3_S3_PKfS5_PKvPS1_S8_PvPKiSB_iiiiilll
                                        ; -- End function
	.section	.AMDGPU.csdata,"",@progbits
; Kernel info:
; codeLenInByte = 12092
; NumSgprs: 71
; NumVgprs: 188
; NumAgprs: 36
; TotalNumVgprs: 224
; ScratchSize: 0
; MemoryBound: 0
; FloatMode: 240
; IeeeMode: 1
; LDSByteSize: 65536 bytes/workgroup (compile time only)
; SGPRBlocks: 8
; VGPRBlocks: 27
; NumSGPRsForWavesPerEU: 71
; NumVGPRsForWavesPerEU: 224
; AccumOffset: 188
; Occupancy: 1
; WaveLimiterHint : 1
; COMPUTE_PGM_RSRC2:SCRATCH_EN: 0
; COMPUTE_PGM_RSRC2:USER_SGPR: 2
; COMPUTE_PGM_RSRC2:TRAP_HANDLER: 0
; COMPUTE_PGM_RSRC2:TGID_X_EN: 1
; COMPUTE_PGM_RSRC2:TGID_Y_EN: 1
; COMPUTE_PGM_RSRC2:TGID_Z_EN: 0
; COMPUTE_PGM_RSRC2:TIDIG_COMP_CNT: 0
; COMPUTE_PGM_RSRC3_GFX90A:ACCUM_OFFSET: 46
; COMPUTE_PGM_RSRC3_GFX90A:TG_SPLIT: 0
	.section	.text._ZN12_GLOBAL__N_139chunk_gated_delta_rule_fwd_h_hip_kernelILi64ELb1ELb0ELb1ELb1ELb0ELb0ELb0ELb0EEEvPK12hip_bfloat16S3_S3_PKfS5_PKvPS1_S8_PvPKiSB_iiiiilll,"axG",@progbits,_ZN12_GLOBAL__N_139chunk_gated_delta_rule_fwd_h_hip_kernelILi64ELb1ELb0ELb1ELb1ELb0ELb0ELb0ELb0EEEvPK12hip_bfloat16S3_S3_PKfS5_PKvPS1_S8_PvPKiSB_iiiiilll,comdat
	.globl	_ZN12_GLOBAL__N_139chunk_gated_delta_rule_fwd_h_hip_kernelILi64ELb1ELb0ELb1ELb1ELb0ELb0ELb0ELb0EEEvPK12hip_bfloat16S3_S3_PKfS5_PKvPS1_S8_PvPKiSB_iiiiilll ; -- Begin function _ZN12_GLOBAL__N_139chunk_gated_delta_rule_fwd_h_hip_kernelILi64ELb1ELb0ELb1ELb1ELb0ELb0ELb0ELb0EEEvPK12hip_bfloat16S3_S3_PKfS5_PKvPS1_S8_PvPKiSB_iiiiilll
	.p2align	8
	.type	_ZN12_GLOBAL__N_139chunk_gated_delta_rule_fwd_h_hip_kernelILi64ELb1ELb0ELb1ELb1ELb0ELb0ELb0ELb0EEEvPK12hip_bfloat16S3_S3_PKfS5_PKvPS1_S8_PvPKiSB_iiiiilll,@function
_ZN12_GLOBAL__N_139chunk_gated_delta_rule_fwd_h_hip_kernelILi64ELb1ELb0ELb1ELb1ELb0ELb0ELb0ELb0EEEvPK12hip_bfloat16S3_S3_PKfS5_PKvPS1_S8_PvPKiSB_iiiiilll: ; @_ZN12_GLOBAL__N_139chunk_gated_delta_rule_fwd_h_hip_kernelILi64ELb1ELb0ELb1ELb1ELb0ELb0ELb0ELb0EEEvPK12hip_bfloat16S3_S3_PKfS5_PKvPS1_S8_PvPKiSB_iiiiilll
; %bb.0:
	s_load_dwordx4 s[12:15], s[0:1], 0x5c
	s_load_dwordx4 s[4:7], s[0:1], 0x48
	s_abs_i32 s9, s3
	s_ashr_i32 s8, s3, 31
	v_and_b32_e32 v79, 15, v0
	s_waitcnt lgkmcnt(0)
	s_abs_i32 s10, s13
	v_cvt_f32_u32_e32 v1, s10
	s_sub_i32 s16, 0, s10
	s_ashr_i32 s11, s13, 31
	s_xor_b32 s8, s8, s11
	v_rcp_iflag_f32_e32 v1, v1
	v_lshrrev_b32_e32 v77, 6, v0
	v_bfe_u32 v78, v0, 4, 2
	v_mov_b32_e32 v11, 0
	v_mul_f32_e32 v1, 0x4f7ffffe, v1
	v_cvt_u32_f32_e32 v1, v1
	v_and_b32_e32 v76, 63, v0
	v_lshrrev_b32_e32 v81, 3, v76
	v_lshlrev_b32_e32 v80, 3, v0
	v_readfirstlane_b32 s17, v1
	s_mul_i32 s16, s16, s17
	s_mul_hi_u32 s16, s17, s16
	s_add_i32 s17, s17, s16
	s_mul_hi_u32 s16, s9, s17
	s_mul_i32 s17, s16, s10
	s_sub_i32 s9, s9, s17
	s_add_i32 s18, s16, 1
	s_sub_i32 s17, s9, s10
	s_cmp_ge_u32 s9, s10
	s_cselect_b32 s16, s18, s16
	s_cselect_b32 s9, s17, s9
	s_add_i32 s17, s16, 1
	s_cmp_ge_u32 s9, s10
	s_cselect_b32 s9, s17, s16
	s_xor_b32 s9, s9, s8
	s_sub_i32 s20, s9, s8
	s_mul_i32 s24, s20, s13
	s_ashr_i32 s21, s20, 31
	s_sub_i32 s47, s3, s24
	s_lshl_b64 s[8:9], s[20:21], 2
	s_add_u32 s4, s4, s8
	s_addc_u32 s5, s5, s9
	s_add_u32 s22, s6, s8
	s_addc_u32 s23, s7, s9
	s_abs_i32 s3, s14
	v_cvt_f32_u32_e32 v1, s3
	s_load_dwordx2 s[34:35], s[4:5], 0x0
	s_sub_i32 s5, 0, s3
	s_lshl_b32 s2, s2, 6
	v_rcp_iflag_f32_e32 v1, v1
	s_load_dwordx4 s[16:19], s[0:1], 0x28
	s_load_dwordx2 s[28:29], s[0:1], 0x38
	s_waitcnt lgkmcnt(0)
	s_sub_i32 s50, s35, s34
	s_ashr_i32 s4, s50, 31
	v_mul_f32_e32 v1, 0x4f7ffffe, v1
	v_cvt_u32_f32_e32 v1, v1
	s_lshr_b32 s4, s4, 26
	s_add_i32 s4, s50, s4
	s_ashr_i32 s49, s4, 6
	v_readfirstlane_b32 s6, v1
	s_mul_i32 s5, s5, s6
	s_mul_hi_u32 s5, s6, s5
	s_add_i32 s6, s6, s5
	s_mul_hi_u32 s5, s10, s6
	s_mul_i32 s6, s5, s3
	s_ashr_i32 s4, s14, 31
	s_sub_i32 s6, s10, s6
	s_xor_b32 s4, s11, s4
	s_add_i32 s7, s5, 1
	s_sub_i32 s8, s6, s3
	s_cmp_ge_u32 s6, s3
	s_cselect_b32 s5, s7, s5
	s_cselect_b32 s6, s8, s6
	s_add_i32 s7, s5, 1
	s_cmp_ge_u32 s6, s3
	s_cselect_b32 s3, s7, s5
	s_xor_b32 s3, s3, s4
	s_sub_i32 s3, s3, s4
	s_abs_i32 s4, s3
	v_cvt_f32_u32_e32 v1, s4
	s_sub_i32 s6, 0, s4
	s_abs_i32 s5, s47
	s_xor_b32 s3, s47, s3
	v_rcp_iflag_f32_e32 v1, v1
	s_ashr_i32 s3, s3, 31
	v_or_b32_e32 v66, s2, v79
	v_lshlrev_b32_e32 v2, 7, v66
	v_mul_f32_e32 v1, 0x4f7ffffe, v1
	v_cvt_u32_f32_e32 v1, v1
	v_ashrrev_i32_e32 v3, 31, v2
	s_mul_hi_i32 s53, s47, s12
	s_mul_i32 s54, s47, s12
	v_readfirstlane_b32 s7, v1
	s_mul_i32 s6, s6, s7
	s_mul_hi_u32 s6, s7, s6
	s_add_i32 s7, s7, s6
	s_mul_hi_u32 s6, s5, s7
	s_mul_i32 s7, s6, s4
	s_sub_i32 s5, s5, s7
	s_add_i32 s7, s6, 1
	s_sub_i32 s8, s5, s4
	s_cmp_ge_u32 s5, s4
	s_cselect_b32 s6, s7, s6
	s_cselect_b32 s5, s8, s5
	s_add_i32 s7, s6, 1
	s_cmp_ge_u32 s5, s4
	s_cselect_b32 s4, s7, s6
	s_xor_b32 s4, s4, s3
	s_sub_i32 s51, s4, s3
	s_ashr_i32 s48, s47, 31
	s_mul_hi_i32 s3, s20, s13
	s_add_u32 s4, s24, s47
	s_addc_u32 s5, s3, s48
	s_lshl_b64 s[4:5], s[4:5], 16
	v_lshlrev_b32_e32 v1, 4, v77
	s_add_u32 s4, s16, s4
	v_lshl_or_b32 v82, v78, 2, v1
	s_addc_u32 s5, s17, s5
	v_lshl_add_u64 v[4:5], v[2:3], 2, s[4:5]
	v_lshlrev_b32_e32 v10, 2, v82
	v_lshl_add_u64 v[4:5], v[4:5], 0, v[10:11]
	global_load_dwordx4 v[22:25], v[4:5], off
	global_load_dwordx4 v[30:33], v[4:5], off offset:256
	v_or_b32_e32 v4, 0x800, v2
	v_ashrrev_i32_e32 v5, 31, v4
	v_lshl_add_u64 v[4:5], v[4:5], 2, s[4:5]
	v_lshl_add_u64 v[4:5], v[4:5], 0, v[10:11]
	global_load_dwordx4 v[14:17], v[4:5], off
	global_load_dwordx4 v[26:29], v[4:5], off offset:256
	v_or_b32_e32 v4, 0x1000, v2
	v_or_b32_e32 v2, 0x1800, v2
	v_ashrrev_i32_e32 v5, 31, v4
	v_ashrrev_i32_e32 v3, 31, v2
	v_lshl_add_u64 v[4:5], v[4:5], 2, s[4:5]
	v_lshl_add_u64 v[2:3], v[2:3], 2, s[4:5]
	v_lshl_add_u64 v[4:5], v[4:5], 0, v[10:11]
	v_lshl_add_u64 v[34:35], v[2:3], 0, v[10:11]
	global_load_dwordx4 v[6:9], v[4:5], off
	global_load_dwordx4 v[18:21], v[4:5], off offset:256
	s_nop 0
	global_load_dwordx4 v[2:5], v[34:35], off
	global_load_dwordx4 v[10:13], v[34:35], off offset:256
	s_load_dwordx8 s[4:11], s[0:1], 0x0
	s_load_dwordx2 s[30:31], s[0:1], 0x80
	s_load_dwordx4 s[24:27], s[0:1], 0x70
	s_load_dword s52, s[22:23], 0x0
	v_or_b32_e32 v83, 64, v82
	s_cmp_lt_i32 s50, 64
	s_waitcnt lgkmcnt(0)
	s_mul_i32 s33, s20, s25
	s_mul_hi_u32 s43, s20, s24
	s_mul_i32 s42, s21, s24
	s_mul_i32 s38, s20, s24
	;; [unrolled: 1-line block ×3, first 2 shown]
	s_mul_hi_u32 s45, s47, s26
	s_mul_i32 s46, s48, s26
	s_mul_i32 s36, s47, s26
	s_cbranch_scc1 .LBB243_18
; %bb.1:
	s_ashr_i32 s1, s34, 31
	s_add_u32 s0, s54, s34
	s_addc_u32 s1, s53, s1
	s_lshl_b64 s[0:1], s[0:1], 8
	v_and_b32_e32 v85, 56, v80
	s_add_u32 s20, s6, s0
	v_lshl_or_b32 v84, v77, 3, v81
	v_lshlrev_b32_e32 v34, 1, v85
	s_addc_u32 s0, s7, s1
	v_lshl_or_b32 v86, v84, 8, v34
	s_and_b32 s21, s0, 0xffff
	s_mov_b32 s23, 0x20000
	s_movk_i32 s22, 0x4000
	s_movk_i32 s0, 0x80
	v_or_b32_e32 v87, 0x2000, v86
	buffer_load_dwordx4 v[36:39], v86, s[20:23], 0 offen
	buffer_load_dwordx4 v[40:43], v86, s[20:23], s0 offen
	buffer_load_dwordx4 v[44:47], v87, s[20:23], 0 offen
	buffer_load_dwordx4 v[48:51], v87, s[20:23], s0 offen
	v_lshlrev_b32_e32 v35, 3, v84
	v_and_or_b32 v53, v0, 7, v35
	v_and_b32_e32 v35, 0x78, v35
	v_lshlrev_b32_e32 v53, 4, v53
	v_xor_b32_e32 v88, v53, v35
	v_mul_lo_u32 v52, v84, s15
	v_or_b32_e32 v89, 0x1000, v88
	v_xor_b32_e32 v35, 8, v88
	s_cmpk_eq_i32 s15, 0x80
	s_mov_b32 s55, s34
	v_xor_b32_e32 v53, 8, v89
	s_cselect_b64 s[0:1], -1, 0
	s_cmpk_lg_i32 s15, 0x80
	s_waitcnt vmcnt(3)
	ds_write_b64 v88, v[36:37] offset:49152
	ds_write_b64 v35, v[38:39] offset:49152
	s_waitcnt vmcnt(2)
	ds_write_b64 v88, v[40:41] offset:57344
	ds_write_b64 v35, v[42:43] offset:57344
	;; [unrolled: 3-line block ×4, first 2 shown]
	v_lshl_add_u32 v35, v52, 1, v85
	s_cbranch_scc0 .LBB243_3
; %bb.2:
	v_lshlrev_b32_e32 v37, 1, v35
	v_add_lshl_u32 v36, v35, s15, 1
	s_lshl_b32 s22, s15, 7
	v_lshl_or_b32 v34, v84, 9, v34
	s_cbranch_execz .LBB243_4
	s_branch .LBB243_5
.LBB243_3:
                                        ; implicit-def: $vgpr36
                                        ; implicit-def: $vgpr37
                                        ; implicit-def: $sgpr22
	v_lshl_or_b32 v34, v84, 9, v34
.LBB243_4:
	v_or_b32_e32 v36, 0x100, v34
	s_movk_i32 s22, 0x4000
	v_mov_b32_e32 v37, v34
.LBB243_5:
	s_mul_i32 s16, s34, s14
	s_ashr_i32 s56, s51, 31
	s_mul_hi_i32 s3, s34, s14
	s_add_u32 s16, s16, s51
	s_addc_u32 s17, s3, s56
	s_lshl_b64 s[16:17], s[16:17], 8
	s_add_u32 s20, s4, s16
	s_addc_u32 s3, s5, s17
	s_and_b32 s21, s3, 0xffff
	s_movk_i32 s57, 0x80
	buffer_load_dwordx4 v[38:41], v37, s[20:23], 0 offen
	buffer_load_dwordx4 v[42:45], v37, s[20:23], s57 offen
	;; [unrolled: 1-line block ×4, first 2 shown]
	v_and_b32_e32 v37, 6, v0
	v_lshlrev_b32_e32 v36, 7, v82
	v_xor_b32_e32 v59, v84, v37
	v_and_b32_e32 v54, 1, v0
	v_lshl_or_b32 v62, v79, 3, v36
	v_lshlrev_b32_e32 v59, 2, v59
	v_lshlrev_b32_e32 v55, 2, v79
	v_or_b32_e32 v90, 0x4000, v62
	v_or_b32_e32 v91, 0x6000, v62
	v_xor_b32_e32 v62, 0x440, v59
	v_cmp_eq_u32_e32 vcc, 0, v54
	v_or_b32_e32 v57, 16, v79
	v_or_b32_e32 v58, 32, v79
	v_xor_b32_e32 v60, v82, v55
	v_xor_b32_e32 v61, v83, v55
	v_cndmask_b32_e32 v54, v62, v59, vcc
	s_mov_b32 s58, 0x1000504
	v_lshl_or_b32 v63, v57, 3, v36
	v_lshlrev_b32_e32 v57, 8, v57
	v_lshl_or_b32 v64, v58, 3, v36
	v_lshlrev_b32_e32 v60, 1, v60
	v_lshlrev_b32_e32 v61, 1, v61
	v_lshl_or_b32 v37, v37, 10, v54
	s_add_i32 s3, s43, s33
	s_mov_b32 s59, 0x3020706
	v_lshlrev_b32_e32 v56, 8, v79
	v_or_b32_e32 v94, 0x4000, v64
	v_or_b32_e32 v95, 0x6000, v64
	;; [unrolled: 1-line block ×4, first 2 shown]
	v_xor_b32_e32 v54, 8, v37
	v_xor_b32_e32 v57, 24, v37
	;; [unrolled: 1-line block ×4, first 2 shown]
	s_add_i32 s39, s3, s42
	s_add_i32 s3, s45, s44
	v_or_b32_e32 v92, 0x4000, v63
	v_or_b32_e32 v93, 0x6000, v63
	v_or_b32_e32 v96, v56, v60
	v_or_b32_e32 v97, v56, v61
	v_xor_b32_e32 v56, 16, v37
	v_xor_b32_e32 v59, 32, v37
	;; [unrolled: 1-line block ×3, first 2 shown]
	v_add_u32_e32 v54, 0x80, v54
	v_add_u32_e32 v57, 0x80, v57
	;; [unrolled: 1-line block ×4, first 2 shown]
	s_add_i32 s37, s3, s46
	s_lshl_b64 s[16:17], s[38:39], 2
	s_add_u32 s3, s10, s16
	s_addc_u32 s20, s11, s17
	s_lshl_b64 s[16:17], s[36:37], 2
	s_add_u32 s16, s3, s16
	s_movk_i32 s3, 0xf8
	s_addc_u32 s17, s20, s17
	s_lshl_b32 s26, s15, 7
	s_movk_i32 s24, 0x100
	v_mov_b32_e32 v69, 0
	v_lshlrev_b32_e32 v68, 4, v79
	v_cmp_gt_u32_e32 vcc, s24, v0
	v_lshlrev_b32_e32 v58, 8, v58
	s_mov_b32 s60, 0
	s_movk_i32 s22, 0x4000
	v_or_b32_e32 v100, v58, v60
	v_or_b32_e32 v101, v58, v61
	s_movk_i32 s37, 0x2000
	s_movk_i32 s39, 0x3000
	v_mov_b32_e32 v133, 0x3fb8aa3b
	s_waitcnt vmcnt(1)
	v_perm_b32 v65, v38, v46, s58
	s_waitcnt vmcnt(0)
	v_perm_b32 v67, v42, v50, s58
	v_perm_b32 v38, v38, v46, s59
	v_perm_b32 v42, v42, v50, s59
	v_perm_b32 v46, v39, v47, s58
	v_perm_b32 v50, v43, v51, s58
	v_perm_b32 v39, v39, v47, s59
	v_perm_b32 v43, v43, v51, s59
	v_perm_b32 v47, v40, v48, s58
	v_perm_b32 v51, v44, v52, s58
	v_perm_b32 v40, v40, v48, s59
	v_perm_b32 v44, v44, v52, s59
	v_perm_b32 v48, v41, v49, s58
	v_perm_b32 v52, v45, v53, s58
	v_perm_b32 v41, v41, v49, s59
	v_perm_b32 v45, v45, v53, s59
	ds_write2st64_b32 v37, v65, v67 offset0:128 offset1:160
	ds_write2st64_b32 v54, v38, v42 offset0:128 offset1:160
	;; [unrolled: 1-line block ×8, first 2 shown]
	v_or_b32_e32 v37, 48, v79
	v_lshl_or_b32 v38, v37, 3, v36
	v_lshlrev_b32_e32 v37, 8, v37
	v_or_b32_e32 v104, v37, v60
	v_or_b32_e32 v105, v37, v61
	v_or_b32_e32 v37, v1, v79
	v_lshlrev_b32_e32 v37, 3, v37
	v_lshrrev_b32_e32 v39, 5, v76
	v_and_or_b32 v39, v37, s3, v39
	v_lshlrev_b32_e32 v39, 4, v39
	v_lshlrev_b32_e32 v40, 11, v77
	v_and_b32_e32 v37, 0x78, v37
	v_or_b32_e32 v45, 32, v39
	v_or_b32_e32 v102, 0x4000, v38
	;; [unrolled: 1-line block ×3, first 2 shown]
	v_and_b32_e32 v38, 0x1000, v40
	v_xor_b32_e32 v41, v39, v37
	v_lshrrev_b32_e32 v42, 1, v0
	v_xor_b32_e32 v45, v45, v37
	v_or_b32_e32 v41, v41, v38
	v_and_b32_e32 v43, 8, v42
	v_or_b32_e32 v45, v45, v38
	v_xor_b32_e32 v106, v41, v43
	v_lshlrev_b32_e32 v41, 8, v78
	v_xor_b32_e32 v108, v45, v43
	v_or_b32_e32 v45, 64, v39
	v_or_b32_e32 v39, 0x60, v39
	s_ashr_i32 s3, s2, 31
	v_or_b32_e32 v44, v41, v55
	v_xor_b32_e32 v45, v45, v37
	v_xor_b32_e32 v37, v39, v37
	s_lshl_b64 s[20:21], s[2:3], 8
	v_lshlrev_b32_e32 v44, 1, v44
	v_or_b32_e32 v45, v45, v38
	v_or_b32_e32 v37, v37, v38
	s_add_u32 s20, s18, s20
	v_lshlrev_b32_e32 v38, 1, v79
	v_or_b32_e32 v107, 0x4000, v44
	v_or_b32_e32 v109, 0x4080, v44
	;; [unrolled: 1-line block ×8, first 2 shown]
	v_lshrrev_b32_e32 v44, 4, v0
	s_addc_u32 s21, s19, s21
	v_or_b32_e32 v39, 1, v38
	v_mov_b32_e32 v48, 0xa000
	v_mov_b32_e32 v49, 0x8000
	v_xor_b32_e32 v112, v45, v43
	v_xor_b32_e32 v45, v44, v38
	v_xor_b32_e32 v46, v39, v44
	v_lshl_add_u64 v[38:39], s[20:21], 0, v[68:69]
	v_lshlrev_b32_e32 v68, 8, v44
	v_cndmask_b32_e32 v48, v48, v49, vcc
	v_lshlrev_b32_e32 v49, 3, v77
	v_and_b32_e32 v42, 24, v42
	v_lshl_or_b32 v118, v45, 3, v68
	v_and_b32_e32 v45, 8, v0
	v_xor_b32_e32 v50, v49, v42
	v_or_b32_e32 v51, 0x440, v50
	v_cmp_eq_u32_e32 vcc, 0, v45
	v_and_b32_e32 v44, 7, v0
	v_lshl_or_b32 v119, v46, 3, v68
	v_cndmask_b32_e32 v45, v51, v50, vcc
	v_lshlrev_b32_e32 v46, 3, v44
	v_lshlrev_b32_e32 v44, 7, v44
	v_or_b32_e32 v45, v45, v40
	v_lshlrev_b32_e32 v47, 2, v0
	v_xad_u32 v120, v45, v46, v44
	v_or_b32_e32 v45, 32, v42
	v_and_or_b32 v41, v47, 60, v41
	v_xor_b32_e32 v45, v49, v45
	v_lshlrev_b32_e32 v41, 1, v41
	v_or_b32_e32 v47, 0x440, v45
	v_or_b32_e32 v121, 0x6000, v41
	v_cndmask_b32_e32 v45, v47, v45, vcc
	v_or_b32_e32 v123, 0x6080, v41
	v_or_b32_e32 v124, 0x6100, v41
	;; [unrolled: 1-line block ×5, first 2 shown]
	v_xor_b32_e32 v41, v49, v41
	v_xad_u32 v122, v45, v46, v44
	v_xor_b32_e32 v45, 0x440, v41
	v_cndmask_b32_e32 v41, v45, v41, vcc
	v_or_b32_e32 v41, v41, v40
	v_xad_u32 v126, v41, v46, v44
	v_or_b32_e32 v41, 0x60, v42
	v_xor_b32_e32 v41, v49, v41
	v_xor_b32_e32 v42, 0x440, v41
	v_cndmask_b32_e32 v41, v42, v41, vcc
	v_xor_b32_e32 v113, v37, v43
	v_ashrrev_i32_e32 v67, 31, v66
	v_lshlrev_b32_e32 v37, 1, v35
	v_add_lshl_u32 v35, v35, s15, 1
	v_or_b32_e32 v43, 0x100, v34
	v_or_b32_e32 v40, v41, v40
	v_xad_u32 v127, v40, v46, v44
	v_cndmask_b32_e64 v128, v37, v34, s[0:1]
	v_cndmask_b32_e64 v129, v35, v43, s[0:1]
	v_lshlrev_b64 v[34:35], 1, v[66:67]
	v_lshl_add_u64 v[70:71], s[8:9], 0, v[34:35]
	v_lshl_add_u64 v[72:73], s[28:29], 0, v[34:35]
	;; [unrolled: 1-line block ×3, first 2 shown]
	s_mov_b32 s3, 0x7060302
	v_lshlrev_b32_e32 v68, 1, v36
	v_add_u32_e32 v67, v48, v120
	v_add_u32_e32 v130, v48, v122
	;; [unrolled: 1-line block ×4, first 2 shown]
	s_waitcnt lgkmcnt(0)
	s_barrier
.LBB243_6:                              ; =>This Inner Loop Header: Depth=1
	s_add_i32 s61, s60, 1
	s_cmp_lt_i32 s61, s49
	s_mov_b64 s[24:25], 0
	s_cselect_b64 s[40:41], -1, 0
	s_cmp_ge_i32 s61, s49
	s_mov_b64 s[20:21], 0
	s_cbranch_scc1 .LBB243_8
; %bb.7:                                ;   in Loop: Header=BB243_6 Depth=1
	s_add_i32 s0, s55, 64
	s_ashr_i32 s1, s0, 31
	s_add_u32 s0, s54, s0
	s_addc_u32 s1, s53, s1
	s_lshl_b64 s[0:1], s[0:1], 8
	s_add_u32 s20, s6, s0
	s_addc_u32 s21, s7, s1
.LBB243_8:                              ;   in Loop: Header=BB243_6 Depth=1
	v_cndmask_b32_e64 v34, 0, 1, s[40:41]
	v_cmp_ne_u32_e64 s[0:1], 1, v34
	s_andn2_b64 vcc, exec, s[40:41]
	s_cbranch_vccnz .LBB243_10
; %bb.9:                                ;   in Loop: Header=BB243_6 Depth=1
	s_add_i32 s24, s55, 64
	s_mul_hi_i32 s25, s24, s14
	s_mul_i32 s24, s24, s14
	s_add_u32 s24, s24, s51
	s_addc_u32 s25, s25, s56
	s_lshl_b64 s[24:25], s[24:25], 8
	s_add_u32 s24, s4, s24
	s_addc_u32 s25, s5, s25
.LBB243_10:                             ;   in Loop: Header=BB243_6 Depth=1
	v_perm_b32 v35, v25, v24, s3
	v_perm_b32 v34, v23, v22, s3
	v_perm_b32 v37, v33, v32, s3
	v_perm_b32 v36, v31, v30, s3
	ds_write_b64 v90, v[34:35]
	ds_write_b64 v91, v[36:37]
	ds_write_b64 v96, v[34:35]
	ds_write_b64 v97, v[36:37]
	v_perm_b32 v35, v17, v16, s3
	v_perm_b32 v34, v15, v14, s3
	v_perm_b32 v37, v29, v28, s3
	v_perm_b32 v36, v27, v26, s3
	ds_write_b64 v92, v[34:35]
	ds_write_b64 v93, v[36:37]
	ds_write_b64 v98, v[34:35]
	ds_write_b64 v99, v[36:37]
	v_perm_b32 v35, v9, v8, s3
	v_perm_b32 v34, v7, v6, s3
	v_perm_b32 v37, v21, v20, s3
	v_perm_b32 v36, v19, v18, s3
	ds_write_b64 v94, v[34:35]
	ds_write_b64 v95, v[36:37]
	ds_write_b64 v100, v[34:35]
	ds_write_b64 v101, v[36:37]
	v_perm_b32 v35, v5, v4, s3
	v_perm_b32 v34, v3, v2, s3
	v_perm_b32 v37, v13, v12, s3
	v_perm_b32 v36, v11, v10, s3
	ds_write_b64 v102, v[34:35]
	ds_write_b64 v103, v[36:37]
	ds_write_b64 v104, v[34:35]
	ds_write_b64 v105, v[36:37]
	s_waitcnt lgkmcnt(0)
	s_barrier
	ds_read_b64 v[38:39], v106 offset:49152
	ds_read2_b64 v[34:37], v107 offset1:16
	ds_read_b64 v[50:51], v109 offset:6144
	ds_read_b64 v[52:53], v107 offset:6144
	s_waitcnt lgkmcnt(2)
	v_mfma_f32_16x16x16_bf16 a[0:3], v[38:39], v[34:35], 0
	ds_read_b64 v[54:55], v108 offset:49152
	ds_read2st64_b64 v[42:45], v110 offset0:4 offset1:8
	ds_read2st64_b64 v[46:49], v111 offset0:4 offset1:8
	v_mfma_f32_16x16x16_bf16 a[4:7], v[38:39], v[36:37], 0
	ds_read2_b64 v[34:37], v107 offset0:32 offset1:48
	s_add_i32 s27, s55, 63
	s_ashr_i32 s40, s27, 31
	s_waitcnt lgkmcnt(0)
	v_mfma_f32_16x16x16_bf16 a[8:11], v[38:39], v[34:35], 0
	s_mul_i32 s41, s27, s31
	s_mul_hi_u32 s62, s27, s30
	s_add_i32 s41, s62, s41
	v_mfma_f32_16x16x16_bf16 a[12:15], v[38:39], v[36:37], 0
	ds_read2st64_b64 v[34:37], v107 offset0:4 offset1:8
	ds_read2st64_b64 v[38:41], v109 offset0:4 offset1:8
	s_mul_i32 s40, s40, s30
	s_waitcnt lgkmcnt(1)
	v_mfma_f32_16x16x16_bf16 a[0:3], v[54:55], v[34:35], a[0:3]
	s_add_i32 s41, s41, s40
	s_mul_i32 s40, s27, s30
	s_lshl_b64 s[40:41], s[40:41], 2
	s_waitcnt lgkmcnt(0)
	v_mfma_f32_16x16x16_bf16 a[4:7], v[54:55], v[38:39], a[4:7]
	s_add_u32 s40, s16, s40
	s_addc_u32 s41, s17, s41
	s_and_b64 vcc, exec, s[0:1]
	v_mfma_f32_16x16x16_bf16 a[8:11], v[54:55], v[42:43], a[8:11]
	ds_read_b64 v[34:35], v112 offset:49152
	ds_read_b64 v[38:39], v113 offset:49152
	;; [unrolled: 1-line block ×3, first 2 shown]
	v_mov_b32_e32 v136, 0
	v_mov_b32_e32 v135, 0
	v_mfma_f32_16x16x16_bf16 a[12:15], v[54:55], v[46:47], a[12:15]
	v_mov_b32_e32 v134, 0
	v_mov_b32_e32 v46, 0
	v_mov_b32_e32 v47, 0
	s_waitcnt lgkmcnt(2)
	v_mfma_f32_16x16x16_bf16 a[0:3], v[34:35], v[36:37], a[0:3]
	v_mov_b32_e32 v36, 0
	v_mov_b32_e32 v37, 0
	v_mfma_f32_16x16x16_bf16 a[4:7], v[34:35], v[40:41], a[4:7]
	v_mov_b32_e32 v40, 0
	v_mov_b32_e32 v41, 0
	v_mfma_f32_16x16x16_bf16 a[8:11], v[34:35], v[44:45], a[8:11]
	v_mov_b32_e32 v44, 0
	v_mov_b32_e32 v45, 0
	v_mfma_f32_16x16x16_bf16 a[12:15], v[34:35], v[48:49], a[12:15]
	ds_read_b64 v[34:35], v110 offset:6144
	v_mov_b32_e32 v48, 0
	v_mov_b32_e32 v49, 0
	s_waitcnt lgkmcnt(2)
	v_mfma_f32_16x16x16_bf16 a[0:3], v[38:39], v[52:53], a[0:3]
	v_mfma_f32_16x16x16_bf16 a[4:7], v[38:39], v[50:51], a[4:7]
	s_waitcnt lgkmcnt(0)
	v_mfma_f32_16x16x16_bf16 a[8:11], v[38:39], v[34:35], a[8:11]
	v_mov_b32_e32 v34, 0
	v_mov_b32_e32 v35, 0
	v_mfma_f32_16x16x16_bf16 a[12:15], v[38:39], v[42:43], a[12:15]
	v_mov_b32_e32 v38, 0
	v_mov_b32_e32 v39, 0
	;; [unrolled: 1-line block ×4, first 2 shown]
	s_cbranch_vccnz .LBB243_12
; %bb.11:                               ;   in Loop: Header=BB243_6 Depth=1
	s_and_b32 s21, s21, 0xffff
	buffer_load_dwordx4 v[46:49], v86, s[20:23], 0 offen
	buffer_load_dwordx4 v[42:45], v86, s[20:23], s57 offen
	;; [unrolled: 1-line block ×4, first 2 shown]
	v_mov_b32_e32 v135, v88
	v_mov_b32_e32 v134, v89
.LBB243_12:                             ;   in Loop: Header=BB243_6 Depth=1
	ds_read_b64 v[142:143], v106 offset:57344
	ds_read2_b64 v[50:53], v114 offset1:16
	ds_read_b64 v[144:145], v108 offset:57344
	ds_read_b64 v[146:147], v112 offset:57344
	;; [unrolled: 1-line block ×3, first 2 shown]
	v_add_u32_e32 v137, s55, v82
	s_waitcnt lgkmcnt(3)
	v_mfma_f32_16x16x16_bf16 a[0:3], v[142:143], v[50:51], a[0:3]
	v_mfma_f32_16x16x16_bf16 a[4:7], v[142:143], v[52:53], a[4:7]
	ds_read2_b64 v[50:53], v114 offset0:32 offset1:48
	ds_read2st64_b64 v[54:57], v114 offset0:4 offset1:8
	ds_read2st64_b64 v[58:61], v115 offset0:4 offset1:8
	;; [unrolled: 1-line block ×4, first 2 shown]
	s_waitcnt lgkmcnt(4)
	v_mfma_f32_16x16x16_bf16 a[8:11], v[142:143], v[50:51], a[8:11]
	v_ashrrev_i32_e32 v50, 31, v137
	v_mfma_f32_16x16x16_bf16 a[12:15], v[142:143], v[52:53], a[12:15]
	v_mul_lo_u32 v52, v50, s30
	v_mul_lo_u32 v53, v137, s31
	v_mad_u64_u32 v[50:51], s[20:21], v137, s30, 0
	v_add3_u32 v51, v51, v53, v52
	v_add_u32_e32 v52, 1, v137
	v_ashrrev_i32_e32 v53, 31, v52
	s_waitcnt lgkmcnt(3)
	v_mfma_f32_16x16x16_bf16 a[0:3], v[144:145], v[54:55], a[0:3]
	v_mul_lo_u32 v54, v53, s30
	v_mul_lo_u32 v55, v52, s31
	v_mad_u64_u32 v[52:53], s[20:21], v52, s30, 0
	v_add3_u32 v53, v53, v55, v54
	v_add_u32_e32 v54, 2, v137
	v_ashrrev_i32_e32 v55, 31, v54
	s_waitcnt lgkmcnt(2)
	v_mfma_f32_16x16x16_bf16 a[4:7], v[144:145], v[58:59], a[4:7]
	v_mul_lo_u32 v58, v55, s30
	v_mul_lo_u32 v59, v54, s31
	v_mad_u64_u32 v[54:55], s[20:21], v54, s30, 0
	v_lshl_add_u64 v[50:51], v[50:51], 2, s[16:17]
	v_lshl_add_u64 v[52:53], v[52:53], 2, s[16:17]
	v_add3_u32 v55, v55, v59, v58
	v_add_u32_e32 v58, 3, v137
	s_waitcnt lgkmcnt(1)
	v_mfma_f32_16x16x16_bf16 a[8:11], v[144:145], v[62:63], a[8:11]
	global_load_dword v63, v[50:51], off
	global_load_dword v137, v[52:53], off
	v_mad_u64_u32 v[50:51], s[20:21], v58, s30, 0
	v_ashrrev_i32_e32 v59, 31, v58
	s_ashr_i32 s21, s55, 31
	v_mul_lo_u32 v59, v59, s30
	v_mul_lo_u32 v62, v58, s31
	s_add_u32 s20, s54, s55
	v_lshl_add_u64 v[54:55], v[54:55], 2, s[16:17]
	v_add3_u32 v51, v51, v62, v59
	s_addc_u32 s21, s53, s21
	s_waitcnt lgkmcnt(0)
	v_mfma_f32_16x16x16_bf16 a[12:15], v[144:145], v[138:139], a[12:15]
	v_lshl_add_u64 v[50:51], v[50:51], 2, s[16:17]
	global_load_dword v62, v[54:55], off
	global_load_dword v138, v[50:51], off
	s_lshl_b64 s[20:21], s[20:21], 8
	v_lshl_add_u64 v[50:51], v[70:71], 0, s[20:21]
	v_lshl_add_u64 v[50:51], v[50:51], 0, v[68:69]
	global_load_ushort v139, v[50:51], off offset:256
	global_load_ushort v142, v[50:51], off
	global_load_ushort v143, v[50:51], off offset:768
	global_load_ushort v144, v[50:51], off offset:512
	;; [unrolled: 1-line block ×6, first 2 shown]
	s_load_dword s40, s[40:41], 0x0
	v_mfma_f32_16x16x16_bf16 a[12:15], v[146:147], v[140:141], a[12:15]
	global_load_ushort v140, v[50:51], off offset:320
	global_load_ushort v141, v[50:51], off offset:64
	s_and_b64 vcc, exec, s[0:1]
	v_mfma_f32_16x16x16_bf16 a[0:3], v[146:147], v[56:57], a[0:3]
	ds_read_b64 v[52:53], v114 offset:6144
	ds_read_b64 v[54:55], v115 offset:6144
	;; [unrolled: 1-line block ×4, first 2 shown]
	v_mfma_f32_16x16x16_bf16 a[4:7], v[146:147], v[60:61], a[4:7]
	s_waitcnt vmcnt(11) lgkmcnt(0)
	v_sub_f32_e32 v60, s40, v62
	v_mfma_f32_16x16x16_bf16 a[8:11], v[146:147], v[64:65], a[8:11]
	global_load_ushort v146, v[50:51], off offset:832
	global_load_ushort v147, v[50:51], off offset:576
	;; [unrolled: 1-line block ×6, first 2 shown]
	v_mfma_f32_16x16x16_bf16 a[0:3], v[148:149], v[52:53], a[0:3]
	s_waitcnt vmcnt(16)
	v_sub_f32_e32 v61, s40, v138
	v_mul_f32_e32 v60, 0x3fb8aa3b, v60
	v_mul_f32_e32 v61, 0x3fb8aa3b, v61
	v_exp_f32_e32 v60, v60
	v_exp_f32_e32 v61, v61
	s_waitcnt vmcnt(15)
	v_lshlrev_b32_e32 v65, 16, v139
	s_waitcnt vmcnt(14)
	v_lshlrev_b32_e32 v64, 16, v142
	v_accvgpr_read_b32 v53, a3
	v_accvgpr_read_b32 v52, a2
	v_mfma_f32_16x16x16_bf16 a[2:5], v[148:149], v[54:55], a[4:7]
	v_accvgpr_read_b32 v139, a1
	v_accvgpr_read_b32 v138, a0
	v_pk_add_f32 v[64:65], v[64:65], v[138:139] neg_lo:[0,1] neg_hi:[0,1]
	v_mfma_f32_16x16x16_bf16 a[6:9], v[148:149], v[56:57], a[8:11]
	s_waitcnt vmcnt(13)
	v_lshlrev_b32_e32 v139, 16, v143
	s_waitcnt vmcnt(12)
	v_lshlrev_b32_e32 v138, 16, v144
	v_pk_add_f32 v[52:53], v[138:139], v[52:53] neg_lo:[0,1] neg_hi:[0,1]
	v_accvgpr_read_b32 v139, a3
	v_accvgpr_read_b32 v138, a2
	v_accvgpr_read_b32 v55, a5
	v_accvgpr_read_b32 v54, a4
	v_accvgpr_read_b32 v51, a9
	v_accvgpr_read_b32 v50, a8
	v_mfma_f32_16x16x16_bf16 a[8:11], v[148:149], v[58:59], a[12:15]
	v_sub_f32_e32 v58, s40, v63
	v_sub_f32_e32 v59, s40, v137
	v_mul_f32_e32 v58, 0x3fb8aa3b, v58
	v_mul_f32_e32 v59, 0x3fb8aa3b, v59
	v_exp_f32_e32 v58, v58
	v_exp_f32_e32 v59, v59
	v_lshl_add_u64 v[62:63], v[72:73], 0, s[20:21]
	v_lshl_add_u64 v[62:63], v[62:63], 0, v[68:69]
	global_store_short_d16_hi v[62:63], v64, off
	global_store_short_d16_hi v[62:63], v65, off offset:256
	global_store_short_d16_hi v[62:63], v52, off offset:512
	;; [unrolled: 1-line block ×3, first 2 shown]
	v_pk_mul_f32 v[64:65], v[58:59], v[64:65]
	v_pk_mul_f32 v[52:53], v[60:61], v[52:53]
	v_accvgpr_read_b32 v57, a11
	v_perm_b32 v53, v53, v52, s3
	v_perm_b32 v52, v65, v64, s3
	s_waitcnt vmcnt(15)
	v_lshlrev_b32_e32 v65, 16, v145
	s_waitcnt vmcnt(14)
	v_lshlrev_b32_e32 v64, 16, v150
	v_pk_add_f32 v[64:65], v[64:65], v[138:139] neg_lo:[0,1] neg_hi:[0,1]
	s_waitcnt vmcnt(13)
	v_lshlrev_b32_e32 v139, 16, v151
	s_waitcnt vmcnt(12)
	v_lshlrev_b32_e32 v138, 16, v152
	v_pk_add_f32 v[54:55], v[138:139], v[54:55] neg_lo:[0,1] neg_hi:[0,1]
	global_store_short_d16_hi v[62:63], v64, off offset:32
	global_store_short_d16_hi v[62:63], v65, off offset:288
	;; [unrolled: 1-line block ×4, first 2 shown]
	v_pk_mul_f32 v[64:65], v[58:59], v[64:65]
	v_pk_mul_f32 v[54:55], v[60:61], v[54:55]
	v_accvgpr_read_b32 v56, a10
	v_perm_b32 v55, v55, v54, s3
	v_perm_b32 v54, v65, v64, s3
	ds_write2_b64 v91, v[52:53], v[54:55] offset1:16
	v_accvgpr_read_b32 v55, a7
	s_waitcnt vmcnt(15)
	v_lshlrev_b32_e32 v53, 16, v140
	s_waitcnt vmcnt(14)
	v_lshlrev_b32_e32 v52, 16, v141
	v_accvgpr_read_b32 v54, a6
	v_pk_add_f32 v[52:53], v[52:53], v[54:55] neg_lo:[0,1] neg_hi:[0,1]
	global_store_short_d16_hi v[62:63], v52, off offset:64
	global_store_short_d16_hi v[62:63], v53, off offset:320
	v_pk_mul_f32 v[52:53], v[58:59], v[52:53]
	v_mov_b32_e32 v137, 0
	v_perm_b32 v52, v53, v52, s3
	v_mov_b32_e32 v64, 0
	v_mov_b32_e32 v65, 0
	s_waitcnt vmcnt(15)
	v_lshlrev_b32_e32 v55, 16, v146
	s_waitcnt vmcnt(14)
	v_lshlrev_b32_e32 v54, 16, v147
	v_pk_add_f32 v[50:51], v[54:55], v[50:51] neg_lo:[0,1] neg_hi:[0,1]
	global_store_short_d16_hi v[62:63], v50, off offset:576
	global_store_short_d16_hi v[62:63], v51, off offset:832
	v_pk_mul_f32 v[50:51], v[60:61], v[50:51]
	v_accvgpr_read_b32 v55, a9
	v_perm_b32 v53, v51, v50, s3
	s_waitcnt vmcnt(15)
	v_lshlrev_b32_e32 v51, 16, v153
	s_waitcnt vmcnt(14)
	v_lshlrev_b32_e32 v50, 16, v154
	v_accvgpr_read_b32 v54, a8
	v_pk_add_f32 v[50:51], v[50:51], v[54:55] neg_lo:[0,1] neg_hi:[0,1]
	s_waitcnt vmcnt(13)
	v_lshlrev_b32_e32 v55, 16, v155
	s_waitcnt vmcnt(12)
	v_lshlrev_b32_e32 v54, 16, v156
	v_pk_add_f32 v[54:55], v[54:55], v[56:57] neg_lo:[0,1] neg_hi:[0,1]
	global_store_short_d16_hi v[62:63], v50, off offset:96
	global_store_short_d16_hi v[62:63], v51, off offset:352
	;; [unrolled: 1-line block ×4, first 2 shown]
	v_pk_mul_f32 v[50:51], v[58:59], v[50:51]
	v_pk_mul_f32 v[54:55], v[60:61], v[54:55]
	v_mov_b32_e32 v56, 0
	v_perm_b32 v55, v55, v54, s3
	v_perm_b32 v54, v51, v50, s3
	ds_write2_b64 v91, v[52:53], v[54:55] offset0:32 offset1:48
	v_mov_b32_e32 v50, 0
	v_mov_b32_e32 v51, 0
	;; [unrolled: 1-line block ×13, first 2 shown]
	s_cbranch_vccnz .LBB243_14
; %bb.13:                               ;   in Loop: Header=BB243_6 Depth=1
	s_and_b32 s25, s25, 0xffff
	s_mov_b32 s27, s23
	buffer_load_dwordx4 v[62:65], v128, s[24:27], 0 offen
	buffer_load_dwordx4 v[54:57], v128, s[24:27], s57 offen
	;; [unrolled: 1-line block ×4, first 2 shown]
	v_mov_b32_e32 v136, v85
	v_mov_b32_e32 v137, v84
.LBB243_14:                             ;   in Loop: Header=BB243_6 Depth=1
	s_waitcnt lgkmcnt(0)
	s_barrier
	ds_read_b64 v[146:147], v67
	ds_read2_b64 v[138:141], v121 offset1:16
	ds_read_b64 v[162:163], v130
	ds_read_b64 v[164:165], v131
	;; [unrolled: 1-line block ×3, first 2 shown]
	ds_read2_b64 v[142:145], v121 offset0:32 offset1:48
	s_waitcnt lgkmcnt(4)
	v_mfma_f32_16x16x16_bf16 a[0:3], v[146:147], v[138:139], 0
	ds_read2st64_b64 v[150:153], v123 offset0:4 offset1:8
	ds_read2st64_b64 v[154:157], v124 offset0:4 offset1:8
	;; [unrolled: 1-line block ×3, first 2 shown]
	v_mfma_f32_16x16x16_bf16 a[4:7], v[146:147], v[140:141], 0
	s_add_i32 s20, s52, s60
	s_mul_hi_i32 s21, s20, s13
	s_mul_i32 s20, s20, s13
	s_waitcnt lgkmcnt(3)
	v_mfma_f32_16x16x16_bf16 a[8:11], v[146:147], v[142:143], 0
	s_add_u32 s20, s20, s47
	s_addc_u32 s21, s21, s48
	s_lshl_b64 s[20:21], s[20:21], 15
	v_mfma_f32_16x16x16_bf16 a[12:15], v[146:147], v[144:145], 0
	ds_read2st64_b64 v[146:149], v121 offset0:4 offset1:8
	s_waitcnt lgkmcnt(0)
	v_mfma_f32_16x16x16_bf16 a[0:3], v[162:163], v[146:147], a[0:3]
	v_mfma_f32_16x16x16_bf16 a[4:7], v[162:163], v[150:151], a[4:7]
	v_mfma_f32_16x16x16_bf16 a[8:11], v[162:163], v[154:155], a[8:11]
	v_mfma_f32_16x16x16_bf16 a[12:15], v[162:163], v[158:159], a[12:15]
	v_mfma_f32_16x16x16_bf16 a[0:3], v[164:165], v[148:149], a[0:3]
	v_mfma_f32_16x16x16_bf16 a[4:7], v[164:165], v[152:153], a[4:7]
	v_mfma_f32_16x16x16_bf16 a[8:11], v[164:165], v[156:157], a[8:11]
	v_mfma_f32_16x16x16_bf16 a[12:15], v[164:165], v[160:161], a[12:15]
	ds_read_b64 v[162:163], v121 offset:6144
	ds_read_b64 v[164:165], v122 offset:40960
	;; [unrolled: 1-line block ×8, first 2 shown]
	s_waitcnt lgkmcnt(5)
	v_mfma_f32_16x16x16_bf16 a[16:19], v[168:169], v[138:139], 0
	v_mfma_f32_16x16x16_bf16 a[20:23], v[168:169], v[140:141], 0
	ds_read2st64_b64 v[138:141], v118 offset1:8
	v_mfma_f32_16x16x16_bf16 a[24:27], v[168:169], v[142:143], 0
	v_mfma_f32_16x16x16_bf16 a[28:31], v[168:169], v[144:145], 0
	ds_read2st64_b64 v[142:145], v119 offset1:8
	v_mfma_f32_16x16x16_bf16 a[16:19], v[164:165], v[146:147], a[16:19]
	s_waitcnt lgkmcnt(1)
	v_mov_b32_e32 v146, v138
	v_mov_b32_e32 v147, v139
	v_mfma_f32_16x16x16_bf16 a[20:23], v[164:165], v[150:151], a[20:23]
	v_lshl_add_u64 v[150:151], v[74:75], 0, s[20:21]
	v_mfma_f32_16x16x16_bf16 a[24:27], v[164:165], v[154:155], a[24:27]
	v_mfma_f32_16x16x16_bf16 a[28:31], v[164:165], v[158:159], a[28:31]
	;; [unrolled: 1-line block ×3, first 2 shown]
	s_waitcnt lgkmcnt(0)
	v_mov_b32_e32 v148, v142
	v_mov_b32_e32 v149, v143
	;; [unrolled: 1-line block ×3, first 2 shown]
	v_mfma_f32_16x16x16_bf16 a[32:35], v[176:177], v[152:153], a[20:23]
	v_mov_b32_e32 v143, v141
	ds_read2st64_b64 v[138:141], v118 offset0:16 offset1:24
	global_store_dwordx4 v[150:151], v[146:149], off
	v_mfma_f32_16x16x16_bf16 a[24:27], v[176:177], v[156:157], a[24:27]
	ds_read2st64_b64 v[146:149], v119 offset0:16 offset1:24
	v_add_co_u32_e32 v152, vcc, s37, v150
	v_mfma_f32_16x16x16_bf16 a[28:31], v[176:177], v[160:161], a[28:31]
	s_nop 0
	v_addc_co_u32_e32 v153, vcc, 0, v151, vcc
	global_store_dwordx4 v[152:153], v[142:145], off offset:-4096
	v_mfma_f32_16x16x16_bf16 a[0:3], v[166:167], v[162:163], a[0:3]
	s_waitcnt lgkmcnt(1)
	v_mov_b32_e32 v142, v138
	v_add_co_u32_e32 v138, vcc, s39, v150
	v_mfma_f32_16x16x16_bf16 a[4:7], v[166:167], v[170:171], a[4:7]
	v_mov_b32_e32 v143, v139
	v_addc_co_u32_e32 v139, vcc, 0, v151, vcc
	v_mfma_f32_16x16x16_bf16 a[8:11], v[166:167], v[172:173], a[8:11]
	s_waitcnt lgkmcnt(0)
	v_mov_b32_e32 v144, v146
	v_mov_b32_e32 v145, v147
	v_mov_b32_e32 v146, v140
	v_mfma_f32_16x16x16_bf16 a[12:15], v[166:167], v[174:175], a[12:15]
	v_mov_b32_e32 v147, v141
	s_and_b64 vcc, exec, s[0:1]
	global_store_dwordx4 v[152:153], v[142:145], off
	v_mfma_f32_16x16x16_bf16 a[20:23], v[178:179], v[162:163], a[16:19]
	global_store_dwordx4 v[138:139], v[146:149], off
	v_mfma_f32_16x16x16_bf16 a[16:19], v[178:179], v[170:171], a[32:35]
	v_mfma_f32_16x16x16_bf16 a[24:27], v[178:179], v[172:173], a[24:27]
	;; [unrolled: 1-line block ×3, first 2 shown]
	s_cbranch_vccnz .LBB243_16
; %bb.15:                               ;   in Loop: Header=BB243_6 Depth=1
	v_lshrrev_b32_e32 v138, 3, v136
	v_and_b32_e32 v138, 6, v138
	v_xor_b32_e32 v137, v138, v137
	v_lshlrev_b32_e32 v137, 2, v137
	v_and_b32_e32 v136, 8, v136
	v_xor_b32_e32 v139, 0x440, v137
	v_cmp_eq_u32_e32 vcc, 0, v136
	s_barrier
	s_nop 0
	v_cndmask_b32_e32 v136, v139, v137, vcc
	v_lshl_or_b32 v136, v138, 10, v136
	s_waitcnt vmcnt(5)
	v_perm_b32 v137, v62, v58, s58
	s_waitcnt vmcnt(4)
	v_perm_b32 v138, v54, v50, s58
	ds_write2st64_b32 v136, v137, v138 offset0:128 offset1:160
	v_xor_b32_e32 v137, 8, v136
	v_perm_b32 v58, v62, v58, s59
	v_perm_b32 v50, v54, v50, s59
	v_add_u32_e32 v54, 0x80, v137
	ds_write2st64_b32 v54, v58, v50 offset0:128 offset1:160
	v_xor_b32_e32 v50, 16, v136
	v_perm_b32 v54, v63, v59, s58
	v_perm_b32 v58, v55, v51, s58
	ds_write2st64_b32 v50, v54, v58 offset0:129 offset1:161
	v_xor_b32_e32 v50, 24, v136
	v_perm_b32 v54, v63, v59, s59
	v_perm_b32 v51, v55, v51, s59
	v_add_u32_e32 v50, 0x80, v50
	ds_write2st64_b32 v50, v54, v51 offset0:129 offset1:161
	v_xor_b32_e32 v50, 32, v136
	v_perm_b32 v51, v64, v60, s58
	;; [unrolled: 9-line block ×3, first 2 shown]
	v_perm_b32 v52, v57, v53, s58
	ds_write2st64_b32 v50, v51, v52 offset0:131 offset1:163
	v_xor_b32_e32 v50, 56, v136
	v_perm_b32 v51, v65, v61, s59
	v_perm_b32 v52, v57, v53, s59
	v_add_u32_e32 v50, 0x80, v50
	ds_write2st64_b32 v50, v51, v52 offset0:131 offset1:163
	ds_write_b64 v135, v[46:47] offset:49152
	v_xor_b32_e32 v46, 8, v135
	ds_write_b64 v46, v[48:49] offset:49152
	ds_write_b64 v135, v[42:43] offset:57344
	;; [unrolled: 1-line block ×4, first 2 shown]
	v_xor_b32_e32 v38, 8, v134
	ds_write_b64 v38, v[40:41] offset:49152
	ds_write_b64 v134, v[34:35] offset:57344
	;; [unrolled: 1-line block ×3, first 2 shown]
.LBB243_16:                             ;   in Loop: Header=BB243_6 Depth=1
	s_waitcnt vmcnt(6)
	v_mul_f32_e32 v54, s40, v133
	v_exp_f32_e32 v134, v54
	v_accvgpr_read_b32 v37, a3
	v_accvgpr_read_b32 v41, a7
	;; [unrolled: 1-line block ×4, first 2 shown]
	s_waitcnt vmcnt(4)
	v_accvgpr_read_b32 v53, a23
	v_accvgpr_read_b32 v57, a19
	;; [unrolled: 1-line block ×28, first 2 shown]
	s_add_i32 s55, s55, 64
	v_pk_fma_f32 v[22:23], v[22:23], v[134:135], v[34:35] op_sel_hi:[1,0,1]
	v_pk_fma_f32 v[24:25], v[24:25], v[134:135], v[36:37] op_sel_hi:[1,0,1]
	;; [unrolled: 1-line block ×15, first 2 shown]
	s_cmp_eq_u32 s49, s61
	v_pk_fma_f32 v[12:13], v[12:13], v[134:135], v[64:65] op_sel_hi:[1,0,1]
	s_cbranch_scc1 .LBB243_18
; %bb.17:                               ;   in Loop: Header=BB243_6 Depth=1
	s_mov_b32 s60, s61
	s_branch .LBB243_6
.LBB243_18:
	s_lshl_b32 s26, s49, 6
	s_sub_i32 s27, s50, s26
	s_cmp_gt_i32 s27, 0
	s_cbranch_scc0 .LBB243_99
; %bb.19:
	s_add_i32 s26, s26, s34
	s_ashr_i32 s3, s26, 31
	s_cmpk_lg_i32 s15, 0x80
	s_cselect_b64 s[22:23], -1, 0
	s_and_b64 vcc, exec, s[22:23]
	s_cbranch_vccz .LBB243_21
; %bb.20:
	s_mul_hi_i32 s0, s26, s14
	s_mul_i32 s1, s26, s14
	s_ashr_i32 s14, s51, 31
	s_add_u32 s24, s1, s51
	s_addc_u32 s25, s0, s14
	s_cbranch_execz .LBB243_22
	s_branch .LBB243_23
.LBB243_21:
                                        ; implicit-def: $sgpr24_sgpr25
.LBB243_22:
	s_mul_i32 s1, s51, s12
	s_mul_hi_i32 s0, s51, s12
	s_add_u32 s24, s1, s26
	s_addc_u32 s25, s0, s3
.LBB243_23:
	s_add_i32 s12, s49, s52
	s_add_u32 s0, s54, s26
	s_addc_u32 s1, s53, s3
	v_lshlrev_b32_e32 v35, 6, v82
	v_lshlrev_b32_e32 v34, 2, v79
	s_mov_b32 s3, 0x7060302
	s_waitcnt vmcnt(7)
	v_perm_b32 v25, v25, v24, s3
	v_perm_b32 v24, v23, v22, s3
	s_waitcnt vmcnt(6)
	v_perm_b32 v22, v31, v30, s3
	v_or_b32_e32 v30, v35, v34
	v_xor_b32_e32 v36, v82, v34
	v_perm_b32 v23, v33, v32, s3
	v_lshlrev_b32_e32 v30, 1, v30
	ds_write2st64_b64 v30, v[24:25], v[22:23] offset0:32 offset1:48
	v_lshlrev_b32_e32 v30, 1, v36
	v_lshlrev_b32_e32 v31, 8, v79
	v_xor_b32_e32 v37, v83, v34
	v_or_b32_e32 v32, v30, v31
	ds_write_b64 v32, v[24:25]
	v_lshlrev_b32_e32 v24, 1, v37
	v_or_b32_e32 v25, v24, v31
	ds_write_b64 v25, v[22:23]
	v_or_b32_e32 v22, 16, v79
	v_lshlrev_b32_e32 v23, 2, v22
	v_or_b32_e32 v25, v35, v23
	s_waitcnt vmcnt(5)
	v_perm_b32 v17, v17, v16, s3
	v_perm_b32 v16, v15, v14, s3
	s_waitcnt vmcnt(4)
	v_perm_b32 v15, v29, v28, s3
	v_perm_b32 v14, v27, v26, s3
	v_lshlrev_b32_e32 v25, 1, v25
	v_lshlrev_b32_e32 v22, 8, v22
	ds_write2st64_b64 v25, v[16:17], v[14:15] offset0:32 offset1:48
	v_or_b32_e32 v25, v30, v22
	ds_write_b64 v25, v[16:17]
	v_or_b32_e32 v16, v24, v22
	ds_write_b64 v16, v[14:15]
	v_or_b32_e32 v14, 32, v79
	v_lshlrev_b32_e32 v22, 2, v14
	v_or_b32_e32 v15, v35, v22
	s_waitcnt vmcnt(3)
	v_perm_b32 v9, v9, v8, s3
	v_perm_b32 v8, v7, v6, s3
	s_waitcnt vmcnt(2)
	v_perm_b32 v7, v21, v20, s3
	v_perm_b32 v6, v19, v18, s3
	v_lshlrev_b32_e32 v15, 1, v15
	v_lshlrev_b32_e32 v14, 8, v14
	s_lshl_b64 s[20:21], s[0:1], 8
	ds_write2st64_b64 v15, v[8:9], v[6:7] offset0:32 offset1:48
	v_or_b32_e32 v15, v30, v14
	s_add_u32 s0, s6, s20
	ds_write_b64 v15, v[8:9]
	v_or_b32_e32 v8, v24, v14
	s_addc_u32 s1, s7, s21
	ds_write_b64 v8, v[6:7]
	s_waitcnt vmcnt(1)
	v_perm_b32 v5, v5, v4, s3
	v_perm_b32 v4, v3, v2, s3
	s_waitcnt vmcnt(0)
	v_perm_b32 v3, v13, v12, s3
	v_perm_b32 v2, v11, v10, s3
	v_or_b32_e32 v6, 48, v79
	s_mul_hi_i32 s3, s12, s13
	s_mul_i32 s12, s12, s13
	v_lshlrev_b32_e32 v19, 2, v6
	s_add_u32 s6, s12, s47
	v_or_b32_e32 v7, v35, v19
	s_addc_u32 s7, s3, s48
	v_lshlrev_b32_e32 v7, 1, v7
	v_lshlrev_b32_e32 v6, 8, v6
	s_ashr_i32 s3, s2, 31
	s_lshl_b64 s[6:7], s[6:7], 15
	ds_write2st64_b64 v7, v[4:5], v[2:3] offset0:32 offset1:48
	v_or_b32_e32 v7, v30, v6
	s_add_u32 s6, s18, s6
	ds_write_b64 v7, v[4:5]
	v_or_b32_e32 v4, v24, v6
	s_addc_u32 s7, s19, s7
	s_lshl_b64 s[2:3], s[2:3], 8
	ds_write_b64 v4, v[2:3]
	s_add_u32 s2, s6, s2
	v_lshlrev_b32_e32 v3, 1, v79
	v_lshrrev_b32_e32 v2, 4, v0
	s_addc_u32 s3, s7, s3
	v_or_b32_e32 v4, 1, v3
	v_lshlrev_b32_e32 v10, 4, v79
	v_mov_b32_e32 v11, 0
	v_xor_b32_e32 v3, v2, v3
	v_xor_b32_e32 v6, v4, v2
	v_lshl_add_u64 v[12:13], s[2:3], 0, v[10:11]
	v_lshlrev_b32_e32 v10, 8, v2
	v_lshl_or_b32 v16, v3, 3, v10
	v_lshl_or_b32 v17, v6, 3, v10
	s_waitcnt lgkmcnt(0)
	s_barrier
	ds_read2st64_b64 v[2:5], v16 offset1:8
	ds_read2st64_b64 v[6:9], v17 offset1:8
	v_lshl_add_u64 v[14:15], v[12:13], 0, v[10:11]
	s_movk_i32 s2, 0x2000
	s_cmp_lg_u32 s27, 64
	s_waitcnt lgkmcnt(1)
	v_mov_b32_e32 v10, v2
	v_mov_b32_e32 v11, v3
	s_waitcnt lgkmcnt(0)
	v_mov_b32_e32 v12, v6
	v_mov_b32_e32 v13, v7
	global_store_dwordx4 v[14:15], v[10:13], off
	v_mov_b32_e32 v6, v4
	v_mov_b32_e32 v7, v5
	ds_read2st64_b64 v[2:5], v16 offset0:16 offset1:24
	ds_read2st64_b64 v[10:13], v17 offset0:16 offset1:24
	v_add_co_u32_e32 v16, vcc, s2, v14
	s_cselect_b64 s[6:7], -1, 0
	s_nop 0
	v_addc_co_u32_e32 v17, vcc, 0, v15, vcc
	global_store_dwordx4 v[16:17], v[6:9], off offset:-4096
	v_lshl_or_b32 v24, v77, 3, v81
	s_mov_b32 s16, 0
	s_waitcnt lgkmcnt(1)
	v_mov_b32_e32 v6, v2
	v_add_co_u32_e32 v2, vcc, 0x3000, v14
	v_mov_b32_e32 v7, v3
	s_nop 0
	v_addc_co_u32_e32 v3, vcc, 0, v15, vcc
	s_waitcnt lgkmcnt(0)
	v_mov_b32_e32 v8, v10
	v_mov_b32_e32 v9, v11
	;; [unrolled: 1-line block ×4, first 2 shown]
	v_or_b32_e32 v20, 32, v24
	v_and_b32_e32 v18, 56, v80
	s_and_b64 vcc, exec, s[6:7]
	global_store_dwordx4 v[16:17], v[6:9], off
	global_store_dwordx4 v[2:3], v[10:13], off
	s_cbranch_vccz .LBB243_29
; %bb.24:
	s_mov_b32 s17, s16
	s_mov_b32 s18, s16
	;; [unrolled: 1-line block ×3, first 2 shown]
	v_mov_b64_e32 v[6:7], s[16:17]
	v_mov_b64_e32 v[8:9], s[18:19]
	;; [unrolled: 1-line block ×3, first 2 shown]
	v_cmp_gt_i32_e32 vcc, s27, v24
	v_mov_b64_e32 v[4:5], v[8:9]
	s_and_saveexec_b64 s[2:3], vcc
	s_cbranch_execz .LBB243_26
; %bb.25:
	v_lshlrev_b32_e32 v2, 8, v24
	v_mov_b32_e32 v3, 0
	v_lshl_add_u64 v[4:5], s[0:1], 0, v[2:3]
	v_lshlrev_b32_e32 v2, 1, v18
	v_lshl_add_u64 v[10:11], v[4:5], 0, v[2:3]
	global_load_dwordx4 v[6:9], v[10:11], off
	global_load_dwordx4 v[2:5], v[10:11], off offset:128
.LBB243_26:
	s_or_b64 exec, exec, s[2:3]
	s_mov_b32 s17, s16
	s_mov_b32 s18, s16
	;; [unrolled: 1-line block ×3, first 2 shown]
	v_mov_b64_e32 v[14:15], s[16:17]
	v_mov_b64_e32 v[16:17], s[18:19]
	v_mov_b64_e32 v[10:11], v[14:15]
	v_cmp_gt_i32_e32 vcc, s27, v20
	v_lshlrev_b32_e32 v21, 7, v20
	v_mov_b64_e32 v[12:13], v[16:17]
	s_and_saveexec_b64 s[2:3], vcc
	s_cbranch_execz .LBB243_28
; %bb.27:
	v_lshlrev_b32_e32 v10, 1, v21
	v_mov_b32_e32 v11, 0
	v_lshl_add_u64 v[12:13], s[0:1], 0, v[10:11]
	v_lshlrev_b32_e32 v10, 1, v18
	v_lshl_add_u64 v[26:27], v[12:13], 0, v[10:11]
	global_load_dwordx4 v[14:17], v[26:27], off
	global_load_dwordx4 v[10:13], v[26:27], off offset:128
.LBB243_28:
	s_or_b64 exec, exec, s[2:3]
	v_lshrrev_b32_e32 v25, 3, v18
	v_lshlrev_b32_e32 v26, 3, v24
	v_or_b32_e32 v25, v26, v25
	v_lshlrev_b32_e32 v25, 4, v25
	v_and_b32_e32 v26, 0x78, v26
	v_xor_b32_e32 v25, v25, v26
	s_branch .LBB243_31
.LBB243_29:
                                        ; implicit-def: $vgpr25
                                        ; implicit-def: $vgpr21
                                        ; implicit-def: $vgpr6_vgpr7_vgpr8_vgpr9
                                        ; implicit-def: $vgpr2_vgpr3_vgpr4_vgpr5
                                        ; implicit-def: $vgpr14_vgpr15_vgpr16_vgpr17
                                        ; implicit-def: $vgpr10_vgpr11_vgpr12_vgpr13
	s_cbranch_execz .LBB243_31
; %bb.30:
	s_waitcnt vmcnt(0)
	v_lshlrev_b32_e32 v2, 1, v18
	v_lshl_or_b32 v21, v24, 8, v2
	s_and_b32 s1, s1, 0xffff
	s_mov_b32 s3, 0x20000
	s_movk_i32 s2, 0x4000
	v_lshl_or_b32 v25, v20, 8, v2
	s_movk_i32 s12, 0x80
	buffer_load_dwordx4 v[6:9], v21, s[0:3], 0 offen
	buffer_load_dwordx4 v[2:5], v21, s[0:3], s12 offen
	;; [unrolled: 1-line block ×4, first 2 shown]
	v_lshrrev_b32_e32 v21, 3, v18
	v_lshlrev_b32_e32 v25, 3, v24
	v_or_b32_e32 v21, v25, v21
	v_lshlrev_b32_e32 v21, 4, v21
	v_and_b32_e32 v25, 0x78, v25
	v_xor_b32_e32 v25, v21, v25
	v_lshlrev_b32_e32 v21, 7, v20
.LBB243_31:
	s_movk_i32 s0, 0x1000
	v_and_or_b32 v20, v21, s0, v25
	s_waitcnt vmcnt(1)
	ds_write_b64 v25, v[6:7] offset:49152
	v_xor_b32_e32 v6, 8, v25
	ds_write_b64 v6, v[8:9] offset:49152
	s_waitcnt vmcnt(0)
	ds_write_b64 v25, v[2:3] offset:57344
	ds_write_b64 v6, v[4:5] offset:57344
	;; [unrolled: 1-line block ×3, first 2 shown]
	v_xor_b32_e32 v2, 8, v20
	ds_write_b64 v2, v[16:17] offset:49152
	ds_write_b64 v20, v[10:11] offset:57344
	;; [unrolled: 1-line block ×3, first 2 shown]
	v_or_b32_e32 v2, v1, v79
	v_lshlrev_b32_e32 v3, 11, v77
	v_lshlrev_b32_e32 v2, 3, v2
	v_and_b32_e32 v6, 0x1000, v3
	v_lshrrev_b32_e32 v3, 5, v76
	s_movk_i32 s0, 0xf8
	v_and_or_b32 v3, v2, s0, v3
	v_lshlrev_b32_e32 v7, 4, v3
	v_and_b32_e32 v8, 0x78, v2
	v_or_b32_e32 v10, 32, v7
	v_lshrrev_b32_e32 v3, 1, v76
	v_xor_b32_e32 v10, v10, v8
	v_xor_b32_e32 v2, v7, v8
	v_and_b32_e32 v9, 8, v3
	v_or_b32_e32 v10, v10, v6
	v_or_b32_e32 v2, v2, v6
	v_xor_b32_e32 v27, v10, v9
	v_or_b32_e32 v10, 64, v7
	v_xor_b32_e32 v26, v2, v9
	v_xor_b32_e32 v10, v10, v8
	s_waitcnt lgkmcnt(0)
	s_barrier
	v_or_b32_e32 v13, v10, v6
	ds_read_b64 v[10:11], v26 offset:49152
	v_lshl_or_b32 v14, v78, 8, v34
	v_lshlrev_b32_e32 v25, 1, v14
	v_add_u32_e32 v12, 0x4000, v25
	ds_read2_b64 v[2:5], v12 offset1:16
	v_or_b32_e32 v7, 0x60, v7
	v_xor_b32_e32 v7, v7, v8
	v_or_b32_e32 v6, v7, v6
	v_xor_b32_e32 v28, v13, v9
	v_xor_b32_e32 v29, v6, v9
	ds_read_b64 v[20:21], v27 offset:49152
	ds_read_b64 v[36:37], v28 offset:49152
	;; [unrolled: 1-line block ×3, first 2 shown]
	s_waitcnt lgkmcnt(3)
	v_mfma_f32_16x16x16_bf16 a[0:3], v[10:11], v[2:3], 0
	ds_read2st64_b64 v[6:9], v25 offset0:36 offset1:40
	s_lshl_b64 s[0:1], s[24:25], 8
	s_add_u32 s4, s4, s0
	v_mfma_f32_16x16x16_bf16 a[4:7], v[10:11], v[4:5], 0
	ds_read2_b64 v[2:5], v12 offset0:32 offset1:48
	s_addc_u32 s5, s5, s1
	s_add_i32 s1, s43, s33
	s_waitcnt lgkmcnt(0)
	v_mfma_f32_16x16x16_bf16 a[8:11], v[10:11], v[2:3], 0
	v_or_b32_e32 v2, 64, v14
	v_lshlrev_b32_e32 v30, 1, v2
	s_add_i32 s0, s35, -1
	v_mfma_f32_16x16x16_bf16 a[12:15], v[10:11], v[4:5], 0
	ds_read2st64_b64 v[2:5], v30 offset0:36 offset1:40
	s_add_i32 s39, s1, s42
	s_add_i32 s1, s45, s44
	v_mfma_f32_16x16x16_bf16 a[0:3], v[20:21], v[6:7], a[0:3]
	v_or_b32_e32 v6, 0x80, v14
	v_lshlrev_b32_e32 v31, 1, v6
	ds_read2st64_b64 v[10:13], v31 offset0:36 offset1:40
	s_waitcnt lgkmcnt(1)
	v_mfma_f32_16x16x16_bf16 a[4:7], v[20:21], v[2:3], a[4:7]
	v_or_b32_e32 v2, 0xc0, v14
	v_lshlrev_b32_e32 v32, 1, v2
	ds_read2st64_b64 v[14:17], v32 offset0:36 offset1:40
	s_add_i32 s37, s1, s46
	s_ashr_i32 s1, s0, 31
	s_mul_i32 s2, s0, s31
	s_mul_hi_u32 s3, s0, s30
	s_add_i32 s2, s3, s2
	s_mul_i32 s1, s1, s30
	s_waitcnt lgkmcnt(1)
	v_mfma_f32_16x16x16_bf16 a[8:11], v[20:21], v[10:11], a[8:11]
	s_add_i32 s1, s2, s1
	s_lshl_b64 s[2:3], s[38:39], 2
	s_add_u32 s10, s10, s2
	s_waitcnt lgkmcnt(0)
	v_mfma_f32_16x16x16_bf16 a[12:15], v[20:21], v[14:15], a[12:15]
	s_addc_u32 s11, s11, s3
	s_lshl_b64 s[2:3], s[36:37], 2
	s_mul_i32 s0, s0, s30
	v_mfma_f32_16x16x16_bf16 a[0:3], v[36:37], v[8:9], a[0:3]
	ds_read_b64 v[2:3], v25 offset:22528
	s_add_u32 s10, s10, s2
	s_addc_u32 s11, s11, s3
	v_mfma_f32_16x16x16_bf16 a[4:7], v[36:37], v[4:5], a[4:7]
	ds_read_b64 v[4:5], v30 offset:22528
	ds_read_b64 v[6:7], v31 offset:22528
	;; [unrolled: 1-line block ×3, first 2 shown]
	s_lshl_b64 s[0:1], s[0:1], 2
	s_add_u32 s0, s10, s0
	v_mfma_f32_16x16x16_bf16 a[8:11], v[36:37], v[12:13], a[8:11]
	s_addc_u32 s1, s11, s1
	s_load_dword s12, s[0:1], 0x0
	s_and_b64 vcc, exec, s[22:23]
	v_mfma_f32_16x16x16_bf16 a[12:15], v[36:37], v[16:17], a[12:15]
	s_waitcnt lgkmcnt(0)
	v_mfma_f32_16x16x16_bf16 a[0:3], v[38:39], v[2:3], a[0:3]
	v_mfma_f32_16x16x16_bf16 a[4:7], v[38:39], v[4:5], a[4:7]
	;; [unrolled: 1-line block ×4, first 2 shown]
	s_cbranch_vccz .LBB243_42
; %bb.32:
	v_lshlrev_b32_e32 v20, 1, v24
	s_and_b64 vcc, exec, s[6:7]
	s_cbranch_vccz .LBB243_43
; %bb.33:
	v_cmp_gt_i32_e32 vcc, s27, v20
	v_mov_b32_e32 v6, 0
	v_mov_b32_e32 v2, 0
	;; [unrolled: 1-line block ×5, first 2 shown]
	s_and_saveexec_b64 s[0:1], vcc
	s_cbranch_execz .LBB243_35
; %bb.34:
	v_mad_i64_i32 v[2:3], s[2:3], s15, v20, 0
	v_lshl_add_u64 v[2:3], v[2:3], 1, s[4:5]
	v_lshlrev_b32_e32 v4, 1, v18
	v_mov_b32_e32 v5, 0
	v_lshl_add_u64 v[2:3], v[2:3], 0, v[4:5]
	global_load_dwordx4 v[2:5], v[2:3], off
.LBB243_35:
	s_or_b64 exec, exec, s[0:1]
	v_or_b32_e32 v21, 1, v20
	v_cmp_gt_i32_e64 s[0:1], s27, v21
	v_mov_b32_e32 v7, 0
	v_mov_b32_e32 v8, 0
	v_mov_b32_e32 v9, 0
	s_and_saveexec_b64 s[2:3], s[0:1]
	s_cbranch_execz .LBB243_37
; %bb.36:
	v_mad_i64_i32 v[6:7], s[16:17], s15, v21, 0
	v_lshl_add_u64 v[6:7], v[6:7], 1, s[4:5]
	v_lshlrev_b32_e32 v8, 1, v18
	v_mov_b32_e32 v9, 0
	v_lshl_add_u64 v[6:7], v[6:7], 0, v[8:9]
	global_load_dwordx4 v[6:9], v[6:7], off
.LBB243_37:
	s_or_b64 exec, exec, s[2:3]
	v_mov_b32_e32 v17, 0
	v_mov_b32_e32 v10, 0
	;; [unrolled: 1-line block ×5, first 2 shown]
	s_and_saveexec_b64 s[2:3], vcc
	s_cbranch_execz .LBB243_39
; %bb.38:
	v_mad_i64_i32 v[10:11], s[16:17], s15, v20, 0
	v_lshl_add_u64 v[10:11], v[10:11], 1, s[4:5]
	v_lshlrev_b32_e32 v12, 1, v18
	v_mov_b32_e32 v13, 0
	v_lshl_add_u64 v[10:11], v[10:11], 0, v[12:13]
	global_load_dwordx4 v[10:13], v[10:11], off offset:128
.LBB243_39:
	s_or_b64 exec, exec, s[2:3]
	v_mov_b32_e32 v16, 0
	v_mov_b32_e32 v15, 0
	;; [unrolled: 1-line block ×3, first 2 shown]
	s_and_saveexec_b64 s[2:3], s[0:1]
	s_cbranch_execz .LBB243_41
; %bb.40:
	v_mad_i64_i32 v[14:15], s[0:1], s15, v21, 0
	v_lshl_add_u64 v[14:15], v[14:15], 1, s[4:5]
	v_lshlrev_b32_e32 v16, 1, v18
	v_mov_b32_e32 v17, 0
	v_lshl_add_u64 v[14:15], v[14:15], 0, v[16:17]
	global_load_dwordx4 v[14:17], v[14:15], off offset:128
.LBB243_41:
	s_or_b64 exec, exec, s[2:3]
	s_branch .LBB243_45
.LBB243_42:
                                        ; implicit-def: $vgpr5
                                        ; implicit-def: $vgpr9
                                        ; implicit-def: $vgpr13
                                        ; implicit-def: $vgpr17
	v_lshrrev_b32_e32 v33, 2, v76
	s_branch .LBB243_46
.LBB243_43:
                                        ; implicit-def: $vgpr5
                                        ; implicit-def: $vgpr9
                                        ; implicit-def: $vgpr13
                                        ; implicit-def: $vgpr17
	s_cbranch_execz .LBB243_45
; %bb.44:
	s_waitcnt vmcnt(0)
	v_mad_u64_u32 v[2:3], s[0:1], v20, s15, v[18:19]
	v_lshlrev_b32_e32 v20, 1, v2
	s_lshl_b32 s2, s15, 7
	s_and_b32 s1, s5, 0xffff
	s_mov_b32 s3, 0x20000
	s_mov_b32 s0, s4
	v_add_lshl_u32 v21, v2, s15, 1
	s_movk_i32 s13, 0x80
	buffer_load_dwordx4 v[2:5], v20, s[0:3], 0 offen
	buffer_load_dwordx4 v[10:13], v20, s[0:3], s13 offen
	;; [unrolled: 1-line block ×4, first 2 shown]
.LBB243_45:
	v_lshrrev_b32_e32 v33, 2, v76
	s_cbranch_execnz .LBB243_58
.LBB243_46:
	s_and_b64 vcc, exec, s[6:7]
	s_cbranch_vccz .LBB243_56
; %bb.47:
	s_waitcnt vmcnt(0)
	v_lshlrev_b32_e32 v7, 1, v24
	v_cmp_gt_i32_e32 vcc, s27, v7
	v_mov_b32_e32 v6, 0
	v_lshlrev_b32_e32 v14, 9, v24
	v_mov_b32_e32 v2, 0
	v_mov_b32_e32 v3, 0
	;; [unrolled: 1-line block ×4, first 2 shown]
	s_and_saveexec_b64 s[0:1], vcc
	s_cbranch_execz .LBB243_49
; %bb.48:
	v_mov_b32_e32 v15, 0
	v_lshl_add_u64 v[2:3], s[4:5], 0, v[14:15]
	v_lshlrev_b32_e32 v4, 1, v18
	v_mov_b32_e32 v5, v15
	v_lshl_add_u64 v[2:3], v[2:3], 0, v[4:5]
	global_load_dwordx4 v[2:5], v[2:3], off
.LBB243_49:
	s_or_b64 exec, exec, s[0:1]
	v_or_b32_e32 v7, 1, v7
	v_cmp_gt_i32_e64 s[0:1], s27, v7
	v_lshlrev_b32_e32 v20, 8, v7
	v_mov_b32_e32 v7, 0
	v_mov_b32_e32 v8, 0
	;; [unrolled: 1-line block ×3, first 2 shown]
	s_and_saveexec_b64 s[2:3], s[0:1]
	s_cbranch_execz .LBB243_51
; %bb.50:
	v_mov_b32_e32 v21, 0
	v_lshl_add_u64 v[6:7], s[4:5], 0, v[20:21]
	v_lshlrev_b32_e32 v8, 1, v18
	v_mov_b32_e32 v9, v21
	v_lshl_add_u64 v[6:7], v[6:7], 0, v[8:9]
	global_load_dwordx4 v[6:9], v[6:7], off
.LBB243_51:
	s_or_b64 exec, exec, s[2:3]
	v_mov_b32_e32 v17, 0
	v_mov_b32_e32 v10, 0
	;; [unrolled: 1-line block ×5, first 2 shown]
	s_and_saveexec_b64 s[2:3], vcc
	s_cbranch_execz .LBB243_53
; %bb.52:
	v_mov_b32_e32 v15, 0
	v_lshl_add_u64 v[10:11], s[4:5], 0, v[14:15]
	v_lshlrev_b32_e32 v14, 1, v18
	v_lshl_add_u64 v[10:11], v[10:11], 0, v[14:15]
	global_load_dwordx4 v[10:13], v[10:11], off offset:128
.LBB243_53:
	s_or_b64 exec, exec, s[2:3]
	v_mov_b32_e32 v16, 0
	v_mov_b32_e32 v15, 0
	;; [unrolled: 1-line block ×3, first 2 shown]
	s_and_saveexec_b64 s[2:3], s[0:1]
	s_cbranch_execz .LBB243_55
; %bb.54:
	v_mov_b32_e32 v21, 0
	v_lshl_add_u64 v[14:15], s[4:5], 0, v[20:21]
	v_lshlrev_b32_e32 v20, 1, v18
	v_lshl_add_u64 v[14:15], v[14:15], 0, v[20:21]
	global_load_dwordx4 v[14:17], v[14:15], off offset:128
.LBB243_55:
	s_or_b64 exec, exec, s[2:3]
	s_branch .LBB243_58
.LBB243_56:
                                        ; implicit-def: $vgpr5
                                        ; implicit-def: $vgpr9
                                        ; implicit-def: $vgpr13
                                        ; implicit-def: $vgpr17
	s_cbranch_execz .LBB243_58
; %bb.57:
	s_waitcnt vmcnt(0)
	v_lshlrev_b32_e32 v2, 1, v18
	v_lshl_or_b32 v18, v24, 9, v2
	s_and_b32 s5, s5, 0xffff
	s_mov_b32 s7, 0x20000
	s_movk_i32 s6, 0x4000
	s_movk_i32 s0, 0x80
	buffer_load_dwordx4 v[2:5], v18, s[4:7], 0 offen
	buffer_load_dwordx4 v[6:9], v18, s[4:7], 0 offen offset:256
	buffer_load_dwordx4 v[10:13], v18, s[4:7], s0 offen
	buffer_load_dwordx4 v[14:17], v18, s[4:7], s0 offen offset:256
.LBB243_58:
	ds_read_b64 v[20:21], v26 offset:57344
	v_add_u32_e32 v18, 0x6000, v25
	ds_read2_b64 v[36:39], v18 offset1:16
	ds_read_b64 v[48:49], v27 offset:57344
	ds_read_b64 v[50:51], v28 offset:57344
	;; [unrolled: 1-line block ×3, first 2 shown]
	ds_read2_b64 v[26:29], v18 offset0:32 offset1:48
	v_and_b32_e32 v18, 6, v0
	v_xor_b32_e32 v24, v24, v18
	v_lshlrev_b32_e32 v24, 2, v24
	v_and_b32_e32 v0, 1, v0
	v_cmp_eq_u32_e32 vcc, 0, v0
	s_waitcnt lgkmcnt(4)
	v_mfma_f32_16x16x16_bf16 a[0:3], v[20:21], v[36:37], a[0:3]
	s_mov_b32 s0, 0x1000504
	s_mov_b32 s1, 0x3020706
	v_mfma_f32_16x16x16_bf16 a[4:7], v[20:21], v[38:39], a[4:7]
	ds_read2st64_b64 v[36:39], v25 offset0:52 offset1:56
	s_waitcnt lgkmcnt(1)
	v_mfma_f32_16x16x16_bf16 a[8:11], v[20:21], v[26:27], a[8:11]
	v_mfma_f32_16x16x16_bf16 a[12:15], v[20:21], v[28:29], a[12:15]
	ds_read2st64_b64 v[26:29], v30 offset0:52 offset1:56
	ds_read2st64_b64 v[40:43], v31 offset0:52 offset1:56
	;; [unrolled: 1-line block ×3, first 2 shown]
	s_waitcnt lgkmcnt(3)
	v_mfma_f32_16x16x16_bf16 a[0:3], v[48:49], v[36:37], a[0:3]
	ds_read_b64 v[20:21], v25 offset:30720
	ds_read_b64 v[36:37], v30 offset:30720
	;; [unrolled: 1-line block ×4, first 2 shown]
	v_xor_b32_e32 v25, 0x440, v24
	v_cndmask_b32_e32 v0, v25, v24, vcc
	s_waitcnt lgkmcnt(6)
	v_mfma_f32_16x16x16_bf16 a[4:7], v[48:49], v[26:27], a[4:7]
	v_lshl_or_b32 v0, v18, 10, v0
	s_waitcnt vmcnt(0)
	v_perm_b32 v18, v2, v6, s0
	v_perm_b32 v24, v10, v14, s0
	s_waitcnt lgkmcnt(5)
	v_mfma_f32_16x16x16_bf16 a[8:11], v[48:49], v[40:41], a[8:11]
	ds_write2st64_b32 v0, v18, v24 offset0:128 offset1:160
	v_xor_b32_e32 v18, 8, v0
	v_perm_b32 v2, v2, v6, s1
	s_waitcnt lgkmcnt(5)
	v_mfma_f32_16x16x16_bf16 a[12:15], v[48:49], v[44:45], a[12:15]
	v_perm_b32 v6, v10, v14, s1
	v_add_u32_e32 v10, 0x80, v18
	ds_write2st64_b32 v10, v2, v6 offset0:128 offset1:160
	v_mfma_f32_16x16x16_bf16 a[0:3], v[50:51], v[38:39], a[0:3]
	v_xor_b32_e32 v2, 16, v0
	v_perm_b32 v6, v3, v7, s0
	v_perm_b32 v10, v11, v15, s0
	v_mfma_f32_16x16x16_bf16 a[4:7], v[50:51], v[28:29], a[4:7]
	ds_write2st64_b32 v2, v6, v10 offset0:129 offset1:161
	v_xor_b32_e32 v2, 24, v0
	v_perm_b32 v3, v3, v7, s1
	v_mfma_f32_16x16x16_bf16 a[16:19], v[50:51], v[42:43], a[8:11]
	v_perm_b32 v6, v11, v15, s1
	v_add_u32_e32 v2, 0x80, v2
	ds_write2st64_b32 v2, v3, v6 offset0:129 offset1:161
	v_mfma_f32_16x16x16_bf16 a[20:23], v[50:51], v[46:47], a[12:15]
	v_xor_b32_e32 v2, 32, v0
	v_perm_b32 v3, v4, v8, s0
	v_perm_b32 v6, v12, v16, s0
	s_waitcnt lgkmcnt(7)
	v_mfma_f32_16x16x16_bf16 a[12:15], v[52:53], v[20:21], a[0:3]
	ds_write2st64_b32 v2, v3, v6 offset0:130 offset1:162
	v_xor_b32_e32 v2, 40, v0
	v_perm_b32 v3, v4, v8, s1
	s_waitcnt lgkmcnt(7)
	v_mfma_f32_16x16x16_bf16 a[8:11], v[52:53], v[36:37], a[4:7]
	v_perm_b32 v4, v12, v16, s1
	v_add_u32_e32 v2, 0x80, v2
	ds_write2st64_b32 v2, v3, v4 offset0:130 offset1:162
	s_waitcnt lgkmcnt(7)
	v_mfma_f32_16x16x16_bf16 a[4:7], v[52:53], v[30:31], a[16:19]
	v_xor_b32_e32 v2, 48, v0
	v_perm_b32 v3, v5, v9, s0
	v_perm_b32 v4, v13, v17, s0
	s_waitcnt lgkmcnt(6)
	v_mfma_f32_16x16x16_bf16 a[0:3], v[52:53], v[54:55], a[20:23]
	v_xor_b32_e32 v0, 56, v0
	v_and_or_b32 v21, v33, 12, v1
	ds_write2st64_b32 v2, v3, v4 offset0:131 offset1:163
	v_perm_b32 v2, v5, v9, s1
	v_perm_b32 v3, v13, v17, s1
	v_add_u32_e32 v0, 0x80, v0
	v_cmp_gt_i32_e32 vcc, s27, v21
	v_mov_b32_e32 v16, 0
	v_mov_b32_e32 v18, 0
	ds_write2st64_b32 v0, v2, v3 offset0:131 offset1:163
	s_and_saveexec_b64 s[0:1], vcc
	s_cbranch_execz .LBB243_60
; %bb.59:
	v_add_u32_e32 v0, s26, v21
	v_ashrrev_i32_e32 v1, 31, v0
	v_mul_lo_u32 v2, v1, s30
	v_mul_lo_u32 v3, v0, s31
	v_mad_u64_u32 v[0:1], s[2:3], v0, s30, 0
	v_add3_u32 v1, v1, v3, v2
	v_lshl_add_u64 v[0:1], v[0:1], 2, s[10:11]
	global_load_dword v0, v[0:1], off
	s_waitcnt vmcnt(0)
	v_sub_f32_e32 v0, s12, v0
	v_mul_f32_e32 v0, 0x3fb8aa3b, v0
	v_exp_f32_e32 v18, v0
.LBB243_60:
	s_or_b64 exec, exec, s[0:1]
	v_or_b32_e32 v10, 1, v21
	v_cmp_gt_i32_e64 s[0:1], s27, v10
	s_and_saveexec_b64 s[2:3], s[0:1]
	s_cbranch_execz .LBB243_62
; %bb.61:
	v_add_u32_e32 v0, s26, v10
	v_ashrrev_i32_e32 v1, 31, v0
	v_mul_lo_u32 v2, v1, s30
	v_mul_lo_u32 v3, v0, s31
	v_mad_u64_u32 v[0:1], s[4:5], v0, s30, 0
	v_add3_u32 v1, v1, v3, v2
	v_lshl_add_u64 v[0:1], v[0:1], 2, s[10:11]
	global_load_dword v0, v[0:1], off
	s_waitcnt vmcnt(0)
	v_sub_f32_e32 v0, s12, v0
	v_mul_f32_e32 v0, 0x3fb8aa3b, v0
	v_exp_f32_e32 v16, v0
.LBB243_62:
	s_or_b64 exec, exec, s[2:3]
	v_or_b32_e32 v12, 2, v21
	v_cmp_gt_i32_e64 s[2:3], s27, v12
	v_mov_b32_e32 v17, 0
	v_mov_b32_e32 v20, 0
	s_and_saveexec_b64 s[4:5], s[2:3]
	s_cbranch_execz .LBB243_64
; %bb.63:
	v_add_u32_e32 v0, s26, v12
	v_ashrrev_i32_e32 v1, 31, v0
	v_mul_lo_u32 v2, v1, s30
	v_mul_lo_u32 v3, v0, s31
	v_mad_u64_u32 v[0:1], s[6:7], v0, s30, 0
	v_add3_u32 v1, v1, v3, v2
	v_lshl_add_u64 v[0:1], v[0:1], 2, s[10:11]
	global_load_dword v0, v[0:1], off
	s_waitcnt vmcnt(0)
	v_sub_f32_e32 v0, s12, v0
	v_mul_f32_e32 v0, 0x3fb8aa3b, v0
	v_exp_f32_e32 v20, v0
.LBB243_64:
	s_or_b64 exec, exec, s[4:5]
	v_or_b32_e32 v14, 3, v21
	v_cmp_gt_i32_e64 s[4:5], s27, v14
	s_and_saveexec_b64 s[6:7], s[4:5]
	s_cbranch_execz .LBB243_66
; %bb.65:
	v_add_u32_e32 v0, s26, v14
	v_ashrrev_i32_e32 v1, 31, v0
	v_mul_lo_u32 v2, v1, s30
	v_mul_lo_u32 v3, v0, s31
	v_mad_u64_u32 v[0:1], s[14:15], v0, s30, 0
	v_add3_u32 v1, v1, v3, v2
	v_lshl_add_u64 v[0:1], v[0:1], 2, s[10:11]
	global_load_dword v0, v[0:1], off
	s_waitcnt vmcnt(0)
	v_sub_f32_e32 v0, s12, v0
	v_mul_f32_e32 v0, 0x3fb8aa3b, v0
	v_exp_f32_e32 v17, v0
.LBB243_66:
	s_or_b64 exec, exec, s[6:7]
	s_add_u32 s6, s8, s20
	s_addc_u32 s7, s9, s21
	s_add_u32 s8, s28, s20
	v_ashrrev_i32_e32 v67, 31, v66
	v_accvgpr_read_b32 v0, a12
	s_addc_u32 s9, s29, s21
	v_lshlrev_b64 v[4:5], 1, v[66:67]
	v_accvgpr_read_b32 v1, a13
	v_accvgpr_read_b32 v2, a14
	;; [unrolled: 1-line block ×3, first 2 shown]
	v_lshl_add_u64 v[6:7], s[6:7], 0, v[4:5]
	v_lshl_add_u64 v[4:5], s[8:9], 0, v[4:5]
	v_mov_b32_e32 v11, 0
	v_lshlrev_b32_e32 v8, 8, v21
	v_mov_b32_e32 v9, 0
	s_and_saveexec_b64 s[6:7], vcc
	s_cbranch_execz .LBB243_68
; %bb.67:
	v_mov_b32_e32 v9, 0
	v_lshl_add_u64 v[24:25], v[6:7], 0, v[8:9]
	global_load_ushort v13, v[24:25], off
	v_lshl_add_u64 v[24:25], v[4:5], 0, v[8:9]
	s_waitcnt vmcnt(0)
	v_lshlrev_b32_e32 v9, 16, v13
	v_sub_f32_e32 v0, v9, v0
	global_store_short_d16_hi v[24:25], v0, off
	v_mul_f32_e32 v0, v18, v0
	v_lshrrev_b32_e32 v9, 16, v0
.LBB243_68:
	s_or_b64 exec, exec, s[6:7]
	v_lshlrev_b32_e32 v10, 8, v10
	s_and_saveexec_b64 s[6:7], s[0:1]
	s_cbranch_execz .LBB243_70
; %bb.69:
	v_mov_b32_e32 v11, 0
	v_lshl_add_u64 v[24:25], v[6:7], 0, v[10:11]
	global_load_ushort v0, v[24:25], off
	v_lshl_add_u64 v[24:25], v[4:5], 0, v[10:11]
	s_waitcnt vmcnt(0)
	v_lshlrev_b32_e32 v0, 16, v0
	v_sub_f32_e32 v0, v0, v1
	global_store_short_d16_hi v[24:25], v0, off
	v_mul_f32_e32 v0, v16, v0
	v_lshrrev_b32_e32 v11, 16, v0
.LBB243_70:
	s_or_b64 exec, exec, s[6:7]
	v_mov_b32_e32 v15, 0
	v_lshlrev_b32_e32 v12, 8, v12
	v_mov_b32_e32 v13, 0
	s_and_saveexec_b64 s[6:7], s[2:3]
	s_cbranch_execz .LBB243_72
; %bb.71:
	v_mov_b32_e32 v13, 0
	v_lshl_add_u64 v[0:1], v[6:7], 0, v[12:13]
	global_load_ushort v24, v[0:1], off
	v_lshl_add_u64 v[0:1], v[4:5], 0, v[12:13]
	s_waitcnt vmcnt(0)
	v_lshlrev_b32_e32 v13, 16, v24
	v_sub_f32_e32 v2, v13, v2
	global_store_short_d16_hi v[0:1], v2, off
	v_mul_f32_e32 v0, v20, v2
	v_lshrrev_b32_e32 v13, 16, v0
.LBB243_72:
	s_or_b64 exec, exec, s[6:7]
	v_lshlrev_b32_e32 v14, 8, v14
	s_and_saveexec_b64 s[6:7], s[4:5]
	s_cbranch_execz .LBB243_74
; %bb.73:
	v_mov_b32_e32 v15, 0
	v_lshl_add_u64 v[0:1], v[6:7], 0, v[14:15]
	global_load_ushort v2, v[0:1], off
	v_lshl_add_u64 v[0:1], v[4:5], 0, v[14:15]
	s_waitcnt vmcnt(0)
	v_lshlrev_b32_e32 v2, 16, v2
	v_sub_f32_e32 v2, v2, v3
	global_store_short_d16_hi v[0:1], v2, off
	v_mul_f32_e32 v0, v17, v2
	v_lshrrev_b32_e32 v15, 16, v0
.LBB243_74:
	s_or_b64 exec, exec, s[6:7]
	v_lshlrev_b32_e32 v21, 6, v21
	s_mov_b32 s6, 0x5040100
	v_perm_b32 v24, v11, v9, s6
	v_or_b32_e32 v9, v21, v34
	v_accvgpr_read_b32 v0, a8
	v_perm_b32 v25, v15, v13, s6
	v_lshlrev_b32_e32 v9, 1, v9
	v_accvgpr_read_b32 v1, a9
	v_accvgpr_read_b32 v2, a10
	;; [unrolled: 1-line block ×3, first 2 shown]
	ds_write_b64 v9, v[24:25] offset:24576
	v_mov_b32_e32 v11, 0
	v_mov_b32_e32 v9, 0
	s_and_saveexec_b64 s[6:7], vcc
	s_cbranch_execz .LBB243_76
; %bb.75:
	v_mov_b32_e32 v9, 0
	v_lshl_add_u64 v[24:25], v[6:7], 0, v[8:9]
	global_load_ushort v13, v[24:25], off offset:32
	v_lshl_add_u64 v[24:25], v[4:5], 0, v[8:9]
	s_waitcnt vmcnt(0)
	v_lshlrev_b32_e32 v9, 16, v13
	v_sub_f32_e32 v0, v9, v0
	global_store_short_d16_hi v[24:25], v0, off offset:32
	v_mul_f32_e32 v0, v18, v0
	v_lshrrev_b32_e32 v9, 16, v0
.LBB243_76:
	s_or_b64 exec, exec, s[6:7]
	s_and_saveexec_b64 s[6:7], s[0:1]
	s_cbranch_execz .LBB243_78
; %bb.77:
	v_mov_b32_e32 v11, 0
	v_lshl_add_u64 v[24:25], v[6:7], 0, v[10:11]
	global_load_ushort v0, v[24:25], off offset:32
	v_lshl_add_u64 v[24:25], v[4:5], 0, v[10:11]
	s_waitcnt vmcnt(0)
	v_lshlrev_b32_e32 v0, 16, v0
	v_sub_f32_e32 v0, v0, v1
	global_store_short_d16_hi v[24:25], v0, off offset:32
	v_mul_f32_e32 v0, v16, v0
	v_lshrrev_b32_e32 v11, 16, v0
.LBB243_78:
	s_or_b64 exec, exec, s[6:7]
	v_mov_b32_e32 v15, 0
	v_mov_b32_e32 v13, 0
	s_and_saveexec_b64 s[6:7], s[2:3]
	s_cbranch_execz .LBB243_80
; %bb.79:
	v_mov_b32_e32 v13, 0
	v_lshl_add_u64 v[0:1], v[6:7], 0, v[12:13]
	global_load_ushort v24, v[0:1], off offset:32
	v_lshl_add_u64 v[0:1], v[4:5], 0, v[12:13]
	s_waitcnt vmcnt(0)
	v_lshlrev_b32_e32 v13, 16, v24
	v_sub_f32_e32 v2, v13, v2
	global_store_short_d16_hi v[0:1], v2, off offset:32
	v_mul_f32_e32 v0, v20, v2
	v_lshrrev_b32_e32 v13, 16, v0
.LBB243_80:
	s_or_b64 exec, exec, s[6:7]
	s_and_saveexec_b64 s[6:7], s[4:5]
	s_cbranch_execz .LBB243_82
; %bb.81:
	v_mov_b32_e32 v15, 0
	v_lshl_add_u64 v[0:1], v[6:7], 0, v[14:15]
	global_load_ushort v2, v[0:1], off offset:32
	v_lshl_add_u64 v[0:1], v[4:5], 0, v[14:15]
	s_waitcnt vmcnt(0)
	v_lshlrev_b32_e32 v2, 16, v2
	v_sub_f32_e32 v2, v2, v3
	global_store_short_d16_hi v[0:1], v2, off offset:32
	v_mul_f32_e32 v0, v17, v2
	v_lshrrev_b32_e32 v15, 16, v0
.LBB243_82:
	s_or_b64 exec, exec, s[6:7]
	s_mov_b32 s6, 0x5040100
	v_perm_b32 v24, v11, v9, s6
	v_or_b32_e32 v9, v21, v23
	v_accvgpr_read_b32 v0, a4
	v_perm_b32 v25, v15, v13, s6
	v_lshlrev_b32_e32 v9, 1, v9
	v_accvgpr_read_b32 v1, a5
	v_accvgpr_read_b32 v2, a6
	;; [unrolled: 1-line block ×3, first 2 shown]
	ds_write_b64 v9, v[24:25] offset:24576
	v_mov_b32_e32 v11, 0
	v_mov_b32_e32 v9, 0
	s_and_saveexec_b64 s[6:7], vcc
	s_cbranch_execz .LBB243_84
; %bb.83:
	v_mov_b32_e32 v9, 0
	v_lshl_add_u64 v[24:25], v[6:7], 0, v[8:9]
	global_load_ushort v13, v[24:25], off offset:64
	v_lshl_add_u64 v[24:25], v[4:5], 0, v[8:9]
	s_waitcnt vmcnt(0)
	v_lshlrev_b32_e32 v9, 16, v13
	v_sub_f32_e32 v0, v9, v0
	global_store_short_d16_hi v[24:25], v0, off offset:64
	v_mul_f32_e32 v0, v18, v0
	v_lshrrev_b32_e32 v9, 16, v0
.LBB243_84:
	s_or_b64 exec, exec, s[6:7]
	s_and_saveexec_b64 s[6:7], s[0:1]
	s_cbranch_execz .LBB243_86
; %bb.85:
	v_mov_b32_e32 v11, 0
	v_lshl_add_u64 v[24:25], v[6:7], 0, v[10:11]
	global_load_ushort v0, v[24:25], off offset:64
	v_lshl_add_u64 v[24:25], v[4:5], 0, v[10:11]
	s_waitcnt vmcnt(0)
	v_lshlrev_b32_e32 v0, 16, v0
	v_sub_f32_e32 v0, v0, v1
	global_store_short_d16_hi v[24:25], v0, off offset:64
	v_mul_f32_e32 v0, v16, v0
	v_lshrrev_b32_e32 v11, 16, v0
.LBB243_86:
	s_or_b64 exec, exec, s[6:7]
	v_mov_b32_e32 v15, 0
	v_mov_b32_e32 v13, 0
	s_and_saveexec_b64 s[6:7], s[2:3]
	s_cbranch_execz .LBB243_88
; %bb.87:
	v_mov_b32_e32 v13, 0
	v_lshl_add_u64 v[0:1], v[6:7], 0, v[12:13]
	global_load_ushort v23, v[0:1], off offset:64
	v_lshl_add_u64 v[0:1], v[4:5], 0, v[12:13]
	s_waitcnt vmcnt(0)
	v_lshlrev_b32_e32 v13, 16, v23
	v_sub_f32_e32 v2, v13, v2
	global_store_short_d16_hi v[0:1], v2, off offset:64
	v_mul_f32_e32 v0, v20, v2
	v_lshrrev_b32_e32 v13, 16, v0
.LBB243_88:
	s_or_b64 exec, exec, s[6:7]
	s_and_saveexec_b64 s[6:7], s[4:5]
	s_cbranch_execz .LBB243_90
; %bb.89:
	v_mov_b32_e32 v15, 0
	v_lshl_add_u64 v[0:1], v[6:7], 0, v[14:15]
	global_load_ushort v2, v[0:1], off offset:64
	v_lshl_add_u64 v[0:1], v[4:5], 0, v[14:15]
	s_waitcnt vmcnt(0)
	v_lshlrev_b32_e32 v2, 16, v2
	v_sub_f32_e32 v2, v2, v3
	global_store_short_d16_hi v[0:1], v2, off offset:64
	v_mul_f32_e32 v0, v17, v2
	v_lshrrev_b32_e32 v15, 16, v0
.LBB243_90:
	s_or_b64 exec, exec, s[6:7]
	s_mov_b32 s6, 0x5040100
	v_perm_b32 v24, v11, v9, s6
	v_or_b32_e32 v9, v21, v22
	v_accvgpr_read_b32 v0, a0
	v_perm_b32 v25, v15, v13, s6
	v_lshlrev_b32_e32 v9, 1, v9
	v_accvgpr_read_b32 v1, a1
	v_accvgpr_read_b32 v2, a2
	;; [unrolled: 1-line block ×3, first 2 shown]
	ds_write_b64 v9, v[24:25] offset:24576
	v_mov_b32_e32 v11, 0
	v_mov_b32_e32 v9, 0
	s_and_saveexec_b64 s[6:7], vcc
	s_cbranch_execz .LBB243_92
; %bb.91:
	v_mov_b32_e32 v9, 0
	v_lshl_add_u64 v[22:23], v[6:7], 0, v[8:9]
	global_load_ushort v13, v[22:23], off offset:96
	v_lshl_add_u64 v[8:9], v[4:5], 0, v[8:9]
	s_waitcnt vmcnt(0)
	v_lshlrev_b32_e32 v13, 16, v13
	v_sub_f32_e32 v0, v13, v0
	global_store_short_d16_hi v[8:9], v0, off offset:96
	v_mul_f32_e32 v0, v18, v0
	v_lshrrev_b32_e32 v9, 16, v0
.LBB243_92:
	s_or_b64 exec, exec, s[6:7]
	s_and_saveexec_b64 s[6:7], s[0:1]
	s_cbranch_execz .LBB243_94
; %bb.93:
	v_mov_b32_e32 v11, 0
	v_lshl_add_u64 v[22:23], v[6:7], 0, v[10:11]
	global_load_ushort v0, v[22:23], off offset:96
	v_lshl_add_u64 v[10:11], v[4:5], 0, v[10:11]
	s_waitcnt vmcnt(0)
	v_lshlrev_b32_e32 v0, 16, v0
	v_sub_f32_e32 v0, v0, v1
	global_store_short_d16_hi v[10:11], v0, off offset:96
	v_mul_f32_e32 v0, v16, v0
	v_lshrrev_b32_e32 v11, 16, v0
.LBB243_94:
	s_or_b64 exec, exec, s[6:7]
	v_mov_b32_e32 v0, 0
	v_mov_b32_e32 v1, 0
	s_and_saveexec_b64 s[0:1], s[2:3]
	s_cbranch_execz .LBB243_96
; %bb.95:
	v_mov_b32_e32 v13, 0
	v_lshl_add_u64 v[22:23], v[6:7], 0, v[12:13]
	global_load_ushort v1, v[22:23], off offset:96
	v_lshl_add_u64 v[12:13], v[4:5], 0, v[12:13]
	s_waitcnt vmcnt(0)
	v_lshlrev_b32_e32 v1, 16, v1
	v_sub_f32_e32 v1, v1, v2
	global_store_short_d16_hi v[12:13], v1, off offset:96
	v_mul_f32_e32 v1, v20, v1
	v_lshrrev_b32_e32 v1, 16, v1
.LBB243_96:
	s_or_b64 exec, exec, s[0:1]
	s_and_saveexec_b64 s[0:1], s[4:5]
	s_cbranch_execz .LBB243_98
; %bb.97:
	v_mov_b32_e32 v15, 0
	v_lshl_add_u64 v[6:7], v[6:7], 0, v[14:15]
	global_load_ushort v0, v[6:7], off offset:96
	v_lshl_add_u64 v[4:5], v[4:5], 0, v[14:15]
	s_waitcnt vmcnt(0)
	v_lshlrev_b32_e32 v0, 16, v0
	v_sub_f32_e32 v0, v0, v3
	global_store_short_d16_hi v[4:5], v0, off offset:96
	v_mul_f32_e32 v0, v17, v0
	v_lshrrev_b32_e32 v0, 16, v0
.LBB243_98:
	s_or_b64 exec, exec, s[0:1]
	s_mov_b32 s0, 0x5040100
	v_or_b32_e32 v2, v21, v19
	v_perm_b32 v1, v0, v1, s0
	v_perm_b32 v0, v11, v9, s0
	v_lshlrev_b32_e32 v2, 1, v2
	ds_write_b64 v2, v[0:1] offset:24576
	s_waitcnt lgkmcnt(0)
	s_barrier
.LBB243_99:
	s_endpgm
	.section	.rodata,"a",@progbits
	.p2align	6, 0x0
	.amdhsa_kernel _ZN12_GLOBAL__N_139chunk_gated_delta_rule_fwd_h_hip_kernelILi64ELb1ELb0ELb1ELb1ELb0ELb0ELb0ELb0EEEvPK12hip_bfloat16S3_S3_PKfS5_PKvPS1_S8_PvPKiSB_iiiiilll
		.amdhsa_group_segment_fixed_size 65536
		.amdhsa_private_segment_fixed_size 0
		.amdhsa_kernarg_size 136
		.amdhsa_user_sgpr_count 2
		.amdhsa_user_sgpr_dispatch_ptr 0
		.amdhsa_user_sgpr_queue_ptr 0
		.amdhsa_user_sgpr_kernarg_segment_ptr 1
		.amdhsa_user_sgpr_dispatch_id 0
		.amdhsa_user_sgpr_kernarg_preload_length 0
		.amdhsa_user_sgpr_kernarg_preload_offset 0
		.amdhsa_user_sgpr_private_segment_size 0
		.amdhsa_uses_dynamic_stack 0
		.amdhsa_enable_private_segment 0
		.amdhsa_system_sgpr_workgroup_id_x 1
		.amdhsa_system_sgpr_workgroup_id_y 1
		.amdhsa_system_sgpr_workgroup_id_z 0
		.amdhsa_system_sgpr_workgroup_info 0
		.amdhsa_system_vgpr_workitem_id 0
		.amdhsa_next_free_vgpr 216
		.amdhsa_next_free_sgpr 63
		.amdhsa_accum_offset 180
		.amdhsa_reserve_vcc 1
		.amdhsa_float_round_mode_32 0
		.amdhsa_float_round_mode_16_64 0
		.amdhsa_float_denorm_mode_32 3
		.amdhsa_float_denorm_mode_16_64 3
		.amdhsa_dx10_clamp 1
		.amdhsa_ieee_mode 1
		.amdhsa_fp16_overflow 0
		.amdhsa_tg_split 0
		.amdhsa_exception_fp_ieee_invalid_op 0
		.amdhsa_exception_fp_denorm_src 0
		.amdhsa_exception_fp_ieee_div_zero 0
		.amdhsa_exception_fp_ieee_overflow 0
		.amdhsa_exception_fp_ieee_underflow 0
		.amdhsa_exception_fp_ieee_inexact 0
		.amdhsa_exception_int_div_zero 0
	.end_amdhsa_kernel
	.section	.text._ZN12_GLOBAL__N_139chunk_gated_delta_rule_fwd_h_hip_kernelILi64ELb1ELb0ELb1ELb1ELb0ELb0ELb0ELb0EEEvPK12hip_bfloat16S3_S3_PKfS5_PKvPS1_S8_PvPKiSB_iiiiilll,"axG",@progbits,_ZN12_GLOBAL__N_139chunk_gated_delta_rule_fwd_h_hip_kernelILi64ELb1ELb0ELb1ELb1ELb0ELb0ELb0ELb0EEEvPK12hip_bfloat16S3_S3_PKfS5_PKvPS1_S8_PvPKiSB_iiiiilll,comdat
.Lfunc_end243:
	.size	_ZN12_GLOBAL__N_139chunk_gated_delta_rule_fwd_h_hip_kernelILi64ELb1ELb0ELb1ELb1ELb0ELb0ELb0ELb0EEEvPK12hip_bfloat16S3_S3_PKfS5_PKvPS1_S8_PvPKiSB_iiiiilll, .Lfunc_end243-_ZN12_GLOBAL__N_139chunk_gated_delta_rule_fwd_h_hip_kernelILi64ELb1ELb0ELb1ELb1ELb0ELb0ELb0ELb0EEEvPK12hip_bfloat16S3_S3_PKfS5_PKvPS1_S8_PvPKiSB_iiiiilll
                                        ; -- End function
	.section	.AMDGPU.csdata,"",@progbits
; Kernel info:
; codeLenInByte = 11144
; NumSgprs: 69
; NumVgprs: 180
; NumAgprs: 36
; TotalNumVgprs: 216
; ScratchSize: 0
; MemoryBound: 0
; FloatMode: 240
; IeeeMode: 1
; LDSByteSize: 65536 bytes/workgroup (compile time only)
; SGPRBlocks: 8
; VGPRBlocks: 26
; NumSGPRsForWavesPerEU: 69
; NumVGPRsForWavesPerEU: 216
; AccumOffset: 180
; Occupancy: 1
; WaveLimiterHint : 1
; COMPUTE_PGM_RSRC2:SCRATCH_EN: 0
; COMPUTE_PGM_RSRC2:USER_SGPR: 2
; COMPUTE_PGM_RSRC2:TRAP_HANDLER: 0
; COMPUTE_PGM_RSRC2:TGID_X_EN: 1
; COMPUTE_PGM_RSRC2:TGID_Y_EN: 1
; COMPUTE_PGM_RSRC2:TGID_Z_EN: 0
; COMPUTE_PGM_RSRC2:TIDIG_COMP_CNT: 0
; COMPUTE_PGM_RSRC3_GFX90A:ACCUM_OFFSET: 44
; COMPUTE_PGM_RSRC3_GFX90A:TG_SPLIT: 0
	.section	.text._ZN12_GLOBAL__N_139chunk_gated_delta_rule_fwd_h_hip_kernelILi64ELb1ELb0ELb0ELb1ELb0ELb0ELb0ELb0EEEvPK12hip_bfloat16S3_S3_PKfS5_PKvPS1_S8_PvPKiSB_iiiiilll,"axG",@progbits,_ZN12_GLOBAL__N_139chunk_gated_delta_rule_fwd_h_hip_kernelILi64ELb1ELb0ELb0ELb1ELb0ELb0ELb0ELb0EEEvPK12hip_bfloat16S3_S3_PKfS5_PKvPS1_S8_PvPKiSB_iiiiilll,comdat
	.globl	_ZN12_GLOBAL__N_139chunk_gated_delta_rule_fwd_h_hip_kernelILi64ELb1ELb0ELb0ELb1ELb0ELb0ELb0ELb0EEEvPK12hip_bfloat16S3_S3_PKfS5_PKvPS1_S8_PvPKiSB_iiiiilll ; -- Begin function _ZN12_GLOBAL__N_139chunk_gated_delta_rule_fwd_h_hip_kernelILi64ELb1ELb0ELb0ELb1ELb0ELb0ELb0ELb0EEEvPK12hip_bfloat16S3_S3_PKfS5_PKvPS1_S8_PvPKiSB_iiiiilll
	.p2align	8
	.type	_ZN12_GLOBAL__N_139chunk_gated_delta_rule_fwd_h_hip_kernelILi64ELb1ELb0ELb0ELb1ELb0ELb0ELb0ELb0EEEvPK12hip_bfloat16S3_S3_PKfS5_PKvPS1_S8_PvPKiSB_iiiiilll,@function
_ZN12_GLOBAL__N_139chunk_gated_delta_rule_fwd_h_hip_kernelILi64ELb1ELb0ELb0ELb1ELb0ELb0ELb0ELb0EEEvPK12hip_bfloat16S3_S3_PKfS5_PKvPS1_S8_PvPKiSB_iiiiilll: ; @_ZN12_GLOBAL__N_139chunk_gated_delta_rule_fwd_h_hip_kernelILi64ELb1ELb0ELb0ELb1ELb0ELb0ELb0ELb0EEEvPK12hip_bfloat16S3_S3_PKfS5_PKvPS1_S8_PvPKiSB_iiiiilll
; %bb.0:
	s_load_dwordx4 s[12:15], s[0:1], 0x5c
	s_load_dwordx4 s[20:23], s[0:1], 0x70
	s_abs_i32 s9, s3
	s_ashr_i32 s8, s3, 31
	s_load_dwordx4 s[4:7], s[0:1], 0x48
	s_waitcnt lgkmcnt(0)
	s_abs_i32 s10, s13
	v_cvt_f32_u32_e32 v1, s10
	s_sub_i32 s16, 0, s10
	s_ashr_i32 s11, s13, 31
	s_xor_b32 s8, s8, s11
	v_rcp_iflag_f32_e32 v1, v1
	v_and_b32_e32 v77, 15, v0
	v_lshrrev_b32_e32 v75, 6, v0
	v_bfe_u32 v76, v0, 4, 2
	v_mul_f32_e32 v1, 0x4f7ffffe, v1
	v_cvt_u32_f32_e32 v1, v1
	v_mov_b32_e32 v11, 0
	v_and_b32_e32 v74, 63, v0
	v_lshrrev_b32_e32 v79, 3, v74
	v_readfirstlane_b32 s17, v1
	s_mul_i32 s16, s16, s17
	s_mul_hi_u32 s16, s17, s16
	s_add_i32 s17, s17, s16
	s_mul_hi_u32 s16, s9, s17
	s_mul_i32 s17, s16, s10
	s_sub_i32 s9, s9, s17
	s_add_i32 s18, s16, 1
	s_sub_i32 s17, s9, s10
	s_cmp_ge_u32 s9, s10
	s_cselect_b32 s16, s18, s16
	s_cselect_b32 s9, s17, s9
	s_add_i32 s17, s16, 1
	s_cmp_ge_u32 s9, s10
	s_cselect_b32 s9, s17, s16
	s_load_dwordx4 s[16:19], s[0:1], 0x28
	s_xor_b32 s9, s9, s8
	s_sub_i32 s24, s9, s8
	s_mul_i32 s28, s24, s13
	s_ashr_i32 s25, s24, 31
	s_sub_i32 s45, s3, s28
	s_lshl_b64 s[8:9], s[24:25], 2
	s_add_u32 s4, s4, s8
	s_addc_u32 s5, s5, s9
	s_add_u32 s26, s6, s8
	s_addc_u32 s27, s7, s9
	s_abs_i32 s3, s14
	v_cvt_f32_u32_e32 v1, s3
	s_load_dwordx2 s[30:31], s[4:5], 0x0
	s_sub_i32 s5, 0, s3
	s_lshl_b32 s2, s2, 6
	v_rcp_iflag_f32_e32 v1, v1
	v_or_b32_e32 v66, s2, v77
	s_waitcnt lgkmcnt(0)
	s_sub_i32 s48, s31, s30
	s_ashr_i32 s4, s48, 31
	v_mul_f32_e32 v1, 0x4f7ffffe, v1
	v_cvt_u32_f32_e32 v1, v1
	s_lshr_b32 s4, s4, 26
	s_add_i32 s4, s48, s4
	s_ashr_i32 s47, s4, 6
	v_readfirstlane_b32 s6, v1
	s_mul_i32 s5, s5, s6
	s_mul_hi_u32 s5, s6, s5
	s_add_i32 s6, s6, s5
	s_mul_hi_u32 s5, s10, s6
	s_mul_i32 s6, s5, s3
	s_ashr_i32 s4, s14, 31
	s_sub_i32 s6, s10, s6
	s_xor_b32 s4, s11, s4
	s_add_i32 s7, s5, 1
	s_sub_i32 s8, s6, s3
	s_cmp_ge_u32 s6, s3
	s_cselect_b32 s5, s7, s5
	s_cselect_b32 s6, s8, s6
	s_add_i32 s7, s5, 1
	s_cmp_ge_u32 s6, s3
	s_cselect_b32 s3, s7, s5
	s_xor_b32 s3, s3, s4
	s_sub_i32 s3, s3, s4
	s_abs_i32 s4, s3
	v_cvt_f32_u32_e32 v1, s4
	s_sub_i32 s6, 0, s4
	s_abs_i32 s5, s45
	s_xor_b32 s3, s45, s3
	v_rcp_iflag_f32_e32 v1, v1
	s_ashr_i32 s3, s3, 31
	v_lshlrev_b32_e32 v2, 7, v66
	v_ashrrev_i32_e32 v3, 31, v2
	v_mul_f32_e32 v1, 0x4f7ffffe, v1
	v_cvt_u32_f32_e32 v1, v1
	s_mul_hi_i32 s51, s45, s12
	s_mul_i32 s52, s45, s12
	v_lshlrev_b32_e32 v78, 3, v0
	v_readfirstlane_b32 s7, v1
	s_mul_i32 s6, s6, s7
	s_mul_hi_u32 s6, s7, s6
	s_add_i32 s7, s7, s6
	s_mul_hi_u32 s6, s5, s7
	s_mul_i32 s7, s6, s4
	s_sub_i32 s5, s5, s7
	s_add_i32 s7, s6, 1
	s_sub_i32 s8, s5, s4
	s_cmp_ge_u32 s5, s4
	s_cselect_b32 s6, s7, s6
	s_cselect_b32 s5, s8, s5
	s_add_i32 s7, s6, 1
	s_cmp_ge_u32 s5, s4
	s_cselect_b32 s4, s7, s6
	s_xor_b32 s4, s4, s3
	s_sub_i32 s49, s4, s3
	s_ashr_i32 s46, s45, 31
	s_mul_hi_i32 s3, s24, s13
	s_add_u32 s4, s28, s45
	s_addc_u32 s5, s3, s46
	s_lshl_b64 s[4:5], s[4:5], 16
	v_lshlrev_b32_e32 v1, 4, v75
	s_add_u32 s4, s16, s4
	v_lshl_or_b32 v80, v76, 2, v1
	s_addc_u32 s5, s17, s5
	v_lshl_add_u64 v[4:5], v[2:3], 2, s[4:5]
	v_lshlrev_b32_e32 v10, 2, v80
	v_lshl_add_u64 v[4:5], v[4:5], 0, v[10:11]
	global_load_dwordx4 v[22:25], v[4:5], off
	global_load_dwordx4 v[30:33], v[4:5], off offset:256
	v_or_b32_e32 v4, 0x800, v2
	v_ashrrev_i32_e32 v5, 31, v4
	v_lshl_add_u64 v[4:5], v[4:5], 2, s[4:5]
	v_lshl_add_u64 v[4:5], v[4:5], 0, v[10:11]
	global_load_dwordx4 v[14:17], v[4:5], off
	global_load_dwordx4 v[26:29], v[4:5], off offset:256
	v_or_b32_e32 v4, 0x1000, v2
	v_or_b32_e32 v2, 0x1800, v2
	v_ashrrev_i32_e32 v5, 31, v4
	v_ashrrev_i32_e32 v3, 31, v2
	v_lshl_add_u64 v[4:5], v[4:5], 2, s[4:5]
	v_lshl_add_u64 v[2:3], v[2:3], 2, s[4:5]
	;; [unrolled: 1-line block ×4, first 2 shown]
	global_load_dwordx4 v[6:9], v[4:5], off
	global_load_dwordx4 v[18:21], v[4:5], off offset:256
	s_nop 0
	global_load_dwordx4 v[2:5], v[34:35], off
	global_load_dwordx4 v[10:13], v[34:35], off offset:256
	s_load_dwordx8 s[4:11], s[0:1], 0x0
	s_load_dwordx2 s[28:29], s[0:1], 0x80
	s_load_dword s50, s[26:27], 0x0
	v_or_b32_e32 v81, 64, v80
	s_cmp_lt_i32 s48, 64
	s_mul_i32 s33, s24, s21
	s_mul_hi_u32 s41, s24, s20
	s_mul_i32 s40, s25, s20
	s_mul_i32 s36, s24, s20
	;; [unrolled: 1-line block ×3, first 2 shown]
	s_mul_hi_u32 s43, s45, s22
	s_mul_i32 s44, s46, s22
	s_mul_i32 s34, s45, s22
	s_cbranch_scc1 .LBB244_18
; %bb.1:
	s_ashr_i32 s1, s30, 31
	s_add_u32 s0, s52, s30
	s_addc_u32 s1, s51, s1
	s_lshl_b64 s[0:1], s[0:1], 8
	v_and_b32_e32 v83, 56, v78
	s_waitcnt lgkmcnt(0)
	s_add_u32 s20, s6, s0
	v_lshl_or_b32 v82, v75, 3, v79
	v_lshlrev_b32_e32 v34, 1, v83
	s_addc_u32 s0, s7, s1
	v_lshl_or_b32 v84, v82, 8, v34
	s_and_b32 s21, s0, 0xffff
	s_mov_b32 s23, 0x20000
	s_movk_i32 s22, 0x4000
	s_movk_i32 s0, 0x80
	v_or_b32_e32 v85, 0x2000, v84
	buffer_load_dwordx4 v[36:39], v84, s[20:23], 0 offen
	buffer_load_dwordx4 v[40:43], v84, s[20:23], s0 offen
	;; [unrolled: 1-line block ×4, first 2 shown]
	v_lshlrev_b32_e32 v35, 3, v82
	v_and_or_b32 v53, v0, 7, v35
	v_and_b32_e32 v35, 0x78, v35
	v_lshlrev_b32_e32 v53, 4, v53
	v_xor_b32_e32 v86, v53, v35
	v_mul_lo_u32 v52, v82, s15
	v_or_b32_e32 v87, 0x1000, v86
	v_xor_b32_e32 v35, 8, v86
	s_cmpk_eq_i32 s15, 0x80
	s_mov_b32 s53, s30
	v_xor_b32_e32 v53, 8, v87
	s_cselect_b64 s[0:1], -1, 0
	s_cmpk_lg_i32 s15, 0x80
	s_waitcnt vmcnt(3)
	ds_write_b64 v86, v[36:37] offset:49152
	ds_write_b64 v35, v[38:39] offset:49152
	s_waitcnt vmcnt(2)
	ds_write_b64 v86, v[40:41] offset:57344
	ds_write_b64 v35, v[42:43] offset:57344
	;; [unrolled: 3-line block ×4, first 2 shown]
	v_lshl_add_u32 v35, v52, 1, v83
	s_cbranch_scc0 .LBB244_3
; %bb.2:
	v_lshlrev_b32_e32 v37, 1, v35
	v_add_lshl_u32 v36, v35, s15, 1
	s_lshl_b32 s22, s15, 7
	v_lshl_or_b32 v34, v82, 9, v34
	s_cbranch_execz .LBB244_4
	s_branch .LBB244_5
.LBB244_3:
                                        ; implicit-def: $vgpr36
                                        ; implicit-def: $vgpr37
                                        ; implicit-def: $sgpr22
	v_lshl_or_b32 v34, v82, 9, v34
.LBB244_4:
	v_or_b32_e32 v36, 0x100, v34
	s_movk_i32 s22, 0x4000
	v_mov_b32_e32 v37, v34
.LBB244_5:
	s_mul_i32 s16, s30, s14
	s_ashr_i32 s54, s49, 31
	s_mul_hi_i32 s3, s30, s14
	s_add_u32 s16, s16, s49
	s_addc_u32 s17, s3, s54
	s_lshl_b64 s[16:17], s[16:17], 8
	s_add_u32 s20, s4, s16
	s_addc_u32 s3, s5, s17
	s_and_b32 s21, s3, 0xffff
	s_movk_i32 s55, 0x80
	buffer_load_dwordx4 v[38:41], v37, s[20:23], 0 offen
	buffer_load_dwordx4 v[42:45], v37, s[20:23], s55 offen
	;; [unrolled: 1-line block ×4, first 2 shown]
	v_and_b32_e32 v37, 6, v0
	v_lshlrev_b32_e32 v36, 7, v80
	v_xor_b32_e32 v59, v82, v37
	v_and_b32_e32 v54, 1, v0
	v_lshl_or_b32 v62, v77, 3, v36
	v_lshlrev_b32_e32 v59, 2, v59
	v_lshlrev_b32_e32 v55, 2, v77
	v_or_b32_e32 v88, 0x4000, v62
	v_or_b32_e32 v89, 0x6000, v62
	v_xor_b32_e32 v62, 0x440, v59
	v_cmp_eq_u32_e32 vcc, 0, v54
	v_or_b32_e32 v57, 16, v77
	v_or_b32_e32 v58, 32, v77
	v_xor_b32_e32 v60, v80, v55
	v_xor_b32_e32 v61, v81, v55
	v_cndmask_b32_e32 v54, v62, v59, vcc
	s_mov_b32 s56, 0x1000504
	v_lshl_or_b32 v63, v57, 3, v36
	v_lshlrev_b32_e32 v57, 8, v57
	v_lshl_or_b32 v64, v58, 3, v36
	v_lshlrev_b32_e32 v60, 1, v60
	v_lshlrev_b32_e32 v61, 1, v61
	v_lshl_or_b32 v37, v37, 10, v54
	s_add_i32 s3, s41, s33
	s_mov_b32 s57, 0x3020706
	v_lshlrev_b32_e32 v56, 8, v77
	v_or_b32_e32 v92, 0x4000, v64
	v_or_b32_e32 v93, 0x6000, v64
	;; [unrolled: 1-line block ×4, first 2 shown]
	v_xor_b32_e32 v54, 8, v37
	v_xor_b32_e32 v57, 24, v37
	;; [unrolled: 1-line block ×4, first 2 shown]
	s_add_i32 s37, s3, s40
	s_add_i32 s3, s43, s42
	v_or_b32_e32 v90, 0x4000, v63
	v_or_b32_e32 v91, 0x6000, v63
	;; [unrolled: 1-line block ×4, first 2 shown]
	v_xor_b32_e32 v56, 16, v37
	v_xor_b32_e32 v59, 32, v37
	;; [unrolled: 1-line block ×3, first 2 shown]
	v_add_u32_e32 v54, 0x80, v54
	v_add_u32_e32 v57, 0x80, v57
	;; [unrolled: 1-line block ×4, first 2 shown]
	s_add_i32 s35, s3, s44
	s_lshl_b64 s[16:17], s[36:37], 2
	s_add_u32 s3, s10, s16
	s_addc_u32 s20, s11, s17
	s_lshl_b64 s[16:17], s[34:35], 2
	s_add_u32 s16, s3, s16
	s_movk_i32 s3, 0xf8
	s_addc_u32 s17, s20, s17
	s_lshl_b32 s26, s15, 7
	s_movk_i32 s24, 0x100
	v_mov_b32_e32 v69, 0
	v_lshlrev_b32_e32 v68, 4, v77
	v_cmp_gt_u32_e32 vcc, s24, v0
	v_lshlrev_b32_e32 v58, 8, v58
	s_mov_b32 s58, 0
	s_movk_i32 s22, 0x4000
	v_or_b32_e32 v98, v58, v60
	v_or_b32_e32 v99, v58, v61
	s_movk_i32 s35, 0x2000
	s_movk_i32 s37, 0x3000
	v_mov_b32_e32 v131, 0x3fb8aa3b
	s_waitcnt vmcnt(1)
	v_perm_b32 v65, v38, v46, s56
	s_waitcnt vmcnt(0)
	v_perm_b32 v67, v42, v50, s56
	v_perm_b32 v38, v38, v46, s57
	;; [unrolled: 1-line block ×15, first 2 shown]
	ds_write2st64_b32 v37, v65, v67 offset0:128 offset1:160
	ds_write2st64_b32 v54, v38, v42 offset0:128 offset1:160
	;; [unrolled: 1-line block ×8, first 2 shown]
	v_or_b32_e32 v37, 48, v77
	v_lshl_or_b32 v38, v37, 3, v36
	v_lshlrev_b32_e32 v37, 8, v37
	v_or_b32_e32 v102, v37, v60
	v_or_b32_e32 v103, v37, v61
	;; [unrolled: 1-line block ×3, first 2 shown]
	v_lshlrev_b32_e32 v37, 3, v37
	v_lshrrev_b32_e32 v39, 5, v74
	v_and_or_b32 v39, v37, s3, v39
	v_lshlrev_b32_e32 v39, 4, v39
	v_lshlrev_b32_e32 v40, 11, v75
	v_and_b32_e32 v37, 0x78, v37
	v_or_b32_e32 v45, 32, v39
	v_or_b32_e32 v100, 0x4000, v38
	;; [unrolled: 1-line block ×3, first 2 shown]
	v_and_b32_e32 v38, 0x1000, v40
	v_xor_b32_e32 v41, v39, v37
	v_lshrrev_b32_e32 v42, 1, v0
	v_xor_b32_e32 v45, v45, v37
	v_or_b32_e32 v41, v41, v38
	v_and_b32_e32 v43, 8, v42
	v_or_b32_e32 v45, v45, v38
	v_xor_b32_e32 v104, v41, v43
	v_lshlrev_b32_e32 v41, 8, v76
	v_xor_b32_e32 v106, v45, v43
	v_or_b32_e32 v45, 64, v39
	v_or_b32_e32 v39, 0x60, v39
	s_ashr_i32 s3, s2, 31
	v_or_b32_e32 v44, v41, v55
	v_xor_b32_e32 v45, v45, v37
	v_xor_b32_e32 v37, v39, v37
	s_lshl_b64 s[20:21], s[2:3], 8
	v_lshlrev_b32_e32 v44, 1, v44
	v_or_b32_e32 v45, v45, v38
	v_or_b32_e32 v37, v37, v38
	s_add_u32 s20, s18, s20
	v_lshlrev_b32_e32 v38, 1, v77
	v_or_b32_e32 v105, 0x4000, v44
	v_or_b32_e32 v107, 0x4080, v44
	;; [unrolled: 1-line block ×8, first 2 shown]
	v_lshrrev_b32_e32 v44, 4, v0
	s_addc_u32 s21, s19, s21
	v_or_b32_e32 v39, 1, v38
	v_mov_b32_e32 v48, 0xa000
	v_mov_b32_e32 v49, 0x8000
	v_xor_b32_e32 v110, v45, v43
	v_xor_b32_e32 v45, v44, v38
	;; [unrolled: 1-line block ×3, first 2 shown]
	v_lshl_add_u64 v[38:39], s[20:21], 0, v[68:69]
	v_lshlrev_b32_e32 v68, 8, v44
	v_cndmask_b32_e32 v48, v48, v49, vcc
	v_lshlrev_b32_e32 v49, 3, v75
	v_and_b32_e32 v42, 24, v42
	v_lshl_or_b32 v116, v45, 3, v68
	v_and_b32_e32 v45, 8, v0
	v_xor_b32_e32 v50, v49, v42
	v_or_b32_e32 v51, 0x440, v50
	v_cmp_eq_u32_e32 vcc, 0, v45
	v_and_b32_e32 v44, 7, v0
	v_lshl_or_b32 v117, v46, 3, v68
	v_cndmask_b32_e32 v45, v51, v50, vcc
	v_lshlrev_b32_e32 v46, 3, v44
	v_lshlrev_b32_e32 v44, 7, v44
	v_or_b32_e32 v45, v45, v40
	v_lshlrev_b32_e32 v47, 2, v0
	v_xad_u32 v118, v45, v46, v44
	v_or_b32_e32 v45, 32, v42
	v_and_or_b32 v41, v47, 60, v41
	v_xor_b32_e32 v45, v49, v45
	v_lshlrev_b32_e32 v41, 1, v41
	v_or_b32_e32 v47, 0x440, v45
	v_or_b32_e32 v119, 0x6000, v41
	v_cndmask_b32_e32 v45, v47, v45, vcc
	v_or_b32_e32 v121, 0x6080, v41
	v_or_b32_e32 v122, 0x6100, v41
	;; [unrolled: 1-line block ×5, first 2 shown]
	v_xor_b32_e32 v41, v49, v41
	v_xad_u32 v120, v45, v46, v44
	v_xor_b32_e32 v45, 0x440, v41
	v_cndmask_b32_e32 v41, v45, v41, vcc
	v_or_b32_e32 v41, v41, v40
	v_xad_u32 v124, v41, v46, v44
	v_or_b32_e32 v41, 0x60, v42
	v_xor_b32_e32 v41, v49, v41
	v_xor_b32_e32 v42, 0x440, v41
	v_cndmask_b32_e32 v41, v42, v41, vcc
	v_or_b32_e32 v40, v41, v40
	v_xor_b32_e32 v111, v37, v43
	v_ashrrev_i32_e32 v67, 31, v66
	v_lshlrev_b32_e32 v37, 1, v35
	v_add_lshl_u32 v35, v35, s15, 1
	v_or_b32_e32 v43, 0x100, v34
	v_xad_u32 v125, v40, v46, v44
	v_cndmask_b32_e64 v126, v37, v34, s[0:1]
	v_cndmask_b32_e64 v127, v35, v43, s[0:1]
	v_lshl_add_u64 v[70:71], v[66:67], 1, s[8:9]
	v_lshl_add_u64 v[72:73], v[38:39], 0, v[68:69]
	s_mov_b32 s3, 0x7060302
	v_lshlrev_b32_e32 v68, 1, v36
	v_add_u32_e32 v67, v48, v118
	v_add_u32_e32 v128, v48, v120
	;; [unrolled: 1-line block ×4, first 2 shown]
	s_waitcnt lgkmcnt(0)
	s_barrier
.LBB244_6:                              ; =>This Inner Loop Header: Depth=1
	s_add_i32 s59, s58, 1
	s_cmp_lt_i32 s59, s47
	s_mov_b64 s[24:25], 0
	s_cselect_b64 s[38:39], -1, 0
	s_cmp_ge_i32 s59, s47
	s_mov_b64 s[20:21], 0
	s_cbranch_scc1 .LBB244_8
; %bb.7:                                ;   in Loop: Header=BB244_6 Depth=1
	s_add_i32 s0, s53, 64
	s_ashr_i32 s1, s0, 31
	s_add_u32 s0, s52, s0
	s_addc_u32 s1, s51, s1
	s_lshl_b64 s[0:1], s[0:1], 8
	s_add_u32 s20, s6, s0
	s_addc_u32 s21, s7, s1
.LBB244_8:                              ;   in Loop: Header=BB244_6 Depth=1
	v_cndmask_b32_e64 v34, 0, 1, s[38:39]
	v_cmp_ne_u32_e64 s[0:1], 1, v34
	s_andn2_b64 vcc, exec, s[38:39]
	s_cbranch_vccnz .LBB244_10
; %bb.9:                                ;   in Loop: Header=BB244_6 Depth=1
	s_add_i32 s24, s53, 64
	s_mul_hi_i32 s25, s24, s14
	s_mul_i32 s24, s24, s14
	s_add_u32 s24, s24, s49
	s_addc_u32 s25, s25, s54
	s_lshl_b64 s[24:25], s[24:25], 8
	s_add_u32 s24, s4, s24
	s_addc_u32 s25, s5, s25
.LBB244_10:                             ;   in Loop: Header=BB244_6 Depth=1
	v_perm_b32 v35, v25, v24, s3
	v_perm_b32 v34, v23, v22, s3
	v_perm_b32 v37, v33, v32, s3
	v_perm_b32 v36, v31, v30, s3
	ds_write_b64 v88, v[34:35]
	ds_write_b64 v89, v[36:37]
	ds_write_b64 v94, v[34:35]
	ds_write_b64 v95, v[36:37]
	v_perm_b32 v35, v17, v16, s3
	v_perm_b32 v34, v15, v14, s3
	v_perm_b32 v37, v29, v28, s3
	v_perm_b32 v36, v27, v26, s3
	ds_write_b64 v90, v[34:35]
	ds_write_b64 v91, v[36:37]
	ds_write_b64 v96, v[34:35]
	ds_write_b64 v97, v[36:37]
	;; [unrolled: 8-line block ×4, first 2 shown]
	s_waitcnt lgkmcnt(0)
	s_barrier
	ds_read_b64 v[38:39], v104 offset:49152
	ds_read2_b64 v[34:37], v105 offset1:16
	ds_read_b64 v[50:51], v107 offset:6144
	ds_read_b64 v[52:53], v105 offset:6144
	s_waitcnt lgkmcnt(2)
	v_mfma_f32_16x16x16_bf16 a[0:3], v[38:39], v[34:35], 0
	ds_read_b64 v[54:55], v106 offset:49152
	ds_read2st64_b64 v[42:45], v108 offset0:4 offset1:8
	ds_read2st64_b64 v[46:49], v109 offset0:4 offset1:8
	v_mfma_f32_16x16x16_bf16 a[4:7], v[38:39], v[36:37], 0
	ds_read2_b64 v[34:37], v105 offset0:32 offset1:48
	s_add_i32 s27, s53, 63
	s_ashr_i32 s38, s27, 31
	s_waitcnt lgkmcnt(0)
	v_mfma_f32_16x16x16_bf16 a[8:11], v[38:39], v[34:35], 0
	s_mul_i32 s39, s27, s29
	s_mul_hi_u32 s60, s27, s28
	s_add_i32 s39, s60, s39
	v_mfma_f32_16x16x16_bf16 a[12:15], v[38:39], v[36:37], 0
	ds_read2st64_b64 v[34:37], v105 offset0:4 offset1:8
	ds_read2st64_b64 v[38:41], v107 offset0:4 offset1:8
	s_mul_i32 s38, s38, s28
	s_waitcnt lgkmcnt(1)
	v_mfma_f32_16x16x16_bf16 a[0:3], v[54:55], v[34:35], a[0:3]
	s_add_i32 s39, s39, s38
	s_mul_i32 s38, s27, s28
	s_lshl_b64 s[38:39], s[38:39], 2
	s_waitcnt lgkmcnt(0)
	v_mfma_f32_16x16x16_bf16 a[4:7], v[54:55], v[38:39], a[4:7]
	s_add_u32 s38, s16, s38
	s_addc_u32 s39, s17, s39
	s_and_b64 vcc, exec, s[0:1]
	v_mfma_f32_16x16x16_bf16 a[8:11], v[54:55], v[42:43], a[8:11]
	ds_read_b64 v[34:35], v110 offset:49152
	ds_read_b64 v[38:39], v111 offset:49152
	;; [unrolled: 1-line block ×3, first 2 shown]
	v_mov_b32_e32 v134, 0
	v_mov_b32_e32 v133, 0
	v_mfma_f32_16x16x16_bf16 a[12:15], v[54:55], v[46:47], a[12:15]
	v_mov_b32_e32 v132, 0
	v_mov_b32_e32 v46, 0
	;; [unrolled: 1-line block ×3, first 2 shown]
	s_waitcnt lgkmcnt(2)
	v_mfma_f32_16x16x16_bf16 a[0:3], v[34:35], v[36:37], a[0:3]
	v_mov_b32_e32 v36, 0
	v_mov_b32_e32 v37, 0
	v_mfma_f32_16x16x16_bf16 a[16:19], v[34:35], v[40:41], a[4:7]
	v_mov_b32_e32 v40, 0
	v_mov_b32_e32 v41, 0
	;; [unrolled: 3-line block ×3, first 2 shown]
	v_mfma_f32_16x16x16_bf16 a[24:27], v[34:35], v[48:49], a[12:15]
	ds_read_b64 v[34:35], v108 offset:6144
	v_mov_b32_e32 v48, 0
	v_mov_b32_e32 v49, 0
	s_waitcnt lgkmcnt(2)
	v_mfma_f32_16x16x16_bf16 a[4:7], v[38:39], v[52:53], a[0:3]
	v_mfma_f32_16x16x16_bf16 a[8:11], v[38:39], v[50:51], a[16:19]
	s_waitcnt lgkmcnt(0)
	v_mfma_f32_16x16x16_bf16 a[12:15], v[38:39], v[34:35], a[20:23]
	v_mov_b32_e32 v34, 0
	v_mov_b32_e32 v35, 0
	v_mfma_f32_16x16x16_bf16 a[0:3], v[38:39], v[42:43], a[24:27]
	v_mov_b32_e32 v38, 0
	v_mov_b32_e32 v39, 0
	;; [unrolled: 1-line block ×4, first 2 shown]
	s_cbranch_vccnz .LBB244_12
; %bb.11:                               ;   in Loop: Header=BB244_6 Depth=1
	s_and_b32 s21, s21, 0xffff
	buffer_load_dwordx4 v[46:49], v84, s[20:23], 0 offen
	buffer_load_dwordx4 v[42:45], v84, s[20:23], s55 offen
	;; [unrolled: 1-line block ×4, first 2 shown]
	v_mov_b32_e32 v133, v86
	v_mov_b32_e32 v132, v87
.LBB244_12:                             ;   in Loop: Header=BB244_6 Depth=1
	ds_read_b64 v[136:137], v104 offset:57344
	ds_read2_b64 v[50:53], v112 offset1:16
	ds_read_b64 v[138:139], v106 offset:57344
	ds_read_b64 v[140:141], v110 offset:57344
	;; [unrolled: 1-line block ×3, first 2 shown]
	v_add_u32_e32 v135, s53, v80
	s_waitcnt lgkmcnt(3)
	v_mfma_f32_16x16x16_bf16 a[4:7], v[136:137], v[50:51], a[4:7]
	v_mfma_f32_16x16x16_bf16 a[8:11], v[136:137], v[52:53], a[8:11]
	ds_read2_b64 v[50:53], v112 offset0:32 offset1:48
	ds_read2st64_b64 v[54:57], v112 offset0:4 offset1:8
	ds_read2st64_b64 v[58:61], v113 offset0:4 offset1:8
	;; [unrolled: 1-line block ×3, first 2 shown]
	s_waitcnt lgkmcnt(3)
	v_mfma_f32_16x16x16_bf16 a[12:15], v[136:137], v[50:51], a[12:15]
	v_ashrrev_i32_e32 v50, 31, v135
	v_mfma_f32_16x16x16_bf16 a[0:3], v[136:137], v[52:53], a[0:3]
	v_mul_lo_u32 v52, v50, s28
	v_mul_lo_u32 v53, v135, s29
	v_mad_u64_u32 v[50:51], s[20:21], v135, s28, 0
	v_add3_u32 v51, v51, v53, v52
	v_add_u32_e32 v52, 1, v135
	v_ashrrev_i32_e32 v53, 31, v52
	s_waitcnt lgkmcnt(2)
	v_mfma_f32_16x16x16_bf16 a[4:7], v[138:139], v[54:55], a[4:7]
	v_mul_lo_u32 v54, v53, s28
	v_mul_lo_u32 v55, v52, s29
	v_mad_u64_u32 v[52:53], s[20:21], v52, s28, 0
	v_add3_u32 v53, v53, v55, v54
	v_add_u32_e32 v54, 2, v135
	v_ashrrev_i32_e32 v55, 31, v54
	s_waitcnt lgkmcnt(1)
	v_mfma_f32_16x16x16_bf16 a[8:11], v[138:139], v[58:59], a[8:11]
	v_mul_lo_u32 v58, v55, s28
	v_mul_lo_u32 v59, v54, s29
	v_mad_u64_u32 v[54:55], s[20:21], v54, s28, 0
	v_add3_u32 v55, v55, v59, v58
	v_add_u32_e32 v58, 3, v135
	v_ashrrev_i32_e32 v59, 31, v58
	v_mul_lo_u32 v135, v59, s28
	v_mul_lo_u32 v136, v58, s29
	v_mad_u64_u32 v[58:59], s[20:21], v58, s28, 0
	s_ashr_i32 s21, s53, 31
	s_add_u32 s20, s52, s53
	v_lshl_add_u64 v[50:51], v[50:51], 2, s[16:17]
	v_add3_u32 v59, v59, v136, v135
	s_addc_u32 s21, s51, s21
	v_lshl_add_u64 v[52:53], v[52:53], 2, s[16:17]
	global_load_dword v137, v[50:51], off
	v_lshl_add_u64 v[50:51], v[58:59], 2, s[16:17]
	s_lshl_b64 s[20:21], s[20:21], 8
	v_lshl_add_u64 v[54:55], v[54:55], 2, s[16:17]
	global_load_dword v135, v[52:53], off
	global_load_dword v136, v[54:55], off
	;; [unrolled: 1-line block ×3, first 2 shown]
	v_lshl_add_u64 v[50:51], v[70:71], 0, s[20:21]
	v_lshl_add_u64 v[54:55], v[50:51], 0, v[68:69]
	global_load_ushort v145, v[54:55], off offset:256
	global_load_ushort v146, v[54:55], off
	ds_read2st64_b64 v[50:53], v115 offset0:4 offset1:8
	global_load_ushort v147, v[54:55], off offset:768
	global_load_ushort v148, v[54:55], off offset:512
	s_waitcnt lgkmcnt(1)
	v_mfma_f32_16x16x16_bf16 a[12:15], v[138:139], v[62:63], a[12:15]
	s_and_b64 vcc, exec, s[0:1]
	s_waitcnt vmcnt(3)
	v_lshlrev_b32_e32 v63, 16, v145
	s_waitcnt lgkmcnt(0)
	v_mfma_f32_16x16x16_bf16 a[0:3], v[138:139], v[50:51], a[0:3]
	global_load_ushort v138, v[54:55], off offset:288
	global_load_ushort v139, v[54:55], off offset:32
	;; [unrolled: 1-line block ×8, first 2 shown]
	v_mfma_f32_16x16x16_bf16 a[4:7], v[140:141], v[56:57], a[4:7]
	ds_read_b64 v[50:51], v112 offset:6144
	s_waitcnt vmcnt(10)
	v_lshlrev_b32_e32 v62, 16, v146
	v_mfma_f32_16x16x16_bf16 a[8:11], v[140:141], v[60:61], a[8:11]
	v_mfma_f32_16x16x16_bf16 a[12:15], v[140:141], v[64:65], a[12:15]
	;; [unrolled: 1-line block ×3, first 2 shown]
	global_load_ushort v140, v[54:55], off offset:352
	global_load_ushort v141, v[54:55], off offset:96
	ds_read_b64 v[52:53], v113 offset:6144
	ds_read_b64 v[56:57], v114 offset:6144
	;; [unrolled: 1-line block ×3, first 2 shown]
	global_load_ushort v155, v[54:55], off offset:864
	global_load_ushort v156, v[54:55], off offset:608
	s_load_dword s20, s[38:39], 0x0
	s_waitcnt lgkmcnt(0)
	v_mfma_f32_16x16x16_bf16 a[4:7], v[142:143], v[50:51], a[4:7]
	v_sub_f32_e32 v60, s20, v136
	v_mfma_f32_16x16x16_bf16 a[0:3], v[142:143], v[58:59], a[0:3]
	v_sub_f32_e32 v58, s20, v137
	v_sub_f32_e32 v59, s20, v135
	v_sub_f32_e32 v61, s20, v144
	v_mul_f32_e32 v58, 0x3fb8aa3b, v58
	v_mul_f32_e32 v59, 0x3fb8aa3b, v59
	;; [unrolled: 1-line block ×4, first 2 shown]
	v_mfma_f32_16x16x16_bf16 a[8:11], v[142:143], v[52:53], a[8:11]
	v_exp_f32_e32 v58, v58
	v_exp_f32_e32 v59, v59
	;; [unrolled: 1-line block ×4, first 2 shown]
	v_accvgpr_read_b32 v65, a5
	v_accvgpr_read_b32 v64, a4
	;; [unrolled: 1-line block ×4, first 2 shown]
	v_pk_add_f32 v[62:63], v[62:63], v[64:65] neg_lo:[0,1] neg_hi:[0,1]
	s_waitcnt vmcnt(13)
	v_lshlrev_b32_e32 v65, 16, v147
	s_waitcnt vmcnt(12)
	v_lshlrev_b32_e32 v64, 16, v148
	v_pk_add_f32 v[50:51], v[64:65], v[50:51] neg_lo:[0,1] neg_hi:[0,1]
	v_pk_mul_f32 v[62:63], v[58:59], v[62:63]
	v_pk_mul_f32 v[50:51], v[60:61], v[50:51]
	v_accvgpr_read_b32 v65, a9
	v_perm_b32 v51, v51, v50, s3
	v_perm_b32 v50, v63, v62, s3
	v_accvgpr_read_b32 v64, a8
	v_accvgpr_read_b32 v53, a11
	v_mfma_f32_16x16x16_bf16 a[12:15], v[142:143], v[56:57], a[12:15]
	v_accvgpr_read_b32 v52, a10
	v_accvgpr_read_b32 v57, a3
	v_accvgpr_read_b32 v56, a2
	v_mov_b32_e32 v135, 0
	s_waitcnt vmcnt(11)
	v_lshlrev_b32_e32 v63, 16, v138
	s_waitcnt vmcnt(10)
	v_lshlrev_b32_e32 v62, 16, v139
	v_pk_add_f32 v[62:63], v[62:63], v[64:65] neg_lo:[0,1] neg_hi:[0,1]
	s_waitcnt vmcnt(9)
	v_lshlrev_b32_e32 v65, 16, v149
	s_waitcnt vmcnt(8)
	v_lshlrev_b32_e32 v64, 16, v150
	v_pk_add_f32 v[52:53], v[64:65], v[52:53] neg_lo:[0,1] neg_hi:[0,1]
	v_pk_mul_f32 v[62:63], v[58:59], v[62:63]
	v_pk_mul_f32 v[52:53], v[60:61], v[52:53]
	v_accvgpr_read_b32 v55, a15
	v_perm_b32 v53, v53, v52, s3
	v_perm_b32 v52, v63, v62, s3
	ds_write2_b64 v89, v[50:51], v[52:53] offset1:16
	v_accvgpr_read_b32 v53, a13
	s_waitcnt vmcnt(7)
	v_lshlrev_b32_e32 v51, 16, v151
	s_waitcnt vmcnt(6)
	v_lshlrev_b32_e32 v50, 16, v152
	v_accvgpr_read_b32 v52, a12
	v_accvgpr_read_b32 v54, a14
	v_pk_add_f32 v[50:51], v[50:51], v[52:53] neg_lo:[0,1] neg_hi:[0,1]
	s_waitcnt vmcnt(5)
	v_lshlrev_b32_e32 v53, 16, v153
	s_waitcnt vmcnt(4)
	v_lshlrev_b32_e32 v52, 16, v154
	v_pk_add_f32 v[52:53], v[52:53], v[54:55] neg_lo:[0,1] neg_hi:[0,1]
	v_pk_mul_f32 v[50:51], v[58:59], v[50:51]
	v_pk_mul_f32 v[52:53], v[60:61], v[52:53]
	v_accvgpr_read_b32 v55, a1
	v_perm_b32 v53, v53, v52, s3
	v_perm_b32 v52, v51, v50, s3
	s_waitcnt vmcnt(3)
	v_lshlrev_b32_e32 v51, 16, v140
	s_waitcnt vmcnt(2)
	v_lshlrev_b32_e32 v50, 16, v141
	v_accvgpr_read_b32 v54, a0
	v_pk_add_f32 v[50:51], v[50:51], v[54:55] neg_lo:[0,1] neg_hi:[0,1]
	s_waitcnt vmcnt(1)
	v_lshlrev_b32_e32 v55, 16, v155
	s_waitcnt vmcnt(0)
	v_lshlrev_b32_e32 v54, 16, v156
	v_pk_add_f32 v[54:55], v[54:55], v[56:57] neg_lo:[0,1] neg_hi:[0,1]
	v_pk_mul_f32 v[50:51], v[58:59], v[50:51]
	v_pk_mul_f32 v[54:55], v[60:61], v[54:55]
	v_mov_b32_e32 v56, 0
	v_perm_b32 v55, v55, v54, s3
	v_perm_b32 v54, v51, v50, s3
	ds_write2_b64 v89, v[52:53], v[54:55] offset0:32 offset1:48
	v_mov_b32_e32 v50, 0
	v_mov_b32_e32 v51, 0
	;; [unrolled: 1-line block ×15, first 2 shown]
	s_cbranch_vccnz .LBB244_14
; %bb.13:                               ;   in Loop: Header=BB244_6 Depth=1
	s_and_b32 s25, s25, 0xffff
	s_mov_b32 s27, s23
	buffer_load_dwordx4 v[62:65], v126, s[24:27], 0 offen
	buffer_load_dwordx4 v[54:57], v126, s[24:27], s55 offen
	;; [unrolled: 1-line block ×4, first 2 shown]
	v_mov_b32_e32 v134, v83
	v_mov_b32_e32 v135, v82
.LBB244_14:                             ;   in Loop: Header=BB244_6 Depth=1
	s_waitcnt lgkmcnt(0)
	s_barrier
	ds_read_b64 v[144:145], v67
	ds_read2_b64 v[136:139], v119 offset1:16
	ds_read_b64 v[160:161], v128
	ds_read_b64 v[162:163], v129
	;; [unrolled: 1-line block ×3, first 2 shown]
	ds_read2_b64 v[140:143], v119 offset0:32 offset1:48
	s_waitcnt lgkmcnt(4)
	v_mfma_f32_16x16x16_bf16 a[0:3], v[144:145], v[136:137], 0
	ds_read2st64_b64 v[148:151], v121 offset0:4 offset1:8
	ds_read2st64_b64 v[152:155], v122 offset0:4 offset1:8
	;; [unrolled: 1-line block ×3, first 2 shown]
	v_mfma_f32_16x16x16_bf16 a[4:7], v[144:145], v[138:139], 0
	s_add_i32 s21, s50, s58
	s_mul_hi_i32 s25, s21, s13
	s_mul_i32 s21, s21, s13
	s_waitcnt lgkmcnt(3)
	v_mfma_f32_16x16x16_bf16 a[8:11], v[144:145], v[140:141], 0
	s_add_u32 s24, s21, s45
	s_addc_u32 s25, s25, s46
	s_lshl_b64 s[24:25], s[24:25], 15
	v_mfma_f32_16x16x16_bf16 a[12:15], v[144:145], v[142:143], 0
	ds_read2st64_b64 v[144:147], v119 offset0:4 offset1:8
	s_waitcnt lgkmcnt(0)
	v_mfma_f32_16x16x16_bf16 a[0:3], v[160:161], v[144:145], a[0:3]
	v_mfma_f32_16x16x16_bf16 a[4:7], v[160:161], v[148:149], a[4:7]
	;; [unrolled: 1-line block ×8, first 2 shown]
	ds_read_b64 v[160:161], v119 offset:6144
	ds_read_b64 v[162:163], v120 offset:40960
	;; [unrolled: 1-line block ×8, first 2 shown]
	s_waitcnt lgkmcnt(5)
	v_mfma_f32_16x16x16_bf16 a[16:19], v[166:167], v[136:137], 0
	v_mfma_f32_16x16x16_bf16 a[20:23], v[166:167], v[138:139], 0
	ds_read2st64_b64 v[136:139], v116 offset1:8
	v_mfma_f32_16x16x16_bf16 a[24:27], v[166:167], v[140:141], 0
	v_mfma_f32_16x16x16_bf16 a[28:31], v[166:167], v[142:143], 0
	ds_read2st64_b64 v[140:143], v117 offset1:8
	v_mfma_f32_16x16x16_bf16 a[16:19], v[162:163], v[144:145], a[16:19]
	s_waitcnt lgkmcnt(1)
	v_mov_b32_e32 v144, v136
	v_mov_b32_e32 v145, v137
	v_mfma_f32_16x16x16_bf16 a[20:23], v[162:163], v[148:149], a[20:23]
	v_lshl_add_u64 v[148:149], v[72:73], 0, s[24:25]
	v_mfma_f32_16x16x16_bf16 a[24:27], v[162:163], v[152:153], a[24:27]
	v_mfma_f32_16x16x16_bf16 a[28:31], v[162:163], v[156:157], a[28:31]
	;; [unrolled: 1-line block ×3, first 2 shown]
	s_waitcnt lgkmcnt(0)
	v_mov_b32_e32 v146, v140
	v_mov_b32_e32 v147, v141
	;; [unrolled: 1-line block ×3, first 2 shown]
	v_mfma_f32_16x16x16_bf16 a[32:35], v[174:175], v[150:151], a[20:23]
	v_mov_b32_e32 v141, v139
	ds_read2st64_b64 v[136:139], v116 offset0:16 offset1:24
	global_store_dwordx4 v[148:149], v[144:147], off
	v_mfma_f32_16x16x16_bf16 a[24:27], v[174:175], v[154:155], a[24:27]
	ds_read2st64_b64 v[144:147], v117 offset0:16 offset1:24
	v_add_co_u32_e32 v150, vcc, s35, v148
	v_mfma_f32_16x16x16_bf16 a[28:31], v[174:175], v[158:159], a[28:31]
	s_nop 0
	v_addc_co_u32_e32 v151, vcc, 0, v149, vcc
	global_store_dwordx4 v[150:151], v[140:143], off offset:-4096
	v_mfma_f32_16x16x16_bf16 a[0:3], v[164:165], v[160:161], a[0:3]
	s_waitcnt lgkmcnt(1)
	v_mov_b32_e32 v140, v136
	v_add_co_u32_e32 v136, vcc, s37, v148
	v_mfma_f32_16x16x16_bf16 a[4:7], v[164:165], v[168:169], a[4:7]
	v_mov_b32_e32 v141, v137
	v_addc_co_u32_e32 v137, vcc, 0, v149, vcc
	v_mfma_f32_16x16x16_bf16 a[8:11], v[164:165], v[170:171], a[8:11]
	s_waitcnt lgkmcnt(0)
	v_mov_b32_e32 v142, v144
	v_mov_b32_e32 v143, v145
	;; [unrolled: 1-line block ×3, first 2 shown]
	v_mfma_f32_16x16x16_bf16 a[12:15], v[164:165], v[172:173], a[12:15]
	v_mov_b32_e32 v145, v139
	s_and_b64 vcc, exec, s[0:1]
	global_store_dwordx4 v[150:151], v[140:143], off
	v_mfma_f32_16x16x16_bf16 a[20:23], v[176:177], v[160:161], a[16:19]
	global_store_dwordx4 v[136:137], v[144:147], off
	v_mfma_f32_16x16x16_bf16 a[16:19], v[176:177], v[168:169], a[32:35]
	v_mfma_f32_16x16x16_bf16 a[24:27], v[176:177], v[170:171], a[24:27]
	;; [unrolled: 1-line block ×3, first 2 shown]
	s_cbranch_vccnz .LBB244_16
; %bb.15:                               ;   in Loop: Header=BB244_6 Depth=1
	v_lshrrev_b32_e32 v136, 3, v134
	v_and_b32_e32 v136, 6, v136
	v_xor_b32_e32 v135, v136, v135
	v_lshlrev_b32_e32 v135, 2, v135
	v_and_b32_e32 v134, 8, v134
	v_xor_b32_e32 v137, 0x440, v135
	v_cmp_eq_u32_e32 vcc, 0, v134
	s_barrier
	s_nop 0
	v_cndmask_b32_e32 v134, v137, v135, vcc
	v_lshl_or_b32 v134, v136, 10, v134
	s_waitcnt vmcnt(5)
	v_perm_b32 v135, v62, v58, s56
	s_waitcnt vmcnt(4)
	v_perm_b32 v136, v54, v50, s56
	ds_write2st64_b32 v134, v135, v136 offset0:128 offset1:160
	v_xor_b32_e32 v135, 8, v134
	v_perm_b32 v58, v62, v58, s57
	v_perm_b32 v50, v54, v50, s57
	v_add_u32_e32 v54, 0x80, v135
	ds_write2st64_b32 v54, v58, v50 offset0:128 offset1:160
	v_xor_b32_e32 v50, 16, v134
	v_perm_b32 v54, v63, v59, s56
	v_perm_b32 v58, v55, v51, s56
	ds_write2st64_b32 v50, v54, v58 offset0:129 offset1:161
	v_xor_b32_e32 v50, 24, v134
	v_perm_b32 v54, v63, v59, s57
	v_perm_b32 v51, v55, v51, s57
	v_add_u32_e32 v50, 0x80, v50
	ds_write2st64_b32 v50, v54, v51 offset0:129 offset1:161
	v_xor_b32_e32 v50, 32, v134
	v_perm_b32 v51, v64, v60, s56
	;; [unrolled: 9-line block ×3, first 2 shown]
	v_perm_b32 v52, v57, v53, s56
	ds_write2st64_b32 v50, v51, v52 offset0:131 offset1:163
	v_xor_b32_e32 v50, 56, v134
	v_perm_b32 v51, v65, v61, s57
	v_perm_b32 v52, v57, v53, s57
	v_add_u32_e32 v50, 0x80, v50
	ds_write2st64_b32 v50, v51, v52 offset0:131 offset1:163
	ds_write_b64 v133, v[46:47] offset:49152
	v_xor_b32_e32 v46, 8, v133
	ds_write_b64 v46, v[48:49] offset:49152
	ds_write_b64 v133, v[42:43] offset:57344
	;; [unrolled: 1-line block ×4, first 2 shown]
	v_xor_b32_e32 v38, 8, v132
	ds_write_b64 v38, v[40:41] offset:49152
	ds_write_b64 v132, v[34:35] offset:57344
	;; [unrolled: 1-line block ×3, first 2 shown]
.LBB244_16:                             ;   in Loop: Header=BB244_6 Depth=1
	s_waitcnt vmcnt(6)
	v_mul_f32_e32 v54, s20, v131
	v_exp_f32_e32 v132, v54
	v_accvgpr_read_b32 v37, a3
	v_accvgpr_read_b32 v41, a7
	;; [unrolled: 1-line block ×4, first 2 shown]
	s_waitcnt vmcnt(4)
	v_accvgpr_read_b32 v53, a23
	v_accvgpr_read_b32 v57, a19
	;; [unrolled: 1-line block ×28, first 2 shown]
	s_add_i32 s53, s53, 64
	v_pk_fma_f32 v[22:23], v[22:23], v[132:133], v[34:35] op_sel_hi:[1,0,1]
	v_pk_fma_f32 v[24:25], v[24:25], v[132:133], v[36:37] op_sel_hi:[1,0,1]
	;; [unrolled: 1-line block ×15, first 2 shown]
	s_cmp_eq_u32 s47, s59
	v_pk_fma_f32 v[12:13], v[12:13], v[132:133], v[64:65] op_sel_hi:[1,0,1]
	s_cbranch_scc1 .LBB244_18
; %bb.17:                               ;   in Loop: Header=BB244_6 Depth=1
	s_mov_b32 s58, s59
	s_branch .LBB244_6
.LBB244_18:
	s_lshl_b32 s26, s47, 6
	s_sub_i32 s27, s48, s26
	s_cmp_gt_i32 s27, 0
	s_cbranch_scc0 .LBB244_99
; %bb.19:
	s_add_i32 s26, s26, s30
	s_ashr_i32 s3, s26, 31
	s_cmpk_lg_i32 s15, 0x80
	s_cselect_b64 s[22:23], -1, 0
	s_and_b64 vcc, exec, s[22:23]
	s_cbranch_vccz .LBB244_21
; %bb.20:
	s_mul_hi_i32 s0, s26, s14
	s_mul_i32 s1, s26, s14
	s_ashr_i32 s14, s49, 31
	s_add_u32 s24, s1, s49
	s_addc_u32 s25, s0, s14
	s_cbranch_execz .LBB244_22
	s_branch .LBB244_23
.LBB244_21:
                                        ; implicit-def: $sgpr24_sgpr25
.LBB244_22:
	s_mul_i32 s1, s49, s12
	s_mul_hi_i32 s0, s49, s12
	s_add_u32 s24, s1, s26
	s_addc_u32 s25, s0, s3
.LBB244_23:
	s_waitcnt lgkmcnt(0)
	s_add_i32 s12, s47, s50
	s_add_u32 s0, s52, s26
	s_addc_u32 s1, s51, s3
	v_lshlrev_b32_e32 v35, 6, v80
	v_lshlrev_b32_e32 v34, 2, v77
	s_mov_b32 s3, 0x7060302
	s_waitcnt vmcnt(7)
	v_perm_b32 v25, v25, v24, s3
	v_perm_b32 v24, v23, v22, s3
	s_waitcnt vmcnt(6)
	v_perm_b32 v22, v31, v30, s3
	v_or_b32_e32 v30, v35, v34
	v_xor_b32_e32 v36, v80, v34
	v_perm_b32 v23, v33, v32, s3
	v_lshlrev_b32_e32 v30, 1, v30
	ds_write2st64_b64 v30, v[24:25], v[22:23] offset0:32 offset1:48
	v_lshlrev_b32_e32 v30, 1, v36
	v_lshlrev_b32_e32 v31, 8, v77
	v_xor_b32_e32 v37, v81, v34
	v_or_b32_e32 v32, v30, v31
	ds_write_b64 v32, v[24:25]
	v_lshlrev_b32_e32 v24, 1, v37
	v_or_b32_e32 v25, v24, v31
	ds_write_b64 v25, v[22:23]
	v_or_b32_e32 v22, 16, v77
	v_lshlrev_b32_e32 v23, 2, v22
	v_or_b32_e32 v25, v35, v23
	s_waitcnt vmcnt(5)
	v_perm_b32 v17, v17, v16, s3
	v_perm_b32 v16, v15, v14, s3
	s_waitcnt vmcnt(4)
	v_perm_b32 v15, v29, v28, s3
	v_perm_b32 v14, v27, v26, s3
	v_lshlrev_b32_e32 v25, 1, v25
	v_lshlrev_b32_e32 v22, 8, v22
	ds_write2st64_b64 v25, v[16:17], v[14:15] offset0:32 offset1:48
	v_or_b32_e32 v25, v30, v22
	ds_write_b64 v25, v[16:17]
	v_or_b32_e32 v16, v24, v22
	ds_write_b64 v16, v[14:15]
	v_or_b32_e32 v14, 32, v77
	v_lshlrev_b32_e32 v22, 2, v14
	v_or_b32_e32 v15, v35, v22
	s_waitcnt vmcnt(3)
	v_perm_b32 v9, v9, v8, s3
	v_perm_b32 v8, v7, v6, s3
	s_waitcnt vmcnt(2)
	v_perm_b32 v7, v21, v20, s3
	v_perm_b32 v6, v19, v18, s3
	v_lshlrev_b32_e32 v15, 1, v15
	v_lshlrev_b32_e32 v14, 8, v14
	s_lshl_b64 s[20:21], s[0:1], 8
	ds_write2st64_b64 v15, v[8:9], v[6:7] offset0:32 offset1:48
	v_or_b32_e32 v15, v30, v14
	s_add_u32 s0, s6, s20
	ds_write_b64 v15, v[8:9]
	v_or_b32_e32 v8, v24, v14
	s_addc_u32 s1, s7, s21
	ds_write_b64 v8, v[6:7]
	s_waitcnt vmcnt(1)
	v_perm_b32 v5, v5, v4, s3
	v_perm_b32 v4, v3, v2, s3
	s_waitcnt vmcnt(0)
	v_perm_b32 v3, v13, v12, s3
	v_perm_b32 v2, v11, v10, s3
	v_or_b32_e32 v6, 48, v77
	s_mul_hi_i32 s3, s12, s13
	s_mul_i32 s12, s12, s13
	v_lshlrev_b32_e32 v19, 2, v6
	s_add_u32 s6, s12, s45
	v_or_b32_e32 v7, v35, v19
	s_addc_u32 s7, s3, s46
	v_lshlrev_b32_e32 v7, 1, v7
	v_lshlrev_b32_e32 v6, 8, v6
	s_ashr_i32 s3, s2, 31
	s_lshl_b64 s[6:7], s[6:7], 15
	ds_write2st64_b64 v7, v[4:5], v[2:3] offset0:32 offset1:48
	v_or_b32_e32 v7, v30, v6
	s_add_u32 s6, s18, s6
	ds_write_b64 v7, v[4:5]
	v_or_b32_e32 v4, v24, v6
	s_addc_u32 s7, s19, s7
	s_lshl_b64 s[2:3], s[2:3], 8
	ds_write_b64 v4, v[2:3]
	s_add_u32 s2, s6, s2
	v_lshlrev_b32_e32 v3, 1, v77
	v_lshrrev_b32_e32 v2, 4, v0
	s_addc_u32 s3, s7, s3
	v_or_b32_e32 v4, 1, v3
	v_lshlrev_b32_e32 v10, 4, v77
	v_mov_b32_e32 v11, 0
	v_xor_b32_e32 v3, v2, v3
	v_xor_b32_e32 v6, v4, v2
	v_lshl_add_u64 v[12:13], s[2:3], 0, v[10:11]
	v_lshlrev_b32_e32 v10, 8, v2
	v_lshl_or_b32 v16, v3, 3, v10
	v_lshl_or_b32 v17, v6, 3, v10
	s_waitcnt lgkmcnt(0)
	s_barrier
	ds_read2st64_b64 v[2:5], v16 offset1:8
	ds_read2st64_b64 v[6:9], v17 offset1:8
	v_lshl_add_u64 v[14:15], v[12:13], 0, v[10:11]
	s_movk_i32 s2, 0x2000
	s_cmp_lg_u32 s27, 64
	s_waitcnt lgkmcnt(1)
	v_mov_b32_e32 v10, v2
	v_mov_b32_e32 v11, v3
	s_waitcnt lgkmcnt(0)
	v_mov_b32_e32 v12, v6
	v_mov_b32_e32 v13, v7
	global_store_dwordx4 v[14:15], v[10:13], off
	v_mov_b32_e32 v6, v4
	v_mov_b32_e32 v7, v5
	ds_read2st64_b64 v[2:5], v16 offset0:16 offset1:24
	ds_read2st64_b64 v[10:13], v17 offset0:16 offset1:24
	v_add_co_u32_e32 v16, vcc, s2, v14
	s_cselect_b64 s[6:7], -1, 0
	s_nop 0
	v_addc_co_u32_e32 v17, vcc, 0, v15, vcc
	global_store_dwordx4 v[16:17], v[6:9], off offset:-4096
	v_lshl_or_b32 v24, v75, 3, v79
	s_mov_b32 s16, 0
	s_waitcnt lgkmcnt(1)
	v_mov_b32_e32 v6, v2
	v_add_co_u32_e32 v2, vcc, 0x3000, v14
	v_mov_b32_e32 v7, v3
	s_nop 0
	v_addc_co_u32_e32 v3, vcc, 0, v15, vcc
	s_waitcnt lgkmcnt(0)
	v_mov_b32_e32 v8, v10
	v_mov_b32_e32 v9, v11
	;; [unrolled: 1-line block ×4, first 2 shown]
	v_or_b32_e32 v20, 32, v24
	v_and_b32_e32 v18, 56, v78
	s_and_b64 vcc, exec, s[6:7]
	global_store_dwordx4 v[16:17], v[6:9], off
	global_store_dwordx4 v[2:3], v[10:13], off
	s_cbranch_vccz .LBB244_29
; %bb.24:
	s_mov_b32 s17, s16
	s_mov_b32 s18, s16
	;; [unrolled: 1-line block ×3, first 2 shown]
	v_mov_b64_e32 v[6:7], s[16:17]
	v_mov_b64_e32 v[8:9], s[18:19]
	;; [unrolled: 1-line block ×3, first 2 shown]
	v_cmp_gt_i32_e32 vcc, s27, v24
	v_mov_b64_e32 v[4:5], v[8:9]
	s_and_saveexec_b64 s[2:3], vcc
	s_cbranch_execz .LBB244_26
; %bb.25:
	v_lshlrev_b32_e32 v2, 8, v24
	v_mov_b32_e32 v3, 0
	v_lshl_add_u64 v[4:5], s[0:1], 0, v[2:3]
	v_lshlrev_b32_e32 v2, 1, v18
	v_lshl_add_u64 v[10:11], v[4:5], 0, v[2:3]
	global_load_dwordx4 v[6:9], v[10:11], off
	global_load_dwordx4 v[2:5], v[10:11], off offset:128
.LBB244_26:
	s_or_b64 exec, exec, s[2:3]
	s_mov_b32 s17, s16
	s_mov_b32 s18, s16
	;; [unrolled: 1-line block ×3, first 2 shown]
	v_mov_b64_e32 v[14:15], s[16:17]
	v_mov_b64_e32 v[16:17], s[18:19]
	v_mov_b64_e32 v[10:11], v[14:15]
	v_cmp_gt_i32_e32 vcc, s27, v20
	v_lshlrev_b32_e32 v21, 7, v20
	v_mov_b64_e32 v[12:13], v[16:17]
	s_and_saveexec_b64 s[2:3], vcc
	s_cbranch_execz .LBB244_28
; %bb.27:
	v_lshlrev_b32_e32 v10, 1, v21
	v_mov_b32_e32 v11, 0
	v_lshl_add_u64 v[12:13], s[0:1], 0, v[10:11]
	v_lshlrev_b32_e32 v10, 1, v18
	v_lshl_add_u64 v[26:27], v[12:13], 0, v[10:11]
	global_load_dwordx4 v[14:17], v[26:27], off
	global_load_dwordx4 v[10:13], v[26:27], off offset:128
.LBB244_28:
	s_or_b64 exec, exec, s[2:3]
	v_lshrrev_b32_e32 v25, 3, v18
	v_lshlrev_b32_e32 v26, 3, v24
	v_or_b32_e32 v25, v26, v25
	v_lshlrev_b32_e32 v25, 4, v25
	v_and_b32_e32 v26, 0x78, v26
	v_xor_b32_e32 v25, v25, v26
	s_branch .LBB244_31
.LBB244_29:
                                        ; implicit-def: $vgpr25
                                        ; implicit-def: $vgpr21
                                        ; implicit-def: $vgpr6_vgpr7_vgpr8_vgpr9
                                        ; implicit-def: $vgpr2_vgpr3_vgpr4_vgpr5
                                        ; implicit-def: $vgpr14_vgpr15_vgpr16_vgpr17
                                        ; implicit-def: $vgpr10_vgpr11_vgpr12_vgpr13
	s_cbranch_execz .LBB244_31
; %bb.30:
	s_waitcnt vmcnt(0)
	v_lshlrev_b32_e32 v2, 1, v18
	v_lshl_or_b32 v21, v24, 8, v2
	s_and_b32 s1, s1, 0xffff
	s_mov_b32 s3, 0x20000
	s_movk_i32 s2, 0x4000
	v_lshl_or_b32 v25, v20, 8, v2
	s_movk_i32 s12, 0x80
	buffer_load_dwordx4 v[6:9], v21, s[0:3], 0 offen
	buffer_load_dwordx4 v[2:5], v21, s[0:3], s12 offen
	;; [unrolled: 1-line block ×4, first 2 shown]
	v_lshrrev_b32_e32 v21, 3, v18
	v_lshlrev_b32_e32 v25, 3, v24
	v_or_b32_e32 v21, v25, v21
	v_lshlrev_b32_e32 v21, 4, v21
	v_and_b32_e32 v25, 0x78, v25
	v_xor_b32_e32 v25, v21, v25
	v_lshlrev_b32_e32 v21, 7, v20
.LBB244_31:
	s_movk_i32 s0, 0x1000
	v_and_or_b32 v20, v21, s0, v25
	s_waitcnt vmcnt(1)
	ds_write_b64 v25, v[6:7] offset:49152
	v_xor_b32_e32 v6, 8, v25
	ds_write_b64 v6, v[8:9] offset:49152
	s_waitcnt vmcnt(0)
	ds_write_b64 v25, v[2:3] offset:57344
	ds_write_b64 v6, v[4:5] offset:57344
	;; [unrolled: 1-line block ×3, first 2 shown]
	v_xor_b32_e32 v2, 8, v20
	ds_write_b64 v2, v[16:17] offset:49152
	ds_write_b64 v20, v[10:11] offset:57344
	;; [unrolled: 1-line block ×3, first 2 shown]
	v_or_b32_e32 v2, v1, v77
	v_lshlrev_b32_e32 v3, 11, v75
	v_lshlrev_b32_e32 v2, 3, v2
	v_and_b32_e32 v6, 0x1000, v3
	v_lshrrev_b32_e32 v3, 5, v74
	s_movk_i32 s0, 0xf8
	v_and_or_b32 v3, v2, s0, v3
	v_lshlrev_b32_e32 v7, 4, v3
	v_and_b32_e32 v8, 0x78, v2
	v_or_b32_e32 v10, 32, v7
	v_lshrrev_b32_e32 v3, 1, v74
	v_xor_b32_e32 v10, v10, v8
	v_xor_b32_e32 v2, v7, v8
	v_and_b32_e32 v9, 8, v3
	v_or_b32_e32 v10, v10, v6
	v_or_b32_e32 v2, v2, v6
	v_xor_b32_e32 v27, v10, v9
	v_or_b32_e32 v10, 64, v7
	v_xor_b32_e32 v26, v2, v9
	v_xor_b32_e32 v10, v10, v8
	s_waitcnt lgkmcnt(0)
	s_barrier
	v_or_b32_e32 v13, v10, v6
	ds_read_b64 v[10:11], v26 offset:49152
	v_lshl_or_b32 v14, v76, 8, v34
	v_lshlrev_b32_e32 v25, 1, v14
	v_add_u32_e32 v12, 0x4000, v25
	ds_read2_b64 v[2:5], v12 offset1:16
	v_or_b32_e32 v7, 0x60, v7
	v_xor_b32_e32 v7, v7, v8
	v_or_b32_e32 v6, v7, v6
	v_xor_b32_e32 v28, v13, v9
	v_xor_b32_e32 v29, v6, v9
	ds_read_b64 v[20:21], v27 offset:49152
	ds_read_b64 v[36:37], v28 offset:49152
	;; [unrolled: 1-line block ×3, first 2 shown]
	s_waitcnt lgkmcnt(3)
	v_mfma_f32_16x16x16_bf16 a[0:3], v[10:11], v[2:3], 0
	ds_read2st64_b64 v[6:9], v25 offset0:36 offset1:40
	s_lshl_b64 s[0:1], s[24:25], 8
	s_add_u32 s4, s4, s0
	v_mfma_f32_16x16x16_bf16 a[4:7], v[10:11], v[4:5], 0
	ds_read2_b64 v[2:5], v12 offset0:32 offset1:48
	s_addc_u32 s5, s5, s1
	s_add_i32 s1, s41, s33
	s_waitcnt lgkmcnt(0)
	v_mfma_f32_16x16x16_bf16 a[8:11], v[10:11], v[2:3], 0
	v_or_b32_e32 v2, 64, v14
	v_lshlrev_b32_e32 v30, 1, v2
	s_add_i32 s0, s31, -1
	v_mfma_f32_16x16x16_bf16 a[12:15], v[10:11], v[4:5], 0
	ds_read2st64_b64 v[2:5], v30 offset0:36 offset1:40
	s_add_i32 s37, s1, s40
	s_add_i32 s1, s43, s42
	v_mfma_f32_16x16x16_bf16 a[0:3], v[20:21], v[6:7], a[0:3]
	v_or_b32_e32 v6, 0x80, v14
	v_lshlrev_b32_e32 v31, 1, v6
	ds_read2st64_b64 v[10:13], v31 offset0:36 offset1:40
	s_waitcnt lgkmcnt(1)
	v_mfma_f32_16x16x16_bf16 a[4:7], v[20:21], v[2:3], a[4:7]
	v_or_b32_e32 v2, 0xc0, v14
	v_lshlrev_b32_e32 v32, 1, v2
	ds_read2st64_b64 v[14:17], v32 offset0:36 offset1:40
	s_add_i32 s35, s1, s44
	s_ashr_i32 s1, s0, 31
	s_mul_i32 s2, s0, s29
	s_mul_hi_u32 s3, s0, s28
	s_add_i32 s2, s3, s2
	s_mul_i32 s1, s1, s28
	s_waitcnt lgkmcnt(1)
	v_mfma_f32_16x16x16_bf16 a[8:11], v[20:21], v[10:11], a[8:11]
	s_add_i32 s1, s2, s1
	s_lshl_b64 s[2:3], s[36:37], 2
	s_add_u32 s10, s10, s2
	s_waitcnt lgkmcnt(0)
	v_mfma_f32_16x16x16_bf16 a[12:15], v[20:21], v[14:15], a[12:15]
	s_addc_u32 s11, s11, s3
	s_lshl_b64 s[2:3], s[34:35], 2
	s_mul_i32 s0, s0, s28
	v_mfma_f32_16x16x16_bf16 a[0:3], v[36:37], v[8:9], a[0:3]
	ds_read_b64 v[2:3], v25 offset:22528
	s_add_u32 s10, s10, s2
	s_addc_u32 s11, s11, s3
	v_mfma_f32_16x16x16_bf16 a[4:7], v[36:37], v[4:5], a[4:7]
	ds_read_b64 v[4:5], v30 offset:22528
	ds_read_b64 v[6:7], v31 offset:22528
	;; [unrolled: 1-line block ×3, first 2 shown]
	s_lshl_b64 s[0:1], s[0:1], 2
	s_add_u32 s0, s10, s0
	v_mfma_f32_16x16x16_bf16 a[8:11], v[36:37], v[12:13], a[8:11]
	s_addc_u32 s1, s11, s1
	s_load_dword s12, s[0:1], 0x0
	s_and_b64 vcc, exec, s[22:23]
	v_mfma_f32_16x16x16_bf16 a[12:15], v[36:37], v[16:17], a[12:15]
	s_waitcnt lgkmcnt(0)
	v_mfma_f32_16x16x16_bf16 a[0:3], v[38:39], v[2:3], a[0:3]
	v_mfma_f32_16x16x16_bf16 a[4:7], v[38:39], v[4:5], a[4:7]
	;; [unrolled: 1-line block ×4, first 2 shown]
	s_cbranch_vccz .LBB244_42
; %bb.32:
	v_lshlrev_b32_e32 v20, 1, v24
	s_and_b64 vcc, exec, s[6:7]
	s_cbranch_vccz .LBB244_43
; %bb.33:
	v_cmp_gt_i32_e32 vcc, s27, v20
	v_mov_b32_e32 v6, 0
	v_mov_b32_e32 v2, 0
	;; [unrolled: 1-line block ×5, first 2 shown]
	s_and_saveexec_b64 s[0:1], vcc
	s_cbranch_execz .LBB244_35
; %bb.34:
	v_mad_i64_i32 v[2:3], s[2:3], s15, v20, 0
	v_lshl_add_u64 v[2:3], v[2:3], 1, s[4:5]
	v_lshlrev_b32_e32 v4, 1, v18
	v_mov_b32_e32 v5, 0
	v_lshl_add_u64 v[2:3], v[2:3], 0, v[4:5]
	global_load_dwordx4 v[2:5], v[2:3], off
.LBB244_35:
	s_or_b64 exec, exec, s[0:1]
	v_or_b32_e32 v21, 1, v20
	v_cmp_gt_i32_e64 s[0:1], s27, v21
	v_mov_b32_e32 v7, 0
	v_mov_b32_e32 v8, 0
	;; [unrolled: 1-line block ×3, first 2 shown]
	s_and_saveexec_b64 s[2:3], s[0:1]
	s_cbranch_execz .LBB244_37
; %bb.36:
	v_mad_i64_i32 v[6:7], s[16:17], s15, v21, 0
	v_lshl_add_u64 v[6:7], v[6:7], 1, s[4:5]
	v_lshlrev_b32_e32 v8, 1, v18
	v_mov_b32_e32 v9, 0
	v_lshl_add_u64 v[6:7], v[6:7], 0, v[8:9]
	global_load_dwordx4 v[6:9], v[6:7], off
.LBB244_37:
	s_or_b64 exec, exec, s[2:3]
	v_mov_b32_e32 v17, 0
	v_mov_b32_e32 v10, 0
	;; [unrolled: 1-line block ×5, first 2 shown]
	s_and_saveexec_b64 s[2:3], vcc
	s_cbranch_execz .LBB244_39
; %bb.38:
	v_mad_i64_i32 v[10:11], s[16:17], s15, v20, 0
	v_lshl_add_u64 v[10:11], v[10:11], 1, s[4:5]
	v_lshlrev_b32_e32 v12, 1, v18
	v_mov_b32_e32 v13, 0
	v_lshl_add_u64 v[10:11], v[10:11], 0, v[12:13]
	global_load_dwordx4 v[10:13], v[10:11], off offset:128
.LBB244_39:
	s_or_b64 exec, exec, s[2:3]
	v_mov_b32_e32 v16, 0
	v_mov_b32_e32 v15, 0
	;; [unrolled: 1-line block ×3, first 2 shown]
	s_and_saveexec_b64 s[2:3], s[0:1]
	s_cbranch_execz .LBB244_41
; %bb.40:
	v_mad_i64_i32 v[14:15], s[0:1], s15, v21, 0
	v_lshl_add_u64 v[14:15], v[14:15], 1, s[4:5]
	v_lshlrev_b32_e32 v16, 1, v18
	v_mov_b32_e32 v17, 0
	v_lshl_add_u64 v[14:15], v[14:15], 0, v[16:17]
	global_load_dwordx4 v[14:17], v[14:15], off offset:128
.LBB244_41:
	s_or_b64 exec, exec, s[2:3]
	s_branch .LBB244_45
.LBB244_42:
                                        ; implicit-def: $vgpr5
                                        ; implicit-def: $vgpr9
                                        ; implicit-def: $vgpr13
                                        ; implicit-def: $vgpr17
	v_lshrrev_b32_e32 v33, 2, v74
	s_branch .LBB244_46
.LBB244_43:
                                        ; implicit-def: $vgpr5
                                        ; implicit-def: $vgpr9
                                        ; implicit-def: $vgpr13
                                        ; implicit-def: $vgpr17
	s_cbranch_execz .LBB244_45
; %bb.44:
	s_waitcnt vmcnt(0)
	v_mad_u64_u32 v[2:3], s[0:1], v20, s15, v[18:19]
	v_lshlrev_b32_e32 v20, 1, v2
	s_lshl_b32 s2, s15, 7
	s_and_b32 s1, s5, 0xffff
	s_mov_b32 s3, 0x20000
	s_mov_b32 s0, s4
	v_add_lshl_u32 v21, v2, s15, 1
	s_movk_i32 s13, 0x80
	buffer_load_dwordx4 v[2:5], v20, s[0:3], 0 offen
	buffer_load_dwordx4 v[10:13], v20, s[0:3], s13 offen
	;; [unrolled: 1-line block ×4, first 2 shown]
.LBB244_45:
	v_lshrrev_b32_e32 v33, 2, v74
	s_cbranch_execnz .LBB244_58
.LBB244_46:
	s_and_b64 vcc, exec, s[6:7]
	s_cbranch_vccz .LBB244_56
; %bb.47:
	s_waitcnt vmcnt(0)
	v_lshlrev_b32_e32 v7, 1, v24
	v_cmp_gt_i32_e32 vcc, s27, v7
	v_mov_b32_e32 v6, 0
	v_lshlrev_b32_e32 v14, 9, v24
	v_mov_b32_e32 v2, 0
	v_mov_b32_e32 v3, 0
	;; [unrolled: 1-line block ×4, first 2 shown]
	s_and_saveexec_b64 s[0:1], vcc
	s_cbranch_execz .LBB244_49
; %bb.48:
	v_mov_b32_e32 v15, 0
	v_lshl_add_u64 v[2:3], s[4:5], 0, v[14:15]
	v_lshlrev_b32_e32 v4, 1, v18
	v_mov_b32_e32 v5, v15
	v_lshl_add_u64 v[2:3], v[2:3], 0, v[4:5]
	global_load_dwordx4 v[2:5], v[2:3], off
.LBB244_49:
	s_or_b64 exec, exec, s[0:1]
	v_or_b32_e32 v7, 1, v7
	v_cmp_gt_i32_e64 s[0:1], s27, v7
	v_lshlrev_b32_e32 v20, 8, v7
	v_mov_b32_e32 v7, 0
	v_mov_b32_e32 v8, 0
	;; [unrolled: 1-line block ×3, first 2 shown]
	s_and_saveexec_b64 s[2:3], s[0:1]
	s_cbranch_execz .LBB244_51
; %bb.50:
	v_mov_b32_e32 v21, 0
	v_lshl_add_u64 v[6:7], s[4:5], 0, v[20:21]
	v_lshlrev_b32_e32 v8, 1, v18
	v_mov_b32_e32 v9, v21
	v_lshl_add_u64 v[6:7], v[6:7], 0, v[8:9]
	global_load_dwordx4 v[6:9], v[6:7], off
.LBB244_51:
	s_or_b64 exec, exec, s[2:3]
	v_mov_b32_e32 v17, 0
	v_mov_b32_e32 v10, 0
	;; [unrolled: 1-line block ×5, first 2 shown]
	s_and_saveexec_b64 s[2:3], vcc
	s_cbranch_execz .LBB244_53
; %bb.52:
	v_mov_b32_e32 v15, 0
	v_lshl_add_u64 v[10:11], s[4:5], 0, v[14:15]
	v_lshlrev_b32_e32 v14, 1, v18
	v_lshl_add_u64 v[10:11], v[10:11], 0, v[14:15]
	global_load_dwordx4 v[10:13], v[10:11], off offset:128
.LBB244_53:
	s_or_b64 exec, exec, s[2:3]
	v_mov_b32_e32 v16, 0
	v_mov_b32_e32 v15, 0
	;; [unrolled: 1-line block ×3, first 2 shown]
	s_and_saveexec_b64 s[2:3], s[0:1]
	s_cbranch_execz .LBB244_55
; %bb.54:
	v_mov_b32_e32 v21, 0
	v_lshl_add_u64 v[14:15], s[4:5], 0, v[20:21]
	v_lshlrev_b32_e32 v20, 1, v18
	v_lshl_add_u64 v[14:15], v[14:15], 0, v[20:21]
	global_load_dwordx4 v[14:17], v[14:15], off offset:128
.LBB244_55:
	s_or_b64 exec, exec, s[2:3]
	s_branch .LBB244_58
.LBB244_56:
                                        ; implicit-def: $vgpr5
                                        ; implicit-def: $vgpr9
                                        ; implicit-def: $vgpr13
                                        ; implicit-def: $vgpr17
	s_cbranch_execz .LBB244_58
; %bb.57:
	s_waitcnt vmcnt(0)
	v_lshlrev_b32_e32 v2, 1, v18
	v_lshl_or_b32 v18, v24, 9, v2
	s_and_b32 s5, s5, 0xffff
	s_mov_b32 s7, 0x20000
	s_movk_i32 s6, 0x4000
	s_movk_i32 s0, 0x80
	buffer_load_dwordx4 v[2:5], v18, s[4:7], 0 offen
	buffer_load_dwordx4 v[6:9], v18, s[4:7], 0 offen offset:256
	buffer_load_dwordx4 v[10:13], v18, s[4:7], s0 offen
	buffer_load_dwordx4 v[14:17], v18, s[4:7], s0 offen offset:256
.LBB244_58:
	ds_read_b64 v[20:21], v26 offset:57344
	v_add_u32_e32 v18, 0x6000, v25
	ds_read2_b64 v[36:39], v18 offset1:16
	ds_read_b64 v[48:49], v27 offset:57344
	ds_read_b64 v[50:51], v28 offset:57344
	;; [unrolled: 1-line block ×3, first 2 shown]
	ds_read2_b64 v[26:29], v18 offset0:32 offset1:48
	v_and_b32_e32 v18, 6, v0
	v_xor_b32_e32 v24, v24, v18
	v_lshlrev_b32_e32 v24, 2, v24
	v_and_b32_e32 v0, 1, v0
	v_cmp_eq_u32_e32 vcc, 0, v0
	s_waitcnt lgkmcnt(4)
	v_mfma_f32_16x16x16_bf16 a[0:3], v[20:21], v[36:37], a[0:3]
	s_mov_b32 s0, 0x1000504
	s_mov_b32 s1, 0x3020706
	v_mfma_f32_16x16x16_bf16 a[4:7], v[20:21], v[38:39], a[4:7]
	ds_read2st64_b64 v[36:39], v25 offset0:52 offset1:56
	s_waitcnt lgkmcnt(1)
	v_mfma_f32_16x16x16_bf16 a[8:11], v[20:21], v[26:27], a[8:11]
	v_mfma_f32_16x16x16_bf16 a[12:15], v[20:21], v[28:29], a[12:15]
	ds_read2st64_b64 v[26:29], v30 offset0:52 offset1:56
	ds_read2st64_b64 v[40:43], v31 offset0:52 offset1:56
	ds_read2st64_b64 v[44:47], v32 offset0:52 offset1:56
	s_waitcnt lgkmcnt(3)
	v_mfma_f32_16x16x16_bf16 a[0:3], v[48:49], v[36:37], a[0:3]
	ds_read_b64 v[20:21], v25 offset:30720
	ds_read_b64 v[36:37], v30 offset:30720
	;; [unrolled: 1-line block ×4, first 2 shown]
	v_xor_b32_e32 v25, 0x440, v24
	v_cndmask_b32_e32 v0, v25, v24, vcc
	s_waitcnt lgkmcnt(6)
	v_mfma_f32_16x16x16_bf16 a[4:7], v[48:49], v[26:27], a[4:7]
	v_lshl_or_b32 v0, v18, 10, v0
	s_waitcnt vmcnt(0)
	v_perm_b32 v18, v2, v6, s0
	v_perm_b32 v24, v10, v14, s0
	s_waitcnt lgkmcnt(5)
	v_mfma_f32_16x16x16_bf16 a[8:11], v[48:49], v[40:41], a[8:11]
	ds_write2st64_b32 v0, v18, v24 offset0:128 offset1:160
	v_xor_b32_e32 v18, 8, v0
	v_perm_b32 v2, v2, v6, s1
	s_waitcnt lgkmcnt(5)
	v_mfma_f32_16x16x16_bf16 a[12:15], v[48:49], v[44:45], a[12:15]
	v_perm_b32 v6, v10, v14, s1
	v_add_u32_e32 v10, 0x80, v18
	ds_write2st64_b32 v10, v2, v6 offset0:128 offset1:160
	v_mfma_f32_16x16x16_bf16 a[0:3], v[50:51], v[38:39], a[0:3]
	v_xor_b32_e32 v2, 16, v0
	v_perm_b32 v6, v3, v7, s0
	v_perm_b32 v10, v11, v15, s0
	v_mfma_f32_16x16x16_bf16 a[4:7], v[50:51], v[28:29], a[4:7]
	ds_write2st64_b32 v2, v6, v10 offset0:129 offset1:161
	v_xor_b32_e32 v2, 24, v0
	v_perm_b32 v3, v3, v7, s1
	v_mfma_f32_16x16x16_bf16 a[16:19], v[50:51], v[42:43], a[8:11]
	v_perm_b32 v6, v11, v15, s1
	v_add_u32_e32 v2, 0x80, v2
	ds_write2st64_b32 v2, v3, v6 offset0:129 offset1:161
	v_mfma_f32_16x16x16_bf16 a[20:23], v[50:51], v[46:47], a[12:15]
	v_xor_b32_e32 v2, 32, v0
	v_perm_b32 v3, v4, v8, s0
	v_perm_b32 v6, v12, v16, s0
	s_waitcnt lgkmcnt(7)
	v_mfma_f32_16x16x16_bf16 a[12:15], v[52:53], v[20:21], a[0:3]
	ds_write2st64_b32 v2, v3, v6 offset0:130 offset1:162
	v_xor_b32_e32 v2, 40, v0
	v_perm_b32 v3, v4, v8, s1
	s_waitcnt lgkmcnt(7)
	v_mfma_f32_16x16x16_bf16 a[8:11], v[52:53], v[36:37], a[4:7]
	v_perm_b32 v4, v12, v16, s1
	v_add_u32_e32 v2, 0x80, v2
	ds_write2st64_b32 v2, v3, v4 offset0:130 offset1:162
	s_waitcnt lgkmcnt(7)
	v_mfma_f32_16x16x16_bf16 a[4:7], v[52:53], v[30:31], a[16:19]
	v_xor_b32_e32 v2, 48, v0
	v_perm_b32 v3, v5, v9, s0
	v_perm_b32 v4, v13, v17, s0
	s_waitcnt lgkmcnt(6)
	v_mfma_f32_16x16x16_bf16 a[0:3], v[52:53], v[54:55], a[20:23]
	v_xor_b32_e32 v0, 56, v0
	v_and_or_b32 v18, v33, 12, v1
	ds_write2st64_b32 v2, v3, v4 offset0:131 offset1:163
	v_perm_b32 v2, v5, v9, s1
	v_perm_b32 v3, v13, v17, s1
	v_add_u32_e32 v0, 0x80, v0
	v_cmp_gt_i32_e32 vcc, s27, v18
	v_mov_b32_e32 v14, 0
	v_mov_b32_e32 v16, 0
	ds_write2st64_b32 v0, v2, v3 offset0:131 offset1:163
	s_and_saveexec_b64 s[0:1], vcc
	s_cbranch_execz .LBB244_60
; %bb.59:
	v_add_u32_e32 v0, s26, v18
	v_ashrrev_i32_e32 v1, 31, v0
	v_mul_lo_u32 v2, v1, s28
	v_mul_lo_u32 v3, v0, s29
	v_mad_u64_u32 v[0:1], s[2:3], v0, s28, 0
	v_add3_u32 v1, v1, v3, v2
	v_lshl_add_u64 v[0:1], v[0:1], 2, s[10:11]
	global_load_dword v0, v[0:1], off
	s_waitcnt vmcnt(0)
	v_sub_f32_e32 v0, s12, v0
	v_mul_f32_e32 v0, 0x3fb8aa3b, v0
	v_exp_f32_e32 v16, v0
.LBB244_60:
	s_or_b64 exec, exec, s[0:1]
	v_or_b32_e32 v8, 1, v18
	v_cmp_gt_i32_e64 s[0:1], s27, v8
	s_and_saveexec_b64 s[2:3], s[0:1]
	s_cbranch_execz .LBB244_62
; %bb.61:
	v_add_u32_e32 v0, s26, v8
	v_ashrrev_i32_e32 v1, 31, v0
	v_mul_lo_u32 v2, v1, s28
	v_mul_lo_u32 v3, v0, s29
	v_mad_u64_u32 v[0:1], s[4:5], v0, s28, 0
	v_add3_u32 v1, v1, v3, v2
	v_lshl_add_u64 v[0:1], v[0:1], 2, s[10:11]
	global_load_dword v0, v[0:1], off
	s_waitcnt vmcnt(0)
	v_sub_f32_e32 v0, s12, v0
	v_mul_f32_e32 v0, 0x3fb8aa3b, v0
	v_exp_f32_e32 v14, v0
.LBB244_62:
	s_or_b64 exec, exec, s[2:3]
	v_or_b32_e32 v10, 2, v18
	v_cmp_gt_i32_e64 s[2:3], s27, v10
	v_mov_b32_e32 v15, 0
	v_mov_b32_e32 v17, 0
	s_and_saveexec_b64 s[4:5], s[2:3]
	s_cbranch_execz .LBB244_64
; %bb.63:
	v_add_u32_e32 v0, s26, v10
	v_ashrrev_i32_e32 v1, 31, v0
	v_mul_lo_u32 v2, v1, s28
	v_mul_lo_u32 v3, v0, s29
	v_mad_u64_u32 v[0:1], s[6:7], v0, s28, 0
	v_add3_u32 v1, v1, v3, v2
	v_lshl_add_u64 v[0:1], v[0:1], 2, s[10:11]
	global_load_dword v0, v[0:1], off
	s_waitcnt vmcnt(0)
	v_sub_f32_e32 v0, s12, v0
	v_mul_f32_e32 v0, 0x3fb8aa3b, v0
	v_exp_f32_e32 v17, v0
.LBB244_64:
	s_or_b64 exec, exec, s[4:5]
	v_or_b32_e32 v12, 3, v18
	v_cmp_gt_i32_e64 s[4:5], s27, v12
	s_and_saveexec_b64 s[6:7], s[4:5]
	s_cbranch_execz .LBB244_66
; %bb.65:
	v_add_u32_e32 v0, s26, v12
	v_ashrrev_i32_e32 v1, 31, v0
	v_mul_lo_u32 v2, v1, s28
	v_mul_lo_u32 v3, v0, s29
	v_mad_u64_u32 v[0:1], s[14:15], v0, s28, 0
	v_add3_u32 v1, v1, v3, v2
	v_lshl_add_u64 v[0:1], v[0:1], 2, s[10:11]
	global_load_dword v0, v[0:1], off
	s_waitcnt vmcnt(0)
	v_sub_f32_e32 v0, s12, v0
	v_mul_f32_e32 v0, 0x3fb8aa3b, v0
	v_exp_f32_e32 v15, v0
.LBB244_66:
	s_or_b64 exec, exec, s[6:7]
	s_add_u32 s6, s8, s20
	v_accvgpr_read_b32 v0, a12
	s_addc_u32 s7, s9, s21
	v_ashrrev_i32_e32 v67, 31, v66
	v_accvgpr_read_b32 v1, a13
	v_accvgpr_read_b32 v2, a14
	;; [unrolled: 1-line block ×3, first 2 shown]
	v_lshl_add_u64 v[4:5], v[66:67], 1, s[6:7]
	v_mov_b32_e32 v9, 0
	v_lshlrev_b32_e32 v6, 8, v18
	v_mov_b32_e32 v7, 0
	s_and_saveexec_b64 s[6:7], vcc
	s_cbranch_execz .LBB244_68
; %bb.67:
	v_mov_b32_e32 v7, 0
	v_lshl_add_u64 v[20:21], v[4:5], 0, v[6:7]
	global_load_ushort v7, v[20:21], off
	s_waitcnt vmcnt(0)
	v_lshlrev_b32_e32 v7, 16, v7
	v_sub_f32_e32 v0, v7, v0
	v_mul_f32_e32 v0, v16, v0
	v_lshrrev_b32_e32 v7, 16, v0
.LBB244_68:
	s_or_b64 exec, exec, s[6:7]
	v_lshlrev_b32_e32 v8, 8, v8
	s_and_saveexec_b64 s[6:7], s[0:1]
	s_cbranch_execz .LBB244_70
; %bb.69:
	v_mov_b32_e32 v9, 0
	v_lshl_add_u64 v[20:21], v[4:5], 0, v[8:9]
	global_load_ushort v0, v[20:21], off
	s_waitcnt vmcnt(0)
	v_lshlrev_b32_e32 v0, 16, v0
	v_sub_f32_e32 v0, v0, v1
	v_mul_f32_e32 v0, v14, v0
	v_lshrrev_b32_e32 v9, 16, v0
.LBB244_70:
	s_or_b64 exec, exec, s[6:7]
	v_mov_b32_e32 v13, 0
	v_lshlrev_b32_e32 v10, 8, v10
	v_mov_b32_e32 v11, 0
	s_and_saveexec_b64 s[6:7], s[2:3]
	s_cbranch_execz .LBB244_72
; %bb.71:
	v_mov_b32_e32 v11, 0
	v_lshl_add_u64 v[0:1], v[4:5], 0, v[10:11]
	global_load_ushort v0, v[0:1], off
	s_waitcnt vmcnt(0)
	v_lshlrev_b32_e32 v0, 16, v0
	v_sub_f32_e32 v0, v0, v2
	v_mul_f32_e32 v0, v17, v0
	v_lshrrev_b32_e32 v11, 16, v0
.LBB244_72:
	s_or_b64 exec, exec, s[6:7]
	v_lshlrev_b32_e32 v12, 8, v12
	s_and_saveexec_b64 s[6:7], s[4:5]
	s_cbranch_execz .LBB244_74
; %bb.73:
	v_mov_b32_e32 v13, 0
	v_lshl_add_u64 v[0:1], v[4:5], 0, v[12:13]
	global_load_ushort v0, v[0:1], off
	s_waitcnt vmcnt(0)
	v_lshlrev_b32_e32 v0, 16, v0
	v_sub_f32_e32 v0, v0, v3
	v_mul_f32_e32 v0, v15, v0
	v_lshrrev_b32_e32 v13, 16, v0
.LBB244_74:
	s_or_b64 exec, exec, s[6:7]
	v_lshlrev_b32_e32 v18, 6, v18
	s_mov_b32 s6, 0x5040100
	v_perm_b32 v20, v9, v7, s6
	v_or_b32_e32 v7, v18, v34
	v_accvgpr_read_b32 v0, a8
	v_perm_b32 v21, v13, v11, s6
	v_lshlrev_b32_e32 v7, 1, v7
	v_accvgpr_read_b32 v1, a9
	v_accvgpr_read_b32 v2, a10
	;; [unrolled: 1-line block ×3, first 2 shown]
	ds_write_b64 v7, v[20:21] offset:24576
	v_mov_b32_e32 v9, 0
	v_mov_b32_e32 v7, 0
	s_and_saveexec_b64 s[6:7], vcc
	s_cbranch_execz .LBB244_76
; %bb.75:
	v_mov_b32_e32 v7, 0
	v_lshl_add_u64 v[20:21], v[4:5], 0, v[6:7]
	global_load_ushort v7, v[20:21], off offset:32
	s_waitcnt vmcnt(0)
	v_lshlrev_b32_e32 v7, 16, v7
	v_sub_f32_e32 v0, v7, v0
	v_mul_f32_e32 v0, v16, v0
	v_lshrrev_b32_e32 v7, 16, v0
.LBB244_76:
	s_or_b64 exec, exec, s[6:7]
	s_and_saveexec_b64 s[6:7], s[0:1]
	s_cbranch_execz .LBB244_78
; %bb.77:
	v_mov_b32_e32 v9, 0
	v_lshl_add_u64 v[20:21], v[4:5], 0, v[8:9]
	global_load_ushort v0, v[20:21], off offset:32
	s_waitcnt vmcnt(0)
	v_lshlrev_b32_e32 v0, 16, v0
	v_sub_f32_e32 v0, v0, v1
	v_mul_f32_e32 v0, v14, v0
	v_lshrrev_b32_e32 v9, 16, v0
.LBB244_78:
	s_or_b64 exec, exec, s[6:7]
	v_mov_b32_e32 v13, 0
	v_mov_b32_e32 v11, 0
	s_and_saveexec_b64 s[6:7], s[2:3]
	s_cbranch_execz .LBB244_80
; %bb.79:
	v_mov_b32_e32 v11, 0
	v_lshl_add_u64 v[0:1], v[4:5], 0, v[10:11]
	global_load_ushort v0, v[0:1], off offset:32
	s_waitcnt vmcnt(0)
	v_lshlrev_b32_e32 v0, 16, v0
	v_sub_f32_e32 v0, v0, v2
	v_mul_f32_e32 v0, v17, v0
	v_lshrrev_b32_e32 v11, 16, v0
.LBB244_80:
	s_or_b64 exec, exec, s[6:7]
	s_and_saveexec_b64 s[6:7], s[4:5]
	s_cbranch_execz .LBB244_82
; %bb.81:
	v_mov_b32_e32 v13, 0
	v_lshl_add_u64 v[0:1], v[4:5], 0, v[12:13]
	global_load_ushort v0, v[0:1], off offset:32
	s_waitcnt vmcnt(0)
	v_lshlrev_b32_e32 v0, 16, v0
	v_sub_f32_e32 v0, v0, v3
	v_mul_f32_e32 v0, v15, v0
	v_lshrrev_b32_e32 v13, 16, v0
.LBB244_82:
	s_or_b64 exec, exec, s[6:7]
	s_mov_b32 s6, 0x5040100
	v_perm_b32 v20, v9, v7, s6
	v_or_b32_e32 v7, v18, v23
	v_accvgpr_read_b32 v0, a4
	v_perm_b32 v21, v13, v11, s6
	v_lshlrev_b32_e32 v7, 1, v7
	v_accvgpr_read_b32 v1, a5
	v_accvgpr_read_b32 v2, a6
	;; [unrolled: 1-line block ×3, first 2 shown]
	ds_write_b64 v7, v[20:21] offset:24576
	v_mov_b32_e32 v9, 0
	v_mov_b32_e32 v7, 0
	s_and_saveexec_b64 s[6:7], vcc
	s_cbranch_execz .LBB244_84
; %bb.83:
	v_mov_b32_e32 v7, 0
	v_lshl_add_u64 v[20:21], v[4:5], 0, v[6:7]
	global_load_ushort v7, v[20:21], off offset:64
	s_waitcnt vmcnt(0)
	v_lshlrev_b32_e32 v7, 16, v7
	v_sub_f32_e32 v0, v7, v0
	v_mul_f32_e32 v0, v16, v0
	v_lshrrev_b32_e32 v7, 16, v0
.LBB244_84:
	s_or_b64 exec, exec, s[6:7]
	s_and_saveexec_b64 s[6:7], s[0:1]
	s_cbranch_execz .LBB244_86
; %bb.85:
	v_mov_b32_e32 v9, 0
	v_lshl_add_u64 v[20:21], v[4:5], 0, v[8:9]
	global_load_ushort v0, v[20:21], off offset:64
	s_waitcnt vmcnt(0)
	v_lshlrev_b32_e32 v0, 16, v0
	v_sub_f32_e32 v0, v0, v1
	v_mul_f32_e32 v0, v14, v0
	v_lshrrev_b32_e32 v9, 16, v0
.LBB244_86:
	s_or_b64 exec, exec, s[6:7]
	v_mov_b32_e32 v13, 0
	v_mov_b32_e32 v11, 0
	s_and_saveexec_b64 s[6:7], s[2:3]
	s_cbranch_execz .LBB244_88
; %bb.87:
	v_mov_b32_e32 v11, 0
	v_lshl_add_u64 v[0:1], v[4:5], 0, v[10:11]
	global_load_ushort v0, v[0:1], off offset:64
	s_waitcnt vmcnt(0)
	v_lshlrev_b32_e32 v0, 16, v0
	v_sub_f32_e32 v0, v0, v2
	v_mul_f32_e32 v0, v17, v0
	v_lshrrev_b32_e32 v11, 16, v0
.LBB244_88:
	s_or_b64 exec, exec, s[6:7]
	s_and_saveexec_b64 s[6:7], s[4:5]
	s_cbranch_execz .LBB244_90
; %bb.89:
	v_mov_b32_e32 v13, 0
	v_lshl_add_u64 v[0:1], v[4:5], 0, v[12:13]
	global_load_ushort v0, v[0:1], off offset:64
	s_waitcnt vmcnt(0)
	v_lshlrev_b32_e32 v0, 16, v0
	v_sub_f32_e32 v0, v0, v3
	v_mul_f32_e32 v0, v15, v0
	v_lshrrev_b32_e32 v13, 16, v0
.LBB244_90:
	s_or_b64 exec, exec, s[6:7]
	s_mov_b32 s6, 0x5040100
	v_perm_b32 v20, v9, v7, s6
	v_or_b32_e32 v7, v18, v22
	v_accvgpr_read_b32 v0, a0
	v_perm_b32 v21, v13, v11, s6
	v_lshlrev_b32_e32 v7, 1, v7
	v_accvgpr_read_b32 v1, a1
	v_accvgpr_read_b32 v2, a2
	;; [unrolled: 1-line block ×3, first 2 shown]
	ds_write_b64 v7, v[20:21] offset:24576
	v_mov_b32_e32 v9, 0
	v_mov_b32_e32 v7, 0
	s_and_saveexec_b64 s[6:7], vcc
	s_cbranch_execz .LBB244_92
; %bb.91:
	v_mov_b32_e32 v7, 0
	v_lshl_add_u64 v[6:7], v[4:5], 0, v[6:7]
	global_load_ushort v6, v[6:7], off offset:96
	s_waitcnt vmcnt(0)
	v_lshlrev_b32_e32 v6, 16, v6
	v_sub_f32_e32 v0, v6, v0
	v_mul_f32_e32 v0, v16, v0
	v_lshrrev_b32_e32 v7, 16, v0
.LBB244_92:
	s_or_b64 exec, exec, s[6:7]
	s_and_saveexec_b64 s[6:7], s[0:1]
	s_cbranch_execz .LBB244_94
; %bb.93:
	v_mov_b32_e32 v9, 0
	v_lshl_add_u64 v[8:9], v[4:5], 0, v[8:9]
	global_load_ushort v0, v[8:9], off offset:96
	s_waitcnt vmcnt(0)
	v_lshlrev_b32_e32 v0, 16, v0
	v_sub_f32_e32 v0, v0, v1
	v_mul_f32_e32 v0, v14, v0
	v_lshrrev_b32_e32 v9, 16, v0
.LBB244_94:
	s_or_b64 exec, exec, s[6:7]
	v_mov_b32_e32 v0, 0
	v_mov_b32_e32 v1, 0
	s_and_saveexec_b64 s[0:1], s[2:3]
	s_cbranch_execz .LBB244_96
; %bb.95:
	v_mov_b32_e32 v11, 0
	v_lshl_add_u64 v[10:11], v[4:5], 0, v[10:11]
	global_load_ushort v1, v[10:11], off offset:96
	s_waitcnt vmcnt(0)
	v_lshlrev_b32_e32 v1, 16, v1
	v_sub_f32_e32 v1, v1, v2
	v_mul_f32_e32 v1, v17, v1
	v_lshrrev_b32_e32 v1, 16, v1
.LBB244_96:
	s_or_b64 exec, exec, s[0:1]
	s_and_saveexec_b64 s[0:1], s[4:5]
	s_cbranch_execz .LBB244_98
; %bb.97:
	v_mov_b32_e32 v13, 0
	v_lshl_add_u64 v[4:5], v[4:5], 0, v[12:13]
	global_load_ushort v0, v[4:5], off offset:96
	s_waitcnt vmcnt(0)
	v_lshlrev_b32_e32 v0, 16, v0
	v_sub_f32_e32 v0, v0, v3
	v_mul_f32_e32 v0, v15, v0
	v_lshrrev_b32_e32 v0, 16, v0
.LBB244_98:
	s_or_b64 exec, exec, s[0:1]
	s_mov_b32 s0, 0x5040100
	v_or_b32_e32 v2, v18, v19
	v_perm_b32 v1, v0, v1, s0
	v_perm_b32 v0, v9, v7, s0
	v_lshlrev_b32_e32 v2, 1, v2
	ds_write_b64 v2, v[0:1] offset:24576
	s_waitcnt lgkmcnt(0)
	s_barrier
.LBB244_99:
	s_endpgm
	.section	.rodata,"a",@progbits
	.p2align	6, 0x0
	.amdhsa_kernel _ZN12_GLOBAL__N_139chunk_gated_delta_rule_fwd_h_hip_kernelILi64ELb1ELb0ELb0ELb1ELb0ELb0ELb0ELb0EEEvPK12hip_bfloat16S3_S3_PKfS5_PKvPS1_S8_PvPKiSB_iiiiilll
		.amdhsa_group_segment_fixed_size 65536
		.amdhsa_private_segment_fixed_size 0
		.amdhsa_kernarg_size 136
		.amdhsa_user_sgpr_count 2
		.amdhsa_user_sgpr_dispatch_ptr 0
		.amdhsa_user_sgpr_queue_ptr 0
		.amdhsa_user_sgpr_kernarg_segment_ptr 1
		.amdhsa_user_sgpr_dispatch_id 0
		.amdhsa_user_sgpr_kernarg_preload_length 0
		.amdhsa_user_sgpr_kernarg_preload_offset 0
		.amdhsa_user_sgpr_private_segment_size 0
		.amdhsa_uses_dynamic_stack 0
		.amdhsa_enable_private_segment 0
		.amdhsa_system_sgpr_workgroup_id_x 1
		.amdhsa_system_sgpr_workgroup_id_y 1
		.amdhsa_system_sgpr_workgroup_id_z 0
		.amdhsa_system_sgpr_workgroup_info 0
		.amdhsa_system_vgpr_workitem_id 0
		.amdhsa_next_free_vgpr 216
		.amdhsa_next_free_sgpr 61
		.amdhsa_accum_offset 180
		.amdhsa_reserve_vcc 1
		.amdhsa_float_round_mode_32 0
		.amdhsa_float_round_mode_16_64 0
		.amdhsa_float_denorm_mode_32 3
		.amdhsa_float_denorm_mode_16_64 3
		.amdhsa_dx10_clamp 1
		.amdhsa_ieee_mode 1
		.amdhsa_fp16_overflow 0
		.amdhsa_tg_split 0
		.amdhsa_exception_fp_ieee_invalid_op 0
		.amdhsa_exception_fp_denorm_src 0
		.amdhsa_exception_fp_ieee_div_zero 0
		.amdhsa_exception_fp_ieee_overflow 0
		.amdhsa_exception_fp_ieee_underflow 0
		.amdhsa_exception_fp_ieee_inexact 0
		.amdhsa_exception_int_div_zero 0
	.end_amdhsa_kernel
	.section	.text._ZN12_GLOBAL__N_139chunk_gated_delta_rule_fwd_h_hip_kernelILi64ELb1ELb0ELb0ELb1ELb0ELb0ELb0ELb0EEEvPK12hip_bfloat16S3_S3_PKfS5_PKvPS1_S8_PvPKiSB_iiiiilll,"axG",@progbits,_ZN12_GLOBAL__N_139chunk_gated_delta_rule_fwd_h_hip_kernelILi64ELb1ELb0ELb0ELb1ELb0ELb0ELb0ELb0EEEvPK12hip_bfloat16S3_S3_PKfS5_PKvPS1_S8_PvPKiSB_iiiiilll,comdat
.Lfunc_end244:
	.size	_ZN12_GLOBAL__N_139chunk_gated_delta_rule_fwd_h_hip_kernelILi64ELb1ELb0ELb0ELb1ELb0ELb0ELb0ELb0EEEvPK12hip_bfloat16S3_S3_PKfS5_PKvPS1_S8_PvPKiSB_iiiiilll, .Lfunc_end244-_ZN12_GLOBAL__N_139chunk_gated_delta_rule_fwd_h_hip_kernelILi64ELb1ELb0ELb0ELb1ELb0ELb0ELb0ELb0EEEvPK12hip_bfloat16S3_S3_PKfS5_PKvPS1_S8_PvPKiSB_iiiiilll
                                        ; -- End function
	.section	.AMDGPU.csdata,"",@progbits
; Kernel info:
; codeLenInByte = 10696
; NumSgprs: 67
; NumVgprs: 178
; NumAgprs: 36
; TotalNumVgprs: 216
; ScratchSize: 0
; MemoryBound: 0
; FloatMode: 240
; IeeeMode: 1
; LDSByteSize: 65536 bytes/workgroup (compile time only)
; SGPRBlocks: 8
; VGPRBlocks: 26
; NumSGPRsForWavesPerEU: 67
; NumVGPRsForWavesPerEU: 216
; AccumOffset: 180
; Occupancy: 1
; WaveLimiterHint : 1
; COMPUTE_PGM_RSRC2:SCRATCH_EN: 0
; COMPUTE_PGM_RSRC2:USER_SGPR: 2
; COMPUTE_PGM_RSRC2:TRAP_HANDLER: 0
; COMPUTE_PGM_RSRC2:TGID_X_EN: 1
; COMPUTE_PGM_RSRC2:TGID_Y_EN: 1
; COMPUTE_PGM_RSRC2:TGID_Z_EN: 0
; COMPUTE_PGM_RSRC2:TIDIG_COMP_CNT: 0
; COMPUTE_PGM_RSRC3_GFX90A:ACCUM_OFFSET: 44
; COMPUTE_PGM_RSRC3_GFX90A:TG_SPLIT: 0
	.section	.text._ZN12_GLOBAL__N_139chunk_gated_delta_rule_fwd_h_hip_kernelILi64ELb0ELb1ELb1ELb1ELb0ELb0ELb0ELb0EEEvPK12hip_bfloat16S3_S3_PKfS5_PKvPS1_S8_PvPKiSB_iiiiilll,"axG",@progbits,_ZN12_GLOBAL__N_139chunk_gated_delta_rule_fwd_h_hip_kernelILi64ELb0ELb1ELb1ELb1ELb0ELb0ELb0ELb0EEEvPK12hip_bfloat16S3_S3_PKfS5_PKvPS1_S8_PvPKiSB_iiiiilll,comdat
	.globl	_ZN12_GLOBAL__N_139chunk_gated_delta_rule_fwd_h_hip_kernelILi64ELb0ELb1ELb1ELb1ELb0ELb0ELb0ELb0EEEvPK12hip_bfloat16S3_S3_PKfS5_PKvPS1_S8_PvPKiSB_iiiiilll ; -- Begin function _ZN12_GLOBAL__N_139chunk_gated_delta_rule_fwd_h_hip_kernelILi64ELb0ELb1ELb1ELb1ELb0ELb0ELb0ELb0EEEvPK12hip_bfloat16S3_S3_PKfS5_PKvPS1_S8_PvPKiSB_iiiiilll
	.p2align	8
	.type	_ZN12_GLOBAL__N_139chunk_gated_delta_rule_fwd_h_hip_kernelILi64ELb0ELb1ELb1ELb1ELb0ELb0ELb0ELb0EEEvPK12hip_bfloat16S3_S3_PKfS5_PKvPS1_S8_PvPKiSB_iiiiilll,@function
_ZN12_GLOBAL__N_139chunk_gated_delta_rule_fwd_h_hip_kernelILi64ELb0ELb1ELb1ELb1ELb0ELb0ELb0ELb0EEEvPK12hip_bfloat16S3_S3_PKfS5_PKvPS1_S8_PvPKiSB_iiiiilll: ; @_ZN12_GLOBAL__N_139chunk_gated_delta_rule_fwd_h_hip_kernelILi64ELb0ELb1ELb1ELb1ELb0ELb0ELb0ELb0EEEvPK12hip_bfloat16S3_S3_PKfS5_PKvPS1_S8_PvPKiSB_iiiiilll
; %bb.0:
	s_load_dwordx4 s[20:23], s[0:1], 0x5c
	s_abs_i32 s27, s3
	s_ashr_i32 s26, s3, 31
	s_load_dwordx2 s[24:25], s[0:1], 0x50
	s_load_dwordx8 s[4:11], s[0:1], 0x30
	s_load_dwordx8 s[12:19], s[0:1], 0x0
	s_waitcnt lgkmcnt(0)
	s_abs_i32 s30, s21
	v_cvt_f32_u32_e32 v1, s30
	s_sub_i32 s28, 0, s30
	s_ashr_i32 s33, s21, 31
	s_xor_b32 s26, s26, s33
	v_rcp_iflag_f32_e32 v1, v1
	v_lshrrev_b32_e32 v74, 6, v0
	v_bfe_u32 v77, v0, 4, 2
	v_lshlrev_b32_e32 v75, 4, v74
	v_mul_f32_e32 v1, 0x4f7ffffe, v1
	v_cvt_u32_f32_e32 v1, v1
	v_lshlrev_b32_e32 v34, 2, v77
	v_and_b32_e32 v76, 63, v0
	v_mov_b32_e32 v5, 0
	v_readfirstlane_b32 s29, v1
	s_mul_i32 s28, s28, s29
	s_mul_hi_u32 s28, s29, s28
	s_add_i32 s29, s29, s28
	s_mul_hi_u32 s28, s27, s29
	s_mul_i32 s29, s28, s30
	s_sub_i32 s27, s27, s29
	s_add_i32 s31, s28, 1
	s_sub_i32 s29, s27, s30
	s_cmp_ge_u32 s27, s30
	s_cselect_b32 s28, s31, s28
	s_cselect_b32 s27, s29, s27
	s_add_i32 s29, s28, 1
	s_cmp_ge_u32 s27, s30
	s_cselect_b32 s27, s29, s28
	s_xor_b32 s27, s27, s26
	s_sub_i32 s34, s27, s26
	s_mul_i32 s26, s34, s21
	s_ashr_i32 s35, s34, 31
	s_sub_i32 s46, s3, s26
	s_lshl_b64 s[26:27], s[34:35], 2
	s_add_u32 s10, s10, s26
	s_addc_u32 s11, s11, s27
	s_add_u32 s28, s24, s26
	s_addc_u32 s29, s25, s27
	s_abs_i32 s3, s22
	v_cvt_f32_u32_e32 v1, s3
	s_load_dwordx2 s[40:41], s[10:11], 0x0
	s_sub_i32 s11, 0, s3
	s_mov_b32 s47, s21
	v_rcp_iflag_f32_e32 v1, v1
	v_and_b32_e32 v78, 15, v0
	s_waitcnt lgkmcnt(0)
	s_sub_i32 s56, s41, s40
	s_ashr_i32 s10, s56, 31
	v_mul_f32_e32 v1, 0x4f7ffffe, v1
	v_cvt_u32_f32_e32 v1, v1
	s_lshr_b32 s10, s10, 26
	s_add_i32 s10, s56, s10
	s_ashr_i32 s51, s10, 6
	v_readfirstlane_b32 s24, v1
	s_mul_i32 s11, s11, s24
	s_mul_hi_u32 s11, s24, s11
	s_add_i32 s24, s24, s11
	s_mul_hi_u32 s11, s30, s24
	s_mul_i32 s24, s11, s3
	s_ashr_i32 s10, s22, 31
	s_sub_i32 s24, s30, s24
	s_xor_b32 s10, s33, s10
	s_add_i32 s25, s11, 1
	s_sub_i32 s26, s24, s3
	s_cmp_ge_u32 s24, s3
	s_cselect_b32 s11, s25, s11
	s_cselect_b32 s24, s26, s24
	s_add_i32 s25, s11, 1
	s_cmp_ge_u32 s24, s3
	s_cselect_b32 s3, s25, s11
	s_xor_b32 s3, s3, s10
	s_sub_i32 s3, s3, s10
	s_abs_i32 s30, s3
	v_cvt_f32_u32_e32 v1, s30
	s_load_dwordx2 s[10:11], s[0:1], 0x80
	s_load_dwordx4 s[24:27], s[0:1], 0x70
	s_load_dword s52, s[28:29], 0x0
	s_xor_b32 s0, s46, s3
	v_rcp_iflag_f32_e32 v1, v1
	s_sub_i32 s3, 0, s30
	s_abs_i32 s1, s46
	s_ashr_i32 s0, s0, 31
	v_mul_f32_e32 v1, 0x4f7ffffe, v1
	v_cvt_u32_f32_e32 v1, v1
	s_mul_hi_i32 s53, s46, s20
	s_mul_i32 s54, s46, s20
	v_lshrrev_b32_e32 v80, 3, v76
	v_readfirstlane_b32 s28, v1
	s_mul_i32 s3, s3, s28
	s_mul_hi_u32 s3, s28, s3
	s_add_i32 s28, s28, s3
	s_mul_hi_u32 s3, s1, s28
	s_mul_i32 s28, s3, s30
	s_sub_i32 s1, s1, s28
	s_add_i32 s28, s3, 1
	s_sub_i32 s29, s1, s30
	s_cmp_ge_u32 s1, s30
	s_cselect_b32 s3, s28, s3
	s_cselect_b32 s1, s29, s1
	s_add_i32 s28, s3, 1
	s_cmp_ge_u32 s1, s30
	s_cselect_b32 s1, s28, s3
	s_xor_b32 s1, s1, s0
	s_sub_i32 s55, s1, s0
	v_or_b32_e32 v1, v34, v75
	s_lshl_b32 s2, s2, 6
	v_or_b32_e32 v81, 64, v1
	s_cmp_lt_i32 s56, 64
	v_lshlrev_b32_e32 v79, 3, v0
	s_waitcnt lgkmcnt(0)
	s_mul_i32 s48, s34, s25
	s_mul_hi_u32 s49, s34, s24
	s_mul_i32 s50, s35, s24
	s_mul_i32 s24, s34, s24
	v_mov_b32_e32 v4, v5
	v_mov_b32_e32 v3, v5
	;; [unrolled: 1-line block ×31, first 2 shown]
	s_cbranch_scc1 .LBB245_18
; %bb.1:
	s_ashr_i32 s58, s46, 31
	s_ashr_i32 s1, s40, 31
	s_add_u32 s0, s54, s40
	s_addc_u32 s1, s53, s1
	s_lshl_b64 s[0:1], s[0:1], 8
	v_and_b32_e32 v83, 56, v79
	s_add_u32 s28, s14, s0
	v_lshl_or_b32 v82, v74, 3, v80
	v_lshlrev_b32_e32 v2, 1, v83
	s_addc_u32 s0, s15, s1
	v_lshl_or_b32 v84, v82, 8, v2
	s_and_b32 s29, s0, 0xffff
	s_mov_b32 s31, 0x20000
	s_movk_i32 s30, 0x4000
	s_movk_i32 s0, 0x80
	v_or_b32_e32 v85, 0x2000, v84
	buffer_load_dwordx4 v[4:7], v84, s[28:31], 0 offen
	buffer_load_dwordx4 v[8:11], v84, s[28:31], s0 offen
	;; [unrolled: 1-line block ×4, first 2 shown]
	v_lshlrev_b32_e32 v3, 3, v82
	v_and_or_b32 v21, v0, 7, v3
	v_and_b32_e32 v3, 0x78, v3
	v_lshlrev_b32_e32 v21, 4, v21
	v_xor_b32_e32 v86, v21, v3
	v_mul_lo_u32 v20, v82, s23
	v_or_b32_e32 v87, 0x1000, v86
	v_xor_b32_e32 v3, 8, v86
	s_cmpk_eq_i32 s23, 0x80
	s_mov_b32 s57, s40
	v_xor_b32_e32 v21, 8, v87
	s_cselect_b64 s[0:1], -1, 0
	s_cmpk_lg_i32 s23, 0x80
	s_waitcnt vmcnt(3)
	ds_write_b64 v86, v[4:5] offset:49152
	ds_write_b64 v3, v[6:7] offset:49152
	s_waitcnt vmcnt(2)
	ds_write_b64 v86, v[8:9] offset:57344
	ds_write_b64 v3, v[10:11] offset:57344
	;; [unrolled: 3-line block ×4, first 2 shown]
	v_lshl_add_u32 v3, v20, 1, v83
	s_cbranch_scc0 .LBB245_3
; %bb.2:
	v_lshlrev_b32_e32 v5, 1, v3
	v_add_lshl_u32 v4, v3, s23, 1
	s_lshl_b32 s30, s23, 7
	v_lshl_or_b32 v2, v82, 9, v2
	s_cbranch_execz .LBB245_4
	s_branch .LBB245_5
.LBB245_3:
                                        ; implicit-def: $vgpr4
                                        ; implicit-def: $vgpr5
                                        ; implicit-def: $sgpr30
	v_lshl_or_b32 v2, v82, 9, v2
.LBB245_4:
	v_or_b32_e32 v4, 0x100, v2
	s_movk_i32 s30, 0x4000
	v_mov_b32_e32 v5, v2
.LBB245_5:
	s_mul_i32 s25, s40, s22
	s_ashr_i32 s59, s55, 31
	s_mul_hi_i32 s3, s40, s22
	s_add_u32 s28, s25, s55
	s_addc_u32 s29, s3, s59
	s_lshl_b64 s[28:29], s[28:29], 8
	s_add_u32 s28, s12, s28
	s_addc_u32 s3, s13, s29
	s_and_b32 s29, s3, 0xffff
	s_movk_i32 s60, 0x80
	buffer_load_dwordx4 v[6:9], v5, s[28:31], 0 offen
	buffer_load_dwordx4 v[10:13], v5, s[28:31], s60 offen
	;; [unrolled: 1-line block ×4, first 2 shown]
	v_and_b32_e32 v5, 6, v0
	v_lshlrev_b32_e32 v4, 7, v1
	v_xor_b32_e32 v27, v82, v5
	v_and_b32_e32 v22, 1, v0
	v_lshl_or_b32 v30, v78, 3, v4
	v_lshlrev_b32_e32 v27, 2, v27
	v_lshlrev_b32_e32 v23, 2, v78
	v_or_b32_e32 v88, 0x4000, v30
	v_or_b32_e32 v89, 0x6000, v30
	v_xor_b32_e32 v30, 0x440, v27
	v_cmp_eq_u32_e32 vcc, 0, v22
	v_or_b32_e32 v25, 16, v78
	v_or_b32_e32 v26, 32, v78
	v_xor_b32_e32 v28, v1, v23
	v_xor_b32_e32 v29, v81, v23
	v_cndmask_b32_e32 v22, v30, v27, vcc
	s_add_i32 s3, s49, s48
	s_mov_b32 s61, 0x1000504
	v_lshl_or_b32 v31, v25, 3, v4
	v_lshlrev_b32_e32 v25, 8, v25
	v_lshl_or_b32 v32, v26, 3, v4
	v_lshlrev_b32_e32 v28, 1, v28
	v_lshlrev_b32_e32 v29, 1, v29
	v_lshl_or_b32 v5, v5, 10, v22
	s_add_i32 s25, s3, s50
	s_mul_i32 s3, s46, s27
	s_mul_hi_u32 s28, s46, s26
	s_mov_b32 s62, 0x3020706
	v_lshlrev_b32_e32 v24, 8, v78
	v_or_b32_e32 v92, 0x4000, v32
	v_or_b32_e32 v93, 0x6000, v32
	;; [unrolled: 1-line block ×4, first 2 shown]
	v_xor_b32_e32 v22, 8, v5
	v_xor_b32_e32 v25, 24, v5
	;; [unrolled: 1-line block ×4, first 2 shown]
	s_add_i32 s3, s28, s3
	s_mul_i32 s28, s58, s26
	v_or_b32_e32 v90, 0x4000, v31
	v_or_b32_e32 v91, 0x6000, v31
	v_or_b32_e32 v94, v24, v28
	v_or_b32_e32 v95, v24, v29
	v_xor_b32_e32 v24, 16, v5
	v_xor_b32_e32 v27, 32, v5
	;; [unrolled: 1-line block ×3, first 2 shown]
	v_add_u32_e32 v22, 0x80, v22
	v_add_u32_e32 v25, 0x80, v25
	;; [unrolled: 1-line block ×4, first 2 shown]
	s_add_i32 s29, s3, s28
	s_lshl_b64 s[36:37], s[24:25], 2
	s_mul_i32 s28, s46, s26
	s_add_u32 s3, s18, s36
	s_addc_u32 s25, s19, s37
	s_lshl_b64 s[28:29], s[28:29], 2
	s_add_u32 s42, s3, s28
	s_movk_i32 s3, 0xf8
	s_addc_u32 s43, s25, s29
	s_lshl_b32 s38, s23, 7
	s_movk_i32 s25, 0x100
	v_mov_b32_e32 v67, 0
	v_lshlrev_b32_e32 v66, 4, v78
	v_cmp_gt_u32_e32 vcc, s25, v0
	v_lshlrev_b32_e32 v26, 8, v26
	s_mov_b32 s63, 0
	s_movk_i32 s30, 0x4000
	v_or_b32_e32 v98, v26, v28
	v_or_b32_e32 v99, v26, v29
	v_add_u32_e32 v128, v75, v34
	s_movk_i32 s25, 0x2000
	s_movk_i32 s64, 0x3000
	v_mov_b32_e32 v133, 0x3fb8aa3b
	v_mov_b32_e32 v26, v67
	s_waitcnt vmcnt(1)
	v_perm_b32 v33, v6, v14, s61
	s_waitcnt vmcnt(0)
	v_perm_b32 v35, v10, v18, s61
	v_perm_b32 v6, v6, v14, s62
	;; [unrolled: 1-line block ×15, first 2 shown]
	ds_write2st64_b32 v5, v33, v35 offset0:128 offset1:160
	ds_write2st64_b32 v22, v6, v10 offset0:128 offset1:160
	;; [unrolled: 1-line block ×8, first 2 shown]
	v_or_b32_e32 v5, 48, v78
	v_lshl_or_b32 v6, v5, 3, v4
	v_lshlrev_b32_e32 v5, 8, v5
	v_or_b32_e32 v102, v5, v28
	v_or_b32_e32 v103, v5, v29
	;; [unrolled: 1-line block ×3, first 2 shown]
	v_lshlrev_b32_e32 v5, 3, v5
	v_lshrrev_b32_e32 v7, 5, v76
	v_and_or_b32 v7, v5, s3, v7
	v_lshlrev_b32_e32 v7, 4, v7
	v_lshlrev_b32_e32 v10, 11, v74
	v_and_b32_e32 v5, 0x78, v5
	v_or_b32_e32 v13, 32, v7
	v_or_b32_e32 v100, 0x4000, v6
	v_or_b32_e32 v101, 0x6000, v6
	v_and_b32_e32 v6, 0x1000, v10
	v_xor_b32_e32 v8, v7, v5
	v_lshrrev_b32_e32 v11, 1, v0
	v_xor_b32_e32 v13, v13, v5
	v_or_b32_e32 v8, v8, v6
	v_and_b32_e32 v9, 8, v11
	v_lshlrev_b32_e32 v12, 8, v77
	v_or_b32_e32 v13, v13, v6
	v_xor_b32_e32 v104, v8, v9
	v_or_b32_e32 v8, v12, v23
	v_xor_b32_e32 v106, v13, v9
	v_or_b32_e32 v13, 64, v7
	v_or_b32_e32 v7, 0x60, v7
	s_ashr_i32 s3, s2, 31
	v_lshlrev_b32_e32 v8, 1, v8
	v_xor_b32_e32 v13, v13, v5
	v_xor_b32_e32 v5, v7, v5
	s_lshl_b64 s[28:29], s[2:3], 8
	v_or_b32_e32 v105, 0x4000, v8
	v_or_b32_e32 v107, 0x4080, v8
	;; [unrolled: 1-line block ×10, first 2 shown]
	s_add_u32 s28, s4, s28
	v_lshlrev_b32_e32 v8, 1, v78
	v_xor_b32_e32 v110, v13, v9
	v_xor_b32_e32 v111, v5, v9
	v_lshrrev_b32_e32 v14, 4, v0
	s_addc_u32 s29, s5, s29
	v_or_b32_e32 v9, 1, v8
	v_mov_b32_e32 v18, 0xa000
	v_mov_b32_e32 v19, 0x8000
	v_xor_b32_e32 v15, v14, v8
	v_xor_b32_e32 v16, v9, v14
	v_lshl_add_u64 v[8:9], s[28:29], 0, v[66:67]
	v_lshlrev_b32_e32 v66, 8, v14
	v_cndmask_b32_e32 v18, v18, v19, vcc
	v_lshlrev_b32_e32 v19, 3, v74
	v_and_b32_e32 v11, 24, v11
	v_lshl_or_b32 v116, v15, 3, v66
	v_and_b32_e32 v15, 8, v0
	v_xor_b32_e32 v20, v19, v11
	v_or_b32_e32 v21, 0x440, v20
	v_cmp_eq_u32_e32 vcc, 0, v15
	v_and_b32_e32 v14, 7, v0
	v_lshl_or_b32 v117, v16, 3, v66
	v_cndmask_b32_e32 v15, v21, v20, vcc
	v_lshlrev_b32_e32 v16, 3, v14
	v_lshlrev_b32_e32 v14, 7, v14
	v_or_b32_e32 v15, v15, v10
	v_lshlrev_b32_e32 v17, 2, v0
	v_xad_u32 v118, v15, v16, v14
	v_or_b32_e32 v15, 32, v11
	v_and_or_b32 v12, v17, 60, v12
	v_xor_b32_e32 v15, v19, v15
	v_lshlrev_b32_e32 v12, 1, v12
	v_or_b32_e32 v17, 0x440, v15
	v_or_b32_e32 v119, 0x6000, v12
	v_cndmask_b32_e32 v15, v17, v15, vcc
	v_or_b32_e32 v121, 0x6080, v12
	v_or_b32_e32 v122, 0x6100, v12
	;; [unrolled: 1-line block ×5, first 2 shown]
	v_xor_b32_e32 v12, v19, v12
	v_xad_u32 v120, v15, v16, v14
	v_xor_b32_e32 v15, 0x440, v12
	v_cndmask_b32_e32 v12, v15, v12, vcc
	v_or_b32_e32 v11, 0x60, v11
	v_or_b32_e32 v12, v12, v10
	v_xor_b32_e32 v11, v19, v11
	v_xad_u32 v124, v12, v16, v14
	v_xor_b32_e32 v12, 0x440, v11
	v_or_b32_e32 v6, s2, v78
	v_cndmask_b32_e32 v11, v12, v11, vcc
	v_ashrrev_i32_e32 v7, 31, v6
	v_lshlrev_b32_e32 v5, 1, v3
	v_add_lshl_u32 v3, v3, s23, 1
	v_or_b32_e32 v13, 0x100, v2
	v_or_b32_e32 v10, v11, v10
	v_xad_u32 v125, v10, v16, v14
	v_cndmask_b32_e64 v126, v5, v2, s[0:1]
	v_cndmask_b32_e64 v127, v3, v13, s[0:1]
	v_lshlrev_b64 v[2:3], 1, v[6:7]
	v_lshl_add_u64 v[68:69], s[16:17], 0, v[2:3]
	v_lshl_add_u64 v[70:71], s[6:7], 0, v[2:3]
	v_lshl_add_u64 v[72:73], v[8:9], 0, v[66:67]
	s_mov_b32 s3, 0x7060302
	v_lshlrev_b32_e32 v66, 1, v4
	v_add_u32_e32 v129, v18, v118
	v_add_u32_e32 v130, v18, v120
	;; [unrolled: 1-line block ×4, first 2 shown]
	v_mov_b32_e32 v27, v67
	v_mov_b32_e32 v28, v67
	;; [unrolled: 1-line block ×31, first 2 shown]
	s_waitcnt lgkmcnt(0)
	s_barrier
.LBB245_6:                              ; =>This Inner Loop Header: Depth=1
	s_add_i32 s65, s63, 1
	s_cmp_lt_i32 s65, s51
	s_mov_b64 s[36:37], 0
	s_cselect_b64 s[44:45], -1, 0
	s_cmp_ge_i32 s65, s51
	s_mov_b64 s[28:29], 0
	s_cbranch_scc1 .LBB245_8
; %bb.7:                                ;   in Loop: Header=BB245_6 Depth=1
	s_add_i32 s0, s57, 64
	s_ashr_i32 s1, s0, 31
	s_add_u32 s0, s54, s0
	s_addc_u32 s1, s53, s1
	s_lshl_b64 s[0:1], s[0:1], 8
	s_add_u32 s28, s14, s0
	s_addc_u32 s29, s15, s1
.LBB245_8:                              ;   in Loop: Header=BB245_6 Depth=1
	v_cndmask_b32_e64 v34, 0, 1, s[44:45]
	v_cmp_ne_u32_e64 s[0:1], 1, v34
	s_andn2_b64 vcc, exec, s[44:45]
	s_cbranch_vccnz .LBB245_10
; %bb.9:                                ;   in Loop: Header=BB245_6 Depth=1
	s_add_i32 s36, s57, 64
	s_mul_hi_i32 s37, s36, s22
	s_mul_i32 s36, s36, s22
	s_add_u32 s36, s36, s55
	s_addc_u32 s37, s37, s59
	s_lshl_b64 s[36:37], s[36:37], 8
	s_add_u32 s36, s12, s36
	s_addc_u32 s37, s13, s37
.LBB245_10:                             ;   in Loop: Header=BB245_6 Depth=1
	v_perm_b32 v35, v33, v32, s3
	v_perm_b32 v34, v31, v30, s3
	v_perm_b32 v37, v29, v28, s3
	v_perm_b32 v36, v27, v26, s3
	ds_write_b64 v88, v[34:35]
	ds_write_b64 v89, v[36:37]
	ds_write_b64 v94, v[34:35]
	ds_write_b64 v95, v[36:37]
	v_perm_b32 v35, v25, v24, s3
	v_perm_b32 v34, v23, v22, s3
	v_perm_b32 v37, v21, v20, s3
	v_perm_b32 v36, v19, v18, s3
	ds_write_b64 v90, v[34:35]
	ds_write_b64 v91, v[36:37]
	ds_write_b64 v96, v[34:35]
	ds_write_b64 v97, v[36:37]
	v_perm_b32 v35, v17, v16, s3
	v_perm_b32 v34, v15, v14, s3
	v_perm_b32 v37, v13, v12, s3
	v_perm_b32 v36, v11, v10, s3
	ds_write_b64 v92, v[34:35]
	ds_write_b64 v93, v[36:37]
	ds_write_b64 v98, v[34:35]
	ds_write_b64 v99, v[36:37]
	v_perm_b32 v35, v5, v4, s3
	v_perm_b32 v34, v3, v2, s3
	v_perm_b32 v37, v9, v8, s3
	v_perm_b32 v36, v7, v6, s3
	ds_write_b64 v100, v[34:35]
	ds_write_b64 v101, v[36:37]
	ds_write_b64 v102, v[34:35]
	ds_write_b64 v103, v[36:37]
	s_waitcnt lgkmcnt(0)
	s_barrier
	ds_read_b64 v[38:39], v104 offset:49152
	ds_read2_b64 v[34:37], v105 offset1:16
	ds_read_b64 v[50:51], v107 offset:6144
	ds_read_b64 v[52:53], v105 offset:6144
	s_waitcnt lgkmcnt(2)
	v_mfma_f32_16x16x16_bf16 a[0:3], v[38:39], v[34:35], 0
	ds_read_b64 v[54:55], v106 offset:49152
	ds_read2st64_b64 v[42:45], v108 offset0:4 offset1:8
	ds_read2st64_b64 v[46:49], v109 offset0:4 offset1:8
	v_mfma_f32_16x16x16_bf16 a[4:7], v[38:39], v[36:37], 0
	ds_read2_b64 v[34:37], v105 offset0:32 offset1:48
	s_add_i32 s39, s57, 63
	s_ashr_i32 s44, s39, 31
	s_waitcnt lgkmcnt(0)
	v_mfma_f32_16x16x16_bf16 a[8:11], v[38:39], v[34:35], 0
	s_mul_i32 s45, s39, s11
	s_mul_hi_u32 s66, s39, s10
	s_add_i32 s45, s66, s45
	v_mfma_f32_16x16x16_bf16 a[12:15], v[38:39], v[36:37], 0
	ds_read2st64_b64 v[34:37], v105 offset0:4 offset1:8
	ds_read2st64_b64 v[38:41], v107 offset0:4 offset1:8
	s_mul_i32 s44, s44, s10
	s_waitcnt lgkmcnt(1)
	v_mfma_f32_16x16x16_bf16 a[0:3], v[54:55], v[34:35], a[0:3]
	s_add_i32 s45, s45, s44
	s_mul_i32 s44, s39, s10
	s_lshl_b64 s[44:45], s[44:45], 2
	s_waitcnt lgkmcnt(0)
	v_mfma_f32_16x16x16_bf16 a[4:7], v[54:55], v[38:39], a[4:7]
	s_add_u32 s44, s42, s44
	s_addc_u32 s45, s43, s45
	s_and_b64 vcc, exec, s[0:1]
	v_mfma_f32_16x16x16_bf16 a[8:11], v[54:55], v[42:43], a[8:11]
	ds_read_b64 v[34:35], v110 offset:49152
	ds_read_b64 v[38:39], v111 offset:49152
	;; [unrolled: 1-line block ×3, first 2 shown]
	v_mov_b32_e32 v136, 0
	v_mov_b32_e32 v135, 0
	v_mfma_f32_16x16x16_bf16 a[12:15], v[54:55], v[46:47], a[12:15]
	v_mov_b32_e32 v134, 0
	v_mov_b32_e32 v46, 0
	;; [unrolled: 1-line block ×3, first 2 shown]
	s_waitcnt lgkmcnt(2)
	v_mfma_f32_16x16x16_bf16 a[0:3], v[34:35], v[36:37], a[0:3]
	v_mov_b32_e32 v36, 0
	v_mov_b32_e32 v37, 0
	v_mfma_f32_16x16x16_bf16 a[4:7], v[34:35], v[40:41], a[4:7]
	v_mov_b32_e32 v40, 0
	v_mov_b32_e32 v41, 0
	;; [unrolled: 3-line block ×3, first 2 shown]
	v_mfma_f32_16x16x16_bf16 a[12:15], v[34:35], v[48:49], a[12:15]
	ds_read_b64 v[34:35], v108 offset:6144
	v_mov_b32_e32 v48, 0
	v_mov_b32_e32 v49, 0
	s_waitcnt lgkmcnt(2)
	v_mfma_f32_16x16x16_bf16 a[0:3], v[38:39], v[52:53], a[0:3]
	v_mfma_f32_16x16x16_bf16 a[4:7], v[38:39], v[50:51], a[4:7]
	s_waitcnt lgkmcnt(0)
	v_mfma_f32_16x16x16_bf16 a[8:11], v[38:39], v[34:35], a[8:11]
	v_mov_b32_e32 v34, 0
	v_mov_b32_e32 v35, 0
	v_mfma_f32_16x16x16_bf16 a[12:15], v[38:39], v[42:43], a[12:15]
	v_mov_b32_e32 v38, 0
	v_mov_b32_e32 v39, 0
	;; [unrolled: 1-line block ×4, first 2 shown]
	s_cbranch_vccnz .LBB245_12
; %bb.11:                               ;   in Loop: Header=BB245_6 Depth=1
	s_and_b32 s29, s29, 0xffff
	buffer_load_dwordx4 v[46:49], v84, s[28:31], 0 offen
	buffer_load_dwordx4 v[42:45], v84, s[28:31], s60 offen
	;; [unrolled: 1-line block ×4, first 2 shown]
	v_mov_b32_e32 v135, v86
	v_mov_b32_e32 v134, v87
.LBB245_12:                             ;   in Loop: Header=BB245_6 Depth=1
	ds_read_b64 v[142:143], v104 offset:57344
	ds_read2_b64 v[50:53], v112 offset1:16
	ds_read_b64 v[144:145], v106 offset:57344
	ds_read_b64 v[146:147], v110 offset:57344
	;; [unrolled: 1-line block ×3, first 2 shown]
	v_add_u32_e32 v137, s57, v128
	s_waitcnt lgkmcnt(3)
	v_mfma_f32_16x16x16_bf16 a[0:3], v[142:143], v[50:51], a[0:3]
	v_mfma_f32_16x16x16_bf16 a[4:7], v[142:143], v[52:53], a[4:7]
	ds_read2_b64 v[50:53], v112 offset0:32 offset1:48
	ds_read2st64_b64 v[54:57], v112 offset0:4 offset1:8
	ds_read2st64_b64 v[58:61], v113 offset0:4 offset1:8
	;; [unrolled: 1-line block ×4, first 2 shown]
	s_waitcnt lgkmcnt(4)
	v_mfma_f32_16x16x16_bf16 a[8:11], v[142:143], v[50:51], a[8:11]
	v_ashrrev_i32_e32 v50, 31, v137
	v_mfma_f32_16x16x16_bf16 a[12:15], v[142:143], v[52:53], a[12:15]
	v_mul_lo_u32 v52, v50, s10
	v_mul_lo_u32 v53, v137, s11
	v_mad_u64_u32 v[50:51], s[28:29], v137, s10, 0
	v_add3_u32 v51, v51, v53, v52
	v_add_u32_e32 v52, 1, v137
	v_ashrrev_i32_e32 v53, 31, v52
	s_waitcnt lgkmcnt(3)
	v_mfma_f32_16x16x16_bf16 a[0:3], v[144:145], v[54:55], a[0:3]
	v_mul_lo_u32 v54, v53, s10
	v_mul_lo_u32 v55, v52, s11
	v_mad_u64_u32 v[52:53], s[28:29], v52, s10, 0
	v_add3_u32 v53, v53, v55, v54
	v_add_u32_e32 v54, 2, v137
	v_ashrrev_i32_e32 v55, 31, v54
	s_waitcnt lgkmcnt(2)
	v_mfma_f32_16x16x16_bf16 a[4:7], v[144:145], v[58:59], a[4:7]
	v_mul_lo_u32 v58, v55, s10
	v_mul_lo_u32 v59, v54, s11
	v_mad_u64_u32 v[54:55], s[28:29], v54, s10, 0
	v_lshl_add_u64 v[50:51], v[50:51], 2, s[42:43]
	v_lshl_add_u64 v[52:53], v[52:53], 2, s[42:43]
	v_add3_u32 v55, v55, v59, v58
	v_add_u32_e32 v58, 3, v137
	s_waitcnt lgkmcnt(1)
	v_mfma_f32_16x16x16_bf16 a[8:11], v[144:145], v[62:63], a[8:11]
	global_load_dword v63, v[50:51], off
	global_load_dword v137, v[52:53], off
	v_mad_u64_u32 v[50:51], s[28:29], v58, s10, 0
	v_ashrrev_i32_e32 v59, 31, v58
	s_ashr_i32 s29, s57, 31
	v_mul_lo_u32 v59, v59, s10
	v_mul_lo_u32 v62, v58, s11
	s_add_u32 s28, s54, s57
	v_lshl_add_u64 v[54:55], v[54:55], 2, s[42:43]
	v_add3_u32 v51, v51, v62, v59
	s_addc_u32 s29, s53, s29
	s_waitcnt lgkmcnt(0)
	v_mfma_f32_16x16x16_bf16 a[12:15], v[144:145], v[138:139], a[12:15]
	v_lshl_add_u64 v[50:51], v[50:51], 2, s[42:43]
	global_load_dword v62, v[54:55], off
	global_load_dword v138, v[50:51], off
	s_lshl_b64 s[28:29], s[28:29], 8
	v_lshl_add_u64 v[50:51], v[68:69], 0, s[28:29]
	v_lshl_add_u64 v[50:51], v[50:51], 0, v[66:67]
	global_load_ushort v139, v[50:51], off offset:256
	global_load_ushort v142, v[50:51], off
	global_load_ushort v143, v[50:51], off offset:768
	global_load_ushort v144, v[50:51], off offset:512
	;; [unrolled: 1-line block ×6, first 2 shown]
	s_load_dword s44, s[44:45], 0x0
	v_mfma_f32_16x16x16_bf16 a[12:15], v[146:147], v[140:141], a[12:15]
	global_load_ushort v140, v[50:51], off offset:320
	global_load_ushort v141, v[50:51], off offset:64
	s_and_b64 vcc, exec, s[0:1]
	v_mfma_f32_16x16x16_bf16 a[0:3], v[146:147], v[56:57], a[0:3]
	ds_read_b64 v[52:53], v112 offset:6144
	ds_read_b64 v[54:55], v113 offset:6144
	;; [unrolled: 1-line block ×4, first 2 shown]
	v_mfma_f32_16x16x16_bf16 a[4:7], v[146:147], v[60:61], a[4:7]
	s_waitcnt vmcnt(11) lgkmcnt(0)
	v_sub_f32_e32 v60, s44, v62
	v_mfma_f32_16x16x16_bf16 a[8:11], v[146:147], v[64:65], a[8:11]
	global_load_ushort v146, v[50:51], off offset:832
	global_load_ushort v147, v[50:51], off offset:576
	;; [unrolled: 1-line block ×6, first 2 shown]
	v_mfma_f32_16x16x16_bf16 a[0:3], v[148:149], v[52:53], a[0:3]
	s_waitcnt vmcnt(16)
	v_sub_f32_e32 v61, s44, v138
	v_mul_f32_e32 v60, 0x3fb8aa3b, v60
	v_mul_f32_e32 v61, 0x3fb8aa3b, v61
	v_exp_f32_e32 v60, v60
	v_exp_f32_e32 v61, v61
	s_waitcnt vmcnt(15)
	v_lshlrev_b32_e32 v65, 16, v139
	s_waitcnt vmcnt(14)
	v_lshlrev_b32_e32 v64, 16, v142
	v_accvgpr_read_b32 v53, a3
	v_accvgpr_read_b32 v52, a2
	v_mfma_f32_16x16x16_bf16 a[2:5], v[148:149], v[54:55], a[4:7]
	v_accvgpr_read_b32 v139, a1
	v_accvgpr_read_b32 v138, a0
	v_pk_add_f32 v[64:65], v[64:65], v[138:139] neg_lo:[0,1] neg_hi:[0,1]
	v_mfma_f32_16x16x16_bf16 a[6:9], v[148:149], v[56:57], a[8:11]
	s_waitcnt vmcnt(13)
	v_lshlrev_b32_e32 v139, 16, v143
	s_waitcnt vmcnt(12)
	v_lshlrev_b32_e32 v138, 16, v144
	v_pk_add_f32 v[52:53], v[138:139], v[52:53] neg_lo:[0,1] neg_hi:[0,1]
	v_accvgpr_read_b32 v139, a3
	v_accvgpr_read_b32 v138, a2
	;; [unrolled: 1-line block ×6, first 2 shown]
	v_mfma_f32_16x16x16_bf16 a[8:11], v[148:149], v[58:59], a[12:15]
	v_sub_f32_e32 v58, s44, v63
	v_sub_f32_e32 v59, s44, v137
	v_mul_f32_e32 v58, 0x3fb8aa3b, v58
	v_mul_f32_e32 v59, 0x3fb8aa3b, v59
	v_exp_f32_e32 v58, v58
	v_exp_f32_e32 v59, v59
	v_lshl_add_u64 v[62:63], v[70:71], 0, s[28:29]
	v_lshl_add_u64 v[62:63], v[62:63], 0, v[66:67]
	global_store_short_d16_hi v[62:63], v64, off
	global_store_short_d16_hi v[62:63], v65, off offset:256
	global_store_short_d16_hi v[62:63], v52, off offset:512
	;; [unrolled: 1-line block ×3, first 2 shown]
	v_pk_mul_f32 v[64:65], v[58:59], v[64:65]
	v_pk_mul_f32 v[52:53], v[60:61], v[52:53]
	v_accvgpr_read_b32 v57, a11
	v_perm_b32 v53, v53, v52, s3
	v_perm_b32 v52, v65, v64, s3
	s_waitcnt vmcnt(15)
	v_lshlrev_b32_e32 v65, 16, v145
	s_waitcnt vmcnt(14)
	v_lshlrev_b32_e32 v64, 16, v150
	v_pk_add_f32 v[64:65], v[64:65], v[138:139] neg_lo:[0,1] neg_hi:[0,1]
	s_waitcnt vmcnt(13)
	v_lshlrev_b32_e32 v139, 16, v151
	s_waitcnt vmcnt(12)
	v_lshlrev_b32_e32 v138, 16, v152
	v_pk_add_f32 v[54:55], v[138:139], v[54:55] neg_lo:[0,1] neg_hi:[0,1]
	global_store_short_d16_hi v[62:63], v64, off offset:32
	global_store_short_d16_hi v[62:63], v65, off offset:288
	;; [unrolled: 1-line block ×4, first 2 shown]
	v_pk_mul_f32 v[64:65], v[58:59], v[64:65]
	v_pk_mul_f32 v[54:55], v[60:61], v[54:55]
	v_accvgpr_read_b32 v56, a10
	v_perm_b32 v55, v55, v54, s3
	v_perm_b32 v54, v65, v64, s3
	ds_write2_b64 v89, v[52:53], v[54:55] offset1:16
	v_accvgpr_read_b32 v55, a7
	s_waitcnt vmcnt(15)
	v_lshlrev_b32_e32 v53, 16, v140
	s_waitcnt vmcnt(14)
	v_lshlrev_b32_e32 v52, 16, v141
	v_accvgpr_read_b32 v54, a6
	v_pk_add_f32 v[52:53], v[52:53], v[54:55] neg_lo:[0,1] neg_hi:[0,1]
	global_store_short_d16_hi v[62:63], v52, off offset:64
	global_store_short_d16_hi v[62:63], v53, off offset:320
	v_pk_mul_f32 v[52:53], v[58:59], v[52:53]
	v_mov_b32_e32 v137, 0
	v_perm_b32 v52, v53, v52, s3
	v_mov_b32_e32 v64, 0
	v_mov_b32_e32 v65, 0
	s_waitcnt vmcnt(15)
	v_lshlrev_b32_e32 v55, 16, v146
	s_waitcnt vmcnt(14)
	v_lshlrev_b32_e32 v54, 16, v147
	v_pk_add_f32 v[50:51], v[54:55], v[50:51] neg_lo:[0,1] neg_hi:[0,1]
	global_store_short_d16_hi v[62:63], v50, off offset:576
	global_store_short_d16_hi v[62:63], v51, off offset:832
	v_pk_mul_f32 v[50:51], v[60:61], v[50:51]
	v_accvgpr_read_b32 v55, a9
	v_perm_b32 v53, v51, v50, s3
	s_waitcnt vmcnt(15)
	v_lshlrev_b32_e32 v51, 16, v153
	s_waitcnt vmcnt(14)
	v_lshlrev_b32_e32 v50, 16, v154
	v_accvgpr_read_b32 v54, a8
	v_pk_add_f32 v[50:51], v[50:51], v[54:55] neg_lo:[0,1] neg_hi:[0,1]
	s_waitcnt vmcnt(13)
	v_lshlrev_b32_e32 v55, 16, v155
	s_waitcnt vmcnt(12)
	v_lshlrev_b32_e32 v54, 16, v156
	v_pk_add_f32 v[54:55], v[54:55], v[56:57] neg_lo:[0,1] neg_hi:[0,1]
	global_store_short_d16_hi v[62:63], v50, off offset:96
	global_store_short_d16_hi v[62:63], v51, off offset:352
	global_store_short_d16_hi v[62:63], v54, off offset:608
	global_store_short_d16_hi v[62:63], v55, off offset:864
	v_pk_mul_f32 v[50:51], v[58:59], v[50:51]
	v_pk_mul_f32 v[54:55], v[60:61], v[54:55]
	v_mov_b32_e32 v56, 0
	v_perm_b32 v55, v55, v54, s3
	v_perm_b32 v54, v51, v50, s3
	ds_write2_b64 v89, v[52:53], v[54:55] offset0:32 offset1:48
	v_mov_b32_e32 v50, 0
	v_mov_b32_e32 v51, 0
	;; [unrolled: 1-line block ×13, first 2 shown]
	s_cbranch_vccnz .LBB245_14
; %bb.13:                               ;   in Loop: Header=BB245_6 Depth=1
	s_and_b32 s37, s37, 0xffff
	s_mov_b32 s39, s31
	buffer_load_dwordx4 v[62:65], v126, s[36:39], 0 offen
	buffer_load_dwordx4 v[54:57], v126, s[36:39], s60 offen
	;; [unrolled: 1-line block ×4, first 2 shown]
	v_mov_b32_e32 v136, v83
	v_mov_b32_e32 v137, v82
.LBB245_14:                             ;   in Loop: Header=BB245_6 Depth=1
	s_waitcnt lgkmcnt(0)
	s_barrier
	ds_read_b64 v[146:147], v129
	ds_read2_b64 v[138:141], v119 offset1:16
	ds_read_b64 v[162:163], v130
	ds_read_b64 v[164:165], v131
	;; [unrolled: 1-line block ×3, first 2 shown]
	ds_read2_b64 v[142:145], v119 offset0:32 offset1:48
	s_waitcnt lgkmcnt(4)
	v_mfma_f32_16x16x16_bf16 a[0:3], v[146:147], v[138:139], 0
	ds_read2st64_b64 v[150:153], v121 offset0:4 offset1:8
	ds_read2st64_b64 v[154:157], v122 offset0:4 offset1:8
	;; [unrolled: 1-line block ×3, first 2 shown]
	v_mfma_f32_16x16x16_bf16 a[4:7], v[146:147], v[140:141], 0
	s_add_i32 s28, s52, s63
	s_mul_hi_i32 s29, s28, s47
	s_mul_i32 s28, s28, s47
	s_waitcnt lgkmcnt(3)
	v_mfma_f32_16x16x16_bf16 a[8:11], v[146:147], v[142:143], 0
	s_add_u32 s28, s28, s46
	s_addc_u32 s29, s29, s58
	s_lshl_b64 s[28:29], s[28:29], 15
	v_mfma_f32_16x16x16_bf16 a[12:15], v[146:147], v[144:145], 0
	ds_read2st64_b64 v[146:149], v119 offset0:4 offset1:8
	s_waitcnt lgkmcnt(0)
	v_mfma_f32_16x16x16_bf16 a[0:3], v[162:163], v[146:147], a[0:3]
	v_mfma_f32_16x16x16_bf16 a[4:7], v[162:163], v[150:151], a[4:7]
	;; [unrolled: 1-line block ×8, first 2 shown]
	ds_read_b64 v[162:163], v119 offset:6144
	ds_read_b64 v[164:165], v120 offset:40960
	;; [unrolled: 1-line block ×8, first 2 shown]
	s_waitcnt lgkmcnt(5)
	v_mfma_f32_16x16x16_bf16 a[16:19], v[168:169], v[138:139], 0
	v_mfma_f32_16x16x16_bf16 a[20:23], v[168:169], v[140:141], 0
	ds_read2st64_b64 v[138:141], v116 offset1:8
	v_mfma_f32_16x16x16_bf16 a[24:27], v[168:169], v[142:143], 0
	v_mfma_f32_16x16x16_bf16 a[28:31], v[168:169], v[144:145], 0
	ds_read2st64_b64 v[142:145], v117 offset1:8
	v_mfma_f32_16x16x16_bf16 a[16:19], v[164:165], v[146:147], a[16:19]
	s_waitcnt lgkmcnt(1)
	v_mov_b32_e32 v146, v138
	v_mov_b32_e32 v147, v139
	v_mfma_f32_16x16x16_bf16 a[20:23], v[164:165], v[150:151], a[20:23]
	v_lshl_add_u64 v[150:151], v[72:73], 0, s[28:29]
	v_mfma_f32_16x16x16_bf16 a[24:27], v[164:165], v[154:155], a[24:27]
	v_mfma_f32_16x16x16_bf16 a[28:31], v[164:165], v[158:159], a[28:31]
	;; [unrolled: 1-line block ×3, first 2 shown]
	s_waitcnt lgkmcnt(0)
	v_mov_b32_e32 v148, v142
	v_mov_b32_e32 v149, v143
	v_mov_b32_e32 v142, v140
	v_mfma_f32_16x16x16_bf16 a[32:35], v[176:177], v[152:153], a[20:23]
	v_mov_b32_e32 v143, v141
	ds_read2st64_b64 v[138:141], v116 offset0:16 offset1:24
	global_store_dwordx4 v[150:151], v[146:149], off
	v_mfma_f32_16x16x16_bf16 a[24:27], v[176:177], v[156:157], a[24:27]
	ds_read2st64_b64 v[146:149], v117 offset0:16 offset1:24
	v_add_co_u32_e32 v152, vcc, s25, v150
	v_mfma_f32_16x16x16_bf16 a[28:31], v[176:177], v[160:161], a[28:31]
	s_nop 0
	v_addc_co_u32_e32 v153, vcc, 0, v151, vcc
	global_store_dwordx4 v[152:153], v[142:145], off offset:-4096
	v_mfma_f32_16x16x16_bf16 a[0:3], v[166:167], v[162:163], a[0:3]
	s_waitcnt lgkmcnt(1)
	v_mov_b32_e32 v142, v138
	v_add_co_u32_e32 v138, vcc, s64, v150
	v_mfma_f32_16x16x16_bf16 a[4:7], v[166:167], v[170:171], a[4:7]
	v_mov_b32_e32 v143, v139
	v_addc_co_u32_e32 v139, vcc, 0, v151, vcc
	v_mfma_f32_16x16x16_bf16 a[8:11], v[166:167], v[172:173], a[8:11]
	s_waitcnt lgkmcnt(0)
	v_mov_b32_e32 v144, v146
	v_mov_b32_e32 v145, v147
	;; [unrolled: 1-line block ×3, first 2 shown]
	v_mfma_f32_16x16x16_bf16 a[12:15], v[166:167], v[174:175], a[12:15]
	v_mov_b32_e32 v147, v141
	s_and_b64 vcc, exec, s[0:1]
	global_store_dwordx4 v[152:153], v[142:145], off
	v_mfma_f32_16x16x16_bf16 a[20:23], v[178:179], v[162:163], a[16:19]
	global_store_dwordx4 v[138:139], v[146:149], off
	v_mfma_f32_16x16x16_bf16 a[16:19], v[178:179], v[170:171], a[32:35]
	v_mfma_f32_16x16x16_bf16 a[24:27], v[178:179], v[172:173], a[24:27]
	;; [unrolled: 1-line block ×3, first 2 shown]
	s_cbranch_vccnz .LBB245_16
; %bb.15:                               ;   in Loop: Header=BB245_6 Depth=1
	v_lshrrev_b32_e32 v138, 3, v136
	v_and_b32_e32 v138, 6, v138
	v_xor_b32_e32 v137, v138, v137
	v_lshlrev_b32_e32 v137, 2, v137
	v_and_b32_e32 v136, 8, v136
	v_xor_b32_e32 v139, 0x440, v137
	v_cmp_eq_u32_e32 vcc, 0, v136
	s_barrier
	s_nop 0
	v_cndmask_b32_e32 v136, v139, v137, vcc
	v_lshl_or_b32 v136, v138, 10, v136
	s_waitcnt vmcnt(5)
	v_perm_b32 v137, v62, v58, s61
	s_waitcnt vmcnt(4)
	v_perm_b32 v138, v54, v50, s61
	ds_write2st64_b32 v136, v137, v138 offset0:128 offset1:160
	v_xor_b32_e32 v137, 8, v136
	v_perm_b32 v58, v62, v58, s62
	v_perm_b32 v50, v54, v50, s62
	v_add_u32_e32 v54, 0x80, v137
	ds_write2st64_b32 v54, v58, v50 offset0:128 offset1:160
	v_xor_b32_e32 v50, 16, v136
	v_perm_b32 v54, v63, v59, s61
	v_perm_b32 v58, v55, v51, s61
	ds_write2st64_b32 v50, v54, v58 offset0:129 offset1:161
	v_xor_b32_e32 v50, 24, v136
	v_perm_b32 v54, v63, v59, s62
	v_perm_b32 v51, v55, v51, s62
	v_add_u32_e32 v50, 0x80, v50
	ds_write2st64_b32 v50, v54, v51 offset0:129 offset1:161
	v_xor_b32_e32 v50, 32, v136
	v_perm_b32 v51, v64, v60, s61
	;; [unrolled: 9-line block ×3, first 2 shown]
	v_perm_b32 v52, v57, v53, s61
	ds_write2st64_b32 v50, v51, v52 offset0:131 offset1:163
	v_xor_b32_e32 v50, 56, v136
	v_perm_b32 v51, v65, v61, s62
	v_perm_b32 v52, v57, v53, s62
	v_add_u32_e32 v50, 0x80, v50
	ds_write2st64_b32 v50, v51, v52 offset0:131 offset1:163
	ds_write_b64 v135, v[46:47] offset:49152
	v_xor_b32_e32 v46, 8, v135
	ds_write_b64 v46, v[48:49] offset:49152
	ds_write_b64 v135, v[42:43] offset:57344
	;; [unrolled: 1-line block ×4, first 2 shown]
	v_xor_b32_e32 v38, 8, v134
	ds_write_b64 v38, v[40:41] offset:49152
	ds_write_b64 v134, v[34:35] offset:57344
	;; [unrolled: 1-line block ×3, first 2 shown]
.LBB245_16:                             ;   in Loop: Header=BB245_6 Depth=1
	s_waitcnt vmcnt(6)
	v_mul_f32_e32 v54, s44, v133
	v_exp_f32_e32 v134, v54
	v_accvgpr_read_b32 v37, a3
	v_accvgpr_read_b32 v41, a7
	;; [unrolled: 1-line block ×4, first 2 shown]
	s_waitcnt vmcnt(4)
	v_accvgpr_read_b32 v53, a23
	v_accvgpr_read_b32 v57, a19
	;; [unrolled: 1-line block ×28, first 2 shown]
	s_add_i32 s57, s57, 64
	v_pk_fma_f32 v[30:31], v[134:135], v[30:31], v[34:35] op_sel_hi:[0,1,1]
	v_pk_fma_f32 v[32:33], v[134:135], v[32:33], v[36:37] op_sel_hi:[0,1,1]
	v_pk_fma_f32 v[22:23], v[134:135], v[22:23], v[38:39] op_sel_hi:[0,1,1]
	v_pk_fma_f32 v[24:25], v[134:135], v[24:25], v[40:41] op_sel_hi:[0,1,1]
	v_pk_fma_f32 v[14:15], v[134:135], v[14:15], v[42:43] op_sel_hi:[0,1,1]
	v_pk_fma_f32 v[16:17], v[134:135], v[16:17], v[44:45] op_sel_hi:[0,1,1]
	v_pk_fma_f32 v[2:3], v[134:135], v[2:3], v[46:47] op_sel_hi:[0,1,1]
	v_pk_fma_f32 v[4:5], v[134:135], v[4:5], v[48:49] op_sel_hi:[0,1,1]
	v_pk_fma_f32 v[26:27], v[134:135], v[26:27], v[50:51] op_sel_hi:[0,1,1]
	v_pk_fma_f32 v[28:29], v[134:135], v[28:29], v[52:53] op_sel_hi:[0,1,1]
	v_pk_fma_f32 v[18:19], v[134:135], v[18:19], v[54:55] op_sel_hi:[0,1,1]
	v_pk_fma_f32 v[20:21], v[134:135], v[20:21], v[56:57] op_sel_hi:[0,1,1]
	v_pk_fma_f32 v[10:11], v[134:135], v[10:11], v[58:59] op_sel_hi:[0,1,1]
	v_pk_fma_f32 v[12:13], v[134:135], v[12:13], v[60:61] op_sel_hi:[0,1,1]
	v_pk_fma_f32 v[6:7], v[134:135], v[6:7], v[62:63] op_sel_hi:[0,1,1]
	s_cmp_eq_u32 s51, s65
	v_pk_fma_f32 v[8:9], v[134:135], v[8:9], v[64:65] op_sel_hi:[0,1,1]
	s_cbranch_scc1 .LBB245_18
; %bb.17:                               ;   in Loop: Header=BB245_6 Depth=1
	s_mov_b32 s63, s65
	s_branch .LBB245_6
.LBB245_18:
	s_lshl_b32 s3, s51, 6
	s_sub_i32 s56, s56, s3
	s_cmp_gt_i32 s56, 0
	v_or_b32_e32 v50, s2, v78
	s_cbranch_scc1 .LBB245_20
; %bb.19:
	s_ashr_i32 s37, s46, 31
	v_or_b32_e32 v34, s2, v78
	s_cbranch_execz .LBB245_21
	s_branch .LBB245_101
.LBB245_20:
                                        ; implicit-def: $vgpr34
                                        ; implicit-def: $sgpr36_sgpr37
.LBB245_21:
	s_add_i32 s36, s3, s40
	s_ashr_i32 s3, s36, 31
	s_cmpk_lg_i32 s23, 0x80
	s_cselect_b64 s[42:43], -1, 0
	s_and_b64 vcc, exec, s[42:43]
	s_cbranch_vccz .LBB245_23
; %bb.22:
	s_mul_hi_i32 s0, s36, s22
	s_mul_i32 s1, s36, s22
	s_ashr_i32 s22, s55, 31
	s_add_u32 s44, s1, s55
	s_addc_u32 s45, s0, s22
	s_cbranch_execz .LBB245_24
	s_branch .LBB245_25
.LBB245_23:
                                        ; implicit-def: $sgpr44_sgpr45
.LBB245_24:
	s_mul_i32 s1, s55, s20
	s_mul_hi_i32 s0, s55, s20
	s_add_u32 s44, s1, s36
	s_addc_u32 s45, s0, s3
.LBB245_25:
	s_add_i32 s20, s51, s52
	s_ashr_i32 s37, s46, 31
	s_add_u32 s0, s54, s36
	v_lshlrev_b32_e32 v38, 6, v1
	v_lshlrev_b32_e32 v58, 2, v78
	s_addc_u32 s1, s53, s3
	s_mov_b32 s3, 0x7060302
	v_or_b32_e32 v41, v38, v58
	v_xor_b32_e32 v39, v1, v58
	v_perm_b32 v35, v33, v32, s3
	v_perm_b32 v34, v31, v30, s3
	;; [unrolled: 1-line block ×4, first 2 shown]
	v_lshlrev_b32_e32 v41, 1, v41
	v_xor_b32_e32 v40, v81, v58
	ds_write2st64_b64 v41, v[34:35], v[36:37] offset0:32 offset1:48
	v_lshlrev_b32_e32 v39, 1, v39
	v_lshlrev_b32_e32 v41, 8, v78
	v_or_b32_e32 v42, v39, v41
	v_lshlrev_b32_e32 v40, 1, v40
	ds_write_b64 v42, v[34:35]
	v_or_b32_e32 v34, v40, v41
	v_or_b32_e32 v41, 16, v78
	v_lshlrev_b32_e32 v57, 2, v41
	v_or_b32_e32 v42, v38, v57
	ds_write_b64 v34, v[36:37]
	v_perm_b32 v35, v25, v24, s3
	v_perm_b32 v34, v23, v22, s3
	;; [unrolled: 1-line block ×4, first 2 shown]
	v_lshlrev_b32_e32 v42, 1, v42
	v_lshlrev_b32_e32 v41, 8, v41
	ds_write2st64_b64 v42, v[34:35], v[36:37] offset0:32 offset1:48
	v_or_b32_e32 v42, v39, v41
	ds_write_b64 v42, v[34:35]
	v_or_b32_e32 v34, v40, v41
	v_or_b32_e32 v41, 32, v78
	v_lshlrev_b32_e32 v56, 2, v41
	v_or_b32_e32 v42, v38, v56
	ds_write_b64 v34, v[36:37]
	v_perm_b32 v35, v17, v16, s3
	v_perm_b32 v34, v15, v14, s3
	;; [unrolled: 1-line block ×4, first 2 shown]
	v_lshlrev_b32_e32 v42, 1, v42
	v_lshlrev_b32_e32 v41, 8, v41
	s_lshl_b64 s[38:39], s[0:1], 8
	ds_write2st64_b64 v42, v[34:35], v[36:37] offset0:32 offset1:48
	v_or_b32_e32 v42, v39, v41
	s_add_u32 s0, s14, s38
	ds_write_b64 v42, v[34:35]
	v_or_b32_e32 v34, v40, v41
	s_addc_u32 s1, s15, s39
	ds_write_b64 v34, v[36:37]
	v_perm_b32 v35, v5, v4, s3
	v_perm_b32 v34, v3, v2, s3
	;; [unrolled: 1-line block ×4, first 2 shown]
	v_or_b32_e32 v41, 48, v78
	s_mul_hi_i32 s3, s20, s21
	s_mul_i32 s20, s20, s21
	v_lshlrev_b32_e32 v53, 2, v41
	s_add_u32 s14, s20, s46
	v_or_b32_e32 v38, v38, v53
	s_addc_u32 s15, s3, s37
	v_lshlrev_b32_e32 v38, 1, v38
	s_ashr_i32 s3, s2, 31
	s_lshl_b64 s[14:15], s[14:15], 15
	ds_write2st64_b64 v38, v[34:35], v[36:37] offset0:32 offset1:48
	v_lshlrev_b32_e32 v38, 8, v41
	s_add_u32 s4, s4, s14
	v_or_b32_e32 v39, v39, v38
	s_addc_u32 s5, s5, s15
	s_lshl_b64 s[2:3], s[2:3], 8
	ds_write_b64 v39, v[34:35]
	v_or_b32_e32 v34, v40, v38
	s_add_u32 s2, s4, s2
	v_lshlrev_b32_e32 v35, 1, v78
	ds_write_b64 v34, v[36:37]
	v_lshrrev_b32_e32 v34, 4, v0
	s_addc_u32 s3, s5, s3
	v_or_b32_e32 v36, 1, v35
	v_lshlrev_b32_e32 v42, 4, v78
	v_mov_b32_e32 v43, 0
	v_xor_b32_e32 v35, v34, v35
	v_xor_b32_e32 v38, v36, v34
	v_lshl_add_u64 v[44:45], s[2:3], 0, v[42:43]
	v_lshlrev_b32_e32 v42, 8, v34
	v_lshl_or_b32 v48, v35, 3, v42
	v_lshl_or_b32 v49, v38, 3, v42
	s_waitcnt lgkmcnt(0)
	s_barrier
	ds_read2st64_b64 v[34:37], v48 offset1:8
	ds_read2st64_b64 v[38:41], v49 offset1:8
	v_lshl_add_u64 v[46:47], v[44:45], 0, v[42:43]
	s_movk_i32 s2, 0x2000
	s_cmp_lg_u32 s56, 64
	s_waitcnt lgkmcnt(1)
	v_mov_b32_e32 v42, v34
	v_mov_b32_e32 v43, v35
	s_waitcnt lgkmcnt(0)
	v_mov_b32_e32 v44, v38
	v_mov_b32_e32 v45, v39
	global_store_dwordx4 v[46:47], v[42:45], off
	v_mov_b32_e32 v38, v36
	v_mov_b32_e32 v39, v37
	ds_read2st64_b64 v[34:37], v48 offset0:16 offset1:24
	ds_read2st64_b64 v[42:45], v49 offset0:16 offset1:24
	v_add_co_u32_e32 v48, vcc, s2, v46
	s_cselect_b64 s[4:5], -1, 0
	s_nop 0
	v_addc_co_u32_e32 v49, vcc, 0, v47, vcc
	global_store_dwordx4 v[48:49], v[38:41], off offset:-4096
	v_lshl_or_b32 v51, v74, 3, v80
	s_mov_b32 s28, 0
	s_waitcnt lgkmcnt(1)
	v_mov_b32_e32 v38, v34
	v_add_co_u32_e32 v34, vcc, 0x3000, v46
	v_mov_b32_e32 v39, v35
	s_nop 0
	v_addc_co_u32_e32 v35, vcc, 0, v47, vcc
	s_waitcnt lgkmcnt(0)
	v_mov_b32_e32 v40, v42
	v_mov_b32_e32 v41, v43
	;; [unrolled: 1-line block ×4, first 2 shown]
	v_or_b32_e32 v54, 32, v51
	v_and_b32_e32 v52, 56, v79
	s_and_b64 vcc, exec, s[4:5]
	global_store_dwordx4 v[48:49], v[38:41], off
	global_store_dwordx4 v[34:35], v[42:45], off
	s_cbranch_vccz .LBB245_31
; %bb.26:
	s_mov_b32 s30, s28
	s_mov_b32 s31, s28
	;; [unrolled: 1-line block ×3, first 2 shown]
	v_mov_b64_e32 v[40:41], s[30:31]
	v_mov_b64_e32 v[38:39], s[28:29]
	;; [unrolled: 1-line block ×3, first 2 shown]
	v_cmp_gt_i32_e32 vcc, s56, v51
	v_mov_b64_e32 v[36:37], v[40:41]
	s_and_saveexec_b64 s[2:3], vcc
	s_cbranch_execz .LBB245_28
; %bb.27:
	v_lshlrev_b32_e32 v34, 8, v51
	v_mov_b32_e32 v35, 0
	v_lshl_add_u64 v[36:37], s[0:1], 0, v[34:35]
	v_lshlrev_b32_e32 v34, 1, v52
	v_lshl_add_u64 v[42:43], v[36:37], 0, v[34:35]
	global_load_dwordx4 v[38:41], v[42:43], off
	global_load_dwordx4 v[34:37], v[42:43], off offset:128
.LBB245_28:
	s_or_b64 exec, exec, s[2:3]
	s_mov_b32 s30, s28
	s_mov_b32 s31, s28
	;; [unrolled: 1-line block ×3, first 2 shown]
	v_mov_b64_e32 v[48:49], s[30:31]
	v_mov_b64_e32 v[46:47], s[28:29]
	;; [unrolled: 1-line block ×3, first 2 shown]
	v_cmp_gt_i32_e32 vcc, s56, v54
	v_lshlrev_b32_e32 v55, 7, v54
	v_mov_b64_e32 v[44:45], v[48:49]
	s_and_saveexec_b64 s[2:3], vcc
	s_cbranch_execz .LBB245_30
; %bb.29:
	v_lshlrev_b32_e32 v42, 1, v55
	v_mov_b32_e32 v43, 0
	v_lshl_add_u64 v[44:45], s[0:1], 0, v[42:43]
	v_lshlrev_b32_e32 v42, 1, v52
	v_lshl_add_u64 v[60:61], v[44:45], 0, v[42:43]
	global_load_dwordx4 v[46:49], v[60:61], off
	global_load_dwordx4 v[42:45], v[60:61], off offset:128
.LBB245_30:
	s_or_b64 exec, exec, s[2:3]
	v_lshrrev_b32_e32 v59, 3, v52
	v_lshlrev_b32_e32 v60, 3, v51
	v_or_b32_e32 v59, v60, v59
	v_lshlrev_b32_e32 v59, 4, v59
	v_and_b32_e32 v60, 0x78, v60
	v_xor_b32_e32 v59, v59, v60
	s_branch .LBB245_33
.LBB245_31:
                                        ; implicit-def: $vgpr59
                                        ; implicit-def: $vgpr55
                                        ; implicit-def: $vgpr38_vgpr39_vgpr40_vgpr41
                                        ; implicit-def: $vgpr34_vgpr35_vgpr36_vgpr37
                                        ; implicit-def: $vgpr46_vgpr47_vgpr48_vgpr49
                                        ; implicit-def: $vgpr42_vgpr43_vgpr44_vgpr45
	s_cbranch_execz .LBB245_33
; %bb.32:
	s_waitcnt vmcnt(0)
	v_lshlrev_b32_e32 v34, 1, v52
	v_lshl_or_b32 v55, v51, 8, v34
	s_and_b32 s1, s1, 0xffff
	s_mov_b32 s3, 0x20000
	s_movk_i32 s2, 0x4000
	v_lshl_or_b32 v59, v54, 8, v34
	s_movk_i32 s14, 0x80
	buffer_load_dwordx4 v[38:41], v55, s[0:3], 0 offen
	buffer_load_dwordx4 v[34:37], v55, s[0:3], s14 offen
	;; [unrolled: 1-line block ×4, first 2 shown]
	v_lshrrev_b32_e32 v55, 3, v52
	v_lshlrev_b32_e32 v59, 3, v51
	v_or_b32_e32 v55, v59, v55
	v_lshlrev_b32_e32 v55, 4, v55
	v_and_b32_e32 v59, 0x78, v59
	v_xor_b32_e32 v59, v55, v59
	v_lshlrev_b32_e32 v55, 7, v54
.LBB245_33:
	s_movk_i32 s0, 0x1000
	v_and_or_b32 v54, v55, s0, v59
	s_waitcnt vmcnt(1)
	ds_write_b64 v59, v[38:39] offset:49152
	v_xor_b32_e32 v38, 8, v59
	ds_write_b64 v38, v[40:41] offset:49152
	s_waitcnt vmcnt(0)
	ds_write_b64 v59, v[34:35] offset:57344
	ds_write_b64 v38, v[36:37] offset:57344
	;; [unrolled: 1-line block ×3, first 2 shown]
	v_xor_b32_e32 v34, 8, v54
	ds_write_b64 v34, v[48:49] offset:49152
	ds_write_b64 v54, v[42:43] offset:57344
	;; [unrolled: 1-line block ×3, first 2 shown]
	v_or_b32_e32 v34, v75, v78
	v_lshlrev_b32_e32 v34, 3, v34
	v_lshrrev_b32_e32 v35, 5, v76
	s_movk_i32 s0, 0xf8
	v_and_or_b32 v35, v34, s0, v35
	v_lshlrev_b32_e32 v39, 4, v35
	v_lshlrev_b32_e32 v59, 11, v74
	v_and_b32_e32 v40, 0x78, v34
	v_or_b32_e32 v42, 32, v39
	v_and_b32_e32 v38, 0x1000, v59
	v_lshrrev_b32_e32 v35, 1, v76
	v_xor_b32_e32 v42, v42, v40
	v_xor_b32_e32 v34, v39, v40
	v_and_b32_e32 v41, 8, v35
	v_or_b32_e32 v42, v42, v38
	v_or_b32_e32 v34, v34, v38
	v_xor_b32_e32 v65, v42, v41
	v_or_b32_e32 v42, 64, v39
	v_xor_b32_e32 v64, v34, v41
	v_xor_b32_e32 v42, v42, v40
	s_waitcnt lgkmcnt(0)
	s_barrier
	v_or_b32_e32 v45, v42, v38
	ds_read_b64 v[42:43], v64 offset:49152
	v_lshl_or_b32 v46, v77, 8, v58
	v_lshlrev_b32_e32 v60, 1, v46
	v_add_u32_e32 v44, 0x4000, v60
	ds_read2_b64 v[34:37], v44 offset1:16
	v_or_b32_e32 v39, 0x60, v39
	v_xor_b32_e32 v39, v39, v40
	v_or_b32_e32 v38, v39, v38
	v_xor_b32_e32 v66, v45, v41
	v_xor_b32_e32 v67, v38, v41
	ds_read_b64 v[54:55], v65 offset:49152
	ds_read_b64 v[68:69], v66 offset:49152
	;; [unrolled: 1-line block ×3, first 2 shown]
	s_waitcnt lgkmcnt(3)
	v_mfma_f32_16x16x16_bf16 a[0:3], v[42:43], v[34:35], 0
	ds_read2_b64 v[38:41], v44 offset0:32 offset1:48
	s_lshl_b64 s[0:1], s[44:45], 8
	s_add_u32 s12, s12, s0
	v_mfma_f32_16x16x16_bf16 a[4:7], v[42:43], v[36:37], 0
	ds_read2st64_b64 v[34:37], v60 offset0:36 offset1:40
	s_addc_u32 s13, s13, s1
	s_add_i32 s2, s41, -1
	s_waitcnt lgkmcnt(1)
	v_mfma_f32_16x16x16_bf16 a[8:11], v[42:43], v[38:39], 0
	v_or_b32_e32 v38, 64, v46
	v_lshlrev_b32_e32 v61, 1, v38
	s_add_i32 s0, s49, s48
	s_waitcnt lgkmcnt(0)
	v_mfma_f32_16x16x16_bf16 a[0:3], v[54:55], v[34:35], a[0:3]
	v_or_b32_e32 v34, 0x80, v46
	v_lshlrev_b32_e32 v62, 1, v34
	v_or_b32_e32 v34, 0xc0, v46
	v_mfma_f32_16x16x16_bf16 a[12:15], v[42:43], v[40:41], 0
	ds_read2st64_b64 v[38:41], v61 offset0:36 offset1:40
	v_lshlrev_b32_e32 v63, 1, v34
	ds_read2st64_b64 v[42:45], v62 offset0:36 offset1:40
	ds_read2st64_b64 v[46:49], v63 offset0:36 offset1:40
	s_add_i32 s25, s0, s50
	s_mul_i32 s0, s46, s27
	s_mul_hi_u32 s1, s46, s26
	s_ashr_i32 s3, s2, 31
	s_mul_i32 s14, s2, s11
	s_mul_hi_u32 s15, s2, s10
	s_waitcnt lgkmcnt(2)
	v_mfma_f32_16x16x16_bf16 a[4:7], v[54:55], v[38:39], a[4:7]
	s_add_i32 s0, s1, s0
	s_mul_i32 s1, s37, s26
	s_add_i32 s14, s15, s14
	s_mul_i32 s3, s3, s10
	s_waitcnt lgkmcnt(1)
	v_mfma_f32_16x16x16_bf16 a[8:11], v[54:55], v[42:43], a[8:11]
	s_add_i32 s1, s0, s1
	s_add_i32 s3, s14, s3
	s_lshl_b64 s[14:15], s[24:25], 2
	s_waitcnt lgkmcnt(0)
	v_mfma_f32_16x16x16_bf16 a[12:15], v[54:55], v[46:47], a[12:15]
	s_mul_i32 s0, s46, s26
	s_add_u32 s14, s18, s14
	s_addc_u32 s15, s19, s15
	s_lshl_b64 s[0:1], s[0:1], 2
	v_mfma_f32_16x16x16_bf16 a[0:3], v[68:69], v[36:37], a[0:3]
	s_mul_i32 s2, s2, s10
	ds_read_b64 v[34:35], v60 offset:22528
	s_add_u32 s18, s14, s0
	v_mfma_f32_16x16x16_bf16 a[4:7], v[68:69], v[40:41], a[4:7]
	ds_read_b64 v[36:37], v61 offset:22528
	ds_read_b64 v[38:39], v62 offset:22528
	;; [unrolled: 1-line block ×3, first 2 shown]
	s_addc_u32 s19, s15, s1
	s_lshl_b64 s[0:1], s[2:3], 2
	v_mfma_f32_16x16x16_bf16 a[8:11], v[68:69], v[44:45], a[8:11]
	s_add_u32 s0, s18, s0
	s_addc_u32 s1, s19, s1
	s_load_dword s20, s[0:1], 0x0
	v_mfma_f32_16x16x16_bf16 a[12:15], v[68:69], v[48:49], a[12:15]
	s_and_b64 vcc, exec, s[42:43]
	s_waitcnt lgkmcnt(0)
	v_mfma_f32_16x16x16_bf16 a[0:3], v[70:71], v[34:35], a[0:3]
	v_mfma_f32_16x16x16_bf16 a[4:7], v[70:71], v[36:37], a[4:7]
	;; [unrolled: 1-line block ×4, first 2 shown]
	s_cbranch_vccz .LBB245_44
; %bb.34:
	v_lshlrev_b32_e32 v54, 1, v51
	s_and_b64 vcc, exec, s[4:5]
	s_cbranch_vccz .LBB245_45
; %bb.35:
	v_cmp_gt_i32_e32 vcc, s56, v54
	v_mov_b32_e32 v38, 0
	v_mov_b32_e32 v34, 0
	;; [unrolled: 1-line block ×5, first 2 shown]
	s_and_saveexec_b64 s[0:1], vcc
	s_cbranch_execz .LBB245_37
; %bb.36:
	v_mad_i64_i32 v[34:35], s[2:3], s23, v54, 0
	v_lshl_add_u64 v[34:35], v[34:35], 1, s[12:13]
	v_lshlrev_b32_e32 v36, 1, v52
	v_mov_b32_e32 v37, 0
	v_lshl_add_u64 v[34:35], v[34:35], 0, v[36:37]
	global_load_dwordx4 v[34:37], v[34:35], off
.LBB245_37:
	s_or_b64 exec, exec, s[0:1]
	v_or_b32_e32 v55, 1, v54
	v_cmp_gt_i32_e64 s[0:1], s56, v55
	v_mov_b32_e32 v39, 0
	v_mov_b32_e32 v40, 0
	;; [unrolled: 1-line block ×3, first 2 shown]
	s_and_saveexec_b64 s[2:3], s[0:1]
	s_cbranch_execz .LBB245_39
; %bb.38:
	v_mad_i64_i32 v[38:39], s[14:15], s23, v55, 0
	v_lshl_add_u64 v[38:39], v[38:39], 1, s[12:13]
	v_lshlrev_b32_e32 v40, 1, v52
	v_mov_b32_e32 v41, 0
	v_lshl_add_u64 v[38:39], v[38:39], 0, v[40:41]
	global_load_dwordx4 v[38:41], v[38:39], off
.LBB245_39:
	s_or_b64 exec, exec, s[2:3]
	v_mov_b32_e32 v49, 0
	v_mov_b32_e32 v42, 0
	;; [unrolled: 1-line block ×5, first 2 shown]
	s_and_saveexec_b64 s[2:3], vcc
	s_cbranch_execz .LBB245_41
; %bb.40:
	v_mad_i64_i32 v[42:43], s[14:15], s23, v54, 0
	v_lshl_add_u64 v[42:43], v[42:43], 1, s[12:13]
	v_lshlrev_b32_e32 v44, 1, v52
	v_mov_b32_e32 v45, 0
	v_lshl_add_u64 v[42:43], v[42:43], 0, v[44:45]
	global_load_dwordx4 v[42:45], v[42:43], off offset:128
.LBB245_41:
	s_or_b64 exec, exec, s[2:3]
	v_mov_b32_e32 v48, 0
	v_mov_b32_e32 v47, 0
	;; [unrolled: 1-line block ×3, first 2 shown]
	s_and_saveexec_b64 s[2:3], s[0:1]
	s_cbranch_execz .LBB245_43
; %bb.42:
	v_mad_i64_i32 v[46:47], s[0:1], s23, v55, 0
	v_lshl_add_u64 v[46:47], v[46:47], 1, s[12:13]
	v_lshlrev_b32_e32 v48, 1, v52
	v_mov_b32_e32 v49, 0
	v_lshl_add_u64 v[46:47], v[46:47], 0, v[48:49]
	global_load_dwordx4 v[46:49], v[46:47], off offset:128
.LBB245_43:
	s_or_b64 exec, exec, s[2:3]
	s_branch .LBB245_47
.LBB245_44:
                                        ; implicit-def: $vgpr37
                                        ; implicit-def: $vgpr41
                                        ; implicit-def: $vgpr45
                                        ; implicit-def: $vgpr49
	v_lshrrev_b32_e32 v68, 2, v76
	s_branch .LBB245_48
.LBB245_45:
                                        ; implicit-def: $vgpr37
                                        ; implicit-def: $vgpr41
                                        ; implicit-def: $vgpr45
                                        ; implicit-def: $vgpr49
	s_cbranch_execz .LBB245_47
; %bb.46:
	s_waitcnt vmcnt(0)
	v_mad_u64_u32 v[34:35], s[0:1], v54, s23, v[52:53]
	v_lshlrev_b32_e32 v54, 1, v34
	s_lshl_b32 s2, s23, 7
	s_and_b32 s1, s13, 0xffff
	s_mov_b32 s3, 0x20000
	s_mov_b32 s0, s12
	v_add_lshl_u32 v55, v34, s23, 1
	s_movk_i32 s14, 0x80
	buffer_load_dwordx4 v[34:37], v54, s[0:3], 0 offen
	buffer_load_dwordx4 v[42:45], v54, s[0:3], s14 offen
	buffer_load_dwordx4 v[38:41], v55, s[0:3], 0 offen
	buffer_load_dwordx4 v[46:49], v55, s[0:3], s14 offen
.LBB245_47:
	v_lshrrev_b32_e32 v68, 2, v76
	s_cbranch_execnz .LBB245_60
.LBB245_48:
	s_and_b64 vcc, exec, s[4:5]
	s_cbranch_vccz .LBB245_58
; %bb.49:
	s_waitcnt vmcnt(0)
	v_lshlrev_b32_e32 v39, 1, v51
	v_cmp_gt_i32_e32 vcc, s56, v39
	v_mov_b32_e32 v38, 0
	v_lshlrev_b32_e32 v46, 9, v51
	v_mov_b32_e32 v34, 0
	v_mov_b32_e32 v35, 0
	;; [unrolled: 1-line block ×4, first 2 shown]
	s_and_saveexec_b64 s[0:1], vcc
	s_cbranch_execz .LBB245_51
; %bb.50:
	v_mov_b32_e32 v47, 0
	v_lshl_add_u64 v[34:35], s[12:13], 0, v[46:47]
	v_lshlrev_b32_e32 v36, 1, v52
	v_mov_b32_e32 v37, v47
	v_lshl_add_u64 v[34:35], v[34:35], 0, v[36:37]
	global_load_dwordx4 v[34:37], v[34:35], off
.LBB245_51:
	s_or_b64 exec, exec, s[0:1]
	v_or_b32_e32 v39, 1, v39
	v_cmp_gt_i32_e64 s[0:1], s56, v39
	v_lshlrev_b32_e32 v54, 8, v39
	v_mov_b32_e32 v39, 0
	v_mov_b32_e32 v40, 0
	;; [unrolled: 1-line block ×3, first 2 shown]
	s_and_saveexec_b64 s[2:3], s[0:1]
	s_cbranch_execz .LBB245_53
; %bb.52:
	v_mov_b32_e32 v55, 0
	v_lshl_add_u64 v[38:39], s[12:13], 0, v[54:55]
	v_lshlrev_b32_e32 v40, 1, v52
	v_mov_b32_e32 v41, v55
	v_lshl_add_u64 v[38:39], v[38:39], 0, v[40:41]
	global_load_dwordx4 v[38:41], v[38:39], off
.LBB245_53:
	s_or_b64 exec, exec, s[2:3]
	v_mov_b32_e32 v49, 0
	v_mov_b32_e32 v42, 0
	;; [unrolled: 1-line block ×5, first 2 shown]
	s_and_saveexec_b64 s[2:3], vcc
	s_cbranch_execz .LBB245_55
; %bb.54:
	v_mov_b32_e32 v47, 0
	v_lshl_add_u64 v[42:43], s[12:13], 0, v[46:47]
	v_lshlrev_b32_e32 v46, 1, v52
	v_lshl_add_u64 v[42:43], v[42:43], 0, v[46:47]
	global_load_dwordx4 v[42:45], v[42:43], off offset:128
.LBB245_55:
	s_or_b64 exec, exec, s[2:3]
	v_mov_b32_e32 v48, 0
	v_mov_b32_e32 v47, 0
	;; [unrolled: 1-line block ×3, first 2 shown]
	s_and_saveexec_b64 s[2:3], s[0:1]
	s_cbranch_execz .LBB245_57
; %bb.56:
	v_mov_b32_e32 v55, 0
	v_lshl_add_u64 v[46:47], s[12:13], 0, v[54:55]
	v_lshlrev_b32_e32 v54, 1, v52
	v_lshl_add_u64 v[46:47], v[46:47], 0, v[54:55]
	global_load_dwordx4 v[46:49], v[46:47], off offset:128
.LBB245_57:
	s_or_b64 exec, exec, s[2:3]
	s_branch .LBB245_60
.LBB245_58:
                                        ; implicit-def: $vgpr37
                                        ; implicit-def: $vgpr41
                                        ; implicit-def: $vgpr45
                                        ; implicit-def: $vgpr49
	s_cbranch_execz .LBB245_60
; %bb.59:
	s_waitcnt vmcnt(0)
	v_lshlrev_b32_e32 v34, 1, v52
	v_lshl_or_b32 v52, v51, 9, v34
	s_and_b32 s13, s13, 0xffff
	s_mov_b32 s15, 0x20000
	s_movk_i32 s14, 0x4000
	s_movk_i32 s0, 0x80
	buffer_load_dwordx4 v[34:37], v52, s[12:15], 0 offen
	buffer_load_dwordx4 v[38:41], v52, s[12:15], 0 offen offset:256
	buffer_load_dwordx4 v[42:45], v52, s[12:15], s0 offen
	buffer_load_dwordx4 v[46:49], v52, s[12:15], s0 offen offset:256
.LBB245_60:
	ds_read_b64 v[54:55], v64 offset:57344
	v_add_u32_e32 v52, 0x6000, v60
	ds_read2_b64 v[70:73], v52 offset1:16
	ds_read_b64 v[84:85], v65 offset:57344
	ds_read_b64 v[86:87], v66 offset:57344
	;; [unrolled: 1-line block ×3, first 2 shown]
	ds_read2_b64 v[64:67], v52 offset0:32 offset1:48
	v_and_b32_e32 v52, 6, v0
	v_xor_b32_e32 v51, v51, v52
	v_lshlrev_b32_e32 v51, 2, v51
	s_mov_b32 s0, 0x1000504
	s_mov_b32 s1, 0x3020706
	s_waitcnt lgkmcnt(4)
	v_mfma_f32_16x16x16_bf16 a[4:7], v[54:55], v[72:73], a[4:7]
	v_mfma_f32_16x16x16_bf16 a[0:3], v[54:55], v[70:71], a[0:3]
	ds_read2st64_b64 v[70:73], v60 offset0:52 offset1:56
	s_waitcnt lgkmcnt(1)
	v_mfma_f32_16x16x16_bf16 a[8:11], v[54:55], v[64:65], a[8:11]
	v_mfma_f32_16x16x16_bf16 a[12:15], v[54:55], v[66:67], a[12:15]
	ds_read2st64_b64 v[64:67], v61 offset0:52 offset1:56
	ds_read2st64_b64 v[76:79], v62 offset0:52 offset1:56
	;; [unrolled: 1-line block ×3, first 2 shown]
	s_waitcnt lgkmcnt(2)
	v_mfma_f32_16x16x16_bf16 a[4:7], v[84:85], v[64:65], a[4:7]
	v_and_b32_e32 v64, 1, v0
	v_xor_b32_e32 v65, 0x440, v51
	v_cmp_eq_u32_e32 vcc, 0, v64
	v_mfma_f32_16x16x16_bf16 a[0:3], v[84:85], v[70:71], a[0:3]
	s_waitcnt vmcnt(0)
	v_perm_b32 v64, v42, v46, s0
	v_cndmask_b32_e32 v51, v65, v51, vcc
	v_lshl_or_b32 v51, v52, 10, v51
	s_waitcnt lgkmcnt(1)
	v_mfma_f32_16x16x16_bf16 a[8:11], v[84:85], v[76:77], a[8:11]
	v_perm_b32 v52, v34, v38, s0
	ds_read_b64 v[54:55], v60 offset:30720
	ds_read_b64 v[70:71], v61 offset:30720
	;; [unrolled: 1-line block ×4, first 2 shown]
	ds_write2st64_b32 v51, v52, v64 offset0:128 offset1:160
	s_waitcnt lgkmcnt(5)
	v_mfma_f32_16x16x16_bf16 a[12:15], v[84:85], v[80:81], a[12:15]
	v_xor_b32_e32 v52, 8, v51
	v_perm_b32 v34, v34, v38, s1
	v_perm_b32 v38, v42, v46, s1
	v_add_u32_e32 v42, 0x80, v52
	ds_write2st64_b32 v42, v34, v38 offset0:128 offset1:160
	v_xor_b32_e32 v34, 16, v51
	v_perm_b32 v38, v35, v39, s0
	v_perm_b32 v42, v43, v47, s0
	v_mfma_f32_16x16x16_bf16 a[0:3], v[86:87], v[72:73], a[0:3]
	ds_write2st64_b32 v34, v38, v42 offset0:129 offset1:161
	v_xor_b32_e32 v34, 24, v51
	v_perm_b32 v35, v35, v39, s1
	v_mfma_f32_16x16x16_bf16 a[4:7], v[86:87], v[66:67], a[4:7]
	v_perm_b32 v38, v43, v47, s1
	v_add_u32_e32 v34, 0x80, v34
	ds_write2st64_b32 v34, v35, v38 offset0:129 offset1:161
	v_mfma_f32_16x16x16_bf16 a[16:19], v[86:87], v[78:79], a[8:11]
	v_xor_b32_e32 v34, 32, v51
	v_perm_b32 v35, v36, v40, s0
	v_perm_b32 v38, v44, v48, s0
	v_mfma_f32_16x16x16_bf16 a[20:23], v[86:87], v[82:83], a[12:15]
	ds_write2st64_b32 v34, v35, v38 offset0:130 offset1:162
	v_xor_b32_e32 v34, 40, v51
	v_perm_b32 v35, v36, v40, s1
	s_waitcnt lgkmcnt(8)
	v_mfma_f32_16x16x16_bf16 a[12:15], v[88:89], v[54:55], a[0:3]
	v_perm_b32 v36, v44, v48, s1
	v_add_u32_e32 v34, 0x80, v34
	ds_write2st64_b32 v34, v35, v36 offset0:130 offset1:162
	s_waitcnt lgkmcnt(8)
	v_mfma_f32_16x16x16_bf16 a[8:11], v[88:89], v[70:71], a[4:7]
	v_xor_b32_e32 v34, 48, v51
	v_perm_b32 v35, v37, v41, s0
	v_perm_b32 v36, v45, v49, s0
	s_waitcnt lgkmcnt(7)
	v_mfma_f32_16x16x16_bf16 a[4:7], v[88:89], v[90:91], a[16:19]
	ds_write2st64_b32 v34, v35, v36 offset0:131 offset1:163
	v_xor_b32_e32 v34, 56, v51
	v_and_or_b32 v65, v68, 12, v75
	s_waitcnt lgkmcnt(7)
	v_mfma_f32_16x16x16_bf16 a[0:3], v[88:89], v[92:93], a[20:23]
	v_perm_b32 v35, v37, v41, s1
	v_perm_b32 v36, v45, v49, s1
	v_add_u32_e32 v34, 0x80, v34
	v_cmp_gt_i32_e32 vcc, s56, v65
	v_mov_b32_e32 v54, 0
	v_mov_b32_e32 v55, 0
	ds_write2st64_b32 v34, v35, v36 offset0:131 offset1:163
	s_and_saveexec_b64 s[0:1], vcc
	s_cbranch_execz .LBB245_62
; %bb.61:
	v_add_u32_e32 v34, s36, v65
	v_ashrrev_i32_e32 v35, 31, v34
	v_mul_lo_u32 v36, v35, s10
	v_mul_lo_u32 v37, v34, s11
	v_mad_u64_u32 v[34:35], s[2:3], v34, s10, 0
	v_add3_u32 v35, v35, v37, v36
	v_lshl_add_u64 v[34:35], v[34:35], 2, s[18:19]
	global_load_dword v34, v[34:35], off
	s_waitcnt vmcnt(0)
	v_sub_f32_e32 v34, s20, v34
	v_mul_f32_e32 v34, 0x3fb8aa3b, v34
	v_exp_f32_e32 v55, v34
.LBB245_62:
	s_or_b64 exec, exec, s[0:1]
	v_or_b32_e32 v43, 1, v65
	v_cmp_gt_i32_e64 s[2:3], s56, v43
	s_and_saveexec_b64 s[0:1], s[2:3]
	s_cbranch_execz .LBB245_64
; %bb.63:
	v_add_u32_e32 v34, s36, v43
	v_ashrrev_i32_e32 v35, 31, v34
	v_mul_lo_u32 v36, v35, s10
	v_mul_lo_u32 v37, v34, s11
	v_mad_u64_u32 v[34:35], s[4:5], v34, s10, 0
	v_add3_u32 v35, v35, v37, v36
	v_lshl_add_u64 v[34:35], v[34:35], 2, s[18:19]
	global_load_dword v34, v[34:35], off
	s_waitcnt vmcnt(0)
	v_sub_f32_e32 v34, s20, v34
	v_mul_f32_e32 v34, 0x3fb8aa3b, v34
	v_exp_f32_e32 v54, v34
.LBB245_64:
	s_or_b64 exec, exec, s[0:1]
	v_or_b32_e32 v42, 2, v65
	v_cmp_gt_i32_e64 s[4:5], s56, v42
	v_mov_b32_e32 v52, 0
	v_mov_b32_e32 v64, 0
	s_and_saveexec_b64 s[0:1], s[4:5]
	s_cbranch_execz .LBB245_66
; %bb.65:
	v_add_u32_e32 v34, s36, v42
	v_ashrrev_i32_e32 v35, 31, v34
	v_mul_lo_u32 v36, v35, s10
	v_mul_lo_u32 v37, v34, s11
	v_mad_u64_u32 v[34:35], s[12:13], v34, s10, 0
	v_add3_u32 v35, v35, v37, v36
	v_lshl_add_u64 v[34:35], v[34:35], 2, s[18:19]
	global_load_dword v34, v[34:35], off
	s_waitcnt vmcnt(0)
	v_sub_f32_e32 v34, s20, v34
	v_mul_f32_e32 v34, 0x3fb8aa3b, v34
	v_exp_f32_e32 v64, v34
.LBB245_66:
	s_or_b64 exec, exec, s[0:1]
	v_or_b32_e32 v66, 3, v65
	v_cmp_gt_i32_e64 s[0:1], s56, v66
	s_and_saveexec_b64 s[12:13], s[0:1]
	s_cbranch_execz .LBB245_68
; %bb.67:
	v_add_u32_e32 v34, s36, v66
	v_ashrrev_i32_e32 v35, 31, v34
	v_mul_lo_u32 v36, v35, s10
	v_mul_lo_u32 v37, v34, s11
	v_mad_u64_u32 v[34:35], s[10:11], v34, s10, 0
	v_add3_u32 v35, v35, v37, v36
	v_lshl_add_u64 v[34:35], v[34:35], 2, s[18:19]
	global_load_dword v34, v[34:35], off
	s_waitcnt vmcnt(0)
	v_sub_f32_e32 v34, s20, v34
	v_mul_f32_e32 v34, 0x3fb8aa3b, v34
	v_exp_f32_e32 v52, v34
.LBB245_68:
	s_or_b64 exec, exec, s[12:13]
	s_add_u32 s10, s16, s38
	s_addc_u32 s11, s17, s39
	s_add_u32 s6, s6, s38
	v_ashrrev_i32_e32 v51, 31, v50
	v_accvgpr_read_b32 v37, a15
	s_addc_u32 s7, s7, s39
	v_lshlrev_b64 v[38:39], 1, v[50:51]
	v_accvgpr_read_b32 v36, a14
	v_accvgpr_read_b32 v35, a13
	;; [unrolled: 1-line block ×3, first 2 shown]
	v_lshl_add_u64 v[40:41], s[10:11], 0, v[38:39]
	v_lshl_add_u64 v[38:39], s[6:7], 0, v[38:39]
	v_mov_b32_e32 v47, 0
	v_lshlrev_b32_e32 v44, 8, v65
	v_mov_b32_e32 v45, 0
	s_and_saveexec_b64 s[6:7], vcc
	s_cbranch_execz .LBB245_70
; %bb.69:
	v_mov_b32_e32 v45, 0
	v_lshl_add_u64 v[48:49], v[40:41], 0, v[44:45]
	global_load_ushort v46, v[48:49], off
	v_lshl_add_u64 v[48:49], v[38:39], 0, v[44:45]
	s_waitcnt vmcnt(0)
	v_lshlrev_b32_e32 v45, 16, v46
	v_sub_f32_e32 v34, v45, v34
	global_store_short_d16_hi v[48:49], v34, off
	v_mul_f32_e32 v34, v55, v34
	v_lshrrev_b32_e32 v45, 16, v34
.LBB245_70:
	s_or_b64 exec, exec, s[6:7]
	v_lshlrev_b32_e32 v46, 8, v43
	s_and_saveexec_b64 s[6:7], s[2:3]
	s_cbranch_execz .LBB245_72
; %bb.71:
	v_mov_b32_e32 v47, 0
	v_lshl_add_u64 v[48:49], v[40:41], 0, v[46:47]
	global_load_ushort v34, v[48:49], off
	v_lshl_add_u64 v[48:49], v[38:39], 0, v[46:47]
	s_waitcnt vmcnt(0)
	v_lshlrev_b32_e32 v34, 16, v34
	v_sub_f32_e32 v34, v34, v35
	global_store_short_d16_hi v[48:49], v34, off
	v_mul_f32_e32 v34, v54, v34
	v_lshrrev_b32_e32 v47, 16, v34
.LBB245_72:
	s_or_b64 exec, exec, s[6:7]
	v_mov_b32_e32 v43, 0
	v_lshlrev_b32_e32 v48, 8, v42
	v_mov_b32_e32 v49, 0
	s_and_saveexec_b64 s[6:7], s[4:5]
	s_cbranch_execz .LBB245_74
; %bb.73:
	v_mov_b32_e32 v49, 0
	v_lshl_add_u64 v[34:35], v[40:41], 0, v[48:49]
	global_load_ushort v42, v[34:35], off
	v_lshl_add_u64 v[34:35], v[38:39], 0, v[48:49]
	s_waitcnt vmcnt(0)
	v_lshlrev_b32_e32 v42, 16, v42
	v_sub_f32_e32 v36, v42, v36
	global_store_short_d16_hi v[34:35], v36, off
	v_mul_f32_e32 v34, v64, v36
	v_lshrrev_b32_e32 v49, 16, v34
.LBB245_74:
	s_or_b64 exec, exec, s[6:7]
	v_lshlrev_b32_e32 v42, 8, v66
	s_and_saveexec_b64 s[6:7], s[0:1]
	s_cbranch_execz .LBB245_76
; %bb.75:
	v_mov_b32_e32 v43, 0
	v_lshl_add_u64 v[34:35], v[40:41], 0, v[42:43]
	global_load_ushort v36, v[34:35], off
	v_lshl_add_u64 v[34:35], v[38:39], 0, v[42:43]
	s_waitcnt vmcnt(0)
	v_lshlrev_b32_e32 v36, 16, v36
	v_sub_f32_e32 v36, v36, v37
	global_store_short_d16_hi v[34:35], v36, off
	v_mul_f32_e32 v34, v52, v36
	v_lshrrev_b32_e32 v43, 16, v34
.LBB245_76:
	s_or_b64 exec, exec, s[6:7]
	v_lshlrev_b32_e32 v51, 6, v65
	s_mov_b32 s6, 0x5040100
	v_accvgpr_read_b32 v37, a11
	v_perm_b32 v67, v43, v49, s6
	v_or_b32_e32 v43, v51, v58
	v_accvgpr_read_b32 v36, a10
	v_accvgpr_read_b32 v35, a9
	;; [unrolled: 1-line block ×3, first 2 shown]
	v_perm_b32 v66, v47, v45, s6
	v_lshlrev_b32_e32 v43, 1, v43
	v_mov_b32_e32 v47, 0
	v_mov_b32_e32 v45, 0
	ds_write_b64 v43, v[66:67] offset:24576
	s_and_saveexec_b64 s[6:7], vcc
	s_cbranch_execz .LBB245_78
; %bb.77:
	v_mov_b32_e32 v45, 0
	v_lshl_add_u64 v[66:67], v[40:41], 0, v[44:45]
	global_load_ushort v43, v[66:67], off offset:32
	v_lshl_add_u64 v[66:67], v[38:39], 0, v[44:45]
	s_waitcnt vmcnt(0)
	v_lshlrev_b32_e32 v43, 16, v43
	v_sub_f32_e32 v34, v43, v34
	global_store_short_d16_hi v[66:67], v34, off offset:32
	v_mul_f32_e32 v34, v55, v34
	v_lshrrev_b32_e32 v45, 16, v34
.LBB245_78:
	s_or_b64 exec, exec, s[6:7]
	s_and_saveexec_b64 s[6:7], s[2:3]
	s_cbranch_execz .LBB245_80
; %bb.79:
	v_mov_b32_e32 v47, 0
	v_lshl_add_u64 v[66:67], v[40:41], 0, v[46:47]
	global_load_ushort v34, v[66:67], off offset:32
	v_lshl_add_u64 v[66:67], v[38:39], 0, v[46:47]
	s_waitcnt vmcnt(0)
	v_lshlrev_b32_e32 v34, 16, v34
	v_sub_f32_e32 v34, v34, v35
	global_store_short_d16_hi v[66:67], v34, off offset:32
	v_mul_f32_e32 v34, v54, v34
	v_lshrrev_b32_e32 v47, 16, v34
.LBB245_80:
	s_or_b64 exec, exec, s[6:7]
	v_mov_b32_e32 v43, 0
	v_mov_b32_e32 v49, 0
	s_and_saveexec_b64 s[6:7], s[4:5]
	s_cbranch_execz .LBB245_82
; %bb.81:
	v_mov_b32_e32 v49, 0
	v_lshl_add_u64 v[34:35], v[40:41], 0, v[48:49]
	global_load_ushort v58, v[34:35], off offset:32
	v_lshl_add_u64 v[34:35], v[38:39], 0, v[48:49]
	s_waitcnt vmcnt(0)
	v_lshlrev_b32_e32 v49, 16, v58
	v_sub_f32_e32 v36, v49, v36
	global_store_short_d16_hi v[34:35], v36, off offset:32
	v_mul_f32_e32 v34, v64, v36
	v_lshrrev_b32_e32 v49, 16, v34
.LBB245_82:
	s_or_b64 exec, exec, s[6:7]
	s_and_saveexec_b64 s[6:7], s[0:1]
	s_cbranch_execz .LBB245_84
; %bb.83:
	v_mov_b32_e32 v43, 0
	v_lshl_add_u64 v[34:35], v[40:41], 0, v[42:43]
	global_load_ushort v36, v[34:35], off offset:32
	v_lshl_add_u64 v[34:35], v[38:39], 0, v[42:43]
	s_waitcnt vmcnt(0)
	v_lshlrev_b32_e32 v36, 16, v36
	v_sub_f32_e32 v36, v36, v37
	global_store_short_d16_hi v[34:35], v36, off offset:32
	v_mul_f32_e32 v34, v52, v36
	v_lshrrev_b32_e32 v43, 16, v34
.LBB245_84:
	s_or_b64 exec, exec, s[6:7]
	s_mov_b32 s6, 0x5040100
	v_accvgpr_read_b32 v37, a7
	v_perm_b32 v67, v43, v49, s6
	v_or_b32_e32 v43, v51, v57
	v_accvgpr_read_b32 v36, a6
	v_accvgpr_read_b32 v35, a5
	;; [unrolled: 1-line block ×3, first 2 shown]
	v_perm_b32 v66, v47, v45, s6
	v_lshlrev_b32_e32 v43, 1, v43
	v_mov_b32_e32 v47, 0
	v_mov_b32_e32 v45, 0
	ds_write_b64 v43, v[66:67] offset:24576
	s_and_saveexec_b64 s[6:7], vcc
	s_cbranch_execz .LBB245_86
; %bb.85:
	v_mov_b32_e32 v45, 0
	v_lshl_add_u64 v[66:67], v[40:41], 0, v[44:45]
	global_load_ushort v43, v[66:67], off offset:64
	v_lshl_add_u64 v[66:67], v[38:39], 0, v[44:45]
	s_waitcnt vmcnt(0)
	v_lshlrev_b32_e32 v43, 16, v43
	v_sub_f32_e32 v34, v43, v34
	global_store_short_d16_hi v[66:67], v34, off offset:64
	v_mul_f32_e32 v34, v55, v34
	v_lshrrev_b32_e32 v45, 16, v34
.LBB245_86:
	s_or_b64 exec, exec, s[6:7]
	s_and_saveexec_b64 s[6:7], s[2:3]
	s_cbranch_execz .LBB245_88
; %bb.87:
	v_mov_b32_e32 v47, 0
	v_lshl_add_u64 v[66:67], v[40:41], 0, v[46:47]
	global_load_ushort v34, v[66:67], off offset:64
	v_lshl_add_u64 v[66:67], v[38:39], 0, v[46:47]
	s_waitcnt vmcnt(0)
	v_lshlrev_b32_e32 v34, 16, v34
	v_sub_f32_e32 v34, v34, v35
	global_store_short_d16_hi v[66:67], v34, off offset:64
	v_mul_f32_e32 v34, v54, v34
	v_lshrrev_b32_e32 v47, 16, v34
.LBB245_88:
	s_or_b64 exec, exec, s[6:7]
	v_mov_b32_e32 v43, 0
	v_mov_b32_e32 v49, 0
	s_and_saveexec_b64 s[6:7], s[4:5]
	s_cbranch_execz .LBB245_90
; %bb.89:
	v_mov_b32_e32 v49, 0
	v_lshl_add_u64 v[34:35], v[40:41], 0, v[48:49]
	global_load_ushort v57, v[34:35], off offset:64
	v_lshl_add_u64 v[34:35], v[38:39], 0, v[48:49]
	s_waitcnt vmcnt(0)
	v_lshlrev_b32_e32 v49, 16, v57
	v_sub_f32_e32 v36, v49, v36
	global_store_short_d16_hi v[34:35], v36, off offset:64
	v_mul_f32_e32 v34, v64, v36
	v_lshrrev_b32_e32 v49, 16, v34
.LBB245_90:
	s_or_b64 exec, exec, s[6:7]
	s_and_saveexec_b64 s[6:7], s[0:1]
	s_cbranch_execz .LBB245_92
; %bb.91:
	v_mov_b32_e32 v43, 0
	v_lshl_add_u64 v[34:35], v[40:41], 0, v[42:43]
	global_load_ushort v36, v[34:35], off offset:64
	v_lshl_add_u64 v[34:35], v[38:39], 0, v[42:43]
	s_waitcnt vmcnt(0)
	v_lshlrev_b32_e32 v36, 16, v36
	v_sub_f32_e32 v36, v36, v37
	global_store_short_d16_hi v[34:35], v36, off offset:64
	v_mul_f32_e32 v34, v52, v36
	v_lshrrev_b32_e32 v43, 16, v34
.LBB245_92:
	s_or_b64 exec, exec, s[6:7]
	s_mov_b32 s6, 0x5040100
	v_accvgpr_read_b32 v37, a3
	v_perm_b32 v67, v43, v49, s6
	v_or_b32_e32 v43, v51, v56
	v_accvgpr_read_b32 v36, a2
	v_accvgpr_read_b32 v35, a1
	;; [unrolled: 1-line block ×3, first 2 shown]
	v_perm_b32 v66, v47, v45, s6
	v_lshlrev_b32_e32 v43, 1, v43
	v_mov_b32_e32 v47, 0
	v_mov_b32_e32 v45, 0
	ds_write_b64 v43, v[66:67] offset:24576
	s_and_saveexec_b64 s[6:7], vcc
	s_cbranch_execz .LBB245_94
; %bb.93:
	v_mov_b32_e32 v45, 0
	v_lshl_add_u64 v[56:57], v[40:41], 0, v[44:45]
	global_load_ushort v43, v[56:57], off offset:96
	v_lshl_add_u64 v[44:45], v[38:39], 0, v[44:45]
	s_waitcnt vmcnt(0)
	v_lshlrev_b32_e32 v43, 16, v43
	v_sub_f32_e32 v34, v43, v34
	global_store_short_d16_hi v[44:45], v34, off offset:96
	v_mul_f32_e32 v34, v55, v34
	v_lshrrev_b32_e32 v45, 16, v34
.LBB245_94:
	s_or_b64 exec, exec, s[6:7]
	s_and_saveexec_b64 s[6:7], s[2:3]
	s_cbranch_execz .LBB245_96
; %bb.95:
	v_mov_b32_e32 v47, 0
	v_lshl_add_u64 v[56:57], v[40:41], 0, v[46:47]
	global_load_ushort v34, v[56:57], off offset:96
	v_lshl_add_u64 v[46:47], v[38:39], 0, v[46:47]
	s_waitcnt vmcnt(0)
	v_lshlrev_b32_e32 v34, 16, v34
	v_sub_f32_e32 v34, v34, v35
	global_store_short_d16_hi v[46:47], v34, off offset:96
	v_mul_f32_e32 v34, v54, v34
	v_lshrrev_b32_e32 v47, 16, v34
.LBB245_96:
	s_or_b64 exec, exec, s[6:7]
	v_mov_b32_e32 v43, 0
	v_mov_b32_e32 v46, 0
	s_and_saveexec_b64 s[2:3], s[4:5]
	s_cbranch_execz .LBB245_98
; %bb.97:
	v_mov_b32_e32 v49, 0
	v_lshl_add_u64 v[34:35], v[40:41], 0, v[48:49]
	global_load_ushort v44, v[34:35], off offset:96
	v_lshl_add_u64 v[34:35], v[38:39], 0, v[48:49]
	s_waitcnt vmcnt(0)
	v_lshlrev_b32_e32 v44, 16, v44
	v_sub_f32_e32 v36, v44, v36
	global_store_short_d16_hi v[34:35], v36, off offset:96
	v_mul_f32_e32 v34, v64, v36
	v_lshrrev_b32_e32 v46, 16, v34
.LBB245_98:
	s_or_b64 exec, exec, s[2:3]
	v_or_b32_e32 v44, 0x6000, v60
	v_or_b32_e32 v36, 0x6000, v61
	;; [unrolled: 1-line block ×4, first 2 shown]
	s_and_saveexec_b64 s[2:3], s[0:1]
	s_cbranch_execz .LBB245_100
; %bb.99:
	v_mov_b32_e32 v43, 0
	v_lshl_add_u64 v[40:41], v[40:41], 0, v[42:43]
	global_load_ushort v40, v[40:41], off offset:96
	v_lshl_add_u64 v[38:39], v[38:39], 0, v[42:43]
	s_waitcnt vmcnt(0)
	v_lshlrev_b32_e32 v40, 16, v40
	v_sub_f32_e32 v37, v40, v37
	global_store_short_d16_hi v[38:39], v37, off offset:96
	v_mul_f32_e32 v37, v52, v37
	v_lshrrev_b32_e32 v43, 16, v37
.LBB245_100:
	s_or_b64 exec, exec, s[2:3]
	s_mov_b32 s0, 0x5040100
	v_or_b32_e32 v37, v51, v53
	v_perm_b32 v39, v43, v46, s0
	v_perm_b32 v38, v47, v45, s0
	v_lshlrev_b32_e32 v37, 1, v37
	s_movk_i32 s0, 0x100
	ds_write_b64 v37, v[38:39] offset:24576
	v_and_b32_e32 v37, 7, v0
	v_and_b32_e32 v38, 8, v0
	v_cmp_gt_u32_e32 vcc, s0, v0
	v_lshrrev_b32_e32 v0, 1, v0
	v_mov_b32_e32 v39, 0xa000
	v_mov_b32_e32 v40, 0x8000
	v_lshlrev_b32_e32 v58, 3, v74
	v_and_b32_e32 v0, 24, v0
	v_cndmask_b32_e32 v51, v39, v40, vcc
	v_xor_b32_e32 v39, v58, v0
	v_or_b32_e32 v40, 0x440, v39
	v_cmp_eq_u32_e32 vcc, 0, v38
	v_lshlrev_b32_e32 v45, 3, v37
	v_lshlrev_b32_e32 v37, 7, v37
	v_cndmask_b32_e32 v38, v40, v39, vcc
	v_or_b32_e32 v38, v38, v59
	v_xad_u32 v72, v38, v45, v37
	v_add_u32_e32 v38, v51, v72
	s_waitcnt lgkmcnt(0)
	s_barrier
	ds_read_b64 v[42:43], v38
	ds_read2_b64 v[38:41], v44 offset1:16
	ds_read2_b64 v[46:49], v44 offset0:32 offset1:48
	v_or_b32_e32 v52, 32, v0
	v_xor_b32_e32 v52, v58, v52
	v_or_b32_e32 v53, 0x440, v52
	v_cndmask_b32_e32 v52, v53, v52, vcc
	s_waitcnt lgkmcnt(1)
	v_mfma_f32_16x16x16_bf16 a[0:3], v[42:43], v[38:39], 0
	v_or_b32_e32 v52, v52, v59
	v_xad_u32 v73, v52, v45, v37
	v_add_u32_e32 v52, v51, v73
	v_mfma_f32_16x16x16_bf16 a[4:7], v[42:43], v[40:41], 0
	ds_read_b64 v[56:57], v52
	ds_read2st64_b64 v[60:63], v36 offset0:4 offset1:8
	ds_read2st64_b64 v[64:67], v35 offset0:4 offset1:8
	s_waitcnt lgkmcnt(3)
	v_mfma_f32_16x16x16_bf16 a[8:11], v[42:43], v[46:47], 0
	ds_read2st64_b64 v[68:71], v34 offset0:4 offset1:8
	v_mfma_f32_16x16x16_bf16 a[12:15], v[42:43], v[48:49], 0
	v_or_b32_e32 v42, 64, v0
	v_xor_b32_e32 v42, v58, v42
	v_xor_b32_e32 v43, 0x440, v42
	v_cndmask_b32_e32 v42, v43, v42, vcc
	v_or_b32_e32 v42, v42, v59
	v_xad_u32 v74, v42, v45, v37
	v_add_u32_e32 v42, v51, v74
	ds_read_b64 v[42:43], v42
	ds_read2st64_b64 v[52:55], v44 offset0:4 offset1:8
	v_or_b32_e32 v0, 0x60, v0
	v_xor_b32_e32 v0, v58, v0
	s_waitcnt lgkmcnt(0)
	v_mfma_f32_16x16x16_bf16 a[0:3], v[56:57], v[52:53], a[0:3]
	v_mfma_f32_16x16x16_bf16 a[4:7], v[56:57], v[60:61], a[4:7]
	;; [unrolled: 1-line block ×4, first 2 shown]
	v_xor_b32_e32 v56, 0x440, v0
	v_cndmask_b32_e32 v0, v56, v0, vcc
	v_or_b32_e32 v0, v0, v59
	v_xad_u32 v0, v0, v45, v37
	v_add_u32_e32 v37, v51, v0
	v_mfma_f32_16x16x16_bf16 a[0:3], v[42:43], v[54:55], a[0:3]
	ds_read_b64 v[56:57], v37
	ds_read_b64 v[44:45], v44 offset:6144
	v_mfma_f32_16x16x16_bf16 a[4:7], v[42:43], v[62:63], a[4:7]
	v_mfma_f32_16x16x16_bf16 a[8:11], v[42:43], v[66:67], a[8:11]
	;; [unrolled: 1-line block ×3, first 2 shown]
	ds_read_b64 v[36:37], v36 offset:6144
	ds_read_b64 v[42:43], v35 offset:6144
	;; [unrolled: 1-line block ×3, first 2 shown]
	s_waitcnt lgkmcnt(3)
	v_mfma_f32_16x16x16_bf16 a[0:3], v[56:57], v[44:45], a[0:3]
	s_waitcnt lgkmcnt(2)
	v_mfma_f32_16x16x16_bf16 a[4:7], v[56:57], v[36:37], a[4:7]
	s_waitcnt lgkmcnt(1)
	v_mfma_f32_16x16x16_bf16 a[8:11], v[56:57], v[42:43], a[8:11]
	s_waitcnt lgkmcnt(0)
	v_mfma_f32_16x16x16_bf16 a[12:15], v[56:57], v[34:35], a[12:15]
	ds_read_b64 v[56:57], v72 offset:40960
	s_waitcnt lgkmcnt(0)
	v_mfma_f32_16x16x16_bf16 a[20:23], v[56:57], v[40:41], 0
	v_mov_b32_e32 v40, 0x3fb8aa3b
	v_mul_f32_e32 v40, s20, v40
	v_mfma_f32_16x16x16_bf16 a[24:27], v[56:57], v[46:47], 0
	v_exp_f32_e32 v46, v40
	v_accvgpr_read_b32 v40, a0
	v_accvgpr_read_b32 v47, a3
	v_mfma_f32_16x16x16_bf16 a[16:19], v[56:57], v[38:39], 0
	ds_read_b64 v[38:39], v73 offset:40960
	v_fma_f32 v30, v46, v30, v40
	v_accvgpr_read_b32 v40, a1
	v_fma_f32 v31, v46, v31, v40
	v_accvgpr_read_b32 v40, a2
	v_mfma_f32_16x16x16_bf16 a[28:31], v[56:57], v[48:49], 0
	v_fma_f32 v32, v46, v32, v40
	ds_read_b64 v[40:41], v74 offset:40960
	v_fmac_f32_e32 v47, v46, v33
	s_waitcnt lgkmcnt(1)
	v_mfma_f32_16x16x16_bf16 a[16:19], v[38:39], v[52:53], a[16:19]
	v_accvgpr_read_b32 v33, a4
	v_fma_f32 v22, v46, v22, v33
	v_accvgpr_read_b32 v33, a5
	v_mfma_f32_16x16x16_bf16 a[20:23], v[38:39], v[60:61], a[20:23]
	v_fma_f32 v23, v46, v23, v33
	v_accvgpr_read_b32 v33, a6
	v_accvgpr_read_b32 v48, a7
	v_mfma_f32_16x16x16_bf16 a[24:27], v[38:39], v[64:65], a[24:27]
	v_fmac_f32_e32 v48, v46, v25
	v_accvgpr_read_b32 v25, a8
	v_fma_f32 v24, v46, v24, v33
	v_mfma_f32_16x16x16_bf16 a[0:3], v[38:39], v[68:69], a[28:31]
	ds_read_b64 v[38:39], v0 offset:40960
	v_accvgpr_read_b32 v0, a9
	v_fma_f32 v15, v46, v15, v0
	s_waitcnt lgkmcnt(1)
	v_mfma_f32_16x16x16_bf16 a[4:7], v[40:41], v[62:63], a[20:23]
	v_accvgpr_read_b32 v0, a10
	v_fma_f32 v16, v46, v16, v0
	v_accvgpr_read_b32 v0, a11
	v_mfma_f32_16x16x16_bf16 a[16:19], v[40:41], v[54:55], a[16:19]
	v_fmac_f32_e32 v0, v46, v17
	v_accvgpr_read_b32 v17, a12
	v_fma_f32 v2, v46, v2, v17
	v_mfma_f32_16x16x16_bf16 a[20:23], v[40:41], v[66:67], a[24:27]
	v_accvgpr_read_b32 v17, a13
	v_fma_f32 v3, v46, v3, v17
	v_accvgpr_read_b32 v17, a14
	v_mfma_f32_16x16x16_bf16 a[0:3], v[40:41], v[70:71], a[0:3]
	v_fma_f32 v4, v46, v4, v17
	v_fma_f32 v14, v46, v14, v25
	v_mov_b32_e32 v33, v47
	s_waitcnt lgkmcnt(0)
	v_mfma_f32_16x16x16_bf16 a[4:7], v[38:39], v[36:37], a[4:7]
	v_accvgpr_read_b32 v36, a15
	v_fmac_f32_e32 v36, v46, v5
	v_mov_b32_e32 v25, v48
	v_mfma_f32_16x16x16_bf16 a[8:11], v[38:39], v[44:45], a[16:19]
	v_mfma_f32_16x16x16_bf16 a[16:19], v[38:39], v[42:43], a[20:23]
	s_nop 1
	v_accvgpr_read_b32 v17, a4
	v_fma_f32 v18, v46, v18, v17
	v_accvgpr_read_b32 v17, a5
	v_mfma_f32_16x16x16_bf16 a[0:3], v[38:39], v[34:35], a[0:3]
	v_accvgpr_read_b32 v5, a8
	v_fma_f32 v19, v46, v19, v17
	v_accvgpr_read_b32 v17, a6
	v_fma_f32 v26, v46, v26, v5
	v_accvgpr_read_b32 v5, a9
	v_fma_f32 v20, v46, v20, v17
	v_accvgpr_read_b32 v17, a7
	v_accvgpr_read_b32 v34, a19
	v_fma_f32 v27, v46, v27, v5
	v_accvgpr_read_b32 v5, a10
	v_fmac_f32_e32 v17, v46, v21
	v_accvgpr_read_b32 v21, a16
	v_fmac_f32_e32 v34, v46, v13
	v_accvgpr_read_b32 v13, a0
	v_fma_f32 v28, v46, v28, v5
	v_accvgpr_read_b32 v5, a11
	v_fma_f32 v10, v46, v10, v21
	;; [unrolled: 2-line block ×3, first 2 shown]
	v_accvgpr_read_b32 v13, a1
	v_accvgpr_read_b32 v35, a3
	v_fmac_f32_e32 v5, v46, v29
	v_fma_f32 v11, v46, v11, v21
	v_accvgpr_read_b32 v21, a18
	v_fma_f32 v7, v46, v7, v13
	v_accvgpr_read_b32 v13, a2
	v_fmac_f32_e32 v35, v46, v9
	v_fma_f32 v12, v46, v12, v21
	v_fma_f32 v8, v46, v8, v13
	v_mov_b32_e32 v29, v5
	v_mov_b32_e32 v21, v17
	;; [unrolled: 1-line block ×7, first 2 shown]
.LBB245_101:
	s_mul_i32 s0, s47, s35
	s_mul_hi_u32 s1, s47, s34
	s_add_i32 s0, s1, s0
	s_mul_i32 s1, s33, s34
	s_add_i32 s1, s0, s1
	s_mul_i32 s0, s47, s34
	s_add_u32 s0, s0, s46
	s_addc_u32 s1, s1, s37
	s_lshl_b64 s[0:1], s[0:1], 16
	s_add_u32 s0, s8, s0
	v_lshlrev_b32_e32 v34, 7, v34
	s_addc_u32 s1, s9, s1
	v_ashrrev_i32_e32 v35, 31, v34
	v_lshl_add_u64 v[36:37], v[34:35], 2, s[0:1]
	v_lshlrev_b32_e32 v0, 2, v1
	v_mov_b32_e32 v1, 0
	v_lshl_add_u64 v[36:37], v[36:37], 0, v[0:1]
	global_store_dwordx4 v[36:37], v[30:33], off
	global_store_dwordx4 v[36:37], v[26:29], off offset:256
	s_nop 1
	v_or_b32_e32 v26, 0x800, v34
	v_ashrrev_i32_e32 v27, 31, v26
	v_lshl_add_u64 v[26:27], v[26:27], 2, s[0:1]
	v_lshl_add_u64 v[26:27], v[26:27], 0, v[0:1]
	global_store_dwordx4 v[26:27], v[22:25], off
	global_store_dwordx4 v[26:27], v[18:21], off offset:256
	s_nop 1
	v_or_b32_e32 v18, 0x1000, v34
	v_ashrrev_i32_e32 v19, 31, v18
	v_lshl_add_u64 v[18:19], v[18:19], 2, s[0:1]
	;; [unrolled: 7-line block ×3, first 2 shown]
	v_lshl_add_u64 v[0:1], v[10:11], 0, v[0:1]
	global_store_dwordx4 v[0:1], v[2:5], off
	global_store_dwordx4 v[0:1], v[6:9], off offset:256
	s_endpgm
	.section	.rodata,"a",@progbits
	.p2align	6, 0x0
	.amdhsa_kernel _ZN12_GLOBAL__N_139chunk_gated_delta_rule_fwd_h_hip_kernelILi64ELb0ELb1ELb1ELb1ELb0ELb0ELb0ELb0EEEvPK12hip_bfloat16S3_S3_PKfS5_PKvPS1_S8_PvPKiSB_iiiiilll
		.amdhsa_group_segment_fixed_size 65536
		.amdhsa_private_segment_fixed_size 0
		.amdhsa_kernarg_size 136
		.amdhsa_user_sgpr_count 2
		.amdhsa_user_sgpr_dispatch_ptr 0
		.amdhsa_user_sgpr_queue_ptr 0
		.amdhsa_user_sgpr_kernarg_segment_ptr 1
		.amdhsa_user_sgpr_dispatch_id 0
		.amdhsa_user_sgpr_kernarg_preload_length 0
		.amdhsa_user_sgpr_kernarg_preload_offset 0
		.amdhsa_user_sgpr_private_segment_size 0
		.amdhsa_uses_dynamic_stack 0
		.amdhsa_enable_private_segment 0
		.amdhsa_system_sgpr_workgroup_id_x 1
		.amdhsa_system_sgpr_workgroup_id_y 1
		.amdhsa_system_sgpr_workgroup_id_z 0
		.amdhsa_system_sgpr_workgroup_info 0
		.amdhsa_system_vgpr_workitem_id 0
		.amdhsa_next_free_vgpr 216
		.amdhsa_next_free_sgpr 67
		.amdhsa_accum_offset 180
		.amdhsa_reserve_vcc 1
		.amdhsa_float_round_mode_32 0
		.amdhsa_float_round_mode_16_64 0
		.amdhsa_float_denorm_mode_32 3
		.amdhsa_float_denorm_mode_16_64 3
		.amdhsa_dx10_clamp 1
		.amdhsa_ieee_mode 1
		.amdhsa_fp16_overflow 0
		.amdhsa_tg_split 0
		.amdhsa_exception_fp_ieee_invalid_op 0
		.amdhsa_exception_fp_denorm_src 0
		.amdhsa_exception_fp_ieee_div_zero 0
		.amdhsa_exception_fp_ieee_overflow 0
		.amdhsa_exception_fp_ieee_underflow 0
		.amdhsa_exception_fp_ieee_inexact 0
		.amdhsa_exception_int_div_zero 0
	.end_amdhsa_kernel
	.section	.text._ZN12_GLOBAL__N_139chunk_gated_delta_rule_fwd_h_hip_kernelILi64ELb0ELb1ELb1ELb1ELb0ELb0ELb0ELb0EEEvPK12hip_bfloat16S3_S3_PKfS5_PKvPS1_S8_PvPKiSB_iiiiilll,"axG",@progbits,_ZN12_GLOBAL__N_139chunk_gated_delta_rule_fwd_h_hip_kernelILi64ELb0ELb1ELb1ELb1ELb0ELb0ELb0ELb0EEEvPK12hip_bfloat16S3_S3_PKfS5_PKvPS1_S8_PvPKiSB_iiiiilll,comdat
.Lfunc_end245:
	.size	_ZN12_GLOBAL__N_139chunk_gated_delta_rule_fwd_h_hip_kernelILi64ELb0ELb1ELb1ELb1ELb0ELb0ELb0ELb0EEEvPK12hip_bfloat16S3_S3_PKfS5_PKvPS1_S8_PvPKiSB_iiiiilll, .Lfunc_end245-_ZN12_GLOBAL__N_139chunk_gated_delta_rule_fwd_h_hip_kernelILi64ELb0ELb1ELb1ELb1ELb0ELb0ELb0ELb0EEEvPK12hip_bfloat16S3_S3_PKfS5_PKvPS1_S8_PvPKiSB_iiiiilll
                                        ; -- End function
	.section	.AMDGPU.csdata,"",@progbits
; Kernel info:
; codeLenInByte = 12652
; NumSgprs: 73
; NumVgprs: 180
; NumAgprs: 36
; TotalNumVgprs: 216
; ScratchSize: 0
; MemoryBound: 0
; FloatMode: 240
; IeeeMode: 1
; LDSByteSize: 65536 bytes/workgroup (compile time only)
; SGPRBlocks: 9
; VGPRBlocks: 26
; NumSGPRsForWavesPerEU: 73
; NumVGPRsForWavesPerEU: 216
; AccumOffset: 180
; Occupancy: 1
; WaveLimiterHint : 1
; COMPUTE_PGM_RSRC2:SCRATCH_EN: 0
; COMPUTE_PGM_RSRC2:USER_SGPR: 2
; COMPUTE_PGM_RSRC2:TRAP_HANDLER: 0
; COMPUTE_PGM_RSRC2:TGID_X_EN: 1
; COMPUTE_PGM_RSRC2:TGID_Y_EN: 1
; COMPUTE_PGM_RSRC2:TGID_Z_EN: 0
; COMPUTE_PGM_RSRC2:TIDIG_COMP_CNT: 0
; COMPUTE_PGM_RSRC3_GFX90A:ACCUM_OFFSET: 44
; COMPUTE_PGM_RSRC3_GFX90A:TG_SPLIT: 0
	.section	.text._ZN12_GLOBAL__N_139chunk_gated_delta_rule_fwd_h_hip_kernelILi64ELb0ELb1ELb0ELb1ELb0ELb0ELb0ELb0EEEvPK12hip_bfloat16S3_S3_PKfS5_PKvPS1_S8_PvPKiSB_iiiiilll,"axG",@progbits,_ZN12_GLOBAL__N_139chunk_gated_delta_rule_fwd_h_hip_kernelILi64ELb0ELb1ELb0ELb1ELb0ELb0ELb0ELb0EEEvPK12hip_bfloat16S3_S3_PKfS5_PKvPS1_S8_PvPKiSB_iiiiilll,comdat
	.globl	_ZN12_GLOBAL__N_139chunk_gated_delta_rule_fwd_h_hip_kernelILi64ELb0ELb1ELb0ELb1ELb0ELb0ELb0ELb0EEEvPK12hip_bfloat16S3_S3_PKfS5_PKvPS1_S8_PvPKiSB_iiiiilll ; -- Begin function _ZN12_GLOBAL__N_139chunk_gated_delta_rule_fwd_h_hip_kernelILi64ELb0ELb1ELb0ELb1ELb0ELb0ELb0ELb0EEEvPK12hip_bfloat16S3_S3_PKfS5_PKvPS1_S8_PvPKiSB_iiiiilll
	.p2align	8
	.type	_ZN12_GLOBAL__N_139chunk_gated_delta_rule_fwd_h_hip_kernelILi64ELb0ELb1ELb0ELb1ELb0ELb0ELb0ELb0EEEvPK12hip_bfloat16S3_S3_PKfS5_PKvPS1_S8_PvPKiSB_iiiiilll,@function
_ZN12_GLOBAL__N_139chunk_gated_delta_rule_fwd_h_hip_kernelILi64ELb0ELb1ELb0ELb1ELb0ELb0ELb0ELb0EEEvPK12hip_bfloat16S3_S3_PKfS5_PKvPS1_S8_PvPKiSB_iiiiilll: ; @_ZN12_GLOBAL__N_139chunk_gated_delta_rule_fwd_h_hip_kernelILi64ELb0ELb1ELb0ELb1ELb0ELb0ELb0ELb0EEEvPK12hip_bfloat16S3_S3_PKfS5_PKvPS1_S8_PvPKiSB_iiiiilll
; %bb.0:
	s_load_dwordx4 s[16:19], s[0:1], 0x5c
	s_abs_i32 s23, s3
	s_ashr_i32 s22, s3, 31
	s_load_dwordx2 s[20:21], s[0:1], 0x50
	s_load_dwordx8 s[4:11], s[0:1], 0x0
	s_load_dwordx4 s[12:15], s[0:1], 0x40
	s_load_dwordx2 s[38:39], s[0:1], 0x30
	s_waitcnt lgkmcnt(0)
	s_abs_i32 s26, s17
	v_cvt_f32_u32_e32 v1, s26
	s_sub_i32 s24, 0, s26
	s_ashr_i32 s33, s17, 31
	s_xor_b32 s22, s22, s33
	v_rcp_iflag_f32_e32 v1, v1
	v_lshrrev_b32_e32 v72, 6, v0
	v_bfe_u32 v75, v0, 4, 2
	v_lshlrev_b32_e32 v73, 4, v72
	v_mul_f32_e32 v1, 0x4f7ffffe, v1
	v_cvt_u32_f32_e32 v1, v1
	v_lshlrev_b32_e32 v34, 2, v75
	v_and_b32_e32 v74, 63, v0
	v_mov_b32_e32 v5, 0
	v_readfirstlane_b32 s25, v1
	s_mul_i32 s24, s24, s25
	s_mul_hi_u32 s24, s25, s24
	s_add_i32 s25, s25, s24
	s_mul_hi_u32 s24, s23, s25
	s_mul_i32 s25, s24, s26
	s_sub_i32 s23, s23, s25
	s_add_i32 s27, s24, 1
	s_sub_i32 s25, s23, s26
	s_cmp_ge_u32 s23, s26
	s_cselect_b32 s24, s27, s24
	s_cselect_b32 s23, s25, s23
	s_add_i32 s25, s24, 1
	s_cmp_ge_u32 s23, s26
	s_cselect_b32 s23, s25, s24
	s_xor_b32 s23, s23, s22
	s_sub_i32 s34, s23, s22
	s_mul_i32 s22, s34, s17
	s_ashr_i32 s35, s34, 31
	s_sub_i32 s44, s3, s22
	s_lshl_b64 s[22:23], s[34:35], 2
	s_add_u32 s14, s14, s22
	s_addc_u32 s15, s15, s23
	s_add_u32 s24, s20, s22
	s_addc_u32 s25, s21, s23
	s_abs_i32 s3, s18
	v_cvt_f32_u32_e32 v1, s3
	s_load_dwordx2 s[36:37], s[14:15], 0x0
	s_sub_i32 s15, 0, s3
	s_mov_b32 s45, s17
	v_rcp_iflag_f32_e32 v1, v1
	v_and_b32_e32 v76, 15, v0
	s_waitcnt lgkmcnt(0)
	s_sub_i32 s54, s37, s36
	s_ashr_i32 s14, s54, 31
	v_mul_f32_e32 v1, 0x4f7ffffe, v1
	v_cvt_u32_f32_e32 v1, v1
	s_lshr_b32 s14, s14, 26
	s_add_i32 s14, s54, s14
	s_ashr_i32 s49, s14, 6
	v_readfirstlane_b32 s20, v1
	s_mul_i32 s15, s15, s20
	s_mul_hi_u32 s15, s20, s15
	s_add_i32 s20, s20, s15
	s_mul_hi_u32 s15, s26, s20
	s_mul_i32 s20, s15, s3
	s_ashr_i32 s14, s18, 31
	s_sub_i32 s20, s26, s20
	s_xor_b32 s14, s33, s14
	s_add_i32 s21, s15, 1
	s_sub_i32 s22, s20, s3
	s_cmp_ge_u32 s20, s3
	s_cselect_b32 s15, s21, s15
	s_cselect_b32 s20, s22, s20
	s_add_i32 s21, s15, 1
	s_cmp_ge_u32 s20, s3
	s_cselect_b32 s3, s21, s15
	s_xor_b32 s3, s3, s14
	s_sub_i32 s3, s3, s14
	s_abs_i32 s26, s3
	v_cvt_f32_u32_e32 v1, s26
	s_load_dwordx2 s[14:15], s[0:1], 0x80
	s_load_dwordx4 s[20:23], s[0:1], 0x70
	s_load_dword s50, s[24:25], 0x0
	s_xor_b32 s0, s44, s3
	v_rcp_iflag_f32_e32 v1, v1
	s_sub_i32 s3, 0, s26
	s_abs_i32 s1, s44
	s_ashr_i32 s0, s0, 31
	v_mul_f32_e32 v1, 0x4f7ffffe, v1
	v_cvt_u32_f32_e32 v1, v1
	s_mul_hi_i32 s51, s44, s16
	s_mul_i32 s52, s44, s16
	v_lshrrev_b32_e32 v78, 3, v74
	v_readfirstlane_b32 s24, v1
	s_mul_i32 s3, s3, s24
	s_mul_hi_u32 s3, s24, s3
	s_add_i32 s24, s24, s3
	s_mul_hi_u32 s3, s1, s24
	s_mul_i32 s24, s3, s26
	s_sub_i32 s1, s1, s24
	s_add_i32 s24, s3, 1
	s_sub_i32 s25, s1, s26
	s_cmp_ge_u32 s1, s26
	s_cselect_b32 s3, s24, s3
	s_cselect_b32 s1, s25, s1
	s_add_i32 s24, s3, 1
	s_cmp_ge_u32 s1, s26
	s_cselect_b32 s1, s24, s3
	s_xor_b32 s1, s1, s0
	s_sub_i32 s53, s1, s0
	v_or_b32_e32 v1, v34, v73
	s_lshl_b32 s2, s2, 6
	v_or_b32_e32 v79, 64, v1
	s_cmp_lt_i32 s54, 64
	v_lshlrev_b32_e32 v77, 3, v0
	s_waitcnt lgkmcnt(0)
	s_mul_i32 s46, s34, s21
	s_mul_hi_u32 s47, s34, s20
	s_mul_i32 s48, s35, s20
	s_mul_i32 s20, s34, s20
	v_mov_b32_e32 v4, v5
	v_mov_b32_e32 v3, v5
	;; [unrolled: 1-line block ×31, first 2 shown]
	s_cbranch_scc1 .LBB246_18
; %bb.1:
	s_ashr_i32 s56, s44, 31
	s_ashr_i32 s1, s36, 31
	s_add_u32 s0, s52, s36
	s_addc_u32 s1, s51, s1
	s_lshl_b64 s[0:1], s[0:1], 8
	v_and_b32_e32 v81, 56, v77
	s_add_u32 s24, s6, s0
	v_lshl_or_b32 v80, v72, 3, v78
	v_lshlrev_b32_e32 v2, 1, v81
	s_addc_u32 s0, s7, s1
	v_lshl_or_b32 v82, v80, 8, v2
	s_and_b32 s25, s0, 0xffff
	s_mov_b32 s27, 0x20000
	s_movk_i32 s26, 0x4000
	s_movk_i32 s0, 0x80
	v_or_b32_e32 v83, 0x2000, v82
	buffer_load_dwordx4 v[4:7], v82, s[24:27], 0 offen
	buffer_load_dwordx4 v[8:11], v82, s[24:27], s0 offen
	;; [unrolled: 1-line block ×4, first 2 shown]
	v_lshlrev_b32_e32 v3, 3, v80
	v_and_or_b32 v21, v0, 7, v3
	v_and_b32_e32 v3, 0x78, v3
	v_lshlrev_b32_e32 v21, 4, v21
	v_xor_b32_e32 v84, v21, v3
	v_mul_lo_u32 v20, v80, s19
	v_or_b32_e32 v85, 0x1000, v84
	v_xor_b32_e32 v3, 8, v84
	s_cmpk_eq_i32 s19, 0x80
	s_mov_b32 s55, s36
	v_xor_b32_e32 v21, 8, v85
	s_cselect_b64 s[0:1], -1, 0
	s_cmpk_lg_i32 s19, 0x80
	s_waitcnt vmcnt(3)
	ds_write_b64 v84, v[4:5] offset:49152
	ds_write_b64 v3, v[6:7] offset:49152
	s_waitcnt vmcnt(2)
	ds_write_b64 v84, v[8:9] offset:57344
	ds_write_b64 v3, v[10:11] offset:57344
	;; [unrolled: 3-line block ×4, first 2 shown]
	v_lshl_add_u32 v3, v20, 1, v81
	s_cbranch_scc0 .LBB246_3
; %bb.2:
	v_lshlrev_b32_e32 v5, 1, v3
	v_add_lshl_u32 v4, v3, s19, 1
	s_lshl_b32 s26, s19, 7
	v_lshl_or_b32 v2, v80, 9, v2
	s_cbranch_execz .LBB246_4
	s_branch .LBB246_5
.LBB246_3:
                                        ; implicit-def: $vgpr4
                                        ; implicit-def: $vgpr5
                                        ; implicit-def: $sgpr26
	v_lshl_or_b32 v2, v80, 9, v2
.LBB246_4:
	v_or_b32_e32 v4, 0x100, v2
	s_movk_i32 s26, 0x4000
	v_mov_b32_e32 v5, v2
.LBB246_5:
	s_mul_i32 s21, s36, s18
	s_ashr_i32 s57, s53, 31
	s_mul_hi_i32 s3, s36, s18
	s_add_u32 s24, s21, s53
	s_addc_u32 s25, s3, s57
	s_lshl_b64 s[24:25], s[24:25], 8
	s_add_u32 s24, s4, s24
	s_addc_u32 s3, s5, s25
	s_and_b32 s25, s3, 0xffff
	s_movk_i32 s58, 0x80
	buffer_load_dwordx4 v[6:9], v5, s[24:27], 0 offen
	buffer_load_dwordx4 v[10:13], v5, s[24:27], s58 offen
	;; [unrolled: 1-line block ×4, first 2 shown]
	v_and_b32_e32 v5, 6, v0
	v_lshlrev_b32_e32 v4, 7, v1
	v_xor_b32_e32 v27, v80, v5
	v_and_b32_e32 v22, 1, v0
	v_lshl_or_b32 v30, v76, 3, v4
	v_lshlrev_b32_e32 v27, 2, v27
	v_lshlrev_b32_e32 v23, 2, v76
	v_or_b32_e32 v86, 0x4000, v30
	v_or_b32_e32 v87, 0x6000, v30
	v_xor_b32_e32 v30, 0x440, v27
	v_cmp_eq_u32_e32 vcc, 0, v22
	v_or_b32_e32 v25, 16, v76
	v_or_b32_e32 v26, 32, v76
	v_xor_b32_e32 v28, v1, v23
	v_xor_b32_e32 v29, v79, v23
	v_cndmask_b32_e32 v22, v30, v27, vcc
	s_add_i32 s3, s47, s46
	s_mov_b32 s59, 0x1000504
	v_lshl_or_b32 v31, v25, 3, v4
	v_lshlrev_b32_e32 v25, 8, v25
	v_lshl_or_b32 v32, v26, 3, v4
	v_lshlrev_b32_e32 v28, 1, v28
	v_lshlrev_b32_e32 v29, 1, v29
	v_lshl_or_b32 v5, v5, 10, v22
	s_add_i32 s21, s3, s48
	s_mul_i32 s3, s44, s23
	s_mul_hi_u32 s24, s44, s22
	s_mov_b32 s60, 0x3020706
	v_lshlrev_b32_e32 v24, 8, v76
	v_or_b32_e32 v90, 0x4000, v32
	v_or_b32_e32 v91, 0x6000, v32
	;; [unrolled: 1-line block ×4, first 2 shown]
	v_xor_b32_e32 v22, 8, v5
	v_xor_b32_e32 v25, 24, v5
	;; [unrolled: 1-line block ×4, first 2 shown]
	s_add_i32 s3, s24, s3
	s_mul_i32 s24, s56, s22
	v_or_b32_e32 v88, 0x4000, v31
	v_or_b32_e32 v89, 0x6000, v31
	;; [unrolled: 1-line block ×4, first 2 shown]
	v_xor_b32_e32 v24, 16, v5
	v_xor_b32_e32 v27, 32, v5
	;; [unrolled: 1-line block ×3, first 2 shown]
	v_add_u32_e32 v22, 0x80, v22
	v_add_u32_e32 v25, 0x80, v25
	;; [unrolled: 1-line block ×4, first 2 shown]
	s_add_i32 s25, s3, s24
	s_lshl_b64 s[28:29], s[20:21], 2
	s_mul_i32 s24, s44, s22
	s_add_u32 s3, s10, s28
	s_addc_u32 s21, s11, s29
	s_lshl_b64 s[24:25], s[24:25], 2
	s_add_u32 s40, s3, s24
	s_movk_i32 s3, 0xf8
	s_addc_u32 s41, s21, s25
	s_lshl_b32 s30, s19, 7
	s_movk_i32 s21, 0x100
	v_mov_b32_e32 v67, 0
	v_lshlrev_b32_e32 v66, 4, v76
	v_cmp_gt_u32_e32 vcc, s21, v0
	v_lshlrev_b32_e32 v26, 8, v26
	s_mov_b32 s61, 0
	s_movk_i32 s26, 0x4000
	v_or_b32_e32 v96, v26, v28
	v_or_b32_e32 v97, v26, v29
	v_add_u32_e32 v126, v73, v34
	s_movk_i32 s21, 0x2000
	s_movk_i32 s62, 0x3000
	v_mov_b32_e32 v131, 0x3fb8aa3b
	v_mov_b32_e32 v26, v67
	s_waitcnt vmcnt(1)
	v_perm_b32 v33, v6, v14, s59
	s_waitcnt vmcnt(0)
	v_perm_b32 v35, v10, v18, s59
	v_perm_b32 v6, v6, v14, s60
	;; [unrolled: 1-line block ×15, first 2 shown]
	ds_write2st64_b32 v5, v33, v35 offset0:128 offset1:160
	ds_write2st64_b32 v22, v6, v10 offset0:128 offset1:160
	ds_write2st64_b32 v24, v14, v18 offset0:129 offset1:161
	ds_write2st64_b32 v25, v7, v11 offset0:129 offset1:161
	ds_write2st64_b32 v27, v15, v19 offset0:130 offset1:162
	ds_write2st64_b32 v30, v8, v12 offset0:130 offset1:162
	ds_write2st64_b32 v31, v16, v20 offset0:131 offset1:163
	ds_write2st64_b32 v32, v9, v13 offset0:131 offset1:163
	v_or_b32_e32 v5, 48, v76
	v_lshl_or_b32 v6, v5, 3, v4
	v_lshlrev_b32_e32 v5, 8, v5
	v_or_b32_e32 v100, v5, v28
	v_or_b32_e32 v101, v5, v29
	;; [unrolled: 1-line block ×3, first 2 shown]
	v_lshlrev_b32_e32 v5, 3, v5
	v_lshrrev_b32_e32 v7, 5, v74
	v_and_or_b32 v7, v5, s3, v7
	v_lshlrev_b32_e32 v7, 4, v7
	v_lshlrev_b32_e32 v10, 11, v72
	v_and_b32_e32 v5, 0x78, v5
	v_or_b32_e32 v13, 32, v7
	v_or_b32_e32 v98, 0x4000, v6
	;; [unrolled: 1-line block ×3, first 2 shown]
	v_and_b32_e32 v6, 0x1000, v10
	v_xor_b32_e32 v8, v7, v5
	v_lshrrev_b32_e32 v11, 1, v0
	v_xor_b32_e32 v13, v13, v5
	v_or_b32_e32 v8, v8, v6
	v_and_b32_e32 v9, 8, v11
	v_lshlrev_b32_e32 v12, 8, v75
	v_or_b32_e32 v13, v13, v6
	v_xor_b32_e32 v102, v8, v9
	v_or_b32_e32 v8, v12, v23
	v_xor_b32_e32 v104, v13, v9
	v_or_b32_e32 v13, 64, v7
	v_or_b32_e32 v7, 0x60, v7
	s_ashr_i32 s3, s2, 31
	v_lshlrev_b32_e32 v8, 1, v8
	v_xor_b32_e32 v13, v13, v5
	v_xor_b32_e32 v5, v7, v5
	s_lshl_b64 s[24:25], s[2:3], 8
	v_or_b32_e32 v103, 0x4000, v8
	v_or_b32_e32 v105, 0x4080, v8
	;; [unrolled: 1-line block ×10, first 2 shown]
	s_add_u32 s24, s38, s24
	v_lshlrev_b32_e32 v8, 1, v76
	v_xor_b32_e32 v108, v13, v9
	v_xor_b32_e32 v109, v5, v9
	v_lshrrev_b32_e32 v14, 4, v0
	s_addc_u32 s25, s39, s25
	v_or_b32_e32 v9, 1, v8
	v_mov_b32_e32 v18, 0xa000
	v_mov_b32_e32 v19, 0x8000
	v_xor_b32_e32 v15, v14, v8
	v_xor_b32_e32 v16, v9, v14
	v_lshl_add_u64 v[8:9], s[24:25], 0, v[66:67]
	v_lshlrev_b32_e32 v66, 8, v14
	v_cndmask_b32_e32 v18, v18, v19, vcc
	v_lshlrev_b32_e32 v19, 3, v72
	v_and_b32_e32 v11, 24, v11
	v_lshl_or_b32 v114, v15, 3, v66
	v_and_b32_e32 v15, 8, v0
	v_xor_b32_e32 v20, v19, v11
	v_or_b32_e32 v21, 0x440, v20
	v_cmp_eq_u32_e32 vcc, 0, v15
	v_and_b32_e32 v14, 7, v0
	v_lshl_or_b32 v115, v16, 3, v66
	v_cndmask_b32_e32 v15, v21, v20, vcc
	v_lshlrev_b32_e32 v16, 3, v14
	v_lshlrev_b32_e32 v14, 7, v14
	v_or_b32_e32 v15, v15, v10
	v_lshlrev_b32_e32 v17, 2, v0
	v_xad_u32 v116, v15, v16, v14
	v_or_b32_e32 v15, 32, v11
	v_and_or_b32 v12, v17, 60, v12
	v_xor_b32_e32 v15, v19, v15
	v_lshlrev_b32_e32 v12, 1, v12
	v_or_b32_e32 v17, 0x440, v15
	v_or_b32_e32 v117, 0x6000, v12
	v_cndmask_b32_e32 v15, v17, v15, vcc
	v_or_b32_e32 v119, 0x6080, v12
	v_or_b32_e32 v120, 0x6100, v12
	;; [unrolled: 1-line block ×5, first 2 shown]
	v_xor_b32_e32 v12, v19, v12
	v_xad_u32 v118, v15, v16, v14
	v_xor_b32_e32 v15, 0x440, v12
	v_cndmask_b32_e32 v12, v15, v12, vcc
	v_or_b32_e32 v11, 0x60, v11
	v_or_b32_e32 v12, v12, v10
	v_xor_b32_e32 v11, v19, v11
	v_xad_u32 v122, v12, v16, v14
	v_xor_b32_e32 v12, 0x440, v11
	v_cndmask_b32_e32 v11, v12, v11, vcc
	v_or_b32_e32 v6, s2, v76
	v_or_b32_e32 v10, v11, v10
	v_ashrrev_i32_e32 v7, 31, v6
	v_lshlrev_b32_e32 v5, 1, v3
	v_add_lshl_u32 v3, v3, s19, 1
	v_or_b32_e32 v13, 0x100, v2
	v_xad_u32 v123, v10, v16, v14
	v_cndmask_b32_e64 v124, v5, v2, s[0:1]
	v_cndmask_b32_e64 v125, v3, v13, s[0:1]
	v_lshl_add_u64 v[68:69], v[6:7], 1, s[8:9]
	v_lshl_add_u64 v[70:71], v[8:9], 0, v[66:67]
	s_mov_b32 s3, 0x7060302
	v_lshlrev_b32_e32 v66, 1, v4
	v_add_u32_e32 v127, v18, v116
	v_add_u32_e32 v128, v18, v118
	;; [unrolled: 1-line block ×4, first 2 shown]
	v_mov_b32_e32 v27, v67
	v_mov_b32_e32 v28, v67
	;; [unrolled: 1-line block ×31, first 2 shown]
	s_waitcnt lgkmcnt(0)
	s_barrier
.LBB246_6:                              ; =>This Inner Loop Header: Depth=1
	s_add_i32 s63, s61, 1
	s_cmp_lt_i32 s63, s49
	s_mov_b64 s[28:29], 0
	s_cselect_b64 s[42:43], -1, 0
	s_cmp_ge_i32 s63, s49
	s_mov_b64 s[24:25], 0
	s_cbranch_scc1 .LBB246_8
; %bb.7:                                ;   in Loop: Header=BB246_6 Depth=1
	s_add_i32 s0, s55, 64
	s_ashr_i32 s1, s0, 31
	s_add_u32 s0, s52, s0
	s_addc_u32 s1, s51, s1
	s_lshl_b64 s[0:1], s[0:1], 8
	s_add_u32 s24, s6, s0
	s_addc_u32 s25, s7, s1
.LBB246_8:                              ;   in Loop: Header=BB246_6 Depth=1
	v_cndmask_b32_e64 v34, 0, 1, s[42:43]
	v_cmp_ne_u32_e64 s[0:1], 1, v34
	s_andn2_b64 vcc, exec, s[42:43]
	s_cbranch_vccnz .LBB246_10
; %bb.9:                                ;   in Loop: Header=BB246_6 Depth=1
	s_add_i32 s28, s55, 64
	s_mul_hi_i32 s29, s28, s18
	s_mul_i32 s28, s28, s18
	s_add_u32 s28, s28, s53
	s_addc_u32 s29, s29, s57
	s_lshl_b64 s[28:29], s[28:29], 8
	s_add_u32 s28, s4, s28
	s_addc_u32 s29, s5, s29
.LBB246_10:                             ;   in Loop: Header=BB246_6 Depth=1
	v_perm_b32 v35, v33, v32, s3
	v_perm_b32 v34, v31, v30, s3
	v_perm_b32 v37, v29, v28, s3
	v_perm_b32 v36, v27, v26, s3
	ds_write_b64 v86, v[34:35]
	ds_write_b64 v87, v[36:37]
	ds_write_b64 v92, v[34:35]
	ds_write_b64 v93, v[36:37]
	v_perm_b32 v35, v25, v24, s3
	v_perm_b32 v34, v23, v22, s3
	v_perm_b32 v37, v21, v20, s3
	v_perm_b32 v36, v19, v18, s3
	ds_write_b64 v88, v[34:35]
	ds_write_b64 v89, v[36:37]
	ds_write_b64 v94, v[34:35]
	ds_write_b64 v95, v[36:37]
	;; [unrolled: 8-line block ×4, first 2 shown]
	s_waitcnt lgkmcnt(0)
	s_barrier
	ds_read_b64 v[38:39], v102 offset:49152
	ds_read2_b64 v[34:37], v103 offset1:16
	ds_read_b64 v[50:51], v105 offset:6144
	ds_read_b64 v[52:53], v103 offset:6144
	s_waitcnt lgkmcnt(2)
	v_mfma_f32_16x16x16_bf16 a[0:3], v[38:39], v[34:35], 0
	ds_read_b64 v[54:55], v104 offset:49152
	ds_read2st64_b64 v[42:45], v106 offset0:4 offset1:8
	ds_read2st64_b64 v[46:49], v107 offset0:4 offset1:8
	v_mfma_f32_16x16x16_bf16 a[4:7], v[38:39], v[36:37], 0
	ds_read2_b64 v[34:37], v103 offset0:32 offset1:48
	s_add_i32 s31, s55, 63
	s_ashr_i32 s42, s31, 31
	s_waitcnt lgkmcnt(0)
	v_mfma_f32_16x16x16_bf16 a[8:11], v[38:39], v[34:35], 0
	s_mul_i32 s43, s31, s15
	s_mul_hi_u32 s64, s31, s14
	s_add_i32 s43, s64, s43
	v_mfma_f32_16x16x16_bf16 a[12:15], v[38:39], v[36:37], 0
	ds_read2st64_b64 v[34:37], v103 offset0:4 offset1:8
	ds_read2st64_b64 v[38:41], v105 offset0:4 offset1:8
	s_mul_i32 s42, s42, s14
	s_waitcnt lgkmcnt(1)
	v_mfma_f32_16x16x16_bf16 a[0:3], v[54:55], v[34:35], a[0:3]
	s_add_i32 s43, s43, s42
	s_mul_i32 s42, s31, s14
	s_lshl_b64 s[42:43], s[42:43], 2
	s_waitcnt lgkmcnt(0)
	v_mfma_f32_16x16x16_bf16 a[4:7], v[54:55], v[38:39], a[4:7]
	s_add_u32 s42, s40, s42
	s_addc_u32 s43, s41, s43
	s_and_b64 vcc, exec, s[0:1]
	v_mfma_f32_16x16x16_bf16 a[8:11], v[54:55], v[42:43], a[8:11]
	ds_read_b64 v[34:35], v108 offset:49152
	ds_read_b64 v[38:39], v109 offset:49152
	;; [unrolled: 1-line block ×3, first 2 shown]
	v_mov_b32_e32 v134, 0
	v_mov_b32_e32 v133, 0
	v_mfma_f32_16x16x16_bf16 a[12:15], v[54:55], v[46:47], a[12:15]
	v_mov_b32_e32 v132, 0
	v_mov_b32_e32 v46, 0
	;; [unrolled: 1-line block ×3, first 2 shown]
	s_waitcnt lgkmcnt(2)
	v_mfma_f32_16x16x16_bf16 a[0:3], v[34:35], v[36:37], a[0:3]
	v_mov_b32_e32 v36, 0
	v_mov_b32_e32 v37, 0
	v_mfma_f32_16x16x16_bf16 a[16:19], v[34:35], v[40:41], a[4:7]
	v_mov_b32_e32 v40, 0
	v_mov_b32_e32 v41, 0
	;; [unrolled: 3-line block ×3, first 2 shown]
	v_mfma_f32_16x16x16_bf16 a[24:27], v[34:35], v[48:49], a[12:15]
	ds_read_b64 v[34:35], v106 offset:6144
	v_mov_b32_e32 v48, 0
	v_mov_b32_e32 v49, 0
	s_waitcnt lgkmcnt(2)
	v_mfma_f32_16x16x16_bf16 a[4:7], v[38:39], v[52:53], a[0:3]
	v_mfma_f32_16x16x16_bf16 a[8:11], v[38:39], v[50:51], a[16:19]
	s_waitcnt lgkmcnt(0)
	v_mfma_f32_16x16x16_bf16 a[12:15], v[38:39], v[34:35], a[20:23]
	v_mov_b32_e32 v34, 0
	v_mov_b32_e32 v35, 0
	v_mfma_f32_16x16x16_bf16 a[0:3], v[38:39], v[42:43], a[24:27]
	v_mov_b32_e32 v38, 0
	v_mov_b32_e32 v39, 0
	;; [unrolled: 1-line block ×4, first 2 shown]
	s_cbranch_vccnz .LBB246_12
; %bb.11:                               ;   in Loop: Header=BB246_6 Depth=1
	s_and_b32 s25, s25, 0xffff
	buffer_load_dwordx4 v[46:49], v82, s[24:27], 0 offen
	buffer_load_dwordx4 v[42:45], v82, s[24:27], s58 offen
	;; [unrolled: 1-line block ×4, first 2 shown]
	v_mov_b32_e32 v133, v84
	v_mov_b32_e32 v132, v85
.LBB246_12:                             ;   in Loop: Header=BB246_6 Depth=1
	ds_read_b64 v[136:137], v102 offset:57344
	ds_read2_b64 v[50:53], v110 offset1:16
	ds_read_b64 v[138:139], v104 offset:57344
	ds_read_b64 v[140:141], v108 offset:57344
	;; [unrolled: 1-line block ×3, first 2 shown]
	v_add_u32_e32 v135, s55, v126
	s_waitcnt lgkmcnt(3)
	v_mfma_f32_16x16x16_bf16 a[4:7], v[136:137], v[50:51], a[4:7]
	v_mfma_f32_16x16x16_bf16 a[8:11], v[136:137], v[52:53], a[8:11]
	ds_read2_b64 v[50:53], v110 offset0:32 offset1:48
	ds_read2st64_b64 v[54:57], v110 offset0:4 offset1:8
	ds_read2st64_b64 v[58:61], v111 offset0:4 offset1:8
	;; [unrolled: 1-line block ×3, first 2 shown]
	s_waitcnt lgkmcnt(3)
	v_mfma_f32_16x16x16_bf16 a[12:15], v[136:137], v[50:51], a[12:15]
	v_ashrrev_i32_e32 v50, 31, v135
	v_mfma_f32_16x16x16_bf16 a[0:3], v[136:137], v[52:53], a[0:3]
	v_mul_lo_u32 v52, v50, s14
	v_mul_lo_u32 v53, v135, s15
	v_mad_u64_u32 v[50:51], s[24:25], v135, s14, 0
	v_add3_u32 v51, v51, v53, v52
	v_add_u32_e32 v52, 1, v135
	v_ashrrev_i32_e32 v53, 31, v52
	s_waitcnt lgkmcnt(2)
	v_mfma_f32_16x16x16_bf16 a[4:7], v[138:139], v[54:55], a[4:7]
	v_mul_lo_u32 v54, v53, s14
	v_mul_lo_u32 v55, v52, s15
	v_mad_u64_u32 v[52:53], s[24:25], v52, s14, 0
	v_add3_u32 v53, v53, v55, v54
	v_add_u32_e32 v54, 2, v135
	v_ashrrev_i32_e32 v55, 31, v54
	s_waitcnt lgkmcnt(1)
	v_mfma_f32_16x16x16_bf16 a[8:11], v[138:139], v[58:59], a[8:11]
	v_mul_lo_u32 v58, v55, s14
	v_mul_lo_u32 v59, v54, s15
	v_mad_u64_u32 v[54:55], s[24:25], v54, s14, 0
	v_add3_u32 v55, v55, v59, v58
	v_add_u32_e32 v58, 3, v135
	v_ashrrev_i32_e32 v59, 31, v58
	v_mul_lo_u32 v135, v59, s14
	v_mul_lo_u32 v136, v58, s15
	v_mad_u64_u32 v[58:59], s[24:25], v58, s14, 0
	s_ashr_i32 s25, s55, 31
	s_add_u32 s24, s52, s55
	v_lshl_add_u64 v[50:51], v[50:51], 2, s[40:41]
	v_add3_u32 v59, v59, v136, v135
	s_addc_u32 s25, s51, s25
	v_lshl_add_u64 v[52:53], v[52:53], 2, s[40:41]
	global_load_dword v137, v[50:51], off
	v_lshl_add_u64 v[50:51], v[58:59], 2, s[40:41]
	s_lshl_b64 s[24:25], s[24:25], 8
	v_lshl_add_u64 v[54:55], v[54:55], 2, s[40:41]
	global_load_dword v135, v[52:53], off
	global_load_dword v136, v[54:55], off
	;; [unrolled: 1-line block ×3, first 2 shown]
	v_lshl_add_u64 v[50:51], v[68:69], 0, s[24:25]
	v_lshl_add_u64 v[54:55], v[50:51], 0, v[66:67]
	global_load_ushort v145, v[54:55], off offset:256
	global_load_ushort v146, v[54:55], off
	ds_read2st64_b64 v[50:53], v113 offset0:4 offset1:8
	global_load_ushort v147, v[54:55], off offset:768
	global_load_ushort v148, v[54:55], off offset:512
	s_waitcnt lgkmcnt(1)
	v_mfma_f32_16x16x16_bf16 a[12:15], v[138:139], v[62:63], a[12:15]
	s_and_b64 vcc, exec, s[0:1]
	s_waitcnt vmcnt(3)
	v_lshlrev_b32_e32 v63, 16, v145
	s_waitcnt lgkmcnt(0)
	v_mfma_f32_16x16x16_bf16 a[0:3], v[138:139], v[50:51], a[0:3]
	global_load_ushort v138, v[54:55], off offset:288
	global_load_ushort v139, v[54:55], off offset:32
	;; [unrolled: 1-line block ×8, first 2 shown]
	v_mfma_f32_16x16x16_bf16 a[4:7], v[140:141], v[56:57], a[4:7]
	ds_read_b64 v[50:51], v110 offset:6144
	s_waitcnt vmcnt(10)
	v_lshlrev_b32_e32 v62, 16, v146
	v_mfma_f32_16x16x16_bf16 a[8:11], v[140:141], v[60:61], a[8:11]
	v_mfma_f32_16x16x16_bf16 a[12:15], v[140:141], v[64:65], a[12:15]
	;; [unrolled: 1-line block ×3, first 2 shown]
	global_load_ushort v140, v[54:55], off offset:352
	global_load_ushort v141, v[54:55], off offset:96
	ds_read_b64 v[52:53], v111 offset:6144
	ds_read_b64 v[56:57], v112 offset:6144
	;; [unrolled: 1-line block ×3, first 2 shown]
	global_load_ushort v155, v[54:55], off offset:864
	global_load_ushort v156, v[54:55], off offset:608
	s_load_dword s24, s[42:43], 0x0
	s_waitcnt lgkmcnt(0)
	v_mfma_f32_16x16x16_bf16 a[4:7], v[142:143], v[50:51], a[4:7]
	v_sub_f32_e32 v60, s24, v136
	v_mfma_f32_16x16x16_bf16 a[0:3], v[142:143], v[58:59], a[0:3]
	v_sub_f32_e32 v58, s24, v137
	v_sub_f32_e32 v59, s24, v135
	;; [unrolled: 1-line block ×3, first 2 shown]
	v_mul_f32_e32 v58, 0x3fb8aa3b, v58
	v_mul_f32_e32 v59, 0x3fb8aa3b, v59
	;; [unrolled: 1-line block ×4, first 2 shown]
	v_mfma_f32_16x16x16_bf16 a[8:11], v[142:143], v[52:53], a[8:11]
	v_exp_f32_e32 v58, v58
	v_exp_f32_e32 v59, v59
	;; [unrolled: 1-line block ×4, first 2 shown]
	v_accvgpr_read_b32 v65, a5
	v_accvgpr_read_b32 v64, a4
	;; [unrolled: 1-line block ×4, first 2 shown]
	v_pk_add_f32 v[62:63], v[62:63], v[64:65] neg_lo:[0,1] neg_hi:[0,1]
	s_waitcnt vmcnt(13)
	v_lshlrev_b32_e32 v65, 16, v147
	s_waitcnt vmcnt(12)
	v_lshlrev_b32_e32 v64, 16, v148
	v_pk_add_f32 v[50:51], v[64:65], v[50:51] neg_lo:[0,1] neg_hi:[0,1]
	v_pk_mul_f32 v[62:63], v[58:59], v[62:63]
	v_pk_mul_f32 v[50:51], v[60:61], v[50:51]
	v_accvgpr_read_b32 v65, a9
	v_perm_b32 v51, v51, v50, s3
	v_perm_b32 v50, v63, v62, s3
	v_accvgpr_read_b32 v64, a8
	v_accvgpr_read_b32 v53, a11
	v_mfma_f32_16x16x16_bf16 a[12:15], v[142:143], v[56:57], a[12:15]
	v_accvgpr_read_b32 v52, a10
	v_accvgpr_read_b32 v57, a3
	v_accvgpr_read_b32 v56, a2
	v_mov_b32_e32 v135, 0
	s_waitcnt vmcnt(11)
	v_lshlrev_b32_e32 v63, 16, v138
	s_waitcnt vmcnt(10)
	v_lshlrev_b32_e32 v62, 16, v139
	v_pk_add_f32 v[62:63], v[62:63], v[64:65] neg_lo:[0,1] neg_hi:[0,1]
	s_waitcnt vmcnt(9)
	v_lshlrev_b32_e32 v65, 16, v149
	s_waitcnt vmcnt(8)
	v_lshlrev_b32_e32 v64, 16, v150
	v_pk_add_f32 v[52:53], v[64:65], v[52:53] neg_lo:[0,1] neg_hi:[0,1]
	v_pk_mul_f32 v[62:63], v[58:59], v[62:63]
	v_pk_mul_f32 v[52:53], v[60:61], v[52:53]
	v_accvgpr_read_b32 v55, a15
	v_perm_b32 v53, v53, v52, s3
	v_perm_b32 v52, v63, v62, s3
	ds_write2_b64 v87, v[50:51], v[52:53] offset1:16
	v_accvgpr_read_b32 v53, a13
	s_waitcnt vmcnt(7)
	v_lshlrev_b32_e32 v51, 16, v151
	s_waitcnt vmcnt(6)
	v_lshlrev_b32_e32 v50, 16, v152
	v_accvgpr_read_b32 v52, a12
	v_accvgpr_read_b32 v54, a14
	v_pk_add_f32 v[50:51], v[50:51], v[52:53] neg_lo:[0,1] neg_hi:[0,1]
	s_waitcnt vmcnt(5)
	v_lshlrev_b32_e32 v53, 16, v153
	s_waitcnt vmcnt(4)
	v_lshlrev_b32_e32 v52, 16, v154
	v_pk_add_f32 v[52:53], v[52:53], v[54:55] neg_lo:[0,1] neg_hi:[0,1]
	v_pk_mul_f32 v[50:51], v[58:59], v[50:51]
	v_pk_mul_f32 v[52:53], v[60:61], v[52:53]
	v_accvgpr_read_b32 v55, a1
	v_perm_b32 v53, v53, v52, s3
	v_perm_b32 v52, v51, v50, s3
	s_waitcnt vmcnt(3)
	v_lshlrev_b32_e32 v51, 16, v140
	s_waitcnt vmcnt(2)
	v_lshlrev_b32_e32 v50, 16, v141
	v_accvgpr_read_b32 v54, a0
	v_pk_add_f32 v[50:51], v[50:51], v[54:55] neg_lo:[0,1] neg_hi:[0,1]
	s_waitcnt vmcnt(1)
	v_lshlrev_b32_e32 v55, 16, v155
	s_waitcnt vmcnt(0)
	v_lshlrev_b32_e32 v54, 16, v156
	v_pk_add_f32 v[54:55], v[54:55], v[56:57] neg_lo:[0,1] neg_hi:[0,1]
	v_pk_mul_f32 v[50:51], v[58:59], v[50:51]
	v_pk_mul_f32 v[54:55], v[60:61], v[54:55]
	v_mov_b32_e32 v56, 0
	v_perm_b32 v55, v55, v54, s3
	v_perm_b32 v54, v51, v50, s3
	ds_write2_b64 v87, v[52:53], v[54:55] offset0:32 offset1:48
	v_mov_b32_e32 v50, 0
	v_mov_b32_e32 v51, 0
	;; [unrolled: 1-line block ×15, first 2 shown]
	s_cbranch_vccnz .LBB246_14
; %bb.13:                               ;   in Loop: Header=BB246_6 Depth=1
	s_and_b32 s29, s29, 0xffff
	s_mov_b32 s31, s27
	buffer_load_dwordx4 v[62:65], v124, s[28:31], 0 offen
	buffer_load_dwordx4 v[54:57], v124, s[28:31], s58 offen
	;; [unrolled: 1-line block ×4, first 2 shown]
	v_mov_b32_e32 v134, v81
	v_mov_b32_e32 v135, v80
.LBB246_14:                             ;   in Loop: Header=BB246_6 Depth=1
	s_waitcnt lgkmcnt(0)
	s_barrier
	ds_read_b64 v[144:145], v127
	ds_read2_b64 v[136:139], v117 offset1:16
	ds_read_b64 v[160:161], v128
	ds_read_b64 v[162:163], v129
	;; [unrolled: 1-line block ×3, first 2 shown]
	ds_read2_b64 v[140:143], v117 offset0:32 offset1:48
	s_waitcnt lgkmcnt(4)
	v_mfma_f32_16x16x16_bf16 a[0:3], v[144:145], v[136:137], 0
	ds_read2st64_b64 v[148:151], v119 offset0:4 offset1:8
	ds_read2st64_b64 v[152:155], v120 offset0:4 offset1:8
	;; [unrolled: 1-line block ×3, first 2 shown]
	v_mfma_f32_16x16x16_bf16 a[4:7], v[144:145], v[138:139], 0
	s_add_i32 s25, s50, s61
	s_mul_hi_i32 s29, s25, s45
	s_mul_i32 s25, s25, s45
	s_waitcnt lgkmcnt(3)
	v_mfma_f32_16x16x16_bf16 a[8:11], v[144:145], v[140:141], 0
	s_add_u32 s28, s25, s44
	s_addc_u32 s29, s29, s56
	s_lshl_b64 s[28:29], s[28:29], 15
	v_mfma_f32_16x16x16_bf16 a[12:15], v[144:145], v[142:143], 0
	ds_read2st64_b64 v[144:147], v117 offset0:4 offset1:8
	s_waitcnt lgkmcnt(0)
	v_mfma_f32_16x16x16_bf16 a[0:3], v[160:161], v[144:145], a[0:3]
	v_mfma_f32_16x16x16_bf16 a[4:7], v[160:161], v[148:149], a[4:7]
	;; [unrolled: 1-line block ×8, first 2 shown]
	ds_read_b64 v[160:161], v117 offset:6144
	ds_read_b64 v[162:163], v118 offset:40960
	;; [unrolled: 1-line block ×8, first 2 shown]
	s_waitcnt lgkmcnt(5)
	v_mfma_f32_16x16x16_bf16 a[16:19], v[166:167], v[136:137], 0
	v_mfma_f32_16x16x16_bf16 a[20:23], v[166:167], v[138:139], 0
	ds_read2st64_b64 v[136:139], v114 offset1:8
	v_mfma_f32_16x16x16_bf16 a[24:27], v[166:167], v[140:141], 0
	v_mfma_f32_16x16x16_bf16 a[28:31], v[166:167], v[142:143], 0
	ds_read2st64_b64 v[140:143], v115 offset1:8
	v_mfma_f32_16x16x16_bf16 a[16:19], v[162:163], v[144:145], a[16:19]
	s_waitcnt lgkmcnt(1)
	v_mov_b32_e32 v144, v136
	v_mov_b32_e32 v145, v137
	v_mfma_f32_16x16x16_bf16 a[20:23], v[162:163], v[148:149], a[20:23]
	v_lshl_add_u64 v[148:149], v[70:71], 0, s[28:29]
	v_mfma_f32_16x16x16_bf16 a[24:27], v[162:163], v[152:153], a[24:27]
	v_mfma_f32_16x16x16_bf16 a[28:31], v[162:163], v[156:157], a[28:31]
	;; [unrolled: 1-line block ×3, first 2 shown]
	s_waitcnt lgkmcnt(0)
	v_mov_b32_e32 v146, v140
	v_mov_b32_e32 v147, v141
	v_mov_b32_e32 v140, v138
	v_mfma_f32_16x16x16_bf16 a[32:35], v[174:175], v[150:151], a[20:23]
	v_mov_b32_e32 v141, v139
	ds_read2st64_b64 v[136:139], v114 offset0:16 offset1:24
	global_store_dwordx4 v[148:149], v[144:147], off
	v_mfma_f32_16x16x16_bf16 a[24:27], v[174:175], v[154:155], a[24:27]
	ds_read2st64_b64 v[144:147], v115 offset0:16 offset1:24
	v_add_co_u32_e32 v150, vcc, s21, v148
	v_mfma_f32_16x16x16_bf16 a[28:31], v[174:175], v[158:159], a[28:31]
	s_nop 0
	v_addc_co_u32_e32 v151, vcc, 0, v149, vcc
	global_store_dwordx4 v[150:151], v[140:143], off offset:-4096
	v_mfma_f32_16x16x16_bf16 a[0:3], v[164:165], v[160:161], a[0:3]
	s_waitcnt lgkmcnt(1)
	v_mov_b32_e32 v140, v136
	v_add_co_u32_e32 v136, vcc, s62, v148
	v_mfma_f32_16x16x16_bf16 a[4:7], v[164:165], v[168:169], a[4:7]
	v_mov_b32_e32 v141, v137
	v_addc_co_u32_e32 v137, vcc, 0, v149, vcc
	v_mfma_f32_16x16x16_bf16 a[8:11], v[164:165], v[170:171], a[8:11]
	s_waitcnt lgkmcnt(0)
	v_mov_b32_e32 v142, v144
	v_mov_b32_e32 v143, v145
	;; [unrolled: 1-line block ×3, first 2 shown]
	v_mfma_f32_16x16x16_bf16 a[12:15], v[164:165], v[172:173], a[12:15]
	v_mov_b32_e32 v145, v139
	s_and_b64 vcc, exec, s[0:1]
	global_store_dwordx4 v[150:151], v[140:143], off
	v_mfma_f32_16x16x16_bf16 a[20:23], v[176:177], v[160:161], a[16:19]
	global_store_dwordx4 v[136:137], v[144:147], off
	v_mfma_f32_16x16x16_bf16 a[16:19], v[176:177], v[168:169], a[32:35]
	v_mfma_f32_16x16x16_bf16 a[24:27], v[176:177], v[170:171], a[24:27]
	;; [unrolled: 1-line block ×3, first 2 shown]
	s_cbranch_vccnz .LBB246_16
; %bb.15:                               ;   in Loop: Header=BB246_6 Depth=1
	v_lshrrev_b32_e32 v136, 3, v134
	v_and_b32_e32 v136, 6, v136
	v_xor_b32_e32 v135, v136, v135
	v_lshlrev_b32_e32 v135, 2, v135
	v_and_b32_e32 v134, 8, v134
	v_xor_b32_e32 v137, 0x440, v135
	v_cmp_eq_u32_e32 vcc, 0, v134
	s_barrier
	s_nop 0
	v_cndmask_b32_e32 v134, v137, v135, vcc
	v_lshl_or_b32 v134, v136, 10, v134
	s_waitcnt vmcnt(5)
	v_perm_b32 v135, v62, v58, s59
	s_waitcnt vmcnt(4)
	v_perm_b32 v136, v54, v50, s59
	ds_write2st64_b32 v134, v135, v136 offset0:128 offset1:160
	v_xor_b32_e32 v135, 8, v134
	v_perm_b32 v58, v62, v58, s60
	v_perm_b32 v50, v54, v50, s60
	v_add_u32_e32 v54, 0x80, v135
	ds_write2st64_b32 v54, v58, v50 offset0:128 offset1:160
	v_xor_b32_e32 v50, 16, v134
	v_perm_b32 v54, v63, v59, s59
	v_perm_b32 v58, v55, v51, s59
	ds_write2st64_b32 v50, v54, v58 offset0:129 offset1:161
	v_xor_b32_e32 v50, 24, v134
	v_perm_b32 v54, v63, v59, s60
	v_perm_b32 v51, v55, v51, s60
	v_add_u32_e32 v50, 0x80, v50
	ds_write2st64_b32 v50, v54, v51 offset0:129 offset1:161
	v_xor_b32_e32 v50, 32, v134
	v_perm_b32 v51, v64, v60, s59
	;; [unrolled: 9-line block ×3, first 2 shown]
	v_perm_b32 v52, v57, v53, s59
	ds_write2st64_b32 v50, v51, v52 offset0:131 offset1:163
	v_xor_b32_e32 v50, 56, v134
	v_perm_b32 v51, v65, v61, s60
	v_perm_b32 v52, v57, v53, s60
	v_add_u32_e32 v50, 0x80, v50
	ds_write2st64_b32 v50, v51, v52 offset0:131 offset1:163
	ds_write_b64 v133, v[46:47] offset:49152
	v_xor_b32_e32 v46, 8, v133
	ds_write_b64 v46, v[48:49] offset:49152
	ds_write_b64 v133, v[42:43] offset:57344
	;; [unrolled: 1-line block ×4, first 2 shown]
	v_xor_b32_e32 v38, 8, v132
	ds_write_b64 v38, v[40:41] offset:49152
	ds_write_b64 v132, v[34:35] offset:57344
	;; [unrolled: 1-line block ×3, first 2 shown]
.LBB246_16:                             ;   in Loop: Header=BB246_6 Depth=1
	s_waitcnt vmcnt(6)
	v_mul_f32_e32 v54, s24, v131
	v_exp_f32_e32 v132, v54
	v_accvgpr_read_b32 v37, a3
	v_accvgpr_read_b32 v41, a7
	;; [unrolled: 1-line block ×4, first 2 shown]
	s_waitcnt vmcnt(4)
	v_accvgpr_read_b32 v53, a23
	v_accvgpr_read_b32 v57, a19
	;; [unrolled: 1-line block ×28, first 2 shown]
	s_add_i32 s55, s55, 64
	v_pk_fma_f32 v[30:31], v[132:133], v[30:31], v[34:35] op_sel_hi:[0,1,1]
	v_pk_fma_f32 v[32:33], v[132:133], v[32:33], v[36:37] op_sel_hi:[0,1,1]
	;; [unrolled: 1-line block ×15, first 2 shown]
	s_cmp_eq_u32 s49, s63
	v_pk_fma_f32 v[8:9], v[132:133], v[8:9], v[64:65] op_sel_hi:[0,1,1]
	s_cbranch_scc1 .LBB246_18
; %bb.17:                               ;   in Loop: Header=BB246_6 Depth=1
	s_mov_b32 s61, s63
	s_branch .LBB246_6
.LBB246_18:
	s_lshl_b32 s3, s49, 6
	s_sub_i32 s54, s54, s3
	s_cmp_gt_i32 s54, 0
	v_or_b32_e32 v50, s2, v76
	s_cbranch_scc1 .LBB246_20
; %bb.19:
	s_ashr_i32 s29, s44, 31
	v_or_b32_e32 v34, s2, v76
	s_cbranch_execz .LBB246_21
	s_branch .LBB246_101
.LBB246_20:
                                        ; implicit-def: $vgpr34
                                        ; implicit-def: $sgpr28_sgpr29
.LBB246_21:
	s_add_i32 s28, s3, s36
	s_ashr_i32 s3, s28, 31
	s_cmpk_lg_i32 s19, 0x80
	s_cselect_b64 s[40:41], -1, 0
	s_and_b64 vcc, exec, s[40:41]
	s_cbranch_vccz .LBB246_23
; %bb.22:
	s_mul_hi_i32 s0, s28, s18
	s_mul_i32 s1, s28, s18
	s_ashr_i32 s18, s53, 31
	s_add_u32 s42, s1, s53
	s_addc_u32 s43, s0, s18
	s_cbranch_execz .LBB246_24
	s_branch .LBB246_25
.LBB246_23:
                                        ; implicit-def: $sgpr42_sgpr43
.LBB246_24:
	s_mul_i32 s1, s53, s16
	s_mul_hi_i32 s0, s53, s16
	s_add_u32 s42, s1, s28
	s_addc_u32 s43, s0, s3
.LBB246_25:
	s_add_i32 s16, s49, s50
	s_ashr_i32 s29, s44, 31
	s_add_u32 s0, s52, s28
	v_lshlrev_b32_e32 v38, 6, v1
	v_lshlrev_b32_e32 v58, 2, v76
	s_addc_u32 s1, s51, s3
	s_mov_b32 s3, 0x7060302
	v_or_b32_e32 v41, v38, v58
	v_xor_b32_e32 v39, v1, v58
	v_perm_b32 v35, v33, v32, s3
	v_perm_b32 v34, v31, v30, s3
	;; [unrolled: 1-line block ×4, first 2 shown]
	v_lshlrev_b32_e32 v41, 1, v41
	v_xor_b32_e32 v40, v79, v58
	ds_write2st64_b64 v41, v[34:35], v[36:37] offset0:32 offset1:48
	v_lshlrev_b32_e32 v39, 1, v39
	v_lshlrev_b32_e32 v41, 8, v76
	v_or_b32_e32 v42, v39, v41
	v_lshlrev_b32_e32 v40, 1, v40
	ds_write_b64 v42, v[34:35]
	v_or_b32_e32 v34, v40, v41
	v_or_b32_e32 v41, 16, v76
	v_lshlrev_b32_e32 v57, 2, v41
	v_or_b32_e32 v42, v38, v57
	ds_write_b64 v34, v[36:37]
	v_perm_b32 v35, v25, v24, s3
	v_perm_b32 v34, v23, v22, s3
	;; [unrolled: 1-line block ×4, first 2 shown]
	v_lshlrev_b32_e32 v42, 1, v42
	v_lshlrev_b32_e32 v41, 8, v41
	ds_write2st64_b64 v42, v[34:35], v[36:37] offset0:32 offset1:48
	v_or_b32_e32 v42, v39, v41
	ds_write_b64 v42, v[34:35]
	v_or_b32_e32 v34, v40, v41
	v_or_b32_e32 v41, 32, v76
	v_lshlrev_b32_e32 v56, 2, v41
	v_or_b32_e32 v42, v38, v56
	ds_write_b64 v34, v[36:37]
	v_perm_b32 v35, v17, v16, s3
	v_perm_b32 v34, v15, v14, s3
	;; [unrolled: 1-line block ×4, first 2 shown]
	v_lshlrev_b32_e32 v42, 1, v42
	v_lshlrev_b32_e32 v41, 8, v41
	s_lshl_b64 s[30:31], s[0:1], 8
	ds_write2st64_b64 v42, v[34:35], v[36:37] offset0:32 offset1:48
	v_or_b32_e32 v42, v39, v41
	s_add_u32 s0, s6, s30
	ds_write_b64 v42, v[34:35]
	v_or_b32_e32 v34, v40, v41
	s_addc_u32 s1, s7, s31
	ds_write_b64 v34, v[36:37]
	v_perm_b32 v35, v5, v4, s3
	v_perm_b32 v34, v3, v2, s3
	;; [unrolled: 1-line block ×4, first 2 shown]
	v_or_b32_e32 v41, 48, v76
	s_mul_hi_i32 s3, s16, s17
	s_mul_i32 s16, s16, s17
	v_lshlrev_b32_e32 v53, 2, v41
	s_add_u32 s6, s16, s44
	v_or_b32_e32 v38, v38, v53
	s_addc_u32 s7, s3, s29
	v_lshlrev_b32_e32 v38, 1, v38
	s_ashr_i32 s3, s2, 31
	s_lshl_b64 s[6:7], s[6:7], 15
	ds_write2st64_b64 v38, v[34:35], v[36:37] offset0:32 offset1:48
	v_lshlrev_b32_e32 v38, 8, v41
	s_add_u32 s6, s38, s6
	v_or_b32_e32 v39, v39, v38
	s_addc_u32 s7, s39, s7
	s_lshl_b64 s[2:3], s[2:3], 8
	ds_write_b64 v39, v[34:35]
	v_or_b32_e32 v34, v40, v38
	s_add_u32 s2, s6, s2
	v_lshlrev_b32_e32 v35, 1, v76
	ds_write_b64 v34, v[36:37]
	v_lshrrev_b32_e32 v34, 4, v0
	s_addc_u32 s3, s7, s3
	v_or_b32_e32 v36, 1, v35
	v_lshlrev_b32_e32 v42, 4, v76
	v_mov_b32_e32 v43, 0
	v_xor_b32_e32 v35, v34, v35
	v_xor_b32_e32 v38, v36, v34
	v_lshl_add_u64 v[44:45], s[2:3], 0, v[42:43]
	v_lshlrev_b32_e32 v42, 8, v34
	v_lshl_or_b32 v48, v35, 3, v42
	v_lshl_or_b32 v49, v38, 3, v42
	s_waitcnt lgkmcnt(0)
	s_barrier
	ds_read2st64_b64 v[34:37], v48 offset1:8
	ds_read2st64_b64 v[38:41], v49 offset1:8
	v_lshl_add_u64 v[46:47], v[44:45], 0, v[42:43]
	s_movk_i32 s2, 0x2000
	s_cmp_lg_u32 s54, 64
	s_waitcnt lgkmcnt(1)
	v_mov_b32_e32 v42, v34
	v_mov_b32_e32 v43, v35
	s_waitcnt lgkmcnt(0)
	v_mov_b32_e32 v44, v38
	v_mov_b32_e32 v45, v39
	global_store_dwordx4 v[46:47], v[42:45], off
	v_mov_b32_e32 v38, v36
	v_mov_b32_e32 v39, v37
	ds_read2st64_b64 v[34:37], v48 offset0:16 offset1:24
	ds_read2st64_b64 v[42:45], v49 offset0:16 offset1:24
	v_add_co_u32_e32 v48, vcc, s2, v46
	s_cselect_b64 s[6:7], -1, 0
	s_nop 0
	v_addc_co_u32_e32 v49, vcc, 0, v47, vcc
	global_store_dwordx4 v[48:49], v[38:41], off offset:-4096
	v_lshl_or_b32 v51, v72, 3, v78
	s_mov_b32 s24, 0
	s_waitcnt lgkmcnt(1)
	v_mov_b32_e32 v38, v34
	v_add_co_u32_e32 v34, vcc, 0x3000, v46
	v_mov_b32_e32 v39, v35
	s_nop 0
	v_addc_co_u32_e32 v35, vcc, 0, v47, vcc
	s_waitcnt lgkmcnt(0)
	v_mov_b32_e32 v40, v42
	v_mov_b32_e32 v41, v43
	;; [unrolled: 1-line block ×4, first 2 shown]
	v_or_b32_e32 v54, 32, v51
	v_and_b32_e32 v52, 56, v77
	s_and_b64 vcc, exec, s[6:7]
	global_store_dwordx4 v[48:49], v[38:41], off
	global_store_dwordx4 v[34:35], v[42:45], off
	s_cbranch_vccz .LBB246_31
; %bb.26:
	s_mov_b32 s26, s24
	s_mov_b32 s27, s24
	;; [unrolled: 1-line block ×3, first 2 shown]
	v_mov_b64_e32 v[40:41], s[26:27]
	v_mov_b64_e32 v[38:39], s[24:25]
	;; [unrolled: 1-line block ×3, first 2 shown]
	v_cmp_gt_i32_e32 vcc, s54, v51
	v_mov_b64_e32 v[36:37], v[40:41]
	s_and_saveexec_b64 s[2:3], vcc
	s_cbranch_execz .LBB246_28
; %bb.27:
	v_lshlrev_b32_e32 v34, 8, v51
	v_mov_b32_e32 v35, 0
	v_lshl_add_u64 v[36:37], s[0:1], 0, v[34:35]
	v_lshlrev_b32_e32 v34, 1, v52
	v_lshl_add_u64 v[42:43], v[36:37], 0, v[34:35]
	global_load_dwordx4 v[38:41], v[42:43], off
	global_load_dwordx4 v[34:37], v[42:43], off offset:128
.LBB246_28:
	s_or_b64 exec, exec, s[2:3]
	s_mov_b32 s26, s24
	s_mov_b32 s27, s24
	;; [unrolled: 1-line block ×3, first 2 shown]
	v_mov_b64_e32 v[48:49], s[26:27]
	v_mov_b64_e32 v[46:47], s[24:25]
	;; [unrolled: 1-line block ×3, first 2 shown]
	v_cmp_gt_i32_e32 vcc, s54, v54
	v_lshlrev_b32_e32 v55, 7, v54
	v_mov_b64_e32 v[44:45], v[48:49]
	s_and_saveexec_b64 s[2:3], vcc
	s_cbranch_execz .LBB246_30
; %bb.29:
	v_lshlrev_b32_e32 v42, 1, v55
	v_mov_b32_e32 v43, 0
	v_lshl_add_u64 v[44:45], s[0:1], 0, v[42:43]
	v_lshlrev_b32_e32 v42, 1, v52
	v_lshl_add_u64 v[60:61], v[44:45], 0, v[42:43]
	global_load_dwordx4 v[46:49], v[60:61], off
	global_load_dwordx4 v[42:45], v[60:61], off offset:128
.LBB246_30:
	s_or_b64 exec, exec, s[2:3]
	v_lshrrev_b32_e32 v59, 3, v52
	v_lshlrev_b32_e32 v60, 3, v51
	v_or_b32_e32 v59, v60, v59
	v_lshlrev_b32_e32 v59, 4, v59
	v_and_b32_e32 v60, 0x78, v60
	v_xor_b32_e32 v59, v59, v60
	s_branch .LBB246_33
.LBB246_31:
                                        ; implicit-def: $vgpr59
                                        ; implicit-def: $vgpr55
                                        ; implicit-def: $vgpr38_vgpr39_vgpr40_vgpr41
                                        ; implicit-def: $vgpr34_vgpr35_vgpr36_vgpr37
                                        ; implicit-def: $vgpr46_vgpr47_vgpr48_vgpr49
                                        ; implicit-def: $vgpr42_vgpr43_vgpr44_vgpr45
	s_cbranch_execz .LBB246_33
; %bb.32:
	s_waitcnt vmcnt(0)
	v_lshlrev_b32_e32 v34, 1, v52
	v_lshl_or_b32 v55, v51, 8, v34
	s_and_b32 s1, s1, 0xffff
	s_mov_b32 s3, 0x20000
	s_movk_i32 s2, 0x4000
	v_lshl_or_b32 v59, v54, 8, v34
	s_movk_i32 s16, 0x80
	buffer_load_dwordx4 v[38:41], v55, s[0:3], 0 offen
	buffer_load_dwordx4 v[34:37], v55, s[0:3], s16 offen
	;; [unrolled: 1-line block ×4, first 2 shown]
	v_lshrrev_b32_e32 v55, 3, v52
	v_lshlrev_b32_e32 v59, 3, v51
	v_or_b32_e32 v55, v59, v55
	v_lshlrev_b32_e32 v55, 4, v55
	v_and_b32_e32 v59, 0x78, v59
	v_xor_b32_e32 v59, v55, v59
	v_lshlrev_b32_e32 v55, 7, v54
.LBB246_33:
	s_movk_i32 s0, 0x1000
	v_and_or_b32 v54, v55, s0, v59
	s_waitcnt vmcnt(1)
	ds_write_b64 v59, v[38:39] offset:49152
	v_xor_b32_e32 v38, 8, v59
	ds_write_b64 v38, v[40:41] offset:49152
	s_waitcnt vmcnt(0)
	ds_write_b64 v59, v[34:35] offset:57344
	ds_write_b64 v38, v[36:37] offset:57344
	;; [unrolled: 1-line block ×3, first 2 shown]
	v_xor_b32_e32 v34, 8, v54
	ds_write_b64 v34, v[48:49] offset:49152
	ds_write_b64 v54, v[42:43] offset:57344
	;; [unrolled: 1-line block ×3, first 2 shown]
	v_or_b32_e32 v34, v73, v76
	v_lshlrev_b32_e32 v34, 3, v34
	v_lshrrev_b32_e32 v35, 5, v74
	s_movk_i32 s0, 0xf8
	v_and_or_b32 v35, v34, s0, v35
	v_lshlrev_b32_e32 v39, 4, v35
	v_lshlrev_b32_e32 v59, 11, v72
	v_and_b32_e32 v40, 0x78, v34
	v_or_b32_e32 v42, 32, v39
	v_and_b32_e32 v38, 0x1000, v59
	v_lshrrev_b32_e32 v35, 1, v74
	v_xor_b32_e32 v42, v42, v40
	v_xor_b32_e32 v34, v39, v40
	v_and_b32_e32 v41, 8, v35
	v_or_b32_e32 v42, v42, v38
	v_or_b32_e32 v34, v34, v38
	v_xor_b32_e32 v65, v42, v41
	v_or_b32_e32 v42, 64, v39
	v_xor_b32_e32 v64, v34, v41
	v_xor_b32_e32 v42, v42, v40
	s_waitcnt lgkmcnt(0)
	s_barrier
	v_or_b32_e32 v45, v42, v38
	ds_read_b64 v[42:43], v64 offset:49152
	v_lshl_or_b32 v46, v75, 8, v58
	v_lshlrev_b32_e32 v60, 1, v46
	v_add_u32_e32 v44, 0x4000, v60
	ds_read2_b64 v[34:37], v44 offset1:16
	v_or_b32_e32 v39, 0x60, v39
	v_xor_b32_e32 v39, v39, v40
	v_or_b32_e32 v38, v39, v38
	v_xor_b32_e32 v66, v45, v41
	v_xor_b32_e32 v67, v38, v41
	ds_read_b64 v[54:55], v65 offset:49152
	ds_read_b64 v[68:69], v66 offset:49152
	;; [unrolled: 1-line block ×3, first 2 shown]
	s_waitcnt lgkmcnt(3)
	v_mfma_f32_16x16x16_bf16 a[0:3], v[42:43], v[34:35], 0
	ds_read2_b64 v[38:41], v44 offset0:32 offset1:48
	s_lshl_b64 s[0:1], s[42:43], 8
	s_add_u32 s4, s4, s0
	v_mfma_f32_16x16x16_bf16 a[4:7], v[42:43], v[36:37], 0
	ds_read2st64_b64 v[34:37], v60 offset0:36 offset1:40
	s_addc_u32 s5, s5, s1
	s_add_i32 s2, s37, -1
	s_waitcnt lgkmcnt(1)
	v_mfma_f32_16x16x16_bf16 a[8:11], v[42:43], v[38:39], 0
	v_or_b32_e32 v38, 64, v46
	v_lshlrev_b32_e32 v61, 1, v38
	s_add_i32 s0, s47, s46
	s_waitcnt lgkmcnt(0)
	v_mfma_f32_16x16x16_bf16 a[0:3], v[54:55], v[34:35], a[0:3]
	v_or_b32_e32 v34, 0x80, v46
	v_lshlrev_b32_e32 v62, 1, v34
	v_or_b32_e32 v34, 0xc0, v46
	v_mfma_f32_16x16x16_bf16 a[12:15], v[42:43], v[40:41], 0
	ds_read2st64_b64 v[38:41], v61 offset0:36 offset1:40
	v_lshlrev_b32_e32 v63, 1, v34
	ds_read2st64_b64 v[42:45], v62 offset0:36 offset1:40
	ds_read2st64_b64 v[46:49], v63 offset0:36 offset1:40
	s_add_i32 s21, s0, s48
	s_mul_i32 s0, s44, s23
	s_mul_hi_u32 s1, s44, s22
	s_ashr_i32 s3, s2, 31
	s_mul_i32 s16, s2, s15
	s_mul_hi_u32 s17, s2, s14
	s_waitcnt lgkmcnt(2)
	v_mfma_f32_16x16x16_bf16 a[4:7], v[54:55], v[38:39], a[4:7]
	s_add_i32 s0, s1, s0
	s_mul_i32 s1, s29, s22
	s_add_i32 s16, s17, s16
	s_mul_i32 s3, s3, s14
	s_waitcnt lgkmcnt(1)
	v_mfma_f32_16x16x16_bf16 a[8:11], v[54:55], v[42:43], a[8:11]
	s_add_i32 s1, s0, s1
	s_add_i32 s3, s16, s3
	s_lshl_b64 s[16:17], s[20:21], 2
	s_waitcnt lgkmcnt(0)
	v_mfma_f32_16x16x16_bf16 a[12:15], v[54:55], v[46:47], a[12:15]
	s_mul_i32 s0, s44, s22
	s_add_u32 s10, s10, s16
	s_addc_u32 s11, s11, s17
	s_lshl_b64 s[0:1], s[0:1], 2
	v_mfma_f32_16x16x16_bf16 a[0:3], v[68:69], v[36:37], a[0:3]
	s_mul_i32 s2, s2, s14
	ds_read_b64 v[34:35], v60 offset:22528
	s_add_u32 s10, s10, s0
	v_mfma_f32_16x16x16_bf16 a[4:7], v[68:69], v[40:41], a[4:7]
	ds_read_b64 v[36:37], v61 offset:22528
	ds_read_b64 v[38:39], v62 offset:22528
	ds_read_b64 v[40:41], v63 offset:22528
	s_addc_u32 s11, s11, s1
	s_lshl_b64 s[0:1], s[2:3], 2
	v_mfma_f32_16x16x16_bf16 a[8:11], v[68:69], v[44:45], a[8:11]
	s_add_u32 s0, s10, s0
	s_addc_u32 s1, s11, s1
	s_load_dword s16, s[0:1], 0x0
	v_mfma_f32_16x16x16_bf16 a[12:15], v[68:69], v[48:49], a[12:15]
	s_and_b64 vcc, exec, s[40:41]
	s_waitcnt lgkmcnt(0)
	v_mfma_f32_16x16x16_bf16 a[0:3], v[70:71], v[34:35], a[0:3]
	v_mfma_f32_16x16x16_bf16 a[4:7], v[70:71], v[36:37], a[4:7]
	v_mfma_f32_16x16x16_bf16 a[8:11], v[70:71], v[38:39], a[8:11]
	v_mfma_f32_16x16x16_bf16 a[12:15], v[70:71], v[40:41], a[12:15]
	s_cbranch_vccz .LBB246_44
; %bb.34:
	v_lshlrev_b32_e32 v54, 1, v51
	s_and_b64 vcc, exec, s[6:7]
	s_cbranch_vccz .LBB246_45
; %bb.35:
	v_cmp_gt_i32_e32 vcc, s54, v54
	v_mov_b32_e32 v38, 0
	v_mov_b32_e32 v34, 0
	;; [unrolled: 1-line block ×5, first 2 shown]
	s_and_saveexec_b64 s[0:1], vcc
	s_cbranch_execz .LBB246_37
; %bb.36:
	v_mad_i64_i32 v[34:35], s[2:3], s19, v54, 0
	v_lshl_add_u64 v[34:35], v[34:35], 1, s[4:5]
	v_lshlrev_b32_e32 v36, 1, v52
	v_mov_b32_e32 v37, 0
	v_lshl_add_u64 v[34:35], v[34:35], 0, v[36:37]
	global_load_dwordx4 v[34:37], v[34:35], off
.LBB246_37:
	s_or_b64 exec, exec, s[0:1]
	v_or_b32_e32 v55, 1, v54
	v_cmp_gt_i32_e64 s[0:1], s54, v55
	v_mov_b32_e32 v39, 0
	v_mov_b32_e32 v40, 0
	;; [unrolled: 1-line block ×3, first 2 shown]
	s_and_saveexec_b64 s[2:3], s[0:1]
	s_cbranch_execz .LBB246_39
; %bb.38:
	v_mad_i64_i32 v[38:39], s[20:21], s19, v55, 0
	v_lshl_add_u64 v[38:39], v[38:39], 1, s[4:5]
	v_lshlrev_b32_e32 v40, 1, v52
	v_mov_b32_e32 v41, 0
	v_lshl_add_u64 v[38:39], v[38:39], 0, v[40:41]
	global_load_dwordx4 v[38:41], v[38:39], off
.LBB246_39:
	s_or_b64 exec, exec, s[2:3]
	v_mov_b32_e32 v49, 0
	v_mov_b32_e32 v42, 0
	;; [unrolled: 1-line block ×5, first 2 shown]
	s_and_saveexec_b64 s[2:3], vcc
	s_cbranch_execz .LBB246_41
; %bb.40:
	v_mad_i64_i32 v[42:43], s[20:21], s19, v54, 0
	v_lshl_add_u64 v[42:43], v[42:43], 1, s[4:5]
	v_lshlrev_b32_e32 v44, 1, v52
	v_mov_b32_e32 v45, 0
	v_lshl_add_u64 v[42:43], v[42:43], 0, v[44:45]
	global_load_dwordx4 v[42:45], v[42:43], off offset:128
.LBB246_41:
	s_or_b64 exec, exec, s[2:3]
	v_mov_b32_e32 v48, 0
	v_mov_b32_e32 v47, 0
	;; [unrolled: 1-line block ×3, first 2 shown]
	s_and_saveexec_b64 s[2:3], s[0:1]
	s_cbranch_execz .LBB246_43
; %bb.42:
	v_mad_i64_i32 v[46:47], s[0:1], s19, v55, 0
	v_lshl_add_u64 v[46:47], v[46:47], 1, s[4:5]
	v_lshlrev_b32_e32 v48, 1, v52
	v_mov_b32_e32 v49, 0
	v_lshl_add_u64 v[46:47], v[46:47], 0, v[48:49]
	global_load_dwordx4 v[46:49], v[46:47], off offset:128
.LBB246_43:
	s_or_b64 exec, exec, s[2:3]
	s_branch .LBB246_47
.LBB246_44:
                                        ; implicit-def: $vgpr37
                                        ; implicit-def: $vgpr41
                                        ; implicit-def: $vgpr45
                                        ; implicit-def: $vgpr49
	v_lshrrev_b32_e32 v68, 2, v74
	s_branch .LBB246_48
.LBB246_45:
                                        ; implicit-def: $vgpr37
                                        ; implicit-def: $vgpr41
                                        ; implicit-def: $vgpr45
                                        ; implicit-def: $vgpr49
	s_cbranch_execz .LBB246_47
; %bb.46:
	s_waitcnt vmcnt(0)
	v_mad_u64_u32 v[34:35], s[0:1], v54, s19, v[52:53]
	v_lshlrev_b32_e32 v54, 1, v34
	s_lshl_b32 s2, s19, 7
	s_and_b32 s1, s5, 0xffff
	s_mov_b32 s3, 0x20000
	s_mov_b32 s0, s4
	v_add_lshl_u32 v55, v34, s19, 1
	s_movk_i32 s17, 0x80
	buffer_load_dwordx4 v[34:37], v54, s[0:3], 0 offen
	buffer_load_dwordx4 v[42:45], v54, s[0:3], s17 offen
	;; [unrolled: 1-line block ×4, first 2 shown]
.LBB246_47:
	v_lshrrev_b32_e32 v68, 2, v74
	s_cbranch_execnz .LBB246_60
.LBB246_48:
	s_and_b64 vcc, exec, s[6:7]
	s_cbranch_vccz .LBB246_58
; %bb.49:
	s_waitcnt vmcnt(0)
	v_lshlrev_b32_e32 v39, 1, v51
	v_cmp_gt_i32_e32 vcc, s54, v39
	v_mov_b32_e32 v38, 0
	v_lshlrev_b32_e32 v46, 9, v51
	v_mov_b32_e32 v34, 0
	v_mov_b32_e32 v35, 0
	;; [unrolled: 1-line block ×4, first 2 shown]
	s_and_saveexec_b64 s[0:1], vcc
	s_cbranch_execz .LBB246_51
; %bb.50:
	v_mov_b32_e32 v47, 0
	v_lshl_add_u64 v[34:35], s[4:5], 0, v[46:47]
	v_lshlrev_b32_e32 v36, 1, v52
	v_mov_b32_e32 v37, v47
	v_lshl_add_u64 v[34:35], v[34:35], 0, v[36:37]
	global_load_dwordx4 v[34:37], v[34:35], off
.LBB246_51:
	s_or_b64 exec, exec, s[0:1]
	v_or_b32_e32 v39, 1, v39
	v_cmp_gt_i32_e64 s[0:1], s54, v39
	v_lshlrev_b32_e32 v54, 8, v39
	v_mov_b32_e32 v39, 0
	v_mov_b32_e32 v40, 0
	v_mov_b32_e32 v41, 0
	s_and_saveexec_b64 s[2:3], s[0:1]
	s_cbranch_execz .LBB246_53
; %bb.52:
	v_mov_b32_e32 v55, 0
	v_lshl_add_u64 v[38:39], s[4:5], 0, v[54:55]
	v_lshlrev_b32_e32 v40, 1, v52
	v_mov_b32_e32 v41, v55
	v_lshl_add_u64 v[38:39], v[38:39], 0, v[40:41]
	global_load_dwordx4 v[38:41], v[38:39], off
.LBB246_53:
	s_or_b64 exec, exec, s[2:3]
	v_mov_b32_e32 v49, 0
	v_mov_b32_e32 v42, 0
	;; [unrolled: 1-line block ×5, first 2 shown]
	s_and_saveexec_b64 s[2:3], vcc
	s_cbranch_execz .LBB246_55
; %bb.54:
	v_mov_b32_e32 v47, 0
	v_lshl_add_u64 v[42:43], s[4:5], 0, v[46:47]
	v_lshlrev_b32_e32 v46, 1, v52
	v_lshl_add_u64 v[42:43], v[42:43], 0, v[46:47]
	global_load_dwordx4 v[42:45], v[42:43], off offset:128
.LBB246_55:
	s_or_b64 exec, exec, s[2:3]
	v_mov_b32_e32 v48, 0
	v_mov_b32_e32 v47, 0
	;; [unrolled: 1-line block ×3, first 2 shown]
	s_and_saveexec_b64 s[2:3], s[0:1]
	s_cbranch_execz .LBB246_57
; %bb.56:
	v_mov_b32_e32 v55, 0
	v_lshl_add_u64 v[46:47], s[4:5], 0, v[54:55]
	v_lshlrev_b32_e32 v54, 1, v52
	v_lshl_add_u64 v[46:47], v[46:47], 0, v[54:55]
	global_load_dwordx4 v[46:49], v[46:47], off offset:128
.LBB246_57:
	s_or_b64 exec, exec, s[2:3]
	s_branch .LBB246_60
.LBB246_58:
                                        ; implicit-def: $vgpr37
                                        ; implicit-def: $vgpr41
                                        ; implicit-def: $vgpr45
                                        ; implicit-def: $vgpr49
	s_cbranch_execz .LBB246_60
; %bb.59:
	s_waitcnt vmcnt(0)
	v_lshlrev_b32_e32 v34, 1, v52
	v_lshl_or_b32 v52, v51, 9, v34
	s_and_b32 s5, s5, 0xffff
	s_mov_b32 s7, 0x20000
	s_movk_i32 s6, 0x4000
	s_movk_i32 s0, 0x80
	buffer_load_dwordx4 v[34:37], v52, s[4:7], 0 offen
	buffer_load_dwordx4 v[38:41], v52, s[4:7], 0 offen offset:256
	buffer_load_dwordx4 v[42:45], v52, s[4:7], s0 offen
	buffer_load_dwordx4 v[46:49], v52, s[4:7], s0 offen offset:256
.LBB246_60:
	ds_read_b64 v[54:55], v64 offset:57344
	v_add_u32_e32 v52, 0x6000, v60
	ds_read2_b64 v[74:77], v52 offset1:16
	ds_read_b64 v[70:71], v65 offset:57344
	ds_read_b64 v[86:87], v66 offset:57344
	;; [unrolled: 1-line block ×3, first 2 shown]
	ds_read2_b64 v[64:67], v52 offset0:32 offset1:48
	v_and_b32_e32 v52, 6, v0
	v_xor_b32_e32 v51, v51, v52
	v_lshlrev_b32_e32 v51, 2, v51
	s_mov_b32 s0, 0x1000504
	s_mov_b32 s1, 0x3020706
	s_waitcnt lgkmcnt(4)
	v_mfma_f32_16x16x16_bf16 a[4:7], v[54:55], v[76:77], a[4:7]
	v_mfma_f32_16x16x16_bf16 a[0:3], v[54:55], v[74:75], a[0:3]
	ds_read2st64_b64 v[74:77], v60 offset0:52 offset1:56
	s_waitcnt lgkmcnt(1)
	v_mfma_f32_16x16x16_bf16 a[8:11], v[54:55], v[64:65], a[8:11]
	v_mfma_f32_16x16x16_bf16 a[12:15], v[54:55], v[66:67], a[12:15]
	ds_read2st64_b64 v[64:67], v61 offset0:52 offset1:56
	ds_read2st64_b64 v[78:81], v62 offset0:52 offset1:56
	;; [unrolled: 1-line block ×3, first 2 shown]
	s_waitcnt lgkmcnt(2)
	v_mfma_f32_16x16x16_bf16 a[4:7], v[70:71], v[64:65], a[4:7]
	v_and_b32_e32 v64, 1, v0
	v_xor_b32_e32 v65, 0x440, v51
	v_cmp_eq_u32_e32 vcc, 0, v64
	v_mfma_f32_16x16x16_bf16 a[0:3], v[70:71], v[74:75], a[0:3]
	s_waitcnt vmcnt(0)
	v_perm_b32 v64, v42, v46, s0
	v_cndmask_b32_e32 v51, v65, v51, vcc
	v_lshl_or_b32 v51, v52, 10, v51
	s_waitcnt lgkmcnt(1)
	v_mfma_f32_16x16x16_bf16 a[8:11], v[70:71], v[78:79], a[8:11]
	v_perm_b32 v52, v34, v38, s0
	ds_read_b64 v[54:55], v60 offset:30720
	ds_read_b64 v[74:75], v61 offset:30720
	;; [unrolled: 1-line block ×4, first 2 shown]
	ds_write2st64_b32 v51, v52, v64 offset0:128 offset1:160
	s_waitcnt lgkmcnt(5)
	v_mfma_f32_16x16x16_bf16 a[12:15], v[70:71], v[82:83], a[12:15]
	v_xor_b32_e32 v52, 8, v51
	v_perm_b32 v34, v34, v38, s1
	v_perm_b32 v38, v42, v46, s1
	v_add_u32_e32 v42, 0x80, v52
	ds_write2st64_b32 v42, v34, v38 offset0:128 offset1:160
	v_xor_b32_e32 v34, 16, v51
	v_perm_b32 v38, v35, v39, s0
	v_perm_b32 v42, v43, v47, s0
	v_mfma_f32_16x16x16_bf16 a[0:3], v[86:87], v[76:77], a[0:3]
	ds_write2st64_b32 v34, v38, v42 offset0:129 offset1:161
	v_xor_b32_e32 v34, 24, v51
	v_perm_b32 v35, v35, v39, s1
	v_mfma_f32_16x16x16_bf16 a[4:7], v[86:87], v[66:67], a[4:7]
	v_perm_b32 v38, v43, v47, s1
	v_add_u32_e32 v34, 0x80, v34
	ds_write2st64_b32 v34, v35, v38 offset0:129 offset1:161
	v_mfma_f32_16x16x16_bf16 a[16:19], v[86:87], v[80:81], a[8:11]
	v_xor_b32_e32 v34, 32, v51
	v_perm_b32 v35, v36, v40, s0
	v_perm_b32 v38, v44, v48, s0
	v_mfma_f32_16x16x16_bf16 a[20:23], v[86:87], v[84:85], a[12:15]
	ds_write2st64_b32 v34, v35, v38 offset0:130 offset1:162
	v_xor_b32_e32 v34, 40, v51
	v_perm_b32 v35, v36, v40, s1
	s_waitcnt lgkmcnt(8)
	v_mfma_f32_16x16x16_bf16 a[12:15], v[88:89], v[54:55], a[0:3]
	v_perm_b32 v36, v44, v48, s1
	v_add_u32_e32 v34, 0x80, v34
	ds_write2st64_b32 v34, v35, v36 offset0:130 offset1:162
	s_waitcnt lgkmcnt(8)
	v_mfma_f32_16x16x16_bf16 a[8:11], v[88:89], v[74:75], a[4:7]
	v_xor_b32_e32 v34, 48, v51
	v_perm_b32 v35, v37, v41, s0
	v_perm_b32 v36, v45, v49, s0
	s_waitcnt lgkmcnt(7)
	v_mfma_f32_16x16x16_bf16 a[4:7], v[88:89], v[90:91], a[16:19]
	ds_write2st64_b32 v34, v35, v36 offset0:131 offset1:163
	v_xor_b32_e32 v34, 56, v51
	v_and_or_b32 v55, v68, 12, v73
	s_waitcnt lgkmcnt(7)
	v_mfma_f32_16x16x16_bf16 a[0:3], v[88:89], v[92:93], a[20:23]
	v_perm_b32 v35, v37, v41, s1
	v_perm_b32 v36, v45, v49, s1
	v_add_u32_e32 v34, 0x80, v34
	v_cmp_gt_i32_e32 vcc, s54, v55
	v_mov_b32_e32 v48, 0
	v_mov_b32_e32 v52, 0
	ds_write2st64_b32 v34, v35, v36 offset0:131 offset1:163
	s_and_saveexec_b64 s[0:1], vcc
	s_cbranch_execz .LBB246_62
; %bb.61:
	v_add_u32_e32 v34, s28, v55
	v_ashrrev_i32_e32 v35, 31, v34
	v_mul_lo_u32 v36, v35, s14
	v_mul_lo_u32 v37, v34, s15
	v_mad_u64_u32 v[34:35], s[2:3], v34, s14, 0
	v_add3_u32 v35, v35, v37, v36
	v_lshl_add_u64 v[34:35], v[34:35], 2, s[10:11]
	global_load_dword v34, v[34:35], off
	s_waitcnt vmcnt(0)
	v_sub_f32_e32 v34, s16, v34
	v_mul_f32_e32 v34, 0x3fb8aa3b, v34
	v_exp_f32_e32 v52, v34
.LBB246_62:
	s_or_b64 exec, exec, s[0:1]
	v_or_b32_e32 v40, 1, v55
	v_cmp_gt_i32_e64 s[0:1], s54, v40
	s_and_saveexec_b64 s[2:3], s[0:1]
	s_cbranch_execz .LBB246_64
; %bb.63:
	v_add_u32_e32 v34, s28, v40
	v_ashrrev_i32_e32 v35, 31, v34
	v_mul_lo_u32 v36, v35, s14
	v_mul_lo_u32 v37, v34, s15
	v_mad_u64_u32 v[34:35], s[4:5], v34, s14, 0
	v_add3_u32 v35, v35, v37, v36
	v_lshl_add_u64 v[34:35], v[34:35], 2, s[10:11]
	global_load_dword v34, v[34:35], off
	s_waitcnt vmcnt(0)
	v_sub_f32_e32 v34, s16, v34
	v_mul_f32_e32 v34, 0x3fb8aa3b, v34
	v_exp_f32_e32 v48, v34
.LBB246_64:
	s_or_b64 exec, exec, s[2:3]
	v_or_b32_e32 v41, 2, v55
	v_cmp_gt_i32_e64 s[2:3], s54, v41
	v_mov_b32_e32 v49, 0
	v_mov_b32_e32 v54, 0
	s_and_saveexec_b64 s[4:5], s[2:3]
	s_cbranch_execz .LBB246_66
; %bb.65:
	v_add_u32_e32 v34, s28, v41
	v_ashrrev_i32_e32 v35, 31, v34
	v_mul_lo_u32 v36, v35, s14
	v_mul_lo_u32 v37, v34, s15
	v_mad_u64_u32 v[34:35], s[6:7], v34, s14, 0
	v_add3_u32 v35, v35, v37, v36
	v_lshl_add_u64 v[34:35], v[34:35], 2, s[10:11]
	global_load_dword v34, v[34:35], off
	s_waitcnt vmcnt(0)
	v_sub_f32_e32 v34, s16, v34
	v_mul_f32_e32 v34, 0x3fb8aa3b, v34
	v_exp_f32_e32 v54, v34
.LBB246_66:
	s_or_b64 exec, exec, s[4:5]
	v_or_b32_e32 v64, 3, v55
	v_cmp_gt_i32_e64 s[4:5], s54, v64
	s_and_saveexec_b64 s[6:7], s[4:5]
	s_cbranch_execz .LBB246_68
; %bb.67:
	v_add_u32_e32 v34, s28, v64
	v_ashrrev_i32_e32 v35, 31, v34
	v_mul_lo_u32 v36, v35, s14
	v_mul_lo_u32 v37, v34, s15
	v_mad_u64_u32 v[34:35], s[14:15], v34, s14, 0
	v_add3_u32 v35, v35, v37, v36
	v_lshl_add_u64 v[34:35], v[34:35], 2, s[10:11]
	global_load_dword v34, v[34:35], off
	s_waitcnt vmcnt(0)
	v_sub_f32_e32 v34, s16, v34
	v_mul_f32_e32 v34, 0x3fb8aa3b, v34
	v_exp_f32_e32 v49, v34
.LBB246_68:
	s_or_b64 exec, exec, s[6:7]
	s_add_u32 s6, s8, s30
	v_accvgpr_read_b32 v37, a15
	s_addc_u32 s7, s9, s31
	v_ashrrev_i32_e32 v51, 31, v50
	v_accvgpr_read_b32 v36, a14
	v_accvgpr_read_b32 v35, a13
	;; [unrolled: 1-line block ×3, first 2 shown]
	v_lshl_add_u64 v[38:39], v[50:51], 1, s[6:7]
	v_mov_b32_e32 v45, 0
	v_lshlrev_b32_e32 v42, 8, v55
	v_mov_b32_e32 v43, 0
	s_and_saveexec_b64 s[6:7], vcc
	s_cbranch_execz .LBB246_70
; %bb.69:
	v_mov_b32_e32 v43, 0
	v_lshl_add_u64 v[46:47], v[38:39], 0, v[42:43]
	global_load_ushort v43, v[46:47], off
	s_waitcnt vmcnt(0)
	v_lshlrev_b32_e32 v43, 16, v43
	v_sub_f32_e32 v34, v43, v34
	v_mul_f32_e32 v34, v52, v34
	v_lshrrev_b32_e32 v43, 16, v34
.LBB246_70:
	s_or_b64 exec, exec, s[6:7]
	v_lshlrev_b32_e32 v44, 8, v40
	s_and_saveexec_b64 s[6:7], s[0:1]
	s_cbranch_execz .LBB246_72
; %bb.71:
	v_mov_b32_e32 v45, 0
	v_lshl_add_u64 v[46:47], v[38:39], 0, v[44:45]
	global_load_ushort v34, v[46:47], off
	s_waitcnt vmcnt(0)
	v_lshlrev_b32_e32 v34, 16, v34
	v_sub_f32_e32 v34, v34, v35
	v_mul_f32_e32 v34, v48, v34
	v_lshrrev_b32_e32 v45, 16, v34
.LBB246_72:
	s_or_b64 exec, exec, s[6:7]
	v_mov_b32_e32 v65, 0
	v_lshlrev_b32_e32 v46, 8, v41
	v_mov_b32_e32 v47, 0
	s_and_saveexec_b64 s[6:7], s[2:3]
	s_cbranch_execz .LBB246_74
; %bb.73:
	v_mov_b32_e32 v47, 0
	v_lshl_add_u64 v[34:35], v[38:39], 0, v[46:47]
	global_load_ushort v34, v[34:35], off
	s_waitcnt vmcnt(0)
	v_lshlrev_b32_e32 v34, 16, v34
	v_sub_f32_e32 v34, v34, v36
	v_mul_f32_e32 v34, v54, v34
	v_lshrrev_b32_e32 v47, 16, v34
.LBB246_74:
	s_or_b64 exec, exec, s[6:7]
	v_lshlrev_b32_e32 v40, 8, v64
	s_and_saveexec_b64 s[6:7], s[4:5]
	s_cbranch_execz .LBB246_76
; %bb.75:
	v_mov_b32_e32 v41, 0
	v_lshl_add_u64 v[34:35], v[38:39], 0, v[40:41]
	global_load_ushort v34, v[34:35], off
	s_waitcnt vmcnt(0)
	v_lshlrev_b32_e32 v34, 16, v34
	v_sub_f32_e32 v34, v34, v37
	v_mul_f32_e32 v34, v49, v34
	v_lshrrev_b32_e32 v65, 16, v34
.LBB246_76:
	s_or_b64 exec, exec, s[6:7]
	v_lshlrev_b32_e32 v51, 6, v55
	v_accvgpr_read_b32 v37, a11
	s_mov_b32 s6, 0x5040100
	v_or_b32_e32 v41, v51, v58
	v_accvgpr_read_b32 v36, a10
	v_accvgpr_read_b32 v35, a9
	;; [unrolled: 1-line block ×3, first 2 shown]
	v_perm_b32 v65, v65, v47, s6
	v_perm_b32 v64, v45, v43, s6
	v_lshlrev_b32_e32 v41, 1, v41
	v_mov_b32_e32 v45, 0
	v_mov_b32_e32 v43, 0
	ds_write_b64 v41, v[64:65] offset:24576
	s_and_saveexec_b64 s[6:7], vcc
	s_cbranch_execz .LBB246_78
; %bb.77:
	v_mov_b32_e32 v43, 0
	v_lshl_add_u64 v[64:65], v[38:39], 0, v[42:43]
	global_load_ushort v41, v[64:65], off offset:32
	s_waitcnt vmcnt(0)
	v_lshlrev_b32_e32 v41, 16, v41
	v_sub_f32_e32 v34, v41, v34
	v_mul_f32_e32 v34, v52, v34
	v_lshrrev_b32_e32 v43, 16, v34
.LBB246_78:
	s_or_b64 exec, exec, s[6:7]
	s_and_saveexec_b64 s[6:7], s[0:1]
	s_cbranch_execz .LBB246_80
; %bb.79:
	v_mov_b32_e32 v45, 0
	v_lshl_add_u64 v[64:65], v[38:39], 0, v[44:45]
	global_load_ushort v34, v[64:65], off offset:32
	s_waitcnt vmcnt(0)
	v_lshlrev_b32_e32 v34, 16, v34
	v_sub_f32_e32 v34, v34, v35
	v_mul_f32_e32 v34, v48, v34
	v_lshrrev_b32_e32 v45, 16, v34
.LBB246_80:
	s_or_b64 exec, exec, s[6:7]
	v_mov_b32_e32 v41, 0
	v_mov_b32_e32 v47, 0
	s_and_saveexec_b64 s[6:7], s[2:3]
	s_cbranch_execz .LBB246_82
; %bb.81:
	v_mov_b32_e32 v47, 0
	v_lshl_add_u64 v[34:35], v[38:39], 0, v[46:47]
	global_load_ushort v34, v[34:35], off offset:32
	s_waitcnt vmcnt(0)
	v_lshlrev_b32_e32 v34, 16, v34
	v_sub_f32_e32 v34, v34, v36
	v_mul_f32_e32 v34, v54, v34
	v_lshrrev_b32_e32 v47, 16, v34
.LBB246_82:
	s_or_b64 exec, exec, s[6:7]
	s_and_saveexec_b64 s[6:7], s[4:5]
	s_cbranch_execz .LBB246_84
; %bb.83:
	v_mov_b32_e32 v41, 0
	v_lshl_add_u64 v[34:35], v[38:39], 0, v[40:41]
	global_load_ushort v34, v[34:35], off offset:32
	s_waitcnt vmcnt(0)
	v_lshlrev_b32_e32 v34, 16, v34
	v_sub_f32_e32 v34, v34, v37
	v_mul_f32_e32 v34, v49, v34
	v_lshrrev_b32_e32 v41, 16, v34
.LBB246_84:
	s_or_b64 exec, exec, s[6:7]
	s_mov_b32 s6, 0x5040100
	v_accvgpr_read_b32 v37, a7
	v_perm_b32 v65, v41, v47, s6
	v_or_b32_e32 v41, v51, v57
	v_accvgpr_read_b32 v36, a6
	v_accvgpr_read_b32 v35, a5
	;; [unrolled: 1-line block ×3, first 2 shown]
	v_perm_b32 v64, v45, v43, s6
	v_lshlrev_b32_e32 v41, 1, v41
	v_mov_b32_e32 v45, 0
	v_mov_b32_e32 v43, 0
	ds_write_b64 v41, v[64:65] offset:24576
	s_and_saveexec_b64 s[6:7], vcc
	s_cbranch_execz .LBB246_86
; %bb.85:
	v_mov_b32_e32 v43, 0
	v_lshl_add_u64 v[64:65], v[38:39], 0, v[42:43]
	global_load_ushort v41, v[64:65], off offset:64
	s_waitcnt vmcnt(0)
	v_lshlrev_b32_e32 v41, 16, v41
	v_sub_f32_e32 v34, v41, v34
	v_mul_f32_e32 v34, v52, v34
	v_lshrrev_b32_e32 v43, 16, v34
.LBB246_86:
	s_or_b64 exec, exec, s[6:7]
	s_and_saveexec_b64 s[6:7], s[0:1]
	s_cbranch_execz .LBB246_88
; %bb.87:
	v_mov_b32_e32 v45, 0
	v_lshl_add_u64 v[64:65], v[38:39], 0, v[44:45]
	global_load_ushort v34, v[64:65], off offset:64
	s_waitcnt vmcnt(0)
	v_lshlrev_b32_e32 v34, 16, v34
	v_sub_f32_e32 v34, v34, v35
	v_mul_f32_e32 v34, v48, v34
	v_lshrrev_b32_e32 v45, 16, v34
.LBB246_88:
	s_or_b64 exec, exec, s[6:7]
	v_mov_b32_e32 v41, 0
	v_mov_b32_e32 v47, 0
	s_and_saveexec_b64 s[6:7], s[2:3]
	s_cbranch_execz .LBB246_90
; %bb.89:
	v_mov_b32_e32 v47, 0
	v_lshl_add_u64 v[34:35], v[38:39], 0, v[46:47]
	global_load_ushort v34, v[34:35], off offset:64
	s_waitcnt vmcnt(0)
	v_lshlrev_b32_e32 v34, 16, v34
	v_sub_f32_e32 v34, v34, v36
	v_mul_f32_e32 v34, v54, v34
	v_lshrrev_b32_e32 v47, 16, v34
.LBB246_90:
	s_or_b64 exec, exec, s[6:7]
	s_and_saveexec_b64 s[6:7], s[4:5]
	s_cbranch_execz .LBB246_92
; %bb.91:
	v_mov_b32_e32 v41, 0
	v_lshl_add_u64 v[34:35], v[38:39], 0, v[40:41]
	global_load_ushort v34, v[34:35], off offset:64
	s_waitcnt vmcnt(0)
	v_lshlrev_b32_e32 v34, 16, v34
	v_sub_f32_e32 v34, v34, v37
	v_mul_f32_e32 v34, v49, v34
	v_lshrrev_b32_e32 v41, 16, v34
.LBB246_92:
	s_or_b64 exec, exec, s[6:7]
	s_mov_b32 s6, 0x5040100
	v_accvgpr_read_b32 v37, a3
	v_perm_b32 v65, v41, v47, s6
	v_or_b32_e32 v41, v51, v56
	v_accvgpr_read_b32 v36, a2
	v_accvgpr_read_b32 v35, a1
	;; [unrolled: 1-line block ×3, first 2 shown]
	v_perm_b32 v64, v45, v43, s6
	v_lshlrev_b32_e32 v41, 1, v41
	v_mov_b32_e32 v45, 0
	v_mov_b32_e32 v43, 0
	ds_write_b64 v41, v[64:65] offset:24576
	s_and_saveexec_b64 s[6:7], vcc
	s_cbranch_execz .LBB246_94
; %bb.93:
	v_mov_b32_e32 v43, 0
	v_lshl_add_u64 v[42:43], v[38:39], 0, v[42:43]
	global_load_ushort v41, v[42:43], off offset:96
	s_waitcnt vmcnt(0)
	v_lshlrev_b32_e32 v41, 16, v41
	v_sub_f32_e32 v34, v41, v34
	v_mul_f32_e32 v34, v52, v34
	v_lshrrev_b32_e32 v43, 16, v34
.LBB246_94:
	s_or_b64 exec, exec, s[6:7]
	s_and_saveexec_b64 s[6:7], s[0:1]
	s_cbranch_execz .LBB246_96
; %bb.95:
	v_mov_b32_e32 v45, 0
	v_lshl_add_u64 v[44:45], v[38:39], 0, v[44:45]
	global_load_ushort v34, v[44:45], off offset:96
	s_waitcnt vmcnt(0)
	v_lshlrev_b32_e32 v34, 16, v34
	v_sub_f32_e32 v34, v34, v35
	v_mul_f32_e32 v34, v48, v34
	v_lshrrev_b32_e32 v45, 16, v34
.LBB246_96:
	s_or_b64 exec, exec, s[6:7]
	v_mov_b32_e32 v41, 0
	v_mov_b32_e32 v44, 0
	s_and_saveexec_b64 s[0:1], s[2:3]
	s_cbranch_execz .LBB246_98
; %bb.97:
	v_mov_b32_e32 v47, 0
	v_lshl_add_u64 v[34:35], v[38:39], 0, v[46:47]
	global_load_ushort v34, v[34:35], off offset:96
	s_waitcnt vmcnt(0)
	v_lshlrev_b32_e32 v34, 16, v34
	v_sub_f32_e32 v34, v34, v36
	v_mul_f32_e32 v34, v54, v34
	v_lshrrev_b32_e32 v44, 16, v34
.LBB246_98:
	s_or_b64 exec, exec, s[0:1]
	v_or_b32_e32 v42, 0x6000, v60
	v_or_b32_e32 v36, 0x6000, v61
	;; [unrolled: 1-line block ×4, first 2 shown]
	s_and_saveexec_b64 s[0:1], s[4:5]
	s_cbranch_execz .LBB246_100
; %bb.99:
	v_mov_b32_e32 v41, 0
	v_lshl_add_u64 v[38:39], v[38:39], 0, v[40:41]
	global_load_ushort v38, v[38:39], off offset:96
	s_waitcnt vmcnt(0)
	v_lshlrev_b32_e32 v38, 16, v38
	v_sub_f32_e32 v37, v38, v37
	v_mul_f32_e32 v37, v49, v37
	v_lshrrev_b32_e32 v41, 16, v37
.LBB246_100:
	s_or_b64 exec, exec, s[0:1]
	s_mov_b32 s0, 0x5040100
	v_or_b32_e32 v37, v51, v53
	v_perm_b32 v39, v41, v44, s0
	v_perm_b32 v38, v45, v43, s0
	v_lshlrev_b32_e32 v37, 1, v37
	s_movk_i32 s0, 0x100
	ds_write_b64 v37, v[38:39] offset:24576
	v_and_b32_e32 v37, 7, v0
	v_and_b32_e32 v38, 8, v0
	v_cmp_gt_u32_e32 vcc, s0, v0
	v_lshrrev_b32_e32 v0, 1, v0
	v_mov_b32_e32 v39, 0xa000
	v_mov_b32_e32 v40, 0x8000
	v_lshlrev_b32_e32 v58, 3, v72
	v_and_b32_e32 v0, 24, v0
	v_cndmask_b32_e32 v51, v39, v40, vcc
	v_xor_b32_e32 v39, v58, v0
	v_or_b32_e32 v40, 0x440, v39
	v_cmp_eq_u32_e32 vcc, 0, v38
	v_lshlrev_b32_e32 v43, 3, v37
	v_lshlrev_b32_e32 v37, 7, v37
	v_cndmask_b32_e32 v38, v40, v39, vcc
	v_or_b32_e32 v38, v38, v59
	v_xad_u32 v72, v38, v43, v37
	v_add_u32_e32 v38, v51, v72
	s_waitcnt lgkmcnt(0)
	s_barrier
	ds_read_b64 v[48:49], v38
	ds_read2_b64 v[38:41], v42 offset1:16
	ds_read2_b64 v[44:47], v42 offset0:32 offset1:48
	v_or_b32_e32 v52, 32, v0
	v_xor_b32_e32 v52, v58, v52
	v_or_b32_e32 v53, 0x440, v52
	v_cndmask_b32_e32 v52, v53, v52, vcc
	s_waitcnt lgkmcnt(1)
	v_mfma_f32_16x16x16_bf16 a[0:3], v[48:49], v[38:39], 0
	v_or_b32_e32 v52, v52, v59
	v_xad_u32 v73, v52, v43, v37
	v_add_u32_e32 v52, v51, v73
	v_mfma_f32_16x16x16_bf16 a[4:7], v[48:49], v[40:41], 0
	ds_read_b64 v[56:57], v52
	ds_read2st64_b64 v[60:63], v36 offset0:4 offset1:8
	ds_read2st64_b64 v[64:67], v35 offset0:4 offset1:8
	s_waitcnt lgkmcnt(3)
	v_mfma_f32_16x16x16_bf16 a[8:11], v[48:49], v[44:45], 0
	ds_read2st64_b64 v[68:71], v34 offset0:4 offset1:8
	v_mfma_f32_16x16x16_bf16 a[12:15], v[48:49], v[46:47], 0
	v_or_b32_e32 v48, 64, v0
	v_xor_b32_e32 v48, v58, v48
	v_xor_b32_e32 v49, 0x440, v48
	v_cndmask_b32_e32 v48, v49, v48, vcc
	v_or_b32_e32 v48, v48, v59
	v_xad_u32 v74, v48, v43, v37
	v_add_u32_e32 v48, v51, v74
	ds_read_b64 v[48:49], v48
	ds_read2st64_b64 v[52:55], v42 offset0:4 offset1:8
	v_or_b32_e32 v0, 0x60, v0
	v_xor_b32_e32 v0, v58, v0
	s_waitcnt lgkmcnt(0)
	v_mfma_f32_16x16x16_bf16 a[0:3], v[56:57], v[52:53], a[0:3]
	v_mfma_f32_16x16x16_bf16 a[4:7], v[56:57], v[60:61], a[4:7]
	;; [unrolled: 1-line block ×4, first 2 shown]
	v_xor_b32_e32 v56, 0x440, v0
	v_cndmask_b32_e32 v0, v56, v0, vcc
	v_or_b32_e32 v0, v0, v59
	v_xad_u32 v0, v0, v43, v37
	v_add_u32_e32 v37, v51, v0
	v_mfma_f32_16x16x16_bf16 a[0:3], v[48:49], v[54:55], a[0:3]
	ds_read_b64 v[56:57], v37
	ds_read_b64 v[42:43], v42 offset:6144
	v_mfma_f32_16x16x16_bf16 a[4:7], v[48:49], v[62:63], a[4:7]
	v_mfma_f32_16x16x16_bf16 a[8:11], v[48:49], v[66:67], a[8:11]
	;; [unrolled: 1-line block ×3, first 2 shown]
	ds_read_b64 v[36:37], v36 offset:6144
	ds_read_b64 v[48:49], v35 offset:6144
	;; [unrolled: 1-line block ×3, first 2 shown]
	s_waitcnt lgkmcnt(3)
	v_mfma_f32_16x16x16_bf16 a[0:3], v[56:57], v[42:43], a[0:3]
	s_waitcnt lgkmcnt(2)
	v_mfma_f32_16x16x16_bf16 a[4:7], v[56:57], v[36:37], a[4:7]
	;; [unrolled: 2-line block ×4, first 2 shown]
	ds_read_b64 v[56:57], v72 offset:40960
	s_waitcnt lgkmcnt(0)
	v_mfma_f32_16x16x16_bf16 a[20:23], v[56:57], v[40:41], 0
	v_mov_b32_e32 v40, 0x3fb8aa3b
	v_mul_f32_e32 v40, s16, v40
	v_mfma_f32_16x16x16_bf16 a[24:27], v[56:57], v[44:45], 0
	v_exp_f32_e32 v44, v40
	v_accvgpr_read_b32 v40, a0
	v_accvgpr_read_b32 v45, a3
	v_mfma_f32_16x16x16_bf16 a[16:19], v[56:57], v[38:39], 0
	ds_read_b64 v[38:39], v73 offset:40960
	v_fma_f32 v30, v44, v30, v40
	v_accvgpr_read_b32 v40, a1
	v_fma_f32 v31, v44, v31, v40
	v_accvgpr_read_b32 v40, a2
	v_mfma_f32_16x16x16_bf16 a[28:31], v[56:57], v[46:47], 0
	v_fma_f32 v32, v44, v32, v40
	ds_read_b64 v[40:41], v74 offset:40960
	v_fmac_f32_e32 v45, v44, v33
	s_waitcnt lgkmcnt(1)
	v_mfma_f32_16x16x16_bf16 a[16:19], v[38:39], v[52:53], a[16:19]
	v_accvgpr_read_b32 v33, a4
	v_fma_f32 v22, v44, v22, v33
	v_accvgpr_read_b32 v33, a5
	v_mfma_f32_16x16x16_bf16 a[20:23], v[38:39], v[60:61], a[20:23]
	v_fma_f32 v23, v44, v23, v33
	v_accvgpr_read_b32 v33, a6
	v_accvgpr_read_b32 v46, a7
	v_mfma_f32_16x16x16_bf16 a[24:27], v[38:39], v[64:65], a[24:27]
	v_fmac_f32_e32 v46, v44, v25
	v_accvgpr_read_b32 v25, a8
	v_fma_f32 v24, v44, v24, v33
	v_mfma_f32_16x16x16_bf16 a[0:3], v[38:39], v[68:69], a[28:31]
	ds_read_b64 v[38:39], v0 offset:40960
	v_accvgpr_read_b32 v0, a9
	v_fma_f32 v15, v44, v15, v0
	s_waitcnt lgkmcnt(1)
	v_mfma_f32_16x16x16_bf16 a[4:7], v[40:41], v[62:63], a[20:23]
	v_accvgpr_read_b32 v0, a10
	v_fma_f32 v16, v44, v16, v0
	v_accvgpr_read_b32 v0, a11
	v_mfma_f32_16x16x16_bf16 a[16:19], v[40:41], v[54:55], a[16:19]
	v_fmac_f32_e32 v0, v44, v17
	v_accvgpr_read_b32 v17, a12
	v_fma_f32 v2, v44, v2, v17
	v_mfma_f32_16x16x16_bf16 a[20:23], v[40:41], v[66:67], a[24:27]
	v_accvgpr_read_b32 v17, a13
	v_fma_f32 v3, v44, v3, v17
	v_accvgpr_read_b32 v17, a14
	v_mfma_f32_16x16x16_bf16 a[0:3], v[40:41], v[70:71], a[0:3]
	v_fma_f32 v4, v44, v4, v17
	v_fma_f32 v14, v44, v14, v25
	v_mov_b32_e32 v33, v45
	s_waitcnt lgkmcnt(0)
	v_mfma_f32_16x16x16_bf16 a[4:7], v[38:39], v[36:37], a[4:7]
	v_accvgpr_read_b32 v36, a15
	v_fmac_f32_e32 v36, v44, v5
	v_mov_b32_e32 v25, v46
	v_mfma_f32_16x16x16_bf16 a[8:11], v[38:39], v[42:43], a[16:19]
	v_mfma_f32_16x16x16_bf16 a[16:19], v[38:39], v[48:49], a[20:23]
	s_nop 1
	v_accvgpr_read_b32 v17, a4
	v_fma_f32 v18, v44, v18, v17
	v_accvgpr_read_b32 v17, a5
	v_mfma_f32_16x16x16_bf16 a[0:3], v[38:39], v[34:35], a[0:3]
	v_accvgpr_read_b32 v5, a8
	v_fma_f32 v19, v44, v19, v17
	v_accvgpr_read_b32 v17, a6
	v_fma_f32 v26, v44, v26, v5
	;; [unrolled: 2-line block ×3, first 2 shown]
	v_accvgpr_read_b32 v17, a7
	v_accvgpr_read_b32 v34, a19
	v_fma_f32 v27, v44, v27, v5
	v_accvgpr_read_b32 v5, a10
	v_fmac_f32_e32 v17, v44, v21
	v_accvgpr_read_b32 v21, a16
	v_fmac_f32_e32 v34, v44, v13
	v_accvgpr_read_b32 v13, a0
	v_fma_f32 v28, v44, v28, v5
	v_accvgpr_read_b32 v5, a11
	v_fma_f32 v10, v44, v10, v21
	;; [unrolled: 2-line block ×3, first 2 shown]
	v_accvgpr_read_b32 v13, a1
	v_accvgpr_read_b32 v35, a3
	v_fmac_f32_e32 v5, v44, v29
	v_fma_f32 v11, v44, v11, v21
	v_accvgpr_read_b32 v21, a18
	v_fma_f32 v7, v44, v7, v13
	v_accvgpr_read_b32 v13, a2
	v_fmac_f32_e32 v35, v44, v9
	v_fma_f32 v12, v44, v12, v21
	v_fma_f32 v8, v44, v8, v13
	v_mov_b32_e32 v29, v5
	v_mov_b32_e32 v21, v17
	;; [unrolled: 1-line block ×7, first 2 shown]
.LBB246_101:
	s_mul_i32 s0, s45, s35
	s_mul_hi_u32 s1, s45, s34
	s_add_i32 s0, s1, s0
	s_mul_i32 s1, s33, s34
	s_add_i32 s1, s0, s1
	s_mul_i32 s0, s45, s34
	s_add_u32 s0, s0, s44
	s_addc_u32 s1, s1, s29
	s_lshl_b64 s[0:1], s[0:1], 16
	s_add_u32 s0, s12, s0
	v_lshlrev_b32_e32 v34, 7, v34
	s_addc_u32 s1, s13, s1
	v_ashrrev_i32_e32 v35, 31, v34
	v_lshl_add_u64 v[36:37], v[34:35], 2, s[0:1]
	v_lshlrev_b32_e32 v0, 2, v1
	v_mov_b32_e32 v1, 0
	v_lshl_add_u64 v[36:37], v[36:37], 0, v[0:1]
	global_store_dwordx4 v[36:37], v[30:33], off
	global_store_dwordx4 v[36:37], v[26:29], off offset:256
	s_nop 1
	v_or_b32_e32 v26, 0x800, v34
	v_ashrrev_i32_e32 v27, 31, v26
	v_lshl_add_u64 v[26:27], v[26:27], 2, s[0:1]
	v_lshl_add_u64 v[26:27], v[26:27], 0, v[0:1]
	global_store_dwordx4 v[26:27], v[22:25], off
	global_store_dwordx4 v[26:27], v[18:21], off offset:256
	s_nop 1
	v_or_b32_e32 v18, 0x1000, v34
	v_ashrrev_i32_e32 v19, 31, v18
	v_lshl_add_u64 v[18:19], v[18:19], 2, s[0:1]
	;; [unrolled: 7-line block ×3, first 2 shown]
	v_lshl_add_u64 v[0:1], v[10:11], 0, v[0:1]
	global_store_dwordx4 v[0:1], v[2:5], off
	global_store_dwordx4 v[0:1], v[6:9], off offset:256
	s_endpgm
	.section	.rodata,"a",@progbits
	.p2align	6, 0x0
	.amdhsa_kernel _ZN12_GLOBAL__N_139chunk_gated_delta_rule_fwd_h_hip_kernelILi64ELb0ELb1ELb0ELb1ELb0ELb0ELb0ELb0EEEvPK12hip_bfloat16S3_S3_PKfS5_PKvPS1_S8_PvPKiSB_iiiiilll
		.amdhsa_group_segment_fixed_size 65536
		.amdhsa_private_segment_fixed_size 0
		.amdhsa_kernarg_size 136
		.amdhsa_user_sgpr_count 2
		.amdhsa_user_sgpr_dispatch_ptr 0
		.amdhsa_user_sgpr_queue_ptr 0
		.amdhsa_user_sgpr_kernarg_segment_ptr 1
		.amdhsa_user_sgpr_dispatch_id 0
		.amdhsa_user_sgpr_kernarg_preload_length 0
		.amdhsa_user_sgpr_kernarg_preload_offset 0
		.amdhsa_user_sgpr_private_segment_size 0
		.amdhsa_uses_dynamic_stack 0
		.amdhsa_enable_private_segment 0
		.amdhsa_system_sgpr_workgroup_id_x 1
		.amdhsa_system_sgpr_workgroup_id_y 1
		.amdhsa_system_sgpr_workgroup_id_z 0
		.amdhsa_system_sgpr_workgroup_info 0
		.amdhsa_system_vgpr_workitem_id 0
		.amdhsa_next_free_vgpr 216
		.amdhsa_next_free_sgpr 65
		.amdhsa_accum_offset 180
		.amdhsa_reserve_vcc 1
		.amdhsa_float_round_mode_32 0
		.amdhsa_float_round_mode_16_64 0
		.amdhsa_float_denorm_mode_32 3
		.amdhsa_float_denorm_mode_16_64 3
		.amdhsa_dx10_clamp 1
		.amdhsa_ieee_mode 1
		.amdhsa_fp16_overflow 0
		.amdhsa_tg_split 0
		.amdhsa_exception_fp_ieee_invalid_op 0
		.amdhsa_exception_fp_denorm_src 0
		.amdhsa_exception_fp_ieee_div_zero 0
		.amdhsa_exception_fp_ieee_overflow 0
		.amdhsa_exception_fp_ieee_underflow 0
		.amdhsa_exception_fp_ieee_inexact 0
		.amdhsa_exception_int_div_zero 0
	.end_amdhsa_kernel
	.section	.text._ZN12_GLOBAL__N_139chunk_gated_delta_rule_fwd_h_hip_kernelILi64ELb0ELb1ELb0ELb1ELb0ELb0ELb0ELb0EEEvPK12hip_bfloat16S3_S3_PKfS5_PKvPS1_S8_PvPKiSB_iiiiilll,"axG",@progbits,_ZN12_GLOBAL__N_139chunk_gated_delta_rule_fwd_h_hip_kernelILi64ELb0ELb1ELb0ELb1ELb0ELb0ELb0ELb0EEEvPK12hip_bfloat16S3_S3_PKfS5_PKvPS1_S8_PvPKiSB_iiiiilll,comdat
.Lfunc_end246:
	.size	_ZN12_GLOBAL__N_139chunk_gated_delta_rule_fwd_h_hip_kernelILi64ELb0ELb1ELb0ELb1ELb0ELb0ELb0ELb0EEEvPK12hip_bfloat16S3_S3_PKfS5_PKvPS1_S8_PvPKiSB_iiiiilll, .Lfunc_end246-_ZN12_GLOBAL__N_139chunk_gated_delta_rule_fwd_h_hip_kernelILi64ELb0ELb1ELb0ELb1ELb0ELb0ELb0ELb0EEEvPK12hip_bfloat16S3_S3_PKfS5_PKvPS1_S8_PvPKiSB_iiiiilll
                                        ; -- End function
	.section	.AMDGPU.csdata,"",@progbits
; Kernel info:
; codeLenInByte = 12216
; NumSgprs: 71
; NumVgprs: 178
; NumAgprs: 36
; TotalNumVgprs: 216
; ScratchSize: 0
; MemoryBound: 0
; FloatMode: 240
; IeeeMode: 1
; LDSByteSize: 65536 bytes/workgroup (compile time only)
; SGPRBlocks: 8
; VGPRBlocks: 26
; NumSGPRsForWavesPerEU: 71
; NumVGPRsForWavesPerEU: 216
; AccumOffset: 180
; Occupancy: 1
; WaveLimiterHint : 1
; COMPUTE_PGM_RSRC2:SCRATCH_EN: 0
; COMPUTE_PGM_RSRC2:USER_SGPR: 2
; COMPUTE_PGM_RSRC2:TRAP_HANDLER: 0
; COMPUTE_PGM_RSRC2:TGID_X_EN: 1
; COMPUTE_PGM_RSRC2:TGID_Y_EN: 1
; COMPUTE_PGM_RSRC2:TGID_Z_EN: 0
; COMPUTE_PGM_RSRC2:TIDIG_COMP_CNT: 0
; COMPUTE_PGM_RSRC3_GFX90A:ACCUM_OFFSET: 44
; COMPUTE_PGM_RSRC3_GFX90A:TG_SPLIT: 0
	.section	.text._ZN12_GLOBAL__N_139chunk_gated_delta_rule_fwd_h_hip_kernelILi64ELb0ELb0ELb1ELb1ELb0ELb0ELb0ELb0EEEvPK12hip_bfloat16S3_S3_PKfS5_PKvPS1_S8_PvPKiSB_iiiiilll,"axG",@progbits,_ZN12_GLOBAL__N_139chunk_gated_delta_rule_fwd_h_hip_kernelILi64ELb0ELb0ELb1ELb1ELb0ELb0ELb0ELb0EEEvPK12hip_bfloat16S3_S3_PKfS5_PKvPS1_S8_PvPKiSB_iiiiilll,comdat
	.globl	_ZN12_GLOBAL__N_139chunk_gated_delta_rule_fwd_h_hip_kernelILi64ELb0ELb0ELb1ELb1ELb0ELb0ELb0ELb0EEEvPK12hip_bfloat16S3_S3_PKfS5_PKvPS1_S8_PvPKiSB_iiiiilll ; -- Begin function _ZN12_GLOBAL__N_139chunk_gated_delta_rule_fwd_h_hip_kernelILi64ELb0ELb0ELb1ELb1ELb0ELb0ELb0ELb0EEEvPK12hip_bfloat16S3_S3_PKfS5_PKvPS1_S8_PvPKiSB_iiiiilll
	.p2align	8
	.type	_ZN12_GLOBAL__N_139chunk_gated_delta_rule_fwd_h_hip_kernelILi64ELb0ELb0ELb1ELb1ELb0ELb0ELb0ELb0EEEvPK12hip_bfloat16S3_S3_PKfS5_PKvPS1_S8_PvPKiSB_iiiiilll,@function
_ZN12_GLOBAL__N_139chunk_gated_delta_rule_fwd_h_hip_kernelILi64ELb0ELb0ELb1ELb1ELb0ELb0ELb0ELb0EEEvPK12hip_bfloat16S3_S3_PKfS5_PKvPS1_S8_PvPKiSB_iiiiilll: ; @_ZN12_GLOBAL__N_139chunk_gated_delta_rule_fwd_h_hip_kernelILi64ELb0ELb0ELb1ELb1ELb0ELb0ELb0ELb0EEEvPK12hip_bfloat16S3_S3_PKfS5_PKvPS1_S8_PvPKiSB_iiiiilll
; %bb.0:
	s_load_dwordx4 s[16:19], s[0:1], 0x5c
	s_load_dwordx4 s[20:23], s[0:1], 0x70
	s_abs_i32 s25, s3
	s_ashr_i32 s24, s3, 31
	s_load_dwordx4 s[12:15], s[0:1], 0x30
	s_load_dwordx4 s[28:31], s[0:1], 0x48
	s_waitcnt lgkmcnt(0)
	s_abs_i32 s34, s17
	v_cvt_f32_u32_e32 v1, s34
	s_sub_i32 s26, 0, s34
	s_ashr_i32 s35, s17, 31
	s_xor_b32 s24, s24, s35
	v_rcp_iflag_f32_e32 v1, v1
	s_load_dwordx8 s[4:11], s[0:1], 0x0
	v_lshrrev_b32_e32 v76, 6, v0
	v_bfe_u32 v77, v0, 4, 2
	v_mul_f32_e32 v1, 0x4f7ffffe, v1
	v_cvt_u32_f32_e32 v1, v1
	v_lshlrev_b32_e32 v2, 2, v77
	v_and_b32_e32 v75, 63, v0
	v_mov_b32_e32 v35, 0
	v_readfirstlane_b32 s27, v1
	s_mul_i32 s26, s26, s27
	s_mul_hi_u32 s26, s27, s26
	s_add_i32 s27, s27, s26
	s_mul_hi_u32 s26, s25, s27
	s_mul_i32 s27, s26, s34
	s_sub_i32 s25, s25, s27
	s_add_i32 s33, s26, 1
	s_sub_i32 s27, s25, s34
	s_cmp_ge_u32 s25, s34
	s_cselect_b32 s26, s33, s26
	s_cselect_b32 s25, s27, s25
	s_add_i32 s27, s26, 1
	s_cmp_ge_u32 s25, s34
	s_cselect_b32 s25, s27, s26
	s_xor_b32 s25, s25, s24
	s_sub_i32 s24, s25, s24
	s_mul_i32 s25, s24, s17
	s_sub_i32 s33, s3, s25
	s_ashr_i32 s25, s24, 31
	s_lshl_b64 s[26:27], s[24:25], 2
	s_add_u32 s28, s28, s26
	s_addc_u32 s29, s29, s27
	s_add_u32 s26, s30, s26
	s_addc_u32 s27, s31, s27
	s_abs_i32 s3, s18
	v_cvt_f32_u32_e32 v1, s3
	s_load_dwordx2 s[38:39], s[28:29], 0x0
	s_sub_i32 s29, 0, s3
	s_load_dword s46, s[26:27], 0x0
	v_rcp_iflag_f32_e32 v1, v1
	v_and_b32_e32 v74, 15, v0
	s_waitcnt lgkmcnt(0)
	s_sub_i32 s47, s39, s38
	s_ashr_i32 s28, s47, 31
	v_mul_f32_e32 v1, 0x4f7ffffe, v1
	v_cvt_u32_f32_e32 v1, v1
	s_lshr_b32 s28, s28, 26
	s_add_i32 s28, s47, s28
	s_ashr_i32 s45, s28, 6
	v_readfirstlane_b32 s30, v1
	s_mul_i32 s29, s29, s30
	s_mul_hi_u32 s29, s30, s29
	s_add_i32 s30, s30, s29
	s_mul_hi_u32 s29, s34, s30
	s_mul_i32 s30, s29, s3
	s_ashr_i32 s28, s18, 31
	s_sub_i32 s30, s34, s30
	s_xor_b32 s28, s35, s28
	s_add_i32 s31, s29, 1
	s_sub_i32 s34, s30, s3
	s_cmp_ge_u32 s30, s3
	s_cselect_b32 s29, s31, s29
	s_cselect_b32 s30, s34, s30
	s_add_i32 s31, s29, 1
	s_cmp_ge_u32 s30, s3
	s_cselect_b32 s3, s31, s29
	s_xor_b32 s3, s3, s28
	s_sub_i32 s3, s3, s28
	s_abs_i32 s28, s3
	v_cvt_f32_u32_e32 v1, s28
	s_load_dwordx2 s[34:35], s[0:1], 0x80
	s_xor_b32 s0, s33, s3
	s_sub_i32 s3, 0, s28
	v_rcp_iflag_f32_e32 v1, v1
	s_abs_i32 s1, s33
	s_ashr_i32 s0, s0, 31
	s_mul_hi_i32 s48, s33, s16
	v_mul_f32_e32 v1, 0x4f7ffffe, v1
	v_cvt_u32_f32_e32 v1, v1
	s_mul_i32 s49, s33, s16
	v_lshrrev_b32_e32 v79, 3, v75
	v_lshlrev_b32_e32 v78, 3, v0
	v_readfirstlane_b32 s26, v1
	s_mul_i32 s3, s3, s26
	s_mul_hi_u32 s3, s26, s3
	s_add_i32 s26, s26, s3
	s_mul_hi_u32 s3, s1, s26
	s_mul_i32 s26, s3, s28
	s_sub_i32 s1, s1, s26
	s_add_i32 s26, s3, 1
	s_sub_i32 s27, s1, s28
	s_cmp_ge_u32 s1, s28
	s_cselect_b32 s3, s26, s3
	s_cselect_b32 s1, s27, s1
	s_add_i32 s26, s3, 1
	s_cmp_ge_u32 s1, s28
	s_cselect_b32 s1, s26, s3
	s_xor_b32 s1, s1, s0
	v_lshlrev_b32_e32 v1, 4, v76
	s_sub_i32 s50, s1, s0
	v_or_b32_e32 v80, v2, v1
	s_lshl_b32 s36, s2, 6
	v_or_b32_e32 v81, 64, v80
	s_cmp_lt_i32 s47, 64
	s_mul_i32 s42, s24, s21
	s_mul_hi_u32 s43, s24, s20
	s_mul_i32 s44, s25, s20
	s_mul_i32 s20, s24, s20
	v_mov_b32_e32 v34, v35
	v_mov_b32_e32 v41, v35
	;; [unrolled: 1-line block ×31, first 2 shown]
	s_cbranch_scc1 .LBB247_18
; %bb.1:
	s_ashr_i32 s53, s33, 31
	s_ashr_i32 s1, s38, 31
	s_add_u32 s0, s49, s38
	s_addc_u32 s1, s48, s1
	s_lshl_b64 s[0:1], s[0:1], 8
	v_and_b32_e32 v83, 56, v78
	s_add_u32 s0, s6, s0
	v_lshl_or_b32 v82, v76, 3, v79
	v_lshlrev_b32_e32 v3, 1, v83
	s_addc_u32 s1, s7, s1
	v_lshl_or_b32 v84, v82, 8, v3
	s_and_b32 s1, s1, 0xffff
	s_mov_b32 s3, 0x20000
	s_movk_i32 s2, 0x4000
	s_movk_i32 s21, 0x80
	v_or_b32_e32 v85, 0x2000, v84
	buffer_load_dwordx4 v[4:7], v84, s[0:3], 0 offen
	buffer_load_dwordx4 v[8:11], v84, s[0:3], s21 offen
	;; [unrolled: 1-line block ×4, first 2 shown]
	v_lshlrev_b32_e32 v20, 3, v82
	v_and_or_b32 v22, v0, 7, v20
	v_and_b32_e32 v20, 0x78, v20
	v_lshlrev_b32_e32 v22, 4, v22
	v_xor_b32_e32 v86, v22, v20
	v_mul_lo_u32 v21, v82, s19
	v_or_b32_e32 v87, 0x1000, v86
	s_cmpk_eq_i32 s19, 0x80
	s_mov_b32 s51, s17
	s_mov_b32 s52, s38
	v_xor_b32_e32 v20, 8, v86
	v_xor_b32_e32 v22, 8, v87
	s_cselect_b64 s[0:1], -1, 0
	s_cmpk_lg_i32 s19, 0x80
	s_waitcnt vmcnt(3)
	ds_write_b64 v86, v[4:5] offset:49152
	ds_write_b64 v20, v[6:7] offset:49152
	s_waitcnt vmcnt(2)
	ds_write_b64 v86, v[8:9] offset:57344
	ds_write_b64 v20, v[10:11] offset:57344
	;; [unrolled: 3-line block ×4, first 2 shown]
	v_lshl_add_u32 v4, v21, 1, v83
	s_cbranch_scc0 .LBB247_3
; %bb.2:
	v_lshlrev_b32_e32 v6, 1, v4
	v_add_lshl_u32 v5, v4, s19, 1
	s_lshl_b32 s26, s19, 7
	v_lshl_or_b32 v3, v82, 9, v3
	s_cbranch_execz .LBB247_4
	s_branch .LBB247_5
.LBB247_3:
                                        ; implicit-def: $vgpr5
                                        ; implicit-def: $vgpr6
                                        ; implicit-def: $sgpr26
	v_lshl_or_b32 v3, v82, 9, v3
.LBB247_4:
	v_or_b32_e32 v5, 0x100, v3
	s_movk_i32 s26, 0x4000
	v_mov_b32_e32 v6, v3
.LBB247_5:
	s_mul_i32 s2, s38, s18
	s_ashr_i32 s54, s50, 31
	s_mul_hi_i32 s3, s38, s18
	s_add_u32 s2, s2, s50
	s_addc_u32 s3, s3, s54
	s_lshl_b64 s[2:3], s[2:3], 8
	s_add_u32 s24, s4, s2
	s_addc_u32 s2, s5, s3
	s_and_b32 s25, s2, 0xffff
	s_mov_b32 s27, 0x20000
	s_movk_i32 s55, 0x80
	buffer_load_dwordx4 v[8:11], v6, s[24:27], 0 offen
	buffer_load_dwordx4 v[12:15], v6, s[24:27], s55 offen
	;; [unrolled: 1-line block ×4, first 2 shown]
	v_and_b32_e32 v5, 6, v0
	v_lshlrev_b32_e32 v6, 7, v80
	v_xor_b32_e32 v28, v82, v5
	v_and_b32_e32 v7, 1, v0
	v_lshl_or_b32 v31, v74, 3, v6
	v_lshlrev_b32_e32 v28, 2, v28
	v_lshlrev_b32_e32 v24, 2, v74
	v_or_b32_e32 v88, 0x4000, v31
	v_or_b32_e32 v89, 0x6000, v31
	v_xor_b32_e32 v31, 0x440, v28
	v_cmp_eq_u32_e32 vcc, 0, v7
	v_or_b32_e32 v26, 16, v74
	v_or_b32_e32 v27, 32, v74
	v_xor_b32_e32 v29, v80, v24
	v_xor_b32_e32 v30, v81, v24
	v_cndmask_b32_e32 v7, v31, v28, vcc
	s_add_i32 s2, s43, s42
	s_mov_b32 s56, 0x1000504
	v_lshl_or_b32 v32, v26, 3, v6
	v_lshlrev_b32_e32 v26, 8, v26
	v_lshl_or_b32 v33, v27, 3, v6
	v_lshlrev_b32_e32 v29, 1, v29
	v_lshlrev_b32_e32 v30, 1, v30
	v_lshl_or_b32 v5, v5, 10, v7
	s_add_i32 s21, s2, s44
	s_mul_i32 s2, s33, s23
	s_mul_hi_u32 s3, s33, s22
	s_mov_b32 s57, 0x3020706
	v_lshlrev_b32_e32 v25, 8, v74
	v_or_b32_e32 v92, 0x4000, v33
	v_or_b32_e32 v93, 0x6000, v33
	;; [unrolled: 1-line block ×4, first 2 shown]
	v_xor_b32_e32 v7, 8, v5
	v_xor_b32_e32 v26, 24, v5
	;; [unrolled: 1-line block ×4, first 2 shown]
	s_add_i32 s2, s3, s2
	s_mul_i32 s3, s53, s22
	v_or_b32_e32 v90, 0x4000, v32
	v_or_b32_e32 v91, 0x6000, v32
	;; [unrolled: 1-line block ×4, first 2 shown]
	v_xor_b32_e32 v25, 16, v5
	v_xor_b32_e32 v28, 32, v5
	;; [unrolled: 1-line block ×3, first 2 shown]
	v_add_u32_e32 v7, 0x80, v7
	v_add_u32_e32 v26, 0x80, v26
	;; [unrolled: 1-line block ×4, first 2 shown]
	s_add_i32 s3, s2, s3
	s_lshl_b64 s[24:25], s[20:21], 2
	s_mul_i32 s2, s33, s22
	s_add_u32 s21, s10, s24
	s_addc_u32 s24, s11, s25
	s_lshl_b64 s[2:3], s[2:3], 2
	s_add_u32 s2, s21, s2
	s_movk_i32 s21, 0xf8
	s_addc_u32 s3, s24, s3
	s_ashr_i32 s37, s36, 31
	s_lshl_b32 s30, s19, 7
	s_lshl_b64 s[24:25], s[36:37], 8
	s_add_u32 s24, s12, s24
	v_mov_b32_e32 v67, 0
	s_addc_u32 s25, s13, s25
	v_lshlrev_b32_e32 v66, 4, v74
	v_lshlrev_b32_e32 v27, 8, v27
	s_mov_b32 s58, 0
	s_movk_i32 s26, 0x4000
	v_or_b32_e32 v98, v27, v29
	v_or_b32_e32 v99, v27, v30
	v_add_u32_e32 v128, v1, v2
	s_movk_i32 s37, 0x2000
	s_movk_i32 s59, 0x3000
	v_mov_b32_e32 v133, 0x3fb8aa3b
	v_mov_b32_e32 v58, v67
	;; [unrolled: 1-line block ×4, first 2 shown]
	s_waitcnt vmcnt(1)
	v_perm_b32 v34, v8, v16, s56
	s_waitcnt vmcnt(0)
	v_perm_b32 v35, v12, v20, s56
	v_perm_b32 v8, v8, v16, s57
	;; [unrolled: 1-line block ×15, first 2 shown]
	ds_write2st64_b32 v5, v34, v35 offset0:128 offset1:160
	ds_write2st64_b32 v7, v8, v12 offset0:128 offset1:160
	;; [unrolled: 1-line block ×8, first 2 shown]
	v_or_b32_e32 v5, 48, v74
	v_lshl_or_b32 v7, v5, 3, v6
	v_lshlrev_b32_e32 v5, 8, v5
	v_or_b32_e32 v102, v5, v29
	v_or_b32_e32 v103, v5, v30
	;; [unrolled: 1-line block ×3, first 2 shown]
	v_lshlrev_b32_e32 v5, 3, v5
	v_lshrrev_b32_e32 v9, 5, v75
	v_and_or_b32 v9, v5, s21, v9
	v_lshlrev_b32_e32 v9, 4, v9
	v_or_b32_e32 v100, 0x4000, v7
	v_or_b32_e32 v101, 0x6000, v7
	v_lshlrev_b32_e32 v7, 11, v76
	v_and_b32_e32 v5, 0x78, v5
	v_or_b32_e32 v14, 32, v9
	v_and_b32_e32 v8, 0x1000, v7
	v_xor_b32_e32 v10, v9, v5
	v_lshrrev_b32_e32 v11, 1, v0
	v_xor_b32_e32 v14, v14, v5
	v_or_b32_e32 v10, v10, v8
	v_and_b32_e32 v12, 8, v11
	v_or_b32_e32 v14, v14, v8
	v_xor_b32_e32 v104, v10, v12
	v_lshlrev_b32_e32 v10, 8, v77
	v_xor_b32_e32 v106, v14, v12
	v_or_b32_e32 v14, 64, v9
	v_or_b32_e32 v9, 0x60, v9
	;; [unrolled: 1-line block ×3, first 2 shown]
	v_xor_b32_e32 v14, v14, v5
	v_xor_b32_e32 v5, v9, v5
	v_lshlrev_b32_e32 v13, 1, v13
	v_or_b32_e32 v14, v14, v8
	v_or_b32_e32 v5, v5, v8
	;; [unrolled: 1-line block ×6, first 2 shown]
	v_xor_b32_e32 v110, v14, v12
	v_xor_b32_e32 v111, v5, v12
	v_or_b32_e32 v112, 0x6000, v13
	v_or_b32_e32 v113, 0x6080, v13
	;; [unrolled: 1-line block ×4, first 2 shown]
	v_lshlrev_b32_e32 v12, 1, v4
	v_add_lshl_u32 v13, v4, s19, 1
	s_movk_i32 s21, 0x100
	v_lshlrev_b32_e32 v4, 1, v74
	v_lshrrev_b32_e32 v15, 4, v0
	v_or_b32_e32 v5, 1, v4
	v_mov_b32_e32 v19, 0xa000
	v_mov_b32_e32 v20, 0x8000
	v_cmp_gt_u32_e32 vcc, s21, v0
	v_xor_b32_e32 v16, v15, v4
	v_xor_b32_e32 v17, v5, v15
	v_lshl_add_u64 v[4:5], s[24:25], 0, v[66:67]
	v_lshlrev_b32_e32 v66, 8, v15
	v_cndmask_b32_e32 v19, v19, v20, vcc
	v_lshlrev_b32_e32 v20, 3, v76
	v_and_b32_e32 v11, 24, v11
	v_lshl_or_b32 v116, v16, 3, v66
	v_and_b32_e32 v16, 8, v0
	v_xor_b32_e32 v21, v20, v11
	v_or_b32_e32 v22, 0x440, v21
	v_cmp_eq_u32_e32 vcc, 0, v16
	v_and_b32_e32 v15, 7, v0
	v_lshl_or_b32 v117, v17, 3, v66
	v_cndmask_b32_e32 v16, v22, v21, vcc
	v_lshlrev_b32_e32 v17, 3, v15
	v_lshlrev_b32_e32 v15, 7, v15
	v_or_b32_e32 v16, v16, v7
	v_lshlrev_b32_e32 v18, 2, v0
	v_xad_u32 v118, v16, v17, v15
	v_or_b32_e32 v16, 32, v11
	v_and_or_b32 v10, v18, 60, v10
	v_xor_b32_e32 v16, v20, v16
	v_lshlrev_b32_e32 v10, 1, v10
	v_or_b32_e32 v18, 0x440, v16
	v_or_b32_e32 v119, 0x6000, v10
	v_cndmask_b32_e32 v16, v18, v16, vcc
	v_or_b32_e32 v121, 0x6080, v10
	v_or_b32_e32 v122, 0x6100, v10
	;; [unrolled: 1-line block ×5, first 2 shown]
	v_xor_b32_e32 v10, v20, v10
	v_xad_u32 v120, v16, v17, v15
	v_xor_b32_e32 v16, 0x440, v10
	v_cndmask_b32_e32 v10, v16, v10, vcc
	v_or_b32_e32 v10, v10, v7
	v_xad_u32 v124, v10, v17, v15
	v_or_b32_e32 v10, 0x60, v11
	v_xor_b32_e32 v10, v20, v10
	v_xor_b32_e32 v11, 0x440, v10
	v_or_b32_e32 v8, s36, v74
	v_cndmask_b32_e32 v10, v11, v10, vcc
	v_ashrrev_i32_e32 v9, 31, v8
	v_or_b32_e32 v7, v10, v7
	v_or_b32_e32 v14, 0x100, v3
	v_xad_u32 v125, v7, v17, v15
	v_lshlrev_b64 v[8:9], 1, v[8:9]
	v_cndmask_b32_e64 v126, v12, v3, s[0:1]
	v_cndmask_b32_e64 v127, v13, v14, s[0:1]
	v_lshl_add_u64 v[68:69], s[8:9], 0, v[8:9]
	v_lshl_add_u64 v[70:71], s[14:15], 0, v[8:9]
	;; [unrolled: 1-line block ×3, first 2 shown]
	s_mov_b32 s21, 0x7060302
	v_lshlrev_b32_e32 v66, 1, v6
	v_add_u32_e32 v129, v19, v118
	v_add_u32_e32 v130, v19, v120
	v_add_u32_e32 v131, v19, v124
	v_add_u32_e32 v132, v19, v125
	v_mov_b32_e32 v61, v67
	v_mov_b32_e32 v62, v67
	;; [unrolled: 1-line block ×29, first 2 shown]
	s_waitcnt lgkmcnt(0)
	s_barrier
.LBB247_6:                              ; =>This Inner Loop Header: Depth=1
	s_add_i32 s60, s58, 1
	s_cmp_lt_i32 s60, s45
	s_mov_b64 s[28:29], 0
	s_cselect_b64 s[40:41], -1, 0
	s_cmp_ge_i32 s60, s45
	s_mov_b64 s[24:25], 0
	s_cbranch_scc1 .LBB247_8
; %bb.7:                                ;   in Loop: Header=BB247_6 Depth=1
	s_add_i32 s0, s52, 64
	s_ashr_i32 s1, s0, 31
	s_add_u32 s0, s49, s0
	s_addc_u32 s1, s48, s1
	s_lshl_b64 s[0:1], s[0:1], 8
	s_add_u32 s24, s6, s0
	s_addc_u32 s25, s7, s1
.LBB247_8:                              ;   in Loop: Header=BB247_6 Depth=1
	v_cndmask_b32_e64 v2, 0, 1, s[40:41]
	v_cmp_ne_u32_e64 s[0:1], 1, v2
	s_andn2_b64 vcc, exec, s[40:41]
	s_cbranch_vccnz .LBB247_10
; %bb.9:                                ;   in Loop: Header=BB247_6 Depth=1
	s_add_i32 s28, s52, 64
	s_mul_hi_i32 s29, s28, s18
	s_mul_i32 s28, s28, s18
	s_add_u32 s28, s28, s50
	s_addc_u32 s29, s29, s54
	s_lshl_b64 s[28:29], s[28:29], 8
	s_add_u32 s28, s4, s28
	s_addc_u32 s29, s5, s29
.LBB247_10:                             ;   in Loop: Header=BB247_6 Depth=1
	v_perm_b32 v3, v65, v64, s21
	v_perm_b32 v2, v63, v62, s21
	v_perm_b32 v5, v61, v60, s21
	v_perm_b32 v4, v59, v58, s21
	ds_write_b64 v88, v[2:3]
	ds_write_b64 v89, v[4:5]
	ds_write_b64 v94, v[2:3]
	ds_write_b64 v95, v[4:5]
	v_perm_b32 v3, v57, v56, s21
	v_perm_b32 v2, v55, v54, s21
	v_perm_b32 v5, v53, v52, s21
	v_perm_b32 v4, v51, v50, s21
	ds_write_b64 v90, v[2:3]
	ds_write_b64 v91, v[4:5]
	ds_write_b64 v96, v[2:3]
	ds_write_b64 v97, v[4:5]
	;; [unrolled: 8-line block ×4, first 2 shown]
	s_waitcnt lgkmcnt(0)
	s_barrier
	ds_read_b64 v[6:7], v104 offset:49152
	ds_read2_b64 v[2:5], v105 offset1:16
	ds_read_b64 v[18:19], v107 offset:6144
	ds_read_b64 v[20:21], v105 offset:6144
	s_waitcnt lgkmcnt(2)
	v_mfma_f32_16x16x16_bf16 a[0:3], v[6:7], v[2:3], 0
	ds_read_b64 v[22:23], v106 offset:49152
	ds_read2st64_b64 v[10:13], v108 offset0:4 offset1:8
	ds_read2st64_b64 v[14:17], v109 offset0:4 offset1:8
	v_mfma_f32_16x16x16_bf16 a[4:7], v[6:7], v[4:5], 0
	ds_read2_b64 v[2:5], v105 offset0:32 offset1:48
	s_add_i32 s31, s52, 63
	s_ashr_i32 s40, s31, 31
	s_waitcnt lgkmcnt(0)
	v_mfma_f32_16x16x16_bf16 a[8:11], v[6:7], v[2:3], 0
	s_mul_i32 s41, s31, s35
	s_mul_hi_u32 s61, s31, s34
	s_add_i32 s41, s61, s41
	v_mfma_f32_16x16x16_bf16 a[12:15], v[6:7], v[4:5], 0
	ds_read2st64_b64 v[2:5], v105 offset0:4 offset1:8
	ds_read2st64_b64 v[6:9], v107 offset0:4 offset1:8
	s_mul_i32 s40, s40, s34
	s_waitcnt lgkmcnt(1)
	v_mfma_f32_16x16x16_bf16 a[0:3], v[22:23], v[2:3], a[0:3]
	s_add_i32 s41, s41, s40
	s_mul_i32 s40, s31, s34
	s_lshl_b64 s[40:41], s[40:41], 2
	s_waitcnt lgkmcnt(0)
	v_mfma_f32_16x16x16_bf16 a[4:7], v[22:23], v[6:7], a[4:7]
	s_add_u32 s40, s2, s40
	s_addc_u32 s41, s3, s41
	s_and_b64 vcc, exec, s[0:1]
	v_mfma_f32_16x16x16_bf16 a[8:11], v[22:23], v[10:11], a[8:11]
	ds_read_b64 v[2:3], v110 offset:49152
	ds_read_b64 v[6:7], v111 offset:49152
	ds_read_b64 v[10:11], v109 offset:6144
	v_mov_b32_e32 v136, 0
	v_mov_b32_e32 v135, 0
	v_mfma_f32_16x16x16_bf16 a[12:15], v[22:23], v[14:15], a[12:15]
	v_mov_b32_e32 v134, 0
	v_mov_b32_e32 v14, 0
	;; [unrolled: 1-line block ×3, first 2 shown]
	s_waitcnt lgkmcnt(2)
	v_mfma_f32_16x16x16_bf16 a[0:3], v[2:3], v[4:5], a[0:3]
	v_mov_b32_e32 v4, 0
	v_mov_b32_e32 v5, 0
	v_mfma_f32_16x16x16_bf16 a[4:7], v[2:3], v[8:9], a[4:7]
	v_mov_b32_e32 v8, 0
	v_mov_b32_e32 v9, 0
	;; [unrolled: 3-line block ×3, first 2 shown]
	v_mfma_f32_16x16x16_bf16 a[12:15], v[2:3], v[16:17], a[12:15]
	ds_read_b64 v[2:3], v108 offset:6144
	v_mov_b32_e32 v16, 0
	v_mov_b32_e32 v17, 0
	s_waitcnt lgkmcnt(2)
	v_mfma_f32_16x16x16_bf16 a[0:3], v[6:7], v[20:21], a[0:3]
	v_mfma_f32_16x16x16_bf16 a[4:7], v[6:7], v[18:19], a[4:7]
	s_waitcnt lgkmcnt(0)
	v_mfma_f32_16x16x16_bf16 a[8:11], v[6:7], v[2:3], a[8:11]
	v_mov_b32_e32 v2, 0
	v_mov_b32_e32 v3, 0
	v_mfma_f32_16x16x16_bf16 a[12:15], v[6:7], v[10:11], a[12:15]
	v_mov_b32_e32 v6, 0
	v_mov_b32_e32 v7, 0
	;; [unrolled: 1-line block ×4, first 2 shown]
	s_cbranch_vccnz .LBB247_12
; %bb.11:                               ;   in Loop: Header=BB247_6 Depth=1
	s_and_b32 s25, s25, 0xffff
	buffer_load_dwordx4 v[14:17], v84, s[24:27], 0 offen
	buffer_load_dwordx4 v[10:13], v84, s[24:27], s55 offen
	;; [unrolled: 1-line block ×4, first 2 shown]
	v_mov_b32_e32 v135, v86
	v_mov_b32_e32 v134, v87
.LBB247_12:                             ;   in Loop: Header=BB247_6 Depth=1
	ds_read_b64 v[142:143], v104 offset:57344
	ds_read2_b64 v[18:21], v112 offset1:16
	ds_read_b64 v[144:145], v106 offset:57344
	ds_read_b64 v[146:147], v110 offset:57344
	;; [unrolled: 1-line block ×3, first 2 shown]
	v_add_u32_e32 v137, s52, v128
	s_waitcnt lgkmcnt(3)
	v_mfma_f32_16x16x16_bf16 a[0:3], v[142:143], v[18:19], a[0:3]
	v_mfma_f32_16x16x16_bf16 a[4:7], v[142:143], v[20:21], a[4:7]
	ds_read2_b64 v[18:21], v112 offset0:32 offset1:48
	ds_read2st64_b64 v[22:25], v112 offset0:4 offset1:8
	ds_read2st64_b64 v[26:29], v113 offset0:4 offset1:8
	;; [unrolled: 1-line block ×4, first 2 shown]
	s_waitcnt lgkmcnt(4)
	v_mfma_f32_16x16x16_bf16 a[8:11], v[142:143], v[18:19], a[8:11]
	v_ashrrev_i32_e32 v18, 31, v137
	v_mfma_f32_16x16x16_bf16 a[12:15], v[142:143], v[20:21], a[12:15]
	v_mul_lo_u32 v20, v18, s34
	v_mul_lo_u32 v21, v137, s35
	v_mad_u64_u32 v[18:19], s[24:25], v137, s34, 0
	v_add3_u32 v19, v19, v21, v20
	v_add_u32_e32 v20, 1, v137
	v_ashrrev_i32_e32 v21, 31, v20
	s_waitcnt lgkmcnt(3)
	v_mfma_f32_16x16x16_bf16 a[0:3], v[144:145], v[22:23], a[0:3]
	v_mul_lo_u32 v22, v21, s34
	v_mul_lo_u32 v23, v20, s35
	v_mad_u64_u32 v[20:21], s[24:25], v20, s34, 0
	v_add3_u32 v21, v21, v23, v22
	v_add_u32_e32 v22, 2, v137
	v_ashrrev_i32_e32 v23, 31, v22
	s_waitcnt lgkmcnt(2)
	v_mfma_f32_16x16x16_bf16 a[4:7], v[144:145], v[26:27], a[4:7]
	v_mul_lo_u32 v26, v23, s34
	v_mul_lo_u32 v27, v22, s35
	v_mad_u64_u32 v[22:23], s[24:25], v22, s34, 0
	v_lshl_add_u64 v[18:19], v[18:19], 2, s[2:3]
	v_lshl_add_u64 v[20:21], v[20:21], 2, s[2:3]
	v_add3_u32 v23, v23, v27, v26
	v_add_u32_e32 v26, 3, v137
	s_waitcnt lgkmcnt(1)
	v_mfma_f32_16x16x16_bf16 a[8:11], v[144:145], v[30:31], a[8:11]
	global_load_dword v31, v[18:19], off
	global_load_dword v137, v[20:21], off
	v_mad_u64_u32 v[18:19], s[24:25], v26, s34, 0
	v_ashrrev_i32_e32 v27, 31, v26
	s_ashr_i32 s25, s52, 31
	v_mul_lo_u32 v27, v27, s34
	v_mul_lo_u32 v30, v26, s35
	s_add_u32 s24, s49, s52
	v_lshl_add_u64 v[22:23], v[22:23], 2, s[2:3]
	v_add3_u32 v19, v19, v30, v27
	s_addc_u32 s25, s48, s25
	s_waitcnt lgkmcnt(0)
	v_mfma_f32_16x16x16_bf16 a[12:15], v[144:145], v[138:139], a[12:15]
	v_lshl_add_u64 v[18:19], v[18:19], 2, s[2:3]
	global_load_dword v30, v[22:23], off
	global_load_dword v138, v[18:19], off
	s_lshl_b64 s[24:25], s[24:25], 8
	v_lshl_add_u64 v[18:19], v[68:69], 0, s[24:25]
	v_lshl_add_u64 v[18:19], v[18:19], 0, v[66:67]
	global_load_ushort v139, v[18:19], off offset:256
	global_load_ushort v142, v[18:19], off
	global_load_ushort v143, v[18:19], off offset:768
	global_load_ushort v144, v[18:19], off offset:512
	global_load_ushort v145, v[18:19], off offset:288
	global_load_ushort v150, v[18:19], off offset:32
	global_load_ushort v151, v[18:19], off offset:800
	global_load_ushort v152, v[18:19], off offset:544
	s_load_dword s40, s[40:41], 0x0
	v_mfma_f32_16x16x16_bf16 a[12:15], v[146:147], v[140:141], a[12:15]
	global_load_ushort v140, v[18:19], off offset:320
	global_load_ushort v141, v[18:19], off offset:64
	s_and_b64 vcc, exec, s[0:1]
	v_mfma_f32_16x16x16_bf16 a[0:3], v[146:147], v[24:25], a[0:3]
	ds_read_b64 v[20:21], v112 offset:6144
	ds_read_b64 v[22:23], v113 offset:6144
	;; [unrolled: 1-line block ×4, first 2 shown]
	v_mfma_f32_16x16x16_bf16 a[4:7], v[146:147], v[28:29], a[4:7]
	s_waitcnt vmcnt(11) lgkmcnt(0)
	v_sub_f32_e32 v28, s40, v30
	v_mfma_f32_16x16x16_bf16 a[8:11], v[146:147], v[32:33], a[8:11]
	global_load_ushort v146, v[18:19], off offset:832
	global_load_ushort v147, v[18:19], off offset:576
	;; [unrolled: 1-line block ×6, first 2 shown]
	v_mfma_f32_16x16x16_bf16 a[0:3], v[148:149], v[20:21], a[0:3]
	s_waitcnt vmcnt(16)
	v_sub_f32_e32 v29, s40, v138
	v_mul_f32_e32 v28, 0x3fb8aa3b, v28
	v_mul_f32_e32 v29, 0x3fb8aa3b, v29
	v_exp_f32_e32 v28, v28
	v_exp_f32_e32 v29, v29
	s_waitcnt vmcnt(15)
	v_lshlrev_b32_e32 v33, 16, v139
	s_waitcnt vmcnt(14)
	v_lshlrev_b32_e32 v32, 16, v142
	v_accvgpr_read_b32 v21, a3
	v_accvgpr_read_b32 v20, a2
	v_mfma_f32_16x16x16_bf16 a[2:5], v[148:149], v[22:23], a[4:7]
	v_accvgpr_read_b32 v139, a1
	v_accvgpr_read_b32 v138, a0
	v_pk_add_f32 v[32:33], v[32:33], v[138:139] neg_lo:[0,1] neg_hi:[0,1]
	v_mfma_f32_16x16x16_bf16 a[6:9], v[148:149], v[24:25], a[8:11]
	s_waitcnt vmcnt(13)
	v_lshlrev_b32_e32 v139, 16, v143
	s_waitcnt vmcnt(12)
	v_lshlrev_b32_e32 v138, 16, v144
	v_pk_add_f32 v[20:21], v[138:139], v[20:21] neg_lo:[0,1] neg_hi:[0,1]
	v_accvgpr_read_b32 v139, a3
	v_accvgpr_read_b32 v138, a2
	;; [unrolled: 1-line block ×6, first 2 shown]
	v_mfma_f32_16x16x16_bf16 a[8:11], v[148:149], v[26:27], a[12:15]
	v_sub_f32_e32 v26, s40, v31
	v_sub_f32_e32 v27, s40, v137
	v_mul_f32_e32 v26, 0x3fb8aa3b, v26
	v_mul_f32_e32 v27, 0x3fb8aa3b, v27
	v_exp_f32_e32 v26, v26
	v_exp_f32_e32 v27, v27
	v_lshl_add_u64 v[30:31], v[70:71], 0, s[24:25]
	v_lshl_add_u64 v[30:31], v[30:31], 0, v[66:67]
	global_store_short_d16_hi v[30:31], v32, off
	global_store_short_d16_hi v[30:31], v33, off offset:256
	global_store_short_d16_hi v[30:31], v20, off offset:512
	;; [unrolled: 1-line block ×3, first 2 shown]
	v_pk_mul_f32 v[32:33], v[26:27], v[32:33]
	v_pk_mul_f32 v[20:21], v[28:29], v[20:21]
	v_accvgpr_read_b32 v25, a11
	v_perm_b32 v21, v21, v20, s21
	v_perm_b32 v20, v33, v32, s21
	s_waitcnt vmcnt(15)
	v_lshlrev_b32_e32 v33, 16, v145
	s_waitcnt vmcnt(14)
	v_lshlrev_b32_e32 v32, 16, v150
	v_pk_add_f32 v[32:33], v[32:33], v[138:139] neg_lo:[0,1] neg_hi:[0,1]
	s_waitcnt vmcnt(13)
	v_lshlrev_b32_e32 v139, 16, v151
	s_waitcnt vmcnt(12)
	v_lshlrev_b32_e32 v138, 16, v152
	v_pk_add_f32 v[22:23], v[138:139], v[22:23] neg_lo:[0,1] neg_hi:[0,1]
	global_store_short_d16_hi v[30:31], v32, off offset:32
	global_store_short_d16_hi v[30:31], v33, off offset:288
	;; [unrolled: 1-line block ×4, first 2 shown]
	v_pk_mul_f32 v[32:33], v[26:27], v[32:33]
	v_pk_mul_f32 v[22:23], v[28:29], v[22:23]
	v_accvgpr_read_b32 v24, a10
	v_perm_b32 v23, v23, v22, s21
	v_perm_b32 v22, v33, v32, s21
	ds_write2_b64 v89, v[20:21], v[22:23] offset1:16
	v_accvgpr_read_b32 v23, a7
	s_waitcnt vmcnt(15)
	v_lshlrev_b32_e32 v21, 16, v140
	s_waitcnt vmcnt(14)
	v_lshlrev_b32_e32 v20, 16, v141
	v_accvgpr_read_b32 v22, a6
	v_pk_add_f32 v[20:21], v[20:21], v[22:23] neg_lo:[0,1] neg_hi:[0,1]
	global_store_short_d16_hi v[30:31], v20, off offset:64
	global_store_short_d16_hi v[30:31], v21, off offset:320
	v_pk_mul_f32 v[20:21], v[26:27], v[20:21]
	v_mov_b32_e32 v137, 0
	v_perm_b32 v20, v21, v20, s21
	v_mov_b32_e32 v32, 0
	v_mov_b32_e32 v33, 0
	s_waitcnt vmcnt(15)
	v_lshlrev_b32_e32 v23, 16, v146
	s_waitcnt vmcnt(14)
	v_lshlrev_b32_e32 v22, 16, v147
	v_pk_add_f32 v[18:19], v[22:23], v[18:19] neg_lo:[0,1] neg_hi:[0,1]
	global_store_short_d16_hi v[30:31], v18, off offset:576
	global_store_short_d16_hi v[30:31], v19, off offset:832
	v_pk_mul_f32 v[18:19], v[28:29], v[18:19]
	v_accvgpr_read_b32 v23, a9
	v_perm_b32 v21, v19, v18, s21
	s_waitcnt vmcnt(15)
	v_lshlrev_b32_e32 v19, 16, v153
	s_waitcnt vmcnt(14)
	v_lshlrev_b32_e32 v18, 16, v154
	v_accvgpr_read_b32 v22, a8
	v_pk_add_f32 v[18:19], v[18:19], v[22:23] neg_lo:[0,1] neg_hi:[0,1]
	s_waitcnt vmcnt(13)
	v_lshlrev_b32_e32 v23, 16, v155
	s_waitcnt vmcnt(12)
	v_lshlrev_b32_e32 v22, 16, v156
	v_pk_add_f32 v[22:23], v[22:23], v[24:25] neg_lo:[0,1] neg_hi:[0,1]
	global_store_short_d16_hi v[30:31], v18, off offset:96
	global_store_short_d16_hi v[30:31], v19, off offset:352
	;; [unrolled: 1-line block ×4, first 2 shown]
	v_pk_mul_f32 v[18:19], v[26:27], v[18:19]
	v_pk_mul_f32 v[22:23], v[28:29], v[22:23]
	v_mov_b32_e32 v24, 0
	v_perm_b32 v23, v23, v22, s21
	v_perm_b32 v22, v19, v18, s21
	ds_write2_b64 v89, v[20:21], v[22:23] offset0:32 offset1:48
	v_mov_b32_e32 v18, 0
	v_mov_b32_e32 v19, 0
	;; [unrolled: 1-line block ×13, first 2 shown]
	s_cbranch_vccnz .LBB247_14
; %bb.13:                               ;   in Loop: Header=BB247_6 Depth=1
	s_and_b32 s29, s29, 0xffff
	s_mov_b32 s31, s27
	buffer_load_dwordx4 v[30:33], v126, s[28:31], 0 offen
	buffer_load_dwordx4 v[22:25], v126, s[28:31], s55 offen
	;; [unrolled: 1-line block ×4, first 2 shown]
	v_mov_b32_e32 v136, v83
	v_mov_b32_e32 v137, v82
.LBB247_14:                             ;   in Loop: Header=BB247_6 Depth=1
	s_waitcnt lgkmcnt(0)
	s_barrier
	ds_read_b64 v[146:147], v129
	ds_read2_b64 v[138:141], v119 offset1:16
	ds_read_b64 v[162:163], v130
	ds_read_b64 v[164:165], v131
	;; [unrolled: 1-line block ×3, first 2 shown]
	ds_read2_b64 v[142:145], v119 offset0:32 offset1:48
	s_waitcnt lgkmcnt(4)
	v_mfma_f32_16x16x16_bf16 a[0:3], v[146:147], v[138:139], 0
	ds_read2st64_b64 v[150:153], v121 offset0:4 offset1:8
	ds_read2st64_b64 v[154:157], v122 offset0:4 offset1:8
	;; [unrolled: 1-line block ×3, first 2 shown]
	v_mfma_f32_16x16x16_bf16 a[4:7], v[146:147], v[140:141], 0
	s_add_i32 s24, s46, s58
	s_mul_hi_i32 s25, s24, s51
	s_mul_i32 s24, s24, s51
	s_waitcnt lgkmcnt(3)
	v_mfma_f32_16x16x16_bf16 a[8:11], v[146:147], v[142:143], 0
	s_add_u32 s24, s24, s33
	s_addc_u32 s25, s25, s53
	s_lshl_b64 s[24:25], s[24:25], 15
	v_mfma_f32_16x16x16_bf16 a[12:15], v[146:147], v[144:145], 0
	ds_read2st64_b64 v[146:149], v119 offset0:4 offset1:8
	s_waitcnt lgkmcnt(0)
	v_mfma_f32_16x16x16_bf16 a[0:3], v[162:163], v[146:147], a[0:3]
	v_mfma_f32_16x16x16_bf16 a[4:7], v[162:163], v[150:151], a[4:7]
	;; [unrolled: 1-line block ×8, first 2 shown]
	ds_read_b64 v[162:163], v119 offset:6144
	ds_read_b64 v[164:165], v120 offset:40960
	;; [unrolled: 1-line block ×8, first 2 shown]
	s_waitcnt lgkmcnt(5)
	v_mfma_f32_16x16x16_bf16 a[16:19], v[168:169], v[138:139], 0
	v_mfma_f32_16x16x16_bf16 a[20:23], v[168:169], v[140:141], 0
	ds_read2st64_b64 v[138:141], v116 offset1:8
	v_mfma_f32_16x16x16_bf16 a[24:27], v[168:169], v[142:143], 0
	v_mfma_f32_16x16x16_bf16 a[28:31], v[168:169], v[144:145], 0
	ds_read2st64_b64 v[142:145], v117 offset1:8
	v_mfma_f32_16x16x16_bf16 a[16:19], v[164:165], v[146:147], a[16:19]
	s_waitcnt lgkmcnt(1)
	v_mov_b32_e32 v146, v138
	v_mov_b32_e32 v147, v139
	v_mfma_f32_16x16x16_bf16 a[20:23], v[164:165], v[150:151], a[20:23]
	v_lshl_add_u64 v[150:151], v[72:73], 0, s[24:25]
	v_mfma_f32_16x16x16_bf16 a[24:27], v[164:165], v[154:155], a[24:27]
	v_mfma_f32_16x16x16_bf16 a[28:31], v[164:165], v[158:159], a[28:31]
	;; [unrolled: 1-line block ×3, first 2 shown]
	s_waitcnt lgkmcnt(0)
	v_mov_b32_e32 v148, v142
	v_mov_b32_e32 v149, v143
	;; [unrolled: 1-line block ×3, first 2 shown]
	v_mfma_f32_16x16x16_bf16 a[32:35], v[176:177], v[152:153], a[20:23]
	v_mov_b32_e32 v143, v141
	ds_read2st64_b64 v[138:141], v116 offset0:16 offset1:24
	global_store_dwordx4 v[150:151], v[146:149], off
	v_mfma_f32_16x16x16_bf16 a[24:27], v[176:177], v[156:157], a[24:27]
	ds_read2st64_b64 v[146:149], v117 offset0:16 offset1:24
	v_add_co_u32_e32 v152, vcc, s37, v150
	v_mfma_f32_16x16x16_bf16 a[28:31], v[176:177], v[160:161], a[28:31]
	s_nop 0
	v_addc_co_u32_e32 v153, vcc, 0, v151, vcc
	global_store_dwordx4 v[152:153], v[142:145], off offset:-4096
	v_mfma_f32_16x16x16_bf16 a[0:3], v[166:167], v[162:163], a[0:3]
	s_waitcnt lgkmcnt(1)
	v_mov_b32_e32 v142, v138
	v_add_co_u32_e32 v138, vcc, s59, v150
	v_mfma_f32_16x16x16_bf16 a[4:7], v[166:167], v[170:171], a[4:7]
	v_mov_b32_e32 v143, v139
	v_addc_co_u32_e32 v139, vcc, 0, v151, vcc
	v_mfma_f32_16x16x16_bf16 a[8:11], v[166:167], v[172:173], a[8:11]
	s_waitcnt lgkmcnt(0)
	v_mov_b32_e32 v144, v146
	v_mov_b32_e32 v145, v147
	;; [unrolled: 1-line block ×3, first 2 shown]
	v_mfma_f32_16x16x16_bf16 a[12:15], v[166:167], v[174:175], a[12:15]
	v_mov_b32_e32 v147, v141
	s_and_b64 vcc, exec, s[0:1]
	global_store_dwordx4 v[152:153], v[142:145], off
	v_mfma_f32_16x16x16_bf16 a[20:23], v[178:179], v[162:163], a[16:19]
	global_store_dwordx4 v[138:139], v[146:149], off
	v_mfma_f32_16x16x16_bf16 a[16:19], v[178:179], v[170:171], a[32:35]
	v_mfma_f32_16x16x16_bf16 a[24:27], v[178:179], v[172:173], a[24:27]
	;; [unrolled: 1-line block ×3, first 2 shown]
	s_cbranch_vccnz .LBB247_16
; %bb.15:                               ;   in Loop: Header=BB247_6 Depth=1
	v_lshrrev_b32_e32 v138, 3, v136
	v_and_b32_e32 v138, 6, v138
	v_xor_b32_e32 v137, v138, v137
	v_lshlrev_b32_e32 v137, 2, v137
	v_and_b32_e32 v136, 8, v136
	v_xor_b32_e32 v139, 0x440, v137
	v_cmp_eq_u32_e32 vcc, 0, v136
	s_barrier
	s_nop 0
	v_cndmask_b32_e32 v136, v139, v137, vcc
	v_lshl_or_b32 v136, v138, 10, v136
	s_waitcnt vmcnt(5)
	v_perm_b32 v137, v30, v26, s56
	s_waitcnt vmcnt(4)
	v_perm_b32 v138, v22, v18, s56
	ds_write2st64_b32 v136, v137, v138 offset0:128 offset1:160
	v_xor_b32_e32 v137, 8, v136
	v_perm_b32 v26, v30, v26, s57
	v_perm_b32 v18, v22, v18, s57
	v_add_u32_e32 v22, 0x80, v137
	ds_write2st64_b32 v22, v26, v18 offset0:128 offset1:160
	v_xor_b32_e32 v18, 16, v136
	v_perm_b32 v22, v31, v27, s56
	v_perm_b32 v26, v23, v19, s56
	ds_write2st64_b32 v18, v22, v26 offset0:129 offset1:161
	v_xor_b32_e32 v18, 24, v136
	v_perm_b32 v22, v31, v27, s57
	v_perm_b32 v19, v23, v19, s57
	v_add_u32_e32 v18, 0x80, v18
	ds_write2st64_b32 v18, v22, v19 offset0:129 offset1:161
	v_xor_b32_e32 v18, 32, v136
	v_perm_b32 v19, v32, v28, s56
	;; [unrolled: 9-line block ×3, first 2 shown]
	v_perm_b32 v20, v25, v21, s56
	ds_write2st64_b32 v18, v19, v20 offset0:131 offset1:163
	v_xor_b32_e32 v18, 56, v136
	v_perm_b32 v19, v33, v29, s57
	v_perm_b32 v20, v25, v21, s57
	v_add_u32_e32 v18, 0x80, v18
	ds_write2st64_b32 v18, v19, v20 offset0:131 offset1:163
	ds_write_b64 v135, v[14:15] offset:49152
	v_xor_b32_e32 v14, 8, v135
	ds_write_b64 v14, v[16:17] offset:49152
	ds_write_b64 v135, v[10:11] offset:57344
	;; [unrolled: 1-line block ×4, first 2 shown]
	v_xor_b32_e32 v6, 8, v134
	ds_write_b64 v6, v[8:9] offset:49152
	ds_write_b64 v134, v[2:3] offset:57344
	;; [unrolled: 1-line block ×3, first 2 shown]
.LBB247_16:                             ;   in Loop: Header=BB247_6 Depth=1
	s_waitcnt vmcnt(6)
	v_mul_f32_e32 v22, s40, v133
	v_exp_f32_e32 v134, v22
	v_accvgpr_read_b32 v5, a3
	v_accvgpr_read_b32 v9, a7
	;; [unrolled: 1-line block ×4, first 2 shown]
	s_waitcnt vmcnt(4)
	v_accvgpr_read_b32 v18, a20
	v_accvgpr_read_b32 v25, a19
	;; [unrolled: 1-line block ×28, first 2 shown]
	s_add_i32 s52, s52, 64
	v_pk_fma_f32 v[62:63], v[134:135], v[62:63], v[2:3] op_sel_hi:[0,1,1]
	v_pk_fma_f32 v[64:65], v[134:135], v[64:65], v[4:5] op_sel_hi:[0,1,1]
	;; [unrolled: 1-line block ×15, first 2 shown]
	s_cmp_eq_u32 s45, s60
	v_pk_fma_f32 v[38:39], v[134:135], v[38:39], v[32:33] op_sel_hi:[0,1,1]
	s_cbranch_scc1 .LBB247_18
; %bb.17:                               ;   in Loop: Header=BB247_6 Depth=1
	s_mov_b32 s58, s60
	s_branch .LBB247_6
.LBB247_18:
	s_lshl_b32 s0, s45, 6
	s_sub_i32 s47, s47, s0
	s_cmp_gt_i32 s47, 0
	s_cbranch_scc0 .LBB247_99
; %bb.19:
	s_add_i32 s38, s0, s38
	s_ashr_i32 s2, s38, 31
	s_cmpk_lg_i32 s19, 0x80
	s_cselect_b64 s[30:31], -1, 0
	s_and_b64 vcc, exec, s[30:31]
	s_cbranch_vccz .LBB247_21
; %bb.20:
	s_mul_i32 s1, s38, s18
	s_ashr_i32 s3, s50, 31
	s_mul_hi_i32 s0, s38, s18
	s_add_u32 s40, s1, s50
	s_addc_u32 s41, s0, s3
	s_cbranch_execz .LBB247_22
	s_branch .LBB247_23
.LBB247_21:
                                        ; implicit-def: $sgpr40_sgpr41
.LBB247_22:
	s_mul_i32 s1, s50, s16
	s_mul_hi_i32 s0, s50, s16
	s_add_u32 s40, s1, s38
	s_addc_u32 s41, s0, s2
.LBB247_23:
	s_add_i32 s3, s45, s46
	s_ashr_i32 s16, s33, 31
	s_add_u32 s0, s49, s38
	v_lshlrev_b32_e32 v6, 6, v80
	v_lshlrev_b32_e32 v24, 2, v74
	s_addc_u32 s1, s48, s2
	s_mov_b32 s2, 0x7060302
	v_or_b32_e32 v9, v6, v24
	v_xor_b32_e32 v7, v80, v24
	v_perm_b32 v3, v65, v64, s2
	v_perm_b32 v2, v63, v62, s2
	v_perm_b32 v5, v61, v60, s2
	v_perm_b32 v4, v59, v58, s2
	v_lshlrev_b32_e32 v9, 1, v9
	v_xor_b32_e32 v8, v81, v24
	ds_write2st64_b64 v9, v[2:3], v[4:5] offset0:32 offset1:48
	v_lshlrev_b32_e32 v7, 1, v7
	v_lshlrev_b32_e32 v9, 8, v74
	v_or_b32_e32 v10, v7, v9
	v_lshlrev_b32_e32 v8, 1, v8
	ds_write_b64 v10, v[2:3]
	v_or_b32_e32 v2, v8, v9
	v_or_b32_e32 v9, 16, v74
	v_lshlrev_b32_e32 v23, 2, v9
	v_or_b32_e32 v10, v6, v23
	ds_write_b64 v2, v[4:5]
	v_perm_b32 v3, v57, v56, s2
	v_perm_b32 v2, v55, v54, s2
	;; [unrolled: 1-line block ×4, first 2 shown]
	v_lshlrev_b32_e32 v10, 1, v10
	v_lshlrev_b32_e32 v9, 8, v9
	ds_write2st64_b64 v10, v[2:3], v[4:5] offset0:32 offset1:48
	v_or_b32_e32 v10, v7, v9
	ds_write_b64 v10, v[2:3]
	v_or_b32_e32 v2, v8, v9
	v_or_b32_e32 v9, 32, v74
	v_lshlrev_b32_e32 v22, 2, v9
	v_or_b32_e32 v10, v6, v22
	s_lshl_b64 s[28:29], s[0:1], 8
	ds_write_b64 v2, v[4:5]
	v_perm_b32 v3, v49, v48, s2
	v_perm_b32 v2, v47, v46, s2
	;; [unrolled: 1-line block ×4, first 2 shown]
	v_lshlrev_b32_e32 v10, 1, v10
	v_lshlrev_b32_e32 v9, 8, v9
	s_add_u32 s0, s6, s28
	ds_write2st64_b64 v10, v[2:3], v[4:5] offset0:32 offset1:48
	v_or_b32_e32 v10, v7, v9
	s_addc_u32 s1, s7, s29
	ds_write_b64 v10, v[2:3]
	v_or_b32_e32 v2, v8, v9
	v_or_b32_e32 v9, 48, v74
	s_mul_hi_i32 s6, s3, s17
	s_mul_i32 s3, s3, s17
	ds_write_b64 v2, v[4:5]
	v_perm_b32 v3, v35, v34, s2
	v_perm_b32 v2, v41, v40, s2
	;; [unrolled: 1-line block ×4, first 2 shown]
	v_lshlrev_b32_e32 v19, 2, v9
	s_add_u32 s2, s3, s33
	v_or_b32_e32 v6, v6, v19
	s_addc_u32 s3, s6, s16
	v_lshlrev_b32_e32 v6, 1, v6
	s_ashr_i32 s37, s36, 31
	s_lshl_b64 s[2:3], s[2:3], 15
	ds_write2st64_b64 v6, v[2:3], v[4:5] offset0:32 offset1:48
	v_lshlrev_b32_e32 v6, 8, v9
	s_add_u32 s6, s12, s2
	v_or_b32_e32 v7, v7, v6
	s_addc_u32 s7, s13, s3
	s_lshl_b64 s[2:3], s[36:37], 8
	ds_write_b64 v7, v[2:3]
	v_or_b32_e32 v2, v8, v6
	s_add_u32 s2, s6, s2
	v_lshlrev_b32_e32 v3, 1, v74
	ds_write_b64 v2, v[4:5]
	v_lshrrev_b32_e32 v2, 4, v0
	s_addc_u32 s3, s7, s3
	v_or_b32_e32 v4, 1, v3
	v_lshlrev_b32_e32 v10, 4, v74
	v_mov_b32_e32 v11, 0
	v_xor_b32_e32 v3, v2, v3
	v_xor_b32_e32 v6, v4, v2
	v_lshl_add_u64 v[12:13], s[2:3], 0, v[10:11]
	v_lshlrev_b32_e32 v10, 8, v2
	v_lshl_or_b32 v16, v3, 3, v10
	v_lshl_or_b32 v17, v6, 3, v10
	s_waitcnt lgkmcnt(0)
	s_barrier
	ds_read2st64_b64 v[2:5], v16 offset1:8
	ds_read2st64_b64 v[6:9], v17 offset1:8
	v_lshl_add_u64 v[14:15], v[12:13], 0, v[10:11]
	s_movk_i32 s2, 0x2000
	s_cmp_lg_u32 s47, 64
	s_waitcnt lgkmcnt(1)
	v_mov_b32_e32 v10, v2
	v_mov_b32_e32 v11, v3
	s_waitcnt lgkmcnt(0)
	v_mov_b32_e32 v12, v6
	v_mov_b32_e32 v13, v7
	global_store_dwordx4 v[14:15], v[10:13], off
	v_mov_b32_e32 v6, v4
	v_mov_b32_e32 v7, v5
	ds_read2st64_b64 v[2:5], v16 offset0:16 offset1:24
	ds_read2st64_b64 v[10:13], v17 offset0:16 offset1:24
	v_add_co_u32_e32 v16, vcc, s2, v14
	s_cselect_b64 s[6:7], -1, 0
	s_nop 0
	v_addc_co_u32_e32 v17, vcc, 0, v15, vcc
	global_store_dwordx4 v[16:17], v[6:9], off offset:-4096
	v_lshl_or_b32 v25, v76, 3, v79
	s_mov_b32 s24, 0
	s_waitcnt lgkmcnt(1)
	v_mov_b32_e32 v6, v2
	v_add_co_u32_e32 v2, vcc, 0x3000, v14
	v_mov_b32_e32 v7, v3
	s_nop 0
	v_addc_co_u32_e32 v3, vcc, 0, v15, vcc
	s_waitcnt lgkmcnt(0)
	v_mov_b32_e32 v8, v10
	v_mov_b32_e32 v9, v11
	;; [unrolled: 1-line block ×4, first 2 shown]
	v_or_b32_e32 v20, 32, v25
	v_and_b32_e32 v18, 56, v78
	s_and_b64 vcc, exec, s[6:7]
	global_store_dwordx4 v[16:17], v[6:9], off
	global_store_dwordx4 v[2:3], v[10:13], off
	s_cbranch_vccz .LBB247_29
; %bb.24:
	s_mov_b32 s25, s24
	s_mov_b32 s26, s24
	;; [unrolled: 1-line block ×3, first 2 shown]
	v_mov_b64_e32 v[6:7], s[24:25]
	v_mov_b64_e32 v[8:9], s[26:27]
	;; [unrolled: 1-line block ×3, first 2 shown]
	v_cmp_gt_i32_e32 vcc, s47, v25
	v_mov_b64_e32 v[4:5], v[8:9]
	s_and_saveexec_b64 s[2:3], vcc
	s_cbranch_execz .LBB247_26
; %bb.25:
	v_lshlrev_b32_e32 v2, 8, v25
	v_mov_b32_e32 v3, 0
	v_lshl_add_u64 v[4:5], s[0:1], 0, v[2:3]
	v_lshlrev_b32_e32 v2, 1, v18
	v_lshl_add_u64 v[10:11], v[4:5], 0, v[2:3]
	global_load_dwordx4 v[6:9], v[10:11], off
	global_load_dwordx4 v[2:5], v[10:11], off offset:128
.LBB247_26:
	s_or_b64 exec, exec, s[2:3]
	s_mov_b32 s25, s24
	s_mov_b32 s26, s24
	;; [unrolled: 1-line block ×3, first 2 shown]
	v_mov_b64_e32 v[14:15], s[24:25]
	v_mov_b64_e32 v[16:17], s[26:27]
	;; [unrolled: 1-line block ×3, first 2 shown]
	v_cmp_gt_i32_e32 vcc, s47, v20
	v_lshlrev_b32_e32 v21, 7, v20
	v_mov_b64_e32 v[12:13], v[16:17]
	s_and_saveexec_b64 s[2:3], vcc
	s_cbranch_execz .LBB247_28
; %bb.27:
	v_lshlrev_b32_e32 v10, 1, v21
	v_mov_b32_e32 v11, 0
	v_lshl_add_u64 v[12:13], s[0:1], 0, v[10:11]
	v_lshlrev_b32_e32 v10, 1, v18
	v_lshl_add_u64 v[26:27], v[12:13], 0, v[10:11]
	global_load_dwordx4 v[14:17], v[26:27], off
	global_load_dwordx4 v[10:13], v[26:27], off offset:128
.LBB247_28:
	s_or_b64 exec, exec, s[2:3]
	v_lshrrev_b32_e32 v26, 3, v18
	v_lshlrev_b32_e32 v27, 3, v25
	v_or_b32_e32 v26, v27, v26
	v_lshlrev_b32_e32 v26, 4, v26
	v_and_b32_e32 v27, 0x78, v27
	v_xor_b32_e32 v26, v26, v27
	s_branch .LBB247_31
.LBB247_29:
                                        ; implicit-def: $vgpr26
                                        ; implicit-def: $vgpr21
                                        ; implicit-def: $vgpr6_vgpr7_vgpr8_vgpr9
                                        ; implicit-def: $vgpr2_vgpr3_vgpr4_vgpr5
                                        ; implicit-def: $vgpr14_vgpr15_vgpr16_vgpr17
                                        ; implicit-def: $vgpr10_vgpr11_vgpr12_vgpr13
	s_cbranch_execz .LBB247_31
; %bb.30:
	s_waitcnt vmcnt(0)
	v_lshlrev_b32_e32 v2, 1, v18
	v_lshl_or_b32 v21, v25, 8, v2
	s_and_b32 s1, s1, 0xffff
	s_mov_b32 s3, 0x20000
	s_movk_i32 s2, 0x4000
	v_lshl_or_b32 v26, v20, 8, v2
	s_movk_i32 s12, 0x80
	buffer_load_dwordx4 v[6:9], v21, s[0:3], 0 offen
	buffer_load_dwordx4 v[2:5], v21, s[0:3], s12 offen
	;; [unrolled: 1-line block ×4, first 2 shown]
	v_lshrrev_b32_e32 v21, 3, v18
	v_lshlrev_b32_e32 v26, 3, v25
	v_or_b32_e32 v21, v26, v21
	v_lshlrev_b32_e32 v21, 4, v21
	v_and_b32_e32 v26, 0x78, v26
	v_xor_b32_e32 v26, v21, v26
	v_lshlrev_b32_e32 v21, 7, v20
.LBB247_31:
	s_movk_i32 s0, 0x1000
	v_and_or_b32 v20, v21, s0, v26
	s_waitcnt vmcnt(1)
	ds_write_b64 v26, v[6:7] offset:49152
	v_xor_b32_e32 v6, 8, v26
	ds_write_b64 v6, v[8:9] offset:49152
	s_waitcnt vmcnt(0)
	ds_write_b64 v26, v[2:3] offset:57344
	ds_write_b64 v6, v[4:5] offset:57344
	ds_write_b64 v20, v[14:15] offset:49152
	v_xor_b32_e32 v2, 8, v20
	ds_write_b64 v2, v[16:17] offset:49152
	ds_write_b64 v20, v[10:11] offset:57344
	;; [unrolled: 1-line block ×3, first 2 shown]
	v_or_b32_e32 v2, v1, v74
	v_lshlrev_b32_e32 v3, 11, v76
	v_lshlrev_b32_e32 v2, 3, v2
	v_and_b32_e32 v6, 0x1000, v3
	v_lshrrev_b32_e32 v3, 5, v75
	s_movk_i32 s0, 0xf8
	v_and_or_b32 v3, v2, s0, v3
	v_lshlrev_b32_e32 v7, 4, v3
	v_and_b32_e32 v8, 0x78, v2
	v_or_b32_e32 v10, 32, v7
	v_lshrrev_b32_e32 v3, 1, v75
	v_xor_b32_e32 v10, v10, v8
	v_xor_b32_e32 v2, v7, v8
	v_and_b32_e32 v9, 8, v3
	v_or_b32_e32 v10, v10, v6
	v_or_b32_e32 v2, v2, v6
	v_xor_b32_e32 v28, v10, v9
	v_or_b32_e32 v10, 64, v7
	v_xor_b32_e32 v27, v2, v9
	v_xor_b32_e32 v10, v10, v8
	s_waitcnt lgkmcnt(0)
	s_barrier
	v_or_b32_e32 v13, v10, v6
	ds_read_b64 v[10:11], v27 offset:49152
	v_lshl_or_b32 v14, v77, 8, v24
	v_lshlrev_b32_e32 v26, 1, v14
	v_add_u32_e32 v12, 0x4000, v26
	ds_read2_b64 v[2:5], v12 offset1:16
	v_or_b32_e32 v7, 0x60, v7
	v_xor_b32_e32 v7, v7, v8
	v_or_b32_e32 v6, v7, v6
	v_xor_b32_e32 v29, v13, v9
	v_xor_b32_e32 v30, v6, v9
	ds_read_b64 v[20:21], v28 offset:49152
	ds_read_b64 v[34:35], v29 offset:49152
	ds_read_b64 v[36:37], v30 offset:49152
	s_waitcnt lgkmcnt(3)
	v_mfma_f32_16x16x16_bf16 a[0:3], v[10:11], v[2:3], 0
	ds_read2_b64 v[6:9], v12 offset0:32 offset1:48
	s_lshl_b64 s[0:1], s[40:41], 8
	s_add_u32 s4, s4, s0
	v_mfma_f32_16x16x16_bf16 a[4:7], v[10:11], v[4:5], 0
	ds_read2st64_b64 v[2:5], v26 offset0:36 offset1:40
	s_addc_u32 s5, s5, s1
	s_add_i32 s2, s39, -1
	s_waitcnt lgkmcnt(1)
	v_mfma_f32_16x16x16_bf16 a[8:11], v[10:11], v[6:7], 0
	v_or_b32_e32 v6, 64, v14
	v_lshlrev_b32_e32 v31, 1, v6
	s_add_i32 s0, s43, s42
	s_waitcnt lgkmcnt(0)
	v_mfma_f32_16x16x16_bf16 a[0:3], v[20:21], v[2:3], a[0:3]
	v_or_b32_e32 v2, 0x80, v14
	v_lshlrev_b32_e32 v32, 1, v2
	v_or_b32_e32 v2, 0xc0, v14
	v_mfma_f32_16x16x16_bf16 a[12:15], v[10:11], v[8:9], 0
	ds_read2st64_b64 v[6:9], v31 offset0:36 offset1:40
	v_lshlrev_b32_e32 v33, 1, v2
	ds_read2st64_b64 v[10:13], v32 offset0:36 offset1:40
	ds_read2st64_b64 v[14:17], v33 offset0:36 offset1:40
	s_add_i32 s21, s0, s44
	s_mul_i32 s0, s33, s23
	s_mul_hi_u32 s1, s33, s22
	s_ashr_i32 s3, s2, 31
	s_mul_i32 s12, s2, s35
	s_mul_hi_u32 s13, s2, s34
	s_waitcnt lgkmcnt(2)
	v_mfma_f32_16x16x16_bf16 a[4:7], v[20:21], v[6:7], a[4:7]
	s_add_i32 s0, s1, s0
	s_mul_i32 s1, s16, s22
	s_add_i32 s12, s13, s12
	s_mul_i32 s3, s3, s34
	s_waitcnt lgkmcnt(1)
	v_mfma_f32_16x16x16_bf16 a[8:11], v[20:21], v[10:11], a[8:11]
	s_add_i32 s1, s0, s1
	s_add_i32 s3, s12, s3
	s_lshl_b64 s[12:13], s[20:21], 2
	s_waitcnt lgkmcnt(0)
	v_mfma_f32_16x16x16_bf16 a[12:15], v[20:21], v[14:15], a[12:15]
	s_mul_i32 s0, s33, s22
	s_add_u32 s10, s10, s12
	s_addc_u32 s11, s11, s13
	s_lshl_b64 s[0:1], s[0:1], 2
	v_mfma_f32_16x16x16_bf16 a[0:3], v[34:35], v[4:5], a[0:3]
	s_mul_i32 s2, s2, s34
	ds_read_b64 v[2:3], v26 offset:22528
	s_add_u32 s10, s10, s0
	v_mfma_f32_16x16x16_bf16 a[4:7], v[34:35], v[8:9], a[4:7]
	ds_read_b64 v[4:5], v31 offset:22528
	ds_read_b64 v[6:7], v32 offset:22528
	;; [unrolled: 1-line block ×3, first 2 shown]
	s_addc_u32 s11, s11, s1
	s_lshl_b64 s[0:1], s[2:3], 2
	v_mfma_f32_16x16x16_bf16 a[8:11], v[34:35], v[12:13], a[8:11]
	s_add_u32 s0, s10, s0
	s_addc_u32 s1, s11, s1
	s_load_dword s12, s[0:1], 0x0
	v_mfma_f32_16x16x16_bf16 a[12:15], v[34:35], v[16:17], a[12:15]
	s_and_b64 vcc, exec, s[30:31]
	s_waitcnt lgkmcnt(0)
	v_mfma_f32_16x16x16_bf16 a[0:3], v[36:37], v[2:3], a[0:3]
	v_mfma_f32_16x16x16_bf16 a[4:7], v[36:37], v[4:5], a[4:7]
	;; [unrolled: 1-line block ×4, first 2 shown]
	s_cbranch_vccz .LBB247_42
; %bb.32:
	v_lshlrev_b32_e32 v20, 1, v25
	s_and_b64 vcc, exec, s[6:7]
	s_cbranch_vccz .LBB247_43
; %bb.33:
	v_cmp_gt_i32_e32 vcc, s47, v20
	v_mov_b32_e32 v6, 0
	v_mov_b32_e32 v2, 0
	;; [unrolled: 1-line block ×5, first 2 shown]
	s_and_saveexec_b64 s[0:1], vcc
	s_cbranch_execz .LBB247_35
; %bb.34:
	v_mad_i64_i32 v[2:3], s[2:3], s19, v20, 0
	v_lshl_add_u64 v[2:3], v[2:3], 1, s[4:5]
	v_lshlrev_b32_e32 v4, 1, v18
	v_mov_b32_e32 v5, 0
	v_lshl_add_u64 v[2:3], v[2:3], 0, v[4:5]
	global_load_dwordx4 v[2:5], v[2:3], off
.LBB247_35:
	s_or_b64 exec, exec, s[0:1]
	v_or_b32_e32 v21, 1, v20
	v_cmp_gt_i32_e64 s[0:1], s47, v21
	v_mov_b32_e32 v7, 0
	v_mov_b32_e32 v8, 0
	;; [unrolled: 1-line block ×3, first 2 shown]
	s_and_saveexec_b64 s[2:3], s[0:1]
	s_cbranch_execz .LBB247_37
; %bb.36:
	v_mad_i64_i32 v[6:7], s[16:17], s19, v21, 0
	v_lshl_add_u64 v[6:7], v[6:7], 1, s[4:5]
	v_lshlrev_b32_e32 v8, 1, v18
	v_mov_b32_e32 v9, 0
	v_lshl_add_u64 v[6:7], v[6:7], 0, v[8:9]
	global_load_dwordx4 v[6:9], v[6:7], off
.LBB247_37:
	s_or_b64 exec, exec, s[2:3]
	v_mov_b32_e32 v17, 0
	v_mov_b32_e32 v10, 0
	;; [unrolled: 1-line block ×5, first 2 shown]
	s_and_saveexec_b64 s[2:3], vcc
	s_cbranch_execz .LBB247_39
; %bb.38:
	v_mad_i64_i32 v[10:11], s[16:17], s19, v20, 0
	v_lshl_add_u64 v[10:11], v[10:11], 1, s[4:5]
	v_lshlrev_b32_e32 v12, 1, v18
	v_mov_b32_e32 v13, 0
	v_lshl_add_u64 v[10:11], v[10:11], 0, v[12:13]
	global_load_dwordx4 v[10:13], v[10:11], off offset:128
.LBB247_39:
	s_or_b64 exec, exec, s[2:3]
	v_mov_b32_e32 v16, 0
	v_mov_b32_e32 v15, 0
	;; [unrolled: 1-line block ×3, first 2 shown]
	s_and_saveexec_b64 s[2:3], s[0:1]
	s_cbranch_execz .LBB247_41
; %bb.40:
	v_mad_i64_i32 v[14:15], s[0:1], s19, v21, 0
	v_lshl_add_u64 v[14:15], v[14:15], 1, s[4:5]
	v_lshlrev_b32_e32 v16, 1, v18
	v_mov_b32_e32 v17, 0
	v_lshl_add_u64 v[14:15], v[14:15], 0, v[16:17]
	global_load_dwordx4 v[14:17], v[14:15], off offset:128
.LBB247_41:
	s_or_b64 exec, exec, s[2:3]
	s_branch .LBB247_45
.LBB247_42:
                                        ; implicit-def: $vgpr5
                                        ; implicit-def: $vgpr9
                                        ; implicit-def: $vgpr13
                                        ; implicit-def: $vgpr17
	v_lshrrev_b32_e32 v34, 2, v75
	s_branch .LBB247_46
.LBB247_43:
                                        ; implicit-def: $vgpr5
                                        ; implicit-def: $vgpr9
                                        ; implicit-def: $vgpr13
                                        ; implicit-def: $vgpr17
	s_cbranch_execz .LBB247_45
; %bb.44:
	s_waitcnt vmcnt(0)
	v_mad_u64_u32 v[2:3], s[0:1], v20, s19, v[18:19]
	v_lshlrev_b32_e32 v20, 1, v2
	s_lshl_b32 s2, s19, 7
	s_and_b32 s1, s5, 0xffff
	s_mov_b32 s3, 0x20000
	s_mov_b32 s0, s4
	v_add_lshl_u32 v21, v2, s19, 1
	s_movk_i32 s13, 0x80
	buffer_load_dwordx4 v[2:5], v20, s[0:3], 0 offen
	buffer_load_dwordx4 v[10:13], v20, s[0:3], s13 offen
	;; [unrolled: 1-line block ×4, first 2 shown]
.LBB247_45:
	v_lshrrev_b32_e32 v34, 2, v75
	s_cbranch_execnz .LBB247_58
.LBB247_46:
	s_and_b64 vcc, exec, s[6:7]
	s_cbranch_vccz .LBB247_56
; %bb.47:
	s_waitcnt vmcnt(0)
	v_lshlrev_b32_e32 v7, 1, v25
	v_cmp_gt_i32_e32 vcc, s47, v7
	v_mov_b32_e32 v6, 0
	v_lshlrev_b32_e32 v14, 9, v25
	v_mov_b32_e32 v2, 0
	v_mov_b32_e32 v3, 0
	;; [unrolled: 1-line block ×4, first 2 shown]
	s_and_saveexec_b64 s[0:1], vcc
	s_cbranch_execz .LBB247_49
; %bb.48:
	v_mov_b32_e32 v15, 0
	v_lshl_add_u64 v[2:3], s[4:5], 0, v[14:15]
	v_lshlrev_b32_e32 v4, 1, v18
	v_mov_b32_e32 v5, v15
	v_lshl_add_u64 v[2:3], v[2:3], 0, v[4:5]
	global_load_dwordx4 v[2:5], v[2:3], off
.LBB247_49:
	s_or_b64 exec, exec, s[0:1]
	v_or_b32_e32 v7, 1, v7
	v_cmp_gt_i32_e64 s[0:1], s47, v7
	v_lshlrev_b32_e32 v20, 8, v7
	v_mov_b32_e32 v7, 0
	v_mov_b32_e32 v8, 0
	;; [unrolled: 1-line block ×3, first 2 shown]
	s_and_saveexec_b64 s[2:3], s[0:1]
	s_cbranch_execz .LBB247_51
; %bb.50:
	v_mov_b32_e32 v21, 0
	v_lshl_add_u64 v[6:7], s[4:5], 0, v[20:21]
	v_lshlrev_b32_e32 v8, 1, v18
	v_mov_b32_e32 v9, v21
	v_lshl_add_u64 v[6:7], v[6:7], 0, v[8:9]
	global_load_dwordx4 v[6:9], v[6:7], off
.LBB247_51:
	s_or_b64 exec, exec, s[2:3]
	v_mov_b32_e32 v17, 0
	v_mov_b32_e32 v10, 0
	;; [unrolled: 1-line block ×5, first 2 shown]
	s_and_saveexec_b64 s[2:3], vcc
	s_cbranch_execz .LBB247_53
; %bb.52:
	v_mov_b32_e32 v15, 0
	v_lshl_add_u64 v[10:11], s[4:5], 0, v[14:15]
	v_lshlrev_b32_e32 v14, 1, v18
	v_lshl_add_u64 v[10:11], v[10:11], 0, v[14:15]
	global_load_dwordx4 v[10:13], v[10:11], off offset:128
.LBB247_53:
	s_or_b64 exec, exec, s[2:3]
	v_mov_b32_e32 v16, 0
	v_mov_b32_e32 v15, 0
	;; [unrolled: 1-line block ×3, first 2 shown]
	s_and_saveexec_b64 s[2:3], s[0:1]
	s_cbranch_execz .LBB247_55
; %bb.54:
	v_mov_b32_e32 v21, 0
	v_lshl_add_u64 v[14:15], s[4:5], 0, v[20:21]
	v_lshlrev_b32_e32 v20, 1, v18
	v_lshl_add_u64 v[14:15], v[14:15], 0, v[20:21]
	global_load_dwordx4 v[14:17], v[14:15], off offset:128
.LBB247_55:
	s_or_b64 exec, exec, s[2:3]
	s_branch .LBB247_58
.LBB247_56:
                                        ; implicit-def: $vgpr5
                                        ; implicit-def: $vgpr9
                                        ; implicit-def: $vgpr13
                                        ; implicit-def: $vgpr17
	s_cbranch_execz .LBB247_58
; %bb.57:
	s_waitcnt vmcnt(0)
	v_lshlrev_b32_e32 v2, 1, v18
	v_lshl_or_b32 v18, v25, 9, v2
	s_and_b32 s5, s5, 0xffff
	s_mov_b32 s7, 0x20000
	s_movk_i32 s6, 0x4000
	s_movk_i32 s0, 0x80
	buffer_load_dwordx4 v[2:5], v18, s[4:7], 0 offen
	buffer_load_dwordx4 v[6:9], v18, s[4:7], 0 offen offset:256
	buffer_load_dwordx4 v[10:13], v18, s[4:7], s0 offen
	buffer_load_dwordx4 v[14:17], v18, s[4:7], s0 offen offset:256
.LBB247_58:
	ds_read_b64 v[20:21], v27 offset:57344
	v_add_u32_e32 v18, 0x6000, v26
	ds_read2_b64 v[36:39], v18 offset1:16
	ds_read_b64 v[52:53], v28 offset:57344
	ds_read_b64 v[28:29], v29 offset:57344
	;; [unrolled: 1-line block ×3, first 2 shown]
	ds_read2st64_b64 v[40:43], v26 offset0:52 offset1:56
	s_mov_b32 s0, 0x1000504
	s_mov_b32 s1, 0x3020706
	s_waitcnt lgkmcnt(4)
	v_mfma_f32_16x16x16_bf16 a[0:3], v[20:21], v[36:37], a[0:3]
	v_mfma_f32_16x16x16_bf16 a[4:7], v[20:21], v[38:39], a[4:7]
	ds_read2_b64 v[36:39], v18 offset0:32 offset1:48
	v_and_b32_e32 v18, 6, v0
	v_xor_b32_e32 v25, v25, v18
	s_waitcnt lgkmcnt(0)
	v_mfma_f32_16x16x16_bf16 a[8:11], v[20:21], v[36:37], a[8:11]
	v_lshlrev_b32_e32 v25, 2, v25
	v_and_b32_e32 v0, 1, v0
	v_xor_b32_e32 v35, 0x440, v25
	v_mfma_f32_16x16x16_bf16 a[12:15], v[20:21], v[38:39], a[12:15]
	ds_read2st64_b64 v[36:39], v31 offset0:52 offset1:56
	ds_read2st64_b64 v[44:47], v32 offset0:52 offset1:56
	;; [unrolled: 1-line block ×3, first 2 shown]
	v_cmp_eq_u32_e32 vcc, 0, v0
	ds_read_b64 v[20:21], v26 offset:30720
	ds_read_b64 v[26:27], v31 offset:30720
	;; [unrolled: 1-line block ×4, first 2 shown]
	v_mfma_f32_16x16x16_bf16 a[0:3], v[52:53], v[40:41], a[0:3]
	v_cndmask_b32_e32 v0, v35, v25, vcc
	v_lshl_or_b32 v0, v18, 10, v0
	s_waitcnt vmcnt(0)
	v_perm_b32 v18, v2, v6, s0
	s_waitcnt lgkmcnt(6)
	v_mfma_f32_16x16x16_bf16 a[4:7], v[52:53], v[36:37], a[4:7]
	v_perm_b32 v25, v10, v14, s0
	ds_write2st64_b32 v0, v18, v25 offset0:128 offset1:160
	v_xor_b32_e32 v18, 8, v0
	s_waitcnt lgkmcnt(6)
	v_mfma_f32_16x16x16_bf16 a[8:11], v[52:53], v[44:45], a[8:11]
	v_perm_b32 v2, v2, v6, s1
	v_perm_b32 v6, v10, v14, s1
	v_add_u32_e32 v10, 0x80, v18
	s_waitcnt lgkmcnt(5)
	v_mfma_f32_16x16x16_bf16 a[12:15], v[52:53], v[48:49], a[12:15]
	ds_write2st64_b32 v10, v2, v6 offset0:128 offset1:160
	v_xor_b32_e32 v2, 16, v0
	v_perm_b32 v6, v3, v7, s0
	v_mfma_f32_16x16x16_bf16 a[0:3], v[28:29], v[42:43], a[0:3]
	v_perm_b32 v10, v11, v15, s0
	ds_write2st64_b32 v2, v6, v10 offset0:129 offset1:161
	v_xor_b32_e32 v2, 24, v0
	v_mfma_f32_16x16x16_bf16 a[4:7], v[28:29], v[38:39], a[4:7]
	v_perm_b32 v3, v3, v7, s1
	v_perm_b32 v6, v11, v15, s1
	v_add_u32_e32 v2, 0x80, v2
	v_mfma_f32_16x16x16_bf16 a[16:19], v[28:29], v[46:47], a[8:11]
	ds_write2st64_b32 v2, v3, v6 offset0:129 offset1:161
	v_xor_b32_e32 v2, 32, v0
	v_perm_b32 v3, v4, v8, s0
	v_mfma_f32_16x16x16_bf16 a[20:23], v[28:29], v[50:51], a[12:15]
	v_perm_b32 v6, v12, v16, s0
	ds_write2st64_b32 v2, v3, v6 offset0:130 offset1:162
	v_xor_b32_e32 v2, 40, v0
	s_waitcnt lgkmcnt(8)
	v_mfma_f32_16x16x16_bf16 a[12:15], v[54:55], v[20:21], a[0:3]
	v_perm_b32 v3, v4, v8, s1
	v_perm_b32 v4, v12, v16, s1
	v_add_u32_e32 v2, 0x80, v2
	s_waitcnt lgkmcnt(7)
	v_mfma_f32_16x16x16_bf16 a[8:11], v[54:55], v[26:27], a[4:7]
	ds_write2st64_b32 v2, v3, v4 offset0:130 offset1:162
	v_xor_b32_e32 v2, 48, v0
	v_perm_b32 v3, v5, v9, s0
	s_waitcnt lgkmcnt(7)
	v_mfma_f32_16x16x16_bf16 a[4:7], v[54:55], v[30:31], a[16:19]
	v_perm_b32 v4, v13, v17, s0
	v_xor_b32_e32 v0, 56, v0
	v_and_or_b32 v21, v34, 12, v1
	s_waitcnt lgkmcnt(6)
	v_mfma_f32_16x16x16_bf16 a[0:3], v[54:55], v[32:33], a[20:23]
	ds_write2st64_b32 v2, v3, v4 offset0:131 offset1:163
	v_perm_b32 v2, v5, v9, s1
	v_perm_b32 v3, v13, v17, s1
	v_add_u32_e32 v0, 0x80, v0
	v_cmp_gt_i32_e32 vcc, s47, v21
	v_mov_b32_e32 v16, 0
	v_mov_b32_e32 v18, 0
	ds_write2st64_b32 v0, v2, v3 offset0:131 offset1:163
	s_and_saveexec_b64 s[0:1], vcc
	s_cbranch_execz .LBB247_60
; %bb.59:
	v_add_u32_e32 v0, s38, v21
	v_ashrrev_i32_e32 v1, 31, v0
	v_mul_lo_u32 v2, v1, s34
	v_mul_lo_u32 v3, v0, s35
	v_mad_u64_u32 v[0:1], s[2:3], v0, s34, 0
	v_add3_u32 v1, v1, v3, v2
	v_lshl_add_u64 v[0:1], v[0:1], 2, s[10:11]
	global_load_dword v0, v[0:1], off
	s_waitcnt vmcnt(0)
	v_sub_f32_e32 v0, s12, v0
	v_mul_f32_e32 v0, 0x3fb8aa3b, v0
	v_exp_f32_e32 v18, v0
.LBB247_60:
	s_or_b64 exec, exec, s[0:1]
	v_or_b32_e32 v10, 1, v21
	v_cmp_gt_i32_e64 s[0:1], s47, v10
	s_and_saveexec_b64 s[2:3], s[0:1]
	s_cbranch_execz .LBB247_62
; %bb.61:
	v_add_u32_e32 v0, s38, v10
	v_ashrrev_i32_e32 v1, 31, v0
	v_mul_lo_u32 v2, v1, s34
	v_mul_lo_u32 v3, v0, s35
	v_mad_u64_u32 v[0:1], s[4:5], v0, s34, 0
	v_add3_u32 v1, v1, v3, v2
	v_lshl_add_u64 v[0:1], v[0:1], 2, s[10:11]
	global_load_dword v0, v[0:1], off
	s_waitcnt vmcnt(0)
	v_sub_f32_e32 v0, s12, v0
	v_mul_f32_e32 v0, 0x3fb8aa3b, v0
	v_exp_f32_e32 v16, v0
.LBB247_62:
	s_or_b64 exec, exec, s[2:3]
	v_or_b32_e32 v12, 2, v21
	v_cmp_gt_i32_e64 s[2:3], s47, v12
	v_mov_b32_e32 v17, 0
	v_mov_b32_e32 v20, 0
	s_and_saveexec_b64 s[4:5], s[2:3]
	s_cbranch_execz .LBB247_64
; %bb.63:
	v_add_u32_e32 v0, s38, v12
	v_ashrrev_i32_e32 v1, 31, v0
	v_mul_lo_u32 v2, v1, s34
	v_mul_lo_u32 v3, v0, s35
	v_mad_u64_u32 v[0:1], s[6:7], v0, s34, 0
	v_add3_u32 v1, v1, v3, v2
	v_lshl_add_u64 v[0:1], v[0:1], 2, s[10:11]
	global_load_dword v0, v[0:1], off
	s_waitcnt vmcnt(0)
	v_sub_f32_e32 v0, s12, v0
	v_mul_f32_e32 v0, 0x3fb8aa3b, v0
	v_exp_f32_e32 v20, v0
.LBB247_64:
	s_or_b64 exec, exec, s[4:5]
	v_or_b32_e32 v14, 3, v21
	v_cmp_gt_i32_e64 s[4:5], s47, v14
	s_and_saveexec_b64 s[6:7], s[4:5]
	s_cbranch_execz .LBB247_66
; %bb.65:
	v_add_u32_e32 v0, s38, v14
	v_ashrrev_i32_e32 v1, 31, v0
	v_mul_lo_u32 v2, v1, s34
	v_mul_lo_u32 v3, v0, s35
	v_mad_u64_u32 v[0:1], s[16:17], v0, s34, 0
	v_add3_u32 v1, v1, v3, v2
	v_lshl_add_u64 v[0:1], v[0:1], 2, s[10:11]
	global_load_dword v0, v[0:1], off
	s_waitcnt vmcnt(0)
	v_sub_f32_e32 v0, s12, v0
	v_mul_f32_e32 v0, 0x3fb8aa3b, v0
	v_exp_f32_e32 v17, v0
.LBB247_66:
	s_or_b64 exec, exec, s[6:7]
	s_add_u32 s6, s8, s28
	v_or_b32_e32 v4, s36, v74
	s_addc_u32 s7, s9, s29
	s_add_u32 s8, s14, s28
	v_ashrrev_i32_e32 v5, 31, v4
	v_accvgpr_read_b32 v0, a12
	s_addc_u32 s9, s15, s29
	v_lshlrev_b64 v[4:5], 1, v[4:5]
	v_accvgpr_read_b32 v1, a13
	v_accvgpr_read_b32 v2, a14
	;; [unrolled: 1-line block ×3, first 2 shown]
	v_lshl_add_u64 v[6:7], s[6:7], 0, v[4:5]
	v_lshl_add_u64 v[4:5], s[8:9], 0, v[4:5]
	v_mov_b32_e32 v11, 0
	v_lshlrev_b32_e32 v8, 8, v21
	v_mov_b32_e32 v9, 0
	s_and_saveexec_b64 s[6:7], vcc
	s_cbranch_execz .LBB247_68
; %bb.67:
	v_mov_b32_e32 v9, 0
	v_lshl_add_u64 v[26:27], v[6:7], 0, v[8:9]
	global_load_ushort v13, v[26:27], off
	v_lshl_add_u64 v[26:27], v[4:5], 0, v[8:9]
	s_waitcnt vmcnt(0)
	v_lshlrev_b32_e32 v9, 16, v13
	v_sub_f32_e32 v0, v9, v0
	global_store_short_d16_hi v[26:27], v0, off
	v_mul_f32_e32 v0, v18, v0
	v_lshrrev_b32_e32 v9, 16, v0
.LBB247_68:
	s_or_b64 exec, exec, s[6:7]
	v_lshlrev_b32_e32 v10, 8, v10
	s_and_saveexec_b64 s[6:7], s[0:1]
	s_cbranch_execz .LBB247_70
; %bb.69:
	v_mov_b32_e32 v11, 0
	v_lshl_add_u64 v[26:27], v[6:7], 0, v[10:11]
	global_load_ushort v0, v[26:27], off
	v_lshl_add_u64 v[26:27], v[4:5], 0, v[10:11]
	s_waitcnt vmcnt(0)
	v_lshlrev_b32_e32 v0, 16, v0
	v_sub_f32_e32 v0, v0, v1
	global_store_short_d16_hi v[26:27], v0, off
	v_mul_f32_e32 v0, v16, v0
	v_lshrrev_b32_e32 v11, 16, v0
.LBB247_70:
	s_or_b64 exec, exec, s[6:7]
	v_mov_b32_e32 v15, 0
	v_lshlrev_b32_e32 v12, 8, v12
	v_mov_b32_e32 v13, 0
	s_and_saveexec_b64 s[6:7], s[2:3]
	s_cbranch_execz .LBB247_72
; %bb.71:
	v_mov_b32_e32 v13, 0
	v_lshl_add_u64 v[0:1], v[6:7], 0, v[12:13]
	global_load_ushort v25, v[0:1], off
	v_lshl_add_u64 v[0:1], v[4:5], 0, v[12:13]
	s_waitcnt vmcnt(0)
	v_lshlrev_b32_e32 v13, 16, v25
	v_sub_f32_e32 v2, v13, v2
	global_store_short_d16_hi v[0:1], v2, off
	v_mul_f32_e32 v0, v20, v2
	v_lshrrev_b32_e32 v13, 16, v0
.LBB247_72:
	s_or_b64 exec, exec, s[6:7]
	v_lshlrev_b32_e32 v14, 8, v14
	s_and_saveexec_b64 s[6:7], s[4:5]
	s_cbranch_execz .LBB247_74
; %bb.73:
	v_mov_b32_e32 v15, 0
	v_lshl_add_u64 v[0:1], v[6:7], 0, v[14:15]
	global_load_ushort v2, v[0:1], off
	v_lshl_add_u64 v[0:1], v[4:5], 0, v[14:15]
	s_waitcnt vmcnt(0)
	v_lshlrev_b32_e32 v2, 16, v2
	v_sub_f32_e32 v2, v2, v3
	global_store_short_d16_hi v[0:1], v2, off
	v_mul_f32_e32 v0, v17, v2
	v_lshrrev_b32_e32 v15, 16, v0
.LBB247_74:
	s_or_b64 exec, exec, s[6:7]
	v_lshlrev_b32_e32 v21, 6, v21
	s_mov_b32 s6, 0x5040100
	v_perm_b32 v26, v11, v9, s6
	v_or_b32_e32 v9, v21, v24
	v_accvgpr_read_b32 v0, a8
	v_perm_b32 v27, v15, v13, s6
	v_lshlrev_b32_e32 v9, 1, v9
	v_accvgpr_read_b32 v1, a9
	v_accvgpr_read_b32 v2, a10
	;; [unrolled: 1-line block ×3, first 2 shown]
	ds_write_b64 v9, v[26:27] offset:24576
	v_mov_b32_e32 v11, 0
	v_mov_b32_e32 v9, 0
	s_and_saveexec_b64 s[6:7], vcc
	s_cbranch_execz .LBB247_76
; %bb.75:
	v_mov_b32_e32 v9, 0
	v_lshl_add_u64 v[24:25], v[6:7], 0, v[8:9]
	global_load_ushort v13, v[24:25], off offset:32
	v_lshl_add_u64 v[24:25], v[4:5], 0, v[8:9]
	s_waitcnt vmcnt(0)
	v_lshlrev_b32_e32 v9, 16, v13
	v_sub_f32_e32 v0, v9, v0
	global_store_short_d16_hi v[24:25], v0, off offset:32
	v_mul_f32_e32 v0, v18, v0
	v_lshrrev_b32_e32 v9, 16, v0
.LBB247_76:
	s_or_b64 exec, exec, s[6:7]
	s_and_saveexec_b64 s[6:7], s[0:1]
	s_cbranch_execz .LBB247_78
; %bb.77:
	v_mov_b32_e32 v11, 0
	v_lshl_add_u64 v[24:25], v[6:7], 0, v[10:11]
	global_load_ushort v0, v[24:25], off offset:32
	v_lshl_add_u64 v[24:25], v[4:5], 0, v[10:11]
	s_waitcnt vmcnt(0)
	v_lshlrev_b32_e32 v0, 16, v0
	v_sub_f32_e32 v0, v0, v1
	global_store_short_d16_hi v[24:25], v0, off offset:32
	v_mul_f32_e32 v0, v16, v0
	v_lshrrev_b32_e32 v11, 16, v0
.LBB247_78:
	s_or_b64 exec, exec, s[6:7]
	v_mov_b32_e32 v15, 0
	v_mov_b32_e32 v13, 0
	s_and_saveexec_b64 s[6:7], s[2:3]
	s_cbranch_execz .LBB247_80
; %bb.79:
	v_mov_b32_e32 v13, 0
	v_lshl_add_u64 v[0:1], v[6:7], 0, v[12:13]
	global_load_ushort v24, v[0:1], off offset:32
	v_lshl_add_u64 v[0:1], v[4:5], 0, v[12:13]
	s_waitcnt vmcnt(0)
	v_lshlrev_b32_e32 v13, 16, v24
	v_sub_f32_e32 v2, v13, v2
	global_store_short_d16_hi v[0:1], v2, off offset:32
	v_mul_f32_e32 v0, v20, v2
	v_lshrrev_b32_e32 v13, 16, v0
.LBB247_80:
	s_or_b64 exec, exec, s[6:7]
	s_and_saveexec_b64 s[6:7], s[4:5]
	s_cbranch_execz .LBB247_82
; %bb.81:
	v_mov_b32_e32 v15, 0
	v_lshl_add_u64 v[0:1], v[6:7], 0, v[14:15]
	global_load_ushort v2, v[0:1], off offset:32
	v_lshl_add_u64 v[0:1], v[4:5], 0, v[14:15]
	s_waitcnt vmcnt(0)
	v_lshlrev_b32_e32 v2, 16, v2
	v_sub_f32_e32 v2, v2, v3
	global_store_short_d16_hi v[0:1], v2, off offset:32
	v_mul_f32_e32 v0, v17, v2
	v_lshrrev_b32_e32 v15, 16, v0
.LBB247_82:
	s_or_b64 exec, exec, s[6:7]
	s_mov_b32 s6, 0x5040100
	v_perm_b32 v24, v11, v9, s6
	v_or_b32_e32 v9, v21, v23
	v_accvgpr_read_b32 v0, a4
	v_perm_b32 v25, v15, v13, s6
	v_lshlrev_b32_e32 v9, 1, v9
	v_accvgpr_read_b32 v1, a5
	v_accvgpr_read_b32 v2, a6
	v_accvgpr_read_b32 v3, a7
	ds_write_b64 v9, v[24:25] offset:24576
	v_mov_b32_e32 v11, 0
	v_mov_b32_e32 v9, 0
	s_and_saveexec_b64 s[6:7], vcc
	s_cbranch_execz .LBB247_84
; %bb.83:
	v_mov_b32_e32 v9, 0
	v_lshl_add_u64 v[24:25], v[6:7], 0, v[8:9]
	global_load_ushort v13, v[24:25], off offset:64
	v_lshl_add_u64 v[24:25], v[4:5], 0, v[8:9]
	s_waitcnt vmcnt(0)
	v_lshlrev_b32_e32 v9, 16, v13
	v_sub_f32_e32 v0, v9, v0
	global_store_short_d16_hi v[24:25], v0, off offset:64
	v_mul_f32_e32 v0, v18, v0
	v_lshrrev_b32_e32 v9, 16, v0
.LBB247_84:
	s_or_b64 exec, exec, s[6:7]
	s_and_saveexec_b64 s[6:7], s[0:1]
	s_cbranch_execz .LBB247_86
; %bb.85:
	v_mov_b32_e32 v11, 0
	v_lshl_add_u64 v[24:25], v[6:7], 0, v[10:11]
	global_load_ushort v0, v[24:25], off offset:64
	v_lshl_add_u64 v[24:25], v[4:5], 0, v[10:11]
	s_waitcnt vmcnt(0)
	v_lshlrev_b32_e32 v0, 16, v0
	v_sub_f32_e32 v0, v0, v1
	global_store_short_d16_hi v[24:25], v0, off offset:64
	v_mul_f32_e32 v0, v16, v0
	v_lshrrev_b32_e32 v11, 16, v0
.LBB247_86:
	s_or_b64 exec, exec, s[6:7]
	v_mov_b32_e32 v15, 0
	v_mov_b32_e32 v13, 0
	s_and_saveexec_b64 s[6:7], s[2:3]
	s_cbranch_execz .LBB247_88
; %bb.87:
	v_mov_b32_e32 v13, 0
	v_lshl_add_u64 v[0:1], v[6:7], 0, v[12:13]
	global_load_ushort v23, v[0:1], off offset:64
	v_lshl_add_u64 v[0:1], v[4:5], 0, v[12:13]
	s_waitcnt vmcnt(0)
	v_lshlrev_b32_e32 v13, 16, v23
	v_sub_f32_e32 v2, v13, v2
	global_store_short_d16_hi v[0:1], v2, off offset:64
	v_mul_f32_e32 v0, v20, v2
	v_lshrrev_b32_e32 v13, 16, v0
.LBB247_88:
	s_or_b64 exec, exec, s[6:7]
	s_and_saveexec_b64 s[6:7], s[4:5]
	s_cbranch_execz .LBB247_90
; %bb.89:
	v_mov_b32_e32 v15, 0
	v_lshl_add_u64 v[0:1], v[6:7], 0, v[14:15]
	global_load_ushort v2, v[0:1], off offset:64
	v_lshl_add_u64 v[0:1], v[4:5], 0, v[14:15]
	s_waitcnt vmcnt(0)
	v_lshlrev_b32_e32 v2, 16, v2
	v_sub_f32_e32 v2, v2, v3
	global_store_short_d16_hi v[0:1], v2, off offset:64
	v_mul_f32_e32 v0, v17, v2
	v_lshrrev_b32_e32 v15, 16, v0
.LBB247_90:
	s_or_b64 exec, exec, s[6:7]
	s_mov_b32 s6, 0x5040100
	v_perm_b32 v24, v11, v9, s6
	v_or_b32_e32 v9, v21, v22
	v_accvgpr_read_b32 v0, a0
	v_perm_b32 v25, v15, v13, s6
	v_lshlrev_b32_e32 v9, 1, v9
	v_accvgpr_read_b32 v1, a1
	v_accvgpr_read_b32 v2, a2
	;; [unrolled: 1-line block ×3, first 2 shown]
	ds_write_b64 v9, v[24:25] offset:24576
	v_mov_b32_e32 v11, 0
	v_mov_b32_e32 v9, 0
	s_and_saveexec_b64 s[6:7], vcc
	s_cbranch_execz .LBB247_92
; %bb.91:
	v_mov_b32_e32 v9, 0
	v_lshl_add_u64 v[22:23], v[6:7], 0, v[8:9]
	global_load_ushort v13, v[22:23], off offset:96
	v_lshl_add_u64 v[8:9], v[4:5], 0, v[8:9]
	s_waitcnt vmcnt(0)
	v_lshlrev_b32_e32 v13, 16, v13
	v_sub_f32_e32 v0, v13, v0
	global_store_short_d16_hi v[8:9], v0, off offset:96
	v_mul_f32_e32 v0, v18, v0
	v_lshrrev_b32_e32 v9, 16, v0
.LBB247_92:
	s_or_b64 exec, exec, s[6:7]
	s_and_saveexec_b64 s[6:7], s[0:1]
	s_cbranch_execz .LBB247_94
; %bb.93:
	v_mov_b32_e32 v11, 0
	v_lshl_add_u64 v[22:23], v[6:7], 0, v[10:11]
	global_load_ushort v0, v[22:23], off offset:96
	v_lshl_add_u64 v[10:11], v[4:5], 0, v[10:11]
	s_waitcnt vmcnt(0)
	v_lshlrev_b32_e32 v0, 16, v0
	v_sub_f32_e32 v0, v0, v1
	global_store_short_d16_hi v[10:11], v0, off offset:96
	v_mul_f32_e32 v0, v16, v0
	v_lshrrev_b32_e32 v11, 16, v0
.LBB247_94:
	s_or_b64 exec, exec, s[6:7]
	v_mov_b32_e32 v0, 0
	v_mov_b32_e32 v1, 0
	s_and_saveexec_b64 s[0:1], s[2:3]
	s_cbranch_execz .LBB247_96
; %bb.95:
	v_mov_b32_e32 v13, 0
	v_lshl_add_u64 v[22:23], v[6:7], 0, v[12:13]
	global_load_ushort v1, v[22:23], off offset:96
	v_lshl_add_u64 v[12:13], v[4:5], 0, v[12:13]
	s_waitcnt vmcnt(0)
	v_lshlrev_b32_e32 v1, 16, v1
	v_sub_f32_e32 v1, v1, v2
	global_store_short_d16_hi v[12:13], v1, off offset:96
	v_mul_f32_e32 v1, v20, v1
	v_lshrrev_b32_e32 v1, 16, v1
.LBB247_96:
	s_or_b64 exec, exec, s[0:1]
	s_and_saveexec_b64 s[0:1], s[4:5]
	s_cbranch_execz .LBB247_98
; %bb.97:
	v_mov_b32_e32 v15, 0
	v_lshl_add_u64 v[6:7], v[6:7], 0, v[14:15]
	global_load_ushort v0, v[6:7], off offset:96
	v_lshl_add_u64 v[4:5], v[4:5], 0, v[14:15]
	s_waitcnt vmcnt(0)
	v_lshlrev_b32_e32 v0, 16, v0
	v_sub_f32_e32 v0, v0, v3
	global_store_short_d16_hi v[4:5], v0, off offset:96
	v_mul_f32_e32 v0, v17, v0
	v_lshrrev_b32_e32 v0, 16, v0
.LBB247_98:
	s_or_b64 exec, exec, s[0:1]
	s_mov_b32 s0, 0x5040100
	v_or_b32_e32 v2, v21, v19
	v_perm_b32 v1, v0, v1, s0
	v_perm_b32 v0, v11, v9, s0
	v_lshlrev_b32_e32 v2, 1, v2
	ds_write_b64 v2, v[0:1] offset:24576
	s_waitcnt lgkmcnt(0)
	s_barrier
.LBB247_99:
	s_endpgm
	.section	.rodata,"a",@progbits
	.p2align	6, 0x0
	.amdhsa_kernel _ZN12_GLOBAL__N_139chunk_gated_delta_rule_fwd_h_hip_kernelILi64ELb0ELb0ELb1ELb1ELb0ELb0ELb0ELb0EEEvPK12hip_bfloat16S3_S3_PKfS5_PKvPS1_S8_PvPKiSB_iiiiilll
		.amdhsa_group_segment_fixed_size 65536
		.amdhsa_private_segment_fixed_size 0
		.amdhsa_kernarg_size 136
		.amdhsa_user_sgpr_count 2
		.amdhsa_user_sgpr_dispatch_ptr 0
		.amdhsa_user_sgpr_queue_ptr 0
		.amdhsa_user_sgpr_kernarg_segment_ptr 1
		.amdhsa_user_sgpr_dispatch_id 0
		.amdhsa_user_sgpr_kernarg_preload_length 0
		.amdhsa_user_sgpr_kernarg_preload_offset 0
		.amdhsa_user_sgpr_private_segment_size 0
		.amdhsa_uses_dynamic_stack 0
		.amdhsa_enable_private_segment 0
		.amdhsa_system_sgpr_workgroup_id_x 1
		.amdhsa_system_sgpr_workgroup_id_y 1
		.amdhsa_system_sgpr_workgroup_id_z 0
		.amdhsa_system_sgpr_workgroup_info 0
		.amdhsa_system_vgpr_workitem_id 0
		.amdhsa_next_free_vgpr 216
		.amdhsa_next_free_sgpr 62
		.amdhsa_accum_offset 180
		.amdhsa_reserve_vcc 1
		.amdhsa_float_round_mode_32 0
		.amdhsa_float_round_mode_16_64 0
		.amdhsa_float_denorm_mode_32 3
		.amdhsa_float_denorm_mode_16_64 3
		.amdhsa_dx10_clamp 1
		.amdhsa_ieee_mode 1
		.amdhsa_fp16_overflow 0
		.amdhsa_tg_split 0
		.amdhsa_exception_fp_ieee_invalid_op 0
		.amdhsa_exception_fp_denorm_src 0
		.amdhsa_exception_fp_ieee_div_zero 0
		.amdhsa_exception_fp_ieee_overflow 0
		.amdhsa_exception_fp_ieee_underflow 0
		.amdhsa_exception_fp_ieee_inexact 0
		.amdhsa_exception_int_div_zero 0
	.end_amdhsa_kernel
	.section	.text._ZN12_GLOBAL__N_139chunk_gated_delta_rule_fwd_h_hip_kernelILi64ELb0ELb0ELb1ELb1ELb0ELb0ELb0ELb0EEEvPK12hip_bfloat16S3_S3_PKfS5_PKvPS1_S8_PvPKiSB_iiiiilll,"axG",@progbits,_ZN12_GLOBAL__N_139chunk_gated_delta_rule_fwd_h_hip_kernelILi64ELb0ELb0ELb1ELb1ELb0ELb0ELb0ELb0EEEvPK12hip_bfloat16S3_S3_PKfS5_PKvPS1_S8_PvPKiSB_iiiiilll,comdat
.Lfunc_end247:
	.size	_ZN12_GLOBAL__N_139chunk_gated_delta_rule_fwd_h_hip_kernelILi64ELb0ELb0ELb1ELb1ELb0ELb0ELb0ELb0EEEvPK12hip_bfloat16S3_S3_PKfS5_PKvPS1_S8_PvPKiSB_iiiiilll, .Lfunc_end247-_ZN12_GLOBAL__N_139chunk_gated_delta_rule_fwd_h_hip_kernelILi64ELb0ELb0ELb1ELb1ELb0ELb0ELb0ELb0EEEvPK12hip_bfloat16S3_S3_PKfS5_PKvPS1_S8_PvPKiSB_iiiiilll
                                        ; -- End function
	.section	.AMDGPU.csdata,"",@progbits
; Kernel info:
; codeLenInByte = 11188
; NumSgprs: 68
; NumVgprs: 180
; NumAgprs: 36
; TotalNumVgprs: 216
; ScratchSize: 0
; MemoryBound: 0
; FloatMode: 240
; IeeeMode: 1
; LDSByteSize: 65536 bytes/workgroup (compile time only)
; SGPRBlocks: 8
; VGPRBlocks: 26
; NumSGPRsForWavesPerEU: 68
; NumVGPRsForWavesPerEU: 216
; AccumOffset: 180
; Occupancy: 1
; WaveLimiterHint : 1
; COMPUTE_PGM_RSRC2:SCRATCH_EN: 0
; COMPUTE_PGM_RSRC2:USER_SGPR: 2
; COMPUTE_PGM_RSRC2:TRAP_HANDLER: 0
; COMPUTE_PGM_RSRC2:TGID_X_EN: 1
; COMPUTE_PGM_RSRC2:TGID_Y_EN: 1
; COMPUTE_PGM_RSRC2:TGID_Z_EN: 0
; COMPUTE_PGM_RSRC2:TIDIG_COMP_CNT: 0
; COMPUTE_PGM_RSRC3_GFX90A:ACCUM_OFFSET: 44
; COMPUTE_PGM_RSRC3_GFX90A:TG_SPLIT: 0
	.section	.text._ZN12_GLOBAL__N_139chunk_gated_delta_rule_fwd_h_hip_kernelILi64ELb0ELb0ELb0ELb1ELb0ELb0ELb0ELb0EEEvPK12hip_bfloat16S3_S3_PKfS5_PKvPS1_S8_PvPKiSB_iiiiilll,"axG",@progbits,_ZN12_GLOBAL__N_139chunk_gated_delta_rule_fwd_h_hip_kernelILi64ELb0ELb0ELb0ELb1ELb0ELb0ELb0ELb0EEEvPK12hip_bfloat16S3_S3_PKfS5_PKvPS1_S8_PvPKiSB_iiiiilll,comdat
	.globl	_ZN12_GLOBAL__N_139chunk_gated_delta_rule_fwd_h_hip_kernelILi64ELb0ELb0ELb0ELb1ELb0ELb0ELb0ELb0EEEvPK12hip_bfloat16S3_S3_PKfS5_PKvPS1_S8_PvPKiSB_iiiiilll ; -- Begin function _ZN12_GLOBAL__N_139chunk_gated_delta_rule_fwd_h_hip_kernelILi64ELb0ELb0ELb0ELb1ELb0ELb0ELb0ELb0EEEvPK12hip_bfloat16S3_S3_PKfS5_PKvPS1_S8_PvPKiSB_iiiiilll
	.p2align	8
	.type	_ZN12_GLOBAL__N_139chunk_gated_delta_rule_fwd_h_hip_kernelILi64ELb0ELb0ELb0ELb1ELb0ELb0ELb0ELb0EEEvPK12hip_bfloat16S3_S3_PKfS5_PKvPS1_S8_PvPKiSB_iiiiilll,@function
_ZN12_GLOBAL__N_139chunk_gated_delta_rule_fwd_h_hip_kernelILi64ELb0ELb0ELb0ELb1ELb0ELb0ELb0ELb0EEEvPK12hip_bfloat16S3_S3_PKfS5_PKvPS1_S8_PvPKiSB_iiiiilll: ; @_ZN12_GLOBAL__N_139chunk_gated_delta_rule_fwd_h_hip_kernelILi64ELb0ELb0ELb0ELb1ELb0ELb0ELb0ELb0EEEvPK12hip_bfloat16S3_S3_PKfS5_PKvPS1_S8_PvPKiSB_iiiiilll
; %bb.0:
	s_load_dwordx4 s[12:15], s[0:1], 0x5c
	s_load_dwordx4 s[16:19], s[0:1], 0x70
	s_abs_i32 s21, s3
	s_ashr_i32 s20, s3, 31
	s_load_dwordx2 s[36:37], s[0:1], 0x30
	s_load_dwordx4 s[24:27], s[0:1], 0x48
	s_waitcnt lgkmcnt(0)
	s_abs_i32 s28, s13
	v_cvt_f32_u32_e32 v1, s28
	s_sub_i32 s22, 0, s28
	s_ashr_i32 s29, s13, 31
	s_xor_b32 s20, s20, s29
	v_rcp_iflag_f32_e32 v1, v1
	s_load_dwordx8 s[4:11], s[0:1], 0x0
	v_lshrrev_b32_e32 v74, 6, v0
	v_bfe_u32 v75, v0, 4, 2
	v_mul_f32_e32 v1, 0x4f7ffffe, v1
	v_cvt_u32_f32_e32 v1, v1
	v_lshlrev_b32_e32 v2, 2, v75
	v_and_b32_e32 v73, 63, v0
	v_mov_b32_e32 v35, 0
	v_readfirstlane_b32 s23, v1
	s_mul_i32 s22, s22, s23
	s_mul_hi_u32 s22, s23, s22
	s_add_i32 s23, s23, s22
	s_mul_hi_u32 s22, s21, s23
	s_mul_i32 s23, s22, s28
	s_sub_i32 s21, s21, s23
	s_add_i32 s30, s22, 1
	s_sub_i32 s23, s21, s28
	s_cmp_ge_u32 s21, s28
	s_cselect_b32 s22, s30, s22
	s_cselect_b32 s21, s23, s21
	s_add_i32 s23, s22, 1
	s_cmp_ge_u32 s21, s28
	s_cselect_b32 s21, s23, s22
	s_xor_b32 s21, s21, s20
	s_sub_i32 s20, s21, s20
	s_mul_i32 s21, s20, s13
	s_sub_i32 s33, s3, s21
	s_ashr_i32 s21, s20, 31
	s_lshl_b64 s[22:23], s[20:21], 2
	s_add_u32 s24, s24, s22
	s_addc_u32 s25, s25, s23
	s_add_u32 s22, s26, s22
	s_addc_u32 s23, s27, s23
	s_abs_i32 s3, s14
	v_cvt_f32_u32_e32 v1, s3
	s_load_dwordx2 s[34:35], s[24:25], 0x0
	s_sub_i32 s25, 0, s3
	s_load_dword s44, s[22:23], 0x0
	v_rcp_iflag_f32_e32 v1, v1
	v_and_b32_e32 v72, 15, v0
	s_waitcnt lgkmcnt(0)
	s_sub_i32 s45, s35, s34
	s_ashr_i32 s24, s45, 31
	v_mul_f32_e32 v1, 0x4f7ffffe, v1
	v_cvt_u32_f32_e32 v1, v1
	s_lshr_b32 s24, s24, 26
	s_add_i32 s24, s45, s24
	s_ashr_i32 s43, s24, 6
	v_readfirstlane_b32 s26, v1
	s_mul_i32 s25, s25, s26
	s_mul_hi_u32 s25, s26, s25
	s_add_i32 s26, s26, s25
	s_mul_hi_u32 s25, s28, s26
	s_mul_i32 s26, s25, s3
	s_ashr_i32 s24, s14, 31
	s_sub_i32 s26, s28, s26
	s_xor_b32 s24, s29, s24
	s_add_i32 s27, s25, 1
	s_sub_i32 s28, s26, s3
	s_cmp_ge_u32 s26, s3
	s_cselect_b32 s25, s27, s25
	s_cselect_b32 s26, s28, s26
	s_add_i32 s27, s25, 1
	s_cmp_ge_u32 s26, s3
	s_cselect_b32 s3, s27, s25
	s_xor_b32 s3, s3, s24
	s_sub_i32 s3, s3, s24
	s_abs_i32 s24, s3
	v_cvt_f32_u32_e32 v1, s24
	s_load_dwordx2 s[28:29], s[0:1], 0x80
	s_xor_b32 s0, s33, s3
	s_sub_i32 s3, 0, s24
	v_rcp_iflag_f32_e32 v1, v1
	s_abs_i32 s1, s33
	s_ashr_i32 s0, s0, 31
	s_mul_hi_i32 s46, s33, s12
	v_mul_f32_e32 v1, 0x4f7ffffe, v1
	v_cvt_u32_f32_e32 v1, v1
	s_mul_i32 s47, s33, s12
	v_lshrrev_b32_e32 v77, 3, v73
	v_lshlrev_b32_e32 v76, 3, v0
	v_readfirstlane_b32 s22, v1
	s_mul_i32 s3, s3, s22
	s_mul_hi_u32 s3, s22, s3
	s_add_i32 s22, s22, s3
	s_mul_hi_u32 s3, s1, s22
	s_mul_i32 s22, s3, s24
	s_sub_i32 s1, s1, s22
	s_add_i32 s22, s3, 1
	s_sub_i32 s23, s1, s24
	s_cmp_ge_u32 s1, s24
	s_cselect_b32 s3, s22, s3
	s_cselect_b32 s1, s23, s1
	s_add_i32 s22, s3, 1
	s_cmp_ge_u32 s1, s24
	s_cselect_b32 s1, s22, s3
	s_xor_b32 s1, s1, s0
	v_lshlrev_b32_e32 v1, 4, v74
	s_sub_i32 s48, s1, s0
	v_or_b32_e32 v78, v2, v1
	s_lshl_b32 s30, s2, 6
	v_or_b32_e32 v79, 64, v78
	s_cmp_lt_i32 s45, 64
	s_mul_i32 s40, s20, s17
	s_mul_hi_u32 s41, s20, s16
	s_mul_i32 s42, s21, s16
	s_mul_i32 s16, s20, s16
	v_mov_b32_e32 v34, v35
	v_mov_b32_e32 v41, v35
	;; [unrolled: 1-line block ×31, first 2 shown]
	s_cbranch_scc1 .LBB248_18
; %bb.1:
	s_ashr_i32 s51, s33, 31
	s_ashr_i32 s1, s34, 31
	s_add_u32 s0, s47, s34
	s_addc_u32 s1, s46, s1
	s_lshl_b64 s[0:1], s[0:1], 8
	v_and_b32_e32 v81, 56, v76
	s_add_u32 s0, s6, s0
	v_lshl_or_b32 v80, v74, 3, v77
	v_lshlrev_b32_e32 v3, 1, v81
	s_addc_u32 s1, s7, s1
	v_lshl_or_b32 v82, v80, 8, v3
	s_and_b32 s1, s1, 0xffff
	s_mov_b32 s3, 0x20000
	s_movk_i32 s2, 0x4000
	s_movk_i32 s17, 0x80
	v_or_b32_e32 v83, 0x2000, v82
	buffer_load_dwordx4 v[4:7], v82, s[0:3], 0 offen
	buffer_load_dwordx4 v[8:11], v82, s[0:3], s17 offen
	;; [unrolled: 1-line block ×4, first 2 shown]
	v_lshlrev_b32_e32 v20, 3, v80
	v_and_or_b32 v22, v0, 7, v20
	v_and_b32_e32 v20, 0x78, v20
	v_lshlrev_b32_e32 v22, 4, v22
	v_xor_b32_e32 v84, v22, v20
	v_mul_lo_u32 v21, v80, s15
	v_or_b32_e32 v85, 0x1000, v84
	s_cmpk_eq_i32 s15, 0x80
	s_mov_b32 s49, s13
	s_mov_b32 s50, s34
	v_xor_b32_e32 v20, 8, v84
	v_xor_b32_e32 v22, 8, v85
	s_cselect_b64 s[0:1], -1, 0
	s_cmpk_lg_i32 s15, 0x80
	s_waitcnt vmcnt(3)
	ds_write_b64 v84, v[4:5] offset:49152
	ds_write_b64 v20, v[6:7] offset:49152
	s_waitcnt vmcnt(2)
	ds_write_b64 v84, v[8:9] offset:57344
	ds_write_b64 v20, v[10:11] offset:57344
	;; [unrolled: 3-line block ×4, first 2 shown]
	v_lshl_add_u32 v4, v21, 1, v81
	s_cbranch_scc0 .LBB248_3
; %bb.2:
	v_lshlrev_b32_e32 v6, 1, v4
	v_add_lshl_u32 v5, v4, s15, 1
	s_lshl_b32 s22, s15, 7
	v_lshl_or_b32 v3, v80, 9, v3
	s_cbranch_execz .LBB248_4
	s_branch .LBB248_5
.LBB248_3:
                                        ; implicit-def: $vgpr5
                                        ; implicit-def: $vgpr6
                                        ; implicit-def: $sgpr22
	v_lshl_or_b32 v3, v80, 9, v3
.LBB248_4:
	v_or_b32_e32 v5, 0x100, v3
	s_movk_i32 s22, 0x4000
	v_mov_b32_e32 v6, v3
.LBB248_5:
	s_mul_i32 s2, s34, s14
	s_ashr_i32 s52, s48, 31
	s_mul_hi_i32 s3, s34, s14
	s_add_u32 s2, s2, s48
	s_addc_u32 s3, s3, s52
	s_lshl_b64 s[2:3], s[2:3], 8
	s_add_u32 s20, s4, s2
	s_addc_u32 s2, s5, s3
	s_and_b32 s21, s2, 0xffff
	s_mov_b32 s23, 0x20000
	s_movk_i32 s53, 0x80
	buffer_load_dwordx4 v[8:11], v6, s[20:23], 0 offen
	buffer_load_dwordx4 v[12:15], v6, s[20:23], s53 offen
	;; [unrolled: 1-line block ×4, first 2 shown]
	v_and_b32_e32 v5, 6, v0
	v_lshlrev_b32_e32 v6, 7, v78
	v_xor_b32_e32 v28, v80, v5
	v_and_b32_e32 v7, 1, v0
	v_lshl_or_b32 v31, v72, 3, v6
	v_lshlrev_b32_e32 v28, 2, v28
	v_lshlrev_b32_e32 v24, 2, v72
	v_or_b32_e32 v86, 0x4000, v31
	v_or_b32_e32 v87, 0x6000, v31
	v_xor_b32_e32 v31, 0x440, v28
	v_cmp_eq_u32_e32 vcc, 0, v7
	v_or_b32_e32 v26, 16, v72
	v_or_b32_e32 v27, 32, v72
	v_xor_b32_e32 v29, v78, v24
	v_xor_b32_e32 v30, v79, v24
	v_cndmask_b32_e32 v7, v31, v28, vcc
	s_add_i32 s2, s41, s40
	s_mov_b32 s54, 0x1000504
	v_lshl_or_b32 v32, v26, 3, v6
	v_lshlrev_b32_e32 v26, 8, v26
	v_lshl_or_b32 v33, v27, 3, v6
	v_lshlrev_b32_e32 v29, 1, v29
	v_lshlrev_b32_e32 v30, 1, v30
	v_lshl_or_b32 v5, v5, 10, v7
	s_add_i32 s17, s2, s42
	s_mul_i32 s2, s33, s19
	s_mul_hi_u32 s3, s33, s18
	s_mov_b32 s55, 0x3020706
	v_lshlrev_b32_e32 v25, 8, v72
	v_or_b32_e32 v90, 0x4000, v33
	v_or_b32_e32 v91, 0x6000, v33
	;; [unrolled: 1-line block ×4, first 2 shown]
	v_xor_b32_e32 v7, 8, v5
	v_xor_b32_e32 v26, 24, v5
	v_xor_b32_e32 v31, 40, v5
	v_xor_b32_e32 v33, 56, v5
	s_add_i32 s2, s3, s2
	s_mul_i32 s3, s51, s18
	v_or_b32_e32 v88, 0x4000, v32
	v_or_b32_e32 v89, 0x6000, v32
	;; [unrolled: 1-line block ×4, first 2 shown]
	v_xor_b32_e32 v25, 16, v5
	v_xor_b32_e32 v28, 32, v5
	;; [unrolled: 1-line block ×3, first 2 shown]
	v_add_u32_e32 v7, 0x80, v7
	v_add_u32_e32 v26, 0x80, v26
	;; [unrolled: 1-line block ×4, first 2 shown]
	s_add_i32 s3, s2, s3
	s_lshl_b64 s[20:21], s[16:17], 2
	s_mul_i32 s2, s33, s18
	s_add_u32 s17, s10, s20
	s_addc_u32 s20, s11, s21
	s_lshl_b64 s[2:3], s[2:3], 2
	s_add_u32 s2, s17, s2
	s_movk_i32 s17, 0xf8
	s_addc_u32 s3, s20, s3
	s_ashr_i32 s31, s30, 31
	s_lshl_b32 s26, s15, 7
	s_lshl_b64 s[20:21], s[30:31], 8
	s_add_u32 s20, s36, s20
	v_mov_b32_e32 v67, 0
	s_addc_u32 s21, s37, s21
	v_lshlrev_b32_e32 v66, 4, v72
	v_lshlrev_b32_e32 v27, 8, v27
	s_mov_b32 s56, 0
	s_movk_i32 s22, 0x4000
	v_or_b32_e32 v96, v27, v29
	v_or_b32_e32 v97, v27, v30
	v_add_u32_e32 v126, v1, v2
	s_movk_i32 s31, 0x2000
	s_movk_i32 s57, 0x3000
	v_mov_b32_e32 v131, 0x3fb8aa3b
	v_mov_b32_e32 v58, v67
	;; [unrolled: 1-line block ×4, first 2 shown]
	s_waitcnt vmcnt(1)
	v_perm_b32 v34, v8, v16, s54
	s_waitcnt vmcnt(0)
	v_perm_b32 v35, v12, v20, s54
	v_perm_b32 v8, v8, v16, s55
	;; [unrolled: 1-line block ×15, first 2 shown]
	ds_write2st64_b32 v5, v34, v35 offset0:128 offset1:160
	ds_write2st64_b32 v7, v8, v12 offset0:128 offset1:160
	;; [unrolled: 1-line block ×8, first 2 shown]
	v_or_b32_e32 v5, 48, v72
	v_lshl_or_b32 v7, v5, 3, v6
	v_lshlrev_b32_e32 v5, 8, v5
	v_or_b32_e32 v100, v5, v29
	v_or_b32_e32 v101, v5, v30
	;; [unrolled: 1-line block ×3, first 2 shown]
	v_lshlrev_b32_e32 v5, 3, v5
	v_lshrrev_b32_e32 v9, 5, v73
	v_and_or_b32 v9, v5, s17, v9
	v_lshlrev_b32_e32 v9, 4, v9
	v_or_b32_e32 v98, 0x4000, v7
	v_or_b32_e32 v99, 0x6000, v7
	v_lshlrev_b32_e32 v7, 11, v74
	v_and_b32_e32 v5, 0x78, v5
	v_or_b32_e32 v14, 32, v9
	v_and_b32_e32 v8, 0x1000, v7
	v_xor_b32_e32 v10, v9, v5
	v_lshrrev_b32_e32 v11, 1, v0
	v_xor_b32_e32 v14, v14, v5
	v_or_b32_e32 v10, v10, v8
	v_and_b32_e32 v12, 8, v11
	v_or_b32_e32 v14, v14, v8
	v_xor_b32_e32 v102, v10, v12
	v_lshlrev_b32_e32 v10, 8, v75
	v_xor_b32_e32 v104, v14, v12
	v_or_b32_e32 v14, 64, v9
	v_or_b32_e32 v9, 0x60, v9
	;; [unrolled: 1-line block ×3, first 2 shown]
	v_xor_b32_e32 v14, v14, v5
	v_xor_b32_e32 v5, v9, v5
	v_lshlrev_b32_e32 v13, 1, v13
	v_or_b32_e32 v14, v14, v8
	v_or_b32_e32 v5, v5, v8
	;; [unrolled: 1-line block ×6, first 2 shown]
	v_xor_b32_e32 v108, v14, v12
	v_xor_b32_e32 v109, v5, v12
	v_or_b32_e32 v110, 0x6000, v13
	v_or_b32_e32 v111, 0x6080, v13
	;; [unrolled: 1-line block ×4, first 2 shown]
	v_lshlrev_b32_e32 v12, 1, v4
	v_add_lshl_u32 v13, v4, s15, 1
	s_movk_i32 s17, 0x100
	v_lshlrev_b32_e32 v4, 1, v72
	v_lshrrev_b32_e32 v15, 4, v0
	v_or_b32_e32 v5, 1, v4
	v_mov_b32_e32 v19, 0xa000
	v_mov_b32_e32 v20, 0x8000
	v_cmp_gt_u32_e32 vcc, s17, v0
	v_xor_b32_e32 v16, v15, v4
	v_xor_b32_e32 v17, v5, v15
	v_lshl_add_u64 v[4:5], s[20:21], 0, v[66:67]
	v_lshlrev_b32_e32 v66, 8, v15
	v_cndmask_b32_e32 v19, v19, v20, vcc
	v_lshlrev_b32_e32 v20, 3, v74
	v_and_b32_e32 v11, 24, v11
	v_lshl_or_b32 v114, v16, 3, v66
	v_and_b32_e32 v16, 8, v0
	v_xor_b32_e32 v21, v20, v11
	v_or_b32_e32 v22, 0x440, v21
	v_cmp_eq_u32_e32 vcc, 0, v16
	v_and_b32_e32 v15, 7, v0
	v_lshl_or_b32 v115, v17, 3, v66
	v_cndmask_b32_e32 v16, v22, v21, vcc
	v_lshlrev_b32_e32 v17, 3, v15
	v_lshlrev_b32_e32 v15, 7, v15
	v_or_b32_e32 v16, v16, v7
	v_lshlrev_b32_e32 v18, 2, v0
	v_xad_u32 v116, v16, v17, v15
	v_or_b32_e32 v16, 32, v11
	v_and_or_b32 v10, v18, 60, v10
	v_xor_b32_e32 v16, v20, v16
	v_lshlrev_b32_e32 v10, 1, v10
	v_or_b32_e32 v18, 0x440, v16
	v_or_b32_e32 v117, 0x6000, v10
	v_cndmask_b32_e32 v16, v18, v16, vcc
	v_or_b32_e32 v119, 0x6080, v10
	v_or_b32_e32 v120, 0x6100, v10
	;; [unrolled: 1-line block ×5, first 2 shown]
	v_xor_b32_e32 v10, v20, v10
	v_xad_u32 v118, v16, v17, v15
	v_xor_b32_e32 v16, 0x440, v10
	v_cndmask_b32_e32 v10, v16, v10, vcc
	v_or_b32_e32 v10, v10, v7
	v_xad_u32 v122, v10, v17, v15
	v_or_b32_e32 v10, 0x60, v11
	v_xor_b32_e32 v10, v20, v10
	v_xor_b32_e32 v11, 0x440, v10
	v_cndmask_b32_e32 v10, v11, v10, vcc
	v_or_b32_e32 v8, s30, v72
	v_or_b32_e32 v7, v10, v7
	v_ashrrev_i32_e32 v9, 31, v8
	v_or_b32_e32 v14, 0x100, v3
	v_xad_u32 v123, v7, v17, v15
	v_cndmask_b32_e64 v124, v12, v3, s[0:1]
	v_cndmask_b32_e64 v125, v13, v14, s[0:1]
	v_lshl_add_u64 v[68:69], v[8:9], 1, s[8:9]
	v_lshl_add_u64 v[70:71], v[4:5], 0, v[66:67]
	s_mov_b32 s17, 0x7060302
	v_lshlrev_b32_e32 v66, 1, v6
	v_add_u32_e32 v127, v19, v116
	v_add_u32_e32 v128, v19, v118
	;; [unrolled: 1-line block ×4, first 2 shown]
	v_mov_b32_e32 v61, v67
	v_mov_b32_e32 v62, v67
	;; [unrolled: 1-line block ×29, first 2 shown]
	s_waitcnt lgkmcnt(0)
	s_barrier
.LBB248_6:                              ; =>This Inner Loop Header: Depth=1
	s_add_i32 s58, s56, 1
	s_cmp_lt_i32 s58, s43
	s_mov_b64 s[24:25], 0
	s_cselect_b64 s[38:39], -1, 0
	s_cmp_ge_i32 s58, s43
	s_mov_b64 s[20:21], 0
	s_cbranch_scc1 .LBB248_8
; %bb.7:                                ;   in Loop: Header=BB248_6 Depth=1
	s_add_i32 s0, s50, 64
	s_ashr_i32 s1, s0, 31
	s_add_u32 s0, s47, s0
	s_addc_u32 s1, s46, s1
	s_lshl_b64 s[0:1], s[0:1], 8
	s_add_u32 s20, s6, s0
	s_addc_u32 s21, s7, s1
.LBB248_8:                              ;   in Loop: Header=BB248_6 Depth=1
	v_cndmask_b32_e64 v2, 0, 1, s[38:39]
	v_cmp_ne_u32_e64 s[0:1], 1, v2
	s_andn2_b64 vcc, exec, s[38:39]
	s_cbranch_vccnz .LBB248_10
; %bb.9:                                ;   in Loop: Header=BB248_6 Depth=1
	s_add_i32 s24, s50, 64
	s_mul_hi_i32 s25, s24, s14
	s_mul_i32 s24, s24, s14
	s_add_u32 s24, s24, s48
	s_addc_u32 s25, s25, s52
	s_lshl_b64 s[24:25], s[24:25], 8
	s_add_u32 s24, s4, s24
	s_addc_u32 s25, s5, s25
.LBB248_10:                             ;   in Loop: Header=BB248_6 Depth=1
	v_perm_b32 v3, v65, v64, s17
	v_perm_b32 v2, v63, v62, s17
	v_perm_b32 v5, v61, v60, s17
	v_perm_b32 v4, v59, v58, s17
	ds_write_b64 v86, v[2:3]
	ds_write_b64 v87, v[4:5]
	ds_write_b64 v92, v[2:3]
	ds_write_b64 v93, v[4:5]
	v_perm_b32 v3, v57, v56, s17
	v_perm_b32 v2, v55, v54, s17
	v_perm_b32 v5, v53, v52, s17
	v_perm_b32 v4, v51, v50, s17
	ds_write_b64 v88, v[2:3]
	ds_write_b64 v89, v[4:5]
	ds_write_b64 v94, v[2:3]
	ds_write_b64 v95, v[4:5]
	;; [unrolled: 8-line block ×4, first 2 shown]
	s_waitcnt lgkmcnt(0)
	s_barrier
	ds_read_b64 v[6:7], v102 offset:49152
	ds_read2_b64 v[2:5], v103 offset1:16
	ds_read_b64 v[18:19], v105 offset:6144
	ds_read_b64 v[20:21], v103 offset:6144
	s_waitcnt lgkmcnt(2)
	v_mfma_f32_16x16x16_bf16 a[0:3], v[6:7], v[2:3], 0
	ds_read_b64 v[22:23], v104 offset:49152
	ds_read2st64_b64 v[10:13], v106 offset0:4 offset1:8
	ds_read2st64_b64 v[14:17], v107 offset0:4 offset1:8
	v_mfma_f32_16x16x16_bf16 a[4:7], v[6:7], v[4:5], 0
	ds_read2_b64 v[2:5], v103 offset0:32 offset1:48
	s_add_i32 s27, s50, 63
	s_ashr_i32 s38, s27, 31
	s_waitcnt lgkmcnt(0)
	v_mfma_f32_16x16x16_bf16 a[8:11], v[6:7], v[2:3], 0
	s_mul_i32 s39, s27, s29
	s_mul_hi_u32 s59, s27, s28
	s_add_i32 s39, s59, s39
	v_mfma_f32_16x16x16_bf16 a[12:15], v[6:7], v[4:5], 0
	ds_read2st64_b64 v[2:5], v103 offset0:4 offset1:8
	ds_read2st64_b64 v[6:9], v105 offset0:4 offset1:8
	s_mul_i32 s38, s38, s28
	s_waitcnt lgkmcnt(1)
	v_mfma_f32_16x16x16_bf16 a[0:3], v[22:23], v[2:3], a[0:3]
	s_add_i32 s39, s39, s38
	s_mul_i32 s38, s27, s28
	s_lshl_b64 s[38:39], s[38:39], 2
	s_waitcnt lgkmcnt(0)
	v_mfma_f32_16x16x16_bf16 a[4:7], v[22:23], v[6:7], a[4:7]
	s_add_u32 s38, s2, s38
	s_addc_u32 s39, s3, s39
	s_and_b64 vcc, exec, s[0:1]
	v_mfma_f32_16x16x16_bf16 a[8:11], v[22:23], v[10:11], a[8:11]
	ds_read_b64 v[2:3], v108 offset:49152
	ds_read_b64 v[6:7], v109 offset:49152
	;; [unrolled: 1-line block ×3, first 2 shown]
	v_mov_b32_e32 v134, 0
	v_mov_b32_e32 v133, 0
	v_mfma_f32_16x16x16_bf16 a[12:15], v[22:23], v[14:15], a[12:15]
	v_mov_b32_e32 v132, 0
	v_mov_b32_e32 v14, 0
	;; [unrolled: 1-line block ×3, first 2 shown]
	s_waitcnt lgkmcnt(2)
	v_mfma_f32_16x16x16_bf16 a[0:3], v[2:3], v[4:5], a[0:3]
	v_mov_b32_e32 v4, 0
	v_mov_b32_e32 v5, 0
	v_mfma_f32_16x16x16_bf16 a[16:19], v[2:3], v[8:9], a[4:7]
	v_mov_b32_e32 v8, 0
	v_mov_b32_e32 v9, 0
	;; [unrolled: 3-line block ×3, first 2 shown]
	v_mfma_f32_16x16x16_bf16 a[24:27], v[2:3], v[16:17], a[12:15]
	ds_read_b64 v[2:3], v106 offset:6144
	v_mov_b32_e32 v16, 0
	v_mov_b32_e32 v17, 0
	s_waitcnt lgkmcnt(2)
	v_mfma_f32_16x16x16_bf16 a[4:7], v[6:7], v[20:21], a[0:3]
	v_mfma_f32_16x16x16_bf16 a[8:11], v[6:7], v[18:19], a[16:19]
	s_waitcnt lgkmcnt(0)
	v_mfma_f32_16x16x16_bf16 a[12:15], v[6:7], v[2:3], a[20:23]
	v_mov_b32_e32 v2, 0
	v_mov_b32_e32 v3, 0
	v_mfma_f32_16x16x16_bf16 a[0:3], v[6:7], v[10:11], a[24:27]
	v_mov_b32_e32 v6, 0
	v_mov_b32_e32 v7, 0
	;; [unrolled: 1-line block ×4, first 2 shown]
	s_cbranch_vccnz .LBB248_12
; %bb.11:                               ;   in Loop: Header=BB248_6 Depth=1
	s_and_b32 s21, s21, 0xffff
	buffer_load_dwordx4 v[14:17], v82, s[20:23], 0 offen
	buffer_load_dwordx4 v[10:13], v82, s[20:23], s53 offen
	;; [unrolled: 1-line block ×4, first 2 shown]
	v_mov_b32_e32 v133, v84
	v_mov_b32_e32 v132, v85
.LBB248_12:                             ;   in Loop: Header=BB248_6 Depth=1
	ds_read_b64 v[136:137], v102 offset:57344
	ds_read2_b64 v[18:21], v110 offset1:16
	ds_read_b64 v[138:139], v104 offset:57344
	ds_read_b64 v[140:141], v108 offset:57344
	;; [unrolled: 1-line block ×3, first 2 shown]
	v_add_u32_e32 v135, s50, v126
	s_waitcnt lgkmcnt(3)
	v_mfma_f32_16x16x16_bf16 a[4:7], v[136:137], v[18:19], a[4:7]
	v_mfma_f32_16x16x16_bf16 a[8:11], v[136:137], v[20:21], a[8:11]
	ds_read2_b64 v[18:21], v110 offset0:32 offset1:48
	ds_read2st64_b64 v[22:25], v110 offset0:4 offset1:8
	ds_read2st64_b64 v[26:29], v111 offset0:4 offset1:8
	;; [unrolled: 1-line block ×3, first 2 shown]
	s_waitcnt lgkmcnt(3)
	v_mfma_f32_16x16x16_bf16 a[12:15], v[136:137], v[18:19], a[12:15]
	v_ashrrev_i32_e32 v18, 31, v135
	v_mfma_f32_16x16x16_bf16 a[0:3], v[136:137], v[20:21], a[0:3]
	v_mul_lo_u32 v20, v18, s28
	v_mul_lo_u32 v21, v135, s29
	v_mad_u64_u32 v[18:19], s[20:21], v135, s28, 0
	v_add3_u32 v19, v19, v21, v20
	v_add_u32_e32 v20, 1, v135
	v_ashrrev_i32_e32 v21, 31, v20
	s_waitcnt lgkmcnt(2)
	v_mfma_f32_16x16x16_bf16 a[4:7], v[138:139], v[22:23], a[4:7]
	v_mul_lo_u32 v22, v21, s28
	v_mul_lo_u32 v23, v20, s29
	v_mad_u64_u32 v[20:21], s[20:21], v20, s28, 0
	v_add3_u32 v21, v21, v23, v22
	v_add_u32_e32 v22, 2, v135
	v_ashrrev_i32_e32 v23, 31, v22
	s_waitcnt lgkmcnt(1)
	v_mfma_f32_16x16x16_bf16 a[8:11], v[138:139], v[26:27], a[8:11]
	v_mul_lo_u32 v26, v23, s28
	v_mul_lo_u32 v27, v22, s29
	v_mad_u64_u32 v[22:23], s[20:21], v22, s28, 0
	v_add3_u32 v23, v23, v27, v26
	v_add_u32_e32 v26, 3, v135
	v_ashrrev_i32_e32 v27, 31, v26
	v_mul_lo_u32 v135, v27, s28
	v_mul_lo_u32 v136, v26, s29
	v_mad_u64_u32 v[26:27], s[20:21], v26, s28, 0
	s_ashr_i32 s21, s50, 31
	s_add_u32 s20, s47, s50
	v_lshl_add_u64 v[18:19], v[18:19], 2, s[2:3]
	v_add3_u32 v27, v27, v136, v135
	s_addc_u32 s21, s46, s21
	v_lshl_add_u64 v[20:21], v[20:21], 2, s[2:3]
	global_load_dword v137, v[18:19], off
	v_lshl_add_u64 v[18:19], v[26:27], 2, s[2:3]
	s_lshl_b64 s[20:21], s[20:21], 8
	v_lshl_add_u64 v[22:23], v[22:23], 2, s[2:3]
	global_load_dword v135, v[20:21], off
	global_load_dword v136, v[22:23], off
	;; [unrolled: 1-line block ×3, first 2 shown]
	v_lshl_add_u64 v[18:19], v[68:69], 0, s[20:21]
	v_lshl_add_u64 v[22:23], v[18:19], 0, v[66:67]
	global_load_ushort v145, v[22:23], off offset:256
	global_load_ushort v146, v[22:23], off
	ds_read2st64_b64 v[18:21], v113 offset0:4 offset1:8
	global_load_ushort v147, v[22:23], off offset:768
	global_load_ushort v148, v[22:23], off offset:512
	s_waitcnt lgkmcnt(1)
	v_mfma_f32_16x16x16_bf16 a[12:15], v[138:139], v[30:31], a[12:15]
	s_and_b64 vcc, exec, s[0:1]
	s_waitcnt vmcnt(3)
	v_lshlrev_b32_e32 v31, 16, v145
	s_waitcnt lgkmcnt(0)
	v_mfma_f32_16x16x16_bf16 a[0:3], v[138:139], v[18:19], a[0:3]
	global_load_ushort v138, v[22:23], off offset:288
	global_load_ushort v139, v[22:23], off offset:32
	;; [unrolled: 1-line block ×8, first 2 shown]
	v_mfma_f32_16x16x16_bf16 a[4:7], v[140:141], v[24:25], a[4:7]
	ds_read_b64 v[18:19], v110 offset:6144
	s_waitcnt vmcnt(10)
	v_lshlrev_b32_e32 v30, 16, v146
	v_mfma_f32_16x16x16_bf16 a[8:11], v[140:141], v[28:29], a[8:11]
	v_mfma_f32_16x16x16_bf16 a[12:15], v[140:141], v[32:33], a[12:15]
	;; [unrolled: 1-line block ×3, first 2 shown]
	global_load_ushort v140, v[22:23], off offset:352
	global_load_ushort v141, v[22:23], off offset:96
	ds_read_b64 v[20:21], v111 offset:6144
	ds_read_b64 v[24:25], v112 offset:6144
	;; [unrolled: 1-line block ×3, first 2 shown]
	global_load_ushort v155, v[22:23], off offset:864
	global_load_ushort v156, v[22:23], off offset:608
	s_load_dword s20, s[38:39], 0x0
	s_waitcnt lgkmcnt(0)
	v_mfma_f32_16x16x16_bf16 a[4:7], v[142:143], v[18:19], a[4:7]
	v_sub_f32_e32 v28, s20, v136
	v_mfma_f32_16x16x16_bf16 a[0:3], v[142:143], v[26:27], a[0:3]
	v_sub_f32_e32 v26, s20, v137
	v_sub_f32_e32 v27, s20, v135
	;; [unrolled: 1-line block ×3, first 2 shown]
	v_mul_f32_e32 v26, 0x3fb8aa3b, v26
	v_mul_f32_e32 v27, 0x3fb8aa3b, v27
	;; [unrolled: 1-line block ×4, first 2 shown]
	v_mfma_f32_16x16x16_bf16 a[8:11], v[142:143], v[20:21], a[8:11]
	v_exp_f32_e32 v26, v26
	v_exp_f32_e32 v27, v27
	;; [unrolled: 1-line block ×4, first 2 shown]
	v_accvgpr_read_b32 v33, a5
	v_accvgpr_read_b32 v32, a4
	;; [unrolled: 1-line block ×4, first 2 shown]
	v_pk_add_f32 v[30:31], v[30:31], v[32:33] neg_lo:[0,1] neg_hi:[0,1]
	s_waitcnt vmcnt(13)
	v_lshlrev_b32_e32 v33, 16, v147
	s_waitcnt vmcnt(12)
	v_lshlrev_b32_e32 v32, 16, v148
	v_pk_add_f32 v[18:19], v[32:33], v[18:19] neg_lo:[0,1] neg_hi:[0,1]
	v_pk_mul_f32 v[30:31], v[26:27], v[30:31]
	v_pk_mul_f32 v[18:19], v[28:29], v[18:19]
	v_accvgpr_read_b32 v33, a9
	v_perm_b32 v19, v19, v18, s17
	v_perm_b32 v18, v31, v30, s17
	v_accvgpr_read_b32 v32, a8
	v_accvgpr_read_b32 v21, a11
	v_mfma_f32_16x16x16_bf16 a[12:15], v[142:143], v[24:25], a[12:15]
	v_accvgpr_read_b32 v20, a10
	v_accvgpr_read_b32 v25, a3
	v_accvgpr_read_b32 v24, a2
	v_mov_b32_e32 v135, 0
	s_waitcnt vmcnt(11)
	v_lshlrev_b32_e32 v31, 16, v138
	s_waitcnt vmcnt(10)
	v_lshlrev_b32_e32 v30, 16, v139
	v_pk_add_f32 v[30:31], v[30:31], v[32:33] neg_lo:[0,1] neg_hi:[0,1]
	s_waitcnt vmcnt(9)
	v_lshlrev_b32_e32 v33, 16, v149
	s_waitcnt vmcnt(8)
	v_lshlrev_b32_e32 v32, 16, v150
	v_pk_add_f32 v[20:21], v[32:33], v[20:21] neg_lo:[0,1] neg_hi:[0,1]
	v_pk_mul_f32 v[30:31], v[26:27], v[30:31]
	v_pk_mul_f32 v[20:21], v[28:29], v[20:21]
	v_accvgpr_read_b32 v23, a15
	v_perm_b32 v21, v21, v20, s17
	v_perm_b32 v20, v31, v30, s17
	ds_write2_b64 v87, v[18:19], v[20:21] offset1:16
	v_accvgpr_read_b32 v21, a13
	s_waitcnt vmcnt(7)
	v_lshlrev_b32_e32 v19, 16, v151
	s_waitcnt vmcnt(6)
	v_lshlrev_b32_e32 v18, 16, v152
	v_accvgpr_read_b32 v20, a12
	v_accvgpr_read_b32 v22, a14
	v_pk_add_f32 v[18:19], v[18:19], v[20:21] neg_lo:[0,1] neg_hi:[0,1]
	s_waitcnt vmcnt(5)
	v_lshlrev_b32_e32 v21, 16, v153
	s_waitcnt vmcnt(4)
	v_lshlrev_b32_e32 v20, 16, v154
	v_pk_add_f32 v[20:21], v[20:21], v[22:23] neg_lo:[0,1] neg_hi:[0,1]
	v_pk_mul_f32 v[18:19], v[26:27], v[18:19]
	v_pk_mul_f32 v[20:21], v[28:29], v[20:21]
	v_accvgpr_read_b32 v23, a1
	v_perm_b32 v21, v21, v20, s17
	v_perm_b32 v20, v19, v18, s17
	s_waitcnt vmcnt(3)
	v_lshlrev_b32_e32 v19, 16, v140
	s_waitcnt vmcnt(2)
	v_lshlrev_b32_e32 v18, 16, v141
	v_accvgpr_read_b32 v22, a0
	v_pk_add_f32 v[18:19], v[18:19], v[22:23] neg_lo:[0,1] neg_hi:[0,1]
	s_waitcnt vmcnt(1)
	v_lshlrev_b32_e32 v23, 16, v155
	s_waitcnt vmcnt(0)
	v_lshlrev_b32_e32 v22, 16, v156
	v_pk_add_f32 v[22:23], v[22:23], v[24:25] neg_lo:[0,1] neg_hi:[0,1]
	v_pk_mul_f32 v[18:19], v[26:27], v[18:19]
	v_pk_mul_f32 v[22:23], v[28:29], v[22:23]
	v_mov_b32_e32 v24, 0
	v_perm_b32 v23, v23, v22, s17
	v_perm_b32 v22, v19, v18, s17
	ds_write2_b64 v87, v[20:21], v[22:23] offset0:32 offset1:48
	v_mov_b32_e32 v18, 0
	v_mov_b32_e32 v19, 0
	;; [unrolled: 1-line block ×15, first 2 shown]
	s_cbranch_vccnz .LBB248_14
; %bb.13:                               ;   in Loop: Header=BB248_6 Depth=1
	s_and_b32 s25, s25, 0xffff
	s_mov_b32 s27, s23
	buffer_load_dwordx4 v[30:33], v124, s[24:27], 0 offen
	buffer_load_dwordx4 v[22:25], v124, s[24:27], s53 offen
	;; [unrolled: 1-line block ×4, first 2 shown]
	v_mov_b32_e32 v134, v81
	v_mov_b32_e32 v135, v80
.LBB248_14:                             ;   in Loop: Header=BB248_6 Depth=1
	s_waitcnt lgkmcnt(0)
	s_barrier
	ds_read_b64 v[144:145], v127
	ds_read2_b64 v[136:139], v117 offset1:16
	ds_read_b64 v[160:161], v128
	ds_read_b64 v[162:163], v129
	;; [unrolled: 1-line block ×3, first 2 shown]
	ds_read2_b64 v[140:143], v117 offset0:32 offset1:48
	s_waitcnt lgkmcnt(4)
	v_mfma_f32_16x16x16_bf16 a[0:3], v[144:145], v[136:137], 0
	ds_read2st64_b64 v[148:151], v119 offset0:4 offset1:8
	ds_read2st64_b64 v[152:155], v120 offset0:4 offset1:8
	;; [unrolled: 1-line block ×3, first 2 shown]
	v_mfma_f32_16x16x16_bf16 a[4:7], v[144:145], v[138:139], 0
	s_add_i32 s21, s44, s56
	s_mul_hi_i32 s25, s21, s49
	s_mul_i32 s21, s21, s49
	s_waitcnt lgkmcnt(3)
	v_mfma_f32_16x16x16_bf16 a[8:11], v[144:145], v[140:141], 0
	s_add_u32 s24, s21, s33
	s_addc_u32 s25, s25, s51
	s_lshl_b64 s[24:25], s[24:25], 15
	v_mfma_f32_16x16x16_bf16 a[12:15], v[144:145], v[142:143], 0
	ds_read2st64_b64 v[144:147], v117 offset0:4 offset1:8
	s_waitcnt lgkmcnt(0)
	v_mfma_f32_16x16x16_bf16 a[0:3], v[160:161], v[144:145], a[0:3]
	v_mfma_f32_16x16x16_bf16 a[4:7], v[160:161], v[148:149], a[4:7]
	;; [unrolled: 1-line block ×8, first 2 shown]
	ds_read_b64 v[160:161], v117 offset:6144
	ds_read_b64 v[162:163], v118 offset:40960
	;; [unrolled: 1-line block ×8, first 2 shown]
	s_waitcnt lgkmcnt(5)
	v_mfma_f32_16x16x16_bf16 a[16:19], v[166:167], v[136:137], 0
	v_mfma_f32_16x16x16_bf16 a[20:23], v[166:167], v[138:139], 0
	ds_read2st64_b64 v[136:139], v114 offset1:8
	v_mfma_f32_16x16x16_bf16 a[24:27], v[166:167], v[140:141], 0
	v_mfma_f32_16x16x16_bf16 a[28:31], v[166:167], v[142:143], 0
	ds_read2st64_b64 v[140:143], v115 offset1:8
	v_mfma_f32_16x16x16_bf16 a[16:19], v[162:163], v[144:145], a[16:19]
	s_waitcnt lgkmcnt(1)
	v_mov_b32_e32 v144, v136
	v_mov_b32_e32 v145, v137
	v_mfma_f32_16x16x16_bf16 a[20:23], v[162:163], v[148:149], a[20:23]
	v_lshl_add_u64 v[148:149], v[70:71], 0, s[24:25]
	v_mfma_f32_16x16x16_bf16 a[24:27], v[162:163], v[152:153], a[24:27]
	v_mfma_f32_16x16x16_bf16 a[28:31], v[162:163], v[156:157], a[28:31]
	;; [unrolled: 1-line block ×3, first 2 shown]
	s_waitcnt lgkmcnt(0)
	v_mov_b32_e32 v146, v140
	v_mov_b32_e32 v147, v141
	;; [unrolled: 1-line block ×3, first 2 shown]
	v_mfma_f32_16x16x16_bf16 a[32:35], v[174:175], v[150:151], a[20:23]
	v_mov_b32_e32 v141, v139
	ds_read2st64_b64 v[136:139], v114 offset0:16 offset1:24
	global_store_dwordx4 v[148:149], v[144:147], off
	v_mfma_f32_16x16x16_bf16 a[24:27], v[174:175], v[154:155], a[24:27]
	ds_read2st64_b64 v[144:147], v115 offset0:16 offset1:24
	v_add_co_u32_e32 v150, vcc, s31, v148
	v_mfma_f32_16x16x16_bf16 a[28:31], v[174:175], v[158:159], a[28:31]
	s_nop 0
	v_addc_co_u32_e32 v151, vcc, 0, v149, vcc
	global_store_dwordx4 v[150:151], v[140:143], off offset:-4096
	v_mfma_f32_16x16x16_bf16 a[0:3], v[164:165], v[160:161], a[0:3]
	s_waitcnt lgkmcnt(1)
	v_mov_b32_e32 v140, v136
	v_add_co_u32_e32 v136, vcc, s57, v148
	v_mfma_f32_16x16x16_bf16 a[4:7], v[164:165], v[168:169], a[4:7]
	v_mov_b32_e32 v141, v137
	v_addc_co_u32_e32 v137, vcc, 0, v149, vcc
	v_mfma_f32_16x16x16_bf16 a[8:11], v[164:165], v[170:171], a[8:11]
	s_waitcnt lgkmcnt(0)
	v_mov_b32_e32 v142, v144
	v_mov_b32_e32 v143, v145
	v_mov_b32_e32 v144, v138
	v_mfma_f32_16x16x16_bf16 a[12:15], v[164:165], v[172:173], a[12:15]
	v_mov_b32_e32 v145, v139
	s_and_b64 vcc, exec, s[0:1]
	global_store_dwordx4 v[150:151], v[140:143], off
	v_mfma_f32_16x16x16_bf16 a[20:23], v[176:177], v[160:161], a[16:19]
	global_store_dwordx4 v[136:137], v[144:147], off
	v_mfma_f32_16x16x16_bf16 a[16:19], v[176:177], v[168:169], a[32:35]
	v_mfma_f32_16x16x16_bf16 a[24:27], v[176:177], v[170:171], a[24:27]
	v_mfma_f32_16x16x16_bf16 a[28:31], v[176:177], v[172:173], a[28:31]
	s_cbranch_vccnz .LBB248_16
; %bb.15:                               ;   in Loop: Header=BB248_6 Depth=1
	v_lshrrev_b32_e32 v136, 3, v134
	v_and_b32_e32 v136, 6, v136
	v_xor_b32_e32 v135, v136, v135
	v_lshlrev_b32_e32 v135, 2, v135
	v_and_b32_e32 v134, 8, v134
	v_xor_b32_e32 v137, 0x440, v135
	v_cmp_eq_u32_e32 vcc, 0, v134
	s_barrier
	s_nop 0
	v_cndmask_b32_e32 v134, v137, v135, vcc
	v_lshl_or_b32 v134, v136, 10, v134
	s_waitcnt vmcnt(5)
	v_perm_b32 v135, v30, v26, s54
	s_waitcnt vmcnt(4)
	v_perm_b32 v136, v22, v18, s54
	ds_write2st64_b32 v134, v135, v136 offset0:128 offset1:160
	v_xor_b32_e32 v135, 8, v134
	v_perm_b32 v26, v30, v26, s55
	v_perm_b32 v18, v22, v18, s55
	v_add_u32_e32 v22, 0x80, v135
	ds_write2st64_b32 v22, v26, v18 offset0:128 offset1:160
	v_xor_b32_e32 v18, 16, v134
	v_perm_b32 v22, v31, v27, s54
	v_perm_b32 v26, v23, v19, s54
	ds_write2st64_b32 v18, v22, v26 offset0:129 offset1:161
	v_xor_b32_e32 v18, 24, v134
	v_perm_b32 v22, v31, v27, s55
	v_perm_b32 v19, v23, v19, s55
	v_add_u32_e32 v18, 0x80, v18
	ds_write2st64_b32 v18, v22, v19 offset0:129 offset1:161
	v_xor_b32_e32 v18, 32, v134
	v_perm_b32 v19, v32, v28, s54
	;; [unrolled: 9-line block ×3, first 2 shown]
	v_perm_b32 v20, v25, v21, s54
	ds_write2st64_b32 v18, v19, v20 offset0:131 offset1:163
	v_xor_b32_e32 v18, 56, v134
	v_perm_b32 v19, v33, v29, s55
	v_perm_b32 v20, v25, v21, s55
	v_add_u32_e32 v18, 0x80, v18
	ds_write2st64_b32 v18, v19, v20 offset0:131 offset1:163
	ds_write_b64 v133, v[14:15] offset:49152
	v_xor_b32_e32 v14, 8, v133
	ds_write_b64 v14, v[16:17] offset:49152
	ds_write_b64 v133, v[10:11] offset:57344
	ds_write_b64 v14, v[12:13] offset:57344
	ds_write_b64 v132, v[6:7] offset:49152
	v_xor_b32_e32 v6, 8, v132
	ds_write_b64 v6, v[8:9] offset:49152
	ds_write_b64 v132, v[2:3] offset:57344
	;; [unrolled: 1-line block ×3, first 2 shown]
.LBB248_16:                             ;   in Loop: Header=BB248_6 Depth=1
	s_waitcnt vmcnt(6)
	v_mul_f32_e32 v22, s20, v131
	v_exp_f32_e32 v132, v22
	v_accvgpr_read_b32 v5, a3
	v_accvgpr_read_b32 v9, a7
	;; [unrolled: 1-line block ×4, first 2 shown]
	s_waitcnt vmcnt(4)
	v_accvgpr_read_b32 v18, a20
	v_accvgpr_read_b32 v25, a19
	;; [unrolled: 1-line block ×28, first 2 shown]
	s_add_i32 s50, s50, 64
	v_pk_fma_f32 v[62:63], v[132:133], v[62:63], v[2:3] op_sel_hi:[0,1,1]
	v_pk_fma_f32 v[64:65], v[132:133], v[64:65], v[4:5] op_sel_hi:[0,1,1]
	;; [unrolled: 1-line block ×15, first 2 shown]
	s_cmp_eq_u32 s43, s58
	v_pk_fma_f32 v[38:39], v[132:133], v[38:39], v[32:33] op_sel_hi:[0,1,1]
	s_cbranch_scc1 .LBB248_18
; %bb.17:                               ;   in Loop: Header=BB248_6 Depth=1
	s_mov_b32 s56, s58
	s_branch .LBB248_6
.LBB248_18:
	s_lshl_b32 s0, s43, 6
	s_sub_i32 s45, s45, s0
	s_cmp_gt_i32 s45, 0
	s_cbranch_scc0 .LBB248_99
; %bb.19:
	s_add_i32 s34, s0, s34
	s_ashr_i32 s2, s34, 31
	s_cmpk_lg_i32 s15, 0x80
	s_cselect_b64 s[26:27], -1, 0
	s_and_b64 vcc, exec, s[26:27]
	s_cbranch_vccz .LBB248_21
; %bb.20:
	s_mul_i32 s1, s34, s14
	s_ashr_i32 s3, s48, 31
	s_mul_hi_i32 s0, s34, s14
	s_add_u32 s38, s1, s48
	s_addc_u32 s39, s0, s3
	s_cbranch_execz .LBB248_22
	s_branch .LBB248_23
.LBB248_21:
                                        ; implicit-def: $sgpr38_sgpr39
.LBB248_22:
	s_mul_i32 s1, s48, s12
	s_mul_hi_i32 s0, s48, s12
	s_add_u32 s38, s1, s34
	s_addc_u32 s39, s0, s2
.LBB248_23:
	s_add_i32 s3, s43, s44
	s_ashr_i32 s12, s33, 31
	s_add_u32 s0, s47, s34
	v_lshlrev_b32_e32 v6, 6, v78
	v_lshlrev_b32_e32 v24, 2, v72
	s_addc_u32 s1, s46, s2
	s_mov_b32 s2, 0x7060302
	v_or_b32_e32 v9, v6, v24
	v_xor_b32_e32 v7, v78, v24
	v_perm_b32 v3, v65, v64, s2
	v_perm_b32 v2, v63, v62, s2
	v_perm_b32 v5, v61, v60, s2
	v_perm_b32 v4, v59, v58, s2
	v_lshlrev_b32_e32 v9, 1, v9
	v_xor_b32_e32 v8, v79, v24
	ds_write2st64_b64 v9, v[2:3], v[4:5] offset0:32 offset1:48
	v_lshlrev_b32_e32 v7, 1, v7
	v_lshlrev_b32_e32 v9, 8, v72
	v_or_b32_e32 v10, v7, v9
	v_lshlrev_b32_e32 v8, 1, v8
	ds_write_b64 v10, v[2:3]
	v_or_b32_e32 v2, v8, v9
	v_or_b32_e32 v9, 16, v72
	v_lshlrev_b32_e32 v23, 2, v9
	v_or_b32_e32 v10, v6, v23
	ds_write_b64 v2, v[4:5]
	v_perm_b32 v3, v57, v56, s2
	v_perm_b32 v2, v55, v54, s2
	;; [unrolled: 1-line block ×4, first 2 shown]
	v_lshlrev_b32_e32 v10, 1, v10
	v_lshlrev_b32_e32 v9, 8, v9
	ds_write2st64_b64 v10, v[2:3], v[4:5] offset0:32 offset1:48
	v_or_b32_e32 v10, v7, v9
	ds_write_b64 v10, v[2:3]
	v_or_b32_e32 v2, v8, v9
	v_or_b32_e32 v9, 32, v72
	v_lshlrev_b32_e32 v22, 2, v9
	v_or_b32_e32 v10, v6, v22
	s_lshl_b64 s[24:25], s[0:1], 8
	ds_write_b64 v2, v[4:5]
	v_perm_b32 v3, v49, v48, s2
	v_perm_b32 v2, v47, v46, s2
	;; [unrolled: 1-line block ×4, first 2 shown]
	v_lshlrev_b32_e32 v10, 1, v10
	v_lshlrev_b32_e32 v9, 8, v9
	s_add_u32 s0, s6, s24
	ds_write2st64_b64 v10, v[2:3], v[4:5] offset0:32 offset1:48
	v_or_b32_e32 v10, v7, v9
	s_addc_u32 s1, s7, s25
	ds_write_b64 v10, v[2:3]
	v_or_b32_e32 v2, v8, v9
	v_or_b32_e32 v9, 48, v72
	s_mul_hi_i32 s6, s3, s13
	s_mul_i32 s3, s3, s13
	ds_write_b64 v2, v[4:5]
	v_perm_b32 v3, v35, v34, s2
	v_perm_b32 v2, v41, v40, s2
	;; [unrolled: 1-line block ×4, first 2 shown]
	v_lshlrev_b32_e32 v19, 2, v9
	s_add_u32 s2, s3, s33
	v_or_b32_e32 v6, v6, v19
	s_addc_u32 s3, s6, s12
	v_lshlrev_b32_e32 v6, 1, v6
	s_ashr_i32 s31, s30, 31
	s_lshl_b64 s[2:3], s[2:3], 15
	ds_write2st64_b64 v6, v[2:3], v[4:5] offset0:32 offset1:48
	v_lshlrev_b32_e32 v6, 8, v9
	s_add_u32 s6, s36, s2
	v_or_b32_e32 v7, v7, v6
	s_addc_u32 s7, s37, s3
	s_lshl_b64 s[2:3], s[30:31], 8
	ds_write_b64 v7, v[2:3]
	v_or_b32_e32 v2, v8, v6
	s_add_u32 s2, s6, s2
	v_lshlrev_b32_e32 v3, 1, v72
	ds_write_b64 v2, v[4:5]
	v_lshrrev_b32_e32 v2, 4, v0
	s_addc_u32 s3, s7, s3
	v_or_b32_e32 v4, 1, v3
	v_lshlrev_b32_e32 v10, 4, v72
	v_mov_b32_e32 v11, 0
	v_xor_b32_e32 v3, v2, v3
	v_xor_b32_e32 v6, v4, v2
	v_lshl_add_u64 v[12:13], s[2:3], 0, v[10:11]
	v_lshlrev_b32_e32 v10, 8, v2
	v_lshl_or_b32 v16, v3, 3, v10
	v_lshl_or_b32 v17, v6, 3, v10
	s_waitcnt lgkmcnt(0)
	s_barrier
	ds_read2st64_b64 v[2:5], v16 offset1:8
	ds_read2st64_b64 v[6:9], v17 offset1:8
	v_lshl_add_u64 v[14:15], v[12:13], 0, v[10:11]
	s_movk_i32 s2, 0x2000
	s_cmp_lg_u32 s45, 64
	s_waitcnt lgkmcnt(1)
	v_mov_b32_e32 v10, v2
	v_mov_b32_e32 v11, v3
	s_waitcnt lgkmcnt(0)
	v_mov_b32_e32 v12, v6
	v_mov_b32_e32 v13, v7
	global_store_dwordx4 v[14:15], v[10:13], off
	v_mov_b32_e32 v6, v4
	v_mov_b32_e32 v7, v5
	ds_read2st64_b64 v[2:5], v16 offset0:16 offset1:24
	ds_read2st64_b64 v[10:13], v17 offset0:16 offset1:24
	v_add_co_u32_e32 v16, vcc, s2, v14
	s_cselect_b64 s[6:7], -1, 0
	s_nop 0
	v_addc_co_u32_e32 v17, vcc, 0, v15, vcc
	global_store_dwordx4 v[16:17], v[6:9], off offset:-4096
	v_lshl_or_b32 v25, v74, 3, v77
	s_mov_b32 s20, 0
	s_waitcnt lgkmcnt(1)
	v_mov_b32_e32 v6, v2
	v_add_co_u32_e32 v2, vcc, 0x3000, v14
	v_mov_b32_e32 v7, v3
	s_nop 0
	v_addc_co_u32_e32 v3, vcc, 0, v15, vcc
	s_waitcnt lgkmcnt(0)
	v_mov_b32_e32 v8, v10
	v_mov_b32_e32 v9, v11
	;; [unrolled: 1-line block ×4, first 2 shown]
	v_or_b32_e32 v20, 32, v25
	v_and_b32_e32 v18, 56, v76
	s_and_b64 vcc, exec, s[6:7]
	global_store_dwordx4 v[16:17], v[6:9], off
	global_store_dwordx4 v[2:3], v[10:13], off
	s_cbranch_vccz .LBB248_29
; %bb.24:
	s_mov_b32 s21, s20
	s_mov_b32 s22, s20
	;; [unrolled: 1-line block ×3, first 2 shown]
	v_mov_b64_e32 v[6:7], s[20:21]
	v_mov_b64_e32 v[8:9], s[22:23]
	;; [unrolled: 1-line block ×3, first 2 shown]
	v_cmp_gt_i32_e32 vcc, s45, v25
	v_mov_b64_e32 v[4:5], v[8:9]
	s_and_saveexec_b64 s[2:3], vcc
	s_cbranch_execz .LBB248_26
; %bb.25:
	v_lshlrev_b32_e32 v2, 8, v25
	v_mov_b32_e32 v3, 0
	v_lshl_add_u64 v[4:5], s[0:1], 0, v[2:3]
	v_lshlrev_b32_e32 v2, 1, v18
	v_lshl_add_u64 v[10:11], v[4:5], 0, v[2:3]
	global_load_dwordx4 v[6:9], v[10:11], off
	global_load_dwordx4 v[2:5], v[10:11], off offset:128
.LBB248_26:
	s_or_b64 exec, exec, s[2:3]
	s_mov_b32 s21, s20
	s_mov_b32 s22, s20
	;; [unrolled: 1-line block ×3, first 2 shown]
	v_mov_b64_e32 v[14:15], s[20:21]
	v_mov_b64_e32 v[16:17], s[22:23]
	;; [unrolled: 1-line block ×3, first 2 shown]
	v_cmp_gt_i32_e32 vcc, s45, v20
	v_lshlrev_b32_e32 v21, 7, v20
	v_mov_b64_e32 v[12:13], v[16:17]
	s_and_saveexec_b64 s[2:3], vcc
	s_cbranch_execz .LBB248_28
; %bb.27:
	v_lshlrev_b32_e32 v10, 1, v21
	v_mov_b32_e32 v11, 0
	v_lshl_add_u64 v[12:13], s[0:1], 0, v[10:11]
	v_lshlrev_b32_e32 v10, 1, v18
	v_lshl_add_u64 v[26:27], v[12:13], 0, v[10:11]
	global_load_dwordx4 v[14:17], v[26:27], off
	global_load_dwordx4 v[10:13], v[26:27], off offset:128
.LBB248_28:
	s_or_b64 exec, exec, s[2:3]
	v_lshrrev_b32_e32 v26, 3, v18
	v_lshlrev_b32_e32 v27, 3, v25
	v_or_b32_e32 v26, v27, v26
	v_lshlrev_b32_e32 v26, 4, v26
	v_and_b32_e32 v27, 0x78, v27
	v_xor_b32_e32 v26, v26, v27
	s_branch .LBB248_31
.LBB248_29:
                                        ; implicit-def: $vgpr26
                                        ; implicit-def: $vgpr21
                                        ; implicit-def: $vgpr6_vgpr7_vgpr8_vgpr9
                                        ; implicit-def: $vgpr2_vgpr3_vgpr4_vgpr5
                                        ; implicit-def: $vgpr14_vgpr15_vgpr16_vgpr17
                                        ; implicit-def: $vgpr10_vgpr11_vgpr12_vgpr13
	s_cbranch_execz .LBB248_31
; %bb.30:
	s_waitcnt vmcnt(0)
	v_lshlrev_b32_e32 v2, 1, v18
	v_lshl_or_b32 v21, v25, 8, v2
	s_and_b32 s1, s1, 0xffff
	s_mov_b32 s3, 0x20000
	s_movk_i32 s2, 0x4000
	v_lshl_or_b32 v26, v20, 8, v2
	s_movk_i32 s13, 0x80
	buffer_load_dwordx4 v[6:9], v21, s[0:3], 0 offen
	buffer_load_dwordx4 v[2:5], v21, s[0:3], s13 offen
	;; [unrolled: 1-line block ×4, first 2 shown]
	v_lshrrev_b32_e32 v21, 3, v18
	v_lshlrev_b32_e32 v26, 3, v25
	v_or_b32_e32 v21, v26, v21
	v_lshlrev_b32_e32 v21, 4, v21
	v_and_b32_e32 v26, 0x78, v26
	v_xor_b32_e32 v26, v21, v26
	v_lshlrev_b32_e32 v21, 7, v20
.LBB248_31:
	s_movk_i32 s0, 0x1000
	v_and_or_b32 v20, v21, s0, v26
	s_waitcnt vmcnt(1)
	ds_write_b64 v26, v[6:7] offset:49152
	v_xor_b32_e32 v6, 8, v26
	ds_write_b64 v6, v[8:9] offset:49152
	s_waitcnt vmcnt(0)
	ds_write_b64 v26, v[2:3] offset:57344
	ds_write_b64 v6, v[4:5] offset:57344
	;; [unrolled: 1-line block ×3, first 2 shown]
	v_xor_b32_e32 v2, 8, v20
	ds_write_b64 v2, v[16:17] offset:49152
	ds_write_b64 v20, v[10:11] offset:57344
	;; [unrolled: 1-line block ×3, first 2 shown]
	v_or_b32_e32 v2, v1, v72
	v_lshlrev_b32_e32 v3, 11, v74
	v_lshlrev_b32_e32 v2, 3, v2
	v_and_b32_e32 v6, 0x1000, v3
	v_lshrrev_b32_e32 v3, 5, v73
	s_movk_i32 s0, 0xf8
	v_and_or_b32 v3, v2, s0, v3
	v_lshlrev_b32_e32 v7, 4, v3
	v_and_b32_e32 v8, 0x78, v2
	v_or_b32_e32 v10, 32, v7
	v_lshrrev_b32_e32 v3, 1, v73
	v_xor_b32_e32 v10, v10, v8
	v_xor_b32_e32 v2, v7, v8
	v_and_b32_e32 v9, 8, v3
	v_or_b32_e32 v10, v10, v6
	v_or_b32_e32 v2, v2, v6
	v_xor_b32_e32 v28, v10, v9
	v_or_b32_e32 v10, 64, v7
	v_xor_b32_e32 v27, v2, v9
	v_xor_b32_e32 v10, v10, v8
	s_waitcnt lgkmcnt(0)
	s_barrier
	v_or_b32_e32 v13, v10, v6
	ds_read_b64 v[10:11], v27 offset:49152
	v_lshl_or_b32 v14, v75, 8, v24
	v_lshlrev_b32_e32 v26, 1, v14
	v_add_u32_e32 v12, 0x4000, v26
	ds_read2_b64 v[2:5], v12 offset1:16
	v_or_b32_e32 v7, 0x60, v7
	v_xor_b32_e32 v7, v7, v8
	v_or_b32_e32 v6, v7, v6
	v_xor_b32_e32 v29, v13, v9
	v_xor_b32_e32 v30, v6, v9
	ds_read_b64 v[20:21], v28 offset:49152
	ds_read_b64 v[34:35], v29 offset:49152
	;; [unrolled: 1-line block ×3, first 2 shown]
	s_waitcnt lgkmcnt(3)
	v_mfma_f32_16x16x16_bf16 a[0:3], v[10:11], v[2:3], 0
	ds_read2_b64 v[6:9], v12 offset0:32 offset1:48
	s_lshl_b64 s[0:1], s[38:39], 8
	s_add_u32 s4, s4, s0
	v_mfma_f32_16x16x16_bf16 a[4:7], v[10:11], v[4:5], 0
	ds_read2st64_b64 v[2:5], v26 offset0:36 offset1:40
	s_addc_u32 s5, s5, s1
	s_add_i32 s0, s41, s40
	s_waitcnt lgkmcnt(1)
	v_mfma_f32_16x16x16_bf16 a[8:11], v[10:11], v[6:7], 0
	v_or_b32_e32 v6, 64, v14
	v_lshlrev_b32_e32 v31, 1, v6
	s_add_i32 s2, s35, -1
	s_waitcnt lgkmcnt(0)
	v_mfma_f32_16x16x16_bf16 a[0:3], v[20:21], v[2:3], a[0:3]
	v_or_b32_e32 v2, 0x80, v14
	v_lshlrev_b32_e32 v32, 1, v2
	v_or_b32_e32 v2, 0xc0, v14
	v_mfma_f32_16x16x16_bf16 a[12:15], v[10:11], v[8:9], 0
	ds_read2st64_b64 v[6:9], v31 offset0:36 offset1:40
	v_lshlrev_b32_e32 v33, 1, v2
	ds_read2st64_b64 v[10:13], v32 offset0:36 offset1:40
	ds_read2st64_b64 v[14:17], v33 offset0:36 offset1:40
	s_add_i32 s17, s0, s42
	s_mul_i32 s0, s33, s19
	s_mul_hi_u32 s1, s33, s18
	s_add_i32 s0, s1, s0
	s_mul_i32 s1, s12, s18
	s_ashr_i32 s3, s2, 31
	s_mul_i32 s12, s2, s29
	s_mul_hi_u32 s13, s2, s28
	s_waitcnt lgkmcnt(2)
	v_mfma_f32_16x16x16_bf16 a[4:7], v[20:21], v[6:7], a[4:7]
	s_add_i32 s12, s13, s12
	s_mul_i32 s3, s3, s28
	s_add_i32 s1, s0, s1
	s_waitcnt lgkmcnt(1)
	v_mfma_f32_16x16x16_bf16 a[8:11], v[20:21], v[10:11], a[8:11]
	s_add_i32 s3, s12, s3
	s_lshl_b64 s[12:13], s[16:17], 2
	s_mul_i32 s0, s33, s18
	s_waitcnt lgkmcnt(0)
	v_mfma_f32_16x16x16_bf16 a[12:15], v[20:21], v[14:15], a[12:15]
	s_add_u32 s10, s10, s12
	s_addc_u32 s11, s11, s13
	s_lshl_b64 s[0:1], s[0:1], 2
	v_mfma_f32_16x16x16_bf16 a[0:3], v[34:35], v[4:5], a[0:3]
	s_mul_i32 s2, s2, s28
	ds_read_b64 v[2:3], v26 offset:22528
	s_add_u32 s10, s10, s0
	v_mfma_f32_16x16x16_bf16 a[4:7], v[34:35], v[8:9], a[4:7]
	ds_read_b64 v[4:5], v31 offset:22528
	ds_read_b64 v[6:7], v32 offset:22528
	;; [unrolled: 1-line block ×3, first 2 shown]
	s_addc_u32 s11, s11, s1
	s_lshl_b64 s[0:1], s[2:3], 2
	v_mfma_f32_16x16x16_bf16 a[8:11], v[34:35], v[12:13], a[8:11]
	s_add_u32 s0, s10, s0
	s_addc_u32 s1, s11, s1
	s_load_dword s12, s[0:1], 0x0
	v_mfma_f32_16x16x16_bf16 a[12:15], v[34:35], v[16:17], a[12:15]
	s_and_b64 vcc, exec, s[26:27]
	s_waitcnt lgkmcnt(0)
	v_mfma_f32_16x16x16_bf16 a[0:3], v[36:37], v[2:3], a[0:3]
	v_mfma_f32_16x16x16_bf16 a[4:7], v[36:37], v[4:5], a[4:7]
	;; [unrolled: 1-line block ×4, first 2 shown]
	s_cbranch_vccz .LBB248_42
; %bb.32:
	v_lshlrev_b32_e32 v20, 1, v25
	s_and_b64 vcc, exec, s[6:7]
	s_cbranch_vccz .LBB248_43
; %bb.33:
	v_cmp_gt_i32_e32 vcc, s45, v20
	v_mov_b32_e32 v6, 0
	v_mov_b32_e32 v2, 0
	;; [unrolled: 1-line block ×5, first 2 shown]
	s_and_saveexec_b64 s[0:1], vcc
	s_cbranch_execz .LBB248_35
; %bb.34:
	v_mad_i64_i32 v[2:3], s[2:3], s15, v20, 0
	v_lshl_add_u64 v[2:3], v[2:3], 1, s[4:5]
	v_lshlrev_b32_e32 v4, 1, v18
	v_mov_b32_e32 v5, 0
	v_lshl_add_u64 v[2:3], v[2:3], 0, v[4:5]
	global_load_dwordx4 v[2:5], v[2:3], off
.LBB248_35:
	s_or_b64 exec, exec, s[0:1]
	v_or_b32_e32 v21, 1, v20
	v_cmp_gt_i32_e64 s[0:1], s45, v21
	v_mov_b32_e32 v7, 0
	v_mov_b32_e32 v8, 0
	;; [unrolled: 1-line block ×3, first 2 shown]
	s_and_saveexec_b64 s[2:3], s[0:1]
	s_cbranch_execz .LBB248_37
; %bb.36:
	v_mad_i64_i32 v[6:7], s[16:17], s15, v21, 0
	v_lshl_add_u64 v[6:7], v[6:7], 1, s[4:5]
	v_lshlrev_b32_e32 v8, 1, v18
	v_mov_b32_e32 v9, 0
	v_lshl_add_u64 v[6:7], v[6:7], 0, v[8:9]
	global_load_dwordx4 v[6:9], v[6:7], off
.LBB248_37:
	s_or_b64 exec, exec, s[2:3]
	v_mov_b32_e32 v17, 0
	v_mov_b32_e32 v10, 0
	;; [unrolled: 1-line block ×5, first 2 shown]
	s_and_saveexec_b64 s[2:3], vcc
	s_cbranch_execz .LBB248_39
; %bb.38:
	v_mad_i64_i32 v[10:11], s[16:17], s15, v20, 0
	v_lshl_add_u64 v[10:11], v[10:11], 1, s[4:5]
	v_lshlrev_b32_e32 v12, 1, v18
	v_mov_b32_e32 v13, 0
	v_lshl_add_u64 v[10:11], v[10:11], 0, v[12:13]
	global_load_dwordx4 v[10:13], v[10:11], off offset:128
.LBB248_39:
	s_or_b64 exec, exec, s[2:3]
	v_mov_b32_e32 v16, 0
	v_mov_b32_e32 v15, 0
	;; [unrolled: 1-line block ×3, first 2 shown]
	s_and_saveexec_b64 s[2:3], s[0:1]
	s_cbranch_execz .LBB248_41
; %bb.40:
	v_mad_i64_i32 v[14:15], s[0:1], s15, v21, 0
	v_lshl_add_u64 v[14:15], v[14:15], 1, s[4:5]
	v_lshlrev_b32_e32 v16, 1, v18
	v_mov_b32_e32 v17, 0
	v_lshl_add_u64 v[14:15], v[14:15], 0, v[16:17]
	global_load_dwordx4 v[14:17], v[14:15], off offset:128
.LBB248_41:
	s_or_b64 exec, exec, s[2:3]
	s_branch .LBB248_45
.LBB248_42:
                                        ; implicit-def: $vgpr5
                                        ; implicit-def: $vgpr9
                                        ; implicit-def: $vgpr13
                                        ; implicit-def: $vgpr17
	v_lshrrev_b32_e32 v34, 2, v73
	s_branch .LBB248_46
.LBB248_43:
                                        ; implicit-def: $vgpr5
                                        ; implicit-def: $vgpr9
                                        ; implicit-def: $vgpr13
                                        ; implicit-def: $vgpr17
	s_cbranch_execz .LBB248_45
; %bb.44:
	s_waitcnt vmcnt(0)
	v_mad_u64_u32 v[2:3], s[0:1], v20, s15, v[18:19]
	v_lshlrev_b32_e32 v20, 1, v2
	s_lshl_b32 s2, s15, 7
	s_and_b32 s1, s5, 0xffff
	s_mov_b32 s3, 0x20000
	s_mov_b32 s0, s4
	v_add_lshl_u32 v21, v2, s15, 1
	s_movk_i32 s13, 0x80
	buffer_load_dwordx4 v[2:5], v20, s[0:3], 0 offen
	buffer_load_dwordx4 v[10:13], v20, s[0:3], s13 offen
	;; [unrolled: 1-line block ×4, first 2 shown]
.LBB248_45:
	v_lshrrev_b32_e32 v34, 2, v73
	s_cbranch_execnz .LBB248_58
.LBB248_46:
	s_and_b64 vcc, exec, s[6:7]
	s_cbranch_vccz .LBB248_56
; %bb.47:
	s_waitcnt vmcnt(0)
	v_lshlrev_b32_e32 v7, 1, v25
	v_cmp_gt_i32_e32 vcc, s45, v7
	v_mov_b32_e32 v6, 0
	v_lshlrev_b32_e32 v14, 9, v25
	v_mov_b32_e32 v2, 0
	v_mov_b32_e32 v3, 0
	;; [unrolled: 1-line block ×4, first 2 shown]
	s_and_saveexec_b64 s[0:1], vcc
	s_cbranch_execz .LBB248_49
; %bb.48:
	v_mov_b32_e32 v15, 0
	v_lshl_add_u64 v[2:3], s[4:5], 0, v[14:15]
	v_lshlrev_b32_e32 v4, 1, v18
	v_mov_b32_e32 v5, v15
	v_lshl_add_u64 v[2:3], v[2:3], 0, v[4:5]
	global_load_dwordx4 v[2:5], v[2:3], off
.LBB248_49:
	s_or_b64 exec, exec, s[0:1]
	v_or_b32_e32 v7, 1, v7
	v_cmp_gt_i32_e64 s[0:1], s45, v7
	v_lshlrev_b32_e32 v20, 8, v7
	v_mov_b32_e32 v7, 0
	v_mov_b32_e32 v8, 0
	;; [unrolled: 1-line block ×3, first 2 shown]
	s_and_saveexec_b64 s[2:3], s[0:1]
	s_cbranch_execz .LBB248_51
; %bb.50:
	v_mov_b32_e32 v21, 0
	v_lshl_add_u64 v[6:7], s[4:5], 0, v[20:21]
	v_lshlrev_b32_e32 v8, 1, v18
	v_mov_b32_e32 v9, v21
	v_lshl_add_u64 v[6:7], v[6:7], 0, v[8:9]
	global_load_dwordx4 v[6:9], v[6:7], off
.LBB248_51:
	s_or_b64 exec, exec, s[2:3]
	v_mov_b32_e32 v17, 0
	v_mov_b32_e32 v10, 0
	;; [unrolled: 1-line block ×5, first 2 shown]
	s_and_saveexec_b64 s[2:3], vcc
	s_cbranch_execz .LBB248_53
; %bb.52:
	v_mov_b32_e32 v15, 0
	v_lshl_add_u64 v[10:11], s[4:5], 0, v[14:15]
	v_lshlrev_b32_e32 v14, 1, v18
	v_lshl_add_u64 v[10:11], v[10:11], 0, v[14:15]
	global_load_dwordx4 v[10:13], v[10:11], off offset:128
.LBB248_53:
	s_or_b64 exec, exec, s[2:3]
	v_mov_b32_e32 v16, 0
	v_mov_b32_e32 v15, 0
	;; [unrolled: 1-line block ×3, first 2 shown]
	s_and_saveexec_b64 s[2:3], s[0:1]
	s_cbranch_execz .LBB248_55
; %bb.54:
	v_mov_b32_e32 v21, 0
	v_lshl_add_u64 v[14:15], s[4:5], 0, v[20:21]
	v_lshlrev_b32_e32 v20, 1, v18
	v_lshl_add_u64 v[14:15], v[14:15], 0, v[20:21]
	global_load_dwordx4 v[14:17], v[14:15], off offset:128
.LBB248_55:
	s_or_b64 exec, exec, s[2:3]
	s_branch .LBB248_58
.LBB248_56:
                                        ; implicit-def: $vgpr5
                                        ; implicit-def: $vgpr9
                                        ; implicit-def: $vgpr13
                                        ; implicit-def: $vgpr17
	s_cbranch_execz .LBB248_58
; %bb.57:
	s_waitcnt vmcnt(0)
	v_lshlrev_b32_e32 v2, 1, v18
	v_lshl_or_b32 v18, v25, 9, v2
	s_and_b32 s5, s5, 0xffff
	s_mov_b32 s7, 0x20000
	s_movk_i32 s6, 0x4000
	s_movk_i32 s0, 0x80
	buffer_load_dwordx4 v[2:5], v18, s[4:7], 0 offen
	buffer_load_dwordx4 v[6:9], v18, s[4:7], 0 offen offset:256
	buffer_load_dwordx4 v[10:13], v18, s[4:7], s0 offen
	buffer_load_dwordx4 v[14:17], v18, s[4:7], s0 offen offset:256
.LBB248_58:
	ds_read_b64 v[20:21], v27 offset:57344
	v_add_u32_e32 v18, 0x6000, v26
	ds_read2_b64 v[36:39], v18 offset1:16
	ds_read_b64 v[52:53], v28 offset:57344
	ds_read_b64 v[28:29], v29 offset:57344
	;; [unrolled: 1-line block ×3, first 2 shown]
	ds_read2st64_b64 v[40:43], v26 offset0:52 offset1:56
	s_mov_b32 s0, 0x1000504
	s_mov_b32 s1, 0x3020706
	s_waitcnt lgkmcnt(4)
	v_mfma_f32_16x16x16_bf16 a[0:3], v[20:21], v[36:37], a[0:3]
	v_mfma_f32_16x16x16_bf16 a[4:7], v[20:21], v[38:39], a[4:7]
	ds_read2_b64 v[36:39], v18 offset0:32 offset1:48
	v_and_b32_e32 v18, 6, v0
	v_xor_b32_e32 v25, v25, v18
	s_waitcnt lgkmcnt(0)
	v_mfma_f32_16x16x16_bf16 a[8:11], v[20:21], v[36:37], a[8:11]
	v_lshlrev_b32_e32 v25, 2, v25
	v_and_b32_e32 v0, 1, v0
	v_xor_b32_e32 v35, 0x440, v25
	v_mfma_f32_16x16x16_bf16 a[12:15], v[20:21], v[38:39], a[12:15]
	ds_read2st64_b64 v[36:39], v31 offset0:52 offset1:56
	ds_read2st64_b64 v[44:47], v32 offset0:52 offset1:56
	;; [unrolled: 1-line block ×3, first 2 shown]
	v_cmp_eq_u32_e32 vcc, 0, v0
	ds_read_b64 v[20:21], v26 offset:30720
	ds_read_b64 v[26:27], v31 offset:30720
	;; [unrolled: 1-line block ×4, first 2 shown]
	v_mfma_f32_16x16x16_bf16 a[0:3], v[52:53], v[40:41], a[0:3]
	v_cndmask_b32_e32 v0, v35, v25, vcc
	v_lshl_or_b32 v0, v18, 10, v0
	s_waitcnt vmcnt(0)
	v_perm_b32 v18, v2, v6, s0
	s_waitcnt lgkmcnt(6)
	v_mfma_f32_16x16x16_bf16 a[4:7], v[52:53], v[36:37], a[4:7]
	v_perm_b32 v25, v10, v14, s0
	ds_write2st64_b32 v0, v18, v25 offset0:128 offset1:160
	v_xor_b32_e32 v18, 8, v0
	s_waitcnt lgkmcnt(6)
	v_mfma_f32_16x16x16_bf16 a[8:11], v[52:53], v[44:45], a[8:11]
	v_perm_b32 v2, v2, v6, s1
	v_perm_b32 v6, v10, v14, s1
	v_add_u32_e32 v10, 0x80, v18
	s_waitcnt lgkmcnt(5)
	v_mfma_f32_16x16x16_bf16 a[12:15], v[52:53], v[48:49], a[12:15]
	ds_write2st64_b32 v10, v2, v6 offset0:128 offset1:160
	v_xor_b32_e32 v2, 16, v0
	v_perm_b32 v6, v3, v7, s0
	v_mfma_f32_16x16x16_bf16 a[0:3], v[28:29], v[42:43], a[0:3]
	v_perm_b32 v10, v11, v15, s0
	ds_write2st64_b32 v2, v6, v10 offset0:129 offset1:161
	v_xor_b32_e32 v2, 24, v0
	v_mfma_f32_16x16x16_bf16 a[4:7], v[28:29], v[38:39], a[4:7]
	v_perm_b32 v3, v3, v7, s1
	v_perm_b32 v6, v11, v15, s1
	v_add_u32_e32 v2, 0x80, v2
	v_mfma_f32_16x16x16_bf16 a[16:19], v[28:29], v[46:47], a[8:11]
	ds_write2st64_b32 v2, v3, v6 offset0:129 offset1:161
	v_xor_b32_e32 v2, 32, v0
	v_perm_b32 v3, v4, v8, s0
	v_mfma_f32_16x16x16_bf16 a[20:23], v[28:29], v[50:51], a[12:15]
	v_perm_b32 v6, v12, v16, s0
	ds_write2st64_b32 v2, v3, v6 offset0:130 offset1:162
	v_xor_b32_e32 v2, 40, v0
	s_waitcnt lgkmcnt(8)
	v_mfma_f32_16x16x16_bf16 a[12:15], v[54:55], v[20:21], a[0:3]
	v_perm_b32 v3, v4, v8, s1
	v_perm_b32 v4, v12, v16, s1
	v_add_u32_e32 v2, 0x80, v2
	s_waitcnt lgkmcnt(7)
	v_mfma_f32_16x16x16_bf16 a[8:11], v[54:55], v[26:27], a[4:7]
	ds_write2st64_b32 v2, v3, v4 offset0:130 offset1:162
	v_xor_b32_e32 v2, 48, v0
	v_perm_b32 v3, v5, v9, s0
	s_waitcnt lgkmcnt(7)
	v_mfma_f32_16x16x16_bf16 a[4:7], v[54:55], v[30:31], a[16:19]
	v_perm_b32 v4, v13, v17, s0
	v_xor_b32_e32 v0, 56, v0
	v_and_or_b32 v18, v34, 12, v1
	s_waitcnt lgkmcnt(6)
	v_mfma_f32_16x16x16_bf16 a[0:3], v[54:55], v[32:33], a[20:23]
	ds_write2st64_b32 v2, v3, v4 offset0:131 offset1:163
	v_perm_b32 v2, v5, v9, s1
	v_perm_b32 v3, v13, v17, s1
	v_add_u32_e32 v0, 0x80, v0
	v_cmp_gt_i32_e32 vcc, s45, v18
	v_mov_b32_e32 v14, 0
	v_mov_b32_e32 v16, 0
	ds_write2st64_b32 v0, v2, v3 offset0:131 offset1:163
	s_and_saveexec_b64 s[0:1], vcc
	s_cbranch_execz .LBB248_60
; %bb.59:
	v_add_u32_e32 v0, s34, v18
	v_ashrrev_i32_e32 v1, 31, v0
	v_mul_lo_u32 v2, v1, s28
	v_mul_lo_u32 v3, v0, s29
	v_mad_u64_u32 v[0:1], s[2:3], v0, s28, 0
	v_add3_u32 v1, v1, v3, v2
	v_lshl_add_u64 v[0:1], v[0:1], 2, s[10:11]
	global_load_dword v0, v[0:1], off
	s_waitcnt vmcnt(0)
	v_sub_f32_e32 v0, s12, v0
	v_mul_f32_e32 v0, 0x3fb8aa3b, v0
	v_exp_f32_e32 v16, v0
.LBB248_60:
	s_or_b64 exec, exec, s[0:1]
	v_or_b32_e32 v8, 1, v18
	v_cmp_gt_i32_e64 s[0:1], s45, v8
	s_and_saveexec_b64 s[2:3], s[0:1]
	s_cbranch_execz .LBB248_62
; %bb.61:
	v_add_u32_e32 v0, s34, v8
	v_ashrrev_i32_e32 v1, 31, v0
	v_mul_lo_u32 v2, v1, s28
	v_mul_lo_u32 v3, v0, s29
	v_mad_u64_u32 v[0:1], s[4:5], v0, s28, 0
	v_add3_u32 v1, v1, v3, v2
	v_lshl_add_u64 v[0:1], v[0:1], 2, s[10:11]
	global_load_dword v0, v[0:1], off
	s_waitcnt vmcnt(0)
	v_sub_f32_e32 v0, s12, v0
	v_mul_f32_e32 v0, 0x3fb8aa3b, v0
	v_exp_f32_e32 v14, v0
.LBB248_62:
	s_or_b64 exec, exec, s[2:3]
	v_or_b32_e32 v10, 2, v18
	v_cmp_gt_i32_e64 s[2:3], s45, v10
	v_mov_b32_e32 v15, 0
	v_mov_b32_e32 v17, 0
	s_and_saveexec_b64 s[4:5], s[2:3]
	s_cbranch_execz .LBB248_64
; %bb.63:
	v_add_u32_e32 v0, s34, v10
	v_ashrrev_i32_e32 v1, 31, v0
	v_mul_lo_u32 v2, v1, s28
	v_mul_lo_u32 v3, v0, s29
	v_mad_u64_u32 v[0:1], s[6:7], v0, s28, 0
	v_add3_u32 v1, v1, v3, v2
	v_lshl_add_u64 v[0:1], v[0:1], 2, s[10:11]
	global_load_dword v0, v[0:1], off
	s_waitcnt vmcnt(0)
	v_sub_f32_e32 v0, s12, v0
	v_mul_f32_e32 v0, 0x3fb8aa3b, v0
	v_exp_f32_e32 v17, v0
.LBB248_64:
	s_or_b64 exec, exec, s[4:5]
	v_or_b32_e32 v12, 3, v18
	v_cmp_gt_i32_e64 s[4:5], s45, v12
	s_and_saveexec_b64 s[6:7], s[4:5]
	s_cbranch_execz .LBB248_66
; %bb.65:
	v_add_u32_e32 v0, s34, v12
	v_ashrrev_i32_e32 v1, 31, v0
	v_mul_lo_u32 v2, v1, s28
	v_mul_lo_u32 v3, v0, s29
	v_mad_u64_u32 v[0:1], s[14:15], v0, s28, 0
	v_add3_u32 v1, v1, v3, v2
	v_lshl_add_u64 v[0:1], v[0:1], 2, s[10:11]
	global_load_dword v0, v[0:1], off
	s_waitcnt vmcnt(0)
	v_sub_f32_e32 v0, s12, v0
	v_mul_f32_e32 v0, 0x3fb8aa3b, v0
	v_exp_f32_e32 v15, v0
.LBB248_66:
	s_or_b64 exec, exec, s[6:7]
	v_or_b32_e32 v4, s30, v72
	s_add_u32 s6, s8, s24
	v_accvgpr_read_b32 v0, a12
	s_addc_u32 s7, s9, s25
	v_ashrrev_i32_e32 v5, 31, v4
	v_accvgpr_read_b32 v1, a13
	v_accvgpr_read_b32 v2, a14
	;; [unrolled: 1-line block ×3, first 2 shown]
	v_lshl_add_u64 v[4:5], v[4:5], 1, s[6:7]
	v_mov_b32_e32 v9, 0
	v_lshlrev_b32_e32 v6, 8, v18
	v_mov_b32_e32 v7, 0
	s_and_saveexec_b64 s[6:7], vcc
	s_cbranch_execz .LBB248_68
; %bb.67:
	v_mov_b32_e32 v7, 0
	v_lshl_add_u64 v[20:21], v[4:5], 0, v[6:7]
	global_load_ushort v7, v[20:21], off
	s_waitcnt vmcnt(0)
	v_lshlrev_b32_e32 v7, 16, v7
	v_sub_f32_e32 v0, v7, v0
	v_mul_f32_e32 v0, v16, v0
	v_lshrrev_b32_e32 v7, 16, v0
.LBB248_68:
	s_or_b64 exec, exec, s[6:7]
	v_lshlrev_b32_e32 v8, 8, v8
	s_and_saveexec_b64 s[6:7], s[0:1]
	s_cbranch_execz .LBB248_70
; %bb.69:
	v_mov_b32_e32 v9, 0
	v_lshl_add_u64 v[20:21], v[4:5], 0, v[8:9]
	global_load_ushort v0, v[20:21], off
	s_waitcnt vmcnt(0)
	v_lshlrev_b32_e32 v0, 16, v0
	v_sub_f32_e32 v0, v0, v1
	v_mul_f32_e32 v0, v14, v0
	v_lshrrev_b32_e32 v9, 16, v0
.LBB248_70:
	s_or_b64 exec, exec, s[6:7]
	v_mov_b32_e32 v13, 0
	v_lshlrev_b32_e32 v10, 8, v10
	v_mov_b32_e32 v11, 0
	s_and_saveexec_b64 s[6:7], s[2:3]
	s_cbranch_execz .LBB248_72
; %bb.71:
	v_mov_b32_e32 v11, 0
	v_lshl_add_u64 v[0:1], v[4:5], 0, v[10:11]
	global_load_ushort v0, v[0:1], off
	s_waitcnt vmcnt(0)
	v_lshlrev_b32_e32 v0, 16, v0
	v_sub_f32_e32 v0, v0, v2
	v_mul_f32_e32 v0, v17, v0
	v_lshrrev_b32_e32 v11, 16, v0
.LBB248_72:
	s_or_b64 exec, exec, s[6:7]
	v_lshlrev_b32_e32 v12, 8, v12
	s_and_saveexec_b64 s[6:7], s[4:5]
	s_cbranch_execz .LBB248_74
; %bb.73:
	v_mov_b32_e32 v13, 0
	v_lshl_add_u64 v[0:1], v[4:5], 0, v[12:13]
	global_load_ushort v0, v[0:1], off
	s_waitcnt vmcnt(0)
	v_lshlrev_b32_e32 v0, 16, v0
	v_sub_f32_e32 v0, v0, v3
	v_mul_f32_e32 v0, v15, v0
	v_lshrrev_b32_e32 v13, 16, v0
.LBB248_74:
	s_or_b64 exec, exec, s[6:7]
	v_lshlrev_b32_e32 v18, 6, v18
	s_mov_b32 s6, 0x5040100
	v_perm_b32 v20, v9, v7, s6
	v_or_b32_e32 v7, v18, v24
	v_accvgpr_read_b32 v0, a8
	v_perm_b32 v21, v13, v11, s6
	v_lshlrev_b32_e32 v7, 1, v7
	v_accvgpr_read_b32 v1, a9
	v_accvgpr_read_b32 v2, a10
	;; [unrolled: 1-line block ×3, first 2 shown]
	ds_write_b64 v7, v[20:21] offset:24576
	v_mov_b32_e32 v9, 0
	v_mov_b32_e32 v7, 0
	s_and_saveexec_b64 s[6:7], vcc
	s_cbranch_execz .LBB248_76
; %bb.75:
	v_mov_b32_e32 v7, 0
	v_lshl_add_u64 v[20:21], v[4:5], 0, v[6:7]
	global_load_ushort v7, v[20:21], off offset:32
	s_waitcnt vmcnt(0)
	v_lshlrev_b32_e32 v7, 16, v7
	v_sub_f32_e32 v0, v7, v0
	v_mul_f32_e32 v0, v16, v0
	v_lshrrev_b32_e32 v7, 16, v0
.LBB248_76:
	s_or_b64 exec, exec, s[6:7]
	s_and_saveexec_b64 s[6:7], s[0:1]
	s_cbranch_execz .LBB248_78
; %bb.77:
	v_mov_b32_e32 v9, 0
	v_lshl_add_u64 v[20:21], v[4:5], 0, v[8:9]
	global_load_ushort v0, v[20:21], off offset:32
	s_waitcnt vmcnt(0)
	v_lshlrev_b32_e32 v0, 16, v0
	v_sub_f32_e32 v0, v0, v1
	v_mul_f32_e32 v0, v14, v0
	v_lshrrev_b32_e32 v9, 16, v0
.LBB248_78:
	s_or_b64 exec, exec, s[6:7]
	v_mov_b32_e32 v13, 0
	v_mov_b32_e32 v11, 0
	s_and_saveexec_b64 s[6:7], s[2:3]
	s_cbranch_execz .LBB248_80
; %bb.79:
	v_mov_b32_e32 v11, 0
	v_lshl_add_u64 v[0:1], v[4:5], 0, v[10:11]
	global_load_ushort v0, v[0:1], off offset:32
	s_waitcnt vmcnt(0)
	v_lshlrev_b32_e32 v0, 16, v0
	v_sub_f32_e32 v0, v0, v2
	v_mul_f32_e32 v0, v17, v0
	v_lshrrev_b32_e32 v11, 16, v0
.LBB248_80:
	s_or_b64 exec, exec, s[6:7]
	s_and_saveexec_b64 s[6:7], s[4:5]
	s_cbranch_execz .LBB248_82
; %bb.81:
	v_mov_b32_e32 v13, 0
	v_lshl_add_u64 v[0:1], v[4:5], 0, v[12:13]
	global_load_ushort v0, v[0:1], off offset:32
	s_waitcnt vmcnt(0)
	v_lshlrev_b32_e32 v0, 16, v0
	v_sub_f32_e32 v0, v0, v3
	v_mul_f32_e32 v0, v15, v0
	v_lshrrev_b32_e32 v13, 16, v0
.LBB248_82:
	s_or_b64 exec, exec, s[6:7]
	s_mov_b32 s6, 0x5040100
	v_perm_b32 v20, v9, v7, s6
	v_or_b32_e32 v7, v18, v23
	v_accvgpr_read_b32 v0, a4
	v_perm_b32 v21, v13, v11, s6
	v_lshlrev_b32_e32 v7, 1, v7
	v_accvgpr_read_b32 v1, a5
	v_accvgpr_read_b32 v2, a6
	;; [unrolled: 1-line block ×3, first 2 shown]
	ds_write_b64 v7, v[20:21] offset:24576
	v_mov_b32_e32 v9, 0
	v_mov_b32_e32 v7, 0
	s_and_saveexec_b64 s[6:7], vcc
	s_cbranch_execz .LBB248_84
; %bb.83:
	v_mov_b32_e32 v7, 0
	v_lshl_add_u64 v[20:21], v[4:5], 0, v[6:7]
	global_load_ushort v7, v[20:21], off offset:64
	s_waitcnt vmcnt(0)
	v_lshlrev_b32_e32 v7, 16, v7
	v_sub_f32_e32 v0, v7, v0
	v_mul_f32_e32 v0, v16, v0
	v_lshrrev_b32_e32 v7, 16, v0
.LBB248_84:
	s_or_b64 exec, exec, s[6:7]
	s_and_saveexec_b64 s[6:7], s[0:1]
	s_cbranch_execz .LBB248_86
; %bb.85:
	v_mov_b32_e32 v9, 0
	v_lshl_add_u64 v[20:21], v[4:5], 0, v[8:9]
	global_load_ushort v0, v[20:21], off offset:64
	s_waitcnt vmcnt(0)
	v_lshlrev_b32_e32 v0, 16, v0
	v_sub_f32_e32 v0, v0, v1
	v_mul_f32_e32 v0, v14, v0
	v_lshrrev_b32_e32 v9, 16, v0
.LBB248_86:
	s_or_b64 exec, exec, s[6:7]
	v_mov_b32_e32 v13, 0
	v_mov_b32_e32 v11, 0
	s_and_saveexec_b64 s[6:7], s[2:3]
	s_cbranch_execz .LBB248_88
; %bb.87:
	v_mov_b32_e32 v11, 0
	v_lshl_add_u64 v[0:1], v[4:5], 0, v[10:11]
	global_load_ushort v0, v[0:1], off offset:64
	s_waitcnt vmcnt(0)
	v_lshlrev_b32_e32 v0, 16, v0
	v_sub_f32_e32 v0, v0, v2
	v_mul_f32_e32 v0, v17, v0
	v_lshrrev_b32_e32 v11, 16, v0
.LBB248_88:
	s_or_b64 exec, exec, s[6:7]
	s_and_saveexec_b64 s[6:7], s[4:5]
	s_cbranch_execz .LBB248_90
; %bb.89:
	v_mov_b32_e32 v13, 0
	v_lshl_add_u64 v[0:1], v[4:5], 0, v[12:13]
	global_load_ushort v0, v[0:1], off offset:64
	s_waitcnt vmcnt(0)
	v_lshlrev_b32_e32 v0, 16, v0
	v_sub_f32_e32 v0, v0, v3
	v_mul_f32_e32 v0, v15, v0
	v_lshrrev_b32_e32 v13, 16, v0
.LBB248_90:
	s_or_b64 exec, exec, s[6:7]
	s_mov_b32 s6, 0x5040100
	v_perm_b32 v20, v9, v7, s6
	v_or_b32_e32 v7, v18, v22
	v_accvgpr_read_b32 v0, a0
	v_perm_b32 v21, v13, v11, s6
	v_lshlrev_b32_e32 v7, 1, v7
	v_accvgpr_read_b32 v1, a1
	v_accvgpr_read_b32 v2, a2
	;; [unrolled: 1-line block ×3, first 2 shown]
	ds_write_b64 v7, v[20:21] offset:24576
	v_mov_b32_e32 v9, 0
	v_mov_b32_e32 v7, 0
	s_and_saveexec_b64 s[6:7], vcc
	s_cbranch_execz .LBB248_92
; %bb.91:
	v_mov_b32_e32 v7, 0
	v_lshl_add_u64 v[6:7], v[4:5], 0, v[6:7]
	global_load_ushort v6, v[6:7], off offset:96
	s_waitcnt vmcnt(0)
	v_lshlrev_b32_e32 v6, 16, v6
	v_sub_f32_e32 v0, v6, v0
	v_mul_f32_e32 v0, v16, v0
	v_lshrrev_b32_e32 v7, 16, v0
.LBB248_92:
	s_or_b64 exec, exec, s[6:7]
	s_and_saveexec_b64 s[6:7], s[0:1]
	s_cbranch_execz .LBB248_94
; %bb.93:
	v_mov_b32_e32 v9, 0
	v_lshl_add_u64 v[8:9], v[4:5], 0, v[8:9]
	global_load_ushort v0, v[8:9], off offset:96
	s_waitcnt vmcnt(0)
	v_lshlrev_b32_e32 v0, 16, v0
	v_sub_f32_e32 v0, v0, v1
	v_mul_f32_e32 v0, v14, v0
	v_lshrrev_b32_e32 v9, 16, v0
.LBB248_94:
	s_or_b64 exec, exec, s[6:7]
	v_mov_b32_e32 v0, 0
	v_mov_b32_e32 v1, 0
	s_and_saveexec_b64 s[0:1], s[2:3]
	s_cbranch_execz .LBB248_96
; %bb.95:
	v_mov_b32_e32 v11, 0
	v_lshl_add_u64 v[10:11], v[4:5], 0, v[10:11]
	global_load_ushort v1, v[10:11], off offset:96
	s_waitcnt vmcnt(0)
	v_lshlrev_b32_e32 v1, 16, v1
	v_sub_f32_e32 v1, v1, v2
	v_mul_f32_e32 v1, v17, v1
	v_lshrrev_b32_e32 v1, 16, v1
.LBB248_96:
	s_or_b64 exec, exec, s[0:1]
	s_and_saveexec_b64 s[0:1], s[4:5]
	s_cbranch_execz .LBB248_98
; %bb.97:
	v_mov_b32_e32 v13, 0
	v_lshl_add_u64 v[4:5], v[4:5], 0, v[12:13]
	global_load_ushort v0, v[4:5], off offset:96
	s_waitcnt vmcnt(0)
	v_lshlrev_b32_e32 v0, 16, v0
	v_sub_f32_e32 v0, v0, v3
	v_mul_f32_e32 v0, v15, v0
	v_lshrrev_b32_e32 v0, 16, v0
.LBB248_98:
	s_or_b64 exec, exec, s[0:1]
	s_mov_b32 s0, 0x5040100
	v_or_b32_e32 v2, v18, v19
	v_perm_b32 v1, v0, v1, s0
	v_perm_b32 v0, v9, v7, s0
	v_lshlrev_b32_e32 v2, 1, v2
	ds_write_b64 v2, v[0:1] offset:24576
	s_waitcnt lgkmcnt(0)
	s_barrier
.LBB248_99:
	s_endpgm
	.section	.rodata,"a",@progbits
	.p2align	6, 0x0
	.amdhsa_kernel _ZN12_GLOBAL__N_139chunk_gated_delta_rule_fwd_h_hip_kernelILi64ELb0ELb0ELb0ELb1ELb0ELb0ELb0ELb0EEEvPK12hip_bfloat16S3_S3_PKfS5_PKvPS1_S8_PvPKiSB_iiiiilll
		.amdhsa_group_segment_fixed_size 65536
		.amdhsa_private_segment_fixed_size 0
		.amdhsa_kernarg_size 136
		.amdhsa_user_sgpr_count 2
		.amdhsa_user_sgpr_dispatch_ptr 0
		.amdhsa_user_sgpr_queue_ptr 0
		.amdhsa_user_sgpr_kernarg_segment_ptr 1
		.amdhsa_user_sgpr_dispatch_id 0
		.amdhsa_user_sgpr_kernarg_preload_length 0
		.amdhsa_user_sgpr_kernarg_preload_offset 0
		.amdhsa_user_sgpr_private_segment_size 0
		.amdhsa_uses_dynamic_stack 0
		.amdhsa_enable_private_segment 0
		.amdhsa_system_sgpr_workgroup_id_x 1
		.amdhsa_system_sgpr_workgroup_id_y 1
		.amdhsa_system_sgpr_workgroup_id_z 0
		.amdhsa_system_sgpr_workgroup_info 0
		.amdhsa_system_vgpr_workitem_id 0
		.amdhsa_next_free_vgpr 216
		.amdhsa_next_free_sgpr 60
		.amdhsa_accum_offset 180
		.amdhsa_reserve_vcc 1
		.amdhsa_float_round_mode_32 0
		.amdhsa_float_round_mode_16_64 0
		.amdhsa_float_denorm_mode_32 3
		.amdhsa_float_denorm_mode_16_64 3
		.amdhsa_dx10_clamp 1
		.amdhsa_ieee_mode 1
		.amdhsa_fp16_overflow 0
		.amdhsa_tg_split 0
		.amdhsa_exception_fp_ieee_invalid_op 0
		.amdhsa_exception_fp_denorm_src 0
		.amdhsa_exception_fp_ieee_div_zero 0
		.amdhsa_exception_fp_ieee_overflow 0
		.amdhsa_exception_fp_ieee_underflow 0
		.amdhsa_exception_fp_ieee_inexact 0
		.amdhsa_exception_int_div_zero 0
	.end_amdhsa_kernel
	.section	.text._ZN12_GLOBAL__N_139chunk_gated_delta_rule_fwd_h_hip_kernelILi64ELb0ELb0ELb0ELb1ELb0ELb0ELb0ELb0EEEvPK12hip_bfloat16S3_S3_PKfS5_PKvPS1_S8_PvPKiSB_iiiiilll,"axG",@progbits,_ZN12_GLOBAL__N_139chunk_gated_delta_rule_fwd_h_hip_kernelILi64ELb0ELb0ELb0ELb1ELb0ELb0ELb0ELb0EEEvPK12hip_bfloat16S3_S3_PKfS5_PKvPS1_S8_PvPKiSB_iiiiilll,comdat
.Lfunc_end248:
	.size	_ZN12_GLOBAL__N_139chunk_gated_delta_rule_fwd_h_hip_kernelILi64ELb0ELb0ELb0ELb1ELb0ELb0ELb0ELb0EEEvPK12hip_bfloat16S3_S3_PKfS5_PKvPS1_S8_PvPKiSB_iiiiilll, .Lfunc_end248-_ZN12_GLOBAL__N_139chunk_gated_delta_rule_fwd_h_hip_kernelILi64ELb0ELb0ELb0ELb1ELb0ELb0ELb0ELb0EEEvPK12hip_bfloat16S3_S3_PKfS5_PKvPS1_S8_PvPKiSB_iiiiilll
                                        ; -- End function
	.section	.AMDGPU.csdata,"",@progbits
; Kernel info:
; codeLenInByte = 10744
; NumSgprs: 66
; NumVgprs: 178
; NumAgprs: 36
; TotalNumVgprs: 216
; ScratchSize: 0
; MemoryBound: 0
; FloatMode: 240
; IeeeMode: 1
; LDSByteSize: 65536 bytes/workgroup (compile time only)
; SGPRBlocks: 8
; VGPRBlocks: 26
; NumSGPRsForWavesPerEU: 66
; NumVGPRsForWavesPerEU: 216
; AccumOffset: 180
; Occupancy: 1
; WaveLimiterHint : 1
; COMPUTE_PGM_RSRC2:SCRATCH_EN: 0
; COMPUTE_PGM_RSRC2:USER_SGPR: 2
; COMPUTE_PGM_RSRC2:TRAP_HANDLER: 0
; COMPUTE_PGM_RSRC2:TGID_X_EN: 1
; COMPUTE_PGM_RSRC2:TGID_Y_EN: 1
; COMPUTE_PGM_RSRC2:TGID_Z_EN: 0
; COMPUTE_PGM_RSRC2:TIDIG_COMP_CNT: 0
; COMPUTE_PGM_RSRC3_GFX90A:ACCUM_OFFSET: 44
; COMPUTE_PGM_RSRC3_GFX90A:TG_SPLIT: 0
	.section	.text._ZN12_GLOBAL__N_139chunk_gated_delta_rule_fwd_h_hip_kernelILi64ELb1ELb1ELb1ELb0ELb0ELb0ELb0ELb0EEEvPK12hip_bfloat16S3_S3_PKfS5_PKvPS1_S8_PvPKiSB_iiiiilll,"axG",@progbits,_ZN12_GLOBAL__N_139chunk_gated_delta_rule_fwd_h_hip_kernelILi64ELb1ELb1ELb1ELb0ELb0ELb0ELb0ELb0EEEvPK12hip_bfloat16S3_S3_PKfS5_PKvPS1_S8_PvPKiSB_iiiiilll,comdat
	.globl	_ZN12_GLOBAL__N_139chunk_gated_delta_rule_fwd_h_hip_kernelILi64ELb1ELb1ELb1ELb0ELb0ELb0ELb0ELb0EEEvPK12hip_bfloat16S3_S3_PKfS5_PKvPS1_S8_PvPKiSB_iiiiilll ; -- Begin function _ZN12_GLOBAL__N_139chunk_gated_delta_rule_fwd_h_hip_kernelILi64ELb1ELb1ELb1ELb0ELb0ELb0ELb0ELb0EEEvPK12hip_bfloat16S3_S3_PKfS5_PKvPS1_S8_PvPKiSB_iiiiilll
	.p2align	8
	.type	_ZN12_GLOBAL__N_139chunk_gated_delta_rule_fwd_h_hip_kernelILi64ELb1ELb1ELb1ELb0ELb0ELb0ELb0ELb0EEEvPK12hip_bfloat16S3_S3_PKfS5_PKvPS1_S8_PvPKiSB_iiiiilll,@function
_ZN12_GLOBAL__N_139chunk_gated_delta_rule_fwd_h_hip_kernelILi64ELb1ELb1ELb1ELb0ELb0ELb0ELb0ELb0EEEvPK12hip_bfloat16S3_S3_PKfS5_PKvPS1_S8_PvPKiSB_iiiiilll: ; @_ZN12_GLOBAL__N_139chunk_gated_delta_rule_fwd_h_hip_kernelILi64ELb1ELb1ELb1ELb0ELb0ELb0ELb0ELb0EEEvPK12hip_bfloat16S3_S3_PKfS5_PKvPS1_S8_PvPKiSB_iiiiilll
; %bb.0:
	s_load_dwordx4 s[20:23], s[0:1], 0x5c
	s_load_dwordx4 s[24:27], s[0:1], 0x70
	s_abs_i32 s6, s3
	s_ashr_i32 s5, s3, 31
	v_and_b32_e32 v88, 15, v0
	s_waitcnt lgkmcnt(0)
	s_abs_i32 s4, s21
	v_cvt_f32_u32_e32 v1, s4
	s_sub_i32 s8, 0, s4
	s_ashr_i32 s7, s21, 31
	s_xor_b32 s5, s5, s7
	v_rcp_iflag_f32_e32 v1, v1
	v_bfe_u32 v87, v0, 4, 2
	v_mov_b32_e32 v67, 0
	v_lshlrev_b32_e32 v89, 3, v0
	v_mul_f32_e32 v1, 0x4f7ffffe, v1
	v_cvt_u32_f32_e32 v1, v1
	s_nop 0
	v_readfirstlane_b32 s9, v1
	s_mul_i32 s8, s8, s9
	s_mul_hi_u32 s8, s9, s8
	s_add_i32 s9, s9, s8
	s_mul_hi_u32 s8, s6, s9
	s_mul_i32 s9, s8, s4
	s_sub_i32 s6, s6, s9
	s_add_i32 s10, s8, 1
	s_sub_i32 s9, s6, s4
	s_cmp_ge_u32 s6, s4
	s_cselect_b32 s8, s10, s8
	s_cselect_b32 s6, s9, s6
	s_add_i32 s9, s8, 1
	s_cmp_ge_u32 s6, s4
	s_cselect_b32 s6, s9, s8
	s_xor_b32 s6, s6, s5
	s_add_i32 s8, s20, 63
	s_sub_i32 s55, s6, s5
	s_ashr_i32 s9, s8, 31
	s_mul_i32 s12, s55, s21
	s_sub_i32 s52, s3, s12
	s_lshr_b32 s3, s9, 26
	s_add_i32 s8, s8, s3
	s_abs_i32 s3, s22
	v_cvt_f32_u32_e32 v1, s3
	s_ashr_i32 s54, s20, 31
	s_lshr_b32 s5, s54, 26
	s_add_i32 s5, s20, s5
	v_rcp_iflag_f32_e32 v1, v1
	s_ashr_i32 s57, s22, 31
	s_ashr_i32 s56, s5, 6
	s_xor_b32 s5, s7, s57
	v_mul_f32_e32 v1, 0x4f7ffffe, v1
	v_cvt_u32_f32_e32 v1, v1
	s_sub_i32 s6, 0, s3
	s_ashr_i32 s28, s8, 6
	s_lshl_b32 s2, s2, 6
	v_readfirstlane_b32 s7, v1
	s_mul_i32 s6, s6, s7
	s_mul_hi_u32 s6, s7, s6
	s_add_i32 s7, s7, s6
	s_mul_hi_u32 s6, s4, s7
	s_mul_i32 s7, s6, s3
	s_sub_i32 s4, s4, s7
	s_add_i32 s7, s6, 1
	s_sub_i32 s8, s4, s3
	s_cmp_ge_u32 s4, s3
	s_cselect_b32 s6, s7, s6
	s_cselect_b32 s4, s8, s4
	s_add_i32 s7, s6, 1
	s_cmp_ge_u32 s4, s3
	s_cselect_b32 s3, s7, s6
	s_xor_b32 s3, s3, s5
	s_sub_i32 s3, s3, s5
	s_abs_i32 s13, s3
	v_cvt_f32_u32_e32 v1, s13
	s_sub_i32 s15, 0, s13
	s_abs_i32 s14, s52
	s_xor_b32 s3, s52, s3
	v_rcp_iflag_f32_e32 v2, v1
	s_ashr_i32 s3, s3, 31
	s_load_dwordx8 s[4:11], s[0:1], 0x28
	v_lshrrev_b32_e32 v1, 6, v0
	v_mul_f32_e32 v2, 0x4f7ffffe, v2
	v_cvt_u32_f32_e32 v2, v2
	v_or_b32_e32 v76, s2, v88
	v_lshlrev_b32_e32 v86, 4, v1
	v_lshlrev_b32_e32 v68, 7, v76
	v_readfirstlane_b32 s16, v2
	s_mul_i32 s15, s15, s16
	s_mul_hi_u32 s15, s16, s15
	s_add_i32 s16, s16, s15
	s_mul_hi_u32 s15, s14, s16
	s_mul_i32 s16, s15, s13
	s_sub_i32 s14, s14, s16
	s_add_i32 s16, s15, 1
	s_sub_i32 s17, s14, s13
	s_cmp_ge_u32 s14, s13
	s_cselect_b32 s15, s16, s15
	s_cselect_b32 s14, s17, s14
	s_add_i32 s16, s15, 1
	s_cmp_ge_u32 s14, s13
	s_cselect_b32 s13, s16, s15
	s_xor_b32 s13, s13, s3
	s_sub_i32 s58, s13, s3
	s_ashr_i32 s3, s55, 31
	s_ashr_i32 s53, s52, 31
	s_mul_hi_i32 s13, s55, s21
	s_add_u32 s42, s12, s52
	s_addc_u32 s43, s13, s53
	s_lshl_b64 s[34:35], s[42:43], 16
	s_waitcnt lgkmcnt(0)
	s_add_u32 s4, s4, s34
	v_lshl_or_b32 v91, v87, 2, v86
	s_addc_u32 s5, s5, s35
	v_ashrrev_i32_e32 v69, 31, v68
	v_lshl_add_u64 v[2:3], v[68:69], 2, s[4:5]
	v_lshlrev_b32_e32 v66, 2, v91
	v_or_b32_e32 v70, 0x800, v68
	v_lshl_add_u64 v[10:11], v[2:3], 0, v[66:67]
	v_ashrrev_i32_e32 v71, 31, v70
	global_load_dwordx4 v[6:9], v[10:11], off
	global_load_dwordx4 v[2:5], v[10:11], off offset:256
	v_lshl_add_u64 v[10:11], v[70:71], 2, s[4:5]
	v_or_b32_e32 v72, 0x1000, v68
	v_lshl_add_u64 v[18:19], v[10:11], 0, v[66:67]
	v_ashrrev_i32_e32 v73, 31, v72
	global_load_dwordx4 v[14:17], v[18:19], off
	global_load_dwordx4 v[10:13], v[18:19], off offset:256
	v_lshl_add_u64 v[18:19], v[72:73], 2, s[4:5]
	;; [unrolled: 6-line block ×3, first 2 shown]
	v_lshl_add_u64 v[34:35], v[26:27], 0, v[66:67]
	global_load_dwordx4 v[30:33], v[34:35], off
	global_load_dwordx4 v[26:29], v[34:35], off offset:256
	s_load_dwordx8 s[12:19], s[0:1], 0x0
	s_load_dwordx2 s[36:37], s[0:1], 0x80
	v_and_b32_e32 v67, 63, v0
	s_mul_i32 s59, s55, s28
	v_or_b32_e32 v92, 64, v91
	s_cmp_lt_i32 s20, 64
	v_lshrrev_b32_e32 v90, 3, v67
	s_mul_i32 s60, s43, s20
	s_mul_hi_u32 s61, s42, s20
	s_mul_i32 s4, s42, s20
	s_mul_i32 s33, s55, s25
	s_mul_hi_u32 s48, s55, s24
	s_mul_i32 s43, s3, s24
	s_mul_i32 s40, s55, s24
	s_mul_i32 s49, s52, s27
	s_mul_hi_u32 s50, s52, s26
	s_mul_i32 s51, s53, s26
	s_mul_i32 s38, s52, s26
	s_cbranch_scc1 .LBB249_18
; %bb.1:
	s_add_i32 s5, s61, s60
	s_lshl_b64 s[0:1], s[4:5], 8
	v_and_b32_e32 v94, 56, v89
	s_waitcnt lgkmcnt(0)
	s_add_u32 s24, s14, s0
	v_lshl_or_b32 v93, v1, 3, v90
	v_lshlrev_b32_e32 v34, 1, v94
	s_addc_u32 s0, s15, s1
	v_lshl_or_b32 v95, v93, 8, v34
	s_and_b32 s25, s0, 0xffff
	s_mov_b32 s27, 0x20000
	s_movk_i32 s26, 0x4000
	s_movk_i32 s0, 0x80
	v_or_b32_e32 v96, 0x2000, v95
	buffer_load_dwordx4 v[36:39], v95, s[24:27], 0 offen
	buffer_load_dwordx4 v[40:43], v95, s[24:27], s0 offen
	;; [unrolled: 1-line block ×4, first 2 shown]
	v_lshlrev_b32_e32 v35, 3, v93
	v_and_or_b32 v53, v0, 7, v35
	v_and_b32_e32 v35, 0x78, v35
	v_lshlrev_b32_e32 v53, 4, v53
	v_xor_b32_e32 v97, v53, v35
	v_mul_lo_u32 v52, v93, s23
	v_or_b32_e32 v98, 0x1000, v97
	v_xor_b32_e32 v35, 8, v97
	s_cmpk_eq_i32 s23, 0x80
	s_mov_b32 s62, s22
	v_xor_b32_e32 v53, 8, v98
	s_cselect_b64 s[0:1], -1, 0
	s_cmpk_lg_i32 s23, 0x80
	s_waitcnt vmcnt(3)
	ds_write_b64 v97, v[36:37] offset:49152
	ds_write_b64 v35, v[38:39] offset:49152
	s_waitcnt vmcnt(2)
	ds_write_b64 v97, v[40:41] offset:57344
	ds_write_b64 v35, v[42:43] offset:57344
	;; [unrolled: 3-line block ×4, first 2 shown]
	v_lshl_add_u32 v35, v52, 1, v94
	s_cbranch_scc0 .LBB249_3
; %bb.2:
	v_lshlrev_b32_e32 v37, 1, v35
	v_add_lshl_u32 v36, v35, s23, 1
	s_lshl_b32 s26, s23, 7
	v_lshl_or_b32 v34, v93, 9, v34
	s_cbranch_execz .LBB249_4
	s_branch .LBB249_5
.LBB249_3:
                                        ; implicit-def: $vgpr36
                                        ; implicit-def: $vgpr37
                                        ; implicit-def: $sgpr26
	v_lshl_or_b32 v34, v93, 9, v34
.LBB249_4:
	v_or_b32_e32 v36, 0x100, v34
	s_movk_i32 s26, 0x4000
	v_mov_b32_e32 v37, v34
.LBB249_5:
	s_mul_hi_u32 s24, s22, s20
	s_mul_i32 s25, s57, s20
	s_add_i32 s24, s24, s25
	s_mul_i32 s25, s22, s20
	s_mul_i32 s27, s25, s3
	s_mul_hi_u32 s28, s25, s55
	s_add_i32 s27, s28, s27
	s_mul_i32 s24, s24, s55
	s_add_i32 s27, s27, s24
	s_mul_i32 s25, s25, s55
	s_ashr_i32 s63, s58, 31
	s_add_u32 s24, s25, s58
	s_addc_u32 s25, s27, s63
	s_lshl_b64 s[24:25], s[24:25], 8
	s_add_u32 s24, s12, s24
	s_addc_u32 s25, s13, s25
	s_and_b32 s25, s25, 0xffff
	s_mov_b32 s27, 0x20000
	s_movk_i32 s64, 0x80
	buffer_load_dwordx4 v[38:41], v37, s[24:27], 0 offen
	buffer_load_dwordx4 v[42:45], v37, s[24:27], s64 offen
	;; [unrolled: 1-line block ×4, first 2 shown]
	v_and_b32_e32 v37, 6, v0
	v_lshlrev_b32_e32 v36, 7, v91
	v_xor_b32_e32 v58, v93, v37
	v_and_b32_e32 v54, 1, v0
	v_lshl_or_b32 v61, v88, 3, v36
	v_lshlrev_b32_e32 v58, 2, v58
	v_or_b32_e32 v99, 0x4000, v61
	v_or_b32_e32 v100, 0x6000, v61
	v_xor_b32_e32 v61, 0x440, v58
	v_cmp_eq_u32_e32 vcc, 0, v54
	v_lshlrev_b32_e32 v55, 2, v88
	s_mov_b32 s66, 0x1000504
	v_cndmask_b32_e32 v54, v61, v58, vcc
	v_xor_b32_e32 v59, v91, v55
	v_xor_b32_e32 v60, v92, v55
	v_lshl_or_b32 v37, v37, 10, v54
	s_mov_b32 s67, 0x3020706
	v_lshlrev_b32_e32 v56, 8, v88
	v_or_b32_e32 v57, 16, v88
	v_lshlrev_b32_e32 v59, 1, v59
	v_lshlrev_b32_e32 v60, 1, v60
	v_xor_b32_e32 v54, 8, v37
	v_xor_b32_e32 v58, 24, v37
	;; [unrolled: 1-line block ×4, first 2 shown]
	s_mul_i32 s3, s3, s20
	s_mul_hi_u32 s24, s55, s20
	v_or_b32_e32 v102, v56, v59
	v_or_b32_e32 v103, v56, v60
	v_xor_b32_e32 v56, 16, v37
	v_xor_b32_e32 v61, 32, v37
	;; [unrolled: 1-line block ×3, first 2 shown]
	v_add_u32_e32 v54, 0x80, v54
	v_add_u32_e32 v58, 0x80, v58
	;; [unrolled: 1-line block ×4, first 2 shown]
	s_add_i32 s69, s24, s3
	s_add_i32 s3, s48, s33
	;; [unrolled: 1-line block ×5, first 2 shown]
	s_lshl_b64 s[24:25], s[40:41], 2
	s_add_u32 s3, s18, s24
	s_addc_u32 s28, s19, s25
	s_lshl_b64 s[24:25], s[38:39], 2
	s_add_u32 s44, s3, s24
	s_movk_i32 s3, 0xf8
	s_addc_u32 s45, s28, s25
	s_lshl_b32 s30, s23, 7
	s_movk_i32 s28, 0x100
	v_mov_b32_e32 v79, 0
	v_cmp_gt_u32_e32 vcc, s28, v0
	v_lshl_or_b32 v62, v57, 3, v36
	s_mov_b32 s65, 0
	s_mul_i32 s68, s55, s20
	v_or_b32_e32 v101, 0x4000, v62
	s_movk_i32 s26, 0x4000
	v_or_b32_e32 v104, 0x6000, v62
	s_movk_i32 s39, 0x2000
	s_movk_i32 s41, 0x3000
	v_mov_b32_e32 v142, 0x3fb8aa3b
	s_mov_b32 s71, 0
	s_waitcnt vmcnt(1)
	v_perm_b32 v77, v38, v46, s66
	s_waitcnt vmcnt(0)
	v_perm_b32 v78, v42, v50, s66
	v_perm_b32 v38, v38, v46, s67
	;; [unrolled: 1-line block ×15, first 2 shown]
	ds_write2st64_b32 v37, v77, v78 offset0:128 offset1:160
	ds_write2st64_b32 v54, v38, v42 offset0:128 offset1:160
	;; [unrolled: 1-line block ×8, first 2 shown]
	v_lshlrev_b32_e32 v37, 8, v57
	v_or_b32_e32 v105, v37, v59
	v_or_b32_e32 v106, v37, v60
	;; [unrolled: 1-line block ×3, first 2 shown]
	v_lshl_or_b32 v38, v37, 3, v36
	v_lshlrev_b32_e32 v37, 8, v37
	v_or_b32_e32 v109, v37, v59
	v_or_b32_e32 v110, v37, v60
	;; [unrolled: 1-line block ×5, first 2 shown]
	v_lshl_or_b32 v38, v37, 3, v36
	v_lshlrev_b32_e32 v37, 8, v37
	v_or_b32_e32 v113, v37, v59
	v_or_b32_e32 v114, v37, v60
	;; [unrolled: 1-line block ×3, first 2 shown]
	v_lshlrev_b32_e32 v37, 3, v37
	v_lshrrev_b32_e32 v39, 5, v67
	v_and_or_b32 v39, v37, s3, v39
	v_lshlrev_b32_e32 v39, 4, v39
	v_lshlrev_b32_e32 v40, 11, v1
	v_and_b32_e32 v37, 0x78, v37
	v_or_b32_e32 v45, 32, v39
	v_or_b32_e32 v111, 0x4000, v38
	;; [unrolled: 1-line block ×3, first 2 shown]
	v_and_b32_e32 v38, 0x1000, v40
	v_xor_b32_e32 v41, v39, v37
	v_lshrrev_b32_e32 v42, 1, v0
	v_xor_b32_e32 v45, v45, v37
	v_or_b32_e32 v41, v41, v38
	v_and_b32_e32 v43, 8, v42
	v_or_b32_e32 v45, v45, v38
	v_xor_b32_e32 v115, v41, v43
	v_lshlrev_b32_e32 v41, 8, v87
	v_xor_b32_e32 v117, v45, v43
	v_or_b32_e32 v45, 64, v39
	v_or_b32_e32 v39, 0x60, v39
	s_ashr_i32 s3, s2, 31
	v_or_b32_e32 v44, v41, v55
	v_xor_b32_e32 v45, v45, v37
	v_xor_b32_e32 v37, v39, v37
	s_lshl_b64 s[24:25], s[2:3], 8
	v_lshlrev_b32_e32 v44, 1, v44
	v_or_b32_e32 v45, v45, v38
	v_or_b32_e32 v37, v37, v38
	s_add_u32 s24, s6, s24
	v_lshlrev_b32_e32 v38, 1, v88
	v_or_b32_e32 v116, 0x4000, v44
	v_or_b32_e32 v118, 0x4080, v44
	;; [unrolled: 1-line block ×8, first 2 shown]
	v_lshrrev_b32_e32 v44, 4, v0
	s_addc_u32 s25, s7, s25
	v_or_b32_e32 v39, 1, v38
	v_lshlrev_b32_e32 v78, 4, v88
	v_mov_b32_e32 v48, 0xa000
	v_mov_b32_e32 v49, 0x8000
	v_xor_b32_e32 v121, v45, v43
	v_xor_b32_e32 v45, v44, v38
	;; [unrolled: 1-line block ×3, first 2 shown]
	v_lshl_add_u64 v[38:39], s[24:25], 0, v[78:79]
	v_lshlrev_b32_e32 v78, 8, v44
	v_cndmask_b32_e32 v48, v48, v49, vcc
	v_lshlrev_b32_e32 v49, 3, v1
	v_and_b32_e32 v42, 24, v42
	v_lshl_or_b32 v127, v45, 3, v78
	v_and_b32_e32 v45, 8, v0
	v_xor_b32_e32 v50, v49, v42
	v_or_b32_e32 v51, 0x440, v50
	v_cmp_eq_u32_e32 vcc, 0, v45
	v_and_b32_e32 v44, 7, v0
	v_lshl_or_b32 v128, v46, 3, v78
	v_cndmask_b32_e32 v45, v51, v50, vcc
	v_lshlrev_b32_e32 v46, 3, v44
	v_lshlrev_b32_e32 v44, 7, v44
	v_or_b32_e32 v45, v45, v40
	v_lshlrev_b32_e32 v47, 2, v0
	v_xad_u32 v129, v45, v46, v44
	v_or_b32_e32 v45, 32, v42
	v_and_or_b32 v41, v47, 60, v41
	v_xor_b32_e32 v45, v49, v45
	v_lshlrev_b32_e32 v41, 1, v41
	v_or_b32_e32 v47, 0x440, v45
	v_or_b32_e32 v130, 0x6000, v41
	v_cndmask_b32_e32 v45, v47, v45, vcc
	v_or_b32_e32 v132, 0x6080, v41
	v_or_b32_e32 v133, 0x6100, v41
	;; [unrolled: 1-line block ×5, first 2 shown]
	v_xor_b32_e32 v41, v49, v41
	v_xad_u32 v131, v45, v46, v44
	v_xor_b32_e32 v45, 0x440, v41
	v_cndmask_b32_e32 v41, v45, v41, vcc
	v_or_b32_e32 v41, v41, v40
	v_xad_u32 v135, v41, v46, v44
	v_or_b32_e32 v41, 0x60, v42
	v_xor_b32_e32 v41, v49, v41
	v_xor_b32_e32 v42, 0x440, v41
	v_cndmask_b32_e32 v41, v42, v41, vcc
	v_xor_b32_e32 v122, v37, v43
	v_ashrrev_i32_e32 v77, 31, v76
	v_lshlrev_b32_e32 v37, 1, v35
	v_add_lshl_u32 v35, v35, s23, 1
	v_or_b32_e32 v43, 0x100, v34
	v_or_b32_e32 v40, v41, v40
	v_xad_u32 v136, v40, v46, v44
	v_cndmask_b32_e64 v137, v37, v34, s[0:1]
	v_cndmask_b32_e64 v138, v35, v43, s[0:1]
	v_lshlrev_b64 v[34:35], 1, v[76:77]
	v_lshl_add_u64 v[80:81], s[16:17], 0, v[34:35]
	v_lshl_add_u64 v[82:83], s[8:9], 0, v[34:35]
	;; [unrolled: 1-line block ×3, first 2 shown]
	s_mov_b32 s3, 0x7060302
	v_lshlrev_b32_e32 v78, 1, v36
	v_add_u32_e32 v77, v48, v129
	v_add_u32_e32 v139, v48, v131
	;; [unrolled: 1-line block ×4, first 2 shown]
	s_waitcnt lgkmcnt(0)
	s_barrier
.LBB249_6:                              ; =>This Inner Loop Header: Depth=1
	s_add_i32 s70, s71, 1
	s_cmp_lt_i32 s70, s56
	s_mov_b64 s[28:29], 0
	s_cselect_b64 s[46:47], -1, 0
	s_cmp_ge_i32 s70, s56
	s_mov_b64 s[24:25], 0
	s_cbranch_scc1 .LBB249_8
; %bb.7:                                ;   in Loop: Header=BB249_6 Depth=1
	s_add_i32 s0, s65, 64
	s_add_u32 s0, s4, s0
	s_addc_u32 s1, s5, 0
	s_lshl_b64 s[0:1], s[0:1], 8
	s_add_u32 s24, s14, s0
	s_addc_u32 s25, s15, s1
.LBB249_8:                              ;   in Loop: Header=BB249_6 Depth=1
	v_cndmask_b32_e64 v34, 0, 1, s[46:47]
	v_cmp_ne_u32_e64 s[0:1], 1, v34
	s_andn2_b64 vcc, exec, s[46:47]
	s_cbranch_vccnz .LBB249_10
; %bb.9:                                ;   in Loop: Header=BB249_6 Depth=1
	s_add_i32 s28, s65, 64
	s_add_u32 s28, s68, s28
	s_addc_u32 s29, s69, 0
	s_mul_i32 s31, s28, s57
	s_mul_hi_u32 s46, s28, s62
	s_add_i32 s31, s46, s31
	s_mul_i32 s29, s29, s62
	s_add_i32 s31, s31, s29
	s_mul_i32 s28, s28, s62
	s_add_u32 s28, s28, s58
	s_addc_u32 s29, s31, s63
	s_lshl_b64 s[28:29], s[28:29], 8
	s_add_u32 s28, s12, s28
	s_addc_u32 s29, s13, s29
.LBB249_10:                             ;   in Loop: Header=BB249_6 Depth=1
	v_perm_b32 v35, v9, v8, s3
	v_perm_b32 v34, v7, v6, s3
	v_perm_b32 v37, v5, v4, s3
	v_perm_b32 v36, v3, v2, s3
	ds_write_b64 v99, v[34:35]
	ds_write_b64 v100, v[36:37]
	ds_write_b64 v102, v[34:35]
	ds_write_b64 v103, v[36:37]
	v_perm_b32 v35, v17, v16, s3
	v_perm_b32 v34, v15, v14, s3
	v_perm_b32 v37, v13, v12, s3
	v_perm_b32 v36, v11, v10, s3
	ds_write_b64 v101, v[34:35]
	ds_write_b64 v104, v[36:37]
	ds_write_b64 v105, v[34:35]
	ds_write_b64 v106, v[36:37]
	;; [unrolled: 8-line block ×4, first 2 shown]
	s_waitcnt lgkmcnt(0)
	s_barrier
	ds_read_b64 v[38:39], v115 offset:49152
	ds_read2_b64 v[34:37], v116 offset1:16
	ds_read_b64 v[50:51], v118 offset:6144
	ds_read_b64 v[52:53], v116 offset:6144
	s_waitcnt lgkmcnt(2)
	v_mfma_f32_16x16x16_bf16 a[0:3], v[38:39], v[34:35], 0
	ds_read_b64 v[54:55], v117 offset:49152
	ds_read2st64_b64 v[42:45], v119 offset0:4 offset1:8
	ds_read2st64_b64 v[46:49], v120 offset0:4 offset1:8
	v_mfma_f32_16x16x16_bf16 a[4:7], v[38:39], v[36:37], 0
	ds_read2_b64 v[34:37], v116 offset0:32 offset1:48
	s_add_i32 s31, s65, 63
	s_mul_i32 s46, s31, s37
	s_waitcnt lgkmcnt(0)
	v_mfma_f32_16x16x16_bf16 a[8:11], v[38:39], v[34:35], 0
	s_mul_hi_u32 s47, s31, s36
	s_add_i32 s47, s47, s46
	s_mul_i32 s46, s31, s36
	v_mfma_f32_16x16x16_bf16 a[12:15], v[38:39], v[36:37], 0
	ds_read2st64_b64 v[34:37], v116 offset0:4 offset1:8
	ds_read2st64_b64 v[38:41], v118 offset0:4 offset1:8
	s_lshl_b64 s[46:47], s[46:47], 2
	s_waitcnt lgkmcnt(1)
	v_mfma_f32_16x16x16_bf16 a[0:3], v[54:55], v[34:35], a[0:3]
	s_add_u32 s46, s44, s46
	s_addc_u32 s47, s45, s47
	s_and_b64 vcc, exec, s[0:1]
	s_waitcnt lgkmcnt(0)
	v_mfma_f32_16x16x16_bf16 a[4:7], v[54:55], v[38:39], a[4:7]
	v_mov_b32_e32 v145, 0
	v_mov_b32_e32 v144, 0
	v_mov_b32_e32 v143, 0
	v_mfma_f32_16x16x16_bf16 a[8:11], v[54:55], v[42:43], a[8:11]
	ds_read_b64 v[34:35], v121 offset:49152
	ds_read_b64 v[38:39], v122 offset:49152
	;; [unrolled: 1-line block ×3, first 2 shown]
	v_mfma_f32_16x16x16_bf16 a[12:15], v[54:55], v[46:47], a[12:15]
	v_mov_b32_e32 v46, 0
	v_mov_b32_e32 v47, 0
	s_waitcnt lgkmcnt(2)
	v_mfma_f32_16x16x16_bf16 a[0:3], v[34:35], v[36:37], a[0:3]
	v_mov_b32_e32 v36, 0
	v_mov_b32_e32 v37, 0
	v_mfma_f32_16x16x16_bf16 a[4:7], v[34:35], v[40:41], a[4:7]
	v_mov_b32_e32 v40, 0
	v_mov_b32_e32 v41, 0
	;; [unrolled: 3-line block ×3, first 2 shown]
	v_mfma_f32_16x16x16_bf16 a[12:15], v[34:35], v[48:49], a[12:15]
	ds_read_b64 v[34:35], v119 offset:6144
	v_mov_b32_e32 v48, 0
	v_mov_b32_e32 v49, 0
	s_waitcnt lgkmcnt(2)
	v_mfma_f32_16x16x16_bf16 a[0:3], v[38:39], v[52:53], a[0:3]
	v_mfma_f32_16x16x16_bf16 a[4:7], v[38:39], v[50:51], a[4:7]
	s_waitcnt lgkmcnt(0)
	v_mfma_f32_16x16x16_bf16 a[8:11], v[38:39], v[34:35], a[8:11]
	v_mov_b32_e32 v34, 0
	v_mov_b32_e32 v35, 0
	v_mfma_f32_16x16x16_bf16 a[12:15], v[38:39], v[42:43], a[12:15]
	v_mov_b32_e32 v38, 0
	v_mov_b32_e32 v39, 0
	;; [unrolled: 1-line block ×4, first 2 shown]
	s_cbranch_vccnz .LBB249_12
; %bb.11:                               ;   in Loop: Header=BB249_6 Depth=1
	s_and_b32 s25, s25, 0xffff
	buffer_load_dwordx4 v[46:49], v95, s[24:27], 0 offen
	buffer_load_dwordx4 v[42:45], v95, s[24:27], s64 offen
	;; [unrolled: 1-line block ×4, first 2 shown]
	v_mov_b32_e32 v144, v97
	v_mov_b32_e32 v143, v98
.LBB249_12:                             ;   in Loop: Header=BB249_6 Depth=1
	ds_read_b64 v[150:151], v115 offset:57344
	ds_read2_b64 v[50:53], v123 offset1:16
	ds_read_b64 v[152:153], v117 offset:57344
	ds_read_b64 v[154:155], v121 offset:57344
	ds_read_b64 v[156:157], v122 offset:57344
	s_waitcnt lgkmcnt(3)
	v_mfma_f32_16x16x16_bf16 a[0:3], v[150:151], v[50:51], a[0:3]
	v_mfma_f32_16x16x16_bf16 a[4:7], v[150:151], v[52:53], a[4:7]
	ds_read2_b64 v[50:53], v123 offset0:32 offset1:48
	ds_read2st64_b64 v[54:57], v123 offset0:4 offset1:8
	ds_read2st64_b64 v[58:61], v124 offset0:4 offset1:8
	;; [unrolled: 1-line block ×4, first 2 shown]
	s_waitcnt lgkmcnt(4)
	v_mfma_f32_16x16x16_bf16 a[8:11], v[150:151], v[50:51], a[8:11]
	v_mfma_f32_16x16x16_bf16 a[12:15], v[150:151], v[52:53], a[12:15]
	v_add_u32_e32 v150, s65, v91
	v_ashrrev_i32_e32 v50, 31, v150
	v_mul_lo_u32 v52, v50, s36
	v_mul_lo_u32 v53, v150, s37
	v_mad_u64_u32 v[50:51], s[24:25], v150, s36, 0
	v_add3_u32 v51, v51, v53, v52
	v_add_u32_e32 v52, 1, v150
	v_ashrrev_i32_e32 v53, 31, v52
	s_waitcnt lgkmcnt(3)
	v_mfma_f32_16x16x16_bf16 a[0:3], v[152:153], v[54:55], a[0:3]
	v_mul_lo_u32 v54, v53, s36
	v_mul_lo_u32 v55, v52, s37
	v_mad_u64_u32 v[52:53], s[24:25], v52, s36, 0
	v_add3_u32 v53, v53, v55, v54
	v_add_u32_e32 v54, 2, v150
	v_ashrrev_i32_e32 v55, 31, v54
	s_waitcnt lgkmcnt(2)
	v_mfma_f32_16x16x16_bf16 a[4:7], v[152:153], v[58:59], a[4:7]
	v_mul_lo_u32 v58, v55, s36
	v_mul_lo_u32 v59, v54, s37
	v_mad_u64_u32 v[54:55], s[24:25], v54, s36, 0
	v_add3_u32 v55, v55, v59, v58
	v_add_u32_e32 v58, 3, v150
	v_lshl_add_u64 v[50:51], v[50:51], 2, s[44:45]
	v_lshl_add_u64 v[52:53], v[52:53], 2, s[44:45]
	v_ashrrev_i32_e32 v59, 31, v58
	s_waitcnt lgkmcnt(1)
	v_mfma_f32_16x16x16_bf16 a[8:11], v[152:153], v[62:63], a[8:11]
	v_mul_lo_u32 v59, v59, s36
	global_load_dword v62, v[50:51], off
	v_mul_lo_u32 v63, v58, s37
	s_waitcnt lgkmcnt(0)
	v_mfma_f32_16x16x16_bf16 a[12:15], v[152:153], v[146:147], a[12:15]
	global_load_dword v146, v[52:53], off
	v_mad_u64_u32 v[50:51], s[24:25], v58, s36, 0
	v_add3_u32 v51, v51, v63, v59
	s_add_u32 s24, s4, s65
	v_lshl_add_u64 v[54:55], v[54:55], 2, s[44:45]
	v_lshl_add_u64 v[50:51], v[50:51], 2, s[44:45]
	s_addc_u32 s25, s5, 0
	global_load_dword v63, v[54:55], off
	global_load_dword v147, v[50:51], off
	s_lshl_b64 s[24:25], s[24:25], 8
	v_lshl_add_u64 v[50:51], v[80:81], 0, s[24:25]
	v_lshl_add_u64 v[50:51], v[50:51], 0, v[78:79]
	global_load_ushort v150, v[50:51], off offset:256
	global_load_ushort v151, v[50:51], off
	global_load_ushort v152, v[50:51], off offset:768
	global_load_ushort v153, v[50:51], off offset:512
	;; [unrolled: 1-line block ×6, first 2 shown]
	s_load_dword s46, s[46:47], 0x0
	v_mfma_f32_16x16x16_bf16 a[12:15], v[154:155], v[148:149], a[12:15]
	global_load_ushort v148, v[50:51], off offset:320
	global_load_ushort v149, v[50:51], off offset:64
	s_and_b64 vcc, exec, s[0:1]
	v_mfma_f32_16x16x16_bf16 a[0:3], v[154:155], v[56:57], a[0:3]
	ds_read_b64 v[52:53], v123 offset:6144
	ds_read_b64 v[54:55], v124 offset:6144
	;; [unrolled: 1-line block ×4, first 2 shown]
	v_mfma_f32_16x16x16_bf16 a[4:7], v[154:155], v[60:61], a[4:7]
	s_waitcnt vmcnt(11) lgkmcnt(0)
	v_sub_f32_e32 v60, s46, v63
	v_mfma_f32_16x16x16_bf16 a[8:11], v[154:155], v[64:65], a[8:11]
	global_load_ushort v154, v[50:51], off offset:832
	global_load_ushort v155, v[50:51], off offset:576
	;; [unrolled: 1-line block ×6, first 2 shown]
	v_mfma_f32_16x16x16_bf16 a[0:3], v[156:157], v[52:53], a[0:3]
	s_waitcnt vmcnt(16)
	v_sub_f32_e32 v61, s46, v147
	v_mul_f32_e32 v60, 0x3fb8aa3b, v60
	v_mul_f32_e32 v61, 0x3fb8aa3b, v61
	v_exp_f32_e32 v60, v60
	v_exp_f32_e32 v61, v61
	s_waitcnt vmcnt(15)
	v_lshlrev_b32_e32 v65, 16, v150
	s_waitcnt vmcnt(14)
	v_lshlrev_b32_e32 v64, 16, v151
	v_accvgpr_read_b32 v53, a3
	v_accvgpr_read_b32 v52, a2
	v_mfma_f32_16x16x16_bf16 a[2:5], v[156:157], v[54:55], a[4:7]
	v_mfma_f32_16x16x16_bf16 a[6:9], v[156:157], v[56:57], a[8:11]
	s_nop 5
	v_accvgpr_read_b32 v55, a5
	v_accvgpr_read_b32 v54, a4
	v_accvgpr_read_b32 v51, a9
	v_accvgpr_read_b32 v50, a8
	v_mfma_f32_16x16x16_bf16 a[8:11], v[156:157], v[58:59], a[12:15]
	v_sub_f32_e32 v58, s46, v62
	v_sub_f32_e32 v59, s46, v146
	v_mul_f32_e32 v58, 0x3fb8aa3b, v58
	v_mul_f32_e32 v59, 0x3fb8aa3b, v59
	v_exp_f32_e32 v58, v58
	v_exp_f32_e32 v59, v59
	v_accvgpr_read_b32 v147, a1
	v_accvgpr_read_b32 v146, a0
	v_lshl_add_u64 v[62:63], v[82:83], 0, s[24:25]
	v_pk_add_f32 v[64:65], v[64:65], v[146:147] neg_lo:[0,1] neg_hi:[0,1]
	s_waitcnt vmcnt(13)
	v_lshlrev_b32_e32 v147, 16, v152
	s_waitcnt vmcnt(12)
	v_lshlrev_b32_e32 v146, 16, v153
	v_lshl_add_u64 v[62:63], v[62:63], 0, v[78:79]
	v_pk_add_f32 v[52:53], v[146:147], v[52:53] neg_lo:[0,1] neg_hi:[0,1]
	global_store_short_d16_hi v[62:63], v64, off
	global_store_short_d16_hi v[62:63], v65, off offset:256
	global_store_short_d16_hi v[62:63], v52, off offset:512
	;; [unrolled: 1-line block ×3, first 2 shown]
	v_pk_mul_f32 v[64:65], v[58:59], v[64:65]
	v_pk_mul_f32 v[52:53], v[60:61], v[52:53]
	v_accvgpr_read_b32 v147, a3
	v_perm_b32 v53, v53, v52, s3
	v_perm_b32 v52, v65, v64, s3
	s_waitcnt vmcnt(15)
	v_lshlrev_b32_e32 v65, 16, v158
	s_waitcnt vmcnt(14)
	v_lshlrev_b32_e32 v64, 16, v159
	v_accvgpr_read_b32 v146, a2
	v_pk_add_f32 v[64:65], v[64:65], v[146:147] neg_lo:[0,1] neg_hi:[0,1]
	s_waitcnt vmcnt(13)
	v_lshlrev_b32_e32 v147, 16, v160
	s_waitcnt vmcnt(12)
	v_lshlrev_b32_e32 v146, 16, v161
	v_pk_add_f32 v[54:55], v[146:147], v[54:55] neg_lo:[0,1] neg_hi:[0,1]
	global_store_short_d16_hi v[62:63], v64, off offset:32
	global_store_short_d16_hi v[62:63], v65, off offset:288
	;; [unrolled: 1-line block ×4, first 2 shown]
	v_pk_mul_f32 v[64:65], v[58:59], v[64:65]
	v_pk_mul_f32 v[54:55], v[60:61], v[54:55]
	v_accvgpr_read_b32 v57, a11
	v_perm_b32 v55, v55, v54, s3
	v_perm_b32 v54, v65, v64, s3
	ds_write2_b64 v100, v[52:53], v[54:55] offset1:16
	v_accvgpr_read_b32 v55, a7
	s_waitcnt vmcnt(15)
	v_lshlrev_b32_e32 v53, 16, v148
	s_waitcnt vmcnt(14)
	v_lshlrev_b32_e32 v52, 16, v149
	v_accvgpr_read_b32 v54, a6
	v_pk_add_f32 v[52:53], v[52:53], v[54:55] neg_lo:[0,1] neg_hi:[0,1]
	global_store_short_d16_hi v[62:63], v52, off offset:64
	global_store_short_d16_hi v[62:63], v53, off offset:320
	v_pk_mul_f32 v[52:53], v[58:59], v[52:53]
	v_accvgpr_read_b32 v56, a10
	v_perm_b32 v52, v53, v52, s3
	v_mov_b32_e32 v146, 0
	v_mov_b32_e32 v64, 0
	;; [unrolled: 1-line block ×3, first 2 shown]
	s_waitcnt vmcnt(15)
	v_lshlrev_b32_e32 v55, 16, v154
	s_waitcnt vmcnt(14)
	v_lshlrev_b32_e32 v54, 16, v155
	v_pk_add_f32 v[50:51], v[54:55], v[50:51] neg_lo:[0,1] neg_hi:[0,1]
	global_store_short_d16_hi v[62:63], v50, off offset:576
	global_store_short_d16_hi v[62:63], v51, off offset:832
	v_pk_mul_f32 v[50:51], v[60:61], v[50:51]
	v_accvgpr_read_b32 v55, a9
	v_perm_b32 v53, v51, v50, s3
	s_waitcnt vmcnt(15)
	v_lshlrev_b32_e32 v51, 16, v162
	s_waitcnt vmcnt(14)
	v_lshlrev_b32_e32 v50, 16, v163
	v_accvgpr_read_b32 v54, a8
	v_pk_add_f32 v[50:51], v[50:51], v[54:55] neg_lo:[0,1] neg_hi:[0,1]
	s_waitcnt vmcnt(13)
	v_lshlrev_b32_e32 v55, 16, v164
	s_waitcnt vmcnt(12)
	v_lshlrev_b32_e32 v54, 16, v165
	v_pk_add_f32 v[54:55], v[54:55], v[56:57] neg_lo:[0,1] neg_hi:[0,1]
	global_store_short_d16_hi v[62:63], v50, off offset:96
	global_store_short_d16_hi v[62:63], v51, off offset:352
	;; [unrolled: 1-line block ×4, first 2 shown]
	v_pk_mul_f32 v[50:51], v[58:59], v[50:51]
	v_pk_mul_f32 v[54:55], v[60:61], v[54:55]
	v_mov_b32_e32 v56, 0
	v_perm_b32 v55, v55, v54, s3
	v_perm_b32 v54, v51, v50, s3
	ds_write2_b64 v100, v[52:53], v[54:55] offset0:32 offset1:48
	v_mov_b32_e32 v50, 0
	v_mov_b32_e32 v51, 0
	;; [unrolled: 1-line block ×13, first 2 shown]
	s_cbranch_vccnz .LBB249_14
; %bb.13:                               ;   in Loop: Header=BB249_6 Depth=1
	s_and_b32 s29, s29, 0xffff
	s_mov_b32 s31, s27
	buffer_load_dwordx4 v[62:65], v137, s[28:31], 0 offen
	buffer_load_dwordx4 v[54:57], v137, s[28:31], s64 offen
	;; [unrolled: 1-line block ×4, first 2 shown]
	v_mov_b32_e32 v145, v94
	v_mov_b32_e32 v146, v93
.LBB249_14:                             ;   in Loop: Header=BB249_6 Depth=1
	s_waitcnt lgkmcnt(0)
	s_barrier
	ds_read_b64 v[156:157], v77
	ds_read2_b64 v[148:151], v130 offset1:16
	ds_read_b64 v[172:173], v139
	ds_read_b64 v[174:175], v140
	;; [unrolled: 1-line block ×3, first 2 shown]
	ds_read2_b64 v[152:155], v130 offset0:32 offset1:48
	s_waitcnt lgkmcnt(4)
	v_mfma_f32_16x16x16_bf16 a[0:3], v[156:157], v[148:149], 0
	ds_read2st64_b64 v[160:163], v132 offset0:4 offset1:8
	ds_read2st64_b64 v[164:167], v133 offset0:4 offset1:8
	;; [unrolled: 1-line block ×3, first 2 shown]
	v_mfma_f32_16x16x16_bf16 a[4:7], v[156:157], v[150:151], 0
	s_add_i32 s24, s59, s71
	s_mul_hi_i32 s25, s24, s21
	s_mul_i32 s24, s24, s21
	s_waitcnt lgkmcnt(3)
	v_mfma_f32_16x16x16_bf16 a[8:11], v[156:157], v[152:153], 0
	s_add_u32 s24, s24, s52
	s_addc_u32 s25, s25, s53
	s_lshl_b64 s[24:25], s[24:25], 15
	v_mfma_f32_16x16x16_bf16 a[12:15], v[156:157], v[154:155], 0
	ds_read2st64_b64 v[156:159], v130 offset0:4 offset1:8
	s_waitcnt lgkmcnt(0)
	v_mfma_f32_16x16x16_bf16 a[0:3], v[172:173], v[156:157], a[0:3]
	v_mfma_f32_16x16x16_bf16 a[4:7], v[172:173], v[160:161], a[4:7]
	v_mfma_f32_16x16x16_bf16 a[8:11], v[172:173], v[164:165], a[8:11]
	v_mfma_f32_16x16x16_bf16 a[12:15], v[172:173], v[168:169], a[12:15]
	v_mfma_f32_16x16x16_bf16 a[0:3], v[174:175], v[158:159], a[0:3]
	v_mfma_f32_16x16x16_bf16 a[4:7], v[174:175], v[162:163], a[4:7]
	v_mfma_f32_16x16x16_bf16 a[8:11], v[174:175], v[166:167], a[8:11]
	v_mfma_f32_16x16x16_bf16 a[12:15], v[174:175], v[170:171], a[12:15]
	ds_read_b64 v[172:173], v130 offset:6144
	ds_read_b64 v[174:175], v131 offset:40960
	;; [unrolled: 1-line block ×8, first 2 shown]
	s_waitcnt lgkmcnt(5)
	v_mfma_f32_16x16x16_bf16 a[16:19], v[178:179], v[148:149], 0
	v_mfma_f32_16x16x16_bf16 a[20:23], v[178:179], v[150:151], 0
	ds_read2st64_b64 v[148:151], v127 offset1:8
	v_mfma_f32_16x16x16_bf16 a[24:27], v[178:179], v[152:153], 0
	v_mfma_f32_16x16x16_bf16 a[28:31], v[178:179], v[154:155], 0
	ds_read2st64_b64 v[152:155], v128 offset1:8
	v_mfma_f32_16x16x16_bf16 a[16:19], v[174:175], v[156:157], a[16:19]
	s_waitcnt lgkmcnt(1)
	v_mov_b32_e32 v156, v148
	v_mov_b32_e32 v157, v149
	v_mfma_f32_16x16x16_bf16 a[20:23], v[174:175], v[160:161], a[20:23]
	v_lshl_add_u64 v[160:161], v[84:85], 0, s[24:25]
	v_mfma_f32_16x16x16_bf16 a[24:27], v[174:175], v[164:165], a[24:27]
	v_mfma_f32_16x16x16_bf16 a[28:31], v[174:175], v[168:169], a[28:31]
	;; [unrolled: 1-line block ×3, first 2 shown]
	s_waitcnt lgkmcnt(0)
	v_mov_b32_e32 v158, v152
	v_mov_b32_e32 v159, v153
	;; [unrolled: 1-line block ×3, first 2 shown]
	v_mfma_f32_16x16x16_bf16 a[32:35], v[186:187], v[162:163], a[20:23]
	v_mov_b32_e32 v153, v151
	ds_read2st64_b64 v[148:151], v127 offset0:16 offset1:24
	global_store_dwordx4 v[160:161], v[156:159], off
	v_mfma_f32_16x16x16_bf16 a[24:27], v[186:187], v[166:167], a[24:27]
	ds_read2st64_b64 v[156:159], v128 offset0:16 offset1:24
	v_add_co_u32_e32 v162, vcc, s39, v160
	v_mfma_f32_16x16x16_bf16 a[28:31], v[186:187], v[170:171], a[28:31]
	s_nop 0
	v_addc_co_u32_e32 v163, vcc, 0, v161, vcc
	global_store_dwordx4 v[162:163], v[152:155], off offset:-4096
	v_mfma_f32_16x16x16_bf16 a[0:3], v[176:177], v[172:173], a[0:3]
	s_waitcnt lgkmcnt(1)
	v_mov_b32_e32 v152, v148
	v_add_co_u32_e32 v148, vcc, s41, v160
	v_mfma_f32_16x16x16_bf16 a[4:7], v[176:177], v[180:181], a[4:7]
	v_mov_b32_e32 v153, v149
	v_addc_co_u32_e32 v149, vcc, 0, v161, vcc
	v_mfma_f32_16x16x16_bf16 a[8:11], v[176:177], v[182:183], a[8:11]
	s_waitcnt lgkmcnt(0)
	v_mov_b32_e32 v154, v156
	v_mov_b32_e32 v155, v157
	;; [unrolled: 1-line block ×3, first 2 shown]
	v_mfma_f32_16x16x16_bf16 a[12:15], v[176:177], v[184:185], a[12:15]
	v_mov_b32_e32 v157, v151
	s_and_b64 vcc, exec, s[0:1]
	global_store_dwordx4 v[162:163], v[152:155], off
	v_mfma_f32_16x16x16_bf16 a[20:23], v[188:189], v[172:173], a[16:19]
	global_store_dwordx4 v[148:149], v[156:159], off
	v_mfma_f32_16x16x16_bf16 a[16:19], v[188:189], v[180:181], a[32:35]
	v_mfma_f32_16x16x16_bf16 a[24:27], v[188:189], v[182:183], a[24:27]
	;; [unrolled: 1-line block ×3, first 2 shown]
	s_cbranch_vccnz .LBB249_16
; %bb.15:                               ;   in Loop: Header=BB249_6 Depth=1
	v_lshrrev_b32_e32 v147, 3, v145
	v_and_b32_e32 v147, 6, v147
	v_xor_b32_e32 v146, v147, v146
	v_lshlrev_b32_e32 v146, 2, v146
	v_and_b32_e32 v145, 8, v145
	v_xor_b32_e32 v148, 0x440, v146
	v_cmp_eq_u32_e32 vcc, 0, v145
	s_barrier
	s_nop 0
	v_cndmask_b32_e32 v145, v148, v146, vcc
	v_lshl_or_b32 v145, v147, 10, v145
	s_waitcnt vmcnt(5)
	v_perm_b32 v146, v62, v58, s66
	s_waitcnt vmcnt(4)
	v_perm_b32 v147, v54, v50, s66
	ds_write2st64_b32 v145, v146, v147 offset0:128 offset1:160
	v_xor_b32_e32 v146, 8, v145
	v_perm_b32 v58, v62, v58, s67
	v_perm_b32 v50, v54, v50, s67
	v_add_u32_e32 v54, 0x80, v146
	ds_write2st64_b32 v54, v58, v50 offset0:128 offset1:160
	v_xor_b32_e32 v50, 16, v145
	v_perm_b32 v54, v63, v59, s66
	v_perm_b32 v58, v55, v51, s66
	ds_write2st64_b32 v50, v54, v58 offset0:129 offset1:161
	v_xor_b32_e32 v50, 24, v145
	v_perm_b32 v54, v63, v59, s67
	v_perm_b32 v51, v55, v51, s67
	v_add_u32_e32 v50, 0x80, v50
	ds_write2st64_b32 v50, v54, v51 offset0:129 offset1:161
	v_xor_b32_e32 v50, 32, v145
	v_perm_b32 v51, v64, v60, s66
	;; [unrolled: 9-line block ×3, first 2 shown]
	v_perm_b32 v52, v57, v53, s66
	ds_write2st64_b32 v50, v51, v52 offset0:131 offset1:163
	v_xor_b32_e32 v50, 56, v145
	v_perm_b32 v51, v65, v61, s67
	v_perm_b32 v52, v57, v53, s67
	v_add_u32_e32 v50, 0x80, v50
	ds_write2st64_b32 v50, v51, v52 offset0:131 offset1:163
	ds_write_b64 v144, v[46:47] offset:49152
	v_xor_b32_e32 v46, 8, v144
	ds_write_b64 v46, v[48:49] offset:49152
	ds_write_b64 v144, v[42:43] offset:57344
	;; [unrolled: 1-line block ×4, first 2 shown]
	v_xor_b32_e32 v38, 8, v143
	ds_write_b64 v38, v[40:41] offset:49152
	ds_write_b64 v143, v[34:35] offset:57344
	ds_write_b64 v38, v[36:37] offset:57344
.LBB249_16:                             ;   in Loop: Header=BB249_6 Depth=1
	s_waitcnt vmcnt(6)
	v_mul_f32_e32 v54, s46, v142
	v_exp_f32_e32 v144, v54
	v_accvgpr_read_b32 v37, a3
	v_accvgpr_read_b32 v41, a7
	;; [unrolled: 1-line block ×4, first 2 shown]
	s_waitcnt vmcnt(4)
	v_accvgpr_read_b32 v53, a23
	v_accvgpr_read_b32 v57, a19
	;; [unrolled: 1-line block ×28, first 2 shown]
	s_add_i32 s65, s65, 64
	v_pk_fma_f32 v[6:7], v[6:7], v[144:145], v[34:35] op_sel_hi:[1,0,1]
	v_pk_fma_f32 v[8:9], v[8:9], v[144:145], v[36:37] op_sel_hi:[1,0,1]
	;; [unrolled: 1-line block ×15, first 2 shown]
	s_cmp_eq_u32 s56, s70
	v_pk_fma_f32 v[28:29], v[28:29], v[144:145], v[64:65] op_sel_hi:[1,0,1]
	s_cbranch_scc1 .LBB249_18
; %bb.17:                               ;   in Loop: Header=BB249_6 Depth=1
	s_mov_b32 s71, s70
	s_branch .LBB249_6
.LBB249_18:
	s_lshl_b32 s30, s56, 6
	s_sub_i32 s31, s20, s30
	s_cmp_gt_i32 s31, 0
	s_cbranch_scc0 .LBB249_99
; %bb.19:
	s_ashr_i32 s3, s30, 31
	s_cmpk_lg_i32 s23, 0x80
	s_cselect_b64 s[26:27], -1, 0
	s_and_b64 vcc, exec, s[26:27]
	s_cbranch_vccz .LBB249_21
; %bb.20:
	s_mul_i32 s1, s55, s20
	s_mul_hi_i32 s0, s55, s20
	s_add_u32 s1, s1, s30
	s_addc_u32 s0, s0, s3
	s_mul_i32 s5, s1, s57
	s_mul_hi_u32 s24, s1, s22
	s_add_i32 s5, s24, s5
	s_mul_i32 s0, s0, s22
	s_add_i32 s5, s5, s0
	s_mul_i32 s1, s1, s22
	s_ashr_i32 s0, s58, 31
	s_add_u32 s28, s1, s58
	s_addc_u32 s29, s5, s0
	s_cbranch_execz .LBB249_22
	s_branch .LBB249_23
.LBB249_21:
                                        ; implicit-def: $sgpr28_sgpr29
.LBB249_22:
	s_mul_hi_i32 s0, s55, s22
	s_mul_i32 s55, s55, s22
	s_ashr_i32 s1, s58, 31
	s_add_u32 s5, s55, s58
	s_addc_u32 s0, s0, s1
	s_mul_i32 s1, s5, s54
	s_mul_hi_u32 s22, s5, s20
	s_add_i32 s1, s22, s1
	s_mul_i32 s0, s0, s20
	s_add_i32 s1, s1, s0
	s_mul_i32 s5, s5, s20
	s_add_u32 s28, s5, s30
	s_addc_u32 s29, s1, s3
.LBB249_23:
	s_mul_i32 s0, s42, s54
	s_add_i32 s0, s61, s0
	s_add_i32 s5, s59, s56
	;; [unrolled: 1-line block ×3, first 2 shown]
	s_add_u32 s0, s4, s30
	v_lshlrev_b32_e32 v38, 6, v91
	v_lshlrev_b32_e32 v56, 2, v88
	s_addc_u32 s1, s1, s3
	s_mov_b32 s3, 0x7060302
	v_or_b32_e32 v41, v38, v56
	v_xor_b32_e32 v39, v91, v56
	s_waitcnt vmcnt(7)
	v_perm_b32 v35, v9, v8, s3
	v_perm_b32 v34, v7, v6, s3
	s_waitcnt vmcnt(6)
	v_perm_b32 v37, v5, v4, s3
	v_perm_b32 v36, v3, v2, s3
	v_lshlrev_b32_e32 v41, 1, v41
	v_xor_b32_e32 v40, v92, v56
	ds_write2st64_b64 v41, v[34:35], v[36:37] offset0:32 offset1:48
	v_lshlrev_b32_e32 v39, 1, v39
	v_lshlrev_b32_e32 v41, 8, v88
	v_or_b32_e32 v42, v39, v41
	v_lshlrev_b32_e32 v40, 1, v40
	ds_write_b64 v42, v[34:35]
	v_or_b32_e32 v34, v40, v41
	v_or_b32_e32 v41, 16, v88
	v_lshlrev_b32_e32 v55, 2, v41
	v_or_b32_e32 v42, v38, v55
	ds_write_b64 v34, v[36:37]
	s_waitcnt vmcnt(5)
	v_perm_b32 v35, v17, v16, s3
	v_perm_b32 v34, v15, v14, s3
	s_waitcnt vmcnt(4)
	v_perm_b32 v37, v13, v12, s3
	v_perm_b32 v36, v11, v10, s3
	v_lshlrev_b32_e32 v42, 1, v42
	v_lshlrev_b32_e32 v41, 8, v41
	ds_write2st64_b64 v42, v[34:35], v[36:37] offset0:32 offset1:48
	v_or_b32_e32 v42, v39, v41
	ds_write_b64 v42, v[34:35]
	v_or_b32_e32 v34, v40, v41
	v_or_b32_e32 v41, 32, v88
	v_lshlrev_b32_e32 v54, 2, v41
	v_or_b32_e32 v42, v38, v54
	ds_write_b64 v34, v[36:37]
	s_waitcnt vmcnt(3)
	v_perm_b32 v35, v25, v24, s3
	v_perm_b32 v34, v23, v22, s3
	s_waitcnt vmcnt(2)
	v_perm_b32 v37, v21, v20, s3
	v_perm_b32 v36, v19, v18, s3
	v_lshlrev_b32_e32 v42, 1, v42
	v_lshlrev_b32_e32 v41, 8, v41
	s_lshl_b64 s[24:25], s[0:1], 8
	ds_write2st64_b64 v42, v[34:35], v[36:37] offset0:32 offset1:48
	v_or_b32_e32 v42, v39, v41
	s_waitcnt lgkmcnt(0)
	s_add_u32 s0, s14, s24
	ds_write_b64 v42, v[34:35]
	v_or_b32_e32 v34, v40, v41
	s_addc_u32 s1, s15, s25
	ds_write_b64 v34, v[36:37]
	s_waitcnt vmcnt(1)
	v_perm_b32 v35, v33, v32, s3
	v_perm_b32 v34, v31, v30, s3
	s_waitcnt vmcnt(0)
	v_perm_b32 v37, v29, v28, s3
	v_perm_b32 v36, v27, v26, s3
	v_or_b32_e32 v41, 48, v88
	s_mul_hi_i32 s3, s5, s21
	s_mul_i32 s5, s5, s21
	v_lshlrev_b32_e32 v51, 2, v41
	s_add_u32 s4, s5, s52
	v_or_b32_e32 v38, v38, v51
	s_addc_u32 s5, s3, s53
	v_lshlrev_b32_e32 v38, 1, v38
	s_ashr_i32 s3, s2, 31
	s_lshl_b64 s[4:5], s[4:5], 15
	ds_write2st64_b64 v38, v[34:35], v[36:37] offset0:32 offset1:48
	v_lshlrev_b32_e32 v38, 8, v41
	s_add_u32 s4, s6, s4
	v_or_b32_e32 v39, v39, v38
	s_addc_u32 s5, s7, s5
	s_lshl_b64 s[2:3], s[2:3], 8
	ds_write_b64 v39, v[34:35]
	v_or_b32_e32 v34, v40, v38
	s_add_u32 s2, s4, s2
	v_lshlrev_b32_e32 v35, 1, v88
	ds_write_b64 v34, v[36:37]
	v_lshrrev_b32_e32 v34, 4, v0
	s_addc_u32 s3, s5, s3
	v_or_b32_e32 v36, 1, v35
	v_lshlrev_b32_e32 v42, 4, v88
	v_mov_b32_e32 v43, 0
	v_xor_b32_e32 v35, v34, v35
	v_xor_b32_e32 v38, v36, v34
	v_lshl_add_u64 v[44:45], s[2:3], 0, v[42:43]
	v_lshlrev_b32_e32 v42, 8, v34
	v_lshl_or_b32 v48, v35, 3, v42
	v_lshl_or_b32 v49, v38, 3, v42
	s_waitcnt lgkmcnt(0)
	s_barrier
	ds_read2st64_b64 v[34:37], v48 offset1:8
	ds_read2st64_b64 v[38:41], v49 offset1:8
	v_lshl_add_u64 v[46:47], v[44:45], 0, v[42:43]
	s_movk_i32 s2, 0x2000
	s_cmp_lg_u32 s31, 64
	s_waitcnt lgkmcnt(1)
	v_mov_b32_e32 v42, v34
	v_mov_b32_e32 v43, v35
	s_waitcnt lgkmcnt(0)
	v_mov_b32_e32 v44, v38
	v_mov_b32_e32 v45, v39
	global_store_dwordx4 v[46:47], v[42:45], off
	v_mov_b32_e32 v38, v36
	v_mov_b32_e32 v39, v37
	ds_read2st64_b64 v[34:37], v48 offset0:16 offset1:24
	ds_read2st64_b64 v[42:45], v49 offset0:16 offset1:24
	v_add_co_u32_e32 v48, vcc, s2, v46
	s_cselect_b64 s[14:15], -1, 0
	s_nop 0
	v_addc_co_u32_e32 v49, vcc, 0, v47, vcc
	global_store_dwordx4 v[48:49], v[38:41], off offset:-4096
	v_lshl_or_b32 v62, v1, 3, v90
	s_mov_b32 s4, 0
	s_waitcnt lgkmcnt(1)
	v_mov_b32_e32 v38, v34
	v_add_co_u32_e32 v34, vcc, 0x3000, v46
	v_mov_b32_e32 v39, v35
	s_nop 0
	v_addc_co_u32_e32 v35, vcc, 0, v47, vcc
	s_waitcnt lgkmcnt(0)
	v_mov_b32_e32 v40, v42
	v_mov_b32_e32 v41, v43
	;; [unrolled: 1-line block ×4, first 2 shown]
	v_or_b32_e32 v52, 32, v62
	v_and_b32_e32 v50, 56, v89
	s_and_b64 vcc, exec, s[14:15]
	global_store_dwordx4 v[48:49], v[38:41], off
	global_store_dwordx4 v[34:35], v[42:45], off
	s_cbranch_vccz .LBB249_29
; %bb.24:
	s_mov_b32 s6, s4
	s_mov_b32 s7, s4
	;; [unrolled: 1-line block ×3, first 2 shown]
	v_mov_b64_e32 v[40:41], s[6:7]
	v_mov_b64_e32 v[38:39], s[4:5]
	;; [unrolled: 1-line block ×3, first 2 shown]
	v_cmp_gt_i32_e32 vcc, s31, v62
	v_mov_b64_e32 v[36:37], v[40:41]
	s_and_saveexec_b64 s[2:3], vcc
	s_cbranch_execz .LBB249_26
; %bb.25:
	v_lshlrev_b32_e32 v34, 8, v62
	v_mov_b32_e32 v35, 0
	v_lshl_add_u64 v[36:37], s[0:1], 0, v[34:35]
	v_lshlrev_b32_e32 v34, 1, v50
	v_lshl_add_u64 v[42:43], v[36:37], 0, v[34:35]
	global_load_dwordx4 v[38:41], v[42:43], off
	global_load_dwordx4 v[34:37], v[42:43], off offset:128
.LBB249_26:
	s_or_b64 exec, exec, s[2:3]
	s_mov_b32 s6, s4
	s_mov_b32 s7, s4
	s_mov_b32 s5, s4
	v_mov_b64_e32 v[48:49], s[6:7]
	v_mov_b64_e32 v[46:47], s[4:5]
	;; [unrolled: 1-line block ×3, first 2 shown]
	v_cmp_gt_i32_e32 vcc, s31, v52
	v_lshlrev_b32_e32 v53, 7, v52
	v_mov_b64_e32 v[44:45], v[48:49]
	s_and_saveexec_b64 s[2:3], vcc
	s_cbranch_execz .LBB249_28
; %bb.27:
	v_lshlrev_b32_e32 v42, 1, v53
	v_mov_b32_e32 v43, 0
	v_lshl_add_u64 v[44:45], s[0:1], 0, v[42:43]
	v_lshlrev_b32_e32 v42, 1, v50
	v_lshl_add_u64 v[58:59], v[44:45], 0, v[42:43]
	global_load_dwordx4 v[46:49], v[58:59], off
	global_load_dwordx4 v[42:45], v[58:59], off offset:128
.LBB249_28:
	s_or_b64 exec, exec, s[2:3]
	v_lshrrev_b32_e32 v57, 3, v50
	v_lshlrev_b32_e32 v58, 3, v62
	v_or_b32_e32 v57, v58, v57
	v_lshlrev_b32_e32 v57, 4, v57
	v_and_b32_e32 v58, 0x78, v58
	v_xor_b32_e32 v57, v57, v58
	s_branch .LBB249_31
.LBB249_29:
                                        ; implicit-def: $vgpr57
                                        ; implicit-def: $vgpr53
                                        ; implicit-def: $vgpr38_vgpr39_vgpr40_vgpr41
                                        ; implicit-def: $vgpr34_vgpr35_vgpr36_vgpr37
                                        ; implicit-def: $vgpr46_vgpr47_vgpr48_vgpr49
                                        ; implicit-def: $vgpr42_vgpr43_vgpr44_vgpr45
	s_cbranch_execz .LBB249_31
; %bb.30:
	s_waitcnt vmcnt(0)
	v_lshlrev_b32_e32 v34, 1, v50
	v_lshl_or_b32 v53, v62, 8, v34
	s_and_b32 s1, s1, 0xffff
	s_mov_b32 s3, 0x20000
	s_movk_i32 s2, 0x4000
	v_lshl_or_b32 v57, v52, 8, v34
	s_movk_i32 s4, 0x80
	buffer_load_dwordx4 v[38:41], v53, s[0:3], 0 offen
	buffer_load_dwordx4 v[34:37], v53, s[0:3], s4 offen
	;; [unrolled: 1-line block ×4, first 2 shown]
	v_lshrrev_b32_e32 v53, 3, v50
	v_lshlrev_b32_e32 v57, 3, v62
	v_or_b32_e32 v53, v57, v53
	v_lshlrev_b32_e32 v53, 4, v53
	v_and_b32_e32 v57, 0x78, v57
	v_xor_b32_e32 v57, v53, v57
	v_lshlrev_b32_e32 v53, 7, v52
.LBB249_31:
	s_movk_i32 s0, 0x1000
	v_and_or_b32 v52, v53, s0, v57
	s_waitcnt vmcnt(1)
	ds_write_b64 v57, v[38:39] offset:49152
	v_xor_b32_e32 v38, 8, v57
	ds_write_b64 v38, v[40:41] offset:49152
	s_waitcnt vmcnt(0)
	ds_write_b64 v57, v[34:35] offset:57344
	ds_write_b64 v38, v[36:37] offset:57344
	;; [unrolled: 1-line block ×3, first 2 shown]
	v_xor_b32_e32 v34, 8, v52
	ds_write_b64 v34, v[48:49] offset:49152
	ds_write_b64 v52, v[42:43] offset:57344
	;; [unrolled: 1-line block ×3, first 2 shown]
	v_or_b32_e32 v34, v86, v88
	v_lshlrev_b32_e32 v34, 3, v34
	v_lshrrev_b32_e32 v35, 5, v67
	s_movk_i32 s0, 0xf8
	v_and_or_b32 v35, v34, s0, v35
	v_lshlrev_b32_e32 v39, 4, v35
	v_lshlrev_b32_e32 v57, 11, v1
	v_and_b32_e32 v40, 0x78, v34
	v_or_b32_e32 v42, 32, v39
	v_and_b32_e32 v38, 0x1000, v57
	v_lshrrev_b32_e32 v35, 1, v67
	v_xor_b32_e32 v42, v42, v40
	v_xor_b32_e32 v34, v39, v40
	v_and_b32_e32 v41, 8, v35
	v_or_b32_e32 v42, v42, v38
	v_or_b32_e32 v34, v34, v38
	v_xor_b32_e32 v64, v42, v41
	v_or_b32_e32 v42, 64, v39
	v_xor_b32_e32 v63, v34, v41
	v_xor_b32_e32 v42, v42, v40
	s_waitcnt lgkmcnt(0)
	s_barrier
	v_or_b32_e32 v45, v42, v38
	ds_read_b64 v[42:43], v63 offset:49152
	v_lshl_or_b32 v46, v87, 8, v56
	v_lshlrev_b32_e32 v58, 1, v46
	v_add_u32_e32 v44, 0x4000, v58
	ds_read2_b64 v[34:37], v44 offset1:16
	v_or_b32_e32 v39, 0x60, v39
	v_xor_b32_e32 v39, v39, v40
	v_or_b32_e32 v38, v39, v38
	v_xor_b32_e32 v65, v45, v41
	v_xor_b32_e32 v77, v38, v41
	ds_read_b64 v[52:53], v64 offset:49152
	ds_read_b64 v[78:79], v65 offset:49152
	;; [unrolled: 1-line block ×3, first 2 shown]
	s_waitcnt lgkmcnt(3)
	v_mfma_f32_16x16x16_bf16 a[0:3], v[42:43], v[34:35], 0
	ds_read2st64_b64 v[38:41], v58 offset0:36 offset1:40
	s_lshl_b64 s[0:1], s[28:29], 8
	s_add_u32 s4, s12, s0
	v_mfma_f32_16x16x16_bf16 a[4:7], v[42:43], v[36:37], 0
	ds_read2_b64 v[34:37], v44 offset0:32 offset1:48
	s_addc_u32 s5, s13, s1
	s_add_i32 s1, s48, s33
	s_waitcnt lgkmcnt(0)
	v_mfma_f32_16x16x16_bf16 a[8:11], v[42:43], v[34:35], 0
	v_or_b32_e32 v34, 64, v46
	v_lshlrev_b32_e32 v59, 1, v34
	s_add_i32 s0, s20, -1
	v_mfma_f32_16x16x16_bf16 a[12:15], v[42:43], v[36:37], 0
	ds_read2st64_b64 v[34:37], v59 offset0:36 offset1:40
	s_add_i32 s41, s1, s43
	s_add_i32 s1, s50, s49
	v_mfma_f32_16x16x16_bf16 a[0:3], v[52:53], v[38:39], a[0:3]
	v_or_b32_e32 v38, 0x80, v46
	v_lshlrev_b32_e32 v60, 1, v38
	ds_read2st64_b64 v[42:45], v60 offset0:36 offset1:40
	s_waitcnt lgkmcnt(1)
	v_mfma_f32_16x16x16_bf16 a[4:7], v[52:53], v[34:35], a[4:7]
	v_or_b32_e32 v34, 0xc0, v46
	v_lshlrev_b32_e32 v61, 1, v34
	ds_read2st64_b64 v[46:49], v61 offset0:36 offset1:40
	s_add_i32 s39, s1, s51
	s_ashr_i32 s1, s0, 31
	s_mul_i32 s2, s0, s37
	s_mul_hi_u32 s3, s0, s36
	s_add_i32 s2, s3, s2
	s_mul_i32 s1, s1, s36
	s_waitcnt lgkmcnt(1)
	v_mfma_f32_16x16x16_bf16 a[8:11], v[52:53], v[42:43], a[8:11]
	s_add_i32 s1, s2, s1
	s_lshl_b64 s[2:3], s[40:41], 2
	s_add_u32 s6, s18, s2
	s_waitcnt lgkmcnt(0)
	v_mfma_f32_16x16x16_bf16 a[12:15], v[52:53], v[46:47], a[12:15]
	s_addc_u32 s7, s19, s3
	s_lshl_b64 s[2:3], s[38:39], 2
	s_mul_i32 s0, s0, s36
	v_mfma_f32_16x16x16_bf16 a[0:3], v[78:79], v[40:41], a[0:3]
	ds_read_b64 v[34:35], v58 offset:22528
	s_add_u32 s12, s6, s2
	s_addc_u32 s13, s7, s3
	v_mfma_f32_16x16x16_bf16 a[4:7], v[78:79], v[36:37], a[4:7]
	ds_read_b64 v[36:37], v59 offset:22528
	ds_read_b64 v[38:39], v60 offset:22528
	;; [unrolled: 1-line block ×3, first 2 shown]
	s_lshl_b64 s[0:1], s[0:1], 2
	s_add_u32 s0, s12, s0
	v_mfma_f32_16x16x16_bf16 a[8:11], v[78:79], v[44:45], a[8:11]
	s_addc_u32 s1, s13, s1
	s_load_dword s18, s[0:1], 0x0
	s_and_b64 vcc, exec, s[26:27]
	v_mfma_f32_16x16x16_bf16 a[12:15], v[78:79], v[48:49], a[12:15]
	s_waitcnt lgkmcnt(0)
	v_mfma_f32_16x16x16_bf16 a[0:3], v[80:81], v[34:35], a[0:3]
	v_mfma_f32_16x16x16_bf16 a[4:7], v[80:81], v[36:37], a[4:7]
	;; [unrolled: 1-line block ×4, first 2 shown]
	s_cbranch_vccz .LBB249_42
; %bb.32:
	v_lshlrev_b32_e32 v52, 1, v62
	s_and_b64 vcc, exec, s[14:15]
	s_cbranch_vccz .LBB249_43
; %bb.33:
	v_cmp_gt_i32_e32 vcc, s31, v52
	v_mov_b32_e32 v38, 0
	v_mov_b32_e32 v34, 0
	;; [unrolled: 1-line block ×5, first 2 shown]
	s_and_saveexec_b64 s[0:1], vcc
	s_cbranch_execz .LBB249_35
; %bb.34:
	v_mad_i64_i32 v[34:35], s[2:3], s23, v52, 0
	v_lshl_add_u64 v[34:35], v[34:35], 1, s[4:5]
	v_lshlrev_b32_e32 v36, 1, v50
	v_mov_b32_e32 v37, 0
	v_lshl_add_u64 v[34:35], v[34:35], 0, v[36:37]
	global_load_dwordx4 v[34:37], v[34:35], off
.LBB249_35:
	s_or_b64 exec, exec, s[0:1]
	v_or_b32_e32 v53, 1, v52
	v_cmp_gt_i32_e64 s[0:1], s31, v53
	v_mov_b32_e32 v39, 0
	v_mov_b32_e32 v40, 0
	;; [unrolled: 1-line block ×3, first 2 shown]
	s_and_saveexec_b64 s[2:3], s[0:1]
	s_cbranch_execz .LBB249_37
; %bb.36:
	v_mad_i64_i32 v[38:39], s[6:7], s23, v53, 0
	v_lshl_add_u64 v[38:39], v[38:39], 1, s[4:5]
	v_lshlrev_b32_e32 v40, 1, v50
	v_mov_b32_e32 v41, 0
	v_lshl_add_u64 v[38:39], v[38:39], 0, v[40:41]
	global_load_dwordx4 v[38:41], v[38:39], off
.LBB249_37:
	s_or_b64 exec, exec, s[2:3]
	v_mov_b32_e32 v49, 0
	v_mov_b32_e32 v42, 0
	;; [unrolled: 1-line block ×5, first 2 shown]
	s_and_saveexec_b64 s[2:3], vcc
	s_cbranch_execz .LBB249_39
; %bb.38:
	v_mad_i64_i32 v[42:43], s[6:7], s23, v52, 0
	v_lshl_add_u64 v[42:43], v[42:43], 1, s[4:5]
	v_lshlrev_b32_e32 v44, 1, v50
	v_mov_b32_e32 v45, 0
	v_lshl_add_u64 v[42:43], v[42:43], 0, v[44:45]
	global_load_dwordx4 v[42:45], v[42:43], off offset:128
.LBB249_39:
	s_or_b64 exec, exec, s[2:3]
	v_mov_b32_e32 v48, 0
	v_mov_b32_e32 v47, 0
	;; [unrolled: 1-line block ×3, first 2 shown]
	s_and_saveexec_b64 s[2:3], s[0:1]
	s_cbranch_execz .LBB249_41
; %bb.40:
	v_mad_i64_i32 v[46:47], s[0:1], s23, v53, 0
	v_lshl_add_u64 v[46:47], v[46:47], 1, s[4:5]
	v_lshlrev_b32_e32 v48, 1, v50
	v_mov_b32_e32 v49, 0
	v_lshl_add_u64 v[46:47], v[46:47], 0, v[48:49]
	global_load_dwordx4 v[46:49], v[46:47], off offset:128
.LBB249_41:
	s_or_b64 exec, exec, s[2:3]
	s_branch .LBB249_45
.LBB249_42:
                                        ; implicit-def: $vgpr37
                                        ; implicit-def: $vgpr41
                                        ; implicit-def: $vgpr45
                                        ; implicit-def: $vgpr49
	v_lshrrev_b32_e32 v67, 2, v67
	s_branch .LBB249_46
.LBB249_43:
                                        ; implicit-def: $vgpr37
                                        ; implicit-def: $vgpr41
                                        ; implicit-def: $vgpr45
                                        ; implicit-def: $vgpr49
	s_cbranch_execz .LBB249_45
; %bb.44:
	s_waitcnt vmcnt(0)
	v_mad_u64_u32 v[34:35], s[0:1], v52, s23, v[50:51]
	v_lshlrev_b32_e32 v52, 1, v34
	s_lshl_b32 s2, s23, 7
	s_and_b32 s1, s5, 0xffff
	s_mov_b32 s3, 0x20000
	s_mov_b32 s0, s4
	v_add_lshl_u32 v53, v34, s23, 1
	s_movk_i32 s6, 0x80
	buffer_load_dwordx4 v[34:37], v52, s[0:3], 0 offen
	buffer_load_dwordx4 v[42:45], v52, s[0:3], s6 offen
	;; [unrolled: 1-line block ×4, first 2 shown]
.LBB249_45:
	v_lshrrev_b32_e32 v67, 2, v67
	s_cbranch_execnz .LBB249_58
.LBB249_46:
	s_and_b64 vcc, exec, s[14:15]
	s_cbranch_vccz .LBB249_56
; %bb.47:
	s_waitcnt vmcnt(0)
	v_lshlrev_b32_e32 v39, 1, v62
	v_cmp_gt_i32_e32 vcc, s31, v39
	v_mov_b32_e32 v38, 0
	v_lshlrev_b32_e32 v46, 9, v62
	v_mov_b32_e32 v34, 0
	v_mov_b32_e32 v35, 0
	;; [unrolled: 1-line block ×4, first 2 shown]
	s_and_saveexec_b64 s[0:1], vcc
	s_cbranch_execz .LBB249_49
; %bb.48:
	v_mov_b32_e32 v47, 0
	v_lshl_add_u64 v[34:35], s[4:5], 0, v[46:47]
	v_lshlrev_b32_e32 v36, 1, v50
	v_mov_b32_e32 v37, v47
	v_lshl_add_u64 v[34:35], v[34:35], 0, v[36:37]
	global_load_dwordx4 v[34:37], v[34:35], off
.LBB249_49:
	s_or_b64 exec, exec, s[0:1]
	v_or_b32_e32 v39, 1, v39
	v_cmp_gt_i32_e64 s[0:1], s31, v39
	v_lshlrev_b32_e32 v52, 8, v39
	v_mov_b32_e32 v39, 0
	v_mov_b32_e32 v40, 0
	;; [unrolled: 1-line block ×3, first 2 shown]
	s_and_saveexec_b64 s[2:3], s[0:1]
	s_cbranch_execz .LBB249_51
; %bb.50:
	v_mov_b32_e32 v53, 0
	v_lshl_add_u64 v[38:39], s[4:5], 0, v[52:53]
	v_lshlrev_b32_e32 v40, 1, v50
	v_mov_b32_e32 v41, v53
	v_lshl_add_u64 v[38:39], v[38:39], 0, v[40:41]
	global_load_dwordx4 v[38:41], v[38:39], off
.LBB249_51:
	s_or_b64 exec, exec, s[2:3]
	v_mov_b32_e32 v49, 0
	v_mov_b32_e32 v42, 0
	v_mov_b32_e32 v43, 0
	v_mov_b32_e32 v44, 0
	v_mov_b32_e32 v45, 0
	s_and_saveexec_b64 s[2:3], vcc
	s_cbranch_execz .LBB249_53
; %bb.52:
	v_mov_b32_e32 v47, 0
	v_lshl_add_u64 v[42:43], s[4:5], 0, v[46:47]
	v_lshlrev_b32_e32 v46, 1, v50
	v_lshl_add_u64 v[42:43], v[42:43], 0, v[46:47]
	global_load_dwordx4 v[42:45], v[42:43], off offset:128
.LBB249_53:
	s_or_b64 exec, exec, s[2:3]
	v_mov_b32_e32 v48, 0
	v_mov_b32_e32 v47, 0
	;; [unrolled: 1-line block ×3, first 2 shown]
	s_and_saveexec_b64 s[2:3], s[0:1]
	s_cbranch_execz .LBB249_55
; %bb.54:
	v_mov_b32_e32 v53, 0
	v_lshl_add_u64 v[46:47], s[4:5], 0, v[52:53]
	v_lshlrev_b32_e32 v52, 1, v50
	v_lshl_add_u64 v[46:47], v[46:47], 0, v[52:53]
	global_load_dwordx4 v[46:49], v[46:47], off offset:128
.LBB249_55:
	s_or_b64 exec, exec, s[2:3]
	s_branch .LBB249_58
.LBB249_56:
                                        ; implicit-def: $vgpr37
                                        ; implicit-def: $vgpr41
                                        ; implicit-def: $vgpr45
                                        ; implicit-def: $vgpr49
	s_cbranch_execz .LBB249_58
; %bb.57:
	s_waitcnt vmcnt(0)
	v_lshlrev_b32_e32 v34, 1, v50
	v_lshl_or_b32 v50, v62, 9, v34
	s_and_b32 s5, s5, 0xffff
	s_mov_b32 s7, 0x20000
	s_movk_i32 s6, 0x4000
	s_movk_i32 s0, 0x80
	buffer_load_dwordx4 v[34:37], v50, s[4:7], 0 offen
	buffer_load_dwordx4 v[38:41], v50, s[4:7], 0 offen offset:256
	buffer_load_dwordx4 v[42:45], v50, s[4:7], s0 offen
	buffer_load_dwordx4 v[46:49], v50, s[4:7], s0 offen offset:256
.LBB249_58:
	ds_read_b64 v[52:53], v63 offset:57344
	v_add_u32_e32 v50, 0x6000, v58
	ds_read2_b64 v[78:81], v50 offset1:16
	ds_read_b64 v[96:97], v64 offset:57344
	ds_read_b64 v[64:65], v65 offset:57344
	;; [unrolled: 1-line block ×3, first 2 shown]
	ds_read2st64_b64 v[82:85], v58 offset0:52 offset1:56
	v_and_b32_e32 v63, 1, v0
	v_cmp_eq_u32_e32 vcc, 0, v63
	s_mov_b32 s0, 0x1000504
	s_waitcnt vmcnt(0)
	v_perm_b32 v63, v42, v46, s0
	s_mov_b32 s1, 0x3020706
	s_waitcnt lgkmcnt(4)
	v_mfma_f32_16x16x16_bf16 a[0:3], v[52:53], v[78:79], a[0:3]
	v_mfma_f32_16x16x16_bf16 a[4:7], v[52:53], v[80:81], a[4:7]
	ds_read2_b64 v[78:81], v50 offset0:32 offset1:48
	v_and_b32_e32 v50, 6, v0
	v_xor_b32_e32 v62, v62, v50
	s_waitcnt lgkmcnt(0)
	v_mfma_f32_16x16x16_bf16 a[8:11], v[52:53], v[78:79], a[8:11]
	v_lshlrev_b32_e32 v62, 2, v62
	v_xor_b32_e32 v77, 0x440, v62
	v_cndmask_b32_e32 v62, v77, v62, vcc
	v_mfma_f32_16x16x16_bf16 a[12:15], v[52:53], v[80:81], a[12:15]
	ds_read2st64_b64 v[78:81], v59 offset0:52 offset1:56
	ds_read2st64_b64 v[88:91], v60 offset0:52 offset1:56
	;; [unrolled: 1-line block ×3, first 2 shown]
	v_lshl_or_b32 v50, v50, 10, v62
	v_perm_b32 v62, v34, v38, s0
	v_mfma_f32_16x16x16_bf16 a[0:3], v[96:97], v[82:83], a[0:3]
	ds_read_b64 v[52:53], v58 offset:30720
	ds_read_b64 v[82:83], v59 offset:30720
	;; [unrolled: 1-line block ×4, first 2 shown]
	ds_write2st64_b32 v50, v62, v63 offset0:128 offset1:160
	v_xor_b32_e32 v62, 8, v50
	s_waitcnt lgkmcnt(7)
	v_mfma_f32_16x16x16_bf16 a[4:7], v[96:97], v[78:79], a[4:7]
	v_perm_b32 v34, v34, v38, s1
	v_perm_b32 v38, v42, v46, s1
	v_add_u32_e32 v42, 0x80, v62
	s_waitcnt lgkmcnt(6)
	v_mfma_f32_16x16x16_bf16 a[8:11], v[96:97], v[88:89], a[8:11]
	ds_write2st64_b32 v42, v34, v38 offset0:128 offset1:160
	v_xor_b32_e32 v34, 16, v50
	v_perm_b32 v38, v35, v39, s0
	s_waitcnt lgkmcnt(6)
	v_mfma_f32_16x16x16_bf16 a[12:15], v[96:97], v[92:93], a[12:15]
	v_perm_b32 v42, v43, v47, s0
	ds_write2st64_b32 v34, v38, v42 offset0:129 offset1:161
	v_xor_b32_e32 v34, 24, v50
	v_mfma_f32_16x16x16_bf16 a[0:3], v[64:65], v[84:85], a[0:3]
	v_perm_b32 v35, v35, v39, s1
	v_perm_b32 v38, v43, v47, s1
	v_add_u32_e32 v34, 0x80, v34
	v_mfma_f32_16x16x16_bf16 a[4:7], v[64:65], v[80:81], a[4:7]
	ds_write2st64_b32 v34, v35, v38 offset0:129 offset1:161
	v_xor_b32_e32 v34, 32, v50
	v_perm_b32 v35, v36, v40, s0
	v_mfma_f32_16x16x16_bf16 a[16:19], v[64:65], v[90:91], a[8:11]
	v_perm_b32 v38, v44, v48, s0
	ds_write2st64_b32 v34, v35, v38 offset0:130 offset1:162
	v_xor_b32_e32 v34, 40, v50
	v_mfma_f32_16x16x16_bf16 a[20:23], v[64:65], v[94:95], a[12:15]
	v_perm_b32 v35, v36, v40, s1
	v_perm_b32 v36, v44, v48, s1
	v_add_u32_e32 v34, 0x80, v34
	s_waitcnt lgkmcnt(8)
	v_mfma_f32_16x16x16_bf16 a[12:15], v[98:99], v[52:53], a[0:3]
	ds_write2st64_b32 v34, v35, v36 offset0:130 offset1:162
	v_xor_b32_e32 v34, 48, v50
	v_perm_b32 v35, v37, v41, s0
	s_waitcnt lgkmcnt(8)
	v_mfma_f32_16x16x16_bf16 a[8:11], v[98:99], v[82:83], a[4:7]
	v_perm_b32 v36, v45, v49, s0
	ds_write2st64_b32 v34, v35, v36 offset0:131 offset1:163
	v_xor_b32_e32 v34, 56, v50
	s_waitcnt lgkmcnt(8)
	v_mfma_f32_16x16x16_bf16 a[4:7], v[98:99], v[100:101], a[16:19]
	v_and_or_b32 v63, v67, 12, v86
	v_perm_b32 v35, v37, v41, s1
	v_perm_b32 v36, v45, v49, s1
	s_waitcnt lgkmcnt(7)
	v_mfma_f32_16x16x16_bf16 a[0:3], v[98:99], v[102:103], a[20:23]
	v_add_u32_e32 v34, 0x80, v34
	v_cmp_gt_i32_e32 vcc, s31, v63
	v_mov_b32_e32 v52, 0
	v_mov_b32_e32 v53, 0
	ds_write2st64_b32 v34, v35, v36 offset0:131 offset1:163
	s_and_saveexec_b64 s[0:1], vcc
	s_cbranch_execz .LBB249_60
; %bb.59:
	v_add_u32_e32 v34, s30, v63
	v_ashrrev_i32_e32 v35, 31, v34
	v_mul_lo_u32 v36, v35, s36
	v_mul_lo_u32 v37, v34, s37
	v_mad_u64_u32 v[34:35], s[2:3], v34, s36, 0
	v_add3_u32 v35, v35, v37, v36
	v_lshl_add_u64 v[34:35], v[34:35], 2, s[12:13]
	global_load_dword v34, v[34:35], off
	s_waitcnt vmcnt(0)
	v_sub_f32_e32 v34, s18, v34
	v_mul_f32_e32 v34, 0x3fb8aa3b, v34
	v_exp_f32_e32 v53, v34
.LBB249_60:
	s_or_b64 exec, exec, s[0:1]
	v_or_b32_e32 v43, 1, v63
	v_cmp_gt_i32_e64 s[2:3], s31, v43
	s_and_saveexec_b64 s[0:1], s[2:3]
	s_cbranch_execz .LBB249_62
; %bb.61:
	v_add_u32_e32 v34, s30, v43
	v_ashrrev_i32_e32 v35, 31, v34
	v_mul_lo_u32 v36, v35, s36
	v_mul_lo_u32 v37, v34, s37
	v_mad_u64_u32 v[34:35], s[4:5], v34, s36, 0
	v_add3_u32 v35, v35, v37, v36
	v_lshl_add_u64 v[34:35], v[34:35], 2, s[12:13]
	global_load_dword v34, v[34:35], off
	s_waitcnt vmcnt(0)
	v_sub_f32_e32 v34, s18, v34
	v_mul_f32_e32 v34, 0x3fb8aa3b, v34
	v_exp_f32_e32 v52, v34
.LBB249_62:
	s_or_b64 exec, exec, s[0:1]
	v_or_b32_e32 v42, 2, v63
	v_cmp_gt_i32_e64 s[4:5], s31, v42
	v_mov_b32_e32 v50, 0
	v_mov_b32_e32 v62, 0
	s_and_saveexec_b64 s[0:1], s[4:5]
	s_cbranch_execz .LBB249_64
; %bb.63:
	v_add_u32_e32 v34, s30, v42
	v_ashrrev_i32_e32 v35, 31, v34
	v_mul_lo_u32 v36, v35, s36
	v_mul_lo_u32 v37, v34, s37
	v_mad_u64_u32 v[34:35], s[6:7], v34, s36, 0
	v_add3_u32 v35, v35, v37, v36
	v_lshl_add_u64 v[34:35], v[34:35], 2, s[12:13]
	global_load_dword v34, v[34:35], off
	s_waitcnt vmcnt(0)
	v_sub_f32_e32 v34, s18, v34
	v_mul_f32_e32 v34, 0x3fb8aa3b, v34
	v_exp_f32_e32 v62, v34
.LBB249_64:
	s_or_b64 exec, exec, s[0:1]
	v_or_b32_e32 v64, 3, v63
	v_cmp_gt_i32_e64 s[0:1], s31, v64
	s_and_saveexec_b64 s[6:7], s[0:1]
	s_cbranch_execz .LBB249_66
; %bb.65:
	v_add_u32_e32 v34, s30, v64
	v_ashrrev_i32_e32 v35, 31, v34
	v_mul_lo_u32 v36, v35, s36
	v_mul_lo_u32 v37, v34, s37
	v_mad_u64_u32 v[34:35], s[14:15], v34, s36, 0
	v_add3_u32 v35, v35, v37, v36
	v_lshl_add_u64 v[34:35], v[34:35], 2, s[12:13]
	global_load_dword v34, v[34:35], off
	s_waitcnt vmcnt(0)
	v_sub_f32_e32 v34, s18, v34
	v_mul_f32_e32 v34, 0x3fb8aa3b, v34
	v_exp_f32_e32 v50, v34
.LBB249_66:
	s_or_b64 exec, exec, s[6:7]
	s_add_u32 s6, s16, s24
	s_addc_u32 s7, s17, s25
	s_add_u32 s8, s8, s24
	v_ashrrev_i32_e32 v77, 31, v76
	v_accvgpr_read_b32 v37, a15
	s_addc_u32 s9, s9, s25
	v_lshlrev_b64 v[38:39], 1, v[76:77]
	v_accvgpr_read_b32 v36, a14
	v_accvgpr_read_b32 v35, a13
	;; [unrolled: 1-line block ×3, first 2 shown]
	v_lshl_add_u64 v[40:41], s[6:7], 0, v[38:39]
	v_lshl_add_u64 v[38:39], s[8:9], 0, v[38:39]
	v_mov_b32_e32 v47, 0
	v_lshlrev_b32_e32 v44, 8, v63
	v_mov_b32_e32 v45, 0
	s_and_saveexec_b64 s[6:7], vcc
	s_cbranch_execz .LBB249_68
; %bb.67:
	v_mov_b32_e32 v45, 0
	v_lshl_add_u64 v[48:49], v[40:41], 0, v[44:45]
	global_load_ushort v46, v[48:49], off
	v_lshl_add_u64 v[48:49], v[38:39], 0, v[44:45]
	s_waitcnt vmcnt(0)
	v_lshlrev_b32_e32 v45, 16, v46
	v_sub_f32_e32 v34, v45, v34
	global_store_short_d16_hi v[48:49], v34, off
	v_mul_f32_e32 v34, v53, v34
	v_lshrrev_b32_e32 v45, 16, v34
.LBB249_68:
	s_or_b64 exec, exec, s[6:7]
	v_lshlrev_b32_e32 v46, 8, v43
	s_and_saveexec_b64 s[6:7], s[2:3]
	s_cbranch_execz .LBB249_70
; %bb.69:
	v_mov_b32_e32 v47, 0
	v_lshl_add_u64 v[48:49], v[40:41], 0, v[46:47]
	global_load_ushort v34, v[48:49], off
	v_lshl_add_u64 v[48:49], v[38:39], 0, v[46:47]
	s_waitcnt vmcnt(0)
	v_lshlrev_b32_e32 v34, 16, v34
	v_sub_f32_e32 v34, v34, v35
	global_store_short_d16_hi v[48:49], v34, off
	v_mul_f32_e32 v34, v52, v34
	v_lshrrev_b32_e32 v47, 16, v34
.LBB249_70:
	s_or_b64 exec, exec, s[6:7]
	v_mov_b32_e32 v43, 0
	v_lshlrev_b32_e32 v48, 8, v42
	v_mov_b32_e32 v49, 0
	s_and_saveexec_b64 s[6:7], s[4:5]
	s_cbranch_execz .LBB249_72
; %bb.71:
	v_mov_b32_e32 v49, 0
	v_lshl_add_u64 v[34:35], v[40:41], 0, v[48:49]
	global_load_ushort v42, v[34:35], off
	v_lshl_add_u64 v[34:35], v[38:39], 0, v[48:49]
	s_waitcnt vmcnt(0)
	v_lshlrev_b32_e32 v42, 16, v42
	v_sub_f32_e32 v36, v42, v36
	global_store_short_d16_hi v[34:35], v36, off
	v_mul_f32_e32 v34, v62, v36
	v_lshrrev_b32_e32 v49, 16, v34
.LBB249_72:
	s_or_b64 exec, exec, s[6:7]
	v_lshlrev_b32_e32 v42, 8, v64
	s_and_saveexec_b64 s[6:7], s[0:1]
	s_cbranch_execz .LBB249_74
; %bb.73:
	v_mov_b32_e32 v43, 0
	v_lshl_add_u64 v[34:35], v[40:41], 0, v[42:43]
	global_load_ushort v36, v[34:35], off
	v_lshl_add_u64 v[34:35], v[38:39], 0, v[42:43]
	s_waitcnt vmcnt(0)
	v_lshlrev_b32_e32 v36, 16, v36
	v_sub_f32_e32 v36, v36, v37
	global_store_short_d16_hi v[34:35], v36, off
	v_mul_f32_e32 v34, v50, v36
	v_lshrrev_b32_e32 v43, 16, v34
.LBB249_74:
	s_or_b64 exec, exec, s[6:7]
	v_lshlrev_b32_e32 v63, 6, v63
	s_mov_b32 s6, 0x5040100
	v_accvgpr_read_b32 v37, a11
	v_perm_b32 v65, v43, v49, s6
	v_or_b32_e32 v43, v63, v56
	v_accvgpr_read_b32 v36, a10
	v_accvgpr_read_b32 v35, a9
	;; [unrolled: 1-line block ×3, first 2 shown]
	v_perm_b32 v64, v47, v45, s6
	v_lshlrev_b32_e32 v43, 1, v43
	v_mov_b32_e32 v47, 0
	v_mov_b32_e32 v45, 0
	ds_write_b64 v43, v[64:65] offset:24576
	s_and_saveexec_b64 s[6:7], vcc
	s_cbranch_execz .LBB249_76
; %bb.75:
	v_mov_b32_e32 v45, 0
	v_lshl_add_u64 v[64:65], v[40:41], 0, v[44:45]
	global_load_ushort v43, v[64:65], off offset:32
	v_lshl_add_u64 v[64:65], v[38:39], 0, v[44:45]
	s_waitcnt vmcnt(0)
	v_lshlrev_b32_e32 v43, 16, v43
	v_sub_f32_e32 v34, v43, v34
	global_store_short_d16_hi v[64:65], v34, off offset:32
	v_mul_f32_e32 v34, v53, v34
	v_lshrrev_b32_e32 v45, 16, v34
.LBB249_76:
	s_or_b64 exec, exec, s[6:7]
	s_and_saveexec_b64 s[6:7], s[2:3]
	s_cbranch_execz .LBB249_78
; %bb.77:
	v_mov_b32_e32 v47, 0
	v_lshl_add_u64 v[64:65], v[40:41], 0, v[46:47]
	global_load_ushort v34, v[64:65], off offset:32
	v_lshl_add_u64 v[64:65], v[38:39], 0, v[46:47]
	s_waitcnt vmcnt(0)
	v_lshlrev_b32_e32 v34, 16, v34
	v_sub_f32_e32 v34, v34, v35
	global_store_short_d16_hi v[64:65], v34, off offset:32
	v_mul_f32_e32 v34, v52, v34
	v_lshrrev_b32_e32 v47, 16, v34
.LBB249_78:
	s_or_b64 exec, exec, s[6:7]
	v_mov_b32_e32 v43, 0
	v_mov_b32_e32 v49, 0
	s_and_saveexec_b64 s[6:7], s[4:5]
	s_cbranch_execz .LBB249_80
; %bb.79:
	v_mov_b32_e32 v49, 0
	v_lshl_add_u64 v[34:35], v[40:41], 0, v[48:49]
	global_load_ushort v56, v[34:35], off offset:32
	v_lshl_add_u64 v[34:35], v[38:39], 0, v[48:49]
	s_waitcnt vmcnt(0)
	v_lshlrev_b32_e32 v49, 16, v56
	v_sub_f32_e32 v36, v49, v36
	global_store_short_d16_hi v[34:35], v36, off offset:32
	v_mul_f32_e32 v34, v62, v36
	v_lshrrev_b32_e32 v49, 16, v34
.LBB249_80:
	s_or_b64 exec, exec, s[6:7]
	s_and_saveexec_b64 s[6:7], s[0:1]
	s_cbranch_execz .LBB249_82
; %bb.81:
	v_mov_b32_e32 v43, 0
	v_lshl_add_u64 v[34:35], v[40:41], 0, v[42:43]
	global_load_ushort v36, v[34:35], off offset:32
	v_lshl_add_u64 v[34:35], v[38:39], 0, v[42:43]
	s_waitcnt vmcnt(0)
	v_lshlrev_b32_e32 v36, 16, v36
	v_sub_f32_e32 v36, v36, v37
	global_store_short_d16_hi v[34:35], v36, off offset:32
	v_mul_f32_e32 v34, v50, v36
	v_lshrrev_b32_e32 v43, 16, v34
.LBB249_82:
	s_or_b64 exec, exec, s[6:7]
	s_mov_b32 s6, 0x5040100
	v_accvgpr_read_b32 v37, a7
	v_perm_b32 v65, v43, v49, s6
	v_or_b32_e32 v43, v63, v55
	v_accvgpr_read_b32 v36, a6
	v_accvgpr_read_b32 v35, a5
	;; [unrolled: 1-line block ×3, first 2 shown]
	v_perm_b32 v64, v47, v45, s6
	v_lshlrev_b32_e32 v43, 1, v43
	v_mov_b32_e32 v47, 0
	v_mov_b32_e32 v45, 0
	ds_write_b64 v43, v[64:65] offset:24576
	s_and_saveexec_b64 s[6:7], vcc
	s_cbranch_execz .LBB249_84
; %bb.83:
	v_mov_b32_e32 v45, 0
	v_lshl_add_u64 v[64:65], v[40:41], 0, v[44:45]
	global_load_ushort v43, v[64:65], off offset:64
	v_lshl_add_u64 v[64:65], v[38:39], 0, v[44:45]
	s_waitcnt vmcnt(0)
	v_lshlrev_b32_e32 v43, 16, v43
	v_sub_f32_e32 v34, v43, v34
	global_store_short_d16_hi v[64:65], v34, off offset:64
	v_mul_f32_e32 v34, v53, v34
	v_lshrrev_b32_e32 v45, 16, v34
.LBB249_84:
	s_or_b64 exec, exec, s[6:7]
	s_and_saveexec_b64 s[6:7], s[2:3]
	s_cbranch_execz .LBB249_86
; %bb.85:
	v_mov_b32_e32 v47, 0
	v_lshl_add_u64 v[64:65], v[40:41], 0, v[46:47]
	global_load_ushort v34, v[64:65], off offset:64
	v_lshl_add_u64 v[64:65], v[38:39], 0, v[46:47]
	s_waitcnt vmcnt(0)
	v_lshlrev_b32_e32 v34, 16, v34
	v_sub_f32_e32 v34, v34, v35
	global_store_short_d16_hi v[64:65], v34, off offset:64
	v_mul_f32_e32 v34, v52, v34
	v_lshrrev_b32_e32 v47, 16, v34
.LBB249_86:
	s_or_b64 exec, exec, s[6:7]
	v_mov_b32_e32 v43, 0
	v_mov_b32_e32 v49, 0
	s_and_saveexec_b64 s[6:7], s[4:5]
	s_cbranch_execz .LBB249_88
; %bb.87:
	v_mov_b32_e32 v49, 0
	v_lshl_add_u64 v[34:35], v[40:41], 0, v[48:49]
	global_load_ushort v55, v[34:35], off offset:64
	v_lshl_add_u64 v[34:35], v[38:39], 0, v[48:49]
	s_waitcnt vmcnt(0)
	v_lshlrev_b32_e32 v49, 16, v55
	v_sub_f32_e32 v36, v49, v36
	global_store_short_d16_hi v[34:35], v36, off offset:64
	v_mul_f32_e32 v34, v62, v36
	v_lshrrev_b32_e32 v49, 16, v34
.LBB249_88:
	s_or_b64 exec, exec, s[6:7]
	s_and_saveexec_b64 s[6:7], s[0:1]
	s_cbranch_execz .LBB249_90
; %bb.89:
	v_mov_b32_e32 v43, 0
	v_lshl_add_u64 v[34:35], v[40:41], 0, v[42:43]
	global_load_ushort v36, v[34:35], off offset:64
	v_lshl_add_u64 v[34:35], v[38:39], 0, v[42:43]
	s_waitcnt vmcnt(0)
	v_lshlrev_b32_e32 v36, 16, v36
	v_sub_f32_e32 v36, v36, v37
	global_store_short_d16_hi v[34:35], v36, off offset:64
	v_mul_f32_e32 v34, v50, v36
	v_lshrrev_b32_e32 v43, 16, v34
.LBB249_90:
	s_or_b64 exec, exec, s[6:7]
	s_mov_b32 s6, 0x5040100
	v_accvgpr_read_b32 v37, a3
	v_perm_b32 v65, v43, v49, s6
	v_or_b32_e32 v43, v63, v54
	v_accvgpr_read_b32 v36, a2
	v_accvgpr_read_b32 v35, a1
	;; [unrolled: 1-line block ×3, first 2 shown]
	v_perm_b32 v64, v47, v45, s6
	v_lshlrev_b32_e32 v43, 1, v43
	v_mov_b32_e32 v47, 0
	v_mov_b32_e32 v45, 0
	ds_write_b64 v43, v[64:65] offset:24576
	s_and_saveexec_b64 s[6:7], vcc
	s_cbranch_execz .LBB249_92
; %bb.91:
	v_mov_b32_e32 v45, 0
	v_lshl_add_u64 v[54:55], v[40:41], 0, v[44:45]
	global_load_ushort v43, v[54:55], off offset:96
	v_lshl_add_u64 v[44:45], v[38:39], 0, v[44:45]
	s_waitcnt vmcnt(0)
	v_lshlrev_b32_e32 v43, 16, v43
	v_sub_f32_e32 v34, v43, v34
	global_store_short_d16_hi v[44:45], v34, off offset:96
	v_mul_f32_e32 v34, v53, v34
	v_lshrrev_b32_e32 v45, 16, v34
.LBB249_92:
	s_or_b64 exec, exec, s[6:7]
	s_and_saveexec_b64 s[6:7], s[2:3]
	s_cbranch_execz .LBB249_94
; %bb.93:
	v_mov_b32_e32 v47, 0
	v_lshl_add_u64 v[54:55], v[40:41], 0, v[46:47]
	global_load_ushort v34, v[54:55], off offset:96
	v_lshl_add_u64 v[46:47], v[38:39], 0, v[46:47]
	s_waitcnt vmcnt(0)
	v_lshlrev_b32_e32 v34, 16, v34
	v_sub_f32_e32 v34, v34, v35
	global_store_short_d16_hi v[46:47], v34, off offset:96
	v_mul_f32_e32 v34, v52, v34
	v_lshrrev_b32_e32 v47, 16, v34
.LBB249_94:
	s_or_b64 exec, exec, s[6:7]
	v_mov_b32_e32 v43, 0
	v_mov_b32_e32 v46, 0
	s_and_saveexec_b64 s[2:3], s[4:5]
	s_cbranch_execz .LBB249_96
; %bb.95:
	v_mov_b32_e32 v49, 0
	v_lshl_add_u64 v[34:35], v[40:41], 0, v[48:49]
	global_load_ushort v44, v[34:35], off offset:96
	v_lshl_add_u64 v[34:35], v[38:39], 0, v[48:49]
	s_waitcnt vmcnt(0)
	v_lshlrev_b32_e32 v44, 16, v44
	v_sub_f32_e32 v36, v44, v36
	global_store_short_d16_hi v[34:35], v36, off offset:96
	v_mul_f32_e32 v34, v62, v36
	v_lshrrev_b32_e32 v46, 16, v34
.LBB249_96:
	s_or_b64 exec, exec, s[2:3]
	v_or_b32_e32 v44, 0x6000, v58
	v_or_b32_e32 v36, 0x6000, v59
	;; [unrolled: 1-line block ×4, first 2 shown]
	s_and_saveexec_b64 s[2:3], s[0:1]
	s_cbranch_execz .LBB249_98
; %bb.97:
	v_mov_b32_e32 v43, 0
	v_lshl_add_u64 v[40:41], v[40:41], 0, v[42:43]
	global_load_ushort v40, v[40:41], off offset:96
	v_lshl_add_u64 v[38:39], v[38:39], 0, v[42:43]
	s_waitcnt vmcnt(0)
	v_lshlrev_b32_e32 v40, 16, v40
	v_sub_f32_e32 v37, v40, v37
	global_store_short_d16_hi v[38:39], v37, off offset:96
	v_mul_f32_e32 v37, v50, v37
	v_lshrrev_b32_e32 v43, 16, v37
.LBB249_98:
	s_or_b64 exec, exec, s[2:3]
	s_mov_b32 s0, 0x5040100
	v_or_b32_e32 v37, v63, v51
	v_perm_b32 v39, v43, v46, s0
	v_perm_b32 v38, v47, v45, s0
	v_lshlrev_b32_e32 v37, 1, v37
	s_movk_i32 s0, 0x100
	ds_write_b64 v37, v[38:39] offset:24576
	v_and_b32_e32 v37, 7, v0
	v_and_b32_e32 v38, 8, v0
	v_cmp_gt_u32_e32 vcc, s0, v0
	v_lshrrev_b32_e32 v0, 1, v0
	v_lshlrev_b32_e32 v55, 3, v1
	v_and_b32_e32 v56, 24, v0
	v_mov_b32_e32 v39, 0xa000
	v_mov_b32_e32 v40, 0x8000
	v_xor_b32_e32 v0, v55, v56
	v_cndmask_b32_e32 v54, v39, v40, vcc
	v_or_b32_e32 v1, 0x440, v0
	v_cmp_eq_u32_e32 vcc, 0, v38
	v_lshlrev_b32_e32 v45, 3, v37
	v_lshlrev_b32_e32 v37, 7, v37
	v_cndmask_b32_e32 v0, v1, v0, vcc
	v_or_b32_e32 v0, v0, v57
	v_xad_u32 v67, v0, v45, v37
	v_or_b32_e32 v42, 32, v56
	v_add_u32_e32 v0, v54, v67
	v_xor_b32_e32 v42, v55, v42
	s_waitcnt lgkmcnt(0)
	s_barrier
	ds_read_b64 v[0:1], v0
	ds_read2_b64 v[38:41], v44 offset1:16
	ds_read2_b64 v[46:49], v44 offset0:32 offset1:48
	v_or_b32_e32 v43, 0x440, v42
	v_cndmask_b32_e32 v42, v43, v42, vcc
	v_or_b32_e32 v42, v42, v57
	v_xad_u32 v80, v42, v45, v37
	v_add_u32_e32 v42, v54, v80
	s_waitcnt lgkmcnt(1)
	v_mfma_f32_16x16x16_bf16 a[0:3], v[0:1], v[38:39], 0
	ds_read_b64 v[42:43], v42
	ds_read2st64_b64 v[50:53], v44 offset0:4 offset1:8
	ds_read2st64_b64 v[58:61], v36 offset0:4 offset1:8
	v_mfma_f32_16x16x16_bf16 a[4:7], v[0:1], v[40:41], 0
	ds_read2st64_b64 v[62:65], v35 offset0:4 offset1:8
	ds_read2st64_b64 v[76:79], v34 offset0:4 offset1:8
	s_waitcnt lgkmcnt(5)
	v_mfma_f32_16x16x16_bf16 a[8:11], v[0:1], v[46:47], 0
	v_mfma_f32_16x16x16_bf16 a[12:15], v[0:1], v[48:49], 0
	v_or_b32_e32 v0, 64, v56
	v_xor_b32_e32 v0, v55, v0
	v_xor_b32_e32 v1, 0x440, v0
	v_cndmask_b32_e32 v0, v1, v0, vcc
	v_or_b32_e32 v0, v0, v57
	v_xad_u32 v81, v0, v45, v37
	v_add_u32_e32 v0, v54, v81
	ds_read_b64 v[0:1], v0
	s_waitcnt lgkmcnt(4)
	v_mfma_f32_16x16x16_bf16 a[0:3], v[42:43], v[50:51], a[0:3]
	s_waitcnt lgkmcnt(3)
	v_mfma_f32_16x16x16_bf16 a[4:7], v[42:43], v[58:59], a[4:7]
	;; [unrolled: 2-line block ×4, first 2 shown]
	v_or_b32_e32 v42, 0x60, v56
	v_xor_b32_e32 v42, v55, v42
	v_xor_b32_e32 v43, 0x440, v42
	v_cndmask_b32_e32 v42, v43, v42, vcc
	v_or_b32_e32 v42, v42, v57
	v_xad_u32 v55, v42, v45, v37
	v_add_u32_e32 v37, v54, v55
	s_waitcnt lgkmcnt(0)
	v_mfma_f32_16x16x16_bf16 a[0:3], v[0:1], v[52:53], a[0:3]
	ds_read_b64 v[42:43], v37
	ds_read_b64 v[44:45], v44 offset:6144
	v_mfma_f32_16x16x16_bf16 a[4:7], v[0:1], v[60:61], a[4:7]
	v_mfma_f32_16x16x16_bf16 a[8:11], v[0:1], v[64:65], a[8:11]
	;; [unrolled: 1-line block ×3, first 2 shown]
	ds_read_b64 v[0:1], v36 offset:6144
	ds_read_b64 v[36:37], v35 offset:6144
	;; [unrolled: 1-line block ×3, first 2 shown]
	s_waitcnt lgkmcnt(3)
	v_mfma_f32_16x16x16_bf16 a[0:3], v[42:43], v[44:45], a[0:3]
	s_waitcnt lgkmcnt(2)
	v_mfma_f32_16x16x16_bf16 a[4:7], v[42:43], v[0:1], a[4:7]
	;; [unrolled: 2-line block ×4, first 2 shown]
	ds_read_b64 v[42:43], v67 offset:40960
	s_waitcnt lgkmcnt(0)
	v_mfma_f32_16x16x16_bf16 a[20:23], v[42:43], v[40:41], 0
	v_mov_b32_e32 v40, 0x3fb8aa3b
	v_mul_f32_e32 v40, s18, v40
	v_mfma_f32_16x16x16_bf16 a[16:19], v[42:43], v[38:39], 0
	ds_read_b64 v[38:39], v80 offset:40960
	v_mfma_f32_16x16x16_bf16 a[24:27], v[42:43], v[46:47], 0
	v_accvgpr_read_b32 v46, a7
	v_mfma_f32_16x16x16_bf16 a[28:31], v[42:43], v[48:49], 0
	v_exp_f32_e32 v42, v40
	v_accvgpr_read_b32 v40, a0
	v_accvgpr_read_b32 v43, a3
	s_waitcnt lgkmcnt(0)
	v_mfma_f32_16x16x16_bf16 a[16:19], v[38:39], v[50:51], a[16:19]
	v_fma_f32 v6, v6, v42, v40
	v_accvgpr_read_b32 v40, a1
	v_fma_f32 v7, v7, v42, v40
	v_accvgpr_read_b32 v40, a2
	v_fma_f32 v8, v8, v42, v40
	ds_read_b64 v[40:41], v81 offset:40960
	v_mfma_f32_16x16x16_bf16 a[20:23], v[38:39], v[58:59], a[20:23]
	v_fmac_f32_e32 v43, v9, v42
	v_accvgpr_read_b32 v9, a4
	v_fma_f32 v14, v14, v42, v9
	v_mfma_f32_16x16x16_bf16 a[24:27], v[38:39], v[62:63], a[24:27]
	v_accvgpr_read_b32 v9, a5
	v_fma_f32 v15, v15, v42, v9
	v_accvgpr_read_b32 v9, a6
	v_mfma_f32_16x16x16_bf16 a[0:3], v[38:39], v[76:77], a[28:31]
	ds_read_b64 v[38:39], v55 offset:40960
	v_fma_f32 v16, v16, v42, v9
	v_accvgpr_read_b32 v9, a8
	s_waitcnt lgkmcnt(1)
	v_mfma_f32_16x16x16_bf16 a[16:19], v[40:41], v[52:53], a[16:19]
	v_fma_f32 v22, v22, v42, v9
	v_accvgpr_read_b32 v9, a9
	v_fma_f32 v23, v23, v42, v9
	v_mfma_f32_16x16x16_bf16 a[4:7], v[40:41], v[60:61], a[20:23]
	v_accvgpr_read_b32 v9, a10
	v_fma_f32 v24, v24, v42, v9
	v_accvgpr_read_b32 v9, a12
	v_mfma_f32_16x16x16_bf16 a[20:23], v[40:41], v[64:65], a[24:27]
	v_fma_f32 v30, v30, v42, v9
	v_fmac_f32_e32 v46, v17, v42
	v_mov_b32_e32 v17, v46
	v_mfma_f32_16x16x16_bf16 a[0:3], v[40:41], v[78:79], a[0:3]
	v_accvgpr_read_b32 v40, a11
	v_fmac_f32_e32 v40, v25, v42
	s_waitcnt lgkmcnt(0)
	v_mfma_f32_16x16x16_bf16 a[8:11], v[38:39], v[44:45], a[16:19]
	v_mfma_f32_16x16x16_bf16 a[4:7], v[38:39], v[0:1], a[4:7]
	v_accvgpr_read_b32 v0, a13
	v_fma_f32 v31, v31, v42, v0
	v_accvgpr_read_b32 v0, a14
	s_nop 2
	v_accvgpr_read_b32 v1, a8
	v_fma_f32 v2, v2, v42, v1
	v_accvgpr_read_b32 v1, a9
	v_fma_f32 v3, v3, v42, v1
	v_accvgpr_read_b32 v1, a10
	v_mfma_f32_16x16x16_bf16 a[16:19], v[38:39], v[36:37], a[20:23]
	v_fma_f32 v4, v4, v42, v1
	v_accvgpr_read_b32 v1, a11
	v_fmac_f32_e32 v1, v5, v42
	v_mfma_f32_16x16x16_bf16 a[0:3], v[38:39], v[34:35], a[0:3]
	v_accvgpr_read_b32 v5, a4
	v_fma_f32 v10, v10, v42, v5
	v_accvgpr_read_b32 v5, a5
	v_fma_f32 v11, v11, v42, v5
	;; [unrolled: 2-line block ×3, first 2 shown]
	v_accvgpr_read_b32 v5, a16
	v_accvgpr_read_b32 v9, a0
	v_fma_f32 v18, v18, v42, v5
	v_accvgpr_read_b32 v5, a17
	v_fma_f32 v26, v26, v42, v9
	;; [unrolled: 2-line block ×5, first 2 shown]
	v_accvgpr_read_b32 v0, a15
	v_accvgpr_read_b32 v25, a7
	v_fma_f32 v20, v20, v42, v5
	v_accvgpr_read_b32 v5, a19
	v_fma_f32 v28, v28, v42, v9
	v_accvgpr_read_b32 v9, a3
	v_fmac_f32_e32 v0, v33, v42
	v_fmac_f32_e32 v25, v13, v42
	;; [unrolled: 1-line block ×4, first 2 shown]
	v_mov_b32_e32 v29, v9
	v_mov_b32_e32 v33, v0
	v_mov_b32_e32 v21, v5
	v_mov_b32_e32 v9, v43
	v_mov_b32_e32 v5, v1
	v_mov_b32_e32 v13, v25
	v_mov_b32_e32 v25, v40
.LBB249_99:
	s_add_u32 s0, s10, s34
	s_addc_u32 s1, s11, s35
	v_lshl_add_u64 v[0:1], v[68:69], 2, s[0:1]
	v_mov_b32_e32 v67, 0
	v_lshl_add_u64 v[0:1], v[0:1], 0, v[66:67]
	s_waitcnt vmcnt(7)
	global_store_dwordx4 v[0:1], v[6:9], off
	s_waitcnt vmcnt(7)
	global_store_dwordx4 v[0:1], v[2:5], off offset:256
	v_lshl_add_u64 v[0:1], v[70:71], 2, s[0:1]
	v_lshl_add_u64 v[0:1], v[0:1], 0, v[66:67]
	s_waitcnt vmcnt(7)
	global_store_dwordx4 v[0:1], v[14:17], off
	s_waitcnt vmcnt(7)
	global_store_dwordx4 v[0:1], v[10:13], off offset:256
	v_lshl_add_u64 v[0:1], v[72:73], 2, s[0:1]
	;; [unrolled: 6-line block ×3, first 2 shown]
	v_lshl_add_u64 v[0:1], v[0:1], 0, v[66:67]
	s_waitcnt vmcnt(7)
	global_store_dwordx4 v[0:1], v[30:33], off
	s_waitcnt vmcnt(7)
	global_store_dwordx4 v[0:1], v[26:29], off offset:256
	s_endpgm
	.section	.rodata,"a",@progbits
	.p2align	6, 0x0
	.amdhsa_kernel _ZN12_GLOBAL__N_139chunk_gated_delta_rule_fwd_h_hip_kernelILi64ELb1ELb1ELb1ELb0ELb0ELb0ELb0ELb0EEEvPK12hip_bfloat16S3_S3_PKfS5_PKvPS1_S8_PvPKiSB_iiiiilll
		.amdhsa_group_segment_fixed_size 65536
		.amdhsa_private_segment_fixed_size 0
		.amdhsa_kernarg_size 136
		.amdhsa_user_sgpr_count 2
		.amdhsa_user_sgpr_dispatch_ptr 0
		.amdhsa_user_sgpr_queue_ptr 0
		.amdhsa_user_sgpr_kernarg_segment_ptr 1
		.amdhsa_user_sgpr_dispatch_id 0
		.amdhsa_user_sgpr_kernarg_preload_length 0
		.amdhsa_user_sgpr_kernarg_preload_offset 0
		.amdhsa_user_sgpr_private_segment_size 0
		.amdhsa_uses_dynamic_stack 0
		.amdhsa_enable_private_segment 0
		.amdhsa_system_sgpr_workgroup_id_x 1
		.amdhsa_system_sgpr_workgroup_id_y 1
		.amdhsa_system_sgpr_workgroup_id_z 0
		.amdhsa_system_sgpr_workgroup_info 0
		.amdhsa_system_vgpr_workitem_id 0
		.amdhsa_next_free_vgpr 228
		.amdhsa_next_free_sgpr 72
		.amdhsa_accum_offset 192
		.amdhsa_reserve_vcc 1
		.amdhsa_float_round_mode_32 0
		.amdhsa_float_round_mode_16_64 0
		.amdhsa_float_denorm_mode_32 3
		.amdhsa_float_denorm_mode_16_64 3
		.amdhsa_dx10_clamp 1
		.amdhsa_ieee_mode 1
		.amdhsa_fp16_overflow 0
		.amdhsa_tg_split 0
		.amdhsa_exception_fp_ieee_invalid_op 0
		.amdhsa_exception_fp_denorm_src 0
		.amdhsa_exception_fp_ieee_div_zero 0
		.amdhsa_exception_fp_ieee_overflow 0
		.amdhsa_exception_fp_ieee_underflow 0
		.amdhsa_exception_fp_ieee_inexact 0
		.amdhsa_exception_int_div_zero 0
	.end_amdhsa_kernel
	.section	.text._ZN12_GLOBAL__N_139chunk_gated_delta_rule_fwd_h_hip_kernelILi64ELb1ELb1ELb1ELb0ELb0ELb0ELb0ELb0EEEvPK12hip_bfloat16S3_S3_PKfS5_PKvPS1_S8_PvPKiSB_iiiiilll,"axG",@progbits,_ZN12_GLOBAL__N_139chunk_gated_delta_rule_fwd_h_hip_kernelILi64ELb1ELb1ELb1ELb0ELb0ELb0ELb0ELb0EEEvPK12hip_bfloat16S3_S3_PKfS5_PKvPS1_S8_PvPKiSB_iiiiilll,comdat
.Lfunc_end249:
	.size	_ZN12_GLOBAL__N_139chunk_gated_delta_rule_fwd_h_hip_kernelILi64ELb1ELb1ELb1ELb0ELb0ELb0ELb0ELb0EEEvPK12hip_bfloat16S3_S3_PKfS5_PKvPS1_S8_PvPKiSB_iiiiilll, .Lfunc_end249-_ZN12_GLOBAL__N_139chunk_gated_delta_rule_fwd_h_hip_kernelILi64ELb1ELb1ELb1ELb0ELb0ELb0ELb0ELb0EEEvPK12hip_bfloat16S3_S3_PKfS5_PKvPS1_S8_PvPKiSB_iiiiilll
                                        ; -- End function
	.section	.AMDGPU.csdata,"",@progbits
; Kernel info:
; codeLenInByte = 12652
; NumSgprs: 78
; NumVgprs: 190
; NumAgprs: 36
; TotalNumVgprs: 228
; ScratchSize: 0
; MemoryBound: 0
; FloatMode: 240
; IeeeMode: 1
; LDSByteSize: 65536 bytes/workgroup (compile time only)
; SGPRBlocks: 9
; VGPRBlocks: 28
; NumSGPRsForWavesPerEU: 78
; NumVGPRsForWavesPerEU: 228
; AccumOffset: 192
; Occupancy: 1
; WaveLimiterHint : 1
; COMPUTE_PGM_RSRC2:SCRATCH_EN: 0
; COMPUTE_PGM_RSRC2:USER_SGPR: 2
; COMPUTE_PGM_RSRC2:TRAP_HANDLER: 0
; COMPUTE_PGM_RSRC2:TGID_X_EN: 1
; COMPUTE_PGM_RSRC2:TGID_Y_EN: 1
; COMPUTE_PGM_RSRC2:TGID_Z_EN: 0
; COMPUTE_PGM_RSRC2:TIDIG_COMP_CNT: 0
; COMPUTE_PGM_RSRC3_GFX90A:ACCUM_OFFSET: 47
; COMPUTE_PGM_RSRC3_GFX90A:TG_SPLIT: 0
	.section	.text._ZN12_GLOBAL__N_139chunk_gated_delta_rule_fwd_h_hip_kernelILi64ELb1ELb1ELb0ELb0ELb0ELb0ELb0ELb0EEEvPK12hip_bfloat16S3_S3_PKfS5_PKvPS1_S8_PvPKiSB_iiiiilll,"axG",@progbits,_ZN12_GLOBAL__N_139chunk_gated_delta_rule_fwd_h_hip_kernelILi64ELb1ELb1ELb0ELb0ELb0ELb0ELb0ELb0EEEvPK12hip_bfloat16S3_S3_PKfS5_PKvPS1_S8_PvPKiSB_iiiiilll,comdat
	.globl	_ZN12_GLOBAL__N_139chunk_gated_delta_rule_fwd_h_hip_kernelILi64ELb1ELb1ELb0ELb0ELb0ELb0ELb0ELb0EEEvPK12hip_bfloat16S3_S3_PKfS5_PKvPS1_S8_PvPKiSB_iiiiilll ; -- Begin function _ZN12_GLOBAL__N_139chunk_gated_delta_rule_fwd_h_hip_kernelILi64ELb1ELb1ELb0ELb0ELb0ELb0ELb0ELb0EEEvPK12hip_bfloat16S3_S3_PKfS5_PKvPS1_S8_PvPKiSB_iiiiilll
	.p2align	8
	.type	_ZN12_GLOBAL__N_139chunk_gated_delta_rule_fwd_h_hip_kernelILi64ELb1ELb1ELb0ELb0ELb0ELb0ELb0ELb0EEEvPK12hip_bfloat16S3_S3_PKfS5_PKvPS1_S8_PvPKiSB_iiiiilll,@function
_ZN12_GLOBAL__N_139chunk_gated_delta_rule_fwd_h_hip_kernelILi64ELb1ELb1ELb0ELb0ELb0ELb0ELb0ELb0EEEvPK12hip_bfloat16S3_S3_PKfS5_PKvPS1_S8_PvPKiSB_iiiiilll: ; @_ZN12_GLOBAL__N_139chunk_gated_delta_rule_fwd_h_hip_kernelILi64ELb1ELb1ELb0ELb0ELb0ELb0ELb0ELb0EEEvPK12hip_bfloat16S3_S3_PKfS5_PKvPS1_S8_PvPKiSB_iiiiilll
; %bb.0:
	s_load_dwordx4 s[12:15], s[0:1], 0x5c
	s_load_dwordx4 s[20:23], s[0:1], 0x70
	s_abs_i32 s6, s3
	s_ashr_i32 s5, s3, 31
	s_load_dwordx4 s[16:19], s[0:1], 0x28
	s_waitcnt lgkmcnt(0)
	s_abs_i32 s4, s13
	v_cvt_f32_u32_e32 v1, s4
	s_sub_i32 s8, 0, s4
	s_ashr_i32 s7, s13, 31
	s_xor_b32 s5, s5, s7
	v_rcp_iflag_f32_e32 v1, v1
	v_and_b32_e32 v86, 15, v0
	v_bfe_u32 v85, v0, 4, 2
	v_mov_b32_e32 v67, 0
	v_mul_f32_e32 v1, 0x4f7ffffe, v1
	v_cvt_u32_f32_e32 v1, v1
	v_lshlrev_b32_e32 v87, 3, v0
	v_readfirstlane_b32 s9, v1
	s_mul_i32 s8, s8, s9
	s_mul_hi_u32 s8, s9, s8
	s_add_i32 s9, s9, s8
	s_mul_hi_u32 s8, s6, s9
	s_mul_i32 s9, s8, s4
	s_sub_i32 s6, s6, s9
	s_add_i32 s10, s8, 1
	s_sub_i32 s9, s6, s4
	s_cmp_ge_u32 s6, s4
	s_cselect_b32 s8, s10, s8
	s_cselect_b32 s6, s9, s6
	s_add_i32 s9, s8, 1
	s_cmp_ge_u32 s6, s4
	s_cselect_b32 s6, s9, s8
	s_xor_b32 s6, s6, s5
	s_add_i32 s8, s12, 63
	s_sub_i32 s53, s6, s5
	s_ashr_i32 s9, s8, 31
	s_mul_i32 s5, s53, s13
	s_sub_i32 s50, s3, s5
	s_lshr_b32 s3, s9, 26
	s_add_i32 s8, s8, s3
	s_abs_i32 s3, s14
	v_cvt_f32_u32_e32 v1, s3
	s_ashr_i32 s52, s12, 31
	s_lshr_b32 s6, s52, 26
	s_add_i32 s6, s12, s6
	v_rcp_iflag_f32_e32 v1, v1
	s_ashr_i32 s55, s14, 31
	s_ashr_i32 s24, s8, 6
	;; [unrolled: 1-line block ×3, first 2 shown]
	v_mul_f32_e32 v1, 0x4f7ffffe, v1
	v_cvt_u32_f32_e32 v1, v1
	s_xor_b32 s6, s7, s55
	s_sub_i32 s7, 0, s3
	s_lshl_b32 s2, s2, 6
	v_readfirstlane_b32 s8, v1
	s_mul_i32 s7, s7, s8
	s_mul_hi_u32 s7, s8, s7
	s_add_i32 s8, s8, s7
	s_mul_hi_u32 s7, s4, s8
	s_mul_i32 s8, s7, s3
	s_sub_i32 s4, s4, s8
	s_add_i32 s8, s7, 1
	s_sub_i32 s9, s4, s3
	s_cmp_ge_u32 s4, s3
	s_cselect_b32 s7, s8, s7
	s_cselect_b32 s4, s9, s4
	s_add_i32 s8, s7, 1
	s_cmp_ge_u32 s4, s3
	s_cselect_b32 s3, s8, s7
	s_xor_b32 s3, s3, s6
	s_sub_i32 s3, s3, s6
	s_abs_i32 s4, s3
	v_cvt_f32_u32_e32 v1, s4
	s_sub_i32 s7, 0, s4
	s_abs_i32 s6, s50
	s_xor_b32 s3, s50, s3
	v_rcp_iflag_f32_e32 v2, v1
	s_ashr_i32 s3, s3, 31
	v_lshrrev_b32_e32 v1, 6, v0
	v_or_b32_e32 v76, s2, v86
	v_mul_f32_e32 v2, 0x4f7ffffe, v2
	v_cvt_u32_f32_e32 v2, v2
	v_lshlrev_b32_e32 v84, 4, v1
	v_lshlrev_b32_e32 v68, 7, v76
	v_lshl_or_b32 v89, v85, 2, v84
	v_readfirstlane_b32 s8, v2
	s_mul_i32 s7, s7, s8
	s_mul_hi_u32 s7, s8, s7
	s_add_i32 s8, s8, s7
	s_mul_hi_u32 s7, s6, s8
	s_mul_i32 s8, s7, s4
	s_sub_i32 s6, s6, s8
	s_add_i32 s8, s7, 1
	s_sub_i32 s9, s6, s4
	s_cmp_ge_u32 s6, s4
	s_cselect_b32 s7, s8, s7
	s_cselect_b32 s6, s9, s6
	s_add_i32 s8, s7, 1
	s_cmp_ge_u32 s6, s4
	s_cselect_b32 s4, s8, s7
	s_xor_b32 s4, s4, s3
	s_sub_i32 s56, s4, s3
	s_ashr_i32 s3, s53, 31
	s_ashr_i32 s51, s50, 31
	s_mul_hi_i32 s4, s53, s13
	s_add_u32 s40, s5, s50
	s_addc_u32 s41, s4, s51
	s_lshl_b64 s[28:29], s[40:41], 16
	s_add_u32 s4, s16, s28
	s_addc_u32 s5, s17, s29
	v_ashrrev_i32_e32 v69, 31, v68
	v_lshl_add_u64 v[2:3], v[68:69], 2, s[4:5]
	v_lshlrev_b32_e32 v66, 2, v89
	v_or_b32_e32 v70, 0x800, v68
	v_lshl_add_u64 v[10:11], v[2:3], 0, v[66:67]
	v_ashrrev_i32_e32 v71, 31, v70
	global_load_dwordx4 v[6:9], v[10:11], off
	global_load_dwordx4 v[2:5], v[10:11], off offset:256
	v_lshl_add_u64 v[10:11], v[70:71], 2, s[4:5]
	v_or_b32_e32 v72, 0x1000, v68
	v_lshl_add_u64 v[18:19], v[10:11], 0, v[66:67]
	v_ashrrev_i32_e32 v73, 31, v72
	global_load_dwordx4 v[14:17], v[18:19], off
	global_load_dwordx4 v[10:13], v[18:19], off offset:256
	v_lshl_add_u64 v[18:19], v[72:73], 2, s[4:5]
	;; [unrolled: 6-line block ×3, first 2 shown]
	v_lshl_add_u64 v[34:35], v[26:27], 0, v[66:67]
	global_load_dwordx4 v[30:33], v[34:35], off
	global_load_dwordx4 v[26:29], v[34:35], off offset:256
	s_load_dwordx2 s[30:31], s[0:1], 0x40
	s_load_dwordx8 s[4:11], s[0:1], 0x0
	s_load_dwordx2 s[34:35], s[0:1], 0x80
	v_and_b32_e32 v67, 63, v0
	s_mul_i32 s57, s53, s24
	v_or_b32_e32 v90, 64, v89
	s_cmp_lt_i32 s12, 64
	v_lshrrev_b32_e32 v88, 3, v67
	s_mul_i32 s58, s41, s12
	s_mul_hi_u32 s59, s40, s12
	s_mul_i32 s16, s40, s12
	s_mul_i32 s33, s53, s21
	s_mul_hi_u32 s46, s53, s20
	s_mul_i32 s41, s3, s20
	s_mul_i32 s38, s53, s20
	;; [unrolled: 1-line block ×3, first 2 shown]
	s_mul_hi_u32 s48, s50, s22
	s_mul_i32 s49, s51, s22
	s_mul_i32 s36, s50, s22
	s_cbranch_scc1 .LBB250_18
; %bb.1:
	s_add_i32 s17, s59, s58
	s_lshl_b64 s[0:1], s[16:17], 8
	v_and_b32_e32 v92, 56, v87
	s_waitcnt lgkmcnt(0)
	s_add_u32 s20, s6, s0
	v_lshl_or_b32 v91, v1, 3, v88
	v_lshlrev_b32_e32 v34, 1, v92
	s_addc_u32 s0, s7, s1
	v_lshl_or_b32 v93, v91, 8, v34
	s_and_b32 s21, s0, 0xffff
	s_mov_b32 s23, 0x20000
	s_movk_i32 s22, 0x4000
	s_movk_i32 s0, 0x80
	v_or_b32_e32 v94, 0x2000, v93
	buffer_load_dwordx4 v[36:39], v93, s[20:23], 0 offen
	buffer_load_dwordx4 v[40:43], v93, s[20:23], s0 offen
	;; [unrolled: 1-line block ×4, first 2 shown]
	v_lshlrev_b32_e32 v35, 3, v91
	v_and_or_b32 v53, v0, 7, v35
	v_and_b32_e32 v35, 0x78, v35
	v_lshlrev_b32_e32 v53, 4, v53
	v_xor_b32_e32 v95, v53, v35
	v_mul_lo_u32 v52, v91, s15
	v_or_b32_e32 v96, 0x1000, v95
	v_xor_b32_e32 v35, 8, v95
	s_cmpk_eq_i32 s15, 0x80
	s_mov_b32 s60, s14
	v_xor_b32_e32 v53, 8, v96
	s_cselect_b64 s[0:1], -1, 0
	s_cmpk_lg_i32 s15, 0x80
	s_waitcnt vmcnt(3)
	ds_write_b64 v95, v[36:37] offset:49152
	ds_write_b64 v35, v[38:39] offset:49152
	s_waitcnt vmcnt(2)
	ds_write_b64 v95, v[40:41] offset:57344
	ds_write_b64 v35, v[42:43] offset:57344
	s_waitcnt vmcnt(1)
	ds_write_b64 v95, v[44:45] offset:53248
	ds_write_b64 v53, v[46:47] offset:49152
	s_waitcnt vmcnt(0)
	ds_write_b64 v95, v[48:49] offset:61440
	ds_write_b64 v53, v[50:51] offset:57344
	v_lshl_add_u32 v35, v52, 1, v92
	s_cbranch_scc0 .LBB250_3
; %bb.2:
	v_lshlrev_b32_e32 v37, 1, v35
	v_add_lshl_u32 v36, v35, s15, 1
	s_lshl_b32 s22, s15, 7
	v_lshl_or_b32 v34, v91, 9, v34
	s_cbranch_execz .LBB250_4
	s_branch .LBB250_5
.LBB250_3:
                                        ; implicit-def: $vgpr36
                                        ; implicit-def: $vgpr37
                                        ; implicit-def: $sgpr22
	v_lshl_or_b32 v34, v91, 9, v34
.LBB250_4:
	v_or_b32_e32 v36, 0x100, v34
	s_movk_i32 s22, 0x4000
	v_mov_b32_e32 v37, v34
.LBB250_5:
	s_mul_hi_u32 s20, s14, s12
	s_mul_i32 s21, s55, s12
	s_add_i32 s20, s20, s21
	s_mul_i32 s21, s14, s12
	s_mul_i32 s23, s21, s3
	s_mul_hi_u32 s24, s21, s53
	s_add_i32 s23, s24, s23
	s_mul_i32 s20, s20, s53
	s_add_i32 s23, s23, s20
	s_mul_i32 s21, s21, s53
	s_ashr_i32 s61, s56, 31
	s_add_u32 s20, s21, s56
	s_addc_u32 s21, s23, s61
	s_lshl_b64 s[20:21], s[20:21], 8
	s_add_u32 s20, s4, s20
	s_addc_u32 s21, s5, s21
	s_and_b32 s21, s21, 0xffff
	s_mov_b32 s23, 0x20000
	s_movk_i32 s62, 0x80
	buffer_load_dwordx4 v[38:41], v37, s[20:23], 0 offen
	buffer_load_dwordx4 v[42:45], v37, s[20:23], s62 offen
	buffer_load_dwordx4 v[46:49], v36, s[20:23], 0 offen
	buffer_load_dwordx4 v[50:53], v36, s[20:23], s62 offen
	v_and_b32_e32 v37, 6, v0
	v_lshlrev_b32_e32 v36, 7, v89
	v_xor_b32_e32 v58, v91, v37
	v_and_b32_e32 v54, 1, v0
	v_lshl_or_b32 v61, v86, 3, v36
	v_lshlrev_b32_e32 v58, 2, v58
	v_or_b32_e32 v97, 0x4000, v61
	v_or_b32_e32 v98, 0x6000, v61
	v_xor_b32_e32 v61, 0x440, v58
	v_cmp_eq_u32_e32 vcc, 0, v54
	v_lshlrev_b32_e32 v55, 2, v86
	s_mov_b32 s64, 0x1000504
	v_cndmask_b32_e32 v54, v61, v58, vcc
	v_xor_b32_e32 v59, v89, v55
	v_xor_b32_e32 v60, v90, v55
	v_lshl_or_b32 v37, v37, 10, v54
	s_mov_b32 s65, 0x3020706
	v_lshlrev_b32_e32 v56, 8, v86
	v_or_b32_e32 v57, 16, v86
	v_lshlrev_b32_e32 v59, 1, v59
	v_lshlrev_b32_e32 v60, 1, v60
	v_xor_b32_e32 v54, 8, v37
	v_xor_b32_e32 v58, 24, v37
	;; [unrolled: 1-line block ×4, first 2 shown]
	s_mul_i32 s3, s3, s12
	s_mul_hi_u32 s20, s53, s12
	v_or_b32_e32 v100, v56, v59
	v_or_b32_e32 v101, v56, v60
	v_xor_b32_e32 v56, 16, v37
	v_xor_b32_e32 v61, 32, v37
	;; [unrolled: 1-line block ×3, first 2 shown]
	v_add_u32_e32 v54, 0x80, v54
	v_add_u32_e32 v58, 0x80, v58
	;; [unrolled: 1-line block ×4, first 2 shown]
	s_add_i32 s67, s20, s3
	s_add_i32 s3, s46, s33
	;; [unrolled: 1-line block ×5, first 2 shown]
	s_lshl_b64 s[20:21], s[38:39], 2
	s_add_u32 s3, s10, s20
	s_addc_u32 s24, s11, s21
	s_lshl_b64 s[20:21], s[36:37], 2
	s_add_u32 s42, s3, s20
	s_movk_i32 s3, 0xf8
	s_addc_u32 s43, s24, s21
	s_lshl_b32 s26, s15, 7
	s_movk_i32 s24, 0x100
	v_mov_b32_e32 v79, 0
	v_cmp_gt_u32_e32 vcc, s24, v0
	v_lshl_or_b32 v62, v57, 3, v36
	s_mov_b32 s63, 0
	s_mul_i32 s66, s53, s12
	v_or_b32_e32 v99, 0x4000, v62
	s_movk_i32 s22, 0x4000
	v_or_b32_e32 v102, 0x6000, v62
	s_movk_i32 s37, 0x2000
	s_movk_i32 s39, 0x3000
	v_mov_b32_e32 v140, 0x3fb8aa3b
	s_mov_b32 s69, 0
	s_waitcnt vmcnt(1)
	v_perm_b32 v77, v38, v46, s64
	s_waitcnt vmcnt(0)
	v_perm_b32 v78, v42, v50, s64
	v_perm_b32 v38, v38, v46, s65
	v_perm_b32 v42, v42, v50, s65
	v_perm_b32 v46, v39, v47, s64
	v_perm_b32 v50, v43, v51, s64
	v_perm_b32 v39, v39, v47, s65
	v_perm_b32 v43, v43, v51, s65
	v_perm_b32 v47, v40, v48, s64
	v_perm_b32 v51, v44, v52, s64
	v_perm_b32 v40, v40, v48, s65
	v_perm_b32 v44, v44, v52, s65
	v_perm_b32 v48, v41, v49, s64
	v_perm_b32 v52, v45, v53, s64
	v_perm_b32 v41, v41, v49, s65
	v_perm_b32 v45, v45, v53, s65
	ds_write2st64_b32 v37, v77, v78 offset0:128 offset1:160
	ds_write2st64_b32 v54, v38, v42 offset0:128 offset1:160
	;; [unrolled: 1-line block ×8, first 2 shown]
	v_lshlrev_b32_e32 v37, 8, v57
	v_or_b32_e32 v103, v37, v59
	v_or_b32_e32 v104, v37, v60
	;; [unrolled: 1-line block ×3, first 2 shown]
	v_lshl_or_b32 v38, v37, 3, v36
	v_lshlrev_b32_e32 v37, 8, v37
	v_or_b32_e32 v107, v37, v59
	v_or_b32_e32 v108, v37, v60
	;; [unrolled: 1-line block ×5, first 2 shown]
	v_lshl_or_b32 v38, v37, 3, v36
	v_lshlrev_b32_e32 v37, 8, v37
	v_or_b32_e32 v111, v37, v59
	v_or_b32_e32 v112, v37, v60
	;; [unrolled: 1-line block ×3, first 2 shown]
	v_lshlrev_b32_e32 v37, 3, v37
	v_lshrrev_b32_e32 v39, 5, v67
	v_and_or_b32 v39, v37, s3, v39
	v_lshlrev_b32_e32 v39, 4, v39
	v_lshlrev_b32_e32 v40, 11, v1
	v_and_b32_e32 v37, 0x78, v37
	v_or_b32_e32 v45, 32, v39
	v_or_b32_e32 v109, 0x4000, v38
	;; [unrolled: 1-line block ×3, first 2 shown]
	v_and_b32_e32 v38, 0x1000, v40
	v_xor_b32_e32 v41, v39, v37
	v_lshrrev_b32_e32 v42, 1, v0
	v_xor_b32_e32 v45, v45, v37
	v_or_b32_e32 v41, v41, v38
	v_and_b32_e32 v43, 8, v42
	v_or_b32_e32 v45, v45, v38
	v_xor_b32_e32 v113, v41, v43
	v_lshlrev_b32_e32 v41, 8, v85
	v_xor_b32_e32 v115, v45, v43
	v_or_b32_e32 v45, 64, v39
	v_or_b32_e32 v39, 0x60, v39
	s_ashr_i32 s3, s2, 31
	v_or_b32_e32 v44, v41, v55
	v_xor_b32_e32 v45, v45, v37
	v_xor_b32_e32 v37, v39, v37
	s_lshl_b64 s[20:21], s[2:3], 8
	v_lshlrev_b32_e32 v44, 1, v44
	v_or_b32_e32 v45, v45, v38
	v_or_b32_e32 v37, v37, v38
	s_add_u32 s20, s18, s20
	v_lshlrev_b32_e32 v38, 1, v86
	v_or_b32_e32 v114, 0x4000, v44
	v_or_b32_e32 v116, 0x4080, v44
	;; [unrolled: 1-line block ×8, first 2 shown]
	v_lshrrev_b32_e32 v44, 4, v0
	s_addc_u32 s21, s19, s21
	v_or_b32_e32 v39, 1, v38
	v_lshlrev_b32_e32 v78, 4, v86
	v_mov_b32_e32 v48, 0xa000
	v_mov_b32_e32 v49, 0x8000
	v_xor_b32_e32 v119, v45, v43
	v_xor_b32_e32 v45, v44, v38
	;; [unrolled: 1-line block ×3, first 2 shown]
	v_lshl_add_u64 v[38:39], s[20:21], 0, v[78:79]
	v_lshlrev_b32_e32 v78, 8, v44
	v_cndmask_b32_e32 v48, v48, v49, vcc
	v_lshlrev_b32_e32 v49, 3, v1
	v_and_b32_e32 v42, 24, v42
	v_lshl_or_b32 v125, v45, 3, v78
	v_and_b32_e32 v45, 8, v0
	v_xor_b32_e32 v50, v49, v42
	v_or_b32_e32 v51, 0x440, v50
	v_cmp_eq_u32_e32 vcc, 0, v45
	v_and_b32_e32 v44, 7, v0
	v_lshl_or_b32 v126, v46, 3, v78
	v_cndmask_b32_e32 v45, v51, v50, vcc
	v_lshlrev_b32_e32 v46, 3, v44
	v_lshlrev_b32_e32 v44, 7, v44
	v_or_b32_e32 v45, v45, v40
	v_lshlrev_b32_e32 v47, 2, v0
	v_xad_u32 v127, v45, v46, v44
	v_or_b32_e32 v45, 32, v42
	v_and_or_b32 v41, v47, 60, v41
	v_xor_b32_e32 v45, v49, v45
	v_lshlrev_b32_e32 v41, 1, v41
	v_or_b32_e32 v47, 0x440, v45
	v_or_b32_e32 v128, 0x6000, v41
	v_cndmask_b32_e32 v45, v47, v45, vcc
	v_or_b32_e32 v130, 0x6080, v41
	v_or_b32_e32 v131, 0x6100, v41
	;; [unrolled: 1-line block ×5, first 2 shown]
	v_xor_b32_e32 v41, v49, v41
	v_xad_u32 v129, v45, v46, v44
	v_xor_b32_e32 v45, 0x440, v41
	v_cndmask_b32_e32 v41, v45, v41, vcc
	v_or_b32_e32 v41, v41, v40
	v_xad_u32 v133, v41, v46, v44
	v_or_b32_e32 v41, 0x60, v42
	v_xor_b32_e32 v41, v49, v41
	v_xor_b32_e32 v42, 0x440, v41
	v_cndmask_b32_e32 v41, v42, v41, vcc
	v_or_b32_e32 v40, v41, v40
	v_xor_b32_e32 v120, v37, v43
	v_ashrrev_i32_e32 v77, 31, v76
	v_lshlrev_b32_e32 v37, 1, v35
	v_add_lshl_u32 v35, v35, s15, 1
	v_or_b32_e32 v43, 0x100, v34
	v_xad_u32 v134, v40, v46, v44
	v_cndmask_b32_e64 v135, v37, v34, s[0:1]
	v_cndmask_b32_e64 v136, v35, v43, s[0:1]
	v_lshl_add_u64 v[80:81], v[76:77], 1, s[8:9]
	v_lshl_add_u64 v[82:83], v[38:39], 0, v[78:79]
	s_mov_b32 s3, 0x7060302
	v_lshlrev_b32_e32 v78, 1, v36
	v_add_u32_e32 v77, v48, v127
	v_add_u32_e32 v137, v48, v129
	;; [unrolled: 1-line block ×4, first 2 shown]
	s_waitcnt lgkmcnt(0)
	s_barrier
.LBB250_6:                              ; =>This Inner Loop Header: Depth=1
	s_add_i32 s68, s69, 1
	s_cmp_lt_i32 s68, s54
	s_mov_b64 s[24:25], 0
	s_cselect_b64 s[44:45], -1, 0
	s_cmp_ge_i32 s68, s54
	s_mov_b64 s[20:21], 0
	s_cbranch_scc1 .LBB250_8
; %bb.7:                                ;   in Loop: Header=BB250_6 Depth=1
	s_add_i32 s0, s63, 64
	s_add_u32 s0, s16, s0
	s_addc_u32 s1, s17, 0
	s_lshl_b64 s[0:1], s[0:1], 8
	s_add_u32 s20, s6, s0
	s_addc_u32 s21, s7, s1
.LBB250_8:                              ;   in Loop: Header=BB250_6 Depth=1
	v_cndmask_b32_e64 v34, 0, 1, s[44:45]
	v_cmp_ne_u32_e64 s[0:1], 1, v34
	s_andn2_b64 vcc, exec, s[44:45]
	s_cbranch_vccnz .LBB250_10
; %bb.9:                                ;   in Loop: Header=BB250_6 Depth=1
	s_add_i32 s24, s63, 64
	s_add_u32 s24, s66, s24
	s_addc_u32 s25, s67, 0
	s_mul_i32 s27, s24, s55
	s_mul_hi_u32 s44, s24, s60
	s_add_i32 s27, s44, s27
	s_mul_i32 s25, s25, s60
	s_add_i32 s27, s27, s25
	s_mul_i32 s24, s24, s60
	s_add_u32 s24, s24, s56
	s_addc_u32 s25, s27, s61
	s_lshl_b64 s[24:25], s[24:25], 8
	s_add_u32 s24, s4, s24
	s_addc_u32 s25, s5, s25
.LBB250_10:                             ;   in Loop: Header=BB250_6 Depth=1
	v_perm_b32 v35, v9, v8, s3
	v_perm_b32 v34, v7, v6, s3
	v_perm_b32 v37, v5, v4, s3
	v_perm_b32 v36, v3, v2, s3
	ds_write_b64 v97, v[34:35]
	ds_write_b64 v98, v[36:37]
	ds_write_b64 v100, v[34:35]
	ds_write_b64 v101, v[36:37]
	v_perm_b32 v35, v17, v16, s3
	v_perm_b32 v34, v15, v14, s3
	v_perm_b32 v37, v13, v12, s3
	v_perm_b32 v36, v11, v10, s3
	ds_write_b64 v99, v[34:35]
	ds_write_b64 v102, v[36:37]
	ds_write_b64 v103, v[34:35]
	ds_write_b64 v104, v[36:37]
	;; [unrolled: 8-line block ×4, first 2 shown]
	s_waitcnt lgkmcnt(0)
	s_barrier
	ds_read_b64 v[38:39], v113 offset:49152
	ds_read2_b64 v[34:37], v114 offset1:16
	ds_read_b64 v[50:51], v116 offset:6144
	ds_read_b64 v[52:53], v114 offset:6144
	s_waitcnt lgkmcnt(2)
	v_mfma_f32_16x16x16_bf16 a[0:3], v[38:39], v[34:35], 0
	ds_read_b64 v[54:55], v115 offset:49152
	ds_read2st64_b64 v[42:45], v117 offset0:4 offset1:8
	ds_read2st64_b64 v[46:49], v118 offset0:4 offset1:8
	v_mfma_f32_16x16x16_bf16 a[4:7], v[38:39], v[36:37], 0
	ds_read2_b64 v[34:37], v114 offset0:32 offset1:48
	s_add_i32 s27, s63, 63
	s_mul_i32 s44, s27, s35
	s_waitcnt lgkmcnt(0)
	v_mfma_f32_16x16x16_bf16 a[8:11], v[38:39], v[34:35], 0
	s_mul_hi_u32 s45, s27, s34
	s_add_i32 s45, s45, s44
	s_mul_i32 s44, s27, s34
	v_mfma_f32_16x16x16_bf16 a[12:15], v[38:39], v[36:37], 0
	ds_read2st64_b64 v[34:37], v114 offset0:4 offset1:8
	ds_read2st64_b64 v[38:41], v116 offset0:4 offset1:8
	s_lshl_b64 s[44:45], s[44:45], 2
	s_waitcnt lgkmcnt(1)
	v_mfma_f32_16x16x16_bf16 a[0:3], v[54:55], v[34:35], a[0:3]
	s_add_u32 s44, s42, s44
	s_addc_u32 s45, s43, s45
	s_and_b64 vcc, exec, s[0:1]
	s_waitcnt lgkmcnt(0)
	v_mfma_f32_16x16x16_bf16 a[4:7], v[54:55], v[38:39], a[4:7]
	v_mov_b32_e32 v143, 0
	v_mov_b32_e32 v142, 0
	;; [unrolled: 1-line block ×3, first 2 shown]
	v_mfma_f32_16x16x16_bf16 a[8:11], v[54:55], v[42:43], a[8:11]
	ds_read_b64 v[34:35], v119 offset:49152
	ds_read_b64 v[38:39], v120 offset:49152
	;; [unrolled: 1-line block ×3, first 2 shown]
	v_mfma_f32_16x16x16_bf16 a[12:15], v[54:55], v[46:47], a[12:15]
	v_mov_b32_e32 v46, 0
	v_mov_b32_e32 v47, 0
	s_waitcnt lgkmcnt(2)
	v_mfma_f32_16x16x16_bf16 a[0:3], v[34:35], v[36:37], a[0:3]
	v_mov_b32_e32 v36, 0
	v_mov_b32_e32 v37, 0
	v_mfma_f32_16x16x16_bf16 a[16:19], v[34:35], v[40:41], a[4:7]
	v_mov_b32_e32 v40, 0
	v_mov_b32_e32 v41, 0
	v_mfma_f32_16x16x16_bf16 a[20:23], v[34:35], v[44:45], a[8:11]
	v_mov_b32_e32 v44, 0
	v_mov_b32_e32 v45, 0
	v_mfma_f32_16x16x16_bf16 a[24:27], v[34:35], v[48:49], a[12:15]
	ds_read_b64 v[34:35], v117 offset:6144
	v_mov_b32_e32 v48, 0
	v_mov_b32_e32 v49, 0
	s_waitcnt lgkmcnt(2)
	v_mfma_f32_16x16x16_bf16 a[4:7], v[38:39], v[52:53], a[0:3]
	v_mfma_f32_16x16x16_bf16 a[8:11], v[38:39], v[50:51], a[16:19]
	s_waitcnt lgkmcnt(0)
	v_mfma_f32_16x16x16_bf16 a[12:15], v[38:39], v[34:35], a[20:23]
	v_mov_b32_e32 v34, 0
	v_mov_b32_e32 v35, 0
	v_mfma_f32_16x16x16_bf16 a[0:3], v[38:39], v[42:43], a[24:27]
	v_mov_b32_e32 v38, 0
	v_mov_b32_e32 v39, 0
	;; [unrolled: 1-line block ×4, first 2 shown]
	s_cbranch_vccnz .LBB250_12
; %bb.11:                               ;   in Loop: Header=BB250_6 Depth=1
	s_and_b32 s21, s21, 0xffff
	buffer_load_dwordx4 v[46:49], v93, s[20:23], 0 offen
	buffer_load_dwordx4 v[42:45], v93, s[20:23], s62 offen
	;; [unrolled: 1-line block ×4, first 2 shown]
	v_mov_b32_e32 v142, v95
	v_mov_b32_e32 v141, v96
.LBB250_12:                             ;   in Loop: Header=BB250_6 Depth=1
	ds_read_b64 v[144:145], v113 offset:57344
	ds_read2_b64 v[50:53], v121 offset1:16
	ds_read_b64 v[146:147], v115 offset:57344
	ds_read_b64 v[148:149], v119 offset:57344
	;; [unrolled: 1-line block ×3, first 2 shown]
	v_add_u32_e32 v152, s63, v89
	s_waitcnt lgkmcnt(3)
	v_mfma_f32_16x16x16_bf16 a[4:7], v[144:145], v[50:51], a[4:7]
	v_mfma_f32_16x16x16_bf16 a[8:11], v[144:145], v[52:53], a[8:11]
	ds_read2_b64 v[50:53], v121 offset0:32 offset1:48
	ds_read2st64_b64 v[54:57], v121 offset0:4 offset1:8
	ds_read2st64_b64 v[58:61], v122 offset0:4 offset1:8
	;; [unrolled: 1-line block ×3, first 2 shown]
	s_waitcnt lgkmcnt(3)
	v_mfma_f32_16x16x16_bf16 a[12:15], v[144:145], v[50:51], a[12:15]
	v_ashrrev_i32_e32 v50, 31, v152
	v_mfma_f32_16x16x16_bf16 a[0:3], v[144:145], v[52:53], a[0:3]
	v_mul_lo_u32 v52, v50, s34
	v_mul_lo_u32 v53, v152, s35
	v_mad_u64_u32 v[50:51], s[20:21], v152, s34, 0
	v_add3_u32 v51, v51, v53, v52
	v_add_u32_e32 v52, 1, v152
	v_ashrrev_i32_e32 v53, 31, v52
	s_waitcnt lgkmcnt(2)
	v_mfma_f32_16x16x16_bf16 a[4:7], v[146:147], v[54:55], a[4:7]
	v_mul_lo_u32 v54, v53, s34
	v_mul_lo_u32 v55, v52, s35
	v_mad_u64_u32 v[52:53], s[20:21], v52, s34, 0
	v_add3_u32 v53, v53, v55, v54
	v_add_u32_e32 v54, 2, v152
	v_ashrrev_i32_e32 v55, 31, v54
	s_waitcnt lgkmcnt(1)
	v_mfma_f32_16x16x16_bf16 a[8:11], v[146:147], v[58:59], a[8:11]
	v_mul_lo_u32 v58, v55, s34
	v_mul_lo_u32 v59, v54, s35
	v_mad_u64_u32 v[54:55], s[20:21], v54, s34, 0
	v_lshl_add_u64 v[50:51], v[50:51], 2, s[42:43]
	v_add3_u32 v55, v55, v59, v58
	v_add_u32_e32 v58, 3, v152
	v_ashrrev_i32_e32 v59, 31, v58
	global_load_dword v145, v[50:51], off
	v_mad_u64_u32 v[50:51], s[20:21], v58, s34, 0
	v_mul_lo_u32 v59, v59, s34
	v_mul_lo_u32 v144, v58, s35
	s_add_u32 s20, s16, s63
	v_add3_u32 v51, v51, v144, v59
	s_addc_u32 s21, s17, 0
	v_lshl_add_u64 v[52:53], v[52:53], 2, s[42:43]
	v_lshl_add_u64 v[54:55], v[54:55], 2, s[42:43]
	v_lshl_add_u64 v[50:51], v[50:51], 2, s[42:43]
	s_lshl_b64 s[20:21], s[20:21], 8
	global_load_dword v144, v[52:53], off
	global_load_dword v152, v[54:55], off
	global_load_dword v153, v[50:51], off
	v_lshl_add_u64 v[50:51], v[80:81], 0, s[20:21]
	v_lshl_add_u64 v[54:55], v[50:51], 0, v[78:79]
	global_load_ushort v154, v[54:55], off offset:256
	global_load_ushort v155, v[54:55], off
	ds_read2st64_b64 v[50:53], v124 offset0:4 offset1:8
	global_load_ushort v156, v[54:55], off offset:768
	global_load_ushort v157, v[54:55], off offset:512
	s_waitcnt lgkmcnt(1)
	v_mfma_f32_16x16x16_bf16 a[12:15], v[146:147], v[62:63], a[12:15]
	s_and_b64 vcc, exec, s[0:1]
	s_waitcnt vmcnt(3)
	v_lshlrev_b32_e32 v63, 16, v154
	s_waitcnt lgkmcnt(0)
	v_mfma_f32_16x16x16_bf16 a[0:3], v[146:147], v[50:51], a[0:3]
	global_load_ushort v146, v[54:55], off offset:288
	global_load_ushort v147, v[54:55], off offset:32
	;; [unrolled: 1-line block ×8, first 2 shown]
	v_mfma_f32_16x16x16_bf16 a[4:7], v[148:149], v[56:57], a[4:7]
	ds_read_b64 v[50:51], v121 offset:6144
	s_waitcnt vmcnt(10)
	v_lshlrev_b32_e32 v62, 16, v155
	v_mfma_f32_16x16x16_bf16 a[8:11], v[148:149], v[60:61], a[8:11]
	v_mfma_f32_16x16x16_bf16 a[12:15], v[148:149], v[64:65], a[12:15]
	;; [unrolled: 1-line block ×3, first 2 shown]
	global_load_ushort v148, v[54:55], off offset:352
	global_load_ushort v149, v[54:55], off offset:96
	ds_read_b64 v[52:53], v122 offset:6144
	ds_read_b64 v[56:57], v123 offset:6144
	;; [unrolled: 1-line block ×3, first 2 shown]
	global_load_ushort v164, v[54:55], off offset:864
	global_load_ushort v165, v[54:55], off offset:608
	s_load_dword s20, s[44:45], 0x0
	s_waitcnt lgkmcnt(0)
	v_mfma_f32_16x16x16_bf16 a[4:7], v[150:151], v[50:51], a[4:7]
	v_sub_f32_e32 v60, s20, v152
	v_mfma_f32_16x16x16_bf16 a[0:3], v[150:151], v[58:59], a[0:3]
	v_sub_f32_e32 v58, s20, v145
	v_sub_f32_e32 v59, s20, v144
	;; [unrolled: 1-line block ×3, first 2 shown]
	v_mul_f32_e32 v58, 0x3fb8aa3b, v58
	v_mul_f32_e32 v59, 0x3fb8aa3b, v59
	;; [unrolled: 1-line block ×4, first 2 shown]
	v_mfma_f32_16x16x16_bf16 a[8:11], v[150:151], v[52:53], a[8:11]
	v_exp_f32_e32 v58, v58
	v_exp_f32_e32 v59, v59
	;; [unrolled: 1-line block ×4, first 2 shown]
	v_accvgpr_read_b32 v65, a5
	v_accvgpr_read_b32 v64, a4
	;; [unrolled: 1-line block ×4, first 2 shown]
	v_pk_add_f32 v[62:63], v[62:63], v[64:65] neg_lo:[0,1] neg_hi:[0,1]
	s_waitcnt vmcnt(13)
	v_lshlrev_b32_e32 v65, 16, v156
	s_waitcnt vmcnt(12)
	v_lshlrev_b32_e32 v64, 16, v157
	v_pk_add_f32 v[50:51], v[64:65], v[50:51] neg_lo:[0,1] neg_hi:[0,1]
	v_pk_mul_f32 v[62:63], v[58:59], v[62:63]
	v_pk_mul_f32 v[50:51], v[60:61], v[50:51]
	v_accvgpr_read_b32 v65, a9
	v_perm_b32 v51, v51, v50, s3
	v_perm_b32 v50, v63, v62, s3
	v_accvgpr_read_b32 v64, a8
	v_accvgpr_read_b32 v53, a11
	v_mfma_f32_16x16x16_bf16 a[12:15], v[150:151], v[56:57], a[12:15]
	v_accvgpr_read_b32 v52, a10
	v_accvgpr_read_b32 v57, a3
	;; [unrolled: 1-line block ×3, first 2 shown]
	v_mov_b32_e32 v144, 0
	s_waitcnt vmcnt(11)
	v_lshlrev_b32_e32 v63, 16, v146
	s_waitcnt vmcnt(10)
	v_lshlrev_b32_e32 v62, 16, v147
	v_pk_add_f32 v[62:63], v[62:63], v[64:65] neg_lo:[0,1] neg_hi:[0,1]
	s_waitcnt vmcnt(9)
	v_lshlrev_b32_e32 v65, 16, v158
	s_waitcnt vmcnt(8)
	v_lshlrev_b32_e32 v64, 16, v159
	v_pk_add_f32 v[52:53], v[64:65], v[52:53] neg_lo:[0,1] neg_hi:[0,1]
	v_pk_mul_f32 v[62:63], v[58:59], v[62:63]
	v_pk_mul_f32 v[52:53], v[60:61], v[52:53]
	v_accvgpr_read_b32 v55, a15
	v_perm_b32 v53, v53, v52, s3
	v_perm_b32 v52, v63, v62, s3
	ds_write2_b64 v98, v[50:51], v[52:53] offset1:16
	v_accvgpr_read_b32 v53, a13
	s_waitcnt vmcnt(7)
	v_lshlrev_b32_e32 v51, 16, v160
	s_waitcnt vmcnt(6)
	v_lshlrev_b32_e32 v50, 16, v161
	v_accvgpr_read_b32 v52, a12
	v_accvgpr_read_b32 v54, a14
	v_pk_add_f32 v[50:51], v[50:51], v[52:53] neg_lo:[0,1] neg_hi:[0,1]
	s_waitcnt vmcnt(5)
	v_lshlrev_b32_e32 v53, 16, v162
	s_waitcnt vmcnt(4)
	v_lshlrev_b32_e32 v52, 16, v163
	v_pk_add_f32 v[52:53], v[52:53], v[54:55] neg_lo:[0,1] neg_hi:[0,1]
	v_pk_mul_f32 v[50:51], v[58:59], v[50:51]
	v_pk_mul_f32 v[52:53], v[60:61], v[52:53]
	v_accvgpr_read_b32 v55, a1
	v_perm_b32 v53, v53, v52, s3
	v_perm_b32 v52, v51, v50, s3
	s_waitcnt vmcnt(3)
	v_lshlrev_b32_e32 v51, 16, v148
	s_waitcnt vmcnt(2)
	v_lshlrev_b32_e32 v50, 16, v149
	v_accvgpr_read_b32 v54, a0
	v_pk_add_f32 v[50:51], v[50:51], v[54:55] neg_lo:[0,1] neg_hi:[0,1]
	s_waitcnt vmcnt(1)
	v_lshlrev_b32_e32 v55, 16, v164
	s_waitcnt vmcnt(0)
	v_lshlrev_b32_e32 v54, 16, v165
	v_pk_add_f32 v[54:55], v[54:55], v[56:57] neg_lo:[0,1] neg_hi:[0,1]
	v_pk_mul_f32 v[50:51], v[58:59], v[50:51]
	v_pk_mul_f32 v[54:55], v[60:61], v[54:55]
	v_mov_b32_e32 v56, 0
	v_perm_b32 v55, v55, v54, s3
	v_perm_b32 v54, v51, v50, s3
	ds_write2_b64 v98, v[52:53], v[54:55] offset0:32 offset1:48
	v_mov_b32_e32 v50, 0
	v_mov_b32_e32 v51, 0
	;; [unrolled: 1-line block ×15, first 2 shown]
	s_cbranch_vccnz .LBB250_14
; %bb.13:                               ;   in Loop: Header=BB250_6 Depth=1
	s_and_b32 s25, s25, 0xffff
	s_mov_b32 s27, s23
	buffer_load_dwordx4 v[62:65], v135, s[24:27], 0 offen
	buffer_load_dwordx4 v[54:57], v135, s[24:27], s62 offen
	buffer_load_dwordx4 v[58:61], v136, s[24:27], 0 offen
	buffer_load_dwordx4 v[50:53], v136, s[24:27], s62 offen
	v_mov_b32_e32 v143, v92
	v_mov_b32_e32 v144, v91
.LBB250_14:                             ;   in Loop: Header=BB250_6 Depth=1
	s_waitcnt lgkmcnt(0)
	s_barrier
	ds_read_b64 v[154:155], v77
	ds_read2_b64 v[146:149], v128 offset1:16
	ds_read_b64 v[170:171], v137
	ds_read_b64 v[172:173], v138
	;; [unrolled: 1-line block ×3, first 2 shown]
	ds_read2_b64 v[150:153], v128 offset0:32 offset1:48
	s_waitcnt lgkmcnt(4)
	v_mfma_f32_16x16x16_bf16 a[0:3], v[154:155], v[146:147], 0
	ds_read2st64_b64 v[158:161], v130 offset0:4 offset1:8
	ds_read2st64_b64 v[162:165], v131 offset0:4 offset1:8
	;; [unrolled: 1-line block ×3, first 2 shown]
	v_mfma_f32_16x16x16_bf16 a[4:7], v[154:155], v[148:149], 0
	s_add_i32 s21, s57, s69
	s_mul_hi_i32 s25, s21, s13
	s_mul_i32 s21, s21, s13
	s_waitcnt lgkmcnt(3)
	v_mfma_f32_16x16x16_bf16 a[8:11], v[154:155], v[150:151], 0
	s_add_u32 s24, s21, s50
	s_addc_u32 s25, s25, s51
	s_lshl_b64 s[24:25], s[24:25], 15
	v_mfma_f32_16x16x16_bf16 a[12:15], v[154:155], v[152:153], 0
	ds_read2st64_b64 v[154:157], v128 offset0:4 offset1:8
	s_waitcnt lgkmcnt(0)
	v_mfma_f32_16x16x16_bf16 a[0:3], v[170:171], v[154:155], a[0:3]
	v_mfma_f32_16x16x16_bf16 a[4:7], v[170:171], v[158:159], a[4:7]
	;; [unrolled: 1-line block ×8, first 2 shown]
	ds_read_b64 v[170:171], v128 offset:6144
	ds_read_b64 v[172:173], v129 offset:40960
	;; [unrolled: 1-line block ×8, first 2 shown]
	s_waitcnt lgkmcnt(5)
	v_mfma_f32_16x16x16_bf16 a[16:19], v[176:177], v[146:147], 0
	v_mfma_f32_16x16x16_bf16 a[20:23], v[176:177], v[148:149], 0
	ds_read2st64_b64 v[146:149], v125 offset1:8
	v_mfma_f32_16x16x16_bf16 a[24:27], v[176:177], v[150:151], 0
	v_mfma_f32_16x16x16_bf16 a[28:31], v[176:177], v[152:153], 0
	ds_read2st64_b64 v[150:153], v126 offset1:8
	v_mfma_f32_16x16x16_bf16 a[16:19], v[172:173], v[154:155], a[16:19]
	s_waitcnt lgkmcnt(1)
	v_mov_b32_e32 v154, v146
	v_mov_b32_e32 v155, v147
	v_mfma_f32_16x16x16_bf16 a[20:23], v[172:173], v[158:159], a[20:23]
	v_lshl_add_u64 v[158:159], v[82:83], 0, s[24:25]
	v_mfma_f32_16x16x16_bf16 a[24:27], v[172:173], v[162:163], a[24:27]
	v_mfma_f32_16x16x16_bf16 a[28:31], v[172:173], v[166:167], a[28:31]
	v_mfma_f32_16x16x16_bf16 a[16:19], v[184:185], v[156:157], a[16:19]
	s_waitcnt lgkmcnt(0)
	v_mov_b32_e32 v156, v150
	v_mov_b32_e32 v157, v151
	;; [unrolled: 1-line block ×3, first 2 shown]
	v_mfma_f32_16x16x16_bf16 a[32:35], v[184:185], v[160:161], a[20:23]
	v_mov_b32_e32 v151, v149
	ds_read2st64_b64 v[146:149], v125 offset0:16 offset1:24
	global_store_dwordx4 v[158:159], v[154:157], off
	v_mfma_f32_16x16x16_bf16 a[24:27], v[184:185], v[164:165], a[24:27]
	ds_read2st64_b64 v[154:157], v126 offset0:16 offset1:24
	v_add_co_u32_e32 v160, vcc, s37, v158
	v_mfma_f32_16x16x16_bf16 a[28:31], v[184:185], v[168:169], a[28:31]
	s_nop 0
	v_addc_co_u32_e32 v161, vcc, 0, v159, vcc
	global_store_dwordx4 v[160:161], v[150:153], off offset:-4096
	v_mfma_f32_16x16x16_bf16 a[0:3], v[174:175], v[170:171], a[0:3]
	s_waitcnt lgkmcnt(1)
	v_mov_b32_e32 v150, v146
	v_add_co_u32_e32 v146, vcc, s39, v158
	v_mfma_f32_16x16x16_bf16 a[4:7], v[174:175], v[178:179], a[4:7]
	v_mov_b32_e32 v151, v147
	v_addc_co_u32_e32 v147, vcc, 0, v159, vcc
	v_mfma_f32_16x16x16_bf16 a[8:11], v[174:175], v[180:181], a[8:11]
	s_waitcnt lgkmcnt(0)
	v_mov_b32_e32 v152, v154
	v_mov_b32_e32 v153, v155
	;; [unrolled: 1-line block ×3, first 2 shown]
	v_mfma_f32_16x16x16_bf16 a[12:15], v[174:175], v[182:183], a[12:15]
	v_mov_b32_e32 v155, v149
	s_and_b64 vcc, exec, s[0:1]
	global_store_dwordx4 v[160:161], v[150:153], off
	v_mfma_f32_16x16x16_bf16 a[20:23], v[186:187], v[170:171], a[16:19]
	global_store_dwordx4 v[146:147], v[154:157], off
	v_mfma_f32_16x16x16_bf16 a[16:19], v[186:187], v[178:179], a[32:35]
	v_mfma_f32_16x16x16_bf16 a[24:27], v[186:187], v[180:181], a[24:27]
	;; [unrolled: 1-line block ×3, first 2 shown]
	s_cbranch_vccnz .LBB250_16
; %bb.15:                               ;   in Loop: Header=BB250_6 Depth=1
	v_lshrrev_b32_e32 v145, 3, v143
	v_and_b32_e32 v145, 6, v145
	v_xor_b32_e32 v144, v145, v144
	v_lshlrev_b32_e32 v144, 2, v144
	v_and_b32_e32 v143, 8, v143
	v_xor_b32_e32 v146, 0x440, v144
	v_cmp_eq_u32_e32 vcc, 0, v143
	s_barrier
	s_nop 0
	v_cndmask_b32_e32 v143, v146, v144, vcc
	v_lshl_or_b32 v143, v145, 10, v143
	s_waitcnt vmcnt(5)
	v_perm_b32 v144, v62, v58, s64
	s_waitcnt vmcnt(4)
	v_perm_b32 v145, v54, v50, s64
	ds_write2st64_b32 v143, v144, v145 offset0:128 offset1:160
	v_xor_b32_e32 v144, 8, v143
	v_perm_b32 v58, v62, v58, s65
	v_perm_b32 v50, v54, v50, s65
	v_add_u32_e32 v54, 0x80, v144
	ds_write2st64_b32 v54, v58, v50 offset0:128 offset1:160
	v_xor_b32_e32 v50, 16, v143
	v_perm_b32 v54, v63, v59, s64
	v_perm_b32 v58, v55, v51, s64
	ds_write2st64_b32 v50, v54, v58 offset0:129 offset1:161
	v_xor_b32_e32 v50, 24, v143
	v_perm_b32 v54, v63, v59, s65
	v_perm_b32 v51, v55, v51, s65
	v_add_u32_e32 v50, 0x80, v50
	ds_write2st64_b32 v50, v54, v51 offset0:129 offset1:161
	v_xor_b32_e32 v50, 32, v143
	v_perm_b32 v51, v64, v60, s64
	;; [unrolled: 9-line block ×3, first 2 shown]
	v_perm_b32 v52, v57, v53, s64
	ds_write2st64_b32 v50, v51, v52 offset0:131 offset1:163
	v_xor_b32_e32 v50, 56, v143
	v_perm_b32 v51, v65, v61, s65
	v_perm_b32 v52, v57, v53, s65
	v_add_u32_e32 v50, 0x80, v50
	ds_write2st64_b32 v50, v51, v52 offset0:131 offset1:163
	ds_write_b64 v142, v[46:47] offset:49152
	v_xor_b32_e32 v46, 8, v142
	ds_write_b64 v46, v[48:49] offset:49152
	ds_write_b64 v142, v[42:43] offset:57344
	;; [unrolled: 1-line block ×4, first 2 shown]
	v_xor_b32_e32 v38, 8, v141
	ds_write_b64 v38, v[40:41] offset:49152
	ds_write_b64 v141, v[34:35] offset:57344
	;; [unrolled: 1-line block ×3, first 2 shown]
.LBB250_16:                             ;   in Loop: Header=BB250_6 Depth=1
	s_waitcnt vmcnt(6)
	v_mul_f32_e32 v54, s20, v140
	v_exp_f32_e32 v142, v54
	v_accvgpr_read_b32 v37, a3
	v_accvgpr_read_b32 v41, a7
	;; [unrolled: 1-line block ×4, first 2 shown]
	s_waitcnt vmcnt(4)
	v_accvgpr_read_b32 v53, a23
	v_accvgpr_read_b32 v57, a19
	;; [unrolled: 1-line block ×28, first 2 shown]
	s_add_i32 s63, s63, 64
	v_pk_fma_f32 v[6:7], v[6:7], v[142:143], v[34:35] op_sel_hi:[1,0,1]
	v_pk_fma_f32 v[8:9], v[8:9], v[142:143], v[36:37] op_sel_hi:[1,0,1]
	;; [unrolled: 1-line block ×15, first 2 shown]
	s_cmp_eq_u32 s54, s68
	v_pk_fma_f32 v[28:29], v[28:29], v[142:143], v[64:65] op_sel_hi:[1,0,1]
	s_cbranch_scc1 .LBB250_18
; %bb.17:                               ;   in Loop: Header=BB250_6 Depth=1
	s_mov_b32 s69, s68
	s_branch .LBB250_6
.LBB250_18:
	s_lshl_b32 s26, s54, 6
	s_sub_i32 s27, s12, s26
	s_cmp_gt_i32 s27, 0
	s_cbranch_scc0 .LBB250_99
; %bb.19:
	s_ashr_i32 s3, s26, 31
	s_cmpk_lg_i32 s15, 0x80
	s_cselect_b64 s[22:23], -1, 0
	s_and_b64 vcc, exec, s[22:23]
	s_cbranch_vccz .LBB250_21
; %bb.20:
	s_mul_i32 s1, s53, s12
	s_mul_hi_i32 s0, s53, s12
	s_add_u32 s1, s1, s26
	s_addc_u32 s0, s0, s3
	s_mul_i32 s17, s1, s55
	s_mul_hi_u32 s20, s1, s14
	s_add_i32 s17, s20, s17
	s_mul_i32 s0, s0, s14
	s_add_i32 s17, s17, s0
	s_mul_i32 s1, s1, s14
	s_ashr_i32 s0, s56, 31
	s_add_u32 s24, s1, s56
	s_addc_u32 s25, s17, s0
	s_cbranch_execz .LBB250_22
	s_branch .LBB250_23
.LBB250_21:
                                        ; implicit-def: $sgpr24_sgpr25
.LBB250_22:
	s_mul_hi_i32 s0, s53, s14
	s_mul_i32 s53, s53, s14
	s_ashr_i32 s1, s56, 31
	s_add_u32 s14, s53, s56
	s_addc_u32 s0, s0, s1
	s_mul_i32 s1, s14, s52
	s_mul_hi_u32 s17, s14, s12
	s_add_i32 s1, s17, s1
	s_mul_i32 s0, s0, s12
	s_add_i32 s1, s1, s0
	s_mul_i32 s14, s14, s12
	s_add_u32 s24, s14, s26
	s_addc_u32 s25, s1, s3
.LBB250_23:
	s_mul_i32 s0, s40, s52
	s_add_i32 s0, s59, s0
	s_add_i32 s14, s57, s54
	;; [unrolled: 1-line block ×3, first 2 shown]
	s_add_u32 s0, s16, s26
	v_lshlrev_b32_e32 v38, 6, v89
	v_lshlrev_b32_e32 v56, 2, v86
	s_addc_u32 s1, s1, s3
	s_mov_b32 s3, 0x7060302
	v_or_b32_e32 v41, v38, v56
	v_xor_b32_e32 v39, v89, v56
	s_waitcnt vmcnt(7)
	v_perm_b32 v35, v9, v8, s3
	v_perm_b32 v34, v7, v6, s3
	s_waitcnt vmcnt(6)
	v_perm_b32 v37, v5, v4, s3
	v_perm_b32 v36, v3, v2, s3
	v_lshlrev_b32_e32 v41, 1, v41
	v_xor_b32_e32 v40, v90, v56
	ds_write2st64_b64 v41, v[34:35], v[36:37] offset0:32 offset1:48
	v_lshlrev_b32_e32 v39, 1, v39
	v_lshlrev_b32_e32 v41, 8, v86
	v_or_b32_e32 v42, v39, v41
	v_lshlrev_b32_e32 v40, 1, v40
	ds_write_b64 v42, v[34:35]
	v_or_b32_e32 v34, v40, v41
	v_or_b32_e32 v41, 16, v86
	v_lshlrev_b32_e32 v55, 2, v41
	v_or_b32_e32 v42, v38, v55
	ds_write_b64 v34, v[36:37]
	s_waitcnt vmcnt(5)
	v_perm_b32 v35, v17, v16, s3
	v_perm_b32 v34, v15, v14, s3
	s_waitcnt vmcnt(4)
	v_perm_b32 v37, v13, v12, s3
	v_perm_b32 v36, v11, v10, s3
	v_lshlrev_b32_e32 v42, 1, v42
	v_lshlrev_b32_e32 v41, 8, v41
	ds_write2st64_b64 v42, v[34:35], v[36:37] offset0:32 offset1:48
	v_or_b32_e32 v42, v39, v41
	ds_write_b64 v42, v[34:35]
	v_or_b32_e32 v34, v40, v41
	v_or_b32_e32 v41, 32, v86
	v_lshlrev_b32_e32 v54, 2, v41
	v_or_b32_e32 v42, v38, v54
	ds_write_b64 v34, v[36:37]
	s_waitcnt vmcnt(3)
	v_perm_b32 v35, v25, v24, s3
	v_perm_b32 v34, v23, v22, s3
	s_waitcnt vmcnt(2)
	v_perm_b32 v37, v21, v20, s3
	v_perm_b32 v36, v19, v18, s3
	v_lshlrev_b32_e32 v42, 1, v42
	v_lshlrev_b32_e32 v41, 8, v41
	s_lshl_b64 s[20:21], s[0:1], 8
	ds_write2st64_b64 v42, v[34:35], v[36:37] offset0:32 offset1:48
	v_or_b32_e32 v42, v39, v41
	s_waitcnt lgkmcnt(0)
	s_add_u32 s0, s6, s20
	ds_write_b64 v42, v[34:35]
	v_or_b32_e32 v34, v40, v41
	s_addc_u32 s1, s7, s21
	ds_write_b64 v34, v[36:37]
	s_waitcnt vmcnt(1)
	v_perm_b32 v35, v33, v32, s3
	v_perm_b32 v34, v31, v30, s3
	s_waitcnt vmcnt(0)
	v_perm_b32 v37, v29, v28, s3
	v_perm_b32 v36, v27, v26, s3
	v_or_b32_e32 v41, 48, v86
	s_mul_hi_i32 s3, s14, s13
	s_mul_i32 s14, s14, s13
	v_lshlrev_b32_e32 v51, 2, v41
	s_add_u32 s6, s14, s50
	v_or_b32_e32 v38, v38, v51
	s_addc_u32 s7, s3, s51
	v_lshlrev_b32_e32 v38, 1, v38
	s_ashr_i32 s3, s2, 31
	s_lshl_b64 s[6:7], s[6:7], 15
	ds_write2st64_b64 v38, v[34:35], v[36:37] offset0:32 offset1:48
	v_lshlrev_b32_e32 v38, 8, v41
	s_add_u32 s6, s18, s6
	v_or_b32_e32 v39, v39, v38
	s_addc_u32 s7, s19, s7
	s_lshl_b64 s[2:3], s[2:3], 8
	ds_write_b64 v39, v[34:35]
	v_or_b32_e32 v34, v40, v38
	s_add_u32 s2, s6, s2
	v_lshlrev_b32_e32 v35, 1, v86
	ds_write_b64 v34, v[36:37]
	v_lshrrev_b32_e32 v34, 4, v0
	s_addc_u32 s3, s7, s3
	v_or_b32_e32 v36, 1, v35
	v_lshlrev_b32_e32 v42, 4, v86
	v_mov_b32_e32 v43, 0
	v_xor_b32_e32 v35, v34, v35
	v_xor_b32_e32 v38, v36, v34
	v_lshl_add_u64 v[44:45], s[2:3], 0, v[42:43]
	v_lshlrev_b32_e32 v42, 8, v34
	v_lshl_or_b32 v48, v35, 3, v42
	v_lshl_or_b32 v49, v38, 3, v42
	s_waitcnt lgkmcnt(0)
	s_barrier
	ds_read2st64_b64 v[34:37], v48 offset1:8
	ds_read2st64_b64 v[38:41], v49 offset1:8
	v_lshl_add_u64 v[46:47], v[44:45], 0, v[42:43]
	s_movk_i32 s2, 0x2000
	s_cmp_lg_u32 s27, 64
	s_waitcnt lgkmcnt(1)
	v_mov_b32_e32 v42, v34
	v_mov_b32_e32 v43, v35
	s_waitcnt lgkmcnt(0)
	v_mov_b32_e32 v44, v38
	v_mov_b32_e32 v45, v39
	global_store_dwordx4 v[46:47], v[42:45], off
	v_mov_b32_e32 v38, v36
	v_mov_b32_e32 v39, v37
	ds_read2st64_b64 v[34:37], v48 offset0:16 offset1:24
	ds_read2st64_b64 v[42:45], v49 offset0:16 offset1:24
	v_add_co_u32_e32 v48, vcc, s2, v46
	s_cselect_b64 s[6:7], -1, 0
	s_nop 0
	v_addc_co_u32_e32 v49, vcc, 0, v47, vcc
	global_store_dwordx4 v[48:49], v[38:41], off offset:-4096
	v_lshl_or_b32 v62, v1, 3, v88
	s_mov_b32 s16, 0
	s_waitcnt lgkmcnt(1)
	v_mov_b32_e32 v38, v34
	v_add_co_u32_e32 v34, vcc, 0x3000, v46
	v_mov_b32_e32 v39, v35
	s_nop 0
	v_addc_co_u32_e32 v35, vcc, 0, v47, vcc
	s_waitcnt lgkmcnt(0)
	v_mov_b32_e32 v40, v42
	v_mov_b32_e32 v41, v43
	v_mov_b32_e32 v42, v36
	v_mov_b32_e32 v43, v37
	v_or_b32_e32 v52, 32, v62
	v_and_b32_e32 v50, 56, v87
	s_and_b64 vcc, exec, s[6:7]
	global_store_dwordx4 v[48:49], v[38:41], off
	global_store_dwordx4 v[34:35], v[42:45], off
	s_cbranch_vccz .LBB250_29
; %bb.24:
	s_mov_b32 s18, s16
	s_mov_b32 s19, s16
	;; [unrolled: 1-line block ×3, first 2 shown]
	v_mov_b64_e32 v[40:41], s[18:19]
	v_mov_b64_e32 v[38:39], s[16:17]
	;; [unrolled: 1-line block ×3, first 2 shown]
	v_cmp_gt_i32_e32 vcc, s27, v62
	v_mov_b64_e32 v[36:37], v[40:41]
	s_and_saveexec_b64 s[2:3], vcc
	s_cbranch_execz .LBB250_26
; %bb.25:
	v_lshlrev_b32_e32 v34, 8, v62
	v_mov_b32_e32 v35, 0
	v_lshl_add_u64 v[36:37], s[0:1], 0, v[34:35]
	v_lshlrev_b32_e32 v34, 1, v50
	v_lshl_add_u64 v[42:43], v[36:37], 0, v[34:35]
	global_load_dwordx4 v[38:41], v[42:43], off
	global_load_dwordx4 v[34:37], v[42:43], off offset:128
.LBB250_26:
	s_or_b64 exec, exec, s[2:3]
	s_mov_b32 s18, s16
	s_mov_b32 s19, s16
	;; [unrolled: 1-line block ×3, first 2 shown]
	v_mov_b64_e32 v[48:49], s[18:19]
	v_mov_b64_e32 v[46:47], s[16:17]
	;; [unrolled: 1-line block ×3, first 2 shown]
	v_cmp_gt_i32_e32 vcc, s27, v52
	v_lshlrev_b32_e32 v53, 7, v52
	v_mov_b64_e32 v[44:45], v[48:49]
	s_and_saveexec_b64 s[2:3], vcc
	s_cbranch_execz .LBB250_28
; %bb.27:
	v_lshlrev_b32_e32 v42, 1, v53
	v_mov_b32_e32 v43, 0
	v_lshl_add_u64 v[44:45], s[0:1], 0, v[42:43]
	v_lshlrev_b32_e32 v42, 1, v50
	v_lshl_add_u64 v[58:59], v[44:45], 0, v[42:43]
	global_load_dwordx4 v[46:49], v[58:59], off
	global_load_dwordx4 v[42:45], v[58:59], off offset:128
.LBB250_28:
	s_or_b64 exec, exec, s[2:3]
	v_lshrrev_b32_e32 v57, 3, v50
	v_lshlrev_b32_e32 v58, 3, v62
	v_or_b32_e32 v57, v58, v57
	v_lshlrev_b32_e32 v57, 4, v57
	v_and_b32_e32 v58, 0x78, v58
	v_xor_b32_e32 v57, v57, v58
	s_branch .LBB250_31
.LBB250_29:
                                        ; implicit-def: $vgpr57
                                        ; implicit-def: $vgpr53
                                        ; implicit-def: $vgpr38_vgpr39_vgpr40_vgpr41
                                        ; implicit-def: $vgpr34_vgpr35_vgpr36_vgpr37
                                        ; implicit-def: $vgpr46_vgpr47_vgpr48_vgpr49
                                        ; implicit-def: $vgpr42_vgpr43_vgpr44_vgpr45
	s_cbranch_execz .LBB250_31
; %bb.30:
	s_waitcnt vmcnt(0)
	v_lshlrev_b32_e32 v34, 1, v50
	v_lshl_or_b32 v53, v62, 8, v34
	s_and_b32 s1, s1, 0xffff
	s_mov_b32 s3, 0x20000
	s_movk_i32 s2, 0x4000
	v_lshl_or_b32 v57, v52, 8, v34
	s_movk_i32 s13, 0x80
	buffer_load_dwordx4 v[38:41], v53, s[0:3], 0 offen
	buffer_load_dwordx4 v[34:37], v53, s[0:3], s13 offen
	;; [unrolled: 1-line block ×4, first 2 shown]
	v_lshrrev_b32_e32 v53, 3, v50
	v_lshlrev_b32_e32 v57, 3, v62
	v_or_b32_e32 v53, v57, v53
	v_lshlrev_b32_e32 v53, 4, v53
	v_and_b32_e32 v57, 0x78, v57
	v_xor_b32_e32 v57, v53, v57
	v_lshlrev_b32_e32 v53, 7, v52
.LBB250_31:
	s_movk_i32 s0, 0x1000
	v_and_or_b32 v52, v53, s0, v57
	s_waitcnt vmcnt(1)
	ds_write_b64 v57, v[38:39] offset:49152
	v_xor_b32_e32 v38, 8, v57
	ds_write_b64 v38, v[40:41] offset:49152
	s_waitcnt vmcnt(0)
	ds_write_b64 v57, v[34:35] offset:57344
	ds_write_b64 v38, v[36:37] offset:57344
	;; [unrolled: 1-line block ×3, first 2 shown]
	v_xor_b32_e32 v34, 8, v52
	ds_write_b64 v34, v[48:49] offset:49152
	ds_write_b64 v52, v[42:43] offset:57344
	;; [unrolled: 1-line block ×3, first 2 shown]
	v_or_b32_e32 v34, v84, v86
	v_lshlrev_b32_e32 v34, 3, v34
	v_lshrrev_b32_e32 v35, 5, v67
	s_movk_i32 s0, 0xf8
	v_and_or_b32 v35, v34, s0, v35
	v_lshlrev_b32_e32 v39, 4, v35
	v_lshlrev_b32_e32 v57, 11, v1
	v_and_b32_e32 v40, 0x78, v34
	v_or_b32_e32 v42, 32, v39
	v_and_b32_e32 v38, 0x1000, v57
	v_lshrrev_b32_e32 v35, 1, v67
	v_xor_b32_e32 v42, v42, v40
	v_xor_b32_e32 v34, v39, v40
	v_and_b32_e32 v41, 8, v35
	v_or_b32_e32 v42, v42, v38
	v_or_b32_e32 v34, v34, v38
	v_xor_b32_e32 v64, v42, v41
	v_or_b32_e32 v42, 64, v39
	v_xor_b32_e32 v63, v34, v41
	v_xor_b32_e32 v42, v42, v40
	s_waitcnt lgkmcnt(0)
	s_barrier
	v_or_b32_e32 v45, v42, v38
	ds_read_b64 v[42:43], v63 offset:49152
	v_lshl_or_b32 v46, v85, 8, v56
	v_lshlrev_b32_e32 v58, 1, v46
	v_add_u32_e32 v44, 0x4000, v58
	ds_read2_b64 v[34:37], v44 offset1:16
	v_or_b32_e32 v39, 0x60, v39
	v_xor_b32_e32 v39, v39, v40
	v_or_b32_e32 v38, v39, v38
	v_xor_b32_e32 v65, v45, v41
	v_xor_b32_e32 v77, v38, v41
	ds_read_b64 v[52:53], v64 offset:49152
	ds_read_b64 v[78:79], v65 offset:49152
	;; [unrolled: 1-line block ×3, first 2 shown]
	s_waitcnt lgkmcnt(3)
	v_mfma_f32_16x16x16_bf16 a[0:3], v[42:43], v[34:35], 0
	ds_read2st64_b64 v[38:41], v58 offset0:36 offset1:40
	s_lshl_b64 s[0:1], s[24:25], 8
	s_add_u32 s4, s4, s0
	v_mfma_f32_16x16x16_bf16 a[4:7], v[42:43], v[36:37], 0
	ds_read2_b64 v[34:37], v44 offset0:32 offset1:48
	s_addc_u32 s5, s5, s1
	s_add_i32 s1, s46, s33
	s_waitcnt lgkmcnt(0)
	v_mfma_f32_16x16x16_bf16 a[8:11], v[42:43], v[34:35], 0
	v_or_b32_e32 v34, 64, v46
	v_lshlrev_b32_e32 v59, 1, v34
	s_add_i32 s0, s12, -1
	v_mfma_f32_16x16x16_bf16 a[12:15], v[42:43], v[36:37], 0
	ds_read2st64_b64 v[34:37], v59 offset0:36 offset1:40
	s_add_i32 s39, s1, s41
	s_add_i32 s1, s48, s47
	v_mfma_f32_16x16x16_bf16 a[0:3], v[52:53], v[38:39], a[0:3]
	v_or_b32_e32 v38, 0x80, v46
	v_lshlrev_b32_e32 v60, 1, v38
	ds_read2st64_b64 v[42:45], v60 offset0:36 offset1:40
	s_waitcnt lgkmcnt(1)
	v_mfma_f32_16x16x16_bf16 a[4:7], v[52:53], v[34:35], a[4:7]
	v_or_b32_e32 v34, 0xc0, v46
	v_lshlrev_b32_e32 v61, 1, v34
	ds_read2st64_b64 v[46:49], v61 offset0:36 offset1:40
	s_add_i32 s37, s1, s49
	s_ashr_i32 s1, s0, 31
	s_mul_i32 s2, s0, s35
	s_mul_hi_u32 s3, s0, s34
	s_add_i32 s2, s3, s2
	s_mul_i32 s1, s1, s34
	s_waitcnt lgkmcnt(1)
	v_mfma_f32_16x16x16_bf16 a[8:11], v[52:53], v[42:43], a[8:11]
	s_add_i32 s1, s2, s1
	s_lshl_b64 s[2:3], s[38:39], 2
	s_add_u32 s10, s10, s2
	s_waitcnt lgkmcnt(0)
	v_mfma_f32_16x16x16_bf16 a[12:15], v[52:53], v[46:47], a[12:15]
	s_addc_u32 s11, s11, s3
	s_lshl_b64 s[2:3], s[36:37], 2
	s_mul_i32 s0, s0, s34
	v_mfma_f32_16x16x16_bf16 a[0:3], v[78:79], v[40:41], a[0:3]
	ds_read_b64 v[34:35], v58 offset:22528
	s_add_u32 s10, s10, s2
	s_addc_u32 s11, s11, s3
	v_mfma_f32_16x16x16_bf16 a[4:7], v[78:79], v[36:37], a[4:7]
	ds_read_b64 v[36:37], v59 offset:22528
	ds_read_b64 v[38:39], v60 offset:22528
	;; [unrolled: 1-line block ×3, first 2 shown]
	s_lshl_b64 s[0:1], s[0:1], 2
	s_add_u32 s0, s10, s0
	v_mfma_f32_16x16x16_bf16 a[8:11], v[78:79], v[44:45], a[8:11]
	s_addc_u32 s1, s11, s1
	s_load_dword s12, s[0:1], 0x0
	s_and_b64 vcc, exec, s[22:23]
	v_mfma_f32_16x16x16_bf16 a[12:15], v[78:79], v[48:49], a[12:15]
	s_waitcnt lgkmcnt(0)
	v_mfma_f32_16x16x16_bf16 a[0:3], v[80:81], v[34:35], a[0:3]
	v_mfma_f32_16x16x16_bf16 a[4:7], v[80:81], v[36:37], a[4:7]
	;; [unrolled: 1-line block ×4, first 2 shown]
	s_cbranch_vccz .LBB250_42
; %bb.32:
	v_lshlrev_b32_e32 v52, 1, v62
	s_and_b64 vcc, exec, s[6:7]
	s_cbranch_vccz .LBB250_43
; %bb.33:
	v_cmp_gt_i32_e32 vcc, s27, v52
	v_mov_b32_e32 v38, 0
	v_mov_b32_e32 v34, 0
	;; [unrolled: 1-line block ×5, first 2 shown]
	s_and_saveexec_b64 s[0:1], vcc
	s_cbranch_execz .LBB250_35
; %bb.34:
	v_mad_i64_i32 v[34:35], s[2:3], s15, v52, 0
	v_lshl_add_u64 v[34:35], v[34:35], 1, s[4:5]
	v_lshlrev_b32_e32 v36, 1, v50
	v_mov_b32_e32 v37, 0
	v_lshl_add_u64 v[34:35], v[34:35], 0, v[36:37]
	global_load_dwordx4 v[34:37], v[34:35], off
.LBB250_35:
	s_or_b64 exec, exec, s[0:1]
	v_or_b32_e32 v53, 1, v52
	v_cmp_gt_i32_e64 s[0:1], s27, v53
	v_mov_b32_e32 v39, 0
	v_mov_b32_e32 v40, 0
	;; [unrolled: 1-line block ×3, first 2 shown]
	s_and_saveexec_b64 s[2:3], s[0:1]
	s_cbranch_execz .LBB250_37
; %bb.36:
	v_mad_i64_i32 v[38:39], s[16:17], s15, v53, 0
	v_lshl_add_u64 v[38:39], v[38:39], 1, s[4:5]
	v_lshlrev_b32_e32 v40, 1, v50
	v_mov_b32_e32 v41, 0
	v_lshl_add_u64 v[38:39], v[38:39], 0, v[40:41]
	global_load_dwordx4 v[38:41], v[38:39], off
.LBB250_37:
	s_or_b64 exec, exec, s[2:3]
	v_mov_b32_e32 v49, 0
	v_mov_b32_e32 v42, 0
	;; [unrolled: 1-line block ×5, first 2 shown]
	s_and_saveexec_b64 s[2:3], vcc
	s_cbranch_execz .LBB250_39
; %bb.38:
	v_mad_i64_i32 v[42:43], s[16:17], s15, v52, 0
	v_lshl_add_u64 v[42:43], v[42:43], 1, s[4:5]
	v_lshlrev_b32_e32 v44, 1, v50
	v_mov_b32_e32 v45, 0
	v_lshl_add_u64 v[42:43], v[42:43], 0, v[44:45]
	global_load_dwordx4 v[42:45], v[42:43], off offset:128
.LBB250_39:
	s_or_b64 exec, exec, s[2:3]
	v_mov_b32_e32 v48, 0
	v_mov_b32_e32 v47, 0
	;; [unrolled: 1-line block ×3, first 2 shown]
	s_and_saveexec_b64 s[2:3], s[0:1]
	s_cbranch_execz .LBB250_41
; %bb.40:
	v_mad_i64_i32 v[46:47], s[0:1], s15, v53, 0
	v_lshl_add_u64 v[46:47], v[46:47], 1, s[4:5]
	v_lshlrev_b32_e32 v48, 1, v50
	v_mov_b32_e32 v49, 0
	v_lshl_add_u64 v[46:47], v[46:47], 0, v[48:49]
	global_load_dwordx4 v[46:49], v[46:47], off offset:128
.LBB250_41:
	s_or_b64 exec, exec, s[2:3]
	s_branch .LBB250_45
.LBB250_42:
                                        ; implicit-def: $vgpr37
                                        ; implicit-def: $vgpr41
                                        ; implicit-def: $vgpr45
                                        ; implicit-def: $vgpr49
	v_lshrrev_b32_e32 v67, 2, v67
	s_branch .LBB250_46
.LBB250_43:
                                        ; implicit-def: $vgpr37
                                        ; implicit-def: $vgpr41
                                        ; implicit-def: $vgpr45
                                        ; implicit-def: $vgpr49
	s_cbranch_execz .LBB250_45
; %bb.44:
	s_waitcnt vmcnt(0)
	v_mad_u64_u32 v[34:35], s[0:1], v52, s15, v[50:51]
	v_lshlrev_b32_e32 v52, 1, v34
	s_lshl_b32 s2, s15, 7
	s_and_b32 s1, s5, 0xffff
	s_mov_b32 s3, 0x20000
	s_mov_b32 s0, s4
	v_add_lshl_u32 v53, v34, s15, 1
	s_movk_i32 s13, 0x80
	buffer_load_dwordx4 v[34:37], v52, s[0:3], 0 offen
	buffer_load_dwordx4 v[42:45], v52, s[0:3], s13 offen
	;; [unrolled: 1-line block ×4, first 2 shown]
.LBB250_45:
	v_lshrrev_b32_e32 v67, 2, v67
	s_cbranch_execnz .LBB250_58
.LBB250_46:
	s_and_b64 vcc, exec, s[6:7]
	s_cbranch_vccz .LBB250_56
; %bb.47:
	s_waitcnt vmcnt(0)
	v_lshlrev_b32_e32 v39, 1, v62
	v_cmp_gt_i32_e32 vcc, s27, v39
	v_mov_b32_e32 v38, 0
	v_lshlrev_b32_e32 v46, 9, v62
	v_mov_b32_e32 v34, 0
	v_mov_b32_e32 v35, 0
	;; [unrolled: 1-line block ×4, first 2 shown]
	s_and_saveexec_b64 s[0:1], vcc
	s_cbranch_execz .LBB250_49
; %bb.48:
	v_mov_b32_e32 v47, 0
	v_lshl_add_u64 v[34:35], s[4:5], 0, v[46:47]
	v_lshlrev_b32_e32 v36, 1, v50
	v_mov_b32_e32 v37, v47
	v_lshl_add_u64 v[34:35], v[34:35], 0, v[36:37]
	global_load_dwordx4 v[34:37], v[34:35], off
.LBB250_49:
	s_or_b64 exec, exec, s[0:1]
	v_or_b32_e32 v39, 1, v39
	v_cmp_gt_i32_e64 s[0:1], s27, v39
	v_lshlrev_b32_e32 v52, 8, v39
	v_mov_b32_e32 v39, 0
	v_mov_b32_e32 v40, 0
	;; [unrolled: 1-line block ×3, first 2 shown]
	s_and_saveexec_b64 s[2:3], s[0:1]
	s_cbranch_execz .LBB250_51
; %bb.50:
	v_mov_b32_e32 v53, 0
	v_lshl_add_u64 v[38:39], s[4:5], 0, v[52:53]
	v_lshlrev_b32_e32 v40, 1, v50
	v_mov_b32_e32 v41, v53
	v_lshl_add_u64 v[38:39], v[38:39], 0, v[40:41]
	global_load_dwordx4 v[38:41], v[38:39], off
.LBB250_51:
	s_or_b64 exec, exec, s[2:3]
	v_mov_b32_e32 v49, 0
	v_mov_b32_e32 v42, 0
	;; [unrolled: 1-line block ×5, first 2 shown]
	s_and_saveexec_b64 s[2:3], vcc
	s_cbranch_execz .LBB250_53
; %bb.52:
	v_mov_b32_e32 v47, 0
	v_lshl_add_u64 v[42:43], s[4:5], 0, v[46:47]
	v_lshlrev_b32_e32 v46, 1, v50
	v_lshl_add_u64 v[42:43], v[42:43], 0, v[46:47]
	global_load_dwordx4 v[42:45], v[42:43], off offset:128
.LBB250_53:
	s_or_b64 exec, exec, s[2:3]
	v_mov_b32_e32 v48, 0
	v_mov_b32_e32 v47, 0
	;; [unrolled: 1-line block ×3, first 2 shown]
	s_and_saveexec_b64 s[2:3], s[0:1]
	s_cbranch_execz .LBB250_55
; %bb.54:
	v_mov_b32_e32 v53, 0
	v_lshl_add_u64 v[46:47], s[4:5], 0, v[52:53]
	v_lshlrev_b32_e32 v52, 1, v50
	v_lshl_add_u64 v[46:47], v[46:47], 0, v[52:53]
	global_load_dwordx4 v[46:49], v[46:47], off offset:128
.LBB250_55:
	s_or_b64 exec, exec, s[2:3]
	s_branch .LBB250_58
.LBB250_56:
                                        ; implicit-def: $vgpr37
                                        ; implicit-def: $vgpr41
                                        ; implicit-def: $vgpr45
                                        ; implicit-def: $vgpr49
	s_cbranch_execz .LBB250_58
; %bb.57:
	s_waitcnt vmcnt(0)
	v_lshlrev_b32_e32 v34, 1, v50
	v_lshl_or_b32 v50, v62, 9, v34
	s_and_b32 s5, s5, 0xffff
	s_mov_b32 s7, 0x20000
	s_movk_i32 s6, 0x4000
	s_movk_i32 s0, 0x80
	buffer_load_dwordx4 v[34:37], v50, s[4:7], 0 offen
	buffer_load_dwordx4 v[38:41], v50, s[4:7], 0 offen offset:256
	buffer_load_dwordx4 v[42:45], v50, s[4:7], s0 offen
	buffer_load_dwordx4 v[46:49], v50, s[4:7], s0 offen offset:256
.LBB250_58:
	ds_read_b64 v[52:53], v63 offset:57344
	v_add_u32_e32 v50, 0x6000, v58
	ds_read2_b64 v[78:81], v50 offset1:16
	ds_read_b64 v[82:83], v64 offset:57344
	ds_read_b64 v[64:65], v65 offset:57344
	;; [unrolled: 1-line block ×3, first 2 shown]
	ds_read2st64_b64 v[86:89], v58 offset0:52 offset1:56
	v_and_b32_e32 v63, 1, v0
	v_cmp_eq_u32_e32 vcc, 0, v63
	s_mov_b32 s0, 0x1000504
	s_waitcnt vmcnt(0)
	v_perm_b32 v63, v42, v46, s0
	s_mov_b32 s1, 0x3020706
	s_waitcnt lgkmcnt(4)
	v_mfma_f32_16x16x16_bf16 a[0:3], v[52:53], v[78:79], a[0:3]
	v_mfma_f32_16x16x16_bf16 a[4:7], v[52:53], v[80:81], a[4:7]
	ds_read2_b64 v[78:81], v50 offset0:32 offset1:48
	v_and_b32_e32 v50, 6, v0
	v_xor_b32_e32 v62, v62, v50
	s_waitcnt lgkmcnt(0)
	v_mfma_f32_16x16x16_bf16 a[8:11], v[52:53], v[78:79], a[8:11]
	v_lshlrev_b32_e32 v62, 2, v62
	v_xor_b32_e32 v77, 0x440, v62
	v_cndmask_b32_e32 v62, v77, v62, vcc
	v_mfma_f32_16x16x16_bf16 a[12:15], v[52:53], v[80:81], a[12:15]
	ds_read2st64_b64 v[78:81], v59 offset0:52 offset1:56
	ds_read2st64_b64 v[90:93], v60 offset0:52 offset1:56
	;; [unrolled: 1-line block ×3, first 2 shown]
	v_lshl_or_b32 v50, v50, 10, v62
	v_perm_b32 v62, v34, v38, s0
	v_mfma_f32_16x16x16_bf16 a[0:3], v[82:83], v[86:87], a[0:3]
	ds_read_b64 v[52:53], v58 offset:30720
	ds_read_b64 v[86:87], v59 offset:30720
	;; [unrolled: 1-line block ×4, first 2 shown]
	ds_write2st64_b32 v50, v62, v63 offset0:128 offset1:160
	v_xor_b32_e32 v62, 8, v50
	s_waitcnt lgkmcnt(7)
	v_mfma_f32_16x16x16_bf16 a[4:7], v[82:83], v[78:79], a[4:7]
	v_perm_b32 v34, v34, v38, s1
	v_perm_b32 v38, v42, v46, s1
	v_add_u32_e32 v42, 0x80, v62
	s_waitcnt lgkmcnt(6)
	v_mfma_f32_16x16x16_bf16 a[8:11], v[82:83], v[90:91], a[8:11]
	ds_write2st64_b32 v42, v34, v38 offset0:128 offset1:160
	v_xor_b32_e32 v34, 16, v50
	v_perm_b32 v38, v35, v39, s0
	s_waitcnt lgkmcnt(6)
	v_mfma_f32_16x16x16_bf16 a[12:15], v[82:83], v[94:95], a[12:15]
	v_perm_b32 v42, v43, v47, s0
	ds_write2st64_b32 v34, v38, v42 offset0:129 offset1:161
	v_xor_b32_e32 v34, 24, v50
	v_mfma_f32_16x16x16_bf16 a[0:3], v[64:65], v[88:89], a[0:3]
	v_perm_b32 v35, v35, v39, s1
	v_perm_b32 v38, v43, v47, s1
	v_add_u32_e32 v34, 0x80, v34
	v_mfma_f32_16x16x16_bf16 a[4:7], v[64:65], v[80:81], a[4:7]
	ds_write2st64_b32 v34, v35, v38 offset0:129 offset1:161
	v_xor_b32_e32 v34, 32, v50
	v_perm_b32 v35, v36, v40, s0
	v_mfma_f32_16x16x16_bf16 a[16:19], v[64:65], v[92:93], a[8:11]
	v_perm_b32 v38, v44, v48, s0
	ds_write2st64_b32 v34, v35, v38 offset0:130 offset1:162
	v_xor_b32_e32 v34, 40, v50
	v_mfma_f32_16x16x16_bf16 a[20:23], v[64:65], v[96:97], a[12:15]
	v_perm_b32 v35, v36, v40, s1
	v_perm_b32 v36, v44, v48, s1
	v_add_u32_e32 v34, 0x80, v34
	s_waitcnt lgkmcnt(8)
	v_mfma_f32_16x16x16_bf16 a[12:15], v[98:99], v[52:53], a[0:3]
	ds_write2st64_b32 v34, v35, v36 offset0:130 offset1:162
	v_xor_b32_e32 v34, 48, v50
	v_perm_b32 v35, v37, v41, s0
	s_waitcnt lgkmcnt(8)
	v_mfma_f32_16x16x16_bf16 a[8:11], v[98:99], v[86:87], a[4:7]
	v_perm_b32 v36, v45, v49, s0
	ds_write2st64_b32 v34, v35, v36 offset0:131 offset1:163
	v_xor_b32_e32 v34, 56, v50
	s_waitcnt lgkmcnt(8)
	v_mfma_f32_16x16x16_bf16 a[4:7], v[98:99], v[100:101], a[16:19]
	v_and_or_b32 v53, v67, 12, v84
	v_perm_b32 v35, v37, v41, s1
	v_perm_b32 v36, v45, v49, s1
	s_waitcnt lgkmcnt(7)
	v_mfma_f32_16x16x16_bf16 a[0:3], v[98:99], v[102:103], a[20:23]
	v_add_u32_e32 v34, 0x80, v34
	v_cmp_gt_i32_e32 vcc, s27, v53
	v_mov_b32_e32 v48, 0
	v_mov_b32_e32 v50, 0
	ds_write2st64_b32 v34, v35, v36 offset0:131 offset1:163
	s_and_saveexec_b64 s[0:1], vcc
	s_cbranch_execz .LBB250_60
; %bb.59:
	v_add_u32_e32 v34, s26, v53
	v_ashrrev_i32_e32 v35, 31, v34
	v_mul_lo_u32 v36, v35, s34
	v_mul_lo_u32 v37, v34, s35
	v_mad_u64_u32 v[34:35], s[2:3], v34, s34, 0
	v_add3_u32 v35, v35, v37, v36
	v_lshl_add_u64 v[34:35], v[34:35], 2, s[10:11]
	global_load_dword v34, v[34:35], off
	s_waitcnt vmcnt(0)
	v_sub_f32_e32 v34, s12, v34
	v_mul_f32_e32 v34, 0x3fb8aa3b, v34
	v_exp_f32_e32 v50, v34
.LBB250_60:
	s_or_b64 exec, exec, s[0:1]
	v_or_b32_e32 v40, 1, v53
	v_cmp_gt_i32_e64 s[0:1], s27, v40
	s_and_saveexec_b64 s[2:3], s[0:1]
	s_cbranch_execz .LBB250_62
; %bb.61:
	v_add_u32_e32 v34, s26, v40
	v_ashrrev_i32_e32 v35, 31, v34
	v_mul_lo_u32 v36, v35, s34
	v_mul_lo_u32 v37, v34, s35
	v_mad_u64_u32 v[34:35], s[4:5], v34, s34, 0
	v_add3_u32 v35, v35, v37, v36
	v_lshl_add_u64 v[34:35], v[34:35], 2, s[10:11]
	global_load_dword v34, v[34:35], off
	s_waitcnt vmcnt(0)
	v_sub_f32_e32 v34, s12, v34
	v_mul_f32_e32 v34, 0x3fb8aa3b, v34
	v_exp_f32_e32 v48, v34
.LBB250_62:
	s_or_b64 exec, exec, s[2:3]
	v_or_b32_e32 v41, 2, v53
	v_cmp_gt_i32_e64 s[2:3], s27, v41
	v_mov_b32_e32 v49, 0
	v_mov_b32_e32 v52, 0
	s_and_saveexec_b64 s[4:5], s[2:3]
	s_cbranch_execz .LBB250_64
; %bb.63:
	v_add_u32_e32 v34, s26, v41
	v_ashrrev_i32_e32 v35, 31, v34
	v_mul_lo_u32 v36, v35, s34
	v_mul_lo_u32 v37, v34, s35
	v_mad_u64_u32 v[34:35], s[6:7], v34, s34, 0
	v_add3_u32 v35, v35, v37, v36
	v_lshl_add_u64 v[34:35], v[34:35], 2, s[10:11]
	global_load_dword v34, v[34:35], off
	s_waitcnt vmcnt(0)
	v_sub_f32_e32 v34, s12, v34
	v_mul_f32_e32 v34, 0x3fb8aa3b, v34
	v_exp_f32_e32 v52, v34
.LBB250_64:
	s_or_b64 exec, exec, s[4:5]
	v_or_b32_e32 v62, 3, v53
	v_cmp_gt_i32_e64 s[4:5], s27, v62
	s_and_saveexec_b64 s[6:7], s[4:5]
	s_cbranch_execz .LBB250_66
; %bb.65:
	v_add_u32_e32 v34, s26, v62
	v_ashrrev_i32_e32 v35, 31, v34
	v_mul_lo_u32 v36, v35, s34
	v_mul_lo_u32 v37, v34, s35
	v_mad_u64_u32 v[34:35], s[14:15], v34, s34, 0
	v_add3_u32 v35, v35, v37, v36
	v_lshl_add_u64 v[34:35], v[34:35], 2, s[10:11]
	global_load_dword v34, v[34:35], off
	s_waitcnt vmcnt(0)
	v_sub_f32_e32 v34, s12, v34
	v_mul_f32_e32 v34, 0x3fb8aa3b, v34
	v_exp_f32_e32 v49, v34
.LBB250_66:
	s_or_b64 exec, exec, s[6:7]
	s_add_u32 s6, s8, s20
	v_accvgpr_read_b32 v37, a15
	s_addc_u32 s7, s9, s21
	v_ashrrev_i32_e32 v77, 31, v76
	v_accvgpr_read_b32 v36, a14
	v_accvgpr_read_b32 v35, a13
	;; [unrolled: 1-line block ×3, first 2 shown]
	v_lshl_add_u64 v[38:39], v[76:77], 1, s[6:7]
	v_mov_b32_e32 v45, 0
	v_lshlrev_b32_e32 v42, 8, v53
	v_mov_b32_e32 v43, 0
	s_and_saveexec_b64 s[6:7], vcc
	s_cbranch_execz .LBB250_68
; %bb.67:
	v_mov_b32_e32 v43, 0
	v_lshl_add_u64 v[46:47], v[38:39], 0, v[42:43]
	global_load_ushort v43, v[46:47], off
	s_waitcnt vmcnt(0)
	v_lshlrev_b32_e32 v43, 16, v43
	v_sub_f32_e32 v34, v43, v34
	v_mul_f32_e32 v34, v50, v34
	v_lshrrev_b32_e32 v43, 16, v34
.LBB250_68:
	s_or_b64 exec, exec, s[6:7]
	v_lshlrev_b32_e32 v44, 8, v40
	s_and_saveexec_b64 s[6:7], s[0:1]
	s_cbranch_execz .LBB250_70
; %bb.69:
	v_mov_b32_e32 v45, 0
	v_lshl_add_u64 v[46:47], v[38:39], 0, v[44:45]
	global_load_ushort v34, v[46:47], off
	s_waitcnt vmcnt(0)
	v_lshlrev_b32_e32 v34, 16, v34
	v_sub_f32_e32 v34, v34, v35
	v_mul_f32_e32 v34, v48, v34
	v_lshrrev_b32_e32 v45, 16, v34
.LBB250_70:
	s_or_b64 exec, exec, s[6:7]
	v_mov_b32_e32 v63, 0
	v_lshlrev_b32_e32 v46, 8, v41
	v_mov_b32_e32 v47, 0
	s_and_saveexec_b64 s[6:7], s[2:3]
	s_cbranch_execz .LBB250_72
; %bb.71:
	v_mov_b32_e32 v47, 0
	v_lshl_add_u64 v[34:35], v[38:39], 0, v[46:47]
	global_load_ushort v34, v[34:35], off
	s_waitcnt vmcnt(0)
	v_lshlrev_b32_e32 v34, 16, v34
	v_sub_f32_e32 v34, v34, v36
	v_mul_f32_e32 v34, v52, v34
	v_lshrrev_b32_e32 v47, 16, v34
.LBB250_72:
	s_or_b64 exec, exec, s[6:7]
	v_lshlrev_b32_e32 v40, 8, v62
	s_and_saveexec_b64 s[6:7], s[4:5]
	s_cbranch_execz .LBB250_74
; %bb.73:
	v_mov_b32_e32 v41, 0
	v_lshl_add_u64 v[34:35], v[38:39], 0, v[40:41]
	global_load_ushort v34, v[34:35], off
	s_waitcnt vmcnt(0)
	v_lshlrev_b32_e32 v34, 16, v34
	v_sub_f32_e32 v34, v34, v37
	v_mul_f32_e32 v34, v49, v34
	v_lshrrev_b32_e32 v63, 16, v34
.LBB250_74:
	s_or_b64 exec, exec, s[6:7]
	v_lshlrev_b32_e32 v53, 6, v53
	v_accvgpr_read_b32 v37, a11
	s_mov_b32 s6, 0x5040100
	v_or_b32_e32 v41, v53, v56
	v_accvgpr_read_b32 v36, a10
	v_accvgpr_read_b32 v35, a9
	;; [unrolled: 1-line block ×3, first 2 shown]
	v_perm_b32 v63, v63, v47, s6
	v_perm_b32 v62, v45, v43, s6
	v_lshlrev_b32_e32 v41, 1, v41
	v_mov_b32_e32 v45, 0
	v_mov_b32_e32 v43, 0
	ds_write_b64 v41, v[62:63] offset:24576
	s_and_saveexec_b64 s[6:7], vcc
	s_cbranch_execz .LBB250_76
; %bb.75:
	v_mov_b32_e32 v43, 0
	v_lshl_add_u64 v[62:63], v[38:39], 0, v[42:43]
	global_load_ushort v41, v[62:63], off offset:32
	s_waitcnt vmcnt(0)
	v_lshlrev_b32_e32 v41, 16, v41
	v_sub_f32_e32 v34, v41, v34
	v_mul_f32_e32 v34, v50, v34
	v_lshrrev_b32_e32 v43, 16, v34
.LBB250_76:
	s_or_b64 exec, exec, s[6:7]
	s_and_saveexec_b64 s[6:7], s[0:1]
	s_cbranch_execz .LBB250_78
; %bb.77:
	v_mov_b32_e32 v45, 0
	v_lshl_add_u64 v[62:63], v[38:39], 0, v[44:45]
	global_load_ushort v34, v[62:63], off offset:32
	s_waitcnt vmcnt(0)
	v_lshlrev_b32_e32 v34, 16, v34
	v_sub_f32_e32 v34, v34, v35
	v_mul_f32_e32 v34, v48, v34
	v_lshrrev_b32_e32 v45, 16, v34
.LBB250_78:
	s_or_b64 exec, exec, s[6:7]
	v_mov_b32_e32 v41, 0
	v_mov_b32_e32 v47, 0
	s_and_saveexec_b64 s[6:7], s[2:3]
	s_cbranch_execz .LBB250_80
; %bb.79:
	v_mov_b32_e32 v47, 0
	v_lshl_add_u64 v[34:35], v[38:39], 0, v[46:47]
	global_load_ushort v34, v[34:35], off offset:32
	s_waitcnt vmcnt(0)
	v_lshlrev_b32_e32 v34, 16, v34
	v_sub_f32_e32 v34, v34, v36
	v_mul_f32_e32 v34, v52, v34
	v_lshrrev_b32_e32 v47, 16, v34
.LBB250_80:
	s_or_b64 exec, exec, s[6:7]
	s_and_saveexec_b64 s[6:7], s[4:5]
	s_cbranch_execz .LBB250_82
; %bb.81:
	v_mov_b32_e32 v41, 0
	v_lshl_add_u64 v[34:35], v[38:39], 0, v[40:41]
	global_load_ushort v34, v[34:35], off offset:32
	s_waitcnt vmcnt(0)
	v_lshlrev_b32_e32 v34, 16, v34
	v_sub_f32_e32 v34, v34, v37
	v_mul_f32_e32 v34, v49, v34
	v_lshrrev_b32_e32 v41, 16, v34
.LBB250_82:
	s_or_b64 exec, exec, s[6:7]
	s_mov_b32 s6, 0x5040100
	v_accvgpr_read_b32 v37, a7
	v_perm_b32 v63, v41, v47, s6
	v_or_b32_e32 v41, v53, v55
	v_accvgpr_read_b32 v36, a6
	v_accvgpr_read_b32 v35, a5
	;; [unrolled: 1-line block ×3, first 2 shown]
	v_perm_b32 v62, v45, v43, s6
	v_lshlrev_b32_e32 v41, 1, v41
	v_mov_b32_e32 v45, 0
	v_mov_b32_e32 v43, 0
	ds_write_b64 v41, v[62:63] offset:24576
	s_and_saveexec_b64 s[6:7], vcc
	s_cbranch_execz .LBB250_84
; %bb.83:
	v_mov_b32_e32 v43, 0
	v_lshl_add_u64 v[62:63], v[38:39], 0, v[42:43]
	global_load_ushort v41, v[62:63], off offset:64
	s_waitcnt vmcnt(0)
	v_lshlrev_b32_e32 v41, 16, v41
	v_sub_f32_e32 v34, v41, v34
	v_mul_f32_e32 v34, v50, v34
	v_lshrrev_b32_e32 v43, 16, v34
.LBB250_84:
	s_or_b64 exec, exec, s[6:7]
	s_and_saveexec_b64 s[6:7], s[0:1]
	s_cbranch_execz .LBB250_86
; %bb.85:
	v_mov_b32_e32 v45, 0
	v_lshl_add_u64 v[62:63], v[38:39], 0, v[44:45]
	global_load_ushort v34, v[62:63], off offset:64
	s_waitcnt vmcnt(0)
	v_lshlrev_b32_e32 v34, 16, v34
	v_sub_f32_e32 v34, v34, v35
	v_mul_f32_e32 v34, v48, v34
	v_lshrrev_b32_e32 v45, 16, v34
.LBB250_86:
	s_or_b64 exec, exec, s[6:7]
	v_mov_b32_e32 v41, 0
	v_mov_b32_e32 v47, 0
	s_and_saveexec_b64 s[6:7], s[2:3]
	s_cbranch_execz .LBB250_88
; %bb.87:
	v_mov_b32_e32 v47, 0
	v_lshl_add_u64 v[34:35], v[38:39], 0, v[46:47]
	global_load_ushort v34, v[34:35], off offset:64
	s_waitcnt vmcnt(0)
	v_lshlrev_b32_e32 v34, 16, v34
	v_sub_f32_e32 v34, v34, v36
	v_mul_f32_e32 v34, v52, v34
	v_lshrrev_b32_e32 v47, 16, v34
.LBB250_88:
	s_or_b64 exec, exec, s[6:7]
	s_and_saveexec_b64 s[6:7], s[4:5]
	s_cbranch_execz .LBB250_90
; %bb.89:
	v_mov_b32_e32 v41, 0
	v_lshl_add_u64 v[34:35], v[38:39], 0, v[40:41]
	global_load_ushort v34, v[34:35], off offset:64
	s_waitcnt vmcnt(0)
	v_lshlrev_b32_e32 v34, 16, v34
	v_sub_f32_e32 v34, v34, v37
	v_mul_f32_e32 v34, v49, v34
	v_lshrrev_b32_e32 v41, 16, v34
.LBB250_90:
	s_or_b64 exec, exec, s[6:7]
	s_mov_b32 s6, 0x5040100
	v_accvgpr_read_b32 v37, a3
	v_perm_b32 v63, v41, v47, s6
	v_or_b32_e32 v41, v53, v54
	v_accvgpr_read_b32 v36, a2
	v_accvgpr_read_b32 v35, a1
	;; [unrolled: 1-line block ×3, first 2 shown]
	v_perm_b32 v62, v45, v43, s6
	v_lshlrev_b32_e32 v41, 1, v41
	v_mov_b32_e32 v45, 0
	v_mov_b32_e32 v43, 0
	ds_write_b64 v41, v[62:63] offset:24576
	s_and_saveexec_b64 s[6:7], vcc
	s_cbranch_execz .LBB250_92
; %bb.91:
	v_mov_b32_e32 v43, 0
	v_lshl_add_u64 v[42:43], v[38:39], 0, v[42:43]
	global_load_ushort v41, v[42:43], off offset:96
	s_waitcnt vmcnt(0)
	v_lshlrev_b32_e32 v41, 16, v41
	v_sub_f32_e32 v34, v41, v34
	v_mul_f32_e32 v34, v50, v34
	v_lshrrev_b32_e32 v43, 16, v34
.LBB250_92:
	s_or_b64 exec, exec, s[6:7]
	s_and_saveexec_b64 s[6:7], s[0:1]
	s_cbranch_execz .LBB250_94
; %bb.93:
	v_mov_b32_e32 v45, 0
	v_lshl_add_u64 v[44:45], v[38:39], 0, v[44:45]
	global_load_ushort v34, v[44:45], off offset:96
	s_waitcnt vmcnt(0)
	v_lshlrev_b32_e32 v34, 16, v34
	v_sub_f32_e32 v34, v34, v35
	v_mul_f32_e32 v34, v48, v34
	v_lshrrev_b32_e32 v45, 16, v34
.LBB250_94:
	s_or_b64 exec, exec, s[6:7]
	v_mov_b32_e32 v41, 0
	v_mov_b32_e32 v44, 0
	s_and_saveexec_b64 s[0:1], s[2:3]
	s_cbranch_execz .LBB250_96
; %bb.95:
	v_mov_b32_e32 v47, 0
	v_lshl_add_u64 v[34:35], v[38:39], 0, v[46:47]
	global_load_ushort v34, v[34:35], off offset:96
	s_waitcnt vmcnt(0)
	v_lshlrev_b32_e32 v34, 16, v34
	v_sub_f32_e32 v34, v34, v36
	v_mul_f32_e32 v34, v52, v34
	v_lshrrev_b32_e32 v44, 16, v34
.LBB250_96:
	s_or_b64 exec, exec, s[0:1]
	v_or_b32_e32 v42, 0x6000, v58
	v_or_b32_e32 v36, 0x6000, v59
	;; [unrolled: 1-line block ×4, first 2 shown]
	s_and_saveexec_b64 s[0:1], s[4:5]
	s_cbranch_execz .LBB250_98
; %bb.97:
	v_mov_b32_e32 v41, 0
	v_lshl_add_u64 v[38:39], v[38:39], 0, v[40:41]
	global_load_ushort v38, v[38:39], off offset:96
	s_waitcnt vmcnt(0)
	v_lshlrev_b32_e32 v38, 16, v38
	v_sub_f32_e32 v37, v38, v37
	v_mul_f32_e32 v37, v49, v37
	v_lshrrev_b32_e32 v41, 16, v37
.LBB250_98:
	s_or_b64 exec, exec, s[0:1]
	s_mov_b32 s0, 0x5040100
	v_or_b32_e32 v37, v53, v51
	v_perm_b32 v39, v41, v44, s0
	v_perm_b32 v38, v45, v43, s0
	v_lshlrev_b32_e32 v37, 1, v37
	s_movk_i32 s0, 0x100
	ds_write_b64 v37, v[38:39] offset:24576
	v_and_b32_e32 v37, 7, v0
	v_and_b32_e32 v38, 8, v0
	v_cmp_gt_u32_e32 vcc, s0, v0
	v_lshrrev_b32_e32 v0, 1, v0
	v_lshlrev_b32_e32 v67, 3, v1
	v_and_b32_e32 v78, 24, v0
	v_mov_b32_e32 v39, 0xa000
	v_mov_b32_e32 v40, 0x8000
	v_xor_b32_e32 v0, v67, v78
	v_or_b32_e32 v48, 32, v78
	v_cndmask_b32_e32 v56, v39, v40, vcc
	v_or_b32_e32 v1, 0x440, v0
	v_cmp_eq_u32_e32 vcc, 0, v38
	v_xor_b32_e32 v48, v67, v48
	v_or_b32_e32 v49, 0x440, v48
	v_cndmask_b32_e32 v0, v1, v0, vcc
	v_lshlrev_b32_e32 v43, 3, v37
	v_lshlrev_b32_e32 v37, 7, v37
	v_or_b32_e32 v0, v0, v57
	v_cndmask_b32_e32 v48, v49, v48, vcc
	v_xad_u32 v79, v0, v43, v37
	v_or_b32_e32 v48, v48, v57
	v_add_u32_e32 v0, v56, v79
	v_xad_u32 v80, v48, v43, v37
	s_waitcnt lgkmcnt(0)
	s_barrier
	ds_read_b64 v[0:1], v0
	ds_read2_b64 v[38:41], v42 offset1:16
	ds_read2_b64 v[44:47], v42 offset0:32 offset1:48
	v_add_u32_e32 v48, v56, v80
	ds_read_b64 v[76:77], v48
	s_waitcnt lgkmcnt(2)
	v_mfma_f32_16x16x16_bf16 a[0:3], v[0:1], v[38:39], 0
	ds_read2st64_b64 v[48:51], v42 offset0:4 offset1:8
	ds_read2st64_b64 v[52:55], v36 offset0:4 offset1:8
	;; [unrolled: 1-line block ×3, first 2 shown]
	v_mfma_f32_16x16x16_bf16 a[4:7], v[0:1], v[40:41], 0
	ds_read2st64_b64 v[62:65], v34 offset0:4 offset1:8
	s_waitcnt lgkmcnt(5)
	v_mfma_f32_16x16x16_bf16 a[8:11], v[0:1], v[44:45], 0
	v_mfma_f32_16x16x16_bf16 a[12:15], v[0:1], v[46:47], 0
	v_or_b32_e32 v0, 64, v78
	v_xor_b32_e32 v0, v67, v0
	v_xor_b32_e32 v1, 0x440, v0
	v_cndmask_b32_e32 v0, v1, v0, vcc
	v_or_b32_e32 v0, v0, v57
	s_waitcnt lgkmcnt(3)
	v_mfma_f32_16x16x16_bf16 a[0:3], v[76:77], v[48:49], a[0:3]
	s_waitcnt lgkmcnt(2)
	v_mfma_f32_16x16x16_bf16 a[4:7], v[76:77], v[52:53], a[4:7]
	;; [unrolled: 2-line block ×4, first 2 shown]
	v_xad_u32 v76, v0, v43, v37
	v_add_u32_e32 v0, v56, v76
	ds_read_b64 v[0:1], v0
	v_or_b32_e32 v77, 0x60, v78
	v_xor_b32_e32 v67, v67, v77
	v_xor_b32_e32 v77, 0x440, v67
	v_cndmask_b32_e32 v67, v77, v67, vcc
	v_or_b32_e32 v57, v67, v57
	v_xad_u32 v67, v57, v43, v37
	v_add_u32_e32 v37, v56, v67
	s_waitcnt lgkmcnt(0)
	v_mfma_f32_16x16x16_bf16 a[0:3], v[0:1], v[50:51], a[0:3]
	ds_read_b64 v[56:57], v37
	ds_read_b64 v[42:43], v42 offset:6144
	v_mfma_f32_16x16x16_bf16 a[4:7], v[0:1], v[54:55], a[4:7]
	v_mfma_f32_16x16x16_bf16 a[8:11], v[0:1], v[60:61], a[8:11]
	;; [unrolled: 1-line block ×3, first 2 shown]
	ds_read_b64 v[0:1], v36 offset:6144
	ds_read_b64 v[36:37], v35 offset:6144
	;; [unrolled: 1-line block ×3, first 2 shown]
	s_waitcnt lgkmcnt(3)
	v_mfma_f32_16x16x16_bf16 a[0:3], v[56:57], v[42:43], a[0:3]
	s_waitcnt lgkmcnt(2)
	v_mfma_f32_16x16x16_bf16 a[4:7], v[56:57], v[0:1], a[4:7]
	;; [unrolled: 2-line block ×4, first 2 shown]
	ds_read_b64 v[56:57], v79 offset:40960
	s_waitcnt lgkmcnt(0)
	v_mfma_f32_16x16x16_bf16 a[20:23], v[56:57], v[40:41], 0
	v_mov_b32_e32 v40, 0x3fb8aa3b
	v_mul_f32_e32 v40, s12, v40
	v_mfma_f32_16x16x16_bf16 a[24:27], v[56:57], v[44:45], 0
	v_exp_f32_e32 v44, v40
	v_accvgpr_read_b32 v40, a0
	v_accvgpr_read_b32 v45, a3
	v_mfma_f32_16x16x16_bf16 a[16:19], v[56:57], v[38:39], 0
	ds_read_b64 v[38:39], v80 offset:40960
	v_fma_f32 v6, v6, v44, v40
	v_accvgpr_read_b32 v40, a1
	v_fma_f32 v7, v7, v44, v40
	v_accvgpr_read_b32 v40, a2
	v_mfma_f32_16x16x16_bf16 a[28:31], v[56:57], v[46:47], 0
	v_fma_f32 v8, v8, v44, v40
	ds_read_b64 v[40:41], v76 offset:40960
	v_fmac_f32_e32 v45, v9, v44
	s_waitcnt lgkmcnt(1)
	v_mfma_f32_16x16x16_bf16 a[16:19], v[38:39], v[48:49], a[16:19]
	v_accvgpr_read_b32 v9, a4
	v_fma_f32 v14, v14, v44, v9
	v_accvgpr_read_b32 v9, a5
	v_mfma_f32_16x16x16_bf16 a[20:23], v[38:39], v[52:53], a[20:23]
	v_fma_f32 v15, v15, v44, v9
	v_accvgpr_read_b32 v9, a6
	v_fma_f32 v16, v16, v44, v9
	v_mfma_f32_16x16x16_bf16 a[24:27], v[38:39], v[58:59], a[24:27]
	v_accvgpr_read_b32 v9, a8
	v_fma_f32 v22, v22, v44, v9
	v_accvgpr_read_b32 v9, a9
	v_mfma_f32_16x16x16_bf16 a[0:3], v[38:39], v[62:63], a[28:31]
	ds_read_b64 v[38:39], v67 offset:40960
	v_accvgpr_read_b32 v46, a7
	v_fma_f32 v23, v23, v44, v9
	s_waitcnt lgkmcnt(1)
	v_mfma_f32_16x16x16_bf16 a[16:19], v[40:41], v[50:51], a[16:19]
	v_accvgpr_read_b32 v9, a10
	v_fma_f32 v24, v24, v44, v9
	v_accvgpr_read_b32 v9, a12
	v_mfma_f32_16x16x16_bf16 a[4:7], v[40:41], v[54:55], a[20:23]
	v_fma_f32 v30, v30, v44, v9
	v_fmac_f32_e32 v46, v17, v44
	v_mov_b32_e32 v17, v46
	v_mfma_f32_16x16x16_bf16 a[20:23], v[40:41], v[60:61], a[24:27]
	v_mfma_f32_16x16x16_bf16 a[0:3], v[40:41], v[64:65], a[0:3]
	v_accvgpr_read_b32 v40, a11
	v_fmac_f32_e32 v40, v25, v44
	s_waitcnt lgkmcnt(0)
	v_mfma_f32_16x16x16_bf16 a[8:11], v[38:39], v[42:43], a[16:19]
	v_mfma_f32_16x16x16_bf16 a[4:7], v[38:39], v[0:1], a[4:7]
	v_accvgpr_read_b32 v0, a13
	v_fma_f32 v31, v31, v44, v0
	v_accvgpr_read_b32 v0, a14
	s_nop 2
	v_accvgpr_read_b32 v1, a8
	v_fma_f32 v2, v2, v44, v1
	v_accvgpr_read_b32 v1, a9
	v_fma_f32 v3, v3, v44, v1
	v_accvgpr_read_b32 v1, a10
	v_mfma_f32_16x16x16_bf16 a[16:19], v[38:39], v[36:37], a[20:23]
	v_fma_f32 v4, v4, v44, v1
	v_accvgpr_read_b32 v1, a11
	v_fmac_f32_e32 v1, v5, v44
	v_mfma_f32_16x16x16_bf16 a[0:3], v[38:39], v[34:35], a[0:3]
	v_accvgpr_read_b32 v5, a4
	v_fma_f32 v10, v10, v44, v5
	v_accvgpr_read_b32 v5, a5
	v_fma_f32 v11, v11, v44, v5
	;; [unrolled: 2-line block ×3, first 2 shown]
	v_accvgpr_read_b32 v5, a16
	v_accvgpr_read_b32 v9, a0
	v_fma_f32 v18, v18, v44, v5
	v_accvgpr_read_b32 v5, a17
	v_fma_f32 v26, v26, v44, v9
	;; [unrolled: 2-line block ×5, first 2 shown]
	v_accvgpr_read_b32 v0, a15
	v_accvgpr_read_b32 v25, a7
	v_fma_f32 v20, v20, v44, v5
	v_accvgpr_read_b32 v5, a19
	v_fma_f32 v28, v28, v44, v9
	v_accvgpr_read_b32 v9, a3
	v_fmac_f32_e32 v0, v33, v44
	v_fmac_f32_e32 v25, v13, v44
	;; [unrolled: 1-line block ×4, first 2 shown]
	v_mov_b32_e32 v29, v9
	v_mov_b32_e32 v33, v0
	;; [unrolled: 1-line block ×7, first 2 shown]
.LBB250_99:
	s_waitcnt lgkmcnt(0)
	s_add_u32 s0, s30, s28
	s_addc_u32 s1, s31, s29
	v_lshl_add_u64 v[0:1], v[68:69], 2, s[0:1]
	v_mov_b32_e32 v67, 0
	v_lshl_add_u64 v[0:1], v[0:1], 0, v[66:67]
	s_waitcnt vmcnt(7)
	global_store_dwordx4 v[0:1], v[6:9], off
	s_waitcnt vmcnt(7)
	global_store_dwordx4 v[0:1], v[2:5], off offset:256
	v_lshl_add_u64 v[0:1], v[70:71], 2, s[0:1]
	v_lshl_add_u64 v[0:1], v[0:1], 0, v[66:67]
	s_waitcnt vmcnt(7)
	global_store_dwordx4 v[0:1], v[14:17], off
	s_waitcnt vmcnt(7)
	global_store_dwordx4 v[0:1], v[10:13], off offset:256
	v_lshl_add_u64 v[0:1], v[72:73], 2, s[0:1]
	;; [unrolled: 6-line block ×3, first 2 shown]
	v_lshl_add_u64 v[0:1], v[0:1], 0, v[66:67]
	s_waitcnt vmcnt(7)
	global_store_dwordx4 v[0:1], v[30:33], off
	s_waitcnt vmcnt(7)
	global_store_dwordx4 v[0:1], v[26:29], off offset:256
	s_endpgm
	.section	.rodata,"a",@progbits
	.p2align	6, 0x0
	.amdhsa_kernel _ZN12_GLOBAL__N_139chunk_gated_delta_rule_fwd_h_hip_kernelILi64ELb1ELb1ELb0ELb0ELb0ELb0ELb0ELb0EEEvPK12hip_bfloat16S3_S3_PKfS5_PKvPS1_S8_PvPKiSB_iiiiilll
		.amdhsa_group_segment_fixed_size 65536
		.amdhsa_private_segment_fixed_size 0
		.amdhsa_kernarg_size 136
		.amdhsa_user_sgpr_count 2
		.amdhsa_user_sgpr_dispatch_ptr 0
		.amdhsa_user_sgpr_queue_ptr 0
		.amdhsa_user_sgpr_kernarg_segment_ptr 1
		.amdhsa_user_sgpr_dispatch_id 0
		.amdhsa_user_sgpr_kernarg_preload_length 0
		.amdhsa_user_sgpr_kernarg_preload_offset 0
		.amdhsa_user_sgpr_private_segment_size 0
		.amdhsa_uses_dynamic_stack 0
		.amdhsa_enable_private_segment 0
		.amdhsa_system_sgpr_workgroup_id_x 1
		.amdhsa_system_sgpr_workgroup_id_y 1
		.amdhsa_system_sgpr_workgroup_id_z 0
		.amdhsa_system_sgpr_workgroup_info 0
		.amdhsa_system_vgpr_workitem_id 0
		.amdhsa_next_free_vgpr 224
		.amdhsa_next_free_sgpr 70
		.amdhsa_accum_offset 188
		.amdhsa_reserve_vcc 1
		.amdhsa_float_round_mode_32 0
		.amdhsa_float_round_mode_16_64 0
		.amdhsa_float_denorm_mode_32 3
		.amdhsa_float_denorm_mode_16_64 3
		.amdhsa_dx10_clamp 1
		.amdhsa_ieee_mode 1
		.amdhsa_fp16_overflow 0
		.amdhsa_tg_split 0
		.amdhsa_exception_fp_ieee_invalid_op 0
		.amdhsa_exception_fp_denorm_src 0
		.amdhsa_exception_fp_ieee_div_zero 0
		.amdhsa_exception_fp_ieee_overflow 0
		.amdhsa_exception_fp_ieee_underflow 0
		.amdhsa_exception_fp_ieee_inexact 0
		.amdhsa_exception_int_div_zero 0
	.end_amdhsa_kernel
	.section	.text._ZN12_GLOBAL__N_139chunk_gated_delta_rule_fwd_h_hip_kernelILi64ELb1ELb1ELb0ELb0ELb0ELb0ELb0ELb0EEEvPK12hip_bfloat16S3_S3_PKfS5_PKvPS1_S8_PvPKiSB_iiiiilll,"axG",@progbits,_ZN12_GLOBAL__N_139chunk_gated_delta_rule_fwd_h_hip_kernelILi64ELb1ELb1ELb0ELb0ELb0ELb0ELb0ELb0EEEvPK12hip_bfloat16S3_S3_PKfS5_PKvPS1_S8_PvPKiSB_iiiiilll,comdat
.Lfunc_end250:
	.size	_ZN12_GLOBAL__N_139chunk_gated_delta_rule_fwd_h_hip_kernelILi64ELb1ELb1ELb0ELb0ELb0ELb0ELb0ELb0EEEvPK12hip_bfloat16S3_S3_PKfS5_PKvPS1_S8_PvPKiSB_iiiiilll, .Lfunc_end250-_ZN12_GLOBAL__N_139chunk_gated_delta_rule_fwd_h_hip_kernelILi64ELb1ELb1ELb0ELb0ELb0ELb0ELb0ELb0EEEvPK12hip_bfloat16S3_S3_PKfS5_PKvPS1_S8_PvPKiSB_iiiiilll
                                        ; -- End function
	.section	.AMDGPU.csdata,"",@progbits
; Kernel info:
; codeLenInByte = 12208
; NumSgprs: 76
; NumVgprs: 188
; NumAgprs: 36
; TotalNumVgprs: 224
; ScratchSize: 0
; MemoryBound: 0
; FloatMode: 240
; IeeeMode: 1
; LDSByteSize: 65536 bytes/workgroup (compile time only)
; SGPRBlocks: 9
; VGPRBlocks: 27
; NumSGPRsForWavesPerEU: 76
; NumVGPRsForWavesPerEU: 224
; AccumOffset: 188
; Occupancy: 1
; WaveLimiterHint : 1
; COMPUTE_PGM_RSRC2:SCRATCH_EN: 0
; COMPUTE_PGM_RSRC2:USER_SGPR: 2
; COMPUTE_PGM_RSRC2:TRAP_HANDLER: 0
; COMPUTE_PGM_RSRC2:TGID_X_EN: 1
; COMPUTE_PGM_RSRC2:TGID_Y_EN: 1
; COMPUTE_PGM_RSRC2:TGID_Z_EN: 0
; COMPUTE_PGM_RSRC2:TIDIG_COMP_CNT: 0
; COMPUTE_PGM_RSRC3_GFX90A:ACCUM_OFFSET: 46
; COMPUTE_PGM_RSRC3_GFX90A:TG_SPLIT: 0
	.section	.text._ZN12_GLOBAL__N_139chunk_gated_delta_rule_fwd_h_hip_kernelILi64ELb1ELb0ELb1ELb0ELb0ELb0ELb0ELb0EEEvPK12hip_bfloat16S3_S3_PKfS5_PKvPS1_S8_PvPKiSB_iiiiilll,"axG",@progbits,_ZN12_GLOBAL__N_139chunk_gated_delta_rule_fwd_h_hip_kernelILi64ELb1ELb0ELb1ELb0ELb0ELb0ELb0ELb0EEEvPK12hip_bfloat16S3_S3_PKfS5_PKvPS1_S8_PvPKiSB_iiiiilll,comdat
	.globl	_ZN12_GLOBAL__N_139chunk_gated_delta_rule_fwd_h_hip_kernelILi64ELb1ELb0ELb1ELb0ELb0ELb0ELb0ELb0EEEvPK12hip_bfloat16S3_S3_PKfS5_PKvPS1_S8_PvPKiSB_iiiiilll ; -- Begin function _ZN12_GLOBAL__N_139chunk_gated_delta_rule_fwd_h_hip_kernelILi64ELb1ELb0ELb1ELb0ELb0ELb0ELb0ELb0EEEvPK12hip_bfloat16S3_S3_PKfS5_PKvPS1_S8_PvPKiSB_iiiiilll
	.p2align	8
	.type	_ZN12_GLOBAL__N_139chunk_gated_delta_rule_fwd_h_hip_kernelILi64ELb1ELb0ELb1ELb0ELb0ELb0ELb0ELb0EEEvPK12hip_bfloat16S3_S3_PKfS5_PKvPS1_S8_PvPKiSB_iiiiilll,@function
_ZN12_GLOBAL__N_139chunk_gated_delta_rule_fwd_h_hip_kernelILi64ELb1ELb0ELb1ELb0ELb0ELb0ELb0ELb0EEEvPK12hip_bfloat16S3_S3_PKfS5_PKvPS1_S8_PvPKiSB_iiiiilll: ; @_ZN12_GLOBAL__N_139chunk_gated_delta_rule_fwd_h_hip_kernelILi64ELb1ELb0ELb1ELb0ELb0ELb0ELb0ELb0EEEvPK12hip_bfloat16S3_S3_PKfS5_PKvPS1_S8_PvPKiSB_iiiiilll
; %bb.0:
	s_load_dwordx4 s[12:15], s[0:1], 0x5c
	s_load_dwordx4 s[20:23], s[0:1], 0x70
	s_abs_i32 s6, s3
	s_ashr_i32 s5, s3, 31
	s_load_dwordx4 s[16:19], s[0:1], 0x28
	s_load_dwordx2 s[28:29], s[0:1], 0x38
	s_waitcnt lgkmcnt(0)
	s_abs_i32 s4, s13
	v_cvt_f32_u32_e32 v1, s4
	s_sub_i32 s8, 0, s4
	s_ashr_i32 s7, s13, 31
	s_xor_b32 s5, s5, s7
	v_rcp_iflag_f32_e32 v1, v1
	v_and_b32_e32 v79, 15, v0
	v_lshrrev_b32_e32 v77, 6, v0
	v_bfe_u32 v78, v0, 4, 2
	v_mul_f32_e32 v1, 0x4f7ffffe, v1
	v_cvt_u32_f32_e32 v1, v1
	v_mov_b32_e32 v11, 0
	v_and_b32_e32 v76, 63, v0
	v_lshrrev_b32_e32 v81, 3, v76
	v_readfirstlane_b32 s9, v1
	s_mul_i32 s8, s8, s9
	s_mul_hi_u32 s8, s9, s8
	s_add_i32 s9, s9, s8
	s_mul_hi_u32 s8, s6, s9
	s_mul_i32 s9, s8, s4
	s_sub_i32 s6, s6, s9
	s_add_i32 s10, s8, 1
	s_sub_i32 s9, s6, s4
	s_cmp_ge_u32 s6, s4
	s_cselect_b32 s8, s10, s8
	s_cselect_b32 s6, s9, s6
	s_add_i32 s9, s8, 1
	s_cmp_ge_u32 s6, s4
	s_cselect_b32 s6, s9, s8
	s_xor_b32 s6, s6, s5
	s_add_i32 s8, s12, 63
	s_sub_i32 s51, s6, s5
	s_ashr_i32 s9, s8, 31
	s_mul_i32 s5, s51, s13
	s_sub_i32 s48, s3, s5
	s_lshr_b32 s3, s9, 26
	s_add_i32 s8, s8, s3
	s_abs_i32 s3, s14
	v_cvt_f32_u32_e32 v1, s3
	s_ashr_i32 s50, s12, 31
	s_lshr_b32 s6, s50, 26
	s_add_i32 s6, s12, s6
	v_rcp_iflag_f32_e32 v1, v1
	s_ashr_i32 s53, s14, 31
	s_ashr_i32 s24, s8, 6
	;; [unrolled: 1-line block ×3, first 2 shown]
	v_mul_f32_e32 v1, 0x4f7ffffe, v1
	v_cvt_u32_f32_e32 v1, v1
	s_xor_b32 s6, s7, s53
	s_sub_i32 s7, 0, s3
	s_lshl_b32 s2, s2, 6
	v_readfirstlane_b32 s8, v1
	s_mul_i32 s7, s7, s8
	s_mul_hi_u32 s7, s8, s7
	s_add_i32 s8, s8, s7
	s_mul_hi_u32 s7, s4, s8
	s_mul_i32 s8, s7, s3
	s_sub_i32 s4, s4, s8
	s_add_i32 s8, s7, 1
	s_sub_i32 s9, s4, s3
	s_cmp_ge_u32 s4, s3
	s_cselect_b32 s7, s8, s7
	s_cselect_b32 s4, s9, s4
	s_add_i32 s8, s7, 1
	s_cmp_ge_u32 s4, s3
	s_cselect_b32 s3, s8, s7
	s_xor_b32 s3, s3, s6
	s_sub_i32 s3, s3, s6
	s_abs_i32 s4, s3
	v_cvt_f32_u32_e32 v1, s4
	s_sub_i32 s7, 0, s4
	s_abs_i32 s6, s48
	s_xor_b32 s3, s48, s3
	v_rcp_iflag_f32_e32 v1, v1
	s_ashr_i32 s3, s3, 31
	v_or_b32_e32 v66, s2, v79
	v_lshlrev_b32_e32 v2, 7, v66
	v_mul_f32_e32 v1, 0x4f7ffffe, v1
	v_cvt_u32_f32_e32 v1, v1
	v_ashrrev_i32_e32 v3, 31, v2
	s_mul_i32 s55, s51, s24
	v_lshlrev_b32_e32 v80, 3, v0
	v_readfirstlane_b32 s8, v1
	s_mul_i32 s7, s7, s8
	s_mul_hi_u32 s7, s8, s7
	s_add_i32 s8, s8, s7
	s_mul_hi_u32 s7, s6, s8
	s_mul_i32 s8, s7, s4
	s_sub_i32 s6, s6, s8
	s_add_i32 s8, s7, 1
	s_sub_i32 s9, s6, s4
	s_cmp_ge_u32 s6, s4
	s_cselect_b32 s7, s8, s7
	s_cselect_b32 s6, s9, s6
	s_add_i32 s8, s7, 1
	s_cmp_ge_u32 s6, s4
	s_cselect_b32 s4, s8, s7
	s_xor_b32 s4, s4, s3
	s_sub_i32 s54, s4, s3
	s_ashr_i32 s3, s51, 31
	s_ashr_i32 s49, s48, 31
	s_mul_hi_i32 s4, s51, s13
	s_add_u32 s38, s5, s48
	s_addc_u32 s39, s4, s49
	s_lshl_b64 s[4:5], s[38:39], 16
	v_lshlrev_b32_e32 v1, 4, v77
	s_add_u32 s4, s16, s4
	v_lshl_or_b32 v82, v78, 2, v1
	s_addc_u32 s5, s17, s5
	v_lshl_add_u64 v[4:5], v[2:3], 2, s[4:5]
	v_lshlrev_b32_e32 v10, 2, v82
	v_lshl_add_u64 v[4:5], v[4:5], 0, v[10:11]
	global_load_dwordx4 v[22:25], v[4:5], off
	global_load_dwordx4 v[30:33], v[4:5], off offset:256
	v_or_b32_e32 v4, 0x800, v2
	v_ashrrev_i32_e32 v5, 31, v4
	v_lshl_add_u64 v[4:5], v[4:5], 2, s[4:5]
	v_lshl_add_u64 v[4:5], v[4:5], 0, v[10:11]
	global_load_dwordx4 v[14:17], v[4:5], off
	global_load_dwordx4 v[26:29], v[4:5], off offset:256
	v_or_b32_e32 v4, 0x1000, v2
	v_or_b32_e32 v2, 0x1800, v2
	v_ashrrev_i32_e32 v5, 31, v4
	v_ashrrev_i32_e32 v3, 31, v2
	v_lshl_add_u64 v[4:5], v[4:5], 2, s[4:5]
	v_lshl_add_u64 v[2:3], v[2:3], 2, s[4:5]
	;; [unrolled: 1-line block ×4, first 2 shown]
	global_load_dwordx4 v[6:9], v[4:5], off
	global_load_dwordx4 v[18:21], v[4:5], off offset:256
	s_nop 0
	global_load_dwordx4 v[2:5], v[34:35], off
	global_load_dwordx4 v[10:13], v[34:35], off offset:256
	s_load_dwordx8 s[4:11], s[0:1], 0x0
	s_load_dwordx2 s[30:31], s[0:1], 0x80
	v_or_b32_e32 v83, 64, v82
	s_cmp_lt_i32 s12, 64
	s_mul_i32 s56, s39, s12
	s_mul_hi_u32 s57, s38, s12
	s_mul_i32 s16, s38, s12
	s_mul_i32 s33, s51, s21
	s_mul_hi_u32 s44, s51, s20
	s_mul_i32 s39, s3, s20
	s_mul_i32 s36, s51, s20
	;; [unrolled: 1-line block ×3, first 2 shown]
	s_mul_hi_u32 s46, s48, s22
	s_mul_i32 s47, s49, s22
	s_mul_i32 s34, s48, s22
	s_cbranch_scc1 .LBB251_18
; %bb.1:
	s_add_i32 s17, s57, s56
	s_lshl_b64 s[0:1], s[16:17], 8
	v_and_b32_e32 v85, 56, v80
	s_waitcnt lgkmcnt(0)
	s_add_u32 s20, s6, s0
	v_lshl_or_b32 v84, v77, 3, v81
	v_lshlrev_b32_e32 v34, 1, v85
	s_addc_u32 s0, s7, s1
	v_lshl_or_b32 v86, v84, 8, v34
	s_and_b32 s21, s0, 0xffff
	s_mov_b32 s23, 0x20000
	s_movk_i32 s22, 0x4000
	s_movk_i32 s0, 0x80
	v_or_b32_e32 v87, 0x2000, v86
	buffer_load_dwordx4 v[36:39], v86, s[20:23], 0 offen
	buffer_load_dwordx4 v[40:43], v86, s[20:23], s0 offen
	buffer_load_dwordx4 v[44:47], v87, s[20:23], 0 offen
	buffer_load_dwordx4 v[48:51], v87, s[20:23], s0 offen
	v_lshlrev_b32_e32 v35, 3, v84
	v_and_or_b32 v53, v0, 7, v35
	v_and_b32_e32 v35, 0x78, v35
	v_lshlrev_b32_e32 v53, 4, v53
	v_xor_b32_e32 v88, v53, v35
	v_mul_lo_u32 v52, v84, s15
	v_or_b32_e32 v89, 0x1000, v88
	v_xor_b32_e32 v35, 8, v88
	s_cmpk_eq_i32 s15, 0x80
	s_mov_b32 s58, s14
	v_xor_b32_e32 v53, 8, v89
	s_cselect_b64 s[0:1], -1, 0
	s_cmpk_lg_i32 s15, 0x80
	s_waitcnt vmcnt(3)
	ds_write_b64 v88, v[36:37] offset:49152
	ds_write_b64 v35, v[38:39] offset:49152
	s_waitcnt vmcnt(2)
	ds_write_b64 v88, v[40:41] offset:57344
	ds_write_b64 v35, v[42:43] offset:57344
	;; [unrolled: 3-line block ×4, first 2 shown]
	v_lshl_add_u32 v35, v52, 1, v85
	s_cbranch_scc0 .LBB251_3
; %bb.2:
	v_lshlrev_b32_e32 v37, 1, v35
	v_add_lshl_u32 v36, v35, s15, 1
	s_lshl_b32 s22, s15, 7
	v_lshl_or_b32 v34, v84, 9, v34
	s_cbranch_execz .LBB251_4
	s_branch .LBB251_5
.LBB251_3:
                                        ; implicit-def: $vgpr36
                                        ; implicit-def: $vgpr37
                                        ; implicit-def: $sgpr22
	v_lshl_or_b32 v34, v84, 9, v34
.LBB251_4:
	v_or_b32_e32 v36, 0x100, v34
	s_movk_i32 s22, 0x4000
	v_mov_b32_e32 v37, v34
.LBB251_5:
	s_mul_hi_u32 s20, s14, s12
	s_mul_i32 s21, s53, s12
	s_add_i32 s20, s20, s21
	s_mul_i32 s21, s14, s12
	s_mul_i32 s23, s21, s3
	s_mul_hi_u32 s24, s21, s51
	s_add_i32 s23, s24, s23
	s_mul_i32 s20, s20, s51
	s_add_i32 s23, s23, s20
	s_mul_i32 s21, s21, s51
	s_ashr_i32 s59, s54, 31
	s_add_u32 s20, s21, s54
	s_addc_u32 s21, s23, s59
	s_lshl_b64 s[20:21], s[20:21], 8
	s_add_u32 s20, s4, s20
	s_addc_u32 s21, s5, s21
	s_and_b32 s21, s21, 0xffff
	s_mov_b32 s23, 0x20000
	s_movk_i32 s60, 0x80
	buffer_load_dwordx4 v[38:41], v37, s[20:23], 0 offen
	buffer_load_dwordx4 v[42:45], v37, s[20:23], s60 offen
	buffer_load_dwordx4 v[46:49], v36, s[20:23], 0 offen
	buffer_load_dwordx4 v[50:53], v36, s[20:23], s60 offen
	v_and_b32_e32 v37, 6, v0
	v_lshlrev_b32_e32 v36, 7, v82
	v_xor_b32_e32 v58, v84, v37
	v_and_b32_e32 v54, 1, v0
	v_lshl_or_b32 v61, v79, 3, v36
	v_lshlrev_b32_e32 v58, 2, v58
	v_or_b32_e32 v90, 0x4000, v61
	v_or_b32_e32 v91, 0x6000, v61
	v_xor_b32_e32 v61, 0x440, v58
	v_cmp_eq_u32_e32 vcc, 0, v54
	v_lshlrev_b32_e32 v55, 2, v79
	s_mov_b32 s62, 0x1000504
	v_cndmask_b32_e32 v54, v61, v58, vcc
	v_xor_b32_e32 v59, v82, v55
	v_xor_b32_e32 v60, v83, v55
	v_lshl_or_b32 v37, v37, 10, v54
	s_mov_b32 s63, 0x3020706
	v_lshlrev_b32_e32 v56, 8, v79
	v_or_b32_e32 v57, 16, v79
	v_lshlrev_b32_e32 v59, 1, v59
	v_lshlrev_b32_e32 v60, 1, v60
	v_xor_b32_e32 v54, 8, v37
	v_xor_b32_e32 v58, 24, v37
	v_xor_b32_e32 v63, 40, v37
	v_xor_b32_e32 v65, 56, v37
	s_mul_i32 s3, s3, s12
	s_mul_hi_u32 s20, s51, s12
	v_or_b32_e32 v93, v56, v59
	v_or_b32_e32 v94, v56, v60
	v_xor_b32_e32 v56, 16, v37
	v_xor_b32_e32 v61, 32, v37
	;; [unrolled: 1-line block ×3, first 2 shown]
	v_add_u32_e32 v54, 0x80, v54
	v_add_u32_e32 v58, 0x80, v58
	;; [unrolled: 1-line block ×4, first 2 shown]
	s_add_i32 s65, s20, s3
	s_add_i32 s3, s44, s33
	;; [unrolled: 1-line block ×5, first 2 shown]
	s_lshl_b64 s[20:21], s[36:37], 2
	s_add_u32 s3, s10, s20
	s_addc_u32 s24, s11, s21
	s_lshl_b64 s[20:21], s[34:35], 2
	s_add_u32 s40, s3, s20
	s_movk_i32 s3, 0xf8
	s_addc_u32 s41, s24, s21
	s_lshl_b32 s26, s15, 7
	s_movk_i32 s24, 0x100
	v_mov_b32_e32 v69, 0
	v_cmp_gt_u32_e32 vcc, s24, v0
	v_lshl_or_b32 v62, v57, 3, v36
	s_mov_b32 s61, 0
	s_mul_i32 s64, s51, s12
	v_or_b32_e32 v92, 0x4000, v62
	s_movk_i32 s22, 0x4000
	v_or_b32_e32 v95, 0x6000, v62
	s_movk_i32 s35, 0x2000
	s_movk_i32 s37, 0x3000
	v_mov_b32_e32 v133, 0x3fb8aa3b
	s_mov_b32 s67, 0
	s_waitcnt vmcnt(1)
	v_perm_b32 v67, v38, v46, s62
	s_waitcnt vmcnt(0)
	v_perm_b32 v68, v42, v50, s62
	v_perm_b32 v38, v38, v46, s63
	;; [unrolled: 1-line block ×15, first 2 shown]
	ds_write2st64_b32 v37, v67, v68 offset0:128 offset1:160
	ds_write2st64_b32 v54, v38, v42 offset0:128 offset1:160
	;; [unrolled: 1-line block ×8, first 2 shown]
	v_lshlrev_b32_e32 v37, 8, v57
	v_or_b32_e32 v96, v37, v59
	v_or_b32_e32 v97, v37, v60
	;; [unrolled: 1-line block ×3, first 2 shown]
	v_lshl_or_b32 v38, v37, 3, v36
	v_lshlrev_b32_e32 v37, 8, v37
	v_or_b32_e32 v100, v37, v59
	v_or_b32_e32 v101, v37, v60
	;; [unrolled: 1-line block ×5, first 2 shown]
	v_lshl_or_b32 v38, v37, 3, v36
	v_lshlrev_b32_e32 v37, 8, v37
	v_or_b32_e32 v104, v37, v59
	v_or_b32_e32 v105, v37, v60
	v_or_b32_e32 v37, v1, v79
	v_lshlrev_b32_e32 v37, 3, v37
	v_lshrrev_b32_e32 v39, 5, v76
	v_and_or_b32 v39, v37, s3, v39
	v_lshlrev_b32_e32 v39, 4, v39
	v_lshlrev_b32_e32 v40, 11, v77
	v_and_b32_e32 v37, 0x78, v37
	v_or_b32_e32 v45, 32, v39
	v_or_b32_e32 v102, 0x4000, v38
	;; [unrolled: 1-line block ×3, first 2 shown]
	v_and_b32_e32 v38, 0x1000, v40
	v_xor_b32_e32 v41, v39, v37
	v_lshrrev_b32_e32 v42, 1, v0
	v_xor_b32_e32 v45, v45, v37
	v_or_b32_e32 v41, v41, v38
	v_and_b32_e32 v43, 8, v42
	v_or_b32_e32 v45, v45, v38
	v_xor_b32_e32 v106, v41, v43
	v_lshlrev_b32_e32 v41, 8, v78
	v_xor_b32_e32 v108, v45, v43
	v_or_b32_e32 v45, 64, v39
	v_or_b32_e32 v39, 0x60, v39
	s_ashr_i32 s3, s2, 31
	v_or_b32_e32 v44, v41, v55
	v_xor_b32_e32 v45, v45, v37
	v_xor_b32_e32 v37, v39, v37
	s_lshl_b64 s[20:21], s[2:3], 8
	v_lshlrev_b32_e32 v44, 1, v44
	v_or_b32_e32 v45, v45, v38
	v_or_b32_e32 v37, v37, v38
	s_add_u32 s20, s18, s20
	v_lshlrev_b32_e32 v38, 1, v79
	v_or_b32_e32 v107, 0x4000, v44
	v_or_b32_e32 v109, 0x4080, v44
	;; [unrolled: 1-line block ×8, first 2 shown]
	v_lshrrev_b32_e32 v44, 4, v0
	s_addc_u32 s21, s19, s21
	v_or_b32_e32 v39, 1, v38
	v_lshlrev_b32_e32 v68, 4, v79
	v_mov_b32_e32 v48, 0xa000
	v_mov_b32_e32 v49, 0x8000
	v_xor_b32_e32 v112, v45, v43
	v_xor_b32_e32 v45, v44, v38
	;; [unrolled: 1-line block ×3, first 2 shown]
	v_lshl_add_u64 v[38:39], s[20:21], 0, v[68:69]
	v_lshlrev_b32_e32 v68, 8, v44
	v_cndmask_b32_e32 v48, v48, v49, vcc
	v_lshlrev_b32_e32 v49, 3, v77
	v_and_b32_e32 v42, 24, v42
	v_lshl_or_b32 v118, v45, 3, v68
	v_and_b32_e32 v45, 8, v0
	v_xor_b32_e32 v50, v49, v42
	v_or_b32_e32 v51, 0x440, v50
	v_cmp_eq_u32_e32 vcc, 0, v45
	v_and_b32_e32 v44, 7, v0
	v_lshl_or_b32 v119, v46, 3, v68
	v_cndmask_b32_e32 v45, v51, v50, vcc
	v_lshlrev_b32_e32 v46, 3, v44
	v_lshlrev_b32_e32 v44, 7, v44
	v_or_b32_e32 v45, v45, v40
	v_lshlrev_b32_e32 v47, 2, v0
	v_xad_u32 v120, v45, v46, v44
	v_or_b32_e32 v45, 32, v42
	v_and_or_b32 v41, v47, 60, v41
	v_xor_b32_e32 v45, v49, v45
	v_lshlrev_b32_e32 v41, 1, v41
	v_or_b32_e32 v47, 0x440, v45
	v_or_b32_e32 v121, 0x6000, v41
	v_cndmask_b32_e32 v45, v47, v45, vcc
	v_or_b32_e32 v123, 0x6080, v41
	v_or_b32_e32 v124, 0x6100, v41
	;; [unrolled: 1-line block ×5, first 2 shown]
	v_xor_b32_e32 v41, v49, v41
	v_xad_u32 v122, v45, v46, v44
	v_xor_b32_e32 v45, 0x440, v41
	v_cndmask_b32_e32 v41, v45, v41, vcc
	v_or_b32_e32 v41, v41, v40
	v_xad_u32 v126, v41, v46, v44
	v_or_b32_e32 v41, 0x60, v42
	v_xor_b32_e32 v41, v49, v41
	v_xor_b32_e32 v42, 0x440, v41
	v_cndmask_b32_e32 v41, v42, v41, vcc
	v_xor_b32_e32 v113, v37, v43
	v_ashrrev_i32_e32 v67, 31, v66
	v_lshlrev_b32_e32 v37, 1, v35
	v_add_lshl_u32 v35, v35, s15, 1
	v_or_b32_e32 v43, 0x100, v34
	v_or_b32_e32 v40, v41, v40
	v_xad_u32 v127, v40, v46, v44
	v_cndmask_b32_e64 v128, v37, v34, s[0:1]
	v_cndmask_b32_e64 v129, v35, v43, s[0:1]
	v_lshlrev_b64 v[34:35], 1, v[66:67]
	v_lshl_add_u64 v[70:71], s[8:9], 0, v[34:35]
	v_lshl_add_u64 v[72:73], s[28:29], 0, v[34:35]
	;; [unrolled: 1-line block ×3, first 2 shown]
	s_mov_b32 s3, 0x7060302
	v_lshlrev_b32_e32 v68, 1, v36
	v_add_u32_e32 v67, v48, v120
	v_add_u32_e32 v130, v48, v122
	;; [unrolled: 1-line block ×4, first 2 shown]
	s_waitcnt lgkmcnt(0)
	s_barrier
.LBB251_6:                              ; =>This Inner Loop Header: Depth=1
	s_add_i32 s66, s67, 1
	s_cmp_lt_i32 s66, s52
	s_mov_b64 s[24:25], 0
	s_cselect_b64 s[42:43], -1, 0
	s_cmp_ge_i32 s66, s52
	s_mov_b64 s[20:21], 0
	s_cbranch_scc1 .LBB251_8
; %bb.7:                                ;   in Loop: Header=BB251_6 Depth=1
	s_add_i32 s0, s61, 64
	s_add_u32 s0, s16, s0
	s_addc_u32 s1, s17, 0
	s_lshl_b64 s[0:1], s[0:1], 8
	s_add_u32 s20, s6, s0
	s_addc_u32 s21, s7, s1
.LBB251_8:                              ;   in Loop: Header=BB251_6 Depth=1
	v_cndmask_b32_e64 v34, 0, 1, s[42:43]
	v_cmp_ne_u32_e64 s[0:1], 1, v34
	s_andn2_b64 vcc, exec, s[42:43]
	s_cbranch_vccnz .LBB251_10
; %bb.9:                                ;   in Loop: Header=BB251_6 Depth=1
	s_add_i32 s24, s61, 64
	s_add_u32 s24, s64, s24
	s_addc_u32 s25, s65, 0
	s_mul_i32 s27, s24, s53
	s_mul_hi_u32 s42, s24, s58
	s_add_i32 s27, s42, s27
	s_mul_i32 s25, s25, s58
	s_add_i32 s27, s27, s25
	s_mul_i32 s24, s24, s58
	s_add_u32 s24, s24, s54
	s_addc_u32 s25, s27, s59
	s_lshl_b64 s[24:25], s[24:25], 8
	s_add_u32 s24, s4, s24
	s_addc_u32 s25, s5, s25
.LBB251_10:                             ;   in Loop: Header=BB251_6 Depth=1
	v_perm_b32 v35, v25, v24, s3
	v_perm_b32 v34, v23, v22, s3
	v_perm_b32 v37, v33, v32, s3
	v_perm_b32 v36, v31, v30, s3
	ds_write_b64 v90, v[34:35]
	ds_write_b64 v91, v[36:37]
	ds_write_b64 v93, v[34:35]
	ds_write_b64 v94, v[36:37]
	v_perm_b32 v35, v17, v16, s3
	v_perm_b32 v34, v15, v14, s3
	v_perm_b32 v37, v29, v28, s3
	v_perm_b32 v36, v27, v26, s3
	ds_write_b64 v92, v[34:35]
	ds_write_b64 v95, v[36:37]
	ds_write_b64 v96, v[34:35]
	ds_write_b64 v97, v[36:37]
	;; [unrolled: 8-line block ×4, first 2 shown]
	s_waitcnt lgkmcnt(0)
	s_barrier
	ds_read_b64 v[38:39], v106 offset:49152
	ds_read2_b64 v[34:37], v107 offset1:16
	ds_read_b64 v[50:51], v109 offset:6144
	ds_read_b64 v[52:53], v107 offset:6144
	s_waitcnt lgkmcnt(2)
	v_mfma_f32_16x16x16_bf16 a[0:3], v[38:39], v[34:35], 0
	ds_read_b64 v[54:55], v108 offset:49152
	ds_read2st64_b64 v[42:45], v110 offset0:4 offset1:8
	ds_read2st64_b64 v[46:49], v111 offset0:4 offset1:8
	v_mfma_f32_16x16x16_bf16 a[4:7], v[38:39], v[36:37], 0
	ds_read2_b64 v[34:37], v107 offset0:32 offset1:48
	s_add_i32 s27, s61, 63
	s_mul_i32 s42, s27, s31
	s_waitcnt lgkmcnt(0)
	v_mfma_f32_16x16x16_bf16 a[8:11], v[38:39], v[34:35], 0
	s_mul_hi_u32 s43, s27, s30
	s_add_i32 s43, s43, s42
	s_mul_i32 s42, s27, s30
	v_mfma_f32_16x16x16_bf16 a[12:15], v[38:39], v[36:37], 0
	ds_read2st64_b64 v[34:37], v107 offset0:4 offset1:8
	ds_read2st64_b64 v[38:41], v109 offset0:4 offset1:8
	s_lshl_b64 s[42:43], s[42:43], 2
	s_waitcnt lgkmcnt(1)
	v_mfma_f32_16x16x16_bf16 a[0:3], v[54:55], v[34:35], a[0:3]
	s_add_u32 s42, s40, s42
	s_addc_u32 s43, s41, s43
	s_and_b64 vcc, exec, s[0:1]
	s_waitcnt lgkmcnt(0)
	v_mfma_f32_16x16x16_bf16 a[4:7], v[54:55], v[38:39], a[4:7]
	v_mov_b32_e32 v136, 0
	v_mov_b32_e32 v135, 0
	v_mov_b32_e32 v134, 0
	v_mfma_f32_16x16x16_bf16 a[8:11], v[54:55], v[42:43], a[8:11]
	ds_read_b64 v[34:35], v112 offset:49152
	ds_read_b64 v[38:39], v113 offset:49152
	;; [unrolled: 1-line block ×3, first 2 shown]
	v_mfma_f32_16x16x16_bf16 a[12:15], v[54:55], v[46:47], a[12:15]
	v_mov_b32_e32 v46, 0
	v_mov_b32_e32 v47, 0
	s_waitcnt lgkmcnt(2)
	v_mfma_f32_16x16x16_bf16 a[0:3], v[34:35], v[36:37], a[0:3]
	v_mov_b32_e32 v36, 0
	v_mov_b32_e32 v37, 0
	v_mfma_f32_16x16x16_bf16 a[4:7], v[34:35], v[40:41], a[4:7]
	v_mov_b32_e32 v40, 0
	v_mov_b32_e32 v41, 0
	;; [unrolled: 3-line block ×3, first 2 shown]
	v_mfma_f32_16x16x16_bf16 a[12:15], v[34:35], v[48:49], a[12:15]
	ds_read_b64 v[34:35], v110 offset:6144
	v_mov_b32_e32 v48, 0
	v_mov_b32_e32 v49, 0
	s_waitcnt lgkmcnt(2)
	v_mfma_f32_16x16x16_bf16 a[0:3], v[38:39], v[52:53], a[0:3]
	v_mfma_f32_16x16x16_bf16 a[4:7], v[38:39], v[50:51], a[4:7]
	s_waitcnt lgkmcnt(0)
	v_mfma_f32_16x16x16_bf16 a[8:11], v[38:39], v[34:35], a[8:11]
	v_mov_b32_e32 v34, 0
	v_mov_b32_e32 v35, 0
	v_mfma_f32_16x16x16_bf16 a[12:15], v[38:39], v[42:43], a[12:15]
	v_mov_b32_e32 v38, 0
	v_mov_b32_e32 v39, 0
	;; [unrolled: 1-line block ×4, first 2 shown]
	s_cbranch_vccnz .LBB251_12
; %bb.11:                               ;   in Loop: Header=BB251_6 Depth=1
	s_and_b32 s21, s21, 0xffff
	buffer_load_dwordx4 v[46:49], v86, s[20:23], 0 offen
	buffer_load_dwordx4 v[42:45], v86, s[20:23], s60 offen
	;; [unrolled: 1-line block ×4, first 2 shown]
	v_mov_b32_e32 v135, v88
	v_mov_b32_e32 v134, v89
.LBB251_12:                             ;   in Loop: Header=BB251_6 Depth=1
	ds_read_b64 v[142:143], v106 offset:57344
	ds_read2_b64 v[50:53], v114 offset1:16
	ds_read_b64 v[144:145], v108 offset:57344
	ds_read_b64 v[146:147], v112 offset:57344
	;; [unrolled: 1-line block ×3, first 2 shown]
	v_add_u32_e32 v137, s61, v82
	s_waitcnt lgkmcnt(3)
	v_mfma_f32_16x16x16_bf16 a[0:3], v[142:143], v[50:51], a[0:3]
	v_mfma_f32_16x16x16_bf16 a[4:7], v[142:143], v[52:53], a[4:7]
	ds_read2_b64 v[50:53], v114 offset0:32 offset1:48
	ds_read2st64_b64 v[54:57], v114 offset0:4 offset1:8
	ds_read2st64_b64 v[58:61], v115 offset0:4 offset1:8
	;; [unrolled: 1-line block ×4, first 2 shown]
	s_waitcnt lgkmcnt(4)
	v_mfma_f32_16x16x16_bf16 a[8:11], v[142:143], v[50:51], a[8:11]
	v_ashrrev_i32_e32 v50, 31, v137
	v_mfma_f32_16x16x16_bf16 a[12:15], v[142:143], v[52:53], a[12:15]
	v_mul_lo_u32 v52, v50, s30
	v_mul_lo_u32 v53, v137, s31
	v_mad_u64_u32 v[50:51], s[20:21], v137, s30, 0
	v_add3_u32 v51, v51, v53, v52
	v_add_u32_e32 v52, 1, v137
	v_ashrrev_i32_e32 v53, 31, v52
	s_waitcnt lgkmcnt(3)
	v_mfma_f32_16x16x16_bf16 a[0:3], v[144:145], v[54:55], a[0:3]
	v_mul_lo_u32 v54, v53, s30
	v_mul_lo_u32 v55, v52, s31
	v_mad_u64_u32 v[52:53], s[20:21], v52, s30, 0
	v_add3_u32 v53, v53, v55, v54
	v_add_u32_e32 v54, 2, v137
	v_ashrrev_i32_e32 v55, 31, v54
	s_waitcnt lgkmcnt(2)
	v_mfma_f32_16x16x16_bf16 a[4:7], v[144:145], v[58:59], a[4:7]
	v_mul_lo_u32 v58, v55, s30
	v_mul_lo_u32 v59, v54, s31
	v_mad_u64_u32 v[54:55], s[20:21], v54, s30, 0
	v_add3_u32 v55, v55, v59, v58
	v_add_u32_e32 v58, 3, v137
	v_lshl_add_u64 v[50:51], v[50:51], 2, s[40:41]
	v_lshl_add_u64 v[52:53], v[52:53], 2, s[40:41]
	v_ashrrev_i32_e32 v59, 31, v58
	s_waitcnt lgkmcnt(1)
	v_mfma_f32_16x16x16_bf16 a[8:11], v[144:145], v[62:63], a[8:11]
	v_mul_lo_u32 v59, v59, s30
	global_load_dword v62, v[50:51], off
	global_load_dword v137, v[52:53], off
	v_mul_lo_u32 v63, v58, s31
	v_mad_u64_u32 v[50:51], s[20:21], v58, s30, 0
	v_add3_u32 v51, v51, v63, v59
	s_add_u32 s20, s16, s61
	v_lshl_add_u64 v[54:55], v[54:55], 2, s[40:41]
	v_lshl_add_u64 v[50:51], v[50:51], 2, s[40:41]
	s_addc_u32 s21, s17, 0
	s_waitcnt lgkmcnt(0)
	v_mfma_f32_16x16x16_bf16 a[12:15], v[144:145], v[138:139], a[12:15]
	global_load_dword v63, v[54:55], off
	global_load_dword v138, v[50:51], off
	s_lshl_b64 s[20:21], s[20:21], 8
	v_lshl_add_u64 v[50:51], v[70:71], 0, s[20:21]
	v_lshl_add_u64 v[50:51], v[50:51], 0, v[68:69]
	global_load_ushort v139, v[50:51], off offset:256
	global_load_ushort v142, v[50:51], off
	global_load_ushort v143, v[50:51], off offset:768
	global_load_ushort v144, v[50:51], off offset:512
	;; [unrolled: 1-line block ×6, first 2 shown]
	s_load_dword s42, s[42:43], 0x0
	v_mfma_f32_16x16x16_bf16 a[12:15], v[146:147], v[140:141], a[12:15]
	global_load_ushort v140, v[50:51], off offset:320
	global_load_ushort v141, v[50:51], off offset:64
	s_and_b64 vcc, exec, s[0:1]
	v_mfma_f32_16x16x16_bf16 a[0:3], v[146:147], v[56:57], a[0:3]
	ds_read_b64 v[52:53], v114 offset:6144
	ds_read_b64 v[54:55], v115 offset:6144
	;; [unrolled: 1-line block ×4, first 2 shown]
	v_mfma_f32_16x16x16_bf16 a[4:7], v[146:147], v[60:61], a[4:7]
	s_waitcnt vmcnt(11) lgkmcnt(0)
	v_sub_f32_e32 v60, s42, v63
	v_mfma_f32_16x16x16_bf16 a[8:11], v[146:147], v[64:65], a[8:11]
	global_load_ushort v146, v[50:51], off offset:832
	global_load_ushort v147, v[50:51], off offset:576
	;; [unrolled: 1-line block ×6, first 2 shown]
	v_mfma_f32_16x16x16_bf16 a[0:3], v[148:149], v[52:53], a[0:3]
	s_waitcnt vmcnt(16)
	v_sub_f32_e32 v61, s42, v138
	v_mul_f32_e32 v60, 0x3fb8aa3b, v60
	v_mul_f32_e32 v61, 0x3fb8aa3b, v61
	v_exp_f32_e32 v60, v60
	v_exp_f32_e32 v61, v61
	s_waitcnt vmcnt(15)
	v_lshlrev_b32_e32 v65, 16, v139
	s_waitcnt vmcnt(14)
	v_lshlrev_b32_e32 v64, 16, v142
	v_accvgpr_read_b32 v53, a3
	v_accvgpr_read_b32 v52, a2
	v_mfma_f32_16x16x16_bf16 a[2:5], v[148:149], v[54:55], a[4:7]
	v_accvgpr_read_b32 v139, a1
	v_accvgpr_read_b32 v138, a0
	v_pk_add_f32 v[64:65], v[64:65], v[138:139] neg_lo:[0,1] neg_hi:[0,1]
	v_mfma_f32_16x16x16_bf16 a[6:9], v[148:149], v[56:57], a[8:11]
	s_waitcnt vmcnt(13)
	v_lshlrev_b32_e32 v139, 16, v143
	s_waitcnt vmcnt(12)
	v_lshlrev_b32_e32 v138, 16, v144
	v_pk_add_f32 v[52:53], v[138:139], v[52:53] neg_lo:[0,1] neg_hi:[0,1]
	v_accvgpr_read_b32 v139, a3
	v_accvgpr_read_b32 v138, a2
	;; [unrolled: 1-line block ×6, first 2 shown]
	v_mfma_f32_16x16x16_bf16 a[8:11], v[148:149], v[58:59], a[12:15]
	v_sub_f32_e32 v58, s42, v62
	v_sub_f32_e32 v59, s42, v137
	v_mul_f32_e32 v58, 0x3fb8aa3b, v58
	v_mul_f32_e32 v59, 0x3fb8aa3b, v59
	v_exp_f32_e32 v58, v58
	v_exp_f32_e32 v59, v59
	v_lshl_add_u64 v[62:63], v[72:73], 0, s[20:21]
	v_lshl_add_u64 v[62:63], v[62:63], 0, v[68:69]
	global_store_short_d16_hi v[62:63], v64, off
	global_store_short_d16_hi v[62:63], v65, off offset:256
	global_store_short_d16_hi v[62:63], v52, off offset:512
	;; [unrolled: 1-line block ×3, first 2 shown]
	v_pk_mul_f32 v[64:65], v[58:59], v[64:65]
	v_pk_mul_f32 v[52:53], v[60:61], v[52:53]
	v_accvgpr_read_b32 v57, a11
	v_perm_b32 v53, v53, v52, s3
	v_perm_b32 v52, v65, v64, s3
	s_waitcnt vmcnt(15)
	v_lshlrev_b32_e32 v65, 16, v145
	s_waitcnt vmcnt(14)
	v_lshlrev_b32_e32 v64, 16, v150
	v_pk_add_f32 v[64:65], v[64:65], v[138:139] neg_lo:[0,1] neg_hi:[0,1]
	s_waitcnt vmcnt(13)
	v_lshlrev_b32_e32 v139, 16, v151
	s_waitcnt vmcnt(12)
	v_lshlrev_b32_e32 v138, 16, v152
	v_pk_add_f32 v[54:55], v[138:139], v[54:55] neg_lo:[0,1] neg_hi:[0,1]
	global_store_short_d16_hi v[62:63], v64, off offset:32
	global_store_short_d16_hi v[62:63], v65, off offset:288
	;; [unrolled: 1-line block ×4, first 2 shown]
	v_pk_mul_f32 v[64:65], v[58:59], v[64:65]
	v_pk_mul_f32 v[54:55], v[60:61], v[54:55]
	v_accvgpr_read_b32 v56, a10
	v_perm_b32 v55, v55, v54, s3
	v_perm_b32 v54, v65, v64, s3
	ds_write2_b64 v91, v[52:53], v[54:55] offset1:16
	v_accvgpr_read_b32 v55, a7
	s_waitcnt vmcnt(15)
	v_lshlrev_b32_e32 v53, 16, v140
	s_waitcnt vmcnt(14)
	v_lshlrev_b32_e32 v52, 16, v141
	v_accvgpr_read_b32 v54, a6
	v_pk_add_f32 v[52:53], v[52:53], v[54:55] neg_lo:[0,1] neg_hi:[0,1]
	global_store_short_d16_hi v[62:63], v52, off offset:64
	global_store_short_d16_hi v[62:63], v53, off offset:320
	v_pk_mul_f32 v[52:53], v[58:59], v[52:53]
	v_mov_b32_e32 v137, 0
	v_perm_b32 v52, v53, v52, s3
	v_mov_b32_e32 v64, 0
	v_mov_b32_e32 v65, 0
	s_waitcnt vmcnt(15)
	v_lshlrev_b32_e32 v55, 16, v146
	s_waitcnt vmcnt(14)
	v_lshlrev_b32_e32 v54, 16, v147
	v_pk_add_f32 v[50:51], v[54:55], v[50:51] neg_lo:[0,1] neg_hi:[0,1]
	global_store_short_d16_hi v[62:63], v50, off offset:576
	global_store_short_d16_hi v[62:63], v51, off offset:832
	v_pk_mul_f32 v[50:51], v[60:61], v[50:51]
	v_accvgpr_read_b32 v55, a9
	v_perm_b32 v53, v51, v50, s3
	s_waitcnt vmcnt(15)
	v_lshlrev_b32_e32 v51, 16, v153
	s_waitcnt vmcnt(14)
	v_lshlrev_b32_e32 v50, 16, v154
	v_accvgpr_read_b32 v54, a8
	v_pk_add_f32 v[50:51], v[50:51], v[54:55] neg_lo:[0,1] neg_hi:[0,1]
	s_waitcnt vmcnt(13)
	v_lshlrev_b32_e32 v55, 16, v155
	s_waitcnt vmcnt(12)
	v_lshlrev_b32_e32 v54, 16, v156
	v_pk_add_f32 v[54:55], v[54:55], v[56:57] neg_lo:[0,1] neg_hi:[0,1]
	global_store_short_d16_hi v[62:63], v50, off offset:96
	global_store_short_d16_hi v[62:63], v51, off offset:352
	;; [unrolled: 1-line block ×4, first 2 shown]
	v_pk_mul_f32 v[50:51], v[58:59], v[50:51]
	v_pk_mul_f32 v[54:55], v[60:61], v[54:55]
	v_mov_b32_e32 v56, 0
	v_perm_b32 v55, v55, v54, s3
	v_perm_b32 v54, v51, v50, s3
	ds_write2_b64 v91, v[52:53], v[54:55] offset0:32 offset1:48
	v_mov_b32_e32 v50, 0
	v_mov_b32_e32 v51, 0
	;; [unrolled: 1-line block ×13, first 2 shown]
	s_cbranch_vccnz .LBB251_14
; %bb.13:                               ;   in Loop: Header=BB251_6 Depth=1
	s_and_b32 s25, s25, 0xffff
	s_mov_b32 s27, s23
	buffer_load_dwordx4 v[62:65], v128, s[24:27], 0 offen
	buffer_load_dwordx4 v[54:57], v128, s[24:27], s60 offen
	;; [unrolled: 1-line block ×4, first 2 shown]
	v_mov_b32_e32 v136, v85
	v_mov_b32_e32 v137, v84
.LBB251_14:                             ;   in Loop: Header=BB251_6 Depth=1
	s_waitcnt lgkmcnt(0)
	s_barrier
	ds_read_b64 v[146:147], v67
	ds_read2_b64 v[138:141], v121 offset1:16
	ds_read_b64 v[162:163], v130
	ds_read_b64 v[164:165], v131
	;; [unrolled: 1-line block ×3, first 2 shown]
	ds_read2_b64 v[142:145], v121 offset0:32 offset1:48
	s_waitcnt lgkmcnt(4)
	v_mfma_f32_16x16x16_bf16 a[0:3], v[146:147], v[138:139], 0
	ds_read2st64_b64 v[150:153], v123 offset0:4 offset1:8
	ds_read2st64_b64 v[154:157], v124 offset0:4 offset1:8
	;; [unrolled: 1-line block ×3, first 2 shown]
	v_mfma_f32_16x16x16_bf16 a[4:7], v[146:147], v[140:141], 0
	s_add_i32 s20, s55, s67
	s_mul_hi_i32 s21, s20, s13
	s_mul_i32 s20, s20, s13
	s_waitcnt lgkmcnt(3)
	v_mfma_f32_16x16x16_bf16 a[8:11], v[146:147], v[142:143], 0
	s_add_u32 s20, s20, s48
	s_addc_u32 s21, s21, s49
	s_lshl_b64 s[20:21], s[20:21], 15
	v_mfma_f32_16x16x16_bf16 a[12:15], v[146:147], v[144:145], 0
	ds_read2st64_b64 v[146:149], v121 offset0:4 offset1:8
	s_waitcnt lgkmcnt(0)
	v_mfma_f32_16x16x16_bf16 a[0:3], v[162:163], v[146:147], a[0:3]
	v_mfma_f32_16x16x16_bf16 a[4:7], v[162:163], v[150:151], a[4:7]
	;; [unrolled: 1-line block ×8, first 2 shown]
	ds_read_b64 v[162:163], v121 offset:6144
	ds_read_b64 v[164:165], v122 offset:40960
	;; [unrolled: 1-line block ×8, first 2 shown]
	s_waitcnt lgkmcnt(5)
	v_mfma_f32_16x16x16_bf16 a[16:19], v[168:169], v[138:139], 0
	v_mfma_f32_16x16x16_bf16 a[20:23], v[168:169], v[140:141], 0
	ds_read2st64_b64 v[138:141], v118 offset1:8
	v_mfma_f32_16x16x16_bf16 a[24:27], v[168:169], v[142:143], 0
	v_mfma_f32_16x16x16_bf16 a[28:31], v[168:169], v[144:145], 0
	ds_read2st64_b64 v[142:145], v119 offset1:8
	v_mfma_f32_16x16x16_bf16 a[16:19], v[164:165], v[146:147], a[16:19]
	s_waitcnt lgkmcnt(1)
	v_mov_b32_e32 v146, v138
	v_mov_b32_e32 v147, v139
	v_mfma_f32_16x16x16_bf16 a[20:23], v[164:165], v[150:151], a[20:23]
	v_lshl_add_u64 v[150:151], v[74:75], 0, s[20:21]
	v_mfma_f32_16x16x16_bf16 a[24:27], v[164:165], v[154:155], a[24:27]
	v_mfma_f32_16x16x16_bf16 a[28:31], v[164:165], v[158:159], a[28:31]
	;; [unrolled: 1-line block ×3, first 2 shown]
	s_waitcnt lgkmcnt(0)
	v_mov_b32_e32 v148, v142
	v_mov_b32_e32 v149, v143
	;; [unrolled: 1-line block ×3, first 2 shown]
	v_mfma_f32_16x16x16_bf16 a[32:35], v[176:177], v[152:153], a[20:23]
	v_mov_b32_e32 v143, v141
	ds_read2st64_b64 v[138:141], v118 offset0:16 offset1:24
	global_store_dwordx4 v[150:151], v[146:149], off
	v_mfma_f32_16x16x16_bf16 a[24:27], v[176:177], v[156:157], a[24:27]
	ds_read2st64_b64 v[146:149], v119 offset0:16 offset1:24
	v_add_co_u32_e32 v152, vcc, s35, v150
	v_mfma_f32_16x16x16_bf16 a[28:31], v[176:177], v[160:161], a[28:31]
	s_nop 0
	v_addc_co_u32_e32 v153, vcc, 0, v151, vcc
	global_store_dwordx4 v[152:153], v[142:145], off offset:-4096
	v_mfma_f32_16x16x16_bf16 a[0:3], v[166:167], v[162:163], a[0:3]
	s_waitcnt lgkmcnt(1)
	v_mov_b32_e32 v142, v138
	v_add_co_u32_e32 v138, vcc, s37, v150
	v_mfma_f32_16x16x16_bf16 a[4:7], v[166:167], v[170:171], a[4:7]
	v_mov_b32_e32 v143, v139
	v_addc_co_u32_e32 v139, vcc, 0, v151, vcc
	v_mfma_f32_16x16x16_bf16 a[8:11], v[166:167], v[172:173], a[8:11]
	s_waitcnt lgkmcnt(0)
	v_mov_b32_e32 v144, v146
	v_mov_b32_e32 v145, v147
	;; [unrolled: 1-line block ×3, first 2 shown]
	v_mfma_f32_16x16x16_bf16 a[12:15], v[166:167], v[174:175], a[12:15]
	v_mov_b32_e32 v147, v141
	s_and_b64 vcc, exec, s[0:1]
	global_store_dwordx4 v[152:153], v[142:145], off
	v_mfma_f32_16x16x16_bf16 a[20:23], v[178:179], v[162:163], a[16:19]
	global_store_dwordx4 v[138:139], v[146:149], off
	v_mfma_f32_16x16x16_bf16 a[16:19], v[178:179], v[170:171], a[32:35]
	v_mfma_f32_16x16x16_bf16 a[24:27], v[178:179], v[172:173], a[24:27]
	;; [unrolled: 1-line block ×3, first 2 shown]
	s_cbranch_vccnz .LBB251_16
; %bb.15:                               ;   in Loop: Header=BB251_6 Depth=1
	v_lshrrev_b32_e32 v138, 3, v136
	v_and_b32_e32 v138, 6, v138
	v_xor_b32_e32 v137, v138, v137
	v_lshlrev_b32_e32 v137, 2, v137
	v_and_b32_e32 v136, 8, v136
	v_xor_b32_e32 v139, 0x440, v137
	v_cmp_eq_u32_e32 vcc, 0, v136
	s_barrier
	s_nop 0
	v_cndmask_b32_e32 v136, v139, v137, vcc
	v_lshl_or_b32 v136, v138, 10, v136
	s_waitcnt vmcnt(5)
	v_perm_b32 v137, v62, v58, s62
	s_waitcnt vmcnt(4)
	v_perm_b32 v138, v54, v50, s62
	ds_write2st64_b32 v136, v137, v138 offset0:128 offset1:160
	v_xor_b32_e32 v137, 8, v136
	v_perm_b32 v58, v62, v58, s63
	v_perm_b32 v50, v54, v50, s63
	v_add_u32_e32 v54, 0x80, v137
	ds_write2st64_b32 v54, v58, v50 offset0:128 offset1:160
	v_xor_b32_e32 v50, 16, v136
	v_perm_b32 v54, v63, v59, s62
	v_perm_b32 v58, v55, v51, s62
	ds_write2st64_b32 v50, v54, v58 offset0:129 offset1:161
	v_xor_b32_e32 v50, 24, v136
	v_perm_b32 v54, v63, v59, s63
	v_perm_b32 v51, v55, v51, s63
	v_add_u32_e32 v50, 0x80, v50
	ds_write2st64_b32 v50, v54, v51 offset0:129 offset1:161
	v_xor_b32_e32 v50, 32, v136
	v_perm_b32 v51, v64, v60, s62
	;; [unrolled: 9-line block ×3, first 2 shown]
	v_perm_b32 v52, v57, v53, s62
	ds_write2st64_b32 v50, v51, v52 offset0:131 offset1:163
	v_xor_b32_e32 v50, 56, v136
	v_perm_b32 v51, v65, v61, s63
	v_perm_b32 v52, v57, v53, s63
	v_add_u32_e32 v50, 0x80, v50
	ds_write2st64_b32 v50, v51, v52 offset0:131 offset1:163
	ds_write_b64 v135, v[46:47] offset:49152
	v_xor_b32_e32 v46, 8, v135
	ds_write_b64 v46, v[48:49] offset:49152
	ds_write_b64 v135, v[42:43] offset:57344
	ds_write_b64 v46, v[44:45] offset:57344
	ds_write_b64 v134, v[38:39] offset:49152
	v_xor_b32_e32 v38, 8, v134
	ds_write_b64 v38, v[40:41] offset:49152
	ds_write_b64 v134, v[34:35] offset:57344
	;; [unrolled: 1-line block ×3, first 2 shown]
.LBB251_16:                             ;   in Loop: Header=BB251_6 Depth=1
	s_waitcnt vmcnt(6)
	v_mul_f32_e32 v54, s42, v133
	v_exp_f32_e32 v134, v54
	v_accvgpr_read_b32 v37, a3
	v_accvgpr_read_b32 v41, a7
	v_accvgpr_read_b32 v45, a11
	v_accvgpr_read_b32 v49, a15
	s_waitcnt vmcnt(4)
	v_accvgpr_read_b32 v53, a23
	v_accvgpr_read_b32 v57, a19
	;; [unrolled: 1-line block ×28, first 2 shown]
	s_add_i32 s61, s61, 64
	v_pk_fma_f32 v[22:23], v[22:23], v[134:135], v[34:35] op_sel_hi:[1,0,1]
	v_pk_fma_f32 v[24:25], v[24:25], v[134:135], v[36:37] op_sel_hi:[1,0,1]
	;; [unrolled: 1-line block ×15, first 2 shown]
	s_cmp_eq_u32 s52, s66
	v_pk_fma_f32 v[12:13], v[12:13], v[134:135], v[64:65] op_sel_hi:[1,0,1]
	s_cbranch_scc1 .LBB251_18
; %bb.17:                               ;   in Loop: Header=BB251_6 Depth=1
	s_mov_b32 s67, s66
	s_branch .LBB251_6
.LBB251_18:
	s_lshl_b32 s26, s52, 6
	s_sub_i32 s27, s12, s26
	s_cmp_gt_i32 s27, 0
	s_cbranch_scc0 .LBB251_99
; %bb.19:
	s_ashr_i32 s3, s26, 31
	s_cmpk_lg_i32 s15, 0x80
	s_cselect_b64 s[22:23], -1, 0
	s_and_b64 vcc, exec, s[22:23]
	s_cbranch_vccz .LBB251_21
; %bb.20:
	s_mul_i32 s1, s51, s12
	s_mul_hi_i32 s0, s51, s12
	s_add_u32 s1, s1, s26
	s_addc_u32 s0, s0, s3
	s_mul_i32 s17, s1, s53
	s_mul_hi_u32 s20, s1, s14
	s_add_i32 s17, s20, s17
	s_mul_i32 s0, s0, s14
	s_add_i32 s17, s17, s0
	s_mul_i32 s1, s1, s14
	s_ashr_i32 s0, s54, 31
	s_add_u32 s24, s1, s54
	s_addc_u32 s25, s17, s0
	s_cbranch_execz .LBB251_22
	s_branch .LBB251_23
.LBB251_21:
                                        ; implicit-def: $sgpr24_sgpr25
.LBB251_22:
	s_mul_hi_i32 s0, s51, s14
	s_mul_i32 s51, s51, s14
	s_ashr_i32 s1, s54, 31
	s_add_u32 s14, s51, s54
	s_addc_u32 s0, s0, s1
	s_mul_i32 s1, s14, s50
	s_mul_hi_u32 s17, s14, s12
	s_add_i32 s1, s17, s1
	s_mul_i32 s0, s0, s12
	s_add_i32 s1, s1, s0
	s_mul_i32 s14, s14, s12
	s_add_u32 s24, s14, s26
	s_addc_u32 s25, s1, s3
.LBB251_23:
	s_mul_i32 s0, s38, s50
	s_add_i32 s0, s57, s0
	s_add_i32 s14, s55, s52
	;; [unrolled: 1-line block ×3, first 2 shown]
	s_add_u32 s0, s16, s26
	s_addc_u32 s1, s1, s3
	v_lshlrev_b32_e32 v35, 6, v82
	v_lshlrev_b32_e32 v34, 2, v79
	s_mov_b32 s3, 0x7060302
	s_waitcnt vmcnt(7)
	v_perm_b32 v25, v25, v24, s3
	v_perm_b32 v24, v23, v22, s3
	s_waitcnt vmcnt(6)
	v_perm_b32 v22, v31, v30, s3
	v_or_b32_e32 v30, v35, v34
	v_xor_b32_e32 v36, v82, v34
	v_perm_b32 v23, v33, v32, s3
	v_lshlrev_b32_e32 v30, 1, v30
	ds_write2st64_b64 v30, v[24:25], v[22:23] offset0:32 offset1:48
	v_lshlrev_b32_e32 v30, 1, v36
	v_lshlrev_b32_e32 v31, 8, v79
	v_xor_b32_e32 v37, v83, v34
	v_or_b32_e32 v32, v30, v31
	ds_write_b64 v32, v[24:25]
	v_lshlrev_b32_e32 v24, 1, v37
	v_or_b32_e32 v25, v24, v31
	ds_write_b64 v25, v[22:23]
	v_or_b32_e32 v22, 16, v79
	v_lshlrev_b32_e32 v23, 2, v22
	v_or_b32_e32 v25, v35, v23
	s_waitcnt vmcnt(5)
	v_perm_b32 v17, v17, v16, s3
	v_perm_b32 v16, v15, v14, s3
	s_waitcnt vmcnt(4)
	v_perm_b32 v15, v29, v28, s3
	v_perm_b32 v14, v27, v26, s3
	v_lshlrev_b32_e32 v25, 1, v25
	v_lshlrev_b32_e32 v22, 8, v22
	ds_write2st64_b64 v25, v[16:17], v[14:15] offset0:32 offset1:48
	v_or_b32_e32 v25, v30, v22
	ds_write_b64 v25, v[16:17]
	v_or_b32_e32 v16, v24, v22
	ds_write_b64 v16, v[14:15]
	v_or_b32_e32 v14, 32, v79
	v_lshlrev_b32_e32 v22, 2, v14
	v_or_b32_e32 v15, v35, v22
	s_waitcnt vmcnt(3)
	v_perm_b32 v9, v9, v8, s3
	v_perm_b32 v8, v7, v6, s3
	s_waitcnt vmcnt(2)
	v_perm_b32 v7, v21, v20, s3
	v_perm_b32 v6, v19, v18, s3
	v_lshlrev_b32_e32 v15, 1, v15
	v_lshlrev_b32_e32 v14, 8, v14
	s_lshl_b64 s[20:21], s[0:1], 8
	ds_write2st64_b64 v15, v[8:9], v[6:7] offset0:32 offset1:48
	v_or_b32_e32 v15, v30, v14
	s_waitcnt lgkmcnt(0)
	s_add_u32 s0, s6, s20
	ds_write_b64 v15, v[8:9]
	v_or_b32_e32 v8, v24, v14
	s_addc_u32 s1, s7, s21
	ds_write_b64 v8, v[6:7]
	s_waitcnt vmcnt(1)
	v_perm_b32 v5, v5, v4, s3
	v_perm_b32 v4, v3, v2, s3
	s_waitcnt vmcnt(0)
	v_perm_b32 v3, v13, v12, s3
	v_perm_b32 v2, v11, v10, s3
	v_or_b32_e32 v6, 48, v79
	s_mul_hi_i32 s3, s14, s13
	s_mul_i32 s14, s14, s13
	v_lshlrev_b32_e32 v19, 2, v6
	s_add_u32 s6, s14, s48
	v_or_b32_e32 v7, v35, v19
	s_addc_u32 s7, s3, s49
	v_lshlrev_b32_e32 v7, 1, v7
	v_lshlrev_b32_e32 v6, 8, v6
	s_ashr_i32 s3, s2, 31
	s_lshl_b64 s[6:7], s[6:7], 15
	ds_write2st64_b64 v7, v[4:5], v[2:3] offset0:32 offset1:48
	v_or_b32_e32 v7, v30, v6
	s_add_u32 s6, s18, s6
	ds_write_b64 v7, v[4:5]
	v_or_b32_e32 v4, v24, v6
	s_addc_u32 s7, s19, s7
	s_lshl_b64 s[2:3], s[2:3], 8
	ds_write_b64 v4, v[2:3]
	s_add_u32 s2, s6, s2
	v_lshlrev_b32_e32 v3, 1, v79
	v_lshrrev_b32_e32 v2, 4, v0
	s_addc_u32 s3, s7, s3
	v_or_b32_e32 v4, 1, v3
	v_lshlrev_b32_e32 v10, 4, v79
	v_mov_b32_e32 v11, 0
	v_xor_b32_e32 v3, v2, v3
	v_xor_b32_e32 v6, v4, v2
	v_lshl_add_u64 v[12:13], s[2:3], 0, v[10:11]
	v_lshlrev_b32_e32 v10, 8, v2
	v_lshl_or_b32 v16, v3, 3, v10
	v_lshl_or_b32 v17, v6, 3, v10
	s_waitcnt lgkmcnt(0)
	s_barrier
	ds_read2st64_b64 v[2:5], v16 offset1:8
	ds_read2st64_b64 v[6:9], v17 offset1:8
	v_lshl_add_u64 v[14:15], v[12:13], 0, v[10:11]
	s_movk_i32 s2, 0x2000
	s_cmp_lg_u32 s27, 64
	s_waitcnt lgkmcnt(1)
	v_mov_b32_e32 v10, v2
	v_mov_b32_e32 v11, v3
	s_waitcnt lgkmcnt(0)
	v_mov_b32_e32 v12, v6
	v_mov_b32_e32 v13, v7
	global_store_dwordx4 v[14:15], v[10:13], off
	v_mov_b32_e32 v6, v4
	v_mov_b32_e32 v7, v5
	ds_read2st64_b64 v[2:5], v16 offset0:16 offset1:24
	ds_read2st64_b64 v[10:13], v17 offset0:16 offset1:24
	v_add_co_u32_e32 v16, vcc, s2, v14
	s_cselect_b64 s[6:7], -1, 0
	s_nop 0
	v_addc_co_u32_e32 v17, vcc, 0, v15, vcc
	global_store_dwordx4 v[16:17], v[6:9], off offset:-4096
	v_lshl_or_b32 v24, v77, 3, v81
	s_mov_b32 s16, 0
	s_waitcnt lgkmcnt(1)
	v_mov_b32_e32 v6, v2
	v_add_co_u32_e32 v2, vcc, 0x3000, v14
	v_mov_b32_e32 v7, v3
	s_nop 0
	v_addc_co_u32_e32 v3, vcc, 0, v15, vcc
	s_waitcnt lgkmcnt(0)
	v_mov_b32_e32 v8, v10
	v_mov_b32_e32 v9, v11
	;; [unrolled: 1-line block ×4, first 2 shown]
	v_or_b32_e32 v20, 32, v24
	v_and_b32_e32 v18, 56, v80
	s_and_b64 vcc, exec, s[6:7]
	global_store_dwordx4 v[16:17], v[6:9], off
	global_store_dwordx4 v[2:3], v[10:13], off
	s_cbranch_vccz .LBB251_29
; %bb.24:
	s_mov_b32 s17, s16
	s_mov_b32 s18, s16
	;; [unrolled: 1-line block ×3, first 2 shown]
	v_mov_b64_e32 v[6:7], s[16:17]
	v_mov_b64_e32 v[8:9], s[18:19]
	;; [unrolled: 1-line block ×3, first 2 shown]
	v_cmp_gt_i32_e32 vcc, s27, v24
	v_mov_b64_e32 v[4:5], v[8:9]
	s_and_saveexec_b64 s[2:3], vcc
	s_cbranch_execz .LBB251_26
; %bb.25:
	v_lshlrev_b32_e32 v2, 8, v24
	v_mov_b32_e32 v3, 0
	v_lshl_add_u64 v[4:5], s[0:1], 0, v[2:3]
	v_lshlrev_b32_e32 v2, 1, v18
	v_lshl_add_u64 v[10:11], v[4:5], 0, v[2:3]
	global_load_dwordx4 v[6:9], v[10:11], off
	global_load_dwordx4 v[2:5], v[10:11], off offset:128
.LBB251_26:
	s_or_b64 exec, exec, s[2:3]
	s_mov_b32 s17, s16
	s_mov_b32 s18, s16
	;; [unrolled: 1-line block ×3, first 2 shown]
	v_mov_b64_e32 v[14:15], s[16:17]
	v_mov_b64_e32 v[16:17], s[18:19]
	;; [unrolled: 1-line block ×3, first 2 shown]
	v_cmp_gt_i32_e32 vcc, s27, v20
	v_lshlrev_b32_e32 v21, 7, v20
	v_mov_b64_e32 v[12:13], v[16:17]
	s_and_saveexec_b64 s[2:3], vcc
	s_cbranch_execz .LBB251_28
; %bb.27:
	v_lshlrev_b32_e32 v10, 1, v21
	v_mov_b32_e32 v11, 0
	v_lshl_add_u64 v[12:13], s[0:1], 0, v[10:11]
	v_lshlrev_b32_e32 v10, 1, v18
	v_lshl_add_u64 v[26:27], v[12:13], 0, v[10:11]
	global_load_dwordx4 v[14:17], v[26:27], off
	global_load_dwordx4 v[10:13], v[26:27], off offset:128
.LBB251_28:
	s_or_b64 exec, exec, s[2:3]
	v_lshrrev_b32_e32 v25, 3, v18
	v_lshlrev_b32_e32 v26, 3, v24
	v_or_b32_e32 v25, v26, v25
	v_lshlrev_b32_e32 v25, 4, v25
	v_and_b32_e32 v26, 0x78, v26
	v_xor_b32_e32 v25, v25, v26
	s_branch .LBB251_31
.LBB251_29:
                                        ; implicit-def: $vgpr25
                                        ; implicit-def: $vgpr21
                                        ; implicit-def: $vgpr6_vgpr7_vgpr8_vgpr9
                                        ; implicit-def: $vgpr2_vgpr3_vgpr4_vgpr5
                                        ; implicit-def: $vgpr14_vgpr15_vgpr16_vgpr17
                                        ; implicit-def: $vgpr10_vgpr11_vgpr12_vgpr13
	s_cbranch_execz .LBB251_31
; %bb.30:
	s_waitcnt vmcnt(0)
	v_lshlrev_b32_e32 v2, 1, v18
	v_lshl_or_b32 v21, v24, 8, v2
	s_and_b32 s1, s1, 0xffff
	s_mov_b32 s3, 0x20000
	s_movk_i32 s2, 0x4000
	v_lshl_or_b32 v25, v20, 8, v2
	s_movk_i32 s13, 0x80
	buffer_load_dwordx4 v[6:9], v21, s[0:3], 0 offen
	buffer_load_dwordx4 v[2:5], v21, s[0:3], s13 offen
	;; [unrolled: 1-line block ×4, first 2 shown]
	v_lshrrev_b32_e32 v21, 3, v18
	v_lshlrev_b32_e32 v25, 3, v24
	v_or_b32_e32 v21, v25, v21
	v_lshlrev_b32_e32 v21, 4, v21
	v_and_b32_e32 v25, 0x78, v25
	v_xor_b32_e32 v25, v21, v25
	v_lshlrev_b32_e32 v21, 7, v20
.LBB251_31:
	s_movk_i32 s0, 0x1000
	v_and_or_b32 v20, v21, s0, v25
	s_waitcnt vmcnt(1)
	ds_write_b64 v25, v[6:7] offset:49152
	v_xor_b32_e32 v6, 8, v25
	ds_write_b64 v6, v[8:9] offset:49152
	s_waitcnt vmcnt(0)
	ds_write_b64 v25, v[2:3] offset:57344
	ds_write_b64 v6, v[4:5] offset:57344
	;; [unrolled: 1-line block ×3, first 2 shown]
	v_xor_b32_e32 v2, 8, v20
	ds_write_b64 v2, v[16:17] offset:49152
	ds_write_b64 v20, v[10:11] offset:57344
	;; [unrolled: 1-line block ×3, first 2 shown]
	v_or_b32_e32 v2, v1, v79
	v_lshlrev_b32_e32 v3, 11, v77
	v_lshlrev_b32_e32 v2, 3, v2
	v_and_b32_e32 v6, 0x1000, v3
	v_lshrrev_b32_e32 v3, 5, v76
	s_movk_i32 s0, 0xf8
	v_and_or_b32 v3, v2, s0, v3
	v_lshlrev_b32_e32 v7, 4, v3
	v_and_b32_e32 v8, 0x78, v2
	v_or_b32_e32 v10, 32, v7
	v_lshrrev_b32_e32 v3, 1, v76
	v_xor_b32_e32 v10, v10, v8
	v_xor_b32_e32 v2, v7, v8
	v_and_b32_e32 v9, 8, v3
	v_or_b32_e32 v10, v10, v6
	v_or_b32_e32 v2, v2, v6
	v_xor_b32_e32 v27, v10, v9
	v_or_b32_e32 v10, 64, v7
	v_xor_b32_e32 v26, v2, v9
	v_xor_b32_e32 v10, v10, v8
	s_waitcnt lgkmcnt(0)
	s_barrier
	v_or_b32_e32 v13, v10, v6
	ds_read_b64 v[10:11], v26 offset:49152
	v_lshl_or_b32 v14, v78, 8, v34
	v_lshlrev_b32_e32 v25, 1, v14
	v_add_u32_e32 v12, 0x4000, v25
	ds_read2_b64 v[2:5], v12 offset1:16
	v_or_b32_e32 v7, 0x60, v7
	v_xor_b32_e32 v7, v7, v8
	v_or_b32_e32 v6, v7, v6
	v_xor_b32_e32 v28, v13, v9
	v_xor_b32_e32 v29, v6, v9
	ds_read_b64 v[20:21], v27 offset:49152
	ds_read_b64 v[36:37], v28 offset:49152
	;; [unrolled: 1-line block ×3, first 2 shown]
	s_waitcnt lgkmcnt(3)
	v_mfma_f32_16x16x16_bf16 a[0:3], v[10:11], v[2:3], 0
	ds_read2st64_b64 v[6:9], v25 offset0:36 offset1:40
	s_lshl_b64 s[0:1], s[24:25], 8
	s_add_u32 s4, s4, s0
	v_mfma_f32_16x16x16_bf16 a[4:7], v[10:11], v[4:5], 0
	ds_read2_b64 v[2:5], v12 offset0:32 offset1:48
	s_addc_u32 s5, s5, s1
	s_add_i32 s1, s44, s33
	s_waitcnt lgkmcnt(0)
	v_mfma_f32_16x16x16_bf16 a[8:11], v[10:11], v[2:3], 0
	v_or_b32_e32 v2, 64, v14
	v_lshlrev_b32_e32 v30, 1, v2
	s_add_i32 s0, s12, -1
	v_mfma_f32_16x16x16_bf16 a[12:15], v[10:11], v[4:5], 0
	ds_read2st64_b64 v[2:5], v30 offset0:36 offset1:40
	s_add_i32 s37, s1, s39
	s_add_i32 s1, s46, s45
	v_mfma_f32_16x16x16_bf16 a[0:3], v[20:21], v[6:7], a[0:3]
	v_or_b32_e32 v6, 0x80, v14
	v_lshlrev_b32_e32 v31, 1, v6
	ds_read2st64_b64 v[10:13], v31 offset0:36 offset1:40
	s_waitcnt lgkmcnt(1)
	v_mfma_f32_16x16x16_bf16 a[4:7], v[20:21], v[2:3], a[4:7]
	v_or_b32_e32 v2, 0xc0, v14
	v_lshlrev_b32_e32 v32, 1, v2
	ds_read2st64_b64 v[14:17], v32 offset0:36 offset1:40
	s_add_i32 s35, s1, s47
	s_ashr_i32 s1, s0, 31
	s_mul_i32 s2, s0, s31
	s_mul_hi_u32 s3, s0, s30
	s_add_i32 s2, s3, s2
	s_mul_i32 s1, s1, s30
	s_waitcnt lgkmcnt(1)
	v_mfma_f32_16x16x16_bf16 a[8:11], v[20:21], v[10:11], a[8:11]
	s_add_i32 s1, s2, s1
	s_lshl_b64 s[2:3], s[36:37], 2
	s_add_u32 s10, s10, s2
	s_waitcnt lgkmcnt(0)
	v_mfma_f32_16x16x16_bf16 a[12:15], v[20:21], v[14:15], a[12:15]
	s_addc_u32 s11, s11, s3
	s_lshl_b64 s[2:3], s[34:35], 2
	s_mul_i32 s0, s0, s30
	v_mfma_f32_16x16x16_bf16 a[0:3], v[36:37], v[8:9], a[0:3]
	ds_read_b64 v[2:3], v25 offset:22528
	s_add_u32 s10, s10, s2
	s_addc_u32 s11, s11, s3
	v_mfma_f32_16x16x16_bf16 a[4:7], v[36:37], v[4:5], a[4:7]
	ds_read_b64 v[4:5], v30 offset:22528
	ds_read_b64 v[6:7], v31 offset:22528
	;; [unrolled: 1-line block ×3, first 2 shown]
	s_lshl_b64 s[0:1], s[0:1], 2
	s_add_u32 s0, s10, s0
	v_mfma_f32_16x16x16_bf16 a[8:11], v[36:37], v[12:13], a[8:11]
	s_addc_u32 s1, s11, s1
	s_load_dword s12, s[0:1], 0x0
	s_and_b64 vcc, exec, s[22:23]
	v_mfma_f32_16x16x16_bf16 a[12:15], v[36:37], v[16:17], a[12:15]
	s_waitcnt lgkmcnt(0)
	v_mfma_f32_16x16x16_bf16 a[0:3], v[38:39], v[2:3], a[0:3]
	v_mfma_f32_16x16x16_bf16 a[4:7], v[38:39], v[4:5], a[4:7]
	v_mfma_f32_16x16x16_bf16 a[8:11], v[38:39], v[6:7], a[8:11]
	v_mfma_f32_16x16x16_bf16 a[12:15], v[38:39], v[8:9], a[12:15]
	s_cbranch_vccz .LBB251_42
; %bb.32:
	v_lshlrev_b32_e32 v20, 1, v24
	s_and_b64 vcc, exec, s[6:7]
	s_cbranch_vccz .LBB251_43
; %bb.33:
	v_cmp_gt_i32_e32 vcc, s27, v20
	v_mov_b32_e32 v6, 0
	v_mov_b32_e32 v2, 0
	;; [unrolled: 1-line block ×5, first 2 shown]
	s_and_saveexec_b64 s[0:1], vcc
	s_cbranch_execz .LBB251_35
; %bb.34:
	v_mad_i64_i32 v[2:3], s[2:3], s15, v20, 0
	v_lshl_add_u64 v[2:3], v[2:3], 1, s[4:5]
	v_lshlrev_b32_e32 v4, 1, v18
	v_mov_b32_e32 v5, 0
	v_lshl_add_u64 v[2:3], v[2:3], 0, v[4:5]
	global_load_dwordx4 v[2:5], v[2:3], off
.LBB251_35:
	s_or_b64 exec, exec, s[0:1]
	v_or_b32_e32 v21, 1, v20
	v_cmp_gt_i32_e64 s[0:1], s27, v21
	v_mov_b32_e32 v7, 0
	v_mov_b32_e32 v8, 0
	;; [unrolled: 1-line block ×3, first 2 shown]
	s_and_saveexec_b64 s[2:3], s[0:1]
	s_cbranch_execz .LBB251_37
; %bb.36:
	v_mad_i64_i32 v[6:7], s[16:17], s15, v21, 0
	v_lshl_add_u64 v[6:7], v[6:7], 1, s[4:5]
	v_lshlrev_b32_e32 v8, 1, v18
	v_mov_b32_e32 v9, 0
	v_lshl_add_u64 v[6:7], v[6:7], 0, v[8:9]
	global_load_dwordx4 v[6:9], v[6:7], off
.LBB251_37:
	s_or_b64 exec, exec, s[2:3]
	v_mov_b32_e32 v17, 0
	v_mov_b32_e32 v10, 0
	;; [unrolled: 1-line block ×5, first 2 shown]
	s_and_saveexec_b64 s[2:3], vcc
	s_cbranch_execz .LBB251_39
; %bb.38:
	v_mad_i64_i32 v[10:11], s[16:17], s15, v20, 0
	v_lshl_add_u64 v[10:11], v[10:11], 1, s[4:5]
	v_lshlrev_b32_e32 v12, 1, v18
	v_mov_b32_e32 v13, 0
	v_lshl_add_u64 v[10:11], v[10:11], 0, v[12:13]
	global_load_dwordx4 v[10:13], v[10:11], off offset:128
.LBB251_39:
	s_or_b64 exec, exec, s[2:3]
	v_mov_b32_e32 v16, 0
	v_mov_b32_e32 v15, 0
	;; [unrolled: 1-line block ×3, first 2 shown]
	s_and_saveexec_b64 s[2:3], s[0:1]
	s_cbranch_execz .LBB251_41
; %bb.40:
	v_mad_i64_i32 v[14:15], s[0:1], s15, v21, 0
	v_lshl_add_u64 v[14:15], v[14:15], 1, s[4:5]
	v_lshlrev_b32_e32 v16, 1, v18
	v_mov_b32_e32 v17, 0
	v_lshl_add_u64 v[14:15], v[14:15], 0, v[16:17]
	global_load_dwordx4 v[14:17], v[14:15], off offset:128
.LBB251_41:
	s_or_b64 exec, exec, s[2:3]
	s_branch .LBB251_45
.LBB251_42:
                                        ; implicit-def: $vgpr5
                                        ; implicit-def: $vgpr9
                                        ; implicit-def: $vgpr13
                                        ; implicit-def: $vgpr17
	v_lshrrev_b32_e32 v33, 2, v76
	s_branch .LBB251_46
.LBB251_43:
                                        ; implicit-def: $vgpr5
                                        ; implicit-def: $vgpr9
                                        ; implicit-def: $vgpr13
                                        ; implicit-def: $vgpr17
	s_cbranch_execz .LBB251_45
; %bb.44:
	s_waitcnt vmcnt(0)
	v_mad_u64_u32 v[2:3], s[0:1], v20, s15, v[18:19]
	v_lshlrev_b32_e32 v20, 1, v2
	s_lshl_b32 s2, s15, 7
	s_and_b32 s1, s5, 0xffff
	s_mov_b32 s3, 0x20000
	s_mov_b32 s0, s4
	v_add_lshl_u32 v21, v2, s15, 1
	s_movk_i32 s13, 0x80
	buffer_load_dwordx4 v[2:5], v20, s[0:3], 0 offen
	buffer_load_dwordx4 v[10:13], v20, s[0:3], s13 offen
	;; [unrolled: 1-line block ×4, first 2 shown]
.LBB251_45:
	v_lshrrev_b32_e32 v33, 2, v76
	s_cbranch_execnz .LBB251_58
.LBB251_46:
	s_and_b64 vcc, exec, s[6:7]
	s_cbranch_vccz .LBB251_56
; %bb.47:
	s_waitcnt vmcnt(0)
	v_lshlrev_b32_e32 v7, 1, v24
	v_cmp_gt_i32_e32 vcc, s27, v7
	v_mov_b32_e32 v6, 0
	v_lshlrev_b32_e32 v14, 9, v24
	v_mov_b32_e32 v2, 0
	v_mov_b32_e32 v3, 0
	;; [unrolled: 1-line block ×4, first 2 shown]
	s_and_saveexec_b64 s[0:1], vcc
	s_cbranch_execz .LBB251_49
; %bb.48:
	v_mov_b32_e32 v15, 0
	v_lshl_add_u64 v[2:3], s[4:5], 0, v[14:15]
	v_lshlrev_b32_e32 v4, 1, v18
	v_mov_b32_e32 v5, v15
	v_lshl_add_u64 v[2:3], v[2:3], 0, v[4:5]
	global_load_dwordx4 v[2:5], v[2:3], off
.LBB251_49:
	s_or_b64 exec, exec, s[0:1]
	v_or_b32_e32 v7, 1, v7
	v_cmp_gt_i32_e64 s[0:1], s27, v7
	v_lshlrev_b32_e32 v20, 8, v7
	v_mov_b32_e32 v7, 0
	v_mov_b32_e32 v8, 0
	;; [unrolled: 1-line block ×3, first 2 shown]
	s_and_saveexec_b64 s[2:3], s[0:1]
	s_cbranch_execz .LBB251_51
; %bb.50:
	v_mov_b32_e32 v21, 0
	v_lshl_add_u64 v[6:7], s[4:5], 0, v[20:21]
	v_lshlrev_b32_e32 v8, 1, v18
	v_mov_b32_e32 v9, v21
	v_lshl_add_u64 v[6:7], v[6:7], 0, v[8:9]
	global_load_dwordx4 v[6:9], v[6:7], off
.LBB251_51:
	s_or_b64 exec, exec, s[2:3]
	v_mov_b32_e32 v17, 0
	v_mov_b32_e32 v10, 0
	v_mov_b32_e32 v11, 0
	v_mov_b32_e32 v12, 0
	v_mov_b32_e32 v13, 0
	s_and_saveexec_b64 s[2:3], vcc
	s_cbranch_execz .LBB251_53
; %bb.52:
	v_mov_b32_e32 v15, 0
	v_lshl_add_u64 v[10:11], s[4:5], 0, v[14:15]
	v_lshlrev_b32_e32 v14, 1, v18
	v_lshl_add_u64 v[10:11], v[10:11], 0, v[14:15]
	global_load_dwordx4 v[10:13], v[10:11], off offset:128
.LBB251_53:
	s_or_b64 exec, exec, s[2:3]
	v_mov_b32_e32 v16, 0
	v_mov_b32_e32 v15, 0
	;; [unrolled: 1-line block ×3, first 2 shown]
	s_and_saveexec_b64 s[2:3], s[0:1]
	s_cbranch_execz .LBB251_55
; %bb.54:
	v_mov_b32_e32 v21, 0
	v_lshl_add_u64 v[14:15], s[4:5], 0, v[20:21]
	v_lshlrev_b32_e32 v20, 1, v18
	v_lshl_add_u64 v[14:15], v[14:15], 0, v[20:21]
	global_load_dwordx4 v[14:17], v[14:15], off offset:128
.LBB251_55:
	s_or_b64 exec, exec, s[2:3]
	s_branch .LBB251_58
.LBB251_56:
                                        ; implicit-def: $vgpr5
                                        ; implicit-def: $vgpr9
                                        ; implicit-def: $vgpr13
                                        ; implicit-def: $vgpr17
	s_cbranch_execz .LBB251_58
; %bb.57:
	s_waitcnt vmcnt(0)
	v_lshlrev_b32_e32 v2, 1, v18
	v_lshl_or_b32 v18, v24, 9, v2
	s_and_b32 s5, s5, 0xffff
	s_mov_b32 s7, 0x20000
	s_movk_i32 s6, 0x4000
	s_movk_i32 s0, 0x80
	buffer_load_dwordx4 v[2:5], v18, s[4:7], 0 offen
	buffer_load_dwordx4 v[6:9], v18, s[4:7], 0 offen offset:256
	buffer_load_dwordx4 v[10:13], v18, s[4:7], s0 offen
	buffer_load_dwordx4 v[14:17], v18, s[4:7], s0 offen offset:256
.LBB251_58:
	ds_read_b64 v[20:21], v26 offset:57344
	v_add_u32_e32 v18, 0x6000, v25
	ds_read2_b64 v[36:39], v18 offset1:16
	ds_read_b64 v[48:49], v27 offset:57344
	ds_read_b64 v[50:51], v28 offset:57344
	;; [unrolled: 1-line block ×3, first 2 shown]
	ds_read2_b64 v[26:29], v18 offset0:32 offset1:48
	v_and_b32_e32 v18, 6, v0
	v_xor_b32_e32 v24, v24, v18
	v_lshlrev_b32_e32 v24, 2, v24
	v_and_b32_e32 v0, 1, v0
	v_cmp_eq_u32_e32 vcc, 0, v0
	s_waitcnt lgkmcnt(4)
	v_mfma_f32_16x16x16_bf16 a[0:3], v[20:21], v[36:37], a[0:3]
	s_mov_b32 s0, 0x1000504
	s_mov_b32 s1, 0x3020706
	v_mfma_f32_16x16x16_bf16 a[4:7], v[20:21], v[38:39], a[4:7]
	ds_read2st64_b64 v[36:39], v25 offset0:52 offset1:56
	s_waitcnt lgkmcnt(1)
	v_mfma_f32_16x16x16_bf16 a[8:11], v[20:21], v[26:27], a[8:11]
	v_mfma_f32_16x16x16_bf16 a[12:15], v[20:21], v[28:29], a[12:15]
	ds_read2st64_b64 v[26:29], v30 offset0:52 offset1:56
	ds_read2st64_b64 v[40:43], v31 offset0:52 offset1:56
	;; [unrolled: 1-line block ×3, first 2 shown]
	s_waitcnt lgkmcnt(3)
	v_mfma_f32_16x16x16_bf16 a[0:3], v[48:49], v[36:37], a[0:3]
	ds_read_b64 v[20:21], v25 offset:30720
	ds_read_b64 v[36:37], v30 offset:30720
	;; [unrolled: 1-line block ×4, first 2 shown]
	v_xor_b32_e32 v25, 0x440, v24
	v_cndmask_b32_e32 v0, v25, v24, vcc
	s_waitcnt lgkmcnt(6)
	v_mfma_f32_16x16x16_bf16 a[4:7], v[48:49], v[26:27], a[4:7]
	v_lshl_or_b32 v0, v18, 10, v0
	s_waitcnt vmcnt(0)
	v_perm_b32 v18, v2, v6, s0
	v_perm_b32 v24, v10, v14, s0
	s_waitcnt lgkmcnt(5)
	v_mfma_f32_16x16x16_bf16 a[8:11], v[48:49], v[40:41], a[8:11]
	ds_write2st64_b32 v0, v18, v24 offset0:128 offset1:160
	v_xor_b32_e32 v18, 8, v0
	v_perm_b32 v2, v2, v6, s1
	s_waitcnt lgkmcnt(5)
	v_mfma_f32_16x16x16_bf16 a[12:15], v[48:49], v[44:45], a[12:15]
	v_perm_b32 v6, v10, v14, s1
	v_add_u32_e32 v10, 0x80, v18
	ds_write2st64_b32 v10, v2, v6 offset0:128 offset1:160
	v_mfma_f32_16x16x16_bf16 a[0:3], v[50:51], v[38:39], a[0:3]
	v_xor_b32_e32 v2, 16, v0
	v_perm_b32 v6, v3, v7, s0
	v_perm_b32 v10, v11, v15, s0
	v_mfma_f32_16x16x16_bf16 a[4:7], v[50:51], v[28:29], a[4:7]
	ds_write2st64_b32 v2, v6, v10 offset0:129 offset1:161
	v_xor_b32_e32 v2, 24, v0
	v_perm_b32 v3, v3, v7, s1
	v_mfma_f32_16x16x16_bf16 a[16:19], v[50:51], v[42:43], a[8:11]
	v_perm_b32 v6, v11, v15, s1
	v_add_u32_e32 v2, 0x80, v2
	ds_write2st64_b32 v2, v3, v6 offset0:129 offset1:161
	v_mfma_f32_16x16x16_bf16 a[20:23], v[50:51], v[46:47], a[12:15]
	v_xor_b32_e32 v2, 32, v0
	v_perm_b32 v3, v4, v8, s0
	v_perm_b32 v6, v12, v16, s0
	s_waitcnt lgkmcnt(7)
	v_mfma_f32_16x16x16_bf16 a[12:15], v[52:53], v[20:21], a[0:3]
	ds_write2st64_b32 v2, v3, v6 offset0:130 offset1:162
	v_xor_b32_e32 v2, 40, v0
	v_perm_b32 v3, v4, v8, s1
	s_waitcnt lgkmcnt(7)
	v_mfma_f32_16x16x16_bf16 a[8:11], v[52:53], v[36:37], a[4:7]
	v_perm_b32 v4, v12, v16, s1
	v_add_u32_e32 v2, 0x80, v2
	ds_write2st64_b32 v2, v3, v4 offset0:130 offset1:162
	s_waitcnt lgkmcnt(7)
	v_mfma_f32_16x16x16_bf16 a[4:7], v[52:53], v[30:31], a[16:19]
	v_xor_b32_e32 v2, 48, v0
	v_perm_b32 v3, v5, v9, s0
	v_perm_b32 v4, v13, v17, s0
	s_waitcnt lgkmcnt(6)
	v_mfma_f32_16x16x16_bf16 a[0:3], v[52:53], v[54:55], a[20:23]
	v_xor_b32_e32 v0, 56, v0
	v_and_or_b32 v21, v33, 12, v1
	ds_write2st64_b32 v2, v3, v4 offset0:131 offset1:163
	v_perm_b32 v2, v5, v9, s1
	v_perm_b32 v3, v13, v17, s1
	v_add_u32_e32 v0, 0x80, v0
	v_cmp_gt_i32_e32 vcc, s27, v21
	v_mov_b32_e32 v16, 0
	v_mov_b32_e32 v18, 0
	ds_write2st64_b32 v0, v2, v3 offset0:131 offset1:163
	s_and_saveexec_b64 s[0:1], vcc
	s_cbranch_execz .LBB251_60
; %bb.59:
	v_add_u32_e32 v0, s26, v21
	v_ashrrev_i32_e32 v1, 31, v0
	v_mul_lo_u32 v2, v1, s30
	v_mul_lo_u32 v3, v0, s31
	v_mad_u64_u32 v[0:1], s[2:3], v0, s30, 0
	v_add3_u32 v1, v1, v3, v2
	v_lshl_add_u64 v[0:1], v[0:1], 2, s[10:11]
	global_load_dword v0, v[0:1], off
	s_waitcnt vmcnt(0)
	v_sub_f32_e32 v0, s12, v0
	v_mul_f32_e32 v0, 0x3fb8aa3b, v0
	v_exp_f32_e32 v18, v0
.LBB251_60:
	s_or_b64 exec, exec, s[0:1]
	v_or_b32_e32 v10, 1, v21
	v_cmp_gt_i32_e64 s[0:1], s27, v10
	s_and_saveexec_b64 s[2:3], s[0:1]
	s_cbranch_execz .LBB251_62
; %bb.61:
	v_add_u32_e32 v0, s26, v10
	v_ashrrev_i32_e32 v1, 31, v0
	v_mul_lo_u32 v2, v1, s30
	v_mul_lo_u32 v3, v0, s31
	v_mad_u64_u32 v[0:1], s[4:5], v0, s30, 0
	v_add3_u32 v1, v1, v3, v2
	v_lshl_add_u64 v[0:1], v[0:1], 2, s[10:11]
	global_load_dword v0, v[0:1], off
	s_waitcnt vmcnt(0)
	v_sub_f32_e32 v0, s12, v0
	v_mul_f32_e32 v0, 0x3fb8aa3b, v0
	v_exp_f32_e32 v16, v0
.LBB251_62:
	s_or_b64 exec, exec, s[2:3]
	v_or_b32_e32 v12, 2, v21
	v_cmp_gt_i32_e64 s[2:3], s27, v12
	v_mov_b32_e32 v17, 0
	v_mov_b32_e32 v20, 0
	s_and_saveexec_b64 s[4:5], s[2:3]
	s_cbranch_execz .LBB251_64
; %bb.63:
	v_add_u32_e32 v0, s26, v12
	v_ashrrev_i32_e32 v1, 31, v0
	v_mul_lo_u32 v2, v1, s30
	v_mul_lo_u32 v3, v0, s31
	v_mad_u64_u32 v[0:1], s[6:7], v0, s30, 0
	v_add3_u32 v1, v1, v3, v2
	v_lshl_add_u64 v[0:1], v[0:1], 2, s[10:11]
	global_load_dword v0, v[0:1], off
	s_waitcnt vmcnt(0)
	v_sub_f32_e32 v0, s12, v0
	v_mul_f32_e32 v0, 0x3fb8aa3b, v0
	v_exp_f32_e32 v20, v0
.LBB251_64:
	s_or_b64 exec, exec, s[4:5]
	v_or_b32_e32 v14, 3, v21
	v_cmp_gt_i32_e64 s[4:5], s27, v14
	s_and_saveexec_b64 s[6:7], s[4:5]
	s_cbranch_execz .LBB251_66
; %bb.65:
	v_add_u32_e32 v0, s26, v14
	v_ashrrev_i32_e32 v1, 31, v0
	v_mul_lo_u32 v2, v1, s30
	v_mul_lo_u32 v3, v0, s31
	v_mad_u64_u32 v[0:1], s[14:15], v0, s30, 0
	v_add3_u32 v1, v1, v3, v2
	v_lshl_add_u64 v[0:1], v[0:1], 2, s[10:11]
	global_load_dword v0, v[0:1], off
	s_waitcnt vmcnt(0)
	v_sub_f32_e32 v0, s12, v0
	v_mul_f32_e32 v0, 0x3fb8aa3b, v0
	v_exp_f32_e32 v17, v0
.LBB251_66:
	s_or_b64 exec, exec, s[6:7]
	s_add_u32 s6, s8, s20
	s_addc_u32 s7, s9, s21
	s_add_u32 s8, s28, s20
	v_ashrrev_i32_e32 v67, 31, v66
	v_accvgpr_read_b32 v0, a12
	s_addc_u32 s9, s29, s21
	v_lshlrev_b64 v[4:5], 1, v[66:67]
	v_accvgpr_read_b32 v1, a13
	v_accvgpr_read_b32 v2, a14
	;; [unrolled: 1-line block ×3, first 2 shown]
	v_lshl_add_u64 v[6:7], s[6:7], 0, v[4:5]
	v_lshl_add_u64 v[4:5], s[8:9], 0, v[4:5]
	v_mov_b32_e32 v11, 0
	v_lshlrev_b32_e32 v8, 8, v21
	v_mov_b32_e32 v9, 0
	s_and_saveexec_b64 s[6:7], vcc
	s_cbranch_execz .LBB251_68
; %bb.67:
	v_mov_b32_e32 v9, 0
	v_lshl_add_u64 v[24:25], v[6:7], 0, v[8:9]
	global_load_ushort v13, v[24:25], off
	v_lshl_add_u64 v[24:25], v[4:5], 0, v[8:9]
	s_waitcnt vmcnt(0)
	v_lshlrev_b32_e32 v9, 16, v13
	v_sub_f32_e32 v0, v9, v0
	global_store_short_d16_hi v[24:25], v0, off
	v_mul_f32_e32 v0, v18, v0
	v_lshrrev_b32_e32 v9, 16, v0
.LBB251_68:
	s_or_b64 exec, exec, s[6:7]
	v_lshlrev_b32_e32 v10, 8, v10
	s_and_saveexec_b64 s[6:7], s[0:1]
	s_cbranch_execz .LBB251_70
; %bb.69:
	v_mov_b32_e32 v11, 0
	v_lshl_add_u64 v[24:25], v[6:7], 0, v[10:11]
	global_load_ushort v0, v[24:25], off
	v_lshl_add_u64 v[24:25], v[4:5], 0, v[10:11]
	s_waitcnt vmcnt(0)
	v_lshlrev_b32_e32 v0, 16, v0
	v_sub_f32_e32 v0, v0, v1
	global_store_short_d16_hi v[24:25], v0, off
	v_mul_f32_e32 v0, v16, v0
	v_lshrrev_b32_e32 v11, 16, v0
.LBB251_70:
	s_or_b64 exec, exec, s[6:7]
	v_mov_b32_e32 v15, 0
	v_lshlrev_b32_e32 v12, 8, v12
	v_mov_b32_e32 v13, 0
	s_and_saveexec_b64 s[6:7], s[2:3]
	s_cbranch_execz .LBB251_72
; %bb.71:
	v_mov_b32_e32 v13, 0
	v_lshl_add_u64 v[0:1], v[6:7], 0, v[12:13]
	global_load_ushort v24, v[0:1], off
	v_lshl_add_u64 v[0:1], v[4:5], 0, v[12:13]
	s_waitcnt vmcnt(0)
	v_lshlrev_b32_e32 v13, 16, v24
	v_sub_f32_e32 v2, v13, v2
	global_store_short_d16_hi v[0:1], v2, off
	v_mul_f32_e32 v0, v20, v2
	v_lshrrev_b32_e32 v13, 16, v0
.LBB251_72:
	s_or_b64 exec, exec, s[6:7]
	v_lshlrev_b32_e32 v14, 8, v14
	s_and_saveexec_b64 s[6:7], s[4:5]
	s_cbranch_execz .LBB251_74
; %bb.73:
	v_mov_b32_e32 v15, 0
	v_lshl_add_u64 v[0:1], v[6:7], 0, v[14:15]
	global_load_ushort v2, v[0:1], off
	v_lshl_add_u64 v[0:1], v[4:5], 0, v[14:15]
	s_waitcnt vmcnt(0)
	v_lshlrev_b32_e32 v2, 16, v2
	v_sub_f32_e32 v2, v2, v3
	global_store_short_d16_hi v[0:1], v2, off
	v_mul_f32_e32 v0, v17, v2
	v_lshrrev_b32_e32 v15, 16, v0
.LBB251_74:
	s_or_b64 exec, exec, s[6:7]
	v_lshlrev_b32_e32 v21, 6, v21
	s_mov_b32 s6, 0x5040100
	v_perm_b32 v24, v11, v9, s6
	v_or_b32_e32 v9, v21, v34
	v_accvgpr_read_b32 v0, a8
	v_perm_b32 v25, v15, v13, s6
	v_lshlrev_b32_e32 v9, 1, v9
	v_accvgpr_read_b32 v1, a9
	v_accvgpr_read_b32 v2, a10
	;; [unrolled: 1-line block ×3, first 2 shown]
	ds_write_b64 v9, v[24:25] offset:24576
	v_mov_b32_e32 v11, 0
	v_mov_b32_e32 v9, 0
	s_and_saveexec_b64 s[6:7], vcc
	s_cbranch_execz .LBB251_76
; %bb.75:
	v_mov_b32_e32 v9, 0
	v_lshl_add_u64 v[24:25], v[6:7], 0, v[8:9]
	global_load_ushort v13, v[24:25], off offset:32
	v_lshl_add_u64 v[24:25], v[4:5], 0, v[8:9]
	s_waitcnt vmcnt(0)
	v_lshlrev_b32_e32 v9, 16, v13
	v_sub_f32_e32 v0, v9, v0
	global_store_short_d16_hi v[24:25], v0, off offset:32
	v_mul_f32_e32 v0, v18, v0
	v_lshrrev_b32_e32 v9, 16, v0
.LBB251_76:
	s_or_b64 exec, exec, s[6:7]
	s_and_saveexec_b64 s[6:7], s[0:1]
	s_cbranch_execz .LBB251_78
; %bb.77:
	v_mov_b32_e32 v11, 0
	v_lshl_add_u64 v[24:25], v[6:7], 0, v[10:11]
	global_load_ushort v0, v[24:25], off offset:32
	v_lshl_add_u64 v[24:25], v[4:5], 0, v[10:11]
	s_waitcnt vmcnt(0)
	v_lshlrev_b32_e32 v0, 16, v0
	v_sub_f32_e32 v0, v0, v1
	global_store_short_d16_hi v[24:25], v0, off offset:32
	v_mul_f32_e32 v0, v16, v0
	v_lshrrev_b32_e32 v11, 16, v0
.LBB251_78:
	s_or_b64 exec, exec, s[6:7]
	v_mov_b32_e32 v15, 0
	v_mov_b32_e32 v13, 0
	s_and_saveexec_b64 s[6:7], s[2:3]
	s_cbranch_execz .LBB251_80
; %bb.79:
	v_mov_b32_e32 v13, 0
	v_lshl_add_u64 v[0:1], v[6:7], 0, v[12:13]
	global_load_ushort v24, v[0:1], off offset:32
	v_lshl_add_u64 v[0:1], v[4:5], 0, v[12:13]
	s_waitcnt vmcnt(0)
	v_lshlrev_b32_e32 v13, 16, v24
	v_sub_f32_e32 v2, v13, v2
	global_store_short_d16_hi v[0:1], v2, off offset:32
	v_mul_f32_e32 v0, v20, v2
	v_lshrrev_b32_e32 v13, 16, v0
.LBB251_80:
	s_or_b64 exec, exec, s[6:7]
	s_and_saveexec_b64 s[6:7], s[4:5]
	s_cbranch_execz .LBB251_82
; %bb.81:
	v_mov_b32_e32 v15, 0
	v_lshl_add_u64 v[0:1], v[6:7], 0, v[14:15]
	global_load_ushort v2, v[0:1], off offset:32
	v_lshl_add_u64 v[0:1], v[4:5], 0, v[14:15]
	s_waitcnt vmcnt(0)
	v_lshlrev_b32_e32 v2, 16, v2
	v_sub_f32_e32 v2, v2, v3
	global_store_short_d16_hi v[0:1], v2, off offset:32
	v_mul_f32_e32 v0, v17, v2
	v_lshrrev_b32_e32 v15, 16, v0
.LBB251_82:
	s_or_b64 exec, exec, s[6:7]
	s_mov_b32 s6, 0x5040100
	v_perm_b32 v24, v11, v9, s6
	v_or_b32_e32 v9, v21, v23
	v_accvgpr_read_b32 v0, a4
	v_perm_b32 v25, v15, v13, s6
	v_lshlrev_b32_e32 v9, 1, v9
	v_accvgpr_read_b32 v1, a5
	v_accvgpr_read_b32 v2, a6
	;; [unrolled: 1-line block ×3, first 2 shown]
	ds_write_b64 v9, v[24:25] offset:24576
	v_mov_b32_e32 v11, 0
	v_mov_b32_e32 v9, 0
	s_and_saveexec_b64 s[6:7], vcc
	s_cbranch_execz .LBB251_84
; %bb.83:
	v_mov_b32_e32 v9, 0
	v_lshl_add_u64 v[24:25], v[6:7], 0, v[8:9]
	global_load_ushort v13, v[24:25], off offset:64
	v_lshl_add_u64 v[24:25], v[4:5], 0, v[8:9]
	s_waitcnt vmcnt(0)
	v_lshlrev_b32_e32 v9, 16, v13
	v_sub_f32_e32 v0, v9, v0
	global_store_short_d16_hi v[24:25], v0, off offset:64
	v_mul_f32_e32 v0, v18, v0
	v_lshrrev_b32_e32 v9, 16, v0
.LBB251_84:
	s_or_b64 exec, exec, s[6:7]
	s_and_saveexec_b64 s[6:7], s[0:1]
	s_cbranch_execz .LBB251_86
; %bb.85:
	v_mov_b32_e32 v11, 0
	v_lshl_add_u64 v[24:25], v[6:7], 0, v[10:11]
	global_load_ushort v0, v[24:25], off offset:64
	v_lshl_add_u64 v[24:25], v[4:5], 0, v[10:11]
	s_waitcnt vmcnt(0)
	v_lshlrev_b32_e32 v0, 16, v0
	v_sub_f32_e32 v0, v0, v1
	global_store_short_d16_hi v[24:25], v0, off offset:64
	v_mul_f32_e32 v0, v16, v0
	v_lshrrev_b32_e32 v11, 16, v0
.LBB251_86:
	s_or_b64 exec, exec, s[6:7]
	v_mov_b32_e32 v15, 0
	v_mov_b32_e32 v13, 0
	s_and_saveexec_b64 s[6:7], s[2:3]
	s_cbranch_execz .LBB251_88
; %bb.87:
	v_mov_b32_e32 v13, 0
	v_lshl_add_u64 v[0:1], v[6:7], 0, v[12:13]
	global_load_ushort v23, v[0:1], off offset:64
	v_lshl_add_u64 v[0:1], v[4:5], 0, v[12:13]
	s_waitcnt vmcnt(0)
	v_lshlrev_b32_e32 v13, 16, v23
	v_sub_f32_e32 v2, v13, v2
	global_store_short_d16_hi v[0:1], v2, off offset:64
	v_mul_f32_e32 v0, v20, v2
	v_lshrrev_b32_e32 v13, 16, v0
.LBB251_88:
	s_or_b64 exec, exec, s[6:7]
	s_and_saveexec_b64 s[6:7], s[4:5]
	s_cbranch_execz .LBB251_90
; %bb.89:
	v_mov_b32_e32 v15, 0
	v_lshl_add_u64 v[0:1], v[6:7], 0, v[14:15]
	global_load_ushort v2, v[0:1], off offset:64
	v_lshl_add_u64 v[0:1], v[4:5], 0, v[14:15]
	s_waitcnt vmcnt(0)
	v_lshlrev_b32_e32 v2, 16, v2
	v_sub_f32_e32 v2, v2, v3
	global_store_short_d16_hi v[0:1], v2, off offset:64
	v_mul_f32_e32 v0, v17, v2
	v_lshrrev_b32_e32 v15, 16, v0
.LBB251_90:
	s_or_b64 exec, exec, s[6:7]
	s_mov_b32 s6, 0x5040100
	v_perm_b32 v24, v11, v9, s6
	v_or_b32_e32 v9, v21, v22
	v_accvgpr_read_b32 v0, a0
	v_perm_b32 v25, v15, v13, s6
	v_lshlrev_b32_e32 v9, 1, v9
	v_accvgpr_read_b32 v1, a1
	v_accvgpr_read_b32 v2, a2
	;; [unrolled: 1-line block ×3, first 2 shown]
	ds_write_b64 v9, v[24:25] offset:24576
	v_mov_b32_e32 v11, 0
	v_mov_b32_e32 v9, 0
	s_and_saveexec_b64 s[6:7], vcc
	s_cbranch_execz .LBB251_92
; %bb.91:
	v_mov_b32_e32 v9, 0
	v_lshl_add_u64 v[22:23], v[6:7], 0, v[8:9]
	global_load_ushort v13, v[22:23], off offset:96
	v_lshl_add_u64 v[8:9], v[4:5], 0, v[8:9]
	s_waitcnt vmcnt(0)
	v_lshlrev_b32_e32 v13, 16, v13
	v_sub_f32_e32 v0, v13, v0
	global_store_short_d16_hi v[8:9], v0, off offset:96
	v_mul_f32_e32 v0, v18, v0
	v_lshrrev_b32_e32 v9, 16, v0
.LBB251_92:
	s_or_b64 exec, exec, s[6:7]
	s_and_saveexec_b64 s[6:7], s[0:1]
	s_cbranch_execz .LBB251_94
; %bb.93:
	v_mov_b32_e32 v11, 0
	v_lshl_add_u64 v[22:23], v[6:7], 0, v[10:11]
	global_load_ushort v0, v[22:23], off offset:96
	v_lshl_add_u64 v[10:11], v[4:5], 0, v[10:11]
	s_waitcnt vmcnt(0)
	v_lshlrev_b32_e32 v0, 16, v0
	v_sub_f32_e32 v0, v0, v1
	global_store_short_d16_hi v[10:11], v0, off offset:96
	v_mul_f32_e32 v0, v16, v0
	v_lshrrev_b32_e32 v11, 16, v0
.LBB251_94:
	s_or_b64 exec, exec, s[6:7]
	v_mov_b32_e32 v0, 0
	v_mov_b32_e32 v1, 0
	s_and_saveexec_b64 s[0:1], s[2:3]
	s_cbranch_execz .LBB251_96
; %bb.95:
	v_mov_b32_e32 v13, 0
	v_lshl_add_u64 v[22:23], v[6:7], 0, v[12:13]
	global_load_ushort v1, v[22:23], off offset:96
	v_lshl_add_u64 v[12:13], v[4:5], 0, v[12:13]
	s_waitcnt vmcnt(0)
	v_lshlrev_b32_e32 v1, 16, v1
	v_sub_f32_e32 v1, v1, v2
	global_store_short_d16_hi v[12:13], v1, off offset:96
	v_mul_f32_e32 v1, v20, v1
	v_lshrrev_b32_e32 v1, 16, v1
.LBB251_96:
	s_or_b64 exec, exec, s[0:1]
	s_and_saveexec_b64 s[0:1], s[4:5]
	s_cbranch_execz .LBB251_98
; %bb.97:
	v_mov_b32_e32 v15, 0
	v_lshl_add_u64 v[6:7], v[6:7], 0, v[14:15]
	global_load_ushort v0, v[6:7], off offset:96
	v_lshl_add_u64 v[4:5], v[4:5], 0, v[14:15]
	s_waitcnt vmcnt(0)
	v_lshlrev_b32_e32 v0, 16, v0
	v_sub_f32_e32 v0, v0, v3
	global_store_short_d16_hi v[4:5], v0, off offset:96
	v_mul_f32_e32 v0, v17, v0
	v_lshrrev_b32_e32 v0, 16, v0
.LBB251_98:
	s_or_b64 exec, exec, s[0:1]
	s_mov_b32 s0, 0x5040100
	v_or_b32_e32 v2, v21, v19
	v_perm_b32 v1, v0, v1, s0
	v_perm_b32 v0, v11, v9, s0
	v_lshlrev_b32_e32 v2, 1, v2
	ds_write_b64 v2, v[0:1] offset:24576
	s_waitcnt lgkmcnt(0)
	s_barrier
.LBB251_99:
	s_endpgm
	.section	.rodata,"a",@progbits
	.p2align	6, 0x0
	.amdhsa_kernel _ZN12_GLOBAL__N_139chunk_gated_delta_rule_fwd_h_hip_kernelILi64ELb1ELb0ELb1ELb0ELb0ELb0ELb0ELb0EEEvPK12hip_bfloat16S3_S3_PKfS5_PKvPS1_S8_PvPKiSB_iiiiilll
		.amdhsa_group_segment_fixed_size 65536
		.amdhsa_private_segment_fixed_size 0
		.amdhsa_kernarg_size 136
		.amdhsa_user_sgpr_count 2
		.amdhsa_user_sgpr_dispatch_ptr 0
		.amdhsa_user_sgpr_queue_ptr 0
		.amdhsa_user_sgpr_kernarg_segment_ptr 1
		.amdhsa_user_sgpr_dispatch_id 0
		.amdhsa_user_sgpr_kernarg_preload_length 0
		.amdhsa_user_sgpr_kernarg_preload_offset 0
		.amdhsa_user_sgpr_private_segment_size 0
		.amdhsa_uses_dynamic_stack 0
		.amdhsa_enable_private_segment 0
		.amdhsa_system_sgpr_workgroup_id_x 1
		.amdhsa_system_sgpr_workgroup_id_y 1
		.amdhsa_system_sgpr_workgroup_id_z 0
		.amdhsa_system_sgpr_workgroup_info 0
		.amdhsa_system_vgpr_workitem_id 0
		.amdhsa_next_free_vgpr 216
		.amdhsa_next_free_sgpr 68
		.amdhsa_accum_offset 180
		.amdhsa_reserve_vcc 1
		.amdhsa_float_round_mode_32 0
		.amdhsa_float_round_mode_16_64 0
		.amdhsa_float_denorm_mode_32 3
		.amdhsa_float_denorm_mode_16_64 3
		.amdhsa_dx10_clamp 1
		.amdhsa_ieee_mode 1
		.amdhsa_fp16_overflow 0
		.amdhsa_tg_split 0
		.amdhsa_exception_fp_ieee_invalid_op 0
		.amdhsa_exception_fp_denorm_src 0
		.amdhsa_exception_fp_ieee_div_zero 0
		.amdhsa_exception_fp_ieee_overflow 0
		.amdhsa_exception_fp_ieee_underflow 0
		.amdhsa_exception_fp_ieee_inexact 0
		.amdhsa_exception_int_div_zero 0
	.end_amdhsa_kernel
	.section	.text._ZN12_GLOBAL__N_139chunk_gated_delta_rule_fwd_h_hip_kernelILi64ELb1ELb0ELb1ELb0ELb0ELb0ELb0ELb0EEEvPK12hip_bfloat16S3_S3_PKfS5_PKvPS1_S8_PvPKiSB_iiiiilll,"axG",@progbits,_ZN12_GLOBAL__N_139chunk_gated_delta_rule_fwd_h_hip_kernelILi64ELb1ELb0ELb1ELb0ELb0ELb0ELb0ELb0EEEvPK12hip_bfloat16S3_S3_PKfS5_PKvPS1_S8_PvPKiSB_iiiiilll,comdat
.Lfunc_end251:
	.size	_ZN12_GLOBAL__N_139chunk_gated_delta_rule_fwd_h_hip_kernelILi64ELb1ELb0ELb1ELb0ELb0ELb0ELb0ELb0EEEvPK12hip_bfloat16S3_S3_PKfS5_PKvPS1_S8_PvPKiSB_iiiiilll, .Lfunc_end251-_ZN12_GLOBAL__N_139chunk_gated_delta_rule_fwd_h_hip_kernelILi64ELb1ELb0ELb1ELb0ELb0ELb0ELb0ELb0EEEvPK12hip_bfloat16S3_S3_PKfS5_PKvPS1_S8_PvPKiSB_iiiiilll
                                        ; -- End function
	.section	.AMDGPU.csdata,"",@progbits
; Kernel info:
; codeLenInByte = 11256
; NumSgprs: 74
; NumVgprs: 180
; NumAgprs: 36
; TotalNumVgprs: 216
; ScratchSize: 0
; MemoryBound: 0
; FloatMode: 240
; IeeeMode: 1
; LDSByteSize: 65536 bytes/workgroup (compile time only)
; SGPRBlocks: 9
; VGPRBlocks: 26
; NumSGPRsForWavesPerEU: 74
; NumVGPRsForWavesPerEU: 216
; AccumOffset: 180
; Occupancy: 1
; WaveLimiterHint : 1
; COMPUTE_PGM_RSRC2:SCRATCH_EN: 0
; COMPUTE_PGM_RSRC2:USER_SGPR: 2
; COMPUTE_PGM_RSRC2:TRAP_HANDLER: 0
; COMPUTE_PGM_RSRC2:TGID_X_EN: 1
; COMPUTE_PGM_RSRC2:TGID_Y_EN: 1
; COMPUTE_PGM_RSRC2:TGID_Z_EN: 0
; COMPUTE_PGM_RSRC2:TIDIG_COMP_CNT: 0
; COMPUTE_PGM_RSRC3_GFX90A:ACCUM_OFFSET: 44
; COMPUTE_PGM_RSRC3_GFX90A:TG_SPLIT: 0
	.section	.text._ZN12_GLOBAL__N_139chunk_gated_delta_rule_fwd_h_hip_kernelILi64ELb1ELb0ELb0ELb0ELb0ELb0ELb0ELb0EEEvPK12hip_bfloat16S3_S3_PKfS5_PKvPS1_S8_PvPKiSB_iiiiilll,"axG",@progbits,_ZN12_GLOBAL__N_139chunk_gated_delta_rule_fwd_h_hip_kernelILi64ELb1ELb0ELb0ELb0ELb0ELb0ELb0ELb0EEEvPK12hip_bfloat16S3_S3_PKfS5_PKvPS1_S8_PvPKiSB_iiiiilll,comdat
	.globl	_ZN12_GLOBAL__N_139chunk_gated_delta_rule_fwd_h_hip_kernelILi64ELb1ELb0ELb0ELb0ELb0ELb0ELb0ELb0EEEvPK12hip_bfloat16S3_S3_PKfS5_PKvPS1_S8_PvPKiSB_iiiiilll ; -- Begin function _ZN12_GLOBAL__N_139chunk_gated_delta_rule_fwd_h_hip_kernelILi64ELb1ELb0ELb0ELb0ELb0ELb0ELb0ELb0EEEvPK12hip_bfloat16S3_S3_PKfS5_PKvPS1_S8_PvPKiSB_iiiiilll
	.p2align	8
	.type	_ZN12_GLOBAL__N_139chunk_gated_delta_rule_fwd_h_hip_kernelILi64ELb1ELb0ELb0ELb0ELb0ELb0ELb0ELb0EEEvPK12hip_bfloat16S3_S3_PKfS5_PKvPS1_S8_PvPKiSB_iiiiilll,@function
_ZN12_GLOBAL__N_139chunk_gated_delta_rule_fwd_h_hip_kernelILi64ELb1ELb0ELb0ELb0ELb0ELb0ELb0ELb0EEEvPK12hip_bfloat16S3_S3_PKfS5_PKvPS1_S8_PvPKiSB_iiiiilll: ; @_ZN12_GLOBAL__N_139chunk_gated_delta_rule_fwd_h_hip_kernelILi64ELb1ELb0ELb0ELb0ELb0ELb0ELb0ELb0EEEvPK12hip_bfloat16S3_S3_PKfS5_PKvPS1_S8_PvPKiSB_iiiiilll
; %bb.0:
	s_load_dwordx4 s[12:15], s[0:1], 0x5c
	s_load_dwordx4 s[16:19], s[0:1], 0x28
	s_abs_i32 s6, s3
	s_ashr_i32 s5, s3, 31
	v_and_b32_e32 v77, 15, v0
	s_waitcnt lgkmcnt(0)
	s_abs_i32 s4, s13
	v_cvt_f32_u32_e32 v1, s4
	s_sub_i32 s8, 0, s4
	s_ashr_i32 s7, s13, 31
	s_xor_b32 s5, s5, s7
	v_rcp_iflag_f32_e32 v1, v1
	v_lshrrev_b32_e32 v75, 6, v0
	v_bfe_u32 v76, v0, 4, 2
	v_mov_b32_e32 v11, 0
	v_mul_f32_e32 v1, 0x4f7ffffe, v1
	v_cvt_u32_f32_e32 v1, v1
	v_and_b32_e32 v74, 63, v0
	v_lshrrev_b32_e32 v79, 3, v74
	v_lshlrev_b32_e32 v78, 3, v0
	v_readfirstlane_b32 s9, v1
	s_mul_i32 s8, s8, s9
	s_mul_hi_u32 s8, s9, s8
	s_add_i32 s9, s9, s8
	s_mul_hi_u32 s8, s6, s9
	s_mul_i32 s9, s8, s4
	s_sub_i32 s6, s6, s9
	s_add_i32 s10, s8, 1
	s_sub_i32 s9, s6, s4
	s_cmp_ge_u32 s6, s4
	s_cselect_b32 s8, s10, s8
	s_cselect_b32 s6, s9, s6
	s_add_i32 s9, s8, 1
	s_cmp_ge_u32 s6, s4
	s_cselect_b32 s6, s9, s8
	s_xor_b32 s6, s6, s5
	s_sub_i32 s49, s6, s5
	s_mul_i32 s6, s49, s13
	s_sub_i32 s46, s3, s6
	s_abs_i32 s3, s14
	v_cvt_f32_u32_e32 v1, s3
	s_add_i32 s8, s12, 63
	s_ashr_i32 s9, s8, 31
	s_lshr_b32 s5, s9, 26
	v_rcp_iflag_f32_e32 v1, v1
	s_ashr_i32 s48, s12, 31
	s_add_i32 s8, s8, s5
	s_lshr_b32 s5, s48, 26
	v_mul_f32_e32 v1, 0x4f7ffffe, v1
	v_cvt_u32_f32_e32 v1, v1
	s_add_i32 s5, s12, s5
	s_ashr_i32 s51, s14, 31
	s_ashr_i32 s24, s8, 6
	;; [unrolled: 1-line block ×3, first 2 shown]
	s_xor_b32 s5, s7, s51
	s_sub_i32 s7, 0, s3
	v_readfirstlane_b32 s8, v1
	s_mul_i32 s7, s7, s8
	s_mul_hi_u32 s7, s8, s7
	s_add_i32 s8, s8, s7
	s_mul_hi_u32 s7, s4, s8
	s_mul_i32 s8, s7, s3
	s_sub_i32 s4, s4, s8
	s_lshl_b32 s2, s2, 6
	s_add_i32 s8, s7, 1
	s_sub_i32 s9, s4, s3
	s_cmp_ge_u32 s4, s3
	s_cselect_b32 s7, s8, s7
	s_cselect_b32 s4, s9, s4
	s_add_i32 s8, s7, 1
	s_cmp_ge_u32 s4, s3
	s_cselect_b32 s3, s8, s7
	s_xor_b32 s3, s3, s5
	s_sub_i32 s3, s3, s5
	s_abs_i32 s4, s3
	v_cvt_f32_u32_e32 v1, s4
	s_sub_i32 s7, 0, s4
	s_abs_i32 s5, s46
	s_xor_b32 s3, s46, s3
	v_rcp_iflag_f32_e32 v1, v1
	s_ashr_i32 s3, s3, 31
	v_or_b32_e32 v66, s2, v77
	v_lshlrev_b32_e32 v2, 7, v66
	v_mul_f32_e32 v1, 0x4f7ffffe, v1
	v_cvt_u32_f32_e32 v1, v1
	v_ashrrev_i32_e32 v3, 31, v2
	s_mul_i32 s53, s49, s24
	v_readfirstlane_b32 s8, v1
	s_mul_i32 s7, s7, s8
	s_mul_hi_u32 s7, s8, s7
	s_add_i32 s8, s8, s7
	s_mul_hi_u32 s7, s5, s8
	s_mul_i32 s8, s7, s4
	s_sub_i32 s5, s5, s8
	s_add_i32 s8, s7, 1
	s_sub_i32 s9, s5, s4
	s_cmp_ge_u32 s5, s4
	s_cselect_b32 s7, s8, s7
	s_cselect_b32 s5, s9, s5
	s_add_i32 s8, s7, 1
	s_cmp_ge_u32 s5, s4
	s_cselect_b32 s4, s8, s7
	s_xor_b32 s4, s4, s3
	s_sub_i32 s52, s4, s3
	s_ashr_i32 s3, s49, 31
	s_ashr_i32 s47, s46, 31
	s_mul_hi_i32 s4, s49, s13
	s_add_u32 s36, s6, s46
	s_addc_u32 s37, s4, s47
	s_lshl_b64 s[4:5], s[36:37], 16
	v_lshlrev_b32_e32 v1, 4, v75
	s_add_u32 s4, s16, s4
	v_lshl_or_b32 v80, v76, 2, v1
	s_addc_u32 s5, s17, s5
	v_lshl_add_u64 v[4:5], v[2:3], 2, s[4:5]
	v_lshlrev_b32_e32 v10, 2, v80
	v_lshl_add_u64 v[4:5], v[4:5], 0, v[10:11]
	global_load_dwordx4 v[22:25], v[4:5], off
	global_load_dwordx4 v[30:33], v[4:5], off offset:256
	v_or_b32_e32 v4, 0x800, v2
	v_ashrrev_i32_e32 v5, 31, v4
	v_lshl_add_u64 v[4:5], v[4:5], 2, s[4:5]
	v_lshl_add_u64 v[4:5], v[4:5], 0, v[10:11]
	global_load_dwordx4 v[14:17], v[4:5], off
	global_load_dwordx4 v[26:29], v[4:5], off offset:256
	v_or_b32_e32 v4, 0x1000, v2
	v_or_b32_e32 v2, 0x1800, v2
	v_ashrrev_i32_e32 v5, 31, v4
	v_ashrrev_i32_e32 v3, 31, v2
	v_lshl_add_u64 v[4:5], v[4:5], 2, s[4:5]
	v_lshl_add_u64 v[2:3], v[2:3], 2, s[4:5]
	;; [unrolled: 1-line block ×4, first 2 shown]
	global_load_dwordx4 v[6:9], v[4:5], off
	global_load_dwordx4 v[18:21], v[4:5], off offset:256
	s_nop 0
	global_load_dwordx4 v[2:5], v[34:35], off
	global_load_dwordx4 v[10:13], v[34:35], off offset:256
	s_load_dwordx8 s[4:11], s[0:1], 0x0
	s_load_dwordx2 s[28:29], s[0:1], 0x80
	s_load_dwordx4 s[20:23], s[0:1], 0x70
	v_or_b32_e32 v81, 64, v80
	s_cmp_lt_i32 s12, 64
	s_mul_i32 s54, s37, s12
	s_mul_hi_u32 s55, s36, s12
	s_mul_i32 s16, s36, s12
	s_waitcnt lgkmcnt(0)
	s_mul_i32 s33, s49, s21
	s_mul_hi_u32 s42, s49, s20
	s_mul_i32 s37, s3, s20
	s_mul_i32 s34, s49, s20
	;; [unrolled: 1-line block ×3, first 2 shown]
	s_mul_hi_u32 s44, s46, s22
	s_mul_i32 s45, s47, s22
	s_mul_i32 s30, s46, s22
	s_cbranch_scc1 .LBB252_18
; %bb.1:
	s_add_i32 s17, s55, s54
	s_lshl_b64 s[0:1], s[16:17], 8
	v_and_b32_e32 v83, 56, v78
	s_add_u32 s20, s6, s0
	v_lshl_or_b32 v82, v75, 3, v79
	v_lshlrev_b32_e32 v34, 1, v83
	s_addc_u32 s0, s7, s1
	v_lshl_or_b32 v84, v82, 8, v34
	s_and_b32 s21, s0, 0xffff
	s_mov_b32 s23, 0x20000
	s_movk_i32 s22, 0x4000
	s_movk_i32 s0, 0x80
	v_or_b32_e32 v85, 0x2000, v84
	buffer_load_dwordx4 v[36:39], v84, s[20:23], 0 offen
	buffer_load_dwordx4 v[40:43], v84, s[20:23], s0 offen
	;; [unrolled: 1-line block ×4, first 2 shown]
	v_lshlrev_b32_e32 v35, 3, v82
	v_and_or_b32 v53, v0, 7, v35
	v_and_b32_e32 v35, 0x78, v35
	v_lshlrev_b32_e32 v53, 4, v53
	v_xor_b32_e32 v86, v53, v35
	v_mul_lo_u32 v52, v82, s15
	v_or_b32_e32 v87, 0x1000, v86
	v_xor_b32_e32 v35, 8, v86
	s_cmpk_eq_i32 s15, 0x80
	s_mov_b32 s56, s14
	v_xor_b32_e32 v53, 8, v87
	s_cselect_b64 s[0:1], -1, 0
	s_cmpk_lg_i32 s15, 0x80
	s_waitcnt vmcnt(3)
	ds_write_b64 v86, v[36:37] offset:49152
	ds_write_b64 v35, v[38:39] offset:49152
	s_waitcnt vmcnt(2)
	ds_write_b64 v86, v[40:41] offset:57344
	ds_write_b64 v35, v[42:43] offset:57344
	;; [unrolled: 3-line block ×4, first 2 shown]
	v_lshl_add_u32 v35, v52, 1, v83
	s_cbranch_scc0 .LBB252_3
; %bb.2:
	v_lshlrev_b32_e32 v37, 1, v35
	v_add_lshl_u32 v36, v35, s15, 1
	s_lshl_b32 s22, s15, 7
	v_lshl_or_b32 v34, v82, 9, v34
	s_cbranch_execz .LBB252_4
	s_branch .LBB252_5
.LBB252_3:
                                        ; implicit-def: $vgpr36
                                        ; implicit-def: $vgpr37
                                        ; implicit-def: $sgpr22
	v_lshl_or_b32 v34, v82, 9, v34
.LBB252_4:
	v_or_b32_e32 v36, 0x100, v34
	s_movk_i32 s22, 0x4000
	v_mov_b32_e32 v37, v34
.LBB252_5:
	s_mul_hi_u32 s20, s14, s12
	s_mul_i32 s21, s51, s12
	s_add_i32 s20, s20, s21
	s_mul_i32 s21, s14, s12
	s_mul_i32 s23, s21, s3
	s_mul_hi_u32 s24, s21, s49
	s_add_i32 s23, s24, s23
	s_mul_i32 s20, s20, s49
	s_add_i32 s23, s23, s20
	s_mul_i32 s21, s21, s49
	s_ashr_i32 s57, s52, 31
	s_add_u32 s20, s21, s52
	s_addc_u32 s21, s23, s57
	s_lshl_b64 s[20:21], s[20:21], 8
	s_add_u32 s20, s4, s20
	s_addc_u32 s21, s5, s21
	s_and_b32 s21, s21, 0xffff
	s_mov_b32 s23, 0x20000
	s_movk_i32 s58, 0x80
	buffer_load_dwordx4 v[38:41], v37, s[20:23], 0 offen
	buffer_load_dwordx4 v[42:45], v37, s[20:23], s58 offen
	;; [unrolled: 1-line block ×4, first 2 shown]
	v_and_b32_e32 v37, 6, v0
	v_lshlrev_b32_e32 v36, 7, v80
	v_xor_b32_e32 v58, v82, v37
	v_and_b32_e32 v54, 1, v0
	v_lshl_or_b32 v61, v77, 3, v36
	v_lshlrev_b32_e32 v58, 2, v58
	v_or_b32_e32 v88, 0x4000, v61
	v_or_b32_e32 v89, 0x6000, v61
	v_xor_b32_e32 v61, 0x440, v58
	v_cmp_eq_u32_e32 vcc, 0, v54
	v_lshlrev_b32_e32 v55, 2, v77
	s_mov_b32 s60, 0x1000504
	v_cndmask_b32_e32 v54, v61, v58, vcc
	v_xor_b32_e32 v59, v80, v55
	v_xor_b32_e32 v60, v81, v55
	v_lshl_or_b32 v37, v37, 10, v54
	s_mov_b32 s61, 0x3020706
	v_lshlrev_b32_e32 v56, 8, v77
	v_or_b32_e32 v57, 16, v77
	v_lshlrev_b32_e32 v59, 1, v59
	v_lshlrev_b32_e32 v60, 1, v60
	v_xor_b32_e32 v54, 8, v37
	v_xor_b32_e32 v58, 24, v37
	;; [unrolled: 1-line block ×4, first 2 shown]
	s_mul_i32 s3, s3, s12
	s_mul_hi_u32 s20, s49, s12
	v_or_b32_e32 v91, v56, v59
	v_or_b32_e32 v92, v56, v60
	v_xor_b32_e32 v56, 16, v37
	v_xor_b32_e32 v61, 32, v37
	;; [unrolled: 1-line block ×3, first 2 shown]
	v_add_u32_e32 v54, 0x80, v54
	v_add_u32_e32 v58, 0x80, v58
	;; [unrolled: 1-line block ×4, first 2 shown]
	s_add_i32 s63, s20, s3
	s_add_i32 s3, s42, s33
	;; [unrolled: 1-line block ×5, first 2 shown]
	s_lshl_b64 s[20:21], s[34:35], 2
	s_add_u32 s3, s10, s20
	s_addc_u32 s24, s11, s21
	s_lshl_b64 s[20:21], s[30:31], 2
	s_add_u32 s38, s3, s20
	s_movk_i32 s3, 0xf8
	s_addc_u32 s39, s24, s21
	s_lshl_b32 s26, s15, 7
	s_movk_i32 s24, 0x100
	v_mov_b32_e32 v69, 0
	v_cmp_gt_u32_e32 vcc, s24, v0
	v_lshl_or_b32 v62, v57, 3, v36
	s_mov_b32 s59, 0
	s_mul_i32 s62, s49, s12
	v_or_b32_e32 v90, 0x4000, v62
	s_movk_i32 s22, 0x4000
	v_or_b32_e32 v93, 0x6000, v62
	s_movk_i32 s31, 0x2000
	s_movk_i32 s35, 0x3000
	v_mov_b32_e32 v131, 0x3fb8aa3b
	s_mov_b32 s65, 0
	s_waitcnt vmcnt(1)
	v_perm_b32 v67, v38, v46, s60
	s_waitcnt vmcnt(0)
	v_perm_b32 v68, v42, v50, s60
	v_perm_b32 v38, v38, v46, s61
	;; [unrolled: 1-line block ×15, first 2 shown]
	ds_write2st64_b32 v37, v67, v68 offset0:128 offset1:160
	ds_write2st64_b32 v54, v38, v42 offset0:128 offset1:160
	;; [unrolled: 1-line block ×8, first 2 shown]
	v_lshlrev_b32_e32 v37, 8, v57
	v_or_b32_e32 v94, v37, v59
	v_or_b32_e32 v95, v37, v60
	v_or_b32_e32 v37, 32, v77
	v_lshl_or_b32 v38, v37, 3, v36
	v_lshlrev_b32_e32 v37, 8, v37
	v_or_b32_e32 v98, v37, v59
	v_or_b32_e32 v99, v37, v60
	;; [unrolled: 1-line block ×5, first 2 shown]
	v_lshl_or_b32 v38, v37, 3, v36
	v_lshlrev_b32_e32 v37, 8, v37
	v_or_b32_e32 v102, v37, v59
	v_or_b32_e32 v103, v37, v60
	;; [unrolled: 1-line block ×3, first 2 shown]
	v_lshlrev_b32_e32 v37, 3, v37
	v_lshrrev_b32_e32 v39, 5, v74
	v_and_or_b32 v39, v37, s3, v39
	v_lshlrev_b32_e32 v39, 4, v39
	v_lshlrev_b32_e32 v40, 11, v75
	v_and_b32_e32 v37, 0x78, v37
	v_or_b32_e32 v45, 32, v39
	v_or_b32_e32 v100, 0x4000, v38
	;; [unrolled: 1-line block ×3, first 2 shown]
	v_and_b32_e32 v38, 0x1000, v40
	v_xor_b32_e32 v41, v39, v37
	v_lshrrev_b32_e32 v42, 1, v0
	v_xor_b32_e32 v45, v45, v37
	v_or_b32_e32 v41, v41, v38
	v_and_b32_e32 v43, 8, v42
	v_or_b32_e32 v45, v45, v38
	v_xor_b32_e32 v104, v41, v43
	v_lshlrev_b32_e32 v41, 8, v76
	v_xor_b32_e32 v106, v45, v43
	v_or_b32_e32 v45, 64, v39
	v_or_b32_e32 v39, 0x60, v39
	s_ashr_i32 s3, s2, 31
	v_or_b32_e32 v44, v41, v55
	v_xor_b32_e32 v45, v45, v37
	v_xor_b32_e32 v37, v39, v37
	s_lshl_b64 s[20:21], s[2:3], 8
	v_lshlrev_b32_e32 v44, 1, v44
	v_or_b32_e32 v45, v45, v38
	v_or_b32_e32 v37, v37, v38
	s_add_u32 s20, s18, s20
	v_lshlrev_b32_e32 v38, 1, v77
	v_or_b32_e32 v105, 0x4000, v44
	v_or_b32_e32 v107, 0x4080, v44
	v_or_b32_e32 v108, 0x4100, v44
	v_or_b32_e32 v109, 0x4180, v44
	v_or_b32_e32 v112, 0x6000, v44
	v_or_b32_e32 v113, 0x6080, v44
	v_or_b32_e32 v114, 0x6100, v44
	v_or_b32_e32 v115, 0x6180, v44
	v_lshrrev_b32_e32 v44, 4, v0
	s_addc_u32 s21, s19, s21
	v_or_b32_e32 v39, 1, v38
	v_lshlrev_b32_e32 v68, 4, v77
	v_mov_b32_e32 v48, 0xa000
	v_mov_b32_e32 v49, 0x8000
	v_xor_b32_e32 v110, v45, v43
	v_xor_b32_e32 v45, v44, v38
	;; [unrolled: 1-line block ×3, first 2 shown]
	v_lshl_add_u64 v[38:39], s[20:21], 0, v[68:69]
	v_lshlrev_b32_e32 v68, 8, v44
	v_cndmask_b32_e32 v48, v48, v49, vcc
	v_lshlrev_b32_e32 v49, 3, v75
	v_and_b32_e32 v42, 24, v42
	v_lshl_or_b32 v116, v45, 3, v68
	v_and_b32_e32 v45, 8, v0
	v_xor_b32_e32 v50, v49, v42
	v_or_b32_e32 v51, 0x440, v50
	v_cmp_eq_u32_e32 vcc, 0, v45
	v_and_b32_e32 v44, 7, v0
	v_lshl_or_b32 v117, v46, 3, v68
	v_cndmask_b32_e32 v45, v51, v50, vcc
	v_lshlrev_b32_e32 v46, 3, v44
	v_lshlrev_b32_e32 v44, 7, v44
	v_or_b32_e32 v45, v45, v40
	v_lshlrev_b32_e32 v47, 2, v0
	v_xad_u32 v118, v45, v46, v44
	v_or_b32_e32 v45, 32, v42
	v_and_or_b32 v41, v47, 60, v41
	v_xor_b32_e32 v45, v49, v45
	v_lshlrev_b32_e32 v41, 1, v41
	v_or_b32_e32 v47, 0x440, v45
	v_or_b32_e32 v119, 0x6000, v41
	v_cndmask_b32_e32 v45, v47, v45, vcc
	v_or_b32_e32 v121, 0x6080, v41
	v_or_b32_e32 v122, 0x6100, v41
	;; [unrolled: 1-line block ×5, first 2 shown]
	v_xor_b32_e32 v41, v49, v41
	v_xad_u32 v120, v45, v46, v44
	v_xor_b32_e32 v45, 0x440, v41
	v_cndmask_b32_e32 v41, v45, v41, vcc
	v_or_b32_e32 v41, v41, v40
	v_xad_u32 v124, v41, v46, v44
	v_or_b32_e32 v41, 0x60, v42
	v_xor_b32_e32 v41, v49, v41
	v_xor_b32_e32 v42, 0x440, v41
	v_cndmask_b32_e32 v41, v42, v41, vcc
	v_or_b32_e32 v40, v41, v40
	v_xor_b32_e32 v111, v37, v43
	v_ashrrev_i32_e32 v67, 31, v66
	v_lshlrev_b32_e32 v37, 1, v35
	v_add_lshl_u32 v35, v35, s15, 1
	v_or_b32_e32 v43, 0x100, v34
	v_xad_u32 v125, v40, v46, v44
	v_cndmask_b32_e64 v126, v37, v34, s[0:1]
	v_cndmask_b32_e64 v127, v35, v43, s[0:1]
	v_lshl_add_u64 v[70:71], v[66:67], 1, s[8:9]
	v_lshl_add_u64 v[72:73], v[38:39], 0, v[68:69]
	s_mov_b32 s3, 0x7060302
	v_lshlrev_b32_e32 v68, 1, v36
	v_add_u32_e32 v67, v48, v118
	v_add_u32_e32 v128, v48, v120
	;; [unrolled: 1-line block ×4, first 2 shown]
	s_waitcnt lgkmcnt(0)
	s_barrier
.LBB252_6:                              ; =>This Inner Loop Header: Depth=1
	s_add_i32 s64, s65, 1
	s_cmp_lt_i32 s64, s50
	s_mov_b64 s[24:25], 0
	s_cselect_b64 s[40:41], -1, 0
	s_cmp_ge_i32 s64, s50
	s_mov_b64 s[20:21], 0
	s_cbranch_scc1 .LBB252_8
; %bb.7:                                ;   in Loop: Header=BB252_6 Depth=1
	s_add_i32 s0, s59, 64
	s_add_u32 s0, s16, s0
	s_addc_u32 s1, s17, 0
	s_lshl_b64 s[0:1], s[0:1], 8
	s_add_u32 s20, s6, s0
	s_addc_u32 s21, s7, s1
.LBB252_8:                              ;   in Loop: Header=BB252_6 Depth=1
	v_cndmask_b32_e64 v34, 0, 1, s[40:41]
	v_cmp_ne_u32_e64 s[0:1], 1, v34
	s_andn2_b64 vcc, exec, s[40:41]
	s_cbranch_vccnz .LBB252_10
; %bb.9:                                ;   in Loop: Header=BB252_6 Depth=1
	s_add_i32 s24, s59, 64
	s_add_u32 s24, s62, s24
	s_addc_u32 s25, s63, 0
	s_mul_i32 s27, s24, s51
	s_mul_hi_u32 s40, s24, s56
	s_add_i32 s27, s40, s27
	s_mul_i32 s25, s25, s56
	s_add_i32 s27, s27, s25
	s_mul_i32 s24, s24, s56
	s_add_u32 s24, s24, s52
	s_addc_u32 s25, s27, s57
	s_lshl_b64 s[24:25], s[24:25], 8
	s_add_u32 s24, s4, s24
	s_addc_u32 s25, s5, s25
.LBB252_10:                             ;   in Loop: Header=BB252_6 Depth=1
	v_perm_b32 v35, v25, v24, s3
	v_perm_b32 v34, v23, v22, s3
	v_perm_b32 v37, v33, v32, s3
	v_perm_b32 v36, v31, v30, s3
	ds_write_b64 v88, v[34:35]
	ds_write_b64 v89, v[36:37]
	ds_write_b64 v91, v[34:35]
	ds_write_b64 v92, v[36:37]
	v_perm_b32 v35, v17, v16, s3
	v_perm_b32 v34, v15, v14, s3
	v_perm_b32 v37, v29, v28, s3
	v_perm_b32 v36, v27, v26, s3
	ds_write_b64 v90, v[34:35]
	ds_write_b64 v93, v[36:37]
	ds_write_b64 v94, v[34:35]
	ds_write_b64 v95, v[36:37]
	;; [unrolled: 8-line block ×4, first 2 shown]
	s_waitcnt lgkmcnt(0)
	s_barrier
	ds_read_b64 v[38:39], v104 offset:49152
	ds_read2_b64 v[34:37], v105 offset1:16
	ds_read_b64 v[50:51], v107 offset:6144
	ds_read_b64 v[52:53], v105 offset:6144
	s_waitcnt lgkmcnt(2)
	v_mfma_f32_16x16x16_bf16 a[0:3], v[38:39], v[34:35], 0
	ds_read_b64 v[54:55], v106 offset:49152
	ds_read2st64_b64 v[42:45], v108 offset0:4 offset1:8
	ds_read2st64_b64 v[46:49], v109 offset0:4 offset1:8
	v_mfma_f32_16x16x16_bf16 a[4:7], v[38:39], v[36:37], 0
	ds_read2_b64 v[34:37], v105 offset0:32 offset1:48
	s_add_i32 s27, s59, 63
	s_mul_i32 s40, s27, s29
	s_waitcnt lgkmcnt(0)
	v_mfma_f32_16x16x16_bf16 a[8:11], v[38:39], v[34:35], 0
	s_mul_hi_u32 s41, s27, s28
	s_add_i32 s41, s41, s40
	s_mul_i32 s40, s27, s28
	v_mfma_f32_16x16x16_bf16 a[12:15], v[38:39], v[36:37], 0
	ds_read2st64_b64 v[34:37], v105 offset0:4 offset1:8
	ds_read2st64_b64 v[38:41], v107 offset0:4 offset1:8
	s_lshl_b64 s[40:41], s[40:41], 2
	s_waitcnt lgkmcnt(1)
	v_mfma_f32_16x16x16_bf16 a[0:3], v[54:55], v[34:35], a[0:3]
	s_add_u32 s40, s38, s40
	s_addc_u32 s41, s39, s41
	s_and_b64 vcc, exec, s[0:1]
	s_waitcnt lgkmcnt(0)
	v_mfma_f32_16x16x16_bf16 a[4:7], v[54:55], v[38:39], a[4:7]
	v_mov_b32_e32 v134, 0
	v_mov_b32_e32 v133, 0
	;; [unrolled: 1-line block ×3, first 2 shown]
	v_mfma_f32_16x16x16_bf16 a[8:11], v[54:55], v[42:43], a[8:11]
	ds_read_b64 v[34:35], v110 offset:49152
	ds_read_b64 v[38:39], v111 offset:49152
	;; [unrolled: 1-line block ×3, first 2 shown]
	v_mfma_f32_16x16x16_bf16 a[12:15], v[54:55], v[46:47], a[12:15]
	v_mov_b32_e32 v46, 0
	v_mov_b32_e32 v47, 0
	s_waitcnt lgkmcnt(2)
	v_mfma_f32_16x16x16_bf16 a[0:3], v[34:35], v[36:37], a[0:3]
	v_mov_b32_e32 v36, 0
	v_mov_b32_e32 v37, 0
	v_mfma_f32_16x16x16_bf16 a[16:19], v[34:35], v[40:41], a[4:7]
	v_mov_b32_e32 v40, 0
	v_mov_b32_e32 v41, 0
	;; [unrolled: 3-line block ×3, first 2 shown]
	v_mfma_f32_16x16x16_bf16 a[24:27], v[34:35], v[48:49], a[12:15]
	ds_read_b64 v[34:35], v108 offset:6144
	v_mov_b32_e32 v48, 0
	v_mov_b32_e32 v49, 0
	s_waitcnt lgkmcnt(2)
	v_mfma_f32_16x16x16_bf16 a[4:7], v[38:39], v[52:53], a[0:3]
	v_mfma_f32_16x16x16_bf16 a[8:11], v[38:39], v[50:51], a[16:19]
	s_waitcnt lgkmcnt(0)
	v_mfma_f32_16x16x16_bf16 a[12:15], v[38:39], v[34:35], a[20:23]
	v_mov_b32_e32 v34, 0
	v_mov_b32_e32 v35, 0
	v_mfma_f32_16x16x16_bf16 a[0:3], v[38:39], v[42:43], a[24:27]
	v_mov_b32_e32 v38, 0
	v_mov_b32_e32 v39, 0
	v_mov_b32_e32 v42, 0
	v_mov_b32_e32 v43, 0
	s_cbranch_vccnz .LBB252_12
; %bb.11:                               ;   in Loop: Header=BB252_6 Depth=1
	s_and_b32 s21, s21, 0xffff
	buffer_load_dwordx4 v[46:49], v84, s[20:23], 0 offen
	buffer_load_dwordx4 v[42:45], v84, s[20:23], s58 offen
	;; [unrolled: 1-line block ×4, first 2 shown]
	v_mov_b32_e32 v133, v86
	v_mov_b32_e32 v132, v87
.LBB252_12:                             ;   in Loop: Header=BB252_6 Depth=1
	ds_read_b64 v[136:137], v104 offset:57344
	ds_read2_b64 v[50:53], v112 offset1:16
	ds_read_b64 v[138:139], v106 offset:57344
	ds_read_b64 v[140:141], v110 offset:57344
	;; [unrolled: 1-line block ×3, first 2 shown]
	v_add_u32_e32 v135, s59, v80
	s_waitcnt lgkmcnt(3)
	v_mfma_f32_16x16x16_bf16 a[4:7], v[136:137], v[50:51], a[4:7]
	v_mfma_f32_16x16x16_bf16 a[8:11], v[136:137], v[52:53], a[8:11]
	ds_read2_b64 v[50:53], v112 offset0:32 offset1:48
	ds_read2st64_b64 v[54:57], v112 offset0:4 offset1:8
	ds_read2st64_b64 v[58:61], v113 offset0:4 offset1:8
	;; [unrolled: 1-line block ×3, first 2 shown]
	s_waitcnt lgkmcnt(3)
	v_mfma_f32_16x16x16_bf16 a[12:15], v[136:137], v[50:51], a[12:15]
	v_ashrrev_i32_e32 v50, 31, v135
	v_mfma_f32_16x16x16_bf16 a[0:3], v[136:137], v[52:53], a[0:3]
	v_mul_lo_u32 v52, v50, s28
	v_mul_lo_u32 v53, v135, s29
	v_mad_u64_u32 v[50:51], s[20:21], v135, s28, 0
	v_add3_u32 v51, v51, v53, v52
	v_add_u32_e32 v52, 1, v135
	v_ashrrev_i32_e32 v53, 31, v52
	s_waitcnt lgkmcnt(2)
	v_mfma_f32_16x16x16_bf16 a[4:7], v[138:139], v[54:55], a[4:7]
	v_mul_lo_u32 v54, v53, s28
	v_mul_lo_u32 v55, v52, s29
	v_mad_u64_u32 v[52:53], s[20:21], v52, s28, 0
	v_add3_u32 v53, v53, v55, v54
	v_add_u32_e32 v54, 2, v135
	v_ashrrev_i32_e32 v55, 31, v54
	s_waitcnt lgkmcnt(1)
	v_mfma_f32_16x16x16_bf16 a[8:11], v[138:139], v[58:59], a[8:11]
	v_mul_lo_u32 v58, v55, s28
	v_mul_lo_u32 v59, v54, s29
	v_mad_u64_u32 v[54:55], s[20:21], v54, s28, 0
	v_lshl_add_u64 v[50:51], v[50:51], 2, s[38:39]
	v_add3_u32 v55, v55, v59, v58
	v_add_u32_e32 v58, 3, v135
	v_ashrrev_i32_e32 v59, 31, v58
	global_load_dword v136, v[50:51], off
	v_mad_u64_u32 v[50:51], s[20:21], v58, s28, 0
	v_mul_lo_u32 v59, v59, s28
	v_mul_lo_u32 v135, v58, s29
	s_add_u32 s20, s16, s59
	v_add3_u32 v51, v51, v135, v59
	s_addc_u32 s21, s17, 0
	v_lshl_add_u64 v[52:53], v[52:53], 2, s[38:39]
	v_lshl_add_u64 v[54:55], v[54:55], 2, s[38:39]
	v_lshl_add_u64 v[50:51], v[50:51], 2, s[38:39]
	s_lshl_b64 s[20:21], s[20:21], 8
	global_load_dword v135, v[52:53], off
	global_load_dword v137, v[54:55], off
	;; [unrolled: 1-line block ×3, first 2 shown]
	v_lshl_add_u64 v[50:51], v[70:71], 0, s[20:21]
	v_lshl_add_u64 v[54:55], v[50:51], 0, v[68:69]
	global_load_ushort v145, v[54:55], off offset:256
	global_load_ushort v146, v[54:55], off
	ds_read2st64_b64 v[50:53], v115 offset0:4 offset1:8
	global_load_ushort v147, v[54:55], off offset:768
	global_load_ushort v148, v[54:55], off offset:512
	s_waitcnt lgkmcnt(1)
	v_mfma_f32_16x16x16_bf16 a[12:15], v[138:139], v[62:63], a[12:15]
	s_and_b64 vcc, exec, s[0:1]
	s_waitcnt vmcnt(3)
	v_lshlrev_b32_e32 v63, 16, v145
	s_waitcnt lgkmcnt(0)
	v_mfma_f32_16x16x16_bf16 a[0:3], v[138:139], v[50:51], a[0:3]
	global_load_ushort v138, v[54:55], off offset:288
	global_load_ushort v139, v[54:55], off offset:32
	;; [unrolled: 1-line block ×8, first 2 shown]
	v_mfma_f32_16x16x16_bf16 a[4:7], v[140:141], v[56:57], a[4:7]
	ds_read_b64 v[50:51], v112 offset:6144
	s_waitcnt vmcnt(10)
	v_lshlrev_b32_e32 v62, 16, v146
	v_mfma_f32_16x16x16_bf16 a[8:11], v[140:141], v[60:61], a[8:11]
	v_mfma_f32_16x16x16_bf16 a[12:15], v[140:141], v[64:65], a[12:15]
	;; [unrolled: 1-line block ×3, first 2 shown]
	global_load_ushort v140, v[54:55], off offset:352
	global_load_ushort v141, v[54:55], off offset:96
	ds_read_b64 v[52:53], v113 offset:6144
	ds_read_b64 v[56:57], v114 offset:6144
	;; [unrolled: 1-line block ×3, first 2 shown]
	global_load_ushort v155, v[54:55], off offset:864
	global_load_ushort v156, v[54:55], off offset:608
	s_load_dword s20, s[40:41], 0x0
	s_waitcnt lgkmcnt(0)
	v_mfma_f32_16x16x16_bf16 a[4:7], v[142:143], v[50:51], a[4:7]
	v_sub_f32_e32 v60, s20, v137
	v_mfma_f32_16x16x16_bf16 a[0:3], v[142:143], v[58:59], a[0:3]
	v_sub_f32_e32 v58, s20, v136
	v_sub_f32_e32 v59, s20, v135
	;; [unrolled: 1-line block ×3, first 2 shown]
	v_mul_f32_e32 v58, 0x3fb8aa3b, v58
	v_mul_f32_e32 v59, 0x3fb8aa3b, v59
	;; [unrolled: 1-line block ×4, first 2 shown]
	v_mfma_f32_16x16x16_bf16 a[8:11], v[142:143], v[52:53], a[8:11]
	v_exp_f32_e32 v58, v58
	v_exp_f32_e32 v59, v59
	;; [unrolled: 1-line block ×4, first 2 shown]
	v_accvgpr_read_b32 v65, a5
	v_accvgpr_read_b32 v64, a4
	;; [unrolled: 1-line block ×4, first 2 shown]
	v_pk_add_f32 v[62:63], v[62:63], v[64:65] neg_lo:[0,1] neg_hi:[0,1]
	s_waitcnt vmcnt(13)
	v_lshlrev_b32_e32 v65, 16, v147
	s_waitcnt vmcnt(12)
	v_lshlrev_b32_e32 v64, 16, v148
	v_pk_add_f32 v[50:51], v[64:65], v[50:51] neg_lo:[0,1] neg_hi:[0,1]
	v_pk_mul_f32 v[62:63], v[58:59], v[62:63]
	v_pk_mul_f32 v[50:51], v[60:61], v[50:51]
	v_accvgpr_read_b32 v65, a9
	v_perm_b32 v51, v51, v50, s3
	v_perm_b32 v50, v63, v62, s3
	v_accvgpr_read_b32 v64, a8
	v_accvgpr_read_b32 v53, a11
	v_mfma_f32_16x16x16_bf16 a[12:15], v[142:143], v[56:57], a[12:15]
	v_accvgpr_read_b32 v52, a10
	v_accvgpr_read_b32 v57, a3
	;; [unrolled: 1-line block ×3, first 2 shown]
	v_mov_b32_e32 v135, 0
	s_waitcnt vmcnt(11)
	v_lshlrev_b32_e32 v63, 16, v138
	s_waitcnt vmcnt(10)
	v_lshlrev_b32_e32 v62, 16, v139
	v_pk_add_f32 v[62:63], v[62:63], v[64:65] neg_lo:[0,1] neg_hi:[0,1]
	s_waitcnt vmcnt(9)
	v_lshlrev_b32_e32 v65, 16, v149
	s_waitcnt vmcnt(8)
	v_lshlrev_b32_e32 v64, 16, v150
	v_pk_add_f32 v[52:53], v[64:65], v[52:53] neg_lo:[0,1] neg_hi:[0,1]
	v_pk_mul_f32 v[62:63], v[58:59], v[62:63]
	v_pk_mul_f32 v[52:53], v[60:61], v[52:53]
	v_accvgpr_read_b32 v55, a15
	v_perm_b32 v53, v53, v52, s3
	v_perm_b32 v52, v63, v62, s3
	ds_write2_b64 v89, v[50:51], v[52:53] offset1:16
	v_accvgpr_read_b32 v53, a13
	s_waitcnt vmcnt(7)
	v_lshlrev_b32_e32 v51, 16, v151
	s_waitcnt vmcnt(6)
	v_lshlrev_b32_e32 v50, 16, v152
	v_accvgpr_read_b32 v52, a12
	v_accvgpr_read_b32 v54, a14
	v_pk_add_f32 v[50:51], v[50:51], v[52:53] neg_lo:[0,1] neg_hi:[0,1]
	s_waitcnt vmcnt(5)
	v_lshlrev_b32_e32 v53, 16, v153
	s_waitcnt vmcnt(4)
	v_lshlrev_b32_e32 v52, 16, v154
	v_pk_add_f32 v[52:53], v[52:53], v[54:55] neg_lo:[0,1] neg_hi:[0,1]
	v_pk_mul_f32 v[50:51], v[58:59], v[50:51]
	v_pk_mul_f32 v[52:53], v[60:61], v[52:53]
	v_accvgpr_read_b32 v55, a1
	v_perm_b32 v53, v53, v52, s3
	v_perm_b32 v52, v51, v50, s3
	s_waitcnt vmcnt(3)
	v_lshlrev_b32_e32 v51, 16, v140
	s_waitcnt vmcnt(2)
	v_lshlrev_b32_e32 v50, 16, v141
	v_accvgpr_read_b32 v54, a0
	v_pk_add_f32 v[50:51], v[50:51], v[54:55] neg_lo:[0,1] neg_hi:[0,1]
	s_waitcnt vmcnt(1)
	v_lshlrev_b32_e32 v55, 16, v155
	s_waitcnt vmcnt(0)
	v_lshlrev_b32_e32 v54, 16, v156
	v_pk_add_f32 v[54:55], v[54:55], v[56:57] neg_lo:[0,1] neg_hi:[0,1]
	v_pk_mul_f32 v[50:51], v[58:59], v[50:51]
	v_pk_mul_f32 v[54:55], v[60:61], v[54:55]
	v_mov_b32_e32 v56, 0
	v_perm_b32 v55, v55, v54, s3
	v_perm_b32 v54, v51, v50, s3
	ds_write2_b64 v89, v[52:53], v[54:55] offset0:32 offset1:48
	v_mov_b32_e32 v50, 0
	v_mov_b32_e32 v51, 0
	;; [unrolled: 1-line block ×15, first 2 shown]
	s_cbranch_vccnz .LBB252_14
; %bb.13:                               ;   in Loop: Header=BB252_6 Depth=1
	s_and_b32 s25, s25, 0xffff
	s_mov_b32 s27, s23
	buffer_load_dwordx4 v[62:65], v126, s[24:27], 0 offen
	buffer_load_dwordx4 v[54:57], v126, s[24:27], s58 offen
	;; [unrolled: 1-line block ×4, first 2 shown]
	v_mov_b32_e32 v134, v83
	v_mov_b32_e32 v135, v82
.LBB252_14:                             ;   in Loop: Header=BB252_6 Depth=1
	s_waitcnt lgkmcnt(0)
	s_barrier
	ds_read_b64 v[144:145], v67
	ds_read2_b64 v[136:139], v119 offset1:16
	ds_read_b64 v[160:161], v128
	ds_read_b64 v[162:163], v129
	;; [unrolled: 1-line block ×3, first 2 shown]
	ds_read2_b64 v[140:143], v119 offset0:32 offset1:48
	s_waitcnt lgkmcnt(4)
	v_mfma_f32_16x16x16_bf16 a[0:3], v[144:145], v[136:137], 0
	ds_read2st64_b64 v[148:151], v121 offset0:4 offset1:8
	ds_read2st64_b64 v[152:155], v122 offset0:4 offset1:8
	;; [unrolled: 1-line block ×3, first 2 shown]
	v_mfma_f32_16x16x16_bf16 a[4:7], v[144:145], v[138:139], 0
	s_add_i32 s21, s53, s65
	s_mul_hi_i32 s25, s21, s13
	s_mul_i32 s21, s21, s13
	s_waitcnt lgkmcnt(3)
	v_mfma_f32_16x16x16_bf16 a[8:11], v[144:145], v[140:141], 0
	s_add_u32 s24, s21, s46
	s_addc_u32 s25, s25, s47
	s_lshl_b64 s[24:25], s[24:25], 15
	v_mfma_f32_16x16x16_bf16 a[12:15], v[144:145], v[142:143], 0
	ds_read2st64_b64 v[144:147], v119 offset0:4 offset1:8
	s_waitcnt lgkmcnt(0)
	v_mfma_f32_16x16x16_bf16 a[0:3], v[160:161], v[144:145], a[0:3]
	v_mfma_f32_16x16x16_bf16 a[4:7], v[160:161], v[148:149], a[4:7]
	;; [unrolled: 1-line block ×8, first 2 shown]
	ds_read_b64 v[160:161], v119 offset:6144
	ds_read_b64 v[162:163], v120 offset:40960
	;; [unrolled: 1-line block ×8, first 2 shown]
	s_waitcnt lgkmcnt(5)
	v_mfma_f32_16x16x16_bf16 a[16:19], v[166:167], v[136:137], 0
	v_mfma_f32_16x16x16_bf16 a[20:23], v[166:167], v[138:139], 0
	ds_read2st64_b64 v[136:139], v116 offset1:8
	v_mfma_f32_16x16x16_bf16 a[24:27], v[166:167], v[140:141], 0
	v_mfma_f32_16x16x16_bf16 a[28:31], v[166:167], v[142:143], 0
	ds_read2st64_b64 v[140:143], v117 offset1:8
	v_mfma_f32_16x16x16_bf16 a[16:19], v[162:163], v[144:145], a[16:19]
	s_waitcnt lgkmcnt(1)
	v_mov_b32_e32 v144, v136
	v_mov_b32_e32 v145, v137
	v_mfma_f32_16x16x16_bf16 a[20:23], v[162:163], v[148:149], a[20:23]
	v_lshl_add_u64 v[148:149], v[72:73], 0, s[24:25]
	v_mfma_f32_16x16x16_bf16 a[24:27], v[162:163], v[152:153], a[24:27]
	v_mfma_f32_16x16x16_bf16 a[28:31], v[162:163], v[156:157], a[28:31]
	;; [unrolled: 1-line block ×3, first 2 shown]
	s_waitcnt lgkmcnt(0)
	v_mov_b32_e32 v146, v140
	v_mov_b32_e32 v147, v141
	;; [unrolled: 1-line block ×3, first 2 shown]
	v_mfma_f32_16x16x16_bf16 a[32:35], v[174:175], v[150:151], a[20:23]
	v_mov_b32_e32 v141, v139
	ds_read2st64_b64 v[136:139], v116 offset0:16 offset1:24
	global_store_dwordx4 v[148:149], v[144:147], off
	v_mfma_f32_16x16x16_bf16 a[24:27], v[174:175], v[154:155], a[24:27]
	ds_read2st64_b64 v[144:147], v117 offset0:16 offset1:24
	v_add_co_u32_e32 v150, vcc, s31, v148
	v_mfma_f32_16x16x16_bf16 a[28:31], v[174:175], v[158:159], a[28:31]
	s_nop 0
	v_addc_co_u32_e32 v151, vcc, 0, v149, vcc
	global_store_dwordx4 v[150:151], v[140:143], off offset:-4096
	v_mfma_f32_16x16x16_bf16 a[0:3], v[164:165], v[160:161], a[0:3]
	s_waitcnt lgkmcnt(1)
	v_mov_b32_e32 v140, v136
	v_add_co_u32_e32 v136, vcc, s35, v148
	v_mfma_f32_16x16x16_bf16 a[4:7], v[164:165], v[168:169], a[4:7]
	v_mov_b32_e32 v141, v137
	v_addc_co_u32_e32 v137, vcc, 0, v149, vcc
	v_mfma_f32_16x16x16_bf16 a[8:11], v[164:165], v[170:171], a[8:11]
	s_waitcnt lgkmcnt(0)
	v_mov_b32_e32 v142, v144
	v_mov_b32_e32 v143, v145
	;; [unrolled: 1-line block ×3, first 2 shown]
	v_mfma_f32_16x16x16_bf16 a[12:15], v[164:165], v[172:173], a[12:15]
	v_mov_b32_e32 v145, v139
	s_and_b64 vcc, exec, s[0:1]
	global_store_dwordx4 v[150:151], v[140:143], off
	v_mfma_f32_16x16x16_bf16 a[20:23], v[176:177], v[160:161], a[16:19]
	global_store_dwordx4 v[136:137], v[144:147], off
	v_mfma_f32_16x16x16_bf16 a[16:19], v[176:177], v[168:169], a[32:35]
	v_mfma_f32_16x16x16_bf16 a[24:27], v[176:177], v[170:171], a[24:27]
	;; [unrolled: 1-line block ×3, first 2 shown]
	s_cbranch_vccnz .LBB252_16
; %bb.15:                               ;   in Loop: Header=BB252_6 Depth=1
	v_lshrrev_b32_e32 v136, 3, v134
	v_and_b32_e32 v136, 6, v136
	v_xor_b32_e32 v135, v136, v135
	v_lshlrev_b32_e32 v135, 2, v135
	v_and_b32_e32 v134, 8, v134
	v_xor_b32_e32 v137, 0x440, v135
	v_cmp_eq_u32_e32 vcc, 0, v134
	s_barrier
	s_nop 0
	v_cndmask_b32_e32 v134, v137, v135, vcc
	v_lshl_or_b32 v134, v136, 10, v134
	s_waitcnt vmcnt(5)
	v_perm_b32 v135, v62, v58, s60
	s_waitcnt vmcnt(4)
	v_perm_b32 v136, v54, v50, s60
	ds_write2st64_b32 v134, v135, v136 offset0:128 offset1:160
	v_xor_b32_e32 v135, 8, v134
	v_perm_b32 v58, v62, v58, s61
	v_perm_b32 v50, v54, v50, s61
	v_add_u32_e32 v54, 0x80, v135
	ds_write2st64_b32 v54, v58, v50 offset0:128 offset1:160
	v_xor_b32_e32 v50, 16, v134
	v_perm_b32 v54, v63, v59, s60
	v_perm_b32 v58, v55, v51, s60
	ds_write2st64_b32 v50, v54, v58 offset0:129 offset1:161
	v_xor_b32_e32 v50, 24, v134
	v_perm_b32 v54, v63, v59, s61
	v_perm_b32 v51, v55, v51, s61
	v_add_u32_e32 v50, 0x80, v50
	ds_write2st64_b32 v50, v54, v51 offset0:129 offset1:161
	v_xor_b32_e32 v50, 32, v134
	v_perm_b32 v51, v64, v60, s60
	;; [unrolled: 9-line block ×3, first 2 shown]
	v_perm_b32 v52, v57, v53, s60
	ds_write2st64_b32 v50, v51, v52 offset0:131 offset1:163
	v_xor_b32_e32 v50, 56, v134
	v_perm_b32 v51, v65, v61, s61
	v_perm_b32 v52, v57, v53, s61
	v_add_u32_e32 v50, 0x80, v50
	ds_write2st64_b32 v50, v51, v52 offset0:131 offset1:163
	ds_write_b64 v133, v[46:47] offset:49152
	v_xor_b32_e32 v46, 8, v133
	ds_write_b64 v46, v[48:49] offset:49152
	ds_write_b64 v133, v[42:43] offset:57344
	;; [unrolled: 1-line block ×4, first 2 shown]
	v_xor_b32_e32 v38, 8, v132
	ds_write_b64 v38, v[40:41] offset:49152
	ds_write_b64 v132, v[34:35] offset:57344
	;; [unrolled: 1-line block ×3, first 2 shown]
.LBB252_16:                             ;   in Loop: Header=BB252_6 Depth=1
	s_waitcnt vmcnt(6)
	v_mul_f32_e32 v54, s20, v131
	v_exp_f32_e32 v132, v54
	v_accvgpr_read_b32 v37, a3
	v_accvgpr_read_b32 v41, a7
	;; [unrolled: 1-line block ×4, first 2 shown]
	s_waitcnt vmcnt(4)
	v_accvgpr_read_b32 v53, a23
	v_accvgpr_read_b32 v57, a19
	;; [unrolled: 1-line block ×28, first 2 shown]
	s_add_i32 s59, s59, 64
	v_pk_fma_f32 v[22:23], v[22:23], v[132:133], v[34:35] op_sel_hi:[1,0,1]
	v_pk_fma_f32 v[24:25], v[24:25], v[132:133], v[36:37] op_sel_hi:[1,0,1]
	;; [unrolled: 1-line block ×15, first 2 shown]
	s_cmp_eq_u32 s50, s64
	v_pk_fma_f32 v[12:13], v[12:13], v[132:133], v[64:65] op_sel_hi:[1,0,1]
	s_cbranch_scc1 .LBB252_18
; %bb.17:                               ;   in Loop: Header=BB252_6 Depth=1
	s_mov_b32 s65, s64
	s_branch .LBB252_6
.LBB252_18:
	s_lshl_b32 s26, s50, 6
	s_sub_i32 s27, s12, s26
	s_cmp_gt_i32 s27, 0
	s_cbranch_scc0 .LBB252_99
; %bb.19:
	s_ashr_i32 s3, s26, 31
	s_cmpk_lg_i32 s15, 0x80
	s_cselect_b64 s[22:23], -1, 0
	s_and_b64 vcc, exec, s[22:23]
	s_cbranch_vccz .LBB252_21
; %bb.20:
	s_mul_i32 s1, s49, s12
	s_mul_hi_i32 s0, s49, s12
	s_add_u32 s1, s1, s26
	s_addc_u32 s0, s0, s3
	s_mul_i32 s17, s1, s51
	s_mul_hi_u32 s20, s1, s14
	s_add_i32 s17, s20, s17
	s_mul_i32 s0, s0, s14
	s_add_i32 s17, s17, s0
	s_mul_i32 s1, s1, s14
	s_ashr_i32 s0, s52, 31
	s_add_u32 s24, s1, s52
	s_addc_u32 s25, s17, s0
	s_cbranch_execz .LBB252_22
	s_branch .LBB252_23
.LBB252_21:
                                        ; implicit-def: $sgpr24_sgpr25
.LBB252_22:
	s_mul_hi_i32 s0, s49, s14
	s_mul_i32 s49, s49, s14
	s_ashr_i32 s1, s52, 31
	s_add_u32 s14, s49, s52
	s_addc_u32 s0, s0, s1
	s_mul_i32 s1, s14, s48
	s_mul_hi_u32 s17, s14, s12
	s_add_i32 s1, s17, s1
	s_mul_i32 s0, s0, s12
	s_add_i32 s1, s1, s0
	s_mul_i32 s14, s14, s12
	s_add_u32 s24, s14, s26
	s_addc_u32 s25, s1, s3
.LBB252_23:
	s_mul_i32 s0, s36, s48
	s_add_i32 s0, s55, s0
	s_add_i32 s14, s53, s50
	s_add_i32 s1, s0, s54
	s_add_u32 s0, s16, s26
	s_addc_u32 s1, s1, s3
	v_lshlrev_b32_e32 v35, 6, v80
	v_lshlrev_b32_e32 v34, 2, v77
	s_mov_b32 s3, 0x7060302
	s_waitcnt vmcnt(7)
	v_perm_b32 v25, v25, v24, s3
	v_perm_b32 v24, v23, v22, s3
	s_waitcnt vmcnt(6)
	v_perm_b32 v22, v31, v30, s3
	v_or_b32_e32 v30, v35, v34
	v_xor_b32_e32 v36, v80, v34
	v_perm_b32 v23, v33, v32, s3
	v_lshlrev_b32_e32 v30, 1, v30
	ds_write2st64_b64 v30, v[24:25], v[22:23] offset0:32 offset1:48
	v_lshlrev_b32_e32 v30, 1, v36
	v_lshlrev_b32_e32 v31, 8, v77
	v_xor_b32_e32 v37, v81, v34
	v_or_b32_e32 v32, v30, v31
	ds_write_b64 v32, v[24:25]
	v_lshlrev_b32_e32 v24, 1, v37
	v_or_b32_e32 v25, v24, v31
	ds_write_b64 v25, v[22:23]
	v_or_b32_e32 v22, 16, v77
	v_lshlrev_b32_e32 v23, 2, v22
	v_or_b32_e32 v25, v35, v23
	s_waitcnt vmcnt(5)
	v_perm_b32 v17, v17, v16, s3
	v_perm_b32 v16, v15, v14, s3
	s_waitcnt vmcnt(4)
	v_perm_b32 v15, v29, v28, s3
	v_perm_b32 v14, v27, v26, s3
	v_lshlrev_b32_e32 v25, 1, v25
	v_lshlrev_b32_e32 v22, 8, v22
	ds_write2st64_b64 v25, v[16:17], v[14:15] offset0:32 offset1:48
	v_or_b32_e32 v25, v30, v22
	ds_write_b64 v25, v[16:17]
	v_or_b32_e32 v16, v24, v22
	ds_write_b64 v16, v[14:15]
	v_or_b32_e32 v14, 32, v77
	v_lshlrev_b32_e32 v22, 2, v14
	v_or_b32_e32 v15, v35, v22
	s_waitcnt vmcnt(3)
	v_perm_b32 v9, v9, v8, s3
	v_perm_b32 v8, v7, v6, s3
	s_waitcnt vmcnt(2)
	v_perm_b32 v7, v21, v20, s3
	v_perm_b32 v6, v19, v18, s3
	v_lshlrev_b32_e32 v15, 1, v15
	v_lshlrev_b32_e32 v14, 8, v14
	s_lshl_b64 s[20:21], s[0:1], 8
	ds_write2st64_b64 v15, v[8:9], v[6:7] offset0:32 offset1:48
	v_or_b32_e32 v15, v30, v14
	s_add_u32 s0, s6, s20
	ds_write_b64 v15, v[8:9]
	v_or_b32_e32 v8, v24, v14
	s_addc_u32 s1, s7, s21
	ds_write_b64 v8, v[6:7]
	s_waitcnt vmcnt(1)
	v_perm_b32 v5, v5, v4, s3
	v_perm_b32 v4, v3, v2, s3
	s_waitcnt vmcnt(0)
	v_perm_b32 v3, v13, v12, s3
	v_perm_b32 v2, v11, v10, s3
	v_or_b32_e32 v6, 48, v77
	s_mul_hi_i32 s3, s14, s13
	s_mul_i32 s14, s14, s13
	v_lshlrev_b32_e32 v19, 2, v6
	s_add_u32 s6, s14, s46
	v_or_b32_e32 v7, v35, v19
	s_addc_u32 s7, s3, s47
	v_lshlrev_b32_e32 v7, 1, v7
	v_lshlrev_b32_e32 v6, 8, v6
	s_ashr_i32 s3, s2, 31
	s_lshl_b64 s[6:7], s[6:7], 15
	ds_write2st64_b64 v7, v[4:5], v[2:3] offset0:32 offset1:48
	v_or_b32_e32 v7, v30, v6
	s_add_u32 s6, s18, s6
	ds_write_b64 v7, v[4:5]
	v_or_b32_e32 v4, v24, v6
	s_addc_u32 s7, s19, s7
	s_lshl_b64 s[2:3], s[2:3], 8
	ds_write_b64 v4, v[2:3]
	s_add_u32 s2, s6, s2
	v_lshlrev_b32_e32 v3, 1, v77
	v_lshrrev_b32_e32 v2, 4, v0
	s_addc_u32 s3, s7, s3
	v_or_b32_e32 v4, 1, v3
	v_lshlrev_b32_e32 v10, 4, v77
	v_mov_b32_e32 v11, 0
	v_xor_b32_e32 v3, v2, v3
	v_xor_b32_e32 v6, v4, v2
	v_lshl_add_u64 v[12:13], s[2:3], 0, v[10:11]
	v_lshlrev_b32_e32 v10, 8, v2
	v_lshl_or_b32 v16, v3, 3, v10
	v_lshl_or_b32 v17, v6, 3, v10
	s_waitcnt lgkmcnt(0)
	s_barrier
	ds_read2st64_b64 v[2:5], v16 offset1:8
	ds_read2st64_b64 v[6:9], v17 offset1:8
	v_lshl_add_u64 v[14:15], v[12:13], 0, v[10:11]
	s_movk_i32 s2, 0x2000
	s_cmp_lg_u32 s27, 64
	s_waitcnt lgkmcnt(1)
	v_mov_b32_e32 v10, v2
	v_mov_b32_e32 v11, v3
	s_waitcnt lgkmcnt(0)
	v_mov_b32_e32 v12, v6
	v_mov_b32_e32 v13, v7
	global_store_dwordx4 v[14:15], v[10:13], off
	v_mov_b32_e32 v6, v4
	v_mov_b32_e32 v7, v5
	ds_read2st64_b64 v[2:5], v16 offset0:16 offset1:24
	ds_read2st64_b64 v[10:13], v17 offset0:16 offset1:24
	v_add_co_u32_e32 v16, vcc, s2, v14
	s_cselect_b64 s[6:7], -1, 0
	s_nop 0
	v_addc_co_u32_e32 v17, vcc, 0, v15, vcc
	global_store_dwordx4 v[16:17], v[6:9], off offset:-4096
	v_lshl_or_b32 v24, v75, 3, v79
	s_mov_b32 s16, 0
	s_waitcnt lgkmcnt(1)
	v_mov_b32_e32 v6, v2
	v_add_co_u32_e32 v2, vcc, 0x3000, v14
	v_mov_b32_e32 v7, v3
	s_nop 0
	v_addc_co_u32_e32 v3, vcc, 0, v15, vcc
	s_waitcnt lgkmcnt(0)
	v_mov_b32_e32 v8, v10
	v_mov_b32_e32 v9, v11
	;; [unrolled: 1-line block ×4, first 2 shown]
	v_or_b32_e32 v20, 32, v24
	v_and_b32_e32 v18, 56, v78
	s_and_b64 vcc, exec, s[6:7]
	global_store_dwordx4 v[16:17], v[6:9], off
	global_store_dwordx4 v[2:3], v[10:13], off
	s_cbranch_vccz .LBB252_29
; %bb.24:
	s_mov_b32 s17, s16
	s_mov_b32 s18, s16
	;; [unrolled: 1-line block ×3, first 2 shown]
	v_mov_b64_e32 v[6:7], s[16:17]
	v_mov_b64_e32 v[8:9], s[18:19]
	;; [unrolled: 1-line block ×3, first 2 shown]
	v_cmp_gt_i32_e32 vcc, s27, v24
	v_mov_b64_e32 v[4:5], v[8:9]
	s_and_saveexec_b64 s[2:3], vcc
	s_cbranch_execz .LBB252_26
; %bb.25:
	v_lshlrev_b32_e32 v2, 8, v24
	v_mov_b32_e32 v3, 0
	v_lshl_add_u64 v[4:5], s[0:1], 0, v[2:3]
	v_lshlrev_b32_e32 v2, 1, v18
	v_lshl_add_u64 v[10:11], v[4:5], 0, v[2:3]
	global_load_dwordx4 v[6:9], v[10:11], off
	global_load_dwordx4 v[2:5], v[10:11], off offset:128
.LBB252_26:
	s_or_b64 exec, exec, s[2:3]
	s_mov_b32 s17, s16
	s_mov_b32 s18, s16
	;; [unrolled: 1-line block ×3, first 2 shown]
	v_mov_b64_e32 v[14:15], s[16:17]
	v_mov_b64_e32 v[16:17], s[18:19]
	;; [unrolled: 1-line block ×3, first 2 shown]
	v_cmp_gt_i32_e32 vcc, s27, v20
	v_lshlrev_b32_e32 v21, 7, v20
	v_mov_b64_e32 v[12:13], v[16:17]
	s_and_saveexec_b64 s[2:3], vcc
	s_cbranch_execz .LBB252_28
; %bb.27:
	v_lshlrev_b32_e32 v10, 1, v21
	v_mov_b32_e32 v11, 0
	v_lshl_add_u64 v[12:13], s[0:1], 0, v[10:11]
	v_lshlrev_b32_e32 v10, 1, v18
	v_lshl_add_u64 v[26:27], v[12:13], 0, v[10:11]
	global_load_dwordx4 v[14:17], v[26:27], off
	global_load_dwordx4 v[10:13], v[26:27], off offset:128
.LBB252_28:
	s_or_b64 exec, exec, s[2:3]
	v_lshrrev_b32_e32 v25, 3, v18
	v_lshlrev_b32_e32 v26, 3, v24
	v_or_b32_e32 v25, v26, v25
	v_lshlrev_b32_e32 v25, 4, v25
	v_and_b32_e32 v26, 0x78, v26
	v_xor_b32_e32 v25, v25, v26
	s_branch .LBB252_31
.LBB252_29:
                                        ; implicit-def: $vgpr25
                                        ; implicit-def: $vgpr21
                                        ; implicit-def: $vgpr6_vgpr7_vgpr8_vgpr9
                                        ; implicit-def: $vgpr2_vgpr3_vgpr4_vgpr5
                                        ; implicit-def: $vgpr14_vgpr15_vgpr16_vgpr17
                                        ; implicit-def: $vgpr10_vgpr11_vgpr12_vgpr13
	s_cbranch_execz .LBB252_31
; %bb.30:
	s_waitcnt vmcnt(0)
	v_lshlrev_b32_e32 v2, 1, v18
	v_lshl_or_b32 v21, v24, 8, v2
	s_and_b32 s1, s1, 0xffff
	s_mov_b32 s3, 0x20000
	s_movk_i32 s2, 0x4000
	v_lshl_or_b32 v25, v20, 8, v2
	s_movk_i32 s13, 0x80
	buffer_load_dwordx4 v[6:9], v21, s[0:3], 0 offen
	buffer_load_dwordx4 v[2:5], v21, s[0:3], s13 offen
	;; [unrolled: 1-line block ×4, first 2 shown]
	v_lshrrev_b32_e32 v21, 3, v18
	v_lshlrev_b32_e32 v25, 3, v24
	v_or_b32_e32 v21, v25, v21
	v_lshlrev_b32_e32 v21, 4, v21
	v_and_b32_e32 v25, 0x78, v25
	v_xor_b32_e32 v25, v21, v25
	v_lshlrev_b32_e32 v21, 7, v20
.LBB252_31:
	s_movk_i32 s0, 0x1000
	v_and_or_b32 v20, v21, s0, v25
	s_waitcnt vmcnt(1)
	ds_write_b64 v25, v[6:7] offset:49152
	v_xor_b32_e32 v6, 8, v25
	ds_write_b64 v6, v[8:9] offset:49152
	s_waitcnt vmcnt(0)
	ds_write_b64 v25, v[2:3] offset:57344
	ds_write_b64 v6, v[4:5] offset:57344
	;; [unrolled: 1-line block ×3, first 2 shown]
	v_xor_b32_e32 v2, 8, v20
	ds_write_b64 v2, v[16:17] offset:49152
	ds_write_b64 v20, v[10:11] offset:57344
	ds_write_b64 v2, v[12:13] offset:57344
	v_or_b32_e32 v2, v1, v77
	v_lshlrev_b32_e32 v3, 11, v75
	v_lshlrev_b32_e32 v2, 3, v2
	v_and_b32_e32 v6, 0x1000, v3
	v_lshrrev_b32_e32 v3, 5, v74
	s_movk_i32 s0, 0xf8
	v_and_or_b32 v3, v2, s0, v3
	v_lshlrev_b32_e32 v7, 4, v3
	v_and_b32_e32 v8, 0x78, v2
	v_or_b32_e32 v10, 32, v7
	v_lshrrev_b32_e32 v3, 1, v74
	v_xor_b32_e32 v10, v10, v8
	v_xor_b32_e32 v2, v7, v8
	v_and_b32_e32 v9, 8, v3
	v_or_b32_e32 v10, v10, v6
	v_or_b32_e32 v2, v2, v6
	v_xor_b32_e32 v27, v10, v9
	v_or_b32_e32 v10, 64, v7
	v_xor_b32_e32 v26, v2, v9
	v_xor_b32_e32 v10, v10, v8
	s_waitcnt lgkmcnt(0)
	s_barrier
	v_or_b32_e32 v13, v10, v6
	ds_read_b64 v[10:11], v26 offset:49152
	v_lshl_or_b32 v14, v76, 8, v34
	v_lshlrev_b32_e32 v25, 1, v14
	v_add_u32_e32 v12, 0x4000, v25
	ds_read2_b64 v[2:5], v12 offset1:16
	v_or_b32_e32 v7, 0x60, v7
	v_xor_b32_e32 v7, v7, v8
	v_or_b32_e32 v6, v7, v6
	v_xor_b32_e32 v28, v13, v9
	v_xor_b32_e32 v29, v6, v9
	ds_read_b64 v[20:21], v27 offset:49152
	ds_read_b64 v[36:37], v28 offset:49152
	;; [unrolled: 1-line block ×3, first 2 shown]
	s_waitcnt lgkmcnt(3)
	v_mfma_f32_16x16x16_bf16 a[0:3], v[10:11], v[2:3], 0
	ds_read2st64_b64 v[6:9], v25 offset0:36 offset1:40
	s_lshl_b64 s[0:1], s[24:25], 8
	s_add_u32 s4, s4, s0
	v_mfma_f32_16x16x16_bf16 a[4:7], v[10:11], v[4:5], 0
	ds_read2_b64 v[2:5], v12 offset0:32 offset1:48
	s_addc_u32 s5, s5, s1
	s_add_i32 s1, s42, s33
	s_waitcnt lgkmcnt(0)
	v_mfma_f32_16x16x16_bf16 a[8:11], v[10:11], v[2:3], 0
	v_or_b32_e32 v2, 64, v14
	v_lshlrev_b32_e32 v30, 1, v2
	s_add_i32 s0, s12, -1
	v_mfma_f32_16x16x16_bf16 a[12:15], v[10:11], v[4:5], 0
	ds_read2st64_b64 v[2:5], v30 offset0:36 offset1:40
	s_add_i32 s35, s1, s37
	s_add_i32 s1, s44, s43
	v_mfma_f32_16x16x16_bf16 a[0:3], v[20:21], v[6:7], a[0:3]
	v_or_b32_e32 v6, 0x80, v14
	v_lshlrev_b32_e32 v31, 1, v6
	ds_read2st64_b64 v[10:13], v31 offset0:36 offset1:40
	s_waitcnt lgkmcnt(1)
	v_mfma_f32_16x16x16_bf16 a[4:7], v[20:21], v[2:3], a[4:7]
	v_or_b32_e32 v2, 0xc0, v14
	v_lshlrev_b32_e32 v32, 1, v2
	ds_read2st64_b64 v[14:17], v32 offset0:36 offset1:40
	s_add_i32 s31, s1, s45
	s_ashr_i32 s1, s0, 31
	s_mul_i32 s2, s0, s29
	s_mul_hi_u32 s3, s0, s28
	s_add_i32 s2, s3, s2
	s_mul_i32 s1, s1, s28
	s_waitcnt lgkmcnt(1)
	v_mfma_f32_16x16x16_bf16 a[8:11], v[20:21], v[10:11], a[8:11]
	s_add_i32 s1, s2, s1
	s_lshl_b64 s[2:3], s[34:35], 2
	s_add_u32 s10, s10, s2
	s_waitcnt lgkmcnt(0)
	v_mfma_f32_16x16x16_bf16 a[12:15], v[20:21], v[14:15], a[12:15]
	s_addc_u32 s11, s11, s3
	s_lshl_b64 s[2:3], s[30:31], 2
	s_mul_i32 s0, s0, s28
	v_mfma_f32_16x16x16_bf16 a[0:3], v[36:37], v[8:9], a[0:3]
	ds_read_b64 v[2:3], v25 offset:22528
	s_add_u32 s10, s10, s2
	s_addc_u32 s11, s11, s3
	v_mfma_f32_16x16x16_bf16 a[4:7], v[36:37], v[4:5], a[4:7]
	ds_read_b64 v[4:5], v30 offset:22528
	ds_read_b64 v[6:7], v31 offset:22528
	;; [unrolled: 1-line block ×3, first 2 shown]
	s_lshl_b64 s[0:1], s[0:1], 2
	s_add_u32 s0, s10, s0
	v_mfma_f32_16x16x16_bf16 a[8:11], v[36:37], v[12:13], a[8:11]
	s_addc_u32 s1, s11, s1
	s_load_dword s12, s[0:1], 0x0
	s_and_b64 vcc, exec, s[22:23]
	v_mfma_f32_16x16x16_bf16 a[12:15], v[36:37], v[16:17], a[12:15]
	s_waitcnt lgkmcnt(0)
	v_mfma_f32_16x16x16_bf16 a[0:3], v[38:39], v[2:3], a[0:3]
	v_mfma_f32_16x16x16_bf16 a[4:7], v[38:39], v[4:5], a[4:7]
	;; [unrolled: 1-line block ×4, first 2 shown]
	s_cbranch_vccz .LBB252_42
; %bb.32:
	v_lshlrev_b32_e32 v20, 1, v24
	s_and_b64 vcc, exec, s[6:7]
	s_cbranch_vccz .LBB252_43
; %bb.33:
	v_cmp_gt_i32_e32 vcc, s27, v20
	v_mov_b32_e32 v6, 0
	v_mov_b32_e32 v2, 0
	;; [unrolled: 1-line block ×5, first 2 shown]
	s_and_saveexec_b64 s[0:1], vcc
	s_cbranch_execz .LBB252_35
; %bb.34:
	v_mad_i64_i32 v[2:3], s[2:3], s15, v20, 0
	v_lshl_add_u64 v[2:3], v[2:3], 1, s[4:5]
	v_lshlrev_b32_e32 v4, 1, v18
	v_mov_b32_e32 v5, 0
	v_lshl_add_u64 v[2:3], v[2:3], 0, v[4:5]
	global_load_dwordx4 v[2:5], v[2:3], off
.LBB252_35:
	s_or_b64 exec, exec, s[0:1]
	v_or_b32_e32 v21, 1, v20
	v_cmp_gt_i32_e64 s[0:1], s27, v21
	v_mov_b32_e32 v7, 0
	v_mov_b32_e32 v8, 0
	;; [unrolled: 1-line block ×3, first 2 shown]
	s_and_saveexec_b64 s[2:3], s[0:1]
	s_cbranch_execz .LBB252_37
; %bb.36:
	v_mad_i64_i32 v[6:7], s[16:17], s15, v21, 0
	v_lshl_add_u64 v[6:7], v[6:7], 1, s[4:5]
	v_lshlrev_b32_e32 v8, 1, v18
	v_mov_b32_e32 v9, 0
	v_lshl_add_u64 v[6:7], v[6:7], 0, v[8:9]
	global_load_dwordx4 v[6:9], v[6:7], off
.LBB252_37:
	s_or_b64 exec, exec, s[2:3]
	v_mov_b32_e32 v17, 0
	v_mov_b32_e32 v10, 0
	;; [unrolled: 1-line block ×5, first 2 shown]
	s_and_saveexec_b64 s[2:3], vcc
	s_cbranch_execz .LBB252_39
; %bb.38:
	v_mad_i64_i32 v[10:11], s[16:17], s15, v20, 0
	v_lshl_add_u64 v[10:11], v[10:11], 1, s[4:5]
	v_lshlrev_b32_e32 v12, 1, v18
	v_mov_b32_e32 v13, 0
	v_lshl_add_u64 v[10:11], v[10:11], 0, v[12:13]
	global_load_dwordx4 v[10:13], v[10:11], off offset:128
.LBB252_39:
	s_or_b64 exec, exec, s[2:3]
	v_mov_b32_e32 v16, 0
	v_mov_b32_e32 v15, 0
	;; [unrolled: 1-line block ×3, first 2 shown]
	s_and_saveexec_b64 s[2:3], s[0:1]
	s_cbranch_execz .LBB252_41
; %bb.40:
	v_mad_i64_i32 v[14:15], s[0:1], s15, v21, 0
	v_lshl_add_u64 v[14:15], v[14:15], 1, s[4:5]
	v_lshlrev_b32_e32 v16, 1, v18
	v_mov_b32_e32 v17, 0
	v_lshl_add_u64 v[14:15], v[14:15], 0, v[16:17]
	global_load_dwordx4 v[14:17], v[14:15], off offset:128
.LBB252_41:
	s_or_b64 exec, exec, s[2:3]
	s_branch .LBB252_45
.LBB252_42:
                                        ; implicit-def: $vgpr5
                                        ; implicit-def: $vgpr9
                                        ; implicit-def: $vgpr13
                                        ; implicit-def: $vgpr17
	v_lshrrev_b32_e32 v33, 2, v74
	s_branch .LBB252_46
.LBB252_43:
                                        ; implicit-def: $vgpr5
                                        ; implicit-def: $vgpr9
                                        ; implicit-def: $vgpr13
                                        ; implicit-def: $vgpr17
	s_cbranch_execz .LBB252_45
; %bb.44:
	s_waitcnt vmcnt(0)
	v_mad_u64_u32 v[2:3], s[0:1], v20, s15, v[18:19]
	v_lshlrev_b32_e32 v20, 1, v2
	s_lshl_b32 s2, s15, 7
	s_and_b32 s1, s5, 0xffff
	s_mov_b32 s3, 0x20000
	s_mov_b32 s0, s4
	v_add_lshl_u32 v21, v2, s15, 1
	s_movk_i32 s13, 0x80
	buffer_load_dwordx4 v[2:5], v20, s[0:3], 0 offen
	buffer_load_dwordx4 v[10:13], v20, s[0:3], s13 offen
	buffer_load_dwordx4 v[6:9], v21, s[0:3], 0 offen
	buffer_load_dwordx4 v[14:17], v21, s[0:3], s13 offen
.LBB252_45:
	v_lshrrev_b32_e32 v33, 2, v74
	s_cbranch_execnz .LBB252_58
.LBB252_46:
	s_and_b64 vcc, exec, s[6:7]
	s_cbranch_vccz .LBB252_56
; %bb.47:
	s_waitcnt vmcnt(0)
	v_lshlrev_b32_e32 v7, 1, v24
	v_cmp_gt_i32_e32 vcc, s27, v7
	v_mov_b32_e32 v6, 0
	v_lshlrev_b32_e32 v14, 9, v24
	v_mov_b32_e32 v2, 0
	v_mov_b32_e32 v3, 0
	;; [unrolled: 1-line block ×4, first 2 shown]
	s_and_saveexec_b64 s[0:1], vcc
	s_cbranch_execz .LBB252_49
; %bb.48:
	v_mov_b32_e32 v15, 0
	v_lshl_add_u64 v[2:3], s[4:5], 0, v[14:15]
	v_lshlrev_b32_e32 v4, 1, v18
	v_mov_b32_e32 v5, v15
	v_lshl_add_u64 v[2:3], v[2:3], 0, v[4:5]
	global_load_dwordx4 v[2:5], v[2:3], off
.LBB252_49:
	s_or_b64 exec, exec, s[0:1]
	v_or_b32_e32 v7, 1, v7
	v_cmp_gt_i32_e64 s[0:1], s27, v7
	v_lshlrev_b32_e32 v20, 8, v7
	v_mov_b32_e32 v7, 0
	v_mov_b32_e32 v8, 0
	v_mov_b32_e32 v9, 0
	s_and_saveexec_b64 s[2:3], s[0:1]
	s_cbranch_execz .LBB252_51
; %bb.50:
	v_mov_b32_e32 v21, 0
	v_lshl_add_u64 v[6:7], s[4:5], 0, v[20:21]
	v_lshlrev_b32_e32 v8, 1, v18
	v_mov_b32_e32 v9, v21
	v_lshl_add_u64 v[6:7], v[6:7], 0, v[8:9]
	global_load_dwordx4 v[6:9], v[6:7], off
.LBB252_51:
	s_or_b64 exec, exec, s[2:3]
	v_mov_b32_e32 v17, 0
	v_mov_b32_e32 v10, 0
	;; [unrolled: 1-line block ×5, first 2 shown]
	s_and_saveexec_b64 s[2:3], vcc
	s_cbranch_execz .LBB252_53
; %bb.52:
	v_mov_b32_e32 v15, 0
	v_lshl_add_u64 v[10:11], s[4:5], 0, v[14:15]
	v_lshlrev_b32_e32 v14, 1, v18
	v_lshl_add_u64 v[10:11], v[10:11], 0, v[14:15]
	global_load_dwordx4 v[10:13], v[10:11], off offset:128
.LBB252_53:
	s_or_b64 exec, exec, s[2:3]
	v_mov_b32_e32 v16, 0
	v_mov_b32_e32 v15, 0
	;; [unrolled: 1-line block ×3, first 2 shown]
	s_and_saveexec_b64 s[2:3], s[0:1]
	s_cbranch_execz .LBB252_55
; %bb.54:
	v_mov_b32_e32 v21, 0
	v_lshl_add_u64 v[14:15], s[4:5], 0, v[20:21]
	v_lshlrev_b32_e32 v20, 1, v18
	v_lshl_add_u64 v[14:15], v[14:15], 0, v[20:21]
	global_load_dwordx4 v[14:17], v[14:15], off offset:128
.LBB252_55:
	s_or_b64 exec, exec, s[2:3]
	s_branch .LBB252_58
.LBB252_56:
                                        ; implicit-def: $vgpr5
                                        ; implicit-def: $vgpr9
                                        ; implicit-def: $vgpr13
                                        ; implicit-def: $vgpr17
	s_cbranch_execz .LBB252_58
; %bb.57:
	s_waitcnt vmcnt(0)
	v_lshlrev_b32_e32 v2, 1, v18
	v_lshl_or_b32 v18, v24, 9, v2
	s_and_b32 s5, s5, 0xffff
	s_mov_b32 s7, 0x20000
	s_movk_i32 s6, 0x4000
	s_movk_i32 s0, 0x80
	buffer_load_dwordx4 v[2:5], v18, s[4:7], 0 offen
	buffer_load_dwordx4 v[6:9], v18, s[4:7], 0 offen offset:256
	buffer_load_dwordx4 v[10:13], v18, s[4:7], s0 offen
	buffer_load_dwordx4 v[14:17], v18, s[4:7], s0 offen offset:256
.LBB252_58:
	ds_read_b64 v[20:21], v26 offset:57344
	v_add_u32_e32 v18, 0x6000, v25
	ds_read2_b64 v[36:39], v18 offset1:16
	ds_read_b64 v[48:49], v27 offset:57344
	ds_read_b64 v[50:51], v28 offset:57344
	;; [unrolled: 1-line block ×3, first 2 shown]
	ds_read2_b64 v[26:29], v18 offset0:32 offset1:48
	v_and_b32_e32 v18, 6, v0
	v_xor_b32_e32 v24, v24, v18
	v_lshlrev_b32_e32 v24, 2, v24
	v_and_b32_e32 v0, 1, v0
	v_cmp_eq_u32_e32 vcc, 0, v0
	s_waitcnt lgkmcnt(4)
	v_mfma_f32_16x16x16_bf16 a[0:3], v[20:21], v[36:37], a[0:3]
	s_mov_b32 s0, 0x1000504
	s_mov_b32 s1, 0x3020706
	v_mfma_f32_16x16x16_bf16 a[4:7], v[20:21], v[38:39], a[4:7]
	ds_read2st64_b64 v[36:39], v25 offset0:52 offset1:56
	s_waitcnt lgkmcnt(1)
	v_mfma_f32_16x16x16_bf16 a[8:11], v[20:21], v[26:27], a[8:11]
	v_mfma_f32_16x16x16_bf16 a[12:15], v[20:21], v[28:29], a[12:15]
	ds_read2st64_b64 v[26:29], v30 offset0:52 offset1:56
	ds_read2st64_b64 v[40:43], v31 offset0:52 offset1:56
	;; [unrolled: 1-line block ×3, first 2 shown]
	s_waitcnt lgkmcnt(3)
	v_mfma_f32_16x16x16_bf16 a[0:3], v[48:49], v[36:37], a[0:3]
	ds_read_b64 v[20:21], v25 offset:30720
	ds_read_b64 v[36:37], v30 offset:30720
	;; [unrolled: 1-line block ×4, first 2 shown]
	v_xor_b32_e32 v25, 0x440, v24
	v_cndmask_b32_e32 v0, v25, v24, vcc
	s_waitcnt lgkmcnt(6)
	v_mfma_f32_16x16x16_bf16 a[4:7], v[48:49], v[26:27], a[4:7]
	v_lshl_or_b32 v0, v18, 10, v0
	s_waitcnt vmcnt(0)
	v_perm_b32 v18, v2, v6, s0
	v_perm_b32 v24, v10, v14, s0
	s_waitcnt lgkmcnt(5)
	v_mfma_f32_16x16x16_bf16 a[8:11], v[48:49], v[40:41], a[8:11]
	ds_write2st64_b32 v0, v18, v24 offset0:128 offset1:160
	v_xor_b32_e32 v18, 8, v0
	v_perm_b32 v2, v2, v6, s1
	s_waitcnt lgkmcnt(5)
	v_mfma_f32_16x16x16_bf16 a[12:15], v[48:49], v[44:45], a[12:15]
	v_perm_b32 v6, v10, v14, s1
	v_add_u32_e32 v10, 0x80, v18
	ds_write2st64_b32 v10, v2, v6 offset0:128 offset1:160
	v_mfma_f32_16x16x16_bf16 a[0:3], v[50:51], v[38:39], a[0:3]
	v_xor_b32_e32 v2, 16, v0
	v_perm_b32 v6, v3, v7, s0
	v_perm_b32 v10, v11, v15, s0
	v_mfma_f32_16x16x16_bf16 a[4:7], v[50:51], v[28:29], a[4:7]
	ds_write2st64_b32 v2, v6, v10 offset0:129 offset1:161
	v_xor_b32_e32 v2, 24, v0
	v_perm_b32 v3, v3, v7, s1
	v_mfma_f32_16x16x16_bf16 a[16:19], v[50:51], v[42:43], a[8:11]
	v_perm_b32 v6, v11, v15, s1
	v_add_u32_e32 v2, 0x80, v2
	ds_write2st64_b32 v2, v3, v6 offset0:129 offset1:161
	v_mfma_f32_16x16x16_bf16 a[20:23], v[50:51], v[46:47], a[12:15]
	v_xor_b32_e32 v2, 32, v0
	v_perm_b32 v3, v4, v8, s0
	v_perm_b32 v6, v12, v16, s0
	s_waitcnt lgkmcnt(7)
	v_mfma_f32_16x16x16_bf16 a[12:15], v[52:53], v[20:21], a[0:3]
	ds_write2st64_b32 v2, v3, v6 offset0:130 offset1:162
	v_xor_b32_e32 v2, 40, v0
	v_perm_b32 v3, v4, v8, s1
	s_waitcnt lgkmcnt(7)
	v_mfma_f32_16x16x16_bf16 a[8:11], v[52:53], v[36:37], a[4:7]
	v_perm_b32 v4, v12, v16, s1
	v_add_u32_e32 v2, 0x80, v2
	ds_write2st64_b32 v2, v3, v4 offset0:130 offset1:162
	s_waitcnt lgkmcnt(7)
	v_mfma_f32_16x16x16_bf16 a[4:7], v[52:53], v[30:31], a[16:19]
	v_xor_b32_e32 v2, 48, v0
	v_perm_b32 v3, v5, v9, s0
	v_perm_b32 v4, v13, v17, s0
	s_waitcnt lgkmcnt(6)
	v_mfma_f32_16x16x16_bf16 a[0:3], v[52:53], v[54:55], a[20:23]
	v_xor_b32_e32 v0, 56, v0
	v_and_or_b32 v18, v33, 12, v1
	ds_write2st64_b32 v2, v3, v4 offset0:131 offset1:163
	v_perm_b32 v2, v5, v9, s1
	v_perm_b32 v3, v13, v17, s1
	v_add_u32_e32 v0, 0x80, v0
	v_cmp_gt_i32_e32 vcc, s27, v18
	v_mov_b32_e32 v14, 0
	v_mov_b32_e32 v16, 0
	ds_write2st64_b32 v0, v2, v3 offset0:131 offset1:163
	s_and_saveexec_b64 s[0:1], vcc
	s_cbranch_execz .LBB252_60
; %bb.59:
	v_add_u32_e32 v0, s26, v18
	v_ashrrev_i32_e32 v1, 31, v0
	v_mul_lo_u32 v2, v1, s28
	v_mul_lo_u32 v3, v0, s29
	v_mad_u64_u32 v[0:1], s[2:3], v0, s28, 0
	v_add3_u32 v1, v1, v3, v2
	v_lshl_add_u64 v[0:1], v[0:1], 2, s[10:11]
	global_load_dword v0, v[0:1], off
	s_waitcnt vmcnt(0)
	v_sub_f32_e32 v0, s12, v0
	v_mul_f32_e32 v0, 0x3fb8aa3b, v0
	v_exp_f32_e32 v16, v0
.LBB252_60:
	s_or_b64 exec, exec, s[0:1]
	v_or_b32_e32 v8, 1, v18
	v_cmp_gt_i32_e64 s[0:1], s27, v8
	s_and_saveexec_b64 s[2:3], s[0:1]
	s_cbranch_execz .LBB252_62
; %bb.61:
	v_add_u32_e32 v0, s26, v8
	v_ashrrev_i32_e32 v1, 31, v0
	v_mul_lo_u32 v2, v1, s28
	v_mul_lo_u32 v3, v0, s29
	v_mad_u64_u32 v[0:1], s[4:5], v0, s28, 0
	v_add3_u32 v1, v1, v3, v2
	v_lshl_add_u64 v[0:1], v[0:1], 2, s[10:11]
	global_load_dword v0, v[0:1], off
	s_waitcnt vmcnt(0)
	v_sub_f32_e32 v0, s12, v0
	v_mul_f32_e32 v0, 0x3fb8aa3b, v0
	v_exp_f32_e32 v14, v0
.LBB252_62:
	s_or_b64 exec, exec, s[2:3]
	v_or_b32_e32 v10, 2, v18
	v_cmp_gt_i32_e64 s[2:3], s27, v10
	v_mov_b32_e32 v15, 0
	v_mov_b32_e32 v17, 0
	s_and_saveexec_b64 s[4:5], s[2:3]
	s_cbranch_execz .LBB252_64
; %bb.63:
	v_add_u32_e32 v0, s26, v10
	v_ashrrev_i32_e32 v1, 31, v0
	v_mul_lo_u32 v2, v1, s28
	v_mul_lo_u32 v3, v0, s29
	v_mad_u64_u32 v[0:1], s[6:7], v0, s28, 0
	v_add3_u32 v1, v1, v3, v2
	v_lshl_add_u64 v[0:1], v[0:1], 2, s[10:11]
	global_load_dword v0, v[0:1], off
	s_waitcnt vmcnt(0)
	v_sub_f32_e32 v0, s12, v0
	v_mul_f32_e32 v0, 0x3fb8aa3b, v0
	v_exp_f32_e32 v17, v0
.LBB252_64:
	s_or_b64 exec, exec, s[4:5]
	v_or_b32_e32 v12, 3, v18
	v_cmp_gt_i32_e64 s[4:5], s27, v12
	s_and_saveexec_b64 s[6:7], s[4:5]
	s_cbranch_execz .LBB252_66
; %bb.65:
	v_add_u32_e32 v0, s26, v12
	v_ashrrev_i32_e32 v1, 31, v0
	v_mul_lo_u32 v2, v1, s28
	v_mul_lo_u32 v3, v0, s29
	v_mad_u64_u32 v[0:1], s[14:15], v0, s28, 0
	v_add3_u32 v1, v1, v3, v2
	v_lshl_add_u64 v[0:1], v[0:1], 2, s[10:11]
	global_load_dword v0, v[0:1], off
	s_waitcnt vmcnt(0)
	v_sub_f32_e32 v0, s12, v0
	v_mul_f32_e32 v0, 0x3fb8aa3b, v0
	v_exp_f32_e32 v15, v0
.LBB252_66:
	s_or_b64 exec, exec, s[6:7]
	s_add_u32 s6, s8, s20
	v_accvgpr_read_b32 v0, a12
	s_addc_u32 s7, s9, s21
	v_ashrrev_i32_e32 v67, 31, v66
	v_accvgpr_read_b32 v1, a13
	v_accvgpr_read_b32 v2, a14
	;; [unrolled: 1-line block ×3, first 2 shown]
	v_lshl_add_u64 v[4:5], v[66:67], 1, s[6:7]
	v_mov_b32_e32 v9, 0
	v_lshlrev_b32_e32 v6, 8, v18
	v_mov_b32_e32 v7, 0
	s_and_saveexec_b64 s[6:7], vcc
	s_cbranch_execz .LBB252_68
; %bb.67:
	v_mov_b32_e32 v7, 0
	v_lshl_add_u64 v[20:21], v[4:5], 0, v[6:7]
	global_load_ushort v7, v[20:21], off
	s_waitcnt vmcnt(0)
	v_lshlrev_b32_e32 v7, 16, v7
	v_sub_f32_e32 v0, v7, v0
	v_mul_f32_e32 v0, v16, v0
	v_lshrrev_b32_e32 v7, 16, v0
.LBB252_68:
	s_or_b64 exec, exec, s[6:7]
	v_lshlrev_b32_e32 v8, 8, v8
	s_and_saveexec_b64 s[6:7], s[0:1]
	s_cbranch_execz .LBB252_70
; %bb.69:
	v_mov_b32_e32 v9, 0
	v_lshl_add_u64 v[20:21], v[4:5], 0, v[8:9]
	global_load_ushort v0, v[20:21], off
	s_waitcnt vmcnt(0)
	v_lshlrev_b32_e32 v0, 16, v0
	v_sub_f32_e32 v0, v0, v1
	v_mul_f32_e32 v0, v14, v0
	v_lshrrev_b32_e32 v9, 16, v0
.LBB252_70:
	s_or_b64 exec, exec, s[6:7]
	v_mov_b32_e32 v13, 0
	v_lshlrev_b32_e32 v10, 8, v10
	v_mov_b32_e32 v11, 0
	s_and_saveexec_b64 s[6:7], s[2:3]
	s_cbranch_execz .LBB252_72
; %bb.71:
	v_mov_b32_e32 v11, 0
	v_lshl_add_u64 v[0:1], v[4:5], 0, v[10:11]
	global_load_ushort v0, v[0:1], off
	s_waitcnt vmcnt(0)
	v_lshlrev_b32_e32 v0, 16, v0
	v_sub_f32_e32 v0, v0, v2
	v_mul_f32_e32 v0, v17, v0
	v_lshrrev_b32_e32 v11, 16, v0
.LBB252_72:
	s_or_b64 exec, exec, s[6:7]
	v_lshlrev_b32_e32 v12, 8, v12
	s_and_saveexec_b64 s[6:7], s[4:5]
	s_cbranch_execz .LBB252_74
; %bb.73:
	v_mov_b32_e32 v13, 0
	v_lshl_add_u64 v[0:1], v[4:5], 0, v[12:13]
	global_load_ushort v0, v[0:1], off
	s_waitcnt vmcnt(0)
	v_lshlrev_b32_e32 v0, 16, v0
	v_sub_f32_e32 v0, v0, v3
	v_mul_f32_e32 v0, v15, v0
	v_lshrrev_b32_e32 v13, 16, v0
.LBB252_74:
	s_or_b64 exec, exec, s[6:7]
	v_lshlrev_b32_e32 v18, 6, v18
	s_mov_b32 s6, 0x5040100
	v_perm_b32 v20, v9, v7, s6
	v_or_b32_e32 v7, v18, v34
	v_accvgpr_read_b32 v0, a8
	v_perm_b32 v21, v13, v11, s6
	v_lshlrev_b32_e32 v7, 1, v7
	v_accvgpr_read_b32 v1, a9
	v_accvgpr_read_b32 v2, a10
	;; [unrolled: 1-line block ×3, first 2 shown]
	ds_write_b64 v7, v[20:21] offset:24576
	v_mov_b32_e32 v9, 0
	v_mov_b32_e32 v7, 0
	s_and_saveexec_b64 s[6:7], vcc
	s_cbranch_execz .LBB252_76
; %bb.75:
	v_mov_b32_e32 v7, 0
	v_lshl_add_u64 v[20:21], v[4:5], 0, v[6:7]
	global_load_ushort v7, v[20:21], off offset:32
	s_waitcnt vmcnt(0)
	v_lshlrev_b32_e32 v7, 16, v7
	v_sub_f32_e32 v0, v7, v0
	v_mul_f32_e32 v0, v16, v0
	v_lshrrev_b32_e32 v7, 16, v0
.LBB252_76:
	s_or_b64 exec, exec, s[6:7]
	s_and_saveexec_b64 s[6:7], s[0:1]
	s_cbranch_execz .LBB252_78
; %bb.77:
	v_mov_b32_e32 v9, 0
	v_lshl_add_u64 v[20:21], v[4:5], 0, v[8:9]
	global_load_ushort v0, v[20:21], off offset:32
	s_waitcnt vmcnt(0)
	v_lshlrev_b32_e32 v0, 16, v0
	v_sub_f32_e32 v0, v0, v1
	v_mul_f32_e32 v0, v14, v0
	v_lshrrev_b32_e32 v9, 16, v0
.LBB252_78:
	s_or_b64 exec, exec, s[6:7]
	v_mov_b32_e32 v13, 0
	v_mov_b32_e32 v11, 0
	s_and_saveexec_b64 s[6:7], s[2:3]
	s_cbranch_execz .LBB252_80
; %bb.79:
	v_mov_b32_e32 v11, 0
	v_lshl_add_u64 v[0:1], v[4:5], 0, v[10:11]
	global_load_ushort v0, v[0:1], off offset:32
	s_waitcnt vmcnt(0)
	v_lshlrev_b32_e32 v0, 16, v0
	v_sub_f32_e32 v0, v0, v2
	v_mul_f32_e32 v0, v17, v0
	v_lshrrev_b32_e32 v11, 16, v0
.LBB252_80:
	s_or_b64 exec, exec, s[6:7]
	s_and_saveexec_b64 s[6:7], s[4:5]
	s_cbranch_execz .LBB252_82
; %bb.81:
	v_mov_b32_e32 v13, 0
	v_lshl_add_u64 v[0:1], v[4:5], 0, v[12:13]
	global_load_ushort v0, v[0:1], off offset:32
	s_waitcnt vmcnt(0)
	v_lshlrev_b32_e32 v0, 16, v0
	v_sub_f32_e32 v0, v0, v3
	v_mul_f32_e32 v0, v15, v0
	v_lshrrev_b32_e32 v13, 16, v0
.LBB252_82:
	s_or_b64 exec, exec, s[6:7]
	s_mov_b32 s6, 0x5040100
	v_perm_b32 v20, v9, v7, s6
	v_or_b32_e32 v7, v18, v23
	v_accvgpr_read_b32 v0, a4
	v_perm_b32 v21, v13, v11, s6
	v_lshlrev_b32_e32 v7, 1, v7
	v_accvgpr_read_b32 v1, a5
	v_accvgpr_read_b32 v2, a6
	;; [unrolled: 1-line block ×3, first 2 shown]
	ds_write_b64 v7, v[20:21] offset:24576
	v_mov_b32_e32 v9, 0
	v_mov_b32_e32 v7, 0
	s_and_saveexec_b64 s[6:7], vcc
	s_cbranch_execz .LBB252_84
; %bb.83:
	v_mov_b32_e32 v7, 0
	v_lshl_add_u64 v[20:21], v[4:5], 0, v[6:7]
	global_load_ushort v7, v[20:21], off offset:64
	s_waitcnt vmcnt(0)
	v_lshlrev_b32_e32 v7, 16, v7
	v_sub_f32_e32 v0, v7, v0
	v_mul_f32_e32 v0, v16, v0
	v_lshrrev_b32_e32 v7, 16, v0
.LBB252_84:
	s_or_b64 exec, exec, s[6:7]
	s_and_saveexec_b64 s[6:7], s[0:1]
	s_cbranch_execz .LBB252_86
; %bb.85:
	v_mov_b32_e32 v9, 0
	v_lshl_add_u64 v[20:21], v[4:5], 0, v[8:9]
	global_load_ushort v0, v[20:21], off offset:64
	s_waitcnt vmcnt(0)
	v_lshlrev_b32_e32 v0, 16, v0
	v_sub_f32_e32 v0, v0, v1
	v_mul_f32_e32 v0, v14, v0
	v_lshrrev_b32_e32 v9, 16, v0
.LBB252_86:
	s_or_b64 exec, exec, s[6:7]
	v_mov_b32_e32 v13, 0
	v_mov_b32_e32 v11, 0
	s_and_saveexec_b64 s[6:7], s[2:3]
	s_cbranch_execz .LBB252_88
; %bb.87:
	v_mov_b32_e32 v11, 0
	v_lshl_add_u64 v[0:1], v[4:5], 0, v[10:11]
	global_load_ushort v0, v[0:1], off offset:64
	s_waitcnt vmcnt(0)
	v_lshlrev_b32_e32 v0, 16, v0
	v_sub_f32_e32 v0, v0, v2
	v_mul_f32_e32 v0, v17, v0
	v_lshrrev_b32_e32 v11, 16, v0
.LBB252_88:
	s_or_b64 exec, exec, s[6:7]
	s_and_saveexec_b64 s[6:7], s[4:5]
	s_cbranch_execz .LBB252_90
; %bb.89:
	v_mov_b32_e32 v13, 0
	v_lshl_add_u64 v[0:1], v[4:5], 0, v[12:13]
	global_load_ushort v0, v[0:1], off offset:64
	s_waitcnt vmcnt(0)
	v_lshlrev_b32_e32 v0, 16, v0
	v_sub_f32_e32 v0, v0, v3
	v_mul_f32_e32 v0, v15, v0
	v_lshrrev_b32_e32 v13, 16, v0
.LBB252_90:
	s_or_b64 exec, exec, s[6:7]
	s_mov_b32 s6, 0x5040100
	v_perm_b32 v20, v9, v7, s6
	v_or_b32_e32 v7, v18, v22
	v_accvgpr_read_b32 v0, a0
	v_perm_b32 v21, v13, v11, s6
	v_lshlrev_b32_e32 v7, 1, v7
	v_accvgpr_read_b32 v1, a1
	v_accvgpr_read_b32 v2, a2
	;; [unrolled: 1-line block ×3, first 2 shown]
	ds_write_b64 v7, v[20:21] offset:24576
	v_mov_b32_e32 v9, 0
	v_mov_b32_e32 v7, 0
	s_and_saveexec_b64 s[6:7], vcc
	s_cbranch_execz .LBB252_92
; %bb.91:
	v_mov_b32_e32 v7, 0
	v_lshl_add_u64 v[6:7], v[4:5], 0, v[6:7]
	global_load_ushort v6, v[6:7], off offset:96
	s_waitcnt vmcnt(0)
	v_lshlrev_b32_e32 v6, 16, v6
	v_sub_f32_e32 v0, v6, v0
	v_mul_f32_e32 v0, v16, v0
	v_lshrrev_b32_e32 v7, 16, v0
.LBB252_92:
	s_or_b64 exec, exec, s[6:7]
	s_and_saveexec_b64 s[6:7], s[0:1]
	s_cbranch_execz .LBB252_94
; %bb.93:
	v_mov_b32_e32 v9, 0
	v_lshl_add_u64 v[8:9], v[4:5], 0, v[8:9]
	global_load_ushort v0, v[8:9], off offset:96
	s_waitcnt vmcnt(0)
	v_lshlrev_b32_e32 v0, 16, v0
	v_sub_f32_e32 v0, v0, v1
	v_mul_f32_e32 v0, v14, v0
	v_lshrrev_b32_e32 v9, 16, v0
.LBB252_94:
	s_or_b64 exec, exec, s[6:7]
	v_mov_b32_e32 v0, 0
	v_mov_b32_e32 v1, 0
	s_and_saveexec_b64 s[0:1], s[2:3]
	s_cbranch_execz .LBB252_96
; %bb.95:
	v_mov_b32_e32 v11, 0
	v_lshl_add_u64 v[10:11], v[4:5], 0, v[10:11]
	global_load_ushort v1, v[10:11], off offset:96
	s_waitcnt vmcnt(0)
	v_lshlrev_b32_e32 v1, 16, v1
	v_sub_f32_e32 v1, v1, v2
	v_mul_f32_e32 v1, v17, v1
	v_lshrrev_b32_e32 v1, 16, v1
.LBB252_96:
	s_or_b64 exec, exec, s[0:1]
	s_and_saveexec_b64 s[0:1], s[4:5]
	s_cbranch_execz .LBB252_98
; %bb.97:
	v_mov_b32_e32 v13, 0
	v_lshl_add_u64 v[4:5], v[4:5], 0, v[12:13]
	global_load_ushort v0, v[4:5], off offset:96
	s_waitcnt vmcnt(0)
	v_lshlrev_b32_e32 v0, 16, v0
	v_sub_f32_e32 v0, v0, v3
	v_mul_f32_e32 v0, v15, v0
	v_lshrrev_b32_e32 v0, 16, v0
.LBB252_98:
	s_or_b64 exec, exec, s[0:1]
	s_mov_b32 s0, 0x5040100
	v_or_b32_e32 v2, v18, v19
	v_perm_b32 v1, v0, v1, s0
	v_perm_b32 v0, v9, v7, s0
	v_lshlrev_b32_e32 v2, 1, v2
	ds_write_b64 v2, v[0:1] offset:24576
	s_waitcnt lgkmcnt(0)
	s_barrier
.LBB252_99:
	s_endpgm
	.section	.rodata,"a",@progbits
	.p2align	6, 0x0
	.amdhsa_kernel _ZN12_GLOBAL__N_139chunk_gated_delta_rule_fwd_h_hip_kernelILi64ELb1ELb0ELb0ELb0ELb0ELb0ELb0ELb0EEEvPK12hip_bfloat16S3_S3_PKfS5_PKvPS1_S8_PvPKiSB_iiiiilll
		.amdhsa_group_segment_fixed_size 65536
		.amdhsa_private_segment_fixed_size 0
		.amdhsa_kernarg_size 136
		.amdhsa_user_sgpr_count 2
		.amdhsa_user_sgpr_dispatch_ptr 0
		.amdhsa_user_sgpr_queue_ptr 0
		.amdhsa_user_sgpr_kernarg_segment_ptr 1
		.amdhsa_user_sgpr_dispatch_id 0
		.amdhsa_user_sgpr_kernarg_preload_length 0
		.amdhsa_user_sgpr_kernarg_preload_offset 0
		.amdhsa_user_sgpr_private_segment_size 0
		.amdhsa_uses_dynamic_stack 0
		.amdhsa_enable_private_segment 0
		.amdhsa_system_sgpr_workgroup_id_x 1
		.amdhsa_system_sgpr_workgroup_id_y 1
		.amdhsa_system_sgpr_workgroup_id_z 0
		.amdhsa_system_sgpr_workgroup_info 0
		.amdhsa_system_vgpr_workitem_id 0
		.amdhsa_next_free_vgpr 216
		.amdhsa_next_free_sgpr 66
		.amdhsa_accum_offset 180
		.amdhsa_reserve_vcc 1
		.amdhsa_float_round_mode_32 0
		.amdhsa_float_round_mode_16_64 0
		.amdhsa_float_denorm_mode_32 3
		.amdhsa_float_denorm_mode_16_64 3
		.amdhsa_dx10_clamp 1
		.amdhsa_ieee_mode 1
		.amdhsa_fp16_overflow 0
		.amdhsa_tg_split 0
		.amdhsa_exception_fp_ieee_invalid_op 0
		.amdhsa_exception_fp_denorm_src 0
		.amdhsa_exception_fp_ieee_div_zero 0
		.amdhsa_exception_fp_ieee_overflow 0
		.amdhsa_exception_fp_ieee_underflow 0
		.amdhsa_exception_fp_ieee_inexact 0
		.amdhsa_exception_int_div_zero 0
	.end_amdhsa_kernel
	.section	.text._ZN12_GLOBAL__N_139chunk_gated_delta_rule_fwd_h_hip_kernelILi64ELb1ELb0ELb0ELb0ELb0ELb0ELb0ELb0EEEvPK12hip_bfloat16S3_S3_PKfS5_PKvPS1_S8_PvPKiSB_iiiiilll,"axG",@progbits,_ZN12_GLOBAL__N_139chunk_gated_delta_rule_fwd_h_hip_kernelILi64ELb1ELb0ELb0ELb0ELb0ELb0ELb0ELb0EEEvPK12hip_bfloat16S3_S3_PKfS5_PKvPS1_S8_PvPKiSB_iiiiilll,comdat
.Lfunc_end252:
	.size	_ZN12_GLOBAL__N_139chunk_gated_delta_rule_fwd_h_hip_kernelILi64ELb1ELb0ELb0ELb0ELb0ELb0ELb0ELb0EEEvPK12hip_bfloat16S3_S3_PKfS5_PKvPS1_S8_PvPKiSB_iiiiilll, .Lfunc_end252-_ZN12_GLOBAL__N_139chunk_gated_delta_rule_fwd_h_hip_kernelILi64ELb1ELb0ELb0ELb0ELb0ELb0ELb0ELb0EEEvPK12hip_bfloat16S3_S3_PKfS5_PKvPS1_S8_PvPKiSB_iiiiilll
                                        ; -- End function
	.section	.AMDGPU.csdata,"",@progbits
; Kernel info:
; codeLenInByte = 10800
; NumSgprs: 72
; NumVgprs: 178
; NumAgprs: 36
; TotalNumVgprs: 216
; ScratchSize: 0
; MemoryBound: 0
; FloatMode: 240
; IeeeMode: 1
; LDSByteSize: 65536 bytes/workgroup (compile time only)
; SGPRBlocks: 8
; VGPRBlocks: 26
; NumSGPRsForWavesPerEU: 72
; NumVGPRsForWavesPerEU: 216
; AccumOffset: 180
; Occupancy: 1
; WaveLimiterHint : 1
; COMPUTE_PGM_RSRC2:SCRATCH_EN: 0
; COMPUTE_PGM_RSRC2:USER_SGPR: 2
; COMPUTE_PGM_RSRC2:TRAP_HANDLER: 0
; COMPUTE_PGM_RSRC2:TGID_X_EN: 1
; COMPUTE_PGM_RSRC2:TGID_Y_EN: 1
; COMPUTE_PGM_RSRC2:TGID_Z_EN: 0
; COMPUTE_PGM_RSRC2:TIDIG_COMP_CNT: 0
; COMPUTE_PGM_RSRC3_GFX90A:ACCUM_OFFSET: 44
; COMPUTE_PGM_RSRC3_GFX90A:TG_SPLIT: 0
	.section	.text._ZN12_GLOBAL__N_139chunk_gated_delta_rule_fwd_h_hip_kernelILi64ELb0ELb1ELb1ELb0ELb0ELb0ELb0ELb0EEEvPK12hip_bfloat16S3_S3_PKfS5_PKvPS1_S8_PvPKiSB_iiiiilll,"axG",@progbits,_ZN12_GLOBAL__N_139chunk_gated_delta_rule_fwd_h_hip_kernelILi64ELb0ELb1ELb1ELb0ELb0ELb0ELb0ELb0EEEvPK12hip_bfloat16S3_S3_PKfS5_PKvPS1_S8_PvPKiSB_iiiiilll,comdat
	.globl	_ZN12_GLOBAL__N_139chunk_gated_delta_rule_fwd_h_hip_kernelILi64ELb0ELb1ELb1ELb0ELb0ELb0ELb0ELb0EEEvPK12hip_bfloat16S3_S3_PKfS5_PKvPS1_S8_PvPKiSB_iiiiilll ; -- Begin function _ZN12_GLOBAL__N_139chunk_gated_delta_rule_fwd_h_hip_kernelILi64ELb0ELb1ELb1ELb0ELb0ELb0ELb0ELb0EEEvPK12hip_bfloat16S3_S3_PKfS5_PKvPS1_S8_PvPKiSB_iiiiilll
	.p2align	8
	.type	_ZN12_GLOBAL__N_139chunk_gated_delta_rule_fwd_h_hip_kernelILi64ELb0ELb1ELb1ELb0ELb0ELb0ELb0ELb0EEEvPK12hip_bfloat16S3_S3_PKfS5_PKvPS1_S8_PvPKiSB_iiiiilll,@function
_ZN12_GLOBAL__N_139chunk_gated_delta_rule_fwd_h_hip_kernelILi64ELb0ELb1ELb1ELb0ELb0ELb0ELb0ELb0EEEvPK12hip_bfloat16S3_S3_PKfS5_PKvPS1_S8_PvPKiSB_iiiiilll: ; @_ZN12_GLOBAL__N_139chunk_gated_delta_rule_fwd_h_hip_kernelILi64ELb0ELb1ELb1ELb0ELb0ELb0ELb0ELb0EEEvPK12hip_bfloat16S3_S3_PKfS5_PKvPS1_S8_PvPKiSB_iiiiilll
; %bb.0:
	s_load_dwordx4 s[16:19], s[0:1], 0x5c
	s_load_dwordx4 s[20:23], s[0:1], 0x70
	s_abs_i32 s14, s3
	s_ashr_i32 s13, s3, 31
	s_load_dwordx8 s[4:11], s[0:1], 0x0
	s_waitcnt lgkmcnt(0)
	s_abs_i32 s12, s17
	v_cvt_f32_u32_e32 v1, s12
	s_sub_i32 s24, 0, s12
	s_ashr_i32 s15, s17, 31
	s_xor_b32 s13, s13, s15
	v_rcp_iflag_f32_e32 v1, v1
	v_lshrrev_b32_e32 v74, 6, v0
	v_bfe_u32 v77, v0, 4, 2
	v_lshlrev_b32_e32 v75, 4, v74
	v_mul_f32_e32 v1, 0x4f7ffffe, v1
	v_cvt_u32_f32_e32 v1, v1
	v_lshlrev_b32_e32 v34, 2, v77
	v_and_b32_e32 v76, 63, v0
	v_mov_b32_e32 v5, 0
	v_readfirstlane_b32 s25, v1
	s_mul_i32 s24, s24, s25
	s_mul_hi_u32 s24, s25, s24
	s_add_i32 s25, s25, s24
	s_mul_hi_u32 s24, s14, s25
	s_mul_i32 s25, s24, s12
	s_sub_i32 s14, s14, s25
	s_add_i32 s26, s24, 1
	s_sub_i32 s25, s14, s12
	s_cmp_ge_u32 s14, s12
	s_cselect_b32 s24, s26, s24
	s_cselect_b32 s14, s25, s14
	s_add_i32 s25, s24, 1
	s_cmp_ge_u32 s14, s12
	s_cselect_b32 s14, s25, s24
	s_xor_b32 s14, s14, s13
	s_sub_i32 s49, s14, s13
	s_abs_i32 s13, s18
	v_cvt_f32_u32_e32 v1, s13
	s_add_i32 s24, s16, 63
	s_mul_i32 s47, s49, s17
	s_sub_i32 s33, s3, s47
	v_rcp_iflag_f32_e32 v1, v1
	s_ashr_i32 s3, s24, 31
	s_ashr_i32 s48, s16, 31
	s_lshr_b32 s3, s3, 26
	v_mul_f32_e32 v1, 0x4f7ffffe, v1
	v_cvt_u32_f32_e32 v1, v1
	s_lshr_b32 s14, s48, 26
	s_add_i32 s24, s24, s3
	s_add_i32 s14, s16, s14
	s_ashr_i32 s51, s18, 31
	s_ashr_i32 s3, s24, 6
	;; [unrolled: 1-line block ×3, first 2 shown]
	s_xor_b32 s14, s15, s51
	s_sub_i32 s15, 0, s13
	v_readfirstlane_b32 s24, v1
	s_mul_i32 s15, s15, s24
	s_mul_hi_u32 s15, s24, s15
	s_add_i32 s24, s24, s15
	s_mul_hi_u32 s15, s12, s24
	s_mul_i32 s24, s15, s13
	s_sub_i32 s12, s12, s24
	s_add_i32 s24, s15, 1
	s_sub_i32 s25, s12, s13
	s_cmp_ge_u32 s12, s13
	s_cselect_b32 s15, s24, s15
	s_cselect_b32 s12, s25, s12
	s_add_i32 s24, s15, 1
	s_cmp_ge_u32 s12, s13
	s_cselect_b32 s12, s24, s15
	s_xor_b32 s12, s12, s14
	s_sub_i32 s24, s12, s14
	s_abs_i32 s25, s24
	v_cvt_f32_u32_e32 v1, s25
	s_load_dwordx2 s[34:35], s[0:1], 0x40
	s_load_dwordx4 s[12:15], s[0:1], 0x30
	s_load_dwordx2 s[36:37], s[0:1], 0x80
	s_xor_b32 s0, s33, s24
	s_sub_i32 s24, 0, s25
	v_rcp_iflag_f32_e32 v1, v1
	s_abs_i32 s1, s33
	s_ashr_i32 s0, s0, 31
	s_mul_i32 s52, s49, s3
	v_mul_f32_e32 v1, 0x4f7ffffe, v1
	v_cvt_u32_f32_e32 v1, v1
	v_and_b32_e32 v78, 15, v0
	s_mul_hi_i32 s53, s49, s17
	v_lshrrev_b32_e32 v80, 3, v76
	v_readfirstlane_b32 s26, v1
	s_mul_i32 s24, s24, s26
	s_mul_hi_u32 s24, s26, s24
	s_add_i32 s26, s26, s24
	s_mul_hi_u32 s24, s1, s26
	s_mul_i32 s26, s24, s25
	s_sub_i32 s1, s1, s26
	s_add_i32 s26, s24, 1
	s_sub_i32 s27, s1, s25
	s_cmp_ge_u32 s1, s25
	s_cselect_b32 s24, s26, s24
	s_cselect_b32 s1, s27, s1
	s_add_i32 s26, s24, 1
	s_cmp_ge_u32 s1, s25
	s_cselect_b32 s1, s26, s24
	s_xor_b32 s1, s1, s0
	s_sub_i32 s54, s1, s0
	v_or_b32_e32 v1, v34, v75
	s_lshl_b32 s2, s2, 6
	v_or_b32_e32 v81, 64, v1
	s_cmp_lt_i32 s16, 64
	v_lshlrev_b32_e32 v79, 3, v0
	s_mul_i32 s21, s49, s21
	s_mul_hi_u32 s46, s49, s20
	s_mul_i32 s38, s49, s20
	v_mov_b32_e32 v4, v5
	v_mov_b32_e32 v3, v5
	;; [unrolled: 1-line block ×31, first 2 shown]
	s_cbranch_scc1 .LBB253_18
; %bb.1:
	s_ashr_i32 s3, s49, 31
	s_ashr_i32 s56, s33, 31
	s_add_u32 s0, s47, s33
	s_addc_u32 s1, s53, s56
	s_mul_i32 s1, s16, s1
	s_mul_hi_u32 s24, s16, s0
	s_add_i32 s41, s24, s1
	s_mul_i32 s40, s16, s0
	s_lshl_b64 s[0:1], s[40:41], 8
	v_and_b32_e32 v83, 56, v79
	s_add_u32 s24, s6, s0
	v_lshl_or_b32 v82, v74, 3, v80
	v_lshlrev_b32_e32 v2, 1, v83
	s_addc_u32 s0, s7, s1
	v_lshl_or_b32 v84, v82, 8, v2
	s_and_b32 s25, s0, 0xffff
	s_mov_b32 s27, 0x20000
	s_movk_i32 s26, 0x4000
	s_movk_i32 s0, 0x80
	v_or_b32_e32 v85, 0x2000, v84
	buffer_load_dwordx4 v[4:7], v84, s[24:27], 0 offen
	buffer_load_dwordx4 v[8:11], v84, s[24:27], s0 offen
	;; [unrolled: 1-line block ×4, first 2 shown]
	v_lshlrev_b32_e32 v3, 3, v82
	v_and_or_b32 v21, v0, 7, v3
	v_and_b32_e32 v3, 0x78, v3
	v_lshlrev_b32_e32 v21, 4, v21
	v_xor_b32_e32 v86, v21, v3
	v_mul_lo_u32 v20, v82, s19
	v_or_b32_e32 v87, 0x1000, v86
	v_xor_b32_e32 v3, 8, v86
	s_cmpk_eq_i32 s19, 0x80
	s_mov_b32 s55, s18
	v_xor_b32_e32 v21, 8, v87
	s_cselect_b64 s[0:1], -1, 0
	s_cmpk_lg_i32 s19, 0x80
	s_waitcnt vmcnt(3)
	ds_write_b64 v86, v[4:5] offset:49152
	ds_write_b64 v3, v[6:7] offset:49152
	s_waitcnt vmcnt(2)
	ds_write_b64 v86, v[8:9] offset:57344
	ds_write_b64 v3, v[10:11] offset:57344
	;; [unrolled: 3-line block ×4, first 2 shown]
	v_lshl_add_u32 v3, v20, 1, v83
	s_cbranch_scc0 .LBB253_3
; %bb.2:
	v_lshlrev_b32_e32 v5, 1, v3
	v_add_lshl_u32 v4, v3, s19, 1
	s_lshl_b32 s26, s19, 7
	v_lshl_or_b32 v2, v82, 9, v2
	s_cbranch_execz .LBB253_4
	s_branch .LBB253_5
.LBB253_3:
                                        ; implicit-def: $vgpr4
                                        ; implicit-def: $vgpr5
                                        ; implicit-def: $sgpr26
	v_lshl_or_b32 v2, v82, 9, v2
.LBB253_4:
	v_or_b32_e32 v4, 0x100, v2
	s_movk_i32 s26, 0x4000
	v_mov_b32_e32 v5, v2
.LBB253_5:
	s_mul_hi_u32 s24, s18, s16
	s_mul_i32 s25, s51, s16
	s_add_i32 s24, s24, s25
	s_mul_i32 s25, s18, s16
	s_mul_i32 s27, s25, s3
	s_mul_hi_u32 s28, s25, s49
	s_add_i32 s27, s28, s27
	s_mul_i32 s24, s24, s49
	s_add_i32 s27, s27, s24
	s_mul_i32 s25, s25, s49
	s_ashr_i32 s57, s54, 31
	s_add_u32 s24, s25, s54
	s_addc_u32 s25, s27, s57
	s_lshl_b64 s[24:25], s[24:25], 8
	s_add_u32 s24, s4, s24
	s_addc_u32 s25, s5, s25
	s_and_b32 s25, s25, 0xffff
	s_mov_b32 s27, 0x20000
	s_movk_i32 s58, 0x80
	buffer_load_dwordx4 v[6:9], v5, s[24:27], 0 offen
	buffer_load_dwordx4 v[10:13], v5, s[24:27], s58 offen
	buffer_load_dwordx4 v[14:17], v4, s[24:27], 0 offen
	buffer_load_dwordx4 v[18:21], v4, s[24:27], s58 offen
	v_and_b32_e32 v5, 6, v0
	v_lshlrev_b32_e32 v4, 7, v1
	v_xor_b32_e32 v26, v82, v5
	v_and_b32_e32 v22, 1, v0
	v_lshl_or_b32 v29, v78, 3, v4
	v_lshlrev_b32_e32 v26, 2, v26
	v_or_b32_e32 v88, 0x4000, v29
	v_or_b32_e32 v89, 0x6000, v29
	v_xor_b32_e32 v29, 0x440, v26
	v_cmp_eq_u32_e32 vcc, 0, v22
	v_lshlrev_b32_e32 v23, 2, v78
	s_mov_b32 s60, 0x1000504
	v_cndmask_b32_e32 v22, v29, v26, vcc
	v_xor_b32_e32 v27, v1, v23
	v_xor_b32_e32 v28, v81, v23
	v_lshl_or_b32 v5, v5, 10, v22
	s_mov_b32 s61, 0x3020706
	s_mul_i32 s24, s3, s16
	s_mul_hi_u32 s25, s49, s16
	v_lshlrev_b32_e32 v24, 8, v78
	v_or_b32_e32 v25, 16, v78
	v_lshlrev_b32_e32 v27, 1, v27
	v_lshlrev_b32_e32 v28, 1, v28
	v_xor_b32_e32 v22, 8, v5
	v_xor_b32_e32 v26, 24, v5
	;; [unrolled: 1-line block ×4, first 2 shown]
	v_or_b32_e32 v91, v24, v27
	v_or_b32_e32 v92, v24, v28
	v_xor_b32_e32 v24, 16, v5
	v_xor_b32_e32 v29, 32, v5
	v_xor_b32_e32 v32, 48, v5
	v_add_u32_e32 v22, 0x80, v22
	v_add_u32_e32 v26, 0x80, v26
	;; [unrolled: 1-line block ×4, first 2 shown]
	s_add_i32 s63, s25, s24
	s_add_i32 s24, s46, s21
	s_mul_i32 s3, s3, s20
	s_add_i32 s39, s24, s3
	s_mul_i32 s3, s33, s23
	s_mul_hi_u32 s24, s33, s22
	s_add_i32 s3, s24, s3
	s_mul_i32 s24, s56, s22
	s_add_i32 s25, s3, s24
	s_lshl_b64 s[28:29], s[38:39], 2
	s_mul_i32 s24, s33, s22
	s_add_u32 s3, s10, s28
	s_addc_u32 s28, s11, s29
	s_lshl_b64 s[24:25], s[24:25], 2
	s_add_u32 s42, s3, s24
	s_movk_i32 s3, 0xf8
	s_addc_u32 s43, s28, s25
	s_lshl_b32 s30, s19, 7
	s_movk_i32 s28, 0x100
	v_mov_b32_e32 v67, 0
	v_lshlrev_b32_e32 v66, 4, v78
	v_cmp_gt_u32_e32 vcc, s28, v0
	v_lshl_or_b32 v30, v25, 3, v4
	s_mov_b32 s59, 0
	s_mul_i32 s62, s49, s16
	v_or_b32_e32 v90, 0x4000, v30
	s_movk_i32 s26, 0x4000
	v_or_b32_e32 v93, 0x6000, v30
	v_add_u32_e32 v128, v75, v34
	s_movk_i32 s39, 0x2000
	s_movk_i32 s64, 0x3000
	v_mov_b32_e32 v133, 0x3fb8aa3b
	s_mov_b32 s66, 0
	v_mov_b32_e32 v30, v67
	s_waitcnt vmcnt(1)
	v_perm_b32 v35, v6, v14, s60
	s_waitcnt vmcnt(0)
	v_perm_b32 v36, v10, v18, s60
	v_perm_b32 v6, v6, v14, s61
	;; [unrolled: 1-line block ×15, first 2 shown]
	ds_write2st64_b32 v5, v35, v36 offset0:128 offset1:160
	ds_write2st64_b32 v22, v6, v10 offset0:128 offset1:160
	;; [unrolled: 1-line block ×8, first 2 shown]
	v_lshlrev_b32_e32 v5, 8, v25
	v_or_b32_e32 v94, v5, v27
	v_or_b32_e32 v95, v5, v28
	;; [unrolled: 1-line block ×3, first 2 shown]
	v_lshl_or_b32 v6, v5, 3, v4
	v_lshlrev_b32_e32 v5, 8, v5
	v_or_b32_e32 v98, v5, v27
	v_or_b32_e32 v99, v5, v28
	;; [unrolled: 1-line block ×5, first 2 shown]
	v_lshl_or_b32 v6, v5, 3, v4
	v_lshlrev_b32_e32 v5, 8, v5
	v_or_b32_e32 v102, v5, v27
	v_or_b32_e32 v103, v5, v28
	v_or_b32_e32 v5, v75, v78
	v_lshlrev_b32_e32 v5, 3, v5
	v_lshrrev_b32_e32 v7, 5, v76
	v_and_or_b32 v7, v5, s3, v7
	v_lshlrev_b32_e32 v7, 4, v7
	v_lshlrev_b32_e32 v10, 11, v74
	v_and_b32_e32 v5, 0x78, v5
	v_or_b32_e32 v13, 32, v7
	v_or_b32_e32 v100, 0x4000, v6
	;; [unrolled: 1-line block ×3, first 2 shown]
	v_and_b32_e32 v6, 0x1000, v10
	v_xor_b32_e32 v8, v7, v5
	v_lshrrev_b32_e32 v11, 1, v0
	v_xor_b32_e32 v13, v13, v5
	v_or_b32_e32 v8, v8, v6
	v_and_b32_e32 v9, 8, v11
	v_lshlrev_b32_e32 v12, 8, v77
	v_or_b32_e32 v13, v13, v6
	v_xor_b32_e32 v104, v8, v9
	v_or_b32_e32 v8, v12, v23
	v_xor_b32_e32 v106, v13, v9
	v_or_b32_e32 v13, 64, v7
	v_or_b32_e32 v7, 0x60, v7
	s_ashr_i32 s3, s2, 31
	v_lshlrev_b32_e32 v8, 1, v8
	v_xor_b32_e32 v13, v13, v5
	v_xor_b32_e32 v5, v7, v5
	s_lshl_b64 s[24:25], s[2:3], 8
	v_or_b32_e32 v105, 0x4000, v8
	v_or_b32_e32 v107, 0x4080, v8
	;; [unrolled: 1-line block ×10, first 2 shown]
	s_waitcnt lgkmcnt(0)
	s_add_u32 s24, s12, s24
	v_lshlrev_b32_e32 v8, 1, v78
	v_xor_b32_e32 v110, v13, v9
	v_xor_b32_e32 v111, v5, v9
	v_lshrrev_b32_e32 v14, 4, v0
	s_addc_u32 s25, s13, s25
	v_or_b32_e32 v9, 1, v8
	v_mov_b32_e32 v18, 0xa000
	v_mov_b32_e32 v19, 0x8000
	v_xor_b32_e32 v15, v14, v8
	v_xor_b32_e32 v16, v9, v14
	v_lshl_add_u64 v[8:9], s[24:25], 0, v[66:67]
	v_lshlrev_b32_e32 v66, 8, v14
	v_cndmask_b32_e32 v18, v18, v19, vcc
	v_lshlrev_b32_e32 v19, 3, v74
	v_and_b32_e32 v11, 24, v11
	v_lshl_or_b32 v116, v15, 3, v66
	v_and_b32_e32 v15, 8, v0
	v_xor_b32_e32 v20, v19, v11
	v_or_b32_e32 v21, 0x440, v20
	v_cmp_eq_u32_e32 vcc, 0, v15
	v_and_b32_e32 v14, 7, v0
	v_lshl_or_b32 v117, v16, 3, v66
	v_cndmask_b32_e32 v15, v21, v20, vcc
	v_lshlrev_b32_e32 v16, 3, v14
	v_lshlrev_b32_e32 v14, 7, v14
	v_or_b32_e32 v15, v15, v10
	v_lshlrev_b32_e32 v17, 2, v0
	v_xad_u32 v118, v15, v16, v14
	v_or_b32_e32 v15, 32, v11
	v_and_or_b32 v12, v17, 60, v12
	v_xor_b32_e32 v15, v19, v15
	v_lshlrev_b32_e32 v12, 1, v12
	v_or_b32_e32 v17, 0x440, v15
	v_or_b32_e32 v119, 0x6000, v12
	v_cndmask_b32_e32 v15, v17, v15, vcc
	v_or_b32_e32 v121, 0x6080, v12
	v_or_b32_e32 v122, 0x6100, v12
	;; [unrolled: 1-line block ×5, first 2 shown]
	v_xor_b32_e32 v12, v19, v12
	v_xad_u32 v120, v15, v16, v14
	v_xor_b32_e32 v15, 0x440, v12
	v_cndmask_b32_e32 v12, v15, v12, vcc
	v_or_b32_e32 v11, 0x60, v11
	v_or_b32_e32 v12, v12, v10
	v_xor_b32_e32 v11, v19, v11
	v_xad_u32 v124, v12, v16, v14
	v_xor_b32_e32 v12, 0x440, v11
	v_or_b32_e32 v6, s2, v78
	v_cndmask_b32_e32 v11, v12, v11, vcc
	v_ashrrev_i32_e32 v7, 31, v6
	v_lshlrev_b32_e32 v5, 1, v3
	v_add_lshl_u32 v3, v3, s19, 1
	v_or_b32_e32 v13, 0x100, v2
	v_or_b32_e32 v10, v11, v10
	v_xad_u32 v125, v10, v16, v14
	v_cndmask_b32_e64 v126, v5, v2, s[0:1]
	v_cndmask_b32_e64 v127, v3, v13, s[0:1]
	v_lshlrev_b64 v[2:3], 1, v[6:7]
	v_lshl_add_u64 v[68:69], s[8:9], 0, v[2:3]
	v_lshl_add_u64 v[70:71], s[14:15], 0, v[2:3]
	;; [unrolled: 1-line block ×3, first 2 shown]
	s_mov_b32 s3, 0x7060302
	v_lshlrev_b32_e32 v66, 1, v4
	v_add_u32_e32 v129, v18, v118
	v_add_u32_e32 v130, v18, v120
	;; [unrolled: 1-line block ×4, first 2 shown]
	v_mov_b32_e32 v26, v67
	v_mov_b32_e32 v27, v67
	;; [unrolled: 1-line block ×31, first 2 shown]
	s_barrier
.LBB253_6:                              ; =>This Inner Loop Header: Depth=1
	s_add_i32 s65, s66, 1
	s_cmp_lt_i32 s65, s50
	s_mov_b64 s[28:29], 0
	s_cselect_b64 s[44:45], -1, 0
	s_cmp_ge_i32 s65, s50
	s_mov_b64 s[24:25], 0
	s_cbranch_scc1 .LBB253_8
; %bb.7:                                ;   in Loop: Header=BB253_6 Depth=1
	s_add_i32 s0, s59, 64
	s_add_u32 s0, s40, s0
	s_addc_u32 s1, s41, 0
	s_lshl_b64 s[0:1], s[0:1], 8
	s_add_u32 s24, s6, s0
	s_addc_u32 s25, s7, s1
.LBB253_8:                              ;   in Loop: Header=BB253_6 Depth=1
	v_cndmask_b32_e64 v34, 0, 1, s[44:45]
	v_cmp_ne_u32_e64 s[0:1], 1, v34
	s_andn2_b64 vcc, exec, s[44:45]
	s_cbranch_vccnz .LBB253_10
; %bb.9:                                ;   in Loop: Header=BB253_6 Depth=1
	s_add_i32 s28, s59, 64
	s_add_u32 s28, s62, s28
	s_addc_u32 s29, s63, 0
	s_mul_i32 s31, s28, s51
	s_mul_hi_u32 s44, s28, s55
	s_add_i32 s31, s44, s31
	s_mul_i32 s29, s29, s55
	s_add_i32 s31, s31, s29
	s_mul_i32 s28, s28, s55
	s_add_u32 s28, s28, s54
	s_addc_u32 s29, s31, s57
	s_lshl_b64 s[28:29], s[28:29], 8
	s_add_u32 s28, s4, s28
	s_addc_u32 s29, s5, s29
.LBB253_10:                             ;   in Loop: Header=BB253_6 Depth=1
	v_perm_b32 v35, v33, v32, s3
	v_perm_b32 v34, v31, v30, s3
	v_perm_b32 v37, v29, v28, s3
	v_perm_b32 v36, v27, v26, s3
	ds_write_b64 v88, v[34:35]
	ds_write_b64 v89, v[36:37]
	ds_write_b64 v91, v[34:35]
	ds_write_b64 v92, v[36:37]
	v_perm_b32 v35, v25, v24, s3
	v_perm_b32 v34, v23, v22, s3
	v_perm_b32 v37, v21, v20, s3
	v_perm_b32 v36, v19, v18, s3
	ds_write_b64 v90, v[34:35]
	ds_write_b64 v93, v[36:37]
	ds_write_b64 v94, v[34:35]
	ds_write_b64 v95, v[36:37]
	;; [unrolled: 8-line block ×4, first 2 shown]
	s_waitcnt lgkmcnt(0)
	s_barrier
	ds_read_b64 v[38:39], v104 offset:49152
	ds_read2_b64 v[34:37], v105 offset1:16
	ds_read_b64 v[50:51], v107 offset:6144
	ds_read_b64 v[52:53], v105 offset:6144
	s_waitcnt lgkmcnt(2)
	v_mfma_f32_16x16x16_bf16 a[0:3], v[38:39], v[34:35], 0
	ds_read_b64 v[54:55], v106 offset:49152
	ds_read2st64_b64 v[42:45], v108 offset0:4 offset1:8
	ds_read2st64_b64 v[46:49], v109 offset0:4 offset1:8
	v_mfma_f32_16x16x16_bf16 a[4:7], v[38:39], v[36:37], 0
	ds_read2_b64 v[34:37], v105 offset0:32 offset1:48
	s_add_i32 s31, s59, 63
	s_mul_i32 s44, s31, s37
	s_waitcnt lgkmcnt(0)
	v_mfma_f32_16x16x16_bf16 a[8:11], v[38:39], v[34:35], 0
	s_mul_hi_u32 s45, s31, s36
	s_add_i32 s45, s45, s44
	s_mul_i32 s44, s31, s36
	v_mfma_f32_16x16x16_bf16 a[12:15], v[38:39], v[36:37], 0
	ds_read2st64_b64 v[34:37], v105 offset0:4 offset1:8
	ds_read2st64_b64 v[38:41], v107 offset0:4 offset1:8
	s_lshl_b64 s[44:45], s[44:45], 2
	s_waitcnt lgkmcnt(1)
	v_mfma_f32_16x16x16_bf16 a[0:3], v[54:55], v[34:35], a[0:3]
	s_add_u32 s44, s42, s44
	s_addc_u32 s45, s43, s45
	s_and_b64 vcc, exec, s[0:1]
	s_waitcnt lgkmcnt(0)
	v_mfma_f32_16x16x16_bf16 a[4:7], v[54:55], v[38:39], a[4:7]
	v_mov_b32_e32 v136, 0
	v_mov_b32_e32 v135, 0
	;; [unrolled: 1-line block ×3, first 2 shown]
	v_mfma_f32_16x16x16_bf16 a[8:11], v[54:55], v[42:43], a[8:11]
	ds_read_b64 v[34:35], v110 offset:49152
	ds_read_b64 v[38:39], v111 offset:49152
	;; [unrolled: 1-line block ×3, first 2 shown]
	v_mfma_f32_16x16x16_bf16 a[12:15], v[54:55], v[46:47], a[12:15]
	v_mov_b32_e32 v46, 0
	v_mov_b32_e32 v47, 0
	s_waitcnt lgkmcnt(2)
	v_mfma_f32_16x16x16_bf16 a[0:3], v[34:35], v[36:37], a[0:3]
	v_mov_b32_e32 v36, 0
	v_mov_b32_e32 v37, 0
	v_mfma_f32_16x16x16_bf16 a[4:7], v[34:35], v[40:41], a[4:7]
	v_mov_b32_e32 v40, 0
	v_mov_b32_e32 v41, 0
	;; [unrolled: 3-line block ×3, first 2 shown]
	v_mfma_f32_16x16x16_bf16 a[12:15], v[34:35], v[48:49], a[12:15]
	ds_read_b64 v[34:35], v108 offset:6144
	v_mov_b32_e32 v48, 0
	v_mov_b32_e32 v49, 0
	s_waitcnt lgkmcnt(2)
	v_mfma_f32_16x16x16_bf16 a[0:3], v[38:39], v[52:53], a[0:3]
	v_mfma_f32_16x16x16_bf16 a[4:7], v[38:39], v[50:51], a[4:7]
	s_waitcnt lgkmcnt(0)
	v_mfma_f32_16x16x16_bf16 a[8:11], v[38:39], v[34:35], a[8:11]
	v_mov_b32_e32 v34, 0
	v_mov_b32_e32 v35, 0
	v_mfma_f32_16x16x16_bf16 a[12:15], v[38:39], v[42:43], a[12:15]
	v_mov_b32_e32 v38, 0
	v_mov_b32_e32 v39, 0
	;; [unrolled: 1-line block ×4, first 2 shown]
	s_cbranch_vccnz .LBB253_12
; %bb.11:                               ;   in Loop: Header=BB253_6 Depth=1
	s_and_b32 s25, s25, 0xffff
	buffer_load_dwordx4 v[46:49], v84, s[24:27], 0 offen
	buffer_load_dwordx4 v[42:45], v84, s[24:27], s58 offen
	;; [unrolled: 1-line block ×4, first 2 shown]
	v_mov_b32_e32 v135, v86
	v_mov_b32_e32 v134, v87
.LBB253_12:                             ;   in Loop: Header=BB253_6 Depth=1
	ds_read_b64 v[142:143], v104 offset:57344
	ds_read2_b64 v[50:53], v112 offset1:16
	ds_read_b64 v[144:145], v106 offset:57344
	ds_read_b64 v[146:147], v110 offset:57344
	;; [unrolled: 1-line block ×3, first 2 shown]
	v_add_u32_e32 v137, s59, v128
	s_waitcnt lgkmcnt(3)
	v_mfma_f32_16x16x16_bf16 a[0:3], v[142:143], v[50:51], a[0:3]
	v_mfma_f32_16x16x16_bf16 a[4:7], v[142:143], v[52:53], a[4:7]
	ds_read2_b64 v[50:53], v112 offset0:32 offset1:48
	ds_read2st64_b64 v[54:57], v112 offset0:4 offset1:8
	ds_read2st64_b64 v[58:61], v113 offset0:4 offset1:8
	ds_read2st64_b64 v[62:65], v114 offset0:4 offset1:8
	ds_read2st64_b64 v[138:141], v115 offset0:4 offset1:8
	s_waitcnt lgkmcnt(4)
	v_mfma_f32_16x16x16_bf16 a[8:11], v[142:143], v[50:51], a[8:11]
	v_ashrrev_i32_e32 v50, 31, v137
	v_mfma_f32_16x16x16_bf16 a[12:15], v[142:143], v[52:53], a[12:15]
	v_mul_lo_u32 v52, v50, s36
	v_mul_lo_u32 v53, v137, s37
	v_mad_u64_u32 v[50:51], s[24:25], v137, s36, 0
	v_add3_u32 v51, v51, v53, v52
	v_add_u32_e32 v52, 1, v137
	v_ashrrev_i32_e32 v53, 31, v52
	s_waitcnt lgkmcnt(3)
	v_mfma_f32_16x16x16_bf16 a[0:3], v[144:145], v[54:55], a[0:3]
	v_mul_lo_u32 v54, v53, s36
	v_mul_lo_u32 v55, v52, s37
	v_mad_u64_u32 v[52:53], s[24:25], v52, s36, 0
	v_add3_u32 v53, v53, v55, v54
	v_add_u32_e32 v54, 2, v137
	v_ashrrev_i32_e32 v55, 31, v54
	s_waitcnt lgkmcnt(2)
	v_mfma_f32_16x16x16_bf16 a[4:7], v[144:145], v[58:59], a[4:7]
	v_mul_lo_u32 v58, v55, s36
	v_mul_lo_u32 v59, v54, s37
	v_mad_u64_u32 v[54:55], s[24:25], v54, s36, 0
	v_add3_u32 v55, v55, v59, v58
	v_add_u32_e32 v58, 3, v137
	v_lshl_add_u64 v[50:51], v[50:51], 2, s[42:43]
	v_lshl_add_u64 v[52:53], v[52:53], 2, s[42:43]
	v_ashrrev_i32_e32 v59, 31, v58
	s_waitcnt lgkmcnt(1)
	v_mfma_f32_16x16x16_bf16 a[8:11], v[144:145], v[62:63], a[8:11]
	v_mul_lo_u32 v59, v59, s36
	global_load_dword v62, v[50:51], off
	global_load_dword v137, v[52:53], off
	v_mul_lo_u32 v63, v58, s37
	v_mad_u64_u32 v[50:51], s[24:25], v58, s36, 0
	v_add3_u32 v51, v51, v63, v59
	s_add_u32 s24, s40, s59
	v_lshl_add_u64 v[54:55], v[54:55], 2, s[42:43]
	v_lshl_add_u64 v[50:51], v[50:51], 2, s[42:43]
	s_addc_u32 s25, s41, 0
	s_waitcnt lgkmcnt(0)
	v_mfma_f32_16x16x16_bf16 a[12:15], v[144:145], v[138:139], a[12:15]
	global_load_dword v63, v[54:55], off
	global_load_dword v138, v[50:51], off
	s_lshl_b64 s[24:25], s[24:25], 8
	v_lshl_add_u64 v[50:51], v[68:69], 0, s[24:25]
	v_lshl_add_u64 v[50:51], v[50:51], 0, v[66:67]
	global_load_ushort v139, v[50:51], off offset:256
	global_load_ushort v142, v[50:51], off
	global_load_ushort v143, v[50:51], off offset:768
	global_load_ushort v144, v[50:51], off offset:512
	global_load_ushort v145, v[50:51], off offset:288
	global_load_ushort v150, v[50:51], off offset:32
	global_load_ushort v151, v[50:51], off offset:800
	global_load_ushort v152, v[50:51], off offset:544
	s_load_dword s44, s[44:45], 0x0
	v_mfma_f32_16x16x16_bf16 a[12:15], v[146:147], v[140:141], a[12:15]
	global_load_ushort v140, v[50:51], off offset:320
	global_load_ushort v141, v[50:51], off offset:64
	s_and_b64 vcc, exec, s[0:1]
	v_mfma_f32_16x16x16_bf16 a[0:3], v[146:147], v[56:57], a[0:3]
	ds_read_b64 v[52:53], v112 offset:6144
	ds_read_b64 v[54:55], v113 offset:6144
	;; [unrolled: 1-line block ×4, first 2 shown]
	v_mfma_f32_16x16x16_bf16 a[4:7], v[146:147], v[60:61], a[4:7]
	s_waitcnt vmcnt(11) lgkmcnt(0)
	v_sub_f32_e32 v60, s44, v63
	v_mfma_f32_16x16x16_bf16 a[8:11], v[146:147], v[64:65], a[8:11]
	global_load_ushort v146, v[50:51], off offset:832
	global_load_ushort v147, v[50:51], off offset:576
	;; [unrolled: 1-line block ×6, first 2 shown]
	v_mfma_f32_16x16x16_bf16 a[0:3], v[148:149], v[52:53], a[0:3]
	s_waitcnt vmcnt(16)
	v_sub_f32_e32 v61, s44, v138
	v_mul_f32_e32 v60, 0x3fb8aa3b, v60
	v_mul_f32_e32 v61, 0x3fb8aa3b, v61
	v_exp_f32_e32 v60, v60
	v_exp_f32_e32 v61, v61
	s_waitcnt vmcnt(15)
	v_lshlrev_b32_e32 v65, 16, v139
	s_waitcnt vmcnt(14)
	v_lshlrev_b32_e32 v64, 16, v142
	v_accvgpr_read_b32 v53, a3
	v_accvgpr_read_b32 v52, a2
	v_mfma_f32_16x16x16_bf16 a[2:5], v[148:149], v[54:55], a[4:7]
	v_accvgpr_read_b32 v139, a1
	v_accvgpr_read_b32 v138, a0
	v_pk_add_f32 v[64:65], v[64:65], v[138:139] neg_lo:[0,1] neg_hi:[0,1]
	v_mfma_f32_16x16x16_bf16 a[6:9], v[148:149], v[56:57], a[8:11]
	s_waitcnt vmcnt(13)
	v_lshlrev_b32_e32 v139, 16, v143
	s_waitcnt vmcnt(12)
	v_lshlrev_b32_e32 v138, 16, v144
	v_pk_add_f32 v[52:53], v[138:139], v[52:53] neg_lo:[0,1] neg_hi:[0,1]
	v_accvgpr_read_b32 v139, a3
	v_accvgpr_read_b32 v138, a2
	;; [unrolled: 1-line block ×6, first 2 shown]
	v_mfma_f32_16x16x16_bf16 a[8:11], v[148:149], v[58:59], a[12:15]
	v_sub_f32_e32 v58, s44, v62
	v_sub_f32_e32 v59, s44, v137
	v_mul_f32_e32 v58, 0x3fb8aa3b, v58
	v_mul_f32_e32 v59, 0x3fb8aa3b, v59
	v_exp_f32_e32 v58, v58
	v_exp_f32_e32 v59, v59
	v_lshl_add_u64 v[62:63], v[70:71], 0, s[24:25]
	v_lshl_add_u64 v[62:63], v[62:63], 0, v[66:67]
	global_store_short_d16_hi v[62:63], v64, off
	global_store_short_d16_hi v[62:63], v65, off offset:256
	global_store_short_d16_hi v[62:63], v52, off offset:512
	;; [unrolled: 1-line block ×3, first 2 shown]
	v_pk_mul_f32 v[64:65], v[58:59], v[64:65]
	v_pk_mul_f32 v[52:53], v[60:61], v[52:53]
	v_accvgpr_read_b32 v57, a11
	v_perm_b32 v53, v53, v52, s3
	v_perm_b32 v52, v65, v64, s3
	s_waitcnt vmcnt(15)
	v_lshlrev_b32_e32 v65, 16, v145
	s_waitcnt vmcnt(14)
	v_lshlrev_b32_e32 v64, 16, v150
	v_pk_add_f32 v[64:65], v[64:65], v[138:139] neg_lo:[0,1] neg_hi:[0,1]
	s_waitcnt vmcnt(13)
	v_lshlrev_b32_e32 v139, 16, v151
	s_waitcnt vmcnt(12)
	v_lshlrev_b32_e32 v138, 16, v152
	v_pk_add_f32 v[54:55], v[138:139], v[54:55] neg_lo:[0,1] neg_hi:[0,1]
	global_store_short_d16_hi v[62:63], v64, off offset:32
	global_store_short_d16_hi v[62:63], v65, off offset:288
	;; [unrolled: 1-line block ×4, first 2 shown]
	v_pk_mul_f32 v[64:65], v[58:59], v[64:65]
	v_pk_mul_f32 v[54:55], v[60:61], v[54:55]
	v_accvgpr_read_b32 v56, a10
	v_perm_b32 v55, v55, v54, s3
	v_perm_b32 v54, v65, v64, s3
	ds_write2_b64 v89, v[52:53], v[54:55] offset1:16
	v_accvgpr_read_b32 v55, a7
	s_waitcnt vmcnt(15)
	v_lshlrev_b32_e32 v53, 16, v140
	s_waitcnt vmcnt(14)
	v_lshlrev_b32_e32 v52, 16, v141
	v_accvgpr_read_b32 v54, a6
	v_pk_add_f32 v[52:53], v[52:53], v[54:55] neg_lo:[0,1] neg_hi:[0,1]
	global_store_short_d16_hi v[62:63], v52, off offset:64
	global_store_short_d16_hi v[62:63], v53, off offset:320
	v_pk_mul_f32 v[52:53], v[58:59], v[52:53]
	v_mov_b32_e32 v137, 0
	v_perm_b32 v52, v53, v52, s3
	v_mov_b32_e32 v64, 0
	v_mov_b32_e32 v65, 0
	s_waitcnt vmcnt(15)
	v_lshlrev_b32_e32 v55, 16, v146
	s_waitcnt vmcnt(14)
	v_lshlrev_b32_e32 v54, 16, v147
	v_pk_add_f32 v[50:51], v[54:55], v[50:51] neg_lo:[0,1] neg_hi:[0,1]
	global_store_short_d16_hi v[62:63], v50, off offset:576
	global_store_short_d16_hi v[62:63], v51, off offset:832
	v_pk_mul_f32 v[50:51], v[60:61], v[50:51]
	v_accvgpr_read_b32 v55, a9
	v_perm_b32 v53, v51, v50, s3
	s_waitcnt vmcnt(15)
	v_lshlrev_b32_e32 v51, 16, v153
	s_waitcnt vmcnt(14)
	v_lshlrev_b32_e32 v50, 16, v154
	v_accvgpr_read_b32 v54, a8
	v_pk_add_f32 v[50:51], v[50:51], v[54:55] neg_lo:[0,1] neg_hi:[0,1]
	s_waitcnt vmcnt(13)
	v_lshlrev_b32_e32 v55, 16, v155
	s_waitcnt vmcnt(12)
	v_lshlrev_b32_e32 v54, 16, v156
	v_pk_add_f32 v[54:55], v[54:55], v[56:57] neg_lo:[0,1] neg_hi:[0,1]
	global_store_short_d16_hi v[62:63], v50, off offset:96
	global_store_short_d16_hi v[62:63], v51, off offset:352
	;; [unrolled: 1-line block ×4, first 2 shown]
	v_pk_mul_f32 v[50:51], v[58:59], v[50:51]
	v_pk_mul_f32 v[54:55], v[60:61], v[54:55]
	v_mov_b32_e32 v56, 0
	v_perm_b32 v55, v55, v54, s3
	v_perm_b32 v54, v51, v50, s3
	ds_write2_b64 v89, v[52:53], v[54:55] offset0:32 offset1:48
	v_mov_b32_e32 v50, 0
	v_mov_b32_e32 v51, 0
	;; [unrolled: 1-line block ×13, first 2 shown]
	s_cbranch_vccnz .LBB253_14
; %bb.13:                               ;   in Loop: Header=BB253_6 Depth=1
	s_and_b32 s29, s29, 0xffff
	s_mov_b32 s31, s27
	buffer_load_dwordx4 v[62:65], v126, s[28:31], 0 offen
	buffer_load_dwordx4 v[54:57], v126, s[28:31], s58 offen
	;; [unrolled: 1-line block ×4, first 2 shown]
	v_mov_b32_e32 v136, v83
	v_mov_b32_e32 v137, v82
.LBB253_14:                             ;   in Loop: Header=BB253_6 Depth=1
	s_waitcnt lgkmcnt(0)
	s_barrier
	ds_read_b64 v[146:147], v129
	ds_read2_b64 v[138:141], v119 offset1:16
	ds_read_b64 v[162:163], v130
	ds_read_b64 v[164:165], v131
	;; [unrolled: 1-line block ×3, first 2 shown]
	ds_read2_b64 v[142:145], v119 offset0:32 offset1:48
	s_waitcnt lgkmcnt(4)
	v_mfma_f32_16x16x16_bf16 a[0:3], v[146:147], v[138:139], 0
	ds_read2st64_b64 v[150:153], v121 offset0:4 offset1:8
	ds_read2st64_b64 v[154:157], v122 offset0:4 offset1:8
	;; [unrolled: 1-line block ×3, first 2 shown]
	v_mfma_f32_16x16x16_bf16 a[4:7], v[146:147], v[140:141], 0
	s_add_i32 s24, s52, s66
	s_mul_hi_i32 s25, s24, s17
	s_mul_i32 s24, s24, s17
	s_waitcnt lgkmcnt(3)
	v_mfma_f32_16x16x16_bf16 a[8:11], v[146:147], v[142:143], 0
	s_add_u32 s24, s24, s33
	s_addc_u32 s25, s25, s56
	s_lshl_b64 s[24:25], s[24:25], 15
	v_mfma_f32_16x16x16_bf16 a[12:15], v[146:147], v[144:145], 0
	ds_read2st64_b64 v[146:149], v119 offset0:4 offset1:8
	s_waitcnt lgkmcnt(0)
	v_mfma_f32_16x16x16_bf16 a[0:3], v[162:163], v[146:147], a[0:3]
	v_mfma_f32_16x16x16_bf16 a[4:7], v[162:163], v[150:151], a[4:7]
	;; [unrolled: 1-line block ×8, first 2 shown]
	ds_read_b64 v[162:163], v119 offset:6144
	ds_read_b64 v[164:165], v120 offset:40960
	;; [unrolled: 1-line block ×8, first 2 shown]
	s_waitcnt lgkmcnt(5)
	v_mfma_f32_16x16x16_bf16 a[16:19], v[168:169], v[138:139], 0
	v_mfma_f32_16x16x16_bf16 a[20:23], v[168:169], v[140:141], 0
	ds_read2st64_b64 v[138:141], v116 offset1:8
	v_mfma_f32_16x16x16_bf16 a[24:27], v[168:169], v[142:143], 0
	v_mfma_f32_16x16x16_bf16 a[28:31], v[168:169], v[144:145], 0
	ds_read2st64_b64 v[142:145], v117 offset1:8
	v_mfma_f32_16x16x16_bf16 a[16:19], v[164:165], v[146:147], a[16:19]
	s_waitcnt lgkmcnt(1)
	v_mov_b32_e32 v146, v138
	v_mov_b32_e32 v147, v139
	v_mfma_f32_16x16x16_bf16 a[20:23], v[164:165], v[150:151], a[20:23]
	v_lshl_add_u64 v[150:151], v[72:73], 0, s[24:25]
	v_mfma_f32_16x16x16_bf16 a[24:27], v[164:165], v[154:155], a[24:27]
	v_mfma_f32_16x16x16_bf16 a[28:31], v[164:165], v[158:159], a[28:31]
	;; [unrolled: 1-line block ×3, first 2 shown]
	s_waitcnt lgkmcnt(0)
	v_mov_b32_e32 v148, v142
	v_mov_b32_e32 v149, v143
	;; [unrolled: 1-line block ×3, first 2 shown]
	v_mfma_f32_16x16x16_bf16 a[32:35], v[176:177], v[152:153], a[20:23]
	v_mov_b32_e32 v143, v141
	ds_read2st64_b64 v[138:141], v116 offset0:16 offset1:24
	global_store_dwordx4 v[150:151], v[146:149], off
	v_mfma_f32_16x16x16_bf16 a[24:27], v[176:177], v[156:157], a[24:27]
	ds_read2st64_b64 v[146:149], v117 offset0:16 offset1:24
	v_add_co_u32_e32 v152, vcc, s39, v150
	v_mfma_f32_16x16x16_bf16 a[28:31], v[176:177], v[160:161], a[28:31]
	s_nop 0
	v_addc_co_u32_e32 v153, vcc, 0, v151, vcc
	global_store_dwordx4 v[152:153], v[142:145], off offset:-4096
	v_mfma_f32_16x16x16_bf16 a[0:3], v[166:167], v[162:163], a[0:3]
	s_waitcnt lgkmcnt(1)
	v_mov_b32_e32 v142, v138
	v_add_co_u32_e32 v138, vcc, s64, v150
	v_mfma_f32_16x16x16_bf16 a[4:7], v[166:167], v[170:171], a[4:7]
	v_mov_b32_e32 v143, v139
	v_addc_co_u32_e32 v139, vcc, 0, v151, vcc
	v_mfma_f32_16x16x16_bf16 a[8:11], v[166:167], v[172:173], a[8:11]
	s_waitcnt lgkmcnt(0)
	v_mov_b32_e32 v144, v146
	v_mov_b32_e32 v145, v147
	;; [unrolled: 1-line block ×3, first 2 shown]
	v_mfma_f32_16x16x16_bf16 a[12:15], v[166:167], v[174:175], a[12:15]
	v_mov_b32_e32 v147, v141
	s_and_b64 vcc, exec, s[0:1]
	global_store_dwordx4 v[152:153], v[142:145], off
	v_mfma_f32_16x16x16_bf16 a[20:23], v[178:179], v[162:163], a[16:19]
	global_store_dwordx4 v[138:139], v[146:149], off
	v_mfma_f32_16x16x16_bf16 a[16:19], v[178:179], v[170:171], a[32:35]
	v_mfma_f32_16x16x16_bf16 a[24:27], v[178:179], v[172:173], a[24:27]
	;; [unrolled: 1-line block ×3, first 2 shown]
	s_cbranch_vccnz .LBB253_16
; %bb.15:                               ;   in Loop: Header=BB253_6 Depth=1
	v_lshrrev_b32_e32 v138, 3, v136
	v_and_b32_e32 v138, 6, v138
	v_xor_b32_e32 v137, v138, v137
	v_lshlrev_b32_e32 v137, 2, v137
	v_and_b32_e32 v136, 8, v136
	v_xor_b32_e32 v139, 0x440, v137
	v_cmp_eq_u32_e32 vcc, 0, v136
	s_barrier
	s_nop 0
	v_cndmask_b32_e32 v136, v139, v137, vcc
	v_lshl_or_b32 v136, v138, 10, v136
	s_waitcnt vmcnt(5)
	v_perm_b32 v137, v62, v58, s60
	s_waitcnt vmcnt(4)
	v_perm_b32 v138, v54, v50, s60
	ds_write2st64_b32 v136, v137, v138 offset0:128 offset1:160
	v_xor_b32_e32 v137, 8, v136
	v_perm_b32 v58, v62, v58, s61
	v_perm_b32 v50, v54, v50, s61
	v_add_u32_e32 v54, 0x80, v137
	ds_write2st64_b32 v54, v58, v50 offset0:128 offset1:160
	v_xor_b32_e32 v50, 16, v136
	v_perm_b32 v54, v63, v59, s60
	v_perm_b32 v58, v55, v51, s60
	ds_write2st64_b32 v50, v54, v58 offset0:129 offset1:161
	v_xor_b32_e32 v50, 24, v136
	v_perm_b32 v54, v63, v59, s61
	v_perm_b32 v51, v55, v51, s61
	v_add_u32_e32 v50, 0x80, v50
	ds_write2st64_b32 v50, v54, v51 offset0:129 offset1:161
	v_xor_b32_e32 v50, 32, v136
	v_perm_b32 v51, v64, v60, s60
	;; [unrolled: 9-line block ×3, first 2 shown]
	v_perm_b32 v52, v57, v53, s60
	ds_write2st64_b32 v50, v51, v52 offset0:131 offset1:163
	v_xor_b32_e32 v50, 56, v136
	v_perm_b32 v51, v65, v61, s61
	v_perm_b32 v52, v57, v53, s61
	v_add_u32_e32 v50, 0x80, v50
	ds_write2st64_b32 v50, v51, v52 offset0:131 offset1:163
	ds_write_b64 v135, v[46:47] offset:49152
	v_xor_b32_e32 v46, 8, v135
	ds_write_b64 v46, v[48:49] offset:49152
	ds_write_b64 v135, v[42:43] offset:57344
	;; [unrolled: 1-line block ×4, first 2 shown]
	v_xor_b32_e32 v38, 8, v134
	ds_write_b64 v38, v[40:41] offset:49152
	ds_write_b64 v134, v[34:35] offset:57344
	;; [unrolled: 1-line block ×3, first 2 shown]
.LBB253_16:                             ;   in Loop: Header=BB253_6 Depth=1
	s_waitcnt vmcnt(6)
	v_mul_f32_e32 v54, s44, v133
	v_exp_f32_e32 v134, v54
	v_accvgpr_read_b32 v37, a3
	v_accvgpr_read_b32 v41, a7
	;; [unrolled: 1-line block ×4, first 2 shown]
	s_waitcnt vmcnt(4)
	v_accvgpr_read_b32 v53, a23
	v_accvgpr_read_b32 v57, a19
	;; [unrolled: 1-line block ×28, first 2 shown]
	s_add_i32 s59, s59, 64
	v_pk_fma_f32 v[30:31], v[134:135], v[30:31], v[34:35] op_sel_hi:[0,1,1]
	v_pk_fma_f32 v[32:33], v[134:135], v[32:33], v[36:37] op_sel_hi:[0,1,1]
	;; [unrolled: 1-line block ×15, first 2 shown]
	s_cmp_eq_u32 s50, s65
	v_pk_fma_f32 v[8:9], v[134:135], v[8:9], v[64:65] op_sel_hi:[0,1,1]
	s_cbranch_scc1 .LBB253_18
; %bb.17:                               ;   in Loop: Header=BB253_6 Depth=1
	s_mov_b32 s66, s65
	s_branch .LBB253_6
.LBB253_18:
	s_lshl_b32 s44, s50, 6
	s_sub_i32 s45, s16, s44
	s_cmp_gt_i32 s45, 0
	v_or_b32_e32 v50, s2, v78
	s_cbranch_scc1 .LBB253_20
; %bb.19:
	s_ashr_i32 s0, s33, 31
	s_add_u32 s28, s47, s33
	s_addc_u32 s29, s53, s0
	v_or_b32_e32 v34, s2, v78
	s_cbranch_execz .LBB253_21
	s_branch .LBB253_101
.LBB253_20:
                                        ; implicit-def: $sgpr28_sgpr29
                                        ; implicit-def: $vgpr34
.LBB253_21:
	s_ashr_i32 s39, s49, 31
	s_ashr_i32 s3, s44, 31
	s_cmpk_lg_i32 s19, 0x80
	s_cselect_b64 s[40:41], -1, 0
	s_and_b64 vcc, exec, s[40:41]
	s_cbranch_vccz .LBB253_23
; %bb.22:
	s_mul_i32 s1, s49, s16
	s_mul_hi_i32 s0, s49, s16
	s_add_u32 s1, s1, s44
	s_addc_u32 s0, s0, s3
	s_mul_i32 s24, s1, s51
	s_mul_hi_u32 s25, s1, s18
	s_add_i32 s24, s25, s24
	s_mul_i32 s0, s0, s18
	s_add_i32 s24, s24, s0
	s_mul_i32 s1, s1, s18
	s_ashr_i32 s0, s54, 31
	s_add_u32 s42, s1, s54
	s_addc_u32 s43, s24, s0
	s_cbranch_execz .LBB253_24
	s_branch .LBB253_25
.LBB253_23:
                                        ; implicit-def: $sgpr42_sgpr43
.LBB253_24:
	s_mul_hi_i32 s0, s49, s18
	s_mul_i32 s49, s49, s18
	s_ashr_i32 s1, s54, 31
	s_add_u32 s18, s49, s54
	s_addc_u32 s0, s0, s1
	s_mul_i32 s1, s18, s48
	s_mul_hi_u32 s24, s18, s16
	s_add_i32 s1, s24, s1
	s_mul_i32 s0, s0, s16
	s_add_i32 s1, s1, s0
	s_mul_i32 s18, s18, s16
	s_add_u32 s42, s18, s44
	s_addc_u32 s43, s1, s3
.LBB253_25:
	s_add_i32 s24, s52, s50
	s_ashr_i32 s18, s33, 31
	s_add_u32 s28, s47, s33
	s_addc_u32 s29, s53, s18
	s_mul_i32 s0, s28, s48
	s_mul_hi_u32 s1, s28, s16
	s_add_i32 s0, s1, s0
	s_mul_i32 s1, s29, s16
	s_add_i32 s1, s0, s1
	s_mul_i32 s0, s28, s16
	s_add_u32 s0, s0, s44
	v_lshlrev_b32_e32 v38, 6, v1
	v_lshlrev_b32_e32 v58, 2, v78
	s_addc_u32 s1, s1, s3
	s_mov_b32 s3, 0x7060302
	v_or_b32_e32 v41, v38, v58
	v_xor_b32_e32 v39, v1, v58
	v_perm_b32 v35, v33, v32, s3
	v_perm_b32 v34, v31, v30, s3
	;; [unrolled: 1-line block ×4, first 2 shown]
	v_lshlrev_b32_e32 v41, 1, v41
	v_xor_b32_e32 v40, v81, v58
	ds_write2st64_b64 v41, v[34:35], v[36:37] offset0:32 offset1:48
	v_lshlrev_b32_e32 v39, 1, v39
	v_lshlrev_b32_e32 v41, 8, v78
	v_or_b32_e32 v42, v39, v41
	v_lshlrev_b32_e32 v40, 1, v40
	ds_write_b64 v42, v[34:35]
	v_or_b32_e32 v34, v40, v41
	v_or_b32_e32 v41, 16, v78
	v_lshlrev_b32_e32 v57, 2, v41
	v_or_b32_e32 v42, v38, v57
	ds_write_b64 v34, v[36:37]
	v_perm_b32 v35, v25, v24, s3
	v_perm_b32 v34, v23, v22, s3
	;; [unrolled: 1-line block ×4, first 2 shown]
	v_lshlrev_b32_e32 v42, 1, v42
	v_lshlrev_b32_e32 v41, 8, v41
	ds_write2st64_b64 v42, v[34:35], v[36:37] offset0:32 offset1:48
	v_or_b32_e32 v42, v39, v41
	ds_write_b64 v42, v[34:35]
	v_or_b32_e32 v34, v40, v41
	v_or_b32_e32 v41, 32, v78
	v_lshlrev_b32_e32 v56, 2, v41
	v_or_b32_e32 v42, v38, v56
	ds_write_b64 v34, v[36:37]
	v_perm_b32 v35, v17, v16, s3
	v_perm_b32 v34, v15, v14, s3
	;; [unrolled: 1-line block ×4, first 2 shown]
	v_lshlrev_b32_e32 v42, 1, v42
	v_lshlrev_b32_e32 v41, 8, v41
	s_lshl_b64 s[30:31], s[0:1], 8
	ds_write2st64_b64 v42, v[34:35], v[36:37] offset0:32 offset1:48
	v_or_b32_e32 v42, v39, v41
	s_add_u32 s0, s6, s30
	ds_write_b64 v42, v[34:35]
	v_or_b32_e32 v34, v40, v41
	s_addc_u32 s1, s7, s31
	ds_write_b64 v34, v[36:37]
	v_perm_b32 v35, v5, v4, s3
	v_perm_b32 v34, v3, v2, s3
	;; [unrolled: 1-line block ×4, first 2 shown]
	v_or_b32_e32 v41, 48, v78
	s_mul_hi_i32 s3, s24, s17
	s_mul_i32 s24, s24, s17
	v_lshlrev_b32_e32 v53, 2, v41
	s_add_u32 s6, s24, s33
	v_or_b32_e32 v38, v38, v53
	s_addc_u32 s7, s3, s18
	v_lshlrev_b32_e32 v38, 1, v38
	s_ashr_i32 s3, s2, 31
	s_lshl_b64 s[6:7], s[6:7], 15
	ds_write2st64_b64 v38, v[34:35], v[36:37] offset0:32 offset1:48
	v_lshlrev_b32_e32 v38, 8, v41
	s_waitcnt lgkmcnt(0)
	s_add_u32 s6, s12, s6
	v_or_b32_e32 v39, v39, v38
	s_addc_u32 s7, s13, s7
	s_lshl_b64 s[2:3], s[2:3], 8
	ds_write_b64 v39, v[34:35]
	v_or_b32_e32 v34, v40, v38
	s_add_u32 s2, s6, s2
	v_lshlrev_b32_e32 v35, 1, v78
	ds_write_b64 v34, v[36:37]
	v_lshrrev_b32_e32 v34, 4, v0
	s_addc_u32 s3, s7, s3
	v_or_b32_e32 v36, 1, v35
	v_lshlrev_b32_e32 v42, 4, v78
	v_mov_b32_e32 v43, 0
	v_xor_b32_e32 v35, v34, v35
	v_xor_b32_e32 v38, v36, v34
	v_lshl_add_u64 v[44:45], s[2:3], 0, v[42:43]
	v_lshlrev_b32_e32 v42, 8, v34
	v_lshl_or_b32 v48, v35, 3, v42
	v_lshl_or_b32 v49, v38, 3, v42
	s_waitcnt lgkmcnt(0)
	s_barrier
	ds_read2st64_b64 v[34:37], v48 offset1:8
	ds_read2st64_b64 v[38:41], v49 offset1:8
	v_lshl_add_u64 v[46:47], v[44:45], 0, v[42:43]
	s_movk_i32 s2, 0x2000
	s_cmp_lg_u32 s45, 64
	s_waitcnt lgkmcnt(1)
	v_mov_b32_e32 v42, v34
	v_mov_b32_e32 v43, v35
	s_waitcnt lgkmcnt(0)
	v_mov_b32_e32 v44, v38
	v_mov_b32_e32 v45, v39
	global_store_dwordx4 v[46:47], v[42:45], off
	v_mov_b32_e32 v38, v36
	v_mov_b32_e32 v39, v37
	ds_read2st64_b64 v[34:37], v48 offset0:16 offset1:24
	ds_read2st64_b64 v[42:45], v49 offset0:16 offset1:24
	v_add_co_u32_e32 v48, vcc, s2, v46
	s_cselect_b64 s[6:7], -1, 0
	s_nop 0
	v_addc_co_u32_e32 v49, vcc, 0, v47, vcc
	global_store_dwordx4 v[48:49], v[38:41], off offset:-4096
	v_lshl_or_b32 v51, v74, 3, v80
	s_mov_b32 s24, 0
	s_waitcnt lgkmcnt(1)
	v_mov_b32_e32 v38, v34
	v_add_co_u32_e32 v34, vcc, 0x3000, v46
	v_mov_b32_e32 v39, v35
	s_nop 0
	v_addc_co_u32_e32 v35, vcc, 0, v47, vcc
	s_waitcnt lgkmcnt(0)
	v_mov_b32_e32 v40, v42
	v_mov_b32_e32 v41, v43
	;; [unrolled: 1-line block ×4, first 2 shown]
	v_or_b32_e32 v54, 32, v51
	v_and_b32_e32 v52, 56, v79
	s_and_b64 vcc, exec, s[6:7]
	global_store_dwordx4 v[48:49], v[38:41], off
	global_store_dwordx4 v[34:35], v[42:45], off
	s_cbranch_vccz .LBB253_31
; %bb.26:
	s_mov_b32 s26, s24
	s_mov_b32 s27, s24
	;; [unrolled: 1-line block ×3, first 2 shown]
	v_mov_b64_e32 v[40:41], s[26:27]
	v_mov_b64_e32 v[38:39], s[24:25]
	;; [unrolled: 1-line block ×3, first 2 shown]
	v_cmp_gt_i32_e32 vcc, s45, v51
	v_mov_b64_e32 v[36:37], v[40:41]
	s_and_saveexec_b64 s[2:3], vcc
	s_cbranch_execz .LBB253_28
; %bb.27:
	v_lshlrev_b32_e32 v34, 8, v51
	v_mov_b32_e32 v35, 0
	v_lshl_add_u64 v[36:37], s[0:1], 0, v[34:35]
	v_lshlrev_b32_e32 v34, 1, v52
	v_lshl_add_u64 v[42:43], v[36:37], 0, v[34:35]
	global_load_dwordx4 v[38:41], v[42:43], off
	global_load_dwordx4 v[34:37], v[42:43], off offset:128
.LBB253_28:
	s_or_b64 exec, exec, s[2:3]
	s_mov_b32 s26, s24
	s_mov_b32 s27, s24
	;; [unrolled: 1-line block ×3, first 2 shown]
	v_mov_b64_e32 v[48:49], s[26:27]
	v_mov_b64_e32 v[46:47], s[24:25]
	;; [unrolled: 1-line block ×3, first 2 shown]
	v_cmp_gt_i32_e32 vcc, s45, v54
	v_lshlrev_b32_e32 v55, 7, v54
	v_mov_b64_e32 v[44:45], v[48:49]
	s_and_saveexec_b64 s[2:3], vcc
	s_cbranch_execz .LBB253_30
; %bb.29:
	v_lshlrev_b32_e32 v42, 1, v55
	v_mov_b32_e32 v43, 0
	v_lshl_add_u64 v[44:45], s[0:1], 0, v[42:43]
	v_lshlrev_b32_e32 v42, 1, v52
	v_lshl_add_u64 v[60:61], v[44:45], 0, v[42:43]
	global_load_dwordx4 v[46:49], v[60:61], off
	global_load_dwordx4 v[42:45], v[60:61], off offset:128
.LBB253_30:
	s_or_b64 exec, exec, s[2:3]
	v_lshrrev_b32_e32 v59, 3, v52
	v_lshlrev_b32_e32 v60, 3, v51
	v_or_b32_e32 v59, v60, v59
	v_lshlrev_b32_e32 v59, 4, v59
	v_and_b32_e32 v60, 0x78, v60
	v_xor_b32_e32 v59, v59, v60
	s_branch .LBB253_33
.LBB253_31:
                                        ; implicit-def: $vgpr59
                                        ; implicit-def: $vgpr55
                                        ; implicit-def: $vgpr38_vgpr39_vgpr40_vgpr41
                                        ; implicit-def: $vgpr34_vgpr35_vgpr36_vgpr37
                                        ; implicit-def: $vgpr46_vgpr47_vgpr48_vgpr49
                                        ; implicit-def: $vgpr42_vgpr43_vgpr44_vgpr45
	s_cbranch_execz .LBB253_33
; %bb.32:
	s_waitcnt vmcnt(0)
	v_lshlrev_b32_e32 v34, 1, v52
	v_lshl_or_b32 v55, v51, 8, v34
	s_and_b32 s1, s1, 0xffff
	s_mov_b32 s3, 0x20000
	s_movk_i32 s2, 0x4000
	v_lshl_or_b32 v59, v54, 8, v34
	s_movk_i32 s12, 0x80
	buffer_load_dwordx4 v[38:41], v55, s[0:3], 0 offen
	buffer_load_dwordx4 v[34:37], v55, s[0:3], s12 offen
	;; [unrolled: 1-line block ×4, first 2 shown]
	v_lshrrev_b32_e32 v55, 3, v52
	v_lshlrev_b32_e32 v59, 3, v51
	v_or_b32_e32 v55, v59, v55
	v_lshlrev_b32_e32 v55, 4, v55
	v_and_b32_e32 v59, 0x78, v59
	v_xor_b32_e32 v59, v55, v59
	v_lshlrev_b32_e32 v55, 7, v54
.LBB253_33:
	s_movk_i32 s0, 0x1000
	v_and_or_b32 v54, v55, s0, v59
	s_waitcnt vmcnt(1)
	ds_write_b64 v59, v[38:39] offset:49152
	v_xor_b32_e32 v38, 8, v59
	ds_write_b64 v38, v[40:41] offset:49152
	s_waitcnt vmcnt(0)
	ds_write_b64 v59, v[34:35] offset:57344
	ds_write_b64 v38, v[36:37] offset:57344
	;; [unrolled: 1-line block ×3, first 2 shown]
	v_xor_b32_e32 v34, 8, v54
	ds_write_b64 v34, v[48:49] offset:49152
	ds_write_b64 v54, v[42:43] offset:57344
	;; [unrolled: 1-line block ×3, first 2 shown]
	v_or_b32_e32 v34, v75, v78
	v_lshlrev_b32_e32 v34, 3, v34
	v_lshrrev_b32_e32 v35, 5, v76
	s_movk_i32 s0, 0xf8
	v_and_or_b32 v35, v34, s0, v35
	v_lshlrev_b32_e32 v39, 4, v35
	v_lshlrev_b32_e32 v59, 11, v74
	v_and_b32_e32 v40, 0x78, v34
	v_or_b32_e32 v42, 32, v39
	v_and_b32_e32 v38, 0x1000, v59
	v_lshrrev_b32_e32 v35, 1, v76
	v_xor_b32_e32 v42, v42, v40
	v_xor_b32_e32 v34, v39, v40
	v_and_b32_e32 v41, 8, v35
	v_or_b32_e32 v42, v42, v38
	v_or_b32_e32 v34, v34, v38
	v_xor_b32_e32 v65, v42, v41
	v_or_b32_e32 v42, 64, v39
	v_xor_b32_e32 v64, v34, v41
	v_xor_b32_e32 v42, v42, v40
	s_waitcnt lgkmcnt(0)
	s_barrier
	v_or_b32_e32 v45, v42, v38
	ds_read_b64 v[42:43], v64 offset:49152
	v_lshl_or_b32 v46, v77, 8, v58
	v_lshlrev_b32_e32 v60, 1, v46
	v_add_u32_e32 v44, 0x4000, v60
	ds_read2_b64 v[34:37], v44 offset1:16
	v_or_b32_e32 v39, 0x60, v39
	v_xor_b32_e32 v39, v39, v40
	v_or_b32_e32 v38, v39, v38
	v_xor_b32_e32 v66, v45, v41
	v_xor_b32_e32 v67, v38, v41
	ds_read_b64 v[54:55], v65 offset:49152
	ds_read_b64 v[68:69], v66 offset:49152
	;; [unrolled: 1-line block ×3, first 2 shown]
	s_waitcnt lgkmcnt(3)
	v_mfma_f32_16x16x16_bf16 a[0:3], v[42:43], v[34:35], 0
	ds_read2_b64 v[38:41], v44 offset0:32 offset1:48
	s_lshl_b64 s[0:1], s[42:43], 8
	s_add_u32 s4, s4, s0
	v_mfma_f32_16x16x16_bf16 a[4:7], v[42:43], v[36:37], 0
	ds_read2st64_b64 v[34:37], v60 offset0:36 offset1:40
	s_addc_u32 s5, s5, s1
	s_add_i32 s2, s16, -1
	s_waitcnt lgkmcnt(1)
	v_mfma_f32_16x16x16_bf16 a[8:11], v[42:43], v[38:39], 0
	v_or_b32_e32 v38, 64, v46
	v_lshlrev_b32_e32 v61, 1, v38
	s_add_i32 s0, s46, s21
	s_waitcnt lgkmcnt(0)
	v_mfma_f32_16x16x16_bf16 a[0:3], v[54:55], v[34:35], a[0:3]
	v_or_b32_e32 v34, 0x80, v46
	v_lshlrev_b32_e32 v62, 1, v34
	v_or_b32_e32 v34, 0xc0, v46
	v_mfma_f32_16x16x16_bf16 a[12:15], v[42:43], v[40:41], 0
	ds_read2st64_b64 v[38:41], v61 offset0:36 offset1:40
	v_lshlrev_b32_e32 v63, 1, v34
	ds_read2st64_b64 v[42:45], v62 offset0:36 offset1:40
	ds_read2st64_b64 v[46:49], v63 offset0:36 offset1:40
	s_mul_i32 s39, s39, s20
	s_add_i32 s39, s0, s39
	s_mul_i32 s0, s33, s23
	s_mul_hi_u32 s1, s33, s22
	s_ashr_i32 s3, s2, 31
	s_mul_i32 s12, s2, s37
	s_mul_hi_u32 s13, s2, s36
	s_waitcnt lgkmcnt(2)
	v_mfma_f32_16x16x16_bf16 a[4:7], v[54:55], v[38:39], a[4:7]
	s_add_i32 s0, s1, s0
	s_mul_i32 s1, s18, s22
	s_add_i32 s12, s13, s12
	s_mul_i32 s3, s3, s36
	s_waitcnt lgkmcnt(1)
	v_mfma_f32_16x16x16_bf16 a[8:11], v[54:55], v[42:43], a[8:11]
	s_add_i32 s1, s0, s1
	s_add_i32 s3, s12, s3
	s_lshl_b64 s[12:13], s[38:39], 2
	s_waitcnt lgkmcnt(0)
	v_mfma_f32_16x16x16_bf16 a[12:15], v[54:55], v[46:47], a[12:15]
	s_mul_i32 s0, s33, s22
	s_add_u32 s10, s10, s12
	s_addc_u32 s11, s11, s13
	s_lshl_b64 s[0:1], s[0:1], 2
	v_mfma_f32_16x16x16_bf16 a[0:3], v[68:69], v[36:37], a[0:3]
	s_mul_i32 s2, s2, s36
	ds_read_b64 v[34:35], v60 offset:22528
	s_add_u32 s10, s10, s0
	v_mfma_f32_16x16x16_bf16 a[4:7], v[68:69], v[40:41], a[4:7]
	ds_read_b64 v[36:37], v61 offset:22528
	ds_read_b64 v[38:39], v62 offset:22528
	;; [unrolled: 1-line block ×3, first 2 shown]
	s_addc_u32 s11, s11, s1
	s_lshl_b64 s[0:1], s[2:3], 2
	v_mfma_f32_16x16x16_bf16 a[8:11], v[68:69], v[44:45], a[8:11]
	s_add_u32 s0, s10, s0
	s_addc_u32 s1, s11, s1
	s_load_dword s12, s[0:1], 0x0
	v_mfma_f32_16x16x16_bf16 a[12:15], v[68:69], v[48:49], a[12:15]
	s_and_b64 vcc, exec, s[40:41]
	s_waitcnt lgkmcnt(0)
	v_mfma_f32_16x16x16_bf16 a[0:3], v[70:71], v[34:35], a[0:3]
	v_mfma_f32_16x16x16_bf16 a[4:7], v[70:71], v[36:37], a[4:7]
	;; [unrolled: 1-line block ×4, first 2 shown]
	s_cbranch_vccz .LBB253_44
; %bb.34:
	v_lshlrev_b32_e32 v54, 1, v51
	s_and_b64 vcc, exec, s[6:7]
	s_cbranch_vccz .LBB253_45
; %bb.35:
	v_cmp_gt_i32_e32 vcc, s45, v54
	v_mov_b32_e32 v38, 0
	v_mov_b32_e32 v34, 0
	;; [unrolled: 1-line block ×5, first 2 shown]
	s_and_saveexec_b64 s[0:1], vcc
	s_cbranch_execz .LBB253_37
; %bb.36:
	v_mad_i64_i32 v[34:35], s[2:3], s19, v54, 0
	v_lshl_add_u64 v[34:35], v[34:35], 1, s[4:5]
	v_lshlrev_b32_e32 v36, 1, v52
	v_mov_b32_e32 v37, 0
	v_lshl_add_u64 v[34:35], v[34:35], 0, v[36:37]
	global_load_dwordx4 v[34:37], v[34:35], off
.LBB253_37:
	s_or_b64 exec, exec, s[0:1]
	v_or_b32_e32 v55, 1, v54
	v_cmp_gt_i32_e64 s[0:1], s45, v55
	v_mov_b32_e32 v39, 0
	v_mov_b32_e32 v40, 0
	;; [unrolled: 1-line block ×3, first 2 shown]
	s_and_saveexec_b64 s[2:3], s[0:1]
	s_cbranch_execz .LBB253_39
; %bb.38:
	v_mad_i64_i32 v[38:39], s[16:17], s19, v55, 0
	v_lshl_add_u64 v[38:39], v[38:39], 1, s[4:5]
	v_lshlrev_b32_e32 v40, 1, v52
	v_mov_b32_e32 v41, 0
	v_lshl_add_u64 v[38:39], v[38:39], 0, v[40:41]
	global_load_dwordx4 v[38:41], v[38:39], off
.LBB253_39:
	s_or_b64 exec, exec, s[2:3]
	v_mov_b32_e32 v49, 0
	v_mov_b32_e32 v42, 0
	;; [unrolled: 1-line block ×5, first 2 shown]
	s_and_saveexec_b64 s[2:3], vcc
	s_cbranch_execz .LBB253_41
; %bb.40:
	v_mad_i64_i32 v[42:43], s[16:17], s19, v54, 0
	v_lshl_add_u64 v[42:43], v[42:43], 1, s[4:5]
	v_lshlrev_b32_e32 v44, 1, v52
	v_mov_b32_e32 v45, 0
	v_lshl_add_u64 v[42:43], v[42:43], 0, v[44:45]
	global_load_dwordx4 v[42:45], v[42:43], off offset:128
.LBB253_41:
	s_or_b64 exec, exec, s[2:3]
	v_mov_b32_e32 v48, 0
	v_mov_b32_e32 v47, 0
	v_mov_b32_e32 v46, 0
	s_and_saveexec_b64 s[2:3], s[0:1]
	s_cbranch_execz .LBB253_43
; %bb.42:
	v_mad_i64_i32 v[46:47], s[0:1], s19, v55, 0
	v_lshl_add_u64 v[46:47], v[46:47], 1, s[4:5]
	v_lshlrev_b32_e32 v48, 1, v52
	v_mov_b32_e32 v49, 0
	v_lshl_add_u64 v[46:47], v[46:47], 0, v[48:49]
	global_load_dwordx4 v[46:49], v[46:47], off offset:128
.LBB253_43:
	s_or_b64 exec, exec, s[2:3]
	s_branch .LBB253_47
.LBB253_44:
                                        ; implicit-def: $vgpr37
                                        ; implicit-def: $vgpr41
                                        ; implicit-def: $vgpr45
                                        ; implicit-def: $vgpr49
	v_lshrrev_b32_e32 v68, 2, v76
	s_branch .LBB253_48
.LBB253_45:
                                        ; implicit-def: $vgpr37
                                        ; implicit-def: $vgpr41
                                        ; implicit-def: $vgpr45
                                        ; implicit-def: $vgpr49
	s_cbranch_execz .LBB253_47
; %bb.46:
	s_waitcnt vmcnt(0)
	v_mad_u64_u32 v[34:35], s[0:1], v54, s19, v[52:53]
	v_lshlrev_b32_e32 v54, 1, v34
	s_lshl_b32 s2, s19, 7
	s_and_b32 s1, s5, 0xffff
	s_mov_b32 s3, 0x20000
	s_mov_b32 s0, s4
	v_add_lshl_u32 v55, v34, s19, 1
	s_movk_i32 s13, 0x80
	buffer_load_dwordx4 v[34:37], v54, s[0:3], 0 offen
	buffer_load_dwordx4 v[42:45], v54, s[0:3], s13 offen
	;; [unrolled: 1-line block ×4, first 2 shown]
.LBB253_47:
	v_lshrrev_b32_e32 v68, 2, v76
	s_cbranch_execnz .LBB253_60
.LBB253_48:
	s_and_b64 vcc, exec, s[6:7]
	s_cbranch_vccz .LBB253_58
; %bb.49:
	s_waitcnt vmcnt(0)
	v_lshlrev_b32_e32 v39, 1, v51
	v_cmp_gt_i32_e32 vcc, s45, v39
	v_mov_b32_e32 v38, 0
	v_lshlrev_b32_e32 v46, 9, v51
	v_mov_b32_e32 v34, 0
	v_mov_b32_e32 v35, 0
	;; [unrolled: 1-line block ×4, first 2 shown]
	s_and_saveexec_b64 s[0:1], vcc
	s_cbranch_execz .LBB253_51
; %bb.50:
	v_mov_b32_e32 v47, 0
	v_lshl_add_u64 v[34:35], s[4:5], 0, v[46:47]
	v_lshlrev_b32_e32 v36, 1, v52
	v_mov_b32_e32 v37, v47
	v_lshl_add_u64 v[34:35], v[34:35], 0, v[36:37]
	global_load_dwordx4 v[34:37], v[34:35], off
.LBB253_51:
	s_or_b64 exec, exec, s[0:1]
	v_or_b32_e32 v39, 1, v39
	v_cmp_gt_i32_e64 s[0:1], s45, v39
	v_lshlrev_b32_e32 v54, 8, v39
	v_mov_b32_e32 v39, 0
	v_mov_b32_e32 v40, 0
	;; [unrolled: 1-line block ×3, first 2 shown]
	s_and_saveexec_b64 s[2:3], s[0:1]
	s_cbranch_execz .LBB253_53
; %bb.52:
	v_mov_b32_e32 v55, 0
	v_lshl_add_u64 v[38:39], s[4:5], 0, v[54:55]
	v_lshlrev_b32_e32 v40, 1, v52
	v_mov_b32_e32 v41, v55
	v_lshl_add_u64 v[38:39], v[38:39], 0, v[40:41]
	global_load_dwordx4 v[38:41], v[38:39], off
.LBB253_53:
	s_or_b64 exec, exec, s[2:3]
	v_mov_b32_e32 v49, 0
	v_mov_b32_e32 v42, 0
	;; [unrolled: 1-line block ×5, first 2 shown]
	s_and_saveexec_b64 s[2:3], vcc
	s_cbranch_execz .LBB253_55
; %bb.54:
	v_mov_b32_e32 v47, 0
	v_lshl_add_u64 v[42:43], s[4:5], 0, v[46:47]
	v_lshlrev_b32_e32 v46, 1, v52
	v_lshl_add_u64 v[42:43], v[42:43], 0, v[46:47]
	global_load_dwordx4 v[42:45], v[42:43], off offset:128
.LBB253_55:
	s_or_b64 exec, exec, s[2:3]
	v_mov_b32_e32 v48, 0
	v_mov_b32_e32 v47, 0
	;; [unrolled: 1-line block ×3, first 2 shown]
	s_and_saveexec_b64 s[2:3], s[0:1]
	s_cbranch_execz .LBB253_57
; %bb.56:
	v_mov_b32_e32 v55, 0
	v_lshl_add_u64 v[46:47], s[4:5], 0, v[54:55]
	v_lshlrev_b32_e32 v54, 1, v52
	v_lshl_add_u64 v[46:47], v[46:47], 0, v[54:55]
	global_load_dwordx4 v[46:49], v[46:47], off offset:128
.LBB253_57:
	s_or_b64 exec, exec, s[2:3]
	s_branch .LBB253_60
.LBB253_58:
                                        ; implicit-def: $vgpr37
                                        ; implicit-def: $vgpr41
                                        ; implicit-def: $vgpr45
                                        ; implicit-def: $vgpr49
	s_cbranch_execz .LBB253_60
; %bb.59:
	s_waitcnt vmcnt(0)
	v_lshlrev_b32_e32 v34, 1, v52
	v_lshl_or_b32 v52, v51, 9, v34
	s_and_b32 s5, s5, 0xffff
	s_mov_b32 s7, 0x20000
	s_movk_i32 s6, 0x4000
	s_movk_i32 s0, 0x80
	buffer_load_dwordx4 v[34:37], v52, s[4:7], 0 offen
	buffer_load_dwordx4 v[38:41], v52, s[4:7], 0 offen offset:256
	buffer_load_dwordx4 v[42:45], v52, s[4:7], s0 offen
	buffer_load_dwordx4 v[46:49], v52, s[4:7], s0 offen offset:256
.LBB253_60:
	ds_read_b64 v[54:55], v64 offset:57344
	v_add_u32_e32 v52, 0x6000, v60
	ds_read2_b64 v[70:73], v52 offset1:16
	ds_read_b64 v[84:85], v65 offset:57344
	ds_read_b64 v[86:87], v66 offset:57344
	;; [unrolled: 1-line block ×3, first 2 shown]
	ds_read2_b64 v[64:67], v52 offset0:32 offset1:48
	v_and_b32_e32 v52, 6, v0
	v_xor_b32_e32 v51, v51, v52
	v_lshlrev_b32_e32 v51, 2, v51
	s_mov_b32 s0, 0x1000504
	s_mov_b32 s1, 0x3020706
	s_waitcnt lgkmcnt(4)
	v_mfma_f32_16x16x16_bf16 a[4:7], v[54:55], v[72:73], a[4:7]
	v_mfma_f32_16x16x16_bf16 a[0:3], v[54:55], v[70:71], a[0:3]
	ds_read2st64_b64 v[70:73], v60 offset0:52 offset1:56
	s_waitcnt lgkmcnt(1)
	v_mfma_f32_16x16x16_bf16 a[8:11], v[54:55], v[64:65], a[8:11]
	v_mfma_f32_16x16x16_bf16 a[12:15], v[54:55], v[66:67], a[12:15]
	ds_read2st64_b64 v[64:67], v61 offset0:52 offset1:56
	ds_read2st64_b64 v[76:79], v62 offset0:52 offset1:56
	;; [unrolled: 1-line block ×3, first 2 shown]
	s_waitcnt lgkmcnt(2)
	v_mfma_f32_16x16x16_bf16 a[4:7], v[84:85], v[64:65], a[4:7]
	v_and_b32_e32 v64, 1, v0
	v_xor_b32_e32 v65, 0x440, v51
	v_cmp_eq_u32_e32 vcc, 0, v64
	v_mfma_f32_16x16x16_bf16 a[0:3], v[84:85], v[70:71], a[0:3]
	s_waitcnt vmcnt(0)
	v_perm_b32 v64, v42, v46, s0
	v_cndmask_b32_e32 v51, v65, v51, vcc
	v_lshl_or_b32 v51, v52, 10, v51
	s_waitcnt lgkmcnt(1)
	v_mfma_f32_16x16x16_bf16 a[8:11], v[84:85], v[76:77], a[8:11]
	v_perm_b32 v52, v34, v38, s0
	ds_read_b64 v[54:55], v60 offset:30720
	ds_read_b64 v[70:71], v61 offset:30720
	;; [unrolled: 1-line block ×4, first 2 shown]
	ds_write2st64_b32 v51, v52, v64 offset0:128 offset1:160
	s_waitcnt lgkmcnt(5)
	v_mfma_f32_16x16x16_bf16 a[12:15], v[84:85], v[80:81], a[12:15]
	v_xor_b32_e32 v52, 8, v51
	v_perm_b32 v34, v34, v38, s1
	v_perm_b32 v38, v42, v46, s1
	v_add_u32_e32 v42, 0x80, v52
	ds_write2st64_b32 v42, v34, v38 offset0:128 offset1:160
	v_xor_b32_e32 v34, 16, v51
	v_perm_b32 v38, v35, v39, s0
	v_perm_b32 v42, v43, v47, s0
	v_mfma_f32_16x16x16_bf16 a[0:3], v[86:87], v[72:73], a[0:3]
	ds_write2st64_b32 v34, v38, v42 offset0:129 offset1:161
	v_xor_b32_e32 v34, 24, v51
	v_perm_b32 v35, v35, v39, s1
	v_mfma_f32_16x16x16_bf16 a[4:7], v[86:87], v[66:67], a[4:7]
	v_perm_b32 v38, v43, v47, s1
	v_add_u32_e32 v34, 0x80, v34
	ds_write2st64_b32 v34, v35, v38 offset0:129 offset1:161
	v_mfma_f32_16x16x16_bf16 a[16:19], v[86:87], v[78:79], a[8:11]
	v_xor_b32_e32 v34, 32, v51
	v_perm_b32 v35, v36, v40, s0
	v_perm_b32 v38, v44, v48, s0
	v_mfma_f32_16x16x16_bf16 a[20:23], v[86:87], v[82:83], a[12:15]
	ds_write2st64_b32 v34, v35, v38 offset0:130 offset1:162
	v_xor_b32_e32 v34, 40, v51
	v_perm_b32 v35, v36, v40, s1
	s_waitcnt lgkmcnt(8)
	v_mfma_f32_16x16x16_bf16 a[12:15], v[88:89], v[54:55], a[0:3]
	v_perm_b32 v36, v44, v48, s1
	v_add_u32_e32 v34, 0x80, v34
	ds_write2st64_b32 v34, v35, v36 offset0:130 offset1:162
	s_waitcnt lgkmcnt(8)
	v_mfma_f32_16x16x16_bf16 a[8:11], v[88:89], v[70:71], a[4:7]
	v_xor_b32_e32 v34, 48, v51
	v_perm_b32 v35, v37, v41, s0
	v_perm_b32 v36, v45, v49, s0
	s_waitcnt lgkmcnt(7)
	v_mfma_f32_16x16x16_bf16 a[4:7], v[88:89], v[90:91], a[16:19]
	ds_write2st64_b32 v34, v35, v36 offset0:131 offset1:163
	v_xor_b32_e32 v34, 56, v51
	v_and_or_b32 v65, v68, 12, v75
	s_waitcnt lgkmcnt(7)
	v_mfma_f32_16x16x16_bf16 a[0:3], v[88:89], v[92:93], a[20:23]
	v_perm_b32 v35, v37, v41, s1
	v_perm_b32 v36, v45, v49, s1
	v_add_u32_e32 v34, 0x80, v34
	v_cmp_gt_i32_e32 vcc, s45, v65
	v_mov_b32_e32 v54, 0
	v_mov_b32_e32 v55, 0
	ds_write2st64_b32 v34, v35, v36 offset0:131 offset1:163
	s_and_saveexec_b64 s[0:1], vcc
	s_cbranch_execz .LBB253_62
; %bb.61:
	v_add_u32_e32 v34, s44, v65
	v_ashrrev_i32_e32 v35, 31, v34
	v_mul_lo_u32 v36, v35, s36
	v_mul_lo_u32 v37, v34, s37
	v_mad_u64_u32 v[34:35], s[2:3], v34, s36, 0
	v_add3_u32 v35, v35, v37, v36
	v_lshl_add_u64 v[34:35], v[34:35], 2, s[10:11]
	global_load_dword v34, v[34:35], off
	s_waitcnt vmcnt(0)
	v_sub_f32_e32 v34, s12, v34
	v_mul_f32_e32 v34, 0x3fb8aa3b, v34
	v_exp_f32_e32 v55, v34
.LBB253_62:
	s_or_b64 exec, exec, s[0:1]
	v_or_b32_e32 v43, 1, v65
	v_cmp_gt_i32_e64 s[2:3], s45, v43
	s_and_saveexec_b64 s[0:1], s[2:3]
	s_cbranch_execz .LBB253_64
; %bb.63:
	v_add_u32_e32 v34, s44, v43
	v_ashrrev_i32_e32 v35, 31, v34
	v_mul_lo_u32 v36, v35, s36
	v_mul_lo_u32 v37, v34, s37
	v_mad_u64_u32 v[34:35], s[4:5], v34, s36, 0
	v_add3_u32 v35, v35, v37, v36
	v_lshl_add_u64 v[34:35], v[34:35], 2, s[10:11]
	global_load_dword v34, v[34:35], off
	s_waitcnt vmcnt(0)
	v_sub_f32_e32 v34, s12, v34
	v_mul_f32_e32 v34, 0x3fb8aa3b, v34
	v_exp_f32_e32 v54, v34
.LBB253_64:
	s_or_b64 exec, exec, s[0:1]
	v_or_b32_e32 v42, 2, v65
	v_cmp_gt_i32_e64 s[4:5], s45, v42
	v_mov_b32_e32 v52, 0
	v_mov_b32_e32 v64, 0
	s_and_saveexec_b64 s[0:1], s[4:5]
	s_cbranch_execz .LBB253_66
; %bb.65:
	v_add_u32_e32 v34, s44, v42
	v_ashrrev_i32_e32 v35, 31, v34
	v_mul_lo_u32 v36, v35, s36
	v_mul_lo_u32 v37, v34, s37
	v_mad_u64_u32 v[34:35], s[6:7], v34, s36, 0
	v_add3_u32 v35, v35, v37, v36
	v_lshl_add_u64 v[34:35], v[34:35], 2, s[10:11]
	global_load_dword v34, v[34:35], off
	s_waitcnt vmcnt(0)
	v_sub_f32_e32 v34, s12, v34
	v_mul_f32_e32 v34, 0x3fb8aa3b, v34
	v_exp_f32_e32 v64, v34
.LBB253_66:
	s_or_b64 exec, exec, s[0:1]
	v_or_b32_e32 v66, 3, v65
	v_cmp_gt_i32_e64 s[0:1], s45, v66
	s_and_saveexec_b64 s[6:7], s[0:1]
	s_cbranch_execz .LBB253_68
; %bb.67:
	v_add_u32_e32 v34, s44, v66
	v_ashrrev_i32_e32 v35, 31, v34
	v_mul_lo_u32 v36, v35, s36
	v_mul_lo_u32 v37, v34, s37
	v_mad_u64_u32 v[34:35], s[16:17], v34, s36, 0
	v_add3_u32 v35, v35, v37, v36
	v_lshl_add_u64 v[34:35], v[34:35], 2, s[10:11]
	global_load_dword v34, v[34:35], off
	s_waitcnt vmcnt(0)
	v_sub_f32_e32 v34, s12, v34
	v_mul_f32_e32 v34, 0x3fb8aa3b, v34
	v_exp_f32_e32 v52, v34
.LBB253_68:
	s_or_b64 exec, exec, s[6:7]
	s_add_u32 s6, s8, s30
	s_addc_u32 s7, s9, s31
	s_add_u32 s8, s14, s30
	v_ashrrev_i32_e32 v51, 31, v50
	v_accvgpr_read_b32 v37, a15
	s_addc_u32 s9, s15, s31
	v_lshlrev_b64 v[38:39], 1, v[50:51]
	v_accvgpr_read_b32 v36, a14
	v_accvgpr_read_b32 v35, a13
	;; [unrolled: 1-line block ×3, first 2 shown]
	v_lshl_add_u64 v[40:41], s[6:7], 0, v[38:39]
	v_lshl_add_u64 v[38:39], s[8:9], 0, v[38:39]
	v_mov_b32_e32 v47, 0
	v_lshlrev_b32_e32 v44, 8, v65
	v_mov_b32_e32 v45, 0
	s_and_saveexec_b64 s[6:7], vcc
	s_cbranch_execz .LBB253_70
; %bb.69:
	v_mov_b32_e32 v45, 0
	v_lshl_add_u64 v[48:49], v[40:41], 0, v[44:45]
	global_load_ushort v46, v[48:49], off
	v_lshl_add_u64 v[48:49], v[38:39], 0, v[44:45]
	s_waitcnt vmcnt(0)
	v_lshlrev_b32_e32 v45, 16, v46
	v_sub_f32_e32 v34, v45, v34
	global_store_short_d16_hi v[48:49], v34, off
	v_mul_f32_e32 v34, v55, v34
	v_lshrrev_b32_e32 v45, 16, v34
.LBB253_70:
	s_or_b64 exec, exec, s[6:7]
	v_lshlrev_b32_e32 v46, 8, v43
	s_and_saveexec_b64 s[6:7], s[2:3]
	s_cbranch_execz .LBB253_72
; %bb.71:
	v_mov_b32_e32 v47, 0
	v_lshl_add_u64 v[48:49], v[40:41], 0, v[46:47]
	global_load_ushort v34, v[48:49], off
	v_lshl_add_u64 v[48:49], v[38:39], 0, v[46:47]
	s_waitcnt vmcnt(0)
	v_lshlrev_b32_e32 v34, 16, v34
	v_sub_f32_e32 v34, v34, v35
	global_store_short_d16_hi v[48:49], v34, off
	v_mul_f32_e32 v34, v54, v34
	v_lshrrev_b32_e32 v47, 16, v34
.LBB253_72:
	s_or_b64 exec, exec, s[6:7]
	v_mov_b32_e32 v43, 0
	v_lshlrev_b32_e32 v48, 8, v42
	v_mov_b32_e32 v49, 0
	s_and_saveexec_b64 s[6:7], s[4:5]
	s_cbranch_execz .LBB253_74
; %bb.73:
	v_mov_b32_e32 v49, 0
	v_lshl_add_u64 v[34:35], v[40:41], 0, v[48:49]
	global_load_ushort v42, v[34:35], off
	v_lshl_add_u64 v[34:35], v[38:39], 0, v[48:49]
	s_waitcnt vmcnt(0)
	v_lshlrev_b32_e32 v42, 16, v42
	v_sub_f32_e32 v36, v42, v36
	global_store_short_d16_hi v[34:35], v36, off
	v_mul_f32_e32 v34, v64, v36
	v_lshrrev_b32_e32 v49, 16, v34
.LBB253_74:
	s_or_b64 exec, exec, s[6:7]
	v_lshlrev_b32_e32 v42, 8, v66
	s_and_saveexec_b64 s[6:7], s[0:1]
	s_cbranch_execz .LBB253_76
; %bb.75:
	v_mov_b32_e32 v43, 0
	v_lshl_add_u64 v[34:35], v[40:41], 0, v[42:43]
	global_load_ushort v36, v[34:35], off
	v_lshl_add_u64 v[34:35], v[38:39], 0, v[42:43]
	s_waitcnt vmcnt(0)
	v_lshlrev_b32_e32 v36, 16, v36
	v_sub_f32_e32 v36, v36, v37
	global_store_short_d16_hi v[34:35], v36, off
	v_mul_f32_e32 v34, v52, v36
	v_lshrrev_b32_e32 v43, 16, v34
.LBB253_76:
	s_or_b64 exec, exec, s[6:7]
	v_lshlrev_b32_e32 v51, 6, v65
	s_mov_b32 s6, 0x5040100
	v_accvgpr_read_b32 v37, a11
	v_perm_b32 v67, v43, v49, s6
	v_or_b32_e32 v43, v51, v58
	v_accvgpr_read_b32 v36, a10
	v_accvgpr_read_b32 v35, a9
	v_accvgpr_read_b32 v34, a8
	v_perm_b32 v66, v47, v45, s6
	v_lshlrev_b32_e32 v43, 1, v43
	v_mov_b32_e32 v47, 0
	v_mov_b32_e32 v45, 0
	ds_write_b64 v43, v[66:67] offset:24576
	s_and_saveexec_b64 s[6:7], vcc
	s_cbranch_execz .LBB253_78
; %bb.77:
	v_mov_b32_e32 v45, 0
	v_lshl_add_u64 v[66:67], v[40:41], 0, v[44:45]
	global_load_ushort v43, v[66:67], off offset:32
	v_lshl_add_u64 v[66:67], v[38:39], 0, v[44:45]
	s_waitcnt vmcnt(0)
	v_lshlrev_b32_e32 v43, 16, v43
	v_sub_f32_e32 v34, v43, v34
	global_store_short_d16_hi v[66:67], v34, off offset:32
	v_mul_f32_e32 v34, v55, v34
	v_lshrrev_b32_e32 v45, 16, v34
.LBB253_78:
	s_or_b64 exec, exec, s[6:7]
	s_and_saveexec_b64 s[6:7], s[2:3]
	s_cbranch_execz .LBB253_80
; %bb.79:
	v_mov_b32_e32 v47, 0
	v_lshl_add_u64 v[66:67], v[40:41], 0, v[46:47]
	global_load_ushort v34, v[66:67], off offset:32
	v_lshl_add_u64 v[66:67], v[38:39], 0, v[46:47]
	s_waitcnt vmcnt(0)
	v_lshlrev_b32_e32 v34, 16, v34
	v_sub_f32_e32 v34, v34, v35
	global_store_short_d16_hi v[66:67], v34, off offset:32
	v_mul_f32_e32 v34, v54, v34
	v_lshrrev_b32_e32 v47, 16, v34
.LBB253_80:
	s_or_b64 exec, exec, s[6:7]
	v_mov_b32_e32 v43, 0
	v_mov_b32_e32 v49, 0
	s_and_saveexec_b64 s[6:7], s[4:5]
	s_cbranch_execz .LBB253_82
; %bb.81:
	v_mov_b32_e32 v49, 0
	v_lshl_add_u64 v[34:35], v[40:41], 0, v[48:49]
	global_load_ushort v58, v[34:35], off offset:32
	v_lshl_add_u64 v[34:35], v[38:39], 0, v[48:49]
	s_waitcnt vmcnt(0)
	v_lshlrev_b32_e32 v49, 16, v58
	v_sub_f32_e32 v36, v49, v36
	global_store_short_d16_hi v[34:35], v36, off offset:32
	v_mul_f32_e32 v34, v64, v36
	v_lshrrev_b32_e32 v49, 16, v34
.LBB253_82:
	s_or_b64 exec, exec, s[6:7]
	s_and_saveexec_b64 s[6:7], s[0:1]
	s_cbranch_execz .LBB253_84
; %bb.83:
	v_mov_b32_e32 v43, 0
	v_lshl_add_u64 v[34:35], v[40:41], 0, v[42:43]
	global_load_ushort v36, v[34:35], off offset:32
	v_lshl_add_u64 v[34:35], v[38:39], 0, v[42:43]
	s_waitcnt vmcnt(0)
	v_lshlrev_b32_e32 v36, 16, v36
	v_sub_f32_e32 v36, v36, v37
	global_store_short_d16_hi v[34:35], v36, off offset:32
	v_mul_f32_e32 v34, v52, v36
	v_lshrrev_b32_e32 v43, 16, v34
.LBB253_84:
	s_or_b64 exec, exec, s[6:7]
	s_mov_b32 s6, 0x5040100
	v_accvgpr_read_b32 v37, a7
	v_perm_b32 v67, v43, v49, s6
	v_or_b32_e32 v43, v51, v57
	v_accvgpr_read_b32 v36, a6
	v_accvgpr_read_b32 v35, a5
	;; [unrolled: 1-line block ×3, first 2 shown]
	v_perm_b32 v66, v47, v45, s6
	v_lshlrev_b32_e32 v43, 1, v43
	v_mov_b32_e32 v47, 0
	v_mov_b32_e32 v45, 0
	ds_write_b64 v43, v[66:67] offset:24576
	s_and_saveexec_b64 s[6:7], vcc
	s_cbranch_execz .LBB253_86
; %bb.85:
	v_mov_b32_e32 v45, 0
	v_lshl_add_u64 v[66:67], v[40:41], 0, v[44:45]
	global_load_ushort v43, v[66:67], off offset:64
	v_lshl_add_u64 v[66:67], v[38:39], 0, v[44:45]
	s_waitcnt vmcnt(0)
	v_lshlrev_b32_e32 v43, 16, v43
	v_sub_f32_e32 v34, v43, v34
	global_store_short_d16_hi v[66:67], v34, off offset:64
	v_mul_f32_e32 v34, v55, v34
	v_lshrrev_b32_e32 v45, 16, v34
.LBB253_86:
	s_or_b64 exec, exec, s[6:7]
	s_and_saveexec_b64 s[6:7], s[2:3]
	s_cbranch_execz .LBB253_88
; %bb.87:
	v_mov_b32_e32 v47, 0
	v_lshl_add_u64 v[66:67], v[40:41], 0, v[46:47]
	global_load_ushort v34, v[66:67], off offset:64
	v_lshl_add_u64 v[66:67], v[38:39], 0, v[46:47]
	s_waitcnt vmcnt(0)
	v_lshlrev_b32_e32 v34, 16, v34
	v_sub_f32_e32 v34, v34, v35
	global_store_short_d16_hi v[66:67], v34, off offset:64
	v_mul_f32_e32 v34, v54, v34
	v_lshrrev_b32_e32 v47, 16, v34
.LBB253_88:
	s_or_b64 exec, exec, s[6:7]
	v_mov_b32_e32 v43, 0
	v_mov_b32_e32 v49, 0
	s_and_saveexec_b64 s[6:7], s[4:5]
	s_cbranch_execz .LBB253_90
; %bb.89:
	v_mov_b32_e32 v49, 0
	v_lshl_add_u64 v[34:35], v[40:41], 0, v[48:49]
	global_load_ushort v57, v[34:35], off offset:64
	v_lshl_add_u64 v[34:35], v[38:39], 0, v[48:49]
	s_waitcnt vmcnt(0)
	v_lshlrev_b32_e32 v49, 16, v57
	v_sub_f32_e32 v36, v49, v36
	global_store_short_d16_hi v[34:35], v36, off offset:64
	v_mul_f32_e32 v34, v64, v36
	v_lshrrev_b32_e32 v49, 16, v34
.LBB253_90:
	s_or_b64 exec, exec, s[6:7]
	s_and_saveexec_b64 s[6:7], s[0:1]
	s_cbranch_execz .LBB253_92
; %bb.91:
	v_mov_b32_e32 v43, 0
	v_lshl_add_u64 v[34:35], v[40:41], 0, v[42:43]
	global_load_ushort v36, v[34:35], off offset:64
	v_lshl_add_u64 v[34:35], v[38:39], 0, v[42:43]
	s_waitcnt vmcnt(0)
	v_lshlrev_b32_e32 v36, 16, v36
	v_sub_f32_e32 v36, v36, v37
	global_store_short_d16_hi v[34:35], v36, off offset:64
	v_mul_f32_e32 v34, v52, v36
	v_lshrrev_b32_e32 v43, 16, v34
.LBB253_92:
	s_or_b64 exec, exec, s[6:7]
	s_mov_b32 s6, 0x5040100
	v_accvgpr_read_b32 v37, a3
	v_perm_b32 v67, v43, v49, s6
	v_or_b32_e32 v43, v51, v56
	v_accvgpr_read_b32 v36, a2
	v_accvgpr_read_b32 v35, a1
	;; [unrolled: 1-line block ×3, first 2 shown]
	v_perm_b32 v66, v47, v45, s6
	v_lshlrev_b32_e32 v43, 1, v43
	v_mov_b32_e32 v47, 0
	v_mov_b32_e32 v45, 0
	ds_write_b64 v43, v[66:67] offset:24576
	s_and_saveexec_b64 s[6:7], vcc
	s_cbranch_execz .LBB253_94
; %bb.93:
	v_mov_b32_e32 v45, 0
	v_lshl_add_u64 v[56:57], v[40:41], 0, v[44:45]
	global_load_ushort v43, v[56:57], off offset:96
	v_lshl_add_u64 v[44:45], v[38:39], 0, v[44:45]
	s_waitcnt vmcnt(0)
	v_lshlrev_b32_e32 v43, 16, v43
	v_sub_f32_e32 v34, v43, v34
	global_store_short_d16_hi v[44:45], v34, off offset:96
	v_mul_f32_e32 v34, v55, v34
	v_lshrrev_b32_e32 v45, 16, v34
.LBB253_94:
	s_or_b64 exec, exec, s[6:7]
	s_and_saveexec_b64 s[6:7], s[2:3]
	s_cbranch_execz .LBB253_96
; %bb.95:
	v_mov_b32_e32 v47, 0
	v_lshl_add_u64 v[56:57], v[40:41], 0, v[46:47]
	global_load_ushort v34, v[56:57], off offset:96
	v_lshl_add_u64 v[46:47], v[38:39], 0, v[46:47]
	s_waitcnt vmcnt(0)
	v_lshlrev_b32_e32 v34, 16, v34
	v_sub_f32_e32 v34, v34, v35
	global_store_short_d16_hi v[46:47], v34, off offset:96
	v_mul_f32_e32 v34, v54, v34
	v_lshrrev_b32_e32 v47, 16, v34
.LBB253_96:
	s_or_b64 exec, exec, s[6:7]
	v_mov_b32_e32 v43, 0
	v_mov_b32_e32 v46, 0
	s_and_saveexec_b64 s[2:3], s[4:5]
	s_cbranch_execz .LBB253_98
; %bb.97:
	v_mov_b32_e32 v49, 0
	v_lshl_add_u64 v[34:35], v[40:41], 0, v[48:49]
	global_load_ushort v44, v[34:35], off offset:96
	v_lshl_add_u64 v[34:35], v[38:39], 0, v[48:49]
	s_waitcnt vmcnt(0)
	v_lshlrev_b32_e32 v44, 16, v44
	v_sub_f32_e32 v36, v44, v36
	global_store_short_d16_hi v[34:35], v36, off offset:96
	v_mul_f32_e32 v34, v64, v36
	v_lshrrev_b32_e32 v46, 16, v34
.LBB253_98:
	s_or_b64 exec, exec, s[2:3]
	v_or_b32_e32 v44, 0x6000, v60
	v_or_b32_e32 v36, 0x6000, v61
	;; [unrolled: 1-line block ×4, first 2 shown]
	s_and_saveexec_b64 s[2:3], s[0:1]
	s_cbranch_execz .LBB253_100
; %bb.99:
	v_mov_b32_e32 v43, 0
	v_lshl_add_u64 v[40:41], v[40:41], 0, v[42:43]
	global_load_ushort v40, v[40:41], off offset:96
	v_lshl_add_u64 v[38:39], v[38:39], 0, v[42:43]
	s_waitcnt vmcnt(0)
	v_lshlrev_b32_e32 v40, 16, v40
	v_sub_f32_e32 v37, v40, v37
	global_store_short_d16_hi v[38:39], v37, off offset:96
	v_mul_f32_e32 v37, v52, v37
	v_lshrrev_b32_e32 v43, 16, v37
.LBB253_100:
	s_or_b64 exec, exec, s[2:3]
	s_mov_b32 s0, 0x5040100
	v_or_b32_e32 v37, v51, v53
	v_perm_b32 v39, v43, v46, s0
	v_perm_b32 v38, v47, v45, s0
	v_lshlrev_b32_e32 v37, 1, v37
	s_movk_i32 s0, 0x100
	ds_write_b64 v37, v[38:39] offset:24576
	v_and_b32_e32 v37, 7, v0
	v_and_b32_e32 v38, 8, v0
	v_cmp_gt_u32_e32 vcc, s0, v0
	v_lshrrev_b32_e32 v0, 1, v0
	v_mov_b32_e32 v39, 0xa000
	v_mov_b32_e32 v40, 0x8000
	v_lshlrev_b32_e32 v58, 3, v74
	v_and_b32_e32 v0, 24, v0
	v_cndmask_b32_e32 v51, v39, v40, vcc
	v_xor_b32_e32 v39, v58, v0
	v_or_b32_e32 v40, 0x440, v39
	v_cmp_eq_u32_e32 vcc, 0, v38
	v_lshlrev_b32_e32 v45, 3, v37
	v_lshlrev_b32_e32 v37, 7, v37
	v_cndmask_b32_e32 v38, v40, v39, vcc
	v_or_b32_e32 v38, v38, v59
	v_xad_u32 v72, v38, v45, v37
	v_add_u32_e32 v38, v51, v72
	s_waitcnt lgkmcnt(0)
	s_barrier
	ds_read_b64 v[42:43], v38
	ds_read2_b64 v[38:41], v44 offset1:16
	ds_read2_b64 v[46:49], v44 offset0:32 offset1:48
	v_or_b32_e32 v52, 32, v0
	v_xor_b32_e32 v52, v58, v52
	v_or_b32_e32 v53, 0x440, v52
	v_cndmask_b32_e32 v52, v53, v52, vcc
	s_waitcnt lgkmcnt(1)
	v_mfma_f32_16x16x16_bf16 a[0:3], v[42:43], v[38:39], 0
	v_or_b32_e32 v52, v52, v59
	v_xad_u32 v73, v52, v45, v37
	v_add_u32_e32 v52, v51, v73
	v_mfma_f32_16x16x16_bf16 a[4:7], v[42:43], v[40:41], 0
	ds_read_b64 v[56:57], v52
	ds_read2st64_b64 v[60:63], v36 offset0:4 offset1:8
	ds_read2st64_b64 v[64:67], v35 offset0:4 offset1:8
	s_waitcnt lgkmcnt(3)
	v_mfma_f32_16x16x16_bf16 a[8:11], v[42:43], v[46:47], 0
	ds_read2st64_b64 v[68:71], v34 offset0:4 offset1:8
	v_mfma_f32_16x16x16_bf16 a[12:15], v[42:43], v[48:49], 0
	v_or_b32_e32 v42, 64, v0
	v_xor_b32_e32 v42, v58, v42
	v_xor_b32_e32 v43, 0x440, v42
	v_cndmask_b32_e32 v42, v43, v42, vcc
	v_or_b32_e32 v42, v42, v59
	v_xad_u32 v74, v42, v45, v37
	v_add_u32_e32 v42, v51, v74
	ds_read_b64 v[42:43], v42
	ds_read2st64_b64 v[52:55], v44 offset0:4 offset1:8
	v_or_b32_e32 v0, 0x60, v0
	v_xor_b32_e32 v0, v58, v0
	s_waitcnt lgkmcnt(0)
	v_mfma_f32_16x16x16_bf16 a[0:3], v[56:57], v[52:53], a[0:3]
	v_mfma_f32_16x16x16_bf16 a[4:7], v[56:57], v[60:61], a[4:7]
	;; [unrolled: 1-line block ×4, first 2 shown]
	v_xor_b32_e32 v56, 0x440, v0
	v_cndmask_b32_e32 v0, v56, v0, vcc
	v_or_b32_e32 v0, v0, v59
	v_xad_u32 v0, v0, v45, v37
	v_add_u32_e32 v37, v51, v0
	v_mfma_f32_16x16x16_bf16 a[0:3], v[42:43], v[54:55], a[0:3]
	ds_read_b64 v[56:57], v37
	ds_read_b64 v[44:45], v44 offset:6144
	v_mfma_f32_16x16x16_bf16 a[4:7], v[42:43], v[62:63], a[4:7]
	v_mfma_f32_16x16x16_bf16 a[8:11], v[42:43], v[66:67], a[8:11]
	;; [unrolled: 1-line block ×3, first 2 shown]
	ds_read_b64 v[36:37], v36 offset:6144
	ds_read_b64 v[42:43], v35 offset:6144
	;; [unrolled: 1-line block ×3, first 2 shown]
	s_waitcnt lgkmcnt(3)
	v_mfma_f32_16x16x16_bf16 a[0:3], v[56:57], v[44:45], a[0:3]
	s_waitcnt lgkmcnt(2)
	v_mfma_f32_16x16x16_bf16 a[4:7], v[56:57], v[36:37], a[4:7]
	;; [unrolled: 2-line block ×4, first 2 shown]
	ds_read_b64 v[56:57], v72 offset:40960
	s_waitcnt lgkmcnt(0)
	v_mfma_f32_16x16x16_bf16 a[20:23], v[56:57], v[40:41], 0
	v_mov_b32_e32 v40, 0x3fb8aa3b
	v_mul_f32_e32 v40, s12, v40
	v_mfma_f32_16x16x16_bf16 a[24:27], v[56:57], v[46:47], 0
	v_exp_f32_e32 v46, v40
	v_accvgpr_read_b32 v40, a0
	v_accvgpr_read_b32 v47, a3
	v_mfma_f32_16x16x16_bf16 a[16:19], v[56:57], v[38:39], 0
	ds_read_b64 v[38:39], v73 offset:40960
	v_fma_f32 v30, v46, v30, v40
	v_accvgpr_read_b32 v40, a1
	v_fma_f32 v31, v46, v31, v40
	v_accvgpr_read_b32 v40, a2
	v_mfma_f32_16x16x16_bf16 a[28:31], v[56:57], v[48:49], 0
	v_fma_f32 v32, v46, v32, v40
	ds_read_b64 v[40:41], v74 offset:40960
	v_fmac_f32_e32 v47, v46, v33
	s_waitcnt lgkmcnt(1)
	v_mfma_f32_16x16x16_bf16 a[16:19], v[38:39], v[52:53], a[16:19]
	v_accvgpr_read_b32 v33, a4
	v_fma_f32 v22, v46, v22, v33
	v_accvgpr_read_b32 v33, a5
	v_mfma_f32_16x16x16_bf16 a[20:23], v[38:39], v[60:61], a[20:23]
	v_fma_f32 v23, v46, v23, v33
	v_accvgpr_read_b32 v33, a6
	v_accvgpr_read_b32 v48, a7
	v_mfma_f32_16x16x16_bf16 a[24:27], v[38:39], v[64:65], a[24:27]
	v_fmac_f32_e32 v48, v46, v25
	v_accvgpr_read_b32 v25, a8
	v_fma_f32 v24, v46, v24, v33
	v_mfma_f32_16x16x16_bf16 a[0:3], v[38:39], v[68:69], a[28:31]
	ds_read_b64 v[38:39], v0 offset:40960
	v_accvgpr_read_b32 v0, a9
	v_fma_f32 v15, v46, v15, v0
	s_waitcnt lgkmcnt(1)
	v_mfma_f32_16x16x16_bf16 a[4:7], v[40:41], v[62:63], a[20:23]
	v_accvgpr_read_b32 v0, a10
	v_fma_f32 v16, v46, v16, v0
	v_accvgpr_read_b32 v0, a11
	v_mfma_f32_16x16x16_bf16 a[16:19], v[40:41], v[54:55], a[16:19]
	v_fmac_f32_e32 v0, v46, v17
	v_accvgpr_read_b32 v17, a12
	v_fma_f32 v2, v46, v2, v17
	v_mfma_f32_16x16x16_bf16 a[20:23], v[40:41], v[66:67], a[24:27]
	v_accvgpr_read_b32 v17, a13
	v_fma_f32 v3, v46, v3, v17
	v_accvgpr_read_b32 v17, a14
	v_mfma_f32_16x16x16_bf16 a[0:3], v[40:41], v[70:71], a[0:3]
	v_fma_f32 v4, v46, v4, v17
	v_fma_f32 v14, v46, v14, v25
	v_mov_b32_e32 v33, v47
	s_waitcnt lgkmcnt(0)
	v_mfma_f32_16x16x16_bf16 a[4:7], v[38:39], v[36:37], a[4:7]
	v_accvgpr_read_b32 v36, a15
	v_fmac_f32_e32 v36, v46, v5
	v_mov_b32_e32 v25, v48
	v_mfma_f32_16x16x16_bf16 a[8:11], v[38:39], v[44:45], a[16:19]
	v_mfma_f32_16x16x16_bf16 a[16:19], v[38:39], v[42:43], a[20:23]
	s_nop 1
	v_accvgpr_read_b32 v17, a4
	v_fma_f32 v18, v46, v18, v17
	v_accvgpr_read_b32 v17, a5
	v_mfma_f32_16x16x16_bf16 a[0:3], v[38:39], v[34:35], a[0:3]
	v_accvgpr_read_b32 v5, a8
	v_fma_f32 v19, v46, v19, v17
	v_accvgpr_read_b32 v17, a6
	v_fma_f32 v26, v46, v26, v5
	;; [unrolled: 2-line block ×3, first 2 shown]
	v_accvgpr_read_b32 v17, a7
	v_accvgpr_read_b32 v34, a19
	v_fma_f32 v27, v46, v27, v5
	v_accvgpr_read_b32 v5, a10
	v_fmac_f32_e32 v17, v46, v21
	v_accvgpr_read_b32 v21, a16
	v_fmac_f32_e32 v34, v46, v13
	v_accvgpr_read_b32 v13, a0
	v_fma_f32 v28, v46, v28, v5
	v_accvgpr_read_b32 v5, a11
	v_fma_f32 v10, v46, v10, v21
	;; [unrolled: 2-line block ×3, first 2 shown]
	v_accvgpr_read_b32 v13, a1
	v_accvgpr_read_b32 v35, a3
	v_fmac_f32_e32 v5, v46, v29
	v_fma_f32 v11, v46, v11, v21
	v_accvgpr_read_b32 v21, a18
	v_fma_f32 v7, v46, v7, v13
	v_accvgpr_read_b32 v13, a2
	v_fmac_f32_e32 v35, v46, v9
	v_fma_f32 v12, v46, v12, v21
	v_fma_f32 v8, v46, v8, v13
	v_mov_b32_e32 v29, v5
	v_mov_b32_e32 v21, v17
	;; [unrolled: 1-line block ×7, first 2 shown]
.LBB253_101:
	s_lshl_b64 s[0:1], s[28:29], 16
	s_waitcnt lgkmcnt(0)
	s_add_u32 s0, s34, s0
	v_lshlrev_b32_e32 v34, 7, v34
	s_addc_u32 s1, s35, s1
	v_ashrrev_i32_e32 v35, 31, v34
	v_lshl_add_u64 v[36:37], v[34:35], 2, s[0:1]
	v_lshlrev_b32_e32 v0, 2, v1
	v_mov_b32_e32 v1, 0
	v_lshl_add_u64 v[36:37], v[36:37], 0, v[0:1]
	global_store_dwordx4 v[36:37], v[30:33], off
	global_store_dwordx4 v[36:37], v[26:29], off offset:256
	s_nop 1
	v_or_b32_e32 v26, 0x800, v34
	v_ashrrev_i32_e32 v27, 31, v26
	v_lshl_add_u64 v[26:27], v[26:27], 2, s[0:1]
	v_lshl_add_u64 v[26:27], v[26:27], 0, v[0:1]
	global_store_dwordx4 v[26:27], v[22:25], off
	global_store_dwordx4 v[26:27], v[18:21], off offset:256
	s_nop 1
	v_or_b32_e32 v18, 0x1000, v34
	v_ashrrev_i32_e32 v19, 31, v18
	v_lshl_add_u64 v[18:19], v[18:19], 2, s[0:1]
	;; [unrolled: 7-line block ×3, first 2 shown]
	v_lshl_add_u64 v[0:1], v[10:11], 0, v[0:1]
	global_store_dwordx4 v[0:1], v[2:5], off
	global_store_dwordx4 v[0:1], v[6:9], off offset:256
	s_endpgm
	.section	.rodata,"a",@progbits
	.p2align	6, 0x0
	.amdhsa_kernel _ZN12_GLOBAL__N_139chunk_gated_delta_rule_fwd_h_hip_kernelILi64ELb0ELb1ELb1ELb0ELb0ELb0ELb0ELb0EEEvPK12hip_bfloat16S3_S3_PKfS5_PKvPS1_S8_PvPKiSB_iiiiilll
		.amdhsa_group_segment_fixed_size 65536
		.amdhsa_private_segment_fixed_size 0
		.amdhsa_kernarg_size 136
		.amdhsa_user_sgpr_count 2
		.amdhsa_user_sgpr_dispatch_ptr 0
		.amdhsa_user_sgpr_queue_ptr 0
		.amdhsa_user_sgpr_kernarg_segment_ptr 1
		.amdhsa_user_sgpr_dispatch_id 0
		.amdhsa_user_sgpr_kernarg_preload_length 0
		.amdhsa_user_sgpr_kernarg_preload_offset 0
		.amdhsa_user_sgpr_private_segment_size 0
		.amdhsa_uses_dynamic_stack 0
		.amdhsa_enable_private_segment 0
		.amdhsa_system_sgpr_workgroup_id_x 1
		.amdhsa_system_sgpr_workgroup_id_y 1
		.amdhsa_system_sgpr_workgroup_id_z 0
		.amdhsa_system_sgpr_workgroup_info 0
		.amdhsa_system_vgpr_workitem_id 0
		.amdhsa_next_free_vgpr 216
		.amdhsa_next_free_sgpr 67
		.amdhsa_accum_offset 180
		.amdhsa_reserve_vcc 1
		.amdhsa_float_round_mode_32 0
		.amdhsa_float_round_mode_16_64 0
		.amdhsa_float_denorm_mode_32 3
		.amdhsa_float_denorm_mode_16_64 3
		.amdhsa_dx10_clamp 1
		.amdhsa_ieee_mode 1
		.amdhsa_fp16_overflow 0
		.amdhsa_tg_split 0
		.amdhsa_exception_fp_ieee_invalid_op 0
		.amdhsa_exception_fp_denorm_src 0
		.amdhsa_exception_fp_ieee_div_zero 0
		.amdhsa_exception_fp_ieee_overflow 0
		.amdhsa_exception_fp_ieee_underflow 0
		.amdhsa_exception_fp_ieee_inexact 0
		.amdhsa_exception_int_div_zero 0
	.end_amdhsa_kernel
	.section	.text._ZN12_GLOBAL__N_139chunk_gated_delta_rule_fwd_h_hip_kernelILi64ELb0ELb1ELb1ELb0ELb0ELb0ELb0ELb0EEEvPK12hip_bfloat16S3_S3_PKfS5_PKvPS1_S8_PvPKiSB_iiiiilll,"axG",@progbits,_ZN12_GLOBAL__N_139chunk_gated_delta_rule_fwd_h_hip_kernelILi64ELb0ELb1ELb1ELb0ELb0ELb0ELb0ELb0EEEvPK12hip_bfloat16S3_S3_PKfS5_PKvPS1_S8_PvPKiSB_iiiiilll,comdat
.Lfunc_end253:
	.size	_ZN12_GLOBAL__N_139chunk_gated_delta_rule_fwd_h_hip_kernelILi64ELb0ELb1ELb1ELb0ELb0ELb0ELb0ELb0EEEvPK12hip_bfloat16S3_S3_PKfS5_PKvPS1_S8_PvPKiSB_iiiiilll, .Lfunc_end253-_ZN12_GLOBAL__N_139chunk_gated_delta_rule_fwd_h_hip_kernelILi64ELb0ELb1ELb1ELb0ELb0ELb0ELb0ELb0EEEvPK12hip_bfloat16S3_S3_PKfS5_PKvPS1_S8_PvPKiSB_iiiiilll
                                        ; -- End function
	.section	.AMDGPU.csdata,"",@progbits
; Kernel info:
; codeLenInByte = 12784
; NumSgprs: 73
; NumVgprs: 180
; NumAgprs: 36
; TotalNumVgprs: 216
; ScratchSize: 0
; MemoryBound: 0
; FloatMode: 240
; IeeeMode: 1
; LDSByteSize: 65536 bytes/workgroup (compile time only)
; SGPRBlocks: 9
; VGPRBlocks: 26
; NumSGPRsForWavesPerEU: 73
; NumVGPRsForWavesPerEU: 216
; AccumOffset: 180
; Occupancy: 1
; WaveLimiterHint : 1
; COMPUTE_PGM_RSRC2:SCRATCH_EN: 0
; COMPUTE_PGM_RSRC2:USER_SGPR: 2
; COMPUTE_PGM_RSRC2:TRAP_HANDLER: 0
; COMPUTE_PGM_RSRC2:TGID_X_EN: 1
; COMPUTE_PGM_RSRC2:TGID_Y_EN: 1
; COMPUTE_PGM_RSRC2:TGID_Z_EN: 0
; COMPUTE_PGM_RSRC2:TIDIG_COMP_CNT: 0
; COMPUTE_PGM_RSRC3_GFX90A:ACCUM_OFFSET: 44
; COMPUTE_PGM_RSRC3_GFX90A:TG_SPLIT: 0
	.section	.text._ZN12_GLOBAL__N_139chunk_gated_delta_rule_fwd_h_hip_kernelILi64ELb0ELb1ELb0ELb0ELb0ELb0ELb0ELb0EEEvPK12hip_bfloat16S3_S3_PKfS5_PKvPS1_S8_PvPKiSB_iiiiilll,"axG",@progbits,_ZN12_GLOBAL__N_139chunk_gated_delta_rule_fwd_h_hip_kernelILi64ELb0ELb1ELb0ELb0ELb0ELb0ELb0ELb0EEEvPK12hip_bfloat16S3_S3_PKfS5_PKvPS1_S8_PvPKiSB_iiiiilll,comdat
	.globl	_ZN12_GLOBAL__N_139chunk_gated_delta_rule_fwd_h_hip_kernelILi64ELb0ELb1ELb0ELb0ELb0ELb0ELb0ELb0EEEvPK12hip_bfloat16S3_S3_PKfS5_PKvPS1_S8_PvPKiSB_iiiiilll ; -- Begin function _ZN12_GLOBAL__N_139chunk_gated_delta_rule_fwd_h_hip_kernelILi64ELb0ELb1ELb0ELb0ELb0ELb0ELb0ELb0EEEvPK12hip_bfloat16S3_S3_PKfS5_PKvPS1_S8_PvPKiSB_iiiiilll
	.p2align	8
	.type	_ZN12_GLOBAL__N_139chunk_gated_delta_rule_fwd_h_hip_kernelILi64ELb0ELb1ELb0ELb0ELb0ELb0ELb0ELb0EEEvPK12hip_bfloat16S3_S3_PKfS5_PKvPS1_S8_PvPKiSB_iiiiilll,@function
_ZN12_GLOBAL__N_139chunk_gated_delta_rule_fwd_h_hip_kernelILi64ELb0ELb1ELb0ELb0ELb0ELb0ELb0ELb0EEEvPK12hip_bfloat16S3_S3_PKfS5_PKvPS1_S8_PvPKiSB_iiiiilll: ; @_ZN12_GLOBAL__N_139chunk_gated_delta_rule_fwd_h_hip_kernelILi64ELb0ELb1ELb0ELb0ELb0ELb0ELb0ELb0EEEvPK12hip_bfloat16S3_S3_PKfS5_PKvPS1_S8_PvPKiSB_iiiiilll
; %bb.0:
	s_load_dwordx4 s[12:15], s[0:1], 0x5c
	s_load_dwordx4 s[16:19], s[0:1], 0x70
	s_abs_i32 s22, s3
	s_ashr_i32 s21, s3, 31
	s_load_dwordx8 s[4:11], s[0:1], 0x0
	s_waitcnt lgkmcnt(0)
	s_abs_i32 s20, s13
	v_cvt_f32_u32_e32 v1, s20
	s_sub_i32 s24, 0, s20
	s_ashr_i32 s23, s13, 31
	s_xor_b32 s21, s21, s23
	v_rcp_iflag_f32_e32 v1, v1
	s_load_dwordx2 s[28:29], s[0:1], 0x40
	s_load_dwordx2 s[36:37], s[0:1], 0x30
	;; [unrolled: 1-line block ×3, first 2 shown]
	v_lshrrev_b32_e32 v72, 6, v0
	v_bfe_u32 v75, v0, 4, 2
	v_mul_f32_e32 v1, 0x4f7ffffe, v1
	v_cvt_u32_f32_e32 v1, v1
	v_lshlrev_b32_e32 v73, 4, v72
	v_lshlrev_b32_e32 v34, 2, v75
	v_and_b32_e32 v74, 63, v0
	v_readfirstlane_b32 s25, v1
	s_mul_i32 s24, s24, s25
	s_mul_hi_u32 s24, s25, s24
	s_add_i32 s25, s25, s24
	s_mul_hi_u32 s24, s22, s25
	s_mul_i32 s25, s24, s20
	s_sub_i32 s22, s22, s25
	s_add_i32 s26, s24, 1
	s_sub_i32 s25, s22, s20
	s_cmp_ge_u32 s22, s20
	s_cselect_b32 s24, s26, s24
	s_cselect_b32 s22, s25, s22
	s_add_i32 s25, s24, 1
	s_cmp_ge_u32 s22, s20
	s_cselect_b32 s22, s25, s24
	s_xor_b32 s22, s22, s21
	s_sub_i32 s47, s22, s21
	s_abs_i32 s21, s14
	v_cvt_f32_u32_e32 v1, s21
	s_add_i32 s24, s12, 63
	s_mul_i32 s45, s47, s13
	s_sub_i32 s33, s3, s45
	v_rcp_iflag_f32_e32 v1, v1
	s_ashr_i32 s3, s24, 31
	s_ashr_i32 s46, s12, 31
	s_lshr_b32 s3, s3, 26
	v_mul_f32_e32 v1, 0x4f7ffffe, v1
	v_cvt_u32_f32_e32 v1, v1
	s_lshr_b32 s22, s46, 26
	s_add_i32 s24, s24, s3
	s_add_i32 s22, s12, s22
	s_ashr_i32 s49, s14, 31
	s_ashr_i32 s3, s24, 6
	;; [unrolled: 1-line block ×3, first 2 shown]
	s_xor_b32 s22, s23, s49
	s_sub_i32 s23, 0, s21
	v_readfirstlane_b32 s24, v1
	s_mul_i32 s23, s23, s24
	s_mul_hi_u32 s23, s24, s23
	s_add_i32 s24, s24, s23
	s_mul_hi_u32 s23, s20, s24
	s_mul_i32 s24, s23, s21
	s_sub_i32 s20, s20, s24
	s_add_i32 s24, s23, 1
	s_sub_i32 s25, s20, s21
	s_cmp_ge_u32 s20, s21
	s_cselect_b32 s23, s24, s23
	s_cselect_b32 s20, s25, s20
	s_add_i32 s24, s23, 1
	s_cmp_ge_u32 s20, s21
	s_cselect_b32 s20, s24, s23
	s_xor_b32 s20, s20, s22
	s_sub_i32 s20, s20, s22
	s_abs_i32 s21, s20
	v_cvt_f32_u32_e32 v1, s21
	s_xor_b32 s0, s33, s20
	s_sub_i32 s20, 0, s21
	s_abs_i32 s1, s33
	v_rcp_iflag_f32_e32 v1, v1
	s_ashr_i32 s0, s0, 31
	v_mov_b32_e32 v5, 0
	s_mul_i32 s50, s47, s3
	v_mul_f32_e32 v1, 0x4f7ffffe, v1
	v_cvt_u32_f32_e32 v1, v1
	v_and_b32_e32 v76, 15, v0
	s_mul_hi_i32 s51, s47, s13
	v_lshrrev_b32_e32 v78, 3, v74
	v_readfirstlane_b32 s22, v1
	s_mul_i32 s20, s20, s22
	s_mul_hi_u32 s20, s22, s20
	s_add_i32 s22, s22, s20
	s_mul_hi_u32 s20, s1, s22
	s_mul_i32 s22, s20, s21
	s_sub_i32 s1, s1, s22
	s_add_i32 s22, s20, 1
	s_sub_i32 s23, s1, s21
	s_cmp_ge_u32 s1, s21
	s_cselect_b32 s20, s22, s20
	s_cselect_b32 s1, s23, s1
	s_add_i32 s22, s20, 1
	s_cmp_ge_u32 s1, s21
	s_cselect_b32 s1, s22, s20
	s_xor_b32 s1, s1, s0
	s_sub_i32 s52, s1, s0
	v_or_b32_e32 v1, v34, v73
	s_lshl_b32 s2, s2, 6
	v_or_b32_e32 v79, 64, v1
	s_cmp_lt_i32 s12, 64
	v_lshlrev_b32_e32 v77, 3, v0
	s_mul_i32 s17, s47, s17
	s_mul_hi_u32 s44, s47, s16
	s_mul_i32 s34, s47, s16
	v_mov_b32_e32 v4, v5
	v_mov_b32_e32 v3, v5
	;; [unrolled: 1-line block ×31, first 2 shown]
	s_cbranch_scc1 .LBB254_18
; %bb.1:
	s_ashr_i32 s3, s47, 31
	s_ashr_i32 s54, s33, 31
	s_add_u32 s0, s45, s33
	s_addc_u32 s1, s51, s54
	s_mul_i32 s1, s12, s1
	s_mul_hi_u32 s20, s12, s0
	s_add_i32 s39, s20, s1
	s_mul_i32 s38, s12, s0
	s_lshl_b64 s[0:1], s[38:39], 8
	v_and_b32_e32 v81, 56, v77
	s_add_u32 s20, s6, s0
	v_lshl_or_b32 v80, v72, 3, v78
	v_lshlrev_b32_e32 v2, 1, v81
	s_addc_u32 s0, s7, s1
	v_lshl_or_b32 v82, v80, 8, v2
	s_and_b32 s21, s0, 0xffff
	s_mov_b32 s23, 0x20000
	s_movk_i32 s22, 0x4000
	s_movk_i32 s0, 0x80
	v_or_b32_e32 v83, 0x2000, v82
	buffer_load_dwordx4 v[4:7], v82, s[20:23], 0 offen
	buffer_load_dwordx4 v[8:11], v82, s[20:23], s0 offen
	;; [unrolled: 1-line block ×4, first 2 shown]
	v_lshlrev_b32_e32 v3, 3, v80
	v_and_or_b32 v21, v0, 7, v3
	v_and_b32_e32 v3, 0x78, v3
	v_lshlrev_b32_e32 v21, 4, v21
	v_xor_b32_e32 v84, v21, v3
	v_mul_lo_u32 v20, v80, s15
	v_or_b32_e32 v85, 0x1000, v84
	v_xor_b32_e32 v3, 8, v84
	s_cmpk_eq_i32 s15, 0x80
	s_mov_b32 s53, s14
	v_xor_b32_e32 v21, 8, v85
	s_cselect_b64 s[0:1], -1, 0
	s_cmpk_lg_i32 s15, 0x80
	s_waitcnt vmcnt(3)
	ds_write_b64 v84, v[4:5] offset:49152
	ds_write_b64 v3, v[6:7] offset:49152
	s_waitcnt vmcnt(2)
	ds_write_b64 v84, v[8:9] offset:57344
	ds_write_b64 v3, v[10:11] offset:57344
	;; [unrolled: 3-line block ×4, first 2 shown]
	v_lshl_add_u32 v3, v20, 1, v81
	s_cbranch_scc0 .LBB254_3
; %bb.2:
	v_lshlrev_b32_e32 v5, 1, v3
	v_add_lshl_u32 v4, v3, s15, 1
	s_lshl_b32 s22, s15, 7
	v_lshl_or_b32 v2, v80, 9, v2
	s_cbranch_execz .LBB254_4
	s_branch .LBB254_5
.LBB254_3:
                                        ; implicit-def: $vgpr4
                                        ; implicit-def: $vgpr5
                                        ; implicit-def: $sgpr22
	v_lshl_or_b32 v2, v80, 9, v2
.LBB254_4:
	v_or_b32_e32 v4, 0x100, v2
	s_movk_i32 s22, 0x4000
	v_mov_b32_e32 v5, v2
.LBB254_5:
	s_mul_hi_u32 s20, s14, s12
	s_mul_i32 s21, s49, s12
	s_add_i32 s20, s20, s21
	s_mul_i32 s21, s14, s12
	s_mul_i32 s23, s21, s3
	s_mul_hi_u32 s24, s21, s47
	s_add_i32 s23, s24, s23
	s_mul_i32 s20, s20, s47
	s_add_i32 s23, s23, s20
	s_mul_i32 s21, s21, s47
	s_ashr_i32 s55, s52, 31
	s_add_u32 s20, s21, s52
	s_addc_u32 s21, s23, s55
	s_lshl_b64 s[20:21], s[20:21], 8
	s_add_u32 s20, s4, s20
	s_addc_u32 s21, s5, s21
	s_and_b32 s21, s21, 0xffff
	s_mov_b32 s23, 0x20000
	s_movk_i32 s56, 0x80
	buffer_load_dwordx4 v[6:9], v5, s[20:23], 0 offen
	buffer_load_dwordx4 v[10:13], v5, s[20:23], s56 offen
	;; [unrolled: 1-line block ×4, first 2 shown]
	v_and_b32_e32 v5, 6, v0
	v_lshlrev_b32_e32 v4, 7, v1
	v_xor_b32_e32 v26, v80, v5
	v_and_b32_e32 v22, 1, v0
	v_lshl_or_b32 v29, v76, 3, v4
	v_lshlrev_b32_e32 v26, 2, v26
	v_or_b32_e32 v86, 0x4000, v29
	v_or_b32_e32 v87, 0x6000, v29
	v_xor_b32_e32 v29, 0x440, v26
	v_cmp_eq_u32_e32 vcc, 0, v22
	v_lshlrev_b32_e32 v23, 2, v76
	s_mov_b32 s58, 0x1000504
	v_cndmask_b32_e32 v22, v29, v26, vcc
	v_xor_b32_e32 v27, v1, v23
	v_xor_b32_e32 v28, v79, v23
	v_lshl_or_b32 v5, v5, 10, v22
	s_mov_b32 s59, 0x3020706
	s_mul_i32 s20, s3, s12
	s_mul_hi_u32 s21, s47, s12
	v_lshlrev_b32_e32 v24, 8, v76
	v_or_b32_e32 v25, 16, v76
	v_lshlrev_b32_e32 v27, 1, v27
	v_lshlrev_b32_e32 v28, 1, v28
	v_xor_b32_e32 v22, 8, v5
	v_xor_b32_e32 v26, 24, v5
	;; [unrolled: 1-line block ×4, first 2 shown]
	v_or_b32_e32 v89, v24, v27
	v_or_b32_e32 v90, v24, v28
	v_xor_b32_e32 v24, 16, v5
	v_xor_b32_e32 v29, 32, v5
	;; [unrolled: 1-line block ×3, first 2 shown]
	v_add_u32_e32 v22, 0x80, v22
	v_add_u32_e32 v26, 0x80, v26
	;; [unrolled: 1-line block ×4, first 2 shown]
	s_add_i32 s61, s21, s20
	s_add_i32 s20, s44, s17
	s_mul_i32 s3, s3, s16
	s_add_i32 s35, s20, s3
	s_mul_i32 s3, s33, s19
	s_mul_hi_u32 s20, s33, s18
	s_add_i32 s3, s20, s3
	s_mul_i32 s20, s54, s18
	s_add_i32 s21, s3, s20
	s_lshl_b64 s[24:25], s[34:35], 2
	s_mul_i32 s20, s33, s18
	s_add_u32 s3, s10, s24
	s_addc_u32 s24, s11, s25
	s_lshl_b64 s[20:21], s[20:21], 2
	s_add_u32 s40, s3, s20
	s_movk_i32 s3, 0xf8
	s_addc_u32 s41, s24, s21
	s_lshl_b32 s26, s15, 7
	s_movk_i32 s24, 0x100
	v_mov_b32_e32 v67, 0
	v_lshlrev_b32_e32 v66, 4, v76
	v_cmp_gt_u32_e32 vcc, s24, v0
	v_lshl_or_b32 v30, v25, 3, v4
	s_mov_b32 s57, 0
	s_mul_i32 s60, s47, s12
	v_or_b32_e32 v88, 0x4000, v30
	s_movk_i32 s22, 0x4000
	v_or_b32_e32 v91, 0x6000, v30
	v_add_u32_e32 v126, v73, v34
	s_movk_i32 s35, 0x2000
	s_movk_i32 s62, 0x3000
	v_mov_b32_e32 v131, 0x3fb8aa3b
	s_mov_b32 s64, 0
	v_mov_b32_e32 v30, v67
	s_waitcnt vmcnt(1)
	v_perm_b32 v35, v6, v14, s58
	s_waitcnt vmcnt(0)
	v_perm_b32 v36, v10, v18, s58
	v_perm_b32 v6, v6, v14, s59
	;; [unrolled: 1-line block ×15, first 2 shown]
	ds_write2st64_b32 v5, v35, v36 offset0:128 offset1:160
	ds_write2st64_b32 v22, v6, v10 offset0:128 offset1:160
	ds_write2st64_b32 v24, v14, v18 offset0:129 offset1:161
	ds_write2st64_b32 v26, v7, v11 offset0:129 offset1:161
	ds_write2st64_b32 v29, v15, v19 offset0:130 offset1:162
	ds_write2st64_b32 v31, v8, v12 offset0:130 offset1:162
	ds_write2st64_b32 v32, v16, v20 offset0:131 offset1:163
	ds_write2st64_b32 v33, v9, v13 offset0:131 offset1:163
	v_lshlrev_b32_e32 v5, 8, v25
	v_or_b32_e32 v92, v5, v27
	v_or_b32_e32 v93, v5, v28
	;; [unrolled: 1-line block ×3, first 2 shown]
	v_lshl_or_b32 v6, v5, 3, v4
	v_lshlrev_b32_e32 v5, 8, v5
	v_or_b32_e32 v96, v5, v27
	v_or_b32_e32 v97, v5, v28
	;; [unrolled: 1-line block ×5, first 2 shown]
	v_lshl_or_b32 v6, v5, 3, v4
	v_lshlrev_b32_e32 v5, 8, v5
	v_or_b32_e32 v100, v5, v27
	v_or_b32_e32 v101, v5, v28
	;; [unrolled: 1-line block ×3, first 2 shown]
	v_lshlrev_b32_e32 v5, 3, v5
	v_lshrrev_b32_e32 v7, 5, v74
	v_and_or_b32 v7, v5, s3, v7
	v_lshlrev_b32_e32 v7, 4, v7
	v_lshlrev_b32_e32 v10, 11, v72
	v_and_b32_e32 v5, 0x78, v5
	v_or_b32_e32 v13, 32, v7
	v_or_b32_e32 v98, 0x4000, v6
	;; [unrolled: 1-line block ×3, first 2 shown]
	v_and_b32_e32 v6, 0x1000, v10
	v_xor_b32_e32 v8, v7, v5
	v_lshrrev_b32_e32 v11, 1, v0
	v_xor_b32_e32 v13, v13, v5
	v_or_b32_e32 v8, v8, v6
	v_and_b32_e32 v9, 8, v11
	v_lshlrev_b32_e32 v12, 8, v75
	v_or_b32_e32 v13, v13, v6
	v_xor_b32_e32 v102, v8, v9
	v_or_b32_e32 v8, v12, v23
	v_xor_b32_e32 v104, v13, v9
	v_or_b32_e32 v13, 64, v7
	v_or_b32_e32 v7, 0x60, v7
	s_ashr_i32 s3, s2, 31
	v_lshlrev_b32_e32 v8, 1, v8
	v_xor_b32_e32 v13, v13, v5
	v_xor_b32_e32 v5, v7, v5
	s_lshl_b64 s[20:21], s[2:3], 8
	v_or_b32_e32 v103, 0x4000, v8
	v_or_b32_e32 v105, 0x4080, v8
	;; [unrolled: 1-line block ×10, first 2 shown]
	s_waitcnt lgkmcnt(0)
	s_add_u32 s20, s36, s20
	v_lshlrev_b32_e32 v8, 1, v76
	v_xor_b32_e32 v108, v13, v9
	v_xor_b32_e32 v109, v5, v9
	v_lshrrev_b32_e32 v14, 4, v0
	s_addc_u32 s21, s37, s21
	v_or_b32_e32 v9, 1, v8
	v_mov_b32_e32 v18, 0xa000
	v_mov_b32_e32 v19, 0x8000
	v_xor_b32_e32 v15, v14, v8
	v_xor_b32_e32 v16, v9, v14
	v_lshl_add_u64 v[8:9], s[20:21], 0, v[66:67]
	v_lshlrev_b32_e32 v66, 8, v14
	v_cndmask_b32_e32 v18, v18, v19, vcc
	v_lshlrev_b32_e32 v19, 3, v72
	v_and_b32_e32 v11, 24, v11
	v_lshl_or_b32 v114, v15, 3, v66
	v_and_b32_e32 v15, 8, v0
	v_xor_b32_e32 v20, v19, v11
	v_or_b32_e32 v21, 0x440, v20
	v_cmp_eq_u32_e32 vcc, 0, v15
	v_and_b32_e32 v14, 7, v0
	v_lshl_or_b32 v115, v16, 3, v66
	v_cndmask_b32_e32 v15, v21, v20, vcc
	v_lshlrev_b32_e32 v16, 3, v14
	v_lshlrev_b32_e32 v14, 7, v14
	v_or_b32_e32 v15, v15, v10
	v_lshlrev_b32_e32 v17, 2, v0
	v_xad_u32 v116, v15, v16, v14
	v_or_b32_e32 v15, 32, v11
	v_and_or_b32 v12, v17, 60, v12
	v_xor_b32_e32 v15, v19, v15
	v_lshlrev_b32_e32 v12, 1, v12
	v_or_b32_e32 v17, 0x440, v15
	v_or_b32_e32 v117, 0x6000, v12
	v_cndmask_b32_e32 v15, v17, v15, vcc
	v_or_b32_e32 v119, 0x6080, v12
	v_or_b32_e32 v120, 0x6100, v12
	;; [unrolled: 1-line block ×5, first 2 shown]
	v_xor_b32_e32 v12, v19, v12
	v_xad_u32 v118, v15, v16, v14
	v_xor_b32_e32 v15, 0x440, v12
	v_cndmask_b32_e32 v12, v15, v12, vcc
	v_or_b32_e32 v11, 0x60, v11
	v_or_b32_e32 v12, v12, v10
	v_xor_b32_e32 v11, v19, v11
	v_xad_u32 v122, v12, v16, v14
	v_xor_b32_e32 v12, 0x440, v11
	v_cndmask_b32_e32 v11, v12, v11, vcc
	v_or_b32_e32 v6, s2, v76
	v_or_b32_e32 v10, v11, v10
	v_ashrrev_i32_e32 v7, 31, v6
	v_lshlrev_b32_e32 v5, 1, v3
	v_add_lshl_u32 v3, v3, s15, 1
	v_or_b32_e32 v13, 0x100, v2
	v_xad_u32 v123, v10, v16, v14
	v_cndmask_b32_e64 v124, v5, v2, s[0:1]
	v_cndmask_b32_e64 v125, v3, v13, s[0:1]
	v_lshl_add_u64 v[68:69], v[6:7], 1, s[8:9]
	v_lshl_add_u64 v[70:71], v[8:9], 0, v[66:67]
	s_mov_b32 s3, 0x7060302
	v_lshlrev_b32_e32 v66, 1, v4
	v_add_u32_e32 v127, v18, v116
	v_add_u32_e32 v128, v18, v118
	v_add_u32_e32 v129, v18, v122
	v_add_u32_e32 v130, v18, v123
	v_mov_b32_e32 v26, v67
	v_mov_b32_e32 v27, v67
	;; [unrolled: 1-line block ×31, first 2 shown]
	s_barrier
.LBB254_6:                              ; =>This Inner Loop Header: Depth=1
	s_add_i32 s63, s64, 1
	s_cmp_lt_i32 s63, s48
	s_mov_b64 s[24:25], 0
	s_cselect_b64 s[42:43], -1, 0
	s_cmp_ge_i32 s63, s48
	s_mov_b64 s[20:21], 0
	s_cbranch_scc1 .LBB254_8
; %bb.7:                                ;   in Loop: Header=BB254_6 Depth=1
	s_add_i32 s0, s57, 64
	s_add_u32 s0, s38, s0
	s_addc_u32 s1, s39, 0
	s_lshl_b64 s[0:1], s[0:1], 8
	s_add_u32 s20, s6, s0
	s_addc_u32 s21, s7, s1
.LBB254_8:                              ;   in Loop: Header=BB254_6 Depth=1
	v_cndmask_b32_e64 v34, 0, 1, s[42:43]
	v_cmp_ne_u32_e64 s[0:1], 1, v34
	s_andn2_b64 vcc, exec, s[42:43]
	s_cbranch_vccnz .LBB254_10
; %bb.9:                                ;   in Loop: Header=BB254_6 Depth=1
	s_add_i32 s24, s57, 64
	s_add_u32 s24, s60, s24
	s_addc_u32 s25, s61, 0
	s_mul_i32 s27, s24, s49
	s_mul_hi_u32 s42, s24, s53
	s_add_i32 s27, s42, s27
	s_mul_i32 s25, s25, s53
	s_add_i32 s27, s27, s25
	s_mul_i32 s24, s24, s53
	s_add_u32 s24, s24, s52
	s_addc_u32 s25, s27, s55
	s_lshl_b64 s[24:25], s[24:25], 8
	s_add_u32 s24, s4, s24
	s_addc_u32 s25, s5, s25
.LBB254_10:                             ;   in Loop: Header=BB254_6 Depth=1
	v_perm_b32 v35, v33, v32, s3
	v_perm_b32 v34, v31, v30, s3
	v_perm_b32 v37, v29, v28, s3
	v_perm_b32 v36, v27, v26, s3
	ds_write_b64 v86, v[34:35]
	ds_write_b64 v87, v[36:37]
	ds_write_b64 v89, v[34:35]
	ds_write_b64 v90, v[36:37]
	v_perm_b32 v35, v25, v24, s3
	v_perm_b32 v34, v23, v22, s3
	v_perm_b32 v37, v21, v20, s3
	v_perm_b32 v36, v19, v18, s3
	ds_write_b64 v88, v[34:35]
	ds_write_b64 v91, v[36:37]
	ds_write_b64 v92, v[34:35]
	ds_write_b64 v93, v[36:37]
	v_perm_b32 v35, v17, v16, s3
	v_perm_b32 v34, v15, v14, s3
	v_perm_b32 v37, v13, v12, s3
	v_perm_b32 v36, v11, v10, s3
	ds_write_b64 v94, v[34:35]
	ds_write_b64 v95, v[36:37]
	ds_write_b64 v96, v[34:35]
	ds_write_b64 v97, v[36:37]
	v_perm_b32 v35, v5, v4, s3
	v_perm_b32 v34, v3, v2, s3
	v_perm_b32 v37, v9, v8, s3
	v_perm_b32 v36, v7, v6, s3
	ds_write_b64 v98, v[34:35]
	ds_write_b64 v99, v[36:37]
	ds_write_b64 v100, v[34:35]
	ds_write_b64 v101, v[36:37]
	s_waitcnt lgkmcnt(0)
	s_barrier
	ds_read_b64 v[38:39], v102 offset:49152
	ds_read2_b64 v[34:37], v103 offset1:16
	ds_read_b64 v[50:51], v105 offset:6144
	ds_read_b64 v[52:53], v103 offset:6144
	s_waitcnt lgkmcnt(2)
	v_mfma_f32_16x16x16_bf16 a[0:3], v[38:39], v[34:35], 0
	ds_read_b64 v[54:55], v104 offset:49152
	ds_read2st64_b64 v[42:45], v106 offset0:4 offset1:8
	ds_read2st64_b64 v[46:49], v107 offset0:4 offset1:8
	v_mfma_f32_16x16x16_bf16 a[4:7], v[38:39], v[36:37], 0
	ds_read2_b64 v[34:37], v103 offset0:32 offset1:48
	s_add_i32 s27, s57, 63
	s_mul_i32 s42, s27, s31
	s_waitcnt lgkmcnt(0)
	v_mfma_f32_16x16x16_bf16 a[8:11], v[38:39], v[34:35], 0
	s_mul_hi_u32 s43, s27, s30
	s_add_i32 s43, s43, s42
	s_mul_i32 s42, s27, s30
	v_mfma_f32_16x16x16_bf16 a[12:15], v[38:39], v[36:37], 0
	ds_read2st64_b64 v[34:37], v103 offset0:4 offset1:8
	ds_read2st64_b64 v[38:41], v105 offset0:4 offset1:8
	s_lshl_b64 s[42:43], s[42:43], 2
	s_waitcnt lgkmcnt(1)
	v_mfma_f32_16x16x16_bf16 a[0:3], v[54:55], v[34:35], a[0:3]
	s_add_u32 s42, s40, s42
	s_addc_u32 s43, s41, s43
	s_and_b64 vcc, exec, s[0:1]
	s_waitcnt lgkmcnt(0)
	v_mfma_f32_16x16x16_bf16 a[4:7], v[54:55], v[38:39], a[4:7]
	v_mov_b32_e32 v134, 0
	v_mov_b32_e32 v133, 0
	v_mov_b32_e32 v132, 0
	v_mfma_f32_16x16x16_bf16 a[8:11], v[54:55], v[42:43], a[8:11]
	ds_read_b64 v[34:35], v108 offset:49152
	ds_read_b64 v[38:39], v109 offset:49152
	;; [unrolled: 1-line block ×3, first 2 shown]
	v_mfma_f32_16x16x16_bf16 a[12:15], v[54:55], v[46:47], a[12:15]
	v_mov_b32_e32 v46, 0
	v_mov_b32_e32 v47, 0
	s_waitcnt lgkmcnt(2)
	v_mfma_f32_16x16x16_bf16 a[0:3], v[34:35], v[36:37], a[0:3]
	v_mov_b32_e32 v36, 0
	v_mov_b32_e32 v37, 0
	v_mfma_f32_16x16x16_bf16 a[16:19], v[34:35], v[40:41], a[4:7]
	v_mov_b32_e32 v40, 0
	v_mov_b32_e32 v41, 0
	;; [unrolled: 3-line block ×3, first 2 shown]
	v_mfma_f32_16x16x16_bf16 a[24:27], v[34:35], v[48:49], a[12:15]
	ds_read_b64 v[34:35], v106 offset:6144
	v_mov_b32_e32 v48, 0
	v_mov_b32_e32 v49, 0
	s_waitcnt lgkmcnt(2)
	v_mfma_f32_16x16x16_bf16 a[4:7], v[38:39], v[52:53], a[0:3]
	v_mfma_f32_16x16x16_bf16 a[8:11], v[38:39], v[50:51], a[16:19]
	s_waitcnt lgkmcnt(0)
	v_mfma_f32_16x16x16_bf16 a[12:15], v[38:39], v[34:35], a[20:23]
	v_mov_b32_e32 v34, 0
	v_mov_b32_e32 v35, 0
	v_mfma_f32_16x16x16_bf16 a[0:3], v[38:39], v[42:43], a[24:27]
	v_mov_b32_e32 v38, 0
	v_mov_b32_e32 v39, 0
	;; [unrolled: 1-line block ×4, first 2 shown]
	s_cbranch_vccnz .LBB254_12
; %bb.11:                               ;   in Loop: Header=BB254_6 Depth=1
	s_and_b32 s21, s21, 0xffff
	buffer_load_dwordx4 v[46:49], v82, s[20:23], 0 offen
	buffer_load_dwordx4 v[42:45], v82, s[20:23], s56 offen
	;; [unrolled: 1-line block ×4, first 2 shown]
	v_mov_b32_e32 v133, v84
	v_mov_b32_e32 v132, v85
.LBB254_12:                             ;   in Loop: Header=BB254_6 Depth=1
	ds_read_b64 v[136:137], v102 offset:57344
	ds_read2_b64 v[50:53], v110 offset1:16
	ds_read_b64 v[138:139], v104 offset:57344
	ds_read_b64 v[140:141], v108 offset:57344
	;; [unrolled: 1-line block ×3, first 2 shown]
	v_add_u32_e32 v135, s57, v126
	s_waitcnt lgkmcnt(3)
	v_mfma_f32_16x16x16_bf16 a[4:7], v[136:137], v[50:51], a[4:7]
	v_mfma_f32_16x16x16_bf16 a[8:11], v[136:137], v[52:53], a[8:11]
	ds_read2_b64 v[50:53], v110 offset0:32 offset1:48
	ds_read2st64_b64 v[54:57], v110 offset0:4 offset1:8
	ds_read2st64_b64 v[58:61], v111 offset0:4 offset1:8
	;; [unrolled: 1-line block ×3, first 2 shown]
	s_waitcnt lgkmcnt(3)
	v_mfma_f32_16x16x16_bf16 a[12:15], v[136:137], v[50:51], a[12:15]
	v_ashrrev_i32_e32 v50, 31, v135
	v_mfma_f32_16x16x16_bf16 a[0:3], v[136:137], v[52:53], a[0:3]
	v_mul_lo_u32 v52, v50, s30
	v_mul_lo_u32 v53, v135, s31
	v_mad_u64_u32 v[50:51], s[20:21], v135, s30, 0
	v_add3_u32 v51, v51, v53, v52
	v_add_u32_e32 v52, 1, v135
	v_ashrrev_i32_e32 v53, 31, v52
	s_waitcnt lgkmcnt(2)
	v_mfma_f32_16x16x16_bf16 a[4:7], v[138:139], v[54:55], a[4:7]
	v_mul_lo_u32 v54, v53, s30
	v_mul_lo_u32 v55, v52, s31
	v_mad_u64_u32 v[52:53], s[20:21], v52, s30, 0
	v_add3_u32 v53, v53, v55, v54
	v_add_u32_e32 v54, 2, v135
	v_ashrrev_i32_e32 v55, 31, v54
	s_waitcnt lgkmcnt(1)
	v_mfma_f32_16x16x16_bf16 a[8:11], v[138:139], v[58:59], a[8:11]
	v_mul_lo_u32 v58, v55, s30
	v_mul_lo_u32 v59, v54, s31
	v_mad_u64_u32 v[54:55], s[20:21], v54, s30, 0
	v_lshl_add_u64 v[50:51], v[50:51], 2, s[40:41]
	v_add3_u32 v55, v55, v59, v58
	v_add_u32_e32 v58, 3, v135
	v_ashrrev_i32_e32 v59, 31, v58
	global_load_dword v136, v[50:51], off
	v_mad_u64_u32 v[50:51], s[20:21], v58, s30, 0
	v_mul_lo_u32 v59, v59, s30
	v_mul_lo_u32 v135, v58, s31
	s_add_u32 s20, s38, s57
	v_add3_u32 v51, v51, v135, v59
	s_addc_u32 s21, s39, 0
	v_lshl_add_u64 v[52:53], v[52:53], 2, s[40:41]
	v_lshl_add_u64 v[54:55], v[54:55], 2, s[40:41]
	;; [unrolled: 1-line block ×3, first 2 shown]
	s_lshl_b64 s[20:21], s[20:21], 8
	global_load_dword v135, v[52:53], off
	global_load_dword v137, v[54:55], off
	;; [unrolled: 1-line block ×3, first 2 shown]
	v_lshl_add_u64 v[50:51], v[68:69], 0, s[20:21]
	v_lshl_add_u64 v[54:55], v[50:51], 0, v[66:67]
	global_load_ushort v145, v[54:55], off offset:256
	global_load_ushort v146, v[54:55], off
	ds_read2st64_b64 v[50:53], v113 offset0:4 offset1:8
	global_load_ushort v147, v[54:55], off offset:768
	global_load_ushort v148, v[54:55], off offset:512
	s_waitcnt lgkmcnt(1)
	v_mfma_f32_16x16x16_bf16 a[12:15], v[138:139], v[62:63], a[12:15]
	s_and_b64 vcc, exec, s[0:1]
	s_waitcnt vmcnt(3)
	v_lshlrev_b32_e32 v63, 16, v145
	s_waitcnt lgkmcnt(0)
	v_mfma_f32_16x16x16_bf16 a[0:3], v[138:139], v[50:51], a[0:3]
	global_load_ushort v138, v[54:55], off offset:288
	global_load_ushort v139, v[54:55], off offset:32
	;; [unrolled: 1-line block ×8, first 2 shown]
	v_mfma_f32_16x16x16_bf16 a[4:7], v[140:141], v[56:57], a[4:7]
	ds_read_b64 v[50:51], v110 offset:6144
	s_waitcnt vmcnt(10)
	v_lshlrev_b32_e32 v62, 16, v146
	v_mfma_f32_16x16x16_bf16 a[8:11], v[140:141], v[60:61], a[8:11]
	v_mfma_f32_16x16x16_bf16 a[12:15], v[140:141], v[64:65], a[12:15]
	;; [unrolled: 1-line block ×3, first 2 shown]
	global_load_ushort v140, v[54:55], off offset:352
	global_load_ushort v141, v[54:55], off offset:96
	ds_read_b64 v[52:53], v111 offset:6144
	ds_read_b64 v[56:57], v112 offset:6144
	;; [unrolled: 1-line block ×3, first 2 shown]
	global_load_ushort v155, v[54:55], off offset:864
	global_load_ushort v156, v[54:55], off offset:608
	s_load_dword s20, s[42:43], 0x0
	s_waitcnt lgkmcnt(0)
	v_mfma_f32_16x16x16_bf16 a[4:7], v[142:143], v[50:51], a[4:7]
	v_sub_f32_e32 v60, s20, v137
	v_mfma_f32_16x16x16_bf16 a[0:3], v[142:143], v[58:59], a[0:3]
	v_sub_f32_e32 v58, s20, v136
	v_sub_f32_e32 v59, s20, v135
	;; [unrolled: 1-line block ×3, first 2 shown]
	v_mul_f32_e32 v58, 0x3fb8aa3b, v58
	v_mul_f32_e32 v59, 0x3fb8aa3b, v59
	;; [unrolled: 1-line block ×4, first 2 shown]
	v_mfma_f32_16x16x16_bf16 a[8:11], v[142:143], v[52:53], a[8:11]
	v_exp_f32_e32 v58, v58
	v_exp_f32_e32 v59, v59
	;; [unrolled: 1-line block ×4, first 2 shown]
	v_accvgpr_read_b32 v65, a5
	v_accvgpr_read_b32 v64, a4
	;; [unrolled: 1-line block ×4, first 2 shown]
	v_pk_add_f32 v[62:63], v[62:63], v[64:65] neg_lo:[0,1] neg_hi:[0,1]
	s_waitcnt vmcnt(13)
	v_lshlrev_b32_e32 v65, 16, v147
	s_waitcnt vmcnt(12)
	v_lshlrev_b32_e32 v64, 16, v148
	v_pk_add_f32 v[50:51], v[64:65], v[50:51] neg_lo:[0,1] neg_hi:[0,1]
	v_pk_mul_f32 v[62:63], v[58:59], v[62:63]
	v_pk_mul_f32 v[50:51], v[60:61], v[50:51]
	v_accvgpr_read_b32 v65, a9
	v_perm_b32 v51, v51, v50, s3
	v_perm_b32 v50, v63, v62, s3
	v_accvgpr_read_b32 v64, a8
	v_accvgpr_read_b32 v53, a11
	v_mfma_f32_16x16x16_bf16 a[12:15], v[142:143], v[56:57], a[12:15]
	v_accvgpr_read_b32 v52, a10
	v_accvgpr_read_b32 v57, a3
	;; [unrolled: 1-line block ×3, first 2 shown]
	v_mov_b32_e32 v135, 0
	s_waitcnt vmcnt(11)
	v_lshlrev_b32_e32 v63, 16, v138
	s_waitcnt vmcnt(10)
	v_lshlrev_b32_e32 v62, 16, v139
	v_pk_add_f32 v[62:63], v[62:63], v[64:65] neg_lo:[0,1] neg_hi:[0,1]
	s_waitcnt vmcnt(9)
	v_lshlrev_b32_e32 v65, 16, v149
	s_waitcnt vmcnt(8)
	v_lshlrev_b32_e32 v64, 16, v150
	v_pk_add_f32 v[52:53], v[64:65], v[52:53] neg_lo:[0,1] neg_hi:[0,1]
	v_pk_mul_f32 v[62:63], v[58:59], v[62:63]
	v_pk_mul_f32 v[52:53], v[60:61], v[52:53]
	v_accvgpr_read_b32 v55, a15
	v_perm_b32 v53, v53, v52, s3
	v_perm_b32 v52, v63, v62, s3
	ds_write2_b64 v87, v[50:51], v[52:53] offset1:16
	v_accvgpr_read_b32 v53, a13
	s_waitcnt vmcnt(7)
	v_lshlrev_b32_e32 v51, 16, v151
	s_waitcnt vmcnt(6)
	v_lshlrev_b32_e32 v50, 16, v152
	v_accvgpr_read_b32 v52, a12
	v_accvgpr_read_b32 v54, a14
	v_pk_add_f32 v[50:51], v[50:51], v[52:53] neg_lo:[0,1] neg_hi:[0,1]
	s_waitcnt vmcnt(5)
	v_lshlrev_b32_e32 v53, 16, v153
	s_waitcnt vmcnt(4)
	v_lshlrev_b32_e32 v52, 16, v154
	v_pk_add_f32 v[52:53], v[52:53], v[54:55] neg_lo:[0,1] neg_hi:[0,1]
	v_pk_mul_f32 v[50:51], v[58:59], v[50:51]
	v_pk_mul_f32 v[52:53], v[60:61], v[52:53]
	v_accvgpr_read_b32 v55, a1
	v_perm_b32 v53, v53, v52, s3
	v_perm_b32 v52, v51, v50, s3
	s_waitcnt vmcnt(3)
	v_lshlrev_b32_e32 v51, 16, v140
	s_waitcnt vmcnt(2)
	v_lshlrev_b32_e32 v50, 16, v141
	v_accvgpr_read_b32 v54, a0
	v_pk_add_f32 v[50:51], v[50:51], v[54:55] neg_lo:[0,1] neg_hi:[0,1]
	s_waitcnt vmcnt(1)
	v_lshlrev_b32_e32 v55, 16, v155
	s_waitcnt vmcnt(0)
	v_lshlrev_b32_e32 v54, 16, v156
	v_pk_add_f32 v[54:55], v[54:55], v[56:57] neg_lo:[0,1] neg_hi:[0,1]
	v_pk_mul_f32 v[50:51], v[58:59], v[50:51]
	v_pk_mul_f32 v[54:55], v[60:61], v[54:55]
	v_mov_b32_e32 v56, 0
	v_perm_b32 v55, v55, v54, s3
	v_perm_b32 v54, v51, v50, s3
	ds_write2_b64 v87, v[52:53], v[54:55] offset0:32 offset1:48
	v_mov_b32_e32 v50, 0
	v_mov_b32_e32 v51, 0
	;; [unrolled: 1-line block ×15, first 2 shown]
	s_cbranch_vccnz .LBB254_14
; %bb.13:                               ;   in Loop: Header=BB254_6 Depth=1
	s_and_b32 s25, s25, 0xffff
	s_mov_b32 s27, s23
	buffer_load_dwordx4 v[62:65], v124, s[24:27], 0 offen
	buffer_load_dwordx4 v[54:57], v124, s[24:27], s56 offen
	;; [unrolled: 1-line block ×4, first 2 shown]
	v_mov_b32_e32 v134, v81
	v_mov_b32_e32 v135, v80
.LBB254_14:                             ;   in Loop: Header=BB254_6 Depth=1
	s_waitcnt lgkmcnt(0)
	s_barrier
	ds_read_b64 v[144:145], v127
	ds_read2_b64 v[136:139], v117 offset1:16
	ds_read_b64 v[160:161], v128
	ds_read_b64 v[162:163], v129
	;; [unrolled: 1-line block ×3, first 2 shown]
	ds_read2_b64 v[140:143], v117 offset0:32 offset1:48
	s_waitcnt lgkmcnt(4)
	v_mfma_f32_16x16x16_bf16 a[0:3], v[144:145], v[136:137], 0
	ds_read2st64_b64 v[148:151], v119 offset0:4 offset1:8
	ds_read2st64_b64 v[152:155], v120 offset0:4 offset1:8
	;; [unrolled: 1-line block ×3, first 2 shown]
	v_mfma_f32_16x16x16_bf16 a[4:7], v[144:145], v[138:139], 0
	s_add_i32 s21, s50, s64
	s_mul_hi_i32 s25, s21, s13
	s_mul_i32 s21, s21, s13
	s_waitcnt lgkmcnt(3)
	v_mfma_f32_16x16x16_bf16 a[8:11], v[144:145], v[140:141], 0
	s_add_u32 s24, s21, s33
	s_addc_u32 s25, s25, s54
	s_lshl_b64 s[24:25], s[24:25], 15
	v_mfma_f32_16x16x16_bf16 a[12:15], v[144:145], v[142:143], 0
	ds_read2st64_b64 v[144:147], v117 offset0:4 offset1:8
	s_waitcnt lgkmcnt(0)
	v_mfma_f32_16x16x16_bf16 a[0:3], v[160:161], v[144:145], a[0:3]
	v_mfma_f32_16x16x16_bf16 a[4:7], v[160:161], v[148:149], a[4:7]
	;; [unrolled: 1-line block ×8, first 2 shown]
	ds_read_b64 v[160:161], v117 offset:6144
	ds_read_b64 v[162:163], v118 offset:40960
	;; [unrolled: 1-line block ×8, first 2 shown]
	s_waitcnt lgkmcnt(5)
	v_mfma_f32_16x16x16_bf16 a[16:19], v[166:167], v[136:137], 0
	v_mfma_f32_16x16x16_bf16 a[20:23], v[166:167], v[138:139], 0
	ds_read2st64_b64 v[136:139], v114 offset1:8
	v_mfma_f32_16x16x16_bf16 a[24:27], v[166:167], v[140:141], 0
	v_mfma_f32_16x16x16_bf16 a[28:31], v[166:167], v[142:143], 0
	ds_read2st64_b64 v[140:143], v115 offset1:8
	v_mfma_f32_16x16x16_bf16 a[16:19], v[162:163], v[144:145], a[16:19]
	s_waitcnt lgkmcnt(1)
	v_mov_b32_e32 v144, v136
	v_mov_b32_e32 v145, v137
	v_mfma_f32_16x16x16_bf16 a[20:23], v[162:163], v[148:149], a[20:23]
	v_lshl_add_u64 v[148:149], v[70:71], 0, s[24:25]
	v_mfma_f32_16x16x16_bf16 a[24:27], v[162:163], v[152:153], a[24:27]
	v_mfma_f32_16x16x16_bf16 a[28:31], v[162:163], v[156:157], a[28:31]
	v_mfma_f32_16x16x16_bf16 a[16:19], v[174:175], v[146:147], a[16:19]
	s_waitcnt lgkmcnt(0)
	v_mov_b32_e32 v146, v140
	v_mov_b32_e32 v147, v141
	v_mov_b32_e32 v140, v138
	v_mfma_f32_16x16x16_bf16 a[32:35], v[174:175], v[150:151], a[20:23]
	v_mov_b32_e32 v141, v139
	ds_read2st64_b64 v[136:139], v114 offset0:16 offset1:24
	global_store_dwordx4 v[148:149], v[144:147], off
	v_mfma_f32_16x16x16_bf16 a[24:27], v[174:175], v[154:155], a[24:27]
	ds_read2st64_b64 v[144:147], v115 offset0:16 offset1:24
	v_add_co_u32_e32 v150, vcc, s35, v148
	v_mfma_f32_16x16x16_bf16 a[28:31], v[174:175], v[158:159], a[28:31]
	s_nop 0
	v_addc_co_u32_e32 v151, vcc, 0, v149, vcc
	global_store_dwordx4 v[150:151], v[140:143], off offset:-4096
	v_mfma_f32_16x16x16_bf16 a[0:3], v[164:165], v[160:161], a[0:3]
	s_waitcnt lgkmcnt(1)
	v_mov_b32_e32 v140, v136
	v_add_co_u32_e32 v136, vcc, s62, v148
	v_mfma_f32_16x16x16_bf16 a[4:7], v[164:165], v[168:169], a[4:7]
	v_mov_b32_e32 v141, v137
	v_addc_co_u32_e32 v137, vcc, 0, v149, vcc
	v_mfma_f32_16x16x16_bf16 a[8:11], v[164:165], v[170:171], a[8:11]
	s_waitcnt lgkmcnt(0)
	v_mov_b32_e32 v142, v144
	v_mov_b32_e32 v143, v145
	;; [unrolled: 1-line block ×3, first 2 shown]
	v_mfma_f32_16x16x16_bf16 a[12:15], v[164:165], v[172:173], a[12:15]
	v_mov_b32_e32 v145, v139
	s_and_b64 vcc, exec, s[0:1]
	global_store_dwordx4 v[150:151], v[140:143], off
	v_mfma_f32_16x16x16_bf16 a[20:23], v[176:177], v[160:161], a[16:19]
	global_store_dwordx4 v[136:137], v[144:147], off
	v_mfma_f32_16x16x16_bf16 a[16:19], v[176:177], v[168:169], a[32:35]
	v_mfma_f32_16x16x16_bf16 a[24:27], v[176:177], v[170:171], a[24:27]
	;; [unrolled: 1-line block ×3, first 2 shown]
	s_cbranch_vccnz .LBB254_16
; %bb.15:                               ;   in Loop: Header=BB254_6 Depth=1
	v_lshrrev_b32_e32 v136, 3, v134
	v_and_b32_e32 v136, 6, v136
	v_xor_b32_e32 v135, v136, v135
	v_lshlrev_b32_e32 v135, 2, v135
	v_and_b32_e32 v134, 8, v134
	v_xor_b32_e32 v137, 0x440, v135
	v_cmp_eq_u32_e32 vcc, 0, v134
	s_barrier
	s_nop 0
	v_cndmask_b32_e32 v134, v137, v135, vcc
	v_lshl_or_b32 v134, v136, 10, v134
	s_waitcnt vmcnt(5)
	v_perm_b32 v135, v62, v58, s58
	s_waitcnt vmcnt(4)
	v_perm_b32 v136, v54, v50, s58
	ds_write2st64_b32 v134, v135, v136 offset0:128 offset1:160
	v_xor_b32_e32 v135, 8, v134
	v_perm_b32 v58, v62, v58, s59
	v_perm_b32 v50, v54, v50, s59
	v_add_u32_e32 v54, 0x80, v135
	ds_write2st64_b32 v54, v58, v50 offset0:128 offset1:160
	v_xor_b32_e32 v50, 16, v134
	v_perm_b32 v54, v63, v59, s58
	v_perm_b32 v58, v55, v51, s58
	ds_write2st64_b32 v50, v54, v58 offset0:129 offset1:161
	v_xor_b32_e32 v50, 24, v134
	v_perm_b32 v54, v63, v59, s59
	v_perm_b32 v51, v55, v51, s59
	v_add_u32_e32 v50, 0x80, v50
	ds_write2st64_b32 v50, v54, v51 offset0:129 offset1:161
	v_xor_b32_e32 v50, 32, v134
	v_perm_b32 v51, v64, v60, s58
	;; [unrolled: 9-line block ×3, first 2 shown]
	v_perm_b32 v52, v57, v53, s58
	ds_write2st64_b32 v50, v51, v52 offset0:131 offset1:163
	v_xor_b32_e32 v50, 56, v134
	v_perm_b32 v51, v65, v61, s59
	v_perm_b32 v52, v57, v53, s59
	v_add_u32_e32 v50, 0x80, v50
	ds_write2st64_b32 v50, v51, v52 offset0:131 offset1:163
	ds_write_b64 v133, v[46:47] offset:49152
	v_xor_b32_e32 v46, 8, v133
	ds_write_b64 v46, v[48:49] offset:49152
	ds_write_b64 v133, v[42:43] offset:57344
	;; [unrolled: 1-line block ×4, first 2 shown]
	v_xor_b32_e32 v38, 8, v132
	ds_write_b64 v38, v[40:41] offset:49152
	ds_write_b64 v132, v[34:35] offset:57344
	;; [unrolled: 1-line block ×3, first 2 shown]
.LBB254_16:                             ;   in Loop: Header=BB254_6 Depth=1
	s_waitcnt vmcnt(6)
	v_mul_f32_e32 v54, s20, v131
	v_exp_f32_e32 v132, v54
	v_accvgpr_read_b32 v37, a3
	v_accvgpr_read_b32 v41, a7
	;; [unrolled: 1-line block ×4, first 2 shown]
	s_waitcnt vmcnt(4)
	v_accvgpr_read_b32 v53, a23
	v_accvgpr_read_b32 v57, a19
	;; [unrolled: 1-line block ×28, first 2 shown]
	s_add_i32 s57, s57, 64
	v_pk_fma_f32 v[30:31], v[132:133], v[30:31], v[34:35] op_sel_hi:[0,1,1]
	v_pk_fma_f32 v[32:33], v[132:133], v[32:33], v[36:37] op_sel_hi:[0,1,1]
	;; [unrolled: 1-line block ×15, first 2 shown]
	s_cmp_eq_u32 s48, s63
	v_pk_fma_f32 v[8:9], v[132:133], v[8:9], v[64:65] op_sel_hi:[0,1,1]
	s_cbranch_scc1 .LBB254_18
; %bb.17:                               ;   in Loop: Header=BB254_6 Depth=1
	s_mov_b32 s64, s63
	s_branch .LBB254_6
.LBB254_18:
	s_lshl_b32 s42, s48, 6
	s_sub_i32 s43, s12, s42
	s_cmp_gt_i32 s43, 0
	v_or_b32_e32 v50, s2, v76
	s_cbranch_scc1 .LBB254_20
; %bb.19:
	s_ashr_i32 s0, s33, 31
	s_add_u32 s24, s45, s33
	s_addc_u32 s25, s51, s0
	v_or_b32_e32 v34, s2, v76
	s_cbranch_execz .LBB254_21
	s_branch .LBB254_101
.LBB254_20:
                                        ; implicit-def: $sgpr24_sgpr25
                                        ; implicit-def: $vgpr34
.LBB254_21:
	s_ashr_i32 s35, s47, 31
	s_ashr_i32 s3, s42, 31
	s_cmpk_lg_i32 s15, 0x80
	s_cselect_b64 s[38:39], -1, 0
	s_and_b64 vcc, exec, s[38:39]
	s_cbranch_vccz .LBB254_23
; %bb.22:
	s_mul_i32 s1, s47, s12
	s_mul_hi_i32 s0, s47, s12
	s_add_u32 s1, s1, s42
	s_addc_u32 s0, s0, s3
	s_mul_i32 s20, s1, s49
	s_mul_hi_u32 s21, s1, s14
	s_add_i32 s20, s21, s20
	s_mul_i32 s0, s0, s14
	s_add_i32 s20, s20, s0
	s_mul_i32 s1, s1, s14
	s_ashr_i32 s0, s52, 31
	s_add_u32 s40, s1, s52
	s_addc_u32 s41, s20, s0
	s_cbranch_execz .LBB254_24
	s_branch .LBB254_25
.LBB254_23:
                                        ; implicit-def: $sgpr40_sgpr41
.LBB254_24:
	s_mul_hi_i32 s0, s47, s14
	s_mul_i32 s47, s47, s14
	s_ashr_i32 s1, s52, 31
	s_add_u32 s14, s47, s52
	s_addc_u32 s0, s0, s1
	s_mul_i32 s1, s14, s46
	s_mul_hi_u32 s20, s14, s12
	s_add_i32 s1, s20, s1
	s_mul_i32 s0, s0, s12
	s_add_i32 s1, s1, s0
	s_mul_i32 s14, s14, s12
	s_add_u32 s40, s14, s42
	s_addc_u32 s41, s1, s3
.LBB254_25:
	s_add_i32 s20, s50, s48
	s_ashr_i32 s14, s33, 31
	s_add_u32 s24, s45, s33
	s_addc_u32 s25, s51, s14
	s_mul_i32 s0, s24, s46
	s_mul_hi_u32 s1, s24, s12
	s_add_i32 s0, s1, s0
	s_mul_i32 s1, s25, s12
	s_add_i32 s1, s0, s1
	s_mul_i32 s0, s24, s12
	s_add_u32 s0, s0, s42
	v_lshlrev_b32_e32 v38, 6, v1
	v_lshlrev_b32_e32 v58, 2, v76
	s_addc_u32 s1, s1, s3
	s_mov_b32 s3, 0x7060302
	v_or_b32_e32 v41, v38, v58
	v_xor_b32_e32 v39, v1, v58
	v_perm_b32 v35, v33, v32, s3
	v_perm_b32 v34, v31, v30, s3
	;; [unrolled: 1-line block ×4, first 2 shown]
	v_lshlrev_b32_e32 v41, 1, v41
	v_xor_b32_e32 v40, v79, v58
	ds_write2st64_b64 v41, v[34:35], v[36:37] offset0:32 offset1:48
	v_lshlrev_b32_e32 v39, 1, v39
	v_lshlrev_b32_e32 v41, 8, v76
	v_or_b32_e32 v42, v39, v41
	v_lshlrev_b32_e32 v40, 1, v40
	ds_write_b64 v42, v[34:35]
	v_or_b32_e32 v34, v40, v41
	v_or_b32_e32 v41, 16, v76
	v_lshlrev_b32_e32 v57, 2, v41
	v_or_b32_e32 v42, v38, v57
	ds_write_b64 v34, v[36:37]
	v_perm_b32 v35, v25, v24, s3
	v_perm_b32 v34, v23, v22, s3
	;; [unrolled: 1-line block ×4, first 2 shown]
	v_lshlrev_b32_e32 v42, 1, v42
	v_lshlrev_b32_e32 v41, 8, v41
	ds_write2st64_b64 v42, v[34:35], v[36:37] offset0:32 offset1:48
	v_or_b32_e32 v42, v39, v41
	ds_write_b64 v42, v[34:35]
	v_or_b32_e32 v34, v40, v41
	v_or_b32_e32 v41, 32, v76
	v_lshlrev_b32_e32 v56, 2, v41
	v_or_b32_e32 v42, v38, v56
	ds_write_b64 v34, v[36:37]
	v_perm_b32 v35, v17, v16, s3
	v_perm_b32 v34, v15, v14, s3
	;; [unrolled: 1-line block ×4, first 2 shown]
	v_lshlrev_b32_e32 v42, 1, v42
	v_lshlrev_b32_e32 v41, 8, v41
	s_lshl_b64 s[26:27], s[0:1], 8
	ds_write2st64_b64 v42, v[34:35], v[36:37] offset0:32 offset1:48
	v_or_b32_e32 v42, v39, v41
	s_add_u32 s0, s6, s26
	ds_write_b64 v42, v[34:35]
	v_or_b32_e32 v34, v40, v41
	s_addc_u32 s1, s7, s27
	ds_write_b64 v34, v[36:37]
	v_perm_b32 v35, v5, v4, s3
	v_perm_b32 v34, v3, v2, s3
	;; [unrolled: 1-line block ×4, first 2 shown]
	v_or_b32_e32 v41, 48, v76
	s_mul_hi_i32 s3, s20, s13
	s_mul_i32 s20, s20, s13
	v_lshlrev_b32_e32 v53, 2, v41
	s_add_u32 s6, s20, s33
	v_or_b32_e32 v38, v38, v53
	s_addc_u32 s7, s3, s14
	v_lshlrev_b32_e32 v38, 1, v38
	s_ashr_i32 s3, s2, 31
	s_lshl_b64 s[6:7], s[6:7], 15
	ds_write2st64_b64 v38, v[34:35], v[36:37] offset0:32 offset1:48
	v_lshlrev_b32_e32 v38, 8, v41
	s_waitcnt lgkmcnt(0)
	s_add_u32 s6, s36, s6
	v_or_b32_e32 v39, v39, v38
	s_addc_u32 s7, s37, s7
	s_lshl_b64 s[2:3], s[2:3], 8
	ds_write_b64 v39, v[34:35]
	v_or_b32_e32 v34, v40, v38
	s_add_u32 s2, s6, s2
	v_lshlrev_b32_e32 v35, 1, v76
	ds_write_b64 v34, v[36:37]
	v_lshrrev_b32_e32 v34, 4, v0
	s_addc_u32 s3, s7, s3
	v_or_b32_e32 v36, 1, v35
	v_lshlrev_b32_e32 v42, 4, v76
	v_mov_b32_e32 v43, 0
	v_xor_b32_e32 v35, v34, v35
	v_xor_b32_e32 v38, v36, v34
	v_lshl_add_u64 v[44:45], s[2:3], 0, v[42:43]
	v_lshlrev_b32_e32 v42, 8, v34
	v_lshl_or_b32 v48, v35, 3, v42
	v_lshl_or_b32 v49, v38, 3, v42
	s_waitcnt lgkmcnt(0)
	s_barrier
	ds_read2st64_b64 v[34:37], v48 offset1:8
	ds_read2st64_b64 v[38:41], v49 offset1:8
	v_lshl_add_u64 v[46:47], v[44:45], 0, v[42:43]
	s_movk_i32 s2, 0x2000
	s_cmp_lg_u32 s43, 64
	s_waitcnt lgkmcnt(1)
	v_mov_b32_e32 v42, v34
	v_mov_b32_e32 v43, v35
	s_waitcnt lgkmcnt(0)
	v_mov_b32_e32 v44, v38
	v_mov_b32_e32 v45, v39
	global_store_dwordx4 v[46:47], v[42:45], off
	v_mov_b32_e32 v38, v36
	v_mov_b32_e32 v39, v37
	ds_read2st64_b64 v[34:37], v48 offset0:16 offset1:24
	ds_read2st64_b64 v[42:45], v49 offset0:16 offset1:24
	v_add_co_u32_e32 v48, vcc, s2, v46
	s_cselect_b64 s[6:7], -1, 0
	s_nop 0
	v_addc_co_u32_e32 v49, vcc, 0, v47, vcc
	global_store_dwordx4 v[48:49], v[38:41], off offset:-4096
	v_lshl_or_b32 v51, v72, 3, v78
	s_mov_b32 s20, 0
	s_waitcnt lgkmcnt(1)
	v_mov_b32_e32 v38, v34
	v_add_co_u32_e32 v34, vcc, 0x3000, v46
	v_mov_b32_e32 v39, v35
	s_nop 0
	v_addc_co_u32_e32 v35, vcc, 0, v47, vcc
	s_waitcnt lgkmcnt(0)
	v_mov_b32_e32 v40, v42
	v_mov_b32_e32 v41, v43
	;; [unrolled: 1-line block ×4, first 2 shown]
	v_or_b32_e32 v54, 32, v51
	v_and_b32_e32 v52, 56, v77
	s_and_b64 vcc, exec, s[6:7]
	global_store_dwordx4 v[48:49], v[38:41], off
	global_store_dwordx4 v[34:35], v[42:45], off
	s_cbranch_vccz .LBB254_31
; %bb.26:
	s_mov_b32 s22, s20
	s_mov_b32 s23, s20
	;; [unrolled: 1-line block ×3, first 2 shown]
	v_mov_b64_e32 v[40:41], s[22:23]
	v_mov_b64_e32 v[38:39], s[20:21]
	v_mov_b64_e32 v[34:35], v[38:39]
	v_cmp_gt_i32_e32 vcc, s43, v51
	v_mov_b64_e32 v[36:37], v[40:41]
	s_and_saveexec_b64 s[2:3], vcc
	s_cbranch_execz .LBB254_28
; %bb.27:
	v_lshlrev_b32_e32 v34, 8, v51
	v_mov_b32_e32 v35, 0
	v_lshl_add_u64 v[36:37], s[0:1], 0, v[34:35]
	v_lshlrev_b32_e32 v34, 1, v52
	v_lshl_add_u64 v[42:43], v[36:37], 0, v[34:35]
	global_load_dwordx4 v[38:41], v[42:43], off
	global_load_dwordx4 v[34:37], v[42:43], off offset:128
.LBB254_28:
	s_or_b64 exec, exec, s[2:3]
	s_mov_b32 s22, s20
	s_mov_b32 s23, s20
	;; [unrolled: 1-line block ×3, first 2 shown]
	v_mov_b64_e32 v[48:49], s[22:23]
	v_mov_b64_e32 v[46:47], s[20:21]
	v_mov_b64_e32 v[42:43], v[46:47]
	v_cmp_gt_i32_e32 vcc, s43, v54
	v_lshlrev_b32_e32 v55, 7, v54
	v_mov_b64_e32 v[44:45], v[48:49]
	s_and_saveexec_b64 s[2:3], vcc
	s_cbranch_execz .LBB254_30
; %bb.29:
	v_lshlrev_b32_e32 v42, 1, v55
	v_mov_b32_e32 v43, 0
	v_lshl_add_u64 v[44:45], s[0:1], 0, v[42:43]
	v_lshlrev_b32_e32 v42, 1, v52
	v_lshl_add_u64 v[60:61], v[44:45], 0, v[42:43]
	global_load_dwordx4 v[46:49], v[60:61], off
	global_load_dwordx4 v[42:45], v[60:61], off offset:128
.LBB254_30:
	s_or_b64 exec, exec, s[2:3]
	v_lshrrev_b32_e32 v59, 3, v52
	v_lshlrev_b32_e32 v60, 3, v51
	v_or_b32_e32 v59, v60, v59
	v_lshlrev_b32_e32 v59, 4, v59
	v_and_b32_e32 v60, 0x78, v60
	v_xor_b32_e32 v59, v59, v60
	s_branch .LBB254_33
.LBB254_31:
                                        ; implicit-def: $vgpr59
                                        ; implicit-def: $vgpr55
                                        ; implicit-def: $vgpr38_vgpr39_vgpr40_vgpr41
                                        ; implicit-def: $vgpr34_vgpr35_vgpr36_vgpr37
                                        ; implicit-def: $vgpr46_vgpr47_vgpr48_vgpr49
                                        ; implicit-def: $vgpr42_vgpr43_vgpr44_vgpr45
	s_cbranch_execz .LBB254_33
; %bb.32:
	s_waitcnt vmcnt(0)
	v_lshlrev_b32_e32 v34, 1, v52
	v_lshl_or_b32 v55, v51, 8, v34
	s_and_b32 s1, s1, 0xffff
	s_mov_b32 s3, 0x20000
	s_movk_i32 s2, 0x4000
	v_lshl_or_b32 v59, v54, 8, v34
	s_movk_i32 s13, 0x80
	buffer_load_dwordx4 v[38:41], v55, s[0:3], 0 offen
	buffer_load_dwordx4 v[34:37], v55, s[0:3], s13 offen
	;; [unrolled: 1-line block ×4, first 2 shown]
	v_lshrrev_b32_e32 v55, 3, v52
	v_lshlrev_b32_e32 v59, 3, v51
	v_or_b32_e32 v55, v59, v55
	v_lshlrev_b32_e32 v55, 4, v55
	v_and_b32_e32 v59, 0x78, v59
	v_xor_b32_e32 v59, v55, v59
	v_lshlrev_b32_e32 v55, 7, v54
.LBB254_33:
	s_movk_i32 s0, 0x1000
	v_and_or_b32 v54, v55, s0, v59
	s_waitcnt vmcnt(1)
	ds_write_b64 v59, v[38:39] offset:49152
	v_xor_b32_e32 v38, 8, v59
	ds_write_b64 v38, v[40:41] offset:49152
	s_waitcnt vmcnt(0)
	ds_write_b64 v59, v[34:35] offset:57344
	ds_write_b64 v38, v[36:37] offset:57344
	;; [unrolled: 1-line block ×3, first 2 shown]
	v_xor_b32_e32 v34, 8, v54
	ds_write_b64 v34, v[48:49] offset:49152
	ds_write_b64 v54, v[42:43] offset:57344
	;; [unrolled: 1-line block ×3, first 2 shown]
	v_or_b32_e32 v34, v73, v76
	v_lshlrev_b32_e32 v34, 3, v34
	v_lshrrev_b32_e32 v35, 5, v74
	s_movk_i32 s0, 0xf8
	v_and_or_b32 v35, v34, s0, v35
	v_lshlrev_b32_e32 v39, 4, v35
	v_lshlrev_b32_e32 v59, 11, v72
	v_and_b32_e32 v40, 0x78, v34
	v_or_b32_e32 v42, 32, v39
	v_and_b32_e32 v38, 0x1000, v59
	v_lshrrev_b32_e32 v35, 1, v74
	v_xor_b32_e32 v42, v42, v40
	v_xor_b32_e32 v34, v39, v40
	v_and_b32_e32 v41, 8, v35
	v_or_b32_e32 v42, v42, v38
	v_or_b32_e32 v34, v34, v38
	v_xor_b32_e32 v65, v42, v41
	v_or_b32_e32 v42, 64, v39
	v_xor_b32_e32 v64, v34, v41
	v_xor_b32_e32 v42, v42, v40
	s_waitcnt lgkmcnt(0)
	s_barrier
	v_or_b32_e32 v45, v42, v38
	ds_read_b64 v[42:43], v64 offset:49152
	v_lshl_or_b32 v46, v75, 8, v58
	v_lshlrev_b32_e32 v60, 1, v46
	v_add_u32_e32 v44, 0x4000, v60
	ds_read2_b64 v[34:37], v44 offset1:16
	v_or_b32_e32 v39, 0x60, v39
	v_xor_b32_e32 v39, v39, v40
	v_or_b32_e32 v38, v39, v38
	v_xor_b32_e32 v66, v45, v41
	v_xor_b32_e32 v67, v38, v41
	ds_read_b64 v[54:55], v65 offset:49152
	ds_read_b64 v[68:69], v66 offset:49152
	;; [unrolled: 1-line block ×3, first 2 shown]
	s_waitcnt lgkmcnt(3)
	v_mfma_f32_16x16x16_bf16 a[0:3], v[42:43], v[34:35], 0
	ds_read2_b64 v[38:41], v44 offset0:32 offset1:48
	s_lshl_b64 s[0:1], s[40:41], 8
	s_add_u32 s4, s4, s0
	v_mfma_f32_16x16x16_bf16 a[4:7], v[42:43], v[36:37], 0
	ds_read2st64_b64 v[34:37], v60 offset0:36 offset1:40
	s_addc_u32 s5, s5, s1
	s_add_i32 s2, s12, -1
	s_waitcnt lgkmcnt(1)
	v_mfma_f32_16x16x16_bf16 a[8:11], v[42:43], v[38:39], 0
	v_or_b32_e32 v38, 64, v46
	v_lshlrev_b32_e32 v61, 1, v38
	s_add_i32 s0, s44, s17
	s_waitcnt lgkmcnt(0)
	v_mfma_f32_16x16x16_bf16 a[0:3], v[54:55], v[34:35], a[0:3]
	v_or_b32_e32 v34, 0x80, v46
	v_lshlrev_b32_e32 v62, 1, v34
	v_or_b32_e32 v34, 0xc0, v46
	v_mfma_f32_16x16x16_bf16 a[12:15], v[42:43], v[40:41], 0
	ds_read2st64_b64 v[38:41], v61 offset0:36 offset1:40
	v_lshlrev_b32_e32 v63, 1, v34
	ds_read2st64_b64 v[42:45], v62 offset0:36 offset1:40
	ds_read2st64_b64 v[46:49], v63 offset0:36 offset1:40
	s_mul_i32 s35, s35, s16
	s_add_i32 s35, s0, s35
	s_mul_i32 s0, s33, s19
	s_mul_hi_u32 s1, s33, s18
	s_ashr_i32 s3, s2, 31
	s_mul_i32 s12, s2, s31
	s_mul_hi_u32 s13, s2, s30
	s_waitcnt lgkmcnt(2)
	v_mfma_f32_16x16x16_bf16 a[4:7], v[54:55], v[38:39], a[4:7]
	s_add_i32 s0, s1, s0
	s_mul_i32 s1, s14, s18
	s_add_i32 s12, s13, s12
	s_mul_i32 s3, s3, s30
	s_waitcnt lgkmcnt(1)
	v_mfma_f32_16x16x16_bf16 a[8:11], v[54:55], v[42:43], a[8:11]
	s_add_i32 s1, s0, s1
	s_add_i32 s3, s12, s3
	s_lshl_b64 s[12:13], s[34:35], 2
	s_waitcnt lgkmcnt(0)
	v_mfma_f32_16x16x16_bf16 a[12:15], v[54:55], v[46:47], a[12:15]
	s_mul_i32 s0, s33, s18
	s_add_u32 s10, s10, s12
	s_addc_u32 s11, s11, s13
	s_lshl_b64 s[0:1], s[0:1], 2
	v_mfma_f32_16x16x16_bf16 a[0:3], v[68:69], v[36:37], a[0:3]
	s_mul_i32 s2, s2, s30
	ds_read_b64 v[34:35], v60 offset:22528
	s_add_u32 s10, s10, s0
	v_mfma_f32_16x16x16_bf16 a[4:7], v[68:69], v[40:41], a[4:7]
	ds_read_b64 v[36:37], v61 offset:22528
	ds_read_b64 v[38:39], v62 offset:22528
	;; [unrolled: 1-line block ×3, first 2 shown]
	s_addc_u32 s11, s11, s1
	s_lshl_b64 s[0:1], s[2:3], 2
	v_mfma_f32_16x16x16_bf16 a[8:11], v[68:69], v[44:45], a[8:11]
	s_add_u32 s0, s10, s0
	s_addc_u32 s1, s11, s1
	s_load_dword s12, s[0:1], 0x0
	v_mfma_f32_16x16x16_bf16 a[12:15], v[68:69], v[48:49], a[12:15]
	s_and_b64 vcc, exec, s[38:39]
	s_waitcnt lgkmcnt(0)
	v_mfma_f32_16x16x16_bf16 a[0:3], v[70:71], v[34:35], a[0:3]
	v_mfma_f32_16x16x16_bf16 a[4:7], v[70:71], v[36:37], a[4:7]
	;; [unrolled: 1-line block ×4, first 2 shown]
	s_cbranch_vccz .LBB254_44
; %bb.34:
	v_lshlrev_b32_e32 v54, 1, v51
	s_and_b64 vcc, exec, s[6:7]
	s_cbranch_vccz .LBB254_45
; %bb.35:
	v_cmp_gt_i32_e32 vcc, s43, v54
	v_mov_b32_e32 v38, 0
	v_mov_b32_e32 v34, 0
	;; [unrolled: 1-line block ×5, first 2 shown]
	s_and_saveexec_b64 s[0:1], vcc
	s_cbranch_execz .LBB254_37
; %bb.36:
	v_mad_i64_i32 v[34:35], s[2:3], s15, v54, 0
	v_lshl_add_u64 v[34:35], v[34:35], 1, s[4:5]
	v_lshlrev_b32_e32 v36, 1, v52
	v_mov_b32_e32 v37, 0
	v_lshl_add_u64 v[34:35], v[34:35], 0, v[36:37]
	global_load_dwordx4 v[34:37], v[34:35], off
.LBB254_37:
	s_or_b64 exec, exec, s[0:1]
	v_or_b32_e32 v55, 1, v54
	v_cmp_gt_i32_e64 s[0:1], s43, v55
	v_mov_b32_e32 v39, 0
	v_mov_b32_e32 v40, 0
	;; [unrolled: 1-line block ×3, first 2 shown]
	s_and_saveexec_b64 s[2:3], s[0:1]
	s_cbranch_execz .LBB254_39
; %bb.38:
	v_mad_i64_i32 v[38:39], s[16:17], s15, v55, 0
	v_lshl_add_u64 v[38:39], v[38:39], 1, s[4:5]
	v_lshlrev_b32_e32 v40, 1, v52
	v_mov_b32_e32 v41, 0
	v_lshl_add_u64 v[38:39], v[38:39], 0, v[40:41]
	global_load_dwordx4 v[38:41], v[38:39], off
.LBB254_39:
	s_or_b64 exec, exec, s[2:3]
	v_mov_b32_e32 v49, 0
	v_mov_b32_e32 v42, 0
	;; [unrolled: 1-line block ×5, first 2 shown]
	s_and_saveexec_b64 s[2:3], vcc
	s_cbranch_execz .LBB254_41
; %bb.40:
	v_mad_i64_i32 v[42:43], s[16:17], s15, v54, 0
	v_lshl_add_u64 v[42:43], v[42:43], 1, s[4:5]
	v_lshlrev_b32_e32 v44, 1, v52
	v_mov_b32_e32 v45, 0
	v_lshl_add_u64 v[42:43], v[42:43], 0, v[44:45]
	global_load_dwordx4 v[42:45], v[42:43], off offset:128
.LBB254_41:
	s_or_b64 exec, exec, s[2:3]
	v_mov_b32_e32 v48, 0
	v_mov_b32_e32 v47, 0
	;; [unrolled: 1-line block ×3, first 2 shown]
	s_and_saveexec_b64 s[2:3], s[0:1]
	s_cbranch_execz .LBB254_43
; %bb.42:
	v_mad_i64_i32 v[46:47], s[0:1], s15, v55, 0
	v_lshl_add_u64 v[46:47], v[46:47], 1, s[4:5]
	v_lshlrev_b32_e32 v48, 1, v52
	v_mov_b32_e32 v49, 0
	v_lshl_add_u64 v[46:47], v[46:47], 0, v[48:49]
	global_load_dwordx4 v[46:49], v[46:47], off offset:128
.LBB254_43:
	s_or_b64 exec, exec, s[2:3]
	s_branch .LBB254_47
.LBB254_44:
                                        ; implicit-def: $vgpr37
                                        ; implicit-def: $vgpr41
                                        ; implicit-def: $vgpr45
                                        ; implicit-def: $vgpr49
	v_lshrrev_b32_e32 v68, 2, v74
	s_branch .LBB254_48
.LBB254_45:
                                        ; implicit-def: $vgpr37
                                        ; implicit-def: $vgpr41
                                        ; implicit-def: $vgpr45
                                        ; implicit-def: $vgpr49
	s_cbranch_execz .LBB254_47
; %bb.46:
	s_waitcnt vmcnt(0)
	v_mad_u64_u32 v[34:35], s[0:1], v54, s15, v[52:53]
	v_lshlrev_b32_e32 v54, 1, v34
	s_lshl_b32 s2, s15, 7
	s_and_b32 s1, s5, 0xffff
	s_mov_b32 s3, 0x20000
	s_mov_b32 s0, s4
	v_add_lshl_u32 v55, v34, s15, 1
	s_movk_i32 s13, 0x80
	buffer_load_dwordx4 v[34:37], v54, s[0:3], 0 offen
	buffer_load_dwordx4 v[42:45], v54, s[0:3], s13 offen
	;; [unrolled: 1-line block ×4, first 2 shown]
.LBB254_47:
	v_lshrrev_b32_e32 v68, 2, v74
	s_cbranch_execnz .LBB254_60
.LBB254_48:
	s_and_b64 vcc, exec, s[6:7]
	s_cbranch_vccz .LBB254_58
; %bb.49:
	s_waitcnt vmcnt(0)
	v_lshlrev_b32_e32 v39, 1, v51
	v_cmp_gt_i32_e32 vcc, s43, v39
	v_mov_b32_e32 v38, 0
	v_lshlrev_b32_e32 v46, 9, v51
	v_mov_b32_e32 v34, 0
	v_mov_b32_e32 v35, 0
	;; [unrolled: 1-line block ×4, first 2 shown]
	s_and_saveexec_b64 s[0:1], vcc
	s_cbranch_execz .LBB254_51
; %bb.50:
	v_mov_b32_e32 v47, 0
	v_lshl_add_u64 v[34:35], s[4:5], 0, v[46:47]
	v_lshlrev_b32_e32 v36, 1, v52
	v_mov_b32_e32 v37, v47
	v_lshl_add_u64 v[34:35], v[34:35], 0, v[36:37]
	global_load_dwordx4 v[34:37], v[34:35], off
.LBB254_51:
	s_or_b64 exec, exec, s[0:1]
	v_or_b32_e32 v39, 1, v39
	v_cmp_gt_i32_e64 s[0:1], s43, v39
	v_lshlrev_b32_e32 v54, 8, v39
	v_mov_b32_e32 v39, 0
	v_mov_b32_e32 v40, 0
	;; [unrolled: 1-line block ×3, first 2 shown]
	s_and_saveexec_b64 s[2:3], s[0:1]
	s_cbranch_execz .LBB254_53
; %bb.52:
	v_mov_b32_e32 v55, 0
	v_lshl_add_u64 v[38:39], s[4:5], 0, v[54:55]
	v_lshlrev_b32_e32 v40, 1, v52
	v_mov_b32_e32 v41, v55
	v_lshl_add_u64 v[38:39], v[38:39], 0, v[40:41]
	global_load_dwordx4 v[38:41], v[38:39], off
.LBB254_53:
	s_or_b64 exec, exec, s[2:3]
	v_mov_b32_e32 v49, 0
	v_mov_b32_e32 v42, 0
	;; [unrolled: 1-line block ×5, first 2 shown]
	s_and_saveexec_b64 s[2:3], vcc
	s_cbranch_execz .LBB254_55
; %bb.54:
	v_mov_b32_e32 v47, 0
	v_lshl_add_u64 v[42:43], s[4:5], 0, v[46:47]
	v_lshlrev_b32_e32 v46, 1, v52
	v_lshl_add_u64 v[42:43], v[42:43], 0, v[46:47]
	global_load_dwordx4 v[42:45], v[42:43], off offset:128
.LBB254_55:
	s_or_b64 exec, exec, s[2:3]
	v_mov_b32_e32 v48, 0
	v_mov_b32_e32 v47, 0
	;; [unrolled: 1-line block ×3, first 2 shown]
	s_and_saveexec_b64 s[2:3], s[0:1]
	s_cbranch_execz .LBB254_57
; %bb.56:
	v_mov_b32_e32 v55, 0
	v_lshl_add_u64 v[46:47], s[4:5], 0, v[54:55]
	v_lshlrev_b32_e32 v54, 1, v52
	v_lshl_add_u64 v[46:47], v[46:47], 0, v[54:55]
	global_load_dwordx4 v[46:49], v[46:47], off offset:128
.LBB254_57:
	s_or_b64 exec, exec, s[2:3]
	s_branch .LBB254_60
.LBB254_58:
                                        ; implicit-def: $vgpr37
                                        ; implicit-def: $vgpr41
                                        ; implicit-def: $vgpr45
                                        ; implicit-def: $vgpr49
	s_cbranch_execz .LBB254_60
; %bb.59:
	s_waitcnt vmcnt(0)
	v_lshlrev_b32_e32 v34, 1, v52
	v_lshl_or_b32 v52, v51, 9, v34
	s_and_b32 s5, s5, 0xffff
	s_mov_b32 s7, 0x20000
	s_movk_i32 s6, 0x4000
	s_movk_i32 s0, 0x80
	buffer_load_dwordx4 v[34:37], v52, s[4:7], 0 offen
	buffer_load_dwordx4 v[38:41], v52, s[4:7], 0 offen offset:256
	buffer_load_dwordx4 v[42:45], v52, s[4:7], s0 offen
	buffer_load_dwordx4 v[46:49], v52, s[4:7], s0 offen offset:256
.LBB254_60:
	ds_read_b64 v[54:55], v64 offset:57344
	v_add_u32_e32 v52, 0x6000, v60
	ds_read2_b64 v[74:77], v52 offset1:16
	ds_read_b64 v[70:71], v65 offset:57344
	ds_read_b64 v[86:87], v66 offset:57344
	;; [unrolled: 1-line block ×3, first 2 shown]
	ds_read2_b64 v[64:67], v52 offset0:32 offset1:48
	v_and_b32_e32 v52, 6, v0
	v_xor_b32_e32 v51, v51, v52
	v_lshlrev_b32_e32 v51, 2, v51
	s_mov_b32 s0, 0x1000504
	s_mov_b32 s1, 0x3020706
	s_waitcnt lgkmcnt(4)
	v_mfma_f32_16x16x16_bf16 a[4:7], v[54:55], v[76:77], a[4:7]
	v_mfma_f32_16x16x16_bf16 a[0:3], v[54:55], v[74:75], a[0:3]
	ds_read2st64_b64 v[74:77], v60 offset0:52 offset1:56
	s_waitcnt lgkmcnt(1)
	v_mfma_f32_16x16x16_bf16 a[8:11], v[54:55], v[64:65], a[8:11]
	v_mfma_f32_16x16x16_bf16 a[12:15], v[54:55], v[66:67], a[12:15]
	ds_read2st64_b64 v[64:67], v61 offset0:52 offset1:56
	ds_read2st64_b64 v[78:81], v62 offset0:52 offset1:56
	;; [unrolled: 1-line block ×3, first 2 shown]
	s_waitcnt lgkmcnt(2)
	v_mfma_f32_16x16x16_bf16 a[4:7], v[70:71], v[64:65], a[4:7]
	v_and_b32_e32 v64, 1, v0
	v_xor_b32_e32 v65, 0x440, v51
	v_cmp_eq_u32_e32 vcc, 0, v64
	v_mfma_f32_16x16x16_bf16 a[0:3], v[70:71], v[74:75], a[0:3]
	s_waitcnt vmcnt(0)
	v_perm_b32 v64, v42, v46, s0
	v_cndmask_b32_e32 v51, v65, v51, vcc
	v_lshl_or_b32 v51, v52, 10, v51
	s_waitcnt lgkmcnt(1)
	v_mfma_f32_16x16x16_bf16 a[8:11], v[70:71], v[78:79], a[8:11]
	v_perm_b32 v52, v34, v38, s0
	ds_read_b64 v[54:55], v60 offset:30720
	ds_read_b64 v[74:75], v61 offset:30720
	;; [unrolled: 1-line block ×4, first 2 shown]
	ds_write2st64_b32 v51, v52, v64 offset0:128 offset1:160
	s_waitcnt lgkmcnt(5)
	v_mfma_f32_16x16x16_bf16 a[12:15], v[70:71], v[82:83], a[12:15]
	v_xor_b32_e32 v52, 8, v51
	v_perm_b32 v34, v34, v38, s1
	v_perm_b32 v38, v42, v46, s1
	v_add_u32_e32 v42, 0x80, v52
	ds_write2st64_b32 v42, v34, v38 offset0:128 offset1:160
	v_xor_b32_e32 v34, 16, v51
	v_perm_b32 v38, v35, v39, s0
	v_perm_b32 v42, v43, v47, s0
	v_mfma_f32_16x16x16_bf16 a[0:3], v[86:87], v[76:77], a[0:3]
	ds_write2st64_b32 v34, v38, v42 offset0:129 offset1:161
	v_xor_b32_e32 v34, 24, v51
	v_perm_b32 v35, v35, v39, s1
	v_mfma_f32_16x16x16_bf16 a[4:7], v[86:87], v[66:67], a[4:7]
	v_perm_b32 v38, v43, v47, s1
	v_add_u32_e32 v34, 0x80, v34
	ds_write2st64_b32 v34, v35, v38 offset0:129 offset1:161
	v_mfma_f32_16x16x16_bf16 a[16:19], v[86:87], v[80:81], a[8:11]
	v_xor_b32_e32 v34, 32, v51
	v_perm_b32 v35, v36, v40, s0
	v_perm_b32 v38, v44, v48, s0
	v_mfma_f32_16x16x16_bf16 a[20:23], v[86:87], v[84:85], a[12:15]
	ds_write2st64_b32 v34, v35, v38 offset0:130 offset1:162
	v_xor_b32_e32 v34, 40, v51
	v_perm_b32 v35, v36, v40, s1
	s_waitcnt lgkmcnt(8)
	v_mfma_f32_16x16x16_bf16 a[12:15], v[88:89], v[54:55], a[0:3]
	v_perm_b32 v36, v44, v48, s1
	v_add_u32_e32 v34, 0x80, v34
	ds_write2st64_b32 v34, v35, v36 offset0:130 offset1:162
	s_waitcnt lgkmcnt(8)
	v_mfma_f32_16x16x16_bf16 a[8:11], v[88:89], v[74:75], a[4:7]
	v_xor_b32_e32 v34, 48, v51
	v_perm_b32 v35, v37, v41, s0
	v_perm_b32 v36, v45, v49, s0
	s_waitcnt lgkmcnt(7)
	v_mfma_f32_16x16x16_bf16 a[4:7], v[88:89], v[90:91], a[16:19]
	ds_write2st64_b32 v34, v35, v36 offset0:131 offset1:163
	v_xor_b32_e32 v34, 56, v51
	v_and_or_b32 v55, v68, 12, v73
	s_waitcnt lgkmcnt(7)
	v_mfma_f32_16x16x16_bf16 a[0:3], v[88:89], v[92:93], a[20:23]
	v_perm_b32 v35, v37, v41, s1
	v_perm_b32 v36, v45, v49, s1
	v_add_u32_e32 v34, 0x80, v34
	v_cmp_gt_i32_e32 vcc, s43, v55
	v_mov_b32_e32 v48, 0
	v_mov_b32_e32 v52, 0
	ds_write2st64_b32 v34, v35, v36 offset0:131 offset1:163
	s_and_saveexec_b64 s[0:1], vcc
	s_cbranch_execz .LBB254_62
; %bb.61:
	v_add_u32_e32 v34, s42, v55
	v_ashrrev_i32_e32 v35, 31, v34
	v_mul_lo_u32 v36, v35, s30
	v_mul_lo_u32 v37, v34, s31
	v_mad_u64_u32 v[34:35], s[2:3], v34, s30, 0
	v_add3_u32 v35, v35, v37, v36
	v_lshl_add_u64 v[34:35], v[34:35], 2, s[10:11]
	global_load_dword v34, v[34:35], off
	s_waitcnt vmcnt(0)
	v_sub_f32_e32 v34, s12, v34
	v_mul_f32_e32 v34, 0x3fb8aa3b, v34
	v_exp_f32_e32 v52, v34
.LBB254_62:
	s_or_b64 exec, exec, s[0:1]
	v_or_b32_e32 v40, 1, v55
	v_cmp_gt_i32_e64 s[0:1], s43, v40
	s_and_saveexec_b64 s[2:3], s[0:1]
	s_cbranch_execz .LBB254_64
; %bb.63:
	v_add_u32_e32 v34, s42, v40
	v_ashrrev_i32_e32 v35, 31, v34
	v_mul_lo_u32 v36, v35, s30
	v_mul_lo_u32 v37, v34, s31
	v_mad_u64_u32 v[34:35], s[4:5], v34, s30, 0
	v_add3_u32 v35, v35, v37, v36
	v_lshl_add_u64 v[34:35], v[34:35], 2, s[10:11]
	global_load_dword v34, v[34:35], off
	s_waitcnt vmcnt(0)
	v_sub_f32_e32 v34, s12, v34
	v_mul_f32_e32 v34, 0x3fb8aa3b, v34
	v_exp_f32_e32 v48, v34
.LBB254_64:
	s_or_b64 exec, exec, s[2:3]
	v_or_b32_e32 v41, 2, v55
	v_cmp_gt_i32_e64 s[2:3], s43, v41
	v_mov_b32_e32 v49, 0
	v_mov_b32_e32 v54, 0
	s_and_saveexec_b64 s[4:5], s[2:3]
	s_cbranch_execz .LBB254_66
; %bb.65:
	v_add_u32_e32 v34, s42, v41
	v_ashrrev_i32_e32 v35, 31, v34
	v_mul_lo_u32 v36, v35, s30
	v_mul_lo_u32 v37, v34, s31
	v_mad_u64_u32 v[34:35], s[6:7], v34, s30, 0
	v_add3_u32 v35, v35, v37, v36
	v_lshl_add_u64 v[34:35], v[34:35], 2, s[10:11]
	global_load_dword v34, v[34:35], off
	s_waitcnt vmcnt(0)
	v_sub_f32_e32 v34, s12, v34
	v_mul_f32_e32 v34, 0x3fb8aa3b, v34
	v_exp_f32_e32 v54, v34
.LBB254_66:
	s_or_b64 exec, exec, s[4:5]
	v_or_b32_e32 v64, 3, v55
	v_cmp_gt_i32_e64 s[4:5], s43, v64
	s_and_saveexec_b64 s[6:7], s[4:5]
	s_cbranch_execz .LBB254_68
; %bb.67:
	v_add_u32_e32 v34, s42, v64
	v_ashrrev_i32_e32 v35, 31, v34
	v_mul_lo_u32 v36, v35, s30
	v_mul_lo_u32 v37, v34, s31
	v_mad_u64_u32 v[34:35], s[14:15], v34, s30, 0
	v_add3_u32 v35, v35, v37, v36
	v_lshl_add_u64 v[34:35], v[34:35], 2, s[10:11]
	global_load_dword v34, v[34:35], off
	s_waitcnt vmcnt(0)
	v_sub_f32_e32 v34, s12, v34
	v_mul_f32_e32 v34, 0x3fb8aa3b, v34
	v_exp_f32_e32 v49, v34
.LBB254_68:
	s_or_b64 exec, exec, s[6:7]
	s_add_u32 s6, s8, s26
	v_accvgpr_read_b32 v37, a15
	s_addc_u32 s7, s9, s27
	v_ashrrev_i32_e32 v51, 31, v50
	v_accvgpr_read_b32 v36, a14
	v_accvgpr_read_b32 v35, a13
	;; [unrolled: 1-line block ×3, first 2 shown]
	v_lshl_add_u64 v[38:39], v[50:51], 1, s[6:7]
	v_mov_b32_e32 v45, 0
	v_lshlrev_b32_e32 v42, 8, v55
	v_mov_b32_e32 v43, 0
	s_and_saveexec_b64 s[6:7], vcc
	s_cbranch_execz .LBB254_70
; %bb.69:
	v_mov_b32_e32 v43, 0
	v_lshl_add_u64 v[46:47], v[38:39], 0, v[42:43]
	global_load_ushort v43, v[46:47], off
	s_waitcnt vmcnt(0)
	v_lshlrev_b32_e32 v43, 16, v43
	v_sub_f32_e32 v34, v43, v34
	v_mul_f32_e32 v34, v52, v34
	v_lshrrev_b32_e32 v43, 16, v34
.LBB254_70:
	s_or_b64 exec, exec, s[6:7]
	v_lshlrev_b32_e32 v44, 8, v40
	s_and_saveexec_b64 s[6:7], s[0:1]
	s_cbranch_execz .LBB254_72
; %bb.71:
	v_mov_b32_e32 v45, 0
	v_lshl_add_u64 v[46:47], v[38:39], 0, v[44:45]
	global_load_ushort v34, v[46:47], off
	s_waitcnt vmcnt(0)
	v_lshlrev_b32_e32 v34, 16, v34
	v_sub_f32_e32 v34, v34, v35
	v_mul_f32_e32 v34, v48, v34
	v_lshrrev_b32_e32 v45, 16, v34
.LBB254_72:
	s_or_b64 exec, exec, s[6:7]
	v_mov_b32_e32 v65, 0
	v_lshlrev_b32_e32 v46, 8, v41
	v_mov_b32_e32 v47, 0
	s_and_saveexec_b64 s[6:7], s[2:3]
	s_cbranch_execz .LBB254_74
; %bb.73:
	v_mov_b32_e32 v47, 0
	v_lshl_add_u64 v[34:35], v[38:39], 0, v[46:47]
	global_load_ushort v34, v[34:35], off
	s_waitcnt vmcnt(0)
	v_lshlrev_b32_e32 v34, 16, v34
	v_sub_f32_e32 v34, v34, v36
	v_mul_f32_e32 v34, v54, v34
	v_lshrrev_b32_e32 v47, 16, v34
.LBB254_74:
	s_or_b64 exec, exec, s[6:7]
	v_lshlrev_b32_e32 v40, 8, v64
	s_and_saveexec_b64 s[6:7], s[4:5]
	s_cbranch_execz .LBB254_76
; %bb.75:
	v_mov_b32_e32 v41, 0
	v_lshl_add_u64 v[34:35], v[38:39], 0, v[40:41]
	global_load_ushort v34, v[34:35], off
	s_waitcnt vmcnt(0)
	v_lshlrev_b32_e32 v34, 16, v34
	v_sub_f32_e32 v34, v34, v37
	v_mul_f32_e32 v34, v49, v34
	v_lshrrev_b32_e32 v65, 16, v34
.LBB254_76:
	s_or_b64 exec, exec, s[6:7]
	v_lshlrev_b32_e32 v51, 6, v55
	v_accvgpr_read_b32 v37, a11
	s_mov_b32 s6, 0x5040100
	v_or_b32_e32 v41, v51, v58
	v_accvgpr_read_b32 v36, a10
	v_accvgpr_read_b32 v35, a9
	;; [unrolled: 1-line block ×3, first 2 shown]
	v_perm_b32 v65, v65, v47, s6
	v_perm_b32 v64, v45, v43, s6
	v_lshlrev_b32_e32 v41, 1, v41
	v_mov_b32_e32 v45, 0
	v_mov_b32_e32 v43, 0
	ds_write_b64 v41, v[64:65] offset:24576
	s_and_saveexec_b64 s[6:7], vcc
	s_cbranch_execz .LBB254_78
; %bb.77:
	v_mov_b32_e32 v43, 0
	v_lshl_add_u64 v[64:65], v[38:39], 0, v[42:43]
	global_load_ushort v41, v[64:65], off offset:32
	s_waitcnt vmcnt(0)
	v_lshlrev_b32_e32 v41, 16, v41
	v_sub_f32_e32 v34, v41, v34
	v_mul_f32_e32 v34, v52, v34
	v_lshrrev_b32_e32 v43, 16, v34
.LBB254_78:
	s_or_b64 exec, exec, s[6:7]
	s_and_saveexec_b64 s[6:7], s[0:1]
	s_cbranch_execz .LBB254_80
; %bb.79:
	v_mov_b32_e32 v45, 0
	v_lshl_add_u64 v[64:65], v[38:39], 0, v[44:45]
	global_load_ushort v34, v[64:65], off offset:32
	s_waitcnt vmcnt(0)
	v_lshlrev_b32_e32 v34, 16, v34
	v_sub_f32_e32 v34, v34, v35
	v_mul_f32_e32 v34, v48, v34
	v_lshrrev_b32_e32 v45, 16, v34
.LBB254_80:
	s_or_b64 exec, exec, s[6:7]
	v_mov_b32_e32 v41, 0
	v_mov_b32_e32 v47, 0
	s_and_saveexec_b64 s[6:7], s[2:3]
	s_cbranch_execz .LBB254_82
; %bb.81:
	v_mov_b32_e32 v47, 0
	v_lshl_add_u64 v[34:35], v[38:39], 0, v[46:47]
	global_load_ushort v34, v[34:35], off offset:32
	s_waitcnt vmcnt(0)
	v_lshlrev_b32_e32 v34, 16, v34
	v_sub_f32_e32 v34, v34, v36
	v_mul_f32_e32 v34, v54, v34
	v_lshrrev_b32_e32 v47, 16, v34
.LBB254_82:
	s_or_b64 exec, exec, s[6:7]
	s_and_saveexec_b64 s[6:7], s[4:5]
	s_cbranch_execz .LBB254_84
; %bb.83:
	v_mov_b32_e32 v41, 0
	v_lshl_add_u64 v[34:35], v[38:39], 0, v[40:41]
	global_load_ushort v34, v[34:35], off offset:32
	s_waitcnt vmcnt(0)
	v_lshlrev_b32_e32 v34, 16, v34
	v_sub_f32_e32 v34, v34, v37
	v_mul_f32_e32 v34, v49, v34
	v_lshrrev_b32_e32 v41, 16, v34
.LBB254_84:
	s_or_b64 exec, exec, s[6:7]
	s_mov_b32 s6, 0x5040100
	v_accvgpr_read_b32 v37, a7
	v_perm_b32 v65, v41, v47, s6
	v_or_b32_e32 v41, v51, v57
	v_accvgpr_read_b32 v36, a6
	v_accvgpr_read_b32 v35, a5
	;; [unrolled: 1-line block ×3, first 2 shown]
	v_perm_b32 v64, v45, v43, s6
	v_lshlrev_b32_e32 v41, 1, v41
	v_mov_b32_e32 v45, 0
	v_mov_b32_e32 v43, 0
	ds_write_b64 v41, v[64:65] offset:24576
	s_and_saveexec_b64 s[6:7], vcc
	s_cbranch_execz .LBB254_86
; %bb.85:
	v_mov_b32_e32 v43, 0
	v_lshl_add_u64 v[64:65], v[38:39], 0, v[42:43]
	global_load_ushort v41, v[64:65], off offset:64
	s_waitcnt vmcnt(0)
	v_lshlrev_b32_e32 v41, 16, v41
	v_sub_f32_e32 v34, v41, v34
	v_mul_f32_e32 v34, v52, v34
	v_lshrrev_b32_e32 v43, 16, v34
.LBB254_86:
	s_or_b64 exec, exec, s[6:7]
	s_and_saveexec_b64 s[6:7], s[0:1]
	s_cbranch_execz .LBB254_88
; %bb.87:
	v_mov_b32_e32 v45, 0
	v_lshl_add_u64 v[64:65], v[38:39], 0, v[44:45]
	global_load_ushort v34, v[64:65], off offset:64
	s_waitcnt vmcnt(0)
	v_lshlrev_b32_e32 v34, 16, v34
	v_sub_f32_e32 v34, v34, v35
	v_mul_f32_e32 v34, v48, v34
	v_lshrrev_b32_e32 v45, 16, v34
.LBB254_88:
	s_or_b64 exec, exec, s[6:7]
	v_mov_b32_e32 v41, 0
	v_mov_b32_e32 v47, 0
	s_and_saveexec_b64 s[6:7], s[2:3]
	s_cbranch_execz .LBB254_90
; %bb.89:
	v_mov_b32_e32 v47, 0
	v_lshl_add_u64 v[34:35], v[38:39], 0, v[46:47]
	global_load_ushort v34, v[34:35], off offset:64
	s_waitcnt vmcnt(0)
	v_lshlrev_b32_e32 v34, 16, v34
	v_sub_f32_e32 v34, v34, v36
	v_mul_f32_e32 v34, v54, v34
	v_lshrrev_b32_e32 v47, 16, v34
.LBB254_90:
	s_or_b64 exec, exec, s[6:7]
	s_and_saveexec_b64 s[6:7], s[4:5]
	s_cbranch_execz .LBB254_92
; %bb.91:
	v_mov_b32_e32 v41, 0
	v_lshl_add_u64 v[34:35], v[38:39], 0, v[40:41]
	global_load_ushort v34, v[34:35], off offset:64
	s_waitcnt vmcnt(0)
	v_lshlrev_b32_e32 v34, 16, v34
	v_sub_f32_e32 v34, v34, v37
	v_mul_f32_e32 v34, v49, v34
	v_lshrrev_b32_e32 v41, 16, v34
.LBB254_92:
	s_or_b64 exec, exec, s[6:7]
	s_mov_b32 s6, 0x5040100
	v_accvgpr_read_b32 v37, a3
	v_perm_b32 v65, v41, v47, s6
	v_or_b32_e32 v41, v51, v56
	v_accvgpr_read_b32 v36, a2
	v_accvgpr_read_b32 v35, a1
	;; [unrolled: 1-line block ×3, first 2 shown]
	v_perm_b32 v64, v45, v43, s6
	v_lshlrev_b32_e32 v41, 1, v41
	v_mov_b32_e32 v45, 0
	v_mov_b32_e32 v43, 0
	ds_write_b64 v41, v[64:65] offset:24576
	s_and_saveexec_b64 s[6:7], vcc
	s_cbranch_execz .LBB254_94
; %bb.93:
	v_mov_b32_e32 v43, 0
	v_lshl_add_u64 v[42:43], v[38:39], 0, v[42:43]
	global_load_ushort v41, v[42:43], off offset:96
	s_waitcnt vmcnt(0)
	v_lshlrev_b32_e32 v41, 16, v41
	v_sub_f32_e32 v34, v41, v34
	v_mul_f32_e32 v34, v52, v34
	v_lshrrev_b32_e32 v43, 16, v34
.LBB254_94:
	s_or_b64 exec, exec, s[6:7]
	s_and_saveexec_b64 s[6:7], s[0:1]
	s_cbranch_execz .LBB254_96
; %bb.95:
	v_mov_b32_e32 v45, 0
	v_lshl_add_u64 v[44:45], v[38:39], 0, v[44:45]
	global_load_ushort v34, v[44:45], off offset:96
	s_waitcnt vmcnt(0)
	v_lshlrev_b32_e32 v34, 16, v34
	v_sub_f32_e32 v34, v34, v35
	v_mul_f32_e32 v34, v48, v34
	v_lshrrev_b32_e32 v45, 16, v34
.LBB254_96:
	s_or_b64 exec, exec, s[6:7]
	v_mov_b32_e32 v41, 0
	v_mov_b32_e32 v44, 0
	s_and_saveexec_b64 s[0:1], s[2:3]
	s_cbranch_execz .LBB254_98
; %bb.97:
	v_mov_b32_e32 v47, 0
	v_lshl_add_u64 v[34:35], v[38:39], 0, v[46:47]
	global_load_ushort v34, v[34:35], off offset:96
	s_waitcnt vmcnt(0)
	v_lshlrev_b32_e32 v34, 16, v34
	v_sub_f32_e32 v34, v34, v36
	v_mul_f32_e32 v34, v54, v34
	v_lshrrev_b32_e32 v44, 16, v34
.LBB254_98:
	s_or_b64 exec, exec, s[0:1]
	v_or_b32_e32 v42, 0x6000, v60
	v_or_b32_e32 v36, 0x6000, v61
	;; [unrolled: 1-line block ×4, first 2 shown]
	s_and_saveexec_b64 s[0:1], s[4:5]
	s_cbranch_execz .LBB254_100
; %bb.99:
	v_mov_b32_e32 v41, 0
	v_lshl_add_u64 v[38:39], v[38:39], 0, v[40:41]
	global_load_ushort v38, v[38:39], off offset:96
	s_waitcnt vmcnt(0)
	v_lshlrev_b32_e32 v38, 16, v38
	v_sub_f32_e32 v37, v38, v37
	v_mul_f32_e32 v37, v49, v37
	v_lshrrev_b32_e32 v41, 16, v37
.LBB254_100:
	s_or_b64 exec, exec, s[0:1]
	s_mov_b32 s0, 0x5040100
	v_or_b32_e32 v37, v51, v53
	v_perm_b32 v39, v41, v44, s0
	v_perm_b32 v38, v45, v43, s0
	v_lshlrev_b32_e32 v37, 1, v37
	s_movk_i32 s0, 0x100
	ds_write_b64 v37, v[38:39] offset:24576
	v_and_b32_e32 v37, 7, v0
	v_and_b32_e32 v38, 8, v0
	v_cmp_gt_u32_e32 vcc, s0, v0
	v_lshrrev_b32_e32 v0, 1, v0
	v_mov_b32_e32 v39, 0xa000
	v_mov_b32_e32 v40, 0x8000
	v_lshlrev_b32_e32 v58, 3, v72
	v_and_b32_e32 v0, 24, v0
	v_cndmask_b32_e32 v51, v39, v40, vcc
	v_xor_b32_e32 v39, v58, v0
	v_or_b32_e32 v40, 0x440, v39
	v_cmp_eq_u32_e32 vcc, 0, v38
	v_lshlrev_b32_e32 v43, 3, v37
	v_lshlrev_b32_e32 v37, 7, v37
	v_cndmask_b32_e32 v38, v40, v39, vcc
	v_or_b32_e32 v38, v38, v59
	v_xad_u32 v72, v38, v43, v37
	v_add_u32_e32 v38, v51, v72
	s_waitcnt lgkmcnt(0)
	s_barrier
	ds_read_b64 v[48:49], v38
	ds_read2_b64 v[38:41], v42 offset1:16
	ds_read2_b64 v[44:47], v42 offset0:32 offset1:48
	v_or_b32_e32 v52, 32, v0
	v_xor_b32_e32 v52, v58, v52
	v_or_b32_e32 v53, 0x440, v52
	v_cndmask_b32_e32 v52, v53, v52, vcc
	s_waitcnt lgkmcnt(1)
	v_mfma_f32_16x16x16_bf16 a[0:3], v[48:49], v[38:39], 0
	v_or_b32_e32 v52, v52, v59
	v_xad_u32 v73, v52, v43, v37
	v_add_u32_e32 v52, v51, v73
	v_mfma_f32_16x16x16_bf16 a[4:7], v[48:49], v[40:41], 0
	ds_read_b64 v[56:57], v52
	ds_read2st64_b64 v[60:63], v36 offset0:4 offset1:8
	ds_read2st64_b64 v[64:67], v35 offset0:4 offset1:8
	s_waitcnt lgkmcnt(3)
	v_mfma_f32_16x16x16_bf16 a[8:11], v[48:49], v[44:45], 0
	ds_read2st64_b64 v[68:71], v34 offset0:4 offset1:8
	v_mfma_f32_16x16x16_bf16 a[12:15], v[48:49], v[46:47], 0
	v_or_b32_e32 v48, 64, v0
	v_xor_b32_e32 v48, v58, v48
	v_xor_b32_e32 v49, 0x440, v48
	v_cndmask_b32_e32 v48, v49, v48, vcc
	v_or_b32_e32 v48, v48, v59
	v_xad_u32 v74, v48, v43, v37
	v_add_u32_e32 v48, v51, v74
	ds_read_b64 v[48:49], v48
	ds_read2st64_b64 v[52:55], v42 offset0:4 offset1:8
	v_or_b32_e32 v0, 0x60, v0
	v_xor_b32_e32 v0, v58, v0
	s_waitcnt lgkmcnt(0)
	v_mfma_f32_16x16x16_bf16 a[0:3], v[56:57], v[52:53], a[0:3]
	v_mfma_f32_16x16x16_bf16 a[4:7], v[56:57], v[60:61], a[4:7]
	;; [unrolled: 1-line block ×4, first 2 shown]
	v_xor_b32_e32 v56, 0x440, v0
	v_cndmask_b32_e32 v0, v56, v0, vcc
	v_or_b32_e32 v0, v0, v59
	v_xad_u32 v0, v0, v43, v37
	v_add_u32_e32 v37, v51, v0
	v_mfma_f32_16x16x16_bf16 a[0:3], v[48:49], v[54:55], a[0:3]
	ds_read_b64 v[56:57], v37
	ds_read_b64 v[42:43], v42 offset:6144
	v_mfma_f32_16x16x16_bf16 a[4:7], v[48:49], v[62:63], a[4:7]
	v_mfma_f32_16x16x16_bf16 a[8:11], v[48:49], v[66:67], a[8:11]
	;; [unrolled: 1-line block ×3, first 2 shown]
	ds_read_b64 v[36:37], v36 offset:6144
	ds_read_b64 v[48:49], v35 offset:6144
	;; [unrolled: 1-line block ×3, first 2 shown]
	s_waitcnt lgkmcnt(3)
	v_mfma_f32_16x16x16_bf16 a[0:3], v[56:57], v[42:43], a[0:3]
	s_waitcnt lgkmcnt(2)
	v_mfma_f32_16x16x16_bf16 a[4:7], v[56:57], v[36:37], a[4:7]
	;; [unrolled: 2-line block ×4, first 2 shown]
	ds_read_b64 v[56:57], v72 offset:40960
	s_waitcnt lgkmcnt(0)
	v_mfma_f32_16x16x16_bf16 a[20:23], v[56:57], v[40:41], 0
	v_mov_b32_e32 v40, 0x3fb8aa3b
	v_mul_f32_e32 v40, s12, v40
	v_mfma_f32_16x16x16_bf16 a[24:27], v[56:57], v[44:45], 0
	v_exp_f32_e32 v44, v40
	v_accvgpr_read_b32 v40, a0
	v_accvgpr_read_b32 v45, a3
	v_mfma_f32_16x16x16_bf16 a[16:19], v[56:57], v[38:39], 0
	ds_read_b64 v[38:39], v73 offset:40960
	v_fma_f32 v30, v44, v30, v40
	v_accvgpr_read_b32 v40, a1
	v_fma_f32 v31, v44, v31, v40
	v_accvgpr_read_b32 v40, a2
	v_mfma_f32_16x16x16_bf16 a[28:31], v[56:57], v[46:47], 0
	v_fma_f32 v32, v44, v32, v40
	ds_read_b64 v[40:41], v74 offset:40960
	v_fmac_f32_e32 v45, v44, v33
	s_waitcnt lgkmcnt(1)
	v_mfma_f32_16x16x16_bf16 a[16:19], v[38:39], v[52:53], a[16:19]
	v_accvgpr_read_b32 v33, a4
	v_fma_f32 v22, v44, v22, v33
	v_accvgpr_read_b32 v33, a5
	v_mfma_f32_16x16x16_bf16 a[20:23], v[38:39], v[60:61], a[20:23]
	v_fma_f32 v23, v44, v23, v33
	v_accvgpr_read_b32 v33, a6
	v_accvgpr_read_b32 v46, a7
	v_mfma_f32_16x16x16_bf16 a[24:27], v[38:39], v[64:65], a[24:27]
	v_fmac_f32_e32 v46, v44, v25
	v_accvgpr_read_b32 v25, a8
	v_fma_f32 v24, v44, v24, v33
	v_mfma_f32_16x16x16_bf16 a[0:3], v[38:39], v[68:69], a[28:31]
	ds_read_b64 v[38:39], v0 offset:40960
	v_accvgpr_read_b32 v0, a9
	v_fma_f32 v15, v44, v15, v0
	s_waitcnt lgkmcnt(1)
	v_mfma_f32_16x16x16_bf16 a[4:7], v[40:41], v[62:63], a[20:23]
	v_accvgpr_read_b32 v0, a10
	v_fma_f32 v16, v44, v16, v0
	v_accvgpr_read_b32 v0, a11
	v_mfma_f32_16x16x16_bf16 a[16:19], v[40:41], v[54:55], a[16:19]
	v_fmac_f32_e32 v0, v44, v17
	v_accvgpr_read_b32 v17, a12
	v_fma_f32 v2, v44, v2, v17
	v_mfma_f32_16x16x16_bf16 a[20:23], v[40:41], v[66:67], a[24:27]
	v_accvgpr_read_b32 v17, a13
	v_fma_f32 v3, v44, v3, v17
	v_accvgpr_read_b32 v17, a14
	v_mfma_f32_16x16x16_bf16 a[0:3], v[40:41], v[70:71], a[0:3]
	v_fma_f32 v4, v44, v4, v17
	v_fma_f32 v14, v44, v14, v25
	v_mov_b32_e32 v33, v45
	s_waitcnt lgkmcnt(0)
	v_mfma_f32_16x16x16_bf16 a[4:7], v[38:39], v[36:37], a[4:7]
	v_accvgpr_read_b32 v36, a15
	v_fmac_f32_e32 v36, v44, v5
	v_mov_b32_e32 v25, v46
	v_mfma_f32_16x16x16_bf16 a[8:11], v[38:39], v[42:43], a[16:19]
	v_mfma_f32_16x16x16_bf16 a[16:19], v[38:39], v[48:49], a[20:23]
	s_nop 1
	v_accvgpr_read_b32 v17, a4
	v_fma_f32 v18, v44, v18, v17
	v_accvgpr_read_b32 v17, a5
	v_mfma_f32_16x16x16_bf16 a[0:3], v[38:39], v[34:35], a[0:3]
	v_accvgpr_read_b32 v5, a8
	v_fma_f32 v19, v44, v19, v17
	v_accvgpr_read_b32 v17, a6
	v_fma_f32 v26, v44, v26, v5
	;; [unrolled: 2-line block ×3, first 2 shown]
	v_accvgpr_read_b32 v17, a7
	v_accvgpr_read_b32 v34, a19
	v_fma_f32 v27, v44, v27, v5
	v_accvgpr_read_b32 v5, a10
	v_fmac_f32_e32 v17, v44, v21
	v_accvgpr_read_b32 v21, a16
	v_fmac_f32_e32 v34, v44, v13
	v_accvgpr_read_b32 v13, a0
	v_fma_f32 v28, v44, v28, v5
	v_accvgpr_read_b32 v5, a11
	v_fma_f32 v10, v44, v10, v21
	v_accvgpr_read_b32 v21, a17
	v_fma_f32 v6, v44, v6, v13
	v_accvgpr_read_b32 v13, a1
	v_accvgpr_read_b32 v35, a3
	v_fmac_f32_e32 v5, v44, v29
	v_fma_f32 v11, v44, v11, v21
	v_accvgpr_read_b32 v21, a18
	v_fma_f32 v7, v44, v7, v13
	v_accvgpr_read_b32 v13, a2
	v_fmac_f32_e32 v35, v44, v9
	v_fma_f32 v12, v44, v12, v21
	v_fma_f32 v8, v44, v8, v13
	v_mov_b32_e32 v29, v5
	v_mov_b32_e32 v21, v17
	;; [unrolled: 1-line block ×7, first 2 shown]
.LBB254_101:
	s_lshl_b64 s[0:1], s[24:25], 16
	s_waitcnt lgkmcnt(0)
	s_add_u32 s0, s28, s0
	v_lshlrev_b32_e32 v34, 7, v34
	s_addc_u32 s1, s29, s1
	v_ashrrev_i32_e32 v35, 31, v34
	v_lshl_add_u64 v[36:37], v[34:35], 2, s[0:1]
	v_lshlrev_b32_e32 v0, 2, v1
	v_mov_b32_e32 v1, 0
	v_lshl_add_u64 v[36:37], v[36:37], 0, v[0:1]
	global_store_dwordx4 v[36:37], v[30:33], off
	global_store_dwordx4 v[36:37], v[26:29], off offset:256
	s_nop 1
	v_or_b32_e32 v26, 0x800, v34
	v_ashrrev_i32_e32 v27, 31, v26
	v_lshl_add_u64 v[26:27], v[26:27], 2, s[0:1]
	v_lshl_add_u64 v[26:27], v[26:27], 0, v[0:1]
	global_store_dwordx4 v[26:27], v[22:25], off
	global_store_dwordx4 v[26:27], v[18:21], off offset:256
	s_nop 1
	v_or_b32_e32 v18, 0x1000, v34
	v_ashrrev_i32_e32 v19, 31, v18
	v_lshl_add_u64 v[18:19], v[18:19], 2, s[0:1]
	;; [unrolled: 7-line block ×3, first 2 shown]
	v_lshl_add_u64 v[0:1], v[10:11], 0, v[0:1]
	global_store_dwordx4 v[0:1], v[2:5], off
	global_store_dwordx4 v[0:1], v[6:9], off offset:256
	s_endpgm
	.section	.rodata,"a",@progbits
	.p2align	6, 0x0
	.amdhsa_kernel _ZN12_GLOBAL__N_139chunk_gated_delta_rule_fwd_h_hip_kernelILi64ELb0ELb1ELb0ELb0ELb0ELb0ELb0ELb0EEEvPK12hip_bfloat16S3_S3_PKfS5_PKvPS1_S8_PvPKiSB_iiiiilll
		.amdhsa_group_segment_fixed_size 65536
		.amdhsa_private_segment_fixed_size 0
		.amdhsa_kernarg_size 136
		.amdhsa_user_sgpr_count 2
		.amdhsa_user_sgpr_dispatch_ptr 0
		.amdhsa_user_sgpr_queue_ptr 0
		.amdhsa_user_sgpr_kernarg_segment_ptr 1
		.amdhsa_user_sgpr_dispatch_id 0
		.amdhsa_user_sgpr_kernarg_preload_length 0
		.amdhsa_user_sgpr_kernarg_preload_offset 0
		.amdhsa_user_sgpr_private_segment_size 0
		.amdhsa_uses_dynamic_stack 0
		.amdhsa_enable_private_segment 0
		.amdhsa_system_sgpr_workgroup_id_x 1
		.amdhsa_system_sgpr_workgroup_id_y 1
		.amdhsa_system_sgpr_workgroup_id_z 0
		.amdhsa_system_sgpr_workgroup_info 0
		.amdhsa_system_vgpr_workitem_id 0
		.amdhsa_next_free_vgpr 216
		.amdhsa_next_free_sgpr 65
		.amdhsa_accum_offset 180
		.amdhsa_reserve_vcc 1
		.amdhsa_float_round_mode_32 0
		.amdhsa_float_round_mode_16_64 0
		.amdhsa_float_denorm_mode_32 3
		.amdhsa_float_denorm_mode_16_64 3
		.amdhsa_dx10_clamp 1
		.amdhsa_ieee_mode 1
		.amdhsa_fp16_overflow 0
		.amdhsa_tg_split 0
		.amdhsa_exception_fp_ieee_invalid_op 0
		.amdhsa_exception_fp_denorm_src 0
		.amdhsa_exception_fp_ieee_div_zero 0
		.amdhsa_exception_fp_ieee_overflow 0
		.amdhsa_exception_fp_ieee_underflow 0
		.amdhsa_exception_fp_ieee_inexact 0
		.amdhsa_exception_int_div_zero 0
	.end_amdhsa_kernel
	.section	.text._ZN12_GLOBAL__N_139chunk_gated_delta_rule_fwd_h_hip_kernelILi64ELb0ELb1ELb0ELb0ELb0ELb0ELb0ELb0EEEvPK12hip_bfloat16S3_S3_PKfS5_PKvPS1_S8_PvPKiSB_iiiiilll,"axG",@progbits,_ZN12_GLOBAL__N_139chunk_gated_delta_rule_fwd_h_hip_kernelILi64ELb0ELb1ELb0ELb0ELb0ELb0ELb0ELb0EEEvPK12hip_bfloat16S3_S3_PKfS5_PKvPS1_S8_PvPKiSB_iiiiilll,comdat
.Lfunc_end254:
	.size	_ZN12_GLOBAL__N_139chunk_gated_delta_rule_fwd_h_hip_kernelILi64ELb0ELb1ELb0ELb0ELb0ELb0ELb0ELb0EEEvPK12hip_bfloat16S3_S3_PKfS5_PKvPS1_S8_PvPKiSB_iiiiilll, .Lfunc_end254-_ZN12_GLOBAL__N_139chunk_gated_delta_rule_fwd_h_hip_kernelILi64ELb0ELb1ELb0ELb0ELb0ELb0ELb0ELb0EEEvPK12hip_bfloat16S3_S3_PKfS5_PKvPS1_S8_PvPKiSB_iiiiilll
                                        ; -- End function
	.section	.AMDGPU.csdata,"",@progbits
; Kernel info:
; codeLenInByte = 12340
; NumSgprs: 71
; NumVgprs: 178
; NumAgprs: 36
; TotalNumVgprs: 216
; ScratchSize: 0
; MemoryBound: 0
; FloatMode: 240
; IeeeMode: 1
; LDSByteSize: 65536 bytes/workgroup (compile time only)
; SGPRBlocks: 8
; VGPRBlocks: 26
; NumSGPRsForWavesPerEU: 71
; NumVGPRsForWavesPerEU: 216
; AccumOffset: 180
; Occupancy: 1
; WaveLimiterHint : 1
; COMPUTE_PGM_RSRC2:SCRATCH_EN: 0
; COMPUTE_PGM_RSRC2:USER_SGPR: 2
; COMPUTE_PGM_RSRC2:TRAP_HANDLER: 0
; COMPUTE_PGM_RSRC2:TGID_X_EN: 1
; COMPUTE_PGM_RSRC2:TGID_Y_EN: 1
; COMPUTE_PGM_RSRC2:TGID_Z_EN: 0
; COMPUTE_PGM_RSRC2:TIDIG_COMP_CNT: 0
; COMPUTE_PGM_RSRC3_GFX90A:ACCUM_OFFSET: 44
; COMPUTE_PGM_RSRC3_GFX90A:TG_SPLIT: 0
	.section	.text._ZN12_GLOBAL__N_139chunk_gated_delta_rule_fwd_h_hip_kernelILi64ELb0ELb0ELb1ELb0ELb0ELb0ELb0ELb0EEEvPK12hip_bfloat16S3_S3_PKfS5_PKvPS1_S8_PvPKiSB_iiiiilll,"axG",@progbits,_ZN12_GLOBAL__N_139chunk_gated_delta_rule_fwd_h_hip_kernelILi64ELb0ELb0ELb1ELb0ELb0ELb0ELb0ELb0EEEvPK12hip_bfloat16S3_S3_PKfS5_PKvPS1_S8_PvPKiSB_iiiiilll,comdat
	.globl	_ZN12_GLOBAL__N_139chunk_gated_delta_rule_fwd_h_hip_kernelILi64ELb0ELb0ELb1ELb0ELb0ELb0ELb0ELb0EEEvPK12hip_bfloat16S3_S3_PKfS5_PKvPS1_S8_PvPKiSB_iiiiilll ; -- Begin function _ZN12_GLOBAL__N_139chunk_gated_delta_rule_fwd_h_hip_kernelILi64ELb0ELb0ELb1ELb0ELb0ELb0ELb0ELb0EEEvPK12hip_bfloat16S3_S3_PKfS5_PKvPS1_S8_PvPKiSB_iiiiilll
	.p2align	8
	.type	_ZN12_GLOBAL__N_139chunk_gated_delta_rule_fwd_h_hip_kernelILi64ELb0ELb0ELb1ELb0ELb0ELb0ELb0ELb0EEEvPK12hip_bfloat16S3_S3_PKfS5_PKvPS1_S8_PvPKiSB_iiiiilll,@function
_ZN12_GLOBAL__N_139chunk_gated_delta_rule_fwd_h_hip_kernelILi64ELb0ELb0ELb1ELb0ELb0ELb0ELb0ELb0EEEvPK12hip_bfloat16S3_S3_PKfS5_PKvPS1_S8_PvPKiSB_iiiiilll: ; @_ZN12_GLOBAL__N_139chunk_gated_delta_rule_fwd_h_hip_kernelILi64ELb0ELb0ELb1ELb0ELb0ELb0ELb0ELb0EEEvPK12hip_bfloat16S3_S3_PKfS5_PKvPS1_S8_PvPKiSB_iiiiilll
; %bb.0:
	s_load_dwordx4 s[16:19], s[0:1], 0x5c
	s_load_dwordx4 s[12:15], s[0:1], 0x30
	s_abs_i32 s22, s3
	s_ashr_i32 s21, s3, 31
	s_load_dwordx8 s[4:11], s[0:1], 0x0
	s_waitcnt lgkmcnt(0)
	s_abs_i32 s20, s17
	v_cvt_f32_u32_e32 v1, s20
	s_sub_i32 s24, 0, s20
	s_ashr_i32 s23, s17, 31
	s_xor_b32 s21, s21, s23
	v_rcp_iflag_f32_e32 v1, v1
	v_lshrrev_b32_e32 v76, 6, v0
	v_bfe_u32 v77, v0, 4, 2
	v_lshlrev_b32_e32 v2, 2, v77
	v_mul_f32_e32 v1, 0x4f7ffffe, v1
	v_cvt_u32_f32_e32 v1, v1
	v_and_b32_e32 v75, 63, v0
	v_mov_b32_e32 v35, 0
	v_and_b32_e32 v74, 15, v0
	v_readfirstlane_b32 s25, v1
	s_mul_i32 s24, s24, s25
	s_mul_hi_u32 s24, s25, s24
	s_add_i32 s25, s25, s24
	s_mul_hi_u32 s24, s22, s25
	s_mul_i32 s25, s24, s20
	s_sub_i32 s22, s22, s25
	s_add_i32 s26, s24, 1
	s_sub_i32 s25, s22, s20
	s_cmp_ge_u32 s22, s20
	s_cselect_b32 s24, s26, s24
	s_cselect_b32 s22, s25, s22
	s_add_i32 s25, s24, 1
	s_cmp_ge_u32 s22, s20
	s_cselect_b32 s22, s25, s24
	s_xor_b32 s22, s22, s21
	s_sub_i32 s47, s22, s21
	s_abs_i32 s21, s18
	v_cvt_f32_u32_e32 v1, s21
	s_add_i32 s24, s16, 63
	s_mul_i32 s45, s47, s17
	s_sub_i32 s33, s3, s45
	v_rcp_iflag_f32_e32 v1, v1
	s_ashr_i32 s3, s24, 31
	s_ashr_i32 s46, s16, 31
	s_lshr_b32 s3, s3, 26
	v_mul_f32_e32 v1, 0x4f7ffffe, v1
	v_cvt_u32_f32_e32 v1, v1
	s_lshr_b32 s22, s46, 26
	s_add_i32 s24, s24, s3
	s_add_i32 s22, s16, s22
	s_ashr_i32 s49, s18, 31
	s_ashr_i32 s3, s24, 6
	;; [unrolled: 1-line block ×3, first 2 shown]
	s_xor_b32 s22, s23, s49
	s_sub_i32 s23, 0, s21
	v_readfirstlane_b32 s24, v1
	s_mul_i32 s23, s23, s24
	s_mul_hi_u32 s23, s24, s23
	s_add_i32 s24, s24, s23
	s_mul_hi_u32 s23, s20, s24
	s_mul_i32 s24, s23, s21
	s_sub_i32 s20, s20, s24
	s_add_i32 s24, s23, 1
	s_sub_i32 s25, s20, s21
	s_cmp_ge_u32 s20, s21
	s_cselect_b32 s23, s24, s23
	s_cselect_b32 s20, s25, s20
	s_add_i32 s24, s23, 1
	s_cmp_ge_u32 s20, s21
	s_cselect_b32 s20, s24, s23
	s_xor_b32 s20, s20, s22
	s_sub_i32 s24, s20, s22
	s_abs_i32 s25, s24
	v_cvt_f32_u32_e32 v1, s25
	s_load_dwordx2 s[34:35], s[0:1], 0x80
	s_load_dwordx4 s[20:23], s[0:1], 0x70
	s_xor_b32 s0, s33, s24
	s_sub_i32 s24, 0, s25
	v_rcp_iflag_f32_e32 v1, v1
	s_abs_i32 s1, s33
	s_ashr_i32 s0, s0, 31
	s_mul_i32 s50, s47, s3
	v_mul_f32_e32 v1, 0x4f7ffffe, v1
	v_cvt_u32_f32_e32 v1, v1
	s_mul_hi_i32 s51, s47, s17
	v_lshrrev_b32_e32 v79, 3, v75
	v_lshlrev_b32_e32 v78, 3, v0
	v_readfirstlane_b32 s26, v1
	s_mul_i32 s24, s24, s26
	s_mul_hi_u32 s24, s26, s24
	s_add_i32 s26, s26, s24
	s_mul_hi_u32 s24, s1, s26
	s_mul_i32 s26, s24, s25
	s_sub_i32 s1, s1, s26
	s_add_i32 s26, s24, 1
	s_sub_i32 s27, s1, s25
	s_cmp_ge_u32 s1, s25
	s_cselect_b32 s24, s26, s24
	s_cselect_b32 s1, s27, s1
	s_add_i32 s26, s24, 1
	s_cmp_ge_u32 s1, s25
	s_cselect_b32 s1, s26, s24
	s_xor_b32 s1, s1, s0
	v_lshlrev_b32_e32 v1, 4, v76
	s_sub_i32 s52, s1, s0
	v_or_b32_e32 v80, v2, v1
	s_lshl_b32 s36, s2, 6
	v_or_b32_e32 v81, 64, v80
	s_cmp_lt_i32 s16, 64
	s_waitcnt lgkmcnt(0)
	s_mul_i32 s21, s47, s21
	s_mul_hi_u32 s44, s47, s20
	s_mul_i32 s38, s47, s20
	v_mov_b32_e32 v34, v35
	v_mov_b32_e32 v41, v35
	;; [unrolled: 1-line block ×31, first 2 shown]
	s_cbranch_scc1 .LBB255_18
; %bb.1:
	s_ashr_i32 s28, s47, 31
	s_ashr_i32 s54, s33, 31
	s_add_u32 s0, s45, s33
	s_addc_u32 s1, s51, s54
	s_mul_i32 s1, s16, s1
	s_mul_hi_u32 s2, s16, s0
	s_add_i32 s3, s2, s1
	s_mul_i32 s2, s16, s0
	s_lshl_b64 s[0:1], s[2:3], 8
	v_and_b32_e32 v83, 56, v78
	s_add_u32 s24, s6, s0
	v_lshl_or_b32 v82, v76, 3, v79
	v_lshlrev_b32_e32 v3, 1, v83
	s_addc_u32 s0, s7, s1
	v_lshl_or_b32 v84, v82, 8, v3
	s_and_b32 s25, s0, 0xffff
	s_mov_b32 s27, 0x20000
	s_movk_i32 s26, 0x4000
	s_movk_i32 s0, 0x80
	v_or_b32_e32 v85, 0x2000, v84
	buffer_load_dwordx4 v[4:7], v84, s[24:27], 0 offen
	buffer_load_dwordx4 v[8:11], v84, s[24:27], s0 offen
	;; [unrolled: 1-line block ×4, first 2 shown]
	v_lshlrev_b32_e32 v20, 3, v82
	v_and_or_b32 v22, v0, 7, v20
	v_and_b32_e32 v20, 0x78, v20
	v_lshlrev_b32_e32 v22, 4, v22
	v_xor_b32_e32 v86, v22, v20
	v_mul_lo_u32 v21, v82, s19
	v_or_b32_e32 v87, 0x1000, v86
	s_cmpk_eq_i32 s19, 0x80
	s_mov_b32 s53, s18
	v_xor_b32_e32 v20, 8, v86
	v_xor_b32_e32 v22, 8, v87
	s_cselect_b64 s[0:1], -1, 0
	s_cmpk_lg_i32 s19, 0x80
	s_waitcnt vmcnt(3)
	ds_write_b64 v86, v[4:5] offset:49152
	ds_write_b64 v20, v[6:7] offset:49152
	s_waitcnt vmcnt(2)
	ds_write_b64 v86, v[8:9] offset:57344
	ds_write_b64 v20, v[10:11] offset:57344
	;; [unrolled: 3-line block ×4, first 2 shown]
	v_lshl_add_u32 v4, v21, 1, v83
	s_cbranch_scc0 .LBB255_3
; %bb.2:
	v_lshlrev_b32_e32 v6, 1, v4
	v_add_lshl_u32 v5, v4, s19, 1
	s_lshl_b32 s26, s19, 7
	v_lshl_or_b32 v3, v82, 9, v3
	s_cbranch_execz .LBB255_4
	s_branch .LBB255_5
.LBB255_3:
                                        ; implicit-def: $vgpr5
                                        ; implicit-def: $vgpr6
                                        ; implicit-def: $sgpr26
	v_lshl_or_b32 v3, v82, 9, v3
.LBB255_4:
	v_or_b32_e32 v5, 0x100, v3
	s_movk_i32 s26, 0x4000
	v_mov_b32_e32 v6, v3
.LBB255_5:
	s_mul_hi_u32 s24, s18, s16
	s_mul_i32 s25, s49, s16
	s_add_i32 s24, s24, s25
	s_mul_i32 s25, s18, s16
	s_mul_i32 s27, s25, s28
	s_mul_hi_u32 s29, s25, s47
	s_add_i32 s27, s29, s27
	s_mul_i32 s24, s24, s47
	s_add_i32 s27, s27, s24
	s_mul_i32 s25, s25, s47
	s_ashr_i32 s55, s52, 31
	s_add_u32 s24, s25, s52
	s_addc_u32 s25, s27, s55
	s_lshl_b64 s[24:25], s[24:25], 8
	s_add_u32 s24, s4, s24
	s_addc_u32 s25, s5, s25
	s_and_b32 s25, s25, 0xffff
	s_mov_b32 s27, 0x20000
	s_movk_i32 s56, 0x80
	buffer_load_dwordx4 v[8:11], v6, s[24:27], 0 offen
	buffer_load_dwordx4 v[12:15], v6, s[24:27], s56 offen
	;; [unrolled: 1-line block ×4, first 2 shown]
	v_and_b32_e32 v5, 6, v0
	v_lshlrev_b32_e32 v6, 7, v80
	v_xor_b32_e32 v27, v82, v5
	v_and_b32_e32 v7, 1, v0
	v_lshl_or_b32 v30, v74, 3, v6
	v_lshlrev_b32_e32 v27, 2, v27
	v_or_b32_e32 v88, 0x4000, v30
	v_or_b32_e32 v89, 0x6000, v30
	v_xor_b32_e32 v30, 0x440, v27
	v_cmp_eq_u32_e32 vcc, 0, v7
	v_lshlrev_b32_e32 v24, 2, v74
	s_mov_b32 s58, 0x1000504
	v_cndmask_b32_e32 v7, v30, v27, vcc
	v_xor_b32_e32 v28, v80, v24
	v_xor_b32_e32 v29, v81, v24
	v_lshl_or_b32 v5, v5, 10, v7
	s_mov_b32 s59, 0x3020706
	s_mul_i32 s24, s28, s16
	s_mul_hi_u32 s25, s47, s16
	v_lshlrev_b32_e32 v25, 8, v74
	v_or_b32_e32 v26, 16, v74
	v_lshlrev_b32_e32 v28, 1, v28
	v_lshlrev_b32_e32 v29, 1, v29
	v_xor_b32_e32 v7, 8, v5
	v_xor_b32_e32 v27, 24, v5
	v_xor_b32_e32 v32, 40, v5
	v_xor_b32_e32 v34, 56, v5
	v_or_b32_e32 v91, v25, v28
	v_or_b32_e32 v92, v25, v29
	v_xor_b32_e32 v25, 16, v5
	v_xor_b32_e32 v30, 32, v5
	;; [unrolled: 1-line block ×3, first 2 shown]
	v_add_u32_e32 v7, 0x80, v7
	v_add_u32_e32 v27, 0x80, v27
	v_add_u32_e32 v32, 0x80, v32
	v_add_u32_e32 v34, 0x80, v34
	s_add_i32 s61, s25, s24
	s_add_i32 s24, s44, s21
	s_mul_i32 s28, s28, s20
	s_add_i32 s39, s24, s28
	s_mul_i32 s24, s33, s23
	s_mul_hi_u32 s25, s33, s22
	s_add_i32 s24, s25, s24
	s_mul_i32 s25, s54, s22
	s_add_i32 s25, s24, s25
	s_lshl_b64 s[28:29], s[38:39], 2
	s_mul_i32 s24, s33, s22
	s_add_u32 s28, s10, s28
	s_addc_u32 s29, s11, s29
	s_lshl_b64 s[24:25], s[24:25], 2
	s_add_u32 s40, s28, s24
	s_movk_i32 s24, 0xf8
	s_addc_u32 s41, s29, s25
	s_ashr_i32 s37, s36, 31
	s_lshl_b32 s30, s19, 7
	s_movk_i32 s28, 0x100
	v_mov_b32_e32 v67, 0
	v_lshlrev_b32_e32 v66, 4, v74
	v_cmp_gt_u32_e32 vcc, s28, v0
	v_lshl_or_b32 v31, v26, 3, v6
	s_mov_b32 s57, 0
	s_mul_i32 s60, s47, s16
	v_or_b32_e32 v90, 0x4000, v31
	s_movk_i32 s26, 0x4000
	v_or_b32_e32 v93, 0x6000, v31
	v_add_u32_e32 v128, v1, v2
	s_movk_i32 s39, 0x2000
	s_movk_i32 s62, 0x3000
	v_mov_b32_e32 v133, 0x3fb8aa3b
	s_mov_b32 s64, 0
	v_mov_b32_e32 v58, v67
	v_mov_b32_e32 v59, v67
	;; [unrolled: 1-line block ×8, first 2 shown]
	s_waitcnt vmcnt(1)
	v_perm_b32 v35, v8, v16, s58
	s_waitcnt vmcnt(0)
	v_perm_b32 v36, v12, v20, s58
	v_perm_b32 v8, v8, v16, s59
	;; [unrolled: 1-line block ×15, first 2 shown]
	ds_write2st64_b32 v5, v35, v36 offset0:128 offset1:160
	ds_write2st64_b32 v7, v8, v12 offset0:128 offset1:160
	;; [unrolled: 1-line block ×8, first 2 shown]
	v_lshlrev_b32_e32 v5, 8, v26
	v_or_b32_e32 v94, v5, v28
	v_or_b32_e32 v95, v5, v29
	;; [unrolled: 1-line block ×3, first 2 shown]
	v_lshl_or_b32 v7, v5, 3, v6
	v_lshlrev_b32_e32 v5, 8, v5
	v_or_b32_e32 v98, v5, v28
	v_or_b32_e32 v99, v5, v29
	;; [unrolled: 1-line block ×5, first 2 shown]
	v_lshl_or_b32 v7, v5, 3, v6
	v_lshlrev_b32_e32 v5, 8, v5
	v_or_b32_e32 v102, v5, v28
	v_or_b32_e32 v103, v5, v29
	v_or_b32_e32 v5, v1, v74
	v_lshlrev_b32_e32 v5, 3, v5
	v_lshrrev_b32_e32 v9, 5, v75
	v_and_or_b32 v9, v5, s24, v9
	v_lshlrev_b32_e32 v9, 4, v9
	v_or_b32_e32 v100, 0x4000, v7
	v_or_b32_e32 v101, 0x6000, v7
	v_lshlrev_b32_e32 v7, 11, v76
	v_and_b32_e32 v5, 0x78, v5
	v_or_b32_e32 v14, 32, v9
	v_and_b32_e32 v8, 0x1000, v7
	v_xor_b32_e32 v10, v9, v5
	v_lshrrev_b32_e32 v11, 1, v0
	v_xor_b32_e32 v14, v14, v5
	v_or_b32_e32 v10, v10, v8
	v_and_b32_e32 v12, 8, v11
	v_or_b32_e32 v14, v14, v8
	v_xor_b32_e32 v104, v10, v12
	v_lshlrev_b32_e32 v10, 8, v77
	v_xor_b32_e32 v106, v14, v12
	v_or_b32_e32 v14, 64, v9
	v_or_b32_e32 v9, 0x60, v9
	v_or_b32_e32 v13, v10, v24
	v_xor_b32_e32 v14, v14, v5
	v_xor_b32_e32 v5, v9, v5
	v_lshlrev_b32_e32 v13, 1, v13
	v_or_b32_e32 v14, v14, v8
	v_or_b32_e32 v5, v5, v8
	s_lshl_b64 s[24:25], s[36:37], 8
	v_or_b32_e32 v105, 0x4000, v13
	v_or_b32_e32 v107, 0x4080, v13
	;; [unrolled: 1-line block ×4, first 2 shown]
	v_xor_b32_e32 v110, v14, v12
	v_xor_b32_e32 v111, v5, v12
	v_or_b32_e32 v112, 0x6000, v13
	v_or_b32_e32 v113, 0x6080, v13
	v_or_b32_e32 v114, 0x6100, v13
	v_or_b32_e32 v115, 0x6180, v13
	v_lshlrev_b32_e32 v12, 1, v4
	v_add_lshl_u32 v13, v4, s19, 1
	s_add_u32 s24, s12, s24
	v_lshlrev_b32_e32 v4, 1, v74
	v_lshrrev_b32_e32 v15, 4, v0
	s_addc_u32 s25, s13, s25
	v_or_b32_e32 v5, 1, v4
	v_mov_b32_e32 v19, 0xa000
	v_mov_b32_e32 v20, 0x8000
	v_xor_b32_e32 v16, v15, v4
	v_xor_b32_e32 v17, v5, v15
	v_lshl_add_u64 v[4:5], s[24:25], 0, v[66:67]
	v_lshlrev_b32_e32 v66, 8, v15
	v_cndmask_b32_e32 v19, v19, v20, vcc
	v_lshlrev_b32_e32 v20, 3, v76
	v_and_b32_e32 v11, 24, v11
	v_lshl_or_b32 v116, v16, 3, v66
	v_and_b32_e32 v16, 8, v0
	v_xor_b32_e32 v21, v20, v11
	v_or_b32_e32 v22, 0x440, v21
	v_cmp_eq_u32_e32 vcc, 0, v16
	v_and_b32_e32 v15, 7, v0
	v_lshl_or_b32 v117, v17, 3, v66
	v_cndmask_b32_e32 v16, v22, v21, vcc
	v_lshlrev_b32_e32 v17, 3, v15
	v_lshlrev_b32_e32 v15, 7, v15
	v_or_b32_e32 v16, v16, v7
	v_lshlrev_b32_e32 v18, 2, v0
	v_xad_u32 v118, v16, v17, v15
	v_or_b32_e32 v16, 32, v11
	v_and_or_b32 v10, v18, 60, v10
	v_xor_b32_e32 v16, v20, v16
	v_lshlrev_b32_e32 v10, 1, v10
	v_or_b32_e32 v18, 0x440, v16
	v_or_b32_e32 v119, 0x6000, v10
	v_cndmask_b32_e32 v16, v18, v16, vcc
	v_or_b32_e32 v121, 0x6080, v10
	v_or_b32_e32 v122, 0x6100, v10
	;; [unrolled: 1-line block ×5, first 2 shown]
	v_xor_b32_e32 v10, v20, v10
	v_xad_u32 v120, v16, v17, v15
	v_xor_b32_e32 v16, 0x440, v10
	v_cndmask_b32_e32 v10, v16, v10, vcc
	v_or_b32_e32 v10, v10, v7
	v_xad_u32 v124, v10, v17, v15
	v_or_b32_e32 v10, 0x60, v11
	v_xor_b32_e32 v10, v20, v10
	v_xor_b32_e32 v11, 0x440, v10
	v_or_b32_e32 v8, s36, v74
	v_cndmask_b32_e32 v10, v11, v10, vcc
	v_ashrrev_i32_e32 v9, 31, v8
	v_or_b32_e32 v7, v10, v7
	v_or_b32_e32 v14, 0x100, v3
	v_xad_u32 v125, v7, v17, v15
	v_lshlrev_b64 v[8:9], 1, v[8:9]
	v_cndmask_b32_e64 v126, v12, v3, s[0:1]
	v_cndmask_b32_e64 v127, v13, v14, s[0:1]
	v_lshl_add_u64 v[68:69], s[8:9], 0, v[8:9]
	v_lshl_add_u64 v[70:71], s[14:15], 0, v[8:9]
	;; [unrolled: 1-line block ×3, first 2 shown]
	s_mov_b32 s37, 0x7060302
	v_lshlrev_b32_e32 v66, 1, v6
	v_add_u32_e32 v129, v19, v118
	v_add_u32_e32 v130, v19, v120
	v_add_u32_e32 v131, v19, v124
	v_add_u32_e32 v132, v19, v125
	v_mov_b32_e32 v50, v67
	v_mov_b32_e32 v51, v67
	v_mov_b32_e32 v52, v67
	v_mov_b32_e32 v53, v67
	v_mov_b32_e32 v54, v67
	v_mov_b32_e32 v55, v67
	v_mov_b32_e32 v56, v67
	v_mov_b32_e32 v57, v67
	v_mov_b32_e32 v42, v67
	v_mov_b32_e32 v43, v67
	v_mov_b32_e32 v44, v67
	v_mov_b32_e32 v45, v67
	v_mov_b32_e32 v46, v67
	v_mov_b32_e32 v47, v67
	v_mov_b32_e32 v48, v67
	v_mov_b32_e32 v49, v67
	v_mov_b32_e32 v36, v67
	v_mov_b32_e32 v37, v67
	v_mov_b32_e32 v38, v67
	v_mov_b32_e32 v39, v67
	v_mov_b32_e32 v40, v67
	v_mov_b32_e32 v41, v67
	v_mov_b32_e32 v34, v67
	v_mov_b32_e32 v35, v67
	s_waitcnt lgkmcnt(0)
	s_barrier
.LBB255_6:                              ; =>This Inner Loop Header: Depth=1
	s_add_i32 s63, s64, 1
	s_cmp_lt_i32 s63, s48
	s_mov_b64 s[28:29], 0
	s_cselect_b64 s[42:43], -1, 0
	s_cmp_ge_i32 s63, s48
	s_mov_b64 s[24:25], 0
	s_cbranch_scc1 .LBB255_8
; %bb.7:                                ;   in Loop: Header=BB255_6 Depth=1
	s_add_i32 s0, s57, 64
	s_add_u32 s0, s2, s0
	s_addc_u32 s1, s3, 0
	s_lshl_b64 s[0:1], s[0:1], 8
	s_add_u32 s24, s6, s0
	s_addc_u32 s25, s7, s1
.LBB255_8:                              ;   in Loop: Header=BB255_6 Depth=1
	v_cndmask_b32_e64 v2, 0, 1, s[42:43]
	v_cmp_ne_u32_e64 s[0:1], 1, v2
	s_andn2_b64 vcc, exec, s[42:43]
	s_cbranch_vccnz .LBB255_10
; %bb.9:                                ;   in Loop: Header=BB255_6 Depth=1
	s_add_i32 s28, s57, 64
	s_add_u32 s28, s60, s28
	s_addc_u32 s29, s61, 0
	s_mul_i32 s31, s28, s49
	s_mul_hi_u32 s42, s28, s53
	s_add_i32 s31, s42, s31
	s_mul_i32 s29, s29, s53
	s_add_i32 s31, s31, s29
	s_mul_i32 s28, s28, s53
	s_add_u32 s28, s28, s52
	s_addc_u32 s29, s31, s55
	s_lshl_b64 s[28:29], s[28:29], 8
	s_add_u32 s28, s4, s28
	s_addc_u32 s29, s5, s29
.LBB255_10:                             ;   in Loop: Header=BB255_6 Depth=1
	v_perm_b32 v3, v65, v64, s37
	v_perm_b32 v2, v63, v62, s37
	v_perm_b32 v5, v61, v60, s37
	v_perm_b32 v4, v59, v58, s37
	ds_write_b64 v88, v[2:3]
	ds_write_b64 v89, v[4:5]
	ds_write_b64 v91, v[2:3]
	ds_write_b64 v92, v[4:5]
	v_perm_b32 v3, v57, v56, s37
	v_perm_b32 v2, v55, v54, s37
	v_perm_b32 v5, v53, v52, s37
	v_perm_b32 v4, v51, v50, s37
	ds_write_b64 v90, v[2:3]
	ds_write_b64 v93, v[4:5]
	ds_write_b64 v94, v[2:3]
	ds_write_b64 v95, v[4:5]
	;; [unrolled: 8-line block ×4, first 2 shown]
	s_waitcnt lgkmcnt(0)
	s_barrier
	ds_read_b64 v[6:7], v104 offset:49152
	ds_read2_b64 v[2:5], v105 offset1:16
	ds_read_b64 v[18:19], v107 offset:6144
	ds_read_b64 v[20:21], v105 offset:6144
	s_waitcnt lgkmcnt(2)
	v_mfma_f32_16x16x16_bf16 a[0:3], v[6:7], v[2:3], 0
	ds_read_b64 v[22:23], v106 offset:49152
	ds_read2st64_b64 v[10:13], v108 offset0:4 offset1:8
	ds_read2st64_b64 v[14:17], v109 offset0:4 offset1:8
	v_mfma_f32_16x16x16_bf16 a[4:7], v[6:7], v[4:5], 0
	ds_read2_b64 v[2:5], v105 offset0:32 offset1:48
	s_add_i32 s31, s57, 63
	s_mul_i32 s42, s31, s35
	s_waitcnt lgkmcnt(0)
	v_mfma_f32_16x16x16_bf16 a[8:11], v[6:7], v[2:3], 0
	s_mul_hi_u32 s43, s31, s34
	s_add_i32 s43, s43, s42
	s_mul_i32 s42, s31, s34
	v_mfma_f32_16x16x16_bf16 a[12:15], v[6:7], v[4:5], 0
	ds_read2st64_b64 v[2:5], v105 offset0:4 offset1:8
	ds_read2st64_b64 v[6:9], v107 offset0:4 offset1:8
	s_lshl_b64 s[42:43], s[42:43], 2
	s_waitcnt lgkmcnt(1)
	v_mfma_f32_16x16x16_bf16 a[0:3], v[22:23], v[2:3], a[0:3]
	s_add_u32 s42, s40, s42
	s_addc_u32 s43, s41, s43
	s_and_b64 vcc, exec, s[0:1]
	s_waitcnt lgkmcnt(0)
	v_mfma_f32_16x16x16_bf16 a[4:7], v[22:23], v[6:7], a[4:7]
	v_mov_b32_e32 v136, 0
	v_mov_b32_e32 v135, 0
	;; [unrolled: 1-line block ×3, first 2 shown]
	v_mfma_f32_16x16x16_bf16 a[8:11], v[22:23], v[10:11], a[8:11]
	ds_read_b64 v[2:3], v110 offset:49152
	ds_read_b64 v[6:7], v111 offset:49152
	;; [unrolled: 1-line block ×3, first 2 shown]
	v_mfma_f32_16x16x16_bf16 a[12:15], v[22:23], v[14:15], a[12:15]
	v_mov_b32_e32 v14, 0
	v_mov_b32_e32 v15, 0
	s_waitcnt lgkmcnt(2)
	v_mfma_f32_16x16x16_bf16 a[0:3], v[2:3], v[4:5], a[0:3]
	v_mov_b32_e32 v4, 0
	v_mov_b32_e32 v5, 0
	v_mfma_f32_16x16x16_bf16 a[4:7], v[2:3], v[8:9], a[4:7]
	v_mov_b32_e32 v8, 0
	v_mov_b32_e32 v9, 0
	;; [unrolled: 3-line block ×3, first 2 shown]
	v_mfma_f32_16x16x16_bf16 a[12:15], v[2:3], v[16:17], a[12:15]
	ds_read_b64 v[2:3], v108 offset:6144
	v_mov_b32_e32 v16, 0
	v_mov_b32_e32 v17, 0
	s_waitcnt lgkmcnt(2)
	v_mfma_f32_16x16x16_bf16 a[0:3], v[6:7], v[20:21], a[0:3]
	v_mfma_f32_16x16x16_bf16 a[4:7], v[6:7], v[18:19], a[4:7]
	s_waitcnt lgkmcnt(0)
	v_mfma_f32_16x16x16_bf16 a[8:11], v[6:7], v[2:3], a[8:11]
	v_mov_b32_e32 v2, 0
	v_mov_b32_e32 v3, 0
	v_mfma_f32_16x16x16_bf16 a[12:15], v[6:7], v[10:11], a[12:15]
	v_mov_b32_e32 v6, 0
	v_mov_b32_e32 v7, 0
	;; [unrolled: 1-line block ×4, first 2 shown]
	s_cbranch_vccnz .LBB255_12
; %bb.11:                               ;   in Loop: Header=BB255_6 Depth=1
	s_and_b32 s25, s25, 0xffff
	buffer_load_dwordx4 v[14:17], v84, s[24:27], 0 offen
	buffer_load_dwordx4 v[10:13], v84, s[24:27], s56 offen
	;; [unrolled: 1-line block ×4, first 2 shown]
	v_mov_b32_e32 v135, v86
	v_mov_b32_e32 v134, v87
.LBB255_12:                             ;   in Loop: Header=BB255_6 Depth=1
	ds_read_b64 v[142:143], v104 offset:57344
	ds_read2_b64 v[18:21], v112 offset1:16
	ds_read_b64 v[144:145], v106 offset:57344
	ds_read_b64 v[146:147], v110 offset:57344
	ds_read_b64 v[148:149], v111 offset:57344
	v_add_u32_e32 v137, s57, v128
	s_waitcnt lgkmcnt(3)
	v_mfma_f32_16x16x16_bf16 a[0:3], v[142:143], v[18:19], a[0:3]
	v_mfma_f32_16x16x16_bf16 a[4:7], v[142:143], v[20:21], a[4:7]
	ds_read2_b64 v[18:21], v112 offset0:32 offset1:48
	ds_read2st64_b64 v[22:25], v112 offset0:4 offset1:8
	ds_read2st64_b64 v[26:29], v113 offset0:4 offset1:8
	;; [unrolled: 1-line block ×4, first 2 shown]
	s_waitcnt lgkmcnt(4)
	v_mfma_f32_16x16x16_bf16 a[8:11], v[142:143], v[18:19], a[8:11]
	v_ashrrev_i32_e32 v18, 31, v137
	v_mfma_f32_16x16x16_bf16 a[12:15], v[142:143], v[20:21], a[12:15]
	v_mul_lo_u32 v20, v18, s34
	v_mul_lo_u32 v21, v137, s35
	v_mad_u64_u32 v[18:19], s[24:25], v137, s34, 0
	v_add3_u32 v19, v19, v21, v20
	v_add_u32_e32 v20, 1, v137
	v_ashrrev_i32_e32 v21, 31, v20
	s_waitcnt lgkmcnt(3)
	v_mfma_f32_16x16x16_bf16 a[0:3], v[144:145], v[22:23], a[0:3]
	v_mul_lo_u32 v22, v21, s34
	v_mul_lo_u32 v23, v20, s35
	v_mad_u64_u32 v[20:21], s[24:25], v20, s34, 0
	v_add3_u32 v21, v21, v23, v22
	v_add_u32_e32 v22, 2, v137
	v_ashrrev_i32_e32 v23, 31, v22
	s_waitcnt lgkmcnt(2)
	v_mfma_f32_16x16x16_bf16 a[4:7], v[144:145], v[26:27], a[4:7]
	v_mul_lo_u32 v26, v23, s34
	v_mul_lo_u32 v27, v22, s35
	v_mad_u64_u32 v[22:23], s[24:25], v22, s34, 0
	v_add3_u32 v23, v23, v27, v26
	v_add_u32_e32 v26, 3, v137
	v_lshl_add_u64 v[18:19], v[18:19], 2, s[40:41]
	v_lshl_add_u64 v[20:21], v[20:21], 2, s[40:41]
	v_ashrrev_i32_e32 v27, 31, v26
	s_waitcnt lgkmcnt(1)
	v_mfma_f32_16x16x16_bf16 a[8:11], v[144:145], v[30:31], a[8:11]
	v_mul_lo_u32 v27, v27, s34
	global_load_dword v30, v[18:19], off
	global_load_dword v137, v[20:21], off
	v_mul_lo_u32 v31, v26, s35
	v_mad_u64_u32 v[18:19], s[24:25], v26, s34, 0
	v_add3_u32 v19, v19, v31, v27
	s_add_u32 s24, s2, s57
	v_lshl_add_u64 v[22:23], v[22:23], 2, s[40:41]
	v_lshl_add_u64 v[18:19], v[18:19], 2, s[40:41]
	s_addc_u32 s25, s3, 0
	s_waitcnt lgkmcnt(0)
	v_mfma_f32_16x16x16_bf16 a[12:15], v[144:145], v[138:139], a[12:15]
	global_load_dword v31, v[22:23], off
	global_load_dword v138, v[18:19], off
	s_lshl_b64 s[24:25], s[24:25], 8
	v_lshl_add_u64 v[18:19], v[68:69], 0, s[24:25]
	v_lshl_add_u64 v[18:19], v[18:19], 0, v[66:67]
	global_load_ushort v139, v[18:19], off offset:256
	global_load_ushort v142, v[18:19], off
	global_load_ushort v143, v[18:19], off offset:768
	global_load_ushort v144, v[18:19], off offset:512
	;; [unrolled: 1-line block ×6, first 2 shown]
	s_load_dword s42, s[42:43], 0x0
	v_mfma_f32_16x16x16_bf16 a[12:15], v[146:147], v[140:141], a[12:15]
	global_load_ushort v140, v[18:19], off offset:320
	global_load_ushort v141, v[18:19], off offset:64
	s_and_b64 vcc, exec, s[0:1]
	v_mfma_f32_16x16x16_bf16 a[0:3], v[146:147], v[24:25], a[0:3]
	ds_read_b64 v[20:21], v112 offset:6144
	ds_read_b64 v[22:23], v113 offset:6144
	;; [unrolled: 1-line block ×4, first 2 shown]
	v_mfma_f32_16x16x16_bf16 a[4:7], v[146:147], v[28:29], a[4:7]
	s_waitcnt vmcnt(11) lgkmcnt(0)
	v_sub_f32_e32 v28, s42, v31
	v_mfma_f32_16x16x16_bf16 a[8:11], v[146:147], v[32:33], a[8:11]
	global_load_ushort v146, v[18:19], off offset:832
	global_load_ushort v147, v[18:19], off offset:576
	;; [unrolled: 1-line block ×6, first 2 shown]
	v_mfma_f32_16x16x16_bf16 a[0:3], v[148:149], v[20:21], a[0:3]
	s_waitcnt vmcnt(16)
	v_sub_f32_e32 v29, s42, v138
	v_mul_f32_e32 v28, 0x3fb8aa3b, v28
	v_mul_f32_e32 v29, 0x3fb8aa3b, v29
	v_exp_f32_e32 v28, v28
	v_exp_f32_e32 v29, v29
	s_waitcnt vmcnt(15)
	v_lshlrev_b32_e32 v33, 16, v139
	s_waitcnt vmcnt(14)
	v_lshlrev_b32_e32 v32, 16, v142
	v_accvgpr_read_b32 v21, a3
	v_accvgpr_read_b32 v20, a2
	v_mfma_f32_16x16x16_bf16 a[2:5], v[148:149], v[22:23], a[4:7]
	v_accvgpr_read_b32 v139, a1
	v_accvgpr_read_b32 v138, a0
	v_pk_add_f32 v[32:33], v[32:33], v[138:139] neg_lo:[0,1] neg_hi:[0,1]
	v_mfma_f32_16x16x16_bf16 a[6:9], v[148:149], v[24:25], a[8:11]
	s_waitcnt vmcnt(13)
	v_lshlrev_b32_e32 v139, 16, v143
	s_waitcnt vmcnt(12)
	v_lshlrev_b32_e32 v138, 16, v144
	v_pk_add_f32 v[20:21], v[138:139], v[20:21] neg_lo:[0,1] neg_hi:[0,1]
	v_accvgpr_read_b32 v139, a3
	v_accvgpr_read_b32 v138, a2
	;; [unrolled: 1-line block ×6, first 2 shown]
	v_mfma_f32_16x16x16_bf16 a[8:11], v[148:149], v[26:27], a[12:15]
	v_sub_f32_e32 v26, s42, v30
	v_sub_f32_e32 v27, s42, v137
	v_mul_f32_e32 v26, 0x3fb8aa3b, v26
	v_mul_f32_e32 v27, 0x3fb8aa3b, v27
	v_exp_f32_e32 v26, v26
	v_exp_f32_e32 v27, v27
	v_lshl_add_u64 v[30:31], v[70:71], 0, s[24:25]
	v_lshl_add_u64 v[30:31], v[30:31], 0, v[66:67]
	global_store_short_d16_hi v[30:31], v32, off
	global_store_short_d16_hi v[30:31], v33, off offset:256
	global_store_short_d16_hi v[30:31], v20, off offset:512
	global_store_short_d16_hi v[30:31], v21, off offset:768
	v_pk_mul_f32 v[32:33], v[26:27], v[32:33]
	v_pk_mul_f32 v[20:21], v[28:29], v[20:21]
	v_accvgpr_read_b32 v25, a11
	v_perm_b32 v21, v21, v20, s37
	v_perm_b32 v20, v33, v32, s37
	s_waitcnt vmcnt(15)
	v_lshlrev_b32_e32 v33, 16, v145
	s_waitcnt vmcnt(14)
	v_lshlrev_b32_e32 v32, 16, v150
	v_pk_add_f32 v[32:33], v[32:33], v[138:139] neg_lo:[0,1] neg_hi:[0,1]
	s_waitcnt vmcnt(13)
	v_lshlrev_b32_e32 v139, 16, v151
	s_waitcnt vmcnt(12)
	v_lshlrev_b32_e32 v138, 16, v152
	v_pk_add_f32 v[22:23], v[138:139], v[22:23] neg_lo:[0,1] neg_hi:[0,1]
	global_store_short_d16_hi v[30:31], v32, off offset:32
	global_store_short_d16_hi v[30:31], v33, off offset:288
	;; [unrolled: 1-line block ×4, first 2 shown]
	v_pk_mul_f32 v[32:33], v[26:27], v[32:33]
	v_pk_mul_f32 v[22:23], v[28:29], v[22:23]
	v_accvgpr_read_b32 v24, a10
	v_perm_b32 v23, v23, v22, s37
	v_perm_b32 v22, v33, v32, s37
	ds_write2_b64 v89, v[20:21], v[22:23] offset1:16
	v_accvgpr_read_b32 v23, a7
	s_waitcnt vmcnt(15)
	v_lshlrev_b32_e32 v21, 16, v140
	s_waitcnt vmcnt(14)
	v_lshlrev_b32_e32 v20, 16, v141
	v_accvgpr_read_b32 v22, a6
	v_pk_add_f32 v[20:21], v[20:21], v[22:23] neg_lo:[0,1] neg_hi:[0,1]
	global_store_short_d16_hi v[30:31], v20, off offset:64
	global_store_short_d16_hi v[30:31], v21, off offset:320
	v_pk_mul_f32 v[20:21], v[26:27], v[20:21]
	v_mov_b32_e32 v137, 0
	v_perm_b32 v20, v21, v20, s37
	v_mov_b32_e32 v32, 0
	v_mov_b32_e32 v33, 0
	s_waitcnt vmcnt(15)
	v_lshlrev_b32_e32 v23, 16, v146
	s_waitcnt vmcnt(14)
	v_lshlrev_b32_e32 v22, 16, v147
	v_pk_add_f32 v[18:19], v[22:23], v[18:19] neg_lo:[0,1] neg_hi:[0,1]
	global_store_short_d16_hi v[30:31], v18, off offset:576
	global_store_short_d16_hi v[30:31], v19, off offset:832
	v_pk_mul_f32 v[18:19], v[28:29], v[18:19]
	v_accvgpr_read_b32 v23, a9
	v_perm_b32 v21, v19, v18, s37
	s_waitcnt vmcnt(15)
	v_lshlrev_b32_e32 v19, 16, v153
	s_waitcnt vmcnt(14)
	v_lshlrev_b32_e32 v18, 16, v154
	v_accvgpr_read_b32 v22, a8
	v_pk_add_f32 v[18:19], v[18:19], v[22:23] neg_lo:[0,1] neg_hi:[0,1]
	s_waitcnt vmcnt(13)
	v_lshlrev_b32_e32 v23, 16, v155
	s_waitcnt vmcnt(12)
	v_lshlrev_b32_e32 v22, 16, v156
	v_pk_add_f32 v[22:23], v[22:23], v[24:25] neg_lo:[0,1] neg_hi:[0,1]
	global_store_short_d16_hi v[30:31], v18, off offset:96
	global_store_short_d16_hi v[30:31], v19, off offset:352
	;; [unrolled: 1-line block ×4, first 2 shown]
	v_pk_mul_f32 v[18:19], v[26:27], v[18:19]
	v_pk_mul_f32 v[22:23], v[28:29], v[22:23]
	v_mov_b32_e32 v24, 0
	v_perm_b32 v23, v23, v22, s37
	v_perm_b32 v22, v19, v18, s37
	ds_write2_b64 v89, v[20:21], v[22:23] offset0:32 offset1:48
	v_mov_b32_e32 v18, 0
	v_mov_b32_e32 v19, 0
	;; [unrolled: 1-line block ×13, first 2 shown]
	s_cbranch_vccnz .LBB255_14
; %bb.13:                               ;   in Loop: Header=BB255_6 Depth=1
	s_and_b32 s29, s29, 0xffff
	s_mov_b32 s31, s27
	buffer_load_dwordx4 v[30:33], v126, s[28:31], 0 offen
	buffer_load_dwordx4 v[22:25], v126, s[28:31], s56 offen
	;; [unrolled: 1-line block ×4, first 2 shown]
	v_mov_b32_e32 v136, v83
	v_mov_b32_e32 v137, v82
.LBB255_14:                             ;   in Loop: Header=BB255_6 Depth=1
	s_waitcnt lgkmcnt(0)
	s_barrier
	ds_read_b64 v[146:147], v129
	ds_read2_b64 v[138:141], v119 offset1:16
	ds_read_b64 v[162:163], v130
	ds_read_b64 v[164:165], v131
	ds_read_b64 v[166:167], v132
	ds_read2_b64 v[142:145], v119 offset0:32 offset1:48
	s_waitcnt lgkmcnt(4)
	v_mfma_f32_16x16x16_bf16 a[0:3], v[146:147], v[138:139], 0
	ds_read2st64_b64 v[150:153], v121 offset0:4 offset1:8
	ds_read2st64_b64 v[154:157], v122 offset0:4 offset1:8
	;; [unrolled: 1-line block ×3, first 2 shown]
	v_mfma_f32_16x16x16_bf16 a[4:7], v[146:147], v[140:141], 0
	s_add_i32 s24, s50, s64
	s_mul_hi_i32 s25, s24, s17
	s_mul_i32 s24, s24, s17
	s_waitcnt lgkmcnt(3)
	v_mfma_f32_16x16x16_bf16 a[8:11], v[146:147], v[142:143], 0
	s_add_u32 s24, s24, s33
	s_addc_u32 s25, s25, s54
	s_lshl_b64 s[24:25], s[24:25], 15
	v_mfma_f32_16x16x16_bf16 a[12:15], v[146:147], v[144:145], 0
	ds_read2st64_b64 v[146:149], v119 offset0:4 offset1:8
	s_waitcnt lgkmcnt(0)
	v_mfma_f32_16x16x16_bf16 a[0:3], v[162:163], v[146:147], a[0:3]
	v_mfma_f32_16x16x16_bf16 a[4:7], v[162:163], v[150:151], a[4:7]
	v_mfma_f32_16x16x16_bf16 a[8:11], v[162:163], v[154:155], a[8:11]
	v_mfma_f32_16x16x16_bf16 a[12:15], v[162:163], v[158:159], a[12:15]
	v_mfma_f32_16x16x16_bf16 a[0:3], v[164:165], v[148:149], a[0:3]
	v_mfma_f32_16x16x16_bf16 a[4:7], v[164:165], v[152:153], a[4:7]
	v_mfma_f32_16x16x16_bf16 a[8:11], v[164:165], v[156:157], a[8:11]
	v_mfma_f32_16x16x16_bf16 a[12:15], v[164:165], v[160:161], a[12:15]
	ds_read_b64 v[162:163], v119 offset:6144
	ds_read_b64 v[164:165], v120 offset:40960
	;; [unrolled: 1-line block ×8, first 2 shown]
	s_waitcnt lgkmcnt(5)
	v_mfma_f32_16x16x16_bf16 a[16:19], v[168:169], v[138:139], 0
	v_mfma_f32_16x16x16_bf16 a[20:23], v[168:169], v[140:141], 0
	ds_read2st64_b64 v[138:141], v116 offset1:8
	v_mfma_f32_16x16x16_bf16 a[24:27], v[168:169], v[142:143], 0
	v_mfma_f32_16x16x16_bf16 a[28:31], v[168:169], v[144:145], 0
	ds_read2st64_b64 v[142:145], v117 offset1:8
	v_mfma_f32_16x16x16_bf16 a[16:19], v[164:165], v[146:147], a[16:19]
	s_waitcnt lgkmcnt(1)
	v_mov_b32_e32 v146, v138
	v_mov_b32_e32 v147, v139
	v_mfma_f32_16x16x16_bf16 a[20:23], v[164:165], v[150:151], a[20:23]
	v_lshl_add_u64 v[150:151], v[72:73], 0, s[24:25]
	v_mfma_f32_16x16x16_bf16 a[24:27], v[164:165], v[154:155], a[24:27]
	v_mfma_f32_16x16x16_bf16 a[28:31], v[164:165], v[158:159], a[28:31]
	;; [unrolled: 1-line block ×3, first 2 shown]
	s_waitcnt lgkmcnt(0)
	v_mov_b32_e32 v148, v142
	v_mov_b32_e32 v149, v143
	;; [unrolled: 1-line block ×3, first 2 shown]
	v_mfma_f32_16x16x16_bf16 a[32:35], v[176:177], v[152:153], a[20:23]
	v_mov_b32_e32 v143, v141
	ds_read2st64_b64 v[138:141], v116 offset0:16 offset1:24
	global_store_dwordx4 v[150:151], v[146:149], off
	v_mfma_f32_16x16x16_bf16 a[24:27], v[176:177], v[156:157], a[24:27]
	ds_read2st64_b64 v[146:149], v117 offset0:16 offset1:24
	v_add_co_u32_e32 v152, vcc, s39, v150
	v_mfma_f32_16x16x16_bf16 a[28:31], v[176:177], v[160:161], a[28:31]
	s_nop 0
	v_addc_co_u32_e32 v153, vcc, 0, v151, vcc
	global_store_dwordx4 v[152:153], v[142:145], off offset:-4096
	v_mfma_f32_16x16x16_bf16 a[0:3], v[166:167], v[162:163], a[0:3]
	s_waitcnt lgkmcnt(1)
	v_mov_b32_e32 v142, v138
	v_add_co_u32_e32 v138, vcc, s62, v150
	v_mfma_f32_16x16x16_bf16 a[4:7], v[166:167], v[170:171], a[4:7]
	v_mov_b32_e32 v143, v139
	v_addc_co_u32_e32 v139, vcc, 0, v151, vcc
	v_mfma_f32_16x16x16_bf16 a[8:11], v[166:167], v[172:173], a[8:11]
	s_waitcnt lgkmcnt(0)
	v_mov_b32_e32 v144, v146
	v_mov_b32_e32 v145, v147
	;; [unrolled: 1-line block ×3, first 2 shown]
	v_mfma_f32_16x16x16_bf16 a[12:15], v[166:167], v[174:175], a[12:15]
	v_mov_b32_e32 v147, v141
	s_and_b64 vcc, exec, s[0:1]
	global_store_dwordx4 v[152:153], v[142:145], off
	v_mfma_f32_16x16x16_bf16 a[20:23], v[178:179], v[162:163], a[16:19]
	global_store_dwordx4 v[138:139], v[146:149], off
	v_mfma_f32_16x16x16_bf16 a[16:19], v[178:179], v[170:171], a[32:35]
	v_mfma_f32_16x16x16_bf16 a[24:27], v[178:179], v[172:173], a[24:27]
	;; [unrolled: 1-line block ×3, first 2 shown]
	s_cbranch_vccnz .LBB255_16
; %bb.15:                               ;   in Loop: Header=BB255_6 Depth=1
	v_lshrrev_b32_e32 v138, 3, v136
	v_and_b32_e32 v138, 6, v138
	v_xor_b32_e32 v137, v138, v137
	v_lshlrev_b32_e32 v137, 2, v137
	v_and_b32_e32 v136, 8, v136
	v_xor_b32_e32 v139, 0x440, v137
	v_cmp_eq_u32_e32 vcc, 0, v136
	s_barrier
	s_nop 0
	v_cndmask_b32_e32 v136, v139, v137, vcc
	v_lshl_or_b32 v136, v138, 10, v136
	s_waitcnt vmcnt(5)
	v_perm_b32 v137, v30, v26, s58
	s_waitcnt vmcnt(4)
	v_perm_b32 v138, v22, v18, s58
	ds_write2st64_b32 v136, v137, v138 offset0:128 offset1:160
	v_xor_b32_e32 v137, 8, v136
	v_perm_b32 v26, v30, v26, s59
	v_perm_b32 v18, v22, v18, s59
	v_add_u32_e32 v22, 0x80, v137
	ds_write2st64_b32 v22, v26, v18 offset0:128 offset1:160
	v_xor_b32_e32 v18, 16, v136
	v_perm_b32 v22, v31, v27, s58
	v_perm_b32 v26, v23, v19, s58
	ds_write2st64_b32 v18, v22, v26 offset0:129 offset1:161
	v_xor_b32_e32 v18, 24, v136
	v_perm_b32 v22, v31, v27, s59
	v_perm_b32 v19, v23, v19, s59
	v_add_u32_e32 v18, 0x80, v18
	ds_write2st64_b32 v18, v22, v19 offset0:129 offset1:161
	v_xor_b32_e32 v18, 32, v136
	v_perm_b32 v19, v32, v28, s58
	v_perm_b32 v22, v24, v20, s58
	ds_write2st64_b32 v18, v19, v22 offset0:130 offset1:162
	v_xor_b32_e32 v18, 40, v136
	v_perm_b32 v19, v32, v28, s59
	v_perm_b32 v20, v24, v20, s59
	v_add_u32_e32 v18, 0x80, v18
	ds_write2st64_b32 v18, v19, v20 offset0:130 offset1:162
	v_xor_b32_e32 v18, 48, v136
	v_perm_b32 v19, v33, v29, s58
	v_perm_b32 v20, v25, v21, s58
	ds_write2st64_b32 v18, v19, v20 offset0:131 offset1:163
	v_xor_b32_e32 v18, 56, v136
	v_perm_b32 v19, v33, v29, s59
	v_perm_b32 v20, v25, v21, s59
	v_add_u32_e32 v18, 0x80, v18
	ds_write2st64_b32 v18, v19, v20 offset0:131 offset1:163
	ds_write_b64 v135, v[14:15] offset:49152
	v_xor_b32_e32 v14, 8, v135
	ds_write_b64 v14, v[16:17] offset:49152
	ds_write_b64 v135, v[10:11] offset:57344
	ds_write_b64 v14, v[12:13] offset:57344
	ds_write_b64 v134, v[6:7] offset:49152
	v_xor_b32_e32 v6, 8, v134
	ds_write_b64 v6, v[8:9] offset:49152
	ds_write_b64 v134, v[2:3] offset:57344
	;; [unrolled: 1-line block ×3, first 2 shown]
.LBB255_16:                             ;   in Loop: Header=BB255_6 Depth=1
	s_waitcnt vmcnt(6)
	v_mul_f32_e32 v22, s42, v133
	v_exp_f32_e32 v134, v22
	v_accvgpr_read_b32 v5, a3
	v_accvgpr_read_b32 v9, a7
	;; [unrolled: 1-line block ×4, first 2 shown]
	s_waitcnt vmcnt(4)
	v_accvgpr_read_b32 v18, a20
	v_accvgpr_read_b32 v25, a19
	;; [unrolled: 1-line block ×28, first 2 shown]
	s_add_i32 s57, s57, 64
	v_pk_fma_f32 v[62:63], v[134:135], v[62:63], v[2:3] op_sel_hi:[0,1,1]
	v_pk_fma_f32 v[64:65], v[134:135], v[64:65], v[4:5] op_sel_hi:[0,1,1]
	;; [unrolled: 1-line block ×15, first 2 shown]
	s_cmp_eq_u32 s48, s63
	v_pk_fma_f32 v[38:39], v[134:135], v[38:39], v[32:33] op_sel_hi:[0,1,1]
	s_cbranch_scc1 .LBB255_18
; %bb.17:                               ;   in Loop: Header=BB255_6 Depth=1
	s_mov_b32 s64, s63
	s_branch .LBB255_6
.LBB255_18:
	s_lshl_b32 s42, s48, 6
	s_sub_i32 s43, s16, s42
	s_cmp_gt_i32 s43, 0
	s_cbranch_scc0 .LBB255_99
; %bb.19:
	s_ashr_i32 s39, s47, 31
	s_ashr_i32 s2, s42, 31
	s_cmpk_lg_i32 s19, 0x80
	s_cselect_b64 s[30:31], -1, 0
	s_and_b64 vcc, exec, s[30:31]
	s_cbranch_vccz .LBB255_21
; %bb.20:
	s_mul_i32 s1, s47, s16
	s_mul_hi_i32 s0, s47, s16
	s_add_u32 s1, s1, s42
	s_addc_u32 s0, s0, s2
	s_mul_i32 s3, s1, s49
	s_mul_hi_u32 s24, s1, s18
	s_add_i32 s3, s24, s3
	s_mul_i32 s0, s0, s18
	s_add_i32 s3, s3, s0
	s_mul_i32 s1, s1, s18
	s_ashr_i32 s0, s52, 31
	s_add_u32 s40, s1, s52
	s_addc_u32 s41, s3, s0
	s_cbranch_execz .LBB255_22
	s_branch .LBB255_23
.LBB255_21:
                                        ; implicit-def: $sgpr40_sgpr41
.LBB255_22:
	s_mul_hi_i32 s0, s47, s18
	s_mul_i32 s47, s47, s18
	s_ashr_i32 s1, s52, 31
	s_add_u32 s3, s47, s52
	s_addc_u32 s0, s0, s1
	s_mul_i32 s1, s3, s46
	s_mul_hi_u32 s18, s3, s16
	s_add_i32 s1, s18, s1
	s_mul_i32 s0, s0, s16
	s_add_i32 s1, s1, s0
	s_mul_i32 s3, s3, s16
	s_add_u32 s40, s3, s42
	s_addc_u32 s41, s1, s2
.LBB255_23:
	s_add_i32 s3, s50, s48
	s_ashr_i32 s18, s33, 31
	s_add_u32 s0, s45, s33
	s_addc_u32 s1, s51, s18
	s_mul_i32 s24, s0, s46
	s_mul_hi_u32 s25, s0, s16
	s_add_i32 s24, s25, s24
	s_mul_i32 s1, s1, s16
	s_add_i32 s24, s24, s1
	s_mul_i32 s0, s0, s16
	s_add_u32 s0, s0, s42
	v_lshlrev_b32_e32 v6, 6, v80
	v_lshlrev_b32_e32 v24, 2, v74
	s_addc_u32 s1, s24, s2
	s_mov_b32 s2, 0x7060302
	v_or_b32_e32 v9, v6, v24
	v_xor_b32_e32 v7, v80, v24
	v_perm_b32 v3, v65, v64, s2
	v_perm_b32 v2, v63, v62, s2
	;; [unrolled: 1-line block ×4, first 2 shown]
	v_lshlrev_b32_e32 v9, 1, v9
	v_xor_b32_e32 v8, v81, v24
	ds_write2st64_b64 v9, v[2:3], v[4:5] offset0:32 offset1:48
	v_lshlrev_b32_e32 v7, 1, v7
	v_lshlrev_b32_e32 v9, 8, v74
	v_or_b32_e32 v10, v7, v9
	v_lshlrev_b32_e32 v8, 1, v8
	ds_write_b64 v10, v[2:3]
	v_or_b32_e32 v2, v8, v9
	v_or_b32_e32 v9, 16, v74
	v_lshlrev_b32_e32 v23, 2, v9
	v_or_b32_e32 v10, v6, v23
	ds_write_b64 v2, v[4:5]
	v_perm_b32 v3, v57, v56, s2
	v_perm_b32 v2, v55, v54, s2
	;; [unrolled: 1-line block ×4, first 2 shown]
	v_lshlrev_b32_e32 v10, 1, v10
	v_lshlrev_b32_e32 v9, 8, v9
	ds_write2st64_b64 v10, v[2:3], v[4:5] offset0:32 offset1:48
	v_or_b32_e32 v10, v7, v9
	ds_write_b64 v10, v[2:3]
	v_or_b32_e32 v2, v8, v9
	v_or_b32_e32 v9, 32, v74
	v_lshlrev_b32_e32 v22, 2, v9
	v_or_b32_e32 v10, v6, v22
	s_lshl_b64 s[28:29], s[0:1], 8
	ds_write_b64 v2, v[4:5]
	v_perm_b32 v3, v49, v48, s2
	v_perm_b32 v2, v47, v46, s2
	;; [unrolled: 1-line block ×4, first 2 shown]
	v_lshlrev_b32_e32 v10, 1, v10
	v_lshlrev_b32_e32 v9, 8, v9
	s_add_u32 s0, s6, s28
	ds_write2st64_b64 v10, v[2:3], v[4:5] offset0:32 offset1:48
	v_or_b32_e32 v10, v7, v9
	s_addc_u32 s1, s7, s29
	ds_write_b64 v10, v[2:3]
	v_or_b32_e32 v2, v8, v9
	v_or_b32_e32 v9, 48, v74
	s_mul_hi_i32 s6, s3, s17
	s_mul_i32 s3, s3, s17
	ds_write_b64 v2, v[4:5]
	v_perm_b32 v3, v35, v34, s2
	v_perm_b32 v2, v41, v40, s2
	;; [unrolled: 1-line block ×4, first 2 shown]
	v_lshlrev_b32_e32 v19, 2, v9
	s_add_u32 s2, s3, s33
	v_or_b32_e32 v6, v6, v19
	s_addc_u32 s3, s6, s18
	v_lshlrev_b32_e32 v6, 1, v6
	s_ashr_i32 s37, s36, 31
	s_lshl_b64 s[2:3], s[2:3], 15
	ds_write2st64_b64 v6, v[2:3], v[4:5] offset0:32 offset1:48
	v_lshlrev_b32_e32 v6, 8, v9
	s_add_u32 s6, s12, s2
	v_or_b32_e32 v7, v7, v6
	s_addc_u32 s7, s13, s3
	s_lshl_b64 s[2:3], s[36:37], 8
	ds_write_b64 v7, v[2:3]
	v_or_b32_e32 v2, v8, v6
	s_add_u32 s2, s6, s2
	v_lshlrev_b32_e32 v3, 1, v74
	ds_write_b64 v2, v[4:5]
	v_lshrrev_b32_e32 v2, 4, v0
	s_addc_u32 s3, s7, s3
	v_or_b32_e32 v4, 1, v3
	v_lshlrev_b32_e32 v10, 4, v74
	v_mov_b32_e32 v11, 0
	v_xor_b32_e32 v3, v2, v3
	v_xor_b32_e32 v6, v4, v2
	v_lshl_add_u64 v[12:13], s[2:3], 0, v[10:11]
	v_lshlrev_b32_e32 v10, 8, v2
	v_lshl_or_b32 v16, v3, 3, v10
	v_lshl_or_b32 v17, v6, 3, v10
	s_waitcnt lgkmcnt(0)
	s_barrier
	ds_read2st64_b64 v[2:5], v16 offset1:8
	ds_read2st64_b64 v[6:9], v17 offset1:8
	v_lshl_add_u64 v[14:15], v[12:13], 0, v[10:11]
	s_movk_i32 s2, 0x2000
	s_cmp_lg_u32 s43, 64
	s_waitcnt lgkmcnt(1)
	v_mov_b32_e32 v10, v2
	v_mov_b32_e32 v11, v3
	s_waitcnt lgkmcnt(0)
	v_mov_b32_e32 v12, v6
	v_mov_b32_e32 v13, v7
	global_store_dwordx4 v[14:15], v[10:13], off
	v_mov_b32_e32 v6, v4
	v_mov_b32_e32 v7, v5
	ds_read2st64_b64 v[2:5], v16 offset0:16 offset1:24
	ds_read2st64_b64 v[10:13], v17 offset0:16 offset1:24
	v_add_co_u32_e32 v16, vcc, s2, v14
	s_cselect_b64 s[6:7], -1, 0
	s_nop 0
	v_addc_co_u32_e32 v17, vcc, 0, v15, vcc
	global_store_dwordx4 v[16:17], v[6:9], off offset:-4096
	v_lshl_or_b32 v25, v76, 3, v79
	s_mov_b32 s24, 0
	s_waitcnt lgkmcnt(1)
	v_mov_b32_e32 v6, v2
	v_add_co_u32_e32 v2, vcc, 0x3000, v14
	v_mov_b32_e32 v7, v3
	s_nop 0
	v_addc_co_u32_e32 v3, vcc, 0, v15, vcc
	s_waitcnt lgkmcnt(0)
	v_mov_b32_e32 v8, v10
	v_mov_b32_e32 v9, v11
	;; [unrolled: 1-line block ×4, first 2 shown]
	v_or_b32_e32 v20, 32, v25
	v_and_b32_e32 v18, 56, v78
	s_and_b64 vcc, exec, s[6:7]
	global_store_dwordx4 v[16:17], v[6:9], off
	global_store_dwordx4 v[2:3], v[10:13], off
	s_cbranch_vccz .LBB255_29
; %bb.24:
	s_mov_b32 s25, s24
	s_mov_b32 s26, s24
	;; [unrolled: 1-line block ×3, first 2 shown]
	v_mov_b64_e32 v[6:7], s[24:25]
	v_mov_b64_e32 v[8:9], s[26:27]
	;; [unrolled: 1-line block ×3, first 2 shown]
	v_cmp_gt_i32_e32 vcc, s43, v25
	v_mov_b64_e32 v[4:5], v[8:9]
	s_and_saveexec_b64 s[2:3], vcc
	s_cbranch_execz .LBB255_26
; %bb.25:
	v_lshlrev_b32_e32 v2, 8, v25
	v_mov_b32_e32 v3, 0
	v_lshl_add_u64 v[4:5], s[0:1], 0, v[2:3]
	v_lshlrev_b32_e32 v2, 1, v18
	v_lshl_add_u64 v[10:11], v[4:5], 0, v[2:3]
	global_load_dwordx4 v[6:9], v[10:11], off
	global_load_dwordx4 v[2:5], v[10:11], off offset:128
.LBB255_26:
	s_or_b64 exec, exec, s[2:3]
	s_mov_b32 s25, s24
	s_mov_b32 s26, s24
	;; [unrolled: 1-line block ×3, first 2 shown]
	v_mov_b64_e32 v[14:15], s[24:25]
	v_mov_b64_e32 v[16:17], s[26:27]
	;; [unrolled: 1-line block ×3, first 2 shown]
	v_cmp_gt_i32_e32 vcc, s43, v20
	v_lshlrev_b32_e32 v21, 7, v20
	v_mov_b64_e32 v[12:13], v[16:17]
	s_and_saveexec_b64 s[2:3], vcc
	s_cbranch_execz .LBB255_28
; %bb.27:
	v_lshlrev_b32_e32 v10, 1, v21
	v_mov_b32_e32 v11, 0
	v_lshl_add_u64 v[12:13], s[0:1], 0, v[10:11]
	v_lshlrev_b32_e32 v10, 1, v18
	v_lshl_add_u64 v[26:27], v[12:13], 0, v[10:11]
	global_load_dwordx4 v[14:17], v[26:27], off
	global_load_dwordx4 v[10:13], v[26:27], off offset:128
.LBB255_28:
	s_or_b64 exec, exec, s[2:3]
	v_lshrrev_b32_e32 v26, 3, v18
	v_lshlrev_b32_e32 v27, 3, v25
	v_or_b32_e32 v26, v27, v26
	v_lshlrev_b32_e32 v26, 4, v26
	v_and_b32_e32 v27, 0x78, v27
	v_xor_b32_e32 v26, v26, v27
	s_branch .LBB255_31
.LBB255_29:
                                        ; implicit-def: $vgpr26
                                        ; implicit-def: $vgpr21
                                        ; implicit-def: $vgpr6_vgpr7_vgpr8_vgpr9
                                        ; implicit-def: $vgpr2_vgpr3_vgpr4_vgpr5
                                        ; implicit-def: $vgpr14_vgpr15_vgpr16_vgpr17
                                        ; implicit-def: $vgpr10_vgpr11_vgpr12_vgpr13
	s_cbranch_execz .LBB255_31
; %bb.30:
	s_waitcnt vmcnt(0)
	v_lshlrev_b32_e32 v2, 1, v18
	v_lshl_or_b32 v21, v25, 8, v2
	s_and_b32 s1, s1, 0xffff
	s_mov_b32 s3, 0x20000
	s_movk_i32 s2, 0x4000
	v_lshl_or_b32 v26, v20, 8, v2
	s_movk_i32 s12, 0x80
	buffer_load_dwordx4 v[6:9], v21, s[0:3], 0 offen
	buffer_load_dwordx4 v[2:5], v21, s[0:3], s12 offen
	buffer_load_dwordx4 v[14:17], v26, s[0:3], 0 offen
	buffer_load_dwordx4 v[10:13], v26, s[0:3], s12 offen
	v_lshrrev_b32_e32 v21, 3, v18
	v_lshlrev_b32_e32 v26, 3, v25
	v_or_b32_e32 v21, v26, v21
	v_lshlrev_b32_e32 v21, 4, v21
	v_and_b32_e32 v26, 0x78, v26
	v_xor_b32_e32 v26, v21, v26
	v_lshlrev_b32_e32 v21, 7, v20
.LBB255_31:
	s_movk_i32 s0, 0x1000
	v_and_or_b32 v20, v21, s0, v26
	s_waitcnt vmcnt(1)
	ds_write_b64 v26, v[6:7] offset:49152
	v_xor_b32_e32 v6, 8, v26
	ds_write_b64 v6, v[8:9] offset:49152
	s_waitcnt vmcnt(0)
	ds_write_b64 v26, v[2:3] offset:57344
	ds_write_b64 v6, v[4:5] offset:57344
	ds_write_b64 v20, v[14:15] offset:49152
	v_xor_b32_e32 v2, 8, v20
	ds_write_b64 v2, v[16:17] offset:49152
	ds_write_b64 v20, v[10:11] offset:57344
	;; [unrolled: 1-line block ×3, first 2 shown]
	v_or_b32_e32 v2, v1, v74
	v_lshlrev_b32_e32 v3, 11, v76
	v_lshlrev_b32_e32 v2, 3, v2
	v_and_b32_e32 v6, 0x1000, v3
	v_lshrrev_b32_e32 v3, 5, v75
	s_movk_i32 s0, 0xf8
	v_and_or_b32 v3, v2, s0, v3
	v_lshlrev_b32_e32 v7, 4, v3
	v_and_b32_e32 v8, 0x78, v2
	v_or_b32_e32 v10, 32, v7
	v_lshrrev_b32_e32 v3, 1, v75
	v_xor_b32_e32 v10, v10, v8
	v_xor_b32_e32 v2, v7, v8
	v_and_b32_e32 v9, 8, v3
	v_or_b32_e32 v10, v10, v6
	v_or_b32_e32 v2, v2, v6
	v_xor_b32_e32 v28, v10, v9
	v_or_b32_e32 v10, 64, v7
	v_xor_b32_e32 v27, v2, v9
	v_xor_b32_e32 v10, v10, v8
	s_waitcnt lgkmcnt(0)
	s_barrier
	v_or_b32_e32 v13, v10, v6
	ds_read_b64 v[10:11], v27 offset:49152
	v_lshl_or_b32 v14, v77, 8, v24
	v_lshlrev_b32_e32 v26, 1, v14
	v_add_u32_e32 v12, 0x4000, v26
	ds_read2_b64 v[2:5], v12 offset1:16
	v_or_b32_e32 v7, 0x60, v7
	v_xor_b32_e32 v7, v7, v8
	v_or_b32_e32 v6, v7, v6
	v_xor_b32_e32 v29, v13, v9
	v_xor_b32_e32 v30, v6, v9
	ds_read_b64 v[20:21], v28 offset:49152
	ds_read_b64 v[34:35], v29 offset:49152
	;; [unrolled: 1-line block ×3, first 2 shown]
	s_waitcnt lgkmcnt(3)
	v_mfma_f32_16x16x16_bf16 a[0:3], v[10:11], v[2:3], 0
	ds_read2_b64 v[6:9], v12 offset0:32 offset1:48
	s_lshl_b64 s[0:1], s[40:41], 8
	s_add_u32 s4, s4, s0
	v_mfma_f32_16x16x16_bf16 a[4:7], v[10:11], v[4:5], 0
	ds_read2st64_b64 v[2:5], v26 offset0:36 offset1:40
	s_addc_u32 s5, s5, s1
	s_add_i32 s2, s16, -1
	s_waitcnt lgkmcnt(1)
	v_mfma_f32_16x16x16_bf16 a[8:11], v[10:11], v[6:7], 0
	v_or_b32_e32 v6, 64, v14
	v_lshlrev_b32_e32 v31, 1, v6
	s_add_i32 s0, s44, s21
	s_waitcnt lgkmcnt(0)
	v_mfma_f32_16x16x16_bf16 a[0:3], v[20:21], v[2:3], a[0:3]
	v_or_b32_e32 v2, 0x80, v14
	v_lshlrev_b32_e32 v32, 1, v2
	v_or_b32_e32 v2, 0xc0, v14
	v_mfma_f32_16x16x16_bf16 a[12:15], v[10:11], v[8:9], 0
	ds_read2st64_b64 v[6:9], v31 offset0:36 offset1:40
	v_lshlrev_b32_e32 v33, 1, v2
	ds_read2st64_b64 v[10:13], v32 offset0:36 offset1:40
	ds_read2st64_b64 v[14:17], v33 offset0:36 offset1:40
	s_mul_i32 s39, s39, s20
	s_add_i32 s39, s0, s39
	s_mul_i32 s0, s33, s23
	s_mul_hi_u32 s1, s33, s22
	s_ashr_i32 s3, s2, 31
	s_mul_i32 s12, s2, s35
	s_mul_hi_u32 s13, s2, s34
	s_waitcnt lgkmcnt(2)
	v_mfma_f32_16x16x16_bf16 a[4:7], v[20:21], v[6:7], a[4:7]
	s_add_i32 s0, s1, s0
	s_mul_i32 s1, s18, s22
	s_add_i32 s12, s13, s12
	s_mul_i32 s3, s3, s34
	s_waitcnt lgkmcnt(1)
	v_mfma_f32_16x16x16_bf16 a[8:11], v[20:21], v[10:11], a[8:11]
	s_add_i32 s1, s0, s1
	s_add_i32 s3, s12, s3
	s_lshl_b64 s[12:13], s[38:39], 2
	s_waitcnt lgkmcnt(0)
	v_mfma_f32_16x16x16_bf16 a[12:15], v[20:21], v[14:15], a[12:15]
	s_mul_i32 s0, s33, s22
	s_add_u32 s10, s10, s12
	s_addc_u32 s11, s11, s13
	s_lshl_b64 s[0:1], s[0:1], 2
	v_mfma_f32_16x16x16_bf16 a[0:3], v[34:35], v[4:5], a[0:3]
	s_mul_i32 s2, s2, s34
	ds_read_b64 v[2:3], v26 offset:22528
	s_add_u32 s10, s10, s0
	v_mfma_f32_16x16x16_bf16 a[4:7], v[34:35], v[8:9], a[4:7]
	ds_read_b64 v[4:5], v31 offset:22528
	ds_read_b64 v[6:7], v32 offset:22528
	;; [unrolled: 1-line block ×3, first 2 shown]
	s_addc_u32 s11, s11, s1
	s_lshl_b64 s[0:1], s[2:3], 2
	v_mfma_f32_16x16x16_bf16 a[8:11], v[34:35], v[12:13], a[8:11]
	s_add_u32 s0, s10, s0
	s_addc_u32 s1, s11, s1
	s_load_dword s12, s[0:1], 0x0
	v_mfma_f32_16x16x16_bf16 a[12:15], v[34:35], v[16:17], a[12:15]
	s_and_b64 vcc, exec, s[30:31]
	s_waitcnt lgkmcnt(0)
	v_mfma_f32_16x16x16_bf16 a[0:3], v[36:37], v[2:3], a[0:3]
	v_mfma_f32_16x16x16_bf16 a[4:7], v[36:37], v[4:5], a[4:7]
	;; [unrolled: 1-line block ×4, first 2 shown]
	s_cbranch_vccz .LBB255_42
; %bb.32:
	v_lshlrev_b32_e32 v20, 1, v25
	s_and_b64 vcc, exec, s[6:7]
	s_cbranch_vccz .LBB255_43
; %bb.33:
	v_cmp_gt_i32_e32 vcc, s43, v20
	v_mov_b32_e32 v6, 0
	v_mov_b32_e32 v2, 0
	;; [unrolled: 1-line block ×5, first 2 shown]
	s_and_saveexec_b64 s[0:1], vcc
	s_cbranch_execz .LBB255_35
; %bb.34:
	v_mad_i64_i32 v[2:3], s[2:3], s19, v20, 0
	v_lshl_add_u64 v[2:3], v[2:3], 1, s[4:5]
	v_lshlrev_b32_e32 v4, 1, v18
	v_mov_b32_e32 v5, 0
	v_lshl_add_u64 v[2:3], v[2:3], 0, v[4:5]
	global_load_dwordx4 v[2:5], v[2:3], off
.LBB255_35:
	s_or_b64 exec, exec, s[0:1]
	v_or_b32_e32 v21, 1, v20
	v_cmp_gt_i32_e64 s[0:1], s43, v21
	v_mov_b32_e32 v7, 0
	v_mov_b32_e32 v8, 0
	v_mov_b32_e32 v9, 0
	s_and_saveexec_b64 s[2:3], s[0:1]
	s_cbranch_execz .LBB255_37
; %bb.36:
	v_mad_i64_i32 v[6:7], s[16:17], s19, v21, 0
	v_lshl_add_u64 v[6:7], v[6:7], 1, s[4:5]
	v_lshlrev_b32_e32 v8, 1, v18
	v_mov_b32_e32 v9, 0
	v_lshl_add_u64 v[6:7], v[6:7], 0, v[8:9]
	global_load_dwordx4 v[6:9], v[6:7], off
.LBB255_37:
	s_or_b64 exec, exec, s[2:3]
	v_mov_b32_e32 v17, 0
	v_mov_b32_e32 v10, 0
	;; [unrolled: 1-line block ×5, first 2 shown]
	s_and_saveexec_b64 s[2:3], vcc
	s_cbranch_execz .LBB255_39
; %bb.38:
	v_mad_i64_i32 v[10:11], s[16:17], s19, v20, 0
	v_lshl_add_u64 v[10:11], v[10:11], 1, s[4:5]
	v_lshlrev_b32_e32 v12, 1, v18
	v_mov_b32_e32 v13, 0
	v_lshl_add_u64 v[10:11], v[10:11], 0, v[12:13]
	global_load_dwordx4 v[10:13], v[10:11], off offset:128
.LBB255_39:
	s_or_b64 exec, exec, s[2:3]
	v_mov_b32_e32 v16, 0
	v_mov_b32_e32 v15, 0
	;; [unrolled: 1-line block ×3, first 2 shown]
	s_and_saveexec_b64 s[2:3], s[0:1]
	s_cbranch_execz .LBB255_41
; %bb.40:
	v_mad_i64_i32 v[14:15], s[0:1], s19, v21, 0
	v_lshl_add_u64 v[14:15], v[14:15], 1, s[4:5]
	v_lshlrev_b32_e32 v16, 1, v18
	v_mov_b32_e32 v17, 0
	v_lshl_add_u64 v[14:15], v[14:15], 0, v[16:17]
	global_load_dwordx4 v[14:17], v[14:15], off offset:128
.LBB255_41:
	s_or_b64 exec, exec, s[2:3]
	s_branch .LBB255_45
.LBB255_42:
                                        ; implicit-def: $vgpr5
                                        ; implicit-def: $vgpr9
                                        ; implicit-def: $vgpr13
                                        ; implicit-def: $vgpr17
	v_lshrrev_b32_e32 v34, 2, v75
	s_branch .LBB255_46
.LBB255_43:
                                        ; implicit-def: $vgpr5
                                        ; implicit-def: $vgpr9
                                        ; implicit-def: $vgpr13
                                        ; implicit-def: $vgpr17
	s_cbranch_execz .LBB255_45
; %bb.44:
	s_waitcnt vmcnt(0)
	v_mad_u64_u32 v[2:3], s[0:1], v20, s19, v[18:19]
	v_lshlrev_b32_e32 v20, 1, v2
	s_lshl_b32 s2, s19, 7
	s_and_b32 s1, s5, 0xffff
	s_mov_b32 s3, 0x20000
	s_mov_b32 s0, s4
	v_add_lshl_u32 v21, v2, s19, 1
	s_movk_i32 s13, 0x80
	buffer_load_dwordx4 v[2:5], v20, s[0:3], 0 offen
	buffer_load_dwordx4 v[10:13], v20, s[0:3], s13 offen
	;; [unrolled: 1-line block ×4, first 2 shown]
.LBB255_45:
	v_lshrrev_b32_e32 v34, 2, v75
	s_cbranch_execnz .LBB255_58
.LBB255_46:
	s_and_b64 vcc, exec, s[6:7]
	s_cbranch_vccz .LBB255_56
; %bb.47:
	s_waitcnt vmcnt(0)
	v_lshlrev_b32_e32 v7, 1, v25
	v_cmp_gt_i32_e32 vcc, s43, v7
	v_mov_b32_e32 v6, 0
	v_lshlrev_b32_e32 v14, 9, v25
	v_mov_b32_e32 v2, 0
	v_mov_b32_e32 v3, 0
	;; [unrolled: 1-line block ×4, first 2 shown]
	s_and_saveexec_b64 s[0:1], vcc
	s_cbranch_execz .LBB255_49
; %bb.48:
	v_mov_b32_e32 v15, 0
	v_lshl_add_u64 v[2:3], s[4:5], 0, v[14:15]
	v_lshlrev_b32_e32 v4, 1, v18
	v_mov_b32_e32 v5, v15
	v_lshl_add_u64 v[2:3], v[2:3], 0, v[4:5]
	global_load_dwordx4 v[2:5], v[2:3], off
.LBB255_49:
	s_or_b64 exec, exec, s[0:1]
	v_or_b32_e32 v7, 1, v7
	v_cmp_gt_i32_e64 s[0:1], s43, v7
	v_lshlrev_b32_e32 v20, 8, v7
	v_mov_b32_e32 v7, 0
	v_mov_b32_e32 v8, 0
	;; [unrolled: 1-line block ×3, first 2 shown]
	s_and_saveexec_b64 s[2:3], s[0:1]
	s_cbranch_execz .LBB255_51
; %bb.50:
	v_mov_b32_e32 v21, 0
	v_lshl_add_u64 v[6:7], s[4:5], 0, v[20:21]
	v_lshlrev_b32_e32 v8, 1, v18
	v_mov_b32_e32 v9, v21
	v_lshl_add_u64 v[6:7], v[6:7], 0, v[8:9]
	global_load_dwordx4 v[6:9], v[6:7], off
.LBB255_51:
	s_or_b64 exec, exec, s[2:3]
	v_mov_b32_e32 v17, 0
	v_mov_b32_e32 v10, 0
	v_mov_b32_e32 v11, 0
	v_mov_b32_e32 v12, 0
	v_mov_b32_e32 v13, 0
	s_and_saveexec_b64 s[2:3], vcc
	s_cbranch_execz .LBB255_53
; %bb.52:
	v_mov_b32_e32 v15, 0
	v_lshl_add_u64 v[10:11], s[4:5], 0, v[14:15]
	v_lshlrev_b32_e32 v14, 1, v18
	v_lshl_add_u64 v[10:11], v[10:11], 0, v[14:15]
	global_load_dwordx4 v[10:13], v[10:11], off offset:128
.LBB255_53:
	s_or_b64 exec, exec, s[2:3]
	v_mov_b32_e32 v16, 0
	v_mov_b32_e32 v15, 0
	v_mov_b32_e32 v14, 0
	s_and_saveexec_b64 s[2:3], s[0:1]
	s_cbranch_execz .LBB255_55
; %bb.54:
	v_mov_b32_e32 v21, 0
	v_lshl_add_u64 v[14:15], s[4:5], 0, v[20:21]
	v_lshlrev_b32_e32 v20, 1, v18
	v_lshl_add_u64 v[14:15], v[14:15], 0, v[20:21]
	global_load_dwordx4 v[14:17], v[14:15], off offset:128
.LBB255_55:
	s_or_b64 exec, exec, s[2:3]
	s_branch .LBB255_58
.LBB255_56:
                                        ; implicit-def: $vgpr5
                                        ; implicit-def: $vgpr9
                                        ; implicit-def: $vgpr13
                                        ; implicit-def: $vgpr17
	s_cbranch_execz .LBB255_58
; %bb.57:
	s_waitcnt vmcnt(0)
	v_lshlrev_b32_e32 v2, 1, v18
	v_lshl_or_b32 v18, v25, 9, v2
	s_and_b32 s5, s5, 0xffff
	s_mov_b32 s7, 0x20000
	s_movk_i32 s6, 0x4000
	s_movk_i32 s0, 0x80
	buffer_load_dwordx4 v[2:5], v18, s[4:7], 0 offen
	buffer_load_dwordx4 v[6:9], v18, s[4:7], 0 offen offset:256
	buffer_load_dwordx4 v[10:13], v18, s[4:7], s0 offen
	buffer_load_dwordx4 v[14:17], v18, s[4:7], s0 offen offset:256
.LBB255_58:
	ds_read_b64 v[20:21], v27 offset:57344
	v_add_u32_e32 v18, 0x6000, v26
	ds_read2_b64 v[36:39], v18 offset1:16
	ds_read_b64 v[52:53], v28 offset:57344
	ds_read_b64 v[28:29], v29 offset:57344
	;; [unrolled: 1-line block ×3, first 2 shown]
	ds_read2st64_b64 v[40:43], v26 offset0:52 offset1:56
	s_mov_b32 s0, 0x1000504
	s_mov_b32 s1, 0x3020706
	s_waitcnt lgkmcnt(4)
	v_mfma_f32_16x16x16_bf16 a[0:3], v[20:21], v[36:37], a[0:3]
	v_mfma_f32_16x16x16_bf16 a[4:7], v[20:21], v[38:39], a[4:7]
	ds_read2_b64 v[36:39], v18 offset0:32 offset1:48
	v_and_b32_e32 v18, 6, v0
	v_xor_b32_e32 v25, v25, v18
	s_waitcnt lgkmcnt(0)
	v_mfma_f32_16x16x16_bf16 a[8:11], v[20:21], v[36:37], a[8:11]
	v_lshlrev_b32_e32 v25, 2, v25
	v_and_b32_e32 v0, 1, v0
	v_xor_b32_e32 v35, 0x440, v25
	v_mfma_f32_16x16x16_bf16 a[12:15], v[20:21], v[38:39], a[12:15]
	ds_read2st64_b64 v[36:39], v31 offset0:52 offset1:56
	ds_read2st64_b64 v[44:47], v32 offset0:52 offset1:56
	;; [unrolled: 1-line block ×3, first 2 shown]
	v_cmp_eq_u32_e32 vcc, 0, v0
	ds_read_b64 v[20:21], v26 offset:30720
	ds_read_b64 v[26:27], v31 offset:30720
	;; [unrolled: 1-line block ×4, first 2 shown]
	v_mfma_f32_16x16x16_bf16 a[0:3], v[52:53], v[40:41], a[0:3]
	v_cndmask_b32_e32 v0, v35, v25, vcc
	v_lshl_or_b32 v0, v18, 10, v0
	s_waitcnt vmcnt(0)
	v_perm_b32 v18, v2, v6, s0
	s_waitcnt lgkmcnt(6)
	v_mfma_f32_16x16x16_bf16 a[4:7], v[52:53], v[36:37], a[4:7]
	v_perm_b32 v25, v10, v14, s0
	ds_write2st64_b32 v0, v18, v25 offset0:128 offset1:160
	v_xor_b32_e32 v18, 8, v0
	s_waitcnt lgkmcnt(6)
	v_mfma_f32_16x16x16_bf16 a[8:11], v[52:53], v[44:45], a[8:11]
	v_perm_b32 v2, v2, v6, s1
	v_perm_b32 v6, v10, v14, s1
	v_add_u32_e32 v10, 0x80, v18
	s_waitcnt lgkmcnt(5)
	v_mfma_f32_16x16x16_bf16 a[12:15], v[52:53], v[48:49], a[12:15]
	ds_write2st64_b32 v10, v2, v6 offset0:128 offset1:160
	v_xor_b32_e32 v2, 16, v0
	v_perm_b32 v6, v3, v7, s0
	v_mfma_f32_16x16x16_bf16 a[0:3], v[28:29], v[42:43], a[0:3]
	v_perm_b32 v10, v11, v15, s0
	ds_write2st64_b32 v2, v6, v10 offset0:129 offset1:161
	v_xor_b32_e32 v2, 24, v0
	v_mfma_f32_16x16x16_bf16 a[4:7], v[28:29], v[38:39], a[4:7]
	v_perm_b32 v3, v3, v7, s1
	v_perm_b32 v6, v11, v15, s1
	v_add_u32_e32 v2, 0x80, v2
	v_mfma_f32_16x16x16_bf16 a[16:19], v[28:29], v[46:47], a[8:11]
	ds_write2st64_b32 v2, v3, v6 offset0:129 offset1:161
	v_xor_b32_e32 v2, 32, v0
	v_perm_b32 v3, v4, v8, s0
	v_mfma_f32_16x16x16_bf16 a[20:23], v[28:29], v[50:51], a[12:15]
	v_perm_b32 v6, v12, v16, s0
	ds_write2st64_b32 v2, v3, v6 offset0:130 offset1:162
	v_xor_b32_e32 v2, 40, v0
	s_waitcnt lgkmcnt(8)
	v_mfma_f32_16x16x16_bf16 a[12:15], v[54:55], v[20:21], a[0:3]
	v_perm_b32 v3, v4, v8, s1
	v_perm_b32 v4, v12, v16, s1
	v_add_u32_e32 v2, 0x80, v2
	s_waitcnt lgkmcnt(7)
	v_mfma_f32_16x16x16_bf16 a[8:11], v[54:55], v[26:27], a[4:7]
	ds_write2st64_b32 v2, v3, v4 offset0:130 offset1:162
	v_xor_b32_e32 v2, 48, v0
	v_perm_b32 v3, v5, v9, s0
	s_waitcnt lgkmcnt(7)
	v_mfma_f32_16x16x16_bf16 a[4:7], v[54:55], v[30:31], a[16:19]
	v_perm_b32 v4, v13, v17, s0
	v_xor_b32_e32 v0, 56, v0
	v_and_or_b32 v21, v34, 12, v1
	s_waitcnt lgkmcnt(6)
	v_mfma_f32_16x16x16_bf16 a[0:3], v[54:55], v[32:33], a[20:23]
	ds_write2st64_b32 v2, v3, v4 offset0:131 offset1:163
	v_perm_b32 v2, v5, v9, s1
	v_perm_b32 v3, v13, v17, s1
	v_add_u32_e32 v0, 0x80, v0
	v_cmp_gt_i32_e32 vcc, s43, v21
	v_mov_b32_e32 v16, 0
	v_mov_b32_e32 v18, 0
	ds_write2st64_b32 v0, v2, v3 offset0:131 offset1:163
	s_and_saveexec_b64 s[0:1], vcc
	s_cbranch_execz .LBB255_60
; %bb.59:
	v_add_u32_e32 v0, s42, v21
	v_ashrrev_i32_e32 v1, 31, v0
	v_mul_lo_u32 v2, v1, s34
	v_mul_lo_u32 v3, v0, s35
	v_mad_u64_u32 v[0:1], s[2:3], v0, s34, 0
	v_add3_u32 v1, v1, v3, v2
	v_lshl_add_u64 v[0:1], v[0:1], 2, s[10:11]
	global_load_dword v0, v[0:1], off
	s_waitcnt vmcnt(0)
	v_sub_f32_e32 v0, s12, v0
	v_mul_f32_e32 v0, 0x3fb8aa3b, v0
	v_exp_f32_e32 v18, v0
.LBB255_60:
	s_or_b64 exec, exec, s[0:1]
	v_or_b32_e32 v10, 1, v21
	v_cmp_gt_i32_e64 s[0:1], s43, v10
	s_and_saveexec_b64 s[2:3], s[0:1]
	s_cbranch_execz .LBB255_62
; %bb.61:
	v_add_u32_e32 v0, s42, v10
	v_ashrrev_i32_e32 v1, 31, v0
	v_mul_lo_u32 v2, v1, s34
	v_mul_lo_u32 v3, v0, s35
	v_mad_u64_u32 v[0:1], s[4:5], v0, s34, 0
	v_add3_u32 v1, v1, v3, v2
	v_lshl_add_u64 v[0:1], v[0:1], 2, s[10:11]
	global_load_dword v0, v[0:1], off
	s_waitcnt vmcnt(0)
	v_sub_f32_e32 v0, s12, v0
	v_mul_f32_e32 v0, 0x3fb8aa3b, v0
	v_exp_f32_e32 v16, v0
.LBB255_62:
	s_or_b64 exec, exec, s[2:3]
	v_or_b32_e32 v12, 2, v21
	v_cmp_gt_i32_e64 s[2:3], s43, v12
	v_mov_b32_e32 v17, 0
	v_mov_b32_e32 v20, 0
	s_and_saveexec_b64 s[4:5], s[2:3]
	s_cbranch_execz .LBB255_64
; %bb.63:
	v_add_u32_e32 v0, s42, v12
	v_ashrrev_i32_e32 v1, 31, v0
	v_mul_lo_u32 v2, v1, s34
	v_mul_lo_u32 v3, v0, s35
	v_mad_u64_u32 v[0:1], s[6:7], v0, s34, 0
	v_add3_u32 v1, v1, v3, v2
	v_lshl_add_u64 v[0:1], v[0:1], 2, s[10:11]
	global_load_dword v0, v[0:1], off
	s_waitcnt vmcnt(0)
	v_sub_f32_e32 v0, s12, v0
	v_mul_f32_e32 v0, 0x3fb8aa3b, v0
	v_exp_f32_e32 v20, v0
.LBB255_64:
	s_or_b64 exec, exec, s[4:5]
	v_or_b32_e32 v14, 3, v21
	v_cmp_gt_i32_e64 s[4:5], s43, v14
	s_and_saveexec_b64 s[6:7], s[4:5]
	s_cbranch_execz .LBB255_66
; %bb.65:
	v_add_u32_e32 v0, s42, v14
	v_ashrrev_i32_e32 v1, 31, v0
	v_mul_lo_u32 v2, v1, s34
	v_mul_lo_u32 v3, v0, s35
	v_mad_u64_u32 v[0:1], s[16:17], v0, s34, 0
	v_add3_u32 v1, v1, v3, v2
	v_lshl_add_u64 v[0:1], v[0:1], 2, s[10:11]
	global_load_dword v0, v[0:1], off
	s_waitcnt vmcnt(0)
	v_sub_f32_e32 v0, s12, v0
	v_mul_f32_e32 v0, 0x3fb8aa3b, v0
	v_exp_f32_e32 v17, v0
.LBB255_66:
	s_or_b64 exec, exec, s[6:7]
	s_add_u32 s6, s8, s28
	v_or_b32_e32 v4, s36, v74
	s_addc_u32 s7, s9, s29
	s_add_u32 s8, s14, s28
	v_ashrrev_i32_e32 v5, 31, v4
	v_accvgpr_read_b32 v0, a12
	s_addc_u32 s9, s15, s29
	v_lshlrev_b64 v[4:5], 1, v[4:5]
	v_accvgpr_read_b32 v1, a13
	v_accvgpr_read_b32 v2, a14
	;; [unrolled: 1-line block ×3, first 2 shown]
	v_lshl_add_u64 v[6:7], s[6:7], 0, v[4:5]
	v_lshl_add_u64 v[4:5], s[8:9], 0, v[4:5]
	v_mov_b32_e32 v11, 0
	v_lshlrev_b32_e32 v8, 8, v21
	v_mov_b32_e32 v9, 0
	s_and_saveexec_b64 s[6:7], vcc
	s_cbranch_execz .LBB255_68
; %bb.67:
	v_mov_b32_e32 v9, 0
	v_lshl_add_u64 v[26:27], v[6:7], 0, v[8:9]
	global_load_ushort v13, v[26:27], off
	v_lshl_add_u64 v[26:27], v[4:5], 0, v[8:9]
	s_waitcnt vmcnt(0)
	v_lshlrev_b32_e32 v9, 16, v13
	v_sub_f32_e32 v0, v9, v0
	global_store_short_d16_hi v[26:27], v0, off
	v_mul_f32_e32 v0, v18, v0
	v_lshrrev_b32_e32 v9, 16, v0
.LBB255_68:
	s_or_b64 exec, exec, s[6:7]
	v_lshlrev_b32_e32 v10, 8, v10
	s_and_saveexec_b64 s[6:7], s[0:1]
	s_cbranch_execz .LBB255_70
; %bb.69:
	v_mov_b32_e32 v11, 0
	v_lshl_add_u64 v[26:27], v[6:7], 0, v[10:11]
	global_load_ushort v0, v[26:27], off
	v_lshl_add_u64 v[26:27], v[4:5], 0, v[10:11]
	s_waitcnt vmcnt(0)
	v_lshlrev_b32_e32 v0, 16, v0
	v_sub_f32_e32 v0, v0, v1
	global_store_short_d16_hi v[26:27], v0, off
	v_mul_f32_e32 v0, v16, v0
	v_lshrrev_b32_e32 v11, 16, v0
.LBB255_70:
	s_or_b64 exec, exec, s[6:7]
	v_mov_b32_e32 v15, 0
	v_lshlrev_b32_e32 v12, 8, v12
	v_mov_b32_e32 v13, 0
	s_and_saveexec_b64 s[6:7], s[2:3]
	s_cbranch_execz .LBB255_72
; %bb.71:
	v_mov_b32_e32 v13, 0
	v_lshl_add_u64 v[0:1], v[6:7], 0, v[12:13]
	global_load_ushort v25, v[0:1], off
	v_lshl_add_u64 v[0:1], v[4:5], 0, v[12:13]
	s_waitcnt vmcnt(0)
	v_lshlrev_b32_e32 v13, 16, v25
	v_sub_f32_e32 v2, v13, v2
	global_store_short_d16_hi v[0:1], v2, off
	v_mul_f32_e32 v0, v20, v2
	v_lshrrev_b32_e32 v13, 16, v0
.LBB255_72:
	s_or_b64 exec, exec, s[6:7]
	v_lshlrev_b32_e32 v14, 8, v14
	s_and_saveexec_b64 s[6:7], s[4:5]
	s_cbranch_execz .LBB255_74
; %bb.73:
	v_mov_b32_e32 v15, 0
	v_lshl_add_u64 v[0:1], v[6:7], 0, v[14:15]
	global_load_ushort v2, v[0:1], off
	v_lshl_add_u64 v[0:1], v[4:5], 0, v[14:15]
	s_waitcnt vmcnt(0)
	v_lshlrev_b32_e32 v2, 16, v2
	v_sub_f32_e32 v2, v2, v3
	global_store_short_d16_hi v[0:1], v2, off
	v_mul_f32_e32 v0, v17, v2
	v_lshrrev_b32_e32 v15, 16, v0
.LBB255_74:
	s_or_b64 exec, exec, s[6:7]
	v_lshlrev_b32_e32 v21, 6, v21
	s_mov_b32 s6, 0x5040100
	v_perm_b32 v26, v11, v9, s6
	v_or_b32_e32 v9, v21, v24
	v_accvgpr_read_b32 v0, a8
	v_perm_b32 v27, v15, v13, s6
	v_lshlrev_b32_e32 v9, 1, v9
	v_accvgpr_read_b32 v1, a9
	v_accvgpr_read_b32 v2, a10
	;; [unrolled: 1-line block ×3, first 2 shown]
	ds_write_b64 v9, v[26:27] offset:24576
	v_mov_b32_e32 v11, 0
	v_mov_b32_e32 v9, 0
	s_and_saveexec_b64 s[6:7], vcc
	s_cbranch_execz .LBB255_76
; %bb.75:
	v_mov_b32_e32 v9, 0
	v_lshl_add_u64 v[24:25], v[6:7], 0, v[8:9]
	global_load_ushort v13, v[24:25], off offset:32
	v_lshl_add_u64 v[24:25], v[4:5], 0, v[8:9]
	s_waitcnt vmcnt(0)
	v_lshlrev_b32_e32 v9, 16, v13
	v_sub_f32_e32 v0, v9, v0
	global_store_short_d16_hi v[24:25], v0, off offset:32
	v_mul_f32_e32 v0, v18, v0
	v_lshrrev_b32_e32 v9, 16, v0
.LBB255_76:
	s_or_b64 exec, exec, s[6:7]
	s_and_saveexec_b64 s[6:7], s[0:1]
	s_cbranch_execz .LBB255_78
; %bb.77:
	v_mov_b32_e32 v11, 0
	v_lshl_add_u64 v[24:25], v[6:7], 0, v[10:11]
	global_load_ushort v0, v[24:25], off offset:32
	v_lshl_add_u64 v[24:25], v[4:5], 0, v[10:11]
	s_waitcnt vmcnt(0)
	v_lshlrev_b32_e32 v0, 16, v0
	v_sub_f32_e32 v0, v0, v1
	global_store_short_d16_hi v[24:25], v0, off offset:32
	v_mul_f32_e32 v0, v16, v0
	v_lshrrev_b32_e32 v11, 16, v0
.LBB255_78:
	s_or_b64 exec, exec, s[6:7]
	v_mov_b32_e32 v15, 0
	v_mov_b32_e32 v13, 0
	s_and_saveexec_b64 s[6:7], s[2:3]
	s_cbranch_execz .LBB255_80
; %bb.79:
	v_mov_b32_e32 v13, 0
	v_lshl_add_u64 v[0:1], v[6:7], 0, v[12:13]
	global_load_ushort v24, v[0:1], off offset:32
	v_lshl_add_u64 v[0:1], v[4:5], 0, v[12:13]
	s_waitcnt vmcnt(0)
	v_lshlrev_b32_e32 v13, 16, v24
	v_sub_f32_e32 v2, v13, v2
	global_store_short_d16_hi v[0:1], v2, off offset:32
	v_mul_f32_e32 v0, v20, v2
	v_lshrrev_b32_e32 v13, 16, v0
.LBB255_80:
	s_or_b64 exec, exec, s[6:7]
	s_and_saveexec_b64 s[6:7], s[4:5]
	s_cbranch_execz .LBB255_82
; %bb.81:
	v_mov_b32_e32 v15, 0
	v_lshl_add_u64 v[0:1], v[6:7], 0, v[14:15]
	global_load_ushort v2, v[0:1], off offset:32
	v_lshl_add_u64 v[0:1], v[4:5], 0, v[14:15]
	s_waitcnt vmcnt(0)
	v_lshlrev_b32_e32 v2, 16, v2
	v_sub_f32_e32 v2, v2, v3
	global_store_short_d16_hi v[0:1], v2, off offset:32
	v_mul_f32_e32 v0, v17, v2
	v_lshrrev_b32_e32 v15, 16, v0
.LBB255_82:
	s_or_b64 exec, exec, s[6:7]
	s_mov_b32 s6, 0x5040100
	v_perm_b32 v24, v11, v9, s6
	v_or_b32_e32 v9, v21, v23
	v_accvgpr_read_b32 v0, a4
	v_perm_b32 v25, v15, v13, s6
	v_lshlrev_b32_e32 v9, 1, v9
	v_accvgpr_read_b32 v1, a5
	v_accvgpr_read_b32 v2, a6
	;; [unrolled: 1-line block ×3, first 2 shown]
	ds_write_b64 v9, v[24:25] offset:24576
	v_mov_b32_e32 v11, 0
	v_mov_b32_e32 v9, 0
	s_and_saveexec_b64 s[6:7], vcc
	s_cbranch_execz .LBB255_84
; %bb.83:
	v_mov_b32_e32 v9, 0
	v_lshl_add_u64 v[24:25], v[6:7], 0, v[8:9]
	global_load_ushort v13, v[24:25], off offset:64
	v_lshl_add_u64 v[24:25], v[4:5], 0, v[8:9]
	s_waitcnt vmcnt(0)
	v_lshlrev_b32_e32 v9, 16, v13
	v_sub_f32_e32 v0, v9, v0
	global_store_short_d16_hi v[24:25], v0, off offset:64
	v_mul_f32_e32 v0, v18, v0
	v_lshrrev_b32_e32 v9, 16, v0
.LBB255_84:
	s_or_b64 exec, exec, s[6:7]
	s_and_saveexec_b64 s[6:7], s[0:1]
	s_cbranch_execz .LBB255_86
; %bb.85:
	v_mov_b32_e32 v11, 0
	v_lshl_add_u64 v[24:25], v[6:7], 0, v[10:11]
	global_load_ushort v0, v[24:25], off offset:64
	v_lshl_add_u64 v[24:25], v[4:5], 0, v[10:11]
	s_waitcnt vmcnt(0)
	v_lshlrev_b32_e32 v0, 16, v0
	v_sub_f32_e32 v0, v0, v1
	global_store_short_d16_hi v[24:25], v0, off offset:64
	v_mul_f32_e32 v0, v16, v0
	v_lshrrev_b32_e32 v11, 16, v0
.LBB255_86:
	s_or_b64 exec, exec, s[6:7]
	v_mov_b32_e32 v15, 0
	v_mov_b32_e32 v13, 0
	s_and_saveexec_b64 s[6:7], s[2:3]
	s_cbranch_execz .LBB255_88
; %bb.87:
	v_mov_b32_e32 v13, 0
	v_lshl_add_u64 v[0:1], v[6:7], 0, v[12:13]
	global_load_ushort v23, v[0:1], off offset:64
	v_lshl_add_u64 v[0:1], v[4:5], 0, v[12:13]
	s_waitcnt vmcnt(0)
	v_lshlrev_b32_e32 v13, 16, v23
	v_sub_f32_e32 v2, v13, v2
	global_store_short_d16_hi v[0:1], v2, off offset:64
	v_mul_f32_e32 v0, v20, v2
	v_lshrrev_b32_e32 v13, 16, v0
.LBB255_88:
	s_or_b64 exec, exec, s[6:7]
	s_and_saveexec_b64 s[6:7], s[4:5]
	s_cbranch_execz .LBB255_90
; %bb.89:
	v_mov_b32_e32 v15, 0
	v_lshl_add_u64 v[0:1], v[6:7], 0, v[14:15]
	global_load_ushort v2, v[0:1], off offset:64
	v_lshl_add_u64 v[0:1], v[4:5], 0, v[14:15]
	s_waitcnt vmcnt(0)
	v_lshlrev_b32_e32 v2, 16, v2
	v_sub_f32_e32 v2, v2, v3
	global_store_short_d16_hi v[0:1], v2, off offset:64
	v_mul_f32_e32 v0, v17, v2
	v_lshrrev_b32_e32 v15, 16, v0
.LBB255_90:
	s_or_b64 exec, exec, s[6:7]
	s_mov_b32 s6, 0x5040100
	v_perm_b32 v24, v11, v9, s6
	v_or_b32_e32 v9, v21, v22
	v_accvgpr_read_b32 v0, a0
	v_perm_b32 v25, v15, v13, s6
	v_lshlrev_b32_e32 v9, 1, v9
	v_accvgpr_read_b32 v1, a1
	v_accvgpr_read_b32 v2, a2
	;; [unrolled: 1-line block ×3, first 2 shown]
	ds_write_b64 v9, v[24:25] offset:24576
	v_mov_b32_e32 v11, 0
	v_mov_b32_e32 v9, 0
	s_and_saveexec_b64 s[6:7], vcc
	s_cbranch_execz .LBB255_92
; %bb.91:
	v_mov_b32_e32 v9, 0
	v_lshl_add_u64 v[22:23], v[6:7], 0, v[8:9]
	global_load_ushort v13, v[22:23], off offset:96
	v_lshl_add_u64 v[8:9], v[4:5], 0, v[8:9]
	s_waitcnt vmcnt(0)
	v_lshlrev_b32_e32 v13, 16, v13
	v_sub_f32_e32 v0, v13, v0
	global_store_short_d16_hi v[8:9], v0, off offset:96
	v_mul_f32_e32 v0, v18, v0
	v_lshrrev_b32_e32 v9, 16, v0
.LBB255_92:
	s_or_b64 exec, exec, s[6:7]
	s_and_saveexec_b64 s[6:7], s[0:1]
	s_cbranch_execz .LBB255_94
; %bb.93:
	v_mov_b32_e32 v11, 0
	v_lshl_add_u64 v[22:23], v[6:7], 0, v[10:11]
	global_load_ushort v0, v[22:23], off offset:96
	v_lshl_add_u64 v[10:11], v[4:5], 0, v[10:11]
	s_waitcnt vmcnt(0)
	v_lshlrev_b32_e32 v0, 16, v0
	v_sub_f32_e32 v0, v0, v1
	global_store_short_d16_hi v[10:11], v0, off offset:96
	v_mul_f32_e32 v0, v16, v0
	v_lshrrev_b32_e32 v11, 16, v0
.LBB255_94:
	s_or_b64 exec, exec, s[6:7]
	v_mov_b32_e32 v0, 0
	v_mov_b32_e32 v1, 0
	s_and_saveexec_b64 s[0:1], s[2:3]
	s_cbranch_execz .LBB255_96
; %bb.95:
	v_mov_b32_e32 v13, 0
	v_lshl_add_u64 v[22:23], v[6:7], 0, v[12:13]
	global_load_ushort v1, v[22:23], off offset:96
	v_lshl_add_u64 v[12:13], v[4:5], 0, v[12:13]
	s_waitcnt vmcnt(0)
	v_lshlrev_b32_e32 v1, 16, v1
	v_sub_f32_e32 v1, v1, v2
	global_store_short_d16_hi v[12:13], v1, off offset:96
	v_mul_f32_e32 v1, v20, v1
	v_lshrrev_b32_e32 v1, 16, v1
.LBB255_96:
	s_or_b64 exec, exec, s[0:1]
	s_and_saveexec_b64 s[0:1], s[4:5]
	s_cbranch_execz .LBB255_98
; %bb.97:
	v_mov_b32_e32 v15, 0
	v_lshl_add_u64 v[6:7], v[6:7], 0, v[14:15]
	global_load_ushort v0, v[6:7], off offset:96
	v_lshl_add_u64 v[4:5], v[4:5], 0, v[14:15]
	s_waitcnt vmcnt(0)
	v_lshlrev_b32_e32 v0, 16, v0
	v_sub_f32_e32 v0, v0, v3
	global_store_short_d16_hi v[4:5], v0, off offset:96
	v_mul_f32_e32 v0, v17, v0
	v_lshrrev_b32_e32 v0, 16, v0
.LBB255_98:
	s_or_b64 exec, exec, s[0:1]
	s_mov_b32 s0, 0x5040100
	v_or_b32_e32 v2, v21, v19
	v_perm_b32 v1, v0, v1, s0
	v_perm_b32 v0, v11, v9, s0
	v_lshlrev_b32_e32 v2, 1, v2
	ds_write_b64 v2, v[0:1] offset:24576
	s_waitcnt lgkmcnt(0)
	s_barrier
.LBB255_99:
	s_endpgm
	.section	.rodata,"a",@progbits
	.p2align	6, 0x0
	.amdhsa_kernel _ZN12_GLOBAL__N_139chunk_gated_delta_rule_fwd_h_hip_kernelILi64ELb0ELb0ELb1ELb0ELb0ELb0ELb0ELb0EEEvPK12hip_bfloat16S3_S3_PKfS5_PKvPS1_S8_PvPKiSB_iiiiilll
		.amdhsa_group_segment_fixed_size 65536
		.amdhsa_private_segment_fixed_size 0
		.amdhsa_kernarg_size 136
		.amdhsa_user_sgpr_count 2
		.amdhsa_user_sgpr_dispatch_ptr 0
		.amdhsa_user_sgpr_queue_ptr 0
		.amdhsa_user_sgpr_kernarg_segment_ptr 1
		.amdhsa_user_sgpr_dispatch_id 0
		.amdhsa_user_sgpr_kernarg_preload_length 0
		.amdhsa_user_sgpr_kernarg_preload_offset 0
		.amdhsa_user_sgpr_private_segment_size 0
		.amdhsa_uses_dynamic_stack 0
		.amdhsa_enable_private_segment 0
		.amdhsa_system_sgpr_workgroup_id_x 1
		.amdhsa_system_sgpr_workgroup_id_y 1
		.amdhsa_system_sgpr_workgroup_id_z 0
		.amdhsa_system_sgpr_workgroup_info 0
		.amdhsa_system_vgpr_workitem_id 0
		.amdhsa_next_free_vgpr 216
		.amdhsa_next_free_sgpr 65
		.amdhsa_accum_offset 180
		.amdhsa_reserve_vcc 1
		.amdhsa_float_round_mode_32 0
		.amdhsa_float_round_mode_16_64 0
		.amdhsa_float_denorm_mode_32 3
		.amdhsa_float_denorm_mode_16_64 3
		.amdhsa_dx10_clamp 1
		.amdhsa_ieee_mode 1
		.amdhsa_fp16_overflow 0
		.amdhsa_tg_split 0
		.amdhsa_exception_fp_ieee_invalid_op 0
		.amdhsa_exception_fp_denorm_src 0
		.amdhsa_exception_fp_ieee_div_zero 0
		.amdhsa_exception_fp_ieee_overflow 0
		.amdhsa_exception_fp_ieee_underflow 0
		.amdhsa_exception_fp_ieee_inexact 0
		.amdhsa_exception_int_div_zero 0
	.end_amdhsa_kernel
	.section	.text._ZN12_GLOBAL__N_139chunk_gated_delta_rule_fwd_h_hip_kernelILi64ELb0ELb0ELb1ELb0ELb0ELb0ELb0ELb0EEEvPK12hip_bfloat16S3_S3_PKfS5_PKvPS1_S8_PvPKiSB_iiiiilll,"axG",@progbits,_ZN12_GLOBAL__N_139chunk_gated_delta_rule_fwd_h_hip_kernelILi64ELb0ELb0ELb1ELb0ELb0ELb0ELb0ELb0EEEvPK12hip_bfloat16S3_S3_PKfS5_PKvPS1_S8_PvPKiSB_iiiiilll,comdat
.Lfunc_end255:
	.size	_ZN12_GLOBAL__N_139chunk_gated_delta_rule_fwd_h_hip_kernelILi64ELb0ELb0ELb1ELb0ELb0ELb0ELb0ELb0EEEvPK12hip_bfloat16S3_S3_PKfS5_PKvPS1_S8_PvPKiSB_iiiiilll, .Lfunc_end255-_ZN12_GLOBAL__N_139chunk_gated_delta_rule_fwd_h_hip_kernelILi64ELb0ELb0ELb1ELb0ELb0ELb0ELb0ELb0EEEvPK12hip_bfloat16S3_S3_PKfS5_PKvPS1_S8_PvPKiSB_iiiiilll
                                        ; -- End function
	.section	.AMDGPU.csdata,"",@progbits
; Kernel info:
; codeLenInByte = 11328
; NumSgprs: 71
; NumVgprs: 180
; NumAgprs: 36
; TotalNumVgprs: 216
; ScratchSize: 0
; MemoryBound: 0
; FloatMode: 240
; IeeeMode: 1
; LDSByteSize: 65536 bytes/workgroup (compile time only)
; SGPRBlocks: 8
; VGPRBlocks: 26
; NumSGPRsForWavesPerEU: 71
; NumVGPRsForWavesPerEU: 216
; AccumOffset: 180
; Occupancy: 1
; WaveLimiterHint : 1
; COMPUTE_PGM_RSRC2:SCRATCH_EN: 0
; COMPUTE_PGM_RSRC2:USER_SGPR: 2
; COMPUTE_PGM_RSRC2:TRAP_HANDLER: 0
; COMPUTE_PGM_RSRC2:TGID_X_EN: 1
; COMPUTE_PGM_RSRC2:TGID_Y_EN: 1
; COMPUTE_PGM_RSRC2:TGID_Z_EN: 0
; COMPUTE_PGM_RSRC2:TIDIG_COMP_CNT: 0
; COMPUTE_PGM_RSRC3_GFX90A:ACCUM_OFFSET: 44
; COMPUTE_PGM_RSRC3_GFX90A:TG_SPLIT: 0
	.section	.text._ZN12_GLOBAL__N_139chunk_gated_delta_rule_fwd_h_hip_kernelILi64ELb0ELb0ELb0ELb0ELb0ELb0ELb0ELb0EEEvPK12hip_bfloat16S3_S3_PKfS5_PKvPS1_S8_PvPKiSB_iiiiilll,"axG",@progbits,_ZN12_GLOBAL__N_139chunk_gated_delta_rule_fwd_h_hip_kernelILi64ELb0ELb0ELb0ELb0ELb0ELb0ELb0ELb0EEEvPK12hip_bfloat16S3_S3_PKfS5_PKvPS1_S8_PvPKiSB_iiiiilll,comdat
	.globl	_ZN12_GLOBAL__N_139chunk_gated_delta_rule_fwd_h_hip_kernelILi64ELb0ELb0ELb0ELb0ELb0ELb0ELb0ELb0EEEvPK12hip_bfloat16S3_S3_PKfS5_PKvPS1_S8_PvPKiSB_iiiiilll ; -- Begin function _ZN12_GLOBAL__N_139chunk_gated_delta_rule_fwd_h_hip_kernelILi64ELb0ELb0ELb0ELb0ELb0ELb0ELb0ELb0EEEvPK12hip_bfloat16S3_S3_PKfS5_PKvPS1_S8_PvPKiSB_iiiiilll
	.p2align	8
	.type	_ZN12_GLOBAL__N_139chunk_gated_delta_rule_fwd_h_hip_kernelILi64ELb0ELb0ELb0ELb0ELb0ELb0ELb0ELb0EEEvPK12hip_bfloat16S3_S3_PKfS5_PKvPS1_S8_PvPKiSB_iiiiilll,@function
_ZN12_GLOBAL__N_139chunk_gated_delta_rule_fwd_h_hip_kernelILi64ELb0ELb0ELb0ELb0ELb0ELb0ELb0ELb0EEEvPK12hip_bfloat16S3_S3_PKfS5_PKvPS1_S8_PvPKiSB_iiiiilll: ; @_ZN12_GLOBAL__N_139chunk_gated_delta_rule_fwd_h_hip_kernelILi64ELb0ELb0ELb0ELb0ELb0ELb0ELb0ELb0EEEvPK12hip_bfloat16S3_S3_PKfS5_PKvPS1_S8_PvPKiSB_iiiiilll
; %bb.0:
	s_load_dwordx4 s[12:15], s[0:1], 0x5c
	s_load_dwordx2 s[36:37], s[0:1], 0x30
	s_abs_i32 s18, s3
	s_ashr_i32 s17, s3, 31
	s_load_dwordx8 s[4:11], s[0:1], 0x0
	s_waitcnt lgkmcnt(0)
	s_abs_i32 s16, s13
	v_cvt_f32_u32_e32 v1, s16
	s_sub_i32 s20, 0, s16
	s_ashr_i32 s19, s13, 31
	s_xor_b32 s17, s17, s19
	v_rcp_iflag_f32_e32 v1, v1
	v_lshrrev_b32_e32 v74, 6, v0
	v_bfe_u32 v75, v0, 4, 2
	v_lshlrev_b32_e32 v2, 2, v75
	v_mul_f32_e32 v1, 0x4f7ffffe, v1
	v_cvt_u32_f32_e32 v1, v1
	v_and_b32_e32 v73, 63, v0
	v_mov_b32_e32 v35, 0
	v_and_b32_e32 v72, 15, v0
	v_readfirstlane_b32 s21, v1
	s_mul_i32 s20, s20, s21
	s_mul_hi_u32 s20, s21, s20
	s_add_i32 s21, s21, s20
	s_mul_hi_u32 s20, s18, s21
	s_mul_i32 s21, s20, s16
	s_sub_i32 s18, s18, s21
	s_add_i32 s22, s20, 1
	s_sub_i32 s21, s18, s16
	s_cmp_ge_u32 s18, s16
	s_cselect_b32 s20, s22, s20
	s_cselect_b32 s18, s21, s18
	s_add_i32 s21, s20, 1
	s_cmp_ge_u32 s18, s16
	s_cselect_b32 s18, s21, s20
	s_xor_b32 s18, s18, s17
	s_sub_i32 s45, s18, s17
	s_abs_i32 s17, s14
	v_cvt_f32_u32_e32 v1, s17
	s_add_i32 s20, s12, 63
	s_mul_i32 s43, s45, s13
	s_sub_i32 s33, s3, s43
	v_rcp_iflag_f32_e32 v1, v1
	s_ashr_i32 s3, s20, 31
	s_ashr_i32 s44, s12, 31
	s_lshr_b32 s3, s3, 26
	v_mul_f32_e32 v1, 0x4f7ffffe, v1
	v_cvt_u32_f32_e32 v1, v1
	s_lshr_b32 s18, s44, 26
	s_add_i32 s20, s20, s3
	s_add_i32 s18, s12, s18
	s_ashr_i32 s47, s14, 31
	s_ashr_i32 s3, s20, 6
	;; [unrolled: 1-line block ×3, first 2 shown]
	s_xor_b32 s18, s19, s47
	s_sub_i32 s19, 0, s17
	v_readfirstlane_b32 s20, v1
	s_mul_i32 s19, s19, s20
	s_mul_hi_u32 s19, s20, s19
	s_add_i32 s20, s20, s19
	s_mul_hi_u32 s19, s16, s20
	s_mul_i32 s20, s19, s17
	s_sub_i32 s16, s16, s20
	s_add_i32 s20, s19, 1
	s_sub_i32 s21, s16, s17
	s_cmp_ge_u32 s16, s17
	s_cselect_b32 s19, s20, s19
	s_cselect_b32 s16, s21, s16
	s_add_i32 s20, s19, 1
	s_cmp_ge_u32 s16, s17
	s_cselect_b32 s16, s20, s19
	s_xor_b32 s16, s16, s18
	s_sub_i32 s20, s16, s18
	s_abs_i32 s21, s20
	v_cvt_f32_u32_e32 v1, s21
	s_load_dwordx2 s[28:29], s[0:1], 0x80
	s_load_dwordx4 s[16:19], s[0:1], 0x70
	s_xor_b32 s0, s33, s20
	s_sub_i32 s20, 0, s21
	v_rcp_iflag_f32_e32 v1, v1
	s_abs_i32 s1, s33
	s_ashr_i32 s0, s0, 31
	s_mul_i32 s48, s45, s3
	v_mul_f32_e32 v1, 0x4f7ffffe, v1
	v_cvt_u32_f32_e32 v1, v1
	s_mul_hi_i32 s49, s45, s13
	v_lshrrev_b32_e32 v77, 3, v73
	v_lshlrev_b32_e32 v76, 3, v0
	v_readfirstlane_b32 s22, v1
	s_mul_i32 s20, s20, s22
	s_mul_hi_u32 s20, s22, s20
	s_add_i32 s22, s22, s20
	s_mul_hi_u32 s20, s1, s22
	s_mul_i32 s22, s20, s21
	s_sub_i32 s1, s1, s22
	s_add_i32 s22, s20, 1
	s_sub_i32 s23, s1, s21
	s_cmp_ge_u32 s1, s21
	s_cselect_b32 s20, s22, s20
	s_cselect_b32 s1, s23, s1
	s_add_i32 s22, s20, 1
	s_cmp_ge_u32 s1, s21
	s_cselect_b32 s1, s22, s20
	s_xor_b32 s1, s1, s0
	v_lshlrev_b32_e32 v1, 4, v74
	s_sub_i32 s50, s1, s0
	v_or_b32_e32 v78, v2, v1
	s_lshl_b32 s30, s2, 6
	v_or_b32_e32 v79, 64, v78
	s_cmp_lt_i32 s12, 64
	s_waitcnt lgkmcnt(0)
	s_mul_i32 s17, s45, s17
	s_mul_hi_u32 s42, s45, s16
	s_mul_i32 s34, s45, s16
	v_mov_b32_e32 v34, v35
	v_mov_b32_e32 v41, v35
	v_mov_b32_e32 v40, v35
	v_mov_b32_e32 v39, v35
	v_mov_b32_e32 v38, v35
	v_mov_b32_e32 v37, v35
	v_mov_b32_e32 v36, v35
	v_mov_b32_e32 v49, v35
	v_mov_b32_e32 v48, v35
	v_mov_b32_e32 v47, v35
	v_mov_b32_e32 v46, v35
	v_mov_b32_e32 v45, v35
	v_mov_b32_e32 v44, v35
	v_mov_b32_e32 v43, v35
	v_mov_b32_e32 v42, v35
	v_mov_b32_e32 v57, v35
	v_mov_b32_e32 v56, v35
	v_mov_b32_e32 v55, v35
	v_mov_b32_e32 v54, v35
	v_mov_b32_e32 v53, v35
	v_mov_b32_e32 v52, v35
	v_mov_b32_e32 v51, v35
	v_mov_b32_e32 v50, v35
	v_mov_b32_e32 v65, v35
	v_mov_b32_e32 v64, v35
	v_mov_b32_e32 v63, v35
	v_mov_b32_e32 v62, v35
	v_mov_b32_e32 v61, v35
	v_mov_b32_e32 v60, v35
	v_mov_b32_e32 v59, v35
	v_mov_b32_e32 v58, v35
	s_cbranch_scc1 .LBB256_18
; %bb.1:
	s_ashr_i32 s24, s45, 31
	s_ashr_i32 s52, s33, 31
	s_add_u32 s0, s43, s33
	s_addc_u32 s1, s49, s52
	s_mul_i32 s1, s12, s1
	s_mul_hi_u32 s2, s12, s0
	s_add_i32 s3, s2, s1
	s_mul_i32 s2, s12, s0
	s_lshl_b64 s[0:1], s[2:3], 8
	v_and_b32_e32 v81, 56, v76
	s_add_u32 s20, s6, s0
	v_lshl_or_b32 v80, v74, 3, v77
	v_lshlrev_b32_e32 v3, 1, v81
	s_addc_u32 s0, s7, s1
	v_lshl_or_b32 v82, v80, 8, v3
	s_and_b32 s21, s0, 0xffff
	s_mov_b32 s23, 0x20000
	s_movk_i32 s22, 0x4000
	s_movk_i32 s0, 0x80
	v_or_b32_e32 v83, 0x2000, v82
	buffer_load_dwordx4 v[4:7], v82, s[20:23], 0 offen
	buffer_load_dwordx4 v[8:11], v82, s[20:23], s0 offen
	;; [unrolled: 1-line block ×4, first 2 shown]
	v_lshlrev_b32_e32 v20, 3, v80
	v_and_or_b32 v22, v0, 7, v20
	v_and_b32_e32 v20, 0x78, v20
	v_lshlrev_b32_e32 v22, 4, v22
	v_xor_b32_e32 v84, v22, v20
	v_mul_lo_u32 v21, v80, s15
	v_or_b32_e32 v85, 0x1000, v84
	s_cmpk_eq_i32 s15, 0x80
	s_mov_b32 s51, s14
	v_xor_b32_e32 v20, 8, v84
	v_xor_b32_e32 v22, 8, v85
	s_cselect_b64 s[0:1], -1, 0
	s_cmpk_lg_i32 s15, 0x80
	s_waitcnt vmcnt(3)
	ds_write_b64 v84, v[4:5] offset:49152
	ds_write_b64 v20, v[6:7] offset:49152
	s_waitcnt vmcnt(2)
	ds_write_b64 v84, v[8:9] offset:57344
	ds_write_b64 v20, v[10:11] offset:57344
	;; [unrolled: 3-line block ×4, first 2 shown]
	v_lshl_add_u32 v4, v21, 1, v81
	s_cbranch_scc0 .LBB256_3
; %bb.2:
	v_lshlrev_b32_e32 v6, 1, v4
	v_add_lshl_u32 v5, v4, s15, 1
	s_lshl_b32 s22, s15, 7
	v_lshl_or_b32 v3, v80, 9, v3
	s_cbranch_execz .LBB256_4
	s_branch .LBB256_5
.LBB256_3:
                                        ; implicit-def: $vgpr5
                                        ; implicit-def: $vgpr6
                                        ; implicit-def: $sgpr22
	v_lshl_or_b32 v3, v80, 9, v3
.LBB256_4:
	v_or_b32_e32 v5, 0x100, v3
	s_movk_i32 s22, 0x4000
	v_mov_b32_e32 v6, v3
.LBB256_5:
	s_mul_hi_u32 s20, s14, s12
	s_mul_i32 s21, s47, s12
	s_add_i32 s20, s20, s21
	s_mul_i32 s21, s14, s12
	s_mul_i32 s23, s21, s24
	s_mul_hi_u32 s25, s21, s45
	s_add_i32 s23, s25, s23
	s_mul_i32 s20, s20, s45
	s_add_i32 s23, s23, s20
	s_mul_i32 s21, s21, s45
	s_ashr_i32 s53, s50, 31
	s_add_u32 s20, s21, s50
	s_addc_u32 s21, s23, s53
	s_lshl_b64 s[20:21], s[20:21], 8
	s_add_u32 s20, s4, s20
	s_addc_u32 s21, s5, s21
	s_and_b32 s21, s21, 0xffff
	s_mov_b32 s23, 0x20000
	s_movk_i32 s54, 0x80
	buffer_load_dwordx4 v[8:11], v6, s[20:23], 0 offen
	buffer_load_dwordx4 v[12:15], v6, s[20:23], s54 offen
	;; [unrolled: 1-line block ×4, first 2 shown]
	v_and_b32_e32 v5, 6, v0
	v_lshlrev_b32_e32 v6, 7, v78
	v_xor_b32_e32 v27, v80, v5
	v_and_b32_e32 v7, 1, v0
	v_lshl_or_b32 v30, v72, 3, v6
	v_lshlrev_b32_e32 v27, 2, v27
	v_or_b32_e32 v86, 0x4000, v30
	v_or_b32_e32 v87, 0x6000, v30
	v_xor_b32_e32 v30, 0x440, v27
	v_cmp_eq_u32_e32 vcc, 0, v7
	v_lshlrev_b32_e32 v24, 2, v72
	s_mov_b32 s56, 0x1000504
	v_cndmask_b32_e32 v7, v30, v27, vcc
	v_xor_b32_e32 v28, v78, v24
	v_xor_b32_e32 v29, v79, v24
	v_lshl_or_b32 v5, v5, 10, v7
	s_mov_b32 s57, 0x3020706
	s_mul_i32 s20, s24, s12
	s_mul_hi_u32 s21, s45, s12
	v_lshlrev_b32_e32 v25, 8, v72
	v_or_b32_e32 v26, 16, v72
	v_lshlrev_b32_e32 v28, 1, v28
	v_lshlrev_b32_e32 v29, 1, v29
	v_xor_b32_e32 v7, 8, v5
	v_xor_b32_e32 v27, 24, v5
	;; [unrolled: 1-line block ×4, first 2 shown]
	v_or_b32_e32 v89, v25, v28
	v_or_b32_e32 v90, v25, v29
	v_xor_b32_e32 v25, 16, v5
	v_xor_b32_e32 v30, 32, v5
	;; [unrolled: 1-line block ×3, first 2 shown]
	v_add_u32_e32 v7, 0x80, v7
	v_add_u32_e32 v27, 0x80, v27
	;; [unrolled: 1-line block ×4, first 2 shown]
	s_add_i32 s59, s21, s20
	s_add_i32 s20, s42, s17
	s_mul_i32 s24, s24, s16
	s_add_i32 s35, s20, s24
	s_mul_i32 s20, s33, s19
	s_mul_hi_u32 s21, s33, s18
	s_add_i32 s20, s21, s20
	s_mul_i32 s21, s52, s18
	s_add_i32 s21, s20, s21
	s_lshl_b64 s[24:25], s[34:35], 2
	s_mul_i32 s20, s33, s18
	s_add_u32 s24, s10, s24
	s_addc_u32 s25, s11, s25
	s_lshl_b64 s[20:21], s[20:21], 2
	s_add_u32 s38, s24, s20
	s_movk_i32 s20, 0xf8
	s_addc_u32 s39, s25, s21
	s_ashr_i32 s31, s30, 31
	s_lshl_b32 s26, s15, 7
	s_movk_i32 s24, 0x100
	v_mov_b32_e32 v67, 0
	v_lshlrev_b32_e32 v66, 4, v72
	v_cmp_gt_u32_e32 vcc, s24, v0
	v_lshl_or_b32 v31, v26, 3, v6
	s_mov_b32 s55, 0
	s_mul_i32 s58, s45, s12
	v_or_b32_e32 v88, 0x4000, v31
	s_movk_i32 s22, 0x4000
	v_or_b32_e32 v91, 0x6000, v31
	v_add_u32_e32 v126, v1, v2
	s_movk_i32 s35, 0x2000
	s_movk_i32 s60, 0x3000
	v_mov_b32_e32 v131, 0x3fb8aa3b
	s_mov_b32 s62, 0
	v_mov_b32_e32 v58, v67
	v_mov_b32_e32 v59, v67
	;; [unrolled: 1-line block ×8, first 2 shown]
	s_waitcnt vmcnt(1)
	v_perm_b32 v35, v8, v16, s56
	s_waitcnt vmcnt(0)
	v_perm_b32 v36, v12, v20, s56
	v_perm_b32 v8, v8, v16, s57
	;; [unrolled: 1-line block ×15, first 2 shown]
	ds_write2st64_b32 v5, v35, v36 offset0:128 offset1:160
	ds_write2st64_b32 v7, v8, v12 offset0:128 offset1:160
	;; [unrolled: 1-line block ×8, first 2 shown]
	v_lshlrev_b32_e32 v5, 8, v26
	v_or_b32_e32 v92, v5, v28
	v_or_b32_e32 v93, v5, v29
	;; [unrolled: 1-line block ×3, first 2 shown]
	v_lshl_or_b32 v7, v5, 3, v6
	v_lshlrev_b32_e32 v5, 8, v5
	v_or_b32_e32 v96, v5, v28
	v_or_b32_e32 v97, v5, v29
	;; [unrolled: 1-line block ×5, first 2 shown]
	v_lshl_or_b32 v7, v5, 3, v6
	v_lshlrev_b32_e32 v5, 8, v5
	v_or_b32_e32 v100, v5, v28
	v_or_b32_e32 v101, v5, v29
	;; [unrolled: 1-line block ×3, first 2 shown]
	v_lshlrev_b32_e32 v5, 3, v5
	v_lshrrev_b32_e32 v9, 5, v73
	v_and_or_b32 v9, v5, s20, v9
	v_lshlrev_b32_e32 v9, 4, v9
	v_or_b32_e32 v98, 0x4000, v7
	v_or_b32_e32 v99, 0x6000, v7
	v_lshlrev_b32_e32 v7, 11, v74
	v_and_b32_e32 v5, 0x78, v5
	v_or_b32_e32 v14, 32, v9
	v_and_b32_e32 v8, 0x1000, v7
	v_xor_b32_e32 v10, v9, v5
	v_lshrrev_b32_e32 v11, 1, v0
	v_xor_b32_e32 v14, v14, v5
	v_or_b32_e32 v10, v10, v8
	v_and_b32_e32 v12, 8, v11
	v_or_b32_e32 v14, v14, v8
	v_xor_b32_e32 v102, v10, v12
	v_lshlrev_b32_e32 v10, 8, v75
	v_xor_b32_e32 v104, v14, v12
	v_or_b32_e32 v14, 64, v9
	v_or_b32_e32 v9, 0x60, v9
	;; [unrolled: 1-line block ×3, first 2 shown]
	v_xor_b32_e32 v14, v14, v5
	v_xor_b32_e32 v5, v9, v5
	v_lshlrev_b32_e32 v13, 1, v13
	v_or_b32_e32 v14, v14, v8
	v_or_b32_e32 v5, v5, v8
	s_lshl_b64 s[20:21], s[30:31], 8
	v_or_b32_e32 v103, 0x4000, v13
	v_or_b32_e32 v105, 0x4080, v13
	;; [unrolled: 1-line block ×4, first 2 shown]
	v_xor_b32_e32 v108, v14, v12
	v_xor_b32_e32 v109, v5, v12
	v_or_b32_e32 v110, 0x6000, v13
	v_or_b32_e32 v111, 0x6080, v13
	;; [unrolled: 1-line block ×4, first 2 shown]
	v_lshlrev_b32_e32 v12, 1, v4
	v_add_lshl_u32 v13, v4, s15, 1
	s_add_u32 s20, s36, s20
	v_lshlrev_b32_e32 v4, 1, v72
	v_lshrrev_b32_e32 v15, 4, v0
	s_addc_u32 s21, s37, s21
	v_or_b32_e32 v5, 1, v4
	v_mov_b32_e32 v19, 0xa000
	v_mov_b32_e32 v20, 0x8000
	v_xor_b32_e32 v16, v15, v4
	v_xor_b32_e32 v17, v5, v15
	v_lshl_add_u64 v[4:5], s[20:21], 0, v[66:67]
	v_lshlrev_b32_e32 v66, 8, v15
	v_cndmask_b32_e32 v19, v19, v20, vcc
	v_lshlrev_b32_e32 v20, 3, v74
	v_and_b32_e32 v11, 24, v11
	v_lshl_or_b32 v114, v16, 3, v66
	v_and_b32_e32 v16, 8, v0
	v_xor_b32_e32 v21, v20, v11
	v_or_b32_e32 v22, 0x440, v21
	v_cmp_eq_u32_e32 vcc, 0, v16
	v_and_b32_e32 v15, 7, v0
	v_lshl_or_b32 v115, v17, 3, v66
	v_cndmask_b32_e32 v16, v22, v21, vcc
	v_lshlrev_b32_e32 v17, 3, v15
	v_lshlrev_b32_e32 v15, 7, v15
	v_or_b32_e32 v16, v16, v7
	v_lshlrev_b32_e32 v18, 2, v0
	v_xad_u32 v116, v16, v17, v15
	v_or_b32_e32 v16, 32, v11
	v_and_or_b32 v10, v18, 60, v10
	v_xor_b32_e32 v16, v20, v16
	v_lshlrev_b32_e32 v10, 1, v10
	v_or_b32_e32 v18, 0x440, v16
	v_or_b32_e32 v117, 0x6000, v10
	v_cndmask_b32_e32 v16, v18, v16, vcc
	v_or_b32_e32 v119, 0x6080, v10
	v_or_b32_e32 v120, 0x6100, v10
	;; [unrolled: 1-line block ×5, first 2 shown]
	v_xor_b32_e32 v10, v20, v10
	v_xad_u32 v118, v16, v17, v15
	v_xor_b32_e32 v16, 0x440, v10
	v_cndmask_b32_e32 v10, v16, v10, vcc
	v_or_b32_e32 v10, v10, v7
	v_xad_u32 v122, v10, v17, v15
	v_or_b32_e32 v10, 0x60, v11
	v_xor_b32_e32 v10, v20, v10
	v_xor_b32_e32 v11, 0x440, v10
	v_cndmask_b32_e32 v10, v11, v10, vcc
	v_or_b32_e32 v8, s30, v72
	v_or_b32_e32 v7, v10, v7
	v_ashrrev_i32_e32 v9, 31, v8
	v_or_b32_e32 v14, 0x100, v3
	v_xad_u32 v123, v7, v17, v15
	v_cndmask_b32_e64 v124, v12, v3, s[0:1]
	v_cndmask_b32_e64 v125, v13, v14, s[0:1]
	v_lshl_add_u64 v[68:69], v[8:9], 1, s[8:9]
	v_lshl_add_u64 v[70:71], v[4:5], 0, v[66:67]
	s_mov_b32 s31, 0x7060302
	v_lshlrev_b32_e32 v66, 1, v6
	v_add_u32_e32 v127, v19, v116
	v_add_u32_e32 v128, v19, v118
	;; [unrolled: 1-line block ×4, first 2 shown]
	v_mov_b32_e32 v50, v67
	v_mov_b32_e32 v51, v67
	;; [unrolled: 1-line block ×24, first 2 shown]
	s_waitcnt lgkmcnt(0)
	s_barrier
.LBB256_6:                              ; =>This Inner Loop Header: Depth=1
	s_add_i32 s61, s62, 1
	s_cmp_lt_i32 s61, s46
	s_mov_b64 s[24:25], 0
	s_cselect_b64 s[40:41], -1, 0
	s_cmp_ge_i32 s61, s46
	s_mov_b64 s[20:21], 0
	s_cbranch_scc1 .LBB256_8
; %bb.7:                                ;   in Loop: Header=BB256_6 Depth=1
	s_add_i32 s0, s55, 64
	s_add_u32 s0, s2, s0
	s_addc_u32 s1, s3, 0
	s_lshl_b64 s[0:1], s[0:1], 8
	s_add_u32 s20, s6, s0
	s_addc_u32 s21, s7, s1
.LBB256_8:                              ;   in Loop: Header=BB256_6 Depth=1
	v_cndmask_b32_e64 v2, 0, 1, s[40:41]
	v_cmp_ne_u32_e64 s[0:1], 1, v2
	s_andn2_b64 vcc, exec, s[40:41]
	s_cbranch_vccnz .LBB256_10
; %bb.9:                                ;   in Loop: Header=BB256_6 Depth=1
	s_add_i32 s24, s55, 64
	s_add_u32 s24, s58, s24
	s_addc_u32 s25, s59, 0
	s_mul_i32 s27, s24, s47
	s_mul_hi_u32 s40, s24, s51
	s_add_i32 s27, s40, s27
	s_mul_i32 s25, s25, s51
	s_add_i32 s27, s27, s25
	s_mul_i32 s24, s24, s51
	s_add_u32 s24, s24, s50
	s_addc_u32 s25, s27, s53
	s_lshl_b64 s[24:25], s[24:25], 8
	s_add_u32 s24, s4, s24
	s_addc_u32 s25, s5, s25
.LBB256_10:                             ;   in Loop: Header=BB256_6 Depth=1
	v_perm_b32 v3, v65, v64, s31
	v_perm_b32 v2, v63, v62, s31
	v_perm_b32 v5, v61, v60, s31
	v_perm_b32 v4, v59, v58, s31
	ds_write_b64 v86, v[2:3]
	ds_write_b64 v87, v[4:5]
	ds_write_b64 v89, v[2:3]
	ds_write_b64 v90, v[4:5]
	v_perm_b32 v3, v57, v56, s31
	v_perm_b32 v2, v55, v54, s31
	v_perm_b32 v5, v53, v52, s31
	v_perm_b32 v4, v51, v50, s31
	ds_write_b64 v88, v[2:3]
	ds_write_b64 v91, v[4:5]
	ds_write_b64 v92, v[2:3]
	ds_write_b64 v93, v[4:5]
	;; [unrolled: 8-line block ×4, first 2 shown]
	s_waitcnt lgkmcnt(0)
	s_barrier
	ds_read_b64 v[6:7], v102 offset:49152
	ds_read2_b64 v[2:5], v103 offset1:16
	ds_read_b64 v[18:19], v105 offset:6144
	ds_read_b64 v[20:21], v103 offset:6144
	s_waitcnt lgkmcnt(2)
	v_mfma_f32_16x16x16_bf16 a[0:3], v[6:7], v[2:3], 0
	ds_read_b64 v[22:23], v104 offset:49152
	ds_read2st64_b64 v[10:13], v106 offset0:4 offset1:8
	ds_read2st64_b64 v[14:17], v107 offset0:4 offset1:8
	v_mfma_f32_16x16x16_bf16 a[4:7], v[6:7], v[4:5], 0
	ds_read2_b64 v[2:5], v103 offset0:32 offset1:48
	s_add_i32 s27, s55, 63
	s_mul_i32 s40, s27, s29
	s_waitcnt lgkmcnt(0)
	v_mfma_f32_16x16x16_bf16 a[8:11], v[6:7], v[2:3], 0
	s_mul_hi_u32 s41, s27, s28
	s_add_i32 s41, s41, s40
	s_mul_i32 s40, s27, s28
	v_mfma_f32_16x16x16_bf16 a[12:15], v[6:7], v[4:5], 0
	ds_read2st64_b64 v[2:5], v103 offset0:4 offset1:8
	ds_read2st64_b64 v[6:9], v105 offset0:4 offset1:8
	s_lshl_b64 s[40:41], s[40:41], 2
	s_waitcnt lgkmcnt(1)
	v_mfma_f32_16x16x16_bf16 a[0:3], v[22:23], v[2:3], a[0:3]
	s_add_u32 s40, s38, s40
	s_addc_u32 s41, s39, s41
	s_and_b64 vcc, exec, s[0:1]
	s_waitcnt lgkmcnt(0)
	v_mfma_f32_16x16x16_bf16 a[4:7], v[22:23], v[6:7], a[4:7]
	v_mov_b32_e32 v134, 0
	v_mov_b32_e32 v133, 0
	;; [unrolled: 1-line block ×3, first 2 shown]
	v_mfma_f32_16x16x16_bf16 a[8:11], v[22:23], v[10:11], a[8:11]
	ds_read_b64 v[2:3], v108 offset:49152
	ds_read_b64 v[6:7], v109 offset:49152
	;; [unrolled: 1-line block ×3, first 2 shown]
	v_mfma_f32_16x16x16_bf16 a[12:15], v[22:23], v[14:15], a[12:15]
	v_mov_b32_e32 v14, 0
	v_mov_b32_e32 v15, 0
	s_waitcnt lgkmcnt(2)
	v_mfma_f32_16x16x16_bf16 a[0:3], v[2:3], v[4:5], a[0:3]
	v_mov_b32_e32 v4, 0
	v_mov_b32_e32 v5, 0
	v_mfma_f32_16x16x16_bf16 a[16:19], v[2:3], v[8:9], a[4:7]
	v_mov_b32_e32 v8, 0
	v_mov_b32_e32 v9, 0
	;; [unrolled: 3-line block ×3, first 2 shown]
	v_mfma_f32_16x16x16_bf16 a[24:27], v[2:3], v[16:17], a[12:15]
	ds_read_b64 v[2:3], v106 offset:6144
	v_mov_b32_e32 v16, 0
	v_mov_b32_e32 v17, 0
	s_waitcnt lgkmcnt(2)
	v_mfma_f32_16x16x16_bf16 a[4:7], v[6:7], v[20:21], a[0:3]
	v_mfma_f32_16x16x16_bf16 a[8:11], v[6:7], v[18:19], a[16:19]
	s_waitcnt lgkmcnt(0)
	v_mfma_f32_16x16x16_bf16 a[12:15], v[6:7], v[2:3], a[20:23]
	v_mov_b32_e32 v2, 0
	v_mov_b32_e32 v3, 0
	v_mfma_f32_16x16x16_bf16 a[0:3], v[6:7], v[10:11], a[24:27]
	v_mov_b32_e32 v6, 0
	v_mov_b32_e32 v7, 0
	;; [unrolled: 1-line block ×4, first 2 shown]
	s_cbranch_vccnz .LBB256_12
; %bb.11:                               ;   in Loop: Header=BB256_6 Depth=1
	s_and_b32 s21, s21, 0xffff
	buffer_load_dwordx4 v[14:17], v82, s[20:23], 0 offen
	buffer_load_dwordx4 v[10:13], v82, s[20:23], s54 offen
	;; [unrolled: 1-line block ×4, first 2 shown]
	v_mov_b32_e32 v133, v84
	v_mov_b32_e32 v132, v85
.LBB256_12:                             ;   in Loop: Header=BB256_6 Depth=1
	ds_read_b64 v[136:137], v102 offset:57344
	ds_read2_b64 v[18:21], v110 offset1:16
	ds_read_b64 v[138:139], v104 offset:57344
	ds_read_b64 v[140:141], v108 offset:57344
	;; [unrolled: 1-line block ×3, first 2 shown]
	v_add_u32_e32 v135, s55, v126
	s_waitcnt lgkmcnt(3)
	v_mfma_f32_16x16x16_bf16 a[4:7], v[136:137], v[18:19], a[4:7]
	v_mfma_f32_16x16x16_bf16 a[8:11], v[136:137], v[20:21], a[8:11]
	ds_read2_b64 v[18:21], v110 offset0:32 offset1:48
	ds_read2st64_b64 v[22:25], v110 offset0:4 offset1:8
	ds_read2st64_b64 v[26:29], v111 offset0:4 offset1:8
	ds_read2st64_b64 v[30:33], v112 offset0:4 offset1:8
	s_waitcnt lgkmcnt(3)
	v_mfma_f32_16x16x16_bf16 a[12:15], v[136:137], v[18:19], a[12:15]
	v_ashrrev_i32_e32 v18, 31, v135
	v_mfma_f32_16x16x16_bf16 a[0:3], v[136:137], v[20:21], a[0:3]
	v_mul_lo_u32 v20, v18, s28
	v_mul_lo_u32 v21, v135, s29
	v_mad_u64_u32 v[18:19], s[20:21], v135, s28, 0
	v_add3_u32 v19, v19, v21, v20
	v_add_u32_e32 v20, 1, v135
	v_ashrrev_i32_e32 v21, 31, v20
	s_waitcnt lgkmcnt(2)
	v_mfma_f32_16x16x16_bf16 a[4:7], v[138:139], v[22:23], a[4:7]
	v_mul_lo_u32 v22, v21, s28
	v_mul_lo_u32 v23, v20, s29
	v_mad_u64_u32 v[20:21], s[20:21], v20, s28, 0
	v_add3_u32 v21, v21, v23, v22
	v_add_u32_e32 v22, 2, v135
	v_ashrrev_i32_e32 v23, 31, v22
	s_waitcnt lgkmcnt(1)
	v_mfma_f32_16x16x16_bf16 a[8:11], v[138:139], v[26:27], a[8:11]
	v_mul_lo_u32 v26, v23, s28
	v_mul_lo_u32 v27, v22, s29
	v_mad_u64_u32 v[22:23], s[20:21], v22, s28, 0
	v_lshl_add_u64 v[18:19], v[18:19], 2, s[38:39]
	v_add3_u32 v23, v23, v27, v26
	v_add_u32_e32 v26, 3, v135
	v_ashrrev_i32_e32 v27, 31, v26
	global_load_dword v136, v[18:19], off
	v_mad_u64_u32 v[18:19], s[20:21], v26, s28, 0
	v_mul_lo_u32 v27, v27, s28
	v_mul_lo_u32 v135, v26, s29
	s_add_u32 s20, s2, s55
	v_add3_u32 v19, v19, v135, v27
	s_addc_u32 s21, s3, 0
	v_lshl_add_u64 v[20:21], v[20:21], 2, s[38:39]
	v_lshl_add_u64 v[22:23], v[22:23], 2, s[38:39]
	;; [unrolled: 1-line block ×3, first 2 shown]
	s_lshl_b64 s[20:21], s[20:21], 8
	global_load_dword v135, v[20:21], off
	global_load_dword v137, v[22:23], off
	;; [unrolled: 1-line block ×3, first 2 shown]
	v_lshl_add_u64 v[18:19], v[68:69], 0, s[20:21]
	v_lshl_add_u64 v[22:23], v[18:19], 0, v[66:67]
	global_load_ushort v145, v[22:23], off offset:256
	global_load_ushort v146, v[22:23], off
	ds_read2st64_b64 v[18:21], v113 offset0:4 offset1:8
	global_load_ushort v147, v[22:23], off offset:768
	global_load_ushort v148, v[22:23], off offset:512
	s_waitcnt lgkmcnt(1)
	v_mfma_f32_16x16x16_bf16 a[12:15], v[138:139], v[30:31], a[12:15]
	s_and_b64 vcc, exec, s[0:1]
	s_waitcnt vmcnt(3)
	v_lshlrev_b32_e32 v31, 16, v145
	s_waitcnt lgkmcnt(0)
	v_mfma_f32_16x16x16_bf16 a[0:3], v[138:139], v[18:19], a[0:3]
	global_load_ushort v138, v[22:23], off offset:288
	global_load_ushort v139, v[22:23], off offset:32
	;; [unrolled: 1-line block ×8, first 2 shown]
	v_mfma_f32_16x16x16_bf16 a[4:7], v[140:141], v[24:25], a[4:7]
	ds_read_b64 v[18:19], v110 offset:6144
	s_waitcnt vmcnt(10)
	v_lshlrev_b32_e32 v30, 16, v146
	v_mfma_f32_16x16x16_bf16 a[8:11], v[140:141], v[28:29], a[8:11]
	v_mfma_f32_16x16x16_bf16 a[12:15], v[140:141], v[32:33], a[12:15]
	;; [unrolled: 1-line block ×3, first 2 shown]
	global_load_ushort v140, v[22:23], off offset:352
	global_load_ushort v141, v[22:23], off offset:96
	ds_read_b64 v[20:21], v111 offset:6144
	ds_read_b64 v[24:25], v112 offset:6144
	;; [unrolled: 1-line block ×3, first 2 shown]
	global_load_ushort v155, v[22:23], off offset:864
	global_load_ushort v156, v[22:23], off offset:608
	s_load_dword s20, s[40:41], 0x0
	s_waitcnt lgkmcnt(0)
	v_mfma_f32_16x16x16_bf16 a[4:7], v[142:143], v[18:19], a[4:7]
	v_sub_f32_e32 v28, s20, v137
	v_mfma_f32_16x16x16_bf16 a[0:3], v[142:143], v[26:27], a[0:3]
	v_sub_f32_e32 v26, s20, v136
	v_sub_f32_e32 v27, s20, v135
	;; [unrolled: 1-line block ×3, first 2 shown]
	v_mul_f32_e32 v26, 0x3fb8aa3b, v26
	v_mul_f32_e32 v27, 0x3fb8aa3b, v27
	;; [unrolled: 1-line block ×4, first 2 shown]
	v_mfma_f32_16x16x16_bf16 a[8:11], v[142:143], v[20:21], a[8:11]
	v_exp_f32_e32 v26, v26
	v_exp_f32_e32 v27, v27
	;; [unrolled: 1-line block ×4, first 2 shown]
	v_accvgpr_read_b32 v33, a5
	v_accvgpr_read_b32 v32, a4
	v_accvgpr_read_b32 v19, a7
	v_accvgpr_read_b32 v18, a6
	v_pk_add_f32 v[30:31], v[30:31], v[32:33] neg_lo:[0,1] neg_hi:[0,1]
	s_waitcnt vmcnt(13)
	v_lshlrev_b32_e32 v33, 16, v147
	s_waitcnt vmcnt(12)
	v_lshlrev_b32_e32 v32, 16, v148
	v_pk_add_f32 v[18:19], v[32:33], v[18:19] neg_lo:[0,1] neg_hi:[0,1]
	v_pk_mul_f32 v[30:31], v[26:27], v[30:31]
	v_pk_mul_f32 v[18:19], v[28:29], v[18:19]
	v_accvgpr_read_b32 v33, a9
	v_perm_b32 v19, v19, v18, s31
	v_perm_b32 v18, v31, v30, s31
	v_accvgpr_read_b32 v32, a8
	v_accvgpr_read_b32 v21, a11
	v_mfma_f32_16x16x16_bf16 a[12:15], v[142:143], v[24:25], a[12:15]
	v_accvgpr_read_b32 v20, a10
	v_accvgpr_read_b32 v25, a3
	;; [unrolled: 1-line block ×3, first 2 shown]
	v_mov_b32_e32 v135, 0
	s_waitcnt vmcnt(11)
	v_lshlrev_b32_e32 v31, 16, v138
	s_waitcnt vmcnt(10)
	v_lshlrev_b32_e32 v30, 16, v139
	v_pk_add_f32 v[30:31], v[30:31], v[32:33] neg_lo:[0,1] neg_hi:[0,1]
	s_waitcnt vmcnt(9)
	v_lshlrev_b32_e32 v33, 16, v149
	s_waitcnt vmcnt(8)
	v_lshlrev_b32_e32 v32, 16, v150
	v_pk_add_f32 v[20:21], v[32:33], v[20:21] neg_lo:[0,1] neg_hi:[0,1]
	v_pk_mul_f32 v[30:31], v[26:27], v[30:31]
	v_pk_mul_f32 v[20:21], v[28:29], v[20:21]
	v_accvgpr_read_b32 v23, a15
	v_perm_b32 v21, v21, v20, s31
	v_perm_b32 v20, v31, v30, s31
	ds_write2_b64 v87, v[18:19], v[20:21] offset1:16
	v_accvgpr_read_b32 v21, a13
	s_waitcnt vmcnt(7)
	v_lshlrev_b32_e32 v19, 16, v151
	s_waitcnt vmcnt(6)
	v_lshlrev_b32_e32 v18, 16, v152
	v_accvgpr_read_b32 v20, a12
	v_accvgpr_read_b32 v22, a14
	v_pk_add_f32 v[18:19], v[18:19], v[20:21] neg_lo:[0,1] neg_hi:[0,1]
	s_waitcnt vmcnt(5)
	v_lshlrev_b32_e32 v21, 16, v153
	s_waitcnt vmcnt(4)
	v_lshlrev_b32_e32 v20, 16, v154
	v_pk_add_f32 v[20:21], v[20:21], v[22:23] neg_lo:[0,1] neg_hi:[0,1]
	v_pk_mul_f32 v[18:19], v[26:27], v[18:19]
	v_pk_mul_f32 v[20:21], v[28:29], v[20:21]
	v_accvgpr_read_b32 v23, a1
	v_perm_b32 v21, v21, v20, s31
	v_perm_b32 v20, v19, v18, s31
	s_waitcnt vmcnt(3)
	v_lshlrev_b32_e32 v19, 16, v140
	s_waitcnt vmcnt(2)
	v_lshlrev_b32_e32 v18, 16, v141
	v_accvgpr_read_b32 v22, a0
	v_pk_add_f32 v[18:19], v[18:19], v[22:23] neg_lo:[0,1] neg_hi:[0,1]
	s_waitcnt vmcnt(1)
	v_lshlrev_b32_e32 v23, 16, v155
	s_waitcnt vmcnt(0)
	v_lshlrev_b32_e32 v22, 16, v156
	v_pk_add_f32 v[22:23], v[22:23], v[24:25] neg_lo:[0,1] neg_hi:[0,1]
	v_pk_mul_f32 v[18:19], v[26:27], v[18:19]
	v_pk_mul_f32 v[22:23], v[28:29], v[22:23]
	v_mov_b32_e32 v24, 0
	v_perm_b32 v23, v23, v22, s31
	v_perm_b32 v22, v19, v18, s31
	ds_write2_b64 v87, v[20:21], v[22:23] offset0:32 offset1:48
	v_mov_b32_e32 v18, 0
	v_mov_b32_e32 v19, 0
	v_mov_b32_e32 v20, 0
	v_mov_b32_e32 v21, 0
	v_mov_b32_e32 v22, 0
	v_mov_b32_e32 v23, 0
	v_mov_b32_e32 v25, 0
	v_mov_b32_e32 v26, 0
	v_mov_b32_e32 v27, 0
	v_mov_b32_e32 v28, 0
	v_mov_b32_e32 v29, 0
	v_mov_b32_e32 v30, 0
	v_mov_b32_e32 v31, 0
	v_mov_b32_e32 v32, 0
	v_mov_b32_e32 v33, 0
	s_cbranch_vccnz .LBB256_14
; %bb.13:                               ;   in Loop: Header=BB256_6 Depth=1
	s_and_b32 s25, s25, 0xffff
	s_mov_b32 s27, s23
	buffer_load_dwordx4 v[30:33], v124, s[24:27], 0 offen
	buffer_load_dwordx4 v[22:25], v124, s[24:27], s54 offen
	;; [unrolled: 1-line block ×4, first 2 shown]
	v_mov_b32_e32 v134, v81
	v_mov_b32_e32 v135, v80
.LBB256_14:                             ;   in Loop: Header=BB256_6 Depth=1
	s_waitcnt lgkmcnt(0)
	s_barrier
	ds_read_b64 v[144:145], v127
	ds_read2_b64 v[136:139], v117 offset1:16
	ds_read_b64 v[160:161], v128
	ds_read_b64 v[162:163], v129
	;; [unrolled: 1-line block ×3, first 2 shown]
	ds_read2_b64 v[140:143], v117 offset0:32 offset1:48
	s_waitcnt lgkmcnt(4)
	v_mfma_f32_16x16x16_bf16 a[0:3], v[144:145], v[136:137], 0
	ds_read2st64_b64 v[148:151], v119 offset0:4 offset1:8
	ds_read2st64_b64 v[152:155], v120 offset0:4 offset1:8
	;; [unrolled: 1-line block ×3, first 2 shown]
	v_mfma_f32_16x16x16_bf16 a[4:7], v[144:145], v[138:139], 0
	s_add_i32 s21, s48, s62
	s_mul_hi_i32 s25, s21, s13
	s_mul_i32 s21, s21, s13
	s_waitcnt lgkmcnt(3)
	v_mfma_f32_16x16x16_bf16 a[8:11], v[144:145], v[140:141], 0
	s_add_u32 s24, s21, s33
	s_addc_u32 s25, s25, s52
	s_lshl_b64 s[24:25], s[24:25], 15
	v_mfma_f32_16x16x16_bf16 a[12:15], v[144:145], v[142:143], 0
	ds_read2st64_b64 v[144:147], v117 offset0:4 offset1:8
	s_waitcnt lgkmcnt(0)
	v_mfma_f32_16x16x16_bf16 a[0:3], v[160:161], v[144:145], a[0:3]
	v_mfma_f32_16x16x16_bf16 a[4:7], v[160:161], v[148:149], a[4:7]
	;; [unrolled: 1-line block ×8, first 2 shown]
	ds_read_b64 v[160:161], v117 offset:6144
	ds_read_b64 v[162:163], v118 offset:40960
	;; [unrolled: 1-line block ×8, first 2 shown]
	s_waitcnt lgkmcnt(5)
	v_mfma_f32_16x16x16_bf16 a[16:19], v[166:167], v[136:137], 0
	v_mfma_f32_16x16x16_bf16 a[20:23], v[166:167], v[138:139], 0
	ds_read2st64_b64 v[136:139], v114 offset1:8
	v_mfma_f32_16x16x16_bf16 a[24:27], v[166:167], v[140:141], 0
	v_mfma_f32_16x16x16_bf16 a[28:31], v[166:167], v[142:143], 0
	ds_read2st64_b64 v[140:143], v115 offset1:8
	v_mfma_f32_16x16x16_bf16 a[16:19], v[162:163], v[144:145], a[16:19]
	s_waitcnt lgkmcnt(1)
	v_mov_b32_e32 v144, v136
	v_mov_b32_e32 v145, v137
	v_mfma_f32_16x16x16_bf16 a[20:23], v[162:163], v[148:149], a[20:23]
	v_lshl_add_u64 v[148:149], v[70:71], 0, s[24:25]
	v_mfma_f32_16x16x16_bf16 a[24:27], v[162:163], v[152:153], a[24:27]
	v_mfma_f32_16x16x16_bf16 a[28:31], v[162:163], v[156:157], a[28:31]
	;; [unrolled: 1-line block ×3, first 2 shown]
	s_waitcnt lgkmcnt(0)
	v_mov_b32_e32 v146, v140
	v_mov_b32_e32 v147, v141
	;; [unrolled: 1-line block ×3, first 2 shown]
	v_mfma_f32_16x16x16_bf16 a[32:35], v[174:175], v[150:151], a[20:23]
	v_mov_b32_e32 v141, v139
	ds_read2st64_b64 v[136:139], v114 offset0:16 offset1:24
	global_store_dwordx4 v[148:149], v[144:147], off
	v_mfma_f32_16x16x16_bf16 a[24:27], v[174:175], v[154:155], a[24:27]
	ds_read2st64_b64 v[144:147], v115 offset0:16 offset1:24
	v_add_co_u32_e32 v150, vcc, s35, v148
	v_mfma_f32_16x16x16_bf16 a[28:31], v[174:175], v[158:159], a[28:31]
	s_nop 0
	v_addc_co_u32_e32 v151, vcc, 0, v149, vcc
	global_store_dwordx4 v[150:151], v[140:143], off offset:-4096
	v_mfma_f32_16x16x16_bf16 a[0:3], v[164:165], v[160:161], a[0:3]
	s_waitcnt lgkmcnt(1)
	v_mov_b32_e32 v140, v136
	v_add_co_u32_e32 v136, vcc, s60, v148
	v_mfma_f32_16x16x16_bf16 a[4:7], v[164:165], v[168:169], a[4:7]
	v_mov_b32_e32 v141, v137
	v_addc_co_u32_e32 v137, vcc, 0, v149, vcc
	v_mfma_f32_16x16x16_bf16 a[8:11], v[164:165], v[170:171], a[8:11]
	s_waitcnt lgkmcnt(0)
	v_mov_b32_e32 v142, v144
	v_mov_b32_e32 v143, v145
	;; [unrolled: 1-line block ×3, first 2 shown]
	v_mfma_f32_16x16x16_bf16 a[12:15], v[164:165], v[172:173], a[12:15]
	v_mov_b32_e32 v145, v139
	s_and_b64 vcc, exec, s[0:1]
	global_store_dwordx4 v[150:151], v[140:143], off
	v_mfma_f32_16x16x16_bf16 a[20:23], v[176:177], v[160:161], a[16:19]
	global_store_dwordx4 v[136:137], v[144:147], off
	v_mfma_f32_16x16x16_bf16 a[16:19], v[176:177], v[168:169], a[32:35]
	v_mfma_f32_16x16x16_bf16 a[24:27], v[176:177], v[170:171], a[24:27]
	;; [unrolled: 1-line block ×3, first 2 shown]
	s_cbranch_vccnz .LBB256_16
; %bb.15:                               ;   in Loop: Header=BB256_6 Depth=1
	v_lshrrev_b32_e32 v136, 3, v134
	v_and_b32_e32 v136, 6, v136
	v_xor_b32_e32 v135, v136, v135
	v_lshlrev_b32_e32 v135, 2, v135
	v_and_b32_e32 v134, 8, v134
	v_xor_b32_e32 v137, 0x440, v135
	v_cmp_eq_u32_e32 vcc, 0, v134
	s_barrier
	s_nop 0
	v_cndmask_b32_e32 v134, v137, v135, vcc
	v_lshl_or_b32 v134, v136, 10, v134
	s_waitcnt vmcnt(5)
	v_perm_b32 v135, v30, v26, s56
	s_waitcnt vmcnt(4)
	v_perm_b32 v136, v22, v18, s56
	ds_write2st64_b32 v134, v135, v136 offset0:128 offset1:160
	v_xor_b32_e32 v135, 8, v134
	v_perm_b32 v26, v30, v26, s57
	v_perm_b32 v18, v22, v18, s57
	v_add_u32_e32 v22, 0x80, v135
	ds_write2st64_b32 v22, v26, v18 offset0:128 offset1:160
	v_xor_b32_e32 v18, 16, v134
	v_perm_b32 v22, v31, v27, s56
	v_perm_b32 v26, v23, v19, s56
	ds_write2st64_b32 v18, v22, v26 offset0:129 offset1:161
	v_xor_b32_e32 v18, 24, v134
	v_perm_b32 v22, v31, v27, s57
	v_perm_b32 v19, v23, v19, s57
	v_add_u32_e32 v18, 0x80, v18
	ds_write2st64_b32 v18, v22, v19 offset0:129 offset1:161
	v_xor_b32_e32 v18, 32, v134
	v_perm_b32 v19, v32, v28, s56
	;; [unrolled: 9-line block ×3, first 2 shown]
	v_perm_b32 v20, v25, v21, s56
	ds_write2st64_b32 v18, v19, v20 offset0:131 offset1:163
	v_xor_b32_e32 v18, 56, v134
	v_perm_b32 v19, v33, v29, s57
	v_perm_b32 v20, v25, v21, s57
	v_add_u32_e32 v18, 0x80, v18
	ds_write2st64_b32 v18, v19, v20 offset0:131 offset1:163
	ds_write_b64 v133, v[14:15] offset:49152
	v_xor_b32_e32 v14, 8, v133
	ds_write_b64 v14, v[16:17] offset:49152
	ds_write_b64 v133, v[10:11] offset:57344
	;; [unrolled: 1-line block ×4, first 2 shown]
	v_xor_b32_e32 v6, 8, v132
	ds_write_b64 v6, v[8:9] offset:49152
	ds_write_b64 v132, v[2:3] offset:57344
	;; [unrolled: 1-line block ×3, first 2 shown]
.LBB256_16:                             ;   in Loop: Header=BB256_6 Depth=1
	s_waitcnt vmcnt(6)
	v_mul_f32_e32 v22, s20, v131
	v_exp_f32_e32 v132, v22
	v_accvgpr_read_b32 v5, a3
	v_accvgpr_read_b32 v9, a7
	;; [unrolled: 1-line block ×4, first 2 shown]
	s_waitcnt vmcnt(4)
	v_accvgpr_read_b32 v18, a20
	v_accvgpr_read_b32 v25, a19
	;; [unrolled: 1-line block ×28, first 2 shown]
	s_add_i32 s55, s55, 64
	v_pk_fma_f32 v[62:63], v[132:133], v[62:63], v[2:3] op_sel_hi:[0,1,1]
	v_pk_fma_f32 v[64:65], v[132:133], v[64:65], v[4:5] op_sel_hi:[0,1,1]
	;; [unrolled: 1-line block ×15, first 2 shown]
	s_cmp_eq_u32 s46, s61
	v_pk_fma_f32 v[38:39], v[132:133], v[38:39], v[32:33] op_sel_hi:[0,1,1]
	s_cbranch_scc1 .LBB256_18
; %bb.17:                               ;   in Loop: Header=BB256_6 Depth=1
	s_mov_b32 s62, s61
	s_branch .LBB256_6
.LBB256_18:
	s_lshl_b32 s40, s46, 6
	s_sub_i32 s41, s12, s40
	s_cmp_gt_i32 s41, 0
	s_cbranch_scc0 .LBB256_99
; %bb.19:
	s_ashr_i32 s35, s45, 31
	s_ashr_i32 s2, s40, 31
	s_cmpk_lg_i32 s15, 0x80
	s_cselect_b64 s[26:27], -1, 0
	s_and_b64 vcc, exec, s[26:27]
	s_cbranch_vccz .LBB256_21
; %bb.20:
	s_mul_i32 s1, s45, s12
	s_mul_hi_i32 s0, s45, s12
	s_add_u32 s1, s1, s40
	s_addc_u32 s0, s0, s2
	s_mul_i32 s3, s1, s47
	s_mul_hi_u32 s20, s1, s14
	s_add_i32 s3, s20, s3
	s_mul_i32 s0, s0, s14
	s_add_i32 s3, s3, s0
	s_mul_i32 s1, s1, s14
	s_ashr_i32 s0, s50, 31
	s_add_u32 s38, s1, s50
	s_addc_u32 s39, s3, s0
	s_cbranch_execz .LBB256_22
	s_branch .LBB256_23
.LBB256_21:
                                        ; implicit-def: $sgpr38_sgpr39
.LBB256_22:
	s_mul_hi_i32 s0, s45, s14
	s_mul_i32 s45, s45, s14
	s_ashr_i32 s1, s50, 31
	s_add_u32 s3, s45, s50
	s_addc_u32 s0, s0, s1
	s_mul_i32 s1, s3, s44
	s_mul_hi_u32 s14, s3, s12
	s_add_i32 s1, s14, s1
	s_mul_i32 s0, s0, s12
	s_add_i32 s1, s1, s0
	s_mul_i32 s3, s3, s12
	s_add_u32 s38, s3, s40
	s_addc_u32 s39, s1, s2
.LBB256_23:
	s_add_i32 s3, s48, s46
	s_ashr_i32 s14, s33, 31
	s_add_u32 s0, s43, s33
	s_addc_u32 s1, s49, s14
	s_mul_i32 s20, s0, s44
	s_mul_hi_u32 s21, s0, s12
	s_add_i32 s20, s21, s20
	s_mul_i32 s1, s1, s12
	s_add_i32 s20, s20, s1
	s_mul_i32 s0, s0, s12
	s_add_u32 s0, s0, s40
	v_lshlrev_b32_e32 v6, 6, v78
	v_lshlrev_b32_e32 v24, 2, v72
	s_addc_u32 s1, s20, s2
	s_mov_b32 s2, 0x7060302
	v_or_b32_e32 v9, v6, v24
	v_xor_b32_e32 v7, v78, v24
	v_perm_b32 v3, v65, v64, s2
	v_perm_b32 v2, v63, v62, s2
	;; [unrolled: 1-line block ×4, first 2 shown]
	v_lshlrev_b32_e32 v9, 1, v9
	v_xor_b32_e32 v8, v79, v24
	ds_write2st64_b64 v9, v[2:3], v[4:5] offset0:32 offset1:48
	v_lshlrev_b32_e32 v7, 1, v7
	v_lshlrev_b32_e32 v9, 8, v72
	v_or_b32_e32 v10, v7, v9
	v_lshlrev_b32_e32 v8, 1, v8
	ds_write_b64 v10, v[2:3]
	v_or_b32_e32 v2, v8, v9
	v_or_b32_e32 v9, 16, v72
	v_lshlrev_b32_e32 v23, 2, v9
	v_or_b32_e32 v10, v6, v23
	ds_write_b64 v2, v[4:5]
	v_perm_b32 v3, v57, v56, s2
	v_perm_b32 v2, v55, v54, s2
	;; [unrolled: 1-line block ×4, first 2 shown]
	v_lshlrev_b32_e32 v10, 1, v10
	v_lshlrev_b32_e32 v9, 8, v9
	ds_write2st64_b64 v10, v[2:3], v[4:5] offset0:32 offset1:48
	v_or_b32_e32 v10, v7, v9
	ds_write_b64 v10, v[2:3]
	v_or_b32_e32 v2, v8, v9
	v_or_b32_e32 v9, 32, v72
	v_lshlrev_b32_e32 v22, 2, v9
	v_or_b32_e32 v10, v6, v22
	s_lshl_b64 s[24:25], s[0:1], 8
	ds_write_b64 v2, v[4:5]
	v_perm_b32 v3, v49, v48, s2
	v_perm_b32 v2, v47, v46, s2
	v_perm_b32 v5, v45, v44, s2
	v_perm_b32 v4, v43, v42, s2
	v_lshlrev_b32_e32 v10, 1, v10
	v_lshlrev_b32_e32 v9, 8, v9
	s_add_u32 s0, s6, s24
	ds_write2st64_b64 v10, v[2:3], v[4:5] offset0:32 offset1:48
	v_or_b32_e32 v10, v7, v9
	s_addc_u32 s1, s7, s25
	ds_write_b64 v10, v[2:3]
	v_or_b32_e32 v2, v8, v9
	v_or_b32_e32 v9, 48, v72
	s_mul_hi_i32 s6, s3, s13
	s_mul_i32 s3, s3, s13
	ds_write_b64 v2, v[4:5]
	v_perm_b32 v3, v35, v34, s2
	v_perm_b32 v2, v41, v40, s2
	;; [unrolled: 1-line block ×4, first 2 shown]
	v_lshlrev_b32_e32 v19, 2, v9
	s_add_u32 s2, s3, s33
	v_or_b32_e32 v6, v6, v19
	s_addc_u32 s3, s6, s14
	v_lshlrev_b32_e32 v6, 1, v6
	s_ashr_i32 s31, s30, 31
	s_lshl_b64 s[2:3], s[2:3], 15
	ds_write2st64_b64 v6, v[2:3], v[4:5] offset0:32 offset1:48
	v_lshlrev_b32_e32 v6, 8, v9
	s_add_u32 s6, s36, s2
	v_or_b32_e32 v7, v7, v6
	s_addc_u32 s7, s37, s3
	s_lshl_b64 s[2:3], s[30:31], 8
	ds_write_b64 v7, v[2:3]
	v_or_b32_e32 v2, v8, v6
	s_add_u32 s2, s6, s2
	v_lshlrev_b32_e32 v3, 1, v72
	ds_write_b64 v2, v[4:5]
	v_lshrrev_b32_e32 v2, 4, v0
	s_addc_u32 s3, s7, s3
	v_or_b32_e32 v4, 1, v3
	v_lshlrev_b32_e32 v10, 4, v72
	v_mov_b32_e32 v11, 0
	v_xor_b32_e32 v3, v2, v3
	v_xor_b32_e32 v6, v4, v2
	v_lshl_add_u64 v[12:13], s[2:3], 0, v[10:11]
	v_lshlrev_b32_e32 v10, 8, v2
	v_lshl_or_b32 v16, v3, 3, v10
	v_lshl_or_b32 v17, v6, 3, v10
	s_waitcnt lgkmcnt(0)
	s_barrier
	ds_read2st64_b64 v[2:5], v16 offset1:8
	ds_read2st64_b64 v[6:9], v17 offset1:8
	v_lshl_add_u64 v[14:15], v[12:13], 0, v[10:11]
	s_movk_i32 s2, 0x2000
	s_cmp_lg_u32 s41, 64
	s_waitcnt lgkmcnt(1)
	v_mov_b32_e32 v10, v2
	v_mov_b32_e32 v11, v3
	s_waitcnt lgkmcnt(0)
	v_mov_b32_e32 v12, v6
	v_mov_b32_e32 v13, v7
	global_store_dwordx4 v[14:15], v[10:13], off
	v_mov_b32_e32 v6, v4
	v_mov_b32_e32 v7, v5
	ds_read2st64_b64 v[2:5], v16 offset0:16 offset1:24
	ds_read2st64_b64 v[10:13], v17 offset0:16 offset1:24
	v_add_co_u32_e32 v16, vcc, s2, v14
	s_cselect_b64 s[6:7], -1, 0
	s_nop 0
	v_addc_co_u32_e32 v17, vcc, 0, v15, vcc
	global_store_dwordx4 v[16:17], v[6:9], off offset:-4096
	v_lshl_or_b32 v25, v74, 3, v77
	s_mov_b32 s20, 0
	s_waitcnt lgkmcnt(1)
	v_mov_b32_e32 v6, v2
	v_add_co_u32_e32 v2, vcc, 0x3000, v14
	v_mov_b32_e32 v7, v3
	s_nop 0
	v_addc_co_u32_e32 v3, vcc, 0, v15, vcc
	s_waitcnt lgkmcnt(0)
	v_mov_b32_e32 v8, v10
	v_mov_b32_e32 v9, v11
	;; [unrolled: 1-line block ×4, first 2 shown]
	v_or_b32_e32 v20, 32, v25
	v_and_b32_e32 v18, 56, v76
	s_and_b64 vcc, exec, s[6:7]
	global_store_dwordx4 v[16:17], v[6:9], off
	global_store_dwordx4 v[2:3], v[10:13], off
	s_cbranch_vccz .LBB256_29
; %bb.24:
	s_mov_b32 s21, s20
	s_mov_b32 s22, s20
	s_mov_b32 s23, s20
	v_mov_b64_e32 v[6:7], s[20:21]
	v_mov_b64_e32 v[8:9], s[22:23]
	;; [unrolled: 1-line block ×3, first 2 shown]
	v_cmp_gt_i32_e32 vcc, s41, v25
	v_mov_b64_e32 v[4:5], v[8:9]
	s_and_saveexec_b64 s[2:3], vcc
	s_cbranch_execz .LBB256_26
; %bb.25:
	v_lshlrev_b32_e32 v2, 8, v25
	v_mov_b32_e32 v3, 0
	v_lshl_add_u64 v[4:5], s[0:1], 0, v[2:3]
	v_lshlrev_b32_e32 v2, 1, v18
	v_lshl_add_u64 v[10:11], v[4:5], 0, v[2:3]
	global_load_dwordx4 v[6:9], v[10:11], off
	global_load_dwordx4 v[2:5], v[10:11], off offset:128
.LBB256_26:
	s_or_b64 exec, exec, s[2:3]
	s_mov_b32 s21, s20
	s_mov_b32 s22, s20
	;; [unrolled: 1-line block ×3, first 2 shown]
	v_mov_b64_e32 v[14:15], s[20:21]
	v_mov_b64_e32 v[16:17], s[22:23]
	;; [unrolled: 1-line block ×3, first 2 shown]
	v_cmp_gt_i32_e32 vcc, s41, v20
	v_lshlrev_b32_e32 v21, 7, v20
	v_mov_b64_e32 v[12:13], v[16:17]
	s_and_saveexec_b64 s[2:3], vcc
	s_cbranch_execz .LBB256_28
; %bb.27:
	v_lshlrev_b32_e32 v10, 1, v21
	v_mov_b32_e32 v11, 0
	v_lshl_add_u64 v[12:13], s[0:1], 0, v[10:11]
	v_lshlrev_b32_e32 v10, 1, v18
	v_lshl_add_u64 v[26:27], v[12:13], 0, v[10:11]
	global_load_dwordx4 v[14:17], v[26:27], off
	global_load_dwordx4 v[10:13], v[26:27], off offset:128
.LBB256_28:
	s_or_b64 exec, exec, s[2:3]
	v_lshrrev_b32_e32 v26, 3, v18
	v_lshlrev_b32_e32 v27, 3, v25
	v_or_b32_e32 v26, v27, v26
	v_lshlrev_b32_e32 v26, 4, v26
	v_and_b32_e32 v27, 0x78, v27
	v_xor_b32_e32 v26, v26, v27
	s_branch .LBB256_31
.LBB256_29:
                                        ; implicit-def: $vgpr26
                                        ; implicit-def: $vgpr21
                                        ; implicit-def: $vgpr6_vgpr7_vgpr8_vgpr9
                                        ; implicit-def: $vgpr2_vgpr3_vgpr4_vgpr5
                                        ; implicit-def: $vgpr14_vgpr15_vgpr16_vgpr17
                                        ; implicit-def: $vgpr10_vgpr11_vgpr12_vgpr13
	s_cbranch_execz .LBB256_31
; %bb.30:
	s_waitcnt vmcnt(0)
	v_lshlrev_b32_e32 v2, 1, v18
	v_lshl_or_b32 v21, v25, 8, v2
	s_and_b32 s1, s1, 0xffff
	s_mov_b32 s3, 0x20000
	s_movk_i32 s2, 0x4000
	v_lshl_or_b32 v26, v20, 8, v2
	s_movk_i32 s13, 0x80
	buffer_load_dwordx4 v[6:9], v21, s[0:3], 0 offen
	buffer_load_dwordx4 v[2:5], v21, s[0:3], s13 offen
	;; [unrolled: 1-line block ×4, first 2 shown]
	v_lshrrev_b32_e32 v21, 3, v18
	v_lshlrev_b32_e32 v26, 3, v25
	v_or_b32_e32 v21, v26, v21
	v_lshlrev_b32_e32 v21, 4, v21
	v_and_b32_e32 v26, 0x78, v26
	v_xor_b32_e32 v26, v21, v26
	v_lshlrev_b32_e32 v21, 7, v20
.LBB256_31:
	s_movk_i32 s0, 0x1000
	v_and_or_b32 v20, v21, s0, v26
	s_waitcnt vmcnt(1)
	ds_write_b64 v26, v[6:7] offset:49152
	v_xor_b32_e32 v6, 8, v26
	ds_write_b64 v6, v[8:9] offset:49152
	s_waitcnt vmcnt(0)
	ds_write_b64 v26, v[2:3] offset:57344
	ds_write_b64 v6, v[4:5] offset:57344
	;; [unrolled: 1-line block ×3, first 2 shown]
	v_xor_b32_e32 v2, 8, v20
	ds_write_b64 v2, v[16:17] offset:49152
	ds_write_b64 v20, v[10:11] offset:57344
	;; [unrolled: 1-line block ×3, first 2 shown]
	v_or_b32_e32 v2, v1, v72
	v_lshlrev_b32_e32 v3, 11, v74
	v_lshlrev_b32_e32 v2, 3, v2
	v_and_b32_e32 v6, 0x1000, v3
	v_lshrrev_b32_e32 v3, 5, v73
	s_movk_i32 s0, 0xf8
	v_and_or_b32 v3, v2, s0, v3
	v_lshlrev_b32_e32 v7, 4, v3
	v_and_b32_e32 v8, 0x78, v2
	v_or_b32_e32 v10, 32, v7
	v_lshrrev_b32_e32 v3, 1, v73
	v_xor_b32_e32 v10, v10, v8
	v_xor_b32_e32 v2, v7, v8
	v_and_b32_e32 v9, 8, v3
	v_or_b32_e32 v10, v10, v6
	v_or_b32_e32 v2, v2, v6
	v_xor_b32_e32 v28, v10, v9
	v_or_b32_e32 v10, 64, v7
	v_xor_b32_e32 v27, v2, v9
	v_xor_b32_e32 v10, v10, v8
	s_waitcnt lgkmcnt(0)
	s_barrier
	v_or_b32_e32 v13, v10, v6
	ds_read_b64 v[10:11], v27 offset:49152
	v_lshl_or_b32 v14, v75, 8, v24
	v_lshlrev_b32_e32 v26, 1, v14
	v_add_u32_e32 v12, 0x4000, v26
	ds_read2_b64 v[2:5], v12 offset1:16
	v_or_b32_e32 v7, 0x60, v7
	v_xor_b32_e32 v7, v7, v8
	v_or_b32_e32 v6, v7, v6
	v_xor_b32_e32 v29, v13, v9
	v_xor_b32_e32 v30, v6, v9
	ds_read_b64 v[20:21], v28 offset:49152
	ds_read_b64 v[34:35], v29 offset:49152
	;; [unrolled: 1-line block ×3, first 2 shown]
	s_waitcnt lgkmcnt(3)
	v_mfma_f32_16x16x16_bf16 a[0:3], v[10:11], v[2:3], 0
	ds_read2_b64 v[6:9], v12 offset0:32 offset1:48
	s_lshl_b64 s[0:1], s[38:39], 8
	s_add_u32 s4, s4, s0
	v_mfma_f32_16x16x16_bf16 a[4:7], v[10:11], v[4:5], 0
	ds_read2st64_b64 v[2:5], v26 offset0:36 offset1:40
	s_addc_u32 s5, s5, s1
	s_add_i32 s2, s12, -1
	s_waitcnt lgkmcnt(1)
	v_mfma_f32_16x16x16_bf16 a[8:11], v[10:11], v[6:7], 0
	v_or_b32_e32 v6, 64, v14
	v_lshlrev_b32_e32 v31, 1, v6
	s_add_i32 s0, s42, s17
	s_waitcnt lgkmcnt(0)
	v_mfma_f32_16x16x16_bf16 a[0:3], v[20:21], v[2:3], a[0:3]
	v_or_b32_e32 v2, 0x80, v14
	v_lshlrev_b32_e32 v32, 1, v2
	v_or_b32_e32 v2, 0xc0, v14
	v_mfma_f32_16x16x16_bf16 a[12:15], v[10:11], v[8:9], 0
	ds_read2st64_b64 v[6:9], v31 offset0:36 offset1:40
	v_lshlrev_b32_e32 v33, 1, v2
	ds_read2st64_b64 v[10:13], v32 offset0:36 offset1:40
	ds_read2st64_b64 v[14:17], v33 offset0:36 offset1:40
	s_mul_i32 s35, s35, s16
	s_add_i32 s35, s0, s35
	s_mul_i32 s0, s33, s19
	s_mul_hi_u32 s1, s33, s18
	s_ashr_i32 s3, s2, 31
	s_mul_i32 s12, s2, s29
	s_mul_hi_u32 s13, s2, s28
	s_waitcnt lgkmcnt(2)
	v_mfma_f32_16x16x16_bf16 a[4:7], v[20:21], v[6:7], a[4:7]
	s_add_i32 s0, s1, s0
	s_mul_i32 s1, s14, s18
	s_add_i32 s12, s13, s12
	s_mul_i32 s3, s3, s28
	s_waitcnt lgkmcnt(1)
	v_mfma_f32_16x16x16_bf16 a[8:11], v[20:21], v[10:11], a[8:11]
	s_add_i32 s1, s0, s1
	s_add_i32 s3, s12, s3
	s_lshl_b64 s[12:13], s[34:35], 2
	s_waitcnt lgkmcnt(0)
	v_mfma_f32_16x16x16_bf16 a[12:15], v[20:21], v[14:15], a[12:15]
	s_mul_i32 s0, s33, s18
	s_add_u32 s10, s10, s12
	s_addc_u32 s11, s11, s13
	s_lshl_b64 s[0:1], s[0:1], 2
	v_mfma_f32_16x16x16_bf16 a[0:3], v[34:35], v[4:5], a[0:3]
	s_mul_i32 s2, s2, s28
	ds_read_b64 v[2:3], v26 offset:22528
	s_add_u32 s10, s10, s0
	v_mfma_f32_16x16x16_bf16 a[4:7], v[34:35], v[8:9], a[4:7]
	ds_read_b64 v[4:5], v31 offset:22528
	ds_read_b64 v[6:7], v32 offset:22528
	;; [unrolled: 1-line block ×3, first 2 shown]
	s_addc_u32 s11, s11, s1
	s_lshl_b64 s[0:1], s[2:3], 2
	v_mfma_f32_16x16x16_bf16 a[8:11], v[34:35], v[12:13], a[8:11]
	s_add_u32 s0, s10, s0
	s_addc_u32 s1, s11, s1
	s_load_dword s12, s[0:1], 0x0
	v_mfma_f32_16x16x16_bf16 a[12:15], v[34:35], v[16:17], a[12:15]
	s_and_b64 vcc, exec, s[26:27]
	s_waitcnt lgkmcnt(0)
	v_mfma_f32_16x16x16_bf16 a[0:3], v[36:37], v[2:3], a[0:3]
	v_mfma_f32_16x16x16_bf16 a[4:7], v[36:37], v[4:5], a[4:7]
	v_mfma_f32_16x16x16_bf16 a[8:11], v[36:37], v[6:7], a[8:11]
	v_mfma_f32_16x16x16_bf16 a[12:15], v[36:37], v[8:9], a[12:15]
	s_cbranch_vccz .LBB256_42
; %bb.32:
	v_lshlrev_b32_e32 v20, 1, v25
	s_and_b64 vcc, exec, s[6:7]
	s_cbranch_vccz .LBB256_43
; %bb.33:
	v_cmp_gt_i32_e32 vcc, s41, v20
	v_mov_b32_e32 v6, 0
	v_mov_b32_e32 v2, 0
	;; [unrolled: 1-line block ×5, first 2 shown]
	s_and_saveexec_b64 s[0:1], vcc
	s_cbranch_execz .LBB256_35
; %bb.34:
	v_mad_i64_i32 v[2:3], s[2:3], s15, v20, 0
	v_lshl_add_u64 v[2:3], v[2:3], 1, s[4:5]
	v_lshlrev_b32_e32 v4, 1, v18
	v_mov_b32_e32 v5, 0
	v_lshl_add_u64 v[2:3], v[2:3], 0, v[4:5]
	global_load_dwordx4 v[2:5], v[2:3], off
.LBB256_35:
	s_or_b64 exec, exec, s[0:1]
	v_or_b32_e32 v21, 1, v20
	v_cmp_gt_i32_e64 s[0:1], s41, v21
	v_mov_b32_e32 v7, 0
	v_mov_b32_e32 v8, 0
	;; [unrolled: 1-line block ×3, first 2 shown]
	s_and_saveexec_b64 s[2:3], s[0:1]
	s_cbranch_execz .LBB256_37
; %bb.36:
	v_mad_i64_i32 v[6:7], s[16:17], s15, v21, 0
	v_lshl_add_u64 v[6:7], v[6:7], 1, s[4:5]
	v_lshlrev_b32_e32 v8, 1, v18
	v_mov_b32_e32 v9, 0
	v_lshl_add_u64 v[6:7], v[6:7], 0, v[8:9]
	global_load_dwordx4 v[6:9], v[6:7], off
.LBB256_37:
	s_or_b64 exec, exec, s[2:3]
	v_mov_b32_e32 v17, 0
	v_mov_b32_e32 v10, 0
	;; [unrolled: 1-line block ×5, first 2 shown]
	s_and_saveexec_b64 s[2:3], vcc
	s_cbranch_execz .LBB256_39
; %bb.38:
	v_mad_i64_i32 v[10:11], s[16:17], s15, v20, 0
	v_lshl_add_u64 v[10:11], v[10:11], 1, s[4:5]
	v_lshlrev_b32_e32 v12, 1, v18
	v_mov_b32_e32 v13, 0
	v_lshl_add_u64 v[10:11], v[10:11], 0, v[12:13]
	global_load_dwordx4 v[10:13], v[10:11], off offset:128
.LBB256_39:
	s_or_b64 exec, exec, s[2:3]
	v_mov_b32_e32 v16, 0
	v_mov_b32_e32 v15, 0
	;; [unrolled: 1-line block ×3, first 2 shown]
	s_and_saveexec_b64 s[2:3], s[0:1]
	s_cbranch_execz .LBB256_41
; %bb.40:
	v_mad_i64_i32 v[14:15], s[0:1], s15, v21, 0
	v_lshl_add_u64 v[14:15], v[14:15], 1, s[4:5]
	v_lshlrev_b32_e32 v16, 1, v18
	v_mov_b32_e32 v17, 0
	v_lshl_add_u64 v[14:15], v[14:15], 0, v[16:17]
	global_load_dwordx4 v[14:17], v[14:15], off offset:128
.LBB256_41:
	s_or_b64 exec, exec, s[2:3]
	s_branch .LBB256_45
.LBB256_42:
                                        ; implicit-def: $vgpr5
                                        ; implicit-def: $vgpr9
                                        ; implicit-def: $vgpr13
                                        ; implicit-def: $vgpr17
	v_lshrrev_b32_e32 v34, 2, v73
	s_branch .LBB256_46
.LBB256_43:
                                        ; implicit-def: $vgpr5
                                        ; implicit-def: $vgpr9
                                        ; implicit-def: $vgpr13
                                        ; implicit-def: $vgpr17
	s_cbranch_execz .LBB256_45
; %bb.44:
	s_waitcnt vmcnt(0)
	v_mad_u64_u32 v[2:3], s[0:1], v20, s15, v[18:19]
	v_lshlrev_b32_e32 v20, 1, v2
	s_lshl_b32 s2, s15, 7
	s_and_b32 s1, s5, 0xffff
	s_mov_b32 s3, 0x20000
	s_mov_b32 s0, s4
	v_add_lshl_u32 v21, v2, s15, 1
	s_movk_i32 s13, 0x80
	buffer_load_dwordx4 v[2:5], v20, s[0:3], 0 offen
	buffer_load_dwordx4 v[10:13], v20, s[0:3], s13 offen
	;; [unrolled: 1-line block ×4, first 2 shown]
.LBB256_45:
	v_lshrrev_b32_e32 v34, 2, v73
	s_cbranch_execnz .LBB256_58
.LBB256_46:
	s_and_b64 vcc, exec, s[6:7]
	s_cbranch_vccz .LBB256_56
; %bb.47:
	s_waitcnt vmcnt(0)
	v_lshlrev_b32_e32 v7, 1, v25
	v_cmp_gt_i32_e32 vcc, s41, v7
	v_mov_b32_e32 v6, 0
	v_lshlrev_b32_e32 v14, 9, v25
	v_mov_b32_e32 v2, 0
	v_mov_b32_e32 v3, 0
	;; [unrolled: 1-line block ×4, first 2 shown]
	s_and_saveexec_b64 s[0:1], vcc
	s_cbranch_execz .LBB256_49
; %bb.48:
	v_mov_b32_e32 v15, 0
	v_lshl_add_u64 v[2:3], s[4:5], 0, v[14:15]
	v_lshlrev_b32_e32 v4, 1, v18
	v_mov_b32_e32 v5, v15
	v_lshl_add_u64 v[2:3], v[2:3], 0, v[4:5]
	global_load_dwordx4 v[2:5], v[2:3], off
.LBB256_49:
	s_or_b64 exec, exec, s[0:1]
	v_or_b32_e32 v7, 1, v7
	v_cmp_gt_i32_e64 s[0:1], s41, v7
	v_lshlrev_b32_e32 v20, 8, v7
	v_mov_b32_e32 v7, 0
	v_mov_b32_e32 v8, 0
	;; [unrolled: 1-line block ×3, first 2 shown]
	s_and_saveexec_b64 s[2:3], s[0:1]
	s_cbranch_execz .LBB256_51
; %bb.50:
	v_mov_b32_e32 v21, 0
	v_lshl_add_u64 v[6:7], s[4:5], 0, v[20:21]
	v_lshlrev_b32_e32 v8, 1, v18
	v_mov_b32_e32 v9, v21
	v_lshl_add_u64 v[6:7], v[6:7], 0, v[8:9]
	global_load_dwordx4 v[6:9], v[6:7], off
.LBB256_51:
	s_or_b64 exec, exec, s[2:3]
	v_mov_b32_e32 v17, 0
	v_mov_b32_e32 v10, 0
	;; [unrolled: 1-line block ×5, first 2 shown]
	s_and_saveexec_b64 s[2:3], vcc
	s_cbranch_execz .LBB256_53
; %bb.52:
	v_mov_b32_e32 v15, 0
	v_lshl_add_u64 v[10:11], s[4:5], 0, v[14:15]
	v_lshlrev_b32_e32 v14, 1, v18
	v_lshl_add_u64 v[10:11], v[10:11], 0, v[14:15]
	global_load_dwordx4 v[10:13], v[10:11], off offset:128
.LBB256_53:
	s_or_b64 exec, exec, s[2:3]
	v_mov_b32_e32 v16, 0
	v_mov_b32_e32 v15, 0
	;; [unrolled: 1-line block ×3, first 2 shown]
	s_and_saveexec_b64 s[2:3], s[0:1]
	s_cbranch_execz .LBB256_55
; %bb.54:
	v_mov_b32_e32 v21, 0
	v_lshl_add_u64 v[14:15], s[4:5], 0, v[20:21]
	v_lshlrev_b32_e32 v20, 1, v18
	v_lshl_add_u64 v[14:15], v[14:15], 0, v[20:21]
	global_load_dwordx4 v[14:17], v[14:15], off offset:128
.LBB256_55:
	s_or_b64 exec, exec, s[2:3]
	s_branch .LBB256_58
.LBB256_56:
                                        ; implicit-def: $vgpr5
                                        ; implicit-def: $vgpr9
                                        ; implicit-def: $vgpr13
                                        ; implicit-def: $vgpr17
	s_cbranch_execz .LBB256_58
; %bb.57:
	s_waitcnt vmcnt(0)
	v_lshlrev_b32_e32 v2, 1, v18
	v_lshl_or_b32 v18, v25, 9, v2
	s_and_b32 s5, s5, 0xffff
	s_mov_b32 s7, 0x20000
	s_movk_i32 s6, 0x4000
	s_movk_i32 s0, 0x80
	buffer_load_dwordx4 v[2:5], v18, s[4:7], 0 offen
	buffer_load_dwordx4 v[6:9], v18, s[4:7], 0 offen offset:256
	buffer_load_dwordx4 v[10:13], v18, s[4:7], s0 offen
	buffer_load_dwordx4 v[14:17], v18, s[4:7], s0 offen offset:256
.LBB256_58:
	ds_read_b64 v[20:21], v27 offset:57344
	v_add_u32_e32 v18, 0x6000, v26
	ds_read2_b64 v[36:39], v18 offset1:16
	ds_read_b64 v[52:53], v28 offset:57344
	ds_read_b64 v[28:29], v29 offset:57344
	;; [unrolled: 1-line block ×3, first 2 shown]
	ds_read2st64_b64 v[40:43], v26 offset0:52 offset1:56
	s_mov_b32 s0, 0x1000504
	s_mov_b32 s1, 0x3020706
	s_waitcnt lgkmcnt(4)
	v_mfma_f32_16x16x16_bf16 a[0:3], v[20:21], v[36:37], a[0:3]
	v_mfma_f32_16x16x16_bf16 a[4:7], v[20:21], v[38:39], a[4:7]
	ds_read2_b64 v[36:39], v18 offset0:32 offset1:48
	v_and_b32_e32 v18, 6, v0
	v_xor_b32_e32 v25, v25, v18
	s_waitcnt lgkmcnt(0)
	v_mfma_f32_16x16x16_bf16 a[8:11], v[20:21], v[36:37], a[8:11]
	v_lshlrev_b32_e32 v25, 2, v25
	v_and_b32_e32 v0, 1, v0
	v_xor_b32_e32 v35, 0x440, v25
	v_mfma_f32_16x16x16_bf16 a[12:15], v[20:21], v[38:39], a[12:15]
	ds_read2st64_b64 v[36:39], v31 offset0:52 offset1:56
	ds_read2st64_b64 v[44:47], v32 offset0:52 offset1:56
	;; [unrolled: 1-line block ×3, first 2 shown]
	v_cmp_eq_u32_e32 vcc, 0, v0
	ds_read_b64 v[20:21], v26 offset:30720
	ds_read_b64 v[26:27], v31 offset:30720
	;; [unrolled: 1-line block ×4, first 2 shown]
	v_mfma_f32_16x16x16_bf16 a[0:3], v[52:53], v[40:41], a[0:3]
	v_cndmask_b32_e32 v0, v35, v25, vcc
	v_lshl_or_b32 v0, v18, 10, v0
	s_waitcnt vmcnt(0)
	v_perm_b32 v18, v2, v6, s0
	s_waitcnt lgkmcnt(6)
	v_mfma_f32_16x16x16_bf16 a[4:7], v[52:53], v[36:37], a[4:7]
	v_perm_b32 v25, v10, v14, s0
	ds_write2st64_b32 v0, v18, v25 offset0:128 offset1:160
	v_xor_b32_e32 v18, 8, v0
	s_waitcnt lgkmcnt(6)
	v_mfma_f32_16x16x16_bf16 a[8:11], v[52:53], v[44:45], a[8:11]
	v_perm_b32 v2, v2, v6, s1
	v_perm_b32 v6, v10, v14, s1
	v_add_u32_e32 v10, 0x80, v18
	s_waitcnt lgkmcnt(5)
	v_mfma_f32_16x16x16_bf16 a[12:15], v[52:53], v[48:49], a[12:15]
	ds_write2st64_b32 v10, v2, v6 offset0:128 offset1:160
	v_xor_b32_e32 v2, 16, v0
	v_perm_b32 v6, v3, v7, s0
	v_mfma_f32_16x16x16_bf16 a[0:3], v[28:29], v[42:43], a[0:3]
	v_perm_b32 v10, v11, v15, s0
	ds_write2st64_b32 v2, v6, v10 offset0:129 offset1:161
	v_xor_b32_e32 v2, 24, v0
	v_mfma_f32_16x16x16_bf16 a[4:7], v[28:29], v[38:39], a[4:7]
	v_perm_b32 v3, v3, v7, s1
	v_perm_b32 v6, v11, v15, s1
	v_add_u32_e32 v2, 0x80, v2
	v_mfma_f32_16x16x16_bf16 a[16:19], v[28:29], v[46:47], a[8:11]
	ds_write2st64_b32 v2, v3, v6 offset0:129 offset1:161
	v_xor_b32_e32 v2, 32, v0
	v_perm_b32 v3, v4, v8, s0
	v_mfma_f32_16x16x16_bf16 a[20:23], v[28:29], v[50:51], a[12:15]
	v_perm_b32 v6, v12, v16, s0
	ds_write2st64_b32 v2, v3, v6 offset0:130 offset1:162
	v_xor_b32_e32 v2, 40, v0
	s_waitcnt lgkmcnt(8)
	v_mfma_f32_16x16x16_bf16 a[12:15], v[54:55], v[20:21], a[0:3]
	v_perm_b32 v3, v4, v8, s1
	v_perm_b32 v4, v12, v16, s1
	v_add_u32_e32 v2, 0x80, v2
	s_waitcnt lgkmcnt(7)
	v_mfma_f32_16x16x16_bf16 a[8:11], v[54:55], v[26:27], a[4:7]
	ds_write2st64_b32 v2, v3, v4 offset0:130 offset1:162
	v_xor_b32_e32 v2, 48, v0
	v_perm_b32 v3, v5, v9, s0
	s_waitcnt lgkmcnt(7)
	v_mfma_f32_16x16x16_bf16 a[4:7], v[54:55], v[30:31], a[16:19]
	v_perm_b32 v4, v13, v17, s0
	v_xor_b32_e32 v0, 56, v0
	v_and_or_b32 v18, v34, 12, v1
	s_waitcnt lgkmcnt(6)
	v_mfma_f32_16x16x16_bf16 a[0:3], v[54:55], v[32:33], a[20:23]
	ds_write2st64_b32 v2, v3, v4 offset0:131 offset1:163
	v_perm_b32 v2, v5, v9, s1
	v_perm_b32 v3, v13, v17, s1
	v_add_u32_e32 v0, 0x80, v0
	v_cmp_gt_i32_e32 vcc, s41, v18
	v_mov_b32_e32 v14, 0
	v_mov_b32_e32 v16, 0
	ds_write2st64_b32 v0, v2, v3 offset0:131 offset1:163
	s_and_saveexec_b64 s[0:1], vcc
	s_cbranch_execz .LBB256_60
; %bb.59:
	v_add_u32_e32 v0, s40, v18
	v_ashrrev_i32_e32 v1, 31, v0
	v_mul_lo_u32 v2, v1, s28
	v_mul_lo_u32 v3, v0, s29
	v_mad_u64_u32 v[0:1], s[2:3], v0, s28, 0
	v_add3_u32 v1, v1, v3, v2
	v_lshl_add_u64 v[0:1], v[0:1], 2, s[10:11]
	global_load_dword v0, v[0:1], off
	s_waitcnt vmcnt(0)
	v_sub_f32_e32 v0, s12, v0
	v_mul_f32_e32 v0, 0x3fb8aa3b, v0
	v_exp_f32_e32 v16, v0
.LBB256_60:
	s_or_b64 exec, exec, s[0:1]
	v_or_b32_e32 v8, 1, v18
	v_cmp_gt_i32_e64 s[0:1], s41, v8
	s_and_saveexec_b64 s[2:3], s[0:1]
	s_cbranch_execz .LBB256_62
; %bb.61:
	v_add_u32_e32 v0, s40, v8
	v_ashrrev_i32_e32 v1, 31, v0
	v_mul_lo_u32 v2, v1, s28
	v_mul_lo_u32 v3, v0, s29
	v_mad_u64_u32 v[0:1], s[4:5], v0, s28, 0
	v_add3_u32 v1, v1, v3, v2
	v_lshl_add_u64 v[0:1], v[0:1], 2, s[10:11]
	global_load_dword v0, v[0:1], off
	s_waitcnt vmcnt(0)
	v_sub_f32_e32 v0, s12, v0
	v_mul_f32_e32 v0, 0x3fb8aa3b, v0
	v_exp_f32_e32 v14, v0
.LBB256_62:
	s_or_b64 exec, exec, s[2:3]
	v_or_b32_e32 v10, 2, v18
	v_cmp_gt_i32_e64 s[2:3], s41, v10
	v_mov_b32_e32 v15, 0
	v_mov_b32_e32 v17, 0
	s_and_saveexec_b64 s[4:5], s[2:3]
	s_cbranch_execz .LBB256_64
; %bb.63:
	v_add_u32_e32 v0, s40, v10
	v_ashrrev_i32_e32 v1, 31, v0
	v_mul_lo_u32 v2, v1, s28
	v_mul_lo_u32 v3, v0, s29
	v_mad_u64_u32 v[0:1], s[6:7], v0, s28, 0
	v_add3_u32 v1, v1, v3, v2
	v_lshl_add_u64 v[0:1], v[0:1], 2, s[10:11]
	global_load_dword v0, v[0:1], off
	s_waitcnt vmcnt(0)
	v_sub_f32_e32 v0, s12, v0
	v_mul_f32_e32 v0, 0x3fb8aa3b, v0
	v_exp_f32_e32 v17, v0
.LBB256_64:
	s_or_b64 exec, exec, s[4:5]
	v_or_b32_e32 v12, 3, v18
	v_cmp_gt_i32_e64 s[4:5], s41, v12
	s_and_saveexec_b64 s[6:7], s[4:5]
	s_cbranch_execz .LBB256_66
; %bb.65:
	v_add_u32_e32 v0, s40, v12
	v_ashrrev_i32_e32 v1, 31, v0
	v_mul_lo_u32 v2, v1, s28
	v_mul_lo_u32 v3, v0, s29
	v_mad_u64_u32 v[0:1], s[14:15], v0, s28, 0
	v_add3_u32 v1, v1, v3, v2
	v_lshl_add_u64 v[0:1], v[0:1], 2, s[10:11]
	global_load_dword v0, v[0:1], off
	s_waitcnt vmcnt(0)
	v_sub_f32_e32 v0, s12, v0
	v_mul_f32_e32 v0, 0x3fb8aa3b, v0
	v_exp_f32_e32 v15, v0
.LBB256_66:
	s_or_b64 exec, exec, s[6:7]
	v_or_b32_e32 v4, s30, v72
	s_add_u32 s6, s8, s24
	v_accvgpr_read_b32 v0, a12
	s_addc_u32 s7, s9, s25
	v_ashrrev_i32_e32 v5, 31, v4
	v_accvgpr_read_b32 v1, a13
	v_accvgpr_read_b32 v2, a14
	v_accvgpr_read_b32 v3, a15
	v_lshl_add_u64 v[4:5], v[4:5], 1, s[6:7]
	v_mov_b32_e32 v9, 0
	v_lshlrev_b32_e32 v6, 8, v18
	v_mov_b32_e32 v7, 0
	s_and_saveexec_b64 s[6:7], vcc
	s_cbranch_execz .LBB256_68
; %bb.67:
	v_mov_b32_e32 v7, 0
	v_lshl_add_u64 v[20:21], v[4:5], 0, v[6:7]
	global_load_ushort v7, v[20:21], off
	s_waitcnt vmcnt(0)
	v_lshlrev_b32_e32 v7, 16, v7
	v_sub_f32_e32 v0, v7, v0
	v_mul_f32_e32 v0, v16, v0
	v_lshrrev_b32_e32 v7, 16, v0
.LBB256_68:
	s_or_b64 exec, exec, s[6:7]
	v_lshlrev_b32_e32 v8, 8, v8
	s_and_saveexec_b64 s[6:7], s[0:1]
	s_cbranch_execz .LBB256_70
; %bb.69:
	v_mov_b32_e32 v9, 0
	v_lshl_add_u64 v[20:21], v[4:5], 0, v[8:9]
	global_load_ushort v0, v[20:21], off
	s_waitcnt vmcnt(0)
	v_lshlrev_b32_e32 v0, 16, v0
	v_sub_f32_e32 v0, v0, v1
	v_mul_f32_e32 v0, v14, v0
	v_lshrrev_b32_e32 v9, 16, v0
.LBB256_70:
	s_or_b64 exec, exec, s[6:7]
	v_mov_b32_e32 v13, 0
	v_lshlrev_b32_e32 v10, 8, v10
	v_mov_b32_e32 v11, 0
	s_and_saveexec_b64 s[6:7], s[2:3]
	s_cbranch_execz .LBB256_72
; %bb.71:
	v_mov_b32_e32 v11, 0
	v_lshl_add_u64 v[0:1], v[4:5], 0, v[10:11]
	global_load_ushort v0, v[0:1], off
	s_waitcnt vmcnt(0)
	v_lshlrev_b32_e32 v0, 16, v0
	v_sub_f32_e32 v0, v0, v2
	v_mul_f32_e32 v0, v17, v0
	v_lshrrev_b32_e32 v11, 16, v0
.LBB256_72:
	s_or_b64 exec, exec, s[6:7]
	v_lshlrev_b32_e32 v12, 8, v12
	s_and_saveexec_b64 s[6:7], s[4:5]
	s_cbranch_execz .LBB256_74
; %bb.73:
	v_mov_b32_e32 v13, 0
	v_lshl_add_u64 v[0:1], v[4:5], 0, v[12:13]
	global_load_ushort v0, v[0:1], off
	s_waitcnt vmcnt(0)
	v_lshlrev_b32_e32 v0, 16, v0
	v_sub_f32_e32 v0, v0, v3
	v_mul_f32_e32 v0, v15, v0
	v_lshrrev_b32_e32 v13, 16, v0
.LBB256_74:
	s_or_b64 exec, exec, s[6:7]
	v_lshlrev_b32_e32 v18, 6, v18
	s_mov_b32 s6, 0x5040100
	v_perm_b32 v20, v9, v7, s6
	v_or_b32_e32 v7, v18, v24
	v_accvgpr_read_b32 v0, a8
	v_perm_b32 v21, v13, v11, s6
	v_lshlrev_b32_e32 v7, 1, v7
	v_accvgpr_read_b32 v1, a9
	v_accvgpr_read_b32 v2, a10
	;; [unrolled: 1-line block ×3, first 2 shown]
	ds_write_b64 v7, v[20:21] offset:24576
	v_mov_b32_e32 v9, 0
	v_mov_b32_e32 v7, 0
	s_and_saveexec_b64 s[6:7], vcc
	s_cbranch_execz .LBB256_76
; %bb.75:
	v_mov_b32_e32 v7, 0
	v_lshl_add_u64 v[20:21], v[4:5], 0, v[6:7]
	global_load_ushort v7, v[20:21], off offset:32
	s_waitcnt vmcnt(0)
	v_lshlrev_b32_e32 v7, 16, v7
	v_sub_f32_e32 v0, v7, v0
	v_mul_f32_e32 v0, v16, v0
	v_lshrrev_b32_e32 v7, 16, v0
.LBB256_76:
	s_or_b64 exec, exec, s[6:7]
	s_and_saveexec_b64 s[6:7], s[0:1]
	s_cbranch_execz .LBB256_78
; %bb.77:
	v_mov_b32_e32 v9, 0
	v_lshl_add_u64 v[20:21], v[4:5], 0, v[8:9]
	global_load_ushort v0, v[20:21], off offset:32
	s_waitcnt vmcnt(0)
	v_lshlrev_b32_e32 v0, 16, v0
	v_sub_f32_e32 v0, v0, v1
	v_mul_f32_e32 v0, v14, v0
	v_lshrrev_b32_e32 v9, 16, v0
.LBB256_78:
	s_or_b64 exec, exec, s[6:7]
	v_mov_b32_e32 v13, 0
	v_mov_b32_e32 v11, 0
	s_and_saveexec_b64 s[6:7], s[2:3]
	s_cbranch_execz .LBB256_80
; %bb.79:
	v_mov_b32_e32 v11, 0
	v_lshl_add_u64 v[0:1], v[4:5], 0, v[10:11]
	global_load_ushort v0, v[0:1], off offset:32
	s_waitcnt vmcnt(0)
	v_lshlrev_b32_e32 v0, 16, v0
	v_sub_f32_e32 v0, v0, v2
	v_mul_f32_e32 v0, v17, v0
	v_lshrrev_b32_e32 v11, 16, v0
.LBB256_80:
	s_or_b64 exec, exec, s[6:7]
	s_and_saveexec_b64 s[6:7], s[4:5]
	s_cbranch_execz .LBB256_82
; %bb.81:
	v_mov_b32_e32 v13, 0
	v_lshl_add_u64 v[0:1], v[4:5], 0, v[12:13]
	global_load_ushort v0, v[0:1], off offset:32
	s_waitcnt vmcnt(0)
	v_lshlrev_b32_e32 v0, 16, v0
	v_sub_f32_e32 v0, v0, v3
	v_mul_f32_e32 v0, v15, v0
	v_lshrrev_b32_e32 v13, 16, v0
.LBB256_82:
	s_or_b64 exec, exec, s[6:7]
	s_mov_b32 s6, 0x5040100
	v_perm_b32 v20, v9, v7, s6
	v_or_b32_e32 v7, v18, v23
	v_accvgpr_read_b32 v0, a4
	v_perm_b32 v21, v13, v11, s6
	v_lshlrev_b32_e32 v7, 1, v7
	v_accvgpr_read_b32 v1, a5
	v_accvgpr_read_b32 v2, a6
	;; [unrolled: 1-line block ×3, first 2 shown]
	ds_write_b64 v7, v[20:21] offset:24576
	v_mov_b32_e32 v9, 0
	v_mov_b32_e32 v7, 0
	s_and_saveexec_b64 s[6:7], vcc
	s_cbranch_execz .LBB256_84
; %bb.83:
	v_mov_b32_e32 v7, 0
	v_lshl_add_u64 v[20:21], v[4:5], 0, v[6:7]
	global_load_ushort v7, v[20:21], off offset:64
	s_waitcnt vmcnt(0)
	v_lshlrev_b32_e32 v7, 16, v7
	v_sub_f32_e32 v0, v7, v0
	v_mul_f32_e32 v0, v16, v0
	v_lshrrev_b32_e32 v7, 16, v0
.LBB256_84:
	s_or_b64 exec, exec, s[6:7]
	s_and_saveexec_b64 s[6:7], s[0:1]
	s_cbranch_execz .LBB256_86
; %bb.85:
	v_mov_b32_e32 v9, 0
	v_lshl_add_u64 v[20:21], v[4:5], 0, v[8:9]
	global_load_ushort v0, v[20:21], off offset:64
	s_waitcnt vmcnt(0)
	v_lshlrev_b32_e32 v0, 16, v0
	v_sub_f32_e32 v0, v0, v1
	v_mul_f32_e32 v0, v14, v0
	v_lshrrev_b32_e32 v9, 16, v0
.LBB256_86:
	s_or_b64 exec, exec, s[6:7]
	v_mov_b32_e32 v13, 0
	v_mov_b32_e32 v11, 0
	s_and_saveexec_b64 s[6:7], s[2:3]
	s_cbranch_execz .LBB256_88
; %bb.87:
	v_mov_b32_e32 v11, 0
	v_lshl_add_u64 v[0:1], v[4:5], 0, v[10:11]
	global_load_ushort v0, v[0:1], off offset:64
	s_waitcnt vmcnt(0)
	v_lshlrev_b32_e32 v0, 16, v0
	v_sub_f32_e32 v0, v0, v2
	v_mul_f32_e32 v0, v17, v0
	v_lshrrev_b32_e32 v11, 16, v0
.LBB256_88:
	s_or_b64 exec, exec, s[6:7]
	s_and_saveexec_b64 s[6:7], s[4:5]
	s_cbranch_execz .LBB256_90
; %bb.89:
	v_mov_b32_e32 v13, 0
	v_lshl_add_u64 v[0:1], v[4:5], 0, v[12:13]
	global_load_ushort v0, v[0:1], off offset:64
	s_waitcnt vmcnt(0)
	v_lshlrev_b32_e32 v0, 16, v0
	v_sub_f32_e32 v0, v0, v3
	v_mul_f32_e32 v0, v15, v0
	v_lshrrev_b32_e32 v13, 16, v0
.LBB256_90:
	s_or_b64 exec, exec, s[6:7]
	s_mov_b32 s6, 0x5040100
	v_perm_b32 v20, v9, v7, s6
	v_or_b32_e32 v7, v18, v22
	v_accvgpr_read_b32 v0, a0
	v_perm_b32 v21, v13, v11, s6
	v_lshlrev_b32_e32 v7, 1, v7
	v_accvgpr_read_b32 v1, a1
	v_accvgpr_read_b32 v2, a2
	;; [unrolled: 1-line block ×3, first 2 shown]
	ds_write_b64 v7, v[20:21] offset:24576
	v_mov_b32_e32 v9, 0
	v_mov_b32_e32 v7, 0
	s_and_saveexec_b64 s[6:7], vcc
	s_cbranch_execz .LBB256_92
; %bb.91:
	v_mov_b32_e32 v7, 0
	v_lshl_add_u64 v[6:7], v[4:5], 0, v[6:7]
	global_load_ushort v6, v[6:7], off offset:96
	s_waitcnt vmcnt(0)
	v_lshlrev_b32_e32 v6, 16, v6
	v_sub_f32_e32 v0, v6, v0
	v_mul_f32_e32 v0, v16, v0
	v_lshrrev_b32_e32 v7, 16, v0
.LBB256_92:
	s_or_b64 exec, exec, s[6:7]
	s_and_saveexec_b64 s[6:7], s[0:1]
	s_cbranch_execz .LBB256_94
; %bb.93:
	v_mov_b32_e32 v9, 0
	v_lshl_add_u64 v[8:9], v[4:5], 0, v[8:9]
	global_load_ushort v0, v[8:9], off offset:96
	s_waitcnt vmcnt(0)
	v_lshlrev_b32_e32 v0, 16, v0
	v_sub_f32_e32 v0, v0, v1
	v_mul_f32_e32 v0, v14, v0
	v_lshrrev_b32_e32 v9, 16, v0
.LBB256_94:
	s_or_b64 exec, exec, s[6:7]
	v_mov_b32_e32 v0, 0
	v_mov_b32_e32 v1, 0
	s_and_saveexec_b64 s[0:1], s[2:3]
	s_cbranch_execz .LBB256_96
; %bb.95:
	v_mov_b32_e32 v11, 0
	v_lshl_add_u64 v[10:11], v[4:5], 0, v[10:11]
	global_load_ushort v1, v[10:11], off offset:96
	s_waitcnt vmcnt(0)
	v_lshlrev_b32_e32 v1, 16, v1
	v_sub_f32_e32 v1, v1, v2
	v_mul_f32_e32 v1, v17, v1
	v_lshrrev_b32_e32 v1, 16, v1
.LBB256_96:
	s_or_b64 exec, exec, s[0:1]
	s_and_saveexec_b64 s[0:1], s[4:5]
	s_cbranch_execz .LBB256_98
; %bb.97:
	v_mov_b32_e32 v13, 0
	v_lshl_add_u64 v[4:5], v[4:5], 0, v[12:13]
	global_load_ushort v0, v[4:5], off offset:96
	s_waitcnt vmcnt(0)
	v_lshlrev_b32_e32 v0, 16, v0
	v_sub_f32_e32 v0, v0, v3
	v_mul_f32_e32 v0, v15, v0
	v_lshrrev_b32_e32 v0, 16, v0
.LBB256_98:
	s_or_b64 exec, exec, s[0:1]
	s_mov_b32 s0, 0x5040100
	v_or_b32_e32 v2, v18, v19
	v_perm_b32 v1, v0, v1, s0
	v_perm_b32 v0, v9, v7, s0
	v_lshlrev_b32_e32 v2, 1, v2
	ds_write_b64 v2, v[0:1] offset:24576
	s_waitcnt lgkmcnt(0)
	s_barrier
.LBB256_99:
	s_endpgm
	.section	.rodata,"a",@progbits
	.p2align	6, 0x0
	.amdhsa_kernel _ZN12_GLOBAL__N_139chunk_gated_delta_rule_fwd_h_hip_kernelILi64ELb0ELb0ELb0ELb0ELb0ELb0ELb0ELb0EEEvPK12hip_bfloat16S3_S3_PKfS5_PKvPS1_S8_PvPKiSB_iiiiilll
		.amdhsa_group_segment_fixed_size 65536
		.amdhsa_private_segment_fixed_size 0
		.amdhsa_kernarg_size 136
		.amdhsa_user_sgpr_count 2
		.amdhsa_user_sgpr_dispatch_ptr 0
		.amdhsa_user_sgpr_queue_ptr 0
		.amdhsa_user_sgpr_kernarg_segment_ptr 1
		.amdhsa_user_sgpr_dispatch_id 0
		.amdhsa_user_sgpr_kernarg_preload_length 0
		.amdhsa_user_sgpr_kernarg_preload_offset 0
		.amdhsa_user_sgpr_private_segment_size 0
		.amdhsa_uses_dynamic_stack 0
		.amdhsa_enable_private_segment 0
		.amdhsa_system_sgpr_workgroup_id_x 1
		.amdhsa_system_sgpr_workgroup_id_y 1
		.amdhsa_system_sgpr_workgroup_id_z 0
		.amdhsa_system_sgpr_workgroup_info 0
		.amdhsa_system_vgpr_workitem_id 0
		.amdhsa_next_free_vgpr 216
		.amdhsa_next_free_sgpr 63
		.amdhsa_accum_offset 180
		.amdhsa_reserve_vcc 1
		.amdhsa_float_round_mode_32 0
		.amdhsa_float_round_mode_16_64 0
		.amdhsa_float_denorm_mode_32 3
		.amdhsa_float_denorm_mode_16_64 3
		.amdhsa_dx10_clamp 1
		.amdhsa_ieee_mode 1
		.amdhsa_fp16_overflow 0
		.amdhsa_tg_split 0
		.amdhsa_exception_fp_ieee_invalid_op 0
		.amdhsa_exception_fp_denorm_src 0
		.amdhsa_exception_fp_ieee_div_zero 0
		.amdhsa_exception_fp_ieee_overflow 0
		.amdhsa_exception_fp_ieee_underflow 0
		.amdhsa_exception_fp_ieee_inexact 0
		.amdhsa_exception_int_div_zero 0
	.end_amdhsa_kernel
	.section	.text._ZN12_GLOBAL__N_139chunk_gated_delta_rule_fwd_h_hip_kernelILi64ELb0ELb0ELb0ELb0ELb0ELb0ELb0ELb0EEEvPK12hip_bfloat16S3_S3_PKfS5_PKvPS1_S8_PvPKiSB_iiiiilll,"axG",@progbits,_ZN12_GLOBAL__N_139chunk_gated_delta_rule_fwd_h_hip_kernelILi64ELb0ELb0ELb0ELb0ELb0ELb0ELb0ELb0EEEvPK12hip_bfloat16S3_S3_PKfS5_PKvPS1_S8_PvPKiSB_iiiiilll,comdat
.Lfunc_end256:
	.size	_ZN12_GLOBAL__N_139chunk_gated_delta_rule_fwd_h_hip_kernelILi64ELb0ELb0ELb0ELb0ELb0ELb0ELb0ELb0EEEvPK12hip_bfloat16S3_S3_PKfS5_PKvPS1_S8_PvPKiSB_iiiiilll, .Lfunc_end256-_ZN12_GLOBAL__N_139chunk_gated_delta_rule_fwd_h_hip_kernelILi64ELb0ELb0ELb0ELb0ELb0ELb0ELb0ELb0EEEvPK12hip_bfloat16S3_S3_PKfS5_PKvPS1_S8_PvPKiSB_iiiiilll
                                        ; -- End function
	.section	.AMDGPU.csdata,"",@progbits
; Kernel info:
; codeLenInByte = 10884
; NumSgprs: 69
; NumVgprs: 178
; NumAgprs: 36
; TotalNumVgprs: 216
; ScratchSize: 0
; MemoryBound: 0
; FloatMode: 240
; IeeeMode: 1
; LDSByteSize: 65536 bytes/workgroup (compile time only)
; SGPRBlocks: 8
; VGPRBlocks: 26
; NumSGPRsForWavesPerEU: 69
; NumVGPRsForWavesPerEU: 216
; AccumOffset: 180
; Occupancy: 1
; WaveLimiterHint : 1
; COMPUTE_PGM_RSRC2:SCRATCH_EN: 0
; COMPUTE_PGM_RSRC2:USER_SGPR: 2
; COMPUTE_PGM_RSRC2:TRAP_HANDLER: 0
; COMPUTE_PGM_RSRC2:TGID_X_EN: 1
; COMPUTE_PGM_RSRC2:TGID_Y_EN: 1
; COMPUTE_PGM_RSRC2:TGID_Z_EN: 0
; COMPUTE_PGM_RSRC2:TIDIG_COMP_CNT: 0
; COMPUTE_PGM_RSRC3_GFX90A:ACCUM_OFFSET: 44
; COMPUTE_PGM_RSRC3_GFX90A:TG_SPLIT: 0
	.section	.text._ZN12_GLOBAL__N_139chunk_gated_delta_rule_fwd_h_hip_kernelILi32ELb1ELb1ELb1ELb1ELb1ELb1ELb1ELb1EEEvPK12hip_bfloat16S3_S3_PKfS5_PKvPS1_S8_PvPKiSB_iiiiilll,"axG",@progbits,_ZN12_GLOBAL__N_139chunk_gated_delta_rule_fwd_h_hip_kernelILi32ELb1ELb1ELb1ELb1ELb1ELb1ELb1ELb1EEEvPK12hip_bfloat16S3_S3_PKfS5_PKvPS1_S8_PvPKiSB_iiiiilll,comdat
	.globl	_ZN12_GLOBAL__N_139chunk_gated_delta_rule_fwd_h_hip_kernelILi32ELb1ELb1ELb1ELb1ELb1ELb1ELb1ELb1EEEvPK12hip_bfloat16S3_S3_PKfS5_PKvPS1_S8_PvPKiSB_iiiiilll ; -- Begin function _ZN12_GLOBAL__N_139chunk_gated_delta_rule_fwd_h_hip_kernelILi32ELb1ELb1ELb1ELb1ELb1ELb1ELb1ELb1EEEvPK12hip_bfloat16S3_S3_PKfS5_PKvPS1_S8_PvPKiSB_iiiiilll
	.p2align	8
	.type	_ZN12_GLOBAL__N_139chunk_gated_delta_rule_fwd_h_hip_kernelILi32ELb1ELb1ELb1ELb1ELb1ELb1ELb1ELb1EEEvPK12hip_bfloat16S3_S3_PKfS5_PKvPS1_S8_PvPKiSB_iiiiilll,@function
_ZN12_GLOBAL__N_139chunk_gated_delta_rule_fwd_h_hip_kernelILi32ELb1ELb1ELb1ELb1ELb1ELb1ELb1ELb1EEEvPK12hip_bfloat16S3_S3_PKfS5_PKvPS1_S8_PvPKiSB_iiiiilll: ; @_ZN12_GLOBAL__N_139chunk_gated_delta_rule_fwd_h_hip_kernelILi32ELb1ELb1ELb1ELb1ELb1ELb1ELb1ELb1EEEvPK12hip_bfloat16S3_S3_PKfS5_PKvPS1_S8_PvPKiSB_iiiiilll
; %bb.0:
	s_load_dwordx4 s[28:31], s[0:1], 0x5c
	s_load_dwordx4 s[4:7], s[0:1], 0x70
	s_abs_i32 s11, s3
	s_ashr_i32 s10, s3, 31
	s_load_dwordx4 s[24:27], s[0:1], 0x40
	s_load_dwordx2 s[8:9], s[0:1], 0x50
	s_waitcnt lgkmcnt(0)
	s_abs_i32 s14, s29
	v_cvt_f32_u32_e32 v1, s14
	s_sub_i32 s12, 0, s14
	s_ashr_i32 s15, s29, 31
	s_xor_b32 s10, s10, s15
	v_rcp_iflag_f32_e32 v1, v1
	v_and_b32_e32 v71, 15, v0
	v_bfe_u32 v70, v0, 4, 2
	v_mov_b32_e32 v55, 0
	v_mul_f32_e32 v1, 0x4f7ffffe, v1
	v_cvt_u32_f32_e32 v1, v1
	v_lshlrev_b32_e32 v72, 3, v0
	v_readfirstlane_b32 s13, v1
	s_mul_i32 s12, s12, s13
	s_mul_hi_u32 s12, s13, s12
	s_add_i32 s13, s13, s12
	s_mul_hi_u32 s12, s11, s13
	s_mul_i32 s13, s12, s14
	s_sub_i32 s11, s11, s13
	s_add_i32 s16, s12, 1
	s_sub_i32 s13, s11, s14
	s_cmp_ge_u32 s11, s14
	s_cselect_b32 s12, s16, s12
	s_cselect_b32 s11, s13, s11
	s_add_i32 s13, s12, 1
	s_cmp_ge_u32 s11, s14
	s_cselect_b32 s11, s13, s12
	s_xor_b32 s11, s11, s10
	s_sub_i32 s36, s11, s10
	s_mul_i32 s16, s36, s29
	s_ashr_i32 s37, s36, 31
	s_sub_i32 s33, s3, s16
	s_lshl_b64 s[10:11], s[36:37], 2
	s_add_u32 s12, s26, s10
	s_addc_u32 s13, s27, s11
	s_add_u32 s38, s8, s10
	s_addc_u32 s39, s9, s11
	s_abs_i32 s3, s30
	v_cvt_f32_u32_e32 v1, s3
	s_load_dwordx2 s[34:35], s[12:13], 0x0
	s_sub_i32 s9, 0, s3
	s_lshl_b32 s2, s2, 5
	v_rcp_iflag_f32_e32 v1, v1
	v_or_b32_e32 v60, s2, v71
	s_waitcnt lgkmcnt(0)
	s_sub_i32 s56, s35, s34
	s_ashr_i32 s8, s56, 31
	v_mul_f32_e32 v1, 0x4f7ffffe, v1
	v_cvt_u32_f32_e32 v1, v1
	s_lshr_b32 s8, s8, 26
	s_add_i32 s8, s56, s8
	s_ashr_i32 s55, s8, 6
	v_readfirstlane_b32 s10, v1
	s_mul_i32 s9, s9, s10
	s_mul_hi_u32 s9, s10, s9
	s_add_i32 s10, s10, s9
	s_mul_hi_u32 s9, s14, s10
	s_mul_i32 s10, s9, s3
	s_ashr_i32 s8, s30, 31
	s_sub_i32 s10, s14, s10
	s_xor_b32 s8, s15, s8
	s_add_i32 s11, s9, 1
	s_sub_i32 s12, s10, s3
	s_cmp_ge_u32 s10, s3
	s_cselect_b32 s9, s11, s9
	s_cselect_b32 s10, s12, s10
	s_add_i32 s11, s9, 1
	s_cmp_ge_u32 s10, s3
	s_cselect_b32 s3, s11, s9
	s_xor_b32 s3, s3, s8
	s_sub_i32 s3, s3, s8
	s_abs_i32 s17, s3
	v_cvt_f32_u32_e32 v1, s17
	s_sub_i32 s19, 0, s17
	s_abs_i32 s18, s33
	s_xor_b32 s3, s33, s3
	v_rcp_iflag_f32_e32 v2, v1
	s_ashr_i32 s3, s3, 31
	s_load_dwordx8 s[8:15], s[0:1], 0x20
	v_lshrrev_b32_e32 v1, 6, v0
	v_mul_f32_e32 v2, 0x4f7ffffe, v2
	v_cvt_u32_f32_e32 v2, v2
	v_lshlrev_b32_e32 v53, 4, v1
	v_lshlrev_b32_e32 v56, 7, v60
	v_lshl_or_b32 v74, v70, 2, v53
	v_readfirstlane_b32 s20, v2
	s_mul_i32 s19, s19, s20
	s_mul_hi_u32 s19, s20, s19
	s_add_i32 s20, s20, s19
	s_mul_hi_u32 s19, s18, s20
	s_mul_i32 s20, s19, s17
	s_sub_i32 s18, s18, s20
	s_add_i32 s20, s19, 1
	s_sub_i32 s21, s18, s17
	s_cmp_ge_u32 s18, s17
	s_cselect_b32 s19, s20, s19
	s_cselect_b32 s18, s21, s18
	s_add_i32 s20, s19, 1
	s_cmp_ge_u32 s18, s17
	s_cselect_b32 s17, s20, s19
	s_xor_b32 s17, s17, s3
	s_sub_i32 s57, s17, s3
	s_ashr_i32 s48, s33, 31
	s_mul_hi_i32 s3, s36, s29
	s_add_u32 s16, s16, s33
	s_addc_u32 s17, s3, s48
	s_lshl_b64 s[26:27], s[16:17], 15
	s_waitcnt lgkmcnt(0)
	s_add_u32 s10, s10, s26
	s_addc_u32 s11, s11, s27
	v_ashrrev_i32_e32 v57, 31, v56
	v_lshl_add_u64 v[2:3], v[56:57], 1, s[10:11]
	v_lshlrev_b32_e32 v54, 1, v74
	v_or_b32_e32 v58, 0x800, v56
	v_lshl_add_u64 v[2:3], v[2:3], 0, v[54:55]
	v_ashrrev_i32_e32 v59, 31, v58
	global_load_dwordx2 v[6:7], v[2:3], off
	global_load_dwordx2 v[10:11], v[2:3], off offset:128
	v_lshl_add_u64 v[2:3], v[58:59], 1, s[10:11]
	v_lshl_add_u64 v[2:3], v[2:3], 0, v[54:55]
	global_load_dwordx2 v[12:13], v[2:3], off
	global_load_dwordx2 v[14:15], v[2:3], off offset:128
	s_load_dwordx8 s[16:23], s[0:1], 0x0
	s_load_dwordx2 s[10:11], s[0:1], 0x80
	s_load_dword s60, s[38:39], 0x0
	v_and_b32_e32 v55, 63, v0
	v_lshrrev_b32_e32 v73, 3, v55
	v_or_b32_e32 v75, 64, v74
	s_mul_i32 s49, s36, s5
	s_mul_hi_u32 s50, s36, s4
	s_mul_i32 s40, s36, s4
	s_mul_i32 s51, s37, s4
	s_mul_hi_i32 s58, s33, s28
	s_mul_i32 s59, s33, s28
	s_mul_i32 s52, s33, s7
	s_mul_hi_u32 s53, s33, s6
	s_mul_i32 s54, s48, s6
	s_cmp_lt_i32 s56, 64
	s_mul_i32 s42, s33, s6
	s_waitcnt vmcnt(3)
	v_and_b32_e32 v3, 0xffff0000, v6
	v_lshlrev_b32_e32 v2, 16, v6
	v_and_b32_e32 v5, 0xffff0000, v7
	v_lshlrev_b32_e32 v4, 16, v7
	s_waitcnt vmcnt(2)
	v_and_b32_e32 v7, 0xffff0000, v10
	v_lshlrev_b32_e32 v6, 16, v10
	v_and_b32_e32 v9, 0xffff0000, v11
	v_lshlrev_b32_e32 v8, 16, v11
	;; [unrolled: 5-line block ×4, first 2 shown]
	s_cbranch_scc1 .LBB257_3
; %bb.1:
	s_ashr_i32 s1, s34, 31
	s_add_u32 s0, s59, s34
	s_addc_u32 s1, s58, s1
	s_lshl_b64 s[0:1], s[0:1], 8
	v_and_b32_e32 v83, 56, v72
	s_waitcnt lgkmcnt(0)
	s_add_u32 s4, s18, s0
	v_lshl_or_b32 v82, v1, 3, v73
	v_lshlrev_b32_e32 v10, 1, v83
	s_addc_u32 s0, s19, s1
	v_lshl_or_b32 v85, v82, 8, v10
	s_and_b32 s5, s0, 0xffff
	s_mov_b32 s7, 0x20000
	s_movk_i32 s6, 0x4000
	s_movk_i32 s0, 0x80
	v_or_b32_e32 v86, 0x2000, v85
	buffer_load_dwordx4 v[12:15], v85, s[4:7], 0 offen
	buffer_load_dwordx4 v[16:19], v85, s[4:7], s0 offen
	;; [unrolled: 1-line block ×4, first 2 shown]
	v_lshlrev_b32_e32 v11, 3, v82
	v_and_or_b32 v29, v0, 7, v11
	v_and_b32_e32 v11, 0x78, v11
	v_lshlrev_b32_e32 v29, 4, v29
	v_xor_b32_e32 v88, v29, v11
	v_mul_lo_u32 v28, v82, s31
	v_or_b32_e32 v89, 0x1000, v88
	v_xor_b32_e32 v11, 8, v88
	s_cmpk_eq_i32 s31, 0x80
	s_mov_b32 s61, s34
	v_xor_b32_e32 v29, 8, v89
	s_cselect_b64 s[0:1], -1, 0
	s_cmpk_lg_i32 s31, 0x80
	s_waitcnt vmcnt(3)
	ds_write_b64 v88, v[12:13] offset:24576
	ds_write_b64 v11, v[14:15] offset:24576
	s_waitcnt vmcnt(2)
	ds_write_b64 v88, v[16:17] offset:32768
	ds_write_b64 v11, v[18:19] offset:32768
	s_waitcnt vmcnt(1)
	ds_write_b64 v88, v[20:21] offset:28672
	ds_write_b64 v29, v[22:23] offset:24576
	s_waitcnt vmcnt(0)
	ds_write_b64 v88, v[24:25] offset:36864
	ds_write_b64 v29, v[26:27] offset:32768
	v_lshl_add_u32 v11, v28, 1, v83
	s_cbranch_scc0 .LBB257_4
; %bb.2:
	v_lshlrev_b32_e32 v13, 1, v11
	v_add_lshl_u32 v12, v11, s31, 1
	s_lshl_b32 s6, s31, 7
	v_lshl_or_b32 v10, v82, 9, v10
	s_cbranch_execz .LBB257_5
	s_branch .LBB257_6
.LBB257_3:
	v_mov_b32_e32 v17, v84
	v_mov_b32_e32 v16, v81
	;; [unrolled: 1-line block ×5, first 2 shown]
	s_branch .LBB257_20
.LBB257_4:
                                        ; implicit-def: $vgpr12
                                        ; implicit-def: $vgpr13
                                        ; implicit-def: $sgpr6
	v_lshl_or_b32 v10, v82, 9, v10
.LBB257_5:
	v_or_b32_e32 v12, 0x100, v10
	s_movk_i32 s6, 0x4000
	v_mov_b32_e32 v13, v10
.LBB257_6:
	s_mul_i32 s4, s34, s30
	s_ashr_i32 s62, s57, 31
	s_mul_hi_i32 s3, s34, s30
	s_add_u32 s4, s4, s57
	s_addc_u32 s5, s3, s62
	s_lshl_b64 s[4:5], s[4:5], 8
	s_add_u32 s4, s16, s4
	s_addc_u32 s3, s17, s5
	s_and_b32 s5, s3, 0xffff
	s_movk_i32 s63, 0x80
	buffer_load_dwordx4 v[14:17], v13, s[4:7], 0 offen
	buffer_load_dwordx4 v[18:21], v13, s[4:7], s63 offen
	;; [unrolled: 1-line block ×4, first 2 shown]
	v_and_b32_e32 v12, 6, v0
	v_lshlrev_b32_e32 v31, 6, v74
	v_or_b32_e32 v33, 16, v71
	v_xor_b32_e32 v34, v82, v12
	v_and_b32_e32 v13, 1, v0
	v_lshl_or_b32 v37, v71, 3, v31
	v_lshl_or_b32 v31, v33, 3, v31
	v_lshlrev_b32_e32 v34, 2, v34
	v_lshlrev_b32_e32 v30, 2, v71
	v_or_b32_e32 v92, 0xa000, v31
	v_or_b32_e32 v93, 0xb000, v31
	v_xor_b32_e32 v31, 0x440, v34
	v_cmp_eq_u32_e32 vcc, 0, v13
	s_add_i32 s3, s50, s49
	v_xor_b32_e32 v35, v74, v30
	v_xor_b32_e32 v36, v75, v30
	v_cndmask_b32_e32 v13, v31, v34, vcc
	s_add_i32 s4, s53, s52
	s_add_i32 s41, s3, s51
	s_mov_b32 s64, 0x1000504
	v_lshlrev_b32_e32 v32, 8, v71
	v_lshlrev_b32_e32 v33, 8, v33
	;; [unrolled: 1-line block ×4, first 2 shown]
	v_lshl_or_b32 v12, v12, 10, v13
	s_add_i32 s43, s4, s54
	s_lshl_b64 s[4:5], s[40:41], 2
	s_mov_b32 s65, 0x3020706
	v_or_b32_e32 v90, 0xa000, v37
	v_or_b32_e32 v91, 0xb000, v37
	;; [unrolled: 1-line block ×5, first 2 shown]
	v_xor_b32_e32 v13, 8, v12
	v_xor_b32_e32 v32, 24, v12
	;; [unrolled: 1-line block ×4, first 2 shown]
	s_add_u32 s3, s22, s4
	v_or_b32_e32 v96, v33, v35
	v_xor_b32_e32 v31, 16, v12
	v_xor_b32_e32 v33, 32, v12
	;; [unrolled: 1-line block ×3, first 2 shown]
	v_add_u32_e32 v13, 0x80, v13
	v_add_u32_e32 v32, 0x80, v32
	;; [unrolled: 1-line block ×4, first 2 shown]
	s_addc_u32 s6, s23, s5
	s_lshl_b64 s[4:5], s[42:43], 2
	s_add_u32 s44, s3, s4
	s_movk_i32 s3, 0xf8
	s_addc_u32 s45, s6, s5
	s_lshl_b32 s38, s31, 7
	s_movk_i32 s36, 0x100
	v_mov_b32_e32 v63, 0
	v_lshlrev_b32_e32 v62, 4, v71
	v_cmp_gt_u32_e32 vcc, s36, v0
	v_ashrrev_i32_e32 v61, 31, v60
	s_mov_b32 s66, 0
	s_movk_i32 s41, 0x1000
	s_movk_i32 s6, 0x4000
	s_waitcnt vmcnt(1)
	v_perm_b32 v37, v14, v22, s64
	s_waitcnt vmcnt(0)
	v_perm_b32 v38, v18, v26, s64
	v_perm_b32 v14, v14, v22, s65
	;; [unrolled: 1-line block ×15, first 2 shown]
	ds_write2st64_b32 v12, v37, v38 offset0:32 offset1:64
	ds_write2st64_b32 v13, v14, v18 offset0:32 offset1:64
	;; [unrolled: 1-line block ×8, first 2 shown]
	v_or_b32_e32 v12, v53, v71
	v_lshlrev_b32_e32 v12, 3, v12
	v_lshrrev_b32_e32 v15, 5, v55
	v_and_or_b32 v15, v12, s3, v15
	v_lshlrev_b32_e32 v15, 4, v15
	v_lshlrev_b32_e32 v17, 11, v1
	v_and_b32_e32 v12, 0x78, v12
	v_or_b32_e32 v20, 32, v15
	v_and_b32_e32 v14, 0x1000, v17
	v_lshrrev_b32_e32 v18, 1, v55
	v_xor_b32_e32 v20, v20, v12
	v_xor_b32_e32 v16, v15, v12
	v_and_b32_e32 v18, 8, v18
	v_or_b32_e32 v20, v20, v14
	v_or_b32_e32 v16, v16, v14
	v_lshlrev_b32_e32 v19, 7, v70
	v_xor_b32_e32 v100, v20, v18
	v_or_b32_e32 v20, 64, v15
	v_or_b32_e32 v15, 0x60, v15
	s_ashr_i32 s3, s2, 31
	v_xor_b32_e32 v98, v16, v18
	v_or_b32_e32 v16, v19, v30
	v_xor_b32_e32 v20, v20, v12
	v_xor_b32_e32 v12, v15, v12
	s_lshl_b64 s[4:5], s[2:3], 8
	v_lshlrev_b32_e32 v16, 1, v16
	v_or_b32_e32 v20, v20, v14
	v_or_b32_e32 v12, v12, v14
	s_add_u32 s4, s12, s4
	v_lshlrev_b32_e32 v14, 1, v71
	v_or_b32_e32 v99, 0xa000, v16
	v_or_b32_e32 v101, 0xa080, v16
	;; [unrolled: 1-line block ×4, first 2 shown]
	v_lshrrev_b32_e32 v16, 4, v0
	s_addc_u32 s5, s13, s5
	v_or_b32_e32 v15, 1, v14
	v_mov_b32_e32 v25, 0x4000
	v_mov_b32_e32 v26, 0x2000
	v_lshrrev_b32_e32 v27, 1, v0
	v_xor_b32_e32 v102, v20, v18
	v_xor_b32_e32 v103, v12, v18
	;; [unrolled: 1-line block ×4, first 2 shown]
	v_lshl_add_u64 v[14:15], s[4:5], 0, v[62:63]
	v_lshlrev_b32_e32 v62, 8, v16
	v_cndmask_b32_e32 v25, v25, v26, vcc
	v_lshlrev_b32_e32 v26, 3, v1
	v_and_b32_e32 v27, 24, v27
	v_lshl_or_b32 v106, v18, 3, v62
	v_and_b32_e32 v18, 8, v0
	v_xor_b32_e32 v28, v26, v27
	v_or_b32_e32 v29, 0x440, v28
	v_cmp_eq_u32_e32 vcc, 0, v18
	v_and_b32_e32 v16, 7, v0
	v_lshl_or_b32 v107, v22, 3, v62
	v_cndmask_b32_e32 v18, v29, v28, vcc
	v_lshlrev_b32_e32 v22, 3, v16
	v_lshlrev_b32_e32 v24, 2, v0
	v_or_b32_e32 v18, v18, v17
	v_xor_b32_e32 v28, v18, v22
	v_and_or_b32 v18, v24, 60, v19
	v_mov_b32_e32 v19, 0xb000
	v_lshl_or_b32 v108, v18, 1, v19
	v_or_b32_e32 v18, 32, v27
	v_xor_b32_e32 v18, v26, v18
	v_or_b32_e32 v19, 0x440, v18
	v_cndmask_b32_e32 v18, v19, v18, vcc
	v_or_b32_e32 v18, v18, v17
	v_xor_b32_e32 v19, v18, v22
	v_or_b32_e32 v18, 64, v27
	v_xor_b32_e32 v18, v26, v18
	v_xor_b32_e32 v30, 0x440, v18
	v_cndmask_b32_e32 v18, v30, v18, vcc
	v_or_b32_e32 v18, v18, v17
	v_xor_b32_e32 v30, v18, v22
	v_or_b32_e32 v18, 0x60, v27
	v_xor_b32_e32 v18, v26, v18
	v_xor_b32_e32 v26, 0x440, v18
	v_cndmask_b32_e32 v18, v26, v18, vcc
	v_lshrrev_b32_e32 v13, 2, v55
	v_or_b32_e32 v17, v18, v17
	v_and_b32_e32 v13, 12, v13
	v_lshlrev_b32_e32 v20, 1, v11
	v_add_lshl_u32 v11, v11, s31, 1
	v_or_b32_e32 v21, 0x100, v10
	v_xor_b32_e32 v17, v17, v22
	v_lshlrev_b32_e32 v12, 7, v74
	v_lshlrev_b32_e32 v23, 7, v16
	v_or_b32_e32 v16, v13, v53
	v_add_u32_e32 v29, v25, v28
	v_add_u32_e32 v24, v25, v19
	v_add_u32_e32 v31, v25, v30
	v_add_u32_e32 v22, v25, v17
	v_or3_b32 v18, v53, v13, 64
	v_add_u32_e32 v13, 0x4000, v28
	v_add_u32_e32 v19, 0x4000, v19
	;; [unrolled: 1-line block ×4, first 2 shown]
	v_cndmask_b32_e64 v109, v20, v10, s[0:1]
	v_cndmask_b32_e64 v110, v11, v21, s[0:1]
	v_lshlrev_b64 v[10:11], 1, v[60:61]
	v_lshl_add_u64 v[64:65], s[20:21], 0, v[10:11]
	v_lshl_add_u64 v[66:67], s[14:15], 0, v[10:11]
	;; [unrolled: 1-line block ×3, first 2 shown]
	s_mov_b32 s3, 0x7060302
	v_lshlrev_b32_e32 v62, 1, v12
	v_lshlrev_b32_e32 v61, 2, v16
	v_add_u32_e32 v111, v29, v23
	v_add_u32_e32 v112, v24, v23
	;; [unrolled: 1-line block ×4, first 2 shown]
	v_lshlrev_b32_e32 v115, 2, v18
	v_add_u32_e32 v116, v13, v23
	v_add_u32_e32 v117, v19, v23
	v_add_u32_e32 v118, v25, v23
	v_add_u32_e32 v119, v17, v23
	s_waitcnt lgkmcnt(0)
	s_barrier
.LBB257_7:                              ; =>This Inner Loop Header: Depth=1
	s_add_i32 s43, s66, 1
	s_cmp_lt_i32 s43, s55
	s_mov_b64 s[36:37], 0
	s_cselect_b64 s[46:47], -1, 0
	s_cmp_ge_i32 s43, s55
	s_mov_b64 s[4:5], 0
	s_cbranch_scc1 .LBB257_9
; %bb.8:                                ;   in Loop: Header=BB257_7 Depth=1
	s_add_i32 s0, s61, 64
	s_ashr_i32 s1, s0, 31
	s_add_u32 s0, s59, s0
	s_addc_u32 s1, s58, s1
	s_lshl_b64 s[0:1], s[0:1], 8
	s_add_u32 s4, s18, s0
	s_addc_u32 s5, s19, s1
.LBB257_9:                              ;   in Loop: Header=BB257_7 Depth=1
	v_cndmask_b32_e64 v10, 0, 1, s[46:47]
	v_cmp_ne_u32_e64 s[0:1], 1, v10
	s_andn2_b64 vcc, exec, s[46:47]
	s_cbranch_vccnz .LBB257_11
; %bb.10:                               ;   in Loop: Header=BB257_7 Depth=1
	s_add_i32 s36, s61, 64
	s_mul_hi_i32 s37, s36, s30
	s_mul_i32 s36, s36, s30
	s_add_u32 s36, s36, s57
	s_addc_u32 s37, s37, s62
	s_lshl_b64 s[36:37], s[36:37], 8
	s_add_u32 s36, s16, s36
	s_addc_u32 s37, s17, s37
.LBB257_11:                             ;   in Loop: Header=BB257_7 Depth=1
	v_perm_b32 v11, v5, v4, s3
	v_perm_b32 v10, v3, v2, s3
	v_perm_b32 v13, v9, v8, s3
	v_perm_b32 v12, v7, v6, s3
	ds_write_b64 v90, v[10:11]
	ds_write_b64 v91, v[12:13]
	;; [unrolled: 1-line block ×4, first 2 shown]
	v_perm_b32 v11, v87, v78, s3
	v_perm_b32 v10, v77, v76, s3
	v_perm_b32 v13, v84, v81, s3
	v_perm_b32 v12, v80, v79, s3
	ds_write_b64 v92, v[10:11]
	ds_write_b64 v93, v[12:13]
	;; [unrolled: 1-line block ×4, first 2 shown]
	s_waitcnt lgkmcnt(0)
	s_barrier
	ds_read_b64 v[14:15], v98 offset:24576
	ds_read2_b64 v[10:13], v99 offset1:16
	ds_read_b64 v[18:19], v101 offset:3072
	ds_read_b64 v[20:21], v99 offset:3072
	ds_read_b64 v[22:23], v100 offset:24576
	s_waitcnt lgkmcnt(3)
	v_mfma_f32_16x16x16_bf16 a[0:3], v[14:15], v[10:11], 0
	s_add_i32 s67, s61, 63
	s_ashr_i32 s39, s67, 31
	s_mul_i32 s46, s67, s11
	v_mfma_f32_16x16x16_bf16 a[4:7], v[14:15], v[12:13], 0
	ds_read2st64_b64 v[10:13], v99 offset0:2 offset1:4
	s_mul_hi_u32 s47, s67, s10
	s_add_i32 s46, s47, s46
	s_waitcnt lgkmcnt(0)
	v_mfma_f32_16x16x16_bf16 a[0:3], v[22:23], v[10:11], a[0:3]
	ds_read2st64_b64 v[14:17], v101 offset0:2 offset1:4
	ds_read_b64 v[10:11], v102 offset:24576
	s_mul_i32 s39, s39, s10
	s_add_i32 s47, s46, s39
	s_waitcnt lgkmcnt(1)
	v_mfma_f32_16x16x16_bf16 a[4:7], v[22:23], v[14:15], a[4:7]
	ds_read_b64 v[14:15], v103 offset:24576
	s_mul_i32 s46, s67, s10
	s_lshl_b64 s[46:47], s[46:47], 2
	s_waitcnt lgkmcnt(1)
	v_mfma_f32_16x16x16_bf16 a[0:3], v[10:11], v[12:13], a[0:3]
	s_add_u32 s46, s44, s46
	s_addc_u32 s47, s45, s47
	s_and_b64 vcc, exec, s[0:1]
	v_mfma_f32_16x16x16_bf16 a[8:11], v[10:11], v[16:17], a[4:7]
	v_mov_b32_e32 v122, 0
	v_mov_b32_e32 v121, 0
	;; [unrolled: 1-line block ×3, first 2 shown]
	s_waitcnt lgkmcnt(0)
	v_mfma_f32_16x16x16_bf16 a[4:7], v[14:15], v[20:21], a[0:3]
	v_mov_b32_e32 v10, 0
	v_mov_b32_e32 v11, 0
	;; [unrolled: 1-line block ×3, first 2 shown]
	v_mfma_f32_16x16x16_bf16 a[0:3], v[14:15], v[18:19], a[8:11]
	v_mov_b32_e32 v13, 0
	v_mov_b32_e32 v14, 0
	;; [unrolled: 1-line block ×13, first 2 shown]
	s_cbranch_vccnz .LBB257_13
; %bb.12:                               ;   in Loop: Header=BB257_7 Depth=1
	s_and_b32 s5, s5, 0xffff
	buffer_load_dwordx4 v[22:25], v85, s[4:7], 0 offen
	buffer_load_dwordx4 v[18:21], v85, s[4:7], s63 offen
	;; [unrolled: 1-line block ×4, first 2 shown]
	v_mov_b32_e32 v121, v88
	v_mov_b32_e32 v120, v89
.LBB257_13:                             ;   in Loop: Header=BB257_7 Depth=1
	ds_read_b64 v[34:35], v98 offset:32768
	ds_read2_b64 v[26:29], v104 offset1:16
	ds_read_b64 v[36:37], v100 offset:32768
	ds_read_b64 v[38:39], v102 offset:32768
	;; [unrolled: 1-line block ×3, first 2 shown]
	ds_read2st64_b64 v[30:33], v104 offset0:2 offset1:4
	v_add_u32_e32 v42, s61, v74
	s_waitcnt lgkmcnt(4)
	v_mfma_f32_16x16x16_bf16 a[4:7], v[34:35], v[26:27], a[4:7]
	v_ashrrev_i32_e32 v26, 31, v42
	v_mov_b32_e32 v123, 0
	v_mfma_f32_16x16x16_bf16 a[0:3], v[34:35], v[28:29], a[0:3]
	v_mul_lo_u32 v28, v42, s11
	v_mul_lo_u32 v29, v26, s10
	v_mad_u64_u32 v[26:27], s[4:5], v42, s10, 0
	v_add3_u32 v27, v27, v28, v29
	v_add_u32_e32 v28, 1, v42
	v_ashrrev_i32_e32 v29, 31, v28
	s_waitcnt lgkmcnt(0)
	v_mfma_f32_16x16x16_bf16 a[4:7], v[36:37], v[30:31], a[4:7]
	v_mul_lo_u32 v30, v29, s10
	v_mul_lo_u32 v31, v28, s11
	v_mad_u64_u32 v[28:29], s[4:5], v28, s10, 0
	v_add3_u32 v29, v29, v31, v30
	v_add_u32_e32 v30, 2, v42
	v_ashrrev_i32_e32 v31, 31, v30
	v_mul_lo_u32 v34, v31, s10
	v_mul_lo_u32 v35, v30, s11
	v_mad_u64_u32 v[30:31], s[4:5], v30, s10, 0
	v_add3_u32 v31, v31, v35, v34
	v_add_u32_e32 v34, 3, v42
	v_ashrrev_i32_e32 v35, 31, v34
	v_mul_lo_u32 v42, v35, s10
	v_mul_lo_u32 v43, v34, s11
	v_mad_u64_u32 v[34:35], s[4:5], v34, s10, 0
	s_ashr_i32 s5, s61, 31
	v_add3_u32 v35, v35, v43, v42
	s_add_u32 s4, s59, s61
	v_lshl_add_u64 v[26:27], v[26:27], 2, s[44:45]
	v_lshl_add_u64 v[34:35], v[34:35], 2, s[44:45]
	s_addc_u32 s5, s58, s5
	v_lshl_add_u64 v[28:29], v[28:29], 2, s[44:45]
	v_lshl_add_u64 v[30:31], v[30:31], 2, s[44:45]
	global_load_dword v42, v[26:27], off
	global_load_dword v43, v[28:29], off
	global_load_dword v44, v[30:31], off
	s_nop 0
	global_load_dword v35, v[34:35], off
	s_lshl_b64 s[68:69], s[4:5], 8
	v_lshl_add_u64 v[26:27], v[64:65], 0, s[68:69]
	v_lshl_add_u64 v[30:31], v[26:27], 0, v[62:63]
	global_load_ushort v45, v[30:31], off offset:256
	global_load_ushort v46, v[30:31], off
	global_load_ushort v47, v[30:31], off offset:768
	global_load_ushort v48, v[30:31], off offset:512
	ds_read2st64_b64 v[26:29], v105 offset0:2 offset1:4
	global_load_ushort v49, v[30:31], off offset:800
	global_load_ushort v50, v[30:31], off offset:544
	;; [unrolled: 1-line block ×4, first 2 shown]
	s_waitcnt lgkmcnt(0)
	v_mfma_f32_16x16x16_bf16 a[0:3], v[36:37], v[26:27], a[0:3]
	s_and_b64 vcc, exec, s[0:1]
	s_waitcnt vmcnt(7)
	v_lshlrev_b32_e32 v37, 16, v45
	v_mfma_f32_16x16x16_bf16 a[4:7], v[38:39], v[32:33], a[4:7]
	s_waitcnt vmcnt(6)
	v_lshlrev_b32_e32 v36, 16, v46
	v_mfma_f32_16x16x16_bf16 a[0:3], v[38:39], v[28:29], a[0:3]
	ds_read_b64 v[26:27], v104 offset:3072
	ds_read_b64 v[28:29], v105 offset:3072
	s_load_dword s4, s[46:47], 0x0
	s_waitcnt vmcnt(5)
	v_lshlrev_b32_e32 v39, 16, v47
	s_waitcnt lgkmcnt(0)
	v_mfma_f32_16x16x16_bf16 a[4:7], v[40:41], v[26:27], a[4:7]
	v_lshl_add_u64 v[26:27], v[66:67], 0, s[68:69]
	v_sub_f32_e32 v34, s4, v42
	v_sub_f32_e32 v38, s4, v43
	v_mfma_f32_16x16x16_bf16 a[0:3], v[40:41], v[28:29], a[0:3]
	v_sub_f32_e32 v40, s4, v44
	v_sub_f32_e32 v41, s4, v35
	v_exp_f32_e32 v34, v34
	v_exp_f32_e32 v35, v38
	;; [unrolled: 1-line block ×4, first 2 shown]
	v_accvgpr_read_b32 v33, a5
	v_accvgpr_read_b32 v29, a7
	;; [unrolled: 1-line block ×4, first 2 shown]
	s_waitcnt vmcnt(4)
	v_lshlrev_b32_e32 v38, 16, v48
	v_lshl_add_u64 v[26:27], v[26:27], 0, v[62:63]
	v_pk_add_f32 v[32:33], v[36:37], v[32:33] neg_lo:[0,1] neg_hi:[0,1]
	v_pk_add_f32 v[28:29], v[38:39], v[28:29] neg_lo:[0,1] neg_hi:[0,1]
	global_store_short_d16_hi v[26:27], v32, off
	global_store_short_d16_hi v[26:27], v33, off offset:256
	global_store_short_d16_hi v[26:27], v28, off offset:512
	;; [unrolled: 1-line block ×3, first 2 shown]
	v_pk_mul_f32 v[32:33], v[34:35], v[32:33]
	v_pk_mul_f32 v[28:29], v[40:41], v[28:29]
	v_accvgpr_read_b32 v37, a1
	v_perm_b32 v32, v33, v32, s3
	v_perm_b32 v33, v29, v28, s3
	s_waitcnt vmcnt(5)
	v_lshlrev_b32_e32 v29, 16, v51
	s_waitcnt vmcnt(4)
	v_lshlrev_b32_e32 v28, 16, v52
	v_accvgpr_read_b32 v36, a0
	v_accvgpr_read_b32 v31, a3
	;; [unrolled: 1-line block ×3, first 2 shown]
	v_pk_add_f32 v[28:29], v[28:29], v[36:37] neg_lo:[0,1] neg_hi:[0,1]
	v_lshlrev_b32_e32 v37, 16, v49
	v_lshlrev_b32_e32 v36, 16, v50
	v_pk_add_f32 v[30:31], v[36:37], v[30:31] neg_lo:[0,1] neg_hi:[0,1]
	global_store_short_d16_hi v[26:27], v28, off offset:32
	global_store_short_d16_hi v[26:27], v29, off offset:288
	;; [unrolled: 1-line block ×4, first 2 shown]
	v_pk_mul_f32 v[26:27], v[34:35], v[28:29]
	v_pk_mul_f32 v[28:29], v[40:41], v[30:31]
	v_mov_b32_e32 v30, 0
	v_perm_b32 v29, v29, v28, s3
	v_perm_b32 v28, v27, v26, s3
	ds_write2_b64 v91, v[32:33], v[28:29] offset1:16
	v_mov_b32_e32 v26, 0
	v_mov_b32_e32 v27, 0
	;; [unrolled: 1-line block ×15, first 2 shown]
	s_cbranch_vccnz .LBB257_15
; %bb.14:                               ;   in Loop: Header=BB257_7 Depth=1
	s_and_b32 s37, s37, 0xffff
	s_mov_b32 s39, s7
	buffer_load_dwordx4 v[38:41], v109, s[36:39], 0 offen
	buffer_load_dwordx4 v[30:33], v109, s[36:39], s63 offen
	;; [unrolled: 1-line block ×4, first 2 shown]
	v_mov_b32_e32 v122, v83
	v_mov_b32_e32 v123, v82
.LBB257_15:                             ;   in Loop: Header=BB257_7 Depth=1
	s_waitcnt lgkmcnt(0)
	s_barrier
	ds_read_b64 v[46:47], v111
	ds_read_b64 v[128:129], v108
	;; [unrolled: 1-line block ×5, first 2 shown]
	ds_read_b64 v[142:143], v105 offset:3072
	ds_read2_b64 v[42:45], v104 offset0:16 offset1:128
	s_waitcnt lgkmcnt(5)
	v_mfma_f32_16x16x16_bf16 a[0:3], v[46:47], v[128:129], 0
	s_add_i32 s5, s60, s66
	s_mul_hi_i32 s37, s5, s29
	s_mul_i32 s5, s5, s29
	s_waitcnt lgkmcnt(0)
	v_mfma_f32_16x16x16_bf16 a[4:7], v[46:47], v[42:43], 0
	ds_read_b64 v[46:47], v116
	ds_read2st64_b64 v[48:51], v105 offset0:2 offset1:4
	s_add_u32 s36, s5, s33
	s_addc_u32 s37, s37, s48
	s_lshl_b64 s[36:37], s[36:37], 15
	s_mul_i32 s39, s67, s29
	s_mul_hi_i32 s5, s67, s29
	s_add_u32 s46, s39, s33
	s_waitcnt lgkmcnt(1)
	v_mfma_f32_16x16x16_bf16 a[8:11], v[46:47], v[128:129], 0
	s_addc_u32 s47, s5, s48
	ds_read2st64_b64 v[124:127], v104 offset0:4 offset1:6
	s_lshl_b64 s[46:47], s[46:47], 9
	v_mfma_f32_16x16x16_bf16 a[0:3], v[130:131], v[44:45], a[0:3]
	s_add_u32 s46, s8, s46
	s_addc_u32 s47, s9, s47
	s_waitcnt lgkmcnt(1)
	v_mfma_f32_16x16x16_bf16 a[4:7], v[130:131], v[48:49], a[4:7]
	ds_read_b64 v[130:131], v117
	ds_read_b64 v[138:139], v118
	;; [unrolled: 1-line block ×3, first 2 shown]
	v_mfma_f32_16x16x16_bf16 a[12:15], v[46:47], v[42:43], 0
	s_waitcnt lgkmcnt(2)
	v_mfma_f32_16x16x16_bf16 a[8:11], v[130:131], v[44:45], a[8:11]
	global_load_dwordx4 v[42:45], v115, s[46:47]
	v_mfma_f32_16x16x16_bf16 a[12:15], v[130:131], v[48:49], a[12:15]
	global_load_dwordx4 v[46:49], v61, s[46:47]
	ds_read2st64_b64 v[128:131], v106 offset1:8
	s_waitcnt lgkmcnt(0)
	v_mov_b32_e32 v136, v128
	v_mfma_f32_16x16x16_bf16 a[0:3], v[132:133], v[124:125], a[0:3]
	v_mov_b32_e32 v137, v129
	v_mfma_f32_16x16x16_bf16 a[4:7], v[132:133], v[50:51], a[4:7]
	ds_read2st64_b64 v[132:135], v107 offset1:8
	v_mfma_f32_16x16x16_bf16 a[8:11], v[138:139], v[124:125], a[8:11]
	v_lshl_add_u64 v[124:125], v[68:69], 0, s[36:37]
	v_mfma_f32_16x16x16_bf16 a[16:19], v[138:139], v[50:51], a[12:15]
	v_add_co_u32_e32 v50, vcc, s41, v124
	s_waitcnt lgkmcnt(0)
	v_mov_b32_e32 v138, v132
	v_mfma_f32_16x16x16_bf16 a[0:3], v[140:141], v[126:127], a[0:3]
	v_mov_b32_e32 v139, v133
	v_mov_b32_e32 v132, v130
	v_mov_b32_e32 v133, v131
	v_mfma_f32_16x16x16_bf16 a[4:7], v[140:141], v[142:143], a[4:7]
	v_addc_co_u32_e32 v51, vcc, 0, v125, vcc
	global_store_dwordx4 v[50:51], v[132:135], off
	v_mfma_f32_16x16x16_bf16 a[12:15], v[144:145], v[126:127], a[8:11]
	s_and_b64 vcc, exec, s[0:1]
	global_store_dwordx4 v[124:125], v[136:139], off
	s_waitcnt vmcnt(3)
	v_mov_b32_e32 v52, v45
	v_mfma_f32_16x16x16_bf16 a[8:11], v[144:145], v[142:143], a[16:19]
	v_mov_b32_e32 v51, v44
	v_mov_b32_e32 v50, v43
	s_cbranch_vccnz .LBB257_17
; %bb.16:                               ;   in Loop: Header=BB257_7 Depth=1
	v_lshrrev_b32_e32 v43, 3, v122
	v_and_b32_e32 v43, 6, v43
	v_xor_b32_e32 v44, v43, v123
	v_lshlrev_b32_e32 v44, 2, v44
	v_and_b32_e32 v45, 8, v122
	v_xor_b32_e32 v122, 0x440, v44
	v_cmp_eq_u32_e32 vcc, 0, v45
	v_perm_b32 v45, v30, v26, s64
	s_nop 0
	v_cndmask_b32_e32 v44, v122, v44, vcc
	v_lshl_or_b32 v43, v43, 10, v44
	v_perm_b32 v44, v38, v34, s64
	s_barrier
	ds_write2st64_b32 v43, v44, v45 offset0:32 offset1:64
	v_xor_b32_e32 v44, 8, v43
	v_perm_b32 v34, v38, v34, s65
	v_perm_b32 v26, v30, v26, s65
	v_add_u32_e32 v30, 0x80, v44
	ds_write2st64_b32 v30, v34, v26 offset0:32 offset1:64
	v_xor_b32_e32 v26, 16, v43
	v_perm_b32 v30, v39, v35, s64
	v_perm_b32 v34, v31, v27, s64
	ds_write2st64_b32 v26, v30, v34 offset0:33 offset1:65
	v_xor_b32_e32 v26, 24, v43
	v_perm_b32 v30, v39, v35, s65
	v_perm_b32 v27, v31, v27, s65
	v_add_u32_e32 v26, 0x80, v26
	ds_write2st64_b32 v26, v30, v27 offset0:33 offset1:65
	v_xor_b32_e32 v26, 32, v43
	v_perm_b32 v27, v40, v36, s64
	v_perm_b32 v30, v32, v28, s64
	;; [unrolled: 9-line block ×3, first 2 shown]
	ds_write2st64_b32 v26, v27, v28 offset0:35 offset1:67
	v_xor_b32_e32 v26, 56, v43
	v_perm_b32 v27, v41, v37, s65
	v_perm_b32 v28, v33, v29, s65
	v_add_u32_e32 v26, 0x80, v26
	ds_write2st64_b32 v26, v27, v28 offset0:35 offset1:67
	ds_write_b64 v121, v[22:23] offset:24576
	v_xor_b32_e32 v22, 8, v121
	ds_write_b64 v22, v[24:25] offset:24576
	ds_write_b64 v121, v[18:19] offset:32768
	ds_write_b64 v22, v[20:21] offset:32768
	ds_write_b64 v120, v[14:15] offset:24576
	v_xor_b32_e32 v14, 8, v120
	ds_write_b64 v14, v[16:17] offset:24576
	ds_write_b64 v120, v[10:11] offset:32768
	;; [unrolled: 1-line block ×3, first 2 shown]
.LBB257_17:                             ;   in Loop: Header=BB257_7 Depth=1
	v_exp_f32_e32 v26, s4
	s_waitcnt vmcnt(2)
	v_exp_f32_e32 v28, v46
	v_exp_f32_e32 v29, v47
	;; [unrolled: 1-line block ×4, first 2 shown]
	v_accvgpr_read_b32 v21, a3
	v_accvgpr_read_b32 v19, a1
	;; [unrolled: 1-line block ×4, first 2 shown]
	v_pk_mul_f32 v[28:29], v[26:27], v[28:29] op_sel_hi:[0,1]
	v_accvgpr_read_b32 v20, a2
	v_accvgpr_read_b32 v11, a5
	;; [unrolled: 1-line block ×3, first 2 shown]
	v_pk_fma_f32 v[2:3], v[2:3], v[28:29], v[18:19]
	v_pk_mul_f32 v[18:19], v[26:27], v[30:31] op_sel_hi:[0,1]
	v_pk_fma_f32 v[4:5], v[4:5], v[18:19], v[20:21]
	v_fma_f32 v76, v76, v28, v10
	v_fma_f32 v77, v77, v29, v11
	v_exp_f32_e32 v10, v42
	v_exp_f32_e32 v11, v50
	;; [unrolled: 1-line block ×4, first 2 shown]
	v_accvgpr_read_b32 v12, a6
	v_accvgpr_read_b32 v25, a15
	;; [unrolled: 1-line block ×9, first 2 shown]
	v_fma_f32 v78, v78, v18, v12
	v_fmac_f32_e32 v13, v87, v19
	v_pk_mul_f32 v[10:11], v[26:27], v[10:11] op_sel_hi:[0,1]
	v_pk_mul_f32 v[18:19], v[26:27], v[20:21] op_sel_hi:[0,1]
	s_add_i32 s61, s61, 64
	v_pk_fma_f32 v[6:7], v[6:7], v[10:11], v[22:23]
	v_pk_fma_f32 v[8:9], v[8:9], v[18:19], v[24:25]
	v_fma_f32 v79, v79, v10, v14
	v_fma_f32 v80, v80, v11, v15
	;; [unrolled: 1-line block ×3, first 2 shown]
	s_cmp_eq_u32 s55, s43
	v_fmac_f32_e32 v17, v84, v19
	s_cbranch_scc1 .LBB257_19
; %bb.18:                               ;   in Loop: Header=BB257_7 Depth=1
	s_mov_b32 s66, s43
	v_mov_b32_e32 v87, v13
	v_mov_b32_e32 v84, v17
	s_branch .LBB257_7
.LBB257_19:
	v_mov_b32_e32 v16, v81
	v_mov_b32_e32 v15, v80
	;; [unrolled: 1-line block ×3, first 2 shown]
.LBB257_20:
	s_lshl_b32 s0, s55, 6
	s_sub_i32 s46, s56, s0
	v_mov_b32_e32 v12, v78
	v_mov_b32_e32 v11, v77
	;; [unrolled: 1-line block ×3, first 2 shown]
	s_cmp_gt_i32 s46, 0
	s_cbranch_scc0 .LBB257_85
; %bb.21:
	s_add_i32 s34, s0, s34
	s_ashr_i32 s3, s34, 31
	s_cmpk_lg_i32 s31, 0x80
	s_cselect_b64 s[38:39], -1, 0
	s_and_b64 vcc, exec, s[38:39]
	s_cbranch_vccz .LBB257_23
; %bb.22:
	s_mul_i32 s1, s34, s30
	s_ashr_i32 s4, s57, 31
	s_mul_hi_i32 s0, s34, s30
	s_add_u32 s44, s1, s57
	s_addc_u32 s45, s0, s4
	s_cbranch_execz .LBB257_24
	s_branch .LBB257_25
.LBB257_23:
                                        ; implicit-def: $sgpr44_sgpr45
.LBB257_24:
	s_mul_i32 s1, s57, s28
	s_mul_hi_i32 s0, s57, s28
	s_add_u32 s44, s1, s34
	s_addc_u32 s45, s0, s3
.LBB257_25:
	s_waitcnt lgkmcnt(0)
	s_add_i32 s4, s55, s60
	s_add_u32 s0, s59, s34
	v_lshlrev_b32_e32 v22, 5, v74
	v_lshlrev_b32_e32 v38, 2, v71
	s_addc_u32 s1, s58, s3
	s_mov_b32 s3, 0x7060302
	v_or_b32_e32 v25, v22, v38
	v_xor_b32_e32 v23, v74, v38
	v_perm_b32 v19, v5, v4, s3
	v_perm_b32 v18, v3, v2, s3
	;; [unrolled: 1-line block ×4, first 2 shown]
	v_lshlrev_b32_e32 v25, 1, v25
	v_xor_b32_e32 v24, v75, v38
	ds_write2st64_b64 v25, v[18:19], v[20:21] offset0:80 offset1:88
	v_lshlrev_b32_e32 v23, 1, v23
	v_lshlrev_b32_e32 v25, 8, v71
	s_lshl_b64 s[36:37], s[0:1], 8
	v_or_b32_e32 v26, v23, v25
	v_lshlrev_b32_e32 v24, 1, v24
	s_add_u32 s0, s18, s36
	ds_write_b64 v26, v[18:19]
	v_or_b32_e32 v18, v24, v25
	s_addc_u32 s1, s19, s37
	ds_write_b64 v18, v[20:21]
	v_perm_b32 v19, v13, v12, s3
	v_perm_b32 v18, v11, v10, s3
	;; [unrolled: 1-line block ×4, first 2 shown]
	v_or_b32_e32 v25, 16, v71
	s_mul_hi_i32 s3, s4, s29
	s_mul_i32 s4, s4, s29
	v_lshlrev_b32_e32 v35, 2, v25
	s_add_u32 s4, s4, s33
	v_or_b32_e32 v22, v22, v35
	s_addc_u32 s5, s3, s48
	v_lshlrev_b32_e32 v22, 1, v22
	s_ashr_i32 s3, s2, 31
	s_lshl_b64 s[4:5], s[4:5], 15
	ds_write2st64_b64 v22, v[18:19], v[20:21] offset0:80 offset1:88
	v_lshlrev_b32_e32 v22, 8, v25
	s_add_u32 s4, s12, s4
	v_or_b32_e32 v23, v23, v22
	s_addc_u32 s5, s13, s5
	s_lshl_b64 s[2:3], s[2:3], 8
	ds_write_b64 v23, v[18:19]
	v_or_b32_e32 v18, v24, v22
	s_add_u32 s2, s4, s2
	ds_write_b64 v18, v[20:21]
	v_lshrrev_b32_e32 v18, 4, v0
	s_addc_u32 s3, s5, s3
	v_lshlrev_b32_e32 v19, 1, v71
	v_lshlrev_b32_e32 v26, 4, v71
	v_mov_b32_e32 v27, 0
	v_or_b32_e32 v20, 1, v19
	v_xor_b32_e32 v19, v18, v19
	v_lshl_add_u64 v[28:29], s[2:3], 0, v[26:27]
	v_lshlrev_b32_e32 v26, 8, v18
	v_xor_b32_e32 v22, v20, v18
	v_lshl_or_b32 v18, v19, 3, v26
	s_waitcnt lgkmcnt(0)
	s_barrier
	ds_read2st64_b64 v[18:21], v18 offset1:8
	v_lshl_or_b32 v22, v22, 3, v26
	ds_read2st64_b64 v[22:25], v22 offset1:8
	v_lshl_add_u64 v[30:31], v[28:29], 0, v[26:27]
	s_movk_i32 s2, 0x1000
	s_waitcnt lgkmcnt(1)
	v_mov_b32_e32 v26, v18
	v_add_co_u32_e32 v18, vcc, s2, v30
	s_cmp_lg_u32 s46, 64
	v_mov_b32_e32 v27, v19
	v_addc_co_u32_e32 v19, vcc, 0, v31, vcc
	s_cselect_b64 s[18:19], -1, 0
	v_lshl_or_b32 v42, v1, 3, v73
	s_waitcnt lgkmcnt(0)
	v_mov_b32_e32 v28, v22
	v_mov_b32_e32 v29, v23
	;; [unrolled: 1-line block ×4, first 2 shown]
	s_mov_b32 s4, 0
	v_or_b32_e32 v36, 32, v42
	v_and_b32_e32 v34, 56, v72
	s_and_b64 vcc, exec, s[18:19]
	global_store_dwordx4 v[30:31], v[26:29], off
	global_store_dwordx4 v[18:19], v[22:25], off
	s_cbranch_vccz .LBB257_31
; %bb.26:
	s_mov_b32 s6, s4
	s_mov_b32 s7, s4
	;; [unrolled: 1-line block ×3, first 2 shown]
	v_mov_b64_e32 v[24:25], s[6:7]
	v_mov_b64_e32 v[22:23], s[4:5]
	;; [unrolled: 1-line block ×3, first 2 shown]
	v_cmp_gt_i32_e32 vcc, s46, v42
	v_mov_b64_e32 v[20:21], v[24:25]
	s_and_saveexec_b64 s[2:3], vcc
	s_cbranch_execz .LBB257_28
; %bb.27:
	v_lshlrev_b32_e32 v18, 8, v42
	v_mov_b32_e32 v19, 0
	v_lshl_add_u64 v[20:21], s[0:1], 0, v[18:19]
	v_lshlrev_b32_e32 v18, 1, v34
	v_lshl_add_u64 v[26:27], v[20:21], 0, v[18:19]
	global_load_dwordx4 v[22:25], v[26:27], off
	global_load_dwordx4 v[18:21], v[26:27], off offset:128
.LBB257_28:
	s_or_b64 exec, exec, s[2:3]
	s_mov_b32 s6, s4
	s_mov_b32 s7, s4
	;; [unrolled: 1-line block ×3, first 2 shown]
	v_mov_b64_e32 v[32:33], s[6:7]
	v_mov_b64_e32 v[30:31], s[4:5]
	;; [unrolled: 1-line block ×3, first 2 shown]
	v_cmp_gt_i32_e32 vcc, s46, v36
	v_lshlrev_b32_e32 v37, 7, v36
	v_mov_b64_e32 v[28:29], v[32:33]
	s_and_saveexec_b64 s[2:3], vcc
	s_cbranch_execz .LBB257_30
; %bb.29:
	v_lshlrev_b32_e32 v26, 1, v37
	v_mov_b32_e32 v27, 0
	v_lshl_add_u64 v[28:29], s[0:1], 0, v[26:27]
	v_lshlrev_b32_e32 v26, 1, v34
	v_lshl_add_u64 v[40:41], v[28:29], 0, v[26:27]
	global_load_dwordx4 v[30:33], v[40:41], off
	global_load_dwordx4 v[26:29], v[40:41], off offset:128
.LBB257_30:
	s_or_b64 exec, exec, s[2:3]
	v_lshrrev_b32_e32 v39, 3, v34
	v_lshlrev_b32_e32 v40, 3, v42
	v_or_b32_e32 v39, v40, v39
	v_lshlrev_b32_e32 v39, 4, v39
	v_and_b32_e32 v40, 0x78, v40
	v_xor_b32_e32 v39, v39, v40
	s_branch .LBB257_33
.LBB257_31:
                                        ; implicit-def: $vgpr39
                                        ; implicit-def: $vgpr37
                                        ; implicit-def: $vgpr22_vgpr23_vgpr24_vgpr25
                                        ; implicit-def: $vgpr18_vgpr19_vgpr20_vgpr21
                                        ; implicit-def: $vgpr30_vgpr31_vgpr32_vgpr33
                                        ; implicit-def: $vgpr26_vgpr27_vgpr28_vgpr29
	s_cbranch_execz .LBB257_33
; %bb.32:
	s_waitcnt vmcnt(0)
	v_lshlrev_b32_e32 v18, 1, v34
	v_lshl_or_b32 v37, v42, 8, v18
	s_and_b32 s1, s1, 0xffff
	s_mov_b32 s3, 0x20000
	s_movk_i32 s2, 0x4000
	v_lshl_or_b32 v39, v36, 8, v18
	s_movk_i32 s4, 0x80
	buffer_load_dwordx4 v[22:25], v37, s[0:3], 0 offen
	buffer_load_dwordx4 v[18:21], v37, s[0:3], s4 offen
	;; [unrolled: 1-line block ×4, first 2 shown]
	v_lshrrev_b32_e32 v37, 3, v34
	v_lshlrev_b32_e32 v39, 3, v42
	v_or_b32_e32 v37, v39, v37
	v_lshlrev_b32_e32 v37, 4, v37
	v_and_b32_e32 v39, 0x78, v39
	v_xor_b32_e32 v39, v37, v39
	v_lshlrev_b32_e32 v37, 7, v36
.LBB257_33:
	s_lshl_b64 s[0:1], s[44:45], 8
	s_add_u32 s4, s16, s0
	s_movk_i32 s0, 0x1000
	v_and_or_b32 v36, v37, s0, v39
	s_waitcnt vmcnt(1)
	ds_write_b64 v39, v[22:23] offset:24576
	v_xor_b32_e32 v22, 8, v39
	ds_write_b64 v22, v[24:25] offset:24576
	s_waitcnt vmcnt(0)
	ds_write_b64 v39, v[18:19] offset:32768
	ds_write_b64 v22, v[20:21] offset:32768
	ds_write_b64 v36, v[30:31] offset:24576
	v_xor_b32_e32 v18, 8, v36
	ds_write_b64 v18, v[32:33] offset:24576
	ds_write_b64 v36, v[26:27] offset:32768
	;; [unrolled: 1-line block ×3, first 2 shown]
	v_or_b32_e32 v18, v53, v71
	v_lshlrev_b32_e32 v18, 3, v18
	v_lshrrev_b32_e32 v19, 5, v55
	s_movk_i32 s2, 0xf8
	v_and_or_b32 v19, v18, s2, v19
	v_lshlrev_b32_e32 v23, 4, v19
	v_lshlrev_b32_e32 v39, 11, v1
	v_and_b32_e32 v24, 0x78, v18
	v_or_b32_e32 v26, 32, v23
	v_and_b32_e32 v22, 0x1000, v39
	v_lshrrev_b32_e32 v19, 1, v55
	v_xor_b32_e32 v26, v26, v24
	v_xor_b32_e32 v18, v23, v24
	v_and_b32_e32 v25, 8, v19
	v_or_b32_e32 v26, v26, v22
	v_or_b32_e32 v18, v18, v22
	v_xor_b32_e32 v44, v26, v25
	v_or_b32_e32 v26, 64, v23
	v_xor_b32_e32 v43, v18, v25
	v_xor_b32_e32 v26, v26, v24
	s_waitcnt lgkmcnt(0)
	s_barrier
	v_or_b32_e32 v28, v26, v22
	ds_read_b64 v[26:27], v43 offset:24576
	v_lshl_or_b32 v36, v70, 7, v38
	v_lshlrev_b32_e32 v40, 1, v36
	v_add_u32_e32 v18, 0xa000, v40
	ds_read2_b64 v[18:21], v18 offset1:16
	v_or_b32_e32 v23, 0x60, v23
	v_xor_b32_e32 v23, v23, v24
	s_waitcnt lgkmcnt(0)
	v_mfma_f32_16x16x16_bf16 a[0:3], v[26:27], v[18:19], 0
	v_or_b32_e32 v18, 64, v36
	v_or_b32_e32 v22, v23, v22
	v_lshlrev_b32_e32 v41, 1, v18
	v_xor_b32_e32 v45, v28, v25
	v_xor_b32_e32 v46, v22, v25
	ds_read_b64 v[28:29], v44 offset:24576
	ds_read_b64 v[30:31], v45 offset:24576
	;; [unrolled: 1-line block ×3, first 2 shown]
	v_mfma_f32_16x16x16_bf16 a[4:7], v[26:27], v[20:21], 0
	ds_read2st64_b64 v[18:21], v41 offset0:82 offset1:84
	ds_read2st64_b64 v[22:25], v40 offset0:82 offset1:84
	s_addc_u32 s5, s17, s1
	s_add_i32 s0, s50, s49
	s_add_i32 s16, s35, -1
	s_add_i32 s41, s0, s51
	s_add_i32 s0, s53, s52
	;; [unrolled: 1-line block ×3, first 2 shown]
	s_ashr_i32 s0, s16, 31
	s_mul_i32 s1, s16, s11
	s_mul_hi_u32 s2, s16, s10
	s_add_i32 s1, s2, s1
	s_mul_i32 s0, s0, s10
	s_waitcnt lgkmcnt(1)
	v_mfma_f32_16x16x16_bf16 a[4:7], v[28:29], v[18:19], a[4:7]
	s_add_i32 s1, s1, s0
	s_lshl_b64 s[2:3], s[40:41], 2
	s_add_u32 s6, s22, s2
	s_waitcnt lgkmcnt(0)
	v_mfma_f32_16x16x16_bf16 a[0:3], v[28:29], v[22:23], a[0:3]
	s_addc_u32 s7, s23, s3
	s_lshl_b64 s[2:3], s[42:43], 2
	s_mul_i32 s0, s16, s10
	s_add_u32 s12, s6, s2
	ds_read_b64 v[18:19], v40 offset:44032
	v_mfma_f32_16x16x16_bf16 a[4:7], v[30:31], v[20:21], a[4:7]
	ds_read_b64 v[20:21], v41 offset:44032
	s_addc_u32 s13, s7, s3
	s_lshl_b64 s[0:1], s[0:1], 2
	v_mfma_f32_16x16x16_bf16 a[0:3], v[30:31], v[24:25], a[0:3]
	s_add_u32 s0, s12, s0
	s_addc_u32 s1, s13, s1
	s_load_dword s17, s[0:1], 0x0
	s_waitcnt lgkmcnt(0)
	v_mfma_f32_16x16x16_bf16 a[0:3], v[32:33], v[18:19], a[0:3]
	s_and_b64 vcc, exec, s[38:39]
	v_mfma_f32_16x16x16_bf16 a[4:7], v[32:33], v[20:21], a[4:7]
	s_cbranch_vccz .LBB257_44
; %bb.34:
	v_lshlrev_b32_e32 v36, 1, v42
	s_and_b64 vcc, exec, s[18:19]
	s_cbranch_vccz .LBB257_45
; %bb.35:
	v_cmp_gt_i32_e32 vcc, s46, v36
	v_mov_b32_e32 v22, 0
	v_mov_b32_e32 v18, 0
	;; [unrolled: 1-line block ×5, first 2 shown]
	s_and_saveexec_b64 s[0:1], vcc
	s_cbranch_execz .LBB257_37
; %bb.36:
	v_mad_i64_i32 v[18:19], s[2:3], s31, v36, 0
	v_lshl_add_u64 v[18:19], v[18:19], 1, s[4:5]
	v_lshlrev_b32_e32 v20, 1, v34
	v_mov_b32_e32 v21, 0
	v_lshl_add_u64 v[18:19], v[18:19], 0, v[20:21]
	global_load_dwordx4 v[18:21], v[18:19], off
.LBB257_37:
	s_or_b64 exec, exec, s[0:1]
	v_or_b32_e32 v37, 1, v36
	v_cmp_gt_i32_e64 s[0:1], s46, v37
	v_mov_b32_e32 v23, 0
	v_mov_b32_e32 v24, 0
	;; [unrolled: 1-line block ×3, first 2 shown]
	s_and_saveexec_b64 s[2:3], s[0:1]
	s_cbranch_execz .LBB257_39
; %bb.38:
	v_mad_i64_i32 v[22:23], s[6:7], s31, v37, 0
	v_lshl_add_u64 v[22:23], v[22:23], 1, s[4:5]
	v_lshlrev_b32_e32 v24, 1, v34
	v_mov_b32_e32 v25, 0
	v_lshl_add_u64 v[22:23], v[22:23], 0, v[24:25]
	global_load_dwordx4 v[22:25], v[22:23], off
.LBB257_39:
	s_or_b64 exec, exec, s[2:3]
	v_mov_b32_e32 v33, 0
	v_mov_b32_e32 v26, 0
	;; [unrolled: 1-line block ×5, first 2 shown]
	s_and_saveexec_b64 s[2:3], vcc
	s_cbranch_execz .LBB257_41
; %bb.40:
	v_mad_i64_i32 v[26:27], s[6:7], s31, v36, 0
	v_lshl_add_u64 v[26:27], v[26:27], 1, s[4:5]
	v_lshlrev_b32_e32 v28, 1, v34
	v_mov_b32_e32 v29, 0
	v_lshl_add_u64 v[26:27], v[26:27], 0, v[28:29]
	global_load_dwordx4 v[26:29], v[26:27], off offset:128
.LBB257_41:
	s_or_b64 exec, exec, s[2:3]
	v_mov_b32_e32 v32, 0
	v_mov_b32_e32 v31, 0
	v_mov_b32_e32 v30, 0
	s_and_saveexec_b64 s[2:3], s[0:1]
	s_cbranch_execz .LBB257_43
; %bb.42:
	v_mad_i64_i32 v[30:31], s[0:1], s31, v37, 0
	v_lshl_add_u64 v[30:31], v[30:31], 1, s[4:5]
	v_lshlrev_b32_e32 v32, 1, v34
	v_mov_b32_e32 v33, 0
	v_lshl_add_u64 v[30:31], v[30:31], 0, v[32:33]
	global_load_dwordx4 v[30:33], v[30:31], off offset:128
.LBB257_43:
	s_or_b64 exec, exec, s[2:3]
	s_branch .LBB257_47
.LBB257_44:
                                        ; implicit-def: $vgpr21
                                        ; implicit-def: $vgpr25
                                        ; implicit-def: $vgpr29
                                        ; implicit-def: $vgpr33
	v_lshrrev_b32_e32 v47, 2, v55
	s_branch .LBB257_48
.LBB257_45:
                                        ; implicit-def: $vgpr21
                                        ; implicit-def: $vgpr25
                                        ; implicit-def: $vgpr29
                                        ; implicit-def: $vgpr33
	s_cbranch_execz .LBB257_47
; %bb.46:
	s_waitcnt vmcnt(0)
	v_mad_u64_u32 v[18:19], s[0:1], v36, s31, v[34:35]
	v_lshlrev_b32_e32 v36, 1, v18
	s_lshl_b32 s2, s31, 7
	s_and_b32 s1, s5, 0xffff
	s_mov_b32 s3, 0x20000
	s_mov_b32 s0, s4
	v_add_lshl_u32 v37, v18, s31, 1
	s_movk_i32 s6, 0x80
	buffer_load_dwordx4 v[18:21], v36, s[0:3], 0 offen
	buffer_load_dwordx4 v[26:29], v36, s[0:3], s6 offen
	;; [unrolled: 1-line block ×4, first 2 shown]
.LBB257_47:
	v_lshrrev_b32_e32 v47, 2, v55
	s_cbranch_execnz .LBB257_60
.LBB257_48:
	s_and_b64 vcc, exec, s[18:19]
	s_cbranch_vccz .LBB257_58
; %bb.49:
	s_waitcnt vmcnt(0)
	v_lshlrev_b32_e32 v23, 1, v42
	v_cmp_gt_i32_e32 vcc, s46, v23
	v_mov_b32_e32 v22, 0
	v_lshlrev_b32_e32 v30, 9, v42
	v_mov_b32_e32 v18, 0
	v_mov_b32_e32 v19, 0
	;; [unrolled: 1-line block ×4, first 2 shown]
	s_and_saveexec_b64 s[0:1], vcc
	s_cbranch_execz .LBB257_51
; %bb.50:
	v_mov_b32_e32 v31, 0
	v_lshl_add_u64 v[18:19], s[4:5], 0, v[30:31]
	v_lshlrev_b32_e32 v20, 1, v34
	v_mov_b32_e32 v21, v31
	v_lshl_add_u64 v[18:19], v[18:19], 0, v[20:21]
	global_load_dwordx4 v[18:21], v[18:19], off
.LBB257_51:
	s_or_b64 exec, exec, s[0:1]
	v_or_b32_e32 v23, 1, v23
	v_cmp_gt_i32_e64 s[0:1], s46, v23
	v_lshlrev_b32_e32 v36, 8, v23
	v_mov_b32_e32 v23, 0
	v_mov_b32_e32 v24, 0
	;; [unrolled: 1-line block ×3, first 2 shown]
	s_and_saveexec_b64 s[2:3], s[0:1]
	s_cbranch_execz .LBB257_53
; %bb.52:
	v_mov_b32_e32 v37, 0
	v_lshl_add_u64 v[22:23], s[4:5], 0, v[36:37]
	v_lshlrev_b32_e32 v24, 1, v34
	v_mov_b32_e32 v25, v37
	v_lshl_add_u64 v[22:23], v[22:23], 0, v[24:25]
	global_load_dwordx4 v[22:25], v[22:23], off
.LBB257_53:
	s_or_b64 exec, exec, s[2:3]
	v_mov_b32_e32 v33, 0
	v_mov_b32_e32 v26, 0
	;; [unrolled: 1-line block ×5, first 2 shown]
	s_and_saveexec_b64 s[2:3], vcc
	s_cbranch_execz .LBB257_55
; %bb.54:
	v_mov_b32_e32 v31, 0
	v_lshl_add_u64 v[26:27], s[4:5], 0, v[30:31]
	v_lshlrev_b32_e32 v30, 1, v34
	v_lshl_add_u64 v[26:27], v[26:27], 0, v[30:31]
	global_load_dwordx4 v[26:29], v[26:27], off offset:128
.LBB257_55:
	s_or_b64 exec, exec, s[2:3]
	v_mov_b32_e32 v32, 0
	v_mov_b32_e32 v31, 0
	;; [unrolled: 1-line block ×3, first 2 shown]
	s_and_saveexec_b64 s[2:3], s[0:1]
	s_cbranch_execz .LBB257_57
; %bb.56:
	v_mov_b32_e32 v37, 0
	v_lshl_add_u64 v[30:31], s[4:5], 0, v[36:37]
	v_lshlrev_b32_e32 v36, 1, v34
	v_lshl_add_u64 v[30:31], v[30:31], 0, v[36:37]
	global_load_dwordx4 v[30:33], v[30:31], off offset:128
.LBB257_57:
	s_or_b64 exec, exec, s[2:3]
	s_branch .LBB257_60
.LBB257_58:
                                        ; implicit-def: $vgpr21
                                        ; implicit-def: $vgpr25
                                        ; implicit-def: $vgpr29
                                        ; implicit-def: $vgpr33
	s_cbranch_execz .LBB257_60
; %bb.59:
	s_waitcnt vmcnt(0)
	v_lshlrev_b32_e32 v18, 1, v34
	v_lshl_or_b32 v34, v42, 9, v18
	s_and_b32 s5, s5, 0xffff
	s_mov_b32 s7, 0x20000
	s_movk_i32 s6, 0x4000
	s_movk_i32 s0, 0x80
	buffer_load_dwordx4 v[18:21], v34, s[4:7], 0 offen
	buffer_load_dwordx4 v[22:25], v34, s[4:7], 0 offen offset:256
	buffer_load_dwordx4 v[26:29], v34, s[4:7], s0 offen
	buffer_load_dwordx4 v[30:33], v34, s[4:7], s0 offen offset:256
.LBB257_60:
	ds_read_b64 v[36:37], v43 offset:32768
	v_add_u32_e32 v34, 0xb000, v40
	ds_read2_b64 v[48:51], v34 offset1:16
	ds_read_b64 v[66:67], v44 offset:32768
	ds_read_b64 v[44:45], v45 offset:32768
	;; [unrolled: 1-line block ×3, first 2 shown]
	ds_read2st64_b64 v[62:65], v41 offset0:90 offset1:92
	v_and_b32_e32 v43, 6, v0
	v_and_b32_e32 v34, 12, v47
	v_xor_b32_e32 v42, v42, v43
	v_lshlrev_b32_e32 v42, 2, v42
	s_mov_b32 s0, 0x1000504
	s_waitcnt lgkmcnt(4)
	v_mfma_f32_16x16x16_bf16 a[0:3], v[36:37], v[48:49], a[0:3]
	s_mov_b32 s1, 0x3020706
	v_mfma_f32_16x16x16_bf16 a[4:7], v[36:37], v[50:51], a[4:7]
	ds_read2st64_b64 v[48:51], v40 offset0:90 offset1:92
	ds_read_b64 v[36:37], v40 offset:48128
	ds_read_b64 v[46:47], v41 offset:48128
	s_waitcnt lgkmcnt(2)
	v_mfma_f32_16x16x16_bf16 a[0:3], v[66:67], v[48:49], a[0:3]
	v_and_b32_e32 v48, 1, v0
	v_xor_b32_e32 v49, 0x440, v42
	v_cmp_eq_u32_e32 vcc, 0, v48
	v_mfma_f32_16x16x16_bf16 a[4:7], v[66:67], v[62:63], a[4:7]
	s_nop 0
	v_cndmask_b32_e32 v42, v49, v42, vcc
	v_lshl_or_b32 v42, v43, 10, v42
	v_mfma_f32_16x16x16_bf16 a[0:3], v[44:45], v[50:51], a[0:3]
	v_mov_b32_e32 v43, 0
	v_mfma_f32_16x16x16_bf16 a[8:11], v[44:45], v[64:65], a[4:7]
	s_waitcnt lgkmcnt(1)
	v_mfma_f32_16x16x16_bf16 a[4:7], v[68:69], v[36:37], a[0:3]
	s_waitcnt vmcnt(0)
	v_perm_b32 v36, v18, v22, s0
	v_perm_b32 v37, v26, v30, s0
	ds_write2st64_b32 v42, v36, v37 offset0:32 offset1:64
	v_xor_b32_e32 v36, 8, v42
	v_perm_b32 v18, v18, v22, s1
	v_perm_b32 v22, v26, v30, s1
	v_add_u32_e32 v26, 0x80, v36
	ds_write2st64_b32 v26, v18, v22 offset0:32 offset1:64
	v_xor_b32_e32 v18, 16, v42
	v_perm_b32 v22, v19, v23, s0
	v_perm_b32 v26, v27, v31, s0
	ds_write2st64_b32 v18, v22, v26 offset0:33 offset1:65
	v_xor_b32_e32 v18, 24, v42
	v_perm_b32 v19, v19, v23, s1
	v_perm_b32 v22, v27, v31, s1
	v_add_u32_e32 v18, 0x80, v18
	ds_write2st64_b32 v18, v19, v22 offset0:33 offset1:65
	v_xor_b32_e32 v18, 32, v42
	v_perm_b32 v19, v20, v24, s0
	v_perm_b32 v22, v28, v32, s0
	ds_write2st64_b32 v18, v19, v22 offset0:34 offset1:66
	v_xor_b32_e32 v18, 40, v42
	s_waitcnt lgkmcnt(5)
	v_mfma_f32_16x16x16_bf16 a[0:3], v[68:69], v[46:47], a[8:11]
	v_perm_b32 v19, v20, v24, s1
	v_perm_b32 v20, v28, v32, s1
	v_add_u32_e32 v18, 0x80, v18
	ds_write2st64_b32 v18, v19, v20 offset0:34 offset1:66
	v_xor_b32_e32 v18, 48, v42
	v_perm_b32 v19, v21, v25, s0
	v_perm_b32 v20, v29, v33, s0
	ds_write2st64_b32 v18, v19, v20 offset0:35 offset1:67
	v_xor_b32_e32 v18, 56, v42
	v_or_b32_e32 v36, v34, v53
	v_perm_b32 v19, v21, v25, s1
	v_perm_b32 v20, v29, v33, s1
	v_add_u32_e32 v18, 0x80, v18
	v_cmp_gt_i32_e64 s[0:1], s46, v36
	v_mov_b32_e32 v42, 0
	ds_write2st64_b32 v18, v19, v20 offset0:35 offset1:67
	s_and_saveexec_b64 s[2:3], s[0:1]
	s_cbranch_execz .LBB257_62
; %bb.61:
	v_add_u32_e32 v18, s34, v36
	v_ashrrev_i32_e32 v19, 31, v18
	v_mul_lo_u32 v20, v19, s10
	v_mul_lo_u32 v21, v18, s11
	v_mad_u64_u32 v[18:19], s[4:5], v18, s10, 0
	v_add3_u32 v19, v19, v21, v20
	v_lshl_add_u64 v[18:19], v[18:19], 2, s[12:13]
	global_load_dword v18, v[18:19], off
	s_waitcnt vmcnt(0)
	v_sub_f32_e32 v18, s17, v18
	v_exp_f32_e32 v43, v18
.LBB257_62:
	s_or_b64 exec, exec, s[2:3]
	v_or_b32_e32 v30, 1, v36
	v_cmp_gt_i32_e64 s[4:5], s46, v30
	s_and_saveexec_b64 s[2:3], s[4:5]
	s_cbranch_execz .LBB257_64
; %bb.63:
	v_add_u32_e32 v18, s34, v30
	v_ashrrev_i32_e32 v19, 31, v18
	v_mul_lo_u32 v20, v19, s10
	v_mul_lo_u32 v21, v18, s11
	v_mad_u64_u32 v[18:19], s[6:7], v18, s10, 0
	v_add3_u32 v19, v19, v21, v20
	v_lshl_add_u64 v[18:19], v[18:19], 2, s[12:13]
	global_load_dword v18, v[18:19], off
	s_waitcnt vmcnt(0)
	v_sub_f32_e32 v18, s17, v18
	v_exp_f32_e32 v42, v18
.LBB257_64:
	s_or_b64 exec, exec, s[2:3]
	v_or_b32_e32 v28, 2, v36
	v_cmp_gt_i32_e64 s[2:3], s46, v28
	v_mov_b32_e32 v37, 0
	v_mov_b32_e32 v44, 0
	s_and_saveexec_b64 s[6:7], s[2:3]
	s_cbranch_execz .LBB257_66
; %bb.65:
	v_add_u32_e32 v18, s34, v28
	v_ashrrev_i32_e32 v19, 31, v18
	v_mul_lo_u32 v20, v19, s10
	v_mul_lo_u32 v21, v18, s11
	v_mad_u64_u32 v[18:19], s[18:19], v18, s10, 0
	v_add3_u32 v19, v19, v21, v20
	v_lshl_add_u64 v[18:19], v[18:19], 2, s[12:13]
	global_load_dword v18, v[18:19], off
	s_waitcnt vmcnt(0)
	v_sub_f32_e32 v18, s17, v18
	v_exp_f32_e32 v44, v18
.LBB257_66:
	s_or_b64 exec, exec, s[6:7]
	v_or_b32_e32 v29, 3, v36
	v_cmp_gt_i32_e32 vcc, s46, v29
	s_and_saveexec_b64 s[6:7], vcc
	s_cbranch_execz .LBB257_68
; %bb.67:
	v_add_u32_e32 v18, s34, v29
	v_ashrrev_i32_e32 v19, 31, v18
	v_mul_lo_u32 v20, v19, s10
	v_mul_lo_u32 v21, v18, s11
	v_mad_u64_u32 v[18:19], s[10:11], v18, s10, 0
	v_add3_u32 v19, v19, v21, v20
	v_lshl_add_u64 v[18:19], v[18:19], 2, s[12:13]
	global_load_dword v18, v[18:19], off
	s_waitcnt vmcnt(0)
	v_sub_f32_e32 v18, s17, v18
	v_exp_f32_e32 v37, v18
.LBB257_68:
	s_or_b64 exec, exec, s[6:7]
	s_add_u32 s6, s20, s36
	s_addc_u32 s7, s21, s37
	s_add_u32 s10, s14, s36
	v_ashrrev_i32_e32 v61, 31, v60
	v_accvgpr_read_b32 v21, a7
	s_addc_u32 s11, s15, s37
	v_lshlrev_b64 v[22:23], 1, v[60:61]
	v_accvgpr_read_b32 v20, a6
	v_accvgpr_read_b32 v19, a5
	;; [unrolled: 1-line block ×3, first 2 shown]
	v_lshl_add_u64 v[24:25], s[6:7], 0, v[22:23]
	v_lshl_add_u64 v[22:23], s[10:11], 0, v[22:23]
	v_mov_b32_e32 v31, 0
	v_lshlrev_b32_e32 v26, 8, v36
	v_mov_b32_e32 v27, 0
	s_and_saveexec_b64 s[6:7], s[0:1]
	s_cbranch_execz .LBB257_70
; %bb.69:
	v_mov_b32_e32 v27, 0
	v_lshl_add_u64 v[32:33], v[24:25], 0, v[26:27]
	global_load_ushort v45, v[32:33], off
	v_lshl_add_u64 v[32:33], v[22:23], 0, v[26:27]
	s_waitcnt vmcnt(0)
	v_lshlrev_b32_e32 v27, 16, v45
	v_sub_f32_e32 v18, v27, v18
	global_store_short_d16_hi v[32:33], v18, off
	v_mul_f32_e32 v18, v43, v18
	v_lshrrev_b32_e32 v27, 16, v18
.LBB257_70:
	s_or_b64 exec, exec, s[6:7]
	v_lshlrev_b32_e32 v30, 8, v30
	s_and_saveexec_b64 s[6:7], s[4:5]
	s_cbranch_execz .LBB257_72
; %bb.71:
	v_mov_b32_e32 v31, 0
	v_lshl_add_u64 v[32:33], v[24:25], 0, v[30:31]
	global_load_ushort v18, v[32:33], off
	v_lshl_add_u64 v[32:33], v[22:23], 0, v[30:31]
	s_waitcnt vmcnt(0)
	v_lshlrev_b32_e32 v18, 16, v18
	v_sub_f32_e32 v18, v18, v19
	global_store_short_d16_hi v[32:33], v18, off
	v_mul_f32_e32 v18, v42, v18
	v_lshrrev_b32_e32 v31, 16, v18
.LBB257_72:
	s_or_b64 exec, exec, s[6:7]
	v_mov_b32_e32 v46, 0
	v_lshlrev_b32_e32 v32, 8, v28
	v_mov_b32_e32 v33, 0
	s_and_saveexec_b64 s[6:7], s[2:3]
	s_cbranch_execz .LBB257_74
; %bb.73:
	v_mov_b32_e32 v33, 0
	v_lshl_add_u64 v[18:19], v[24:25], 0, v[32:33]
	global_load_ushort v28, v[18:19], off
	v_lshl_add_u64 v[18:19], v[22:23], 0, v[32:33]
	s_waitcnt vmcnt(0)
	v_lshlrev_b32_e32 v28, 16, v28
	v_sub_f32_e32 v20, v28, v20
	global_store_short_d16_hi v[18:19], v20, off
	v_mul_f32_e32 v18, v44, v20
	v_lshrrev_b32_e32 v33, 16, v18
.LBB257_74:
	s_or_b64 exec, exec, s[6:7]
	v_lshlrev_b32_e32 v28, 8, v29
	s_and_saveexec_b64 s[6:7], vcc
	s_cbranch_execz .LBB257_76
; %bb.75:
	v_mov_b32_e32 v29, 0
	v_lshl_add_u64 v[18:19], v[24:25], 0, v[28:29]
	global_load_ushort v20, v[18:19], off
	v_lshl_add_u64 v[18:19], v[22:23], 0, v[28:29]
	s_waitcnt vmcnt(0)
	v_lshlrev_b32_e32 v20, 16, v20
	v_sub_f32_e32 v20, v20, v21
	global_store_short_d16_hi v[18:19], v20, off
	v_mul_f32_e32 v18, v37, v20
	v_lshrrev_b32_e32 v46, 16, v18
.LBB257_76:
	s_or_b64 exec, exec, s[6:7]
	v_lshlrev_b32_e32 v45, 5, v36
	s_mov_b32 s6, 0x5040100
	v_perm_b32 v47, v46, v33, s6
	v_perm_b32 v46, v31, v27, s6
	v_or_b32_e32 v27, v45, v38
	v_accvgpr_read_b32 v21, a3
	v_lshlrev_b32_e32 v27, 1, v27
	v_accvgpr_read_b32 v20, a2
	v_accvgpr_read_b32 v19, a1
	;; [unrolled: 1-line block ×3, first 2 shown]
	ds_write_b64 v27, v[46:47] offset:45056
	v_mov_b32_e32 v31, 0
	v_mov_b32_e32 v27, 0
	s_and_saveexec_b64 s[6:7], s[0:1]
	s_cbranch_execz .LBB257_78
; %bb.77:
	v_mov_b32_e32 v27, 0
	v_lshl_add_u64 v[46:47], v[24:25], 0, v[26:27]
	global_load_ushort v29, v[46:47], off offset:32
	v_lshl_add_u64 v[26:27], v[22:23], 0, v[26:27]
	s_waitcnt vmcnt(0)
	v_lshlrev_b32_e32 v29, 16, v29
	v_sub_f32_e32 v18, v29, v18
	global_store_short_d16_hi v[26:27], v18, off offset:32
	v_mul_f32_e32 v18, v43, v18
	v_lshrrev_b32_e32 v27, 16, v18
.LBB257_78:
	s_or_b64 exec, exec, s[6:7]
	s_and_saveexec_b64 s[0:1], s[4:5]
	s_cbranch_execz .LBB257_80
; %bb.79:
	v_mov_b32_e32 v31, 0
	v_lshl_add_u64 v[46:47], v[24:25], 0, v[30:31]
	global_load_ushort v18, v[46:47], off offset:32
	v_lshl_add_u64 v[30:31], v[22:23], 0, v[30:31]
	s_waitcnt vmcnt(0)
	v_lshlrev_b32_e32 v18, 16, v18
	v_sub_f32_e32 v18, v18, v19
	global_store_short_d16_hi v[30:31], v18, off offset:32
	v_mul_f32_e32 v18, v42, v18
	v_lshrrev_b32_e32 v31, 16, v18
.LBB257_80:
	s_or_b64 exec, exec, s[0:1]
	v_mov_b32_e32 v26, 0
	v_mov_b32_e32 v30, 0
	s_and_saveexec_b64 s[0:1], s[2:3]
	s_cbranch_execz .LBB257_82
; %bb.81:
	v_mov_b32_e32 v33, 0
	v_lshl_add_u64 v[18:19], v[24:25], 0, v[32:33]
	global_load_ushort v29, v[18:19], off offset:32
	v_lshl_add_u64 v[18:19], v[22:23], 0, v[32:33]
	s_waitcnt vmcnt(0)
	v_lshlrev_b32_e32 v29, 16, v29
	v_sub_f32_e32 v20, v29, v20
	global_store_short_d16_hi v[18:19], v20, off offset:32
	v_mul_f32_e32 v18, v44, v20
	v_lshrrev_b32_e32 v30, 16, v18
.LBB257_82:
	s_or_b64 exec, exec, s[0:1]
	v_or_b32_e32 v19, 0xb000, v40
	v_or_b32_e32 v18, 0xb000, v41
	s_and_saveexec_b64 s[0:1], vcc
	s_cbranch_execz .LBB257_84
; %bb.83:
	v_mov_b32_e32 v29, 0
	v_lshl_add_u64 v[24:25], v[24:25], 0, v[28:29]
	global_load_ushort v20, v[24:25], off offset:32
	v_lshl_add_u64 v[22:23], v[22:23], 0, v[28:29]
	s_waitcnt vmcnt(0)
	v_lshlrev_b32_e32 v20, 16, v20
	v_sub_f32_e32 v20, v20, v21
	global_store_short_d16_hi v[22:23], v20, off offset:32
	v_mul_f32_e32 v20, v37, v20
	v_lshrrev_b32_e32 v26, 16, v20
.LBB257_84:
	s_or_b64 exec, exec, s[0:1]
	s_mov_b32 s0, 0x5040100
	v_or_b32_e32 v22, v45, v35
	v_perm_b32 v21, v26, v30, s0
	v_perm_b32 v20, v31, v27, s0
	v_lshlrev_b32_e32 v22, 1, v22
	s_movk_i32 s2, 0x100
	ds_write_b64 v22, v[20:21] offset:45056
	v_and_b32_e32 v20, 7, v0
	v_and_b32_e32 v21, 8, v0
	v_cmp_gt_u32_e32 vcc, s2, v0
	v_lshrrev_b32_e32 v0, 1, v0
	v_lshlrev_b32_e32 v26, 3, v20
	v_lshlrev_b32_e32 v47, 7, v20
	v_mov_b32_e32 v20, 0x4000
	v_mov_b32_e32 v22, 0x2000
	v_lshlrev_b32_e32 v24, 3, v1
	v_and_b32_e32 v0, 24, v0
	v_cndmask_b32_e32 v27, v20, v22, vcc
	v_xor_b32_e32 v20, v24, v0
	v_or_b32_e32 v22, 0x440, v20
	v_cmp_eq_u32_e32 vcc, 0, v21
	v_or_b32_e32 v28, 32, v0
	v_xor_b32_e32 v28, v24, v28
	v_cndmask_b32_e32 v20, v22, v20, vcc
	v_or_b32_e32 v20, v20, v39
	v_xor_b32_e32 v48, v20, v26
	v_or_b32_e32 v29, 0x440, v28
	v_add3_u32 v25, v27, v48, v47
	v_cndmask_b32_e32 v28, v29, v28, vcc
	v_or_b32_e32 v29, 64, v0
	v_or_b32_e32 v0, 0x60, v0
	s_waitcnt lgkmcnt(0)
	s_barrier
	v_xor_b32_e32 v29, v24, v29
	v_xor_b32_e32 v0, v24, v0
	ds_read_b64 v[24:25], v25
	v_xor_b32_e32 v30, 0x440, v29
	v_cndmask_b32_e32 v29, v30, v29, vcc
	v_xor_b32_e32 v30, 0x440, v0
	ds_read2_b64 v[20:23], v19 offset1:16
	v_cndmask_b32_e32 v0, v30, v0, vcc
	v_or_b32_e32 v28, v28, v39
	v_or_b32_e32 v29, v29, v39
	;; [unrolled: 1-line block ×3, first 2 shown]
	v_xor_b32_e32 v49, v28, v26
	v_xor_b32_e32 v50, v29, v26
	v_xor_b32_e32 v0, v0, v26
	v_add3_u32 v28, v27, v49, v47
	v_add3_u32 v29, v27, v50, v47
	;; [unrolled: 1-line block ×3, first 2 shown]
	s_mul_i32 s0, s16, s29
	ds_read_b64 v[26:27], v28
	ds_read_b64 v[32:33], v29
	;; [unrolled: 1-line block ×3, first 2 shown]
	ds_read2st64_b64 v[28:31], v19 offset0:2 offset1:4
	s_mul_hi_i32 s1, s16, s29
	ds_read2st64_b64 v[38:41], v18 offset0:2 offset1:4
	s_add_u32 s0, s0, s33
	s_waitcnt lgkmcnt(5)
	v_mfma_f32_16x16x16_bf16 a[0:3], v[24:25], v[20:21], 0
	s_addc_u32 s1, s1, s48
	s_lshl_b64 s[0:1], s[0:1], 9
	s_add_u32 s0, s8, s0
	v_mfma_f32_16x16x16_bf16 a[4:7], v[24:25], v[22:23], 0
	s_addc_u32 s1, s9, s1
	v_lshlrev_b32_e32 v24, 2, v36
	v_lshlrev_b32_e32 v1, 6, v1
	s_waitcnt lgkmcnt(1)
	v_mfma_f32_16x16x16_bf16 a[0:3], v[26:27], v[28:29], a[0:3]
	v_add_u32_e32 v48, v48, v47
	v_exp_f32_e32 v46, s17
	v_add_u32_e32 v0, v0, v47
	s_waitcnt lgkmcnt(0)
	v_mfma_f32_16x16x16_bf16 a[4:7], v[26:27], v[38:39], a[4:7]
	global_load_dwordx4 v[24:27], v24, s[0:1]
	ds_read_b64 v[36:37], v19 offset:3072
	ds_read_b64 v[44:45], v18 offset:3072
	v_lshlrev_b32_e32 v18, 2, v34
	v_or3_b32 v1, v1, v18, s2
	v_mfma_f32_16x16x16_bf16 a[0:3], v[32:33], v[30:31], a[0:3]
	s_waitcnt vmcnt(0)
	v_exp_f32_e32 v18, v24
	v_mfma_f32_16x16x16_bf16 a[4:7], v[32:33], v[40:41], a[4:7]
	global_load_dwordx4 v[32:35], v1, s[0:1]
	v_exp_f32_e32 v19, v25
	ds_read_b64 v[24:25], v48 offset:16384
	s_waitcnt lgkmcnt(2)
	v_mfma_f32_16x16x16_bf16 a[0:3], v[42:43], v[36:37], a[0:3]
	v_add_u32_e32 v48, v50, v47
	v_pk_mul_f32 v[52:53], v[46:47], v[18:19] op_sel_hi:[0,1]
	v_exp_f32_e32 v26, v26
	s_waitcnt lgkmcnt(1)
	v_mfma_f32_16x16x16_bf16 a[4:7], v[42:43], v[44:45], a[4:7]
	v_add_u32_e32 v42, v49, v47
	ds_read_b64 v[42:43], v42 offset:16384
	ds_read_b64 v[48:49], v48 offset:16384
	;; [unrolled: 1-line block ×3, first 2 shown]
	v_accvgpr_read_b32 v19, a1
	s_waitcnt lgkmcnt(3)
	v_mfma_f32_16x16x16_bf16 a[8:11], v[24:25], v[20:21], 0
	v_accvgpr_read_b32 v1, a3
	v_accvgpr_read_b32 v0, a2
	;; [unrolled: 1-line block ×3, first 2 shown]
	v_mfma_f32_16x16x16_bf16 a[0:3], v[24:25], v[22:23], 0
	v_exp_f32_e32 v27, v27
	v_pk_fma_f32 v[18:19], v[2:3], v[52:53], v[18:19]
	v_pk_mul_f32 v[2:3], v[46:47], v[26:27] op_sel_hi:[0,1]
	s_waitcnt lgkmcnt(2)
	v_mfma_f32_16x16x16_bf16 a[8:11], v[42:43], v[28:29], a[8:11]
	v_pk_fma_f32 v[20:21], v[4:5], v[2:3], v[0:1]
	v_accvgpr_read_b32 v0, a4
	v_fma_f32 v26, v10, v52, v0
	v_mfma_f32_16x16x16_bf16 a[0:3], v[42:43], v[38:39], a[0:3]
	v_accvgpr_read_b32 v0, a5
	v_fma_f32 v27, v11, v53, v0
	v_accvgpr_read_b32 v0, a6
	s_waitcnt lgkmcnt(1)
	v_mfma_f32_16x16x16_bf16 a[8:11], v[48:49], v[30:31], a[8:11]
	v_fma_f32 v28, v12, v2, v0
	v_accvgpr_read_b32 v29, a7
	v_fmac_f32_e32 v29, v13, v3
	v_mfma_f32_16x16x16_bf16 a[0:3], v[48:49], v[40:41], a[0:3]
	s_waitcnt vmcnt(0)
	v_mov_b32_e32 v0, v33
	v_mov_b32_e32 v1, v34
	;; [unrolled: 1-line block ×3, first 2 shown]
	v_exp_f32_e32 v5, v0
	v_exp_f32_e32 v0, v1
	s_waitcnt lgkmcnt(0)
	v_mfma_f32_16x16x16_bf16 a[4:7], v[50:51], v[36:37], a[8:11]
	v_exp_f32_e32 v1, v2
	v_exp_f32_e32 v4, v32
	v_pk_mul_f32 v[0:1], v[46:47], v[0:1] op_sel_hi:[0,1]
	v_mfma_f32_16x16x16_bf16 a[0:3], v[50:51], v[44:45], a[0:3]
	v_pk_mul_f32 v[4:5], v[46:47], v[4:5] op_sel_hi:[0,1]
	s_nop 1
	v_accvgpr_read_b32 v3, a7
	v_accvgpr_read_b32 v2, a6
	v_pk_fma_f32 v[24:25], v[8:9], v[0:1], v[2:3]
	v_accvgpr_read_b32 v11, a5
	v_accvgpr_read_b32 v10, a4
	v_pk_fma_f32 v[22:23], v[6:7], v[4:5], v[10:11]
	v_accvgpr_read_b32 v2, a0
	v_fma_f32 v30, v14, v4, v2
	v_accvgpr_read_b32 v2, a1
	v_fma_f32 v31, v15, v5, v2
	v_accvgpr_read_b32 v2, a2
	v_accvgpr_read_b32 v33, a3
	v_fma_f32 v32, v16, v0, v2
	v_fmac_f32_e32 v33, v17, v1
	v_mov_b64_e32 v[2:3], v[18:19]
	v_mov_b64_e32 v[4:5], v[20:21]
	;; [unrolled: 1-line block ×8, first 2 shown]
.LBB257_85:
	s_add_u32 s0, s24, s26
	s_addc_u32 s1, s25, s27
	v_lshl_add_u64 v[0:1], v[56:57], 1, s[0:1]
	v_mov_b32_e32 v55, 0
	s_mov_b32 s2, 0x7060302
	v_lshl_add_u64 v[0:1], v[0:1], 0, v[54:55]
	v_perm_b32 v5, v5, v4, s2
	v_perm_b32 v4, v3, v2, s2
	;; [unrolled: 1-line block ×4, first 2 shown]
	global_store_dwordx2 v[0:1], v[4:5], off
	global_store_dwordx2 v[0:1], v[2:3], off offset:128
	v_lshl_add_u64 v[0:1], v[58:59], 1, s[0:1]
	v_lshl_add_u64 v[0:1], v[0:1], 0, v[54:55]
	v_perm_b32 v3, v13, v12, s2
	v_perm_b32 v2, v11, v10, s2
	global_store_dwordx2 v[0:1], v[2:3], off
	v_perm_b32 v3, v17, v16, s2
	v_perm_b32 v2, v15, v14, s2
	global_store_dwordx2 v[0:1], v[2:3], off offset:128
	s_endpgm
	.section	.rodata,"a",@progbits
	.p2align	6, 0x0
	.amdhsa_kernel _ZN12_GLOBAL__N_139chunk_gated_delta_rule_fwd_h_hip_kernelILi32ELb1ELb1ELb1ELb1ELb1ELb1ELb1ELb1EEEvPK12hip_bfloat16S3_S3_PKfS5_PKvPS1_S8_PvPKiSB_iiiiilll
		.amdhsa_group_segment_fixed_size 49152
		.amdhsa_private_segment_fixed_size 0
		.amdhsa_kernarg_size 136
		.amdhsa_user_sgpr_count 2
		.amdhsa_user_sgpr_dispatch_ptr 0
		.amdhsa_user_sgpr_queue_ptr 0
		.amdhsa_user_sgpr_kernarg_segment_ptr 1
		.amdhsa_user_sgpr_dispatch_id 0
		.amdhsa_user_sgpr_kernarg_preload_length 0
		.amdhsa_user_sgpr_kernarg_preload_offset 0
		.amdhsa_user_sgpr_private_segment_size 0
		.amdhsa_uses_dynamic_stack 0
		.amdhsa_enable_private_segment 0
		.amdhsa_system_sgpr_workgroup_id_x 1
		.amdhsa_system_sgpr_workgroup_id_y 1
		.amdhsa_system_sgpr_workgroup_id_z 0
		.amdhsa_system_sgpr_workgroup_info 0
		.amdhsa_system_vgpr_workitem_id 0
		.amdhsa_next_free_vgpr 168
		.amdhsa_next_free_sgpr 70
		.amdhsa_accum_offset 148
		.amdhsa_reserve_vcc 1
		.amdhsa_float_round_mode_32 0
		.amdhsa_float_round_mode_16_64 0
		.amdhsa_float_denorm_mode_32 3
		.amdhsa_float_denorm_mode_16_64 3
		.amdhsa_dx10_clamp 1
		.amdhsa_ieee_mode 1
		.amdhsa_fp16_overflow 0
		.amdhsa_tg_split 0
		.amdhsa_exception_fp_ieee_invalid_op 0
		.amdhsa_exception_fp_denorm_src 0
		.amdhsa_exception_fp_ieee_div_zero 0
		.amdhsa_exception_fp_ieee_overflow 0
		.amdhsa_exception_fp_ieee_underflow 0
		.amdhsa_exception_fp_ieee_inexact 0
		.amdhsa_exception_int_div_zero 0
	.end_amdhsa_kernel
	.section	.text._ZN12_GLOBAL__N_139chunk_gated_delta_rule_fwd_h_hip_kernelILi32ELb1ELb1ELb1ELb1ELb1ELb1ELb1ELb1EEEvPK12hip_bfloat16S3_S3_PKfS5_PKvPS1_S8_PvPKiSB_iiiiilll,"axG",@progbits,_ZN12_GLOBAL__N_139chunk_gated_delta_rule_fwd_h_hip_kernelILi32ELb1ELb1ELb1ELb1ELb1ELb1ELb1ELb1EEEvPK12hip_bfloat16S3_S3_PKfS5_PKvPS1_S8_PvPKiSB_iiiiilll,comdat
.Lfunc_end257:
	.size	_ZN12_GLOBAL__N_139chunk_gated_delta_rule_fwd_h_hip_kernelILi32ELb1ELb1ELb1ELb1ELb1ELb1ELb1ELb1EEEvPK12hip_bfloat16S3_S3_PKfS5_PKvPS1_S8_PvPKiSB_iiiiilll, .Lfunc_end257-_ZN12_GLOBAL__N_139chunk_gated_delta_rule_fwd_h_hip_kernelILi32ELb1ELb1ELb1ELb1ELb1ELb1ELb1ELb1EEEvPK12hip_bfloat16S3_S3_PKfS5_PKvPS1_S8_PvPKiSB_iiiiilll
                                        ; -- End function
	.section	.AMDGPU.csdata,"",@progbits
; Kernel info:
; codeLenInByte = 9872
; NumSgprs: 76
; NumVgprs: 146
; NumAgprs: 20
; TotalNumVgprs: 168
; ScratchSize: 0
; MemoryBound: 0
; FloatMode: 240
; IeeeMode: 1
; LDSByteSize: 49152 bytes/workgroup (compile time only)
; SGPRBlocks: 9
; VGPRBlocks: 20
; NumSGPRsForWavesPerEU: 76
; NumVGPRsForWavesPerEU: 168
; AccumOffset: 148
; Occupancy: 1
; WaveLimiterHint : 1
; COMPUTE_PGM_RSRC2:SCRATCH_EN: 0
; COMPUTE_PGM_RSRC2:USER_SGPR: 2
; COMPUTE_PGM_RSRC2:TRAP_HANDLER: 0
; COMPUTE_PGM_RSRC2:TGID_X_EN: 1
; COMPUTE_PGM_RSRC2:TGID_Y_EN: 1
; COMPUTE_PGM_RSRC2:TGID_Z_EN: 0
; COMPUTE_PGM_RSRC2:TIDIG_COMP_CNT: 0
; COMPUTE_PGM_RSRC3_GFX90A:ACCUM_OFFSET: 36
; COMPUTE_PGM_RSRC3_GFX90A:TG_SPLIT: 0
	.section	.text._ZN12_GLOBAL__N_139chunk_gated_delta_rule_fwd_h_hip_kernelILi32ELb1ELb1ELb0ELb1ELb1ELb1ELb1ELb1EEEvPK12hip_bfloat16S3_S3_PKfS5_PKvPS1_S8_PvPKiSB_iiiiilll,"axG",@progbits,_ZN12_GLOBAL__N_139chunk_gated_delta_rule_fwd_h_hip_kernelILi32ELb1ELb1ELb0ELb1ELb1ELb1ELb1ELb1EEEvPK12hip_bfloat16S3_S3_PKfS5_PKvPS1_S8_PvPKiSB_iiiiilll,comdat
	.globl	_ZN12_GLOBAL__N_139chunk_gated_delta_rule_fwd_h_hip_kernelILi32ELb1ELb1ELb0ELb1ELb1ELb1ELb1ELb1EEEvPK12hip_bfloat16S3_S3_PKfS5_PKvPS1_S8_PvPKiSB_iiiiilll ; -- Begin function _ZN12_GLOBAL__N_139chunk_gated_delta_rule_fwd_h_hip_kernelILi32ELb1ELb1ELb0ELb1ELb1ELb1ELb1ELb1EEEvPK12hip_bfloat16S3_S3_PKfS5_PKvPS1_S8_PvPKiSB_iiiiilll
	.p2align	8
	.type	_ZN12_GLOBAL__N_139chunk_gated_delta_rule_fwd_h_hip_kernelILi32ELb1ELb1ELb0ELb1ELb1ELb1ELb1ELb1EEEvPK12hip_bfloat16S3_S3_PKfS5_PKvPS1_S8_PvPKiSB_iiiiilll,@function
_ZN12_GLOBAL__N_139chunk_gated_delta_rule_fwd_h_hip_kernelILi32ELb1ELb1ELb0ELb1ELb1ELb1ELb1ELb1EEEvPK12hip_bfloat16S3_S3_PKfS5_PKvPS1_S8_PvPKiSB_iiiiilll: ; @_ZN12_GLOBAL__N_139chunk_gated_delta_rule_fwd_h_hip_kernelILi32ELb1ELb1ELb0ELb1ELb1ELb1ELb1ELb1EEEvPK12hip_bfloat16S3_S3_PKfS5_PKvPS1_S8_PvPKiSB_iiiiilll
; %bb.0:
	s_load_dwordx4 s[16:19], s[0:1], 0x5c
	s_load_dwordx4 s[24:27], s[0:1], 0x70
	s_abs_i32 s7, s3
	s_ashr_i32 s6, s3, 31
	s_load_dwordx4 s[12:15], s[0:1], 0x40
	s_load_dwordx2 s[4:5], s[0:1], 0x50
	s_waitcnt lgkmcnt(0)
	s_abs_i32 s10, s17
	v_cvt_f32_u32_e32 v1, s10
	s_sub_i32 s8, 0, s10
	s_ashr_i32 s11, s17, 31
	s_xor_b32 s6, s6, s11
	v_rcp_iflag_f32_e32 v1, v1
	v_and_b32_e32 v69, 15, v0
	v_bfe_u32 v68, v0, 4, 2
	v_mov_b32_e32 v55, 0
	v_mul_f32_e32 v1, 0x4f7ffffe, v1
	v_cvt_u32_f32_e32 v1, v1
	v_lshlrev_b32_e32 v70, 3, v0
	v_readfirstlane_b32 s9, v1
	s_mul_i32 s8, s8, s9
	s_mul_hi_u32 s8, s9, s8
	s_add_i32 s9, s9, s8
	s_mul_hi_u32 s8, s7, s9
	s_mul_i32 s9, s8, s10
	s_sub_i32 s7, s7, s9
	s_add_i32 s20, s8, 1
	s_sub_i32 s9, s7, s10
	s_cmp_ge_u32 s7, s10
	s_cselect_b32 s8, s20, s8
	s_cselect_b32 s7, s9, s7
	s_add_i32 s9, s8, 1
	s_cmp_ge_u32 s7, s10
	s_cselect_b32 s7, s9, s8
	s_xor_b32 s7, s7, s6
	s_sub_i32 s28, s7, s6
	s_mul_i32 s36, s28, s17
	s_ashr_i32 s29, s28, 31
	s_sub_i32 s33, s3, s36
	s_lshl_b64 s[6:7], s[28:29], 2
	s_add_u32 s8, s14, s6
	s_addc_u32 s9, s15, s7
	s_add_u32 s30, s4, s6
	s_addc_u32 s31, s5, s7
	s_abs_i32 s3, s18
	v_cvt_f32_u32_e32 v1, s3
	s_load_dwordx2 s[34:35], s[8:9], 0x0
	s_sub_i32 s5, 0, s3
	s_lshl_b32 s2, s2, 5
	v_rcp_iflag_f32_e32 v1, v1
	s_load_dwordx4 s[20:23], s[0:1], 0x20
	s_load_dwordx2 s[40:41], s[0:1], 0x30
	s_waitcnt lgkmcnt(0)
	s_sub_i32 s54, s35, s34
	s_ashr_i32 s4, s54, 31
	v_mul_f32_e32 v1, 0x4f7ffffe, v1
	v_cvt_u32_f32_e32 v1, v1
	s_lshr_b32 s4, s4, 26
	s_add_i32 s4, s54, s4
	s_ashr_i32 s53, s4, 6
	v_readfirstlane_b32 s6, v1
	s_mul_i32 s5, s5, s6
	s_mul_hi_u32 s5, s6, s5
	s_add_i32 s6, s6, s5
	s_mul_hi_u32 s5, s10, s6
	s_mul_i32 s6, s5, s3
	s_ashr_i32 s4, s18, 31
	s_sub_i32 s6, s10, s6
	s_xor_b32 s4, s11, s4
	s_add_i32 s7, s5, 1
	s_sub_i32 s8, s6, s3
	s_cmp_ge_u32 s6, s3
	s_cselect_b32 s5, s7, s5
	s_cselect_b32 s6, s8, s6
	s_add_i32 s7, s5, 1
	s_cmp_ge_u32 s6, s3
	s_cselect_b32 s3, s7, s5
	s_xor_b32 s3, s3, s4
	s_sub_i32 s3, s3, s4
	s_abs_i32 s4, s3
	v_cvt_f32_u32_e32 v1, s4
	s_sub_i32 s6, 0, s4
	s_abs_i32 s5, s33
	s_xor_b32 s3, s33, s3
	v_rcp_iflag_f32_e32 v2, v1
	s_ashr_i32 s3, s3, 31
	v_lshrrev_b32_e32 v1, 6, v0
	v_or_b32_e32 v60, s2, v69
	v_mul_f32_e32 v2, 0x4f7ffffe, v2
	v_cvt_u32_f32_e32 v2, v2
	v_lshlrev_b32_e32 v53, 4, v1
	v_lshlrev_b32_e32 v56, 7, v60
	v_lshl_or_b32 v72, v68, 2, v53
	v_readfirstlane_b32 s7, v2
	s_mul_i32 s6, s6, s7
	s_mul_hi_u32 s6, s7, s6
	s_add_i32 s7, s7, s6
	s_mul_hi_u32 s6, s5, s7
	s_mul_i32 s7, s6, s4
	s_sub_i32 s5, s5, s7
	s_add_i32 s7, s6, 1
	s_sub_i32 s8, s5, s4
	s_cmp_ge_u32 s5, s4
	s_cselect_b32 s6, s7, s6
	s_cselect_b32 s5, s8, s5
	s_add_i32 s7, s6, 1
	s_cmp_ge_u32 s5, s4
	s_cselect_b32 s4, s7, s6
	s_xor_b32 s4, s4, s3
	s_sub_i32 s55, s4, s3
	s_ashr_i32 s46, s33, 31
	s_mul_hi_i32 s3, s28, s17
	s_add_u32 s4, s36, s33
	s_addc_u32 s5, s3, s46
	s_lshl_b64 s[14:15], s[4:5], 15
	s_add_u32 s4, s22, s14
	s_addc_u32 s5, s23, s15
	v_ashrrev_i32_e32 v57, 31, v56
	v_lshl_add_u64 v[2:3], v[56:57], 1, s[4:5]
	v_lshlrev_b32_e32 v54, 1, v72
	v_or_b32_e32 v58, 0x800, v56
	v_lshl_add_u64 v[2:3], v[2:3], 0, v[54:55]
	v_ashrrev_i32_e32 v59, 31, v58
	global_load_dwordx2 v[6:7], v[2:3], off
	global_load_dwordx2 v[10:11], v[2:3], off offset:128
	v_lshl_add_u64 v[2:3], v[58:59], 1, s[4:5]
	v_lshl_add_u64 v[2:3], v[2:3], 0, v[54:55]
	global_load_dwordx2 v[12:13], v[2:3], off
	global_load_dwordx2 v[14:15], v[2:3], off offset:128
	s_load_dwordx8 s[4:11], s[0:1], 0x0
	s_load_dwordx2 s[22:23], s[0:1], 0x80
	s_load_dword s58, s[30:31], 0x0
	v_and_b32_e32 v55, 63, v0
	v_lshrrev_b32_e32 v71, 3, v55
	v_or_b32_e32 v73, 64, v72
	s_mul_i32 s47, s28, s25
	s_mul_hi_u32 s48, s28, s24
	s_mul_i32 s36, s28, s24
	s_mul_i32 s49, s29, s24
	s_mul_hi_i32 s56, s33, s16
	s_mul_i32 s57, s33, s16
	s_mul_i32 s50, s33, s27
	s_mul_hi_u32 s51, s33, s26
	s_mul_i32 s52, s46, s26
	s_cmp_lt_i32 s54, 64
	s_mul_i32 s38, s33, s26
	s_waitcnt vmcnt(3)
	v_and_b32_e32 v3, 0xffff0000, v6
	v_lshlrev_b32_e32 v2, 16, v6
	v_and_b32_e32 v5, 0xffff0000, v7
	v_lshlrev_b32_e32 v4, 16, v7
	s_waitcnt vmcnt(2)
	v_and_b32_e32 v7, 0xffff0000, v10
	v_lshlrev_b32_e32 v6, 16, v10
	v_and_b32_e32 v9, 0xffff0000, v11
	v_lshlrev_b32_e32 v8, 16, v11
	;; [unrolled: 5-line block ×4, first 2 shown]
	s_cbranch_scc1 .LBB258_3
; %bb.1:
	s_ashr_i32 s1, s34, 31
	s_add_u32 s0, s57, s34
	s_addc_u32 s1, s56, s1
	s_lshl_b64 s[0:1], s[0:1], 8
	v_and_b32_e32 v81, 56, v70
	s_waitcnt lgkmcnt(0)
	s_add_u32 s24, s6, s0
	v_lshl_or_b32 v80, v1, 3, v71
	v_lshlrev_b32_e32 v10, 1, v81
	s_addc_u32 s0, s7, s1
	v_lshl_or_b32 v83, v80, 8, v10
	s_and_b32 s25, s0, 0xffff
	s_mov_b32 s27, 0x20000
	s_movk_i32 s26, 0x4000
	s_movk_i32 s0, 0x80
	v_or_b32_e32 v84, 0x2000, v83
	buffer_load_dwordx4 v[12:15], v83, s[24:27], 0 offen
	buffer_load_dwordx4 v[16:19], v83, s[24:27], s0 offen
	;; [unrolled: 1-line block ×4, first 2 shown]
	v_lshlrev_b32_e32 v11, 3, v80
	v_and_or_b32 v29, v0, 7, v11
	v_and_b32_e32 v11, 0x78, v11
	v_lshlrev_b32_e32 v29, 4, v29
	v_xor_b32_e32 v86, v29, v11
	v_mul_lo_u32 v28, v80, s19
	v_or_b32_e32 v87, 0x1000, v86
	v_xor_b32_e32 v11, 8, v86
	s_cmpk_eq_i32 s19, 0x80
	s_mov_b32 s59, s34
	v_xor_b32_e32 v29, 8, v87
	s_cselect_b64 s[0:1], -1, 0
	s_cmpk_lg_i32 s19, 0x80
	s_waitcnt vmcnt(3)
	ds_write_b64 v86, v[12:13] offset:24576
	ds_write_b64 v11, v[14:15] offset:24576
	s_waitcnt vmcnt(2)
	ds_write_b64 v86, v[16:17] offset:32768
	ds_write_b64 v11, v[18:19] offset:32768
	;; [unrolled: 3-line block ×4, first 2 shown]
	v_lshl_add_u32 v11, v28, 1, v81
	s_cbranch_scc0 .LBB258_4
; %bb.2:
	v_lshlrev_b32_e32 v13, 1, v11
	v_add_lshl_u32 v12, v11, s19, 1
	s_lshl_b32 s26, s19, 7
	v_lshl_or_b32 v10, v80, 9, v10
	s_cbranch_execz .LBB258_5
	s_branch .LBB258_6
.LBB258_3:
	v_mov_b32_e32 v17, v82
	v_mov_b32_e32 v16, v79
	;; [unrolled: 1-line block ×5, first 2 shown]
	s_branch .LBB258_20
.LBB258_4:
                                        ; implicit-def: $vgpr12
                                        ; implicit-def: $vgpr13
                                        ; implicit-def: $sgpr26
	v_lshl_or_b32 v10, v80, 9, v10
.LBB258_5:
	v_or_b32_e32 v12, 0x100, v10
	s_movk_i32 s26, 0x4000
	v_mov_b32_e32 v13, v10
.LBB258_6:
	s_mul_i32 s24, s34, s18
	s_ashr_i32 s60, s55, 31
	s_mul_hi_i32 s3, s34, s18
	s_add_u32 s24, s24, s55
	s_addc_u32 s25, s3, s60
	s_lshl_b64 s[24:25], s[24:25], 8
	s_add_u32 s24, s4, s24
	s_addc_u32 s3, s5, s25
	s_and_b32 s25, s3, 0xffff
	s_movk_i32 s61, 0x80
	buffer_load_dwordx4 v[14:17], v13, s[24:27], 0 offen
	buffer_load_dwordx4 v[18:21], v13, s[24:27], s61 offen
	;; [unrolled: 1-line block ×4, first 2 shown]
	v_and_b32_e32 v12, 6, v0
	v_lshlrev_b32_e32 v31, 6, v72
	v_or_b32_e32 v33, 16, v69
	v_xor_b32_e32 v34, v80, v12
	v_and_b32_e32 v13, 1, v0
	v_lshl_or_b32 v37, v69, 3, v31
	v_lshl_or_b32 v31, v33, 3, v31
	v_lshlrev_b32_e32 v34, 2, v34
	v_lshlrev_b32_e32 v30, 2, v69
	v_or_b32_e32 v90, 0xa000, v31
	v_or_b32_e32 v91, 0xb000, v31
	v_xor_b32_e32 v31, 0x440, v34
	v_cmp_eq_u32_e32 vcc, 0, v13
	s_add_i32 s3, s48, s47
	v_xor_b32_e32 v35, v72, v30
	v_xor_b32_e32 v36, v73, v30
	v_cndmask_b32_e32 v13, v31, v34, vcc
	s_add_i32 s24, s51, s50
	s_add_i32 s37, s3, s49
	s_mov_b32 s62, 0x1000504
	v_lshlrev_b32_e32 v32, 8, v69
	v_lshlrev_b32_e32 v33, 8, v33
	;; [unrolled: 1-line block ×4, first 2 shown]
	v_lshl_or_b32 v12, v12, 10, v13
	s_add_i32 s39, s24, s52
	s_lshl_b64 s[24:25], s[36:37], 2
	s_mov_b32 s63, 0x3020706
	v_or_b32_e32 v88, 0xa000, v37
	v_or_b32_e32 v89, 0xb000, v37
	;; [unrolled: 1-line block ×5, first 2 shown]
	v_xor_b32_e32 v13, 8, v12
	v_xor_b32_e32 v32, 24, v12
	;; [unrolled: 1-line block ×4, first 2 shown]
	s_add_u32 s3, s10, s24
	v_or_b32_e32 v94, v33, v35
	v_xor_b32_e32 v31, 16, v12
	v_xor_b32_e32 v33, 32, v12
	;; [unrolled: 1-line block ×3, first 2 shown]
	v_add_u32_e32 v13, 0x80, v13
	v_add_u32_e32 v32, 0x80, v32
	;; [unrolled: 1-line block ×4, first 2 shown]
	s_addc_u32 s26, s11, s25
	s_lshl_b64 s[24:25], s[38:39], 2
	s_add_u32 s42, s3, s24
	s_movk_i32 s3, 0xf8
	s_addc_u32 s43, s26, s25
	s_lshl_b32 s30, s19, 7
	s_movk_i32 s28, 0x100
	v_mov_b32_e32 v63, 0
	v_lshlrev_b32_e32 v62, 4, v69
	v_cmp_gt_u32_e32 vcc, s28, v0
	v_ashrrev_i32_e32 v61, 31, v60
	s_mov_b32 s64, 0
	s_movk_i32 s37, 0x1000
	s_movk_i32 s26, 0x4000
	v_lshl_add_u64 v[64:65], v[60:61], 1, s[8:9]
	s_waitcnt vmcnt(1)
	v_perm_b32 v37, v14, v22, s62
	s_waitcnt vmcnt(0)
	v_perm_b32 v38, v18, v26, s62
	v_perm_b32 v14, v14, v22, s63
	;; [unrolled: 1-line block ×15, first 2 shown]
	ds_write2st64_b32 v12, v37, v38 offset0:32 offset1:64
	ds_write2st64_b32 v13, v14, v18 offset0:32 offset1:64
	;; [unrolled: 1-line block ×8, first 2 shown]
	v_or_b32_e32 v12, v53, v69
	v_lshlrev_b32_e32 v12, 3, v12
	v_lshrrev_b32_e32 v15, 5, v55
	v_and_or_b32 v15, v12, s3, v15
	v_lshlrev_b32_e32 v15, 4, v15
	v_lshlrev_b32_e32 v17, 11, v1
	v_and_b32_e32 v12, 0x78, v12
	v_or_b32_e32 v20, 32, v15
	v_and_b32_e32 v14, 0x1000, v17
	v_lshrrev_b32_e32 v18, 1, v55
	v_xor_b32_e32 v20, v20, v12
	v_xor_b32_e32 v16, v15, v12
	v_and_b32_e32 v18, 8, v18
	v_or_b32_e32 v20, v20, v14
	v_or_b32_e32 v16, v16, v14
	v_lshlrev_b32_e32 v19, 7, v68
	v_xor_b32_e32 v98, v20, v18
	v_or_b32_e32 v20, 64, v15
	v_or_b32_e32 v15, 0x60, v15
	s_ashr_i32 s3, s2, 31
	v_xor_b32_e32 v96, v16, v18
	v_or_b32_e32 v16, v19, v30
	v_xor_b32_e32 v20, v20, v12
	v_xor_b32_e32 v12, v15, v12
	s_lshl_b64 s[24:25], s[2:3], 8
	v_lshlrev_b32_e32 v16, 1, v16
	v_or_b32_e32 v20, v20, v14
	v_or_b32_e32 v12, v12, v14
	s_add_u32 s24, s40, s24
	v_lshlrev_b32_e32 v14, 1, v69
	v_or_b32_e32 v97, 0xa000, v16
	v_or_b32_e32 v99, 0xa080, v16
	;; [unrolled: 1-line block ×4, first 2 shown]
	v_lshrrev_b32_e32 v16, 4, v0
	s_addc_u32 s25, s41, s25
	v_or_b32_e32 v15, 1, v14
	v_mov_b32_e32 v25, 0x4000
	v_mov_b32_e32 v26, 0x2000
	v_lshrrev_b32_e32 v27, 1, v0
	v_xor_b32_e32 v100, v20, v18
	v_xor_b32_e32 v101, v12, v18
	;; [unrolled: 1-line block ×4, first 2 shown]
	v_lshl_add_u64 v[14:15], s[24:25], 0, v[62:63]
	v_lshlrev_b32_e32 v62, 8, v16
	v_cndmask_b32_e32 v25, v25, v26, vcc
	v_lshlrev_b32_e32 v26, 3, v1
	v_and_b32_e32 v27, 24, v27
	v_lshl_or_b32 v104, v18, 3, v62
	v_and_b32_e32 v18, 8, v0
	v_xor_b32_e32 v28, v26, v27
	v_or_b32_e32 v29, 0x440, v28
	v_cmp_eq_u32_e32 vcc, 0, v18
	v_and_b32_e32 v16, 7, v0
	v_lshl_or_b32 v105, v22, 3, v62
	v_cndmask_b32_e32 v18, v29, v28, vcc
	v_lshlrev_b32_e32 v22, 3, v16
	v_lshlrev_b32_e32 v24, 2, v0
	v_or_b32_e32 v18, v18, v17
	v_xor_b32_e32 v28, v18, v22
	v_and_or_b32 v18, v24, 60, v19
	v_mov_b32_e32 v19, 0xb000
	v_lshl_or_b32 v106, v18, 1, v19
	v_or_b32_e32 v18, 32, v27
	v_xor_b32_e32 v18, v26, v18
	v_or_b32_e32 v19, 0x440, v18
	v_cndmask_b32_e32 v18, v19, v18, vcc
	v_or_b32_e32 v18, v18, v17
	v_xor_b32_e32 v19, v18, v22
	v_or_b32_e32 v18, 64, v27
	v_xor_b32_e32 v18, v26, v18
	v_xor_b32_e32 v30, 0x440, v18
	v_cndmask_b32_e32 v18, v30, v18, vcc
	v_or_b32_e32 v18, v18, v17
	v_xor_b32_e32 v30, v18, v22
	v_or_b32_e32 v18, 0x60, v27
	v_xor_b32_e32 v18, v26, v18
	v_xor_b32_e32 v26, 0x440, v18
	v_cndmask_b32_e32 v18, v26, v18, vcc
	v_lshrrev_b32_e32 v13, 2, v55
	v_or_b32_e32 v17, v18, v17
	v_and_b32_e32 v13, 12, v13
	v_xor_b32_e32 v17, v17, v22
	v_lshlrev_b32_e32 v12, 7, v72
	v_lshlrev_b32_e32 v20, 1, v11
	v_add_lshl_u32 v11, v11, s19, 1
	v_or_b32_e32 v21, 0x100, v10
	v_lshlrev_b32_e32 v23, 7, v16
	v_or_b32_e32 v16, v13, v53
	v_add_u32_e32 v29, v25, v28
	v_add_u32_e32 v24, v25, v19
	v_add_u32_e32 v31, v25, v30
	v_add_u32_e32 v22, v25, v17
	v_or3_b32 v18, v53, v13, 64
	v_add_u32_e32 v13, 0x4000, v28
	v_add_u32_e32 v19, 0x4000, v19
	;; [unrolled: 1-line block ×4, first 2 shown]
	v_cndmask_b32_e64 v107, v20, v10, s[0:1]
	v_cndmask_b32_e64 v108, v11, v21, s[0:1]
	v_lshl_add_u64 v[66:67], v[14:15], 0, v[62:63]
	s_mov_b32 s3, 0x7060302
	v_lshlrev_b32_e32 v62, 1, v12
	v_lshlrev_b32_e32 v61, 2, v16
	v_add_u32_e32 v109, v29, v23
	v_add_u32_e32 v110, v24, v23
	;; [unrolled: 1-line block ×4, first 2 shown]
	v_lshlrev_b32_e32 v113, 2, v18
	v_add_u32_e32 v114, v13, v23
	v_add_u32_e32 v115, v19, v23
	;; [unrolled: 1-line block ×4, first 2 shown]
	s_waitcnt lgkmcnt(0)
	s_barrier
.LBB258_7:                              ; =>This Inner Loop Header: Depth=1
	s_add_i32 s39, s64, 1
	s_cmp_lt_i32 s39, s53
	s_mov_b64 s[28:29], 0
	s_cselect_b64 s[44:45], -1, 0
	s_cmp_ge_i32 s39, s53
	s_mov_b64 s[24:25], 0
	s_cbranch_scc1 .LBB258_9
; %bb.8:                                ;   in Loop: Header=BB258_7 Depth=1
	s_add_i32 s0, s59, 64
	s_ashr_i32 s1, s0, 31
	s_add_u32 s0, s57, s0
	s_addc_u32 s1, s56, s1
	s_lshl_b64 s[0:1], s[0:1], 8
	s_add_u32 s24, s6, s0
	s_addc_u32 s25, s7, s1
.LBB258_9:                              ;   in Loop: Header=BB258_7 Depth=1
	v_cndmask_b32_e64 v10, 0, 1, s[44:45]
	v_cmp_ne_u32_e64 s[0:1], 1, v10
	s_andn2_b64 vcc, exec, s[44:45]
	s_cbranch_vccnz .LBB258_11
; %bb.10:                               ;   in Loop: Header=BB258_7 Depth=1
	s_add_i32 s28, s59, 64
	s_mul_hi_i32 s29, s28, s18
	s_mul_i32 s28, s28, s18
	s_add_u32 s28, s28, s55
	s_addc_u32 s29, s29, s60
	s_lshl_b64 s[28:29], s[28:29], 8
	s_add_u32 s28, s4, s28
	s_addc_u32 s29, s5, s29
.LBB258_11:                             ;   in Loop: Header=BB258_7 Depth=1
	v_perm_b32 v11, v5, v4, s3
	v_perm_b32 v10, v3, v2, s3
	;; [unrolled: 1-line block ×4, first 2 shown]
	ds_write_b64 v88, v[10:11]
	ds_write_b64 v89, v[12:13]
	ds_write_b64 v92, v[10:11]
	ds_write_b64 v93, v[12:13]
	v_perm_b32 v11, v85, v76, s3
	v_perm_b32 v10, v75, v74, s3
	;; [unrolled: 1-line block ×4, first 2 shown]
	ds_write_b64 v90, v[10:11]
	ds_write_b64 v91, v[12:13]
	;; [unrolled: 1-line block ×4, first 2 shown]
	s_waitcnt lgkmcnt(0)
	s_barrier
	ds_read_b64 v[14:15], v96 offset:24576
	ds_read2_b64 v[10:13], v97 offset1:16
	ds_read_b64 v[18:19], v99 offset:3072
	ds_read_b64 v[20:21], v97 offset:3072
	;; [unrolled: 1-line block ×3, first 2 shown]
	s_waitcnt lgkmcnt(3)
	v_mfma_f32_16x16x16_bf16 a[0:3], v[14:15], v[10:11], 0
	s_add_i32 s65, s59, 63
	s_ashr_i32 s31, s65, 31
	s_mul_i32 s44, s65, s23
	v_mfma_f32_16x16x16_bf16 a[4:7], v[14:15], v[12:13], 0
	ds_read2st64_b64 v[10:13], v97 offset0:2 offset1:4
	s_mul_hi_u32 s45, s65, s22
	s_add_i32 s44, s45, s44
	s_waitcnt lgkmcnt(0)
	v_mfma_f32_16x16x16_bf16 a[0:3], v[22:23], v[10:11], a[0:3]
	ds_read2st64_b64 v[14:17], v99 offset0:2 offset1:4
	ds_read_b64 v[10:11], v100 offset:24576
	s_mul_i32 s31, s31, s22
	s_add_i32 s45, s44, s31
	s_waitcnt lgkmcnt(1)
	v_mfma_f32_16x16x16_bf16 a[4:7], v[22:23], v[14:15], a[4:7]
	ds_read_b64 v[14:15], v101 offset:24576
	s_mul_i32 s44, s65, s22
	s_lshl_b64 s[44:45], s[44:45], 2
	s_waitcnt lgkmcnt(1)
	v_mfma_f32_16x16x16_bf16 a[0:3], v[10:11], v[12:13], a[0:3]
	s_add_u32 s44, s42, s44
	s_addc_u32 s45, s43, s45
	s_and_b64 vcc, exec, s[0:1]
	v_mfma_f32_16x16x16_bf16 a[4:7], v[10:11], v[16:17], a[4:7]
	v_mov_b32_e32 v120, 0
	v_mov_b32_e32 v119, 0
	;; [unrolled: 1-line block ×3, first 2 shown]
	s_waitcnt lgkmcnt(0)
	v_mfma_f32_16x16x16_bf16 a[0:3], v[14:15], v[20:21], a[0:3]
	v_mov_b32_e32 v10, 0
	v_mov_b32_e32 v11, 0
	v_mov_b32_e32 v12, 0
	v_mfma_f32_16x16x16_bf16 a[4:7], v[14:15], v[18:19], a[4:7]
	v_mov_b32_e32 v13, 0
	v_mov_b32_e32 v14, 0
	;; [unrolled: 1-line block ×13, first 2 shown]
	s_cbranch_vccnz .LBB258_13
; %bb.12:                               ;   in Loop: Header=BB258_7 Depth=1
	s_and_b32 s25, s25, 0xffff
	buffer_load_dwordx4 v[22:25], v83, s[24:27], 0 offen
	buffer_load_dwordx4 v[18:21], v83, s[24:27], s61 offen
	;; [unrolled: 1-line block ×4, first 2 shown]
	v_mov_b32_e32 v119, v86
	v_mov_b32_e32 v118, v87
.LBB258_13:                             ;   in Loop: Header=BB258_7 Depth=1
	ds_read_b64 v[30:31], v96 offset:32768
	ds_read2_b64 v[26:29], v102 offset1:16
	ds_read_b64 v[34:35], v98 offset:32768
	ds_read_b64 v[36:37], v100 offset:32768
	ds_read_b64 v[38:39], v101 offset:32768
	v_add_u32_e32 v42, s59, v72
	s_waitcnt lgkmcnt(3)
	v_mfma_f32_16x16x16_bf16 a[0:3], v[30:31], v[26:27], a[0:3]
	v_mov_b32_e32 v121, 0
	v_mfma_f32_16x16x16_bf16 a[4:7], v[30:31], v[28:29], a[4:7]
	ds_read2st64_b64 v[26:29], v102 offset0:2 offset1:4
	ds_read2st64_b64 v[30:33], v103 offset0:2 offset1:4
	s_waitcnt lgkmcnt(1)
	v_mfma_f32_16x16x16_bf16 a[0:3], v[34:35], v[26:27], a[0:3]
	ds_read_b64 v[26:27], v102 offset:3072
	ds_read_b64 v[40:41], v103 offset:3072
	s_waitcnt lgkmcnt(2)
	v_mfma_f32_16x16x16_bf16 a[4:7], v[34:35], v[30:31], a[4:7]
	v_ashrrev_i32_e32 v30, 31, v42
	v_mul_lo_u32 v31, v42, s23
	v_mul_lo_u32 v30, v30, s22
	v_mfma_f32_16x16x16_bf16 a[0:3], v[36:37], v[28:29], a[0:3]
	v_mad_u64_u32 v[28:29], s[24:25], v42, s22, 0
	v_add3_u32 v29, v29, v31, v30
	v_add_u32_e32 v30, 1, v42
	v_ashrrev_i32_e32 v31, 31, v30
	v_mfma_f32_16x16x16_bf16 a[4:7], v[36:37], v[32:33], a[4:7]
	v_mul_lo_u32 v31, v31, s22
	v_mul_lo_u32 v32, v30, s23
	v_lshl_add_u64 v[28:29], v[28:29], 2, s[42:43]
	s_waitcnt lgkmcnt(1)
	v_mfma_f32_16x16x16_bf16 a[0:3], v[38:39], v[26:27], a[0:3]
	v_mad_u64_u32 v[26:27], s[24:25], v30, s22, 0
	v_add_u32_e32 v30, 2, v42
	v_add3_u32 v27, v27, v32, v31
	v_ashrrev_i32_e32 v31, 31, v30
	v_mul_lo_u32 v32, v31, s22
	v_mul_lo_u32 v33, v30, s23
	v_mad_u64_u32 v[30:31], s[24:25], v30, s22, 0
	v_add3_u32 v31, v31, v33, v32
	v_add_u32_e32 v32, 3, v42
	v_ashrrev_i32_e32 v33, 31, v32
	v_mul_lo_u32 v34, v33, s22
	v_mul_lo_u32 v35, v32, s23
	v_mad_u64_u32 v[32:33], s[24:25], v32, s22, 0
	v_add3_u32 v33, v33, v35, v34
	v_lshl_add_u64 v[32:33], v[32:33], 2, s[42:43]
	s_ashr_i32 s25, s59, 31
	v_lshl_add_u64 v[26:27], v[26:27], 2, s[42:43]
	v_lshl_add_u64 v[30:31], v[30:31], 2, s[42:43]
	global_load_dword v34, v[28:29], off
	global_load_dword v35, v[26:27], off
	;; [unrolled: 1-line block ×3, first 2 shown]
	s_nop 0
	global_load_dword v33, v[32:33], off
	s_add_u32 s24, s57, s59
	s_addc_u32 s25, s56, s25
	s_lshl_b64 s[24:25], s[24:25], 8
	v_lshl_add_u64 v[26:27], v[64:65], 0, s[24:25]
	v_lshl_add_u64 v[26:27], v[26:27], 0, v[62:63]
	global_load_ushort v37, v[26:27], off
	global_load_ushort v42, v[26:27], off offset:256
	global_load_ushort v43, v[26:27], off offset:800
	;; [unrolled: 1-line block ×7, first 2 shown]
	s_load_dword s24, s[44:45], 0x0
	s_waitcnt lgkmcnt(0)
	v_mfma_f32_16x16x16_bf16 a[4:7], v[38:39], v[40:41], a[4:7]
	v_accvgpr_read_b32 v31, a1
	v_accvgpr_read_b32 v27, a3
	;; [unrolled: 1-line block ×4, first 2 shown]
	s_and_b64 vcc, exec, s[0:1]
	s_waitcnt vmcnt(11)
	v_sub_f32_e32 v32, s24, v34
	s_waitcnt vmcnt(10)
	v_sub_f32_e32 v40, s24, v35
	;; [unrolled: 2-line block ×4, first 2 shown]
	v_exp_f32_e32 v32, v32
	v_exp_f32_e32 v33, v40
	;; [unrolled: 1-line block ×4, first 2 shown]
	s_waitcnt vmcnt(6)
	v_lshlrev_b32_e32 v35, 16, v42
	v_lshlrev_b32_e32 v34, 16, v37
	s_waitcnt vmcnt(4)
	v_lshlrev_b32_e32 v37, 16, v44
	s_waitcnt vmcnt(2)
	v_lshlrev_b32_e32 v36, 16, v46
	v_pk_add_f32 v[30:31], v[34:35], v[30:31] neg_lo:[0,1] neg_hi:[0,1]
	v_pk_add_f32 v[26:27], v[36:37], v[26:27] neg_lo:[0,1] neg_hi:[0,1]
	v_pk_mul_f32 v[30:31], v[32:33], v[30:31]
	v_pk_mul_f32 v[26:27], v[40:41], v[26:27]
	s_waitcnt vmcnt(1)
	v_lshlrev_b32_e32 v39, 16, v47
	v_perm_b32 v27, v27, v26, s3
	v_perm_b32 v26, v31, v30, s3
	v_accvgpr_read_b32 v31, a5
	s_waitcnt vmcnt(0)
	v_lshlrev_b32_e32 v38, 16, v48
	v_accvgpr_read_b32 v30, a4
	v_pk_add_f32 v[30:31], v[38:39], v[30:31] neg_lo:[0,1] neg_hi:[0,1]
	v_accvgpr_read_b32 v29, a7
	v_accvgpr_read_b32 v28, a6
	v_pk_mul_f32 v[30:31], v[32:33], v[30:31]
	v_lshlrev_b32_e32 v33, 16, v43
	v_lshlrev_b32_e32 v32, 16, v45
	v_pk_add_f32 v[28:29], v[32:33], v[28:29] neg_lo:[0,1] neg_hi:[0,1]
	v_mov_b32_e32 v32, 0
	v_pk_mul_f32 v[28:29], v[40:41], v[28:29]
	v_mov_b32_e32 v33, 0
	v_perm_b32 v29, v29, v28, s3
	v_perm_b32 v28, v31, v30, s3
	ds_write2_b64 v89, v[26:27], v[28:29] offset1:16
	v_mov_b32_e32 v26, 0
	v_mov_b32_e32 v27, 0
	;; [unrolled: 1-line block ×14, first 2 shown]
	s_cbranch_vccnz .LBB258_15
; %bb.14:                               ;   in Loop: Header=BB258_7 Depth=1
	s_and_b32 s29, s29, 0xffff
	s_mov_b32 s31, s27
	buffer_load_dwordx4 v[38:41], v107, s[28:31], 0 offen
	buffer_load_dwordx4 v[30:33], v107, s[28:31], s61 offen
	buffer_load_dwordx4 v[34:37], v108, s[28:31], 0 offen
	buffer_load_dwordx4 v[26:29], v108, s[28:31], s61 offen
	v_mov_b32_e32 v120, v81
	v_mov_b32_e32 v121, v80
.LBB258_15:                             ;   in Loop: Header=BB258_7 Depth=1
	s_waitcnt lgkmcnt(0)
	s_barrier
	ds_read_b64 v[46:47], v109
	ds_read_b64 v[126:127], v106
	;; [unrolled: 1-line block ×5, first 2 shown]
	ds_read_b64 v[140:141], v103 offset:3072
	ds_read2_b64 v[42:45], v102 offset0:16 offset1:128
	s_waitcnt lgkmcnt(5)
	v_mfma_f32_16x16x16_bf16 a[0:3], v[46:47], v[126:127], 0
	s_add_i32 s25, s58, s64
	s_mul_hi_i32 s29, s25, s17
	s_mul_i32 s25, s25, s17
	s_waitcnt lgkmcnt(0)
	v_mfma_f32_16x16x16_bf16 a[4:7], v[46:47], v[42:43], 0
	ds_read_b64 v[46:47], v114
	ds_read2st64_b64 v[48:51], v103 offset0:2 offset1:4
	s_add_u32 s28, s25, s33
	s_addc_u32 s29, s29, s46
	s_lshl_b64 s[28:29], s[28:29], 15
	s_mul_i32 s31, s65, s17
	s_mul_hi_i32 s25, s65, s17
	s_add_u32 s44, s31, s33
	s_waitcnt lgkmcnt(1)
	v_mfma_f32_16x16x16_bf16 a[8:11], v[46:47], v[126:127], 0
	s_addc_u32 s45, s25, s46
	ds_read2st64_b64 v[122:125], v102 offset0:4 offset1:6
	s_lshl_b64 s[44:45], s[44:45], 9
	v_mfma_f32_16x16x16_bf16 a[0:3], v[128:129], v[44:45], a[0:3]
	s_add_u32 s44, s20, s44
	s_addc_u32 s45, s21, s45
	s_waitcnt lgkmcnt(1)
	v_mfma_f32_16x16x16_bf16 a[4:7], v[128:129], v[48:49], a[4:7]
	ds_read_b64 v[128:129], v115
	ds_read_b64 v[136:137], v116
	;; [unrolled: 1-line block ×3, first 2 shown]
	v_mfma_f32_16x16x16_bf16 a[12:15], v[46:47], v[42:43], 0
	s_waitcnt lgkmcnt(2)
	v_mfma_f32_16x16x16_bf16 a[8:11], v[128:129], v[44:45], a[8:11]
	global_load_dwordx4 v[42:45], v113, s[44:45]
	v_mfma_f32_16x16x16_bf16 a[12:15], v[128:129], v[48:49], a[12:15]
	global_load_dwordx4 v[46:49], v61, s[44:45]
	ds_read2st64_b64 v[126:129], v104 offset1:8
	s_waitcnt lgkmcnt(0)
	v_mov_b32_e32 v134, v126
	v_mfma_f32_16x16x16_bf16 a[0:3], v[130:131], v[122:123], a[0:3]
	v_mov_b32_e32 v135, v127
	v_mfma_f32_16x16x16_bf16 a[4:7], v[130:131], v[50:51], a[4:7]
	ds_read2st64_b64 v[130:133], v105 offset1:8
	v_mfma_f32_16x16x16_bf16 a[8:11], v[136:137], v[122:123], a[8:11]
	v_lshl_add_u64 v[122:123], v[66:67], 0, s[28:29]
	v_mfma_f32_16x16x16_bf16 a[16:19], v[136:137], v[50:51], a[12:15]
	v_add_co_u32_e32 v50, vcc, s37, v122
	s_waitcnt lgkmcnt(0)
	v_mov_b32_e32 v136, v130
	v_mfma_f32_16x16x16_bf16 a[0:3], v[138:139], v[124:125], a[0:3]
	v_mov_b32_e32 v137, v131
	v_mov_b32_e32 v130, v128
	;; [unrolled: 1-line block ×3, first 2 shown]
	v_mfma_f32_16x16x16_bf16 a[4:7], v[138:139], v[140:141], a[4:7]
	v_addc_co_u32_e32 v51, vcc, 0, v123, vcc
	global_store_dwordx4 v[50:51], v[130:133], off
	v_mfma_f32_16x16x16_bf16 a[12:15], v[142:143], v[124:125], a[8:11]
	s_and_b64 vcc, exec, s[0:1]
	global_store_dwordx4 v[122:123], v[134:137], off
	s_waitcnt vmcnt(3)
	v_mov_b32_e32 v52, v45
	v_mfma_f32_16x16x16_bf16 a[8:11], v[142:143], v[140:141], a[16:19]
	v_mov_b32_e32 v51, v44
	v_mov_b32_e32 v50, v43
	s_cbranch_vccnz .LBB258_17
; %bb.16:                               ;   in Loop: Header=BB258_7 Depth=1
	v_lshrrev_b32_e32 v43, 3, v120
	v_and_b32_e32 v43, 6, v43
	v_xor_b32_e32 v44, v43, v121
	v_lshlrev_b32_e32 v44, 2, v44
	v_and_b32_e32 v45, 8, v120
	v_xor_b32_e32 v120, 0x440, v44
	v_cmp_eq_u32_e32 vcc, 0, v45
	v_perm_b32 v45, v30, v26, s62
	s_nop 0
	v_cndmask_b32_e32 v44, v120, v44, vcc
	v_lshl_or_b32 v43, v43, 10, v44
	v_perm_b32 v44, v38, v34, s62
	s_barrier
	ds_write2st64_b32 v43, v44, v45 offset0:32 offset1:64
	v_xor_b32_e32 v44, 8, v43
	v_perm_b32 v34, v38, v34, s63
	v_perm_b32 v26, v30, v26, s63
	v_add_u32_e32 v30, 0x80, v44
	ds_write2st64_b32 v30, v34, v26 offset0:32 offset1:64
	v_xor_b32_e32 v26, 16, v43
	v_perm_b32 v30, v39, v35, s62
	v_perm_b32 v34, v31, v27, s62
	ds_write2st64_b32 v26, v30, v34 offset0:33 offset1:65
	v_xor_b32_e32 v26, 24, v43
	v_perm_b32 v30, v39, v35, s63
	v_perm_b32 v27, v31, v27, s63
	v_add_u32_e32 v26, 0x80, v26
	ds_write2st64_b32 v26, v30, v27 offset0:33 offset1:65
	v_xor_b32_e32 v26, 32, v43
	v_perm_b32 v27, v40, v36, s62
	v_perm_b32 v30, v32, v28, s62
	;; [unrolled: 9-line block ×3, first 2 shown]
	ds_write2st64_b32 v26, v27, v28 offset0:35 offset1:67
	v_xor_b32_e32 v26, 56, v43
	v_perm_b32 v27, v41, v37, s63
	v_perm_b32 v28, v33, v29, s63
	v_add_u32_e32 v26, 0x80, v26
	ds_write2st64_b32 v26, v27, v28 offset0:35 offset1:67
	ds_write_b64 v119, v[22:23] offset:24576
	v_xor_b32_e32 v22, 8, v119
	ds_write_b64 v22, v[24:25] offset:24576
	ds_write_b64 v119, v[18:19] offset:32768
	;; [unrolled: 1-line block ×4, first 2 shown]
	v_xor_b32_e32 v14, 8, v118
	ds_write_b64 v14, v[16:17] offset:24576
	ds_write_b64 v118, v[10:11] offset:32768
	;; [unrolled: 1-line block ×3, first 2 shown]
.LBB258_17:                             ;   in Loop: Header=BB258_7 Depth=1
	v_exp_f32_e32 v26, s24
	s_waitcnt vmcnt(2)
	v_exp_f32_e32 v28, v46
	v_exp_f32_e32 v29, v47
	;; [unrolled: 1-line block ×4, first 2 shown]
	v_accvgpr_read_b32 v21, a3
	v_accvgpr_read_b32 v19, a1
	;; [unrolled: 1-line block ×4, first 2 shown]
	v_pk_mul_f32 v[28:29], v[26:27], v[28:29] op_sel_hi:[0,1]
	v_accvgpr_read_b32 v20, a2
	v_accvgpr_read_b32 v11, a5
	;; [unrolled: 1-line block ×3, first 2 shown]
	v_pk_fma_f32 v[2:3], v[2:3], v[28:29], v[18:19]
	v_pk_mul_f32 v[18:19], v[26:27], v[30:31] op_sel_hi:[0,1]
	v_pk_fma_f32 v[4:5], v[4:5], v[18:19], v[20:21]
	v_fma_f32 v74, v74, v28, v10
	v_fma_f32 v75, v75, v29, v11
	v_exp_f32_e32 v10, v42
	v_exp_f32_e32 v11, v50
	;; [unrolled: 1-line block ×4, first 2 shown]
	v_accvgpr_read_b32 v12, a6
	v_accvgpr_read_b32 v25, a15
	;; [unrolled: 1-line block ×9, first 2 shown]
	v_fma_f32 v76, v76, v18, v12
	v_fmac_f32_e32 v13, v85, v19
	v_pk_mul_f32 v[10:11], v[26:27], v[10:11] op_sel_hi:[0,1]
	v_pk_mul_f32 v[18:19], v[26:27], v[20:21] op_sel_hi:[0,1]
	s_add_i32 s59, s59, 64
	v_pk_fma_f32 v[6:7], v[6:7], v[10:11], v[22:23]
	v_pk_fma_f32 v[8:9], v[8:9], v[18:19], v[24:25]
	v_fma_f32 v77, v77, v10, v14
	v_fma_f32 v78, v78, v11, v15
	;; [unrolled: 1-line block ×3, first 2 shown]
	s_cmp_eq_u32 s53, s39
	v_fmac_f32_e32 v17, v82, v19
	s_cbranch_scc1 .LBB258_19
; %bb.18:                               ;   in Loop: Header=BB258_7 Depth=1
	s_mov_b32 s64, s39
	v_mov_b32_e32 v85, v13
	v_mov_b32_e32 v82, v17
	s_branch .LBB258_7
.LBB258_19:
	v_mov_b32_e32 v16, v79
	v_mov_b32_e32 v15, v78
	;; [unrolled: 1-line block ×3, first 2 shown]
.LBB258_20:
	s_lshl_b32 s0, s53, 6
	s_sub_i32 s44, s54, s0
	v_mov_b32_e32 v12, v76
	v_mov_b32_e32 v11, v75
	;; [unrolled: 1-line block ×3, first 2 shown]
	s_cmp_gt_i32 s44, 0
	s_cbranch_scc0 .LBB258_85
; %bb.21:
	s_add_i32 s34, s0, s34
	s_ashr_i32 s3, s34, 31
	s_cmpk_lg_i32 s19, 0x80
	s_cselect_b64 s[30:31], -1, 0
	s_and_b64 vcc, exec, s[30:31]
	s_cbranch_vccz .LBB258_23
; %bb.22:
	s_mul_hi_i32 s0, s34, s18
	s_mul_i32 s1, s34, s18
	s_ashr_i32 s18, s55, 31
	s_add_u32 s42, s1, s55
	s_addc_u32 s43, s0, s18
	s_cbranch_execz .LBB258_24
	s_branch .LBB258_25
.LBB258_23:
                                        ; implicit-def: $sgpr42_sgpr43
.LBB258_24:
	s_mul_i32 s1, s55, s16
	s_mul_hi_i32 s0, s55, s16
	s_add_u32 s42, s1, s34
	s_addc_u32 s43, s0, s3
.LBB258_25:
	s_waitcnt lgkmcnt(0)
	s_add_i32 s16, s53, s58
	s_add_u32 s0, s57, s34
	v_lshlrev_b32_e32 v22, 5, v72
	v_lshlrev_b32_e32 v38, 2, v69
	s_addc_u32 s1, s56, s3
	s_mov_b32 s3, 0x7060302
	v_or_b32_e32 v25, v22, v38
	v_xor_b32_e32 v23, v72, v38
	v_perm_b32 v19, v5, v4, s3
	v_perm_b32 v18, v3, v2, s3
	;; [unrolled: 1-line block ×4, first 2 shown]
	v_lshlrev_b32_e32 v25, 1, v25
	v_xor_b32_e32 v24, v73, v38
	ds_write2st64_b64 v25, v[18:19], v[20:21] offset0:80 offset1:88
	v_lshlrev_b32_e32 v23, 1, v23
	v_lshlrev_b32_e32 v25, 8, v69
	s_lshl_b64 s[28:29], s[0:1], 8
	v_or_b32_e32 v26, v23, v25
	v_lshlrev_b32_e32 v24, 1, v24
	s_add_u32 s0, s6, s28
	ds_write_b64 v26, v[18:19]
	v_or_b32_e32 v18, v24, v25
	s_addc_u32 s1, s7, s29
	ds_write_b64 v18, v[20:21]
	v_perm_b32 v19, v13, v12, s3
	v_perm_b32 v18, v11, v10, s3
	;; [unrolled: 1-line block ×4, first 2 shown]
	v_or_b32_e32 v25, 16, v69
	s_mul_hi_i32 s3, s16, s17
	s_mul_i32 s16, s16, s17
	v_lshlrev_b32_e32 v35, 2, v25
	s_add_u32 s6, s16, s33
	v_or_b32_e32 v22, v22, v35
	s_addc_u32 s7, s3, s46
	v_lshlrev_b32_e32 v22, 1, v22
	s_ashr_i32 s3, s2, 31
	s_lshl_b64 s[6:7], s[6:7], 15
	ds_write2st64_b64 v22, v[18:19], v[20:21] offset0:80 offset1:88
	v_lshlrev_b32_e32 v22, 8, v25
	s_add_u32 s6, s40, s6
	v_or_b32_e32 v23, v23, v22
	s_addc_u32 s7, s41, s7
	s_lshl_b64 s[2:3], s[2:3], 8
	ds_write_b64 v23, v[18:19]
	v_or_b32_e32 v18, v24, v22
	s_add_u32 s2, s6, s2
	ds_write_b64 v18, v[20:21]
	v_lshrrev_b32_e32 v18, 4, v0
	s_addc_u32 s3, s7, s3
	v_lshlrev_b32_e32 v19, 1, v69
	v_lshlrev_b32_e32 v26, 4, v69
	v_mov_b32_e32 v27, 0
	v_or_b32_e32 v20, 1, v19
	v_xor_b32_e32 v19, v18, v19
	v_lshl_add_u64 v[28:29], s[2:3], 0, v[26:27]
	v_lshlrev_b32_e32 v26, 8, v18
	v_xor_b32_e32 v22, v20, v18
	v_lshl_or_b32 v18, v19, 3, v26
	s_waitcnt lgkmcnt(0)
	s_barrier
	ds_read2st64_b64 v[18:21], v18 offset1:8
	v_lshl_or_b32 v22, v22, 3, v26
	ds_read2st64_b64 v[22:25], v22 offset1:8
	v_lshl_add_u64 v[30:31], v[28:29], 0, v[26:27]
	s_movk_i32 s2, 0x1000
	s_waitcnt lgkmcnt(1)
	v_mov_b32_e32 v26, v18
	v_add_co_u32_e32 v18, vcc, s2, v30
	s_cmp_lg_u32 s44, 64
	v_mov_b32_e32 v27, v19
	v_addc_co_u32_e32 v19, vcc, 0, v31, vcc
	s_cselect_b64 s[6:7], -1, 0
	v_lshl_or_b32 v42, v1, 3, v71
	s_waitcnt lgkmcnt(0)
	v_mov_b32_e32 v28, v22
	v_mov_b32_e32 v29, v23
	;; [unrolled: 1-line block ×4, first 2 shown]
	s_mov_b32 s24, 0
	v_or_b32_e32 v36, 32, v42
	v_and_b32_e32 v34, 56, v70
	s_and_b64 vcc, exec, s[6:7]
	global_store_dwordx4 v[30:31], v[26:29], off
	global_store_dwordx4 v[18:19], v[22:25], off
	s_cbranch_vccz .LBB258_31
; %bb.26:
	s_mov_b32 s25, s24
	s_mov_b32 s26, s24
	;; [unrolled: 1-line block ×3, first 2 shown]
	v_mov_b64_e32 v[22:23], s[24:25]
	v_mov_b64_e32 v[24:25], s[26:27]
	v_mov_b64_e32 v[18:19], v[22:23]
	v_cmp_gt_i32_e32 vcc, s44, v42
	v_mov_b64_e32 v[20:21], v[24:25]
	s_and_saveexec_b64 s[2:3], vcc
	s_cbranch_execz .LBB258_28
; %bb.27:
	v_lshlrev_b32_e32 v18, 8, v42
	v_mov_b32_e32 v19, 0
	v_lshl_add_u64 v[20:21], s[0:1], 0, v[18:19]
	v_lshlrev_b32_e32 v18, 1, v34
	v_lshl_add_u64 v[26:27], v[20:21], 0, v[18:19]
	global_load_dwordx4 v[22:25], v[26:27], off
	global_load_dwordx4 v[18:21], v[26:27], off offset:128
.LBB258_28:
	s_or_b64 exec, exec, s[2:3]
	s_mov_b32 s26, s24
	s_mov_b32 s27, s24
	;; [unrolled: 1-line block ×3, first 2 shown]
	v_mov_b64_e32 v[32:33], s[26:27]
	v_mov_b64_e32 v[30:31], s[24:25]
	;; [unrolled: 1-line block ×3, first 2 shown]
	v_cmp_gt_i32_e32 vcc, s44, v36
	v_lshlrev_b32_e32 v37, 7, v36
	v_mov_b64_e32 v[28:29], v[32:33]
	s_and_saveexec_b64 s[2:3], vcc
	s_cbranch_execz .LBB258_30
; %bb.29:
	v_lshlrev_b32_e32 v26, 1, v37
	v_mov_b32_e32 v27, 0
	v_lshl_add_u64 v[28:29], s[0:1], 0, v[26:27]
	v_lshlrev_b32_e32 v26, 1, v34
	v_lshl_add_u64 v[40:41], v[28:29], 0, v[26:27]
	global_load_dwordx4 v[30:33], v[40:41], off
	global_load_dwordx4 v[26:29], v[40:41], off offset:128
.LBB258_30:
	s_or_b64 exec, exec, s[2:3]
	v_lshrrev_b32_e32 v39, 3, v34
	v_lshlrev_b32_e32 v40, 3, v42
	v_or_b32_e32 v39, v40, v39
	v_lshlrev_b32_e32 v39, 4, v39
	v_and_b32_e32 v40, 0x78, v40
	v_xor_b32_e32 v39, v39, v40
	s_branch .LBB258_33
.LBB258_31:
                                        ; implicit-def: $vgpr39
                                        ; implicit-def: $vgpr37
                                        ; implicit-def: $vgpr22_vgpr23_vgpr24_vgpr25
                                        ; implicit-def: $vgpr18_vgpr19_vgpr20_vgpr21
                                        ; implicit-def: $vgpr30_vgpr31_vgpr32_vgpr33
                                        ; implicit-def: $vgpr26_vgpr27_vgpr28_vgpr29
	s_cbranch_execz .LBB258_33
; %bb.32:
	s_waitcnt vmcnt(0)
	v_lshlrev_b32_e32 v18, 1, v34
	v_lshl_or_b32 v37, v42, 8, v18
	s_and_b32 s1, s1, 0xffff
	s_mov_b32 s3, 0x20000
	s_movk_i32 s2, 0x4000
	v_lshl_or_b32 v39, v36, 8, v18
	s_movk_i32 s16, 0x80
	buffer_load_dwordx4 v[22:25], v37, s[0:3], 0 offen
	buffer_load_dwordx4 v[18:21], v37, s[0:3], s16 offen
	;; [unrolled: 1-line block ×4, first 2 shown]
	v_lshrrev_b32_e32 v37, 3, v34
	v_lshlrev_b32_e32 v39, 3, v42
	v_or_b32_e32 v37, v39, v37
	v_lshlrev_b32_e32 v37, 4, v37
	v_and_b32_e32 v39, 0x78, v39
	v_xor_b32_e32 v39, v37, v39
	v_lshlrev_b32_e32 v37, 7, v36
.LBB258_33:
	s_lshl_b64 s[0:1], s[42:43], 8
	s_add_u32 s4, s4, s0
	s_movk_i32 s0, 0x1000
	v_and_or_b32 v36, v37, s0, v39
	s_waitcnt vmcnt(1)
	ds_write_b64 v39, v[22:23] offset:24576
	v_xor_b32_e32 v22, 8, v39
	ds_write_b64 v22, v[24:25] offset:24576
	s_waitcnt vmcnt(0)
	ds_write_b64 v39, v[18:19] offset:32768
	ds_write_b64 v22, v[20:21] offset:32768
	;; [unrolled: 1-line block ×3, first 2 shown]
	v_xor_b32_e32 v18, 8, v36
	ds_write_b64 v18, v[32:33] offset:24576
	ds_write_b64 v36, v[26:27] offset:32768
	;; [unrolled: 1-line block ×3, first 2 shown]
	v_or_b32_e32 v18, v53, v69
	v_lshlrev_b32_e32 v18, 3, v18
	v_lshrrev_b32_e32 v19, 5, v55
	s_movk_i32 s2, 0xf8
	v_and_or_b32 v19, v18, s2, v19
	v_lshlrev_b32_e32 v23, 4, v19
	v_lshlrev_b32_e32 v39, 11, v1
	v_and_b32_e32 v24, 0x78, v18
	v_or_b32_e32 v26, 32, v23
	v_and_b32_e32 v22, 0x1000, v39
	v_lshrrev_b32_e32 v19, 1, v55
	v_xor_b32_e32 v26, v26, v24
	v_xor_b32_e32 v18, v23, v24
	v_and_b32_e32 v25, 8, v19
	v_or_b32_e32 v26, v26, v22
	v_or_b32_e32 v18, v18, v22
	v_xor_b32_e32 v44, v26, v25
	v_or_b32_e32 v26, 64, v23
	v_xor_b32_e32 v43, v18, v25
	v_xor_b32_e32 v26, v26, v24
	s_waitcnt lgkmcnt(0)
	s_barrier
	v_or_b32_e32 v28, v26, v22
	ds_read_b64 v[26:27], v43 offset:24576
	v_lshl_or_b32 v36, v68, 7, v38
	v_lshlrev_b32_e32 v40, 1, v36
	v_add_u32_e32 v18, 0xa000, v40
	ds_read2_b64 v[18:21], v18 offset1:16
	v_or_b32_e32 v23, 0x60, v23
	v_xor_b32_e32 v23, v23, v24
	s_waitcnt lgkmcnt(0)
	v_mfma_f32_16x16x16_bf16 a[0:3], v[26:27], v[18:19], 0
	v_or_b32_e32 v18, 64, v36
	v_or_b32_e32 v22, v23, v22
	v_lshlrev_b32_e32 v41, 1, v18
	v_xor_b32_e32 v45, v28, v25
	v_xor_b32_e32 v46, v22, v25
	ds_read_b64 v[28:29], v44 offset:24576
	ds_read_b64 v[30:31], v45 offset:24576
	;; [unrolled: 1-line block ×3, first 2 shown]
	v_mfma_f32_16x16x16_bf16 a[4:7], v[26:27], v[20:21], 0
	ds_read2st64_b64 v[18:21], v41 offset0:82 offset1:84
	ds_read2st64_b64 v[22:25], v40 offset0:82 offset1:84
	s_addc_u32 s5, s5, s1
	s_add_i32 s0, s48, s47
	s_add_i32 s16, s35, -1
	s_add_i32 s37, s0, s49
	s_add_i32 s0, s51, s50
	;; [unrolled: 1-line block ×3, first 2 shown]
	s_ashr_i32 s0, s16, 31
	s_mul_i32 s1, s16, s23
	s_mul_hi_u32 s2, s16, s22
	s_add_i32 s1, s2, s1
	s_mul_i32 s0, s0, s22
	s_waitcnt lgkmcnt(1)
	v_mfma_f32_16x16x16_bf16 a[4:7], v[28:29], v[18:19], a[4:7]
	s_add_i32 s1, s1, s0
	s_lshl_b64 s[2:3], s[36:37], 2
	s_add_u32 s10, s10, s2
	s_waitcnt lgkmcnt(0)
	v_mfma_f32_16x16x16_bf16 a[0:3], v[28:29], v[22:23], a[0:3]
	s_addc_u32 s11, s11, s3
	s_lshl_b64 s[2:3], s[38:39], 2
	s_mul_i32 s0, s16, s22
	s_add_u32 s10, s10, s2
	ds_read_b64 v[18:19], v40 offset:44032
	v_mfma_f32_16x16x16_bf16 a[4:7], v[30:31], v[20:21], a[4:7]
	ds_read_b64 v[20:21], v41 offset:44032
	s_addc_u32 s11, s11, s3
	s_lshl_b64 s[0:1], s[0:1], 2
	v_mfma_f32_16x16x16_bf16 a[0:3], v[30:31], v[24:25], a[0:3]
	s_add_u32 s0, s10, s0
	s_addc_u32 s1, s11, s1
	s_load_dword s18, s[0:1], 0x0
	s_waitcnt lgkmcnt(0)
	v_mfma_f32_16x16x16_bf16 a[0:3], v[32:33], v[18:19], a[0:3]
	s_and_b64 vcc, exec, s[30:31]
	v_mfma_f32_16x16x16_bf16 a[4:7], v[32:33], v[20:21], a[4:7]
	s_cbranch_vccz .LBB258_44
; %bb.34:
	v_lshlrev_b32_e32 v36, 1, v42
	s_and_b64 vcc, exec, s[6:7]
	s_cbranch_vccz .LBB258_45
; %bb.35:
	v_cmp_gt_i32_e32 vcc, s44, v36
	v_mov_b32_e32 v22, 0
	v_mov_b32_e32 v18, 0
	;; [unrolled: 1-line block ×5, first 2 shown]
	s_and_saveexec_b64 s[0:1], vcc
	s_cbranch_execz .LBB258_37
; %bb.36:
	v_mad_i64_i32 v[18:19], s[2:3], s19, v36, 0
	v_lshl_add_u64 v[18:19], v[18:19], 1, s[4:5]
	v_lshlrev_b32_e32 v20, 1, v34
	v_mov_b32_e32 v21, 0
	v_lshl_add_u64 v[18:19], v[18:19], 0, v[20:21]
	global_load_dwordx4 v[18:21], v[18:19], off
.LBB258_37:
	s_or_b64 exec, exec, s[0:1]
	v_or_b32_e32 v37, 1, v36
	v_cmp_gt_i32_e64 s[0:1], s44, v37
	v_mov_b32_e32 v23, 0
	v_mov_b32_e32 v24, 0
	;; [unrolled: 1-line block ×3, first 2 shown]
	s_and_saveexec_b64 s[2:3], s[0:1]
	s_cbranch_execz .LBB258_39
; %bb.38:
	v_mad_i64_i32 v[22:23], s[24:25], s19, v37, 0
	v_lshl_add_u64 v[22:23], v[22:23], 1, s[4:5]
	v_lshlrev_b32_e32 v24, 1, v34
	v_mov_b32_e32 v25, 0
	v_lshl_add_u64 v[22:23], v[22:23], 0, v[24:25]
	global_load_dwordx4 v[22:25], v[22:23], off
.LBB258_39:
	s_or_b64 exec, exec, s[2:3]
	v_mov_b32_e32 v33, 0
	v_mov_b32_e32 v26, 0
	;; [unrolled: 1-line block ×5, first 2 shown]
	s_and_saveexec_b64 s[2:3], vcc
	s_cbranch_execz .LBB258_41
; %bb.40:
	v_mad_i64_i32 v[26:27], s[24:25], s19, v36, 0
	v_lshl_add_u64 v[26:27], v[26:27], 1, s[4:5]
	v_lshlrev_b32_e32 v28, 1, v34
	v_mov_b32_e32 v29, 0
	v_lshl_add_u64 v[26:27], v[26:27], 0, v[28:29]
	global_load_dwordx4 v[26:29], v[26:27], off offset:128
.LBB258_41:
	s_or_b64 exec, exec, s[2:3]
	v_mov_b32_e32 v32, 0
	v_mov_b32_e32 v31, 0
	;; [unrolled: 1-line block ×3, first 2 shown]
	s_and_saveexec_b64 s[2:3], s[0:1]
	s_cbranch_execz .LBB258_43
; %bb.42:
	v_mad_i64_i32 v[30:31], s[0:1], s19, v37, 0
	v_lshl_add_u64 v[30:31], v[30:31], 1, s[4:5]
	v_lshlrev_b32_e32 v32, 1, v34
	v_mov_b32_e32 v33, 0
	v_lshl_add_u64 v[30:31], v[30:31], 0, v[32:33]
	global_load_dwordx4 v[30:33], v[30:31], off offset:128
.LBB258_43:
	s_or_b64 exec, exec, s[2:3]
	s_branch .LBB258_47
.LBB258_44:
                                        ; implicit-def: $vgpr21
                                        ; implicit-def: $vgpr25
                                        ; implicit-def: $vgpr29
                                        ; implicit-def: $vgpr33
	v_lshrrev_b32_e32 v47, 2, v55
	s_branch .LBB258_48
.LBB258_45:
                                        ; implicit-def: $vgpr21
                                        ; implicit-def: $vgpr25
                                        ; implicit-def: $vgpr29
                                        ; implicit-def: $vgpr33
	s_cbranch_execz .LBB258_47
; %bb.46:
	s_waitcnt vmcnt(0)
	v_mad_u64_u32 v[18:19], s[0:1], v36, s19, v[34:35]
	v_lshlrev_b32_e32 v36, 1, v18
	s_lshl_b32 s2, s19, 7
	s_and_b32 s1, s5, 0xffff
	s_mov_b32 s3, 0x20000
	s_mov_b32 s0, s4
	v_add_lshl_u32 v37, v18, s19, 1
	s_movk_i32 s19, 0x80
	buffer_load_dwordx4 v[18:21], v36, s[0:3], 0 offen
	buffer_load_dwordx4 v[26:29], v36, s[0:3], s19 offen
	;; [unrolled: 1-line block ×4, first 2 shown]
.LBB258_47:
	v_lshrrev_b32_e32 v47, 2, v55
	s_cbranch_execnz .LBB258_60
.LBB258_48:
	s_and_b64 vcc, exec, s[6:7]
	s_cbranch_vccz .LBB258_58
; %bb.49:
	s_waitcnt vmcnt(0)
	v_lshlrev_b32_e32 v23, 1, v42
	v_cmp_gt_i32_e32 vcc, s44, v23
	v_mov_b32_e32 v22, 0
	v_lshlrev_b32_e32 v30, 9, v42
	v_mov_b32_e32 v18, 0
	v_mov_b32_e32 v19, 0
	;; [unrolled: 1-line block ×4, first 2 shown]
	s_and_saveexec_b64 s[0:1], vcc
	s_cbranch_execz .LBB258_51
; %bb.50:
	v_mov_b32_e32 v31, 0
	v_lshl_add_u64 v[18:19], s[4:5], 0, v[30:31]
	v_lshlrev_b32_e32 v20, 1, v34
	v_mov_b32_e32 v21, v31
	v_lshl_add_u64 v[18:19], v[18:19], 0, v[20:21]
	global_load_dwordx4 v[18:21], v[18:19], off
.LBB258_51:
	s_or_b64 exec, exec, s[0:1]
	v_or_b32_e32 v23, 1, v23
	v_cmp_gt_i32_e64 s[0:1], s44, v23
	v_lshlrev_b32_e32 v36, 8, v23
	v_mov_b32_e32 v23, 0
	v_mov_b32_e32 v24, 0
	;; [unrolled: 1-line block ×3, first 2 shown]
	s_and_saveexec_b64 s[2:3], s[0:1]
	s_cbranch_execz .LBB258_53
; %bb.52:
	v_mov_b32_e32 v37, 0
	v_lshl_add_u64 v[22:23], s[4:5], 0, v[36:37]
	v_lshlrev_b32_e32 v24, 1, v34
	v_mov_b32_e32 v25, v37
	v_lshl_add_u64 v[22:23], v[22:23], 0, v[24:25]
	global_load_dwordx4 v[22:25], v[22:23], off
.LBB258_53:
	s_or_b64 exec, exec, s[2:3]
	v_mov_b32_e32 v33, 0
	v_mov_b32_e32 v26, 0
	;; [unrolled: 1-line block ×5, first 2 shown]
	s_and_saveexec_b64 s[2:3], vcc
	s_cbranch_execz .LBB258_55
; %bb.54:
	v_mov_b32_e32 v31, 0
	v_lshl_add_u64 v[26:27], s[4:5], 0, v[30:31]
	v_lshlrev_b32_e32 v30, 1, v34
	v_lshl_add_u64 v[26:27], v[26:27], 0, v[30:31]
	global_load_dwordx4 v[26:29], v[26:27], off offset:128
.LBB258_55:
	s_or_b64 exec, exec, s[2:3]
	v_mov_b32_e32 v32, 0
	v_mov_b32_e32 v31, 0
	;; [unrolled: 1-line block ×3, first 2 shown]
	s_and_saveexec_b64 s[2:3], s[0:1]
	s_cbranch_execz .LBB258_57
; %bb.56:
	v_mov_b32_e32 v37, 0
	v_lshl_add_u64 v[30:31], s[4:5], 0, v[36:37]
	v_lshlrev_b32_e32 v36, 1, v34
	v_lshl_add_u64 v[30:31], v[30:31], 0, v[36:37]
	global_load_dwordx4 v[30:33], v[30:31], off offset:128
.LBB258_57:
	s_or_b64 exec, exec, s[2:3]
	s_branch .LBB258_60
.LBB258_58:
                                        ; implicit-def: $vgpr21
                                        ; implicit-def: $vgpr25
                                        ; implicit-def: $vgpr29
                                        ; implicit-def: $vgpr33
	s_cbranch_execz .LBB258_60
; %bb.59:
	s_waitcnt vmcnt(0)
	v_lshlrev_b32_e32 v18, 1, v34
	v_lshl_or_b32 v34, v42, 9, v18
	s_and_b32 s5, s5, 0xffff
	s_mov_b32 s7, 0x20000
	s_movk_i32 s6, 0x4000
	s_movk_i32 s0, 0x80
	buffer_load_dwordx4 v[18:21], v34, s[4:7], 0 offen
	buffer_load_dwordx4 v[22:25], v34, s[4:7], 0 offen offset:256
	buffer_load_dwordx4 v[26:29], v34, s[4:7], s0 offen
	buffer_load_dwordx4 v[30:33], v34, s[4:7], s0 offen offset:256
.LBB258_60:
	ds_read_b64 v[36:37], v43 offset:32768
	v_add_u32_e32 v34, 0xb000, v40
	ds_read2_b64 v[48:51], v34 offset1:16
	ds_read_b64 v[66:67], v44 offset:32768
	ds_read_b64 v[44:45], v45 offset:32768
	;; [unrolled: 1-line block ×3, first 2 shown]
	ds_read2st64_b64 v[62:65], v41 offset0:90 offset1:92
	v_and_b32_e32 v43, 6, v0
	v_and_b32_e32 v34, 12, v47
	v_xor_b32_e32 v42, v42, v43
	v_lshlrev_b32_e32 v42, 2, v42
	s_mov_b32 s0, 0x1000504
	s_waitcnt lgkmcnt(4)
	v_mfma_f32_16x16x16_bf16 a[0:3], v[36:37], v[48:49], a[0:3]
	s_mov_b32 s1, 0x3020706
	v_mfma_f32_16x16x16_bf16 a[4:7], v[36:37], v[50:51], a[4:7]
	ds_read2st64_b64 v[48:51], v40 offset0:90 offset1:92
	ds_read_b64 v[36:37], v40 offset:48128
	ds_read_b64 v[46:47], v41 offset:48128
	s_waitcnt lgkmcnt(2)
	v_mfma_f32_16x16x16_bf16 a[0:3], v[66:67], v[48:49], a[0:3]
	v_and_b32_e32 v48, 1, v0
	v_xor_b32_e32 v49, 0x440, v42
	v_cmp_eq_u32_e32 vcc, 0, v48
	v_mfma_f32_16x16x16_bf16 a[4:7], v[66:67], v[62:63], a[4:7]
	s_nop 0
	v_cndmask_b32_e32 v42, v49, v42, vcc
	v_lshl_or_b32 v42, v43, 10, v42
	v_mfma_f32_16x16x16_bf16 a[0:3], v[44:45], v[50:51], a[0:3]
	v_mfma_f32_16x16x16_bf16 a[8:11], v[44:45], v[64:65], a[4:7]
	s_waitcnt lgkmcnt(1)
	v_mfma_f32_16x16x16_bf16 a[4:7], v[68:69], v[36:37], a[0:3]
	s_waitcnt vmcnt(0)
	v_perm_b32 v36, v18, v22, s0
	v_perm_b32 v37, v26, v30, s0
	ds_write2st64_b32 v42, v36, v37 offset0:32 offset1:64
	v_xor_b32_e32 v36, 8, v42
	v_perm_b32 v18, v18, v22, s1
	v_perm_b32 v22, v26, v30, s1
	v_add_u32_e32 v26, 0x80, v36
	ds_write2st64_b32 v26, v18, v22 offset0:32 offset1:64
	v_xor_b32_e32 v18, 16, v42
	v_perm_b32 v22, v19, v23, s0
	v_perm_b32 v26, v27, v31, s0
	ds_write2st64_b32 v18, v22, v26 offset0:33 offset1:65
	v_xor_b32_e32 v18, 24, v42
	v_perm_b32 v19, v19, v23, s1
	v_perm_b32 v22, v27, v31, s1
	v_add_u32_e32 v18, 0x80, v18
	ds_write2st64_b32 v18, v19, v22 offset0:33 offset1:65
	v_xor_b32_e32 v18, 32, v42
	v_perm_b32 v19, v20, v24, s0
	v_perm_b32 v22, v28, v32, s0
	ds_write2st64_b32 v18, v19, v22 offset0:34 offset1:66
	v_xor_b32_e32 v18, 40, v42
	s_waitcnt lgkmcnt(5)
	v_mfma_f32_16x16x16_bf16 a[0:3], v[68:69], v[46:47], a[8:11]
	v_perm_b32 v19, v20, v24, s1
	v_perm_b32 v20, v28, v32, s1
	v_add_u32_e32 v18, 0x80, v18
	ds_write2st64_b32 v18, v19, v20 offset0:34 offset1:66
	v_xor_b32_e32 v18, 48, v42
	v_perm_b32 v19, v21, v25, s0
	v_perm_b32 v20, v29, v33, s0
	ds_write2st64_b32 v18, v19, v20 offset0:35 offset1:67
	v_xor_b32_e32 v18, 56, v42
	v_or_b32_e32 v32, v34, v53
	v_perm_b32 v19, v21, v25, s1
	v_perm_b32 v20, v29, v33, s1
	v_add_u32_e32 v18, 0x80, v18
	v_cmp_gt_i32_e32 vcc, s44, v32
	v_mov_b32_e32 v33, 0
	v_mov_b32_e32 v37, 0
	ds_write2st64_b32 v18, v19, v20 offset0:35 offset1:67
	s_and_saveexec_b64 s[0:1], vcc
	s_cbranch_execz .LBB258_62
; %bb.61:
	v_add_u32_e32 v18, s34, v32
	v_ashrrev_i32_e32 v19, 31, v18
	v_mul_lo_u32 v20, v19, s22
	v_mul_lo_u32 v21, v18, s23
	v_mad_u64_u32 v[18:19], s[2:3], v18, s22, 0
	v_add3_u32 v19, v19, v21, v20
	v_lshl_add_u64 v[18:19], v[18:19], 2, s[10:11]
	global_load_dword v18, v[18:19], off
	s_waitcnt vmcnt(0)
	v_sub_f32_e32 v18, s18, v18
	v_exp_f32_e32 v37, v18
.LBB258_62:
	s_or_b64 exec, exec, s[0:1]
	v_or_b32_e32 v26, 1, v32
	v_cmp_gt_i32_e64 s[0:1], s44, v26
	s_and_saveexec_b64 s[2:3], s[0:1]
	s_cbranch_execz .LBB258_64
; %bb.63:
	v_add_u32_e32 v18, s34, v26
	v_ashrrev_i32_e32 v19, 31, v18
	v_mul_lo_u32 v20, v19, s22
	v_mul_lo_u32 v21, v18, s23
	v_mad_u64_u32 v[18:19], s[4:5], v18, s22, 0
	v_add3_u32 v19, v19, v21, v20
	v_lshl_add_u64 v[18:19], v[18:19], 2, s[10:11]
	global_load_dword v18, v[18:19], off
	s_waitcnt vmcnt(0)
	v_sub_f32_e32 v18, s18, v18
	v_exp_f32_e32 v33, v18
.LBB258_64:
	s_or_b64 exec, exec, s[2:3]
	v_or_b32_e32 v27, 2, v32
	v_cmp_gt_i32_e64 s[2:3], s44, v27
	v_mov_b32_e32 v36, 0
	v_mov_b32_e32 v42, 0
	s_and_saveexec_b64 s[4:5], s[2:3]
	s_cbranch_execz .LBB258_66
; %bb.65:
	v_add_u32_e32 v18, s34, v27
	v_ashrrev_i32_e32 v19, 31, v18
	v_mul_lo_u32 v20, v19, s22
	v_mul_lo_u32 v21, v18, s23
	v_mad_u64_u32 v[18:19], s[6:7], v18, s22, 0
	v_add3_u32 v19, v19, v21, v20
	v_lshl_add_u64 v[18:19], v[18:19], 2, s[10:11]
	global_load_dword v18, v[18:19], off
	s_waitcnt vmcnt(0)
	v_sub_f32_e32 v18, s18, v18
	v_exp_f32_e32 v42, v18
.LBB258_66:
	s_or_b64 exec, exec, s[4:5]
	v_or_b32_e32 v43, 3, v32
	v_cmp_gt_i32_e64 s[4:5], s44, v43
	s_and_saveexec_b64 s[6:7], s[4:5]
	s_cbranch_execz .LBB258_68
; %bb.67:
	v_add_u32_e32 v18, s34, v43
	v_ashrrev_i32_e32 v19, 31, v18
	v_mul_lo_u32 v20, v19, s22
	v_mul_lo_u32 v21, v18, s23
	v_mad_u64_u32 v[18:19], s[22:23], v18, s22, 0
	v_add3_u32 v19, v19, v21, v20
	v_lshl_add_u64 v[18:19], v[18:19], 2, s[10:11]
	global_load_dword v18, v[18:19], off
	s_waitcnt vmcnt(0)
	v_sub_f32_e32 v18, s18, v18
	v_exp_f32_e32 v36, v18
.LBB258_68:
	s_or_b64 exec, exec, s[6:7]
	s_add_u32 s6, s8, s28
	v_accvgpr_read_b32 v21, a7
	s_addc_u32 s7, s9, s29
	v_ashrrev_i32_e32 v61, 31, v60
	v_accvgpr_read_b32 v20, a6
	v_accvgpr_read_b32 v19, a5
	;; [unrolled: 1-line block ×3, first 2 shown]
	v_lshl_add_u64 v[22:23], v[60:61], 1, s[6:7]
	v_mov_b32_e32 v29, 0
	v_lshlrev_b32_e32 v24, 8, v32
	v_mov_b32_e32 v25, 0
	s_and_saveexec_b64 s[6:7], vcc
	s_cbranch_execz .LBB258_70
; %bb.69:
	v_mov_b32_e32 v25, 0
	v_lshl_add_u64 v[30:31], v[22:23], 0, v[24:25]
	global_load_ushort v25, v[30:31], off
	s_waitcnt vmcnt(0)
	v_lshlrev_b32_e32 v25, 16, v25
	v_sub_f32_e32 v18, v25, v18
	v_mul_f32_e32 v18, v37, v18
	v_lshrrev_b32_e32 v25, 16, v18
.LBB258_70:
	s_or_b64 exec, exec, s[6:7]
	v_lshlrev_b32_e32 v28, 8, v26
	s_and_saveexec_b64 s[6:7], s[0:1]
	s_cbranch_execz .LBB258_72
; %bb.71:
	v_mov_b32_e32 v29, 0
	v_lshl_add_u64 v[30:31], v[22:23], 0, v[28:29]
	global_load_ushort v18, v[30:31], off
	s_waitcnt vmcnt(0)
	v_lshlrev_b32_e32 v18, 16, v18
	v_sub_f32_e32 v18, v18, v19
	v_mul_f32_e32 v18, v33, v18
	v_lshrrev_b32_e32 v29, 16, v18
.LBB258_72:
	s_or_b64 exec, exec, s[6:7]
	v_mov_b32_e32 v44, 0
	v_lshlrev_b32_e32 v30, 8, v27
	v_mov_b32_e32 v31, 0
	s_and_saveexec_b64 s[6:7], s[2:3]
	s_cbranch_execz .LBB258_74
; %bb.73:
	v_mov_b32_e32 v31, 0
	v_lshl_add_u64 v[18:19], v[22:23], 0, v[30:31]
	global_load_ushort v18, v[18:19], off
	s_waitcnt vmcnt(0)
	v_lshlrev_b32_e32 v18, 16, v18
	v_sub_f32_e32 v18, v18, v20
	v_mul_f32_e32 v18, v42, v18
	v_lshrrev_b32_e32 v31, 16, v18
.LBB258_74:
	s_or_b64 exec, exec, s[6:7]
	v_lshlrev_b32_e32 v26, 8, v43
	s_and_saveexec_b64 s[6:7], s[4:5]
	s_cbranch_execz .LBB258_76
; %bb.75:
	v_mov_b32_e32 v27, 0
	v_lshl_add_u64 v[18:19], v[22:23], 0, v[26:27]
	global_load_ushort v18, v[18:19], off
	s_waitcnt vmcnt(0)
	v_lshlrev_b32_e32 v18, 16, v18
	v_sub_f32_e32 v18, v18, v21
	v_mul_f32_e32 v18, v36, v18
	v_lshrrev_b32_e32 v44, 16, v18
.LBB258_76:
	s_or_b64 exec, exec, s[6:7]
	v_lshlrev_b32_e32 v43, 5, v32
	s_mov_b32 s6, 0x5040100
	v_perm_b32 v45, v44, v31, s6
	v_perm_b32 v44, v29, v25, s6
	v_or_b32_e32 v25, v43, v38
	v_accvgpr_read_b32 v21, a3
	v_lshlrev_b32_e32 v25, 1, v25
	v_accvgpr_read_b32 v20, a2
	v_accvgpr_read_b32 v19, a1
	;; [unrolled: 1-line block ×3, first 2 shown]
	ds_write_b64 v25, v[44:45] offset:45056
	v_mov_b32_e32 v29, 0
	v_mov_b32_e32 v25, 0
	s_and_saveexec_b64 s[6:7], vcc
	s_cbranch_execz .LBB258_78
; %bb.77:
	v_mov_b32_e32 v25, 0
	v_lshl_add_u64 v[24:25], v[22:23], 0, v[24:25]
	global_load_ushort v24, v[24:25], off offset:32
	s_waitcnt vmcnt(0)
	v_lshlrev_b32_e32 v24, 16, v24
	v_sub_f32_e32 v18, v24, v18
	v_mul_f32_e32 v18, v37, v18
	v_lshrrev_b32_e32 v25, 16, v18
.LBB258_78:
	s_or_b64 exec, exec, s[6:7]
	s_and_saveexec_b64 s[6:7], s[0:1]
	s_cbranch_execz .LBB258_80
; %bb.79:
	v_mov_b32_e32 v29, 0
	v_lshl_add_u64 v[28:29], v[22:23], 0, v[28:29]
	global_load_ushort v18, v[28:29], off offset:32
	s_waitcnt vmcnt(0)
	v_lshlrev_b32_e32 v18, 16, v18
	v_sub_f32_e32 v18, v18, v19
	v_mul_f32_e32 v18, v33, v18
	v_lshrrev_b32_e32 v29, 16, v18
.LBB258_80:
	s_or_b64 exec, exec, s[6:7]
	v_mov_b32_e32 v24, 0
	v_mov_b32_e32 v28, 0
	s_and_saveexec_b64 s[0:1], s[2:3]
	s_cbranch_execz .LBB258_82
; %bb.81:
	v_mov_b32_e32 v31, 0
	v_lshl_add_u64 v[18:19], v[22:23], 0, v[30:31]
	global_load_ushort v18, v[18:19], off offset:32
	s_waitcnt vmcnt(0)
	v_lshlrev_b32_e32 v18, 16, v18
	v_sub_f32_e32 v18, v18, v20
	v_mul_f32_e32 v18, v42, v18
	v_lshrrev_b32_e32 v28, 16, v18
.LBB258_82:
	s_or_b64 exec, exec, s[0:1]
	v_or_b32_e32 v19, 0xb000, v40
	v_or_b32_e32 v18, 0xb000, v41
	s_and_saveexec_b64 s[0:1], s[4:5]
	s_cbranch_execz .LBB258_84
; %bb.83:
	v_mov_b32_e32 v27, 0
	v_lshl_add_u64 v[22:23], v[22:23], 0, v[26:27]
	global_load_ushort v20, v[22:23], off offset:32
	s_waitcnt vmcnt(0)
	v_lshlrev_b32_e32 v20, 16, v20
	v_sub_f32_e32 v20, v20, v21
	v_mul_f32_e32 v20, v36, v20
	v_lshrrev_b32_e32 v24, 16, v20
.LBB258_84:
	s_or_b64 exec, exec, s[0:1]
	s_mov_b32 s0, 0x5040100
	v_or_b32_e32 v22, v43, v35
	v_perm_b32 v21, v24, v28, s0
	v_perm_b32 v20, v29, v25, s0
	v_lshlrev_b32_e32 v22, 1, v22
	s_movk_i32 s2, 0x100
	ds_write_b64 v22, v[20:21] offset:45056
	v_and_b32_e32 v20, 7, v0
	v_and_b32_e32 v21, 8, v0
	v_cmp_gt_u32_e32 vcc, s2, v0
	v_lshrrev_b32_e32 v0, 1, v0
	v_lshlrev_b32_e32 v26, 3, v20
	v_lshlrev_b32_e32 v47, 7, v20
	v_mov_b32_e32 v20, 0x4000
	v_mov_b32_e32 v22, 0x2000
	v_lshlrev_b32_e32 v24, 3, v1
	v_and_b32_e32 v0, 24, v0
	v_cndmask_b32_e32 v27, v20, v22, vcc
	v_xor_b32_e32 v20, v24, v0
	v_or_b32_e32 v22, 0x440, v20
	v_cmp_eq_u32_e32 vcc, 0, v21
	v_or_b32_e32 v28, 32, v0
	v_xor_b32_e32 v28, v24, v28
	v_cndmask_b32_e32 v20, v22, v20, vcc
	v_or_b32_e32 v20, v20, v39
	v_xor_b32_e32 v48, v20, v26
	v_or_b32_e32 v29, 0x440, v28
	v_add3_u32 v25, v27, v48, v47
	v_cndmask_b32_e32 v28, v29, v28, vcc
	v_or_b32_e32 v29, 64, v0
	v_or_b32_e32 v0, 0x60, v0
	s_waitcnt lgkmcnt(0)
	s_barrier
	v_xor_b32_e32 v29, v24, v29
	v_xor_b32_e32 v0, v24, v0
	ds_read_b64 v[24:25], v25
	v_xor_b32_e32 v30, 0x440, v29
	v_cndmask_b32_e32 v29, v30, v29, vcc
	v_xor_b32_e32 v30, 0x440, v0
	ds_read2_b64 v[20:23], v19 offset1:16
	v_cndmask_b32_e32 v0, v30, v0, vcc
	v_or_b32_e32 v28, v28, v39
	v_or_b32_e32 v29, v29, v39
	;; [unrolled: 1-line block ×3, first 2 shown]
	v_xor_b32_e32 v49, v28, v26
	v_xor_b32_e32 v50, v29, v26
	;; [unrolled: 1-line block ×3, first 2 shown]
	v_add3_u32 v28, v27, v49, v47
	v_add3_u32 v29, v27, v50, v47
	;; [unrolled: 1-line block ×3, first 2 shown]
	s_mul_i32 s0, s16, s17
	ds_read_b64 v[26:27], v28
	ds_read_b64 v[40:41], v29
	;; [unrolled: 1-line block ×3, first 2 shown]
	ds_read2st64_b64 v[28:31], v19 offset0:2 offset1:4
	s_mul_hi_i32 s1, s16, s17
	ds_read2st64_b64 v[36:39], v18 offset0:2 offset1:4
	s_add_u32 s0, s0, s33
	s_waitcnt lgkmcnt(5)
	v_mfma_f32_16x16x16_bf16 a[0:3], v[24:25], v[20:21], 0
	s_addc_u32 s1, s1, s46
	s_lshl_b64 s[0:1], s[0:1], 9
	s_add_u32 s0, s20, s0
	v_mfma_f32_16x16x16_bf16 a[4:7], v[24:25], v[22:23], 0
	s_addc_u32 s1, s21, s1
	v_lshlrev_b32_e32 v24, 2, v32
	v_lshlrev_b32_e32 v1, 6, v1
	s_waitcnt lgkmcnt(1)
	v_mfma_f32_16x16x16_bf16 a[0:3], v[26:27], v[28:29], a[0:3]
	v_add_u32_e32 v48, v48, v47
	v_exp_f32_e32 v46, s18
	v_add_u32_e32 v0, v0, v47
	s_waitcnt lgkmcnt(0)
	v_mfma_f32_16x16x16_bf16 a[4:7], v[26:27], v[36:37], a[4:7]
	global_load_dwordx4 v[24:27], v24, s[0:1]
	s_waitcnt vmcnt(0)
	v_exp_f32_e32 v26, v26
	v_mfma_f32_16x16x16_bf16 a[0:3], v[40:41], v[30:31], a[0:3]
	v_exp_f32_e32 v27, v27
	v_mfma_f32_16x16x16_bf16 a[4:7], v[40:41], v[38:39], a[4:7]
	ds_read_b64 v[40:41], v19 offset:3072
	ds_read_b64 v[44:45], v18 offset:3072
	v_lshlrev_b32_e32 v18, 2, v34
	v_or3_b32 v1, v1, v18, s2
	global_load_dwordx4 v[32:35], v1, s[0:1]
	v_exp_f32_e32 v18, v24
	v_exp_f32_e32 v19, v25
	ds_read_b64 v[24:25], v48 offset:16384
	s_waitcnt lgkmcnt(2)
	v_mfma_f32_16x16x16_bf16 a[0:3], v[42:43], v[40:41], a[0:3]
	v_add_u32_e32 v48, v50, v47
	v_pk_mul_f32 v[52:53], v[46:47], v[18:19] op_sel_hi:[0,1]
	s_waitcnt lgkmcnt(1)
	v_mfma_f32_16x16x16_bf16 a[4:7], v[42:43], v[44:45], a[4:7]
	v_add_u32_e32 v42, v49, v47
	ds_read_b64 v[42:43], v42 offset:16384
	ds_read_b64 v[48:49], v48 offset:16384
	;; [unrolled: 1-line block ×3, first 2 shown]
	v_accvgpr_read_b32 v19, a1
	s_waitcnt lgkmcnt(3)
	v_mfma_f32_16x16x16_bf16 a[8:11], v[24:25], v[20:21], 0
	v_accvgpr_read_b32 v1, a3
	v_accvgpr_read_b32 v0, a2
	;; [unrolled: 1-line block ×3, first 2 shown]
	v_mfma_f32_16x16x16_bf16 a[0:3], v[24:25], v[22:23], 0
	v_pk_fma_f32 v[18:19], v[2:3], v[52:53], v[18:19]
	v_pk_mul_f32 v[2:3], v[46:47], v[26:27] op_sel_hi:[0,1]
	v_pk_fma_f32 v[20:21], v[4:5], v[2:3], v[0:1]
	s_waitcnt lgkmcnt(2)
	v_mfma_f32_16x16x16_bf16 a[8:11], v[42:43], v[28:29], a[8:11]
	v_accvgpr_read_b32 v0, a4
	v_fma_f32 v26, v10, v52, v0
	v_accvgpr_read_b32 v0, a5
	v_mfma_f32_16x16x16_bf16 a[0:3], v[42:43], v[36:37], a[0:3]
	v_fma_f32 v27, v11, v53, v0
	v_accvgpr_read_b32 v0, a6
	v_fma_f32 v28, v12, v2, v0
	s_waitcnt lgkmcnt(1)
	v_mfma_f32_16x16x16_bf16 a[8:11], v[48:49], v[30:31], a[8:11]
	v_accvgpr_read_b32 v29, a7
	v_fmac_f32_e32 v29, v13, v3
	s_waitcnt vmcnt(0)
	v_mov_b32_e32 v0, v33
	v_mfma_f32_16x16x16_bf16 a[0:3], v[48:49], v[38:39], a[0:3]
	v_mov_b32_e32 v1, v34
	v_mov_b32_e32 v2, v35
	v_exp_f32_e32 v5, v0
	v_exp_f32_e32 v0, v1
	s_waitcnt lgkmcnt(0)
	v_mfma_f32_16x16x16_bf16 a[4:7], v[50:51], v[40:41], a[8:11]
	v_exp_f32_e32 v1, v2
	v_exp_f32_e32 v4, v32
	v_pk_mul_f32 v[0:1], v[46:47], v[0:1] op_sel_hi:[0,1]
	v_mfma_f32_16x16x16_bf16 a[0:3], v[50:51], v[44:45], a[0:3]
	v_pk_mul_f32 v[4:5], v[46:47], v[4:5] op_sel_hi:[0,1]
	s_nop 1
	v_accvgpr_read_b32 v3, a7
	v_accvgpr_read_b32 v2, a6
	v_pk_fma_f32 v[24:25], v[8:9], v[0:1], v[2:3]
	v_accvgpr_read_b32 v11, a5
	v_accvgpr_read_b32 v10, a4
	v_pk_fma_f32 v[22:23], v[6:7], v[4:5], v[10:11]
	v_accvgpr_read_b32 v2, a0
	v_fma_f32 v30, v14, v4, v2
	v_accvgpr_read_b32 v2, a1
	v_fma_f32 v31, v15, v5, v2
	v_accvgpr_read_b32 v2, a2
	v_accvgpr_read_b32 v33, a3
	v_fma_f32 v32, v16, v0, v2
	v_fmac_f32_e32 v33, v17, v1
	v_mov_b64_e32 v[2:3], v[18:19]
	v_mov_b64_e32 v[4:5], v[20:21]
	;; [unrolled: 1-line block ×8, first 2 shown]
.LBB258_85:
	s_add_u32 s0, s12, s14
	s_addc_u32 s1, s13, s15
	v_lshl_add_u64 v[0:1], v[56:57], 1, s[0:1]
	v_mov_b32_e32 v55, 0
	s_mov_b32 s2, 0x7060302
	v_lshl_add_u64 v[0:1], v[0:1], 0, v[54:55]
	v_perm_b32 v5, v5, v4, s2
	v_perm_b32 v4, v3, v2, s2
	;; [unrolled: 1-line block ×4, first 2 shown]
	global_store_dwordx2 v[0:1], v[4:5], off
	global_store_dwordx2 v[0:1], v[2:3], off offset:128
	v_lshl_add_u64 v[0:1], v[58:59], 1, s[0:1]
	v_lshl_add_u64 v[0:1], v[0:1], 0, v[54:55]
	v_perm_b32 v3, v13, v12, s2
	v_perm_b32 v2, v11, v10, s2
	global_store_dwordx2 v[0:1], v[2:3], off
	v_perm_b32 v3, v17, v16, s2
	v_perm_b32 v2, v15, v14, s2
	global_store_dwordx2 v[0:1], v[2:3], off offset:128
	s_endpgm
	.section	.rodata,"a",@progbits
	.p2align	6, 0x0
	.amdhsa_kernel _ZN12_GLOBAL__N_139chunk_gated_delta_rule_fwd_h_hip_kernelILi32ELb1ELb1ELb0ELb1ELb1ELb1ELb1ELb1EEEvPK12hip_bfloat16S3_S3_PKfS5_PKvPS1_S8_PvPKiSB_iiiiilll
		.amdhsa_group_segment_fixed_size 49152
		.amdhsa_private_segment_fixed_size 0
		.amdhsa_kernarg_size 136
		.amdhsa_user_sgpr_count 2
		.amdhsa_user_sgpr_dispatch_ptr 0
		.amdhsa_user_sgpr_queue_ptr 0
		.amdhsa_user_sgpr_kernarg_segment_ptr 1
		.amdhsa_user_sgpr_dispatch_id 0
		.amdhsa_user_sgpr_kernarg_preload_length 0
		.amdhsa_user_sgpr_kernarg_preload_offset 0
		.amdhsa_user_sgpr_private_segment_size 0
		.amdhsa_uses_dynamic_stack 0
		.amdhsa_enable_private_segment 0
		.amdhsa_system_sgpr_workgroup_id_x 1
		.amdhsa_system_sgpr_workgroup_id_y 1
		.amdhsa_system_sgpr_workgroup_id_z 0
		.amdhsa_system_sgpr_workgroup_info 0
		.amdhsa_system_vgpr_workitem_id 0
		.amdhsa_next_free_vgpr 164
		.amdhsa_next_free_sgpr 66
		.amdhsa_accum_offset 144
		.amdhsa_reserve_vcc 1
		.amdhsa_float_round_mode_32 0
		.amdhsa_float_round_mode_16_64 0
		.amdhsa_float_denorm_mode_32 3
		.amdhsa_float_denorm_mode_16_64 3
		.amdhsa_dx10_clamp 1
		.amdhsa_ieee_mode 1
		.amdhsa_fp16_overflow 0
		.amdhsa_tg_split 0
		.amdhsa_exception_fp_ieee_invalid_op 0
		.amdhsa_exception_fp_denorm_src 0
		.amdhsa_exception_fp_ieee_div_zero 0
		.amdhsa_exception_fp_ieee_overflow 0
		.amdhsa_exception_fp_ieee_underflow 0
		.amdhsa_exception_fp_ieee_inexact 0
		.amdhsa_exception_int_div_zero 0
	.end_amdhsa_kernel
	.section	.text._ZN12_GLOBAL__N_139chunk_gated_delta_rule_fwd_h_hip_kernelILi32ELb1ELb1ELb0ELb1ELb1ELb1ELb1ELb1EEEvPK12hip_bfloat16S3_S3_PKfS5_PKvPS1_S8_PvPKiSB_iiiiilll,"axG",@progbits,_ZN12_GLOBAL__N_139chunk_gated_delta_rule_fwd_h_hip_kernelILi32ELb1ELb1ELb0ELb1ELb1ELb1ELb1ELb1EEEvPK12hip_bfloat16S3_S3_PKfS5_PKvPS1_S8_PvPKiSB_iiiiilll,comdat
.Lfunc_end258:
	.size	_ZN12_GLOBAL__N_139chunk_gated_delta_rule_fwd_h_hip_kernelILi32ELb1ELb1ELb0ELb1ELb1ELb1ELb1ELb1EEEvPK12hip_bfloat16S3_S3_PKfS5_PKvPS1_S8_PvPKiSB_iiiiilll, .Lfunc_end258-_ZN12_GLOBAL__N_139chunk_gated_delta_rule_fwd_h_hip_kernelILi32ELb1ELb1ELb0ELb1ELb1ELb1ELb1ELb1EEEvPK12hip_bfloat16S3_S3_PKfS5_PKvPS1_S8_PvPKiSB_iiiiilll
                                        ; -- End function
	.section	.AMDGPU.csdata,"",@progbits
; Kernel info:
; codeLenInByte = 9644
; NumSgprs: 72
; NumVgprs: 144
; NumAgprs: 20
; TotalNumVgprs: 164
; ScratchSize: 0
; MemoryBound: 0
; FloatMode: 240
; IeeeMode: 1
; LDSByteSize: 49152 bytes/workgroup (compile time only)
; SGPRBlocks: 8
; VGPRBlocks: 20
; NumSGPRsForWavesPerEU: 72
; NumVGPRsForWavesPerEU: 164
; AccumOffset: 144
; Occupancy: 1
; WaveLimiterHint : 1
; COMPUTE_PGM_RSRC2:SCRATCH_EN: 0
; COMPUTE_PGM_RSRC2:USER_SGPR: 2
; COMPUTE_PGM_RSRC2:TRAP_HANDLER: 0
; COMPUTE_PGM_RSRC2:TGID_X_EN: 1
; COMPUTE_PGM_RSRC2:TGID_Y_EN: 1
; COMPUTE_PGM_RSRC2:TGID_Z_EN: 0
; COMPUTE_PGM_RSRC2:TIDIG_COMP_CNT: 0
; COMPUTE_PGM_RSRC3_GFX90A:ACCUM_OFFSET: 35
; COMPUTE_PGM_RSRC3_GFX90A:TG_SPLIT: 0
	.section	.text._ZN12_GLOBAL__N_139chunk_gated_delta_rule_fwd_h_hip_kernelILi32ELb1ELb0ELb1ELb1ELb1ELb1ELb1ELb1EEEvPK12hip_bfloat16S3_S3_PKfS5_PKvPS1_S8_PvPKiSB_iiiiilll,"axG",@progbits,_ZN12_GLOBAL__N_139chunk_gated_delta_rule_fwd_h_hip_kernelILi32ELb1ELb0ELb1ELb1ELb1ELb1ELb1ELb1EEEvPK12hip_bfloat16S3_S3_PKfS5_PKvPS1_S8_PvPKiSB_iiiiilll,comdat
	.globl	_ZN12_GLOBAL__N_139chunk_gated_delta_rule_fwd_h_hip_kernelILi32ELb1ELb0ELb1ELb1ELb1ELb1ELb1ELb1EEEvPK12hip_bfloat16S3_S3_PKfS5_PKvPS1_S8_PvPKiSB_iiiiilll ; -- Begin function _ZN12_GLOBAL__N_139chunk_gated_delta_rule_fwd_h_hip_kernelILi32ELb1ELb0ELb1ELb1ELb1ELb1ELb1ELb1EEEvPK12hip_bfloat16S3_S3_PKfS5_PKvPS1_S8_PvPKiSB_iiiiilll
	.p2align	8
	.type	_ZN12_GLOBAL__N_139chunk_gated_delta_rule_fwd_h_hip_kernelILi32ELb1ELb0ELb1ELb1ELb1ELb1ELb1ELb1EEEvPK12hip_bfloat16S3_S3_PKfS5_PKvPS1_S8_PvPKiSB_iiiiilll,@function
_ZN12_GLOBAL__N_139chunk_gated_delta_rule_fwd_h_hip_kernelILi32ELb1ELb0ELb1ELb1ELb1ELb1ELb1ELb1EEEvPK12hip_bfloat16S3_S3_PKfS5_PKvPS1_S8_PvPKiSB_iiiiilll: ; @_ZN12_GLOBAL__N_139chunk_gated_delta_rule_fwd_h_hip_kernelILi32ELb1ELb0ELb1ELb1ELb1ELb1ELb1ELb1EEEvPK12hip_bfloat16S3_S3_PKfS5_PKvPS1_S8_PvPKiSB_iiiiilll
; %bb.0:
	s_load_dwordx4 s[12:15], s[0:1], 0x5c
	s_load_dwordx4 s[4:7], s[0:1], 0x48
	s_abs_i32 s9, s3
	s_ashr_i32 s8, s3, 31
	v_and_b32_e32 v66, 15, v0
	s_waitcnt lgkmcnt(0)
	s_abs_i32 s10, s13
	v_cvt_f32_u32_e32 v1, s10
	s_sub_i32 s16, 0, s10
	s_ashr_i32 s11, s13, 31
	s_xor_b32 s8, s8, s11
	v_rcp_iflag_f32_e32 v1, v1
	v_lshrrev_b32_e32 v64, 6, v0
	v_bfe_u32 v65, v0, 4, 2
	v_mov_b32_e32 v7, 0
	v_mul_f32_e32 v1, 0x4f7ffffe, v1
	v_cvt_u32_f32_e32 v1, v1
	v_and_b32_e32 v45, 63, v0
	v_lshlrev_b32_e32 v67, 3, v0
	v_lshrrev_b32_e32 v68, 3, v45
	v_readfirstlane_b32 s17, v1
	s_mul_i32 s16, s16, s17
	s_mul_hi_u32 s16, s17, s16
	s_add_i32 s17, s17, s16
	s_mul_hi_u32 s16, s9, s17
	s_mul_i32 s17, s16, s10
	s_sub_i32 s9, s9, s17
	s_add_i32 s18, s16, 1
	s_sub_i32 s17, s9, s10
	s_cmp_ge_u32 s9, s10
	s_cselect_b32 s16, s18, s16
	s_cselect_b32 s9, s17, s9
	s_add_i32 s17, s16, 1
	s_cmp_ge_u32 s9, s10
	s_cselect_b32 s9, s17, s16
	s_xor_b32 s9, s9, s8
	s_sub_i32 s20, s9, s8
	s_mul_i32 s24, s20, s13
	s_ashr_i32 s21, s20, 31
	s_sub_i32 s49, s3, s24
	s_lshl_b64 s[8:9], s[20:21], 2
	s_add_u32 s4, s4, s8
	s_addc_u32 s5, s5, s9
	s_add_u32 s22, s6, s8
	s_addc_u32 s23, s7, s9
	s_abs_i32 s3, s14
	v_cvt_f32_u32_e32 v1, s3
	s_load_dwordx2 s[34:35], s[4:5], 0x0
	s_lshl_b32 s40, s2, 5
	s_ashr_i32 s2, s14, 31
	v_rcp_iflag_f32_e32 v1, v1
	s_xor_b32 s2, s11, s2
	s_waitcnt lgkmcnt(0)
	s_sub_i32 s52, s35, s34
	s_ashr_i32 s4, s52, 31
	v_mul_f32_e32 v1, 0x4f7ffffe, v1
	v_cvt_u32_f32_e32 v1, v1
	s_lshr_b32 s4, s4, 26
	s_add_i32 s4, s52, s4
	s_ashr_i32 s50, s4, 6
	s_sub_i32 s4, 0, s3
	v_readfirstlane_b32 s5, v1
	s_mul_i32 s4, s4, s5
	s_mul_hi_u32 s4, s5, s4
	s_add_i32 s5, s5, s4
	s_mul_hi_u32 s4, s10, s5
	s_mul_i32 s5, s4, s3
	s_sub_i32 s5, s10, s5
	s_add_i32 s6, s4, 1
	s_sub_i32 s7, s5, s3
	s_cmp_ge_u32 s5, s3
	s_cselect_b32 s4, s6, s4
	s_cselect_b32 s5, s7, s5
	s_add_i32 s6, s4, 1
	s_cmp_ge_u32 s5, s3
	s_cselect_b32 s3, s6, s4
	s_xor_b32 s3, s3, s2
	s_sub_i32 s2, s3, s2
	s_abs_i32 s3, s2
	v_cvt_f32_u32_e32 v1, s3
	s_sub_i32 s5, 0, s3
	s_abs_i32 s4, s49
	s_xor_b32 s2, s49, s2
	v_rcp_iflag_f32_e32 v1, v1
	s_ashr_i32 s2, s2, 31
	s_load_dwordx4 s[16:19], s[0:1], 0x28
	s_load_dwordx2 s[28:29], s[0:1], 0x38
	v_or_b32_e32 v46, s40, v66
	v_mul_f32_e32 v1, 0x4f7ffffe, v1
	v_cvt_u32_f32_e32 v1, v1
	v_lshlrev_b32_e32 v2, 7, v46
	v_ashrrev_i32_e32 v3, 31, v2
	s_mul_hi_i32 s54, s49, s12
	v_readfirstlane_b32 s6, v1
	s_mul_i32 s5, s5, s6
	s_mul_hi_u32 s5, s6, s5
	s_add_i32 s6, s6, s5
	s_mul_hi_u32 s5, s4, s6
	s_mul_i32 s6, s5, s3
	s_sub_i32 s4, s4, s6
	s_add_i32 s6, s5, 1
	s_sub_i32 s7, s4, s3
	s_cmp_ge_u32 s4, s3
	s_cselect_b32 s5, s6, s5
	s_cselect_b32 s4, s7, s4
	s_add_i32 s6, s5, 1
	s_cmp_ge_u32 s4, s3
	s_cselect_b32 s3, s6, s5
	s_xor_b32 s3, s3, s2
	s_sub_i32 s53, s3, s2
	s_ashr_i32 s51, s49, 31
	s_mul_hi_i32 s3, s20, s13
	s_add_u32 s2, s24, s49
	s_addc_u32 s3, s3, s51
	s_lshl_b64 s[2:3], s[2:3], 15
	s_waitcnt lgkmcnt(0)
	s_add_u32 s2, s16, s2
	s_addc_u32 s3, s17, s3
	v_lshlrev_b32_e32 v1, 4, v64
	v_lshl_add_u64 v[4:5], v[2:3], 1, s[2:3]
	v_or_b32_e32 v2, 0x800, v2
	v_lshl_or_b32 v69, v65, 2, v1
	v_ashrrev_i32_e32 v3, 31, v2
	v_lshlrev_b32_e32 v6, 1, v69
	v_lshl_add_u64 v[2:3], v[2:3], 1, s[2:3]
	v_lshl_add_u64 v[4:5], v[4:5], 0, v[6:7]
	;; [unrolled: 1-line block ×3, first 2 shown]
	global_load_dwordx2 v[8:9], v[4:5], off
	v_or_b32_e32 v70, 64, v69
	global_load_dwordx2 v[4:5], v[4:5], off offset:128
	s_nop 0
	global_load_dwordx2 v[6:7], v[2:3], off
	global_load_dwordx2 v[10:11], v[2:3], off offset:128
	s_load_dwordx8 s[4:11], s[0:1], 0x0
	s_load_dwordx2 s[30:31], s[0:1], 0x80
	s_load_dwordx4 s[24:27], s[0:1], 0x70
	s_load_dword s56, s[22:23], 0x0
	s_mul_i32 s55, s49, s12
	s_cmp_lt_i32 s52, 64
	s_waitcnt lgkmcnt(0)
	s_mul_i32 s33, s20, s25
	s_mul_hi_u32 s44, s20, s24
	s_mul_i32 s36, s20, s24
	s_mul_i32 s45, s21, s24
	;; [unrolled: 1-line block ×3, first 2 shown]
	s_mul_hi_u32 s47, s49, s26
	s_mul_i32 s48, s51, s26
	s_mul_i32 s38, s49, s26
	s_waitcnt vmcnt(3)
	v_and_b32_e32 v51, 0xffff0000, v8
	v_lshlrev_b32_e32 v50, 16, v8
	v_and_b32_e32 v55, 0xffff0000, v9
	v_lshlrev_b32_e32 v54, 16, v9
	s_waitcnt vmcnt(2)
	v_and_b32_e32 v49, 0xffff0000, v4
	v_lshlrev_b32_e32 v48, 16, v4
	v_and_b32_e32 v53, 0xffff0000, v5
	v_lshlrev_b32_e32 v52, 16, v5
	;; [unrolled: 5-line block ×4, first 2 shown]
	s_cbranch_scc1 .LBB259_3
; %bb.1:
	s_ashr_i32 s3, s34, 31
	s_add_u32 s2, s55, s34
	s_addc_u32 s3, s54, s3
	s_lshl_b64 s[2:3], s[2:3], 8
	v_and_b32_e32 v78, 56, v67
	s_add_u32 s20, s6, s2
	v_lshl_or_b32 v77, v64, 3, v68
	v_lshlrev_b32_e32 v2, 1, v78
	s_addc_u32 s2, s7, s3
	v_lshl_or_b32 v80, v77, 8, v2
	s_and_b32 s21, s2, 0xffff
	s_mov_b32 s23, 0x20000
	s_movk_i32 s22, 0x4000
	s_movk_i32 s2, 0x80
	v_or_b32_e32 v81, 0x2000, v80
	buffer_load_dwordx4 v[4:7], v80, s[20:23], 0 offen
	buffer_load_dwordx4 v[8:11], v80, s[20:23], s2 offen
	;; [unrolled: 1-line block ×4, first 2 shown]
	v_lshlrev_b32_e32 v3, 3, v77
	v_and_or_b32 v21, v0, 7, v3
	v_and_b32_e32 v3, 0x78, v3
	v_lshlrev_b32_e32 v21, 4, v21
	v_xor_b32_e32 v83, v21, v3
	v_mul_lo_u32 v20, v77, s15
	v_or_b32_e32 v84, 0x1000, v83
	v_xor_b32_e32 v3, 8, v83
	s_cmpk_eq_i32 s15, 0x80
	s_mov_b32 s57, s34
	v_xor_b32_e32 v21, 8, v84
	s_cselect_b64 s[2:3], -1, 0
	s_cmpk_lg_i32 s15, 0x80
	s_waitcnt vmcnt(3)
	ds_write_b64 v83, v[4:5] offset:24576
	ds_write_b64 v3, v[6:7] offset:24576
	s_waitcnt vmcnt(2)
	ds_write_b64 v83, v[8:9] offset:32768
	ds_write_b64 v3, v[10:11] offset:32768
	;; [unrolled: 3-line block ×4, first 2 shown]
	v_lshl_add_u32 v3, v20, 1, v78
	s_cbranch_scc0 .LBB259_29
; %bb.2:
	v_lshlrev_b32_e32 v5, 1, v3
	v_add_lshl_u32 v4, v3, s15, 1
	s_lshl_b32 s22, s15, 7
	s_load_dwordx2 s[16:17], s[0:1], 0x20
	v_lshl_or_b32 v2, v77, 9, v2
	s_cbranch_execz .LBB259_30
	s_branch .LBB259_31
.LBB259_3:
	v_mov_b32_e32 v5, v79
	v_mov_b32_e32 v9, v82
.LBB259_4:
	s_lshl_b32 s26, s50, 6
	s_sub_i32 s27, s52, s26
	s_cmp_gt_i32 s27, 0
	s_cbranch_scc0 .LBB259_84
; %bb.5:
	s_add_i32 s26, s26, s34
	s_ashr_i32 s2, s26, 31
	s_cmpk_lg_i32 s15, 0x80
	s_cselect_b64 s[22:23], -1, 0
	s_and_b64 vcc, exec, s[22:23]
	s_cbranch_vccz .LBB259_7
; %bb.6:
	s_mul_i32 s1, s26, s14
	s_ashr_i32 s3, s53, 31
	s_mul_hi_i32 s0, s26, s14
	s_add_u32 s24, s1, s53
	s_addc_u32 s25, s0, s3
	s_cbranch_execz .LBB259_8
	s_branch .LBB259_9
.LBB259_7:
                                        ; implicit-def: $sgpr24_sgpr25
.LBB259_8:
	s_mul_i32 s1, s53, s12
	s_mul_hi_i32 s0, s53, s12
	s_add_u32 s24, s1, s26
	s_addc_u32 s25, s0, s2
.LBB259_9:
	s_add_i32 s3, s50, s56
	s_add_u32 s0, s55, s26
	v_lshlrev_b32_e32 v8, 5, v69
	v_lshlrev_b32_e32 v22, 2, v66
	s_addc_u32 s1, s54, s2
	s_mov_b32 s2, 0x7060302
	v_or_b32_e32 v11, v8, v22
	v_xor_b32_e32 v4, v69, v22
	v_perm_b32 v3, v55, v54, s2
	v_perm_b32 v2, v51, v50, s2
	;; [unrolled: 1-line block ×4, first 2 shown]
	v_lshlrev_b32_e32 v11, 1, v11
	s_lshl_b64 s[20:21], s[0:1], 8
	v_xor_b32_e32 v10, v70, v22
	ds_write2st64_b64 v11, v[2:3], v[6:7] offset0:80 offset1:88
	v_lshlrev_b32_e32 v11, 1, v4
	v_lshlrev_b32_e32 v4, 8, v66
	s_add_u32 s0, s6, s20
	v_or_b32_e32 v12, v11, v4
	v_lshlrev_b32_e32 v10, 1, v10
	s_addc_u32 s1, s7, s21
	ds_write_b64 v12, v[2:3]
	v_or_b32_e32 v2, v10, v4
	s_mul_hi_i32 s6, s3, s13
	s_mul_i32 s3, s3, s13
	ds_write_b64 v2, v[6:7]
	v_perm_b32 v3, v9, v75, s2
	v_perm_b32 v2, v71, v73, s2
	;; [unrolled: 1-line block ×4, first 2 shown]
	v_or_b32_e32 v6, 16, v66
	s_add_u32 s2, s3, s49
	v_lshlrev_b32_e32 v19, 2, v6
	s_addc_u32 s3, s6, s51
	v_or_b32_e32 v7, v8, v19
	s_ashr_i32 s41, s40, 31
	s_lshl_b64 s[2:3], s[2:3], 15
	v_lshlrev_b32_e32 v7, 1, v7
	v_lshlrev_b32_e32 v6, 8, v6
	s_add_u32 s6, s18, s2
	ds_write2st64_b64 v7, v[2:3], v[4:5] offset0:80 offset1:88
	v_or_b32_e32 v7, v11, v6
	s_addc_u32 s7, s19, s3
	s_lshl_b64 s[2:3], s[40:41], 8
	ds_write_b64 v7, v[2:3]
	v_or_b32_e32 v2, v10, v6
	s_add_u32 s2, s6, s2
	ds_write_b64 v2, v[4:5]
	v_lshrrev_b32_e32 v2, 4, v0
	s_addc_u32 s3, s7, s3
	v_lshlrev_b32_e32 v3, 1, v66
	v_lshlrev_b32_e32 v10, 4, v66
	v_mov_b32_e32 v11, 0
	v_or_b32_e32 v4, 1, v3
	v_xor_b32_e32 v3, v2, v3
	v_lshl_add_u64 v[12:13], s[2:3], 0, v[10:11]
	v_lshlrev_b32_e32 v10, 8, v2
	v_xor_b32_e32 v6, v4, v2
	v_lshl_or_b32 v2, v3, 3, v10
	s_waitcnt lgkmcnt(0)
	s_barrier
	ds_read2st64_b64 v[2:5], v2 offset1:8
	v_lshl_or_b32 v6, v6, 3, v10
	ds_read2st64_b64 v[6:9], v6 offset1:8
	v_lshl_add_u64 v[14:15], v[12:13], 0, v[10:11]
	s_movk_i32 s2, 0x1000
	s_waitcnt lgkmcnt(1)
	v_mov_b32_e32 v10, v2
	v_add_co_u32_e32 v2, vcc, s2, v14
	s_cmp_lg_u32 s27, 64
	v_mov_b32_e32 v11, v3
	v_addc_co_u32_e32 v3, vcc, 0, v15, vcc
	s_cselect_b64 s[6:7], -1, 0
	v_lshl_or_b32 v23, v64, 3, v68
	s_waitcnt lgkmcnt(0)
	v_mov_b32_e32 v12, v6
	v_mov_b32_e32 v13, v7
	;; [unrolled: 1-line block ×4, first 2 shown]
	s_mov_b32 s16, 0
	v_or_b32_e32 v20, 32, v23
	v_and_b32_e32 v18, 56, v67
	s_and_b64 vcc, exec, s[6:7]
	global_store_dwordx4 v[14:15], v[10:13], off
	global_store_dwordx4 v[2:3], v[6:9], off
	s_cbranch_vccz .LBB259_15
; %bb.10:
	s_mov_b32 s17, s16
	s_mov_b32 s18, s16
	;; [unrolled: 1-line block ×3, first 2 shown]
	v_mov_b64_e32 v[6:7], s[16:17]
	v_mov_b64_e32 v[8:9], s[18:19]
	;; [unrolled: 1-line block ×3, first 2 shown]
	v_cmp_gt_i32_e32 vcc, s27, v23
	v_mov_b64_e32 v[4:5], v[8:9]
	s_and_saveexec_b64 s[2:3], vcc
	s_cbranch_execz .LBB259_12
; %bb.11:
	v_lshlrev_b32_e32 v2, 8, v23
	v_mov_b32_e32 v3, 0
	v_lshl_add_u64 v[4:5], s[0:1], 0, v[2:3]
	v_lshlrev_b32_e32 v2, 1, v18
	v_lshl_add_u64 v[10:11], v[4:5], 0, v[2:3]
	global_load_dwordx4 v[6:9], v[10:11], off
	global_load_dwordx4 v[2:5], v[10:11], off offset:128
.LBB259_12:
	s_or_b64 exec, exec, s[2:3]
	s_mov_b32 s17, s16
	s_mov_b32 s18, s16
	;; [unrolled: 1-line block ×3, first 2 shown]
	v_mov_b64_e32 v[14:15], s[16:17]
	v_mov_b64_e32 v[16:17], s[18:19]
	;; [unrolled: 1-line block ×3, first 2 shown]
	v_cmp_gt_i32_e32 vcc, s27, v20
	v_lshlrev_b32_e32 v21, 7, v20
	v_mov_b64_e32 v[12:13], v[16:17]
	s_and_saveexec_b64 s[2:3], vcc
	s_cbranch_execz .LBB259_14
; %bb.13:
	v_lshlrev_b32_e32 v10, 1, v21
	v_mov_b32_e32 v11, 0
	v_lshl_add_u64 v[12:13], s[0:1], 0, v[10:11]
	v_lshlrev_b32_e32 v10, 1, v18
	v_lshl_add_u64 v[24:25], v[12:13], 0, v[10:11]
	global_load_dwordx4 v[14:17], v[24:25], off
	global_load_dwordx4 v[10:13], v[24:25], off offset:128
.LBB259_14:
	s_or_b64 exec, exec, s[2:3]
	v_lshrrev_b32_e32 v24, 3, v18
	v_lshlrev_b32_e32 v25, 3, v23
	v_or_b32_e32 v24, v25, v24
	v_lshlrev_b32_e32 v24, 4, v24
	v_and_b32_e32 v25, 0x78, v25
	v_xor_b32_e32 v24, v24, v25
	s_branch .LBB259_17
.LBB259_15:
                                        ; implicit-def: $vgpr24
                                        ; implicit-def: $vgpr21
                                        ; implicit-def: $vgpr6_vgpr7_vgpr8_vgpr9
                                        ; implicit-def: $vgpr2_vgpr3_vgpr4_vgpr5
                                        ; implicit-def: $vgpr14_vgpr15_vgpr16_vgpr17
                                        ; implicit-def: $vgpr10_vgpr11_vgpr12_vgpr13
	s_cbranch_execz .LBB259_17
; %bb.16:
	s_waitcnt vmcnt(0)
	v_lshlrev_b32_e32 v2, 1, v18
	v_lshl_or_b32 v21, v23, 8, v2
	s_and_b32 s1, s1, 0xffff
	s_mov_b32 s3, 0x20000
	s_movk_i32 s2, 0x4000
	v_lshl_or_b32 v24, v20, 8, v2
	s_movk_i32 s12, 0x80
	buffer_load_dwordx4 v[6:9], v21, s[0:3], 0 offen
	buffer_load_dwordx4 v[2:5], v21, s[0:3], s12 offen
	;; [unrolled: 1-line block ×4, first 2 shown]
	v_lshrrev_b32_e32 v21, 3, v18
	v_lshlrev_b32_e32 v24, 3, v23
	v_or_b32_e32 v21, v24, v21
	v_lshlrev_b32_e32 v21, 4, v21
	v_and_b32_e32 v24, 0x78, v24
	v_xor_b32_e32 v24, v21, v24
	v_lshlrev_b32_e32 v21, 7, v20
.LBB259_17:
	s_lshl_b64 s[0:1], s[24:25], 8
	s_add_u32 s4, s4, s0
	s_movk_i32 s0, 0x1000
	v_and_or_b32 v20, v21, s0, v24
	s_waitcnt vmcnt(1)
	ds_write_b64 v24, v[6:7] offset:24576
	v_xor_b32_e32 v6, 8, v24
	ds_write_b64 v6, v[8:9] offset:24576
	s_waitcnt vmcnt(0)
	ds_write_b64 v24, v[2:3] offset:32768
	ds_write_b64 v6, v[4:5] offset:32768
	ds_write_b64 v20, v[14:15] offset:24576
	v_xor_b32_e32 v2, 8, v20
	ds_write_b64 v2, v[16:17] offset:24576
	ds_write_b64 v20, v[10:11] offset:32768
	;; [unrolled: 1-line block ×3, first 2 shown]
	v_or_b32_e32 v2, v1, v66
	v_lshlrev_b32_e32 v3, 11, v64
	v_lshlrev_b32_e32 v2, 3, v2
	v_and_b32_e32 v6, 0x1000, v3
	v_lshrrev_b32_e32 v3, 5, v45
	s_movk_i32 s3, 0xf8
	v_and_or_b32 v3, v2, s3, v3
	v_lshlrev_b32_e32 v7, 4, v3
	v_and_b32_e32 v8, 0x78, v2
	v_or_b32_e32 v10, 32, v7
	v_lshrrev_b32_e32 v3, 1, v45
	v_xor_b32_e32 v10, v10, v8
	v_xor_b32_e32 v2, v7, v8
	v_and_b32_e32 v9, 8, v3
	v_or_b32_e32 v10, v10, v6
	v_or_b32_e32 v2, v2, v6
	v_xor_b32_e32 v26, v10, v9
	v_or_b32_e32 v10, 64, v7
	v_xor_b32_e32 v25, v2, v9
	v_xor_b32_e32 v10, v10, v8
	s_waitcnt lgkmcnt(0)
	s_barrier
	v_or_b32_e32 v12, v10, v6
	ds_read_b64 v[10:11], v25 offset:24576
	v_lshl_or_b32 v20, v65, 7, v22
	v_lshlrev_b32_e32 v24, 1, v20
	v_add_u32_e32 v2, 0xa000, v24
	ds_read2_b64 v[2:5], v2 offset1:16
	v_or_b32_e32 v7, 0x60, v7
	v_xor_b32_e32 v7, v7, v8
	s_waitcnt lgkmcnt(0)
	v_mfma_f32_16x16x16_bf16 a[0:3], v[10:11], v[2:3], 0
	v_or_b32_e32 v2, 64, v20
	v_or_b32_e32 v6, v7, v6
	v_lshlrev_b32_e32 v29, 1, v2
	v_xor_b32_e32 v27, v12, v9
	v_xor_b32_e32 v28, v6, v9
	ds_read_b64 v[12:13], v26 offset:24576
	ds_read_b64 v[14:15], v27 offset:24576
	;; [unrolled: 1-line block ×3, first 2 shown]
	v_mfma_f32_16x16x16_bf16 a[4:7], v[10:11], v[4:5], 0
	ds_read2st64_b64 v[2:5], v29 offset0:82 offset1:84
	ds_read2st64_b64 v[6:9], v24 offset0:82 offset1:84
	s_addc_u32 s5, s5, s1
	s_add_i32 s1, s44, s33
	s_add_i32 s0, s35, -1
	s_add_i32 s37, s1, s45
	s_add_i32 s1, s47, s46
	;; [unrolled: 1-line block ×3, first 2 shown]
	s_ashr_i32 s1, s0, 31
	s_mul_i32 s2, s0, s31
	s_mul_hi_u32 s3, s0, s30
	s_add_i32 s2, s3, s2
	s_mul_i32 s1, s1, s30
	s_waitcnt lgkmcnt(1)
	v_mfma_f32_16x16x16_bf16 a[4:7], v[12:13], v[2:3], a[4:7]
	s_add_i32 s1, s2, s1
	s_lshl_b64 s[2:3], s[36:37], 2
	s_add_u32 s10, s10, s2
	s_waitcnt lgkmcnt(0)
	v_mfma_f32_16x16x16_bf16 a[0:3], v[12:13], v[6:7], a[0:3]
	s_addc_u32 s11, s11, s3
	s_lshl_b64 s[2:3], s[38:39], 2
	s_mul_i32 s0, s0, s30
	s_add_u32 s10, s10, s2
	ds_read_b64 v[2:3], v24 offset:44032
	v_mfma_f32_16x16x16_bf16 a[4:7], v[14:15], v[4:5], a[4:7]
	ds_read_b64 v[4:5], v29 offset:44032
	s_addc_u32 s11, s11, s3
	s_lshl_b64 s[0:1], s[0:1], 2
	v_mfma_f32_16x16x16_bf16 a[0:3], v[14:15], v[8:9], a[0:3]
	s_add_u32 s0, s10, s0
	s_addc_u32 s1, s11, s1
	s_load_dword s12, s[0:1], 0x0
	s_waitcnt lgkmcnt(0)
	v_mfma_f32_16x16x16_bf16 a[0:3], v[16:17], v[2:3], a[0:3]
	s_and_b64 vcc, exec, s[22:23]
	v_mfma_f32_16x16x16_bf16 a[4:7], v[16:17], v[4:5], a[4:7]
	s_cbranch_vccz .LBB259_28
; %bb.18:
	v_lshlrev_b32_e32 v20, 1, v23
	s_and_b64 vcc, exec, s[6:7]
	s_cbranch_vccz .LBB259_44
; %bb.19:
	v_cmp_gt_i32_e32 vcc, s27, v20
	v_mov_b32_e32 v6, 0
	v_mov_b32_e32 v2, 0
	;; [unrolled: 1-line block ×5, first 2 shown]
	s_and_saveexec_b64 s[0:1], vcc
	s_cbranch_execz .LBB259_21
; %bb.20:
	v_mad_i64_i32 v[2:3], s[2:3], s15, v20, 0
	v_lshl_add_u64 v[2:3], v[2:3], 1, s[4:5]
	v_lshlrev_b32_e32 v4, 1, v18
	v_mov_b32_e32 v5, 0
	v_lshl_add_u64 v[2:3], v[2:3], 0, v[4:5]
	global_load_dwordx4 v[2:5], v[2:3], off
.LBB259_21:
	s_or_b64 exec, exec, s[0:1]
	v_or_b32_e32 v21, 1, v20
	v_cmp_gt_i32_e64 s[0:1], s27, v21
	v_mov_b32_e32 v7, 0
	v_mov_b32_e32 v8, 0
	;; [unrolled: 1-line block ×3, first 2 shown]
	s_and_saveexec_b64 s[2:3], s[0:1]
	s_cbranch_execz .LBB259_23
; %bb.22:
	v_mad_i64_i32 v[6:7], s[16:17], s15, v21, 0
	v_lshl_add_u64 v[6:7], v[6:7], 1, s[4:5]
	v_lshlrev_b32_e32 v8, 1, v18
	v_mov_b32_e32 v9, 0
	v_lshl_add_u64 v[6:7], v[6:7], 0, v[8:9]
	global_load_dwordx4 v[6:9], v[6:7], off
.LBB259_23:
	s_or_b64 exec, exec, s[2:3]
	v_mov_b32_e32 v17, 0
	v_mov_b32_e32 v10, 0
	;; [unrolled: 1-line block ×5, first 2 shown]
	s_and_saveexec_b64 s[2:3], vcc
	s_cbranch_execz .LBB259_25
; %bb.24:
	v_mad_i64_i32 v[10:11], s[16:17], s15, v20, 0
	v_lshl_add_u64 v[10:11], v[10:11], 1, s[4:5]
	v_lshlrev_b32_e32 v12, 1, v18
	v_mov_b32_e32 v13, 0
	v_lshl_add_u64 v[10:11], v[10:11], 0, v[12:13]
	global_load_dwordx4 v[10:13], v[10:11], off offset:128
.LBB259_25:
	s_or_b64 exec, exec, s[2:3]
	v_mov_b32_e32 v16, 0
	v_mov_b32_e32 v15, 0
	;; [unrolled: 1-line block ×3, first 2 shown]
	s_and_saveexec_b64 s[2:3], s[0:1]
	s_cbranch_execz .LBB259_27
; %bb.26:
	v_mad_i64_i32 v[14:15], s[0:1], s15, v21, 0
	v_lshl_add_u64 v[14:15], v[14:15], 1, s[4:5]
	v_lshlrev_b32_e32 v16, 1, v18
	v_mov_b32_e32 v17, 0
	v_lshl_add_u64 v[14:15], v[14:15], 0, v[16:17]
	global_load_dwordx4 v[14:17], v[14:15], off offset:128
.LBB259_27:
	s_or_b64 exec, exec, s[2:3]
	s_branch .LBB259_46
.LBB259_28:
                                        ; implicit-def: $vgpr5
                                        ; implicit-def: $vgpr9
                                        ; implicit-def: $vgpr13
                                        ; implicit-def: $vgpr17
	v_lshrrev_b32_e32 v30, 2, v45
	s_branch .LBB259_47
.LBB259_29:
                                        ; implicit-def: $vgpr4
                                        ; implicit-def: $vgpr5
                                        ; implicit-def: $sgpr22
	s_load_dwordx2 s[16:17], s[0:1], 0x20
	v_lshl_or_b32 v2, v77, 9, v2
.LBB259_30:
	v_or_b32_e32 v4, 0x100, v2
	s_movk_i32 s22, 0x4000
	v_mov_b32_e32 v5, v2
.LBB259_31:
	s_mul_i32 s0, s34, s14
	s_ashr_i32 s58, s53, 31
	s_mul_hi_i32 s1, s34, s14
	s_add_u32 s0, s0, s53
	s_addc_u32 s1, s1, s58
	s_lshl_b64 s[0:1], s[0:1], 8
	s_add_u32 s20, s4, s0
	s_addc_u32 s0, s5, s1
	s_and_b32 s21, s0, 0xffff
	s_movk_i32 s59, 0x80
	buffer_load_dwordx4 v[6:9], v5, s[20:23], 0 offen
	buffer_load_dwordx4 v[10:13], v5, s[20:23], s59 offen
	;; [unrolled: 1-line block ×4, first 2 shown]
	v_and_b32_e32 v4, 6, v0
	v_lshlrev_b32_e32 v23, 6, v69
	v_or_b32_e32 v25, 16, v66
	v_xor_b32_e32 v26, v77, v4
	v_and_b32_e32 v5, 1, v0
	v_lshl_or_b32 v29, v66, 3, v23
	v_lshl_or_b32 v23, v25, 3, v23
	v_lshlrev_b32_e32 v26, 2, v26
	v_lshlrev_b32_e32 v22, 2, v66
	v_or_b32_e32 v87, 0xa000, v23
	v_or_b32_e32 v88, 0xb000, v23
	v_xor_b32_e32 v23, 0x440, v26
	v_cmp_eq_u32_e32 vcc, 0, v5
	s_add_i32 s0, s44, s33
	v_xor_b32_e32 v27, v69, v22
	v_xor_b32_e32 v28, v70, v22
	v_cndmask_b32_e32 v5, v23, v26, vcc
	s_add_i32 s1, s47, s46
	s_add_i32 s37, s0, s45
	s_mov_b32 s60, 0x1000504
	v_lshlrev_b32_e32 v24, 8, v66
	v_lshlrev_b32_e32 v25, 8, v25
	;; [unrolled: 1-line block ×4, first 2 shown]
	v_lshl_or_b32 v4, v4, 10, v5
	s_add_i32 s39, s1, s48
	s_lshl_b64 s[0:1], s[36:37], 2
	s_mov_b32 s61, 0x3020706
	v_or_b32_e32 v85, 0xa000, v29
	v_or_b32_e32 v86, 0xb000, v29
	;; [unrolled: 1-line block ×5, first 2 shown]
	v_xor_b32_e32 v5, 8, v4
	v_xor_b32_e32 v24, 24, v4
	;; [unrolled: 1-line block ×4, first 2 shown]
	s_add_u32 s20, s10, s0
	v_or_b32_e32 v91, v25, v27
	v_xor_b32_e32 v23, 16, v4
	v_xor_b32_e32 v25, 32, v4
	;; [unrolled: 1-line block ×3, first 2 shown]
	v_add_u32_e32 v5, 0x80, v5
	v_add_u32_e32 v24, 0x80, v24
	;; [unrolled: 1-line block ×4, first 2 shown]
	s_addc_u32 s21, s11, s1
	s_lshl_b64 s[0:1], s[38:39], 2
	s_add_u32 s42, s20, s0
	s_movk_i32 s0, 0xf8
	s_addc_u32 s43, s21, s1
	s_ashr_i32 s41, s40, 31
	s_lshl_b32 s26, s15, 7
	s_movk_i32 s20, 0x100
	v_mov_b32_e32 v57, 0
	v_lshlrev_b32_e32 v56, 4, v66
	v_cmp_gt_u32_e32 vcc, s20, v0
	v_ashrrev_i32_e32 v47, 31, v46
	s_mov_b32 s62, 0
	s_movk_i32 s37, 0x1000
	s_movk_i32 s22, 0x4000
	s_mov_b32 s39, 0x7060302
	s_waitcnt vmcnt(1)
	v_perm_b32 v29, v6, v14, s60
	s_waitcnt vmcnt(0)
	v_perm_b32 v30, v10, v18, s60
	v_perm_b32 v6, v6, v14, s61
	;; [unrolled: 1-line block ×15, first 2 shown]
	ds_write2st64_b32 v4, v29, v30 offset0:32 offset1:64
	ds_write2st64_b32 v5, v6, v10 offset0:32 offset1:64
	;; [unrolled: 1-line block ×8, first 2 shown]
	v_or_b32_e32 v4, v1, v66
	v_lshlrev_b32_e32 v4, 3, v4
	v_lshrrev_b32_e32 v7, 5, v45
	v_and_or_b32 v7, v4, s0, v7
	v_lshlrev_b32_e32 v7, 4, v7
	v_lshlrev_b32_e32 v9, 11, v64
	v_and_b32_e32 v4, 0x78, v4
	v_or_b32_e32 v12, 32, v7
	v_and_b32_e32 v6, 0x1000, v9
	v_lshrrev_b32_e32 v10, 1, v45
	v_xor_b32_e32 v12, v12, v4
	v_xor_b32_e32 v8, v7, v4
	v_and_b32_e32 v10, 8, v10
	v_or_b32_e32 v12, v12, v6
	v_or_b32_e32 v8, v8, v6
	v_lshlrev_b32_e32 v11, 7, v65
	v_xor_b32_e32 v95, v12, v10
	v_or_b32_e32 v12, 64, v7
	v_or_b32_e32 v7, 0x60, v7
	v_xor_b32_e32 v93, v8, v10
	v_or_b32_e32 v8, v11, v22
	v_xor_b32_e32 v12, v12, v4
	v_xor_b32_e32 v4, v7, v4
	s_lshl_b64 s[0:1], s[40:41], 8
	v_lshlrev_b32_e32 v8, 1, v8
	v_or_b32_e32 v12, v12, v6
	v_or_b32_e32 v4, v4, v6
	s_add_u32 s0, s18, s0
	v_lshlrev_b32_e32 v6, 1, v66
	v_or_b32_e32 v94, 0xa000, v8
	v_or_b32_e32 v96, 0xa080, v8
	;; [unrolled: 1-line block ×4, first 2 shown]
	v_lshrrev_b32_e32 v8, 4, v0
	s_addc_u32 s1, s19, s1
	v_or_b32_e32 v7, 1, v6
	v_mov_b32_e32 v17, 0x4000
	v_mov_b32_e32 v18, 0x2000
	v_lshrrev_b32_e32 v19, 1, v0
	v_xor_b32_e32 v97, v12, v10
	v_xor_b32_e32 v98, v4, v10
	;; [unrolled: 1-line block ×4, first 2 shown]
	v_lshl_add_u64 v[6:7], s[0:1], 0, v[56:57]
	v_lshlrev_b32_e32 v56, 8, v8
	v_cndmask_b32_e32 v17, v17, v18, vcc
	v_lshlrev_b32_e32 v18, 3, v64
	v_and_b32_e32 v19, 24, v19
	v_lshl_or_b32 v101, v10, 3, v56
	v_and_b32_e32 v10, 8, v0
	v_xor_b32_e32 v20, v18, v19
	v_or_b32_e32 v21, 0x440, v20
	v_cmp_eq_u32_e32 vcc, 0, v10
	v_and_b32_e32 v8, 7, v0
	v_lshl_or_b32 v102, v14, 3, v56
	v_cndmask_b32_e32 v10, v21, v20, vcc
	v_lshlrev_b32_e32 v14, 3, v8
	v_lshlrev_b32_e32 v16, 2, v0
	v_or_b32_e32 v10, v10, v9
	v_xor_b32_e32 v20, v10, v14
	v_and_or_b32 v10, v16, 60, v11
	v_mov_b32_e32 v11, 0xb000
	v_lshl_or_b32 v103, v10, 1, v11
	v_or_b32_e32 v10, 32, v19
	v_xor_b32_e32 v10, v18, v10
	v_or_b32_e32 v11, 0x440, v10
	v_cndmask_b32_e32 v10, v11, v10, vcc
	v_or_b32_e32 v10, v10, v9
	v_xor_b32_e32 v11, v10, v14
	v_or_b32_e32 v10, 64, v19
	v_xor_b32_e32 v10, v18, v10
	v_xor_b32_e32 v22, 0x440, v10
	v_cndmask_b32_e32 v10, v22, v10, vcc
	v_or_b32_e32 v10, v10, v9
	v_xor_b32_e32 v22, v10, v14
	v_or_b32_e32 v10, 0x60, v19
	v_xor_b32_e32 v10, v18, v10
	v_xor_b32_e32 v18, 0x440, v10
	v_cndmask_b32_e32 v10, v18, v10, vcc
	v_lshrrev_b32_e32 v5, 2, v45
	v_or_b32_e32 v9, v10, v9
	v_and_b32_e32 v5, 12, v5
	v_lshlrev_b32_e32 v12, 1, v3
	v_add_lshl_u32 v3, v3, s15, 1
	v_or_b32_e32 v13, 0x100, v2
	v_xor_b32_e32 v9, v9, v14
	v_lshlrev_b32_e32 v4, 7, v69
	v_lshlrev_b32_e32 v15, 7, v8
	v_or_b32_e32 v8, v5, v1
	v_add_u32_e32 v21, v17, v20
	v_add_u32_e32 v16, v17, v11
	;; [unrolled: 1-line block ×4, first 2 shown]
	v_or3_b32 v10, v1, v5, 64
	v_add_u32_e32 v5, 0x4000, v20
	v_add_u32_e32 v11, 0x4000, v11
	v_add_u32_e32 v17, 0x4000, v22
	v_add_u32_e32 v9, 0x4000, v9
	v_cndmask_b32_e64 v104, v12, v2, s[2:3]
	v_cndmask_b32_e64 v105, v3, v13, s[2:3]
	v_lshlrev_b64 v[2:3], 1, v[46:47]
	v_lshl_add_u64 v[58:59], s[8:9], 0, v[2:3]
	v_lshl_add_u64 v[60:61], s[28:29], 0, v[2:3]
	;; [unrolled: 1-line block ×3, first 2 shown]
	v_lshlrev_b32_e32 v56, 1, v4
	v_lshlrev_b32_e32 v47, 2, v8
	v_add_u32_e32 v106, v21, v15
	v_add_u32_e32 v107, v16, v15
	;; [unrolled: 1-line block ×4, first 2 shown]
	v_lshlrev_b32_e32 v110, 2, v10
	v_add_u32_e32 v111, v5, v15
	v_add_u32_e32 v112, v11, v15
	;; [unrolled: 1-line block ×4, first 2 shown]
	s_waitcnt lgkmcnt(0)
	s_barrier
.LBB259_32:                             ; =>This Inner Loop Header: Depth=1
	s_add_i32 s41, s62, 1
	s_cmp_lt_i32 s41, s50
	s_mov_b64 s[24:25], 0
	s_cselect_b64 s[2:3], -1, 0
	s_cmp_ge_i32 s41, s50
	s_mov_b64 s[20:21], 0
	s_cbranch_scc1 .LBB259_34
; %bb.33:                               ;   in Loop: Header=BB259_32 Depth=1
	s_add_i32 s0, s57, 64
	s_ashr_i32 s1, s0, 31
	s_add_u32 s0, s55, s0
	s_addc_u32 s1, s54, s1
	s_lshl_b64 s[0:1], s[0:1], 8
	s_add_u32 s20, s6, s0
	s_addc_u32 s21, s7, s1
.LBB259_34:                             ;   in Loop: Header=BB259_32 Depth=1
	v_cndmask_b32_e64 v2, 0, 1, s[2:3]
	v_cmp_ne_u32_e64 s[0:1], 1, v2
	s_andn2_b64 vcc, exec, s[2:3]
	s_cbranch_vccnz .LBB259_36
; %bb.35:                               ;   in Loop: Header=BB259_32 Depth=1
	s_add_i32 s2, s57, 64
	s_mul_hi_i32 s3, s2, s14
	s_mul_i32 s2, s2, s14
	s_add_u32 s2, s2, s53
	s_addc_u32 s3, s3, s58
	s_lshl_b64 s[2:3], s[2:3], 8
	s_add_u32 s24, s4, s2
	s_addc_u32 s25, s5, s3
.LBB259_36:                             ;   in Loop: Header=BB259_32 Depth=1
	v_perm_b32 v3, v55, v54, s39
	v_perm_b32 v2, v51, v50, s39
	;; [unrolled: 1-line block ×4, first 2 shown]
	ds_write_b64 v85, v[2:3]
	ds_write_b64 v86, v[4:5]
	;; [unrolled: 1-line block ×4, first 2 shown]
	v_perm_b32 v3, v82, v75, s39
	v_perm_b32 v2, v71, v73, s39
	;; [unrolled: 1-line block ×4, first 2 shown]
	ds_write_b64 v87, v[2:3]
	ds_write_b64 v88, v[4:5]
	;; [unrolled: 1-line block ×4, first 2 shown]
	s_waitcnt lgkmcnt(0)
	s_barrier
	ds_read_b64 v[6:7], v93 offset:24576
	ds_read2_b64 v[2:5], v94 offset1:16
	ds_read_b64 v[10:11], v96 offset:3072
	ds_read_b64 v[12:13], v94 offset:3072
	;; [unrolled: 1-line block ×3, first 2 shown]
	s_waitcnt lgkmcnt(3)
	v_mfma_f32_16x16x16_bf16 a[0:3], v[6:7], v[2:3], 0
	s_add_i32 s63, s57, 63
	s_ashr_i32 s2, s63, 31
	s_mul_i32 s3, s63, s31
	v_mfma_f32_16x16x16_bf16 a[4:7], v[6:7], v[4:5], 0
	ds_read2st64_b64 v[2:5], v94 offset0:2 offset1:4
	s_mul_hi_u32 s27, s63, s30
	s_add_i32 s3, s27, s3
	s_waitcnt lgkmcnt(0)
	v_mfma_f32_16x16x16_bf16 a[0:3], v[14:15], v[2:3], a[0:3]
	ds_read2st64_b64 v[6:9], v96 offset0:2 offset1:4
	ds_read_b64 v[2:3], v97 offset:24576
	s_mul_i32 s2, s2, s30
	s_add_i32 s3, s3, s2
	s_waitcnt lgkmcnt(1)
	v_mfma_f32_16x16x16_bf16 a[4:7], v[14:15], v[6:7], a[4:7]
	ds_read_b64 v[6:7], v98 offset:24576
	s_mul_i32 s2, s63, s30
	s_lshl_b64 s[2:3], s[2:3], 2
	s_waitcnt lgkmcnt(1)
	v_mfma_f32_16x16x16_bf16 a[0:3], v[2:3], v[4:5], a[0:3]
	s_add_u32 s2, s42, s2
	s_addc_u32 s3, s43, s3
	s_and_b64 vcc, exec, s[0:1]
	v_mfma_f32_16x16x16_bf16 a[8:11], v[2:3], v[8:9], a[4:7]
	v_mov_b32_e32 v117, 0
	v_mov_b32_e32 v116, 0
	;; [unrolled: 1-line block ×3, first 2 shown]
	s_waitcnt lgkmcnt(0)
	v_mfma_f32_16x16x16_bf16 a[4:7], v[6:7], v[12:13], a[0:3]
	v_mov_b32_e32 v2, 0
	v_mov_b32_e32 v3, 0
	v_mov_b32_e32 v4, 0
	v_mfma_f32_16x16x16_bf16 a[0:3], v[6:7], v[10:11], a[8:11]
	v_mov_b32_e32 v5, 0
	v_mov_b32_e32 v6, 0
	v_mov_b32_e32 v7, 0
	v_mov_b32_e32 v8, 0
	v_mov_b32_e32 v9, 0
	v_mov_b32_e32 v10, 0
	v_mov_b32_e32 v11, 0
	v_mov_b32_e32 v12, 0
	v_mov_b32_e32 v13, 0
	v_mov_b32_e32 v14, 0
	v_mov_b32_e32 v15, 0
	v_mov_b32_e32 v16, 0
	v_mov_b32_e32 v17, 0
	s_cbranch_vccnz .LBB259_38
; %bb.37:                               ;   in Loop: Header=BB259_32 Depth=1
	s_and_b32 s21, s21, 0xffff
	buffer_load_dwordx4 v[14:17], v80, s[20:23], 0 offen
	buffer_load_dwordx4 v[10:13], v80, s[20:23], s59 offen
	;; [unrolled: 1-line block ×4, first 2 shown]
	v_mov_b32_e32 v116, v83
	v_mov_b32_e32 v115, v84
.LBB259_38:                             ;   in Loop: Header=BB259_32 Depth=1
	ds_read_b64 v[26:27], v93 offset:32768
	ds_read2_b64 v[18:21], v99 offset1:16
	ds_read_b64 v[28:29], v95 offset:32768
	ds_read_b64 v[30:31], v97 offset:32768
	ds_read_b64 v[32:33], v98 offset:32768
	ds_read2st64_b64 v[22:25], v99 offset0:2 offset1:4
	v_add_u32_e32 v34, s57, v69
	s_waitcnt lgkmcnt(4)
	v_mfma_f32_16x16x16_bf16 a[4:7], v[26:27], v[18:19], a[4:7]
	v_ashrrev_i32_e32 v18, 31, v34
	v_mov_b32_e32 v118, 0
	v_mfma_f32_16x16x16_bf16 a[0:3], v[26:27], v[20:21], a[0:3]
	v_mul_lo_u32 v20, v34, s31
	v_mul_lo_u32 v21, v18, s30
	v_mad_u64_u32 v[18:19], s[20:21], v34, s30, 0
	v_add3_u32 v19, v19, v20, v21
	v_add_u32_e32 v20, 1, v34
	v_ashrrev_i32_e32 v21, 31, v20
	s_waitcnt lgkmcnt(0)
	v_mfma_f32_16x16x16_bf16 a[4:7], v[28:29], v[22:23], a[4:7]
	v_mul_lo_u32 v22, v21, s30
	v_mul_lo_u32 v23, v20, s31
	v_mad_u64_u32 v[20:21], s[20:21], v20, s30, 0
	v_add3_u32 v21, v21, v23, v22
	v_add_u32_e32 v22, 2, v34
	v_ashrrev_i32_e32 v23, 31, v22
	v_mul_lo_u32 v26, v23, s30
	v_mul_lo_u32 v27, v22, s31
	v_mad_u64_u32 v[22:23], s[20:21], v22, s30, 0
	v_add3_u32 v23, v23, v27, v26
	v_add_u32_e32 v26, 3, v34
	v_ashrrev_i32_e32 v27, 31, v26
	v_mul_lo_u32 v34, v27, s30
	v_mul_lo_u32 v35, v26, s31
	v_mad_u64_u32 v[26:27], s[20:21], v26, s30, 0
	s_ashr_i32 s21, s57, 31
	v_add3_u32 v27, v27, v35, v34
	s_add_u32 s20, s55, s57
	v_lshl_add_u64 v[18:19], v[18:19], 2, s[42:43]
	v_lshl_add_u64 v[26:27], v[26:27], 2, s[42:43]
	s_addc_u32 s21, s54, s21
	v_lshl_add_u64 v[20:21], v[20:21], 2, s[42:43]
	v_lshl_add_u64 v[22:23], v[22:23], 2, s[42:43]
	global_load_dword v34, v[18:19], off
	global_load_dword v35, v[20:21], off
	global_load_dword v36, v[22:23], off
	s_nop 0
	global_load_dword v27, v[26:27], off
	s_lshl_b64 s[20:21], s[20:21], 8
	v_lshl_add_u64 v[18:19], v[58:59], 0, s[20:21]
	v_lshl_add_u64 v[22:23], v[18:19], 0, v[56:57]
	global_load_ushort v37, v[22:23], off offset:256
	global_load_ushort v38, v[22:23], off
	global_load_ushort v39, v[22:23], off offset:768
	global_load_ushort v40, v[22:23], off offset:512
	ds_read2st64_b64 v[18:21], v100 offset0:2 offset1:4
	global_load_ushort v41, v[22:23], off offset:800
	global_load_ushort v42, v[22:23], off offset:544
	;; [unrolled: 1-line block ×4, first 2 shown]
	s_waitcnt lgkmcnt(0)
	v_mfma_f32_16x16x16_bf16 a[0:3], v[28:29], v[18:19], a[0:3]
	s_and_b64 vcc, exec, s[0:1]
	s_waitcnt vmcnt(7)
	v_lshlrev_b32_e32 v29, 16, v37
	v_mfma_f32_16x16x16_bf16 a[4:7], v[30:31], v[24:25], a[4:7]
	s_waitcnt vmcnt(6)
	v_lshlrev_b32_e32 v28, 16, v38
	v_mfma_f32_16x16x16_bf16 a[0:3], v[30:31], v[20:21], a[0:3]
	ds_read_b64 v[18:19], v99 offset:3072
	ds_read_b64 v[20:21], v100 offset:3072
	s_load_dword s2, s[2:3], 0x0
	s_waitcnt vmcnt(5)
	v_lshlrev_b32_e32 v31, 16, v39
	s_waitcnt lgkmcnt(0)
	v_mfma_f32_16x16x16_bf16 a[4:7], v[32:33], v[18:19], a[4:7]
	v_lshl_add_u64 v[18:19], v[60:61], 0, s[20:21]
	v_sub_f32_e32 v26, s2, v34
	v_sub_f32_e32 v30, s2, v35
	v_mfma_f32_16x16x16_bf16 a[0:3], v[32:33], v[20:21], a[0:3]
	v_sub_f32_e32 v32, s2, v36
	v_sub_f32_e32 v33, s2, v27
	v_exp_f32_e32 v26, v26
	v_exp_f32_e32 v27, v30
	;; [unrolled: 1-line block ×4, first 2 shown]
	v_accvgpr_read_b32 v25, a5
	v_accvgpr_read_b32 v21, a7
	v_accvgpr_read_b32 v20, a6
	v_accvgpr_read_b32 v24, a4
	s_waitcnt vmcnt(4)
	v_lshlrev_b32_e32 v30, 16, v40
	v_lshl_add_u64 v[18:19], v[18:19], 0, v[56:57]
	v_pk_add_f32 v[24:25], v[28:29], v[24:25] neg_lo:[0,1] neg_hi:[0,1]
	v_pk_add_f32 v[20:21], v[30:31], v[20:21] neg_lo:[0,1] neg_hi:[0,1]
	global_store_short_d16_hi v[18:19], v24, off
	global_store_short_d16_hi v[18:19], v25, off offset:256
	global_store_short_d16_hi v[18:19], v20, off offset:512
	;; [unrolled: 1-line block ×3, first 2 shown]
	v_pk_mul_f32 v[24:25], v[26:27], v[24:25]
	v_pk_mul_f32 v[20:21], v[32:33], v[20:21]
	v_accvgpr_read_b32 v29, a1
	v_perm_b32 v24, v25, v24, s39
	v_perm_b32 v25, v21, v20, s39
	s_waitcnt vmcnt(5)
	v_lshlrev_b32_e32 v21, 16, v43
	s_waitcnt vmcnt(4)
	v_lshlrev_b32_e32 v20, 16, v44
	v_accvgpr_read_b32 v28, a0
	v_accvgpr_read_b32 v23, a3
	;; [unrolled: 1-line block ×3, first 2 shown]
	v_pk_add_f32 v[20:21], v[20:21], v[28:29] neg_lo:[0,1] neg_hi:[0,1]
	v_lshlrev_b32_e32 v29, 16, v41
	v_lshlrev_b32_e32 v28, 16, v42
	v_pk_add_f32 v[22:23], v[28:29], v[22:23] neg_lo:[0,1] neg_hi:[0,1]
	global_store_short_d16_hi v[18:19], v20, off offset:32
	global_store_short_d16_hi v[18:19], v21, off offset:288
	;; [unrolled: 1-line block ×4, first 2 shown]
	v_pk_mul_f32 v[18:19], v[26:27], v[20:21]
	v_pk_mul_f32 v[20:21], v[32:33], v[22:23]
	v_mov_b32_e32 v22, 0
	v_perm_b32 v21, v21, v20, s39
	v_perm_b32 v20, v19, v18, s39
	ds_write2_b64 v86, v[24:25], v[20:21] offset1:16
	v_mov_b32_e32 v18, 0
	v_mov_b32_e32 v19, 0
	;; [unrolled: 1-line block ×15, first 2 shown]
	s_cbranch_vccnz .LBB259_40
; %bb.39:                               ;   in Loop: Header=BB259_32 Depth=1
	s_and_b32 s25, s25, 0xffff
	s_mov_b32 s27, s23
	buffer_load_dwordx4 v[30:33], v104, s[24:27], 0 offen
	buffer_load_dwordx4 v[22:25], v104, s[24:27], s59 offen
	;; [unrolled: 1-line block ×4, first 2 shown]
	v_mov_b32_e32 v117, v78
	v_mov_b32_e32 v118, v77
.LBB259_40:                             ;   in Loop: Header=BB259_32 Depth=1
	s_waitcnt lgkmcnt(0)
	s_barrier
	ds_read_b64 v[38:39], v106
	ds_read_b64 v[124:125], v103
	;; [unrolled: 1-line block ×5, first 2 shown]
	ds_read_b64 v[138:139], v100 offset:3072
	ds_read2_b64 v[34:37], v99 offset0:16 offset1:128
	s_waitcnt lgkmcnt(5)
	v_mfma_f32_16x16x16_bf16 a[0:3], v[38:39], v[124:125], 0
	s_add_i32 s3, s56, s62
	s_mul_hi_i32 s21, s3, s13
	s_mul_i32 s3, s3, s13
	s_waitcnt lgkmcnt(0)
	v_mfma_f32_16x16x16_bf16 a[4:7], v[38:39], v[34:35], 0
	ds_read_b64 v[38:39], v111
	ds_read2st64_b64 v[40:43], v100 offset0:2 offset1:4
	s_add_u32 s20, s3, s49
	s_addc_u32 s21, s21, s51
	s_lshl_b64 s[20:21], s[20:21], 15
	s_mul_i32 s24, s63, s13
	s_mul_hi_i32 s3, s63, s13
	s_add_u32 s24, s24, s49
	s_waitcnt lgkmcnt(1)
	v_mfma_f32_16x16x16_bf16 a[8:11], v[38:39], v[124:125], 0
	s_addc_u32 s25, s3, s51
	ds_read2st64_b64 v[120:123], v99 offset0:4 offset1:6
	s_lshl_b64 s[24:25], s[24:25], 9
	v_mfma_f32_16x16x16_bf16 a[0:3], v[126:127], v[36:37], a[0:3]
	s_add_u32 s24, s16, s24
	s_addc_u32 s25, s17, s25
	s_waitcnt lgkmcnt(1)
	v_mfma_f32_16x16x16_bf16 a[4:7], v[126:127], v[40:41], a[4:7]
	ds_read_b64 v[126:127], v112
	ds_read_b64 v[134:135], v113
	;; [unrolled: 1-line block ×3, first 2 shown]
	v_mfma_f32_16x16x16_bf16 a[12:15], v[38:39], v[34:35], 0
	s_waitcnt lgkmcnt(2)
	v_mfma_f32_16x16x16_bf16 a[8:11], v[126:127], v[36:37], a[8:11]
	global_load_dwordx4 v[34:37], v110, s[24:25]
	v_mfma_f32_16x16x16_bf16 a[12:15], v[126:127], v[40:41], a[12:15]
	global_load_dwordx4 v[38:41], v47, s[24:25]
	ds_read2st64_b64 v[124:127], v101 offset1:8
	s_waitcnt lgkmcnt(0)
	v_mov_b32_e32 v132, v124
	v_mfma_f32_16x16x16_bf16 a[0:3], v[128:129], v[120:121], a[0:3]
	v_mov_b32_e32 v133, v125
	v_mfma_f32_16x16x16_bf16 a[4:7], v[128:129], v[42:43], a[4:7]
	ds_read2st64_b64 v[128:131], v102 offset1:8
	v_mfma_f32_16x16x16_bf16 a[8:11], v[134:135], v[120:121], a[8:11]
	v_lshl_add_u64 v[120:121], v[62:63], 0, s[20:21]
	v_mfma_f32_16x16x16_bf16 a[16:19], v[134:135], v[42:43], a[12:15]
	v_add_co_u32_e32 v42, vcc, s37, v120
	s_waitcnt lgkmcnt(0)
	v_mov_b32_e32 v134, v128
	v_mfma_f32_16x16x16_bf16 a[0:3], v[136:137], v[122:123], a[0:3]
	v_mov_b32_e32 v135, v129
	v_mov_b32_e32 v128, v126
	;; [unrolled: 1-line block ×3, first 2 shown]
	v_mfma_f32_16x16x16_bf16 a[4:7], v[136:137], v[138:139], a[4:7]
	v_addc_co_u32_e32 v43, vcc, 0, v121, vcc
	global_store_dwordx4 v[42:43], v[128:131], off
	v_mfma_f32_16x16x16_bf16 a[12:15], v[140:141], v[122:123], a[8:11]
	s_and_b64 vcc, exec, s[0:1]
	global_store_dwordx4 v[120:121], v[132:135], off
	s_waitcnt vmcnt(3)
	v_mov_b32_e32 v44, v37
	v_mfma_f32_16x16x16_bf16 a[8:11], v[140:141], v[138:139], a[16:19]
	v_mov_b32_e32 v43, v36
	v_mov_b32_e32 v42, v35
	s_cbranch_vccnz .LBB259_42
; %bb.41:                               ;   in Loop: Header=BB259_32 Depth=1
	v_lshrrev_b32_e32 v35, 3, v117
	v_and_b32_e32 v35, 6, v35
	v_xor_b32_e32 v36, v35, v118
	v_lshlrev_b32_e32 v36, 2, v36
	v_and_b32_e32 v37, 8, v117
	v_xor_b32_e32 v117, 0x440, v36
	v_cmp_eq_u32_e32 vcc, 0, v37
	v_perm_b32 v37, v22, v18, s60
	s_nop 0
	v_cndmask_b32_e32 v36, v117, v36, vcc
	v_lshl_or_b32 v35, v35, 10, v36
	v_perm_b32 v36, v30, v26, s60
	s_barrier
	ds_write2st64_b32 v35, v36, v37 offset0:32 offset1:64
	v_xor_b32_e32 v36, 8, v35
	v_perm_b32 v26, v30, v26, s61
	v_perm_b32 v18, v22, v18, s61
	v_add_u32_e32 v22, 0x80, v36
	ds_write2st64_b32 v22, v26, v18 offset0:32 offset1:64
	v_xor_b32_e32 v18, 16, v35
	v_perm_b32 v22, v31, v27, s60
	v_perm_b32 v26, v23, v19, s60
	ds_write2st64_b32 v18, v22, v26 offset0:33 offset1:65
	v_xor_b32_e32 v18, 24, v35
	v_perm_b32 v22, v31, v27, s61
	v_perm_b32 v19, v23, v19, s61
	v_add_u32_e32 v18, 0x80, v18
	ds_write2st64_b32 v18, v22, v19 offset0:33 offset1:65
	v_xor_b32_e32 v18, 32, v35
	v_perm_b32 v19, v32, v28, s60
	v_perm_b32 v22, v24, v20, s60
	;; [unrolled: 9-line block ×3, first 2 shown]
	ds_write2st64_b32 v18, v19, v20 offset0:35 offset1:67
	v_xor_b32_e32 v18, 56, v35
	v_perm_b32 v19, v33, v29, s61
	v_perm_b32 v20, v25, v21, s61
	v_add_u32_e32 v18, 0x80, v18
	ds_write2st64_b32 v18, v19, v20 offset0:35 offset1:67
	ds_write_b64 v116, v[14:15] offset:24576
	v_xor_b32_e32 v14, 8, v116
	ds_write_b64 v14, v[16:17] offset:24576
	ds_write_b64 v116, v[10:11] offset:32768
	;; [unrolled: 1-line block ×4, first 2 shown]
	v_xor_b32_e32 v6, 8, v115
	ds_write_b64 v6, v[8:9] offset:24576
	ds_write_b64 v115, v[2:3] offset:32768
	;; [unrolled: 1-line block ×3, first 2 shown]
.LBB259_42:                             ;   in Loop: Header=BB259_32 Depth=1
	v_exp_f32_e32 v18, s2
	s_waitcnt vmcnt(2)
	v_exp_f32_e32 v20, v38
	v_exp_f32_e32 v21, v39
	;; [unrolled: 1-line block ×4, first 2 shown]
	v_accvgpr_read_b32 v13, a3
	v_accvgpr_read_b32 v11, a1
	;; [unrolled: 1-line block ×4, first 2 shown]
	v_pk_mul_f32 v[20:21], v[18:19], v[20:21] op_sel_hi:[0,1]
	v_accvgpr_read_b32 v12, a2
	v_accvgpr_read_b32 v7, a5
	;; [unrolled: 1-line block ×3, first 2 shown]
	v_pk_fma_f32 v[50:51], v[50:51], v[20:21], v[10:11]
	v_pk_mul_f32 v[10:11], v[18:19], v[22:23] op_sel_hi:[0,1]
	v_pk_fma_f32 v[54:55], v[54:55], v[10:11], v[12:13]
	v_fma_f32 v73, v73, v20, v6
	v_fma_f32 v71, v71, v21, v7
	v_exp_f32_e32 v6, v34
	v_exp_f32_e32 v7, v42
	;; [unrolled: 1-line block ×4, first 2 shown]
	v_accvgpr_read_b32 v8, a6
	v_accvgpr_read_b32 v17, a15
	;; [unrolled: 1-line block ×9, first 2 shown]
	v_fma_f32 v75, v75, v10, v8
	v_fmac_f32_e32 v9, v82, v11
	v_pk_mul_f32 v[6:7], v[18:19], v[6:7] op_sel_hi:[0,1]
	v_pk_mul_f32 v[10:11], v[18:19], v[12:13] op_sel_hi:[0,1]
	s_add_i32 s57, s57, 64
	v_pk_fma_f32 v[48:49], v[48:49], v[6:7], v[14:15]
	v_pk_fma_f32 v[52:53], v[52:53], v[10:11], v[16:17]
	v_fma_f32 v74, v74, v6, v2
	v_fma_f32 v72, v72, v7, v3
	;; [unrolled: 1-line block ×3, first 2 shown]
	s_cmp_eq_u32 s50, s41
	v_fmac_f32_e32 v5, v79, v11
	s_cbranch_scc1 .LBB259_4
; %bb.43:                               ;   in Loop: Header=BB259_32 Depth=1
	s_mov_b32 s62, s41
	v_mov_b32_e32 v82, v9
	v_mov_b32_e32 v79, v5
	s_branch .LBB259_32
.LBB259_44:
                                        ; implicit-def: $vgpr5
                                        ; implicit-def: $vgpr9
                                        ; implicit-def: $vgpr13
                                        ; implicit-def: $vgpr17
	s_cbranch_execz .LBB259_46
; %bb.45:
	s_waitcnt vmcnt(0)
	v_mad_u64_u32 v[2:3], s[0:1], v20, s15, v[18:19]
	v_lshlrev_b32_e32 v20, 1, v2
	s_lshl_b32 s2, s15, 7
	s_and_b32 s1, s5, 0xffff
	s_mov_b32 s3, 0x20000
	s_mov_b32 s0, s4
	v_add_lshl_u32 v21, v2, s15, 1
	s_movk_i32 s13, 0x80
	buffer_load_dwordx4 v[2:5], v20, s[0:3], 0 offen
	buffer_load_dwordx4 v[10:13], v20, s[0:3], s13 offen
	;; [unrolled: 1-line block ×4, first 2 shown]
.LBB259_46:
	v_lshrrev_b32_e32 v30, 2, v45
	s_cbranch_execnz .LBB259_59
.LBB259_47:
	s_and_b64 vcc, exec, s[6:7]
	s_cbranch_vccz .LBB259_57
; %bb.48:
	s_waitcnt vmcnt(0)
	v_lshlrev_b32_e32 v7, 1, v23
	v_cmp_gt_i32_e32 vcc, s27, v7
	v_mov_b32_e32 v6, 0
	v_lshlrev_b32_e32 v14, 9, v23
	v_mov_b32_e32 v2, 0
	v_mov_b32_e32 v3, 0
	;; [unrolled: 1-line block ×4, first 2 shown]
	s_and_saveexec_b64 s[0:1], vcc
	s_cbranch_execz .LBB259_50
; %bb.49:
	v_mov_b32_e32 v15, 0
	v_lshl_add_u64 v[2:3], s[4:5], 0, v[14:15]
	v_lshlrev_b32_e32 v4, 1, v18
	v_mov_b32_e32 v5, v15
	v_lshl_add_u64 v[2:3], v[2:3], 0, v[4:5]
	global_load_dwordx4 v[2:5], v[2:3], off
.LBB259_50:
	s_or_b64 exec, exec, s[0:1]
	v_or_b32_e32 v7, 1, v7
	v_cmp_gt_i32_e64 s[0:1], s27, v7
	v_lshlrev_b32_e32 v20, 8, v7
	v_mov_b32_e32 v7, 0
	v_mov_b32_e32 v8, 0
	;; [unrolled: 1-line block ×3, first 2 shown]
	s_and_saveexec_b64 s[2:3], s[0:1]
	s_cbranch_execz .LBB259_52
; %bb.51:
	v_mov_b32_e32 v21, 0
	v_lshl_add_u64 v[6:7], s[4:5], 0, v[20:21]
	v_lshlrev_b32_e32 v8, 1, v18
	v_mov_b32_e32 v9, v21
	v_lshl_add_u64 v[6:7], v[6:7], 0, v[8:9]
	global_load_dwordx4 v[6:9], v[6:7], off
.LBB259_52:
	s_or_b64 exec, exec, s[2:3]
	v_mov_b32_e32 v17, 0
	v_mov_b32_e32 v10, 0
	;; [unrolled: 1-line block ×5, first 2 shown]
	s_and_saveexec_b64 s[2:3], vcc
	s_cbranch_execz .LBB259_54
; %bb.53:
	v_mov_b32_e32 v15, 0
	v_lshl_add_u64 v[10:11], s[4:5], 0, v[14:15]
	v_lshlrev_b32_e32 v14, 1, v18
	v_lshl_add_u64 v[10:11], v[10:11], 0, v[14:15]
	global_load_dwordx4 v[10:13], v[10:11], off offset:128
.LBB259_54:
	s_or_b64 exec, exec, s[2:3]
	v_mov_b32_e32 v16, 0
	v_mov_b32_e32 v15, 0
	v_mov_b32_e32 v14, 0
	s_and_saveexec_b64 s[2:3], s[0:1]
	s_cbranch_execz .LBB259_56
; %bb.55:
	v_mov_b32_e32 v21, 0
	v_lshl_add_u64 v[14:15], s[4:5], 0, v[20:21]
	v_lshlrev_b32_e32 v20, 1, v18
	v_lshl_add_u64 v[14:15], v[14:15], 0, v[20:21]
	global_load_dwordx4 v[14:17], v[14:15], off offset:128
.LBB259_56:
	s_or_b64 exec, exec, s[2:3]
	s_branch .LBB259_59
.LBB259_57:
                                        ; implicit-def: $vgpr5
                                        ; implicit-def: $vgpr9
                                        ; implicit-def: $vgpr13
                                        ; implicit-def: $vgpr17
	s_cbranch_execz .LBB259_59
; %bb.58:
	s_waitcnt vmcnt(0)
	v_lshlrev_b32_e32 v2, 1, v18
	v_lshl_or_b32 v18, v23, 9, v2
	s_and_b32 s5, s5, 0xffff
	s_mov_b32 s7, 0x20000
	s_movk_i32 s6, 0x4000
	s_movk_i32 s0, 0x80
	buffer_load_dwordx4 v[2:5], v18, s[4:7], 0 offen
	buffer_load_dwordx4 v[6:9], v18, s[4:7], 0 offen offset:256
	buffer_load_dwordx4 v[10:13], v18, s[4:7], s0 offen
	buffer_load_dwordx4 v[14:17], v18, s[4:7], s0 offen offset:256
.LBB259_59:
	ds_read_b64 v[20:21], v25 offset:32768
	v_add_u32_e32 v18, 0xb000, v24
	ds_read2_b64 v[32:35], v18 offset1:16
	ds_read_b64 v[40:41], v26 offset:32768
	ds_read_b64 v[26:27], v27 offset:32768
	ds_read_b64 v[42:43], v28 offset:32768
	v_and_b32_e32 v18, 6, v0
	v_xor_b32_e32 v23, v23, v18
	v_lshlrev_b32_e32 v23, 2, v23
	v_and_b32_e32 v0, 1, v0
	v_xor_b32_e32 v28, 0x440, v23
	v_cmp_eq_u32_e32 vcc, 0, v0
	s_waitcnt lgkmcnt(3)
	v_mfma_f32_16x16x16_bf16 a[0:3], v[20:21], v[32:33], a[0:3]
	s_mov_b32 s0, 0x1000504
	v_cndmask_b32_e32 v0, v28, v23, vcc
	v_lshl_or_b32 v0, v18, 10, v0
	v_mfma_f32_16x16x16_bf16 a[4:7], v[20:21], v[34:35], a[4:7]
	ds_read2st64_b64 v[32:35], v24 offset0:90 offset1:92
	ds_read2st64_b64 v[36:39], v29 offset0:90 offset1:92
	ds_read_b64 v[20:21], v24 offset:48128
	ds_read_b64 v[24:25], v29 offset:48128
	s_waitcnt vmcnt(0)
	v_perm_b32 v18, v2, v6, s0
	s_waitcnt lgkmcnt(3)
	v_mfma_f32_16x16x16_bf16 a[0:3], v[40:41], v[32:33], a[0:3]
	s_mov_b32 s1, 0x3020706
	v_perm_b32 v2, v2, v6, s1
	v_perm_b32 v6, v10, v14, s1
	s_waitcnt lgkmcnt(2)
	v_mfma_f32_16x16x16_bf16 a[4:7], v[40:41], v[36:37], a[4:7]
	v_mfma_f32_16x16x16_bf16 a[0:3], v[26:27], v[34:35], a[0:3]
	;; [unrolled: 1-line block ×3, first 2 shown]
	s_waitcnt lgkmcnt(1)
	v_mfma_f32_16x16x16_bf16 a[4:7], v[42:43], v[20:21], a[0:3]
	v_perm_b32 v20, v10, v14, s0
	ds_write2st64_b32 v0, v18, v20 offset0:32 offset1:64
	v_xor_b32_e32 v18, 8, v0
	v_add_u32_e32 v10, 0x80, v18
	ds_write2st64_b32 v10, v2, v6 offset0:32 offset1:64
	v_xor_b32_e32 v2, 16, v0
	v_perm_b32 v6, v3, v7, s0
	v_perm_b32 v10, v11, v15, s0
	ds_write2st64_b32 v2, v6, v10 offset0:33 offset1:65
	v_xor_b32_e32 v2, 24, v0
	v_perm_b32 v3, v3, v7, s1
	v_perm_b32 v6, v11, v15, s1
	v_add_u32_e32 v2, 0x80, v2
	ds_write2st64_b32 v2, v3, v6 offset0:33 offset1:65
	v_xor_b32_e32 v2, 32, v0
	v_perm_b32 v3, v4, v8, s0
	v_perm_b32 v6, v12, v16, s0
	s_waitcnt lgkmcnt(4)
	v_mfma_f32_16x16x16_bf16 a[0:3], v[42:43], v[24:25], a[8:11]
	ds_write2st64_b32 v2, v3, v6 offset0:34 offset1:66
	v_xor_b32_e32 v2, 40, v0
	v_perm_b32 v3, v4, v8, s1
	v_perm_b32 v4, v12, v16, s1
	v_add_u32_e32 v2, 0x80, v2
	ds_write2st64_b32 v2, v3, v4 offset0:34 offset1:66
	v_xor_b32_e32 v2, 48, v0
	v_perm_b32 v3, v5, v9, s0
	v_perm_b32 v4, v13, v17, s0
	v_xor_b32_e32 v0, 56, v0
	v_and_or_b32 v21, v30, 12, v1
	ds_write2st64_b32 v2, v3, v4 offset0:35 offset1:67
	v_perm_b32 v2, v5, v9, s1
	v_perm_b32 v3, v13, v17, s1
	v_add_u32_e32 v0, 0x80, v0
	v_cmp_gt_i32_e32 vcc, s27, v21
	v_mov_b32_e32 v16, 0
	v_mov_b32_e32 v18, 0
	ds_write2st64_b32 v0, v2, v3 offset0:35 offset1:67
	s_and_saveexec_b64 s[0:1], vcc
	s_cbranch_execz .LBB259_61
; %bb.60:
	v_add_u32_e32 v0, s26, v21
	v_ashrrev_i32_e32 v1, 31, v0
	v_mul_lo_u32 v2, v1, s30
	v_mul_lo_u32 v3, v0, s31
	v_mad_u64_u32 v[0:1], s[2:3], v0, s30, 0
	v_add3_u32 v1, v1, v3, v2
	v_lshl_add_u64 v[0:1], v[0:1], 2, s[10:11]
	global_load_dword v0, v[0:1], off
	s_waitcnt vmcnt(0)
	v_sub_f32_e32 v0, s12, v0
	v_exp_f32_e32 v18, v0
.LBB259_61:
	s_or_b64 exec, exec, s[0:1]
	v_or_b32_e32 v10, 1, v21
	v_cmp_gt_i32_e64 s[2:3], s27, v10
	s_and_saveexec_b64 s[0:1], s[2:3]
	s_cbranch_execz .LBB259_63
; %bb.62:
	v_add_u32_e32 v0, s26, v10
	v_ashrrev_i32_e32 v1, 31, v0
	v_mul_lo_u32 v2, v1, s30
	v_mul_lo_u32 v3, v0, s31
	v_mad_u64_u32 v[0:1], s[4:5], v0, s30, 0
	v_add3_u32 v1, v1, v3, v2
	v_lshl_add_u64 v[0:1], v[0:1], 2, s[10:11]
	global_load_dword v0, v[0:1], off
	s_waitcnt vmcnt(0)
	v_sub_f32_e32 v0, s12, v0
	v_exp_f32_e32 v16, v0
.LBB259_63:
	s_or_b64 exec, exec, s[0:1]
	v_or_b32_e32 v12, 2, v21
	v_cmp_gt_i32_e64 s[0:1], s27, v12
	v_mov_b32_e32 v17, 0
	v_mov_b32_e32 v20, 0
	s_and_saveexec_b64 s[4:5], s[0:1]
	s_cbranch_execz .LBB259_65
; %bb.64:
	v_add_u32_e32 v0, s26, v12
	v_ashrrev_i32_e32 v1, 31, v0
	v_mul_lo_u32 v2, v1, s30
	v_mul_lo_u32 v3, v0, s31
	v_mad_u64_u32 v[0:1], s[6:7], v0, s30, 0
	v_add3_u32 v1, v1, v3, v2
	v_lshl_add_u64 v[0:1], v[0:1], 2, s[10:11]
	global_load_dword v0, v[0:1], off
	s_waitcnt vmcnt(0)
	v_sub_f32_e32 v0, s12, v0
	v_exp_f32_e32 v20, v0
.LBB259_65:
	s_or_b64 exec, exec, s[4:5]
	v_or_b32_e32 v14, 3, v21
	v_cmp_gt_i32_e64 s[4:5], s27, v14
	s_and_saveexec_b64 s[6:7], s[4:5]
	s_cbranch_execz .LBB259_67
; %bb.66:
	v_add_u32_e32 v0, s26, v14
	v_ashrrev_i32_e32 v1, 31, v0
	v_mul_lo_u32 v2, v1, s30
	v_mul_lo_u32 v3, v0, s31
	v_mad_u64_u32 v[0:1], s[14:15], v0, s30, 0
	v_add3_u32 v1, v1, v3, v2
	v_lshl_add_u64 v[0:1], v[0:1], 2, s[10:11]
	global_load_dword v0, v[0:1], off
	s_waitcnt vmcnt(0)
	v_sub_f32_e32 v0, s12, v0
	v_exp_f32_e32 v17, v0
.LBB259_67:
	s_or_b64 exec, exec, s[6:7]
	s_add_u32 s6, s8, s20
	s_addc_u32 s7, s9, s21
	s_add_u32 s8, s28, s20
	v_ashrrev_i32_e32 v47, 31, v46
	v_accvgpr_read_b32 v0, a4
	s_addc_u32 s9, s29, s21
	v_lshlrev_b64 v[4:5], 1, v[46:47]
	v_accvgpr_read_b32 v1, a5
	v_accvgpr_read_b32 v2, a6
	v_accvgpr_read_b32 v3, a7
	v_lshl_add_u64 v[6:7], s[6:7], 0, v[4:5]
	v_lshl_add_u64 v[4:5], s[8:9], 0, v[4:5]
	v_mov_b32_e32 v11, 0
	v_lshlrev_b32_e32 v8, 8, v21
	v_mov_b32_e32 v9, 0
	s_and_saveexec_b64 s[6:7], vcc
	s_cbranch_execz .LBB259_69
; %bb.68:
	v_mov_b32_e32 v9, 0
	v_lshl_add_u64 v[24:25], v[6:7], 0, v[8:9]
	global_load_ushort v13, v[24:25], off
	v_lshl_add_u64 v[24:25], v[4:5], 0, v[8:9]
	s_waitcnt vmcnt(0)
	v_lshlrev_b32_e32 v9, 16, v13
	v_sub_f32_e32 v0, v9, v0
	global_store_short_d16_hi v[24:25], v0, off
	v_mul_f32_e32 v0, v18, v0
	v_lshrrev_b32_e32 v9, 16, v0
.LBB259_69:
	s_or_b64 exec, exec, s[6:7]
	v_lshlrev_b32_e32 v10, 8, v10
	s_and_saveexec_b64 s[6:7], s[2:3]
	s_cbranch_execz .LBB259_71
; %bb.70:
	v_mov_b32_e32 v11, 0
	v_lshl_add_u64 v[24:25], v[6:7], 0, v[10:11]
	global_load_ushort v0, v[24:25], off
	v_lshl_add_u64 v[24:25], v[4:5], 0, v[10:11]
	s_waitcnt vmcnt(0)
	v_lshlrev_b32_e32 v0, 16, v0
	v_sub_f32_e32 v0, v0, v1
	global_store_short_d16_hi v[24:25], v0, off
	v_mul_f32_e32 v0, v16, v0
	v_lshrrev_b32_e32 v11, 16, v0
.LBB259_71:
	s_or_b64 exec, exec, s[6:7]
	v_mov_b32_e32 v15, 0
	v_lshlrev_b32_e32 v12, 8, v12
	v_mov_b32_e32 v13, 0
	s_and_saveexec_b64 s[6:7], s[0:1]
	s_cbranch_execz .LBB259_73
; %bb.72:
	v_mov_b32_e32 v13, 0
	v_lshl_add_u64 v[0:1], v[6:7], 0, v[12:13]
	global_load_ushort v23, v[0:1], off
	v_lshl_add_u64 v[0:1], v[4:5], 0, v[12:13]
	s_waitcnt vmcnt(0)
	v_lshlrev_b32_e32 v13, 16, v23
	v_sub_f32_e32 v2, v13, v2
	global_store_short_d16_hi v[0:1], v2, off
	v_mul_f32_e32 v0, v20, v2
	v_lshrrev_b32_e32 v13, 16, v0
.LBB259_73:
	s_or_b64 exec, exec, s[6:7]
	v_lshlrev_b32_e32 v14, 8, v14
	s_and_saveexec_b64 s[6:7], s[4:5]
	s_cbranch_execz .LBB259_75
; %bb.74:
	v_mov_b32_e32 v15, 0
	v_lshl_add_u64 v[0:1], v[6:7], 0, v[14:15]
	global_load_ushort v2, v[0:1], off
	v_lshl_add_u64 v[0:1], v[4:5], 0, v[14:15]
	s_waitcnt vmcnt(0)
	v_lshlrev_b32_e32 v2, 16, v2
	v_sub_f32_e32 v2, v2, v3
	global_store_short_d16_hi v[0:1], v2, off
	v_mul_f32_e32 v0, v17, v2
	v_lshrrev_b32_e32 v15, 16, v0
.LBB259_75:
	s_or_b64 exec, exec, s[6:7]
	v_lshlrev_b32_e32 v21, 5, v21
	s_mov_b32 s6, 0x5040100
	v_perm_b32 v24, v11, v9, s6
	v_or_b32_e32 v9, v21, v22
	v_accvgpr_read_b32 v0, a0
	v_perm_b32 v25, v15, v13, s6
	v_lshlrev_b32_e32 v9, 1, v9
	v_accvgpr_read_b32 v1, a1
	v_accvgpr_read_b32 v2, a2
	;; [unrolled: 1-line block ×3, first 2 shown]
	ds_write_b64 v9, v[24:25] offset:45056
	v_mov_b32_e32 v11, 0
	v_mov_b32_e32 v9, 0
	s_and_saveexec_b64 s[6:7], vcc
	s_cbranch_execz .LBB259_77
; %bb.76:
	v_mov_b32_e32 v9, 0
	v_lshl_add_u64 v[22:23], v[6:7], 0, v[8:9]
	global_load_ushort v13, v[22:23], off offset:32
	v_lshl_add_u64 v[8:9], v[4:5], 0, v[8:9]
	s_waitcnt vmcnt(0)
	v_lshlrev_b32_e32 v13, 16, v13
	v_sub_f32_e32 v0, v13, v0
	global_store_short_d16_hi v[8:9], v0, off offset:32
	v_mul_f32_e32 v0, v18, v0
	v_lshrrev_b32_e32 v9, 16, v0
.LBB259_77:
	s_or_b64 exec, exec, s[6:7]
	s_and_saveexec_b64 s[6:7], s[2:3]
	s_cbranch_execz .LBB259_79
; %bb.78:
	v_mov_b32_e32 v11, 0
	v_lshl_add_u64 v[22:23], v[6:7], 0, v[10:11]
	global_load_ushort v0, v[22:23], off offset:32
	v_lshl_add_u64 v[10:11], v[4:5], 0, v[10:11]
	s_waitcnt vmcnt(0)
	v_lshlrev_b32_e32 v0, 16, v0
	v_sub_f32_e32 v0, v0, v1
	global_store_short_d16_hi v[10:11], v0, off offset:32
	v_mul_f32_e32 v0, v16, v0
	v_lshrrev_b32_e32 v11, 16, v0
.LBB259_79:
	s_or_b64 exec, exec, s[6:7]
	v_mov_b32_e32 v0, 0
	v_mov_b32_e32 v1, 0
	s_and_saveexec_b64 s[2:3], s[0:1]
	s_cbranch_execz .LBB259_81
; %bb.80:
	v_mov_b32_e32 v13, 0
	v_lshl_add_u64 v[22:23], v[6:7], 0, v[12:13]
	global_load_ushort v1, v[22:23], off offset:32
	v_lshl_add_u64 v[12:13], v[4:5], 0, v[12:13]
	s_waitcnt vmcnt(0)
	v_lshlrev_b32_e32 v1, 16, v1
	v_sub_f32_e32 v1, v1, v2
	global_store_short_d16_hi v[12:13], v1, off offset:32
	v_mul_f32_e32 v1, v20, v1
	v_lshrrev_b32_e32 v1, 16, v1
.LBB259_81:
	s_or_b64 exec, exec, s[2:3]
	s_and_saveexec_b64 s[0:1], s[4:5]
	s_cbranch_execz .LBB259_83
; %bb.82:
	v_mov_b32_e32 v15, 0
	v_lshl_add_u64 v[6:7], v[6:7], 0, v[14:15]
	global_load_ushort v0, v[6:7], off offset:32
	v_lshl_add_u64 v[4:5], v[4:5], 0, v[14:15]
	s_waitcnt vmcnt(0)
	v_lshlrev_b32_e32 v0, 16, v0
	v_sub_f32_e32 v0, v0, v3
	global_store_short_d16_hi v[4:5], v0, off offset:32
	v_mul_f32_e32 v0, v17, v0
	v_lshrrev_b32_e32 v0, 16, v0
.LBB259_83:
	s_or_b64 exec, exec, s[0:1]
	s_mov_b32 s0, 0x5040100
	v_or_b32_e32 v2, v21, v19
	v_perm_b32 v1, v0, v1, s0
	v_perm_b32 v0, v11, v9, s0
	v_lshlrev_b32_e32 v2, 1, v2
	ds_write_b64 v2, v[0:1] offset:45056
	s_waitcnt lgkmcnt(0)
	s_barrier
.LBB259_84:
	s_endpgm
	.section	.rodata,"a",@progbits
	.p2align	6, 0x0
	.amdhsa_kernel _ZN12_GLOBAL__N_139chunk_gated_delta_rule_fwd_h_hip_kernelILi32ELb1ELb0ELb1ELb1ELb1ELb1ELb1ELb1EEEvPK12hip_bfloat16S3_S3_PKfS5_PKvPS1_S8_PvPKiSB_iiiiilll
		.amdhsa_group_segment_fixed_size 49152
		.amdhsa_private_segment_fixed_size 0
		.amdhsa_kernarg_size 136
		.amdhsa_user_sgpr_count 2
		.amdhsa_user_sgpr_dispatch_ptr 0
		.amdhsa_user_sgpr_queue_ptr 0
		.amdhsa_user_sgpr_kernarg_segment_ptr 1
		.amdhsa_user_sgpr_dispatch_id 0
		.amdhsa_user_sgpr_kernarg_preload_length 0
		.amdhsa_user_sgpr_kernarg_preload_offset 0
		.amdhsa_user_sgpr_private_segment_size 0
		.amdhsa_uses_dynamic_stack 0
		.amdhsa_enable_private_segment 0
		.amdhsa_system_sgpr_workgroup_id_x 1
		.amdhsa_system_sgpr_workgroup_id_y 1
		.amdhsa_system_sgpr_workgroup_id_z 0
		.amdhsa_system_sgpr_workgroup_info 0
		.amdhsa_system_vgpr_workitem_id 0
		.amdhsa_next_free_vgpr 164
		.amdhsa_next_free_sgpr 64
		.amdhsa_accum_offset 144
		.amdhsa_reserve_vcc 1
		.amdhsa_float_round_mode_32 0
		.amdhsa_float_round_mode_16_64 0
		.amdhsa_float_denorm_mode_32 3
		.amdhsa_float_denorm_mode_16_64 3
		.amdhsa_dx10_clamp 1
		.amdhsa_ieee_mode 1
		.amdhsa_fp16_overflow 0
		.amdhsa_tg_split 0
		.amdhsa_exception_fp_ieee_invalid_op 0
		.amdhsa_exception_fp_denorm_src 0
		.amdhsa_exception_fp_ieee_div_zero 0
		.amdhsa_exception_fp_ieee_overflow 0
		.amdhsa_exception_fp_ieee_underflow 0
		.amdhsa_exception_fp_ieee_inexact 0
		.amdhsa_exception_int_div_zero 0
	.end_amdhsa_kernel
	.section	.text._ZN12_GLOBAL__N_139chunk_gated_delta_rule_fwd_h_hip_kernelILi32ELb1ELb0ELb1ELb1ELb1ELb1ELb1ELb1EEEvPK12hip_bfloat16S3_S3_PKfS5_PKvPS1_S8_PvPKiSB_iiiiilll,"axG",@progbits,_ZN12_GLOBAL__N_139chunk_gated_delta_rule_fwd_h_hip_kernelILi32ELb1ELb0ELb1ELb1ELb1ELb1ELb1ELb1EEEvPK12hip_bfloat16S3_S3_PKfS5_PKvPS1_S8_PvPKiSB_iiiiilll,comdat
.Lfunc_end259:
	.size	_ZN12_GLOBAL__N_139chunk_gated_delta_rule_fwd_h_hip_kernelILi32ELb1ELb0ELb1ELb1ELb1ELb1ELb1ELb1EEEvPK12hip_bfloat16S3_S3_PKfS5_PKvPS1_S8_PvPKiSB_iiiiilll, .Lfunc_end259-_ZN12_GLOBAL__N_139chunk_gated_delta_rule_fwd_h_hip_kernelILi32ELb1ELb0ELb1ELb1ELb1ELb1ELb1ELb1EEEvPK12hip_bfloat16S3_S3_PKfS5_PKvPS1_S8_PvPKiSB_iiiiilll
                                        ; -- End function
	.section	.AMDGPU.csdata,"",@progbits
; Kernel info:
; codeLenInByte = 8792
; NumSgprs: 70
; NumVgprs: 142
; NumAgprs: 20
; TotalNumVgprs: 164
; ScratchSize: 0
; MemoryBound: 0
; FloatMode: 240
; IeeeMode: 1
; LDSByteSize: 49152 bytes/workgroup (compile time only)
; SGPRBlocks: 8
; VGPRBlocks: 20
; NumSGPRsForWavesPerEU: 70
; NumVGPRsForWavesPerEU: 164
; AccumOffset: 144
; Occupancy: 1
; WaveLimiterHint : 1
; COMPUTE_PGM_RSRC2:SCRATCH_EN: 0
; COMPUTE_PGM_RSRC2:USER_SGPR: 2
; COMPUTE_PGM_RSRC2:TRAP_HANDLER: 0
; COMPUTE_PGM_RSRC2:TGID_X_EN: 1
; COMPUTE_PGM_RSRC2:TGID_Y_EN: 1
; COMPUTE_PGM_RSRC2:TGID_Z_EN: 0
; COMPUTE_PGM_RSRC2:TIDIG_COMP_CNT: 0
; COMPUTE_PGM_RSRC3_GFX90A:ACCUM_OFFSET: 35
; COMPUTE_PGM_RSRC3_GFX90A:TG_SPLIT: 0
	.section	.text._ZN12_GLOBAL__N_139chunk_gated_delta_rule_fwd_h_hip_kernelILi32ELb1ELb0ELb0ELb1ELb1ELb1ELb1ELb1EEEvPK12hip_bfloat16S3_S3_PKfS5_PKvPS1_S8_PvPKiSB_iiiiilll,"axG",@progbits,_ZN12_GLOBAL__N_139chunk_gated_delta_rule_fwd_h_hip_kernelILi32ELb1ELb0ELb0ELb1ELb1ELb1ELb1ELb1EEEvPK12hip_bfloat16S3_S3_PKfS5_PKvPS1_S8_PvPKiSB_iiiiilll,comdat
	.globl	_ZN12_GLOBAL__N_139chunk_gated_delta_rule_fwd_h_hip_kernelILi32ELb1ELb0ELb0ELb1ELb1ELb1ELb1ELb1EEEvPK12hip_bfloat16S3_S3_PKfS5_PKvPS1_S8_PvPKiSB_iiiiilll ; -- Begin function _ZN12_GLOBAL__N_139chunk_gated_delta_rule_fwd_h_hip_kernelILi32ELb1ELb0ELb0ELb1ELb1ELb1ELb1ELb1EEEvPK12hip_bfloat16S3_S3_PKfS5_PKvPS1_S8_PvPKiSB_iiiiilll
	.p2align	8
	.type	_ZN12_GLOBAL__N_139chunk_gated_delta_rule_fwd_h_hip_kernelILi32ELb1ELb0ELb0ELb1ELb1ELb1ELb1ELb1EEEvPK12hip_bfloat16S3_S3_PKfS5_PKvPS1_S8_PvPKiSB_iiiiilll,@function
_ZN12_GLOBAL__N_139chunk_gated_delta_rule_fwd_h_hip_kernelILi32ELb1ELb0ELb0ELb1ELb1ELb1ELb1ELb1EEEvPK12hip_bfloat16S3_S3_PKfS5_PKvPS1_S8_PvPKiSB_iiiiilll: ; @_ZN12_GLOBAL__N_139chunk_gated_delta_rule_fwd_h_hip_kernelILi32ELb1ELb0ELb0ELb1ELb1ELb1ELb1ELb1EEEvPK12hip_bfloat16S3_S3_PKfS5_PKvPS1_S8_PvPKiSB_iiiiilll
; %bb.0:
	s_load_dwordx4 s[12:15], s[0:1], 0x5c
	s_load_dwordx4 s[20:23], s[0:1], 0x70
	s_abs_i32 s9, s3
	s_ashr_i32 s8, s3, 31
	s_load_dwordx4 s[4:7], s[0:1], 0x48
	s_waitcnt lgkmcnt(0)
	s_abs_i32 s10, s13
	v_cvt_f32_u32_e32 v1, s10
	s_sub_i32 s16, 0, s10
	s_ashr_i32 s11, s13, 31
	s_xor_b32 s8, s8, s11
	v_rcp_iflag_f32_e32 v1, v1
	v_and_b32_e32 v64, 15, v0
	v_lshrrev_b32_e32 v62, 6, v0
	v_bfe_u32 v63, v0, 4, 2
	v_mul_f32_e32 v1, 0x4f7ffffe, v1
	v_cvt_u32_f32_e32 v1, v1
	v_mov_b32_e32 v7, 0
	v_and_b32_e32 v45, 63, v0
	v_lshlrev_b32_e32 v65, 3, v0
	v_readfirstlane_b32 s17, v1
	s_mul_i32 s16, s16, s17
	s_mul_hi_u32 s16, s17, s16
	s_add_i32 s17, s17, s16
	s_mul_hi_u32 s16, s9, s17
	s_mul_i32 s17, s16, s10
	s_sub_i32 s9, s9, s17
	s_add_i32 s18, s16, 1
	s_sub_i32 s17, s9, s10
	s_cmp_ge_u32 s9, s10
	s_cselect_b32 s16, s18, s16
	s_cselect_b32 s9, s17, s9
	s_add_i32 s17, s16, 1
	s_cmp_ge_u32 s9, s10
	s_cselect_b32 s9, s17, s16
	s_load_dwordx4 s[16:19], s[0:1], 0x28
	s_xor_b32 s9, s9, s8
	s_sub_i32 s24, s9, s8
	s_mul_i32 s28, s24, s13
	s_ashr_i32 s25, s24, 31
	s_sub_i32 s47, s3, s28
	s_lshl_b64 s[8:9], s[24:25], 2
	s_add_u32 s4, s4, s8
	s_addc_u32 s5, s5, s9
	s_add_u32 s26, s6, s8
	s_addc_u32 s27, s7, s9
	s_abs_i32 s3, s14
	v_cvt_f32_u32_e32 v1, s3
	s_load_dwordx2 s[30:31], s[4:5], 0x0
	s_lshl_b32 s38, s2, 5
	s_ashr_i32 s2, s14, 31
	v_rcp_iflag_f32_e32 v1, v1
	s_xor_b32 s2, s11, s2
	s_waitcnt lgkmcnt(0)
	s_sub_i32 s50, s31, s30
	s_ashr_i32 s4, s50, 31
	v_mul_f32_e32 v1, 0x4f7ffffe, v1
	v_cvt_u32_f32_e32 v1, v1
	s_lshr_b32 s4, s4, 26
	s_add_i32 s4, s50, s4
	s_ashr_i32 s48, s4, 6
	s_sub_i32 s4, 0, s3
	v_readfirstlane_b32 s5, v1
	s_mul_i32 s4, s4, s5
	s_mul_hi_u32 s4, s5, s4
	s_add_i32 s5, s5, s4
	s_mul_hi_u32 s4, s10, s5
	s_mul_i32 s5, s4, s3
	s_sub_i32 s5, s10, s5
	s_add_i32 s6, s4, 1
	s_sub_i32 s7, s5, s3
	s_cmp_ge_u32 s5, s3
	s_cselect_b32 s4, s6, s4
	s_cselect_b32 s5, s7, s5
	s_add_i32 s6, s4, 1
	s_cmp_ge_u32 s5, s3
	s_cselect_b32 s3, s6, s4
	s_xor_b32 s3, s3, s2
	s_sub_i32 s2, s3, s2
	s_abs_i32 s3, s2
	v_cvt_f32_u32_e32 v1, s3
	s_sub_i32 s5, 0, s3
	s_abs_i32 s4, s47
	s_xor_b32 s2, s47, s2
	v_rcp_iflag_f32_e32 v1, v1
	s_ashr_i32 s2, s2, 31
	v_or_b32_e32 v46, s38, v64
	v_lshlrev_b32_e32 v2, 7, v46
	v_mul_f32_e32 v1, 0x4f7ffffe, v1
	v_cvt_u32_f32_e32 v1, v1
	v_ashrrev_i32_e32 v3, 31, v2
	v_lshrrev_b32_e32 v66, 3, v45
	s_mul_i32 s33, s24, s21
	v_readfirstlane_b32 s6, v1
	s_mul_i32 s5, s5, s6
	s_mul_hi_u32 s5, s6, s5
	s_add_i32 s6, s6, s5
	s_mul_hi_u32 s5, s4, s6
	s_mul_i32 s6, s5, s3
	s_sub_i32 s4, s4, s6
	s_add_i32 s6, s5, 1
	s_sub_i32 s7, s4, s3
	s_cmp_ge_u32 s4, s3
	s_cselect_b32 s5, s6, s5
	s_cselect_b32 s4, s7, s4
	s_add_i32 s6, s5, 1
	s_cmp_ge_u32 s4, s3
	s_cselect_b32 s3, s6, s5
	s_xor_b32 s3, s3, s2
	s_sub_i32 s51, s3, s2
	s_ashr_i32 s49, s47, 31
	s_mul_hi_i32 s3, s24, s13
	s_add_u32 s2, s28, s47
	s_addc_u32 s3, s3, s49
	s_lshl_b64 s[2:3], s[2:3], 15
	s_add_u32 s2, s16, s2
	s_addc_u32 s3, s17, s3
	v_lshlrev_b32_e32 v1, 4, v62
	v_lshl_add_u64 v[4:5], v[2:3], 1, s[2:3]
	v_or_b32_e32 v2, 0x800, v2
	v_lshl_or_b32 v67, v63, 2, v1
	v_ashrrev_i32_e32 v3, 31, v2
	v_lshlrev_b32_e32 v6, 1, v67
	v_lshl_add_u64 v[2:3], v[2:3], 1, s[2:3]
	v_lshl_add_u64 v[4:5], v[4:5], 0, v[6:7]
	;; [unrolled: 1-line block ×3, first 2 shown]
	global_load_dwordx2 v[8:9], v[4:5], off
	v_or_b32_e32 v68, 64, v67
	global_load_dwordx2 v[4:5], v[4:5], off offset:128
	s_nop 0
	global_load_dwordx2 v[6:7], v[2:3], off
	global_load_dwordx2 v[10:11], v[2:3], off offset:128
	s_load_dwordx8 s[4:11], s[0:1], 0x0
	s_load_dwordx2 s[28:29], s[0:1], 0x80
	s_load_dword s54, s[26:27], 0x0
	s_mul_hi_u32 s42, s24, s20
	s_mul_i32 s34, s24, s20
	s_mul_i32 s43, s25, s20
	s_mul_hi_i32 s52, s47, s12
	s_mul_i32 s53, s47, s12
	s_mul_i32 s44, s47, s23
	s_mul_hi_u32 s45, s47, s22
	s_mul_i32 s46, s49, s22
	s_cmp_lt_i32 s50, 64
	s_mul_i32 s36, s47, s22
	s_waitcnt vmcnt(3)
	v_and_b32_e32 v51, 0xffff0000, v8
	v_lshlrev_b32_e32 v50, 16, v8
	v_and_b32_e32 v55, 0xffff0000, v9
	v_lshlrev_b32_e32 v54, 16, v9
	s_waitcnt vmcnt(2)
	v_and_b32_e32 v49, 0xffff0000, v4
	v_lshlrev_b32_e32 v48, 16, v4
	v_and_b32_e32 v53, 0xffff0000, v5
	v_lshlrev_b32_e32 v52, 16, v5
	;; [unrolled: 5-line block ×4, first 2 shown]
	s_cbranch_scc1 .LBB260_3
; %bb.1:
	s_ashr_i32 s3, s30, 31
	s_add_u32 s2, s53, s30
	s_addc_u32 s3, s52, s3
	s_lshl_b64 s[2:3], s[2:3], 8
	v_and_b32_e32 v76, 56, v65
	s_waitcnt lgkmcnt(0)
	s_add_u32 s20, s6, s2
	v_lshl_or_b32 v75, v62, 3, v66
	v_lshlrev_b32_e32 v2, 1, v76
	s_addc_u32 s2, s7, s3
	v_lshl_or_b32 v78, v75, 8, v2
	s_and_b32 s21, s2, 0xffff
	s_mov_b32 s23, 0x20000
	s_movk_i32 s22, 0x4000
	s_movk_i32 s2, 0x80
	v_or_b32_e32 v79, 0x2000, v78
	buffer_load_dwordx4 v[4:7], v78, s[20:23], 0 offen
	buffer_load_dwordx4 v[8:11], v78, s[20:23], s2 offen
	;; [unrolled: 1-line block ×4, first 2 shown]
	v_lshlrev_b32_e32 v3, 3, v75
	v_and_or_b32 v21, v0, 7, v3
	v_and_b32_e32 v3, 0x78, v3
	v_lshlrev_b32_e32 v21, 4, v21
	v_xor_b32_e32 v81, v21, v3
	v_mul_lo_u32 v20, v75, s15
	v_or_b32_e32 v82, 0x1000, v81
	v_xor_b32_e32 v3, 8, v81
	s_cmpk_eq_i32 s15, 0x80
	s_mov_b32 s55, s30
	v_xor_b32_e32 v21, 8, v82
	s_cselect_b64 s[2:3], -1, 0
	s_cmpk_lg_i32 s15, 0x80
	s_waitcnt vmcnt(3)
	ds_write_b64 v81, v[4:5] offset:24576
	ds_write_b64 v3, v[6:7] offset:24576
	s_waitcnt vmcnt(2)
	ds_write_b64 v81, v[8:9] offset:32768
	ds_write_b64 v3, v[10:11] offset:32768
	;; [unrolled: 3-line block ×4, first 2 shown]
	v_lshl_add_u32 v3, v20, 1, v76
	s_cbranch_scc0 .LBB260_29
; %bb.2:
	v_lshlrev_b32_e32 v5, 1, v3
	v_add_lshl_u32 v4, v3, s15, 1
	s_lshl_b32 s22, s15, 7
	s_load_dwordx2 s[16:17], s[0:1], 0x20
	v_lshl_or_b32 v2, v75, 9, v2
	s_cbranch_execz .LBB260_30
	s_branch .LBB260_31
.LBB260_3:
	v_mov_b32_e32 v5, v77
	v_mov_b32_e32 v9, v80
.LBB260_4:
	s_lshl_b32 s26, s48, 6
	s_sub_i32 s27, s50, s26
	s_cmp_gt_i32 s27, 0
	s_cbranch_scc0 .LBB260_84
; %bb.5:
	s_add_i32 s26, s26, s30
	s_ashr_i32 s2, s26, 31
	s_cmpk_lg_i32 s15, 0x80
	s_cselect_b64 s[22:23], -1, 0
	s_and_b64 vcc, exec, s[22:23]
	s_cbranch_vccz .LBB260_7
; %bb.6:
	s_mul_i32 s1, s26, s14
	s_ashr_i32 s3, s51, 31
	s_mul_hi_i32 s0, s26, s14
	s_add_u32 s24, s1, s51
	s_addc_u32 s25, s0, s3
	s_cbranch_execz .LBB260_8
	s_branch .LBB260_9
.LBB260_7:
                                        ; implicit-def: $sgpr24_sgpr25
.LBB260_8:
	s_mul_i32 s1, s51, s12
	s_mul_hi_i32 s0, s51, s12
	s_add_u32 s24, s1, s26
	s_addc_u32 s25, s0, s2
.LBB260_9:
	s_waitcnt lgkmcnt(0)
	s_add_i32 s3, s48, s54
	s_add_u32 s0, s53, s26
	v_lshlrev_b32_e32 v8, 5, v67
	v_lshlrev_b32_e32 v22, 2, v64
	s_addc_u32 s1, s52, s2
	s_mov_b32 s2, 0x7060302
	v_or_b32_e32 v11, v8, v22
	v_xor_b32_e32 v4, v67, v22
	v_perm_b32 v3, v55, v54, s2
	v_perm_b32 v2, v51, v50, s2
	;; [unrolled: 1-line block ×4, first 2 shown]
	v_lshlrev_b32_e32 v11, 1, v11
	s_lshl_b64 s[20:21], s[0:1], 8
	v_xor_b32_e32 v10, v68, v22
	ds_write2st64_b64 v11, v[2:3], v[6:7] offset0:80 offset1:88
	v_lshlrev_b32_e32 v11, 1, v4
	v_lshlrev_b32_e32 v4, 8, v64
	s_add_u32 s0, s6, s20
	v_or_b32_e32 v12, v11, v4
	v_lshlrev_b32_e32 v10, 1, v10
	s_addc_u32 s1, s7, s21
	ds_write_b64 v12, v[2:3]
	v_or_b32_e32 v2, v10, v4
	s_mul_hi_i32 s6, s3, s13
	s_mul_i32 s3, s3, s13
	ds_write_b64 v2, v[6:7]
	v_perm_b32 v3, v9, v73, s2
	v_perm_b32 v2, v69, v71, s2
	;; [unrolled: 1-line block ×4, first 2 shown]
	v_or_b32_e32 v6, 16, v64
	s_add_u32 s2, s3, s47
	v_lshlrev_b32_e32 v19, 2, v6
	s_addc_u32 s3, s6, s49
	v_or_b32_e32 v7, v8, v19
	s_ashr_i32 s39, s38, 31
	s_lshl_b64 s[2:3], s[2:3], 15
	v_lshlrev_b32_e32 v7, 1, v7
	v_lshlrev_b32_e32 v6, 8, v6
	s_add_u32 s6, s18, s2
	ds_write2st64_b64 v7, v[2:3], v[4:5] offset0:80 offset1:88
	v_or_b32_e32 v7, v11, v6
	s_addc_u32 s7, s19, s3
	s_lshl_b64 s[2:3], s[38:39], 8
	ds_write_b64 v7, v[2:3]
	v_or_b32_e32 v2, v10, v6
	s_add_u32 s2, s6, s2
	ds_write_b64 v2, v[4:5]
	v_lshrrev_b32_e32 v2, 4, v0
	s_addc_u32 s3, s7, s3
	v_lshlrev_b32_e32 v3, 1, v64
	v_lshlrev_b32_e32 v10, 4, v64
	v_mov_b32_e32 v11, 0
	v_or_b32_e32 v4, 1, v3
	v_xor_b32_e32 v3, v2, v3
	v_lshl_add_u64 v[12:13], s[2:3], 0, v[10:11]
	v_lshlrev_b32_e32 v10, 8, v2
	v_xor_b32_e32 v6, v4, v2
	v_lshl_or_b32 v2, v3, 3, v10
	s_waitcnt lgkmcnt(0)
	s_barrier
	ds_read2st64_b64 v[2:5], v2 offset1:8
	v_lshl_or_b32 v6, v6, 3, v10
	ds_read2st64_b64 v[6:9], v6 offset1:8
	v_lshl_add_u64 v[14:15], v[12:13], 0, v[10:11]
	s_movk_i32 s2, 0x1000
	s_waitcnt lgkmcnt(1)
	v_mov_b32_e32 v10, v2
	v_add_co_u32_e32 v2, vcc, s2, v14
	s_cmp_lg_u32 s27, 64
	v_mov_b32_e32 v11, v3
	v_addc_co_u32_e32 v3, vcc, 0, v15, vcc
	s_cselect_b64 s[6:7], -1, 0
	v_lshl_or_b32 v23, v62, 3, v66
	s_waitcnt lgkmcnt(0)
	v_mov_b32_e32 v12, v6
	v_mov_b32_e32 v13, v7
	;; [unrolled: 1-line block ×4, first 2 shown]
	s_mov_b32 s16, 0
	v_or_b32_e32 v20, 32, v23
	v_and_b32_e32 v18, 56, v65
	s_and_b64 vcc, exec, s[6:7]
	global_store_dwordx4 v[14:15], v[10:13], off
	global_store_dwordx4 v[2:3], v[6:9], off
	s_cbranch_vccz .LBB260_15
; %bb.10:
	s_mov_b32 s17, s16
	s_mov_b32 s18, s16
	;; [unrolled: 1-line block ×3, first 2 shown]
	v_mov_b64_e32 v[6:7], s[16:17]
	v_mov_b64_e32 v[8:9], s[18:19]
	;; [unrolled: 1-line block ×3, first 2 shown]
	v_cmp_gt_i32_e32 vcc, s27, v23
	v_mov_b64_e32 v[4:5], v[8:9]
	s_and_saveexec_b64 s[2:3], vcc
	s_cbranch_execz .LBB260_12
; %bb.11:
	v_lshlrev_b32_e32 v2, 8, v23
	v_mov_b32_e32 v3, 0
	v_lshl_add_u64 v[4:5], s[0:1], 0, v[2:3]
	v_lshlrev_b32_e32 v2, 1, v18
	v_lshl_add_u64 v[10:11], v[4:5], 0, v[2:3]
	global_load_dwordx4 v[6:9], v[10:11], off
	global_load_dwordx4 v[2:5], v[10:11], off offset:128
.LBB260_12:
	s_or_b64 exec, exec, s[2:3]
	s_mov_b32 s17, s16
	s_mov_b32 s18, s16
	;; [unrolled: 1-line block ×3, first 2 shown]
	v_mov_b64_e32 v[14:15], s[16:17]
	v_mov_b64_e32 v[16:17], s[18:19]
	;; [unrolled: 1-line block ×3, first 2 shown]
	v_cmp_gt_i32_e32 vcc, s27, v20
	v_lshlrev_b32_e32 v21, 7, v20
	v_mov_b64_e32 v[12:13], v[16:17]
	s_and_saveexec_b64 s[2:3], vcc
	s_cbranch_execz .LBB260_14
; %bb.13:
	v_lshlrev_b32_e32 v10, 1, v21
	v_mov_b32_e32 v11, 0
	v_lshl_add_u64 v[12:13], s[0:1], 0, v[10:11]
	v_lshlrev_b32_e32 v10, 1, v18
	v_lshl_add_u64 v[24:25], v[12:13], 0, v[10:11]
	global_load_dwordx4 v[14:17], v[24:25], off
	global_load_dwordx4 v[10:13], v[24:25], off offset:128
.LBB260_14:
	s_or_b64 exec, exec, s[2:3]
	v_lshrrev_b32_e32 v24, 3, v18
	v_lshlrev_b32_e32 v25, 3, v23
	v_or_b32_e32 v24, v25, v24
	v_lshlrev_b32_e32 v24, 4, v24
	v_and_b32_e32 v25, 0x78, v25
	v_xor_b32_e32 v24, v24, v25
	s_branch .LBB260_17
.LBB260_15:
                                        ; implicit-def: $vgpr24
                                        ; implicit-def: $vgpr21
                                        ; implicit-def: $vgpr6_vgpr7_vgpr8_vgpr9
                                        ; implicit-def: $vgpr2_vgpr3_vgpr4_vgpr5
                                        ; implicit-def: $vgpr14_vgpr15_vgpr16_vgpr17
                                        ; implicit-def: $vgpr10_vgpr11_vgpr12_vgpr13
	s_cbranch_execz .LBB260_17
; %bb.16:
	s_waitcnt vmcnt(0)
	v_lshlrev_b32_e32 v2, 1, v18
	v_lshl_or_b32 v21, v23, 8, v2
	s_and_b32 s1, s1, 0xffff
	s_mov_b32 s3, 0x20000
	s_movk_i32 s2, 0x4000
	v_lshl_or_b32 v24, v20, 8, v2
	s_movk_i32 s12, 0x80
	buffer_load_dwordx4 v[6:9], v21, s[0:3], 0 offen
	buffer_load_dwordx4 v[2:5], v21, s[0:3], s12 offen
	buffer_load_dwordx4 v[14:17], v24, s[0:3], 0 offen
	buffer_load_dwordx4 v[10:13], v24, s[0:3], s12 offen
	v_lshrrev_b32_e32 v21, 3, v18
	v_lshlrev_b32_e32 v24, 3, v23
	v_or_b32_e32 v21, v24, v21
	v_lshlrev_b32_e32 v21, 4, v21
	v_and_b32_e32 v24, 0x78, v24
	v_xor_b32_e32 v24, v21, v24
	v_lshlrev_b32_e32 v21, 7, v20
.LBB260_17:
	s_lshl_b64 s[0:1], s[24:25], 8
	s_add_u32 s4, s4, s0
	s_movk_i32 s0, 0x1000
	v_and_or_b32 v20, v21, s0, v24
	s_waitcnt vmcnt(1)
	ds_write_b64 v24, v[6:7] offset:24576
	v_xor_b32_e32 v6, 8, v24
	ds_write_b64 v6, v[8:9] offset:24576
	s_waitcnt vmcnt(0)
	ds_write_b64 v24, v[2:3] offset:32768
	ds_write_b64 v6, v[4:5] offset:32768
	;; [unrolled: 1-line block ×3, first 2 shown]
	v_xor_b32_e32 v2, 8, v20
	ds_write_b64 v2, v[16:17] offset:24576
	ds_write_b64 v20, v[10:11] offset:32768
	;; [unrolled: 1-line block ×3, first 2 shown]
	v_or_b32_e32 v2, v1, v64
	v_lshlrev_b32_e32 v3, 11, v62
	v_lshlrev_b32_e32 v2, 3, v2
	v_and_b32_e32 v6, 0x1000, v3
	v_lshrrev_b32_e32 v3, 5, v45
	s_movk_i32 s3, 0xf8
	v_and_or_b32 v3, v2, s3, v3
	v_lshlrev_b32_e32 v7, 4, v3
	v_and_b32_e32 v8, 0x78, v2
	v_or_b32_e32 v10, 32, v7
	v_lshrrev_b32_e32 v3, 1, v45
	v_xor_b32_e32 v10, v10, v8
	v_xor_b32_e32 v2, v7, v8
	v_and_b32_e32 v9, 8, v3
	v_or_b32_e32 v10, v10, v6
	v_or_b32_e32 v2, v2, v6
	v_xor_b32_e32 v26, v10, v9
	v_or_b32_e32 v10, 64, v7
	v_xor_b32_e32 v25, v2, v9
	v_xor_b32_e32 v10, v10, v8
	s_waitcnt lgkmcnt(0)
	s_barrier
	v_or_b32_e32 v12, v10, v6
	ds_read_b64 v[10:11], v25 offset:24576
	v_lshl_or_b32 v20, v63, 7, v22
	v_lshlrev_b32_e32 v24, 1, v20
	v_add_u32_e32 v2, 0xa000, v24
	ds_read2_b64 v[2:5], v2 offset1:16
	v_or_b32_e32 v7, 0x60, v7
	v_xor_b32_e32 v7, v7, v8
	s_waitcnt lgkmcnt(0)
	v_mfma_f32_16x16x16_bf16 a[0:3], v[10:11], v[2:3], 0
	v_or_b32_e32 v2, 64, v20
	v_or_b32_e32 v6, v7, v6
	v_lshlrev_b32_e32 v29, 1, v2
	v_xor_b32_e32 v27, v12, v9
	v_xor_b32_e32 v28, v6, v9
	ds_read_b64 v[12:13], v26 offset:24576
	ds_read_b64 v[14:15], v27 offset:24576
	;; [unrolled: 1-line block ×3, first 2 shown]
	v_mfma_f32_16x16x16_bf16 a[4:7], v[10:11], v[4:5], 0
	ds_read2st64_b64 v[2:5], v29 offset0:82 offset1:84
	ds_read2st64_b64 v[6:9], v24 offset0:82 offset1:84
	s_addc_u32 s5, s5, s1
	s_add_i32 s1, s42, s33
	s_add_i32 s0, s31, -1
	s_add_i32 s35, s1, s43
	s_add_i32 s1, s45, s44
	;; [unrolled: 1-line block ×3, first 2 shown]
	s_ashr_i32 s1, s0, 31
	s_mul_i32 s2, s0, s29
	s_mul_hi_u32 s3, s0, s28
	s_add_i32 s2, s3, s2
	s_mul_i32 s1, s1, s28
	s_waitcnt lgkmcnt(1)
	v_mfma_f32_16x16x16_bf16 a[4:7], v[12:13], v[2:3], a[4:7]
	s_add_i32 s1, s2, s1
	s_lshl_b64 s[2:3], s[34:35], 2
	s_add_u32 s10, s10, s2
	s_waitcnt lgkmcnt(0)
	v_mfma_f32_16x16x16_bf16 a[0:3], v[12:13], v[6:7], a[0:3]
	s_addc_u32 s11, s11, s3
	s_lshl_b64 s[2:3], s[36:37], 2
	s_mul_i32 s0, s0, s28
	s_add_u32 s10, s10, s2
	ds_read_b64 v[2:3], v24 offset:44032
	v_mfma_f32_16x16x16_bf16 a[4:7], v[14:15], v[4:5], a[4:7]
	ds_read_b64 v[4:5], v29 offset:44032
	s_addc_u32 s11, s11, s3
	s_lshl_b64 s[0:1], s[0:1], 2
	v_mfma_f32_16x16x16_bf16 a[0:3], v[14:15], v[8:9], a[0:3]
	s_add_u32 s0, s10, s0
	s_addc_u32 s1, s11, s1
	s_load_dword s12, s[0:1], 0x0
	s_waitcnt lgkmcnt(0)
	v_mfma_f32_16x16x16_bf16 a[0:3], v[16:17], v[2:3], a[0:3]
	s_and_b64 vcc, exec, s[22:23]
	v_mfma_f32_16x16x16_bf16 a[4:7], v[16:17], v[4:5], a[4:7]
	s_cbranch_vccz .LBB260_28
; %bb.18:
	v_lshlrev_b32_e32 v20, 1, v23
	s_and_b64 vcc, exec, s[6:7]
	s_cbranch_vccz .LBB260_44
; %bb.19:
	v_cmp_gt_i32_e32 vcc, s27, v20
	v_mov_b32_e32 v6, 0
	v_mov_b32_e32 v2, 0
	;; [unrolled: 1-line block ×5, first 2 shown]
	s_and_saveexec_b64 s[0:1], vcc
	s_cbranch_execz .LBB260_21
; %bb.20:
	v_mad_i64_i32 v[2:3], s[2:3], s15, v20, 0
	v_lshl_add_u64 v[2:3], v[2:3], 1, s[4:5]
	v_lshlrev_b32_e32 v4, 1, v18
	v_mov_b32_e32 v5, 0
	v_lshl_add_u64 v[2:3], v[2:3], 0, v[4:5]
	global_load_dwordx4 v[2:5], v[2:3], off
.LBB260_21:
	s_or_b64 exec, exec, s[0:1]
	v_or_b32_e32 v21, 1, v20
	v_cmp_gt_i32_e64 s[0:1], s27, v21
	v_mov_b32_e32 v7, 0
	v_mov_b32_e32 v8, 0
	;; [unrolled: 1-line block ×3, first 2 shown]
	s_and_saveexec_b64 s[2:3], s[0:1]
	s_cbranch_execz .LBB260_23
; %bb.22:
	v_mad_i64_i32 v[6:7], s[16:17], s15, v21, 0
	v_lshl_add_u64 v[6:7], v[6:7], 1, s[4:5]
	v_lshlrev_b32_e32 v8, 1, v18
	v_mov_b32_e32 v9, 0
	v_lshl_add_u64 v[6:7], v[6:7], 0, v[8:9]
	global_load_dwordx4 v[6:9], v[6:7], off
.LBB260_23:
	s_or_b64 exec, exec, s[2:3]
	v_mov_b32_e32 v17, 0
	v_mov_b32_e32 v10, 0
	;; [unrolled: 1-line block ×5, first 2 shown]
	s_and_saveexec_b64 s[2:3], vcc
	s_cbranch_execz .LBB260_25
; %bb.24:
	v_mad_i64_i32 v[10:11], s[16:17], s15, v20, 0
	v_lshl_add_u64 v[10:11], v[10:11], 1, s[4:5]
	v_lshlrev_b32_e32 v12, 1, v18
	v_mov_b32_e32 v13, 0
	v_lshl_add_u64 v[10:11], v[10:11], 0, v[12:13]
	global_load_dwordx4 v[10:13], v[10:11], off offset:128
.LBB260_25:
	s_or_b64 exec, exec, s[2:3]
	v_mov_b32_e32 v16, 0
	v_mov_b32_e32 v15, 0
	;; [unrolled: 1-line block ×3, first 2 shown]
	s_and_saveexec_b64 s[2:3], s[0:1]
	s_cbranch_execz .LBB260_27
; %bb.26:
	v_mad_i64_i32 v[14:15], s[0:1], s15, v21, 0
	v_lshl_add_u64 v[14:15], v[14:15], 1, s[4:5]
	v_lshlrev_b32_e32 v16, 1, v18
	v_mov_b32_e32 v17, 0
	v_lshl_add_u64 v[14:15], v[14:15], 0, v[16:17]
	global_load_dwordx4 v[14:17], v[14:15], off offset:128
.LBB260_27:
	s_or_b64 exec, exec, s[2:3]
	s_branch .LBB260_46
.LBB260_28:
                                        ; implicit-def: $vgpr5
                                        ; implicit-def: $vgpr9
                                        ; implicit-def: $vgpr13
                                        ; implicit-def: $vgpr17
	v_lshrrev_b32_e32 v30, 2, v45
	s_branch .LBB260_47
.LBB260_29:
                                        ; implicit-def: $vgpr4
                                        ; implicit-def: $vgpr5
                                        ; implicit-def: $sgpr22
	s_load_dwordx2 s[16:17], s[0:1], 0x20
	v_lshl_or_b32 v2, v75, 9, v2
.LBB260_30:
	v_or_b32_e32 v4, 0x100, v2
	s_movk_i32 s22, 0x4000
	v_mov_b32_e32 v5, v2
.LBB260_31:
	s_mul_i32 s0, s30, s14
	s_ashr_i32 s56, s51, 31
	s_mul_hi_i32 s1, s30, s14
	s_add_u32 s0, s0, s51
	s_addc_u32 s1, s1, s56
	s_lshl_b64 s[0:1], s[0:1], 8
	s_add_u32 s20, s4, s0
	s_addc_u32 s0, s5, s1
	s_and_b32 s21, s0, 0xffff
	s_movk_i32 s57, 0x80
	buffer_load_dwordx4 v[6:9], v5, s[20:23], 0 offen
	buffer_load_dwordx4 v[10:13], v5, s[20:23], s57 offen
	;; [unrolled: 1-line block ×4, first 2 shown]
	v_and_b32_e32 v4, 6, v0
	v_lshlrev_b32_e32 v23, 6, v67
	v_or_b32_e32 v25, 16, v64
	v_xor_b32_e32 v26, v75, v4
	v_and_b32_e32 v5, 1, v0
	v_lshl_or_b32 v29, v64, 3, v23
	v_lshl_or_b32 v23, v25, 3, v23
	v_lshlrev_b32_e32 v26, 2, v26
	v_lshlrev_b32_e32 v22, 2, v64
	v_or_b32_e32 v85, 0xa000, v23
	v_or_b32_e32 v86, 0xb000, v23
	v_xor_b32_e32 v23, 0x440, v26
	v_cmp_eq_u32_e32 vcc, 0, v5
	s_add_i32 s0, s42, s33
	v_xor_b32_e32 v27, v67, v22
	v_xor_b32_e32 v28, v68, v22
	v_cndmask_b32_e32 v5, v23, v26, vcc
	s_add_i32 s1, s45, s44
	s_add_i32 s35, s0, s43
	s_mov_b32 s58, 0x1000504
	v_lshlrev_b32_e32 v24, 8, v64
	v_lshlrev_b32_e32 v25, 8, v25
	;; [unrolled: 1-line block ×4, first 2 shown]
	v_lshl_or_b32 v4, v4, 10, v5
	s_add_i32 s37, s1, s46
	s_lshl_b64 s[0:1], s[34:35], 2
	s_mov_b32 s59, 0x3020706
	v_or_b32_e32 v83, 0xa000, v29
	v_or_b32_e32 v84, 0xb000, v29
	;; [unrolled: 1-line block ×5, first 2 shown]
	v_xor_b32_e32 v5, 8, v4
	v_xor_b32_e32 v24, 24, v4
	;; [unrolled: 1-line block ×4, first 2 shown]
	s_add_u32 s20, s10, s0
	v_or_b32_e32 v89, v25, v27
	v_xor_b32_e32 v23, 16, v4
	v_xor_b32_e32 v25, 32, v4
	;; [unrolled: 1-line block ×3, first 2 shown]
	v_add_u32_e32 v5, 0x80, v5
	v_add_u32_e32 v24, 0x80, v24
	;; [unrolled: 1-line block ×4, first 2 shown]
	s_addc_u32 s21, s11, s1
	s_lshl_b64 s[0:1], s[36:37], 2
	s_add_u32 s40, s20, s0
	s_movk_i32 s0, 0xf8
	s_addc_u32 s41, s21, s1
	s_ashr_i32 s39, s38, 31
	s_lshl_b32 s26, s15, 7
	s_movk_i32 s20, 0x100
	v_mov_b32_e32 v57, 0
	v_lshlrev_b32_e32 v56, 4, v64
	v_cmp_gt_u32_e32 vcc, s20, v0
	v_ashrrev_i32_e32 v47, 31, v46
	s_mov_b32 s60, 0
	s_movk_i32 s35, 0x1000
	s_movk_i32 s22, 0x4000
	v_lshl_add_u64 v[58:59], v[46:47], 1, s[8:9]
	s_mov_b32 s37, 0x7060302
	s_waitcnt vmcnt(1)
	v_perm_b32 v29, v6, v14, s58
	s_waitcnt vmcnt(0)
	v_perm_b32 v30, v10, v18, s58
	v_perm_b32 v6, v6, v14, s59
	;; [unrolled: 1-line block ×15, first 2 shown]
	ds_write2st64_b32 v4, v29, v30 offset0:32 offset1:64
	ds_write2st64_b32 v5, v6, v10 offset0:32 offset1:64
	;; [unrolled: 1-line block ×8, first 2 shown]
	v_or_b32_e32 v4, v1, v64
	v_lshlrev_b32_e32 v4, 3, v4
	v_lshrrev_b32_e32 v7, 5, v45
	v_and_or_b32 v7, v4, s0, v7
	v_lshlrev_b32_e32 v7, 4, v7
	v_lshlrev_b32_e32 v9, 11, v62
	v_and_b32_e32 v4, 0x78, v4
	v_or_b32_e32 v12, 32, v7
	v_and_b32_e32 v6, 0x1000, v9
	v_lshrrev_b32_e32 v10, 1, v45
	v_xor_b32_e32 v12, v12, v4
	v_xor_b32_e32 v8, v7, v4
	v_and_b32_e32 v10, 8, v10
	v_or_b32_e32 v12, v12, v6
	v_or_b32_e32 v8, v8, v6
	v_lshlrev_b32_e32 v11, 7, v63
	v_xor_b32_e32 v93, v12, v10
	v_or_b32_e32 v12, 64, v7
	v_or_b32_e32 v7, 0x60, v7
	v_xor_b32_e32 v91, v8, v10
	v_or_b32_e32 v8, v11, v22
	v_xor_b32_e32 v12, v12, v4
	v_xor_b32_e32 v4, v7, v4
	s_lshl_b64 s[0:1], s[38:39], 8
	v_lshlrev_b32_e32 v8, 1, v8
	v_or_b32_e32 v12, v12, v6
	v_or_b32_e32 v4, v4, v6
	s_add_u32 s0, s18, s0
	v_lshlrev_b32_e32 v6, 1, v64
	v_or_b32_e32 v92, 0xa000, v8
	v_or_b32_e32 v94, 0xa080, v8
	;; [unrolled: 1-line block ×4, first 2 shown]
	v_lshrrev_b32_e32 v8, 4, v0
	s_addc_u32 s1, s19, s1
	v_or_b32_e32 v7, 1, v6
	v_mov_b32_e32 v17, 0x4000
	v_mov_b32_e32 v18, 0x2000
	v_lshrrev_b32_e32 v19, 1, v0
	v_xor_b32_e32 v95, v12, v10
	v_xor_b32_e32 v96, v4, v10
	;; [unrolled: 1-line block ×4, first 2 shown]
	v_lshl_add_u64 v[6:7], s[0:1], 0, v[56:57]
	v_lshlrev_b32_e32 v56, 8, v8
	v_cndmask_b32_e32 v17, v17, v18, vcc
	v_lshlrev_b32_e32 v18, 3, v62
	v_and_b32_e32 v19, 24, v19
	v_lshl_or_b32 v99, v10, 3, v56
	v_and_b32_e32 v10, 8, v0
	v_xor_b32_e32 v20, v18, v19
	v_or_b32_e32 v21, 0x440, v20
	v_cmp_eq_u32_e32 vcc, 0, v10
	v_and_b32_e32 v8, 7, v0
	v_lshl_or_b32 v100, v14, 3, v56
	v_cndmask_b32_e32 v10, v21, v20, vcc
	v_lshlrev_b32_e32 v14, 3, v8
	v_lshlrev_b32_e32 v16, 2, v0
	v_or_b32_e32 v10, v10, v9
	v_xor_b32_e32 v20, v10, v14
	v_and_or_b32 v10, v16, 60, v11
	v_mov_b32_e32 v11, 0xb000
	v_lshl_or_b32 v101, v10, 1, v11
	v_or_b32_e32 v10, 32, v19
	v_xor_b32_e32 v10, v18, v10
	v_or_b32_e32 v11, 0x440, v10
	v_cndmask_b32_e32 v10, v11, v10, vcc
	v_or_b32_e32 v10, v10, v9
	v_xor_b32_e32 v11, v10, v14
	v_or_b32_e32 v10, 64, v19
	v_xor_b32_e32 v10, v18, v10
	v_xor_b32_e32 v22, 0x440, v10
	v_cndmask_b32_e32 v10, v22, v10, vcc
	v_or_b32_e32 v10, v10, v9
	v_xor_b32_e32 v22, v10, v14
	v_or_b32_e32 v10, 0x60, v19
	v_xor_b32_e32 v10, v18, v10
	v_xor_b32_e32 v18, 0x440, v10
	v_cndmask_b32_e32 v10, v18, v10, vcc
	v_lshrrev_b32_e32 v5, 2, v45
	v_or_b32_e32 v9, v10, v9
	v_and_b32_e32 v5, 12, v5
	v_xor_b32_e32 v9, v9, v14
	v_lshlrev_b32_e32 v4, 7, v67
	v_lshlrev_b32_e32 v12, 1, v3
	v_add_lshl_u32 v3, v3, s15, 1
	v_or_b32_e32 v13, 0x100, v2
	v_lshlrev_b32_e32 v15, 7, v8
	v_or_b32_e32 v8, v5, v1
	v_add_u32_e32 v21, v17, v20
	v_add_u32_e32 v16, v17, v11
	;; [unrolled: 1-line block ×4, first 2 shown]
	v_or3_b32 v10, v1, v5, 64
	v_add_u32_e32 v5, 0x4000, v20
	v_add_u32_e32 v11, 0x4000, v11
	;; [unrolled: 1-line block ×4, first 2 shown]
	v_cndmask_b32_e64 v102, v12, v2, s[2:3]
	v_cndmask_b32_e64 v103, v3, v13, s[2:3]
	v_lshl_add_u64 v[60:61], v[6:7], 0, v[56:57]
	v_lshlrev_b32_e32 v56, 1, v4
	v_lshlrev_b32_e32 v47, 2, v8
	v_add_u32_e32 v104, v21, v15
	v_add_u32_e32 v105, v16, v15
	;; [unrolled: 1-line block ×4, first 2 shown]
	v_lshlrev_b32_e32 v108, 2, v10
	v_add_u32_e32 v109, v5, v15
	v_add_u32_e32 v110, v11, v15
	;; [unrolled: 1-line block ×4, first 2 shown]
	s_waitcnt lgkmcnt(0)
	s_barrier
.LBB260_32:                             ; =>This Inner Loop Header: Depth=1
	s_add_i32 s39, s60, 1
	s_cmp_lt_i32 s39, s48
	s_mov_b64 s[24:25], 0
	s_cselect_b64 s[2:3], -1, 0
	s_cmp_ge_i32 s39, s48
	s_mov_b64 s[20:21], 0
	s_cbranch_scc1 .LBB260_34
; %bb.33:                               ;   in Loop: Header=BB260_32 Depth=1
	s_add_i32 s0, s55, 64
	s_ashr_i32 s1, s0, 31
	s_add_u32 s0, s53, s0
	s_addc_u32 s1, s52, s1
	s_lshl_b64 s[0:1], s[0:1], 8
	s_add_u32 s20, s6, s0
	s_addc_u32 s21, s7, s1
.LBB260_34:                             ;   in Loop: Header=BB260_32 Depth=1
	v_cndmask_b32_e64 v2, 0, 1, s[2:3]
	v_cmp_ne_u32_e64 s[0:1], 1, v2
	s_andn2_b64 vcc, exec, s[2:3]
	s_cbranch_vccnz .LBB260_36
; %bb.35:                               ;   in Loop: Header=BB260_32 Depth=1
	s_add_i32 s2, s55, 64
	s_mul_hi_i32 s3, s2, s14
	s_mul_i32 s2, s2, s14
	s_add_u32 s2, s2, s51
	s_addc_u32 s3, s3, s56
	s_lshl_b64 s[2:3], s[2:3], 8
	s_add_u32 s24, s4, s2
	s_addc_u32 s25, s5, s3
.LBB260_36:                             ;   in Loop: Header=BB260_32 Depth=1
	v_perm_b32 v3, v55, v54, s37
	v_perm_b32 v2, v51, v50, s37
	;; [unrolled: 1-line block ×4, first 2 shown]
	ds_write_b64 v83, v[2:3]
	ds_write_b64 v84, v[4:5]
	;; [unrolled: 1-line block ×4, first 2 shown]
	v_perm_b32 v3, v80, v73, s37
	v_perm_b32 v2, v69, v71, s37
	v_perm_b32 v5, v77, v74, s37
	v_perm_b32 v4, v70, v72, s37
	ds_write_b64 v85, v[2:3]
	ds_write_b64 v86, v[4:5]
	;; [unrolled: 1-line block ×4, first 2 shown]
	s_waitcnt lgkmcnt(0)
	s_barrier
	ds_read_b64 v[6:7], v91 offset:24576
	ds_read2_b64 v[2:5], v92 offset1:16
	ds_read_b64 v[10:11], v94 offset:3072
	ds_read_b64 v[12:13], v92 offset:3072
	;; [unrolled: 1-line block ×3, first 2 shown]
	s_waitcnt lgkmcnt(3)
	v_mfma_f32_16x16x16_bf16 a[0:3], v[6:7], v[2:3], 0
	s_add_i32 s61, s55, 63
	s_ashr_i32 s2, s61, 31
	s_mul_i32 s3, s61, s29
	v_mfma_f32_16x16x16_bf16 a[4:7], v[6:7], v[4:5], 0
	ds_read2st64_b64 v[2:5], v92 offset0:2 offset1:4
	s_mul_hi_u32 s27, s61, s28
	s_add_i32 s3, s27, s3
	s_waitcnt lgkmcnt(0)
	v_mfma_f32_16x16x16_bf16 a[0:3], v[14:15], v[2:3], a[0:3]
	ds_read2st64_b64 v[6:9], v94 offset0:2 offset1:4
	ds_read_b64 v[2:3], v95 offset:24576
	s_mul_i32 s2, s2, s28
	s_add_i32 s3, s3, s2
	s_waitcnt lgkmcnt(1)
	v_mfma_f32_16x16x16_bf16 a[4:7], v[14:15], v[6:7], a[4:7]
	ds_read_b64 v[6:7], v96 offset:24576
	s_mul_i32 s2, s61, s28
	s_lshl_b64 s[2:3], s[2:3], 2
	s_waitcnt lgkmcnt(1)
	v_mfma_f32_16x16x16_bf16 a[0:3], v[2:3], v[4:5], a[0:3]
	s_add_u32 s2, s40, s2
	s_addc_u32 s3, s41, s3
	s_and_b64 vcc, exec, s[0:1]
	v_mfma_f32_16x16x16_bf16 a[4:7], v[2:3], v[8:9], a[4:7]
	v_mov_b32_e32 v115, 0
	v_mov_b32_e32 v114, 0
	;; [unrolled: 1-line block ×3, first 2 shown]
	s_waitcnt lgkmcnt(0)
	v_mfma_f32_16x16x16_bf16 a[0:3], v[6:7], v[12:13], a[0:3]
	v_mov_b32_e32 v2, 0
	v_mov_b32_e32 v3, 0
	;; [unrolled: 1-line block ×3, first 2 shown]
	v_mfma_f32_16x16x16_bf16 a[4:7], v[6:7], v[10:11], a[4:7]
	v_mov_b32_e32 v5, 0
	v_mov_b32_e32 v6, 0
	;; [unrolled: 1-line block ×13, first 2 shown]
	s_cbranch_vccnz .LBB260_38
; %bb.37:                               ;   in Loop: Header=BB260_32 Depth=1
	s_and_b32 s21, s21, 0xffff
	buffer_load_dwordx4 v[14:17], v78, s[20:23], 0 offen
	buffer_load_dwordx4 v[10:13], v78, s[20:23], s57 offen
	;; [unrolled: 1-line block ×4, first 2 shown]
	v_mov_b32_e32 v114, v81
	v_mov_b32_e32 v113, v82
.LBB260_38:                             ;   in Loop: Header=BB260_32 Depth=1
	ds_read_b64 v[22:23], v91 offset:32768
	ds_read2_b64 v[18:21], v97 offset1:16
	ds_read_b64 v[26:27], v93 offset:32768
	ds_read_b64 v[28:29], v95 offset:32768
	;; [unrolled: 1-line block ×3, first 2 shown]
	v_add_u32_e32 v34, s55, v67
	s_waitcnt lgkmcnt(3)
	v_mfma_f32_16x16x16_bf16 a[0:3], v[22:23], v[18:19], a[0:3]
	v_mov_b32_e32 v116, 0
	v_mfma_f32_16x16x16_bf16 a[4:7], v[22:23], v[20:21], a[4:7]
	ds_read2st64_b64 v[18:21], v97 offset0:2 offset1:4
	ds_read2st64_b64 v[22:25], v98 offset0:2 offset1:4
	s_waitcnt lgkmcnt(1)
	v_mfma_f32_16x16x16_bf16 a[0:3], v[26:27], v[18:19], a[0:3]
	ds_read_b64 v[18:19], v97 offset:3072
	ds_read_b64 v[32:33], v98 offset:3072
	s_waitcnt lgkmcnt(2)
	v_mfma_f32_16x16x16_bf16 a[4:7], v[26:27], v[22:23], a[4:7]
	v_ashrrev_i32_e32 v22, 31, v34
	v_mul_lo_u32 v23, v34, s29
	v_mul_lo_u32 v22, v22, s28
	v_mfma_f32_16x16x16_bf16 a[0:3], v[28:29], v[20:21], a[0:3]
	v_mad_u64_u32 v[20:21], s[20:21], v34, s28, 0
	v_add3_u32 v21, v21, v23, v22
	v_add_u32_e32 v22, 1, v34
	v_ashrrev_i32_e32 v23, 31, v22
	v_mfma_f32_16x16x16_bf16 a[4:7], v[28:29], v[24:25], a[4:7]
	v_mul_lo_u32 v23, v23, s28
	v_mul_lo_u32 v24, v22, s29
	v_lshl_add_u64 v[20:21], v[20:21], 2, s[40:41]
	s_waitcnt lgkmcnt(1)
	v_mfma_f32_16x16x16_bf16 a[0:3], v[30:31], v[18:19], a[0:3]
	v_mad_u64_u32 v[18:19], s[20:21], v22, s28, 0
	v_add_u32_e32 v22, 2, v34
	v_add3_u32 v19, v19, v24, v23
	v_ashrrev_i32_e32 v23, 31, v22
	v_mul_lo_u32 v24, v23, s28
	v_mul_lo_u32 v25, v22, s29
	v_mad_u64_u32 v[22:23], s[20:21], v22, s28, 0
	v_add3_u32 v23, v23, v25, v24
	v_add_u32_e32 v24, 3, v34
	v_ashrrev_i32_e32 v25, 31, v24
	v_mul_lo_u32 v26, v25, s28
	v_mul_lo_u32 v27, v24, s29
	v_mad_u64_u32 v[24:25], s[20:21], v24, s28, 0
	v_add3_u32 v25, v25, v27, v26
	v_lshl_add_u64 v[24:25], v[24:25], 2, s[40:41]
	s_ashr_i32 s21, s55, 31
	v_lshl_add_u64 v[18:19], v[18:19], 2, s[40:41]
	v_lshl_add_u64 v[22:23], v[22:23], 2, s[40:41]
	global_load_dword v26, v[20:21], off
	global_load_dword v27, v[18:19], off
	;; [unrolled: 1-line block ×3, first 2 shown]
	s_nop 0
	global_load_dword v25, v[24:25], off
	s_add_u32 s20, s53, s55
	s_addc_u32 s21, s52, s21
	s_lshl_b64 s[20:21], s[20:21], 8
	v_lshl_add_u64 v[18:19], v[58:59], 0, s[20:21]
	v_lshl_add_u64 v[18:19], v[18:19], 0, v[56:57]
	global_load_ushort v29, v[18:19], off
	global_load_ushort v34, v[18:19], off offset:256
	global_load_ushort v35, v[18:19], off offset:800
	;; [unrolled: 1-line block ×7, first 2 shown]
	s_load_dword s2, s[2:3], 0x0
	s_waitcnt lgkmcnt(0)
	v_mfma_f32_16x16x16_bf16 a[4:7], v[30:31], v[32:33], a[4:7]
	v_accvgpr_read_b32 v23, a1
	v_accvgpr_read_b32 v19, a3
	;; [unrolled: 1-line block ×4, first 2 shown]
	s_and_b64 vcc, exec, s[0:1]
	s_waitcnt vmcnt(11)
	v_sub_f32_e32 v24, s2, v26
	s_waitcnt vmcnt(10)
	v_sub_f32_e32 v32, s2, v27
	;; [unrolled: 2-line block ×4, first 2 shown]
	v_exp_f32_e32 v24, v24
	v_exp_f32_e32 v25, v32
	;; [unrolled: 1-line block ×4, first 2 shown]
	s_waitcnt vmcnt(6)
	v_lshlrev_b32_e32 v27, 16, v34
	v_lshlrev_b32_e32 v26, 16, v29
	s_waitcnt vmcnt(4)
	v_lshlrev_b32_e32 v29, 16, v36
	s_waitcnt vmcnt(2)
	v_lshlrev_b32_e32 v28, 16, v38
	v_pk_add_f32 v[22:23], v[26:27], v[22:23] neg_lo:[0,1] neg_hi:[0,1]
	v_pk_add_f32 v[18:19], v[28:29], v[18:19] neg_lo:[0,1] neg_hi:[0,1]
	v_pk_mul_f32 v[22:23], v[24:25], v[22:23]
	v_pk_mul_f32 v[18:19], v[32:33], v[18:19]
	s_waitcnt vmcnt(1)
	v_lshlrev_b32_e32 v31, 16, v39
	v_perm_b32 v19, v19, v18, s37
	v_perm_b32 v18, v23, v22, s37
	v_accvgpr_read_b32 v23, a5
	s_waitcnt vmcnt(0)
	v_lshlrev_b32_e32 v30, 16, v40
	v_accvgpr_read_b32 v22, a4
	v_pk_add_f32 v[22:23], v[30:31], v[22:23] neg_lo:[0,1] neg_hi:[0,1]
	v_accvgpr_read_b32 v21, a7
	v_accvgpr_read_b32 v20, a6
	v_pk_mul_f32 v[22:23], v[24:25], v[22:23]
	v_lshlrev_b32_e32 v25, 16, v35
	v_lshlrev_b32_e32 v24, 16, v37
	v_pk_add_f32 v[20:21], v[24:25], v[20:21] neg_lo:[0,1] neg_hi:[0,1]
	v_mov_b32_e32 v24, 0
	v_pk_mul_f32 v[20:21], v[32:33], v[20:21]
	v_mov_b32_e32 v25, 0
	v_perm_b32 v21, v21, v20, s37
	v_perm_b32 v20, v23, v22, s37
	ds_write2_b64 v84, v[18:19], v[20:21] offset1:16
	v_mov_b32_e32 v18, 0
	v_mov_b32_e32 v19, 0
	v_mov_b32_e32 v20, 0
	v_mov_b32_e32 v21, 0
	v_mov_b32_e32 v22, 0
	v_mov_b32_e32 v23, 0
	v_mov_b32_e32 v26, 0
	v_mov_b32_e32 v27, 0
	v_mov_b32_e32 v28, 0
	v_mov_b32_e32 v29, 0
	v_mov_b32_e32 v30, 0
	v_mov_b32_e32 v31, 0
	v_mov_b32_e32 v32, 0
	v_mov_b32_e32 v33, 0
	s_cbranch_vccnz .LBB260_40
; %bb.39:                               ;   in Loop: Header=BB260_32 Depth=1
	s_and_b32 s25, s25, 0xffff
	s_mov_b32 s27, s23
	buffer_load_dwordx4 v[30:33], v102, s[24:27], 0 offen
	buffer_load_dwordx4 v[22:25], v102, s[24:27], s57 offen
	;; [unrolled: 1-line block ×4, first 2 shown]
	v_mov_b32_e32 v115, v76
	v_mov_b32_e32 v116, v75
.LBB260_40:                             ;   in Loop: Header=BB260_32 Depth=1
	s_waitcnt lgkmcnt(0)
	s_barrier
	ds_read_b64 v[38:39], v104
	ds_read_b64 v[122:123], v101
	;; [unrolled: 1-line block ×5, first 2 shown]
	ds_read_b64 v[136:137], v98 offset:3072
	ds_read2_b64 v[34:37], v97 offset0:16 offset1:128
	s_waitcnt lgkmcnt(5)
	v_mfma_f32_16x16x16_bf16 a[0:3], v[38:39], v[122:123], 0
	s_add_i32 s3, s54, s60
	s_mul_hi_i32 s21, s3, s13
	s_mul_i32 s3, s3, s13
	s_waitcnt lgkmcnt(0)
	v_mfma_f32_16x16x16_bf16 a[4:7], v[38:39], v[34:35], 0
	ds_read_b64 v[38:39], v109
	ds_read2st64_b64 v[40:43], v98 offset0:2 offset1:4
	s_add_u32 s20, s3, s47
	s_addc_u32 s21, s21, s49
	s_lshl_b64 s[20:21], s[20:21], 15
	s_mul_i32 s24, s61, s13
	s_mul_hi_i32 s3, s61, s13
	s_add_u32 s24, s24, s47
	s_waitcnt lgkmcnt(1)
	v_mfma_f32_16x16x16_bf16 a[8:11], v[38:39], v[122:123], 0
	s_addc_u32 s25, s3, s49
	ds_read2st64_b64 v[118:121], v97 offset0:4 offset1:6
	s_lshl_b64 s[24:25], s[24:25], 9
	v_mfma_f32_16x16x16_bf16 a[0:3], v[124:125], v[36:37], a[0:3]
	s_add_u32 s24, s16, s24
	s_addc_u32 s25, s17, s25
	s_waitcnt lgkmcnt(1)
	v_mfma_f32_16x16x16_bf16 a[4:7], v[124:125], v[40:41], a[4:7]
	ds_read_b64 v[124:125], v110
	ds_read_b64 v[132:133], v111
	;; [unrolled: 1-line block ×3, first 2 shown]
	v_mfma_f32_16x16x16_bf16 a[12:15], v[38:39], v[34:35], 0
	s_waitcnt lgkmcnt(2)
	v_mfma_f32_16x16x16_bf16 a[8:11], v[124:125], v[36:37], a[8:11]
	global_load_dwordx4 v[34:37], v108, s[24:25]
	v_mfma_f32_16x16x16_bf16 a[12:15], v[124:125], v[40:41], a[12:15]
	global_load_dwordx4 v[38:41], v47, s[24:25]
	ds_read2st64_b64 v[122:125], v99 offset1:8
	s_waitcnt lgkmcnt(0)
	v_mov_b32_e32 v130, v122
	v_mfma_f32_16x16x16_bf16 a[0:3], v[126:127], v[118:119], a[0:3]
	v_mov_b32_e32 v131, v123
	v_mfma_f32_16x16x16_bf16 a[4:7], v[126:127], v[42:43], a[4:7]
	ds_read2st64_b64 v[126:129], v100 offset1:8
	v_mfma_f32_16x16x16_bf16 a[8:11], v[132:133], v[118:119], a[8:11]
	v_lshl_add_u64 v[118:119], v[60:61], 0, s[20:21]
	v_mfma_f32_16x16x16_bf16 a[16:19], v[132:133], v[42:43], a[12:15]
	v_add_co_u32_e32 v42, vcc, s35, v118
	s_waitcnt lgkmcnt(0)
	v_mov_b32_e32 v132, v126
	v_mfma_f32_16x16x16_bf16 a[0:3], v[134:135], v[120:121], a[0:3]
	v_mov_b32_e32 v133, v127
	v_mov_b32_e32 v126, v124
	;; [unrolled: 1-line block ×3, first 2 shown]
	v_mfma_f32_16x16x16_bf16 a[4:7], v[134:135], v[136:137], a[4:7]
	v_addc_co_u32_e32 v43, vcc, 0, v119, vcc
	global_store_dwordx4 v[42:43], v[126:129], off
	v_mfma_f32_16x16x16_bf16 a[12:15], v[138:139], v[120:121], a[8:11]
	s_and_b64 vcc, exec, s[0:1]
	global_store_dwordx4 v[118:119], v[130:133], off
	s_waitcnt vmcnt(3)
	v_mov_b32_e32 v44, v37
	v_mfma_f32_16x16x16_bf16 a[8:11], v[138:139], v[136:137], a[16:19]
	v_mov_b32_e32 v43, v36
	v_mov_b32_e32 v42, v35
	s_cbranch_vccnz .LBB260_42
; %bb.41:                               ;   in Loop: Header=BB260_32 Depth=1
	v_lshrrev_b32_e32 v35, 3, v115
	v_and_b32_e32 v35, 6, v35
	v_xor_b32_e32 v36, v35, v116
	v_lshlrev_b32_e32 v36, 2, v36
	v_and_b32_e32 v37, 8, v115
	v_xor_b32_e32 v115, 0x440, v36
	v_cmp_eq_u32_e32 vcc, 0, v37
	v_perm_b32 v37, v22, v18, s58
	s_nop 0
	v_cndmask_b32_e32 v36, v115, v36, vcc
	v_lshl_or_b32 v35, v35, 10, v36
	v_perm_b32 v36, v30, v26, s58
	s_barrier
	ds_write2st64_b32 v35, v36, v37 offset0:32 offset1:64
	v_xor_b32_e32 v36, 8, v35
	v_perm_b32 v26, v30, v26, s59
	v_perm_b32 v18, v22, v18, s59
	v_add_u32_e32 v22, 0x80, v36
	ds_write2st64_b32 v22, v26, v18 offset0:32 offset1:64
	v_xor_b32_e32 v18, 16, v35
	v_perm_b32 v22, v31, v27, s58
	v_perm_b32 v26, v23, v19, s58
	ds_write2st64_b32 v18, v22, v26 offset0:33 offset1:65
	v_xor_b32_e32 v18, 24, v35
	v_perm_b32 v22, v31, v27, s59
	v_perm_b32 v19, v23, v19, s59
	v_add_u32_e32 v18, 0x80, v18
	ds_write2st64_b32 v18, v22, v19 offset0:33 offset1:65
	v_xor_b32_e32 v18, 32, v35
	v_perm_b32 v19, v32, v28, s58
	v_perm_b32 v22, v24, v20, s58
	;; [unrolled: 9-line block ×3, first 2 shown]
	ds_write2st64_b32 v18, v19, v20 offset0:35 offset1:67
	v_xor_b32_e32 v18, 56, v35
	v_perm_b32 v19, v33, v29, s59
	v_perm_b32 v20, v25, v21, s59
	v_add_u32_e32 v18, 0x80, v18
	ds_write2st64_b32 v18, v19, v20 offset0:35 offset1:67
	ds_write_b64 v114, v[14:15] offset:24576
	v_xor_b32_e32 v14, 8, v114
	ds_write_b64 v14, v[16:17] offset:24576
	ds_write_b64 v114, v[10:11] offset:32768
	;; [unrolled: 1-line block ×4, first 2 shown]
	v_xor_b32_e32 v6, 8, v113
	ds_write_b64 v6, v[8:9] offset:24576
	ds_write_b64 v113, v[2:3] offset:32768
	;; [unrolled: 1-line block ×3, first 2 shown]
.LBB260_42:                             ;   in Loop: Header=BB260_32 Depth=1
	v_exp_f32_e32 v18, s2
	s_waitcnt vmcnt(2)
	v_exp_f32_e32 v20, v38
	v_exp_f32_e32 v21, v39
	;; [unrolled: 1-line block ×4, first 2 shown]
	v_accvgpr_read_b32 v13, a3
	v_accvgpr_read_b32 v11, a1
	;; [unrolled: 1-line block ×4, first 2 shown]
	v_pk_mul_f32 v[20:21], v[18:19], v[20:21] op_sel_hi:[0,1]
	v_accvgpr_read_b32 v12, a2
	v_accvgpr_read_b32 v7, a5
	;; [unrolled: 1-line block ×3, first 2 shown]
	v_pk_fma_f32 v[50:51], v[50:51], v[20:21], v[10:11]
	v_pk_mul_f32 v[10:11], v[18:19], v[22:23] op_sel_hi:[0,1]
	v_pk_fma_f32 v[54:55], v[54:55], v[10:11], v[12:13]
	v_fma_f32 v71, v71, v20, v6
	v_fma_f32 v69, v69, v21, v7
	v_exp_f32_e32 v6, v34
	v_exp_f32_e32 v7, v42
	;; [unrolled: 1-line block ×4, first 2 shown]
	v_accvgpr_read_b32 v8, a6
	v_accvgpr_read_b32 v17, a15
	;; [unrolled: 1-line block ×9, first 2 shown]
	v_fma_f32 v73, v73, v10, v8
	v_fmac_f32_e32 v9, v80, v11
	v_pk_mul_f32 v[6:7], v[18:19], v[6:7] op_sel_hi:[0,1]
	v_pk_mul_f32 v[10:11], v[18:19], v[12:13] op_sel_hi:[0,1]
	s_add_i32 s55, s55, 64
	v_pk_fma_f32 v[48:49], v[48:49], v[6:7], v[14:15]
	v_pk_fma_f32 v[52:53], v[52:53], v[10:11], v[16:17]
	v_fma_f32 v72, v72, v6, v2
	v_fma_f32 v70, v70, v7, v3
	;; [unrolled: 1-line block ×3, first 2 shown]
	s_cmp_eq_u32 s48, s39
	v_fmac_f32_e32 v5, v77, v11
	s_cbranch_scc1 .LBB260_4
; %bb.43:                               ;   in Loop: Header=BB260_32 Depth=1
	s_mov_b32 s60, s39
	v_mov_b32_e32 v80, v9
	v_mov_b32_e32 v77, v5
	s_branch .LBB260_32
.LBB260_44:
                                        ; implicit-def: $vgpr5
                                        ; implicit-def: $vgpr9
                                        ; implicit-def: $vgpr13
                                        ; implicit-def: $vgpr17
	s_cbranch_execz .LBB260_46
; %bb.45:
	s_waitcnt vmcnt(0)
	v_mad_u64_u32 v[2:3], s[0:1], v20, s15, v[18:19]
	v_lshlrev_b32_e32 v20, 1, v2
	s_lshl_b32 s2, s15, 7
	s_and_b32 s1, s5, 0xffff
	s_mov_b32 s3, 0x20000
	s_mov_b32 s0, s4
	v_add_lshl_u32 v21, v2, s15, 1
	s_movk_i32 s13, 0x80
	buffer_load_dwordx4 v[2:5], v20, s[0:3], 0 offen
	buffer_load_dwordx4 v[10:13], v20, s[0:3], s13 offen
	;; [unrolled: 1-line block ×4, first 2 shown]
.LBB260_46:
	v_lshrrev_b32_e32 v30, 2, v45
	s_cbranch_execnz .LBB260_59
.LBB260_47:
	s_and_b64 vcc, exec, s[6:7]
	s_cbranch_vccz .LBB260_57
; %bb.48:
	s_waitcnt vmcnt(0)
	v_lshlrev_b32_e32 v7, 1, v23
	v_cmp_gt_i32_e32 vcc, s27, v7
	v_mov_b32_e32 v6, 0
	v_lshlrev_b32_e32 v14, 9, v23
	v_mov_b32_e32 v2, 0
	v_mov_b32_e32 v3, 0
	;; [unrolled: 1-line block ×4, first 2 shown]
	s_and_saveexec_b64 s[0:1], vcc
	s_cbranch_execz .LBB260_50
; %bb.49:
	v_mov_b32_e32 v15, 0
	v_lshl_add_u64 v[2:3], s[4:5], 0, v[14:15]
	v_lshlrev_b32_e32 v4, 1, v18
	v_mov_b32_e32 v5, v15
	v_lshl_add_u64 v[2:3], v[2:3], 0, v[4:5]
	global_load_dwordx4 v[2:5], v[2:3], off
.LBB260_50:
	s_or_b64 exec, exec, s[0:1]
	v_or_b32_e32 v7, 1, v7
	v_cmp_gt_i32_e64 s[0:1], s27, v7
	v_lshlrev_b32_e32 v20, 8, v7
	v_mov_b32_e32 v7, 0
	v_mov_b32_e32 v8, 0
	;; [unrolled: 1-line block ×3, first 2 shown]
	s_and_saveexec_b64 s[2:3], s[0:1]
	s_cbranch_execz .LBB260_52
; %bb.51:
	v_mov_b32_e32 v21, 0
	v_lshl_add_u64 v[6:7], s[4:5], 0, v[20:21]
	v_lshlrev_b32_e32 v8, 1, v18
	v_mov_b32_e32 v9, v21
	v_lshl_add_u64 v[6:7], v[6:7], 0, v[8:9]
	global_load_dwordx4 v[6:9], v[6:7], off
.LBB260_52:
	s_or_b64 exec, exec, s[2:3]
	v_mov_b32_e32 v17, 0
	v_mov_b32_e32 v10, 0
	;; [unrolled: 1-line block ×5, first 2 shown]
	s_and_saveexec_b64 s[2:3], vcc
	s_cbranch_execz .LBB260_54
; %bb.53:
	v_mov_b32_e32 v15, 0
	v_lshl_add_u64 v[10:11], s[4:5], 0, v[14:15]
	v_lshlrev_b32_e32 v14, 1, v18
	v_lshl_add_u64 v[10:11], v[10:11], 0, v[14:15]
	global_load_dwordx4 v[10:13], v[10:11], off offset:128
.LBB260_54:
	s_or_b64 exec, exec, s[2:3]
	v_mov_b32_e32 v16, 0
	v_mov_b32_e32 v15, 0
	;; [unrolled: 1-line block ×3, first 2 shown]
	s_and_saveexec_b64 s[2:3], s[0:1]
	s_cbranch_execz .LBB260_56
; %bb.55:
	v_mov_b32_e32 v21, 0
	v_lshl_add_u64 v[14:15], s[4:5], 0, v[20:21]
	v_lshlrev_b32_e32 v20, 1, v18
	v_lshl_add_u64 v[14:15], v[14:15], 0, v[20:21]
	global_load_dwordx4 v[14:17], v[14:15], off offset:128
.LBB260_56:
	s_or_b64 exec, exec, s[2:3]
	s_branch .LBB260_59
.LBB260_57:
                                        ; implicit-def: $vgpr5
                                        ; implicit-def: $vgpr9
                                        ; implicit-def: $vgpr13
                                        ; implicit-def: $vgpr17
	s_cbranch_execz .LBB260_59
; %bb.58:
	s_waitcnt vmcnt(0)
	v_lshlrev_b32_e32 v2, 1, v18
	v_lshl_or_b32 v18, v23, 9, v2
	s_and_b32 s5, s5, 0xffff
	s_mov_b32 s7, 0x20000
	s_movk_i32 s6, 0x4000
	s_movk_i32 s0, 0x80
	buffer_load_dwordx4 v[2:5], v18, s[4:7], 0 offen
	buffer_load_dwordx4 v[6:9], v18, s[4:7], 0 offen offset:256
	buffer_load_dwordx4 v[10:13], v18, s[4:7], s0 offen
	buffer_load_dwordx4 v[14:17], v18, s[4:7], s0 offen offset:256
.LBB260_59:
	ds_read_b64 v[20:21], v25 offset:32768
	v_add_u32_e32 v18, 0xb000, v24
	ds_read2_b64 v[32:35], v18 offset1:16
	ds_read_b64 v[40:41], v26 offset:32768
	ds_read_b64 v[26:27], v27 offset:32768
	;; [unrolled: 1-line block ×3, first 2 shown]
	v_and_b32_e32 v18, 6, v0
	v_xor_b32_e32 v23, v23, v18
	v_lshlrev_b32_e32 v23, 2, v23
	v_and_b32_e32 v0, 1, v0
	v_xor_b32_e32 v28, 0x440, v23
	v_cmp_eq_u32_e32 vcc, 0, v0
	s_waitcnt lgkmcnt(3)
	v_mfma_f32_16x16x16_bf16 a[0:3], v[20:21], v[32:33], a[0:3]
	s_mov_b32 s0, 0x1000504
	v_cndmask_b32_e32 v0, v28, v23, vcc
	v_lshl_or_b32 v0, v18, 10, v0
	v_mfma_f32_16x16x16_bf16 a[4:7], v[20:21], v[34:35], a[4:7]
	ds_read2st64_b64 v[32:35], v24 offset0:90 offset1:92
	ds_read2st64_b64 v[36:39], v29 offset0:90 offset1:92
	ds_read_b64 v[20:21], v24 offset:48128
	ds_read_b64 v[24:25], v29 offset:48128
	s_waitcnt vmcnt(0)
	v_perm_b32 v18, v2, v6, s0
	s_waitcnt lgkmcnt(3)
	v_mfma_f32_16x16x16_bf16 a[0:3], v[40:41], v[32:33], a[0:3]
	s_mov_b32 s1, 0x3020706
	v_perm_b32 v2, v2, v6, s1
	v_perm_b32 v6, v10, v14, s1
	s_waitcnt lgkmcnt(2)
	v_mfma_f32_16x16x16_bf16 a[4:7], v[40:41], v[36:37], a[4:7]
	v_mfma_f32_16x16x16_bf16 a[0:3], v[26:27], v[34:35], a[0:3]
	;; [unrolled: 1-line block ×3, first 2 shown]
	s_waitcnt lgkmcnt(1)
	v_mfma_f32_16x16x16_bf16 a[4:7], v[42:43], v[20:21], a[0:3]
	v_perm_b32 v20, v10, v14, s0
	ds_write2st64_b32 v0, v18, v20 offset0:32 offset1:64
	v_xor_b32_e32 v18, 8, v0
	v_add_u32_e32 v10, 0x80, v18
	ds_write2st64_b32 v10, v2, v6 offset0:32 offset1:64
	v_xor_b32_e32 v2, 16, v0
	v_perm_b32 v6, v3, v7, s0
	v_perm_b32 v10, v11, v15, s0
	ds_write2st64_b32 v2, v6, v10 offset0:33 offset1:65
	v_xor_b32_e32 v2, 24, v0
	v_perm_b32 v3, v3, v7, s1
	v_perm_b32 v6, v11, v15, s1
	v_add_u32_e32 v2, 0x80, v2
	ds_write2st64_b32 v2, v3, v6 offset0:33 offset1:65
	v_xor_b32_e32 v2, 32, v0
	v_perm_b32 v3, v4, v8, s0
	v_perm_b32 v6, v12, v16, s0
	s_waitcnt lgkmcnt(4)
	v_mfma_f32_16x16x16_bf16 a[0:3], v[42:43], v[24:25], a[8:11]
	ds_write2st64_b32 v2, v3, v6 offset0:34 offset1:66
	v_xor_b32_e32 v2, 40, v0
	v_perm_b32 v3, v4, v8, s1
	v_perm_b32 v4, v12, v16, s1
	v_add_u32_e32 v2, 0x80, v2
	ds_write2st64_b32 v2, v3, v4 offset0:34 offset1:66
	v_xor_b32_e32 v2, 48, v0
	v_perm_b32 v3, v5, v9, s0
	v_perm_b32 v4, v13, v17, s0
	v_xor_b32_e32 v0, 56, v0
	v_and_or_b32 v18, v30, 12, v1
	ds_write2st64_b32 v2, v3, v4 offset0:35 offset1:67
	v_perm_b32 v2, v5, v9, s1
	v_perm_b32 v3, v13, v17, s1
	v_add_u32_e32 v0, 0x80, v0
	v_cmp_gt_i32_e32 vcc, s27, v18
	v_mov_b32_e32 v14, 0
	v_mov_b32_e32 v16, 0
	ds_write2st64_b32 v0, v2, v3 offset0:35 offset1:67
	s_and_saveexec_b64 s[0:1], vcc
	s_cbranch_execz .LBB260_61
; %bb.60:
	v_add_u32_e32 v0, s26, v18
	v_ashrrev_i32_e32 v1, 31, v0
	v_mul_lo_u32 v2, v1, s28
	v_mul_lo_u32 v3, v0, s29
	v_mad_u64_u32 v[0:1], s[2:3], v0, s28, 0
	v_add3_u32 v1, v1, v3, v2
	v_lshl_add_u64 v[0:1], v[0:1], 2, s[10:11]
	global_load_dword v0, v[0:1], off
	s_waitcnt vmcnt(0)
	v_sub_f32_e32 v0, s12, v0
	v_exp_f32_e32 v16, v0
.LBB260_61:
	s_or_b64 exec, exec, s[0:1]
	v_or_b32_e32 v8, 1, v18
	v_cmp_gt_i32_e64 s[0:1], s27, v8
	s_and_saveexec_b64 s[2:3], s[0:1]
	s_cbranch_execz .LBB260_63
; %bb.62:
	v_add_u32_e32 v0, s26, v8
	v_ashrrev_i32_e32 v1, 31, v0
	v_mul_lo_u32 v2, v1, s28
	v_mul_lo_u32 v3, v0, s29
	v_mad_u64_u32 v[0:1], s[4:5], v0, s28, 0
	v_add3_u32 v1, v1, v3, v2
	v_lshl_add_u64 v[0:1], v[0:1], 2, s[10:11]
	global_load_dword v0, v[0:1], off
	s_waitcnt vmcnt(0)
	v_sub_f32_e32 v0, s12, v0
	v_exp_f32_e32 v14, v0
.LBB260_63:
	s_or_b64 exec, exec, s[2:3]
	v_or_b32_e32 v10, 2, v18
	v_cmp_gt_i32_e64 s[2:3], s27, v10
	v_mov_b32_e32 v15, 0
	v_mov_b32_e32 v17, 0
	s_and_saveexec_b64 s[4:5], s[2:3]
	s_cbranch_execz .LBB260_65
; %bb.64:
	v_add_u32_e32 v0, s26, v10
	v_ashrrev_i32_e32 v1, 31, v0
	v_mul_lo_u32 v2, v1, s28
	v_mul_lo_u32 v3, v0, s29
	v_mad_u64_u32 v[0:1], s[6:7], v0, s28, 0
	v_add3_u32 v1, v1, v3, v2
	v_lshl_add_u64 v[0:1], v[0:1], 2, s[10:11]
	global_load_dword v0, v[0:1], off
	s_waitcnt vmcnt(0)
	v_sub_f32_e32 v0, s12, v0
	v_exp_f32_e32 v17, v0
.LBB260_65:
	s_or_b64 exec, exec, s[4:5]
	v_or_b32_e32 v12, 3, v18
	v_cmp_gt_i32_e64 s[4:5], s27, v12
	s_and_saveexec_b64 s[6:7], s[4:5]
	s_cbranch_execz .LBB260_67
; %bb.66:
	v_add_u32_e32 v0, s26, v12
	v_ashrrev_i32_e32 v1, 31, v0
	v_mul_lo_u32 v2, v1, s28
	v_mul_lo_u32 v3, v0, s29
	v_mad_u64_u32 v[0:1], s[14:15], v0, s28, 0
	v_add3_u32 v1, v1, v3, v2
	v_lshl_add_u64 v[0:1], v[0:1], 2, s[10:11]
	global_load_dword v0, v[0:1], off
	s_waitcnt vmcnt(0)
	v_sub_f32_e32 v0, s12, v0
	v_exp_f32_e32 v15, v0
.LBB260_67:
	s_or_b64 exec, exec, s[6:7]
	s_add_u32 s6, s8, s20
	v_accvgpr_read_b32 v0, a4
	s_addc_u32 s7, s9, s21
	v_ashrrev_i32_e32 v47, 31, v46
	v_accvgpr_read_b32 v1, a5
	v_accvgpr_read_b32 v2, a6
	;; [unrolled: 1-line block ×3, first 2 shown]
	v_lshl_add_u64 v[4:5], v[46:47], 1, s[6:7]
	v_mov_b32_e32 v9, 0
	v_lshlrev_b32_e32 v6, 8, v18
	v_mov_b32_e32 v7, 0
	s_and_saveexec_b64 s[6:7], vcc
	s_cbranch_execz .LBB260_69
; %bb.68:
	v_mov_b32_e32 v7, 0
	v_lshl_add_u64 v[20:21], v[4:5], 0, v[6:7]
	global_load_ushort v7, v[20:21], off
	s_waitcnt vmcnt(0)
	v_lshlrev_b32_e32 v7, 16, v7
	v_sub_f32_e32 v0, v7, v0
	v_mul_f32_e32 v0, v16, v0
	v_lshrrev_b32_e32 v7, 16, v0
.LBB260_69:
	s_or_b64 exec, exec, s[6:7]
	v_lshlrev_b32_e32 v8, 8, v8
	s_and_saveexec_b64 s[6:7], s[0:1]
	s_cbranch_execz .LBB260_71
; %bb.70:
	v_mov_b32_e32 v9, 0
	v_lshl_add_u64 v[20:21], v[4:5], 0, v[8:9]
	global_load_ushort v0, v[20:21], off
	s_waitcnt vmcnt(0)
	v_lshlrev_b32_e32 v0, 16, v0
	v_sub_f32_e32 v0, v0, v1
	v_mul_f32_e32 v0, v14, v0
	v_lshrrev_b32_e32 v9, 16, v0
.LBB260_71:
	s_or_b64 exec, exec, s[6:7]
	v_mov_b32_e32 v13, 0
	v_lshlrev_b32_e32 v10, 8, v10
	v_mov_b32_e32 v11, 0
	s_and_saveexec_b64 s[6:7], s[2:3]
	s_cbranch_execz .LBB260_73
; %bb.72:
	v_mov_b32_e32 v11, 0
	v_lshl_add_u64 v[0:1], v[4:5], 0, v[10:11]
	global_load_ushort v0, v[0:1], off
	s_waitcnt vmcnt(0)
	v_lshlrev_b32_e32 v0, 16, v0
	v_sub_f32_e32 v0, v0, v2
	v_mul_f32_e32 v0, v17, v0
	v_lshrrev_b32_e32 v11, 16, v0
.LBB260_73:
	s_or_b64 exec, exec, s[6:7]
	v_lshlrev_b32_e32 v12, 8, v12
	s_and_saveexec_b64 s[6:7], s[4:5]
	s_cbranch_execz .LBB260_75
; %bb.74:
	v_mov_b32_e32 v13, 0
	v_lshl_add_u64 v[0:1], v[4:5], 0, v[12:13]
	global_load_ushort v0, v[0:1], off
	s_waitcnt vmcnt(0)
	v_lshlrev_b32_e32 v0, 16, v0
	v_sub_f32_e32 v0, v0, v3
	v_mul_f32_e32 v0, v15, v0
	v_lshrrev_b32_e32 v13, 16, v0
.LBB260_75:
	s_or_b64 exec, exec, s[6:7]
	v_lshlrev_b32_e32 v18, 5, v18
	s_mov_b32 s6, 0x5040100
	v_perm_b32 v20, v9, v7, s6
	v_or_b32_e32 v7, v18, v22
	v_accvgpr_read_b32 v0, a0
	v_perm_b32 v21, v13, v11, s6
	v_lshlrev_b32_e32 v7, 1, v7
	v_accvgpr_read_b32 v1, a1
	v_accvgpr_read_b32 v2, a2
	;; [unrolled: 1-line block ×3, first 2 shown]
	ds_write_b64 v7, v[20:21] offset:45056
	v_mov_b32_e32 v9, 0
	v_mov_b32_e32 v7, 0
	s_and_saveexec_b64 s[6:7], vcc
	s_cbranch_execz .LBB260_77
; %bb.76:
	v_mov_b32_e32 v7, 0
	v_lshl_add_u64 v[6:7], v[4:5], 0, v[6:7]
	global_load_ushort v6, v[6:7], off offset:32
	s_waitcnt vmcnt(0)
	v_lshlrev_b32_e32 v6, 16, v6
	v_sub_f32_e32 v0, v6, v0
	v_mul_f32_e32 v0, v16, v0
	v_lshrrev_b32_e32 v7, 16, v0
.LBB260_77:
	s_or_b64 exec, exec, s[6:7]
	s_and_saveexec_b64 s[6:7], s[0:1]
	s_cbranch_execz .LBB260_79
; %bb.78:
	v_mov_b32_e32 v9, 0
	v_lshl_add_u64 v[8:9], v[4:5], 0, v[8:9]
	global_load_ushort v0, v[8:9], off offset:32
	s_waitcnt vmcnt(0)
	v_lshlrev_b32_e32 v0, 16, v0
	v_sub_f32_e32 v0, v0, v1
	v_mul_f32_e32 v0, v14, v0
	v_lshrrev_b32_e32 v9, 16, v0
.LBB260_79:
	s_or_b64 exec, exec, s[6:7]
	v_mov_b32_e32 v0, 0
	v_mov_b32_e32 v1, 0
	s_and_saveexec_b64 s[0:1], s[2:3]
	s_cbranch_execz .LBB260_81
; %bb.80:
	v_mov_b32_e32 v11, 0
	v_lshl_add_u64 v[10:11], v[4:5], 0, v[10:11]
	global_load_ushort v1, v[10:11], off offset:32
	s_waitcnt vmcnt(0)
	v_lshlrev_b32_e32 v1, 16, v1
	v_sub_f32_e32 v1, v1, v2
	v_mul_f32_e32 v1, v17, v1
	v_lshrrev_b32_e32 v1, 16, v1
.LBB260_81:
	s_or_b64 exec, exec, s[0:1]
	s_and_saveexec_b64 s[0:1], s[4:5]
	s_cbranch_execz .LBB260_83
; %bb.82:
	v_mov_b32_e32 v13, 0
	v_lshl_add_u64 v[4:5], v[4:5], 0, v[12:13]
	global_load_ushort v0, v[4:5], off offset:32
	s_waitcnt vmcnt(0)
	v_lshlrev_b32_e32 v0, 16, v0
	v_sub_f32_e32 v0, v0, v3
	v_mul_f32_e32 v0, v15, v0
	v_lshrrev_b32_e32 v0, 16, v0
.LBB260_83:
	s_or_b64 exec, exec, s[0:1]
	s_mov_b32 s0, 0x5040100
	v_or_b32_e32 v2, v18, v19
	v_perm_b32 v1, v0, v1, s0
	v_perm_b32 v0, v9, v7, s0
	v_lshlrev_b32_e32 v2, 1, v2
	ds_write_b64 v2, v[0:1] offset:45056
	s_waitcnt lgkmcnt(0)
	s_barrier
.LBB260_84:
	s_endpgm
	.section	.rodata,"a",@progbits
	.p2align	6, 0x0
	.amdhsa_kernel _ZN12_GLOBAL__N_139chunk_gated_delta_rule_fwd_h_hip_kernelILi32ELb1ELb0ELb0ELb1ELb1ELb1ELb1ELb1EEEvPK12hip_bfloat16S3_S3_PKfS5_PKvPS1_S8_PvPKiSB_iiiiilll
		.amdhsa_group_segment_fixed_size 49152
		.amdhsa_private_segment_fixed_size 0
		.amdhsa_kernarg_size 136
		.amdhsa_user_sgpr_count 2
		.amdhsa_user_sgpr_dispatch_ptr 0
		.amdhsa_user_sgpr_queue_ptr 0
		.amdhsa_user_sgpr_kernarg_segment_ptr 1
		.amdhsa_user_sgpr_dispatch_id 0
		.amdhsa_user_sgpr_kernarg_preload_length 0
		.amdhsa_user_sgpr_kernarg_preload_offset 0
		.amdhsa_user_sgpr_private_segment_size 0
		.amdhsa_uses_dynamic_stack 0
		.amdhsa_enable_private_segment 0
		.amdhsa_system_sgpr_workgroup_id_x 1
		.amdhsa_system_sgpr_workgroup_id_y 1
		.amdhsa_system_sgpr_workgroup_id_z 0
		.amdhsa_system_sgpr_workgroup_info 0
		.amdhsa_system_vgpr_workitem_id 0
		.amdhsa_next_free_vgpr 160
		.amdhsa_next_free_sgpr 62
		.amdhsa_accum_offset 140
		.amdhsa_reserve_vcc 1
		.amdhsa_float_round_mode_32 0
		.amdhsa_float_round_mode_16_64 0
		.amdhsa_float_denorm_mode_32 3
		.amdhsa_float_denorm_mode_16_64 3
		.amdhsa_dx10_clamp 1
		.amdhsa_ieee_mode 1
		.amdhsa_fp16_overflow 0
		.amdhsa_tg_split 0
		.amdhsa_exception_fp_ieee_invalid_op 0
		.amdhsa_exception_fp_denorm_src 0
		.amdhsa_exception_fp_ieee_div_zero 0
		.amdhsa_exception_fp_ieee_overflow 0
		.amdhsa_exception_fp_ieee_underflow 0
		.amdhsa_exception_fp_ieee_inexact 0
		.amdhsa_exception_int_div_zero 0
	.end_amdhsa_kernel
	.section	.text._ZN12_GLOBAL__N_139chunk_gated_delta_rule_fwd_h_hip_kernelILi32ELb1ELb0ELb0ELb1ELb1ELb1ELb1ELb1EEEvPK12hip_bfloat16S3_S3_PKfS5_PKvPS1_S8_PvPKiSB_iiiiilll,"axG",@progbits,_ZN12_GLOBAL__N_139chunk_gated_delta_rule_fwd_h_hip_kernelILi32ELb1ELb0ELb0ELb1ELb1ELb1ELb1ELb1EEEvPK12hip_bfloat16S3_S3_PKfS5_PKvPS1_S8_PvPKiSB_iiiiilll,comdat
.Lfunc_end260:
	.size	_ZN12_GLOBAL__N_139chunk_gated_delta_rule_fwd_h_hip_kernelILi32ELb1ELb0ELb0ELb1ELb1ELb1ELb1ELb1EEEvPK12hip_bfloat16S3_S3_PKfS5_PKvPS1_S8_PvPKiSB_iiiiilll, .Lfunc_end260-_ZN12_GLOBAL__N_139chunk_gated_delta_rule_fwd_h_hip_kernelILi32ELb1ELb0ELb0ELb1ELb1ELb1ELb1ELb1EEEvPK12hip_bfloat16S3_S3_PKfS5_PKvPS1_S8_PvPKiSB_iiiiilll
                                        ; -- End function
	.section	.AMDGPU.csdata,"",@progbits
; Kernel info:
; codeLenInByte = 8552
; NumSgprs: 68
; NumVgprs: 140
; NumAgprs: 20
; TotalNumVgprs: 160
; ScratchSize: 0
; MemoryBound: 0
; FloatMode: 240
; IeeeMode: 1
; LDSByteSize: 49152 bytes/workgroup (compile time only)
; SGPRBlocks: 8
; VGPRBlocks: 19
; NumSGPRsForWavesPerEU: 68
; NumVGPRsForWavesPerEU: 160
; AccumOffset: 140
; Occupancy: 1
; WaveLimiterHint : 1
; COMPUTE_PGM_RSRC2:SCRATCH_EN: 0
; COMPUTE_PGM_RSRC2:USER_SGPR: 2
; COMPUTE_PGM_RSRC2:TRAP_HANDLER: 0
; COMPUTE_PGM_RSRC2:TGID_X_EN: 1
; COMPUTE_PGM_RSRC2:TGID_Y_EN: 1
; COMPUTE_PGM_RSRC2:TGID_Z_EN: 0
; COMPUTE_PGM_RSRC2:TIDIG_COMP_CNT: 0
; COMPUTE_PGM_RSRC3_GFX90A:ACCUM_OFFSET: 34
; COMPUTE_PGM_RSRC3_GFX90A:TG_SPLIT: 0
	.section	.text._ZN12_GLOBAL__N_139chunk_gated_delta_rule_fwd_h_hip_kernelILi32ELb0ELb1ELb1ELb1ELb1ELb1ELb1ELb1EEEvPK12hip_bfloat16S3_S3_PKfS5_PKvPS1_S8_PvPKiSB_iiiiilll,"axG",@progbits,_ZN12_GLOBAL__N_139chunk_gated_delta_rule_fwd_h_hip_kernelILi32ELb0ELb1ELb1ELb1ELb1ELb1ELb1ELb1EEEvPK12hip_bfloat16S3_S3_PKfS5_PKvPS1_S8_PvPKiSB_iiiiilll,comdat
	.globl	_ZN12_GLOBAL__N_139chunk_gated_delta_rule_fwd_h_hip_kernelILi32ELb0ELb1ELb1ELb1ELb1ELb1ELb1ELb1EEEvPK12hip_bfloat16S3_S3_PKfS5_PKvPS1_S8_PvPKiSB_iiiiilll ; -- Begin function _ZN12_GLOBAL__N_139chunk_gated_delta_rule_fwd_h_hip_kernelILi32ELb0ELb1ELb1ELb1ELb1ELb1ELb1ELb1EEEvPK12hip_bfloat16S3_S3_PKfS5_PKvPS1_S8_PvPKiSB_iiiiilll
	.p2align	8
	.type	_ZN12_GLOBAL__N_139chunk_gated_delta_rule_fwd_h_hip_kernelILi32ELb0ELb1ELb1ELb1ELb1ELb1ELb1ELb1EEEvPK12hip_bfloat16S3_S3_PKfS5_PKvPS1_S8_PvPKiSB_iiiiilll,@function
_ZN12_GLOBAL__N_139chunk_gated_delta_rule_fwd_h_hip_kernelILi32ELb0ELb1ELb1ELb1ELb1ELb1ELb1ELb1EEEvPK12hip_bfloat16S3_S3_PKfS5_PKvPS1_S8_PvPKiSB_iiiiilll: ; @_ZN12_GLOBAL__N_139chunk_gated_delta_rule_fwd_h_hip_kernelILi32ELb0ELb1ELb1ELb1ELb1ELb1ELb1ELb1EEEvPK12hip_bfloat16S3_S3_PKfS5_PKvPS1_S8_PvPKiSB_iiiiilll
; %bb.0:
	s_load_dwordx4 s[20:23], s[0:1], 0x5c
	s_load_dwordx2 s[40:41], s[0:1], 0x20
	s_abs_i32 s27, s3
	s_ashr_i32 s26, s3, 31
	s_load_dwordx2 s[24:25], s[0:1], 0x50
	s_load_dwordx8 s[4:11], s[0:1], 0x30
	s_load_dwordx8 s[12:19], s[0:1], 0x0
	s_waitcnt lgkmcnt(0)
	s_abs_i32 s30, s21
	v_cvt_f32_u32_e32 v1, s30
	s_sub_i32 s28, 0, s30
	s_ashr_i32 s33, s21, 31
	s_xor_b32 s26, s26, s33
	v_rcp_iflag_f32_e32 v1, v1
	v_lshrrev_b32_e32 v53, 6, v0
	v_bfe_u32 v64, v0, 4, 2
	v_lshlrev_b32_e32 v62, 4, v53
	v_mul_f32_e32 v1, 0x4f7ffffe, v1
	v_cvt_u32_f32_e32 v1, v1
	v_lshlrev_b32_e32 v18, 2, v64
	v_and_b32_e32 v63, 63, v0
	v_mov_b32_e32 v17, 0
	v_readfirstlane_b32 s29, v1
	s_mul_i32 s28, s28, s29
	s_mul_hi_u32 s28, s29, s28
	s_add_i32 s29, s29, s28
	s_mul_hi_u32 s28, s27, s29
	s_mul_i32 s29, s28, s30
	s_sub_i32 s27, s27, s29
	s_add_i32 s31, s28, 1
	s_sub_i32 s29, s27, s30
	s_cmp_ge_u32 s27, s30
	s_cselect_b32 s28, s31, s28
	s_cselect_b32 s27, s29, s27
	s_add_i32 s29, s28, 1
	s_cmp_ge_u32 s27, s30
	s_cselect_b32 s27, s29, s28
	s_xor_b32 s27, s27, s26
	s_sub_i32 s34, s27, s26
	s_mul_i32 s26, s34, s21
	s_ashr_i32 s35, s34, 31
	s_sub_i32 s48, s3, s26
	s_lshl_b64 s[26:27], s[34:35], 2
	s_add_u32 s10, s10, s26
	s_addc_u32 s11, s11, s27
	s_add_u32 s28, s24, s26
	s_addc_u32 s29, s25, s27
	s_abs_i32 s3, s22
	v_cvt_f32_u32_e32 v1, s3
	s_load_dwordx2 s[42:43], s[10:11], 0x0
	s_sub_i32 s11, 0, s3
	s_mov_b32 s49, s21
	v_rcp_iflag_f32_e32 v1, v1
	v_and_b32_e32 v65, 15, v0
	s_waitcnt lgkmcnt(0)
	s_sub_i32 s58, s43, s42
	s_ashr_i32 s10, s58, 31
	v_mul_f32_e32 v1, 0x4f7ffffe, v1
	v_cvt_u32_f32_e32 v1, v1
	s_lshr_b32 s10, s10, 26
	s_add_i32 s10, s58, s10
	s_ashr_i32 s53, s10, 6
	v_readfirstlane_b32 s24, v1
	s_mul_i32 s11, s11, s24
	s_mul_hi_u32 s11, s24, s11
	s_add_i32 s24, s24, s11
	s_mul_hi_u32 s11, s30, s24
	s_mul_i32 s24, s11, s3
	s_ashr_i32 s10, s22, 31
	s_sub_i32 s24, s30, s24
	s_xor_b32 s10, s33, s10
	s_add_i32 s25, s11, 1
	s_sub_i32 s26, s24, s3
	s_cmp_ge_u32 s24, s3
	s_cselect_b32 s11, s25, s11
	s_cselect_b32 s24, s26, s24
	s_add_i32 s25, s11, 1
	s_cmp_ge_u32 s24, s3
	s_cselect_b32 s3, s25, s11
	s_xor_b32 s3, s3, s10
	s_sub_i32 s3, s3, s10
	s_abs_i32 s30, s3
	v_cvt_f32_u32_e32 v1, s30
	s_load_dwordx2 s[10:11], s[0:1], 0x80
	s_load_dwordx4 s[24:27], s[0:1], 0x70
	s_load_dword s54, s[28:29], 0x0
	s_xor_b32 s0, s48, s3
	v_rcp_iflag_f32_e32 v1, v1
	s_sub_i32 s3, 0, s30
	s_abs_i32 s1, s48
	s_ashr_i32 s0, s0, 31
	v_mul_f32_e32 v1, 0x4f7ffffe, v1
	v_cvt_u32_f32_e32 v1, v1
	s_mul_hi_i32 s55, s48, s20
	s_mul_i32 s56, s48, s20
	v_lshrrev_b32_e32 v67, 3, v63
	v_readfirstlane_b32 s28, v1
	s_mul_i32 s3, s3, s28
	s_mul_hi_u32 s3, s28, s3
	s_add_i32 s28, s28, s3
	s_mul_hi_u32 s3, s1, s28
	s_mul_i32 s28, s3, s30
	s_sub_i32 s1, s1, s28
	s_add_i32 s28, s3, 1
	s_sub_i32 s29, s1, s30
	s_cmp_ge_u32 s1, s30
	s_cselect_b32 s3, s28, s3
	s_cselect_b32 s1, s29, s1
	s_add_i32 s28, s3, 1
	s_cmp_ge_u32 s1, s30
	s_cselect_b32 s1, s28, s3
	s_xor_b32 s1, s1, s0
	s_sub_i32 s57, s1, s0
	v_or_b32_e32 v1, v18, v62
	s_lshl_b32 s2, s2, 5
	v_or_b32_e32 v68, 64, v1
	s_cmp_lt_i32 s58, 64
	v_lshlrev_b32_e32 v66, 3, v0
	s_waitcnt lgkmcnt(0)
	s_mul_i32 s50, s34, s25
	s_mul_hi_u32 s51, s34, s24
	s_mul_i32 s52, s35, s24
	s_mul_i32 s24, s34, s24
	v_mov_b32_e32 v16, v17
	v_mov_b32_e32 v15, v17
	;; [unrolled: 1-line block ×15, first 2 shown]
	s_cbranch_scc1 .LBB261_19
; %bb.1:
	s_ashr_i32 s60, s48, 31
	s_ashr_i32 s1, s42, 31
	s_add_u32 s0, s56, s42
	s_addc_u32 s1, s55, s1
	s_lshl_b64 s[0:1], s[0:1], 8
	v_and_b32_e32 v70, 56, v66
	s_add_u32 s28, s14, s0
	v_lshl_or_b32 v69, v53, 3, v67
	v_lshlrev_b32_e32 v2, 1, v70
	s_addc_u32 s0, s15, s1
	v_lshl_or_b32 v71, v69, 8, v2
	s_and_b32 s29, s0, 0xffff
	s_mov_b32 s31, 0x20000
	s_movk_i32 s30, 0x4000
	s_movk_i32 s0, 0x80
	v_or_b32_e32 v72, 0x2000, v71
	buffer_load_dwordx4 v[4:7], v71, s[28:31], 0 offen
	buffer_load_dwordx4 v[8:11], v71, s[28:31], s0 offen
	;; [unrolled: 1-line block ×4, first 2 shown]
	v_lshlrev_b32_e32 v3, 3, v69
	v_and_or_b32 v17, v0, 7, v3
	v_and_b32_e32 v3, 0x78, v3
	v_lshlrev_b32_e32 v17, 4, v17
	v_xor_b32_e32 v73, v17, v3
	v_mul_lo_u32 v16, v69, s23
	v_or_b32_e32 v74, 0x1000, v73
	v_xor_b32_e32 v3, 8, v73
	s_cmpk_eq_i32 s23, 0x80
	s_mov_b32 s59, s42
	v_xor_b32_e32 v17, 8, v74
	s_cselect_b64 s[0:1], -1, 0
	s_cmpk_lg_i32 s23, 0x80
	s_waitcnt vmcnt(3)
	ds_write_b64 v73, v[4:5] offset:24576
	ds_write_b64 v3, v[6:7] offset:24576
	s_waitcnt vmcnt(2)
	ds_write_b64 v73, v[8:9] offset:32768
	ds_write_b64 v3, v[10:11] offset:32768
	;; [unrolled: 3-line block ×4, first 2 shown]
	v_lshl_add_u32 v3, v16, 1, v70
	s_cbranch_scc0 .LBB261_3
; %bb.2:
	v_lshlrev_b32_e32 v5, 1, v3
	v_add_lshl_u32 v4, v3, s23, 1
	s_lshl_b32 s30, s23, 7
	v_lshl_or_b32 v2, v69, 9, v2
	s_cbranch_execz .LBB261_4
	s_branch .LBB261_5
.LBB261_3:
                                        ; implicit-def: $vgpr4
                                        ; implicit-def: $vgpr5
                                        ; implicit-def: $sgpr30
	v_lshl_or_b32 v2, v69, 9, v2
.LBB261_4:
	v_or_b32_e32 v4, 0x100, v2
	s_movk_i32 s30, 0x4000
	v_mov_b32_e32 v5, v2
.LBB261_5:
	s_mul_i32 s25, s42, s22
	s_ashr_i32 s61, s57, 31
	s_mul_hi_i32 s3, s42, s22
	s_add_u32 s28, s25, s57
	s_addc_u32 s29, s3, s61
	s_lshl_b64 s[28:29], s[28:29], 8
	s_add_u32 s28, s12, s28
	s_addc_u32 s3, s13, s29
	s_and_b32 s29, s3, 0xffff
	s_movk_i32 s62, 0x80
	buffer_load_dwordx4 v[6:9], v5, s[28:31], 0 offen
	buffer_load_dwordx4 v[10:13], v5, s[28:31], s62 offen
	;; [unrolled: 1-line block ×4, first 2 shown]
	v_and_b32_e32 v4, 6, v0
	v_lshlrev_b32_e32 v24, 6, v1
	v_or_b32_e32 v26, 16, v65
	v_xor_b32_e32 v27, v69, v4
	v_and_b32_e32 v5, 1, v0
	v_lshl_or_b32 v30, v65, 3, v24
	v_lshl_or_b32 v24, v26, 3, v24
	v_lshlrev_b32_e32 v27, 2, v27
	v_lshlrev_b32_e32 v19, 2, v65
	s_mul_i32 s3, s48, s27
	s_mul_hi_u32 s25, s48, s26
	v_or_b32_e32 v77, 0xa000, v24
	v_or_b32_e32 v78, 0xb000, v24
	v_xor_b32_e32 v24, 0x440, v27
	v_cmp_eq_u32_e32 vcc, 0, v5
	s_add_i32 s29, s51, s50
	s_mul_i32 s28, s60, s26
	v_xor_b32_e32 v28, v1, v19
	v_xor_b32_e32 v29, v68, v19
	v_cndmask_b32_e32 v5, v24, v27, vcc
	s_add_i32 s3, s25, s3
	s_add_i32 s25, s29, s52
	s_mov_b32 s63, 0x1000504
	v_lshlrev_b32_e32 v25, 8, v65
	v_lshlrev_b32_e32 v26, 8, v26
	;; [unrolled: 1-line block ×4, first 2 shown]
	v_lshl_or_b32 v4, v4, 10, v5
	s_add_i32 s29, s3, s28
	s_lshl_b64 s[36:37], s[24:25], 2
	s_mov_b32 s64, 0x3020706
	v_or_b32_e32 v75, 0xa000, v30
	v_or_b32_e32 v76, 0xb000, v30
	v_or_b32_e32 v79, v25, v28
	v_or_b32_e32 v80, v25, v29
	v_or_b32_e32 v82, v26, v29
	v_xor_b32_e32 v5, 8, v4
	v_xor_b32_e32 v25, 24, v4
	;; [unrolled: 1-line block ×4, first 2 shown]
	s_mul_i32 s28, s48, s26
	s_add_u32 s3, s18, s36
	v_or_b32_e32 v81, v26, v28
	v_xor_b32_e32 v24, 16, v4
	v_xor_b32_e32 v26, 32, v4
	;; [unrolled: 1-line block ×3, first 2 shown]
	v_add_u32_e32 v5, 0x80, v5
	v_add_u32_e32 v25, 0x80, v25
	;; [unrolled: 1-line block ×4, first 2 shown]
	s_addc_u32 s25, s19, s37
	s_lshl_b64 s[28:29], s[28:29], 2
	s_add_u32 s44, s3, s28
	s_movk_i32 s3, 0xf8
	s_addc_u32 s45, s25, s29
	s_lshl_b32 s38, s23, 7
	s_movk_i32 s36, 0x100
	v_mov_b32_e32 v55, 0
	v_lshlrev_b32_e32 v54, 4, v65
	v_cmp_gt_u32_e32 vcc, s36, v0
	s_mov_b32 s65, 0
	s_movk_i32 s25, 0x1000
	s_movk_i32 s30, 0x4000
	v_add_u32_e32 v96, v62, v18
	v_mov_b32_e32 v107, v55
	v_mov_b32_e32 v108, v55
	;; [unrolled: 1-line block ×8, first 2 shown]
	s_waitcnt vmcnt(1)
	v_perm_b32 v30, v6, v14, s63
	s_waitcnt vmcnt(0)
	v_perm_b32 v31, v10, v20, s63
	v_perm_b32 v6, v6, v14, s64
	;; [unrolled: 1-line block ×15, first 2 shown]
	ds_write2st64_b32 v4, v30, v31 offset0:32 offset1:64
	ds_write2st64_b32 v5, v6, v10 offset0:32 offset1:64
	;; [unrolled: 1-line block ×8, first 2 shown]
	v_or_b32_e32 v4, v62, v65
	v_lshlrev_b32_e32 v4, 3, v4
	v_lshrrev_b32_e32 v6, 5, v63
	v_and_or_b32 v6, v4, s3, v6
	v_lshlrev_b32_e32 v6, 4, v6
	v_lshrrev_b32_e32 v5, 2, v63
	v_lshlrev_b32_e32 v11, 11, v53
	v_and_b32_e32 v4, 0x78, v4
	v_or_b32_e32 v10, 32, v6
	v_and_b32_e32 v7, 12, v5
	v_and_b32_e32 v5, 0x1000, v11
	v_xor_b32_e32 v8, v6, v4
	v_lshrrev_b32_e32 v9, 1, v63
	v_xor_b32_e32 v10, v10, v4
	v_or_b32_e32 v8, v8, v5
	v_and_b32_e32 v9, 8, v9
	v_lshlrev_b32_e32 v12, 7, v64
	v_or_b32_e32 v10, v10, v5
	v_xor_b32_e32 v83, v8, v9
	v_or_b32_e32 v8, v12, v19
	v_xor_b32_e32 v85, v10, v9
	v_or_b32_e32 v10, 64, v6
	v_or_b32_e32 v6, 0x60, v6
	s_ashr_i32 s3, s2, 31
	v_lshlrev_b32_e32 v8, 1, v8
	v_xor_b32_e32 v10, v10, v4
	v_xor_b32_e32 v4, v6, v4
	s_lshl_b64 s[28:29], s[2:3], 8
	v_or_b32_e32 v84, 0xa000, v8
	v_or_b32_e32 v86, 0xa080, v8
	;; [unrolled: 1-line block ×6, first 2 shown]
	s_add_u32 s28, s4, s28
	v_lshlrev_b32_e32 v8, 1, v65
	v_lshlrev_b32_e32 v19, 2, v0
	v_lshrrev_b32_e32 v22, 1, v0
	v_xor_b32_e32 v87, v10, v9
	v_xor_b32_e32 v88, v4, v9
	v_lshrrev_b32_e32 v10, 4, v0
	s_addc_u32 s29, s5, s29
	v_or_b32_e32 v9, 1, v8
	v_mov_b32_e32 v20, 0x4000
	v_mov_b32_e32 v21, 0x2000
	v_and_b32_e32 v22, 24, v22
	v_and_or_b32 v12, v19, 60, v12
	v_mov_b32_e32 v19, 0xb000
	v_xor_b32_e32 v15, v10, v8
	v_xor_b32_e32 v16, v9, v10
	v_lshl_add_u64 v[8:9], s[28:29], 0, v[54:55]
	v_lshlrev_b32_e32 v54, 8, v10
	v_cndmask_b32_e32 v20, v20, v21, vcc
	v_lshlrev_b32_e32 v21, 3, v53
	v_lshl_or_b32 v93, v12, 1, v19
	v_or_b32_e32 v12, 32, v22
	v_lshl_or_b32 v91, v15, 3, v54
	v_and_b32_e32 v15, 8, v0
	v_xor_b32_e32 v12, v21, v12
	v_cmp_eq_u32_e32 vcc, 0, v15
	v_or_b32_e32 v19, 0x440, v12
	v_and_b32_e32 v10, 7, v0
	v_cndmask_b32_e32 v12, v19, v12, vcc
	v_lshl_or_b32 v92, v16, 3, v54
	v_lshlrev_b32_e32 v16, 3, v10
	v_or_b32_e32 v12, v12, v11
	v_xor_b32_e32 v19, v12, v16
	v_or_b32_e32 v12, 64, v22
	v_xor_b32_e32 v12, v21, v12
	v_xor_b32_e32 v25, 0x440, v12
	v_cndmask_b32_e32 v12, v25, v12, vcc
	v_or_b32_e32 v12, v12, v11
	v_xor_b32_e32 v25, v12, v16
	v_or_b32_e32 v12, 0x60, v22
	v_xor_b32_e32 v23, v21, v22
	v_xor_b32_e32 v12, v21, v12
	v_or_b32_e32 v24, 0x440, v23
	v_xor_b32_e32 v21, 0x440, v12
	v_cndmask_b32_e32 v15, v24, v23, vcc
	v_cndmask_b32_e32 v12, v21, v12, vcc
	v_or_b32_e32 v4, s2, v65
	v_or_b32_e32 v15, v15, v11
	;; [unrolled: 1-line block ×3, first 2 shown]
	v_ashrrev_i32_e32 v5, 31, v4
	v_lshlrev_b32_e32 v13, 1, v3
	v_add_lshl_u32 v3, v3, s23, 1
	v_or_b32_e32 v14, 0x100, v2
	v_xor_b32_e32 v15, v15, v16
	v_xor_b32_e32 v11, v11, v16
	v_lshlrev_b32_e32 v6, 7, v1
	v_lshlrev_b32_e32 v17, 7, v10
	v_or_b32_e32 v10, v7, v62
	v_add_u32_e32 v23, v20, v15
	v_add_u32_e32 v24, v20, v19
	;; [unrolled: 1-line block ×4, first 2 shown]
	v_or3_b32 v12, v62, v7, 64
	v_add_u32_e32 v7, 0x4000, v15
	v_add_u32_e32 v15, 0x4000, v19
	;; [unrolled: 1-line block ×4, first 2 shown]
	v_cndmask_b32_e64 v94, v13, v2, s[0:1]
	v_cndmask_b32_e64 v95, v3, v14, s[0:1]
	v_lshlrev_b64 v[2:3], 1, v[4:5]
	v_lshl_add_u64 v[56:57], s[16:17], 0, v[2:3]
	v_lshl_add_u64 v[58:59], s[6:7], 0, v[2:3]
	;; [unrolled: 1-line block ×3, first 2 shown]
	s_mov_b32 s3, 0x7060302
	v_lshlrev_b32_e32 v54, 1, v6
	v_lshlrev_b32_e32 v97, 2, v10
	v_add_u32_e32 v98, v23, v17
	v_add_u32_e32 v99, v24, v17
	;; [unrolled: 1-line block ×4, first 2 shown]
	v_lshlrev_b32_e32 v102, 2, v12
	v_add_u32_e32 v103, v7, v17
	v_add_u32_e32 v104, v15, v17
	;; [unrolled: 1-line block ×4, first 2 shown]
	v_mov_b32_e32 v2, v55
	v_mov_b32_e32 v3, v55
	;; [unrolled: 1-line block ×8, first 2 shown]
	s_waitcnt lgkmcnt(0)
	s_barrier
.LBB261_6:                              ; =>This Inner Loop Header: Depth=1
	s_add_i32 s66, s65, 1
	s_cmp_lt_i32 s66, s53
	s_mov_b64 s[36:37], 0
	s_cselect_b64 s[46:47], -1, 0
	s_cmp_ge_i32 s66, s53
	s_mov_b64 s[28:29], 0
	s_cbranch_scc1 .LBB261_8
; %bb.7:                                ;   in Loop: Header=BB261_6 Depth=1
	s_add_i32 s0, s59, 64
	s_ashr_i32 s1, s0, 31
	s_add_u32 s0, s56, s0
	s_addc_u32 s1, s55, s1
	s_lshl_b64 s[0:1], s[0:1], 8
	s_add_u32 s28, s14, s0
	s_addc_u32 s29, s15, s1
.LBB261_8:                              ;   in Loop: Header=BB261_6 Depth=1
	v_cndmask_b32_e64 v10, 0, 1, s[46:47]
	v_cmp_ne_u32_e64 s[0:1], 1, v10
	s_andn2_b64 vcc, exec, s[46:47]
	s_cbranch_vccnz .LBB261_10
; %bb.9:                                ;   in Loop: Header=BB261_6 Depth=1
	s_add_i32 s36, s59, 64
	s_mul_hi_i32 s37, s36, s22
	s_mul_i32 s36, s36, s22
	s_add_u32 s36, s36, s57
	s_addc_u32 s37, s37, s61
	s_lshl_b64 s[36:37], s[36:37], 8
	s_add_u32 s36, s12, s36
	s_addc_u32 s37, s13, s37
.LBB261_10:                             ;   in Loop: Header=BB261_6 Depth=1
	v_perm_b32 v11, v5, v4, s3
	v_perm_b32 v10, v3, v2, s3
	;; [unrolled: 1-line block ×4, first 2 shown]
	ds_write_b64 v75, v[10:11]
	ds_write_b64 v76, v[12:13]
	;; [unrolled: 1-line block ×4, first 2 shown]
	v_perm_b32 v11, v114, v109, s3
	v_perm_b32 v10, v108, v107, s3
	;; [unrolled: 1-line block ×4, first 2 shown]
	ds_write_b64 v77, v[10:11]
	ds_write_b64 v78, v[12:13]
	;; [unrolled: 1-line block ×4, first 2 shown]
	s_waitcnt lgkmcnt(0)
	s_barrier
	ds_read_b64 v[14:15], v83 offset:24576
	ds_read2_b64 v[10:13], v84 offset1:16
	ds_read_b64 v[18:19], v86 offset:3072
	ds_read_b64 v[20:21], v84 offset:3072
	;; [unrolled: 1-line block ×3, first 2 shown]
	s_waitcnt lgkmcnt(3)
	v_mfma_f32_16x16x16_bf16 a[0:3], v[14:15], v[10:11], 0
	s_add_i32 s67, s59, 63
	s_ashr_i32 s39, s67, 31
	s_mul_i32 s46, s67, s11
	v_mfma_f32_16x16x16_bf16 a[4:7], v[14:15], v[12:13], 0
	ds_read2st64_b64 v[10:13], v84 offset0:2 offset1:4
	s_mul_hi_u32 s47, s67, s10
	s_add_i32 s46, s47, s46
	s_waitcnt lgkmcnt(0)
	v_mfma_f32_16x16x16_bf16 a[0:3], v[22:23], v[10:11], a[0:3]
	ds_read2st64_b64 v[14:17], v86 offset0:2 offset1:4
	ds_read_b64 v[10:11], v87 offset:24576
	s_mul_i32 s39, s39, s10
	s_add_i32 s47, s46, s39
	s_waitcnt lgkmcnt(1)
	v_mfma_f32_16x16x16_bf16 a[4:7], v[22:23], v[14:15], a[4:7]
	ds_read_b64 v[14:15], v88 offset:24576
	s_mul_i32 s46, s67, s10
	s_lshl_b64 s[46:47], s[46:47], 2
	s_waitcnt lgkmcnt(1)
	v_mfma_f32_16x16x16_bf16 a[0:3], v[10:11], v[12:13], a[0:3]
	s_add_u32 s46, s44, s46
	s_addc_u32 s47, s45, s47
	s_and_b64 vcc, exec, s[0:1]
	v_mfma_f32_16x16x16_bf16 a[8:11], v[10:11], v[16:17], a[4:7]
	v_mov_b32_e32 v117, 0
	v_mov_b32_e32 v116, 0
	v_mov_b32_e32 v115, 0
	s_waitcnt lgkmcnt(0)
	v_mfma_f32_16x16x16_bf16 a[4:7], v[14:15], v[20:21], a[0:3]
	v_mov_b32_e32 v10, 0
	v_mov_b32_e32 v11, 0
	;; [unrolled: 1-line block ×3, first 2 shown]
	v_mfma_f32_16x16x16_bf16 a[0:3], v[14:15], v[18:19], a[8:11]
	v_mov_b32_e32 v13, 0
	v_mov_b32_e32 v14, 0
	;; [unrolled: 1-line block ×13, first 2 shown]
	s_cbranch_vccnz .LBB261_12
; %bb.11:                               ;   in Loop: Header=BB261_6 Depth=1
	s_and_b32 s29, s29, 0xffff
	buffer_load_dwordx4 v[22:25], v71, s[28:31], 0 offen
	buffer_load_dwordx4 v[18:21], v71, s[28:31], s62 offen
	;; [unrolled: 1-line block ×4, first 2 shown]
	v_mov_b32_e32 v116, v73
	v_mov_b32_e32 v115, v74
.LBB261_12:                             ;   in Loop: Header=BB261_6 Depth=1
	ds_read_b64 v[34:35], v83 offset:32768
	ds_read2_b64 v[26:29], v89 offset1:16
	ds_read_b64 v[36:37], v85 offset:32768
	ds_read_b64 v[38:39], v87 offset:32768
	;; [unrolled: 1-line block ×3, first 2 shown]
	ds_read2st64_b64 v[30:33], v89 offset0:2 offset1:4
	v_add_u32_e32 v42, s59, v96
	s_waitcnt lgkmcnt(4)
	v_mfma_f32_16x16x16_bf16 a[4:7], v[34:35], v[26:27], a[4:7]
	v_ashrrev_i32_e32 v26, 31, v42
	v_mov_b32_e32 v118, 0
	v_mfma_f32_16x16x16_bf16 a[0:3], v[34:35], v[28:29], a[0:3]
	v_mul_lo_u32 v28, v42, s11
	v_mul_lo_u32 v29, v26, s10
	v_mad_u64_u32 v[26:27], s[28:29], v42, s10, 0
	v_add3_u32 v27, v27, v28, v29
	v_add_u32_e32 v28, 1, v42
	v_ashrrev_i32_e32 v29, 31, v28
	s_waitcnt lgkmcnt(0)
	v_mfma_f32_16x16x16_bf16 a[4:7], v[36:37], v[30:31], a[4:7]
	v_mul_lo_u32 v30, v29, s10
	v_mul_lo_u32 v31, v28, s11
	v_mad_u64_u32 v[28:29], s[28:29], v28, s10, 0
	v_add3_u32 v29, v29, v31, v30
	v_add_u32_e32 v30, 2, v42
	v_ashrrev_i32_e32 v31, 31, v30
	v_mul_lo_u32 v34, v31, s10
	v_mul_lo_u32 v35, v30, s11
	v_mad_u64_u32 v[30:31], s[28:29], v30, s10, 0
	v_add3_u32 v31, v31, v35, v34
	v_add_u32_e32 v34, 3, v42
	v_ashrrev_i32_e32 v35, 31, v34
	v_mul_lo_u32 v42, v35, s10
	v_mul_lo_u32 v43, v34, s11
	v_mad_u64_u32 v[34:35], s[28:29], v34, s10, 0
	s_ashr_i32 s29, s59, 31
	v_add3_u32 v35, v35, v43, v42
	s_add_u32 s28, s56, s59
	v_lshl_add_u64 v[26:27], v[26:27], 2, s[44:45]
	v_lshl_add_u64 v[34:35], v[34:35], 2, s[44:45]
	s_addc_u32 s29, s55, s29
	v_lshl_add_u64 v[28:29], v[28:29], 2, s[44:45]
	v_lshl_add_u64 v[30:31], v[30:31], 2, s[44:45]
	global_load_dword v42, v[26:27], off
	global_load_dword v43, v[28:29], off
	;; [unrolled: 1-line block ×3, first 2 shown]
	s_nop 0
	global_load_dword v35, v[34:35], off
	s_lshl_b64 s[68:69], s[28:29], 8
	v_lshl_add_u64 v[26:27], v[56:57], 0, s[68:69]
	v_lshl_add_u64 v[30:31], v[26:27], 0, v[54:55]
	global_load_ushort v45, v[30:31], off offset:256
	global_load_ushort v46, v[30:31], off
	global_load_ushort v47, v[30:31], off offset:768
	global_load_ushort v48, v[30:31], off offset:512
	ds_read2st64_b64 v[26:29], v90 offset0:2 offset1:4
	global_load_ushort v49, v[30:31], off offset:800
	global_load_ushort v50, v[30:31], off offset:544
	;; [unrolled: 1-line block ×4, first 2 shown]
	s_waitcnt lgkmcnt(0)
	v_mfma_f32_16x16x16_bf16 a[0:3], v[36:37], v[26:27], a[0:3]
	s_and_b64 vcc, exec, s[0:1]
	s_waitcnt vmcnt(7)
	v_lshlrev_b32_e32 v37, 16, v45
	v_mfma_f32_16x16x16_bf16 a[4:7], v[38:39], v[32:33], a[4:7]
	s_waitcnt vmcnt(6)
	v_lshlrev_b32_e32 v36, 16, v46
	v_mfma_f32_16x16x16_bf16 a[0:3], v[38:39], v[28:29], a[0:3]
	ds_read_b64 v[26:27], v89 offset:3072
	ds_read_b64 v[28:29], v90 offset:3072
	s_load_dword s28, s[46:47], 0x0
	s_waitcnt vmcnt(5)
	v_lshlrev_b32_e32 v39, 16, v47
	s_waitcnt lgkmcnt(0)
	v_mfma_f32_16x16x16_bf16 a[4:7], v[40:41], v[26:27], a[4:7]
	v_lshl_add_u64 v[26:27], v[58:59], 0, s[68:69]
	v_sub_f32_e32 v34, s28, v42
	v_sub_f32_e32 v38, s28, v43
	v_mfma_f32_16x16x16_bf16 a[0:3], v[40:41], v[28:29], a[0:3]
	v_sub_f32_e32 v40, s28, v44
	v_sub_f32_e32 v41, s28, v35
	v_exp_f32_e32 v34, v34
	v_exp_f32_e32 v35, v38
	;; [unrolled: 1-line block ×4, first 2 shown]
	v_accvgpr_read_b32 v33, a5
	v_accvgpr_read_b32 v29, a7
	v_accvgpr_read_b32 v28, a6
	v_accvgpr_read_b32 v32, a4
	s_waitcnt vmcnt(4)
	v_lshlrev_b32_e32 v38, 16, v48
	v_lshl_add_u64 v[26:27], v[26:27], 0, v[54:55]
	v_pk_add_f32 v[32:33], v[36:37], v[32:33] neg_lo:[0,1] neg_hi:[0,1]
	v_pk_add_f32 v[28:29], v[38:39], v[28:29] neg_lo:[0,1] neg_hi:[0,1]
	global_store_short_d16_hi v[26:27], v32, off
	global_store_short_d16_hi v[26:27], v33, off offset:256
	global_store_short_d16_hi v[26:27], v28, off offset:512
	;; [unrolled: 1-line block ×3, first 2 shown]
	v_pk_mul_f32 v[32:33], v[34:35], v[32:33]
	v_pk_mul_f32 v[28:29], v[40:41], v[28:29]
	v_accvgpr_read_b32 v37, a1
	v_perm_b32 v32, v33, v32, s3
	v_perm_b32 v33, v29, v28, s3
	s_waitcnt vmcnt(5)
	v_lshlrev_b32_e32 v29, 16, v51
	s_waitcnt vmcnt(4)
	v_lshlrev_b32_e32 v28, 16, v52
	v_accvgpr_read_b32 v36, a0
	v_accvgpr_read_b32 v31, a3
	;; [unrolled: 1-line block ×3, first 2 shown]
	v_pk_add_f32 v[28:29], v[28:29], v[36:37] neg_lo:[0,1] neg_hi:[0,1]
	v_lshlrev_b32_e32 v37, 16, v49
	v_lshlrev_b32_e32 v36, 16, v50
	v_pk_add_f32 v[30:31], v[36:37], v[30:31] neg_lo:[0,1] neg_hi:[0,1]
	global_store_short_d16_hi v[26:27], v28, off offset:32
	global_store_short_d16_hi v[26:27], v29, off offset:288
	;; [unrolled: 1-line block ×4, first 2 shown]
	v_pk_mul_f32 v[26:27], v[34:35], v[28:29]
	v_pk_mul_f32 v[28:29], v[40:41], v[30:31]
	v_mov_b32_e32 v30, 0
	v_perm_b32 v29, v29, v28, s3
	v_perm_b32 v28, v27, v26, s3
	ds_write2_b64 v76, v[32:33], v[28:29] offset1:16
	v_mov_b32_e32 v26, 0
	v_mov_b32_e32 v27, 0
	;; [unrolled: 1-line block ×15, first 2 shown]
	s_cbranch_vccnz .LBB261_14
; %bb.13:                               ;   in Loop: Header=BB261_6 Depth=1
	s_and_b32 s37, s37, 0xffff
	s_mov_b32 s39, s31
	buffer_load_dwordx4 v[38:41], v94, s[36:39], 0 offen
	buffer_load_dwordx4 v[30:33], v94, s[36:39], s62 offen
	;; [unrolled: 1-line block ×4, first 2 shown]
	v_mov_b32_e32 v117, v70
	v_mov_b32_e32 v118, v69
.LBB261_14:                             ;   in Loop: Header=BB261_6 Depth=1
	s_waitcnt lgkmcnt(0)
	s_barrier
	ds_read_b64 v[46:47], v98
	ds_read_b64 v[124:125], v93
	;; [unrolled: 1-line block ×5, first 2 shown]
	ds_read_b64 v[138:139], v90 offset:3072
	ds_read2_b64 v[42:45], v89 offset0:16 offset1:128
	s_waitcnt lgkmcnt(5)
	v_mfma_f32_16x16x16_bf16 a[0:3], v[46:47], v[124:125], 0
	s_add_i32 s29, s54, s65
	s_mul_hi_i32 s37, s29, s49
	s_mul_i32 s29, s29, s49
	s_waitcnt lgkmcnt(0)
	v_mfma_f32_16x16x16_bf16 a[4:7], v[46:47], v[42:43], 0
	ds_read_b64 v[46:47], v103
	ds_read2st64_b64 v[48:51], v90 offset0:2 offset1:4
	s_add_u32 s36, s29, s48
	s_addc_u32 s37, s37, s60
	s_lshl_b64 s[36:37], s[36:37], 15
	s_mul_i32 s39, s67, s49
	s_mul_hi_i32 s29, s67, s49
	s_add_u32 s46, s39, s48
	s_waitcnt lgkmcnt(1)
	v_mfma_f32_16x16x16_bf16 a[8:11], v[46:47], v[124:125], 0
	s_addc_u32 s47, s29, s60
	ds_read2st64_b64 v[120:123], v89 offset0:4 offset1:6
	s_lshl_b64 s[46:47], s[46:47], 9
	v_mfma_f32_16x16x16_bf16 a[0:3], v[126:127], v[44:45], a[0:3]
	s_add_u32 s46, s40, s46
	s_addc_u32 s47, s41, s47
	s_waitcnt lgkmcnt(1)
	v_mfma_f32_16x16x16_bf16 a[4:7], v[126:127], v[48:49], a[4:7]
	ds_read_b64 v[126:127], v104
	ds_read_b64 v[134:135], v105
	;; [unrolled: 1-line block ×3, first 2 shown]
	v_mfma_f32_16x16x16_bf16 a[12:15], v[46:47], v[42:43], 0
	s_waitcnt lgkmcnt(2)
	v_mfma_f32_16x16x16_bf16 a[8:11], v[126:127], v[44:45], a[8:11]
	global_load_dwordx4 v[42:45], v102, s[46:47]
	v_mfma_f32_16x16x16_bf16 a[12:15], v[126:127], v[48:49], a[12:15]
	global_load_dwordx4 v[46:49], v97, s[46:47]
	ds_read2st64_b64 v[124:127], v91 offset1:8
	s_waitcnt lgkmcnt(0)
	v_mov_b32_e32 v132, v124
	v_mfma_f32_16x16x16_bf16 a[0:3], v[128:129], v[120:121], a[0:3]
	v_mov_b32_e32 v133, v125
	v_mfma_f32_16x16x16_bf16 a[4:7], v[128:129], v[50:51], a[4:7]
	ds_read2st64_b64 v[128:131], v92 offset1:8
	v_mfma_f32_16x16x16_bf16 a[8:11], v[134:135], v[120:121], a[8:11]
	v_lshl_add_u64 v[120:121], v[60:61], 0, s[36:37]
	v_mfma_f32_16x16x16_bf16 a[16:19], v[134:135], v[50:51], a[12:15]
	v_add_co_u32_e32 v50, vcc, s25, v120
	s_waitcnt lgkmcnt(0)
	v_mov_b32_e32 v134, v128
	v_mfma_f32_16x16x16_bf16 a[0:3], v[136:137], v[122:123], a[0:3]
	v_mov_b32_e32 v135, v129
	v_mov_b32_e32 v128, v126
	;; [unrolled: 1-line block ×3, first 2 shown]
	v_mfma_f32_16x16x16_bf16 a[4:7], v[136:137], v[138:139], a[4:7]
	v_addc_co_u32_e32 v51, vcc, 0, v121, vcc
	global_store_dwordx4 v[50:51], v[128:131], off
	v_mfma_f32_16x16x16_bf16 a[12:15], v[140:141], v[122:123], a[8:11]
	s_and_b64 vcc, exec, s[0:1]
	global_store_dwordx4 v[120:121], v[132:135], off
	s_waitcnt vmcnt(3)
	v_mov_b32_e32 v52, v45
	v_mfma_f32_16x16x16_bf16 a[8:11], v[140:141], v[138:139], a[16:19]
	v_mov_b32_e32 v51, v44
	v_mov_b32_e32 v50, v43
	s_cbranch_vccnz .LBB261_16
; %bb.15:                               ;   in Loop: Header=BB261_6 Depth=1
	v_lshrrev_b32_e32 v43, 3, v117
	v_and_b32_e32 v43, 6, v43
	v_xor_b32_e32 v44, v43, v118
	v_lshlrev_b32_e32 v44, 2, v44
	v_and_b32_e32 v45, 8, v117
	v_xor_b32_e32 v117, 0x440, v44
	v_cmp_eq_u32_e32 vcc, 0, v45
	v_perm_b32 v45, v30, v26, s63
	s_nop 0
	v_cndmask_b32_e32 v44, v117, v44, vcc
	v_lshl_or_b32 v43, v43, 10, v44
	v_perm_b32 v44, v38, v34, s63
	s_barrier
	ds_write2st64_b32 v43, v44, v45 offset0:32 offset1:64
	v_xor_b32_e32 v44, 8, v43
	v_perm_b32 v34, v38, v34, s64
	v_perm_b32 v26, v30, v26, s64
	v_add_u32_e32 v30, 0x80, v44
	ds_write2st64_b32 v30, v34, v26 offset0:32 offset1:64
	v_xor_b32_e32 v26, 16, v43
	v_perm_b32 v30, v39, v35, s63
	v_perm_b32 v34, v31, v27, s63
	ds_write2st64_b32 v26, v30, v34 offset0:33 offset1:65
	v_xor_b32_e32 v26, 24, v43
	v_perm_b32 v30, v39, v35, s64
	v_perm_b32 v27, v31, v27, s64
	v_add_u32_e32 v26, 0x80, v26
	ds_write2st64_b32 v26, v30, v27 offset0:33 offset1:65
	v_xor_b32_e32 v26, 32, v43
	v_perm_b32 v27, v40, v36, s63
	v_perm_b32 v30, v32, v28, s63
	;; [unrolled: 9-line block ×3, first 2 shown]
	ds_write2st64_b32 v26, v27, v28 offset0:35 offset1:67
	v_xor_b32_e32 v26, 56, v43
	v_perm_b32 v27, v41, v37, s64
	v_perm_b32 v28, v33, v29, s64
	v_add_u32_e32 v26, 0x80, v26
	ds_write2st64_b32 v26, v27, v28 offset0:35 offset1:67
	ds_write_b64 v116, v[22:23] offset:24576
	v_xor_b32_e32 v22, 8, v116
	ds_write_b64 v22, v[24:25] offset:24576
	ds_write_b64 v116, v[18:19] offset:32768
	;; [unrolled: 1-line block ×4, first 2 shown]
	v_xor_b32_e32 v14, 8, v115
	ds_write_b64 v14, v[16:17] offset:24576
	ds_write_b64 v115, v[10:11] offset:32768
	;; [unrolled: 1-line block ×3, first 2 shown]
.LBB261_16:                             ;   in Loop: Header=BB261_6 Depth=1
	v_exp_f32_e32 v26, s28
	s_waitcnt vmcnt(2)
	v_exp_f32_e32 v28, v46
	v_exp_f32_e32 v29, v47
	;; [unrolled: 1-line block ×4, first 2 shown]
	v_accvgpr_read_b32 v21, a3
	v_accvgpr_read_b32 v19, a1
	;; [unrolled: 1-line block ×4, first 2 shown]
	v_pk_mul_f32 v[28:29], v[26:27], v[28:29] op_sel_hi:[0,1]
	v_accvgpr_read_b32 v20, a2
	v_accvgpr_read_b32 v11, a5
	;; [unrolled: 1-line block ×3, first 2 shown]
	v_pk_fma_f32 v[2:3], v[2:3], v[28:29], v[18:19]
	v_pk_mul_f32 v[18:19], v[26:27], v[30:31] op_sel_hi:[0,1]
	v_pk_fma_f32 v[4:5], v[4:5], v[18:19], v[20:21]
	v_fma_f32 v107, v107, v28, v10
	v_fma_f32 v108, v108, v29, v11
	v_exp_f32_e32 v10, v42
	v_exp_f32_e32 v11, v50
	v_exp_f32_e32 v20, v51
	v_exp_f32_e32 v21, v52
	v_accvgpr_read_b32 v12, a6
	v_accvgpr_read_b32 v25, a15
	v_accvgpr_read_b32 v17, a11
	v_accvgpr_read_b32 v24, a14
	v_accvgpr_read_b32 v23, a13
	v_accvgpr_read_b32 v22, a12
	v_accvgpr_read_b32 v16, a10
	v_accvgpr_read_b32 v15, a9
	v_accvgpr_read_b32 v14, a8
	v_fma_f32 v109, v109, v18, v12
	v_fmac_f32_e32 v13, v114, v19
	v_pk_mul_f32 v[10:11], v[26:27], v[10:11] op_sel_hi:[0,1]
	v_pk_mul_f32 v[18:19], v[26:27], v[20:21] op_sel_hi:[0,1]
	s_add_i32 s59, s59, 64
	v_pk_fma_f32 v[6:7], v[6:7], v[10:11], v[22:23]
	v_pk_fma_f32 v[8:9], v[8:9], v[18:19], v[24:25]
	v_fma_f32 v110, v110, v10, v14
	v_fma_f32 v111, v111, v11, v15
	;; [unrolled: 1-line block ×3, first 2 shown]
	s_cmp_eq_u32 s53, s66
	v_fmac_f32_e32 v17, v113, v19
	s_cbranch_scc1 .LBB261_18
; %bb.17:                               ;   in Loop: Header=BB261_6 Depth=1
	s_mov_b32 s65, s66
	v_mov_b32_e32 v114, v13
	v_mov_b32_e32 v113, v17
	s_branch .LBB261_6
.LBB261_18:
	v_mov_b32_e32 v16, v112
	v_mov_b32_e32 v15, v111
	v_mov_b32_e32 v14, v110
	v_mov_b32_e32 v12, v109
	v_mov_b32_e32 v11, v108
	v_mov_b32_e32 v10, v107
.LBB261_19:
	s_lshl_b32 s3, s53, 6
	s_sub_i32 s58, s58, s3
	s_cmp_gt_i32 s58, 0
	v_or_b32_e32 v34, s2, v65
	s_cbranch_scc1 .LBB261_21
; %bb.20:
	s_ashr_i32 s37, s48, 31
	v_or_b32_e32 v35, s2, v65
	s_cbranch_execz .LBB261_22
	s_branch .LBB261_86
.LBB261_21:
                                        ; implicit-def: $vgpr35
                                        ; implicit-def: $sgpr36_sgpr37
.LBB261_22:
	s_add_i32 s36, s3, s42
	s_ashr_i32 s3, s36, 31
	s_cmpk_lg_i32 s23, 0x80
	s_cselect_b64 s[44:45], -1, 0
	s_and_b64 vcc, exec, s[44:45]
	s_cbranch_vccz .LBB261_24
; %bb.23:
	s_mul_hi_i32 s0, s36, s22
	s_mul_i32 s1, s36, s22
	s_ashr_i32 s22, s57, 31
	s_add_u32 s46, s1, s57
	s_addc_u32 s47, s0, s22
	s_cbranch_execz .LBB261_25
	s_branch .LBB261_26
.LBB261_24:
                                        ; implicit-def: $sgpr46_sgpr47
.LBB261_25:
	s_mul_i32 s1, s57, s20
	s_mul_hi_i32 s0, s57, s20
	s_add_u32 s46, s1, s36
	s_addc_u32 s47, s0, s3
.LBB261_26:
	s_add_i32 s20, s53, s54
	s_ashr_i32 s37, s48, 31
	s_add_u32 s0, s56, s36
	v_lshlrev_b32_e32 v22, 5, v1
	v_lshlrev_b32_e32 v40, 2, v65
	s_addc_u32 s1, s55, s3
	s_mov_b32 s3, 0x7060302
	v_or_b32_e32 v25, v22, v40
	v_xor_b32_e32 v23, v1, v40
	v_perm_b32 v19, v5, v4, s3
	v_perm_b32 v18, v3, v2, s3
	;; [unrolled: 1-line block ×4, first 2 shown]
	v_lshlrev_b32_e32 v25, 1, v25
	v_xor_b32_e32 v24, v68, v40
	ds_write2st64_b64 v25, v[18:19], v[20:21] offset0:80 offset1:88
	v_lshlrev_b32_e32 v23, 1, v23
	v_lshlrev_b32_e32 v25, 8, v65
	s_lshl_b64 s[38:39], s[0:1], 8
	v_or_b32_e32 v26, v23, v25
	v_lshlrev_b32_e32 v24, 1, v24
	s_add_u32 s0, s14, s38
	ds_write_b64 v26, v[18:19]
	v_or_b32_e32 v18, v24, v25
	s_addc_u32 s1, s15, s39
	ds_write_b64 v18, v[20:21]
	v_perm_b32 v19, v13, v12, s3
	v_perm_b32 v18, v11, v10, s3
	;; [unrolled: 1-line block ×4, first 2 shown]
	v_or_b32_e32 v25, 16, v65
	s_mul_hi_i32 s3, s20, s21
	s_mul_i32 s20, s20, s21
	v_lshlrev_b32_e32 v37, 2, v25
	s_add_u32 s14, s20, s48
	v_or_b32_e32 v22, v22, v37
	s_addc_u32 s15, s3, s37
	v_lshlrev_b32_e32 v22, 1, v22
	s_ashr_i32 s3, s2, 31
	s_lshl_b64 s[14:15], s[14:15], 15
	ds_write2st64_b64 v22, v[18:19], v[20:21] offset0:80 offset1:88
	v_lshlrev_b32_e32 v22, 8, v25
	s_add_u32 s4, s4, s14
	v_or_b32_e32 v23, v23, v22
	s_addc_u32 s5, s5, s15
	s_lshl_b64 s[2:3], s[2:3], 8
	ds_write_b64 v23, v[18:19]
	v_or_b32_e32 v18, v24, v22
	s_add_u32 s2, s4, s2
	ds_write_b64 v18, v[20:21]
	v_lshrrev_b32_e32 v18, 4, v0
	s_addc_u32 s3, s5, s3
	v_lshlrev_b32_e32 v19, 1, v65
	v_lshlrev_b32_e32 v26, 4, v65
	v_mov_b32_e32 v27, 0
	v_or_b32_e32 v20, 1, v19
	v_xor_b32_e32 v19, v18, v19
	v_lshl_add_u64 v[28:29], s[2:3], 0, v[26:27]
	v_lshlrev_b32_e32 v26, 8, v18
	v_xor_b32_e32 v22, v20, v18
	v_lshl_or_b32 v18, v19, 3, v26
	s_waitcnt lgkmcnt(0)
	s_barrier
	ds_read2st64_b64 v[18:21], v18 offset1:8
	v_lshl_or_b32 v22, v22, 3, v26
	ds_read2st64_b64 v[22:25], v22 offset1:8
	v_lshl_add_u64 v[30:31], v[28:29], 0, v[26:27]
	s_movk_i32 s2, 0x1000
	s_waitcnt lgkmcnt(1)
	v_mov_b32_e32 v26, v18
	v_add_co_u32_e32 v18, vcc, s2, v30
	s_cmp_lg_u32 s58, 64
	v_mov_b32_e32 v27, v19
	v_addc_co_u32_e32 v19, vcc, 0, v31, vcc
	s_cselect_b64 s[4:5], -1, 0
	v_lshl_or_b32 v35, v53, 3, v67
	s_waitcnt lgkmcnt(0)
	v_mov_b32_e32 v28, v22
	v_mov_b32_e32 v29, v23
	;; [unrolled: 1-line block ×4, first 2 shown]
	s_mov_b32 s28, 0
	v_or_b32_e32 v38, 32, v35
	v_and_b32_e32 v36, 56, v66
	s_and_b64 vcc, exec, s[4:5]
	global_store_dwordx4 v[30:31], v[26:29], off
	global_store_dwordx4 v[18:19], v[22:25], off
	s_cbranch_vccz .LBB261_32
; %bb.27:
	s_mov_b32 s29, s28
	s_mov_b32 s30, s28
	s_mov_b32 s31, s28
	v_mov_b64_e32 v[22:23], s[28:29]
	v_mov_b64_e32 v[24:25], s[30:31]
	;; [unrolled: 1-line block ×3, first 2 shown]
	v_cmp_gt_i32_e32 vcc, s58, v35
	v_mov_b64_e32 v[20:21], v[24:25]
	s_and_saveexec_b64 s[2:3], vcc
	s_cbranch_execz .LBB261_29
; %bb.28:
	v_lshlrev_b32_e32 v18, 8, v35
	v_mov_b32_e32 v19, 0
	v_lshl_add_u64 v[20:21], s[0:1], 0, v[18:19]
	v_lshlrev_b32_e32 v18, 1, v36
	v_lshl_add_u64 v[26:27], v[20:21], 0, v[18:19]
	global_load_dwordx4 v[22:25], v[26:27], off
	global_load_dwordx4 v[18:21], v[26:27], off offset:128
.LBB261_29:
	s_or_b64 exec, exec, s[2:3]
	s_mov_b32 s30, s28
	s_mov_b32 s31, s28
	;; [unrolled: 1-line block ×3, first 2 shown]
	v_mov_b64_e32 v[32:33], s[30:31]
	v_mov_b64_e32 v[30:31], s[28:29]
	;; [unrolled: 1-line block ×3, first 2 shown]
	v_cmp_gt_i32_e32 vcc, s58, v38
	v_lshlrev_b32_e32 v39, 7, v38
	v_mov_b64_e32 v[28:29], v[32:33]
	s_and_saveexec_b64 s[2:3], vcc
	s_cbranch_execz .LBB261_31
; %bb.30:
	v_lshlrev_b32_e32 v26, 1, v39
	v_mov_b32_e32 v27, 0
	v_lshl_add_u64 v[28:29], s[0:1], 0, v[26:27]
	v_lshlrev_b32_e32 v26, 1, v36
	v_lshl_add_u64 v[42:43], v[28:29], 0, v[26:27]
	global_load_dwordx4 v[30:33], v[42:43], off
	global_load_dwordx4 v[26:29], v[42:43], off offset:128
.LBB261_31:
	s_or_b64 exec, exec, s[2:3]
	v_lshrrev_b32_e32 v41, 3, v36
	v_lshlrev_b32_e32 v42, 3, v35
	v_or_b32_e32 v41, v42, v41
	v_lshlrev_b32_e32 v41, 4, v41
	v_and_b32_e32 v42, 0x78, v42
	v_xor_b32_e32 v41, v41, v42
	s_branch .LBB261_34
.LBB261_32:
                                        ; implicit-def: $vgpr41
                                        ; implicit-def: $vgpr39
                                        ; implicit-def: $vgpr22_vgpr23_vgpr24_vgpr25
                                        ; implicit-def: $vgpr18_vgpr19_vgpr20_vgpr21
                                        ; implicit-def: $vgpr30_vgpr31_vgpr32_vgpr33
                                        ; implicit-def: $vgpr26_vgpr27_vgpr28_vgpr29
	s_cbranch_execz .LBB261_34
; %bb.33:
	s_waitcnt vmcnt(0)
	v_lshlrev_b32_e32 v18, 1, v36
	v_lshl_or_b32 v39, v35, 8, v18
	s_and_b32 s1, s1, 0xffff
	s_mov_b32 s3, 0x20000
	s_movk_i32 s2, 0x4000
	v_lshl_or_b32 v41, v38, 8, v18
	s_movk_i32 s14, 0x80
	buffer_load_dwordx4 v[22:25], v39, s[0:3], 0 offen
	buffer_load_dwordx4 v[18:21], v39, s[0:3], s14 offen
	;; [unrolled: 1-line block ×4, first 2 shown]
	v_lshrrev_b32_e32 v39, 3, v36
	v_lshlrev_b32_e32 v41, 3, v35
	v_or_b32_e32 v39, v41, v39
	v_lshlrev_b32_e32 v39, 4, v39
	v_and_b32_e32 v41, 0x78, v41
	v_xor_b32_e32 v41, v39, v41
	v_lshlrev_b32_e32 v39, 7, v38
.LBB261_34:
	s_lshl_b64 s[0:1], s[46:47], 8
	s_add_u32 s12, s12, s0
	s_movk_i32 s0, 0x1000
	v_and_or_b32 v38, v39, s0, v41
	s_waitcnt vmcnt(1)
	ds_write_b64 v41, v[22:23] offset:24576
	v_xor_b32_e32 v22, 8, v41
	ds_write_b64 v22, v[24:25] offset:24576
	s_waitcnt vmcnt(0)
	ds_write_b64 v41, v[18:19] offset:32768
	ds_write_b64 v22, v[20:21] offset:32768
	;; [unrolled: 1-line block ×3, first 2 shown]
	v_xor_b32_e32 v18, 8, v38
	ds_write_b64 v18, v[32:33] offset:24576
	ds_write_b64 v38, v[26:27] offset:32768
	;; [unrolled: 1-line block ×3, first 2 shown]
	v_or_b32_e32 v18, v62, v65
	v_lshlrev_b32_e32 v18, 3, v18
	v_lshrrev_b32_e32 v19, 5, v63
	s_movk_i32 s14, 0xf8
	v_and_or_b32 v19, v18, s14, v19
	v_lshlrev_b32_e32 v23, 4, v19
	v_lshlrev_b32_e32 v41, 11, v53
	v_and_b32_e32 v24, 0x78, v18
	v_or_b32_e32 v26, 32, v23
	v_and_b32_e32 v22, 0x1000, v41
	v_lshrrev_b32_e32 v19, 1, v63
	v_xor_b32_e32 v26, v26, v24
	v_xor_b32_e32 v18, v23, v24
	v_and_b32_e32 v25, 8, v19
	v_or_b32_e32 v26, v26, v22
	v_or_b32_e32 v18, v18, v22
	v_xor_b32_e32 v45, v26, v25
	v_or_b32_e32 v26, 64, v23
	v_xor_b32_e32 v44, v18, v25
	v_xor_b32_e32 v26, v26, v24
	s_waitcnt lgkmcnt(0)
	s_barrier
	v_or_b32_e32 v28, v26, v22
	ds_read_b64 v[26:27], v44 offset:24576
	v_lshl_or_b32 v38, v64, 7, v40
	v_lshlrev_b32_e32 v42, 1, v38
	v_add_u32_e32 v18, 0xa000, v42
	ds_read2_b64 v[18:21], v18 offset1:16
	v_or_b32_e32 v23, 0x60, v23
	v_xor_b32_e32 v23, v23, v24
	s_waitcnt lgkmcnt(0)
	v_mfma_f32_16x16x16_bf16 a[0:3], v[26:27], v[18:19], 0
	v_or_b32_e32 v18, 64, v38
	v_or_b32_e32 v22, v23, v22
	v_lshlrev_b32_e32 v43, 1, v18
	v_xor_b32_e32 v46, v28, v25
	v_xor_b32_e32 v47, v22, v25
	ds_read_b64 v[28:29], v45 offset:24576
	ds_read_b64 v[30:31], v46 offset:24576
	ds_read_b64 v[32:33], v47 offset:24576
	v_mfma_f32_16x16x16_bf16 a[4:7], v[26:27], v[20:21], 0
	ds_read2st64_b64 v[18:21], v43 offset0:82 offset1:84
	ds_read2st64_b64 v[22:25], v42 offset0:82 offset1:84
	s_addc_u32 s13, s13, s1
	s_add_i32 s20, s43, -1
	s_add_i32 s0, s51, s50
	s_add_i32 s25, s0, s52
	s_mul_i32 s0, s48, s27
	s_mul_hi_u32 s1, s48, s26
	s_ashr_i32 s2, s20, 31
	s_mul_i32 s3, s20, s11
	s_mul_hi_u32 s14, s20, s10
	s_add_i32 s0, s1, s0
	s_mul_i32 s1, s37, s26
	s_add_i32 s3, s14, s3
	s_mul_i32 s2, s2, s10
	s_waitcnt lgkmcnt(1)
	v_mfma_f32_16x16x16_bf16 a[4:7], v[28:29], v[18:19], a[4:7]
	s_add_i32 s1, s0, s1
	s_add_i32 s3, s3, s2
	s_lshl_b64 s[14:15], s[24:25], 2
	s_waitcnt lgkmcnt(0)
	v_mfma_f32_16x16x16_bf16 a[0:3], v[28:29], v[22:23], a[0:3]
	s_mul_i32 s0, s48, s26
	s_add_u32 s14, s18, s14
	s_addc_u32 s15, s19, s15
	s_lshl_b64 s[0:1], s[0:1], 2
	s_mul_i32 s2, s20, s10
	s_add_u32 s18, s14, s0
	ds_read_b64 v[18:19], v42 offset:44032
	v_mfma_f32_16x16x16_bf16 a[4:7], v[30:31], v[20:21], a[4:7]
	ds_read_b64 v[20:21], v43 offset:44032
	s_addc_u32 s19, s15, s1
	s_lshl_b64 s[0:1], s[2:3], 2
	v_mfma_f32_16x16x16_bf16 a[0:3], v[30:31], v[24:25], a[0:3]
	s_add_u32 s0, s18, s0
	s_addc_u32 s1, s19, s1
	s_load_dword s22, s[0:1], 0x0
	s_waitcnt lgkmcnt(0)
	v_mfma_f32_16x16x16_bf16 a[0:3], v[32:33], v[18:19], a[0:3]
	s_and_b64 vcc, exec, s[44:45]
	v_mfma_f32_16x16x16_bf16 a[4:7], v[32:33], v[20:21], a[4:7]
	s_cbranch_vccz .LBB261_45
; %bb.35:
	v_lshlrev_b32_e32 v38, 1, v35
	s_and_b64 vcc, exec, s[4:5]
	s_cbranch_vccz .LBB261_46
; %bb.36:
	v_cmp_gt_i32_e32 vcc, s58, v38
	v_mov_b32_e32 v22, 0
	v_mov_b32_e32 v18, 0
	;; [unrolled: 1-line block ×5, first 2 shown]
	s_and_saveexec_b64 s[0:1], vcc
	s_cbranch_execz .LBB261_38
; %bb.37:
	v_mad_i64_i32 v[18:19], s[2:3], s23, v38, 0
	v_lshl_add_u64 v[18:19], v[18:19], 1, s[12:13]
	v_lshlrev_b32_e32 v20, 1, v36
	v_mov_b32_e32 v21, 0
	v_lshl_add_u64 v[18:19], v[18:19], 0, v[20:21]
	global_load_dwordx4 v[18:21], v[18:19], off
.LBB261_38:
	s_or_b64 exec, exec, s[0:1]
	v_or_b32_e32 v39, 1, v38
	v_cmp_gt_i32_e64 s[0:1], s58, v39
	v_mov_b32_e32 v23, 0
	v_mov_b32_e32 v24, 0
	;; [unrolled: 1-line block ×3, first 2 shown]
	s_and_saveexec_b64 s[2:3], s[0:1]
	s_cbranch_execz .LBB261_40
; %bb.39:
	v_mad_i64_i32 v[22:23], s[14:15], s23, v39, 0
	v_lshl_add_u64 v[22:23], v[22:23], 1, s[12:13]
	v_lshlrev_b32_e32 v24, 1, v36
	v_mov_b32_e32 v25, 0
	v_lshl_add_u64 v[22:23], v[22:23], 0, v[24:25]
	global_load_dwordx4 v[22:25], v[22:23], off
.LBB261_40:
	s_or_b64 exec, exec, s[2:3]
	v_mov_b32_e32 v33, 0
	v_mov_b32_e32 v26, 0
	;; [unrolled: 1-line block ×5, first 2 shown]
	s_and_saveexec_b64 s[2:3], vcc
	s_cbranch_execz .LBB261_42
; %bb.41:
	v_mad_i64_i32 v[26:27], s[14:15], s23, v38, 0
	v_lshl_add_u64 v[26:27], v[26:27], 1, s[12:13]
	v_lshlrev_b32_e32 v28, 1, v36
	v_mov_b32_e32 v29, 0
	v_lshl_add_u64 v[26:27], v[26:27], 0, v[28:29]
	global_load_dwordx4 v[26:29], v[26:27], off offset:128
.LBB261_42:
	s_or_b64 exec, exec, s[2:3]
	v_mov_b32_e32 v32, 0
	v_mov_b32_e32 v31, 0
	;; [unrolled: 1-line block ×3, first 2 shown]
	s_and_saveexec_b64 s[2:3], s[0:1]
	s_cbranch_execz .LBB261_44
; %bb.43:
	v_mad_i64_i32 v[30:31], s[0:1], s23, v39, 0
	v_lshl_add_u64 v[30:31], v[30:31], 1, s[12:13]
	v_lshlrev_b32_e32 v32, 1, v36
	v_mov_b32_e32 v33, 0
	v_lshl_add_u64 v[30:31], v[30:31], 0, v[32:33]
	global_load_dwordx4 v[30:33], v[30:31], off offset:128
.LBB261_44:
	s_or_b64 exec, exec, s[2:3]
	s_branch .LBB261_48
.LBB261_45:
                                        ; implicit-def: $vgpr21
                                        ; implicit-def: $vgpr25
                                        ; implicit-def: $vgpr29
                                        ; implicit-def: $vgpr33
	v_lshrrev_b32_e32 v48, 2, v63
	s_branch .LBB261_49
.LBB261_46:
                                        ; implicit-def: $vgpr21
                                        ; implicit-def: $vgpr25
                                        ; implicit-def: $vgpr29
                                        ; implicit-def: $vgpr33
	s_cbranch_execz .LBB261_48
; %bb.47:
	s_waitcnt vmcnt(0)
	v_mad_u64_u32 v[18:19], s[0:1], v38, s23, v[36:37]
	v_lshlrev_b32_e32 v38, 1, v18
	s_lshl_b32 s2, s23, 7
	s_and_b32 s1, s13, 0xffff
	s_mov_b32 s3, 0x20000
	s_mov_b32 s0, s12
	v_add_lshl_u32 v39, v18, s23, 1
	s_movk_i32 s14, 0x80
	buffer_load_dwordx4 v[18:21], v38, s[0:3], 0 offen
	buffer_load_dwordx4 v[26:29], v38, s[0:3], s14 offen
	;; [unrolled: 1-line block ×4, first 2 shown]
.LBB261_48:
	v_lshrrev_b32_e32 v48, 2, v63
	s_cbranch_execnz .LBB261_61
.LBB261_49:
	s_and_b64 vcc, exec, s[4:5]
	s_cbranch_vccz .LBB261_59
; %bb.50:
	s_waitcnt vmcnt(0)
	v_lshlrev_b32_e32 v23, 1, v35
	v_cmp_gt_i32_e32 vcc, s58, v23
	v_mov_b32_e32 v22, 0
	v_lshlrev_b32_e32 v30, 9, v35
	v_mov_b32_e32 v18, 0
	v_mov_b32_e32 v19, 0
	;; [unrolled: 1-line block ×4, first 2 shown]
	s_and_saveexec_b64 s[0:1], vcc
	s_cbranch_execz .LBB261_52
; %bb.51:
	v_mov_b32_e32 v31, 0
	v_lshl_add_u64 v[18:19], s[12:13], 0, v[30:31]
	v_lshlrev_b32_e32 v20, 1, v36
	v_mov_b32_e32 v21, v31
	v_lshl_add_u64 v[18:19], v[18:19], 0, v[20:21]
	global_load_dwordx4 v[18:21], v[18:19], off
.LBB261_52:
	s_or_b64 exec, exec, s[0:1]
	v_or_b32_e32 v23, 1, v23
	v_cmp_gt_i32_e64 s[0:1], s58, v23
	v_lshlrev_b32_e32 v38, 8, v23
	v_mov_b32_e32 v23, 0
	v_mov_b32_e32 v24, 0
	;; [unrolled: 1-line block ×3, first 2 shown]
	s_and_saveexec_b64 s[2:3], s[0:1]
	s_cbranch_execz .LBB261_54
; %bb.53:
	v_mov_b32_e32 v39, 0
	v_lshl_add_u64 v[22:23], s[12:13], 0, v[38:39]
	v_lshlrev_b32_e32 v24, 1, v36
	v_mov_b32_e32 v25, v39
	v_lshl_add_u64 v[22:23], v[22:23], 0, v[24:25]
	global_load_dwordx4 v[22:25], v[22:23], off
.LBB261_54:
	s_or_b64 exec, exec, s[2:3]
	v_mov_b32_e32 v33, 0
	v_mov_b32_e32 v26, 0
	;; [unrolled: 1-line block ×5, first 2 shown]
	s_and_saveexec_b64 s[2:3], vcc
	s_cbranch_execz .LBB261_56
; %bb.55:
	v_mov_b32_e32 v31, 0
	v_lshl_add_u64 v[26:27], s[12:13], 0, v[30:31]
	v_lshlrev_b32_e32 v30, 1, v36
	v_lshl_add_u64 v[26:27], v[26:27], 0, v[30:31]
	global_load_dwordx4 v[26:29], v[26:27], off offset:128
.LBB261_56:
	s_or_b64 exec, exec, s[2:3]
	v_mov_b32_e32 v32, 0
	v_mov_b32_e32 v31, 0
	;; [unrolled: 1-line block ×3, first 2 shown]
	s_and_saveexec_b64 s[2:3], s[0:1]
	s_cbranch_execz .LBB261_58
; %bb.57:
	v_mov_b32_e32 v39, 0
	v_lshl_add_u64 v[30:31], s[12:13], 0, v[38:39]
	v_lshlrev_b32_e32 v38, 1, v36
	v_lshl_add_u64 v[30:31], v[30:31], 0, v[38:39]
	global_load_dwordx4 v[30:33], v[30:31], off offset:128
.LBB261_58:
	s_or_b64 exec, exec, s[2:3]
	s_branch .LBB261_61
.LBB261_59:
                                        ; implicit-def: $vgpr21
                                        ; implicit-def: $vgpr25
                                        ; implicit-def: $vgpr29
                                        ; implicit-def: $vgpr33
	s_cbranch_execz .LBB261_61
; %bb.60:
	s_waitcnt vmcnt(0)
	v_lshlrev_b32_e32 v18, 1, v36
	v_lshl_or_b32 v36, v35, 9, v18
	s_and_b32 s13, s13, 0xffff
	s_mov_b32 s15, 0x20000
	s_movk_i32 s14, 0x4000
	s_movk_i32 s0, 0x80
	buffer_load_dwordx4 v[18:21], v36, s[12:15], 0 offen
	buffer_load_dwordx4 v[22:25], v36, s[12:15], 0 offen offset:256
	buffer_load_dwordx4 v[26:29], v36, s[12:15], s0 offen
	buffer_load_dwordx4 v[30:33], v36, s[12:15], s0 offen offset:256
.LBB261_61:
	ds_read_b64 v[38:39], v44 offset:32768
	v_add_u32_e32 v36, 0xb000, v42
	ds_read2_b64 v[54:57], v36 offset1:16
	ds_read_b64 v[50:51], v45 offset:32768
	ds_read_b64 v[58:59], v46 offset:32768
	;; [unrolled: 1-line block ×3, first 2 shown]
	ds_read2st64_b64 v[44:47], v42 offset0:90 offset1:92
	v_and_b32_e32 v36, 12, v48
	v_and_b32_e32 v48, 6, v0
	v_xor_b32_e32 v35, v35, v48
	v_lshlrev_b32_e32 v35, 2, v35
	s_mov_b32 s0, 0x1000504
	s_waitcnt lgkmcnt(4)
	v_mfma_f32_16x16x16_bf16 a[0:3], v[38:39], v[54:55], a[0:3]
	s_mov_b32 s1, 0x3020706
	v_mfma_f32_16x16x16_bf16 a[4:7], v[38:39], v[56:57], a[4:7]
	ds_read2st64_b64 v[54:57], v43 offset0:90 offset1:92
	s_waitcnt lgkmcnt(1)
	v_mfma_f32_16x16x16_bf16 a[0:3], v[50:51], v[44:45], a[0:3]
	ds_read_b64 v[38:39], v42 offset:48128
	ds_read_b64 v[44:45], v43 offset:48128
	s_waitcnt lgkmcnt(2)
	v_mfma_f32_16x16x16_bf16 a[4:7], v[50:51], v[54:55], a[4:7]
	v_mfma_f32_16x16x16_bf16 a[0:3], v[58:59], v[46:47], a[0:3]
	v_and_b32_e32 v46, 1, v0
	v_xor_b32_e32 v47, 0x440, v35
	v_cmp_eq_u32_e32 vcc, 0, v46
	v_mfma_f32_16x16x16_bf16 a[8:11], v[58:59], v[56:57], a[4:7]
	s_nop 0
	v_cndmask_b32_e32 v35, v47, v35, vcc
	v_lshl_or_b32 v35, v48, 10, v35
	s_waitcnt lgkmcnt(1)
	v_mfma_f32_16x16x16_bf16 a[4:7], v[60:61], v[38:39], a[0:3]
	s_waitcnt vmcnt(0)
	v_perm_b32 v38, v18, v22, s0
	v_perm_b32 v39, v26, v30, s0
	ds_write2st64_b32 v35, v38, v39 offset0:32 offset1:64
	v_xor_b32_e32 v38, 8, v35
	v_perm_b32 v18, v18, v22, s1
	v_perm_b32 v22, v26, v30, s1
	v_add_u32_e32 v26, 0x80, v38
	ds_write2st64_b32 v26, v18, v22 offset0:32 offset1:64
	v_xor_b32_e32 v18, 16, v35
	v_perm_b32 v22, v19, v23, s0
	v_perm_b32 v26, v27, v31, s0
	ds_write2st64_b32 v18, v22, v26 offset0:33 offset1:65
	v_xor_b32_e32 v18, 24, v35
	v_perm_b32 v19, v19, v23, s1
	v_perm_b32 v22, v27, v31, s1
	v_add_u32_e32 v18, 0x80, v18
	ds_write2st64_b32 v18, v19, v22 offset0:33 offset1:65
	v_xor_b32_e32 v18, 32, v35
	v_perm_b32 v19, v20, v24, s0
	v_perm_b32 v22, v28, v32, s0
	ds_write2st64_b32 v18, v19, v22 offset0:34 offset1:66
	v_xor_b32_e32 v18, 40, v35
	s_waitcnt lgkmcnt(5)
	v_mfma_f32_16x16x16_bf16 a[0:3], v[60:61], v[44:45], a[8:11]
	v_perm_b32 v19, v20, v24, s1
	v_perm_b32 v20, v28, v32, s1
	v_add_u32_e32 v18, 0x80, v18
	ds_write2st64_b32 v18, v19, v20 offset0:34 offset1:66
	v_xor_b32_e32 v18, 48, v35
	v_perm_b32 v19, v21, v25, s0
	v_perm_b32 v20, v29, v33, s0
	ds_write2st64_b32 v18, v19, v20 offset0:35 offset1:67
	v_xor_b32_e32 v18, 56, v35
	v_or_b32_e32 v38, v36, v62
	v_perm_b32 v19, v21, v25, s1
	v_perm_b32 v20, v29, v33, s1
	v_add_u32_e32 v18, 0x80, v18
	v_cmp_gt_i32_e64 s[0:1], s58, v38
	v_mov_b32_e32 v44, 0
	v_mov_b32_e32 v45, 0
	ds_write2st64_b32 v18, v19, v20 offset0:35 offset1:67
	s_and_saveexec_b64 s[2:3], s[0:1]
	s_cbranch_execz .LBB261_63
; %bb.62:
	v_add_u32_e32 v18, s36, v38
	v_ashrrev_i32_e32 v19, 31, v18
	v_mul_lo_u32 v20, v19, s10
	v_mul_lo_u32 v21, v18, s11
	v_mad_u64_u32 v[18:19], s[4:5], v18, s10, 0
	v_add3_u32 v19, v19, v21, v20
	v_lshl_add_u64 v[18:19], v[18:19], 2, s[18:19]
	global_load_dword v18, v[18:19], off
	s_waitcnt vmcnt(0)
	v_sub_f32_e32 v18, s22, v18
	v_exp_f32_e32 v45, v18
.LBB261_63:
	s_or_b64 exec, exec, s[2:3]
	v_or_b32_e32 v30, 1, v38
	v_cmp_gt_i32_e64 s[4:5], s58, v30
	s_and_saveexec_b64 s[2:3], s[4:5]
	s_cbranch_execz .LBB261_65
; %bb.64:
	v_add_u32_e32 v18, s36, v30
	v_ashrrev_i32_e32 v19, 31, v18
	v_mul_lo_u32 v20, v19, s10
	v_mul_lo_u32 v21, v18, s11
	v_mad_u64_u32 v[18:19], s[12:13], v18, s10, 0
	v_add3_u32 v19, v19, v21, v20
	v_lshl_add_u64 v[18:19], v[18:19], 2, s[18:19]
	global_load_dword v18, v[18:19], off
	s_waitcnt vmcnt(0)
	v_sub_f32_e32 v18, s22, v18
	v_exp_f32_e32 v44, v18
.LBB261_65:
	s_or_b64 exec, exec, s[2:3]
	v_or_b32_e32 v26, 2, v38
	v_cmp_gt_i32_e64 s[2:3], s58, v26
	v_mov_b32_e32 v39, 0
	v_mov_b32_e32 v46, 0
	s_and_saveexec_b64 s[12:13], s[2:3]
	s_cbranch_execz .LBB261_67
; %bb.66:
	v_add_u32_e32 v18, s36, v26
	v_ashrrev_i32_e32 v19, 31, v18
	v_mul_lo_u32 v20, v19, s10
	v_mul_lo_u32 v21, v18, s11
	v_mad_u64_u32 v[18:19], s[14:15], v18, s10, 0
	v_add3_u32 v19, v19, v21, v20
	v_lshl_add_u64 v[18:19], v[18:19], 2, s[18:19]
	global_load_dword v18, v[18:19], off
	s_waitcnt vmcnt(0)
	v_sub_f32_e32 v18, s22, v18
	v_exp_f32_e32 v46, v18
.LBB261_67:
	s_or_b64 exec, exec, s[12:13]
	v_or_b32_e32 v27, 3, v38
	v_cmp_gt_i32_e32 vcc, s58, v27
	s_and_saveexec_b64 s[12:13], vcc
	s_cbranch_execz .LBB261_69
; %bb.68:
	v_add_u32_e32 v18, s36, v27
	v_ashrrev_i32_e32 v19, 31, v18
	v_mul_lo_u32 v20, v19, s10
	v_mul_lo_u32 v21, v18, s11
	v_mad_u64_u32 v[18:19], s[10:11], v18, s10, 0
	v_add3_u32 v19, v19, v21, v20
	v_lshl_add_u64 v[18:19], v[18:19], 2, s[18:19]
	global_load_dword v18, v[18:19], off
	s_waitcnt vmcnt(0)
	v_sub_f32_e32 v18, s22, v18
	v_exp_f32_e32 v39, v18
.LBB261_69:
	s_or_b64 exec, exec, s[12:13]
	s_add_u32 s10, s16, s38
	s_addc_u32 s11, s17, s39
	s_add_u32 s6, s6, s38
	v_ashrrev_i32_e32 v35, 31, v34
	v_accvgpr_read_b32 v21, a7
	s_addc_u32 s7, s7, s39
	v_lshlrev_b64 v[22:23], 1, v[34:35]
	v_accvgpr_read_b32 v20, a6
	v_accvgpr_read_b32 v19, a5
	;; [unrolled: 1-line block ×3, first 2 shown]
	v_lshl_add_u64 v[24:25], s[10:11], 0, v[22:23]
	v_lshl_add_u64 v[22:23], s[6:7], 0, v[22:23]
	v_mov_b32_e32 v31, 0
	v_lshlrev_b32_e32 v28, 8, v38
	v_mov_b32_e32 v29, 0
	s_and_saveexec_b64 s[6:7], s[0:1]
	s_cbranch_execz .LBB261_71
; %bb.70:
	v_mov_b32_e32 v29, 0
	v_lshl_add_u64 v[32:33], v[24:25], 0, v[28:29]
	global_load_ushort v35, v[32:33], off
	v_lshl_add_u64 v[32:33], v[22:23], 0, v[28:29]
	s_waitcnt vmcnt(0)
	v_lshlrev_b32_e32 v29, 16, v35
	v_sub_f32_e32 v18, v29, v18
	global_store_short_d16_hi v[32:33], v18, off
	v_mul_f32_e32 v18, v45, v18
	v_lshrrev_b32_e32 v29, 16, v18
.LBB261_71:
	s_or_b64 exec, exec, s[6:7]
	v_lshlrev_b32_e32 v30, 8, v30
	s_and_saveexec_b64 s[6:7], s[4:5]
	s_cbranch_execz .LBB261_73
; %bb.72:
	v_mov_b32_e32 v31, 0
	v_lshl_add_u64 v[32:33], v[24:25], 0, v[30:31]
	global_load_ushort v18, v[32:33], off
	v_lshl_add_u64 v[32:33], v[22:23], 0, v[30:31]
	s_waitcnt vmcnt(0)
	v_lshlrev_b32_e32 v18, 16, v18
	v_sub_f32_e32 v18, v18, v19
	global_store_short_d16_hi v[32:33], v18, off
	v_mul_f32_e32 v18, v44, v18
	v_lshrrev_b32_e32 v31, 16, v18
.LBB261_73:
	s_or_b64 exec, exec, s[6:7]
	v_mov_b32_e32 v47, 0
	v_lshlrev_b32_e32 v32, 8, v26
	v_mov_b32_e32 v33, 0
	s_and_saveexec_b64 s[6:7], s[2:3]
	s_cbranch_execz .LBB261_75
; %bb.74:
	v_mov_b32_e32 v33, 0
	v_lshl_add_u64 v[18:19], v[24:25], 0, v[32:33]
	global_load_ushort v26, v[18:19], off
	v_lshl_add_u64 v[18:19], v[22:23], 0, v[32:33]
	s_waitcnt vmcnt(0)
	v_lshlrev_b32_e32 v26, 16, v26
	v_sub_f32_e32 v20, v26, v20
	global_store_short_d16_hi v[18:19], v20, off
	v_mul_f32_e32 v18, v46, v20
	v_lshrrev_b32_e32 v33, 16, v18
.LBB261_75:
	s_or_b64 exec, exec, s[6:7]
	v_lshlrev_b32_e32 v26, 8, v27
	s_and_saveexec_b64 s[6:7], vcc
	s_cbranch_execz .LBB261_77
; %bb.76:
	v_mov_b32_e32 v27, 0
	v_lshl_add_u64 v[18:19], v[24:25], 0, v[26:27]
	global_load_ushort v20, v[18:19], off
	v_lshl_add_u64 v[18:19], v[22:23], 0, v[26:27]
	s_waitcnt vmcnt(0)
	v_lshlrev_b32_e32 v20, 16, v20
	v_sub_f32_e32 v20, v20, v21
	global_store_short_d16_hi v[18:19], v20, off
	v_mul_f32_e32 v18, v39, v20
	v_lshrrev_b32_e32 v47, 16, v18
.LBB261_77:
	s_or_b64 exec, exec, s[6:7]
	v_lshlrev_b32_e32 v35, 5, v38
	v_accvgpr_read_b32 v21, a3
	s_mov_b32 s6, 0x5040100
	v_or_b32_e32 v27, v35, v40
	v_accvgpr_read_b32 v20, a2
	v_accvgpr_read_b32 v19, a1
	;; [unrolled: 1-line block ×3, first 2 shown]
	v_perm_b32 v49, v47, v33, s6
	v_perm_b32 v48, v31, v29, s6
	v_lshlrev_b32_e32 v27, 1, v27
	v_mov_b32_e32 v31, 0
	v_mov_b32_e32 v29, 0
	ds_write_b64 v27, v[48:49] offset:45056
	s_and_saveexec_b64 s[6:7], s[0:1]
	s_cbranch_execz .LBB261_79
; %bb.78:
	v_mov_b32_e32 v29, 0
	v_lshl_add_u64 v[48:49], v[24:25], 0, v[28:29]
	global_load_ushort v27, v[48:49], off offset:32
	v_lshl_add_u64 v[28:29], v[22:23], 0, v[28:29]
	s_waitcnt vmcnt(0)
	v_lshlrev_b32_e32 v27, 16, v27
	v_sub_f32_e32 v18, v27, v18
	global_store_short_d16_hi v[28:29], v18, off offset:32
	v_mul_f32_e32 v18, v45, v18
	v_lshrrev_b32_e32 v29, 16, v18
.LBB261_79:
	s_or_b64 exec, exec, s[6:7]
	s_and_saveexec_b64 s[0:1], s[4:5]
	s_cbranch_execz .LBB261_81
; %bb.80:
	v_mov_b32_e32 v31, 0
	v_lshl_add_u64 v[48:49], v[24:25], 0, v[30:31]
	global_load_ushort v18, v[48:49], off offset:32
	v_lshl_add_u64 v[30:31], v[22:23], 0, v[30:31]
	s_waitcnt vmcnt(0)
	v_lshlrev_b32_e32 v18, 16, v18
	v_sub_f32_e32 v18, v18, v19
	global_store_short_d16_hi v[30:31], v18, off offset:32
	v_mul_f32_e32 v18, v44, v18
	v_lshrrev_b32_e32 v31, 16, v18
.LBB261_81:
	s_or_b64 exec, exec, s[0:1]
	v_mov_b32_e32 v27, 0
	v_mov_b32_e32 v28, 0
	s_and_saveexec_b64 s[0:1], s[2:3]
	s_cbranch_execz .LBB261_83
; %bb.82:
	v_mov_b32_e32 v33, 0
	v_lshl_add_u64 v[18:19], v[24:25], 0, v[32:33]
	global_load_ushort v28, v[18:19], off offset:32
	v_lshl_add_u64 v[18:19], v[22:23], 0, v[32:33]
	s_waitcnt vmcnt(0)
	v_lshlrev_b32_e32 v28, 16, v28
	v_sub_f32_e32 v20, v28, v20
	global_store_short_d16_hi v[18:19], v20, off offset:32
	v_mul_f32_e32 v18, v46, v20
	v_lshrrev_b32_e32 v28, 16, v18
.LBB261_83:
	s_or_b64 exec, exec, s[0:1]
	v_or_b32_e32 v19, 0xb000, v42
	v_or_b32_e32 v18, 0xb000, v43
	s_and_saveexec_b64 s[0:1], vcc
	s_cbranch_execz .LBB261_85
; %bb.84:
	v_mov_b32_e32 v27, 0
	v_lshl_add_u64 v[24:25], v[24:25], 0, v[26:27]
	global_load_ushort v20, v[24:25], off offset:32
	v_lshl_add_u64 v[22:23], v[22:23], 0, v[26:27]
	s_waitcnt vmcnt(0)
	v_lshlrev_b32_e32 v20, 16, v20
	v_sub_f32_e32 v20, v20, v21
	global_store_short_d16_hi v[22:23], v20, off offset:32
	v_mul_f32_e32 v20, v39, v20
	v_lshrrev_b32_e32 v27, 16, v20
.LBB261_85:
	s_or_b64 exec, exec, s[0:1]
	s_mov_b32 s0, 0x5040100
	v_or_b32_e32 v22, v35, v37
	v_perm_b32 v21, v27, v28, s0
	v_perm_b32 v20, v31, v29, s0
	v_lshlrev_b32_e32 v22, 1, v22
	s_movk_i32 s2, 0x100
	ds_write_b64 v22, v[20:21] offset:45056
	v_and_b32_e32 v20, 7, v0
	v_and_b32_e32 v21, 8, v0
	v_cmp_gt_u32_e32 vcc, s2, v0
	v_lshrrev_b32_e32 v0, 1, v0
	v_lshlrev_b32_e32 v26, 3, v20
	v_lshlrev_b32_e32 v35, 7, v20
	v_mov_b32_e32 v20, 0x4000
	v_mov_b32_e32 v22, 0x2000
	v_lshlrev_b32_e32 v24, 3, v53
	v_and_b32_e32 v0, 24, v0
	v_cndmask_b32_e32 v27, v20, v22, vcc
	v_xor_b32_e32 v20, v24, v0
	v_or_b32_e32 v22, 0x440, v20
	v_cmp_eq_u32_e32 vcc, 0, v21
	v_or_b32_e32 v28, 32, v0
	v_xor_b32_e32 v28, v24, v28
	v_cndmask_b32_e32 v20, v22, v20, vcc
	v_or_b32_e32 v20, v20, v41
	v_xor_b32_e32 v48, v20, v26
	v_or_b32_e32 v29, 0x440, v28
	v_add3_u32 v25, v27, v48, v35
	v_cndmask_b32_e32 v28, v29, v28, vcc
	v_or_b32_e32 v29, 64, v0
	v_or_b32_e32 v0, 0x60, v0
	s_waitcnt lgkmcnt(0)
	s_barrier
	v_xor_b32_e32 v29, v24, v29
	v_xor_b32_e32 v0, v24, v0
	ds_read_b64 v[24:25], v25
	v_xor_b32_e32 v30, 0x440, v29
	ds_read2_b64 v[20:23], v19 offset1:16
	v_cndmask_b32_e32 v29, v30, v29, vcc
	v_xor_b32_e32 v30, 0x440, v0
	v_or_b32_e32 v28, v28, v41
	v_or_b32_e32 v29, v29, v41
	v_cndmask_b32_e32 v0, v30, v0, vcc
	v_xor_b32_e32 v49, v28, v26
	v_xor_b32_e32 v50, v29, v26
	v_or_b32_e32 v0, v0, v41
	v_add3_u32 v28, v27, v49, v35
	v_add3_u32 v29, v27, v50, v35
	v_xor_b32_e32 v51, v0, v26
	s_mul_i32 s0, s20, s21
	v_add3_u32 v0, v27, v51, v35
	ds_read_b64 v[26:27], v28
	ds_read_b64 v[32:33], v29
	;; [unrolled: 1-line block ×3, first 2 shown]
	ds_read2st64_b64 v[28:31], v19 offset0:2 offset1:4
	s_mul_hi_i32 s1, s20, s21
	ds_read2st64_b64 v[40:43], v18 offset0:2 offset1:4
	s_add_u32 s0, s0, s48
	s_waitcnt lgkmcnt(5)
	v_mfma_f32_16x16x16_bf16 a[0:3], v[24:25], v[20:21], 0
	s_addc_u32 s1, s1, s37
	s_lshl_b64 s[0:1], s[0:1], 9
	s_add_u32 s0, s40, s0
	v_mfma_f32_16x16x16_bf16 a[4:7], v[24:25], v[22:23], 0
	s_addc_u32 s1, s41, s1
	v_lshlrev_b32_e32 v0, 2, v38
	v_add_u32_e32 v48, v48, v35
	s_waitcnt lgkmcnt(1)
	v_mfma_f32_16x16x16_bf16 a[0:3], v[26:27], v[28:29], a[0:3]
	v_add_u32_e32 v50, v50, v35
	s_waitcnt lgkmcnt(0)
	v_mfma_f32_16x16x16_bf16 a[4:7], v[26:27], v[40:41], a[4:7]
	global_load_dwordx4 v[24:27], v0, s[0:1]
	v_lshlrev_b32_e32 v0, 6, v53
	s_waitcnt vmcnt(0)
	v_exp_f32_e32 v26, v26
	v_mfma_f32_16x16x16_bf16 a[0:3], v[32:33], v[30:31], a[0:3]
	v_exp_f32_e32 v27, v27
	v_mfma_f32_16x16x16_bf16 a[4:7], v[32:33], v[42:43], a[4:7]
	ds_read_b64 v[32:33], v19 offset:3072
	ds_read_b64 v[46:47], v18 offset:3072
	v_lshlrev_b32_e32 v18, 2, v36
	v_or3_b32 v0, v0, v18, s2
	global_load_dwordx4 v[36:39], v0, s[0:1]
	v_exp_f32_e32 v18, v24
	v_exp_f32_e32 v19, v25
	ds_read_b64 v[24:25], v48 offset:16384
	s_waitcnt lgkmcnt(2)
	v_mfma_f32_16x16x16_bf16 a[0:3], v[44:45], v[32:33], a[0:3]
	v_exp_f32_e32 v0, s22
	s_nop 0
	v_pk_mul_f32 v[54:55], v[0:1], v[18:19] op_sel_hi:[0,1]
	s_waitcnt lgkmcnt(1)
	v_mfma_f32_16x16x16_bf16 a[4:7], v[44:45], v[46:47], a[4:7]
	v_add_u32_e32 v44, v49, v35
	s_nop 0
	v_accvgpr_read_b32 v19, a1
	v_accvgpr_read_b32 v45, a3
	v_add_u32_e32 v35, v51, v35
	ds_read_b64 v[48:49], v44 offset:16384
	ds_read_b64 v[50:51], v50 offset:16384
	;; [unrolled: 1-line block ×3, first 2 shown]
	v_accvgpr_read_b32 v44, a2
	v_accvgpr_read_b32 v18, a0
	s_waitcnt lgkmcnt(3)
	v_mfma_f32_16x16x16_bf16 a[0:3], v[24:25], v[22:23], 0
	v_pk_fma_f32 v[18:19], v[2:3], v[54:55], v[18:19]
	v_pk_mul_f32 v[2:3], v[0:1], v[26:27] op_sel_hi:[0,1]
	v_mov_b32_e32 v35, v34
	v_mfma_f32_16x16x16_bf16 a[8:11], v[24:25], v[20:21], 0
	v_pk_fma_f32 v[20:21], v[4:5], v[2:3], v[44:45]
	v_accvgpr_read_b32 v4, a4
	v_fma_f32 v26, v10, v54, v4
	s_waitcnt lgkmcnt(2)
	v_mfma_f32_16x16x16_bf16 a[0:3], v[48:49], v[40:41], a[0:3]
	v_accvgpr_read_b32 v4, a5
	v_fma_f32 v27, v11, v55, v4
	v_accvgpr_read_b32 v4, a6
	v_mfma_f32_16x16x16_bf16 a[8:11], v[48:49], v[28:29], a[8:11]
	v_accvgpr_read_b32 v29, a7
	v_fma_f32 v28, v12, v2, v4
	v_fmac_f32_e32 v29, v13, v3
	s_waitcnt lgkmcnt(1)
	v_mfma_f32_16x16x16_bf16 a[0:3], v[50:51], v[42:43], a[0:3]
	s_waitcnt vmcnt(0)
	v_mov_b32_e32 v2, v37
	v_mfma_f32_16x16x16_bf16 a[8:11], v[50:51], v[30:31], a[8:11]
	v_mov_b32_e32 v3, v38
	v_mov_b32_e32 v4, v39
	v_exp_f32_e32 v10, v36
	v_exp_f32_e32 v11, v2
	v_exp_f32_e32 v2, v3
	v_exp_f32_e32 v3, v4
	s_waitcnt lgkmcnt(0)
	v_mfma_f32_16x16x16_bf16 a[0:3], v[52:53], v[46:47], a[0:3]
	v_pk_mul_f32 v[10:11], v[0:1], v[10:11] op_sel_hi:[0,1]
	v_pk_mul_f32 v[2:3], v[0:1], v[2:3] op_sel_hi:[0,1]
	v_mfma_f32_16x16x16_bf16 a[4:7], v[52:53], v[32:33], a[8:11]
	s_nop 3
	v_accvgpr_read_b32 v0, a0
	v_fma_f32 v30, v14, v10, v0
	v_accvgpr_read_b32 v0, a1
	v_fma_f32 v31, v15, v11, v0
	v_accvgpr_read_b32 v13, a5
	v_accvgpr_read_b32 v5, a7
	;; [unrolled: 1-line block ×6, first 2 shown]
	v_pk_fma_f32 v[22:23], v[6:7], v[10:11], v[12:13]
	v_pk_fma_f32 v[24:25], v[8:9], v[2:3], v[4:5]
	v_fma_f32 v32, v16, v2, v0
	v_fmac_f32_e32 v33, v17, v3
	v_mov_b64_e32 v[2:3], v[18:19]
	v_mov_b64_e32 v[4:5], v[20:21]
	v_mov_b64_e32 v[6:7], v[22:23]
	v_mov_b64_e32 v[8:9], v[24:25]
	v_mov_b64_e32 v[10:11], v[26:27]
	v_mov_b64_e32 v[12:13], v[28:29]
	v_mov_b64_e32 v[14:15], v[30:31]
	v_mov_b64_e32 v[16:17], v[32:33]
.LBB261_86:
	s_mul_i32 s0, s49, s35
	s_mul_hi_u32 s1, s49, s34
	s_add_i32 s0, s1, s0
	s_mul_i32 s1, s33, s34
	s_add_i32 s1, s0, s1
	s_mul_i32 s0, s49, s34
	s_add_u32 s0, s0, s48
	s_addc_u32 s1, s1, s37
	s_lshl_b64 s[0:1], s[0:1], 15
	s_add_u32 s0, s8, s0
	v_lshlrev_b32_e32 v18, 7, v35
	s_addc_u32 s1, s9, s1
	v_ashrrev_i32_e32 v19, 31, v18
	v_lshl_add_u64 v[20:21], v[18:19], 1, s[0:1]
	v_lshlrev_b32_e32 v0, 1, v1
	v_mov_b32_e32 v1, 0
	s_mov_b32 s2, 0x7060302
	v_lshl_add_u64 v[20:21], v[20:21], 0, v[0:1]
	v_perm_b32 v5, v5, v4, s2
	v_perm_b32 v4, v3, v2, s2
	;; [unrolled: 1-line block ×4, first 2 shown]
	global_store_dwordx2 v[20:21], v[2:3], off offset:128
	v_or_b32_e32 v2, 0x800, v18
	v_ashrrev_i32_e32 v3, 31, v2
	v_lshl_add_u64 v[2:3], v[2:3], 1, s[0:1]
	v_lshl_add_u64 v[0:1], v[2:3], 0, v[0:1]
	v_perm_b32 v3, v13, v12, s2
	v_perm_b32 v2, v11, v10, s2
	global_store_dwordx2 v[0:1], v[2:3], off
	v_perm_b32 v3, v17, v16, s2
	v_perm_b32 v2, v15, v14, s2
	global_store_dwordx2 v[20:21], v[4:5], off
	global_store_dwordx2 v[0:1], v[2:3], off offset:128
	s_endpgm
	.section	.rodata,"a",@progbits
	.p2align	6, 0x0
	.amdhsa_kernel _ZN12_GLOBAL__N_139chunk_gated_delta_rule_fwd_h_hip_kernelILi32ELb0ELb1ELb1ELb1ELb1ELb1ELb1ELb1EEEvPK12hip_bfloat16S3_S3_PKfS5_PKvPS1_S8_PvPKiSB_iiiiilll
		.amdhsa_group_segment_fixed_size 49152
		.amdhsa_private_segment_fixed_size 0
		.amdhsa_kernarg_size 136
		.amdhsa_user_sgpr_count 2
		.amdhsa_user_sgpr_dispatch_ptr 0
		.amdhsa_user_sgpr_queue_ptr 0
		.amdhsa_user_sgpr_kernarg_segment_ptr 1
		.amdhsa_user_sgpr_dispatch_id 0
		.amdhsa_user_sgpr_kernarg_preload_length 0
		.amdhsa_user_sgpr_kernarg_preload_offset 0
		.amdhsa_user_sgpr_private_segment_size 0
		.amdhsa_uses_dynamic_stack 0
		.amdhsa_enable_private_segment 0
		.amdhsa_system_sgpr_workgroup_id_x 1
		.amdhsa_system_sgpr_workgroup_id_y 1
		.amdhsa_system_sgpr_workgroup_id_z 0
		.amdhsa_system_sgpr_workgroup_info 0
		.amdhsa_system_vgpr_workitem_id 0
		.amdhsa_next_free_vgpr 164
		.amdhsa_next_free_sgpr 70
		.amdhsa_accum_offset 144
		.amdhsa_reserve_vcc 1
		.amdhsa_float_round_mode_32 0
		.amdhsa_float_round_mode_16_64 0
		.amdhsa_float_denorm_mode_32 3
		.amdhsa_float_denorm_mode_16_64 3
		.amdhsa_dx10_clamp 1
		.amdhsa_ieee_mode 1
		.amdhsa_fp16_overflow 0
		.amdhsa_tg_split 0
		.amdhsa_exception_fp_ieee_invalid_op 0
		.amdhsa_exception_fp_denorm_src 0
		.amdhsa_exception_fp_ieee_div_zero 0
		.amdhsa_exception_fp_ieee_overflow 0
		.amdhsa_exception_fp_ieee_underflow 0
		.amdhsa_exception_fp_ieee_inexact 0
		.amdhsa_exception_int_div_zero 0
	.end_amdhsa_kernel
	.section	.text._ZN12_GLOBAL__N_139chunk_gated_delta_rule_fwd_h_hip_kernelILi32ELb0ELb1ELb1ELb1ELb1ELb1ELb1ELb1EEEvPK12hip_bfloat16S3_S3_PKfS5_PKvPS1_S8_PvPKiSB_iiiiilll,"axG",@progbits,_ZN12_GLOBAL__N_139chunk_gated_delta_rule_fwd_h_hip_kernelILi32ELb0ELb1ELb1ELb1ELb1ELb1ELb1ELb1EEEvPK12hip_bfloat16S3_S3_PKfS5_PKvPS1_S8_PvPKiSB_iiiiilll,comdat
.Lfunc_end261:
	.size	_ZN12_GLOBAL__N_139chunk_gated_delta_rule_fwd_h_hip_kernelILi32ELb0ELb1ELb1ELb1ELb1ELb1ELb1ELb1EEEvPK12hip_bfloat16S3_S3_PKfS5_PKvPS1_S8_PvPKiSB_iiiiilll, .Lfunc_end261-_ZN12_GLOBAL__N_139chunk_gated_delta_rule_fwd_h_hip_kernelILi32ELb0ELb1ELb1ELb1ELb1ELb1ELb1ELb1EEEvPK12hip_bfloat16S3_S3_PKfS5_PKvPS1_S8_PvPKiSB_iiiiilll
                                        ; -- End function
	.section	.AMDGPU.csdata,"",@progbits
; Kernel info:
; codeLenInByte = 9864
; NumSgprs: 76
; NumVgprs: 142
; NumAgprs: 20
; TotalNumVgprs: 164
; ScratchSize: 0
; MemoryBound: 0
; FloatMode: 240
; IeeeMode: 1
; LDSByteSize: 49152 bytes/workgroup (compile time only)
; SGPRBlocks: 9
; VGPRBlocks: 20
; NumSGPRsForWavesPerEU: 76
; NumVGPRsForWavesPerEU: 164
; AccumOffset: 144
; Occupancy: 1
; WaveLimiterHint : 1
; COMPUTE_PGM_RSRC2:SCRATCH_EN: 0
; COMPUTE_PGM_RSRC2:USER_SGPR: 2
; COMPUTE_PGM_RSRC2:TRAP_HANDLER: 0
; COMPUTE_PGM_RSRC2:TGID_X_EN: 1
; COMPUTE_PGM_RSRC2:TGID_Y_EN: 1
; COMPUTE_PGM_RSRC2:TGID_Z_EN: 0
; COMPUTE_PGM_RSRC2:TIDIG_COMP_CNT: 0
; COMPUTE_PGM_RSRC3_GFX90A:ACCUM_OFFSET: 35
; COMPUTE_PGM_RSRC3_GFX90A:TG_SPLIT: 0
	.section	.text._ZN12_GLOBAL__N_139chunk_gated_delta_rule_fwd_h_hip_kernelILi32ELb0ELb1ELb0ELb1ELb1ELb1ELb1ELb1EEEvPK12hip_bfloat16S3_S3_PKfS5_PKvPS1_S8_PvPKiSB_iiiiilll,"axG",@progbits,_ZN12_GLOBAL__N_139chunk_gated_delta_rule_fwd_h_hip_kernelILi32ELb0ELb1ELb0ELb1ELb1ELb1ELb1ELb1EEEvPK12hip_bfloat16S3_S3_PKfS5_PKvPS1_S8_PvPKiSB_iiiiilll,comdat
	.globl	_ZN12_GLOBAL__N_139chunk_gated_delta_rule_fwd_h_hip_kernelILi32ELb0ELb1ELb0ELb1ELb1ELb1ELb1ELb1EEEvPK12hip_bfloat16S3_S3_PKfS5_PKvPS1_S8_PvPKiSB_iiiiilll ; -- Begin function _ZN12_GLOBAL__N_139chunk_gated_delta_rule_fwd_h_hip_kernelILi32ELb0ELb1ELb0ELb1ELb1ELb1ELb1ELb1EEEvPK12hip_bfloat16S3_S3_PKfS5_PKvPS1_S8_PvPKiSB_iiiiilll
	.p2align	8
	.type	_ZN12_GLOBAL__N_139chunk_gated_delta_rule_fwd_h_hip_kernelILi32ELb0ELb1ELb0ELb1ELb1ELb1ELb1ELb1EEEvPK12hip_bfloat16S3_S3_PKfS5_PKvPS1_S8_PvPKiSB_iiiiilll,@function
_ZN12_GLOBAL__N_139chunk_gated_delta_rule_fwd_h_hip_kernelILi32ELb0ELb1ELb0ELb1ELb1ELb1ELb1ELb1EEEvPK12hip_bfloat16S3_S3_PKfS5_PKvPS1_S8_PvPKiSB_iiiiilll: ; @_ZN12_GLOBAL__N_139chunk_gated_delta_rule_fwd_h_hip_kernelILi32ELb0ELb1ELb0ELb1ELb1ELb1ELb1ELb1EEEvPK12hip_bfloat16S3_S3_PKfS5_PKvPS1_S8_PvPKiSB_iiiiilll
; %bb.0:
	s_load_dwordx4 s[16:19], s[0:1], 0x5c
	s_load_dwordx4 s[20:23], s[0:1], 0x70
	s_abs_i32 s27, s3
	s_ashr_i32 s26, s3, 31
	s_load_dwordx8 s[4:11], s[0:1], 0x0
	s_load_dwordx2 s[36:37], s[0:1], 0x20
	s_load_dwordx2 s[40:41], s[0:1], 0x30
	s_waitcnt lgkmcnt(0)
	s_abs_i32 s28, s17
	v_cvt_f32_u32_e32 v1, s28
	s_sub_i32 s29, 0, s28
	s_ashr_i32 s33, s17, 31
	s_xor_b32 s26, s26, s33
	v_rcp_iflag_f32_e32 v1, v1
	s_load_dwordx4 s[12:15], s[0:1], 0x40
	s_load_dwordx2 s[24:25], s[0:1], 0x50
	v_lshrrev_b32_e32 v53, 6, v0
	v_bfe_u32 v62, v0, 4, 2
	v_mul_f32_e32 v1, 0x4f7ffffe, v1
	v_cvt_u32_f32_e32 v1, v1
	v_lshlrev_b32_e32 v60, 4, v53
	v_lshlrev_b32_e32 v18, 2, v62
	v_and_b32_e32 v61, 63, v0
	v_readfirstlane_b32 s30, v1
	s_mul_i32 s29, s29, s30
	s_mul_hi_u32 s29, s30, s29
	s_add_i32 s30, s30, s29
	s_mul_hi_u32 s29, s27, s30
	s_mul_i32 s30, s29, s28
	s_sub_i32 s27, s27, s30
	s_add_i32 s30, s29, 1
	s_sub_i32 s31, s27, s28
	s_cmp_ge_u32 s27, s28
	s_cselect_b32 s29, s30, s29
	s_cselect_b32 s27, s31, s27
	s_add_i32 s30, s29, 1
	s_cmp_ge_u32 s27, s28
	s_cselect_b32 s27, s30, s29
	s_xor_b32 s27, s27, s26
	s_sub_i32 s34, s27, s26
	s_mul_i32 s26, s34, s17
	s_ashr_i32 s35, s34, 31
	s_sub_i32 s46, s3, s26
	s_lshl_b64 s[26:27], s[34:35], 2
	s_waitcnt lgkmcnt(0)
	s_add_u32 s14, s14, s26
	s_addc_u32 s15, s15, s27
	s_add_u32 s24, s24, s26
	s_addc_u32 s25, s25, s27
	s_abs_i32 s3, s18
	v_cvt_f32_u32_e32 v1, s3
	s_load_dwordx2 s[38:39], s[14:15], 0x0
	s_sub_i32 s15, 0, s3
	s_load_dword s52, s[24:25], 0x0
	v_rcp_iflag_f32_e32 v1, v1
	v_mov_b32_e32 v17, 0
	s_waitcnt lgkmcnt(0)
	s_sub_i32 s56, s39, s38
	s_ashr_i32 s14, s56, 31
	v_mul_f32_e32 v1, 0x4f7ffffe, v1
	v_cvt_u32_f32_e32 v1, v1
	s_lshr_b32 s14, s14, 26
	s_add_i32 s14, s56, s14
	s_ashr_i32 s51, s14, 6
	v_readfirstlane_b32 s26, v1
	s_mul_i32 s15, s15, s26
	s_mul_hi_u32 s15, s26, s15
	s_add_i32 s26, s26, s15
	s_mul_hi_u32 s15, s28, s26
	s_mul_i32 s26, s15, s3
	s_ashr_i32 s14, s18, 31
	s_sub_i32 s26, s28, s26
	s_xor_b32 s14, s33, s14
	s_add_i32 s27, s15, 1
	s_sub_i32 s28, s26, s3
	s_cmp_ge_u32 s26, s3
	s_cselect_b32 s15, s27, s15
	s_cselect_b32 s26, s28, s26
	s_add_i32 s27, s15, 1
	s_cmp_ge_u32 s26, s3
	s_cselect_b32 s3, s27, s15
	s_xor_b32 s3, s3, s14
	s_sub_i32 s3, s3, s14
	s_abs_i32 s26, s3
	v_cvt_f32_u32_e32 v1, s26
	s_load_dwordx2 s[14:15], s[0:1], 0x80
	s_xor_b32 s0, s46, s3
	s_sub_i32 s3, 0, s26
	v_rcp_iflag_f32_e32 v1, v1
	s_abs_i32 s1, s46
	s_ashr_i32 s0, s0, 31
	s_mov_b32 s47, s17
	v_mul_f32_e32 v1, 0x4f7ffffe, v1
	v_cvt_u32_f32_e32 v1, v1
	v_and_b32_e32 v63, 15, v0
	s_mul_hi_i32 s53, s46, s16
	s_mul_i32 s54, s46, s16
	v_readfirstlane_b32 s24, v1
	s_mul_i32 s3, s3, s24
	s_mul_hi_u32 s3, s24, s3
	s_add_i32 s24, s24, s3
	s_mul_hi_u32 s3, s1, s24
	s_mul_i32 s24, s3, s26
	s_sub_i32 s1, s1, s24
	s_add_i32 s24, s3, 1
	s_sub_i32 s25, s1, s26
	s_cmp_ge_u32 s1, s26
	s_cselect_b32 s3, s24, s3
	s_cselect_b32 s1, s25, s1
	s_add_i32 s24, s3, 1
	s_cmp_ge_u32 s1, s26
	s_cselect_b32 s1, s24, s3
	s_xor_b32 s1, s1, s0
	s_sub_i32 s55, s1, s0
	v_or_b32_e32 v1, v18, v60
	s_lshl_b32 s2, s2, 5
	v_or_b32_e32 v66, 64, v1
	s_cmp_lt_i32 s56, 64
	v_lshrrev_b32_e32 v65, 3, v61
	v_lshlrev_b32_e32 v64, 3, v0
	s_mul_i32 s48, s34, s21
	s_mul_hi_u32 s49, s34, s20
	s_mul_i32 s50, s35, s20
	s_mul_i32 s20, s34, s20
	v_mov_b32_e32 v16, v17
	v_mov_b32_e32 v15, v17
	;; [unrolled: 1-line block ×15, first 2 shown]
	s_cbranch_scc1 .LBB262_19
; %bb.1:
	s_ashr_i32 s58, s46, 31
	s_ashr_i32 s1, s38, 31
	s_add_u32 s0, s54, s38
	s_addc_u32 s1, s53, s1
	s_lshl_b64 s[0:1], s[0:1], 8
	v_and_b32_e32 v68, 56, v64
	s_add_u32 s24, s6, s0
	v_lshl_or_b32 v67, v53, 3, v65
	v_lshlrev_b32_e32 v2, 1, v68
	s_addc_u32 s0, s7, s1
	v_lshl_or_b32 v69, v67, 8, v2
	s_and_b32 s25, s0, 0xffff
	s_mov_b32 s27, 0x20000
	s_movk_i32 s26, 0x4000
	s_movk_i32 s0, 0x80
	v_or_b32_e32 v70, 0x2000, v69
	buffer_load_dwordx4 v[4:7], v69, s[24:27], 0 offen
	buffer_load_dwordx4 v[8:11], v69, s[24:27], s0 offen
	;; [unrolled: 1-line block ×4, first 2 shown]
	v_lshlrev_b32_e32 v3, 3, v67
	v_and_or_b32 v17, v0, 7, v3
	v_and_b32_e32 v3, 0x78, v3
	v_lshlrev_b32_e32 v17, 4, v17
	v_xor_b32_e32 v71, v17, v3
	v_mul_lo_u32 v16, v67, s19
	v_or_b32_e32 v72, 0x1000, v71
	v_xor_b32_e32 v3, 8, v71
	s_cmpk_eq_i32 s19, 0x80
	s_mov_b32 s57, s38
	v_xor_b32_e32 v17, 8, v72
	s_cselect_b64 s[0:1], -1, 0
	s_cmpk_lg_i32 s19, 0x80
	s_waitcnt vmcnt(3)
	ds_write_b64 v71, v[4:5] offset:24576
	ds_write_b64 v3, v[6:7] offset:24576
	s_waitcnt vmcnt(2)
	ds_write_b64 v71, v[8:9] offset:32768
	ds_write_b64 v3, v[10:11] offset:32768
	;; [unrolled: 3-line block ×4, first 2 shown]
	v_lshl_add_u32 v3, v16, 1, v68
	s_cbranch_scc0 .LBB262_3
; %bb.2:
	v_lshlrev_b32_e32 v5, 1, v3
	v_add_lshl_u32 v4, v3, s19, 1
	s_lshl_b32 s26, s19, 7
	v_lshl_or_b32 v2, v67, 9, v2
	s_cbranch_execz .LBB262_4
	s_branch .LBB262_5
.LBB262_3:
                                        ; implicit-def: $vgpr4
                                        ; implicit-def: $vgpr5
                                        ; implicit-def: $sgpr26
	v_lshl_or_b32 v2, v67, 9, v2
.LBB262_4:
	v_or_b32_e32 v4, 0x100, v2
	s_movk_i32 s26, 0x4000
	v_mov_b32_e32 v5, v2
.LBB262_5:
	s_mul_i32 s21, s38, s18
	s_ashr_i32 s59, s55, 31
	s_mul_hi_i32 s3, s38, s18
	s_add_u32 s24, s21, s55
	s_addc_u32 s25, s3, s59
	s_lshl_b64 s[24:25], s[24:25], 8
	s_add_u32 s24, s4, s24
	s_addc_u32 s3, s5, s25
	s_and_b32 s25, s3, 0xffff
	s_movk_i32 s60, 0x80
	buffer_load_dwordx4 v[6:9], v5, s[24:27], 0 offen
	buffer_load_dwordx4 v[10:13], v5, s[24:27], s60 offen
	;; [unrolled: 1-line block ×4, first 2 shown]
	v_and_b32_e32 v4, 6, v0
	v_lshlrev_b32_e32 v24, 6, v1
	v_or_b32_e32 v26, 16, v63
	v_xor_b32_e32 v27, v67, v4
	v_and_b32_e32 v5, 1, v0
	v_lshl_or_b32 v30, v63, 3, v24
	v_lshl_or_b32 v24, v26, 3, v24
	v_lshlrev_b32_e32 v27, 2, v27
	v_lshlrev_b32_e32 v19, 2, v63
	s_mul_i32 s3, s46, s23
	s_mul_hi_u32 s21, s46, s22
	v_or_b32_e32 v75, 0xa000, v24
	v_or_b32_e32 v76, 0xb000, v24
	v_xor_b32_e32 v24, 0x440, v27
	v_cmp_eq_u32_e32 vcc, 0, v5
	s_add_i32 s25, s49, s48
	s_mul_i32 s24, s58, s22
	v_xor_b32_e32 v28, v1, v19
	v_xor_b32_e32 v29, v66, v19
	v_cndmask_b32_e32 v5, v24, v27, vcc
	s_add_i32 s3, s21, s3
	s_add_i32 s21, s25, s50
	s_mov_b32 s61, 0x1000504
	v_lshlrev_b32_e32 v25, 8, v63
	v_lshlrev_b32_e32 v26, 8, v26
	;; [unrolled: 1-line block ×4, first 2 shown]
	v_lshl_or_b32 v4, v4, 10, v5
	s_add_i32 s25, s3, s24
	s_lshl_b64 s[28:29], s[20:21], 2
	s_mov_b32 s62, 0x3020706
	v_or_b32_e32 v73, 0xa000, v30
	v_or_b32_e32 v74, 0xb000, v30
	;; [unrolled: 1-line block ×5, first 2 shown]
	v_xor_b32_e32 v5, 8, v4
	v_xor_b32_e32 v25, 24, v4
	;; [unrolled: 1-line block ×4, first 2 shown]
	s_mul_i32 s24, s46, s22
	s_add_u32 s3, s10, s28
	v_or_b32_e32 v79, v26, v28
	v_xor_b32_e32 v24, 16, v4
	v_xor_b32_e32 v26, 32, v4
	;; [unrolled: 1-line block ×3, first 2 shown]
	v_add_u32_e32 v5, 0x80, v5
	v_add_u32_e32 v25, 0x80, v25
	;; [unrolled: 1-line block ×4, first 2 shown]
	s_addc_u32 s21, s11, s29
	s_lshl_b64 s[24:25], s[24:25], 2
	s_add_u32 s42, s3, s24
	s_movk_i32 s3, 0xf8
	s_addc_u32 s43, s21, s25
	s_lshl_b32 s30, s19, 7
	s_movk_i32 s28, 0x100
	v_mov_b32_e32 v55, 0
	v_lshlrev_b32_e32 v54, 4, v63
	v_cmp_gt_u32_e32 vcc, s28, v0
	s_mov_b32 s63, 0
	s_movk_i32 s21, 0x1000
	s_movk_i32 s26, 0x4000
	v_add_u32_e32 v94, v60, v18
	v_mov_b32_e32 v105, v55
	v_mov_b32_e32 v106, v55
	;; [unrolled: 1-line block ×8, first 2 shown]
	s_waitcnt vmcnt(1)
	v_perm_b32 v30, v6, v14, s61
	s_waitcnt vmcnt(0)
	v_perm_b32 v31, v10, v20, s61
	v_perm_b32 v6, v6, v14, s62
	;; [unrolled: 1-line block ×15, first 2 shown]
	ds_write2st64_b32 v4, v30, v31 offset0:32 offset1:64
	ds_write2st64_b32 v5, v6, v10 offset0:32 offset1:64
	ds_write2st64_b32 v24, v14, v20 offset0:33 offset1:65
	ds_write2st64_b32 v25, v7, v11 offset0:33 offset1:65
	ds_write2st64_b32 v26, v15, v21 offset0:34 offset1:66
	ds_write2st64_b32 v27, v8, v12 offset0:34 offset1:66
	ds_write2st64_b32 v28, v16, v22 offset0:35 offset1:67
	ds_write2st64_b32 v29, v9, v13 offset0:35 offset1:67
	v_or_b32_e32 v4, v60, v63
	v_lshlrev_b32_e32 v4, 3, v4
	v_lshrrev_b32_e32 v6, 5, v61
	v_and_or_b32 v6, v4, s3, v6
	v_lshlrev_b32_e32 v6, 4, v6
	v_lshrrev_b32_e32 v5, 2, v61
	v_lshlrev_b32_e32 v11, 11, v53
	v_and_b32_e32 v4, 0x78, v4
	v_or_b32_e32 v10, 32, v6
	v_and_b32_e32 v7, 12, v5
	v_and_b32_e32 v5, 0x1000, v11
	v_xor_b32_e32 v8, v6, v4
	v_lshrrev_b32_e32 v9, 1, v61
	v_xor_b32_e32 v10, v10, v4
	v_or_b32_e32 v8, v8, v5
	v_and_b32_e32 v9, 8, v9
	v_lshlrev_b32_e32 v12, 7, v62
	v_or_b32_e32 v10, v10, v5
	v_xor_b32_e32 v81, v8, v9
	v_or_b32_e32 v8, v12, v19
	v_xor_b32_e32 v83, v10, v9
	v_or_b32_e32 v10, 64, v6
	v_or_b32_e32 v6, 0x60, v6
	s_ashr_i32 s3, s2, 31
	v_lshlrev_b32_e32 v8, 1, v8
	v_xor_b32_e32 v10, v10, v4
	v_xor_b32_e32 v4, v6, v4
	s_lshl_b64 s[24:25], s[2:3], 8
	v_or_b32_e32 v82, 0xa000, v8
	v_or_b32_e32 v84, 0xa080, v8
	;; [unrolled: 1-line block ×6, first 2 shown]
	s_add_u32 s24, s40, s24
	v_lshlrev_b32_e32 v8, 1, v63
	v_lshlrev_b32_e32 v19, 2, v0
	v_lshrrev_b32_e32 v22, 1, v0
	v_xor_b32_e32 v85, v10, v9
	v_xor_b32_e32 v86, v4, v9
	v_lshrrev_b32_e32 v10, 4, v0
	s_addc_u32 s25, s41, s25
	v_or_b32_e32 v9, 1, v8
	v_mov_b32_e32 v20, 0x4000
	v_mov_b32_e32 v21, 0x2000
	v_and_b32_e32 v22, 24, v22
	v_and_or_b32 v12, v19, 60, v12
	v_mov_b32_e32 v19, 0xb000
	v_xor_b32_e32 v15, v10, v8
	v_xor_b32_e32 v16, v9, v10
	v_lshl_add_u64 v[8:9], s[24:25], 0, v[54:55]
	v_lshlrev_b32_e32 v54, 8, v10
	v_cndmask_b32_e32 v20, v20, v21, vcc
	v_lshlrev_b32_e32 v21, 3, v53
	v_lshl_or_b32 v91, v12, 1, v19
	v_or_b32_e32 v12, 32, v22
	v_lshl_or_b32 v89, v15, 3, v54
	v_and_b32_e32 v15, 8, v0
	v_xor_b32_e32 v12, v21, v12
	v_cmp_eq_u32_e32 vcc, 0, v15
	v_or_b32_e32 v19, 0x440, v12
	v_and_b32_e32 v10, 7, v0
	v_cndmask_b32_e32 v12, v19, v12, vcc
	v_lshl_or_b32 v90, v16, 3, v54
	v_lshlrev_b32_e32 v16, 3, v10
	v_or_b32_e32 v12, v12, v11
	v_xor_b32_e32 v19, v12, v16
	v_or_b32_e32 v12, 64, v22
	v_xor_b32_e32 v12, v21, v12
	v_xor_b32_e32 v25, 0x440, v12
	v_cndmask_b32_e32 v12, v25, v12, vcc
	v_or_b32_e32 v12, v12, v11
	v_xor_b32_e32 v25, v12, v16
	v_or_b32_e32 v12, 0x60, v22
	v_xor_b32_e32 v23, v21, v22
	v_xor_b32_e32 v12, v21, v12
	v_or_b32_e32 v24, 0x440, v23
	v_xor_b32_e32 v21, 0x440, v12
	v_cndmask_b32_e32 v15, v24, v23, vcc
	v_cndmask_b32_e32 v12, v21, v12, vcc
	v_or_b32_e32 v15, v15, v11
	v_or_b32_e32 v11, v12, v11
	v_or_b32_e32 v4, s2, v63
	v_xor_b32_e32 v15, v15, v16
	v_xor_b32_e32 v11, v11, v16
	v_lshlrev_b32_e32 v6, 7, v1
	v_ashrrev_i32_e32 v5, 31, v4
	v_lshlrev_b32_e32 v13, 1, v3
	v_add_lshl_u32 v3, v3, s19, 1
	v_or_b32_e32 v14, 0x100, v2
	v_lshlrev_b32_e32 v17, 7, v10
	v_or_b32_e32 v10, v7, v60
	v_add_u32_e32 v23, v20, v15
	v_add_u32_e32 v24, v20, v19
	;; [unrolled: 1-line block ×4, first 2 shown]
	v_or3_b32 v12, v60, v7, 64
	v_add_u32_e32 v7, 0x4000, v15
	v_add_u32_e32 v15, 0x4000, v19
	;; [unrolled: 1-line block ×4, first 2 shown]
	v_cndmask_b32_e64 v92, v13, v2, s[0:1]
	v_cndmask_b32_e64 v93, v3, v14, s[0:1]
	v_lshl_add_u64 v[56:57], v[4:5], 1, s[8:9]
	v_lshl_add_u64 v[58:59], v[8:9], 0, v[54:55]
	s_mov_b32 s3, 0x7060302
	v_lshlrev_b32_e32 v54, 1, v6
	v_lshlrev_b32_e32 v95, 2, v10
	v_add_u32_e32 v96, v23, v17
	v_add_u32_e32 v97, v24, v17
	;; [unrolled: 1-line block ×4, first 2 shown]
	v_lshlrev_b32_e32 v100, 2, v12
	v_add_u32_e32 v101, v7, v17
	v_add_u32_e32 v102, v15, v17
	;; [unrolled: 1-line block ×4, first 2 shown]
	v_mov_b32_e32 v2, v55
	v_mov_b32_e32 v3, v55
	;; [unrolled: 1-line block ×8, first 2 shown]
	s_waitcnt lgkmcnt(0)
	s_barrier
.LBB262_6:                              ; =>This Inner Loop Header: Depth=1
	s_add_i32 s64, s63, 1
	s_cmp_lt_i32 s64, s51
	s_mov_b64 s[28:29], 0
	s_cselect_b64 s[44:45], -1, 0
	s_cmp_ge_i32 s64, s51
	s_mov_b64 s[24:25], 0
	s_cbranch_scc1 .LBB262_8
; %bb.7:                                ;   in Loop: Header=BB262_6 Depth=1
	s_add_i32 s0, s57, 64
	s_ashr_i32 s1, s0, 31
	s_add_u32 s0, s54, s0
	s_addc_u32 s1, s53, s1
	s_lshl_b64 s[0:1], s[0:1], 8
	s_add_u32 s24, s6, s0
	s_addc_u32 s25, s7, s1
.LBB262_8:                              ;   in Loop: Header=BB262_6 Depth=1
	v_cndmask_b32_e64 v10, 0, 1, s[44:45]
	v_cmp_ne_u32_e64 s[0:1], 1, v10
	s_andn2_b64 vcc, exec, s[44:45]
	s_cbranch_vccnz .LBB262_10
; %bb.9:                                ;   in Loop: Header=BB262_6 Depth=1
	s_add_i32 s28, s57, 64
	s_mul_hi_i32 s29, s28, s18
	s_mul_i32 s28, s28, s18
	s_add_u32 s28, s28, s55
	s_addc_u32 s29, s29, s59
	s_lshl_b64 s[28:29], s[28:29], 8
	s_add_u32 s28, s4, s28
	s_addc_u32 s29, s5, s29
.LBB262_10:                             ;   in Loop: Header=BB262_6 Depth=1
	v_perm_b32 v11, v5, v4, s3
	v_perm_b32 v10, v3, v2, s3
	;; [unrolled: 1-line block ×4, first 2 shown]
	ds_write_b64 v73, v[10:11]
	ds_write_b64 v74, v[12:13]
	;; [unrolled: 1-line block ×4, first 2 shown]
	v_perm_b32 v11, v112, v107, s3
	v_perm_b32 v10, v106, v105, s3
	;; [unrolled: 1-line block ×4, first 2 shown]
	ds_write_b64 v75, v[10:11]
	ds_write_b64 v76, v[12:13]
	ds_write_b64 v79, v[10:11]
	ds_write_b64 v80, v[12:13]
	s_waitcnt lgkmcnt(0)
	s_barrier
	ds_read_b64 v[14:15], v81 offset:24576
	ds_read2_b64 v[10:13], v82 offset1:16
	ds_read_b64 v[18:19], v84 offset:3072
	ds_read_b64 v[20:21], v82 offset:3072
	ds_read_b64 v[22:23], v83 offset:24576
	s_waitcnt lgkmcnt(3)
	v_mfma_f32_16x16x16_bf16 a[0:3], v[14:15], v[10:11], 0
	s_add_i32 s65, s57, 63
	s_ashr_i32 s31, s65, 31
	s_mul_i32 s44, s65, s15
	v_mfma_f32_16x16x16_bf16 a[4:7], v[14:15], v[12:13], 0
	ds_read2st64_b64 v[10:13], v82 offset0:2 offset1:4
	s_mul_hi_u32 s45, s65, s14
	s_add_i32 s44, s45, s44
	s_waitcnt lgkmcnt(0)
	v_mfma_f32_16x16x16_bf16 a[0:3], v[22:23], v[10:11], a[0:3]
	ds_read2st64_b64 v[14:17], v84 offset0:2 offset1:4
	ds_read_b64 v[10:11], v85 offset:24576
	s_mul_i32 s31, s31, s14
	s_add_i32 s45, s44, s31
	s_waitcnt lgkmcnt(1)
	v_mfma_f32_16x16x16_bf16 a[4:7], v[22:23], v[14:15], a[4:7]
	ds_read_b64 v[14:15], v86 offset:24576
	s_mul_i32 s44, s65, s14
	s_lshl_b64 s[44:45], s[44:45], 2
	s_waitcnt lgkmcnt(1)
	v_mfma_f32_16x16x16_bf16 a[0:3], v[10:11], v[12:13], a[0:3]
	s_add_u32 s44, s42, s44
	s_addc_u32 s45, s43, s45
	s_and_b64 vcc, exec, s[0:1]
	v_mfma_f32_16x16x16_bf16 a[4:7], v[10:11], v[16:17], a[4:7]
	v_mov_b32_e32 v115, 0
	v_mov_b32_e32 v114, 0
	;; [unrolled: 1-line block ×3, first 2 shown]
	s_waitcnt lgkmcnt(0)
	v_mfma_f32_16x16x16_bf16 a[0:3], v[14:15], v[20:21], a[0:3]
	v_mov_b32_e32 v10, 0
	v_mov_b32_e32 v11, 0
	;; [unrolled: 1-line block ×3, first 2 shown]
	v_mfma_f32_16x16x16_bf16 a[4:7], v[14:15], v[18:19], a[4:7]
	v_mov_b32_e32 v13, 0
	v_mov_b32_e32 v14, 0
	;; [unrolled: 1-line block ×13, first 2 shown]
	s_cbranch_vccnz .LBB262_12
; %bb.11:                               ;   in Loop: Header=BB262_6 Depth=1
	s_and_b32 s25, s25, 0xffff
	buffer_load_dwordx4 v[22:25], v69, s[24:27], 0 offen
	buffer_load_dwordx4 v[18:21], v69, s[24:27], s60 offen
	;; [unrolled: 1-line block ×4, first 2 shown]
	v_mov_b32_e32 v114, v71
	v_mov_b32_e32 v113, v72
.LBB262_12:                             ;   in Loop: Header=BB262_6 Depth=1
	ds_read_b64 v[30:31], v81 offset:32768
	ds_read2_b64 v[26:29], v87 offset1:16
	ds_read_b64 v[34:35], v83 offset:32768
	ds_read_b64 v[36:37], v85 offset:32768
	;; [unrolled: 1-line block ×3, first 2 shown]
	v_add_u32_e32 v42, s57, v94
	s_waitcnt lgkmcnt(3)
	v_mfma_f32_16x16x16_bf16 a[0:3], v[30:31], v[26:27], a[0:3]
	v_mov_b32_e32 v116, 0
	v_mfma_f32_16x16x16_bf16 a[4:7], v[30:31], v[28:29], a[4:7]
	ds_read2st64_b64 v[26:29], v87 offset0:2 offset1:4
	ds_read2st64_b64 v[30:33], v88 offset0:2 offset1:4
	s_waitcnt lgkmcnt(1)
	v_mfma_f32_16x16x16_bf16 a[0:3], v[34:35], v[26:27], a[0:3]
	ds_read_b64 v[26:27], v87 offset:3072
	ds_read_b64 v[40:41], v88 offset:3072
	s_waitcnt lgkmcnt(2)
	v_mfma_f32_16x16x16_bf16 a[4:7], v[34:35], v[30:31], a[4:7]
	v_ashrrev_i32_e32 v30, 31, v42
	v_mul_lo_u32 v31, v42, s15
	v_mul_lo_u32 v30, v30, s14
	v_mfma_f32_16x16x16_bf16 a[0:3], v[36:37], v[28:29], a[0:3]
	v_mad_u64_u32 v[28:29], s[24:25], v42, s14, 0
	v_add3_u32 v29, v29, v31, v30
	v_add_u32_e32 v30, 1, v42
	v_ashrrev_i32_e32 v31, 31, v30
	v_mfma_f32_16x16x16_bf16 a[4:7], v[36:37], v[32:33], a[4:7]
	v_mul_lo_u32 v31, v31, s14
	v_mul_lo_u32 v32, v30, s15
	v_lshl_add_u64 v[28:29], v[28:29], 2, s[42:43]
	s_waitcnt lgkmcnt(1)
	v_mfma_f32_16x16x16_bf16 a[0:3], v[38:39], v[26:27], a[0:3]
	v_mad_u64_u32 v[26:27], s[24:25], v30, s14, 0
	v_add_u32_e32 v30, 2, v42
	v_add3_u32 v27, v27, v32, v31
	v_ashrrev_i32_e32 v31, 31, v30
	v_mul_lo_u32 v32, v31, s14
	v_mul_lo_u32 v33, v30, s15
	v_mad_u64_u32 v[30:31], s[24:25], v30, s14, 0
	v_add3_u32 v31, v31, v33, v32
	v_add_u32_e32 v32, 3, v42
	v_ashrrev_i32_e32 v33, 31, v32
	v_mul_lo_u32 v34, v33, s14
	v_mul_lo_u32 v35, v32, s15
	v_mad_u64_u32 v[32:33], s[24:25], v32, s14, 0
	v_add3_u32 v33, v33, v35, v34
	v_lshl_add_u64 v[32:33], v[32:33], 2, s[42:43]
	s_ashr_i32 s25, s57, 31
	v_lshl_add_u64 v[26:27], v[26:27], 2, s[42:43]
	v_lshl_add_u64 v[30:31], v[30:31], 2, s[42:43]
	global_load_dword v34, v[28:29], off
	global_load_dword v35, v[26:27], off
	;; [unrolled: 1-line block ×3, first 2 shown]
	s_nop 0
	global_load_dword v33, v[32:33], off
	s_add_u32 s24, s54, s57
	s_addc_u32 s25, s53, s25
	s_lshl_b64 s[24:25], s[24:25], 8
	v_lshl_add_u64 v[26:27], v[56:57], 0, s[24:25]
	v_lshl_add_u64 v[26:27], v[26:27], 0, v[54:55]
	global_load_ushort v37, v[26:27], off
	global_load_ushort v42, v[26:27], off offset:256
	global_load_ushort v43, v[26:27], off offset:800
	global_load_ushort v44, v[26:27], off offset:768
	global_load_ushort v45, v[26:27], off offset:544
	global_load_ushort v46, v[26:27], off offset:512
	global_load_ushort v47, v[26:27], off offset:288
	global_load_ushort v48, v[26:27], off offset:32
	s_load_dword s24, s[44:45], 0x0
	s_waitcnt lgkmcnt(0)
	v_mfma_f32_16x16x16_bf16 a[4:7], v[38:39], v[40:41], a[4:7]
	v_accvgpr_read_b32 v31, a1
	v_accvgpr_read_b32 v27, a3
	;; [unrolled: 1-line block ×4, first 2 shown]
	s_and_b64 vcc, exec, s[0:1]
	s_waitcnt vmcnt(11)
	v_sub_f32_e32 v32, s24, v34
	s_waitcnt vmcnt(10)
	v_sub_f32_e32 v40, s24, v35
	;; [unrolled: 2-line block ×4, first 2 shown]
	v_exp_f32_e32 v32, v32
	v_exp_f32_e32 v33, v40
	;; [unrolled: 1-line block ×4, first 2 shown]
	s_waitcnt vmcnt(6)
	v_lshlrev_b32_e32 v35, 16, v42
	v_lshlrev_b32_e32 v34, 16, v37
	s_waitcnt vmcnt(4)
	v_lshlrev_b32_e32 v37, 16, v44
	s_waitcnt vmcnt(2)
	v_lshlrev_b32_e32 v36, 16, v46
	v_pk_add_f32 v[30:31], v[34:35], v[30:31] neg_lo:[0,1] neg_hi:[0,1]
	v_pk_add_f32 v[26:27], v[36:37], v[26:27] neg_lo:[0,1] neg_hi:[0,1]
	v_pk_mul_f32 v[30:31], v[32:33], v[30:31]
	v_pk_mul_f32 v[26:27], v[40:41], v[26:27]
	s_waitcnt vmcnt(1)
	v_lshlrev_b32_e32 v39, 16, v47
	v_perm_b32 v27, v27, v26, s3
	v_perm_b32 v26, v31, v30, s3
	v_accvgpr_read_b32 v31, a5
	s_waitcnt vmcnt(0)
	v_lshlrev_b32_e32 v38, 16, v48
	v_accvgpr_read_b32 v30, a4
	v_pk_add_f32 v[30:31], v[38:39], v[30:31] neg_lo:[0,1] neg_hi:[0,1]
	v_accvgpr_read_b32 v29, a7
	v_accvgpr_read_b32 v28, a6
	v_pk_mul_f32 v[30:31], v[32:33], v[30:31]
	v_lshlrev_b32_e32 v33, 16, v43
	v_lshlrev_b32_e32 v32, 16, v45
	v_pk_add_f32 v[28:29], v[32:33], v[28:29] neg_lo:[0,1] neg_hi:[0,1]
	v_mov_b32_e32 v32, 0
	v_pk_mul_f32 v[28:29], v[40:41], v[28:29]
	v_mov_b32_e32 v33, 0
	v_perm_b32 v29, v29, v28, s3
	v_perm_b32 v28, v31, v30, s3
	ds_write2_b64 v74, v[26:27], v[28:29] offset1:16
	v_mov_b32_e32 v26, 0
	v_mov_b32_e32 v27, 0
	;; [unrolled: 1-line block ×14, first 2 shown]
	s_cbranch_vccnz .LBB262_14
; %bb.13:                               ;   in Loop: Header=BB262_6 Depth=1
	s_and_b32 s29, s29, 0xffff
	s_mov_b32 s31, s27
	buffer_load_dwordx4 v[38:41], v92, s[28:31], 0 offen
	buffer_load_dwordx4 v[30:33], v92, s[28:31], s60 offen
	buffer_load_dwordx4 v[34:37], v93, s[28:31], 0 offen
	buffer_load_dwordx4 v[26:29], v93, s[28:31], s60 offen
	v_mov_b32_e32 v115, v68
	v_mov_b32_e32 v116, v67
.LBB262_14:                             ;   in Loop: Header=BB262_6 Depth=1
	s_waitcnt lgkmcnt(0)
	s_barrier
	ds_read_b64 v[46:47], v96
	ds_read_b64 v[122:123], v91
	;; [unrolled: 1-line block ×5, first 2 shown]
	ds_read_b64 v[136:137], v88 offset:3072
	ds_read2_b64 v[42:45], v87 offset0:16 offset1:128
	s_waitcnt lgkmcnt(5)
	v_mfma_f32_16x16x16_bf16 a[0:3], v[46:47], v[122:123], 0
	s_add_i32 s25, s52, s63
	s_mul_hi_i32 s29, s25, s47
	s_mul_i32 s25, s25, s47
	s_waitcnt lgkmcnt(0)
	v_mfma_f32_16x16x16_bf16 a[4:7], v[46:47], v[42:43], 0
	ds_read_b64 v[46:47], v101
	ds_read2st64_b64 v[48:51], v88 offset0:2 offset1:4
	s_add_u32 s28, s25, s46
	s_addc_u32 s29, s29, s58
	s_lshl_b64 s[28:29], s[28:29], 15
	s_mul_i32 s31, s65, s47
	s_mul_hi_i32 s25, s65, s47
	s_add_u32 s44, s31, s46
	s_waitcnt lgkmcnt(1)
	v_mfma_f32_16x16x16_bf16 a[8:11], v[46:47], v[122:123], 0
	s_addc_u32 s45, s25, s58
	ds_read2st64_b64 v[118:121], v87 offset0:4 offset1:6
	s_lshl_b64 s[44:45], s[44:45], 9
	v_mfma_f32_16x16x16_bf16 a[0:3], v[124:125], v[44:45], a[0:3]
	s_add_u32 s44, s36, s44
	s_addc_u32 s45, s37, s45
	s_waitcnt lgkmcnt(1)
	v_mfma_f32_16x16x16_bf16 a[4:7], v[124:125], v[48:49], a[4:7]
	ds_read_b64 v[124:125], v102
	ds_read_b64 v[132:133], v103
	;; [unrolled: 1-line block ×3, first 2 shown]
	v_mfma_f32_16x16x16_bf16 a[12:15], v[46:47], v[42:43], 0
	s_waitcnt lgkmcnt(2)
	v_mfma_f32_16x16x16_bf16 a[8:11], v[124:125], v[44:45], a[8:11]
	global_load_dwordx4 v[42:45], v100, s[44:45]
	v_mfma_f32_16x16x16_bf16 a[12:15], v[124:125], v[48:49], a[12:15]
	global_load_dwordx4 v[46:49], v95, s[44:45]
	ds_read2st64_b64 v[122:125], v89 offset1:8
	s_waitcnt lgkmcnt(0)
	v_mov_b32_e32 v130, v122
	v_mfma_f32_16x16x16_bf16 a[0:3], v[126:127], v[118:119], a[0:3]
	v_mov_b32_e32 v131, v123
	v_mfma_f32_16x16x16_bf16 a[4:7], v[126:127], v[50:51], a[4:7]
	ds_read2st64_b64 v[126:129], v90 offset1:8
	v_mfma_f32_16x16x16_bf16 a[8:11], v[132:133], v[118:119], a[8:11]
	v_lshl_add_u64 v[118:119], v[58:59], 0, s[28:29]
	v_mfma_f32_16x16x16_bf16 a[16:19], v[132:133], v[50:51], a[12:15]
	v_add_co_u32_e32 v50, vcc, s21, v118
	s_waitcnt lgkmcnt(0)
	v_mov_b32_e32 v132, v126
	v_mfma_f32_16x16x16_bf16 a[0:3], v[134:135], v[120:121], a[0:3]
	v_mov_b32_e32 v133, v127
	v_mov_b32_e32 v126, v124
	;; [unrolled: 1-line block ×3, first 2 shown]
	v_mfma_f32_16x16x16_bf16 a[4:7], v[134:135], v[136:137], a[4:7]
	v_addc_co_u32_e32 v51, vcc, 0, v119, vcc
	global_store_dwordx4 v[50:51], v[126:129], off
	v_mfma_f32_16x16x16_bf16 a[12:15], v[138:139], v[120:121], a[8:11]
	s_and_b64 vcc, exec, s[0:1]
	global_store_dwordx4 v[118:119], v[130:133], off
	s_waitcnt vmcnt(3)
	v_mov_b32_e32 v52, v45
	v_mfma_f32_16x16x16_bf16 a[8:11], v[138:139], v[136:137], a[16:19]
	v_mov_b32_e32 v51, v44
	v_mov_b32_e32 v50, v43
	s_cbranch_vccnz .LBB262_16
; %bb.15:                               ;   in Loop: Header=BB262_6 Depth=1
	v_lshrrev_b32_e32 v43, 3, v115
	v_and_b32_e32 v43, 6, v43
	v_xor_b32_e32 v44, v43, v116
	v_lshlrev_b32_e32 v44, 2, v44
	v_and_b32_e32 v45, 8, v115
	v_xor_b32_e32 v115, 0x440, v44
	v_cmp_eq_u32_e32 vcc, 0, v45
	v_perm_b32 v45, v30, v26, s61
	s_nop 0
	v_cndmask_b32_e32 v44, v115, v44, vcc
	v_lshl_or_b32 v43, v43, 10, v44
	v_perm_b32 v44, v38, v34, s61
	s_barrier
	ds_write2st64_b32 v43, v44, v45 offset0:32 offset1:64
	v_xor_b32_e32 v44, 8, v43
	v_perm_b32 v34, v38, v34, s62
	v_perm_b32 v26, v30, v26, s62
	v_add_u32_e32 v30, 0x80, v44
	ds_write2st64_b32 v30, v34, v26 offset0:32 offset1:64
	v_xor_b32_e32 v26, 16, v43
	v_perm_b32 v30, v39, v35, s61
	v_perm_b32 v34, v31, v27, s61
	ds_write2st64_b32 v26, v30, v34 offset0:33 offset1:65
	v_xor_b32_e32 v26, 24, v43
	v_perm_b32 v30, v39, v35, s62
	v_perm_b32 v27, v31, v27, s62
	v_add_u32_e32 v26, 0x80, v26
	ds_write2st64_b32 v26, v30, v27 offset0:33 offset1:65
	v_xor_b32_e32 v26, 32, v43
	v_perm_b32 v27, v40, v36, s61
	v_perm_b32 v30, v32, v28, s61
	;; [unrolled: 9-line block ×3, first 2 shown]
	ds_write2st64_b32 v26, v27, v28 offset0:35 offset1:67
	v_xor_b32_e32 v26, 56, v43
	v_perm_b32 v27, v41, v37, s62
	v_perm_b32 v28, v33, v29, s62
	v_add_u32_e32 v26, 0x80, v26
	ds_write2st64_b32 v26, v27, v28 offset0:35 offset1:67
	ds_write_b64 v114, v[22:23] offset:24576
	v_xor_b32_e32 v22, 8, v114
	ds_write_b64 v22, v[24:25] offset:24576
	ds_write_b64 v114, v[18:19] offset:32768
	;; [unrolled: 1-line block ×4, first 2 shown]
	v_xor_b32_e32 v14, 8, v113
	ds_write_b64 v14, v[16:17] offset:24576
	ds_write_b64 v113, v[10:11] offset:32768
	;; [unrolled: 1-line block ×3, first 2 shown]
.LBB262_16:                             ;   in Loop: Header=BB262_6 Depth=1
	v_exp_f32_e32 v26, s24
	s_waitcnt vmcnt(2)
	v_exp_f32_e32 v28, v46
	v_exp_f32_e32 v29, v47
	;; [unrolled: 1-line block ×4, first 2 shown]
	v_accvgpr_read_b32 v21, a3
	v_accvgpr_read_b32 v19, a1
	;; [unrolled: 1-line block ×4, first 2 shown]
	v_pk_mul_f32 v[28:29], v[26:27], v[28:29] op_sel_hi:[0,1]
	v_accvgpr_read_b32 v20, a2
	v_accvgpr_read_b32 v11, a5
	;; [unrolled: 1-line block ×3, first 2 shown]
	v_pk_fma_f32 v[2:3], v[2:3], v[28:29], v[18:19]
	v_pk_mul_f32 v[18:19], v[26:27], v[30:31] op_sel_hi:[0,1]
	v_pk_fma_f32 v[4:5], v[4:5], v[18:19], v[20:21]
	v_fma_f32 v105, v105, v28, v10
	v_fma_f32 v106, v106, v29, v11
	v_exp_f32_e32 v10, v42
	v_exp_f32_e32 v11, v50
	;; [unrolled: 1-line block ×4, first 2 shown]
	v_accvgpr_read_b32 v12, a6
	v_accvgpr_read_b32 v25, a15
	;; [unrolled: 1-line block ×9, first 2 shown]
	v_fma_f32 v107, v107, v18, v12
	v_fmac_f32_e32 v13, v112, v19
	v_pk_mul_f32 v[10:11], v[26:27], v[10:11] op_sel_hi:[0,1]
	v_pk_mul_f32 v[18:19], v[26:27], v[20:21] op_sel_hi:[0,1]
	s_add_i32 s57, s57, 64
	v_pk_fma_f32 v[6:7], v[6:7], v[10:11], v[22:23]
	v_pk_fma_f32 v[8:9], v[8:9], v[18:19], v[24:25]
	v_fma_f32 v108, v108, v10, v14
	v_fma_f32 v109, v109, v11, v15
	;; [unrolled: 1-line block ×3, first 2 shown]
	s_cmp_eq_u32 s51, s64
	v_fmac_f32_e32 v17, v111, v19
	s_cbranch_scc1 .LBB262_18
; %bb.17:                               ;   in Loop: Header=BB262_6 Depth=1
	s_mov_b32 s63, s64
	v_mov_b32_e32 v112, v13
	v_mov_b32_e32 v111, v17
	s_branch .LBB262_6
.LBB262_18:
	v_mov_b32_e32 v16, v110
	v_mov_b32_e32 v15, v109
	;; [unrolled: 1-line block ×6, first 2 shown]
.LBB262_19:
	s_lshl_b32 s3, s51, 6
	s_sub_i32 s56, s56, s3
	s_cmp_gt_i32 s56, 0
	v_or_b32_e32 v34, s2, v63
	s_cbranch_scc1 .LBB262_21
; %bb.20:
	s_ashr_i32 s29, s46, 31
	v_or_b32_e32 v35, s2, v63
	s_cbranch_execz .LBB262_22
	s_branch .LBB262_86
.LBB262_21:
                                        ; implicit-def: $vgpr35
                                        ; implicit-def: $sgpr28_sgpr29
.LBB262_22:
	s_add_i32 s28, s3, s38
	s_ashr_i32 s3, s28, 31
	s_cmpk_lg_i32 s19, 0x80
	s_cselect_b64 s[42:43], -1, 0
	s_and_b64 vcc, exec, s[42:43]
	s_cbranch_vccz .LBB262_24
; %bb.23:
	s_mul_hi_i32 s0, s28, s18
	s_mul_i32 s1, s28, s18
	s_ashr_i32 s18, s55, 31
	s_add_u32 s44, s1, s55
	s_addc_u32 s45, s0, s18
	s_cbranch_execz .LBB262_25
	s_branch .LBB262_26
.LBB262_24:
                                        ; implicit-def: $sgpr44_sgpr45
.LBB262_25:
	s_mul_i32 s1, s55, s16
	s_mul_hi_i32 s0, s55, s16
	s_add_u32 s44, s1, s28
	s_addc_u32 s45, s0, s3
.LBB262_26:
	s_add_i32 s16, s51, s52
	s_ashr_i32 s29, s46, 31
	s_add_u32 s0, s54, s28
	v_lshlrev_b32_e32 v22, 5, v1
	v_lshlrev_b32_e32 v40, 2, v63
	s_addc_u32 s1, s53, s3
	s_mov_b32 s3, 0x7060302
	v_or_b32_e32 v25, v22, v40
	v_xor_b32_e32 v23, v1, v40
	v_perm_b32 v19, v5, v4, s3
	v_perm_b32 v18, v3, v2, s3
	;; [unrolled: 1-line block ×4, first 2 shown]
	v_lshlrev_b32_e32 v25, 1, v25
	v_xor_b32_e32 v24, v66, v40
	ds_write2st64_b64 v25, v[18:19], v[20:21] offset0:80 offset1:88
	v_lshlrev_b32_e32 v23, 1, v23
	v_lshlrev_b32_e32 v25, 8, v63
	s_lshl_b64 s[30:31], s[0:1], 8
	v_or_b32_e32 v26, v23, v25
	v_lshlrev_b32_e32 v24, 1, v24
	s_add_u32 s0, s6, s30
	ds_write_b64 v26, v[18:19]
	v_or_b32_e32 v18, v24, v25
	s_addc_u32 s1, s7, s31
	ds_write_b64 v18, v[20:21]
	v_perm_b32 v19, v13, v12, s3
	v_perm_b32 v18, v11, v10, s3
	;; [unrolled: 1-line block ×4, first 2 shown]
	v_or_b32_e32 v25, 16, v63
	s_mul_hi_i32 s3, s16, s17
	s_mul_i32 s16, s16, s17
	v_lshlrev_b32_e32 v37, 2, v25
	s_add_u32 s6, s16, s46
	v_or_b32_e32 v22, v22, v37
	s_addc_u32 s7, s3, s29
	v_lshlrev_b32_e32 v22, 1, v22
	s_ashr_i32 s3, s2, 31
	s_lshl_b64 s[6:7], s[6:7], 15
	ds_write2st64_b64 v22, v[18:19], v[20:21] offset0:80 offset1:88
	v_lshlrev_b32_e32 v22, 8, v25
	s_add_u32 s6, s40, s6
	v_or_b32_e32 v23, v23, v22
	s_addc_u32 s7, s41, s7
	s_lshl_b64 s[2:3], s[2:3], 8
	ds_write_b64 v23, v[18:19]
	v_or_b32_e32 v18, v24, v22
	s_add_u32 s2, s6, s2
	ds_write_b64 v18, v[20:21]
	v_lshrrev_b32_e32 v18, 4, v0
	s_addc_u32 s3, s7, s3
	v_lshlrev_b32_e32 v19, 1, v63
	v_lshlrev_b32_e32 v26, 4, v63
	v_mov_b32_e32 v27, 0
	v_or_b32_e32 v20, 1, v19
	v_xor_b32_e32 v19, v18, v19
	v_lshl_add_u64 v[28:29], s[2:3], 0, v[26:27]
	v_lshlrev_b32_e32 v26, 8, v18
	v_xor_b32_e32 v22, v20, v18
	v_lshl_or_b32 v18, v19, 3, v26
	s_waitcnt lgkmcnt(0)
	s_barrier
	ds_read2st64_b64 v[18:21], v18 offset1:8
	v_lshl_or_b32 v22, v22, 3, v26
	ds_read2st64_b64 v[22:25], v22 offset1:8
	v_lshl_add_u64 v[30:31], v[28:29], 0, v[26:27]
	s_movk_i32 s2, 0x1000
	s_waitcnt lgkmcnt(1)
	v_mov_b32_e32 v26, v18
	v_add_co_u32_e32 v18, vcc, s2, v30
	s_cmp_lg_u32 s56, 64
	v_mov_b32_e32 v27, v19
	v_addc_co_u32_e32 v19, vcc, 0, v31, vcc
	s_cselect_b64 s[6:7], -1, 0
	v_lshl_or_b32 v35, v53, 3, v65
	s_waitcnt lgkmcnt(0)
	v_mov_b32_e32 v28, v22
	v_mov_b32_e32 v29, v23
	v_mov_b32_e32 v22, v20
	v_mov_b32_e32 v23, v21
	s_mov_b32 s24, 0
	v_or_b32_e32 v38, 32, v35
	v_and_b32_e32 v36, 56, v64
	s_and_b64 vcc, exec, s[6:7]
	global_store_dwordx4 v[30:31], v[26:29], off
	global_store_dwordx4 v[18:19], v[22:25], off
	s_cbranch_vccz .LBB262_32
; %bb.27:
	s_mov_b32 s25, s24
	s_mov_b32 s26, s24
	;; [unrolled: 1-line block ×3, first 2 shown]
	v_mov_b64_e32 v[22:23], s[24:25]
	v_mov_b64_e32 v[24:25], s[26:27]
	;; [unrolled: 1-line block ×3, first 2 shown]
	v_cmp_gt_i32_e32 vcc, s56, v35
	v_mov_b64_e32 v[20:21], v[24:25]
	s_and_saveexec_b64 s[2:3], vcc
	s_cbranch_execz .LBB262_29
; %bb.28:
	v_lshlrev_b32_e32 v18, 8, v35
	v_mov_b32_e32 v19, 0
	v_lshl_add_u64 v[20:21], s[0:1], 0, v[18:19]
	v_lshlrev_b32_e32 v18, 1, v36
	v_lshl_add_u64 v[26:27], v[20:21], 0, v[18:19]
	global_load_dwordx4 v[22:25], v[26:27], off
	global_load_dwordx4 v[18:21], v[26:27], off offset:128
.LBB262_29:
	s_or_b64 exec, exec, s[2:3]
	s_mov_b32 s26, s24
	s_mov_b32 s27, s24
	s_mov_b32 s25, s24
	v_mov_b64_e32 v[32:33], s[26:27]
	v_mov_b64_e32 v[30:31], s[24:25]
	;; [unrolled: 1-line block ×3, first 2 shown]
	v_cmp_gt_i32_e32 vcc, s56, v38
	v_lshlrev_b32_e32 v39, 7, v38
	v_mov_b64_e32 v[28:29], v[32:33]
	s_and_saveexec_b64 s[2:3], vcc
	s_cbranch_execz .LBB262_31
; %bb.30:
	v_lshlrev_b32_e32 v26, 1, v39
	v_mov_b32_e32 v27, 0
	v_lshl_add_u64 v[28:29], s[0:1], 0, v[26:27]
	v_lshlrev_b32_e32 v26, 1, v36
	v_lshl_add_u64 v[42:43], v[28:29], 0, v[26:27]
	global_load_dwordx4 v[30:33], v[42:43], off
	global_load_dwordx4 v[26:29], v[42:43], off offset:128
.LBB262_31:
	s_or_b64 exec, exec, s[2:3]
	v_lshrrev_b32_e32 v41, 3, v36
	v_lshlrev_b32_e32 v42, 3, v35
	v_or_b32_e32 v41, v42, v41
	v_lshlrev_b32_e32 v41, 4, v41
	v_and_b32_e32 v42, 0x78, v42
	v_xor_b32_e32 v41, v41, v42
	s_branch .LBB262_34
.LBB262_32:
                                        ; implicit-def: $vgpr41
                                        ; implicit-def: $vgpr39
                                        ; implicit-def: $vgpr22_vgpr23_vgpr24_vgpr25
                                        ; implicit-def: $vgpr18_vgpr19_vgpr20_vgpr21
                                        ; implicit-def: $vgpr30_vgpr31_vgpr32_vgpr33
                                        ; implicit-def: $vgpr26_vgpr27_vgpr28_vgpr29
	s_cbranch_execz .LBB262_34
; %bb.33:
	s_waitcnt vmcnt(0)
	v_lshlrev_b32_e32 v18, 1, v36
	v_lshl_or_b32 v39, v35, 8, v18
	s_and_b32 s1, s1, 0xffff
	s_mov_b32 s3, 0x20000
	s_movk_i32 s2, 0x4000
	v_lshl_or_b32 v41, v38, 8, v18
	s_movk_i32 s16, 0x80
	buffer_load_dwordx4 v[22:25], v39, s[0:3], 0 offen
	buffer_load_dwordx4 v[18:21], v39, s[0:3], s16 offen
	;; [unrolled: 1-line block ×4, first 2 shown]
	v_lshrrev_b32_e32 v39, 3, v36
	v_lshlrev_b32_e32 v41, 3, v35
	v_or_b32_e32 v39, v41, v39
	v_lshlrev_b32_e32 v39, 4, v39
	v_and_b32_e32 v41, 0x78, v41
	v_xor_b32_e32 v41, v39, v41
	v_lshlrev_b32_e32 v39, 7, v38
.LBB262_34:
	s_lshl_b64 s[0:1], s[44:45], 8
	s_add_u32 s4, s4, s0
	s_movk_i32 s0, 0x1000
	v_and_or_b32 v38, v39, s0, v41
	s_waitcnt vmcnt(1)
	ds_write_b64 v41, v[22:23] offset:24576
	v_xor_b32_e32 v22, 8, v41
	ds_write_b64 v22, v[24:25] offset:24576
	s_waitcnt vmcnt(0)
	ds_write_b64 v41, v[18:19] offset:32768
	ds_write_b64 v22, v[20:21] offset:32768
	;; [unrolled: 1-line block ×3, first 2 shown]
	v_xor_b32_e32 v18, 8, v38
	ds_write_b64 v18, v[32:33] offset:24576
	ds_write_b64 v38, v[26:27] offset:32768
	;; [unrolled: 1-line block ×3, first 2 shown]
	v_or_b32_e32 v18, v60, v63
	v_lshlrev_b32_e32 v18, 3, v18
	v_lshrrev_b32_e32 v19, 5, v61
	s_movk_i32 s18, 0xf8
	v_and_or_b32 v19, v18, s18, v19
	v_lshlrev_b32_e32 v23, 4, v19
	v_lshlrev_b32_e32 v41, 11, v53
	v_and_b32_e32 v24, 0x78, v18
	v_or_b32_e32 v26, 32, v23
	v_and_b32_e32 v22, 0x1000, v41
	v_lshrrev_b32_e32 v19, 1, v61
	v_xor_b32_e32 v26, v26, v24
	v_xor_b32_e32 v18, v23, v24
	v_and_b32_e32 v25, 8, v19
	v_or_b32_e32 v26, v26, v22
	v_or_b32_e32 v18, v18, v22
	v_xor_b32_e32 v45, v26, v25
	v_or_b32_e32 v26, 64, v23
	v_xor_b32_e32 v44, v18, v25
	v_xor_b32_e32 v26, v26, v24
	s_waitcnt lgkmcnt(0)
	s_barrier
	v_or_b32_e32 v28, v26, v22
	ds_read_b64 v[26:27], v44 offset:24576
	v_lshl_or_b32 v38, v62, 7, v40
	v_lshlrev_b32_e32 v42, 1, v38
	v_add_u32_e32 v18, 0xa000, v42
	ds_read2_b64 v[18:21], v18 offset1:16
	v_or_b32_e32 v23, 0x60, v23
	v_xor_b32_e32 v23, v23, v24
	s_waitcnt lgkmcnt(0)
	v_mfma_f32_16x16x16_bf16 a[0:3], v[26:27], v[18:19], 0
	v_or_b32_e32 v18, 64, v38
	v_or_b32_e32 v22, v23, v22
	v_lshlrev_b32_e32 v43, 1, v18
	v_xor_b32_e32 v46, v28, v25
	v_xor_b32_e32 v47, v22, v25
	ds_read_b64 v[28:29], v45 offset:24576
	ds_read_b64 v[30:31], v46 offset:24576
	;; [unrolled: 1-line block ×3, first 2 shown]
	v_mfma_f32_16x16x16_bf16 a[4:7], v[26:27], v[20:21], 0
	ds_read2st64_b64 v[18:21], v43 offset0:82 offset1:84
	ds_read2st64_b64 v[22:25], v42 offset0:82 offset1:84
	s_addc_u32 s5, s5, s1
	s_add_i32 s16, s39, -1
	s_add_i32 s0, s49, s48
	s_add_i32 s21, s0, s50
	s_mul_i32 s0, s46, s23
	s_mul_hi_u32 s1, s46, s22
	s_ashr_i32 s2, s16, 31
	s_mul_i32 s3, s16, s15
	s_mul_hi_u32 s18, s16, s14
	s_add_i32 s0, s1, s0
	s_mul_i32 s1, s29, s22
	s_add_i32 s3, s18, s3
	s_mul_i32 s2, s2, s14
	s_waitcnt lgkmcnt(1)
	v_mfma_f32_16x16x16_bf16 a[4:7], v[28:29], v[18:19], a[4:7]
	s_add_i32 s1, s0, s1
	s_add_i32 s3, s3, s2
	s_lshl_b64 s[20:21], s[20:21], 2
	s_waitcnt lgkmcnt(0)
	v_mfma_f32_16x16x16_bf16 a[0:3], v[28:29], v[22:23], a[0:3]
	s_mul_i32 s0, s46, s22
	s_add_u32 s10, s10, s20
	s_addc_u32 s11, s11, s21
	s_lshl_b64 s[0:1], s[0:1], 2
	s_mul_i32 s2, s16, s14
	s_add_u32 s10, s10, s0
	ds_read_b64 v[18:19], v42 offset:44032
	v_mfma_f32_16x16x16_bf16 a[4:7], v[30:31], v[20:21], a[4:7]
	ds_read_b64 v[20:21], v43 offset:44032
	s_addc_u32 s11, s11, s1
	s_lshl_b64 s[0:1], s[2:3], 2
	v_mfma_f32_16x16x16_bf16 a[0:3], v[30:31], v[24:25], a[0:3]
	s_add_u32 s0, s10, s0
	s_addc_u32 s1, s11, s1
	s_load_dword s18, s[0:1], 0x0
	s_waitcnt lgkmcnt(0)
	v_mfma_f32_16x16x16_bf16 a[0:3], v[32:33], v[18:19], a[0:3]
	s_and_b64 vcc, exec, s[42:43]
	v_mfma_f32_16x16x16_bf16 a[4:7], v[32:33], v[20:21], a[4:7]
	s_cbranch_vccz .LBB262_45
; %bb.35:
	v_lshlrev_b32_e32 v38, 1, v35
	s_and_b64 vcc, exec, s[6:7]
	s_cbranch_vccz .LBB262_46
; %bb.36:
	v_cmp_gt_i32_e32 vcc, s56, v38
	v_mov_b32_e32 v22, 0
	v_mov_b32_e32 v18, 0
	v_mov_b32_e32 v19, 0
	v_mov_b32_e32 v20, 0
	v_mov_b32_e32 v21, 0
	s_and_saveexec_b64 s[0:1], vcc
	s_cbranch_execz .LBB262_38
; %bb.37:
	v_mad_i64_i32 v[18:19], s[2:3], s19, v38, 0
	v_lshl_add_u64 v[18:19], v[18:19], 1, s[4:5]
	v_lshlrev_b32_e32 v20, 1, v36
	v_mov_b32_e32 v21, 0
	v_lshl_add_u64 v[18:19], v[18:19], 0, v[20:21]
	global_load_dwordx4 v[18:21], v[18:19], off
.LBB262_38:
	s_or_b64 exec, exec, s[0:1]
	v_or_b32_e32 v39, 1, v38
	v_cmp_gt_i32_e64 s[0:1], s56, v39
	v_mov_b32_e32 v23, 0
	v_mov_b32_e32 v24, 0
	;; [unrolled: 1-line block ×3, first 2 shown]
	s_and_saveexec_b64 s[2:3], s[0:1]
	s_cbranch_execz .LBB262_40
; %bb.39:
	v_mad_i64_i32 v[22:23], s[20:21], s19, v39, 0
	v_lshl_add_u64 v[22:23], v[22:23], 1, s[4:5]
	v_lshlrev_b32_e32 v24, 1, v36
	v_mov_b32_e32 v25, 0
	v_lshl_add_u64 v[22:23], v[22:23], 0, v[24:25]
	global_load_dwordx4 v[22:25], v[22:23], off
.LBB262_40:
	s_or_b64 exec, exec, s[2:3]
	v_mov_b32_e32 v33, 0
	v_mov_b32_e32 v26, 0
	;; [unrolled: 1-line block ×5, first 2 shown]
	s_and_saveexec_b64 s[2:3], vcc
	s_cbranch_execz .LBB262_42
; %bb.41:
	v_mad_i64_i32 v[26:27], s[20:21], s19, v38, 0
	v_lshl_add_u64 v[26:27], v[26:27], 1, s[4:5]
	v_lshlrev_b32_e32 v28, 1, v36
	v_mov_b32_e32 v29, 0
	v_lshl_add_u64 v[26:27], v[26:27], 0, v[28:29]
	global_load_dwordx4 v[26:29], v[26:27], off offset:128
.LBB262_42:
	s_or_b64 exec, exec, s[2:3]
	v_mov_b32_e32 v32, 0
	v_mov_b32_e32 v31, 0
	;; [unrolled: 1-line block ×3, first 2 shown]
	s_and_saveexec_b64 s[2:3], s[0:1]
	s_cbranch_execz .LBB262_44
; %bb.43:
	v_mad_i64_i32 v[30:31], s[0:1], s19, v39, 0
	v_lshl_add_u64 v[30:31], v[30:31], 1, s[4:5]
	v_lshlrev_b32_e32 v32, 1, v36
	v_mov_b32_e32 v33, 0
	v_lshl_add_u64 v[30:31], v[30:31], 0, v[32:33]
	global_load_dwordx4 v[30:33], v[30:31], off offset:128
.LBB262_44:
	s_or_b64 exec, exec, s[2:3]
	s_branch .LBB262_48
.LBB262_45:
                                        ; implicit-def: $vgpr21
                                        ; implicit-def: $vgpr25
                                        ; implicit-def: $vgpr29
                                        ; implicit-def: $vgpr33
	v_lshrrev_b32_e32 v48, 2, v61
	s_branch .LBB262_49
.LBB262_46:
                                        ; implicit-def: $vgpr21
                                        ; implicit-def: $vgpr25
                                        ; implicit-def: $vgpr29
                                        ; implicit-def: $vgpr33
	s_cbranch_execz .LBB262_48
; %bb.47:
	s_waitcnt vmcnt(0)
	v_mad_u64_u32 v[18:19], s[0:1], v38, s19, v[36:37]
	v_lshlrev_b32_e32 v38, 1, v18
	s_lshl_b32 s2, s19, 7
	s_and_b32 s1, s5, 0xffff
	s_mov_b32 s3, 0x20000
	s_mov_b32 s0, s4
	v_add_lshl_u32 v39, v18, s19, 1
	s_movk_i32 s19, 0x80
	buffer_load_dwordx4 v[18:21], v38, s[0:3], 0 offen
	buffer_load_dwordx4 v[26:29], v38, s[0:3], s19 offen
	buffer_load_dwordx4 v[22:25], v39, s[0:3], 0 offen
	buffer_load_dwordx4 v[30:33], v39, s[0:3], s19 offen
.LBB262_48:
	v_lshrrev_b32_e32 v48, 2, v61
	s_cbranch_execnz .LBB262_61
.LBB262_49:
	s_and_b64 vcc, exec, s[6:7]
	s_cbranch_vccz .LBB262_59
; %bb.50:
	s_waitcnt vmcnt(0)
	v_lshlrev_b32_e32 v23, 1, v35
	v_cmp_gt_i32_e32 vcc, s56, v23
	v_mov_b32_e32 v22, 0
	v_lshlrev_b32_e32 v30, 9, v35
	v_mov_b32_e32 v18, 0
	v_mov_b32_e32 v19, 0
	;; [unrolled: 1-line block ×4, first 2 shown]
	s_and_saveexec_b64 s[0:1], vcc
	s_cbranch_execz .LBB262_52
; %bb.51:
	v_mov_b32_e32 v31, 0
	v_lshl_add_u64 v[18:19], s[4:5], 0, v[30:31]
	v_lshlrev_b32_e32 v20, 1, v36
	v_mov_b32_e32 v21, v31
	v_lshl_add_u64 v[18:19], v[18:19], 0, v[20:21]
	global_load_dwordx4 v[18:21], v[18:19], off
.LBB262_52:
	s_or_b64 exec, exec, s[0:1]
	v_or_b32_e32 v23, 1, v23
	v_cmp_gt_i32_e64 s[0:1], s56, v23
	v_lshlrev_b32_e32 v38, 8, v23
	v_mov_b32_e32 v23, 0
	v_mov_b32_e32 v24, 0
	v_mov_b32_e32 v25, 0
	s_and_saveexec_b64 s[2:3], s[0:1]
	s_cbranch_execz .LBB262_54
; %bb.53:
	v_mov_b32_e32 v39, 0
	v_lshl_add_u64 v[22:23], s[4:5], 0, v[38:39]
	v_lshlrev_b32_e32 v24, 1, v36
	v_mov_b32_e32 v25, v39
	v_lshl_add_u64 v[22:23], v[22:23], 0, v[24:25]
	global_load_dwordx4 v[22:25], v[22:23], off
.LBB262_54:
	s_or_b64 exec, exec, s[2:3]
	v_mov_b32_e32 v33, 0
	v_mov_b32_e32 v26, 0
	;; [unrolled: 1-line block ×5, first 2 shown]
	s_and_saveexec_b64 s[2:3], vcc
	s_cbranch_execz .LBB262_56
; %bb.55:
	v_mov_b32_e32 v31, 0
	v_lshl_add_u64 v[26:27], s[4:5], 0, v[30:31]
	v_lshlrev_b32_e32 v30, 1, v36
	v_lshl_add_u64 v[26:27], v[26:27], 0, v[30:31]
	global_load_dwordx4 v[26:29], v[26:27], off offset:128
.LBB262_56:
	s_or_b64 exec, exec, s[2:3]
	v_mov_b32_e32 v32, 0
	v_mov_b32_e32 v31, 0
	v_mov_b32_e32 v30, 0
	s_and_saveexec_b64 s[2:3], s[0:1]
	s_cbranch_execz .LBB262_58
; %bb.57:
	v_mov_b32_e32 v39, 0
	v_lshl_add_u64 v[30:31], s[4:5], 0, v[38:39]
	v_lshlrev_b32_e32 v38, 1, v36
	v_lshl_add_u64 v[30:31], v[30:31], 0, v[38:39]
	global_load_dwordx4 v[30:33], v[30:31], off offset:128
.LBB262_58:
	s_or_b64 exec, exec, s[2:3]
	s_branch .LBB262_61
.LBB262_59:
                                        ; implicit-def: $vgpr21
                                        ; implicit-def: $vgpr25
                                        ; implicit-def: $vgpr29
                                        ; implicit-def: $vgpr33
	s_cbranch_execz .LBB262_61
; %bb.60:
	s_waitcnt vmcnt(0)
	v_lshlrev_b32_e32 v18, 1, v36
	v_lshl_or_b32 v36, v35, 9, v18
	s_and_b32 s5, s5, 0xffff
	s_mov_b32 s7, 0x20000
	s_movk_i32 s6, 0x4000
	s_movk_i32 s0, 0x80
	buffer_load_dwordx4 v[18:21], v36, s[4:7], 0 offen
	buffer_load_dwordx4 v[22:25], v36, s[4:7], 0 offen offset:256
	buffer_load_dwordx4 v[26:29], v36, s[4:7], s0 offen
	buffer_load_dwordx4 v[30:33], v36, s[4:7], s0 offen offset:256
.LBB262_61:
	ds_read_b64 v[38:39], v44 offset:32768
	v_add_u32_e32 v36, 0xb000, v42
	ds_read2_b64 v[54:57], v36 offset1:16
	ds_read_b64 v[50:51], v45 offset:32768
	ds_read_b64 v[58:59], v46 offset:32768
	;; [unrolled: 1-line block ×3, first 2 shown]
	ds_read2st64_b64 v[44:47], v42 offset0:90 offset1:92
	v_and_b32_e32 v36, 12, v48
	v_and_b32_e32 v48, 6, v0
	v_xor_b32_e32 v35, v35, v48
	v_lshlrev_b32_e32 v35, 2, v35
	s_mov_b32 s0, 0x1000504
	s_waitcnt lgkmcnt(4)
	v_mfma_f32_16x16x16_bf16 a[0:3], v[38:39], v[54:55], a[0:3]
	s_mov_b32 s1, 0x3020706
	v_mfma_f32_16x16x16_bf16 a[4:7], v[38:39], v[56:57], a[4:7]
	ds_read2st64_b64 v[54:57], v43 offset0:90 offset1:92
	s_waitcnt lgkmcnt(1)
	v_mfma_f32_16x16x16_bf16 a[0:3], v[50:51], v[44:45], a[0:3]
	ds_read_b64 v[38:39], v42 offset:48128
	ds_read_b64 v[44:45], v43 offset:48128
	s_waitcnt lgkmcnt(2)
	v_mfma_f32_16x16x16_bf16 a[4:7], v[50:51], v[54:55], a[4:7]
	v_mfma_f32_16x16x16_bf16 a[0:3], v[58:59], v[46:47], a[0:3]
	v_and_b32_e32 v46, 1, v0
	v_xor_b32_e32 v47, 0x440, v35
	v_cmp_eq_u32_e32 vcc, 0, v46
	v_mfma_f32_16x16x16_bf16 a[8:11], v[58:59], v[56:57], a[4:7]
	s_nop 0
	v_cndmask_b32_e32 v35, v47, v35, vcc
	v_lshl_or_b32 v35, v48, 10, v35
	s_waitcnt lgkmcnt(1)
	v_mfma_f32_16x16x16_bf16 a[4:7], v[62:63], v[38:39], a[0:3]
	s_waitcnt vmcnt(0)
	v_perm_b32 v38, v18, v22, s0
	v_perm_b32 v39, v26, v30, s0
	ds_write2st64_b32 v35, v38, v39 offset0:32 offset1:64
	v_xor_b32_e32 v38, 8, v35
	v_perm_b32 v18, v18, v22, s1
	v_perm_b32 v22, v26, v30, s1
	v_add_u32_e32 v26, 0x80, v38
	ds_write2st64_b32 v26, v18, v22 offset0:32 offset1:64
	v_xor_b32_e32 v18, 16, v35
	v_perm_b32 v22, v19, v23, s0
	v_perm_b32 v26, v27, v31, s0
	ds_write2st64_b32 v18, v22, v26 offset0:33 offset1:65
	v_xor_b32_e32 v18, 24, v35
	v_perm_b32 v19, v19, v23, s1
	v_perm_b32 v22, v27, v31, s1
	v_add_u32_e32 v18, 0x80, v18
	ds_write2st64_b32 v18, v19, v22 offset0:33 offset1:65
	v_xor_b32_e32 v18, 32, v35
	v_perm_b32 v19, v20, v24, s0
	v_perm_b32 v22, v28, v32, s0
	ds_write2st64_b32 v18, v19, v22 offset0:34 offset1:66
	v_xor_b32_e32 v18, 40, v35
	s_waitcnt lgkmcnt(5)
	v_mfma_f32_16x16x16_bf16 a[0:3], v[62:63], v[44:45], a[8:11]
	v_perm_b32 v19, v20, v24, s1
	v_perm_b32 v20, v28, v32, s1
	v_add_u32_e32 v18, 0x80, v18
	ds_write2st64_b32 v18, v19, v20 offset0:34 offset1:66
	v_xor_b32_e32 v18, 48, v35
	v_perm_b32 v19, v21, v25, s0
	v_perm_b32 v20, v29, v33, s0
	ds_write2st64_b32 v18, v19, v20 offset0:35 offset1:67
	v_xor_b32_e32 v18, 56, v35
	v_or_b32_e32 v32, v36, v60
	v_perm_b32 v19, v21, v25, s1
	v_perm_b32 v20, v29, v33, s1
	v_add_u32_e32 v18, 0x80, v18
	v_cmp_gt_i32_e32 vcc, s56, v32
	v_mov_b32_e32 v33, 0
	v_mov_b32_e32 v39, 0
	ds_write2st64_b32 v18, v19, v20 offset0:35 offset1:67
	s_and_saveexec_b64 s[0:1], vcc
	s_cbranch_execz .LBB262_63
; %bb.62:
	v_add_u32_e32 v18, s28, v32
	v_ashrrev_i32_e32 v19, 31, v18
	v_mul_lo_u32 v20, v19, s14
	v_mul_lo_u32 v21, v18, s15
	v_mad_u64_u32 v[18:19], s[2:3], v18, s14, 0
	v_add3_u32 v19, v19, v21, v20
	v_lshl_add_u64 v[18:19], v[18:19], 2, s[10:11]
	global_load_dword v18, v[18:19], off
	s_waitcnt vmcnt(0)
	v_sub_f32_e32 v18, s18, v18
	v_exp_f32_e32 v39, v18
.LBB262_63:
	s_or_b64 exec, exec, s[0:1]
	v_or_b32_e32 v24, 1, v32
	v_cmp_gt_i32_e64 s[0:1], s56, v24
	s_and_saveexec_b64 s[2:3], s[0:1]
	s_cbranch_execz .LBB262_65
; %bb.64:
	v_add_u32_e32 v18, s28, v24
	v_ashrrev_i32_e32 v19, 31, v18
	v_mul_lo_u32 v20, v19, s14
	v_mul_lo_u32 v21, v18, s15
	v_mad_u64_u32 v[18:19], s[4:5], v18, s14, 0
	v_add3_u32 v19, v19, v21, v20
	v_lshl_add_u64 v[18:19], v[18:19], 2, s[10:11]
	global_load_dword v18, v[18:19], off
	s_waitcnt vmcnt(0)
	v_sub_f32_e32 v18, s18, v18
	v_exp_f32_e32 v33, v18
.LBB262_65:
	s_or_b64 exec, exec, s[2:3]
	v_or_b32_e32 v25, 2, v32
	v_cmp_gt_i32_e64 s[2:3], s56, v25
	v_mov_b32_e32 v38, 0
	v_mov_b32_e32 v44, 0
	s_and_saveexec_b64 s[4:5], s[2:3]
	s_cbranch_execz .LBB262_67
; %bb.66:
	v_add_u32_e32 v18, s28, v25
	v_ashrrev_i32_e32 v19, 31, v18
	v_mul_lo_u32 v20, v19, s14
	v_mul_lo_u32 v21, v18, s15
	v_mad_u64_u32 v[18:19], s[6:7], v18, s14, 0
	v_add3_u32 v19, v19, v21, v20
	v_lshl_add_u64 v[18:19], v[18:19], 2, s[10:11]
	global_load_dword v18, v[18:19], off
	s_waitcnt vmcnt(0)
	v_sub_f32_e32 v18, s18, v18
	v_exp_f32_e32 v44, v18
.LBB262_67:
	s_or_b64 exec, exec, s[4:5]
	v_or_b32_e32 v45, 3, v32
	v_cmp_gt_i32_e64 s[4:5], s56, v45
	s_and_saveexec_b64 s[6:7], s[4:5]
	s_cbranch_execz .LBB262_69
; %bb.68:
	v_add_u32_e32 v18, s28, v45
	v_ashrrev_i32_e32 v19, 31, v18
	v_mul_lo_u32 v20, v19, s14
	v_mul_lo_u32 v21, v18, s15
	v_mad_u64_u32 v[18:19], s[14:15], v18, s14, 0
	v_add3_u32 v19, v19, v21, v20
	v_lshl_add_u64 v[18:19], v[18:19], 2, s[10:11]
	global_load_dword v18, v[18:19], off
	s_waitcnt vmcnt(0)
	v_sub_f32_e32 v18, s18, v18
	v_exp_f32_e32 v38, v18
.LBB262_69:
	s_or_b64 exec, exec, s[6:7]
	s_add_u32 s6, s8, s30
	v_accvgpr_read_b32 v21, a7
	s_addc_u32 s7, s9, s31
	v_ashrrev_i32_e32 v35, 31, v34
	v_accvgpr_read_b32 v20, a6
	v_accvgpr_read_b32 v19, a5
	;; [unrolled: 1-line block ×3, first 2 shown]
	v_lshl_add_u64 v[22:23], v[34:35], 1, s[6:7]
	v_mov_b32_e32 v29, 0
	v_lshlrev_b32_e32 v26, 8, v32
	v_mov_b32_e32 v27, 0
	s_and_saveexec_b64 s[6:7], vcc
	s_cbranch_execz .LBB262_71
; %bb.70:
	v_mov_b32_e32 v27, 0
	v_lshl_add_u64 v[30:31], v[22:23], 0, v[26:27]
	global_load_ushort v27, v[30:31], off
	s_waitcnt vmcnt(0)
	v_lshlrev_b32_e32 v27, 16, v27
	v_sub_f32_e32 v18, v27, v18
	v_mul_f32_e32 v18, v39, v18
	v_lshrrev_b32_e32 v27, 16, v18
.LBB262_71:
	s_or_b64 exec, exec, s[6:7]
	v_lshlrev_b32_e32 v28, 8, v24
	s_and_saveexec_b64 s[6:7], s[0:1]
	s_cbranch_execz .LBB262_73
; %bb.72:
	v_mov_b32_e32 v29, 0
	v_lshl_add_u64 v[30:31], v[22:23], 0, v[28:29]
	global_load_ushort v18, v[30:31], off
	s_waitcnt vmcnt(0)
	v_lshlrev_b32_e32 v18, 16, v18
	v_sub_f32_e32 v18, v18, v19
	v_mul_f32_e32 v18, v33, v18
	v_lshrrev_b32_e32 v29, 16, v18
.LBB262_73:
	s_or_b64 exec, exec, s[6:7]
	v_mov_b32_e32 v46, 0
	v_lshlrev_b32_e32 v30, 8, v25
	v_mov_b32_e32 v31, 0
	s_and_saveexec_b64 s[6:7], s[2:3]
	s_cbranch_execz .LBB262_75
; %bb.74:
	v_mov_b32_e32 v31, 0
	v_lshl_add_u64 v[18:19], v[22:23], 0, v[30:31]
	global_load_ushort v18, v[18:19], off
	s_waitcnt vmcnt(0)
	v_lshlrev_b32_e32 v18, 16, v18
	v_sub_f32_e32 v18, v18, v20
	v_mul_f32_e32 v18, v44, v18
	v_lshrrev_b32_e32 v31, 16, v18
.LBB262_75:
	s_or_b64 exec, exec, s[6:7]
	v_lshlrev_b32_e32 v24, 8, v45
	s_and_saveexec_b64 s[6:7], s[4:5]
	s_cbranch_execz .LBB262_77
; %bb.76:
	v_mov_b32_e32 v25, 0
	v_lshl_add_u64 v[18:19], v[22:23], 0, v[24:25]
	global_load_ushort v18, v[18:19], off
	s_waitcnt vmcnt(0)
	v_lshlrev_b32_e32 v18, 16, v18
	v_sub_f32_e32 v18, v18, v21
	v_mul_f32_e32 v18, v38, v18
	v_lshrrev_b32_e32 v46, 16, v18
.LBB262_77:
	s_or_b64 exec, exec, s[6:7]
	v_lshlrev_b32_e32 v35, 5, v32
	v_accvgpr_read_b32 v21, a3
	s_mov_b32 s6, 0x5040100
	v_or_b32_e32 v25, v35, v40
	v_accvgpr_read_b32 v20, a2
	v_accvgpr_read_b32 v19, a1
	v_accvgpr_read_b32 v18, a0
	v_perm_b32 v47, v46, v31, s6
	v_perm_b32 v46, v29, v27, s6
	v_lshlrev_b32_e32 v25, 1, v25
	v_mov_b32_e32 v29, 0
	v_mov_b32_e32 v27, 0
	ds_write_b64 v25, v[46:47] offset:45056
	s_and_saveexec_b64 s[6:7], vcc
	s_cbranch_execz .LBB262_79
; %bb.78:
	v_mov_b32_e32 v27, 0
	v_lshl_add_u64 v[26:27], v[22:23], 0, v[26:27]
	global_load_ushort v25, v[26:27], off offset:32
	s_waitcnt vmcnt(0)
	v_lshlrev_b32_e32 v25, 16, v25
	v_sub_f32_e32 v18, v25, v18
	v_mul_f32_e32 v18, v39, v18
	v_lshrrev_b32_e32 v27, 16, v18
.LBB262_79:
	s_or_b64 exec, exec, s[6:7]
	s_and_saveexec_b64 s[6:7], s[0:1]
	s_cbranch_execz .LBB262_81
; %bb.80:
	v_mov_b32_e32 v29, 0
	v_lshl_add_u64 v[28:29], v[22:23], 0, v[28:29]
	global_load_ushort v18, v[28:29], off offset:32
	s_waitcnt vmcnt(0)
	v_lshlrev_b32_e32 v18, 16, v18
	v_sub_f32_e32 v18, v18, v19
	v_mul_f32_e32 v18, v33, v18
	v_lshrrev_b32_e32 v29, 16, v18
.LBB262_81:
	s_or_b64 exec, exec, s[6:7]
	v_mov_b32_e32 v25, 0
	v_mov_b32_e32 v26, 0
	s_and_saveexec_b64 s[0:1], s[2:3]
	s_cbranch_execz .LBB262_83
; %bb.82:
	v_mov_b32_e32 v31, 0
	v_lshl_add_u64 v[18:19], v[22:23], 0, v[30:31]
	global_load_ushort v18, v[18:19], off offset:32
	s_waitcnt vmcnt(0)
	v_lshlrev_b32_e32 v18, 16, v18
	v_sub_f32_e32 v18, v18, v20
	v_mul_f32_e32 v18, v44, v18
	v_lshrrev_b32_e32 v26, 16, v18
.LBB262_83:
	s_or_b64 exec, exec, s[0:1]
	v_or_b32_e32 v19, 0xb000, v42
	v_or_b32_e32 v18, 0xb000, v43
	s_and_saveexec_b64 s[0:1], s[4:5]
	s_cbranch_execz .LBB262_85
; %bb.84:
	v_mov_b32_e32 v25, 0
	v_lshl_add_u64 v[22:23], v[22:23], 0, v[24:25]
	global_load_ushort v20, v[22:23], off offset:32
	s_waitcnt vmcnt(0)
	v_lshlrev_b32_e32 v20, 16, v20
	v_sub_f32_e32 v20, v20, v21
	v_mul_f32_e32 v20, v38, v20
	v_lshrrev_b32_e32 v25, 16, v20
.LBB262_85:
	s_or_b64 exec, exec, s[0:1]
	s_mov_b32 s0, 0x5040100
	v_or_b32_e32 v22, v35, v37
	v_perm_b32 v21, v25, v26, s0
	v_perm_b32 v20, v29, v27, s0
	v_lshlrev_b32_e32 v22, 1, v22
	s_movk_i32 s2, 0x100
	ds_write_b64 v22, v[20:21] offset:45056
	v_and_b32_e32 v20, 7, v0
	v_and_b32_e32 v21, 8, v0
	v_cmp_gt_u32_e32 vcc, s2, v0
	v_lshrrev_b32_e32 v0, 1, v0
	v_lshlrev_b32_e32 v26, 3, v20
	v_lshlrev_b32_e32 v35, 7, v20
	v_mov_b32_e32 v20, 0x4000
	v_mov_b32_e32 v22, 0x2000
	v_lshlrev_b32_e32 v24, 3, v53
	v_and_b32_e32 v0, 24, v0
	v_cndmask_b32_e32 v27, v20, v22, vcc
	v_xor_b32_e32 v20, v24, v0
	v_or_b32_e32 v22, 0x440, v20
	v_cmp_eq_u32_e32 vcc, 0, v21
	v_or_b32_e32 v28, 32, v0
	v_xor_b32_e32 v28, v24, v28
	v_cndmask_b32_e32 v20, v22, v20, vcc
	v_or_b32_e32 v20, v20, v41
	v_xor_b32_e32 v37, v20, v26
	v_or_b32_e32 v29, 0x440, v28
	v_add3_u32 v25, v27, v37, v35
	v_cndmask_b32_e32 v28, v29, v28, vcc
	v_or_b32_e32 v29, 64, v0
	v_or_b32_e32 v0, 0x60, v0
	s_waitcnt lgkmcnt(0)
	s_barrier
	v_xor_b32_e32 v29, v24, v29
	v_xor_b32_e32 v0, v24, v0
	ds_read_b64 v[24:25], v25
	v_xor_b32_e32 v30, 0x440, v29
	ds_read2_b64 v[20:23], v19 offset1:16
	v_cndmask_b32_e32 v29, v30, v29, vcc
	v_xor_b32_e32 v30, 0x440, v0
	v_or_b32_e32 v28, v28, v41
	v_or_b32_e32 v29, v29, v41
	v_cndmask_b32_e32 v0, v30, v0, vcc
	v_xor_b32_e32 v50, v28, v26
	v_xor_b32_e32 v51, v29, v26
	v_or_b32_e32 v0, v0, v41
	v_add3_u32 v28, v27, v50, v35
	v_add3_u32 v29, v27, v51, v35
	v_xor_b32_e32 v52, v0, v26
	s_mul_i32 s0, s16, s17
	v_add3_u32 v0, v27, v52, v35
	ds_read_b64 v[26:27], v28
	ds_read_b64 v[42:43], v29
	;; [unrolled: 1-line block ×3, first 2 shown]
	ds_read2st64_b64 v[28:31], v19 offset0:2 offset1:4
	s_mul_hi_i32 s1, s16, s17
	ds_read2st64_b64 v[38:41], v18 offset0:2 offset1:4
	s_add_u32 s0, s0, s46
	s_waitcnt lgkmcnt(5)
	v_mfma_f32_16x16x16_bf16 a[0:3], v[24:25], v[20:21], 0
	s_addc_u32 s1, s1, s29
	s_lshl_b64 s[0:1], s[0:1], 9
	s_add_u32 s0, s36, s0
	v_mfma_f32_16x16x16_bf16 a[4:7], v[24:25], v[22:23], 0
	s_addc_u32 s1, s37, s1
	v_lshlrev_b32_e32 v0, 2, v32
	s_waitcnt lgkmcnt(1)
	v_mfma_f32_16x16x16_bf16 a[0:3], v[26:27], v[28:29], a[0:3]
	s_waitcnt lgkmcnt(0)
	v_mfma_f32_16x16x16_bf16 a[4:7], v[26:27], v[38:39], a[4:7]
	global_load_dwordx4 v[24:27], v0, s[0:1]
	ds_read_b64 v[32:33], v19 offset:3072
	ds_read_b64 v[48:49], v18 offset:3072
	v_lshlrev_b32_e32 v0, 6, v53
	v_lshlrev_b32_e32 v18, 2, v36
	v_or3_b32 v0, v0, v18, s2
	v_mfma_f32_16x16x16_bf16 a[0:3], v[42:43], v[30:31], a[0:3]
	v_add_u32_e32 v36, v37, v35
	s_waitcnt vmcnt(0)
	v_exp_f32_e32 v18, v24
	v_mfma_f32_16x16x16_bf16 a[4:7], v[42:43], v[40:41], a[4:7]
	global_load_dwordx4 v[42:45], v0, s[0:1]
	v_exp_f32_e32 v19, v25
	ds_read_b64 v[24:25], v36 offset:16384
	s_waitcnt lgkmcnt(2)
	v_mfma_f32_16x16x16_bf16 a[0:3], v[46:47], v[32:33], a[0:3]
	v_exp_f32_e32 v0, s18
	v_add_u32_e32 v36, v50, v35
	v_add_u32_e32 v50, v51, v35
	s_waitcnt lgkmcnt(1)
	v_mfma_f32_16x16x16_bf16 a[4:7], v[46:47], v[48:49], a[4:7]
	v_pk_mul_f32 v[54:55], v[0:1], v[18:19] op_sel_hi:[0,1]
	v_add_u32_e32 v35, v52, v35
	ds_read_b64 v[46:47], v36 offset:16384
	ds_read_b64 v[50:51], v50 offset:16384
	;; [unrolled: 1-line block ×3, first 2 shown]
	v_accvgpr_read_b32 v19, a1
	v_accvgpr_read_b32 v37, a3
	;; [unrolled: 1-line block ×4, first 2 shown]
	s_waitcnt lgkmcnt(3)
	v_mfma_f32_16x16x16_bf16 a[0:3], v[24:25], v[22:23], 0
	v_exp_f32_e32 v26, v26
	v_exp_f32_e32 v27, v27
	v_pk_fma_f32 v[18:19], v[2:3], v[54:55], v[18:19]
	v_mfma_f32_16x16x16_bf16 a[8:11], v[24:25], v[20:21], 0
	v_mov_b32_e32 v35, v34
	v_pk_mul_f32 v[2:3], v[0:1], v[26:27] op_sel_hi:[0,1]
	v_pk_fma_f32 v[20:21], v[4:5], v[2:3], v[36:37]
	s_waitcnt lgkmcnt(2)
	v_mfma_f32_16x16x16_bf16 a[0:3], v[46:47], v[38:39], a[0:3]
	v_accvgpr_read_b32 v4, a4
	v_fma_f32 v26, v10, v54, v4
	v_accvgpr_read_b32 v4, a5
	v_mfma_f32_16x16x16_bf16 a[8:11], v[46:47], v[28:29], a[8:11]
	v_fma_f32 v27, v11, v55, v4
	v_accvgpr_read_b32 v4, a6
	v_accvgpr_read_b32 v29, a7
	s_waitcnt lgkmcnt(1)
	v_mfma_f32_16x16x16_bf16 a[0:3], v[50:51], v[40:41], a[0:3]
	v_fma_f32 v28, v12, v2, v4
	v_fmac_f32_e32 v29, v13, v3
	s_waitcnt vmcnt(0)
	v_mov_b32_e32 v2, v43
	v_mfma_f32_16x16x16_bf16 a[8:11], v[50:51], v[30:31], a[8:11]
	v_mov_b32_e32 v3, v44
	v_mov_b32_e32 v4, v45
	v_exp_f32_e32 v10, v42
	v_exp_f32_e32 v11, v2
	;; [unrolled: 1-line block ×4, first 2 shown]
	s_waitcnt lgkmcnt(0)
	v_mfma_f32_16x16x16_bf16 a[0:3], v[52:53], v[48:49], a[0:3]
	v_pk_mul_f32 v[10:11], v[0:1], v[10:11] op_sel_hi:[0,1]
	v_pk_mul_f32 v[2:3], v[0:1], v[2:3] op_sel_hi:[0,1]
	v_mfma_f32_16x16x16_bf16 a[4:7], v[52:53], v[32:33], a[8:11]
	s_nop 3
	v_accvgpr_read_b32 v0, a0
	v_fma_f32 v30, v14, v10, v0
	v_accvgpr_read_b32 v0, a1
	v_fma_f32 v31, v15, v11, v0
	v_accvgpr_read_b32 v13, a5
	v_accvgpr_read_b32 v5, a7
	;; [unrolled: 1-line block ×6, first 2 shown]
	v_pk_fma_f32 v[22:23], v[6:7], v[10:11], v[12:13]
	v_pk_fma_f32 v[24:25], v[8:9], v[2:3], v[4:5]
	v_fma_f32 v32, v16, v2, v0
	v_fmac_f32_e32 v33, v17, v3
	v_mov_b64_e32 v[2:3], v[18:19]
	v_mov_b64_e32 v[4:5], v[20:21]
	;; [unrolled: 1-line block ×8, first 2 shown]
.LBB262_86:
	s_mul_i32 s0, s47, s35
	s_mul_hi_u32 s1, s47, s34
	s_add_i32 s0, s1, s0
	s_mul_i32 s1, s33, s34
	s_add_i32 s1, s0, s1
	s_mul_i32 s0, s47, s34
	s_add_u32 s0, s0, s46
	s_addc_u32 s1, s1, s29
	s_lshl_b64 s[0:1], s[0:1], 15
	s_add_u32 s0, s12, s0
	v_lshlrev_b32_e32 v18, 7, v35
	s_addc_u32 s1, s13, s1
	v_ashrrev_i32_e32 v19, 31, v18
	v_lshl_add_u64 v[20:21], v[18:19], 1, s[0:1]
	v_lshlrev_b32_e32 v0, 1, v1
	v_mov_b32_e32 v1, 0
	s_mov_b32 s2, 0x7060302
	v_lshl_add_u64 v[20:21], v[20:21], 0, v[0:1]
	v_perm_b32 v5, v5, v4, s2
	v_perm_b32 v4, v3, v2, s2
	;; [unrolled: 1-line block ×4, first 2 shown]
	global_store_dwordx2 v[20:21], v[2:3], off offset:128
	v_or_b32_e32 v2, 0x800, v18
	v_ashrrev_i32_e32 v3, 31, v2
	v_lshl_add_u64 v[2:3], v[2:3], 1, s[0:1]
	v_lshl_add_u64 v[0:1], v[2:3], 0, v[0:1]
	v_perm_b32 v3, v13, v12, s2
	v_perm_b32 v2, v11, v10, s2
	global_store_dwordx2 v[0:1], v[2:3], off
	v_perm_b32 v3, v17, v16, s2
	v_perm_b32 v2, v15, v14, s2
	global_store_dwordx2 v[20:21], v[4:5], off
	global_store_dwordx2 v[0:1], v[2:3], off offset:128
	s_endpgm
	.section	.rodata,"a",@progbits
	.p2align	6, 0x0
	.amdhsa_kernel _ZN12_GLOBAL__N_139chunk_gated_delta_rule_fwd_h_hip_kernelILi32ELb0ELb1ELb0ELb1ELb1ELb1ELb1ELb1EEEvPK12hip_bfloat16S3_S3_PKfS5_PKvPS1_S8_PvPKiSB_iiiiilll
		.amdhsa_group_segment_fixed_size 49152
		.amdhsa_private_segment_fixed_size 0
		.amdhsa_kernarg_size 136
		.amdhsa_user_sgpr_count 2
		.amdhsa_user_sgpr_dispatch_ptr 0
		.amdhsa_user_sgpr_queue_ptr 0
		.amdhsa_user_sgpr_kernarg_segment_ptr 1
		.amdhsa_user_sgpr_dispatch_id 0
		.amdhsa_user_sgpr_kernarg_preload_length 0
		.amdhsa_user_sgpr_kernarg_preload_offset 0
		.amdhsa_user_sgpr_private_segment_size 0
		.amdhsa_uses_dynamic_stack 0
		.amdhsa_enable_private_segment 0
		.amdhsa_system_sgpr_workgroup_id_x 1
		.amdhsa_system_sgpr_workgroup_id_y 1
		.amdhsa_system_sgpr_workgroup_id_z 0
		.amdhsa_system_sgpr_workgroup_info 0
		.amdhsa_system_vgpr_workitem_id 0
		.amdhsa_next_free_vgpr 160
		.amdhsa_next_free_sgpr 66
		.amdhsa_accum_offset 140
		.amdhsa_reserve_vcc 1
		.amdhsa_float_round_mode_32 0
		.amdhsa_float_round_mode_16_64 0
		.amdhsa_float_denorm_mode_32 3
		.amdhsa_float_denorm_mode_16_64 3
		.amdhsa_dx10_clamp 1
		.amdhsa_ieee_mode 1
		.amdhsa_fp16_overflow 0
		.amdhsa_tg_split 0
		.amdhsa_exception_fp_ieee_invalid_op 0
		.amdhsa_exception_fp_denorm_src 0
		.amdhsa_exception_fp_ieee_div_zero 0
		.amdhsa_exception_fp_ieee_overflow 0
		.amdhsa_exception_fp_ieee_underflow 0
		.amdhsa_exception_fp_ieee_inexact 0
		.amdhsa_exception_int_div_zero 0
	.end_amdhsa_kernel
	.section	.text._ZN12_GLOBAL__N_139chunk_gated_delta_rule_fwd_h_hip_kernelILi32ELb0ELb1ELb0ELb1ELb1ELb1ELb1ELb1EEEvPK12hip_bfloat16S3_S3_PKfS5_PKvPS1_S8_PvPKiSB_iiiiilll,"axG",@progbits,_ZN12_GLOBAL__N_139chunk_gated_delta_rule_fwd_h_hip_kernelILi32ELb0ELb1ELb0ELb1ELb1ELb1ELb1ELb1EEEvPK12hip_bfloat16S3_S3_PKfS5_PKvPS1_S8_PvPKiSB_iiiiilll,comdat
.Lfunc_end262:
	.size	_ZN12_GLOBAL__N_139chunk_gated_delta_rule_fwd_h_hip_kernelILi32ELb0ELb1ELb0ELb1ELb1ELb1ELb1ELb1EEEvPK12hip_bfloat16S3_S3_PKfS5_PKvPS1_S8_PvPKiSB_iiiiilll, .Lfunc_end262-_ZN12_GLOBAL__N_139chunk_gated_delta_rule_fwd_h_hip_kernelILi32ELb0ELb1ELb0ELb1ELb1ELb1ELb1ELb1EEEvPK12hip_bfloat16S3_S3_PKfS5_PKvPS1_S8_PvPKiSB_iiiiilll
                                        ; -- End function
	.section	.AMDGPU.csdata,"",@progbits
; Kernel info:
; codeLenInByte = 9632
; NumSgprs: 72
; NumVgprs: 140
; NumAgprs: 20
; TotalNumVgprs: 160
; ScratchSize: 0
; MemoryBound: 0
; FloatMode: 240
; IeeeMode: 1
; LDSByteSize: 49152 bytes/workgroup (compile time only)
; SGPRBlocks: 8
; VGPRBlocks: 19
; NumSGPRsForWavesPerEU: 72
; NumVGPRsForWavesPerEU: 160
; AccumOffset: 140
; Occupancy: 1
; WaveLimiterHint : 1
; COMPUTE_PGM_RSRC2:SCRATCH_EN: 0
; COMPUTE_PGM_RSRC2:USER_SGPR: 2
; COMPUTE_PGM_RSRC2:TRAP_HANDLER: 0
; COMPUTE_PGM_RSRC2:TGID_X_EN: 1
; COMPUTE_PGM_RSRC2:TGID_Y_EN: 1
; COMPUTE_PGM_RSRC2:TGID_Z_EN: 0
; COMPUTE_PGM_RSRC2:TIDIG_COMP_CNT: 0
; COMPUTE_PGM_RSRC3_GFX90A:ACCUM_OFFSET: 34
; COMPUTE_PGM_RSRC3_GFX90A:TG_SPLIT: 0
	.section	.text._ZN12_GLOBAL__N_139chunk_gated_delta_rule_fwd_h_hip_kernelILi32ELb0ELb0ELb1ELb1ELb1ELb1ELb1ELb1EEEvPK12hip_bfloat16S3_S3_PKfS5_PKvPS1_S8_PvPKiSB_iiiiilll,"axG",@progbits,_ZN12_GLOBAL__N_139chunk_gated_delta_rule_fwd_h_hip_kernelILi32ELb0ELb0ELb1ELb1ELb1ELb1ELb1ELb1EEEvPK12hip_bfloat16S3_S3_PKfS5_PKvPS1_S8_PvPKiSB_iiiiilll,comdat
	.globl	_ZN12_GLOBAL__N_139chunk_gated_delta_rule_fwd_h_hip_kernelILi32ELb0ELb0ELb1ELb1ELb1ELb1ELb1ELb1EEEvPK12hip_bfloat16S3_S3_PKfS5_PKvPS1_S8_PvPKiSB_iiiiilll ; -- Begin function _ZN12_GLOBAL__N_139chunk_gated_delta_rule_fwd_h_hip_kernelILi32ELb0ELb0ELb1ELb1ELb1ELb1ELb1ELb1EEEvPK12hip_bfloat16S3_S3_PKfS5_PKvPS1_S8_PvPKiSB_iiiiilll
	.p2align	8
	.type	_ZN12_GLOBAL__N_139chunk_gated_delta_rule_fwd_h_hip_kernelILi32ELb0ELb0ELb1ELb1ELb1ELb1ELb1ELb1EEEvPK12hip_bfloat16S3_S3_PKfS5_PKvPS1_S8_PvPKiSB_iiiiilll,@function
_ZN12_GLOBAL__N_139chunk_gated_delta_rule_fwd_h_hip_kernelILi32ELb0ELb0ELb1ELb1ELb1ELb1ELb1ELb1EEEvPK12hip_bfloat16S3_S3_PKfS5_PKvPS1_S8_PvPKiSB_iiiiilll: ; @_ZN12_GLOBAL__N_139chunk_gated_delta_rule_fwd_h_hip_kernelILi32ELb0ELb0ELb1ELb1ELb1ELb1ELb1ELb1EEEvPK12hip_bfloat16S3_S3_PKfS5_PKvPS1_S8_PvPKiSB_iiiiilll
; %bb.0:
	s_load_dwordx4 s[16:19], s[0:1], 0x5c
	s_load_dwordx4 s[20:23], s[0:1], 0x70
	s_abs_i32 s25, s3
	s_ashr_i32 s24, s3, 31
	s_load_dwordx4 s[12:15], s[0:1], 0x30
	s_load_dwordx4 s[28:31], s[0:1], 0x48
	s_waitcnt lgkmcnt(0)
	s_abs_i32 s34, s17
	v_cvt_f32_u32_e32 v1, s34
	s_sub_i32 s26, 0, s34
	s_ashr_i32 s35, s17, 31
	s_xor_b32 s24, s24, s35
	v_rcp_iflag_f32_e32 v1, v1
	s_load_dwordx8 s[4:11], s[0:1], 0x0
	v_lshrrev_b32_e32 v63, 6, v0
	v_bfe_u32 v64, v0, 4, 2
	v_mul_f32_e32 v1, 0x4f7ffffe, v1
	v_cvt_u32_f32_e32 v1, v1
	v_lshlrev_b32_e32 v2, 2, v64
	v_and_b32_e32 v62, 63, v0
	v_mov_b32_e32 v5, 0
	v_readfirstlane_b32 s27, v1
	s_mul_i32 s26, s26, s27
	s_mul_hi_u32 s26, s27, s26
	s_add_i32 s27, s27, s26
	s_mul_hi_u32 s26, s25, s27
	s_mul_i32 s27, s26, s34
	s_sub_i32 s25, s25, s27
	s_add_i32 s33, s26, 1
	s_sub_i32 s27, s25, s34
	s_cmp_ge_u32 s25, s34
	s_cselect_b32 s26, s33, s26
	s_cselect_b32 s25, s27, s25
	s_add_i32 s27, s26, 1
	s_cmp_ge_u32 s25, s34
	s_cselect_b32 s25, s27, s26
	s_xor_b32 s25, s25, s24
	s_sub_i32 s24, s25, s24
	s_mul_i32 s25, s24, s17
	s_sub_i32 s33, s3, s25
	s_ashr_i32 s25, s24, 31
	s_lshl_b64 s[26:27], s[24:25], 2
	s_add_u32 s28, s28, s26
	s_addc_u32 s29, s29, s27
	s_add_u32 s26, s30, s26
	s_addc_u32 s27, s31, s27
	s_abs_i32 s3, s18
	v_cvt_f32_u32_e32 v1, s3
	s_load_dwordx2 s[38:39], s[28:29], 0x0
	s_sub_i32 s29, 0, s3
	s_load_dword s48, s[26:27], 0x0
	v_rcp_iflag_f32_e32 v1, v1
	v_and_b32_e32 v45, 15, v0
	s_waitcnt lgkmcnt(0)
	s_sub_i32 s49, s39, s38
	s_ashr_i32 s28, s49, 31
	v_mul_f32_e32 v1, 0x4f7ffffe, v1
	v_cvt_u32_f32_e32 v1, v1
	s_lshr_b32 s28, s28, 26
	s_add_i32 s28, s49, s28
	s_ashr_i32 s47, s28, 6
	v_readfirstlane_b32 s30, v1
	s_mul_i32 s29, s29, s30
	s_mul_hi_u32 s29, s30, s29
	s_add_i32 s30, s30, s29
	s_mul_hi_u32 s29, s34, s30
	s_mul_i32 s30, s29, s3
	s_ashr_i32 s28, s18, 31
	s_sub_i32 s30, s34, s30
	s_xor_b32 s28, s35, s28
	s_add_i32 s31, s29, 1
	s_sub_i32 s34, s30, s3
	s_cmp_ge_u32 s30, s3
	s_cselect_b32 s29, s31, s29
	s_cselect_b32 s30, s34, s30
	s_add_i32 s31, s29, 1
	s_cmp_ge_u32 s30, s3
	s_cselect_b32 s3, s31, s29
	s_xor_b32 s3, s3, s28
	s_sub_i32 s3, s3, s28
	s_abs_i32 s28, s3
	v_cvt_f32_u32_e32 v1, s28
	s_sub_i32 s27, 0, s28
	s_abs_i32 s26, s33
	s_xor_b32 s3, s33, s3
	v_rcp_iflag_f32_e32 v1, v1
	s_ashr_i32 s3, s3, 31
	s_load_dwordx2 s[34:35], s[0:1], 0x80
	s_mul_hi_i32 s50, s33, s16
	v_mul_f32_e32 v1, 0x4f7ffffe, v1
	v_cvt_u32_f32_e32 v1, v1
	s_mul_i32 s51, s33, s16
	v_lshrrev_b32_e32 v66, 3, v62
	v_lshlrev_b32_e32 v65, 3, v0
	v_readfirstlane_b32 s29, v1
	s_mul_i32 s27, s27, s29
	s_mul_hi_u32 s27, s29, s27
	s_add_i32 s29, s29, s27
	s_mul_hi_u32 s27, s26, s29
	s_mul_i32 s29, s27, s28
	s_sub_i32 s26, s26, s29
	s_add_i32 s29, s27, 1
	s_sub_i32 s30, s26, s28
	s_cmp_ge_u32 s26, s28
	s_cselect_b32 s27, s29, s27
	s_cselect_b32 s26, s30, s26
	s_add_i32 s29, s27, 1
	s_cmp_ge_u32 s26, s28
	s_cselect_b32 s26, s29, s27
	s_xor_b32 s26, s26, s3
	v_lshlrev_b32_e32 v1, 4, v63
	s_sub_i32 s52, s26, s3
	v_or_b32_e32 v67, v2, v1
	s_lshl_b32 s36, s2, 5
	v_or_b32_e32 v68, 64, v67
	s_cmp_lt_i32 s49, 64
	s_mul_i32 s44, s24, s21
	s_mul_hi_u32 s45, s24, s20
	s_mul_i32 s46, s25, s20
	s_mul_i32 s20, s24, s20
	v_mov_b32_e32 v86, 0
	v_mov_b32_e32 v84, 0
	;; [unrolled: 1-line block ×15, first 2 shown]
	s_cbranch_scc1 .LBB263_18
; %bb.1:
	s_ashr_i32 s55, s33, 31
	s_ashr_i32 s3, s38, 31
	s_add_u32 s2, s51, s38
	s_addc_u32 s3, s50, s3
	s_lshl_b64 s[2:3], s[2:3], 8
	v_and_b32_e32 v70, 56, v65
	s_add_u32 s24, s6, s2
	v_lshl_or_b32 v69, v63, 3, v66
	v_lshlrev_b32_e32 v3, 1, v70
	s_addc_u32 s2, s7, s3
	v_lshl_or_b32 v71, v69, 8, v3
	s_and_b32 s25, s2, 0xffff
	s_mov_b32 s27, 0x20000
	s_movk_i32 s26, 0x4000
	s_movk_i32 s2, 0x80
	v_or_b32_e32 v72, 0x2000, v71
	buffer_load_dwordx4 v[4:7], v71, s[24:27], 0 offen
	buffer_load_dwordx4 v[8:11], v71, s[24:27], s2 offen
	buffer_load_dwordx4 v[12:15], v72, s[24:27], 0 offen
	buffer_load_dwordx4 v[16:19], v72, s[24:27], s2 offen
	v_lshlrev_b32_e32 v20, 3, v69
	v_and_or_b32 v22, v0, 7, v20
	v_and_b32_e32 v20, 0x78, v20
	v_lshlrev_b32_e32 v22, 4, v22
	v_xor_b32_e32 v73, v22, v20
	v_mul_lo_u32 v21, v69, s19
	v_or_b32_e32 v74, 0x1000, v73
	s_cmpk_eq_i32 s19, 0x80
	s_mov_b32 s53, s17
	s_mov_b32 s54, s38
	v_xor_b32_e32 v20, 8, v73
	v_xor_b32_e32 v22, 8, v74
	s_cselect_b64 s[2:3], -1, 0
	s_cmpk_lg_i32 s19, 0x80
	s_waitcnt vmcnt(3)
	ds_write_b64 v73, v[4:5] offset:24576
	ds_write_b64 v20, v[6:7] offset:24576
	s_waitcnt vmcnt(2)
	ds_write_b64 v73, v[8:9] offset:32768
	ds_write_b64 v20, v[10:11] offset:32768
	;; [unrolled: 3-line block ×4, first 2 shown]
	v_lshl_add_u32 v4, v21, 1, v70
	s_cbranch_scc0 .LBB263_3
; %bb.2:
	v_lshlrev_b32_e32 v6, 1, v4
	v_add_lshl_u32 v5, v4, s19, 1
	s_lshl_b32 s26, s19, 7
	s_load_dwordx2 s[40:41], s[0:1], 0x20
	v_lshl_or_b32 v3, v69, 9, v3
	s_cbranch_execz .LBB263_4
	s_branch .LBB263_5
.LBB263_3:
                                        ; implicit-def: $vgpr5
                                        ; implicit-def: $vgpr6
                                        ; implicit-def: $sgpr26
	s_load_dwordx2 s[40:41], s[0:1], 0x20
	v_lshl_or_b32 v3, v69, 9, v3
.LBB263_4:
	v_or_b32_e32 v5, 0x100, v3
	s_movk_i32 s26, 0x4000
	v_mov_b32_e32 v6, v3
.LBB263_5:
	s_mul_i32 s0, s38, s18
	s_ashr_i32 s56, s52, 31
	s_mul_hi_i32 s1, s38, s18
	s_add_u32 s0, s0, s52
	s_addc_u32 s1, s1, s56
	s_lshl_b64 s[0:1], s[0:1], 8
	s_add_u32 s24, s4, s0
	s_addc_u32 s0, s5, s1
	s_and_b32 s25, s0, 0xffff
	s_movk_i32 s57, 0x80
	buffer_load_dwordx4 v[8:11], v6, s[24:27], 0 offen
	buffer_load_dwordx4 v[12:15], v6, s[24:27], s57 offen
	;; [unrolled: 1-line block ×4, first 2 shown]
	v_and_b32_e32 v5, 6, v0
	v_lshlrev_b32_e32 v24, 6, v67
	v_or_b32_e32 v26, 16, v45
	v_xor_b32_e32 v27, v69, v5
	v_and_b32_e32 v6, 1, v0
	v_lshl_or_b32 v30, v45, 3, v24
	v_lshl_or_b32 v24, v26, 3, v24
	v_lshlrev_b32_e32 v27, 2, v27
	v_lshlrev_b32_e32 v7, 2, v45
	s_mul_i32 s0, s33, s23
	s_mul_hi_u32 s1, s33, s22
	v_or_b32_e32 v77, 0xa000, v24
	v_or_b32_e32 v78, 0xb000, v24
	v_xor_b32_e32 v24, 0x440, v27
	v_cmp_eq_u32_e32 vcc, 0, v6
	s_add_i32 s21, s45, s44
	s_mul_i32 s24, s55, s22
	v_xor_b32_e32 v28, v67, v7
	v_xor_b32_e32 v29, v68, v7
	v_cndmask_b32_e32 v6, v24, v27, vcc
	s_add_i32 s0, s1, s0
	s_add_i32 s21, s21, s46
	s_mov_b32 s58, 0x1000504
	v_lshlrev_b32_e32 v25, 8, v45
	v_lshlrev_b32_e32 v26, 8, v26
	;; [unrolled: 1-line block ×4, first 2 shown]
	v_lshl_or_b32 v5, v5, 10, v6
	s_add_i32 s1, s0, s24
	s_lshl_b64 s[24:25], s[20:21], 2
	s_mov_b32 s59, 0x3020706
	v_or_b32_e32 v75, 0xa000, v30
	v_or_b32_e32 v76, 0xb000, v30
	;; [unrolled: 1-line block ×5, first 2 shown]
	v_xor_b32_e32 v6, 8, v5
	v_xor_b32_e32 v25, 24, v5
	;; [unrolled: 1-line block ×4, first 2 shown]
	s_mul_i32 s0, s33, s22
	s_add_u32 s21, s10, s24
	v_or_b32_e32 v81, v26, v28
	v_xor_b32_e32 v24, 16, v5
	v_xor_b32_e32 v26, 32, v5
	;; [unrolled: 1-line block ×3, first 2 shown]
	v_add_u32_e32 v6, 0x80, v6
	v_add_u32_e32 v25, 0x80, v25
	v_add_u32_e32 v27, 0x80, v27
	v_add_u32_e32 v29, 0x80, v29
	s_addc_u32 s24, s11, s25
	s_lshl_b64 s[0:1], s[0:1], 2
	s_add_u32 s42, s21, s0
	s_movk_i32 s0, 0xf8
	s_addc_u32 s43, s24, s1
	s_ashr_i32 s37, s36, 31
	s_lshl_b32 s30, s19, 7
	s_movk_i32 s24, 0x100
	v_mov_b32_e32 v51, 0
	v_lshlrev_b32_e32 v50, 4, v45
	v_cmp_gt_u32_e32 vcc, s24, v0
	s_mov_b32 s60, 0
	s_movk_i32 s21, 0x1000
	s_movk_i32 s26, 0x4000
	v_add_u32_e32 v102, v1, v2
	v_mov_b32_e32 v52, v51
	v_mov_b32_e32 v53, v51
	;; [unrolled: 1-line block ×13, first 2 shown]
	s_waitcnt vmcnt(1)
	v_perm_b32 v30, v8, v16, s58
	s_waitcnt vmcnt(0)
	v_perm_b32 v31, v12, v20, s58
	v_perm_b32 v8, v8, v16, s59
	;; [unrolled: 1-line block ×15, first 2 shown]
	ds_write2st64_b32 v5, v30, v31 offset0:32 offset1:64
	ds_write2st64_b32 v6, v8, v12 offset0:32 offset1:64
	;; [unrolled: 1-line block ×8, first 2 shown]
	v_or_b32_e32 v5, v1, v45
	v_lshlrev_b32_e32 v5, 3, v5
	v_lshrrev_b32_e32 v8, 5, v62
	v_and_or_b32 v8, v5, s0, v8
	v_lshrrev_b32_e32 v6, 2, v62
	v_lshlrev_b32_e32 v11, 11, v63
	v_lshlrev_b32_e32 v8, 4, v8
	v_and_b32_e32 v5, 0x78, v5
	v_and_b32_e32 v9, 12, v6
	;; [unrolled: 1-line block ×3, first 2 shown]
	v_xor_b32_e32 v10, v8, v5
	v_lshrrev_b32_e32 v12, 1, v62
	v_or_b32_e32 v10, v10, v6
	v_and_b32_e32 v12, 8, v12
	v_xor_b32_e32 v83, v10, v12
	v_or_b32_e32 v10, 32, v8
	v_xor_b32_e32 v10, v10, v5
	v_or_b32_e32 v10, v10, v6
	;; [unrolled: 2-line block ×3, first 2 shown]
	v_or_b32_e32 v8, 0x60, v8
	v_xor_b32_e32 v10, v10, v5
	v_xor_b32_e32 v5, v8, v5
	s_lshl_b64 s[0:1], s[36:37], 8
	v_or_b32_e32 v10, v10, v6
	v_or_b32_e32 v5, v5, v6
	v_lshlrev_b32_e32 v14, 1, v4
	v_add_lshl_u32 v15, v4, s19, 1
	s_add_u32 s0, s12, s0
	v_lshlrev_b32_e32 v4, 1, v45
	v_xor_b32_e32 v93, v10, v12
	v_xor_b32_e32 v94, v5, v12
	v_lshrrev_b32_e32 v10, 4, v0
	s_addc_u32 s1, s13, s1
	v_or_b32_e32 v5, 1, v4
	v_mov_b32_e32 v20, 0x4000
	v_mov_b32_e32 v21, 0x2000
	v_lshrrev_b32_e32 v22, 1, v0
	v_xor_b32_e32 v12, v10, v4
	v_xor_b32_e32 v17, v5, v10
	v_lshl_add_u64 v[4:5], s[0:1], 0, v[50:51]
	v_lshlrev_b32_e32 v50, 8, v10
	v_cndmask_b32_e32 v20, v20, v21, vcc
	v_lshlrev_b32_e32 v21, 3, v63
	v_and_b32_e32 v22, 24, v22
	v_lshl_or_b32 v97, v12, 3, v50
	v_and_b32_e32 v12, 8, v0
	v_xor_b32_e32 v23, v21, v22
	v_or_b32_e32 v24, 0x440, v23
	v_cmp_eq_u32_e32 vcc, 0, v12
	v_and_b32_e32 v10, 7, v0
	v_lshlrev_b32_e32 v13, 7, v64
	v_cndmask_b32_e32 v12, v24, v23, vcc
	v_lshl_or_b32 v98, v17, 3, v50
	v_lshlrev_b32_e32 v17, 3, v10
	v_lshlrev_b32_e32 v19, 2, v0
	v_or_b32_e32 v12, v12, v11
	v_or_b32_e32 v7, v13, v7
	v_xor_b32_e32 v23, v12, v17
	v_and_or_b32 v12, v19, 60, v13
	v_mov_b32_e32 v13, 0xb000
	v_lshl_or_b32 v99, v12, 1, v13
	v_or_b32_e32 v12, 32, v22
	v_xor_b32_e32 v12, v21, v12
	v_or_b32_e32 v13, 0x440, v12
	v_cndmask_b32_e32 v12, v13, v12, vcc
	v_or_b32_e32 v12, v12, v11
	v_xor_b32_e32 v13, v12, v17
	v_or_b32_e32 v12, 64, v22
	v_xor_b32_e32 v12, v21, v12
	v_xor_b32_e32 v25, 0x440, v12
	v_cndmask_b32_e32 v12, v25, v12, vcc
	v_or_b32_e32 v12, v12, v11
	v_xor_b32_e32 v25, v12, v17
	v_or_b32_e32 v12, 0x60, v22
	v_xor_b32_e32 v12, v21, v12
	v_xor_b32_e32 v21, 0x440, v12
	v_cndmask_b32_e32 v12, v21, v12, vcc
	v_lshlrev_b32_e32 v7, 1, v7
	v_or_b32_e32 v6, s36, v45
	v_or_b32_e32 v11, v12, v11
	;; [unrolled: 1-line block ×6, first 2 shown]
	v_ashrrev_i32_e32 v7, 31, v6
	v_xor_b32_e32 v11, v11, v17
	v_lshlrev_b32_e32 v8, 7, v67
	v_or_b32_e32 v16, 0x100, v3
	v_lshlrev_b32_e32 v18, 7, v10
	v_or_b32_e32 v10, v9, v1
	v_add_u32_e32 v24, v20, v23
	v_add_u32_e32 v19, v20, v13
	;; [unrolled: 1-line block ×4, first 2 shown]
	v_or3_b32 v12, v1, v9, 64
	v_add_u32_e32 v9, 0x4000, v23
	v_add_u32_e32 v13, 0x4000, v13
	;; [unrolled: 1-line block ×4, first 2 shown]
	v_lshlrev_b64 v[6:7], 1, v[6:7]
	v_cndmask_b32_e64 v100, v14, v3, s[2:3]
	v_cndmask_b32_e64 v101, v15, v16, s[2:3]
	v_lshl_add_u64 v[56:57], s[8:9], 0, v[6:7]
	v_lshl_add_u64 v[58:59], s[14:15], 0, v[6:7]
	;; [unrolled: 1-line block ×3, first 2 shown]
	s_mov_b32 s37, 0x7060302
	v_lshlrev_b32_e32 v50, 1, v8
	v_lshlrev_b32_e32 v103, 2, v10
	v_add_u32_e32 v104, v24, v18
	v_add_u32_e32 v105, v19, v18
	;; [unrolled: 1-line block ×4, first 2 shown]
	v_lshlrev_b32_e32 v108, 2, v12
	v_add_u32_e32 v109, v9, v18
	v_add_u32_e32 v110, v13, v18
	;; [unrolled: 1-line block ×4, first 2 shown]
	v_mov_b32_e32 v84, v51
	v_mov_b32_e32 v86, v51
	;; [unrolled: 1-line block ×3, first 2 shown]
	s_waitcnt lgkmcnt(0)
	s_barrier
.LBB263_6:                              ; =>This Inner Loop Header: Depth=1
	s_add_i32 s61, s60, 1
	s_cmp_lt_i32 s61, s47
	s_mov_b64 s[28:29], 0
	s_cselect_b64 s[2:3], -1, 0
	s_cmp_ge_i32 s61, s47
	s_mov_b64 s[24:25], 0
	s_cbranch_scc1 .LBB263_8
; %bb.7:                                ;   in Loop: Header=BB263_6 Depth=1
	s_add_i32 s0, s54, 64
	s_ashr_i32 s1, s0, 31
	s_add_u32 s0, s51, s0
	s_addc_u32 s1, s50, s1
	s_lshl_b64 s[0:1], s[0:1], 8
	s_add_u32 s24, s6, s0
	s_addc_u32 s25, s7, s1
.LBB263_8:                              ;   in Loop: Header=BB263_6 Depth=1
	v_cndmask_b32_e64 v2, 0, 1, s[2:3]
	v_cmp_ne_u32_e64 s[0:1], 1, v2
	s_andn2_b64 vcc, exec, s[2:3]
	s_cbranch_vccnz .LBB263_10
; %bb.9:                                ;   in Loop: Header=BB263_6 Depth=1
	s_add_i32 s2, s54, 64
	s_mul_hi_i32 s3, s2, s18
	s_mul_i32 s2, s2, s18
	s_add_u32 s2, s2, s52
	s_addc_u32 s3, s3, s56
	s_lshl_b64 s[2:3], s[2:3], 8
	s_add_u32 s28, s4, s2
	s_addc_u32 s29, s5, s3
.LBB263_10:                             ;   in Loop: Header=BB263_6 Depth=1
	v_perm_b32 v3, v55, v54, s37
	v_perm_b32 v2, v53, v52, s37
	;; [unrolled: 1-line block ×4, first 2 shown]
	ds_write_b64 v75, v[2:3]
	ds_write_b64 v76, v[4:5]
	;; [unrolled: 1-line block ×4, first 2 shown]
	v_perm_b32 v3, v114, v90, s37
	v_perm_b32 v2, v88, v89, s37
	;; [unrolled: 1-line block ×4, first 2 shown]
	ds_write_b64 v77, v[2:3]
	ds_write_b64 v78, v[4:5]
	;; [unrolled: 1-line block ×4, first 2 shown]
	s_waitcnt lgkmcnt(0)
	s_barrier
	ds_read_b64 v[6:7], v83 offset:24576
	ds_read2_b64 v[2:5], v87 offset1:16
	ds_read_b64 v[10:11], v92 offset:3072
	ds_read_b64 v[12:13], v87 offset:3072
	;; [unrolled: 1-line block ×3, first 2 shown]
	s_waitcnt lgkmcnt(3)
	v_mfma_f32_16x16x16_bf16 a[0:3], v[6:7], v[2:3], 0
	s_add_i32 s62, s54, 63
	s_ashr_i32 s2, s62, 31
	s_mul_i32 s3, s62, s35
	v_mfma_f32_16x16x16_bf16 a[4:7], v[6:7], v[4:5], 0
	ds_read2st64_b64 v[2:5], v87 offset0:2 offset1:4
	s_mul_hi_u32 s31, s62, s34
	s_add_i32 s3, s31, s3
	s_waitcnt lgkmcnt(0)
	v_mfma_f32_16x16x16_bf16 a[0:3], v[14:15], v[2:3], a[0:3]
	ds_read2st64_b64 v[6:9], v92 offset0:2 offset1:4
	ds_read_b64 v[2:3], v93 offset:24576
	s_mul_i32 s2, s2, s34
	s_add_i32 s3, s3, s2
	s_waitcnt lgkmcnt(1)
	v_mfma_f32_16x16x16_bf16 a[4:7], v[14:15], v[6:7], a[4:7]
	ds_read_b64 v[6:7], v94 offset:24576
	s_mul_i32 s2, s62, s34
	s_lshl_b64 s[2:3], s[2:3], 2
	s_waitcnt lgkmcnt(1)
	v_mfma_f32_16x16x16_bf16 a[0:3], v[2:3], v[4:5], a[0:3]
	s_add_u32 s2, s42, s2
	s_addc_u32 s3, s43, s3
	s_and_b64 vcc, exec, s[0:1]
	v_mfma_f32_16x16x16_bf16 a[8:11], v[2:3], v[8:9], a[4:7]
	v_mov_b32_e32 v117, 0
	v_mov_b32_e32 v116, 0
	;; [unrolled: 1-line block ×3, first 2 shown]
	s_waitcnt lgkmcnt(0)
	v_mfma_f32_16x16x16_bf16 a[4:7], v[6:7], v[12:13], a[0:3]
	v_mov_b32_e32 v2, 0
	v_mov_b32_e32 v3, 0
	;; [unrolled: 1-line block ×3, first 2 shown]
	v_mfma_f32_16x16x16_bf16 a[0:3], v[6:7], v[10:11], a[8:11]
	v_mov_b32_e32 v5, 0
	v_mov_b32_e32 v6, 0
	;; [unrolled: 1-line block ×13, first 2 shown]
	s_cbranch_vccnz .LBB263_12
; %bb.11:                               ;   in Loop: Header=BB263_6 Depth=1
	s_and_b32 s25, s25, 0xffff
	buffer_load_dwordx4 v[14:17], v71, s[24:27], 0 offen
	buffer_load_dwordx4 v[10:13], v71, s[24:27], s57 offen
	;; [unrolled: 1-line block ×4, first 2 shown]
	v_mov_b32_e32 v116, v73
	v_mov_b32_e32 v115, v74
.LBB263_12:                             ;   in Loop: Header=BB263_6 Depth=1
	ds_read_b64 v[26:27], v83 offset:32768
	ds_read2_b64 v[18:21], v95 offset1:16
	ds_read_b64 v[28:29], v91 offset:32768
	ds_read_b64 v[30:31], v93 offset:32768
	ds_read_b64 v[32:33], v94 offset:32768
	ds_read2st64_b64 v[22:25], v95 offset0:2 offset1:4
	v_add_u32_e32 v34, s54, v102
	s_waitcnt lgkmcnt(4)
	v_mfma_f32_16x16x16_bf16 a[4:7], v[26:27], v[18:19], a[4:7]
	v_ashrrev_i32_e32 v18, 31, v34
	v_mov_b32_e32 v118, 0
	v_mfma_f32_16x16x16_bf16 a[0:3], v[26:27], v[20:21], a[0:3]
	v_mul_lo_u32 v20, v34, s35
	v_mul_lo_u32 v21, v18, s34
	v_mad_u64_u32 v[18:19], s[24:25], v34, s34, 0
	v_add3_u32 v19, v19, v20, v21
	v_add_u32_e32 v20, 1, v34
	v_ashrrev_i32_e32 v21, 31, v20
	s_waitcnt lgkmcnt(0)
	v_mfma_f32_16x16x16_bf16 a[4:7], v[28:29], v[22:23], a[4:7]
	v_mul_lo_u32 v22, v21, s34
	v_mul_lo_u32 v23, v20, s35
	v_mad_u64_u32 v[20:21], s[24:25], v20, s34, 0
	v_add3_u32 v21, v21, v23, v22
	v_add_u32_e32 v22, 2, v34
	v_ashrrev_i32_e32 v23, 31, v22
	v_mul_lo_u32 v26, v23, s34
	v_mul_lo_u32 v27, v22, s35
	v_mad_u64_u32 v[22:23], s[24:25], v22, s34, 0
	v_add3_u32 v23, v23, v27, v26
	v_add_u32_e32 v26, 3, v34
	v_ashrrev_i32_e32 v27, 31, v26
	v_mul_lo_u32 v34, v27, s34
	v_mul_lo_u32 v35, v26, s35
	v_mad_u64_u32 v[26:27], s[24:25], v26, s34, 0
	s_ashr_i32 s25, s54, 31
	v_add3_u32 v27, v27, v35, v34
	s_add_u32 s24, s51, s54
	v_lshl_add_u64 v[18:19], v[18:19], 2, s[42:43]
	v_lshl_add_u64 v[26:27], v[26:27], 2, s[42:43]
	s_addc_u32 s25, s50, s25
	v_lshl_add_u64 v[20:21], v[20:21], 2, s[42:43]
	v_lshl_add_u64 v[22:23], v[22:23], 2, s[42:43]
	global_load_dword v34, v[18:19], off
	global_load_dword v35, v[20:21], off
	;; [unrolled: 1-line block ×3, first 2 shown]
	s_nop 0
	global_load_dword v27, v[26:27], off
	s_lshl_b64 s[24:25], s[24:25], 8
	v_lshl_add_u64 v[18:19], v[56:57], 0, s[24:25]
	v_lshl_add_u64 v[22:23], v[18:19], 0, v[50:51]
	global_load_ushort v37, v[22:23], off offset:256
	global_load_ushort v38, v[22:23], off
	global_load_ushort v39, v[22:23], off offset:768
	global_load_ushort v40, v[22:23], off offset:512
	ds_read2st64_b64 v[18:21], v96 offset0:2 offset1:4
	global_load_ushort v41, v[22:23], off offset:800
	global_load_ushort v42, v[22:23], off offset:544
	;; [unrolled: 1-line block ×4, first 2 shown]
	s_waitcnt lgkmcnt(0)
	v_mfma_f32_16x16x16_bf16 a[0:3], v[28:29], v[18:19], a[0:3]
	s_and_b64 vcc, exec, s[0:1]
	s_waitcnt vmcnt(7)
	v_lshlrev_b32_e32 v29, 16, v37
	v_mfma_f32_16x16x16_bf16 a[4:7], v[30:31], v[24:25], a[4:7]
	s_waitcnt vmcnt(6)
	v_lshlrev_b32_e32 v28, 16, v38
	v_mfma_f32_16x16x16_bf16 a[0:3], v[30:31], v[20:21], a[0:3]
	ds_read_b64 v[18:19], v95 offset:3072
	ds_read_b64 v[20:21], v96 offset:3072
	s_load_dword s2, s[2:3], 0x0
	s_waitcnt vmcnt(5)
	v_lshlrev_b32_e32 v31, 16, v39
	s_waitcnt lgkmcnt(0)
	v_mfma_f32_16x16x16_bf16 a[4:7], v[32:33], v[18:19], a[4:7]
	v_lshl_add_u64 v[18:19], v[58:59], 0, s[24:25]
	v_sub_f32_e32 v26, s2, v34
	v_sub_f32_e32 v30, s2, v35
	v_mfma_f32_16x16x16_bf16 a[0:3], v[32:33], v[20:21], a[0:3]
	v_sub_f32_e32 v32, s2, v36
	v_sub_f32_e32 v33, s2, v27
	v_exp_f32_e32 v26, v26
	v_exp_f32_e32 v27, v30
	;; [unrolled: 1-line block ×4, first 2 shown]
	v_accvgpr_read_b32 v25, a5
	v_accvgpr_read_b32 v21, a7
	;; [unrolled: 1-line block ×4, first 2 shown]
	s_waitcnt vmcnt(4)
	v_lshlrev_b32_e32 v30, 16, v40
	v_lshl_add_u64 v[18:19], v[18:19], 0, v[50:51]
	v_pk_add_f32 v[24:25], v[28:29], v[24:25] neg_lo:[0,1] neg_hi:[0,1]
	v_pk_add_f32 v[20:21], v[30:31], v[20:21] neg_lo:[0,1] neg_hi:[0,1]
	global_store_short_d16_hi v[18:19], v24, off
	global_store_short_d16_hi v[18:19], v25, off offset:256
	global_store_short_d16_hi v[18:19], v20, off offset:512
	;; [unrolled: 1-line block ×3, first 2 shown]
	v_pk_mul_f32 v[24:25], v[26:27], v[24:25]
	v_pk_mul_f32 v[20:21], v[32:33], v[20:21]
	v_accvgpr_read_b32 v29, a1
	v_perm_b32 v24, v25, v24, s37
	v_perm_b32 v25, v21, v20, s37
	s_waitcnt vmcnt(5)
	v_lshlrev_b32_e32 v21, 16, v43
	s_waitcnt vmcnt(4)
	v_lshlrev_b32_e32 v20, 16, v44
	v_accvgpr_read_b32 v28, a0
	v_accvgpr_read_b32 v23, a3
	v_accvgpr_read_b32 v22, a2
	v_pk_add_f32 v[20:21], v[20:21], v[28:29] neg_lo:[0,1] neg_hi:[0,1]
	v_lshlrev_b32_e32 v29, 16, v41
	v_lshlrev_b32_e32 v28, 16, v42
	v_pk_add_f32 v[22:23], v[28:29], v[22:23] neg_lo:[0,1] neg_hi:[0,1]
	global_store_short_d16_hi v[18:19], v20, off offset:32
	global_store_short_d16_hi v[18:19], v21, off offset:288
	;; [unrolled: 1-line block ×4, first 2 shown]
	v_pk_mul_f32 v[18:19], v[26:27], v[20:21]
	v_pk_mul_f32 v[20:21], v[32:33], v[22:23]
	v_mov_b32_e32 v22, 0
	v_perm_b32 v21, v21, v20, s37
	v_perm_b32 v20, v19, v18, s37
	ds_write2_b64 v76, v[24:25], v[20:21] offset1:16
	v_mov_b32_e32 v18, 0
	v_mov_b32_e32 v19, 0
	;; [unrolled: 1-line block ×15, first 2 shown]
	s_cbranch_vccnz .LBB263_14
; %bb.13:                               ;   in Loop: Header=BB263_6 Depth=1
	s_and_b32 s29, s29, 0xffff
	s_mov_b32 s31, s27
	buffer_load_dwordx4 v[30:33], v100, s[28:31], 0 offen
	buffer_load_dwordx4 v[22:25], v100, s[28:31], s57 offen
	;; [unrolled: 1-line block ×4, first 2 shown]
	v_mov_b32_e32 v117, v70
	v_mov_b32_e32 v118, v69
.LBB263_14:                             ;   in Loop: Header=BB263_6 Depth=1
	s_waitcnt lgkmcnt(0)
	s_barrier
	ds_read_b64 v[38:39], v104
	ds_read_b64 v[124:125], v99
	;; [unrolled: 1-line block ×5, first 2 shown]
	ds_read_b64 v[138:139], v96 offset:3072
	ds_read2_b64 v[34:37], v95 offset0:16 offset1:128
	s_waitcnt lgkmcnt(5)
	v_mfma_f32_16x16x16_bf16 a[0:3], v[38:39], v[124:125], 0
	s_add_i32 s3, s48, s60
	s_mul_hi_i32 s25, s3, s53
	s_mul_i32 s3, s3, s53
	s_waitcnt lgkmcnt(0)
	v_mfma_f32_16x16x16_bf16 a[4:7], v[38:39], v[34:35], 0
	ds_read_b64 v[38:39], v109
	ds_read2st64_b64 v[40:43], v96 offset0:2 offset1:4
	s_add_u32 s24, s3, s33
	s_addc_u32 s25, s25, s55
	s_lshl_b64 s[24:25], s[24:25], 15
	s_mul_i32 s28, s62, s53
	s_mul_hi_i32 s3, s62, s53
	s_add_u32 s28, s28, s33
	s_waitcnt lgkmcnt(1)
	v_mfma_f32_16x16x16_bf16 a[8:11], v[38:39], v[124:125], 0
	s_addc_u32 s29, s3, s55
	ds_read2st64_b64 v[120:123], v95 offset0:4 offset1:6
	s_lshl_b64 s[28:29], s[28:29], 9
	v_mfma_f32_16x16x16_bf16 a[0:3], v[126:127], v[36:37], a[0:3]
	s_add_u32 s28, s40, s28
	s_addc_u32 s29, s41, s29
	s_waitcnt lgkmcnt(1)
	v_mfma_f32_16x16x16_bf16 a[4:7], v[126:127], v[40:41], a[4:7]
	ds_read_b64 v[126:127], v110
	ds_read_b64 v[134:135], v111
	;; [unrolled: 1-line block ×3, first 2 shown]
	v_mfma_f32_16x16x16_bf16 a[12:15], v[38:39], v[34:35], 0
	s_waitcnt lgkmcnt(2)
	v_mfma_f32_16x16x16_bf16 a[8:11], v[126:127], v[36:37], a[8:11]
	global_load_dwordx4 v[34:37], v108, s[28:29]
	v_mfma_f32_16x16x16_bf16 a[12:15], v[126:127], v[40:41], a[12:15]
	global_load_dwordx4 v[38:41], v103, s[28:29]
	ds_read2st64_b64 v[124:127], v97 offset1:8
	s_waitcnt lgkmcnt(0)
	v_mov_b32_e32 v132, v124
	v_mfma_f32_16x16x16_bf16 a[0:3], v[128:129], v[120:121], a[0:3]
	v_mov_b32_e32 v133, v125
	v_mfma_f32_16x16x16_bf16 a[4:7], v[128:129], v[42:43], a[4:7]
	ds_read2st64_b64 v[128:131], v98 offset1:8
	v_mfma_f32_16x16x16_bf16 a[8:11], v[134:135], v[120:121], a[8:11]
	v_lshl_add_u64 v[120:121], v[60:61], 0, s[24:25]
	v_mfma_f32_16x16x16_bf16 a[16:19], v[134:135], v[42:43], a[12:15]
	v_add_co_u32_e32 v42, vcc, s21, v120
	s_waitcnt lgkmcnt(0)
	v_mov_b32_e32 v134, v128
	v_mfma_f32_16x16x16_bf16 a[0:3], v[136:137], v[122:123], a[0:3]
	v_mov_b32_e32 v135, v129
	v_mov_b32_e32 v128, v126
	v_mov_b32_e32 v129, v127
	v_mfma_f32_16x16x16_bf16 a[4:7], v[136:137], v[138:139], a[4:7]
	v_addc_co_u32_e32 v43, vcc, 0, v121, vcc
	global_store_dwordx4 v[42:43], v[128:131], off
	v_mfma_f32_16x16x16_bf16 a[12:15], v[140:141], v[122:123], a[8:11]
	s_and_b64 vcc, exec, s[0:1]
	global_store_dwordx4 v[120:121], v[132:135], off
	s_waitcnt vmcnt(3)
	v_mov_b32_e32 v44, v37
	v_mfma_f32_16x16x16_bf16 a[8:11], v[140:141], v[138:139], a[16:19]
	v_mov_b32_e32 v43, v36
	v_mov_b32_e32 v42, v35
	s_cbranch_vccnz .LBB263_16
; %bb.15:                               ;   in Loop: Header=BB263_6 Depth=1
	v_lshrrev_b32_e32 v35, 3, v117
	v_and_b32_e32 v35, 6, v35
	v_xor_b32_e32 v36, v35, v118
	v_lshlrev_b32_e32 v36, 2, v36
	v_and_b32_e32 v37, 8, v117
	v_xor_b32_e32 v117, 0x440, v36
	v_cmp_eq_u32_e32 vcc, 0, v37
	v_perm_b32 v37, v22, v18, s58
	s_nop 0
	v_cndmask_b32_e32 v36, v117, v36, vcc
	v_lshl_or_b32 v35, v35, 10, v36
	v_perm_b32 v36, v30, v26, s58
	s_barrier
	ds_write2st64_b32 v35, v36, v37 offset0:32 offset1:64
	v_xor_b32_e32 v36, 8, v35
	v_perm_b32 v26, v30, v26, s59
	v_perm_b32 v18, v22, v18, s59
	v_add_u32_e32 v22, 0x80, v36
	ds_write2st64_b32 v22, v26, v18 offset0:32 offset1:64
	v_xor_b32_e32 v18, 16, v35
	v_perm_b32 v22, v31, v27, s58
	v_perm_b32 v26, v23, v19, s58
	ds_write2st64_b32 v18, v22, v26 offset0:33 offset1:65
	v_xor_b32_e32 v18, 24, v35
	v_perm_b32 v22, v31, v27, s59
	v_perm_b32 v19, v23, v19, s59
	v_add_u32_e32 v18, 0x80, v18
	ds_write2st64_b32 v18, v22, v19 offset0:33 offset1:65
	v_xor_b32_e32 v18, 32, v35
	v_perm_b32 v19, v32, v28, s58
	v_perm_b32 v22, v24, v20, s58
	;; [unrolled: 9-line block ×3, first 2 shown]
	ds_write2st64_b32 v18, v19, v20 offset0:35 offset1:67
	v_xor_b32_e32 v18, 56, v35
	v_perm_b32 v19, v33, v29, s59
	v_perm_b32 v20, v25, v21, s59
	v_add_u32_e32 v18, 0x80, v18
	ds_write2st64_b32 v18, v19, v20 offset0:35 offset1:67
	ds_write_b64 v116, v[14:15] offset:24576
	v_xor_b32_e32 v14, 8, v116
	ds_write_b64 v14, v[16:17] offset:24576
	ds_write_b64 v116, v[10:11] offset:32768
	;; [unrolled: 1-line block ×4, first 2 shown]
	v_xor_b32_e32 v6, 8, v115
	ds_write_b64 v6, v[8:9] offset:24576
	ds_write_b64 v115, v[2:3] offset:32768
	;; [unrolled: 1-line block ×3, first 2 shown]
.LBB263_16:                             ;   in Loop: Header=BB263_6 Depth=1
	v_exp_f32_e32 v18, s2
	s_waitcnt vmcnt(2)
	v_exp_f32_e32 v20, v38
	v_exp_f32_e32 v21, v39
	;; [unrolled: 1-line block ×4, first 2 shown]
	v_accvgpr_read_b32 v13, a3
	v_accvgpr_read_b32 v11, a1
	;; [unrolled: 1-line block ×4, first 2 shown]
	v_pk_mul_f32 v[20:21], v[18:19], v[20:21] op_sel_hi:[0,1]
	v_accvgpr_read_b32 v12, a2
	v_accvgpr_read_b32 v7, a5
	;; [unrolled: 1-line block ×3, first 2 shown]
	v_pk_fma_f32 v[52:53], v[52:53], v[20:21], v[10:11]
	v_pk_mul_f32 v[10:11], v[18:19], v[22:23] op_sel_hi:[0,1]
	v_pk_fma_f32 v[54:55], v[54:55], v[10:11], v[12:13]
	v_fma_f32 v89, v89, v20, v6
	v_fma_f32 v88, v88, v21, v7
	v_exp_f32_e32 v6, v34
	v_exp_f32_e32 v7, v42
	;; [unrolled: 1-line block ×4, first 2 shown]
	v_accvgpr_read_b32 v8, a6
	v_accvgpr_read_b32 v17, a15
	;; [unrolled: 1-line block ×9, first 2 shown]
	v_fma_f32 v90, v90, v10, v8
	v_fmac_f32_e32 v9, v114, v11
	v_pk_mul_f32 v[6:7], v[18:19], v[6:7] op_sel_hi:[0,1]
	v_pk_mul_f32 v[10:11], v[18:19], v[12:13] op_sel_hi:[0,1]
	s_add_i32 s54, s54, 64
	v_pk_fma_f32 v[46:47], v[46:47], v[6:7], v[14:15]
	v_pk_fma_f32 v[48:49], v[48:49], v[10:11], v[16:17]
	v_fma_f32 v85, v85, v6, v2
	v_fma_f32 v84, v84, v7, v3
	;; [unrolled: 1-line block ×3, first 2 shown]
	s_cmp_eq_u32 s47, s61
	v_fmac_f32_e32 v5, v113, v11
	s_cbranch_scc1 .LBB263_18
; %bb.17:                               ;   in Loop: Header=BB263_6 Depth=1
	s_mov_b32 s60, s61
	v_mov_b32_e32 v114, v9
	v_mov_b32_e32 v113, v5
	s_branch .LBB263_6
.LBB263_18:
	s_lshl_b32 s0, s47, 6
	s_sub_i32 s42, s49, s0
	s_cmp_gt_i32 s42, 0
	s_cbranch_scc0 .LBB263_83
; %bb.19:
	s_add_i32 s38, s0, s38
	s_ashr_i32 s2, s38, 31
	s_cmpk_lg_i32 s19, 0x80
	s_cselect_b64 s[30:31], -1, 0
	s_and_b64 vcc, exec, s[30:31]
	s_cbranch_vccz .LBB263_21
; %bb.20:
	s_mul_i32 s1, s38, s18
	s_ashr_i32 s3, s52, 31
	s_mul_hi_i32 s0, s38, s18
	s_add_u32 s40, s1, s52
	s_addc_u32 s41, s0, s3
	s_cbranch_execz .LBB263_22
	s_branch .LBB263_23
.LBB263_21:
                                        ; implicit-def: $sgpr40_sgpr41
.LBB263_22:
	s_mul_i32 s1, s52, s16
	s_mul_hi_i32 s0, s52, s16
	s_add_u32 s40, s1, s38
	s_addc_u32 s41, s0, s2
.LBB263_23:
	s_add_i32 s3, s47, s48
	s_ashr_i32 s16, s33, 31
	s_add_u32 s0, s51, s38
	v_lshlrev_b32_e32 v8, 5, v67
	v_lshlrev_b32_e32 v22, 2, v45
	s_addc_u32 s1, s50, s2
	s_mov_b32 s2, 0x7060302
	v_or_b32_e32 v11, v8, v22
	v_xor_b32_e32 v4, v67, v22
	v_perm_b32 v3, v55, v54, s2
	v_perm_b32 v2, v53, v52, s2
	;; [unrolled: 1-line block ×4, first 2 shown]
	v_lshlrev_b32_e32 v11, 1, v11
	s_lshl_b64 s[28:29], s[0:1], 8
	v_xor_b32_e32 v10, v68, v22
	ds_write2st64_b64 v11, v[2:3], v[6:7] offset0:80 offset1:88
	v_lshlrev_b32_e32 v11, 1, v4
	v_lshlrev_b32_e32 v4, 8, v45
	s_add_u32 s0, s6, s28
	v_or_b32_e32 v12, v11, v4
	v_lshlrev_b32_e32 v10, 1, v10
	s_addc_u32 s1, s7, s29
	ds_write_b64 v12, v[2:3]
	v_or_b32_e32 v2, v10, v4
	s_mul_hi_i32 s6, s3, s17
	s_mul_i32 s3, s3, s17
	ds_write_b64 v2, v[6:7]
	v_perm_b32 v3, v9, v90, s2
	v_perm_b32 v2, v88, v89, s2
	;; [unrolled: 1-line block ×4, first 2 shown]
	v_or_b32_e32 v6, 16, v45
	s_add_u32 s2, s3, s33
	v_lshlrev_b32_e32 v19, 2, v6
	s_addc_u32 s3, s6, s16
	v_or_b32_e32 v7, v8, v19
	s_ashr_i32 s37, s36, 31
	s_lshl_b64 s[2:3], s[2:3], 15
	v_lshlrev_b32_e32 v7, 1, v7
	v_lshlrev_b32_e32 v6, 8, v6
	s_add_u32 s6, s12, s2
	ds_write2st64_b64 v7, v[2:3], v[4:5] offset0:80 offset1:88
	v_or_b32_e32 v7, v11, v6
	s_addc_u32 s7, s13, s3
	s_lshl_b64 s[2:3], s[36:37], 8
	ds_write_b64 v7, v[2:3]
	v_or_b32_e32 v2, v10, v6
	s_add_u32 s2, s6, s2
	ds_write_b64 v2, v[4:5]
	v_lshrrev_b32_e32 v2, 4, v0
	s_addc_u32 s3, s7, s3
	v_lshlrev_b32_e32 v3, 1, v45
	v_lshlrev_b32_e32 v10, 4, v45
	v_mov_b32_e32 v11, 0
	v_or_b32_e32 v4, 1, v3
	v_xor_b32_e32 v3, v2, v3
	v_lshl_add_u64 v[12:13], s[2:3], 0, v[10:11]
	v_lshlrev_b32_e32 v10, 8, v2
	v_xor_b32_e32 v6, v4, v2
	v_lshl_or_b32 v2, v3, 3, v10
	s_waitcnt lgkmcnt(0)
	s_barrier
	ds_read2st64_b64 v[2:5], v2 offset1:8
	v_lshl_or_b32 v6, v6, 3, v10
	ds_read2st64_b64 v[6:9], v6 offset1:8
	v_lshl_add_u64 v[14:15], v[12:13], 0, v[10:11]
	s_movk_i32 s2, 0x1000
	s_waitcnt lgkmcnt(1)
	v_mov_b32_e32 v10, v2
	v_add_co_u32_e32 v2, vcc, s2, v14
	s_cmp_lg_u32 s42, 64
	v_mov_b32_e32 v11, v3
	v_addc_co_u32_e32 v3, vcc, 0, v15, vcc
	s_cselect_b64 s[6:7], -1, 0
	v_lshl_or_b32 v23, v63, 3, v66
	s_waitcnt lgkmcnt(0)
	v_mov_b32_e32 v12, v6
	v_mov_b32_e32 v13, v7
	;; [unrolled: 1-line block ×4, first 2 shown]
	s_mov_b32 s24, 0
	v_or_b32_e32 v20, 32, v23
	v_and_b32_e32 v18, 56, v65
	s_and_b64 vcc, exec, s[6:7]
	global_store_dwordx4 v[14:15], v[10:13], off
	global_store_dwordx4 v[2:3], v[6:9], off
	s_cbranch_vccz .LBB263_29
; %bb.24:
	s_mov_b32 s25, s24
	s_mov_b32 s26, s24
	;; [unrolled: 1-line block ×3, first 2 shown]
	v_mov_b64_e32 v[6:7], s[24:25]
	v_mov_b64_e32 v[8:9], s[26:27]
	;; [unrolled: 1-line block ×3, first 2 shown]
	v_cmp_gt_i32_e32 vcc, s42, v23
	v_mov_b64_e32 v[4:5], v[8:9]
	s_and_saveexec_b64 s[2:3], vcc
	s_cbranch_execz .LBB263_26
; %bb.25:
	v_lshlrev_b32_e32 v2, 8, v23
	v_mov_b32_e32 v3, 0
	v_lshl_add_u64 v[4:5], s[0:1], 0, v[2:3]
	v_lshlrev_b32_e32 v2, 1, v18
	v_lshl_add_u64 v[10:11], v[4:5], 0, v[2:3]
	global_load_dwordx4 v[6:9], v[10:11], off
	global_load_dwordx4 v[2:5], v[10:11], off offset:128
.LBB263_26:
	s_or_b64 exec, exec, s[2:3]
	s_mov_b32 s25, s24
	s_mov_b32 s26, s24
	;; [unrolled: 1-line block ×3, first 2 shown]
	v_mov_b64_e32 v[14:15], s[24:25]
	v_mov_b64_e32 v[16:17], s[26:27]
	;; [unrolled: 1-line block ×3, first 2 shown]
	v_cmp_gt_i32_e32 vcc, s42, v20
	v_lshlrev_b32_e32 v21, 7, v20
	v_mov_b64_e32 v[12:13], v[16:17]
	s_and_saveexec_b64 s[2:3], vcc
	s_cbranch_execz .LBB263_28
; %bb.27:
	v_lshlrev_b32_e32 v10, 1, v21
	v_mov_b32_e32 v11, 0
	v_lshl_add_u64 v[12:13], s[0:1], 0, v[10:11]
	v_lshlrev_b32_e32 v10, 1, v18
	v_lshl_add_u64 v[24:25], v[12:13], 0, v[10:11]
	global_load_dwordx4 v[14:17], v[24:25], off
	global_load_dwordx4 v[10:13], v[24:25], off offset:128
.LBB263_28:
	s_or_b64 exec, exec, s[2:3]
	v_lshrrev_b32_e32 v24, 3, v18
	v_lshlrev_b32_e32 v25, 3, v23
	v_or_b32_e32 v24, v25, v24
	v_lshlrev_b32_e32 v24, 4, v24
	v_and_b32_e32 v25, 0x78, v25
	v_xor_b32_e32 v24, v24, v25
	s_branch .LBB263_31
.LBB263_29:
                                        ; implicit-def: $vgpr24
                                        ; implicit-def: $vgpr21
                                        ; implicit-def: $vgpr6_vgpr7_vgpr8_vgpr9
                                        ; implicit-def: $vgpr2_vgpr3_vgpr4_vgpr5
                                        ; implicit-def: $vgpr14_vgpr15_vgpr16_vgpr17
                                        ; implicit-def: $vgpr10_vgpr11_vgpr12_vgpr13
	s_cbranch_execz .LBB263_31
; %bb.30:
	s_waitcnt vmcnt(0)
	v_lshlrev_b32_e32 v2, 1, v18
	v_lshl_or_b32 v21, v23, 8, v2
	s_and_b32 s1, s1, 0xffff
	s_mov_b32 s3, 0x20000
	s_movk_i32 s2, 0x4000
	v_lshl_or_b32 v24, v20, 8, v2
	s_movk_i32 s12, 0x80
	buffer_load_dwordx4 v[6:9], v21, s[0:3], 0 offen
	buffer_load_dwordx4 v[2:5], v21, s[0:3], s12 offen
	;; [unrolled: 1-line block ×4, first 2 shown]
	v_lshrrev_b32_e32 v21, 3, v18
	v_lshlrev_b32_e32 v24, 3, v23
	v_or_b32_e32 v21, v24, v21
	v_lshlrev_b32_e32 v21, 4, v21
	v_and_b32_e32 v24, 0x78, v24
	v_xor_b32_e32 v24, v21, v24
	v_lshlrev_b32_e32 v21, 7, v20
.LBB263_31:
	s_lshl_b64 s[0:1], s[40:41], 8
	s_add_u32 s4, s4, s0
	s_movk_i32 s0, 0x1000
	v_and_or_b32 v20, v21, s0, v24
	s_waitcnt vmcnt(1)
	ds_write_b64 v24, v[6:7] offset:24576
	v_xor_b32_e32 v6, 8, v24
	ds_write_b64 v6, v[8:9] offset:24576
	s_waitcnt vmcnt(0)
	ds_write_b64 v24, v[2:3] offset:32768
	ds_write_b64 v6, v[4:5] offset:32768
	;; [unrolled: 1-line block ×3, first 2 shown]
	v_xor_b32_e32 v2, 8, v20
	ds_write_b64 v2, v[16:17] offset:24576
	ds_write_b64 v20, v[10:11] offset:32768
	;; [unrolled: 1-line block ×3, first 2 shown]
	v_or_b32_e32 v2, v1, v45
	v_lshlrev_b32_e32 v3, 11, v63
	v_lshlrev_b32_e32 v2, 3, v2
	v_and_b32_e32 v6, 0x1000, v3
	v_lshrrev_b32_e32 v3, 5, v62
	s_movk_i32 s13, 0xf8
	v_and_or_b32 v3, v2, s13, v3
	v_lshlrev_b32_e32 v7, 4, v3
	v_and_b32_e32 v8, 0x78, v2
	v_or_b32_e32 v10, 32, v7
	v_lshrrev_b32_e32 v3, 1, v62
	v_xor_b32_e32 v10, v10, v8
	v_xor_b32_e32 v2, v7, v8
	v_and_b32_e32 v9, 8, v3
	v_or_b32_e32 v10, v10, v6
	v_or_b32_e32 v2, v2, v6
	v_xor_b32_e32 v26, v10, v9
	v_or_b32_e32 v10, 64, v7
	v_xor_b32_e32 v25, v2, v9
	v_xor_b32_e32 v10, v10, v8
	s_waitcnt lgkmcnt(0)
	s_barrier
	v_or_b32_e32 v12, v10, v6
	ds_read_b64 v[10:11], v25 offset:24576
	v_lshl_or_b32 v20, v64, 7, v22
	v_lshlrev_b32_e32 v24, 1, v20
	v_add_u32_e32 v2, 0xa000, v24
	ds_read2_b64 v[2:5], v2 offset1:16
	v_or_b32_e32 v7, 0x60, v7
	v_xor_b32_e32 v7, v7, v8
	s_waitcnt lgkmcnt(0)
	v_mfma_f32_16x16x16_bf16 a[0:3], v[10:11], v[2:3], 0
	v_or_b32_e32 v2, 64, v20
	v_or_b32_e32 v6, v7, v6
	v_lshlrev_b32_e32 v29, 1, v2
	v_xor_b32_e32 v27, v12, v9
	v_xor_b32_e32 v28, v6, v9
	ds_read_b64 v[12:13], v26 offset:24576
	ds_read_b64 v[14:15], v27 offset:24576
	;; [unrolled: 1-line block ×3, first 2 shown]
	v_mfma_f32_16x16x16_bf16 a[4:7], v[10:11], v[4:5], 0
	ds_read2st64_b64 v[2:5], v29 offset0:82 offset1:84
	ds_read2st64_b64 v[6:9], v24 offset0:82 offset1:84
	s_addc_u32 s5, s5, s1
	s_add_i32 s2, s39, -1
	s_add_i32 s0, s45, s44
	s_add_i32 s21, s0, s46
	s_mul_i32 s0, s33, s23
	s_mul_hi_u32 s1, s33, s22
	s_ashr_i32 s3, s2, 31
	s_mul_i32 s12, s2, s35
	s_mul_hi_u32 s13, s2, s34
	s_add_i32 s0, s1, s0
	s_mul_i32 s1, s16, s22
	s_add_i32 s12, s13, s12
	s_mul_i32 s3, s3, s34
	s_waitcnt lgkmcnt(1)
	v_mfma_f32_16x16x16_bf16 a[4:7], v[12:13], v[2:3], a[4:7]
	s_add_i32 s1, s0, s1
	s_add_i32 s3, s12, s3
	s_lshl_b64 s[12:13], s[20:21], 2
	s_waitcnt lgkmcnt(0)
	v_mfma_f32_16x16x16_bf16 a[0:3], v[12:13], v[6:7], a[0:3]
	s_mul_i32 s0, s33, s22
	s_add_u32 s10, s10, s12
	s_addc_u32 s11, s11, s13
	s_lshl_b64 s[0:1], s[0:1], 2
	s_mul_i32 s2, s2, s34
	s_add_u32 s10, s10, s0
	ds_read_b64 v[2:3], v24 offset:44032
	v_mfma_f32_16x16x16_bf16 a[4:7], v[14:15], v[4:5], a[4:7]
	ds_read_b64 v[4:5], v29 offset:44032
	s_addc_u32 s11, s11, s1
	s_lshl_b64 s[0:1], s[2:3], 2
	v_mfma_f32_16x16x16_bf16 a[0:3], v[14:15], v[8:9], a[0:3]
	s_add_u32 s0, s10, s0
	s_addc_u32 s1, s11, s1
	s_load_dword s12, s[0:1], 0x0
	s_waitcnt lgkmcnt(0)
	v_mfma_f32_16x16x16_bf16 a[0:3], v[16:17], v[2:3], a[0:3]
	s_and_b64 vcc, exec, s[30:31]
	v_mfma_f32_16x16x16_bf16 a[4:7], v[16:17], v[4:5], a[4:7]
	s_cbranch_vccz .LBB263_42
; %bb.32:
	v_lshlrev_b32_e32 v20, 1, v23
	s_and_b64 vcc, exec, s[6:7]
	s_cbranch_vccz .LBB263_43
; %bb.33:
	v_cmp_gt_i32_e32 vcc, s42, v20
	v_mov_b32_e32 v6, 0
	v_mov_b32_e32 v2, 0
	;; [unrolled: 1-line block ×5, first 2 shown]
	s_and_saveexec_b64 s[0:1], vcc
	s_cbranch_execz .LBB263_35
; %bb.34:
	v_mad_i64_i32 v[2:3], s[2:3], s19, v20, 0
	v_lshl_add_u64 v[2:3], v[2:3], 1, s[4:5]
	v_lshlrev_b32_e32 v4, 1, v18
	v_mov_b32_e32 v5, 0
	v_lshl_add_u64 v[2:3], v[2:3], 0, v[4:5]
	global_load_dwordx4 v[2:5], v[2:3], off
.LBB263_35:
	s_or_b64 exec, exec, s[0:1]
	v_or_b32_e32 v21, 1, v20
	v_cmp_gt_i32_e64 s[0:1], s42, v21
	v_mov_b32_e32 v7, 0
	v_mov_b32_e32 v8, 0
	v_mov_b32_e32 v9, 0
	s_and_saveexec_b64 s[2:3], s[0:1]
	s_cbranch_execz .LBB263_37
; %bb.36:
	v_mad_i64_i32 v[6:7], s[16:17], s19, v21, 0
	v_lshl_add_u64 v[6:7], v[6:7], 1, s[4:5]
	v_lshlrev_b32_e32 v8, 1, v18
	v_mov_b32_e32 v9, 0
	v_lshl_add_u64 v[6:7], v[6:7], 0, v[8:9]
	global_load_dwordx4 v[6:9], v[6:7], off
.LBB263_37:
	s_or_b64 exec, exec, s[2:3]
	v_mov_b32_e32 v17, 0
	v_mov_b32_e32 v10, 0
	;; [unrolled: 1-line block ×5, first 2 shown]
	s_and_saveexec_b64 s[2:3], vcc
	s_cbranch_execz .LBB263_39
; %bb.38:
	v_mad_i64_i32 v[10:11], s[16:17], s19, v20, 0
	v_lshl_add_u64 v[10:11], v[10:11], 1, s[4:5]
	v_lshlrev_b32_e32 v12, 1, v18
	v_mov_b32_e32 v13, 0
	v_lshl_add_u64 v[10:11], v[10:11], 0, v[12:13]
	global_load_dwordx4 v[10:13], v[10:11], off offset:128
.LBB263_39:
	s_or_b64 exec, exec, s[2:3]
	v_mov_b32_e32 v16, 0
	v_mov_b32_e32 v15, 0
	;; [unrolled: 1-line block ×3, first 2 shown]
	s_and_saveexec_b64 s[2:3], s[0:1]
	s_cbranch_execz .LBB263_41
; %bb.40:
	v_mad_i64_i32 v[14:15], s[0:1], s19, v21, 0
	v_lshl_add_u64 v[14:15], v[14:15], 1, s[4:5]
	v_lshlrev_b32_e32 v16, 1, v18
	v_mov_b32_e32 v17, 0
	v_lshl_add_u64 v[14:15], v[14:15], 0, v[16:17]
	global_load_dwordx4 v[14:17], v[14:15], off offset:128
.LBB263_41:
	s_or_b64 exec, exec, s[2:3]
	s_branch .LBB263_45
.LBB263_42:
                                        ; implicit-def: $vgpr5
                                        ; implicit-def: $vgpr9
                                        ; implicit-def: $vgpr13
                                        ; implicit-def: $vgpr17
	v_lshrrev_b32_e32 v30, 2, v62
	s_branch .LBB263_46
.LBB263_43:
                                        ; implicit-def: $vgpr5
                                        ; implicit-def: $vgpr9
                                        ; implicit-def: $vgpr13
                                        ; implicit-def: $vgpr17
	s_cbranch_execz .LBB263_45
; %bb.44:
	s_waitcnt vmcnt(0)
	v_mad_u64_u32 v[2:3], s[0:1], v20, s19, v[18:19]
	v_lshlrev_b32_e32 v20, 1, v2
	s_lshl_b32 s2, s19, 7
	s_and_b32 s1, s5, 0xffff
	s_mov_b32 s3, 0x20000
	s_mov_b32 s0, s4
	v_add_lshl_u32 v21, v2, s19, 1
	s_movk_i32 s13, 0x80
	buffer_load_dwordx4 v[2:5], v20, s[0:3], 0 offen
	buffer_load_dwordx4 v[10:13], v20, s[0:3], s13 offen
	;; [unrolled: 1-line block ×4, first 2 shown]
.LBB263_45:
	v_lshrrev_b32_e32 v30, 2, v62
	s_cbranch_execnz .LBB263_58
.LBB263_46:
	s_and_b64 vcc, exec, s[6:7]
	s_cbranch_vccz .LBB263_56
; %bb.47:
	s_waitcnt vmcnt(0)
	v_lshlrev_b32_e32 v7, 1, v23
	v_cmp_gt_i32_e32 vcc, s42, v7
	v_mov_b32_e32 v6, 0
	v_lshlrev_b32_e32 v14, 9, v23
	v_mov_b32_e32 v2, 0
	v_mov_b32_e32 v3, 0
	;; [unrolled: 1-line block ×4, first 2 shown]
	s_and_saveexec_b64 s[0:1], vcc
	s_cbranch_execz .LBB263_49
; %bb.48:
	v_mov_b32_e32 v15, 0
	v_lshl_add_u64 v[2:3], s[4:5], 0, v[14:15]
	v_lshlrev_b32_e32 v4, 1, v18
	v_mov_b32_e32 v5, v15
	v_lshl_add_u64 v[2:3], v[2:3], 0, v[4:5]
	global_load_dwordx4 v[2:5], v[2:3], off
.LBB263_49:
	s_or_b64 exec, exec, s[0:1]
	v_or_b32_e32 v7, 1, v7
	v_cmp_gt_i32_e64 s[0:1], s42, v7
	v_lshlrev_b32_e32 v20, 8, v7
	v_mov_b32_e32 v7, 0
	v_mov_b32_e32 v8, 0
	;; [unrolled: 1-line block ×3, first 2 shown]
	s_and_saveexec_b64 s[2:3], s[0:1]
	s_cbranch_execz .LBB263_51
; %bb.50:
	v_mov_b32_e32 v21, 0
	v_lshl_add_u64 v[6:7], s[4:5], 0, v[20:21]
	v_lshlrev_b32_e32 v8, 1, v18
	v_mov_b32_e32 v9, v21
	v_lshl_add_u64 v[6:7], v[6:7], 0, v[8:9]
	global_load_dwordx4 v[6:9], v[6:7], off
.LBB263_51:
	s_or_b64 exec, exec, s[2:3]
	v_mov_b32_e32 v17, 0
	v_mov_b32_e32 v10, 0
	;; [unrolled: 1-line block ×5, first 2 shown]
	s_and_saveexec_b64 s[2:3], vcc
	s_cbranch_execz .LBB263_53
; %bb.52:
	v_mov_b32_e32 v15, 0
	v_lshl_add_u64 v[10:11], s[4:5], 0, v[14:15]
	v_lshlrev_b32_e32 v14, 1, v18
	v_lshl_add_u64 v[10:11], v[10:11], 0, v[14:15]
	global_load_dwordx4 v[10:13], v[10:11], off offset:128
.LBB263_53:
	s_or_b64 exec, exec, s[2:3]
	v_mov_b32_e32 v16, 0
	v_mov_b32_e32 v15, 0
	;; [unrolled: 1-line block ×3, first 2 shown]
	s_and_saveexec_b64 s[2:3], s[0:1]
	s_cbranch_execz .LBB263_55
; %bb.54:
	v_mov_b32_e32 v21, 0
	v_lshl_add_u64 v[14:15], s[4:5], 0, v[20:21]
	v_lshlrev_b32_e32 v20, 1, v18
	v_lshl_add_u64 v[14:15], v[14:15], 0, v[20:21]
	global_load_dwordx4 v[14:17], v[14:15], off offset:128
.LBB263_55:
	s_or_b64 exec, exec, s[2:3]
	s_branch .LBB263_58
.LBB263_56:
                                        ; implicit-def: $vgpr5
                                        ; implicit-def: $vgpr9
                                        ; implicit-def: $vgpr13
                                        ; implicit-def: $vgpr17
	s_cbranch_execz .LBB263_58
; %bb.57:
	s_waitcnt vmcnt(0)
	v_lshlrev_b32_e32 v2, 1, v18
	v_lshl_or_b32 v18, v23, 9, v2
	s_and_b32 s5, s5, 0xffff
	s_mov_b32 s7, 0x20000
	s_movk_i32 s6, 0x4000
	s_movk_i32 s0, 0x80
	buffer_load_dwordx4 v[2:5], v18, s[4:7], 0 offen
	buffer_load_dwordx4 v[6:9], v18, s[4:7], 0 offen offset:256
	buffer_load_dwordx4 v[10:13], v18, s[4:7], s0 offen
	buffer_load_dwordx4 v[14:17], v18, s[4:7], s0 offen offset:256
.LBB263_58:
	ds_read_b64 v[20:21], v25 offset:32768
	v_add_u32_e32 v18, 0xb000, v24
	ds_read2_b64 v[32:35], v18 offset1:16
	ds_read_b64 v[40:41], v26 offset:32768
	ds_read_b64 v[26:27], v27 offset:32768
	ds_read_b64 v[42:43], v28 offset:32768
	v_and_b32_e32 v18, 6, v0
	v_xor_b32_e32 v23, v23, v18
	v_lshlrev_b32_e32 v23, 2, v23
	v_and_b32_e32 v0, 1, v0
	v_xor_b32_e32 v28, 0x440, v23
	v_cmp_eq_u32_e32 vcc, 0, v0
	s_waitcnt lgkmcnt(3)
	v_mfma_f32_16x16x16_bf16 a[0:3], v[20:21], v[32:33], a[0:3]
	s_mov_b32 s0, 0x1000504
	v_cndmask_b32_e32 v0, v28, v23, vcc
	v_lshl_or_b32 v0, v18, 10, v0
	v_mfma_f32_16x16x16_bf16 a[4:7], v[20:21], v[34:35], a[4:7]
	ds_read2st64_b64 v[32:35], v24 offset0:90 offset1:92
	ds_read2st64_b64 v[36:39], v29 offset0:90 offset1:92
	ds_read_b64 v[20:21], v24 offset:48128
	ds_read_b64 v[24:25], v29 offset:48128
	s_waitcnt vmcnt(0)
	v_perm_b32 v18, v2, v6, s0
	s_waitcnt lgkmcnt(3)
	v_mfma_f32_16x16x16_bf16 a[0:3], v[40:41], v[32:33], a[0:3]
	s_mov_b32 s1, 0x3020706
	v_perm_b32 v2, v2, v6, s1
	v_perm_b32 v6, v10, v14, s1
	s_waitcnt lgkmcnt(2)
	v_mfma_f32_16x16x16_bf16 a[4:7], v[40:41], v[36:37], a[4:7]
	v_mfma_f32_16x16x16_bf16 a[0:3], v[26:27], v[34:35], a[0:3]
	;; [unrolled: 1-line block ×3, first 2 shown]
	s_waitcnt lgkmcnt(1)
	v_mfma_f32_16x16x16_bf16 a[4:7], v[42:43], v[20:21], a[0:3]
	v_perm_b32 v20, v10, v14, s0
	ds_write2st64_b32 v0, v18, v20 offset0:32 offset1:64
	v_xor_b32_e32 v18, 8, v0
	v_add_u32_e32 v10, 0x80, v18
	ds_write2st64_b32 v10, v2, v6 offset0:32 offset1:64
	v_xor_b32_e32 v2, 16, v0
	v_perm_b32 v6, v3, v7, s0
	v_perm_b32 v10, v11, v15, s0
	ds_write2st64_b32 v2, v6, v10 offset0:33 offset1:65
	v_xor_b32_e32 v2, 24, v0
	v_perm_b32 v3, v3, v7, s1
	v_perm_b32 v6, v11, v15, s1
	v_add_u32_e32 v2, 0x80, v2
	ds_write2st64_b32 v2, v3, v6 offset0:33 offset1:65
	v_xor_b32_e32 v2, 32, v0
	v_perm_b32 v3, v4, v8, s0
	v_perm_b32 v6, v12, v16, s0
	s_waitcnt lgkmcnt(4)
	v_mfma_f32_16x16x16_bf16 a[0:3], v[42:43], v[24:25], a[8:11]
	ds_write2st64_b32 v2, v3, v6 offset0:34 offset1:66
	v_xor_b32_e32 v2, 40, v0
	v_perm_b32 v3, v4, v8, s1
	v_perm_b32 v4, v12, v16, s1
	v_add_u32_e32 v2, 0x80, v2
	ds_write2st64_b32 v2, v3, v4 offset0:34 offset1:66
	v_xor_b32_e32 v2, 48, v0
	v_perm_b32 v3, v5, v9, s0
	v_perm_b32 v4, v13, v17, s0
	v_xor_b32_e32 v0, 56, v0
	v_and_or_b32 v21, v30, 12, v1
	ds_write2st64_b32 v2, v3, v4 offset0:35 offset1:67
	v_perm_b32 v2, v5, v9, s1
	v_perm_b32 v3, v13, v17, s1
	v_add_u32_e32 v0, 0x80, v0
	v_cmp_gt_i32_e32 vcc, s42, v21
	v_mov_b32_e32 v16, 0
	v_mov_b32_e32 v18, 0
	ds_write2st64_b32 v0, v2, v3 offset0:35 offset1:67
	s_and_saveexec_b64 s[0:1], vcc
	s_cbranch_execz .LBB263_60
; %bb.59:
	v_add_u32_e32 v0, s38, v21
	v_ashrrev_i32_e32 v1, 31, v0
	v_mul_lo_u32 v2, v1, s34
	v_mul_lo_u32 v3, v0, s35
	v_mad_u64_u32 v[0:1], s[2:3], v0, s34, 0
	v_add3_u32 v1, v1, v3, v2
	v_lshl_add_u64 v[0:1], v[0:1], 2, s[10:11]
	global_load_dword v0, v[0:1], off
	s_waitcnt vmcnt(0)
	v_sub_f32_e32 v0, s12, v0
	v_exp_f32_e32 v18, v0
.LBB263_60:
	s_or_b64 exec, exec, s[0:1]
	v_or_b32_e32 v10, 1, v21
	v_cmp_gt_i32_e64 s[2:3], s42, v10
	s_and_saveexec_b64 s[0:1], s[2:3]
	s_cbranch_execz .LBB263_62
; %bb.61:
	v_add_u32_e32 v0, s38, v10
	v_ashrrev_i32_e32 v1, 31, v0
	v_mul_lo_u32 v2, v1, s34
	v_mul_lo_u32 v3, v0, s35
	v_mad_u64_u32 v[0:1], s[4:5], v0, s34, 0
	v_add3_u32 v1, v1, v3, v2
	v_lshl_add_u64 v[0:1], v[0:1], 2, s[10:11]
	global_load_dword v0, v[0:1], off
	s_waitcnt vmcnt(0)
	v_sub_f32_e32 v0, s12, v0
	v_exp_f32_e32 v16, v0
.LBB263_62:
	s_or_b64 exec, exec, s[0:1]
	v_or_b32_e32 v12, 2, v21
	v_cmp_gt_i32_e64 s[0:1], s42, v12
	v_mov_b32_e32 v17, 0
	v_mov_b32_e32 v20, 0
	s_and_saveexec_b64 s[4:5], s[0:1]
	s_cbranch_execz .LBB263_64
; %bb.63:
	v_add_u32_e32 v0, s38, v12
	v_ashrrev_i32_e32 v1, 31, v0
	v_mul_lo_u32 v2, v1, s34
	v_mul_lo_u32 v3, v0, s35
	v_mad_u64_u32 v[0:1], s[6:7], v0, s34, 0
	v_add3_u32 v1, v1, v3, v2
	v_lshl_add_u64 v[0:1], v[0:1], 2, s[10:11]
	global_load_dword v0, v[0:1], off
	s_waitcnt vmcnt(0)
	v_sub_f32_e32 v0, s12, v0
	v_exp_f32_e32 v20, v0
.LBB263_64:
	s_or_b64 exec, exec, s[4:5]
	v_or_b32_e32 v14, 3, v21
	v_cmp_gt_i32_e64 s[4:5], s42, v14
	s_and_saveexec_b64 s[6:7], s[4:5]
	s_cbranch_execz .LBB263_66
; %bb.65:
	v_add_u32_e32 v0, s38, v14
	v_ashrrev_i32_e32 v1, 31, v0
	v_mul_lo_u32 v2, v1, s34
	v_mul_lo_u32 v3, v0, s35
	v_mad_u64_u32 v[0:1], s[16:17], v0, s34, 0
	v_add3_u32 v1, v1, v3, v2
	v_lshl_add_u64 v[0:1], v[0:1], 2, s[10:11]
	global_load_dword v0, v[0:1], off
	s_waitcnt vmcnt(0)
	v_sub_f32_e32 v0, s12, v0
	v_exp_f32_e32 v17, v0
.LBB263_66:
	s_or_b64 exec, exec, s[6:7]
	s_add_u32 s6, s8, s28
	v_or_b32_e32 v4, s36, v45
	s_addc_u32 s7, s9, s29
	s_add_u32 s8, s14, s28
	v_ashrrev_i32_e32 v5, 31, v4
	v_accvgpr_read_b32 v0, a4
	s_addc_u32 s9, s15, s29
	v_lshlrev_b64 v[4:5], 1, v[4:5]
	v_accvgpr_read_b32 v1, a5
	v_accvgpr_read_b32 v2, a6
	;; [unrolled: 1-line block ×3, first 2 shown]
	v_lshl_add_u64 v[6:7], s[6:7], 0, v[4:5]
	v_lshl_add_u64 v[4:5], s[8:9], 0, v[4:5]
	v_mov_b32_e32 v11, 0
	v_lshlrev_b32_e32 v8, 8, v21
	v_mov_b32_e32 v9, 0
	s_and_saveexec_b64 s[6:7], vcc
	s_cbranch_execz .LBB263_68
; %bb.67:
	v_mov_b32_e32 v9, 0
	v_lshl_add_u64 v[24:25], v[6:7], 0, v[8:9]
	global_load_ushort v13, v[24:25], off
	v_lshl_add_u64 v[24:25], v[4:5], 0, v[8:9]
	s_waitcnt vmcnt(0)
	v_lshlrev_b32_e32 v9, 16, v13
	v_sub_f32_e32 v0, v9, v0
	global_store_short_d16_hi v[24:25], v0, off
	v_mul_f32_e32 v0, v18, v0
	v_lshrrev_b32_e32 v9, 16, v0
.LBB263_68:
	s_or_b64 exec, exec, s[6:7]
	v_lshlrev_b32_e32 v10, 8, v10
	s_and_saveexec_b64 s[6:7], s[2:3]
	s_cbranch_execz .LBB263_70
; %bb.69:
	v_mov_b32_e32 v11, 0
	v_lshl_add_u64 v[24:25], v[6:7], 0, v[10:11]
	global_load_ushort v0, v[24:25], off
	v_lshl_add_u64 v[24:25], v[4:5], 0, v[10:11]
	s_waitcnt vmcnt(0)
	v_lshlrev_b32_e32 v0, 16, v0
	v_sub_f32_e32 v0, v0, v1
	global_store_short_d16_hi v[24:25], v0, off
	v_mul_f32_e32 v0, v16, v0
	v_lshrrev_b32_e32 v11, 16, v0
.LBB263_70:
	s_or_b64 exec, exec, s[6:7]
	v_mov_b32_e32 v15, 0
	v_lshlrev_b32_e32 v12, 8, v12
	v_mov_b32_e32 v13, 0
	s_and_saveexec_b64 s[6:7], s[0:1]
	s_cbranch_execz .LBB263_72
; %bb.71:
	v_mov_b32_e32 v13, 0
	v_lshl_add_u64 v[0:1], v[6:7], 0, v[12:13]
	global_load_ushort v23, v[0:1], off
	v_lshl_add_u64 v[0:1], v[4:5], 0, v[12:13]
	s_waitcnt vmcnt(0)
	v_lshlrev_b32_e32 v13, 16, v23
	v_sub_f32_e32 v2, v13, v2
	global_store_short_d16_hi v[0:1], v2, off
	v_mul_f32_e32 v0, v20, v2
	v_lshrrev_b32_e32 v13, 16, v0
.LBB263_72:
	s_or_b64 exec, exec, s[6:7]
	v_lshlrev_b32_e32 v14, 8, v14
	s_and_saveexec_b64 s[6:7], s[4:5]
	s_cbranch_execz .LBB263_74
; %bb.73:
	v_mov_b32_e32 v15, 0
	v_lshl_add_u64 v[0:1], v[6:7], 0, v[14:15]
	global_load_ushort v2, v[0:1], off
	v_lshl_add_u64 v[0:1], v[4:5], 0, v[14:15]
	s_waitcnt vmcnt(0)
	v_lshlrev_b32_e32 v2, 16, v2
	v_sub_f32_e32 v2, v2, v3
	global_store_short_d16_hi v[0:1], v2, off
	v_mul_f32_e32 v0, v17, v2
	v_lshrrev_b32_e32 v15, 16, v0
.LBB263_74:
	s_or_b64 exec, exec, s[6:7]
	v_lshlrev_b32_e32 v21, 5, v21
	s_mov_b32 s6, 0x5040100
	v_perm_b32 v24, v11, v9, s6
	v_or_b32_e32 v9, v21, v22
	v_accvgpr_read_b32 v0, a0
	v_perm_b32 v25, v15, v13, s6
	v_lshlrev_b32_e32 v9, 1, v9
	v_accvgpr_read_b32 v1, a1
	v_accvgpr_read_b32 v2, a2
	;; [unrolled: 1-line block ×3, first 2 shown]
	ds_write_b64 v9, v[24:25] offset:45056
	v_mov_b32_e32 v11, 0
	v_mov_b32_e32 v9, 0
	s_and_saveexec_b64 s[6:7], vcc
	s_cbranch_execz .LBB263_76
; %bb.75:
	v_mov_b32_e32 v9, 0
	v_lshl_add_u64 v[22:23], v[6:7], 0, v[8:9]
	global_load_ushort v13, v[22:23], off offset:32
	v_lshl_add_u64 v[8:9], v[4:5], 0, v[8:9]
	s_waitcnt vmcnt(0)
	v_lshlrev_b32_e32 v13, 16, v13
	v_sub_f32_e32 v0, v13, v0
	global_store_short_d16_hi v[8:9], v0, off offset:32
	v_mul_f32_e32 v0, v18, v0
	v_lshrrev_b32_e32 v9, 16, v0
.LBB263_76:
	s_or_b64 exec, exec, s[6:7]
	s_and_saveexec_b64 s[6:7], s[2:3]
	s_cbranch_execz .LBB263_78
; %bb.77:
	v_mov_b32_e32 v11, 0
	v_lshl_add_u64 v[22:23], v[6:7], 0, v[10:11]
	global_load_ushort v0, v[22:23], off offset:32
	v_lshl_add_u64 v[10:11], v[4:5], 0, v[10:11]
	s_waitcnt vmcnt(0)
	v_lshlrev_b32_e32 v0, 16, v0
	v_sub_f32_e32 v0, v0, v1
	global_store_short_d16_hi v[10:11], v0, off offset:32
	v_mul_f32_e32 v0, v16, v0
	v_lshrrev_b32_e32 v11, 16, v0
.LBB263_78:
	s_or_b64 exec, exec, s[6:7]
	v_mov_b32_e32 v0, 0
	v_mov_b32_e32 v1, 0
	s_and_saveexec_b64 s[2:3], s[0:1]
	s_cbranch_execz .LBB263_80
; %bb.79:
	v_mov_b32_e32 v13, 0
	v_lshl_add_u64 v[22:23], v[6:7], 0, v[12:13]
	global_load_ushort v1, v[22:23], off offset:32
	v_lshl_add_u64 v[12:13], v[4:5], 0, v[12:13]
	s_waitcnt vmcnt(0)
	v_lshlrev_b32_e32 v1, 16, v1
	v_sub_f32_e32 v1, v1, v2
	global_store_short_d16_hi v[12:13], v1, off offset:32
	v_mul_f32_e32 v1, v20, v1
	v_lshrrev_b32_e32 v1, 16, v1
.LBB263_80:
	s_or_b64 exec, exec, s[2:3]
	s_and_saveexec_b64 s[0:1], s[4:5]
	s_cbranch_execz .LBB263_82
; %bb.81:
	v_mov_b32_e32 v15, 0
	v_lshl_add_u64 v[6:7], v[6:7], 0, v[14:15]
	global_load_ushort v0, v[6:7], off offset:32
	v_lshl_add_u64 v[4:5], v[4:5], 0, v[14:15]
	s_waitcnt vmcnt(0)
	v_lshlrev_b32_e32 v0, 16, v0
	v_sub_f32_e32 v0, v0, v3
	global_store_short_d16_hi v[4:5], v0, off offset:32
	v_mul_f32_e32 v0, v17, v0
	v_lshrrev_b32_e32 v0, 16, v0
.LBB263_82:
	s_or_b64 exec, exec, s[0:1]
	s_mov_b32 s0, 0x5040100
	v_or_b32_e32 v2, v21, v19
	v_perm_b32 v1, v0, v1, s0
	v_perm_b32 v0, v11, v9, s0
	v_lshlrev_b32_e32 v2, 1, v2
	ds_write_b64 v2, v[0:1] offset:45056
	s_waitcnt lgkmcnt(0)
	s_barrier
.LBB263_83:
	s_endpgm
	.section	.rodata,"a",@progbits
	.p2align	6, 0x0
	.amdhsa_kernel _ZN12_GLOBAL__N_139chunk_gated_delta_rule_fwd_h_hip_kernelILi32ELb0ELb0ELb1ELb1ELb1ELb1ELb1ELb1EEEvPK12hip_bfloat16S3_S3_PKfS5_PKvPS1_S8_PvPKiSB_iiiiilll
		.amdhsa_group_segment_fixed_size 49152
		.amdhsa_private_segment_fixed_size 0
		.amdhsa_kernarg_size 136
		.amdhsa_user_sgpr_count 2
		.amdhsa_user_sgpr_dispatch_ptr 0
		.amdhsa_user_sgpr_queue_ptr 0
		.amdhsa_user_sgpr_kernarg_segment_ptr 1
		.amdhsa_user_sgpr_dispatch_id 0
		.amdhsa_user_sgpr_kernarg_preload_length 0
		.amdhsa_user_sgpr_kernarg_preload_offset 0
		.amdhsa_user_sgpr_private_segment_size 0
		.amdhsa_uses_dynamic_stack 0
		.amdhsa_enable_private_segment 0
		.amdhsa_system_sgpr_workgroup_id_x 1
		.amdhsa_system_sgpr_workgroup_id_y 1
		.amdhsa_system_sgpr_workgroup_id_z 0
		.amdhsa_system_sgpr_workgroup_info 0
		.amdhsa_system_vgpr_workitem_id 0
		.amdhsa_next_free_vgpr 164
		.amdhsa_next_free_sgpr 63
		.amdhsa_accum_offset 144
		.amdhsa_reserve_vcc 1
		.amdhsa_float_round_mode_32 0
		.amdhsa_float_round_mode_16_64 0
		.amdhsa_float_denorm_mode_32 3
		.amdhsa_float_denorm_mode_16_64 3
		.amdhsa_dx10_clamp 1
		.amdhsa_ieee_mode 1
		.amdhsa_fp16_overflow 0
		.amdhsa_tg_split 0
		.amdhsa_exception_fp_ieee_invalid_op 0
		.amdhsa_exception_fp_denorm_src 0
		.amdhsa_exception_fp_ieee_div_zero 0
		.amdhsa_exception_fp_ieee_overflow 0
		.amdhsa_exception_fp_ieee_underflow 0
		.amdhsa_exception_fp_ieee_inexact 0
		.amdhsa_exception_int_div_zero 0
	.end_amdhsa_kernel
	.section	.text._ZN12_GLOBAL__N_139chunk_gated_delta_rule_fwd_h_hip_kernelILi32ELb0ELb0ELb1ELb1ELb1ELb1ELb1ELb1EEEvPK12hip_bfloat16S3_S3_PKfS5_PKvPS1_S8_PvPKiSB_iiiiilll,"axG",@progbits,_ZN12_GLOBAL__N_139chunk_gated_delta_rule_fwd_h_hip_kernelILi32ELb0ELb0ELb1ELb1ELb1ELb1ELb1ELb1EEEvPK12hip_bfloat16S3_S3_PKfS5_PKvPS1_S8_PvPKiSB_iiiiilll,comdat
.Lfunc_end263:
	.size	_ZN12_GLOBAL__N_139chunk_gated_delta_rule_fwd_h_hip_kernelILi32ELb0ELb0ELb1ELb1ELb1ELb1ELb1ELb1EEEvPK12hip_bfloat16S3_S3_PKfS5_PKvPS1_S8_PvPKiSB_iiiiilll, .Lfunc_end263-_ZN12_GLOBAL__N_139chunk_gated_delta_rule_fwd_h_hip_kernelILi32ELb0ELb0ELb1ELb1ELb1ELb1ELb1ELb1EEEvPK12hip_bfloat16S3_S3_PKfS5_PKvPS1_S8_PvPKiSB_iiiiilll
                                        ; -- End function
	.section	.AMDGPU.csdata,"",@progbits
; Kernel info:
; codeLenInByte = 8696
; NumSgprs: 69
; NumVgprs: 142
; NumAgprs: 20
; TotalNumVgprs: 164
; ScratchSize: 0
; MemoryBound: 0
; FloatMode: 240
; IeeeMode: 1
; LDSByteSize: 49152 bytes/workgroup (compile time only)
; SGPRBlocks: 8
; VGPRBlocks: 20
; NumSGPRsForWavesPerEU: 69
; NumVGPRsForWavesPerEU: 164
; AccumOffset: 144
; Occupancy: 1
; WaveLimiterHint : 1
; COMPUTE_PGM_RSRC2:SCRATCH_EN: 0
; COMPUTE_PGM_RSRC2:USER_SGPR: 2
; COMPUTE_PGM_RSRC2:TRAP_HANDLER: 0
; COMPUTE_PGM_RSRC2:TGID_X_EN: 1
; COMPUTE_PGM_RSRC2:TGID_Y_EN: 1
; COMPUTE_PGM_RSRC2:TGID_Z_EN: 0
; COMPUTE_PGM_RSRC2:TIDIG_COMP_CNT: 0
; COMPUTE_PGM_RSRC3_GFX90A:ACCUM_OFFSET: 35
; COMPUTE_PGM_RSRC3_GFX90A:TG_SPLIT: 0
	.section	.text._ZN12_GLOBAL__N_139chunk_gated_delta_rule_fwd_h_hip_kernelILi32ELb0ELb0ELb0ELb1ELb1ELb1ELb1ELb1EEEvPK12hip_bfloat16S3_S3_PKfS5_PKvPS1_S8_PvPKiSB_iiiiilll,"axG",@progbits,_ZN12_GLOBAL__N_139chunk_gated_delta_rule_fwd_h_hip_kernelILi32ELb0ELb0ELb0ELb1ELb1ELb1ELb1ELb1EEEvPK12hip_bfloat16S3_S3_PKfS5_PKvPS1_S8_PvPKiSB_iiiiilll,comdat
	.globl	_ZN12_GLOBAL__N_139chunk_gated_delta_rule_fwd_h_hip_kernelILi32ELb0ELb0ELb0ELb1ELb1ELb1ELb1ELb1EEEvPK12hip_bfloat16S3_S3_PKfS5_PKvPS1_S8_PvPKiSB_iiiiilll ; -- Begin function _ZN12_GLOBAL__N_139chunk_gated_delta_rule_fwd_h_hip_kernelILi32ELb0ELb0ELb0ELb1ELb1ELb1ELb1ELb1EEEvPK12hip_bfloat16S3_S3_PKfS5_PKvPS1_S8_PvPKiSB_iiiiilll
	.p2align	8
	.type	_ZN12_GLOBAL__N_139chunk_gated_delta_rule_fwd_h_hip_kernelILi32ELb0ELb0ELb0ELb1ELb1ELb1ELb1ELb1EEEvPK12hip_bfloat16S3_S3_PKfS5_PKvPS1_S8_PvPKiSB_iiiiilll,@function
_ZN12_GLOBAL__N_139chunk_gated_delta_rule_fwd_h_hip_kernelILi32ELb0ELb0ELb0ELb1ELb1ELb1ELb1ELb1EEEvPK12hip_bfloat16S3_S3_PKfS5_PKvPS1_S8_PvPKiSB_iiiiilll: ; @_ZN12_GLOBAL__N_139chunk_gated_delta_rule_fwd_h_hip_kernelILi32ELb0ELb0ELb0ELb1ELb1ELb1ELb1ELb1EEEvPK12hip_bfloat16S3_S3_PKfS5_PKvPS1_S8_PvPKiSB_iiiiilll
; %bb.0:
	s_load_dwordx4 s[12:15], s[0:1], 0x5c
	s_load_dwordx4 s[16:19], s[0:1], 0x70
	s_abs_i32 s21, s3
	s_ashr_i32 s20, s3, 31
	s_load_dwordx2 s[36:37], s[0:1], 0x30
	s_load_dwordx4 s[24:27], s[0:1], 0x48
	s_waitcnt lgkmcnt(0)
	s_abs_i32 s28, s13
	v_cvt_f32_u32_e32 v1, s28
	s_sub_i32 s22, 0, s28
	s_ashr_i32 s29, s13, 31
	s_xor_b32 s20, s20, s29
	v_rcp_iflag_f32_e32 v1, v1
	s_load_dwordx8 s[4:11], s[0:1], 0x0
	v_lshrrev_b32_e32 v61, 6, v0
	v_bfe_u32 v62, v0, 4, 2
	v_mul_f32_e32 v1, 0x4f7ffffe, v1
	v_cvt_u32_f32_e32 v1, v1
	v_lshlrev_b32_e32 v2, 2, v62
	v_and_b32_e32 v60, 63, v0
	v_mov_b32_e32 v5, 0
	v_readfirstlane_b32 s23, v1
	s_mul_i32 s22, s22, s23
	s_mul_hi_u32 s22, s23, s22
	s_add_i32 s23, s23, s22
	s_mul_hi_u32 s22, s21, s23
	s_mul_i32 s23, s22, s28
	s_sub_i32 s21, s21, s23
	s_add_i32 s30, s22, 1
	s_sub_i32 s23, s21, s28
	s_cmp_ge_u32 s21, s28
	s_cselect_b32 s22, s30, s22
	s_cselect_b32 s21, s23, s21
	s_add_i32 s23, s22, 1
	s_cmp_ge_u32 s21, s28
	s_cselect_b32 s21, s23, s22
	s_xor_b32 s21, s21, s20
	s_sub_i32 s20, s21, s20
	s_mul_i32 s21, s20, s13
	s_sub_i32 s33, s3, s21
	s_ashr_i32 s21, s20, 31
	s_lshl_b64 s[22:23], s[20:21], 2
	s_add_u32 s24, s24, s22
	s_addc_u32 s25, s25, s23
	s_add_u32 s22, s26, s22
	s_addc_u32 s23, s27, s23
	s_abs_i32 s3, s14
	v_cvt_f32_u32_e32 v1, s3
	s_load_dwordx2 s[34:35], s[24:25], 0x0
	s_sub_i32 s25, 0, s3
	s_load_dword s46, s[22:23], 0x0
	v_rcp_iflag_f32_e32 v1, v1
	v_and_b32_e32 v45, 15, v0
	s_waitcnt lgkmcnt(0)
	s_sub_i32 s47, s35, s34
	s_ashr_i32 s24, s47, 31
	v_mul_f32_e32 v1, 0x4f7ffffe, v1
	v_cvt_u32_f32_e32 v1, v1
	s_lshr_b32 s24, s24, 26
	s_add_i32 s24, s47, s24
	s_ashr_i32 s45, s24, 6
	v_readfirstlane_b32 s26, v1
	s_mul_i32 s25, s25, s26
	s_mul_hi_u32 s25, s26, s25
	s_add_i32 s26, s26, s25
	s_mul_hi_u32 s25, s28, s26
	s_mul_i32 s26, s25, s3
	s_ashr_i32 s24, s14, 31
	s_sub_i32 s26, s28, s26
	s_xor_b32 s24, s29, s24
	s_add_i32 s27, s25, 1
	s_sub_i32 s28, s26, s3
	s_cmp_ge_u32 s26, s3
	s_cselect_b32 s25, s27, s25
	s_cselect_b32 s26, s28, s26
	s_add_i32 s27, s25, 1
	s_cmp_ge_u32 s26, s3
	s_cselect_b32 s3, s27, s25
	s_xor_b32 s3, s3, s24
	s_sub_i32 s3, s3, s24
	s_abs_i32 s24, s3
	v_cvt_f32_u32_e32 v1, s24
	s_sub_i32 s23, 0, s24
	s_abs_i32 s22, s33
	s_xor_b32 s3, s33, s3
	v_rcp_iflag_f32_e32 v1, v1
	s_ashr_i32 s3, s3, 31
	s_load_dwordx2 s[28:29], s[0:1], 0x80
	s_mul_hi_i32 s48, s33, s12
	v_mul_f32_e32 v1, 0x4f7ffffe, v1
	v_cvt_u32_f32_e32 v1, v1
	s_mul_i32 s49, s33, s12
	v_lshrrev_b32_e32 v64, 3, v60
	v_lshlrev_b32_e32 v63, 3, v0
	v_readfirstlane_b32 s25, v1
	s_mul_i32 s23, s23, s25
	s_mul_hi_u32 s23, s25, s23
	s_add_i32 s25, s25, s23
	s_mul_hi_u32 s23, s22, s25
	s_mul_i32 s25, s23, s24
	s_sub_i32 s22, s22, s25
	s_add_i32 s25, s23, 1
	s_sub_i32 s26, s22, s24
	s_cmp_ge_u32 s22, s24
	s_cselect_b32 s23, s25, s23
	s_cselect_b32 s22, s26, s22
	s_add_i32 s25, s23, 1
	s_cmp_ge_u32 s22, s24
	s_cselect_b32 s22, s25, s23
	s_xor_b32 s22, s22, s3
	v_lshlrev_b32_e32 v1, 4, v61
	s_sub_i32 s50, s22, s3
	v_or_b32_e32 v65, v2, v1
	s_lshl_b32 s30, s2, 5
	v_or_b32_e32 v66, 64, v65
	s_cmp_lt_i32 s47, 64
	s_mul_i32 s42, s20, s17
	s_mul_hi_u32 s43, s20, s16
	s_mul_i32 s44, s21, s16
	s_mul_i32 s16, s20, s16
	v_mov_b32_e32 v84, 0
	v_mov_b32_e32 v81, 0
	;; [unrolled: 1-line block ×15, first 2 shown]
	s_cbranch_scc1 .LBB264_18
; %bb.1:
	s_ashr_i32 s53, s33, 31
	s_ashr_i32 s3, s34, 31
	s_add_u32 s2, s49, s34
	s_addc_u32 s3, s48, s3
	s_lshl_b64 s[2:3], s[2:3], 8
	v_and_b32_e32 v68, 56, v63
	s_add_u32 s20, s6, s2
	v_lshl_or_b32 v67, v61, 3, v64
	v_lshlrev_b32_e32 v3, 1, v68
	s_addc_u32 s2, s7, s3
	v_lshl_or_b32 v69, v67, 8, v3
	s_and_b32 s21, s2, 0xffff
	s_mov_b32 s23, 0x20000
	s_movk_i32 s22, 0x4000
	s_movk_i32 s2, 0x80
	v_or_b32_e32 v70, 0x2000, v69
	buffer_load_dwordx4 v[4:7], v69, s[20:23], 0 offen
	buffer_load_dwordx4 v[8:11], v69, s[20:23], s2 offen
	;; [unrolled: 1-line block ×4, first 2 shown]
	v_lshlrev_b32_e32 v20, 3, v67
	v_and_or_b32 v22, v0, 7, v20
	v_and_b32_e32 v20, 0x78, v20
	v_lshlrev_b32_e32 v22, 4, v22
	v_xor_b32_e32 v71, v22, v20
	v_mul_lo_u32 v21, v67, s15
	v_or_b32_e32 v72, 0x1000, v71
	s_cmpk_eq_i32 s15, 0x80
	s_mov_b32 s51, s13
	s_mov_b32 s52, s34
	v_xor_b32_e32 v20, 8, v71
	v_xor_b32_e32 v22, 8, v72
	s_cselect_b64 s[2:3], -1, 0
	s_cmpk_lg_i32 s15, 0x80
	s_waitcnt vmcnt(3)
	ds_write_b64 v71, v[4:5] offset:24576
	ds_write_b64 v20, v[6:7] offset:24576
	s_waitcnt vmcnt(2)
	ds_write_b64 v71, v[8:9] offset:32768
	ds_write_b64 v20, v[10:11] offset:32768
	;; [unrolled: 3-line block ×4, first 2 shown]
	v_lshl_add_u32 v4, v21, 1, v68
	s_cbranch_scc0 .LBB264_3
; %bb.2:
	v_lshlrev_b32_e32 v6, 1, v4
	v_add_lshl_u32 v5, v4, s15, 1
	s_lshl_b32 s22, s15, 7
	s_load_dwordx2 s[38:39], s[0:1], 0x20
	v_lshl_or_b32 v3, v67, 9, v3
	s_cbranch_execz .LBB264_4
	s_branch .LBB264_5
.LBB264_3:
                                        ; implicit-def: $vgpr5
                                        ; implicit-def: $vgpr6
                                        ; implicit-def: $sgpr22
	s_load_dwordx2 s[38:39], s[0:1], 0x20
	v_lshl_or_b32 v3, v67, 9, v3
.LBB264_4:
	v_or_b32_e32 v5, 0x100, v3
	s_movk_i32 s22, 0x4000
	v_mov_b32_e32 v6, v3
.LBB264_5:
	s_mul_i32 s0, s34, s14
	s_ashr_i32 s54, s50, 31
	s_mul_hi_i32 s1, s34, s14
	s_add_u32 s0, s0, s50
	s_addc_u32 s1, s1, s54
	s_lshl_b64 s[0:1], s[0:1], 8
	s_add_u32 s20, s4, s0
	s_addc_u32 s0, s5, s1
	s_and_b32 s21, s0, 0xffff
	s_movk_i32 s55, 0x80
	buffer_load_dwordx4 v[8:11], v6, s[20:23], 0 offen
	buffer_load_dwordx4 v[12:15], v6, s[20:23], s55 offen
	;; [unrolled: 1-line block ×4, first 2 shown]
	v_and_b32_e32 v5, 6, v0
	v_lshlrev_b32_e32 v24, 6, v65
	v_or_b32_e32 v26, 16, v45
	v_xor_b32_e32 v27, v67, v5
	v_and_b32_e32 v6, 1, v0
	v_lshl_or_b32 v30, v45, 3, v24
	v_lshl_or_b32 v24, v26, 3, v24
	v_lshlrev_b32_e32 v27, 2, v27
	v_lshlrev_b32_e32 v7, 2, v45
	s_mul_i32 s0, s33, s19
	s_mul_hi_u32 s1, s33, s18
	v_or_b32_e32 v75, 0xa000, v24
	v_or_b32_e32 v76, 0xb000, v24
	v_xor_b32_e32 v24, 0x440, v27
	v_cmp_eq_u32_e32 vcc, 0, v6
	s_add_i32 s17, s43, s42
	s_mul_i32 s20, s53, s18
	v_xor_b32_e32 v28, v65, v7
	v_xor_b32_e32 v29, v66, v7
	v_cndmask_b32_e32 v6, v24, v27, vcc
	s_add_i32 s0, s1, s0
	s_add_i32 s17, s17, s44
	s_mov_b32 s56, 0x1000504
	v_lshlrev_b32_e32 v25, 8, v45
	v_lshlrev_b32_e32 v26, 8, v26
	v_lshlrev_b32_e32 v28, 1, v28
	v_lshlrev_b32_e32 v29, 1, v29
	v_lshl_or_b32 v5, v5, 10, v6
	s_add_i32 s1, s0, s20
	s_lshl_b64 s[20:21], s[16:17], 2
	s_mov_b32 s57, 0x3020706
	v_or_b32_e32 v73, 0xa000, v30
	v_or_b32_e32 v74, 0xb000, v30
	;; [unrolled: 1-line block ×5, first 2 shown]
	v_xor_b32_e32 v6, 8, v5
	v_xor_b32_e32 v25, 24, v5
	;; [unrolled: 1-line block ×4, first 2 shown]
	s_mul_i32 s0, s33, s18
	s_add_u32 s17, s10, s20
	v_or_b32_e32 v79, v26, v28
	v_xor_b32_e32 v24, 16, v5
	v_xor_b32_e32 v26, 32, v5
	v_xor_b32_e32 v28, 48, v5
	v_add_u32_e32 v6, 0x80, v6
	v_add_u32_e32 v25, 0x80, v25
	;; [unrolled: 1-line block ×4, first 2 shown]
	s_addc_u32 s20, s11, s21
	s_lshl_b64 s[0:1], s[0:1], 2
	s_add_u32 s40, s17, s0
	s_movk_i32 s0, 0xf8
	s_addc_u32 s41, s20, s1
	s_ashr_i32 s31, s30, 31
	s_lshl_b32 s26, s15, 7
	s_movk_i32 s20, 0x100
	v_mov_b32_e32 v53, 0
	v_lshlrev_b32_e32 v52, 4, v45
	v_cmp_gt_u32_e32 vcc, s20, v0
	s_mov_b32 s58, 0
	s_movk_i32 s17, 0x1000
	s_movk_i32 s22, 0x4000
	v_add_u32_e32 v100, v1, v2
	v_mov_b32_e32 v50, v53
	v_mov_b32_e32 v51, v53
	;; [unrolled: 1-line block ×13, first 2 shown]
	s_waitcnt vmcnt(1)
	v_perm_b32 v30, v8, v16, s56
	s_waitcnt vmcnt(0)
	v_perm_b32 v31, v12, v20, s56
	v_perm_b32 v8, v8, v16, s57
	;; [unrolled: 1-line block ×15, first 2 shown]
	ds_write2st64_b32 v5, v30, v31 offset0:32 offset1:64
	ds_write2st64_b32 v6, v8, v12 offset0:32 offset1:64
	;; [unrolled: 1-line block ×8, first 2 shown]
	v_or_b32_e32 v5, v1, v45
	v_lshlrev_b32_e32 v5, 3, v5
	v_lshrrev_b32_e32 v8, 5, v60
	v_and_or_b32 v8, v5, s0, v8
	v_lshrrev_b32_e32 v6, 2, v60
	v_lshlrev_b32_e32 v11, 11, v61
	v_lshlrev_b32_e32 v8, 4, v8
	v_and_b32_e32 v5, 0x78, v5
	v_and_b32_e32 v9, 12, v6
	;; [unrolled: 1-line block ×3, first 2 shown]
	v_xor_b32_e32 v10, v8, v5
	v_lshrrev_b32_e32 v12, 1, v60
	v_or_b32_e32 v10, v10, v6
	v_and_b32_e32 v12, 8, v12
	v_xor_b32_e32 v83, v10, v12
	v_or_b32_e32 v10, 32, v8
	v_xor_b32_e32 v10, v10, v5
	v_or_b32_e32 v10, v10, v6
	;; [unrolled: 2-line block ×3, first 2 shown]
	v_or_b32_e32 v8, 0x60, v8
	v_xor_b32_e32 v10, v10, v5
	v_xor_b32_e32 v5, v8, v5
	s_lshl_b64 s[0:1], s[30:31], 8
	v_or_b32_e32 v10, v10, v6
	v_or_b32_e32 v5, v5, v6
	v_lshlrev_b32_e32 v14, 1, v4
	v_add_lshl_u32 v15, v4, s15, 1
	s_add_u32 s0, s36, s0
	v_lshlrev_b32_e32 v4, 1, v45
	v_xor_b32_e32 v91, v10, v12
	v_xor_b32_e32 v92, v5, v12
	v_lshrrev_b32_e32 v10, 4, v0
	s_addc_u32 s1, s37, s1
	v_or_b32_e32 v5, 1, v4
	v_mov_b32_e32 v20, 0x4000
	v_mov_b32_e32 v21, 0x2000
	v_lshrrev_b32_e32 v22, 1, v0
	v_xor_b32_e32 v12, v10, v4
	v_xor_b32_e32 v17, v5, v10
	v_lshl_add_u64 v[4:5], s[0:1], 0, v[52:53]
	v_lshlrev_b32_e32 v52, 8, v10
	v_cndmask_b32_e32 v20, v20, v21, vcc
	v_lshlrev_b32_e32 v21, 3, v61
	v_and_b32_e32 v22, 24, v22
	v_lshl_or_b32 v95, v12, 3, v52
	v_and_b32_e32 v12, 8, v0
	v_xor_b32_e32 v23, v21, v22
	v_or_b32_e32 v24, 0x440, v23
	v_cmp_eq_u32_e32 vcc, 0, v12
	v_and_b32_e32 v10, 7, v0
	v_lshlrev_b32_e32 v13, 7, v62
	v_cndmask_b32_e32 v12, v24, v23, vcc
	v_lshl_or_b32 v96, v17, 3, v52
	v_lshlrev_b32_e32 v17, 3, v10
	v_lshlrev_b32_e32 v19, 2, v0
	v_or_b32_e32 v12, v12, v11
	v_or_b32_e32 v7, v13, v7
	v_xor_b32_e32 v23, v12, v17
	v_and_or_b32 v12, v19, 60, v13
	v_mov_b32_e32 v13, 0xb000
	v_lshl_or_b32 v97, v12, 1, v13
	v_or_b32_e32 v12, 32, v22
	v_xor_b32_e32 v12, v21, v12
	v_or_b32_e32 v13, 0x440, v12
	v_cndmask_b32_e32 v12, v13, v12, vcc
	v_or_b32_e32 v12, v12, v11
	v_xor_b32_e32 v13, v12, v17
	v_or_b32_e32 v12, 64, v22
	v_xor_b32_e32 v12, v21, v12
	v_xor_b32_e32 v25, 0x440, v12
	v_cndmask_b32_e32 v12, v25, v12, vcc
	v_or_b32_e32 v12, v12, v11
	v_xor_b32_e32 v25, v12, v17
	v_or_b32_e32 v12, 0x60, v22
	v_xor_b32_e32 v12, v21, v12
	v_xor_b32_e32 v21, 0x440, v12
	v_cndmask_b32_e32 v12, v21, v12, vcc
	v_or_b32_e32 v11, v12, v11
	v_lshlrev_b32_e32 v7, 1, v7
	v_or_b32_e32 v6, s30, v45
	v_xor_b32_e32 v11, v11, v17
	v_or_b32_e32 v87, 0xa000, v7
	v_or_b32_e32 v90, 0xa080, v7
	;; [unrolled: 1-line block ×4, first 2 shown]
	v_lshlrev_b32_e32 v8, 7, v65
	v_ashrrev_i32_e32 v7, 31, v6
	v_or_b32_e32 v16, 0x100, v3
	v_lshlrev_b32_e32 v18, 7, v10
	v_or_b32_e32 v10, v9, v1
	v_add_u32_e32 v24, v20, v23
	v_add_u32_e32 v19, v20, v13
	;; [unrolled: 1-line block ×4, first 2 shown]
	v_or3_b32 v12, v1, v9, 64
	v_add_u32_e32 v9, 0x4000, v23
	v_add_u32_e32 v13, 0x4000, v13
	;; [unrolled: 1-line block ×4, first 2 shown]
	v_cndmask_b32_e64 v98, v14, v3, s[2:3]
	v_cndmask_b32_e64 v99, v15, v16, s[2:3]
	v_lshl_add_u64 v[56:57], v[6:7], 1, s[8:9]
	v_lshl_add_u64 v[58:59], v[4:5], 0, v[52:53]
	s_mov_b32 s31, 0x7060302
	v_lshlrev_b32_e32 v52, 1, v8
	v_lshlrev_b32_e32 v101, 2, v10
	v_add_u32_e32 v102, v24, v18
	v_add_u32_e32 v103, v19, v18
	;; [unrolled: 1-line block ×4, first 2 shown]
	v_lshlrev_b32_e32 v106, 2, v12
	v_add_u32_e32 v107, v9, v18
	v_add_u32_e32 v108, v13, v18
	;; [unrolled: 1-line block ×4, first 2 shown]
	v_mov_b32_e32 v81, v53
	v_mov_b32_e32 v84, v53
	;; [unrolled: 1-line block ×3, first 2 shown]
	s_waitcnt lgkmcnt(0)
	s_barrier
.LBB264_6:                              ; =>This Inner Loop Header: Depth=1
	s_add_i32 s59, s58, 1
	s_cmp_lt_i32 s59, s45
	s_mov_b64 s[24:25], 0
	s_cselect_b64 s[2:3], -1, 0
	s_cmp_ge_i32 s59, s45
	s_mov_b64 s[20:21], 0
	s_cbranch_scc1 .LBB264_8
; %bb.7:                                ;   in Loop: Header=BB264_6 Depth=1
	s_add_i32 s0, s52, 64
	s_ashr_i32 s1, s0, 31
	s_add_u32 s0, s49, s0
	s_addc_u32 s1, s48, s1
	s_lshl_b64 s[0:1], s[0:1], 8
	s_add_u32 s20, s6, s0
	s_addc_u32 s21, s7, s1
.LBB264_8:                              ;   in Loop: Header=BB264_6 Depth=1
	v_cndmask_b32_e64 v2, 0, 1, s[2:3]
	v_cmp_ne_u32_e64 s[0:1], 1, v2
	s_andn2_b64 vcc, exec, s[2:3]
	s_cbranch_vccnz .LBB264_10
; %bb.9:                                ;   in Loop: Header=BB264_6 Depth=1
	s_add_i32 s2, s52, 64
	s_mul_hi_i32 s3, s2, s14
	s_mul_i32 s2, s2, s14
	s_add_u32 s2, s2, s50
	s_addc_u32 s3, s3, s54
	s_lshl_b64 s[2:3], s[2:3], 8
	s_add_u32 s24, s4, s2
	s_addc_u32 s25, s5, s3
.LBB264_10:                             ;   in Loop: Header=BB264_6 Depth=1
	v_perm_b32 v3, v55, v54, s31
	v_perm_b32 v2, v51, v50, s31
	v_perm_b32 v5, v49, v48, s31
	v_perm_b32 v4, v47, v46, s31
	ds_write_b64 v73, v[2:3]
	ds_write_b64 v74, v[4:5]
	;; [unrolled: 1-line block ×4, first 2 shown]
	v_perm_b32 v3, v112, v88, s31
	v_perm_b32 v2, v85, v86, s31
	;; [unrolled: 1-line block ×4, first 2 shown]
	ds_write_b64 v75, v[2:3]
	ds_write_b64 v76, v[4:5]
	;; [unrolled: 1-line block ×4, first 2 shown]
	s_waitcnt lgkmcnt(0)
	s_barrier
	ds_read_b64 v[6:7], v83 offset:24576
	ds_read2_b64 v[2:5], v87 offset1:16
	ds_read_b64 v[10:11], v90 offset:3072
	ds_read_b64 v[12:13], v87 offset:3072
	;; [unrolled: 1-line block ×3, first 2 shown]
	s_waitcnt lgkmcnt(3)
	v_mfma_f32_16x16x16_bf16 a[0:3], v[6:7], v[2:3], 0
	s_add_i32 s60, s52, 63
	s_ashr_i32 s2, s60, 31
	s_mul_i32 s3, s60, s29
	v_mfma_f32_16x16x16_bf16 a[4:7], v[6:7], v[4:5], 0
	ds_read2st64_b64 v[2:5], v87 offset0:2 offset1:4
	s_mul_hi_u32 s27, s60, s28
	s_add_i32 s3, s27, s3
	s_waitcnt lgkmcnt(0)
	v_mfma_f32_16x16x16_bf16 a[0:3], v[14:15], v[2:3], a[0:3]
	ds_read2st64_b64 v[6:9], v90 offset0:2 offset1:4
	ds_read_b64 v[2:3], v91 offset:24576
	s_mul_i32 s2, s2, s28
	s_add_i32 s3, s3, s2
	s_waitcnt lgkmcnt(1)
	v_mfma_f32_16x16x16_bf16 a[4:7], v[14:15], v[6:7], a[4:7]
	ds_read_b64 v[6:7], v92 offset:24576
	s_mul_i32 s2, s60, s28
	s_lshl_b64 s[2:3], s[2:3], 2
	s_waitcnt lgkmcnt(1)
	v_mfma_f32_16x16x16_bf16 a[0:3], v[2:3], v[4:5], a[0:3]
	s_add_u32 s2, s40, s2
	s_addc_u32 s3, s41, s3
	s_and_b64 vcc, exec, s[0:1]
	v_mfma_f32_16x16x16_bf16 a[4:7], v[2:3], v[8:9], a[4:7]
	v_mov_b32_e32 v115, 0
	v_mov_b32_e32 v114, 0
	;; [unrolled: 1-line block ×3, first 2 shown]
	s_waitcnt lgkmcnt(0)
	v_mfma_f32_16x16x16_bf16 a[0:3], v[6:7], v[12:13], a[0:3]
	v_mov_b32_e32 v2, 0
	v_mov_b32_e32 v3, 0
	v_mov_b32_e32 v4, 0
	v_mfma_f32_16x16x16_bf16 a[4:7], v[6:7], v[10:11], a[4:7]
	v_mov_b32_e32 v5, 0
	v_mov_b32_e32 v6, 0
	;; [unrolled: 1-line block ×13, first 2 shown]
	s_cbranch_vccnz .LBB264_12
; %bb.11:                               ;   in Loop: Header=BB264_6 Depth=1
	s_and_b32 s21, s21, 0xffff
	buffer_load_dwordx4 v[14:17], v69, s[20:23], 0 offen
	buffer_load_dwordx4 v[10:13], v69, s[20:23], s55 offen
	;; [unrolled: 1-line block ×4, first 2 shown]
	v_mov_b32_e32 v114, v71
	v_mov_b32_e32 v113, v72
.LBB264_12:                             ;   in Loop: Header=BB264_6 Depth=1
	ds_read_b64 v[22:23], v83 offset:32768
	ds_read2_b64 v[18:21], v93 offset1:16
	ds_read_b64 v[26:27], v89 offset:32768
	ds_read_b64 v[28:29], v91 offset:32768
	;; [unrolled: 1-line block ×3, first 2 shown]
	v_add_u32_e32 v34, s52, v100
	s_waitcnt lgkmcnt(3)
	v_mfma_f32_16x16x16_bf16 a[0:3], v[22:23], v[18:19], a[0:3]
	v_mov_b32_e32 v116, 0
	v_mfma_f32_16x16x16_bf16 a[4:7], v[22:23], v[20:21], a[4:7]
	ds_read2st64_b64 v[18:21], v93 offset0:2 offset1:4
	ds_read2st64_b64 v[22:25], v94 offset0:2 offset1:4
	s_waitcnt lgkmcnt(1)
	v_mfma_f32_16x16x16_bf16 a[0:3], v[26:27], v[18:19], a[0:3]
	ds_read_b64 v[18:19], v93 offset:3072
	ds_read_b64 v[32:33], v94 offset:3072
	s_waitcnt lgkmcnt(2)
	v_mfma_f32_16x16x16_bf16 a[4:7], v[26:27], v[22:23], a[4:7]
	v_ashrrev_i32_e32 v22, 31, v34
	v_mul_lo_u32 v23, v34, s29
	v_mul_lo_u32 v22, v22, s28
	v_mfma_f32_16x16x16_bf16 a[0:3], v[28:29], v[20:21], a[0:3]
	v_mad_u64_u32 v[20:21], s[20:21], v34, s28, 0
	v_add3_u32 v21, v21, v23, v22
	v_add_u32_e32 v22, 1, v34
	v_ashrrev_i32_e32 v23, 31, v22
	v_mfma_f32_16x16x16_bf16 a[4:7], v[28:29], v[24:25], a[4:7]
	v_mul_lo_u32 v23, v23, s28
	v_mul_lo_u32 v24, v22, s29
	v_lshl_add_u64 v[20:21], v[20:21], 2, s[40:41]
	s_waitcnt lgkmcnt(1)
	v_mfma_f32_16x16x16_bf16 a[0:3], v[30:31], v[18:19], a[0:3]
	v_mad_u64_u32 v[18:19], s[20:21], v22, s28, 0
	v_add_u32_e32 v22, 2, v34
	v_add3_u32 v19, v19, v24, v23
	v_ashrrev_i32_e32 v23, 31, v22
	v_mul_lo_u32 v24, v23, s28
	v_mul_lo_u32 v25, v22, s29
	v_mad_u64_u32 v[22:23], s[20:21], v22, s28, 0
	v_add3_u32 v23, v23, v25, v24
	v_add_u32_e32 v24, 3, v34
	v_ashrrev_i32_e32 v25, 31, v24
	v_mul_lo_u32 v26, v25, s28
	v_mul_lo_u32 v27, v24, s29
	v_mad_u64_u32 v[24:25], s[20:21], v24, s28, 0
	v_add3_u32 v25, v25, v27, v26
	v_lshl_add_u64 v[24:25], v[24:25], 2, s[40:41]
	s_ashr_i32 s21, s52, 31
	v_lshl_add_u64 v[18:19], v[18:19], 2, s[40:41]
	v_lshl_add_u64 v[22:23], v[22:23], 2, s[40:41]
	global_load_dword v26, v[20:21], off
	global_load_dword v27, v[18:19], off
	global_load_dword v28, v[22:23], off
	s_nop 0
	global_load_dword v25, v[24:25], off
	s_add_u32 s20, s49, s52
	s_addc_u32 s21, s48, s21
	s_lshl_b64 s[20:21], s[20:21], 8
	v_lshl_add_u64 v[18:19], v[56:57], 0, s[20:21]
	v_lshl_add_u64 v[18:19], v[18:19], 0, v[52:53]
	global_load_ushort v29, v[18:19], off
	global_load_ushort v34, v[18:19], off offset:256
	global_load_ushort v35, v[18:19], off offset:800
	;; [unrolled: 1-line block ×7, first 2 shown]
	s_load_dword s2, s[2:3], 0x0
	s_waitcnt lgkmcnt(0)
	v_mfma_f32_16x16x16_bf16 a[4:7], v[30:31], v[32:33], a[4:7]
	v_accvgpr_read_b32 v23, a1
	v_accvgpr_read_b32 v19, a3
	v_accvgpr_read_b32 v18, a2
	v_accvgpr_read_b32 v22, a0
	s_and_b64 vcc, exec, s[0:1]
	s_waitcnt vmcnt(11)
	v_sub_f32_e32 v24, s2, v26
	s_waitcnt vmcnt(10)
	v_sub_f32_e32 v32, s2, v27
	;; [unrolled: 2-line block ×4, first 2 shown]
	v_exp_f32_e32 v24, v24
	v_exp_f32_e32 v25, v32
	;; [unrolled: 1-line block ×4, first 2 shown]
	s_waitcnt vmcnt(6)
	v_lshlrev_b32_e32 v27, 16, v34
	v_lshlrev_b32_e32 v26, 16, v29
	s_waitcnt vmcnt(4)
	v_lshlrev_b32_e32 v29, 16, v36
	s_waitcnt vmcnt(2)
	v_lshlrev_b32_e32 v28, 16, v38
	v_pk_add_f32 v[22:23], v[26:27], v[22:23] neg_lo:[0,1] neg_hi:[0,1]
	v_pk_add_f32 v[18:19], v[28:29], v[18:19] neg_lo:[0,1] neg_hi:[0,1]
	v_pk_mul_f32 v[22:23], v[24:25], v[22:23]
	v_pk_mul_f32 v[18:19], v[32:33], v[18:19]
	s_waitcnt vmcnt(1)
	v_lshlrev_b32_e32 v31, 16, v39
	v_perm_b32 v19, v19, v18, s31
	v_perm_b32 v18, v23, v22, s31
	v_accvgpr_read_b32 v23, a5
	s_waitcnt vmcnt(0)
	v_lshlrev_b32_e32 v30, 16, v40
	v_accvgpr_read_b32 v22, a4
	v_pk_add_f32 v[22:23], v[30:31], v[22:23] neg_lo:[0,1] neg_hi:[0,1]
	v_accvgpr_read_b32 v21, a7
	v_accvgpr_read_b32 v20, a6
	v_pk_mul_f32 v[22:23], v[24:25], v[22:23]
	v_lshlrev_b32_e32 v25, 16, v35
	v_lshlrev_b32_e32 v24, 16, v37
	v_pk_add_f32 v[20:21], v[24:25], v[20:21] neg_lo:[0,1] neg_hi:[0,1]
	v_mov_b32_e32 v24, 0
	v_pk_mul_f32 v[20:21], v[32:33], v[20:21]
	v_mov_b32_e32 v25, 0
	v_perm_b32 v21, v21, v20, s31
	v_perm_b32 v20, v23, v22, s31
	ds_write2_b64 v74, v[18:19], v[20:21] offset1:16
	v_mov_b32_e32 v18, 0
	v_mov_b32_e32 v19, 0
	;; [unrolled: 1-line block ×14, first 2 shown]
	s_cbranch_vccnz .LBB264_14
; %bb.13:                               ;   in Loop: Header=BB264_6 Depth=1
	s_and_b32 s25, s25, 0xffff
	s_mov_b32 s27, s23
	buffer_load_dwordx4 v[30:33], v98, s[24:27], 0 offen
	buffer_load_dwordx4 v[22:25], v98, s[24:27], s55 offen
	;; [unrolled: 1-line block ×4, first 2 shown]
	v_mov_b32_e32 v115, v68
	v_mov_b32_e32 v116, v67
.LBB264_14:                             ;   in Loop: Header=BB264_6 Depth=1
	s_waitcnt lgkmcnt(0)
	s_barrier
	ds_read_b64 v[38:39], v102
	ds_read_b64 v[122:123], v97
	;; [unrolled: 1-line block ×5, first 2 shown]
	ds_read_b64 v[136:137], v94 offset:3072
	ds_read2_b64 v[34:37], v93 offset0:16 offset1:128
	s_waitcnt lgkmcnt(5)
	v_mfma_f32_16x16x16_bf16 a[0:3], v[38:39], v[122:123], 0
	s_add_i32 s3, s46, s58
	s_mul_hi_i32 s21, s3, s51
	s_mul_i32 s3, s3, s51
	s_waitcnt lgkmcnt(0)
	v_mfma_f32_16x16x16_bf16 a[4:7], v[38:39], v[34:35], 0
	ds_read_b64 v[38:39], v107
	ds_read2st64_b64 v[40:43], v94 offset0:2 offset1:4
	s_add_u32 s20, s3, s33
	s_addc_u32 s21, s21, s53
	s_lshl_b64 s[20:21], s[20:21], 15
	s_mul_i32 s24, s60, s51
	s_mul_hi_i32 s3, s60, s51
	s_add_u32 s24, s24, s33
	s_waitcnt lgkmcnt(1)
	v_mfma_f32_16x16x16_bf16 a[8:11], v[38:39], v[122:123], 0
	s_addc_u32 s25, s3, s53
	ds_read2st64_b64 v[118:121], v93 offset0:4 offset1:6
	s_lshl_b64 s[24:25], s[24:25], 9
	v_mfma_f32_16x16x16_bf16 a[0:3], v[124:125], v[36:37], a[0:3]
	s_add_u32 s24, s38, s24
	s_addc_u32 s25, s39, s25
	s_waitcnt lgkmcnt(1)
	v_mfma_f32_16x16x16_bf16 a[4:7], v[124:125], v[40:41], a[4:7]
	ds_read_b64 v[124:125], v108
	ds_read_b64 v[132:133], v109
	;; [unrolled: 1-line block ×3, first 2 shown]
	v_mfma_f32_16x16x16_bf16 a[12:15], v[38:39], v[34:35], 0
	s_waitcnt lgkmcnt(2)
	v_mfma_f32_16x16x16_bf16 a[8:11], v[124:125], v[36:37], a[8:11]
	global_load_dwordx4 v[34:37], v106, s[24:25]
	v_mfma_f32_16x16x16_bf16 a[12:15], v[124:125], v[40:41], a[12:15]
	global_load_dwordx4 v[38:41], v101, s[24:25]
	ds_read2st64_b64 v[122:125], v95 offset1:8
	s_waitcnt lgkmcnt(0)
	v_mov_b32_e32 v130, v122
	v_mfma_f32_16x16x16_bf16 a[0:3], v[126:127], v[118:119], a[0:3]
	v_mov_b32_e32 v131, v123
	v_mfma_f32_16x16x16_bf16 a[4:7], v[126:127], v[42:43], a[4:7]
	ds_read2st64_b64 v[126:129], v96 offset1:8
	v_mfma_f32_16x16x16_bf16 a[8:11], v[132:133], v[118:119], a[8:11]
	v_lshl_add_u64 v[118:119], v[58:59], 0, s[20:21]
	v_mfma_f32_16x16x16_bf16 a[16:19], v[132:133], v[42:43], a[12:15]
	v_add_co_u32_e32 v42, vcc, s17, v118
	s_waitcnt lgkmcnt(0)
	v_mov_b32_e32 v132, v126
	v_mfma_f32_16x16x16_bf16 a[0:3], v[134:135], v[120:121], a[0:3]
	v_mov_b32_e32 v133, v127
	v_mov_b32_e32 v126, v124
	;; [unrolled: 1-line block ×3, first 2 shown]
	v_mfma_f32_16x16x16_bf16 a[4:7], v[134:135], v[136:137], a[4:7]
	v_addc_co_u32_e32 v43, vcc, 0, v119, vcc
	global_store_dwordx4 v[42:43], v[126:129], off
	v_mfma_f32_16x16x16_bf16 a[12:15], v[138:139], v[120:121], a[8:11]
	s_and_b64 vcc, exec, s[0:1]
	global_store_dwordx4 v[118:119], v[130:133], off
	s_waitcnt vmcnt(3)
	v_mov_b32_e32 v44, v37
	v_mfma_f32_16x16x16_bf16 a[8:11], v[138:139], v[136:137], a[16:19]
	v_mov_b32_e32 v43, v36
	v_mov_b32_e32 v42, v35
	s_cbranch_vccnz .LBB264_16
; %bb.15:                               ;   in Loop: Header=BB264_6 Depth=1
	v_lshrrev_b32_e32 v35, 3, v115
	v_and_b32_e32 v35, 6, v35
	v_xor_b32_e32 v36, v35, v116
	v_lshlrev_b32_e32 v36, 2, v36
	v_and_b32_e32 v37, 8, v115
	v_xor_b32_e32 v115, 0x440, v36
	v_cmp_eq_u32_e32 vcc, 0, v37
	v_perm_b32 v37, v22, v18, s56
	s_nop 0
	v_cndmask_b32_e32 v36, v115, v36, vcc
	v_lshl_or_b32 v35, v35, 10, v36
	v_perm_b32 v36, v30, v26, s56
	s_barrier
	ds_write2st64_b32 v35, v36, v37 offset0:32 offset1:64
	v_xor_b32_e32 v36, 8, v35
	v_perm_b32 v26, v30, v26, s57
	v_perm_b32 v18, v22, v18, s57
	v_add_u32_e32 v22, 0x80, v36
	ds_write2st64_b32 v22, v26, v18 offset0:32 offset1:64
	v_xor_b32_e32 v18, 16, v35
	v_perm_b32 v22, v31, v27, s56
	v_perm_b32 v26, v23, v19, s56
	ds_write2st64_b32 v18, v22, v26 offset0:33 offset1:65
	v_xor_b32_e32 v18, 24, v35
	v_perm_b32 v22, v31, v27, s57
	v_perm_b32 v19, v23, v19, s57
	v_add_u32_e32 v18, 0x80, v18
	ds_write2st64_b32 v18, v22, v19 offset0:33 offset1:65
	v_xor_b32_e32 v18, 32, v35
	v_perm_b32 v19, v32, v28, s56
	v_perm_b32 v22, v24, v20, s56
	;; [unrolled: 9-line block ×3, first 2 shown]
	ds_write2st64_b32 v18, v19, v20 offset0:35 offset1:67
	v_xor_b32_e32 v18, 56, v35
	v_perm_b32 v19, v33, v29, s57
	v_perm_b32 v20, v25, v21, s57
	v_add_u32_e32 v18, 0x80, v18
	ds_write2st64_b32 v18, v19, v20 offset0:35 offset1:67
	ds_write_b64 v114, v[14:15] offset:24576
	v_xor_b32_e32 v14, 8, v114
	ds_write_b64 v14, v[16:17] offset:24576
	ds_write_b64 v114, v[10:11] offset:32768
	;; [unrolled: 1-line block ×4, first 2 shown]
	v_xor_b32_e32 v6, 8, v113
	ds_write_b64 v6, v[8:9] offset:24576
	ds_write_b64 v113, v[2:3] offset:32768
	;; [unrolled: 1-line block ×3, first 2 shown]
.LBB264_16:                             ;   in Loop: Header=BB264_6 Depth=1
	v_exp_f32_e32 v18, s2
	s_waitcnt vmcnt(2)
	v_exp_f32_e32 v20, v38
	v_exp_f32_e32 v21, v39
	;; [unrolled: 1-line block ×4, first 2 shown]
	v_accvgpr_read_b32 v13, a3
	v_accvgpr_read_b32 v11, a1
	;; [unrolled: 1-line block ×4, first 2 shown]
	v_pk_mul_f32 v[20:21], v[18:19], v[20:21] op_sel_hi:[0,1]
	v_accvgpr_read_b32 v12, a2
	v_accvgpr_read_b32 v7, a5
	;; [unrolled: 1-line block ×3, first 2 shown]
	v_pk_fma_f32 v[50:51], v[50:51], v[20:21], v[10:11]
	v_pk_mul_f32 v[10:11], v[18:19], v[22:23] op_sel_hi:[0,1]
	v_pk_fma_f32 v[54:55], v[54:55], v[10:11], v[12:13]
	v_fma_f32 v86, v86, v20, v6
	v_fma_f32 v85, v85, v21, v7
	v_exp_f32_e32 v6, v34
	v_exp_f32_e32 v7, v42
	;; [unrolled: 1-line block ×4, first 2 shown]
	v_accvgpr_read_b32 v8, a6
	v_accvgpr_read_b32 v17, a15
	;; [unrolled: 1-line block ×9, first 2 shown]
	v_fma_f32 v88, v88, v10, v8
	v_fmac_f32_e32 v9, v112, v11
	v_pk_mul_f32 v[6:7], v[18:19], v[6:7] op_sel_hi:[0,1]
	v_pk_mul_f32 v[10:11], v[18:19], v[12:13] op_sel_hi:[0,1]
	s_add_i32 s52, s52, 64
	v_pk_fma_f32 v[46:47], v[46:47], v[6:7], v[14:15]
	v_pk_fma_f32 v[48:49], v[48:49], v[10:11], v[16:17]
	v_fma_f32 v82, v82, v6, v2
	v_fma_f32 v81, v81, v7, v3
	;; [unrolled: 1-line block ×3, first 2 shown]
	s_cmp_eq_u32 s45, s59
	v_fmac_f32_e32 v5, v111, v11
	s_cbranch_scc1 .LBB264_18
; %bb.17:                               ;   in Loop: Header=BB264_6 Depth=1
	s_mov_b32 s58, s59
	v_mov_b32_e32 v112, v9
	v_mov_b32_e32 v111, v5
	s_branch .LBB264_6
.LBB264_18:
	s_lshl_b32 s0, s45, 6
	s_sub_i32 s40, s47, s0
	s_cmp_gt_i32 s40, 0
	s_cbranch_scc0 .LBB264_83
; %bb.19:
	s_add_i32 s34, s0, s34
	s_ashr_i32 s2, s34, 31
	s_cmpk_lg_i32 s15, 0x80
	s_cselect_b64 s[26:27], -1, 0
	s_and_b64 vcc, exec, s[26:27]
	s_cbranch_vccz .LBB264_21
; %bb.20:
	s_mul_i32 s1, s34, s14
	s_ashr_i32 s3, s50, 31
	s_mul_hi_i32 s0, s34, s14
	s_add_u32 s38, s1, s50
	s_addc_u32 s39, s0, s3
	s_cbranch_execz .LBB264_22
	s_branch .LBB264_23
.LBB264_21:
                                        ; implicit-def: $sgpr38_sgpr39
.LBB264_22:
	s_mul_i32 s1, s50, s12
	s_mul_hi_i32 s0, s50, s12
	s_add_u32 s38, s1, s34
	s_addc_u32 s39, s0, s2
.LBB264_23:
	s_add_i32 s3, s45, s46
	s_ashr_i32 s12, s33, 31
	s_add_u32 s0, s49, s34
	v_lshlrev_b32_e32 v8, 5, v65
	v_lshlrev_b32_e32 v22, 2, v45
	s_addc_u32 s1, s48, s2
	s_mov_b32 s2, 0x7060302
	v_or_b32_e32 v11, v8, v22
	v_xor_b32_e32 v4, v65, v22
	v_perm_b32 v3, v55, v54, s2
	v_perm_b32 v2, v51, v50, s2
	;; [unrolled: 1-line block ×4, first 2 shown]
	v_lshlrev_b32_e32 v11, 1, v11
	s_lshl_b64 s[24:25], s[0:1], 8
	v_xor_b32_e32 v10, v66, v22
	ds_write2st64_b64 v11, v[2:3], v[6:7] offset0:80 offset1:88
	v_lshlrev_b32_e32 v11, 1, v4
	v_lshlrev_b32_e32 v4, 8, v45
	s_add_u32 s0, s6, s24
	v_or_b32_e32 v12, v11, v4
	v_lshlrev_b32_e32 v10, 1, v10
	s_addc_u32 s1, s7, s25
	ds_write_b64 v12, v[2:3]
	v_or_b32_e32 v2, v10, v4
	s_mul_hi_i32 s6, s3, s13
	s_mul_i32 s3, s3, s13
	ds_write_b64 v2, v[6:7]
	v_perm_b32 v3, v9, v88, s2
	v_perm_b32 v2, v85, v86, s2
	;; [unrolled: 1-line block ×4, first 2 shown]
	v_or_b32_e32 v6, 16, v45
	s_add_u32 s2, s3, s33
	v_lshlrev_b32_e32 v19, 2, v6
	s_addc_u32 s3, s6, s12
	v_or_b32_e32 v7, v8, v19
	s_ashr_i32 s31, s30, 31
	s_lshl_b64 s[2:3], s[2:3], 15
	v_lshlrev_b32_e32 v7, 1, v7
	v_lshlrev_b32_e32 v6, 8, v6
	s_add_u32 s6, s36, s2
	ds_write2st64_b64 v7, v[2:3], v[4:5] offset0:80 offset1:88
	v_or_b32_e32 v7, v11, v6
	s_addc_u32 s7, s37, s3
	s_lshl_b64 s[2:3], s[30:31], 8
	ds_write_b64 v7, v[2:3]
	v_or_b32_e32 v2, v10, v6
	s_add_u32 s2, s6, s2
	ds_write_b64 v2, v[4:5]
	v_lshrrev_b32_e32 v2, 4, v0
	s_addc_u32 s3, s7, s3
	v_lshlrev_b32_e32 v3, 1, v45
	v_lshlrev_b32_e32 v10, 4, v45
	v_mov_b32_e32 v11, 0
	v_or_b32_e32 v4, 1, v3
	v_xor_b32_e32 v3, v2, v3
	v_lshl_add_u64 v[12:13], s[2:3], 0, v[10:11]
	v_lshlrev_b32_e32 v10, 8, v2
	v_xor_b32_e32 v6, v4, v2
	v_lshl_or_b32 v2, v3, 3, v10
	s_waitcnt lgkmcnt(0)
	s_barrier
	ds_read2st64_b64 v[2:5], v2 offset1:8
	v_lshl_or_b32 v6, v6, 3, v10
	ds_read2st64_b64 v[6:9], v6 offset1:8
	v_lshl_add_u64 v[14:15], v[12:13], 0, v[10:11]
	s_movk_i32 s2, 0x1000
	s_waitcnt lgkmcnt(1)
	v_mov_b32_e32 v10, v2
	v_add_co_u32_e32 v2, vcc, s2, v14
	s_cmp_lg_u32 s40, 64
	v_mov_b32_e32 v11, v3
	v_addc_co_u32_e32 v3, vcc, 0, v15, vcc
	s_cselect_b64 s[6:7], -1, 0
	v_lshl_or_b32 v23, v61, 3, v64
	s_waitcnt lgkmcnt(0)
	v_mov_b32_e32 v12, v6
	v_mov_b32_e32 v13, v7
	;; [unrolled: 1-line block ×4, first 2 shown]
	s_mov_b32 s20, 0
	v_or_b32_e32 v20, 32, v23
	v_and_b32_e32 v18, 56, v63
	s_and_b64 vcc, exec, s[6:7]
	global_store_dwordx4 v[14:15], v[10:13], off
	global_store_dwordx4 v[2:3], v[6:9], off
	s_cbranch_vccz .LBB264_29
; %bb.24:
	s_mov_b32 s21, s20
	s_mov_b32 s22, s20
	s_mov_b32 s23, s20
	v_mov_b64_e32 v[6:7], s[20:21]
	v_mov_b64_e32 v[8:9], s[22:23]
	;; [unrolled: 1-line block ×3, first 2 shown]
	v_cmp_gt_i32_e32 vcc, s40, v23
	v_mov_b64_e32 v[4:5], v[8:9]
	s_and_saveexec_b64 s[2:3], vcc
	s_cbranch_execz .LBB264_26
; %bb.25:
	v_lshlrev_b32_e32 v2, 8, v23
	v_mov_b32_e32 v3, 0
	v_lshl_add_u64 v[4:5], s[0:1], 0, v[2:3]
	v_lshlrev_b32_e32 v2, 1, v18
	v_lshl_add_u64 v[10:11], v[4:5], 0, v[2:3]
	global_load_dwordx4 v[6:9], v[10:11], off
	global_load_dwordx4 v[2:5], v[10:11], off offset:128
.LBB264_26:
	s_or_b64 exec, exec, s[2:3]
	s_mov_b32 s21, s20
	s_mov_b32 s22, s20
	;; [unrolled: 1-line block ×3, first 2 shown]
	v_mov_b64_e32 v[14:15], s[20:21]
	v_mov_b64_e32 v[16:17], s[22:23]
	;; [unrolled: 1-line block ×3, first 2 shown]
	v_cmp_gt_i32_e32 vcc, s40, v20
	v_lshlrev_b32_e32 v21, 7, v20
	v_mov_b64_e32 v[12:13], v[16:17]
	s_and_saveexec_b64 s[2:3], vcc
	s_cbranch_execz .LBB264_28
; %bb.27:
	v_lshlrev_b32_e32 v10, 1, v21
	v_mov_b32_e32 v11, 0
	v_lshl_add_u64 v[12:13], s[0:1], 0, v[10:11]
	v_lshlrev_b32_e32 v10, 1, v18
	v_lshl_add_u64 v[24:25], v[12:13], 0, v[10:11]
	global_load_dwordx4 v[14:17], v[24:25], off
	global_load_dwordx4 v[10:13], v[24:25], off offset:128
.LBB264_28:
	s_or_b64 exec, exec, s[2:3]
	v_lshrrev_b32_e32 v24, 3, v18
	v_lshlrev_b32_e32 v25, 3, v23
	v_or_b32_e32 v24, v25, v24
	v_lshlrev_b32_e32 v24, 4, v24
	v_and_b32_e32 v25, 0x78, v25
	v_xor_b32_e32 v24, v24, v25
	s_branch .LBB264_31
.LBB264_29:
                                        ; implicit-def: $vgpr24
                                        ; implicit-def: $vgpr21
                                        ; implicit-def: $vgpr6_vgpr7_vgpr8_vgpr9
                                        ; implicit-def: $vgpr2_vgpr3_vgpr4_vgpr5
                                        ; implicit-def: $vgpr14_vgpr15_vgpr16_vgpr17
                                        ; implicit-def: $vgpr10_vgpr11_vgpr12_vgpr13
	s_cbranch_execz .LBB264_31
; %bb.30:
	s_waitcnt vmcnt(0)
	v_lshlrev_b32_e32 v2, 1, v18
	v_lshl_or_b32 v21, v23, 8, v2
	s_and_b32 s1, s1, 0xffff
	s_mov_b32 s3, 0x20000
	s_movk_i32 s2, 0x4000
	v_lshl_or_b32 v24, v20, 8, v2
	s_movk_i32 s13, 0x80
	buffer_load_dwordx4 v[6:9], v21, s[0:3], 0 offen
	buffer_load_dwordx4 v[2:5], v21, s[0:3], s13 offen
	;; [unrolled: 1-line block ×4, first 2 shown]
	v_lshrrev_b32_e32 v21, 3, v18
	v_lshlrev_b32_e32 v24, 3, v23
	v_or_b32_e32 v21, v24, v21
	v_lshlrev_b32_e32 v21, 4, v21
	v_and_b32_e32 v24, 0x78, v24
	v_xor_b32_e32 v24, v21, v24
	v_lshlrev_b32_e32 v21, 7, v20
.LBB264_31:
	s_lshl_b64 s[0:1], s[38:39], 8
	s_add_u32 s4, s4, s0
	s_movk_i32 s0, 0x1000
	v_and_or_b32 v20, v21, s0, v24
	s_waitcnt vmcnt(1)
	ds_write_b64 v24, v[6:7] offset:24576
	v_xor_b32_e32 v6, 8, v24
	ds_write_b64 v6, v[8:9] offset:24576
	s_waitcnt vmcnt(0)
	ds_write_b64 v24, v[2:3] offset:32768
	ds_write_b64 v6, v[4:5] offset:32768
	;; [unrolled: 1-line block ×3, first 2 shown]
	v_xor_b32_e32 v2, 8, v20
	ds_write_b64 v2, v[16:17] offset:24576
	ds_write_b64 v20, v[10:11] offset:32768
	ds_write_b64 v2, v[12:13] offset:32768
	v_or_b32_e32 v2, v1, v45
	v_lshlrev_b32_e32 v3, 11, v61
	v_lshlrev_b32_e32 v2, 3, v2
	v_and_b32_e32 v6, 0x1000, v3
	v_lshrrev_b32_e32 v3, 5, v60
	s_movk_i32 s13, 0xf8
	v_and_or_b32 v3, v2, s13, v3
	v_lshlrev_b32_e32 v7, 4, v3
	v_and_b32_e32 v8, 0x78, v2
	v_or_b32_e32 v10, 32, v7
	v_lshrrev_b32_e32 v3, 1, v60
	v_xor_b32_e32 v10, v10, v8
	v_xor_b32_e32 v2, v7, v8
	v_and_b32_e32 v9, 8, v3
	v_or_b32_e32 v10, v10, v6
	v_or_b32_e32 v2, v2, v6
	v_xor_b32_e32 v26, v10, v9
	v_or_b32_e32 v10, 64, v7
	v_xor_b32_e32 v25, v2, v9
	v_xor_b32_e32 v10, v10, v8
	s_waitcnt lgkmcnt(0)
	s_barrier
	v_or_b32_e32 v12, v10, v6
	ds_read_b64 v[10:11], v25 offset:24576
	v_lshl_or_b32 v20, v62, 7, v22
	v_lshlrev_b32_e32 v24, 1, v20
	v_add_u32_e32 v2, 0xa000, v24
	ds_read2_b64 v[2:5], v2 offset1:16
	v_or_b32_e32 v7, 0x60, v7
	v_xor_b32_e32 v7, v7, v8
	s_waitcnt lgkmcnt(0)
	v_mfma_f32_16x16x16_bf16 a[0:3], v[10:11], v[2:3], 0
	v_or_b32_e32 v2, 64, v20
	v_or_b32_e32 v6, v7, v6
	v_lshlrev_b32_e32 v29, 1, v2
	v_xor_b32_e32 v27, v12, v9
	v_xor_b32_e32 v28, v6, v9
	ds_read_b64 v[12:13], v26 offset:24576
	ds_read_b64 v[14:15], v27 offset:24576
	;; [unrolled: 1-line block ×3, first 2 shown]
	v_mfma_f32_16x16x16_bf16 a[4:7], v[10:11], v[4:5], 0
	ds_read2st64_b64 v[2:5], v29 offset0:82 offset1:84
	ds_read2st64_b64 v[6:9], v24 offset0:82 offset1:84
	s_addc_u32 s5, s5, s1
	s_add_i32 s0, s43, s42
	s_add_i32 s2, s35, -1
	s_add_i32 s17, s0, s44
	s_mul_i32 s0, s33, s19
	s_mul_hi_u32 s1, s33, s18
	s_add_i32 s0, s1, s0
	s_mul_i32 s1, s12, s18
	s_ashr_i32 s3, s2, 31
	s_mul_i32 s12, s2, s29
	s_mul_hi_u32 s13, s2, s28
	s_add_i32 s12, s13, s12
	s_mul_i32 s3, s3, s28
	s_waitcnt lgkmcnt(1)
	v_mfma_f32_16x16x16_bf16 a[4:7], v[12:13], v[2:3], a[4:7]
	s_add_i32 s1, s0, s1
	s_add_i32 s3, s12, s3
	s_lshl_b64 s[12:13], s[16:17], 2
	s_waitcnt lgkmcnt(0)
	v_mfma_f32_16x16x16_bf16 a[0:3], v[12:13], v[6:7], a[0:3]
	s_mul_i32 s0, s33, s18
	s_add_u32 s10, s10, s12
	s_addc_u32 s11, s11, s13
	s_lshl_b64 s[0:1], s[0:1], 2
	s_mul_i32 s2, s2, s28
	s_add_u32 s10, s10, s0
	ds_read_b64 v[2:3], v24 offset:44032
	v_mfma_f32_16x16x16_bf16 a[4:7], v[14:15], v[4:5], a[4:7]
	ds_read_b64 v[4:5], v29 offset:44032
	s_addc_u32 s11, s11, s1
	s_lshl_b64 s[0:1], s[2:3], 2
	v_mfma_f32_16x16x16_bf16 a[0:3], v[14:15], v[8:9], a[0:3]
	s_add_u32 s0, s10, s0
	s_addc_u32 s1, s11, s1
	s_load_dword s12, s[0:1], 0x0
	s_waitcnt lgkmcnt(0)
	v_mfma_f32_16x16x16_bf16 a[0:3], v[16:17], v[2:3], a[0:3]
	s_and_b64 vcc, exec, s[26:27]
	v_mfma_f32_16x16x16_bf16 a[4:7], v[16:17], v[4:5], a[4:7]
	s_cbranch_vccz .LBB264_42
; %bb.32:
	v_lshlrev_b32_e32 v20, 1, v23
	s_and_b64 vcc, exec, s[6:7]
	s_cbranch_vccz .LBB264_43
; %bb.33:
	v_cmp_gt_i32_e32 vcc, s40, v20
	v_mov_b32_e32 v6, 0
	v_mov_b32_e32 v2, 0
	;; [unrolled: 1-line block ×5, first 2 shown]
	s_and_saveexec_b64 s[0:1], vcc
	s_cbranch_execz .LBB264_35
; %bb.34:
	v_mad_i64_i32 v[2:3], s[2:3], s15, v20, 0
	v_lshl_add_u64 v[2:3], v[2:3], 1, s[4:5]
	v_lshlrev_b32_e32 v4, 1, v18
	v_mov_b32_e32 v5, 0
	v_lshl_add_u64 v[2:3], v[2:3], 0, v[4:5]
	global_load_dwordx4 v[2:5], v[2:3], off
.LBB264_35:
	s_or_b64 exec, exec, s[0:1]
	v_or_b32_e32 v21, 1, v20
	v_cmp_gt_i32_e64 s[0:1], s40, v21
	v_mov_b32_e32 v7, 0
	v_mov_b32_e32 v8, 0
	;; [unrolled: 1-line block ×3, first 2 shown]
	s_and_saveexec_b64 s[2:3], s[0:1]
	s_cbranch_execz .LBB264_37
; %bb.36:
	v_mad_i64_i32 v[6:7], s[16:17], s15, v21, 0
	v_lshl_add_u64 v[6:7], v[6:7], 1, s[4:5]
	v_lshlrev_b32_e32 v8, 1, v18
	v_mov_b32_e32 v9, 0
	v_lshl_add_u64 v[6:7], v[6:7], 0, v[8:9]
	global_load_dwordx4 v[6:9], v[6:7], off
.LBB264_37:
	s_or_b64 exec, exec, s[2:3]
	v_mov_b32_e32 v17, 0
	v_mov_b32_e32 v10, 0
	;; [unrolled: 1-line block ×5, first 2 shown]
	s_and_saveexec_b64 s[2:3], vcc
	s_cbranch_execz .LBB264_39
; %bb.38:
	v_mad_i64_i32 v[10:11], s[16:17], s15, v20, 0
	v_lshl_add_u64 v[10:11], v[10:11], 1, s[4:5]
	v_lshlrev_b32_e32 v12, 1, v18
	v_mov_b32_e32 v13, 0
	v_lshl_add_u64 v[10:11], v[10:11], 0, v[12:13]
	global_load_dwordx4 v[10:13], v[10:11], off offset:128
.LBB264_39:
	s_or_b64 exec, exec, s[2:3]
	v_mov_b32_e32 v16, 0
	v_mov_b32_e32 v15, 0
	;; [unrolled: 1-line block ×3, first 2 shown]
	s_and_saveexec_b64 s[2:3], s[0:1]
	s_cbranch_execz .LBB264_41
; %bb.40:
	v_mad_i64_i32 v[14:15], s[0:1], s15, v21, 0
	v_lshl_add_u64 v[14:15], v[14:15], 1, s[4:5]
	v_lshlrev_b32_e32 v16, 1, v18
	v_mov_b32_e32 v17, 0
	v_lshl_add_u64 v[14:15], v[14:15], 0, v[16:17]
	global_load_dwordx4 v[14:17], v[14:15], off offset:128
.LBB264_41:
	s_or_b64 exec, exec, s[2:3]
	s_branch .LBB264_45
.LBB264_42:
                                        ; implicit-def: $vgpr5
                                        ; implicit-def: $vgpr9
                                        ; implicit-def: $vgpr13
                                        ; implicit-def: $vgpr17
	v_lshrrev_b32_e32 v30, 2, v60
	s_branch .LBB264_46
.LBB264_43:
                                        ; implicit-def: $vgpr5
                                        ; implicit-def: $vgpr9
                                        ; implicit-def: $vgpr13
                                        ; implicit-def: $vgpr17
	s_cbranch_execz .LBB264_45
; %bb.44:
	s_waitcnt vmcnt(0)
	v_mad_u64_u32 v[2:3], s[0:1], v20, s15, v[18:19]
	v_lshlrev_b32_e32 v20, 1, v2
	s_lshl_b32 s2, s15, 7
	s_and_b32 s1, s5, 0xffff
	s_mov_b32 s3, 0x20000
	s_mov_b32 s0, s4
	v_add_lshl_u32 v21, v2, s15, 1
	s_movk_i32 s13, 0x80
	buffer_load_dwordx4 v[2:5], v20, s[0:3], 0 offen
	buffer_load_dwordx4 v[10:13], v20, s[0:3], s13 offen
	;; [unrolled: 1-line block ×4, first 2 shown]
.LBB264_45:
	v_lshrrev_b32_e32 v30, 2, v60
	s_cbranch_execnz .LBB264_58
.LBB264_46:
	s_and_b64 vcc, exec, s[6:7]
	s_cbranch_vccz .LBB264_56
; %bb.47:
	s_waitcnt vmcnt(0)
	v_lshlrev_b32_e32 v7, 1, v23
	v_cmp_gt_i32_e32 vcc, s40, v7
	v_mov_b32_e32 v6, 0
	v_lshlrev_b32_e32 v14, 9, v23
	v_mov_b32_e32 v2, 0
	v_mov_b32_e32 v3, 0
	;; [unrolled: 1-line block ×4, first 2 shown]
	s_and_saveexec_b64 s[0:1], vcc
	s_cbranch_execz .LBB264_49
; %bb.48:
	v_mov_b32_e32 v15, 0
	v_lshl_add_u64 v[2:3], s[4:5], 0, v[14:15]
	v_lshlrev_b32_e32 v4, 1, v18
	v_mov_b32_e32 v5, v15
	v_lshl_add_u64 v[2:3], v[2:3], 0, v[4:5]
	global_load_dwordx4 v[2:5], v[2:3], off
.LBB264_49:
	s_or_b64 exec, exec, s[0:1]
	v_or_b32_e32 v7, 1, v7
	v_cmp_gt_i32_e64 s[0:1], s40, v7
	v_lshlrev_b32_e32 v20, 8, v7
	v_mov_b32_e32 v7, 0
	v_mov_b32_e32 v8, 0
	;; [unrolled: 1-line block ×3, first 2 shown]
	s_and_saveexec_b64 s[2:3], s[0:1]
	s_cbranch_execz .LBB264_51
; %bb.50:
	v_mov_b32_e32 v21, 0
	v_lshl_add_u64 v[6:7], s[4:5], 0, v[20:21]
	v_lshlrev_b32_e32 v8, 1, v18
	v_mov_b32_e32 v9, v21
	v_lshl_add_u64 v[6:7], v[6:7], 0, v[8:9]
	global_load_dwordx4 v[6:9], v[6:7], off
.LBB264_51:
	s_or_b64 exec, exec, s[2:3]
	v_mov_b32_e32 v17, 0
	v_mov_b32_e32 v10, 0
	;; [unrolled: 1-line block ×5, first 2 shown]
	s_and_saveexec_b64 s[2:3], vcc
	s_cbranch_execz .LBB264_53
; %bb.52:
	v_mov_b32_e32 v15, 0
	v_lshl_add_u64 v[10:11], s[4:5], 0, v[14:15]
	v_lshlrev_b32_e32 v14, 1, v18
	v_lshl_add_u64 v[10:11], v[10:11], 0, v[14:15]
	global_load_dwordx4 v[10:13], v[10:11], off offset:128
.LBB264_53:
	s_or_b64 exec, exec, s[2:3]
	v_mov_b32_e32 v16, 0
	v_mov_b32_e32 v15, 0
	;; [unrolled: 1-line block ×3, first 2 shown]
	s_and_saveexec_b64 s[2:3], s[0:1]
	s_cbranch_execz .LBB264_55
; %bb.54:
	v_mov_b32_e32 v21, 0
	v_lshl_add_u64 v[14:15], s[4:5], 0, v[20:21]
	v_lshlrev_b32_e32 v20, 1, v18
	v_lshl_add_u64 v[14:15], v[14:15], 0, v[20:21]
	global_load_dwordx4 v[14:17], v[14:15], off offset:128
.LBB264_55:
	s_or_b64 exec, exec, s[2:3]
	s_branch .LBB264_58
.LBB264_56:
                                        ; implicit-def: $vgpr5
                                        ; implicit-def: $vgpr9
                                        ; implicit-def: $vgpr13
                                        ; implicit-def: $vgpr17
	s_cbranch_execz .LBB264_58
; %bb.57:
	s_waitcnt vmcnt(0)
	v_lshlrev_b32_e32 v2, 1, v18
	v_lshl_or_b32 v18, v23, 9, v2
	s_and_b32 s5, s5, 0xffff
	s_mov_b32 s7, 0x20000
	s_movk_i32 s6, 0x4000
	s_movk_i32 s0, 0x80
	buffer_load_dwordx4 v[2:5], v18, s[4:7], 0 offen
	buffer_load_dwordx4 v[6:9], v18, s[4:7], 0 offen offset:256
	buffer_load_dwordx4 v[10:13], v18, s[4:7], s0 offen
	buffer_load_dwordx4 v[14:17], v18, s[4:7], s0 offen offset:256
.LBB264_58:
	ds_read_b64 v[20:21], v25 offset:32768
	v_add_u32_e32 v18, 0xb000, v24
	ds_read2_b64 v[32:35], v18 offset1:16
	ds_read_b64 v[40:41], v26 offset:32768
	ds_read_b64 v[26:27], v27 offset:32768
	;; [unrolled: 1-line block ×3, first 2 shown]
	v_and_b32_e32 v18, 6, v0
	v_xor_b32_e32 v23, v23, v18
	v_lshlrev_b32_e32 v23, 2, v23
	v_and_b32_e32 v0, 1, v0
	v_xor_b32_e32 v28, 0x440, v23
	v_cmp_eq_u32_e32 vcc, 0, v0
	s_waitcnt lgkmcnt(3)
	v_mfma_f32_16x16x16_bf16 a[0:3], v[20:21], v[32:33], a[0:3]
	s_mov_b32 s0, 0x1000504
	v_cndmask_b32_e32 v0, v28, v23, vcc
	v_lshl_or_b32 v0, v18, 10, v0
	v_mfma_f32_16x16x16_bf16 a[4:7], v[20:21], v[34:35], a[4:7]
	ds_read2st64_b64 v[32:35], v24 offset0:90 offset1:92
	ds_read2st64_b64 v[36:39], v29 offset0:90 offset1:92
	ds_read_b64 v[20:21], v24 offset:48128
	ds_read_b64 v[24:25], v29 offset:48128
	s_waitcnt vmcnt(0)
	v_perm_b32 v18, v2, v6, s0
	s_waitcnt lgkmcnt(3)
	v_mfma_f32_16x16x16_bf16 a[0:3], v[40:41], v[32:33], a[0:3]
	s_mov_b32 s1, 0x3020706
	v_perm_b32 v2, v2, v6, s1
	v_perm_b32 v6, v10, v14, s1
	s_waitcnt lgkmcnt(2)
	v_mfma_f32_16x16x16_bf16 a[4:7], v[40:41], v[36:37], a[4:7]
	v_mfma_f32_16x16x16_bf16 a[0:3], v[26:27], v[34:35], a[0:3]
	;; [unrolled: 1-line block ×3, first 2 shown]
	s_waitcnt lgkmcnt(1)
	v_mfma_f32_16x16x16_bf16 a[4:7], v[42:43], v[20:21], a[0:3]
	v_perm_b32 v20, v10, v14, s0
	ds_write2st64_b32 v0, v18, v20 offset0:32 offset1:64
	v_xor_b32_e32 v18, 8, v0
	v_add_u32_e32 v10, 0x80, v18
	ds_write2st64_b32 v10, v2, v6 offset0:32 offset1:64
	v_xor_b32_e32 v2, 16, v0
	v_perm_b32 v6, v3, v7, s0
	v_perm_b32 v10, v11, v15, s0
	ds_write2st64_b32 v2, v6, v10 offset0:33 offset1:65
	v_xor_b32_e32 v2, 24, v0
	v_perm_b32 v3, v3, v7, s1
	v_perm_b32 v6, v11, v15, s1
	v_add_u32_e32 v2, 0x80, v2
	ds_write2st64_b32 v2, v3, v6 offset0:33 offset1:65
	v_xor_b32_e32 v2, 32, v0
	v_perm_b32 v3, v4, v8, s0
	v_perm_b32 v6, v12, v16, s0
	s_waitcnt lgkmcnt(4)
	v_mfma_f32_16x16x16_bf16 a[0:3], v[42:43], v[24:25], a[8:11]
	ds_write2st64_b32 v2, v3, v6 offset0:34 offset1:66
	v_xor_b32_e32 v2, 40, v0
	v_perm_b32 v3, v4, v8, s1
	v_perm_b32 v4, v12, v16, s1
	v_add_u32_e32 v2, 0x80, v2
	ds_write2st64_b32 v2, v3, v4 offset0:34 offset1:66
	v_xor_b32_e32 v2, 48, v0
	v_perm_b32 v3, v5, v9, s0
	v_perm_b32 v4, v13, v17, s0
	v_xor_b32_e32 v0, 56, v0
	v_and_or_b32 v18, v30, 12, v1
	ds_write2st64_b32 v2, v3, v4 offset0:35 offset1:67
	v_perm_b32 v2, v5, v9, s1
	v_perm_b32 v3, v13, v17, s1
	v_add_u32_e32 v0, 0x80, v0
	v_cmp_gt_i32_e32 vcc, s40, v18
	v_mov_b32_e32 v14, 0
	v_mov_b32_e32 v16, 0
	ds_write2st64_b32 v0, v2, v3 offset0:35 offset1:67
	s_and_saveexec_b64 s[0:1], vcc
	s_cbranch_execz .LBB264_60
; %bb.59:
	v_add_u32_e32 v0, s34, v18
	v_ashrrev_i32_e32 v1, 31, v0
	v_mul_lo_u32 v2, v1, s28
	v_mul_lo_u32 v3, v0, s29
	v_mad_u64_u32 v[0:1], s[2:3], v0, s28, 0
	v_add3_u32 v1, v1, v3, v2
	v_lshl_add_u64 v[0:1], v[0:1], 2, s[10:11]
	global_load_dword v0, v[0:1], off
	s_waitcnt vmcnt(0)
	v_sub_f32_e32 v0, s12, v0
	v_exp_f32_e32 v16, v0
.LBB264_60:
	s_or_b64 exec, exec, s[0:1]
	v_or_b32_e32 v8, 1, v18
	v_cmp_gt_i32_e64 s[0:1], s40, v8
	s_and_saveexec_b64 s[2:3], s[0:1]
	s_cbranch_execz .LBB264_62
; %bb.61:
	v_add_u32_e32 v0, s34, v8
	v_ashrrev_i32_e32 v1, 31, v0
	v_mul_lo_u32 v2, v1, s28
	v_mul_lo_u32 v3, v0, s29
	v_mad_u64_u32 v[0:1], s[4:5], v0, s28, 0
	v_add3_u32 v1, v1, v3, v2
	v_lshl_add_u64 v[0:1], v[0:1], 2, s[10:11]
	global_load_dword v0, v[0:1], off
	s_waitcnt vmcnt(0)
	v_sub_f32_e32 v0, s12, v0
	v_exp_f32_e32 v14, v0
.LBB264_62:
	s_or_b64 exec, exec, s[2:3]
	v_or_b32_e32 v10, 2, v18
	v_cmp_gt_i32_e64 s[2:3], s40, v10
	v_mov_b32_e32 v15, 0
	v_mov_b32_e32 v17, 0
	s_and_saveexec_b64 s[4:5], s[2:3]
	s_cbranch_execz .LBB264_64
; %bb.63:
	v_add_u32_e32 v0, s34, v10
	v_ashrrev_i32_e32 v1, 31, v0
	v_mul_lo_u32 v2, v1, s28
	v_mul_lo_u32 v3, v0, s29
	v_mad_u64_u32 v[0:1], s[6:7], v0, s28, 0
	v_add3_u32 v1, v1, v3, v2
	v_lshl_add_u64 v[0:1], v[0:1], 2, s[10:11]
	global_load_dword v0, v[0:1], off
	s_waitcnt vmcnt(0)
	v_sub_f32_e32 v0, s12, v0
	v_exp_f32_e32 v17, v0
.LBB264_64:
	s_or_b64 exec, exec, s[4:5]
	v_or_b32_e32 v12, 3, v18
	v_cmp_gt_i32_e64 s[4:5], s40, v12
	s_and_saveexec_b64 s[6:7], s[4:5]
	s_cbranch_execz .LBB264_66
; %bb.65:
	v_add_u32_e32 v0, s34, v12
	v_ashrrev_i32_e32 v1, 31, v0
	v_mul_lo_u32 v2, v1, s28
	v_mul_lo_u32 v3, v0, s29
	v_mad_u64_u32 v[0:1], s[14:15], v0, s28, 0
	v_add3_u32 v1, v1, v3, v2
	v_lshl_add_u64 v[0:1], v[0:1], 2, s[10:11]
	global_load_dword v0, v[0:1], off
	s_waitcnt vmcnt(0)
	v_sub_f32_e32 v0, s12, v0
	v_exp_f32_e32 v15, v0
.LBB264_66:
	s_or_b64 exec, exec, s[6:7]
	v_or_b32_e32 v4, s30, v45
	s_add_u32 s6, s8, s24
	v_accvgpr_read_b32 v0, a4
	s_addc_u32 s7, s9, s25
	v_ashrrev_i32_e32 v5, 31, v4
	v_accvgpr_read_b32 v1, a5
	v_accvgpr_read_b32 v2, a6
	;; [unrolled: 1-line block ×3, first 2 shown]
	v_lshl_add_u64 v[4:5], v[4:5], 1, s[6:7]
	v_mov_b32_e32 v9, 0
	v_lshlrev_b32_e32 v6, 8, v18
	v_mov_b32_e32 v7, 0
	s_and_saveexec_b64 s[6:7], vcc
	s_cbranch_execz .LBB264_68
; %bb.67:
	v_mov_b32_e32 v7, 0
	v_lshl_add_u64 v[20:21], v[4:5], 0, v[6:7]
	global_load_ushort v7, v[20:21], off
	s_waitcnt vmcnt(0)
	v_lshlrev_b32_e32 v7, 16, v7
	v_sub_f32_e32 v0, v7, v0
	v_mul_f32_e32 v0, v16, v0
	v_lshrrev_b32_e32 v7, 16, v0
.LBB264_68:
	s_or_b64 exec, exec, s[6:7]
	v_lshlrev_b32_e32 v8, 8, v8
	s_and_saveexec_b64 s[6:7], s[0:1]
	s_cbranch_execz .LBB264_70
; %bb.69:
	v_mov_b32_e32 v9, 0
	v_lshl_add_u64 v[20:21], v[4:5], 0, v[8:9]
	global_load_ushort v0, v[20:21], off
	s_waitcnt vmcnt(0)
	v_lshlrev_b32_e32 v0, 16, v0
	v_sub_f32_e32 v0, v0, v1
	v_mul_f32_e32 v0, v14, v0
	v_lshrrev_b32_e32 v9, 16, v0
.LBB264_70:
	s_or_b64 exec, exec, s[6:7]
	v_mov_b32_e32 v13, 0
	v_lshlrev_b32_e32 v10, 8, v10
	v_mov_b32_e32 v11, 0
	s_and_saveexec_b64 s[6:7], s[2:3]
	s_cbranch_execz .LBB264_72
; %bb.71:
	v_mov_b32_e32 v11, 0
	v_lshl_add_u64 v[0:1], v[4:5], 0, v[10:11]
	global_load_ushort v0, v[0:1], off
	s_waitcnt vmcnt(0)
	v_lshlrev_b32_e32 v0, 16, v0
	v_sub_f32_e32 v0, v0, v2
	v_mul_f32_e32 v0, v17, v0
	v_lshrrev_b32_e32 v11, 16, v0
.LBB264_72:
	s_or_b64 exec, exec, s[6:7]
	v_lshlrev_b32_e32 v12, 8, v12
	s_and_saveexec_b64 s[6:7], s[4:5]
	s_cbranch_execz .LBB264_74
; %bb.73:
	v_mov_b32_e32 v13, 0
	v_lshl_add_u64 v[0:1], v[4:5], 0, v[12:13]
	global_load_ushort v0, v[0:1], off
	s_waitcnt vmcnt(0)
	v_lshlrev_b32_e32 v0, 16, v0
	v_sub_f32_e32 v0, v0, v3
	v_mul_f32_e32 v0, v15, v0
	v_lshrrev_b32_e32 v13, 16, v0
.LBB264_74:
	s_or_b64 exec, exec, s[6:7]
	v_lshlrev_b32_e32 v18, 5, v18
	s_mov_b32 s6, 0x5040100
	v_perm_b32 v20, v9, v7, s6
	v_or_b32_e32 v7, v18, v22
	v_accvgpr_read_b32 v0, a0
	v_perm_b32 v21, v13, v11, s6
	v_lshlrev_b32_e32 v7, 1, v7
	v_accvgpr_read_b32 v1, a1
	v_accvgpr_read_b32 v2, a2
	;; [unrolled: 1-line block ×3, first 2 shown]
	ds_write_b64 v7, v[20:21] offset:45056
	v_mov_b32_e32 v9, 0
	v_mov_b32_e32 v7, 0
	s_and_saveexec_b64 s[6:7], vcc
	s_cbranch_execz .LBB264_76
; %bb.75:
	v_mov_b32_e32 v7, 0
	v_lshl_add_u64 v[6:7], v[4:5], 0, v[6:7]
	global_load_ushort v6, v[6:7], off offset:32
	s_waitcnt vmcnt(0)
	v_lshlrev_b32_e32 v6, 16, v6
	v_sub_f32_e32 v0, v6, v0
	v_mul_f32_e32 v0, v16, v0
	v_lshrrev_b32_e32 v7, 16, v0
.LBB264_76:
	s_or_b64 exec, exec, s[6:7]
	s_and_saveexec_b64 s[6:7], s[0:1]
	s_cbranch_execz .LBB264_78
; %bb.77:
	v_mov_b32_e32 v9, 0
	v_lshl_add_u64 v[8:9], v[4:5], 0, v[8:9]
	global_load_ushort v0, v[8:9], off offset:32
	s_waitcnt vmcnt(0)
	v_lshlrev_b32_e32 v0, 16, v0
	v_sub_f32_e32 v0, v0, v1
	v_mul_f32_e32 v0, v14, v0
	v_lshrrev_b32_e32 v9, 16, v0
.LBB264_78:
	s_or_b64 exec, exec, s[6:7]
	v_mov_b32_e32 v0, 0
	v_mov_b32_e32 v1, 0
	s_and_saveexec_b64 s[0:1], s[2:3]
	s_cbranch_execz .LBB264_80
; %bb.79:
	v_mov_b32_e32 v11, 0
	v_lshl_add_u64 v[10:11], v[4:5], 0, v[10:11]
	global_load_ushort v1, v[10:11], off offset:32
	s_waitcnt vmcnt(0)
	v_lshlrev_b32_e32 v1, 16, v1
	v_sub_f32_e32 v1, v1, v2
	v_mul_f32_e32 v1, v17, v1
	v_lshrrev_b32_e32 v1, 16, v1
.LBB264_80:
	s_or_b64 exec, exec, s[0:1]
	s_and_saveexec_b64 s[0:1], s[4:5]
	s_cbranch_execz .LBB264_82
; %bb.81:
	v_mov_b32_e32 v13, 0
	v_lshl_add_u64 v[4:5], v[4:5], 0, v[12:13]
	global_load_ushort v0, v[4:5], off offset:32
	s_waitcnt vmcnt(0)
	v_lshlrev_b32_e32 v0, 16, v0
	v_sub_f32_e32 v0, v0, v3
	v_mul_f32_e32 v0, v15, v0
	v_lshrrev_b32_e32 v0, 16, v0
.LBB264_82:
	s_or_b64 exec, exec, s[0:1]
	s_mov_b32 s0, 0x5040100
	v_or_b32_e32 v2, v18, v19
	v_perm_b32 v1, v0, v1, s0
	v_perm_b32 v0, v9, v7, s0
	v_lshlrev_b32_e32 v2, 1, v2
	ds_write_b64 v2, v[0:1] offset:45056
	s_waitcnt lgkmcnt(0)
	s_barrier
.LBB264_83:
	s_endpgm
	.section	.rodata,"a",@progbits
	.p2align	6, 0x0
	.amdhsa_kernel _ZN12_GLOBAL__N_139chunk_gated_delta_rule_fwd_h_hip_kernelILi32ELb0ELb0ELb0ELb1ELb1ELb1ELb1ELb1EEEvPK12hip_bfloat16S3_S3_PKfS5_PKvPS1_S8_PvPKiSB_iiiiilll
		.amdhsa_group_segment_fixed_size 49152
		.amdhsa_private_segment_fixed_size 0
		.amdhsa_kernarg_size 136
		.amdhsa_user_sgpr_count 2
		.amdhsa_user_sgpr_dispatch_ptr 0
		.amdhsa_user_sgpr_queue_ptr 0
		.amdhsa_user_sgpr_kernarg_segment_ptr 1
		.amdhsa_user_sgpr_dispatch_id 0
		.amdhsa_user_sgpr_kernarg_preload_length 0
		.amdhsa_user_sgpr_kernarg_preload_offset 0
		.amdhsa_user_sgpr_private_segment_size 0
		.amdhsa_uses_dynamic_stack 0
		.amdhsa_enable_private_segment 0
		.amdhsa_system_sgpr_workgroup_id_x 1
		.amdhsa_system_sgpr_workgroup_id_y 1
		.amdhsa_system_sgpr_workgroup_id_z 0
		.amdhsa_system_sgpr_workgroup_info 0
		.amdhsa_system_vgpr_workitem_id 0
		.amdhsa_next_free_vgpr 160
		.amdhsa_next_free_sgpr 61
		.amdhsa_accum_offset 140
		.amdhsa_reserve_vcc 1
		.amdhsa_float_round_mode_32 0
		.amdhsa_float_round_mode_16_64 0
		.amdhsa_float_denorm_mode_32 3
		.amdhsa_float_denorm_mode_16_64 3
		.amdhsa_dx10_clamp 1
		.amdhsa_ieee_mode 1
		.amdhsa_fp16_overflow 0
		.amdhsa_tg_split 0
		.amdhsa_exception_fp_ieee_invalid_op 0
		.amdhsa_exception_fp_denorm_src 0
		.amdhsa_exception_fp_ieee_div_zero 0
		.amdhsa_exception_fp_ieee_overflow 0
		.amdhsa_exception_fp_ieee_underflow 0
		.amdhsa_exception_fp_ieee_inexact 0
		.amdhsa_exception_int_div_zero 0
	.end_amdhsa_kernel
	.section	.text._ZN12_GLOBAL__N_139chunk_gated_delta_rule_fwd_h_hip_kernelILi32ELb0ELb0ELb0ELb1ELb1ELb1ELb1ELb1EEEvPK12hip_bfloat16S3_S3_PKfS5_PKvPS1_S8_PvPKiSB_iiiiilll,"axG",@progbits,_ZN12_GLOBAL__N_139chunk_gated_delta_rule_fwd_h_hip_kernelILi32ELb0ELb0ELb0ELb1ELb1ELb1ELb1ELb1EEEvPK12hip_bfloat16S3_S3_PKfS5_PKvPS1_S8_PvPKiSB_iiiiilll,comdat
.Lfunc_end264:
	.size	_ZN12_GLOBAL__N_139chunk_gated_delta_rule_fwd_h_hip_kernelILi32ELb0ELb0ELb0ELb1ELb1ELb1ELb1ELb1EEEvPK12hip_bfloat16S3_S3_PKfS5_PKvPS1_S8_PvPKiSB_iiiiilll, .Lfunc_end264-_ZN12_GLOBAL__N_139chunk_gated_delta_rule_fwd_h_hip_kernelILi32ELb0ELb0ELb0ELb1ELb1ELb1ELb1ELb1EEEvPK12hip_bfloat16S3_S3_PKfS5_PKvPS1_S8_PvPKiSB_iiiiilll
                                        ; -- End function
	.section	.AMDGPU.csdata,"",@progbits
; Kernel info:
; codeLenInByte = 8464
; NumSgprs: 67
; NumVgprs: 140
; NumAgprs: 20
; TotalNumVgprs: 160
; ScratchSize: 0
; MemoryBound: 0
; FloatMode: 240
; IeeeMode: 1
; LDSByteSize: 49152 bytes/workgroup (compile time only)
; SGPRBlocks: 8
; VGPRBlocks: 19
; NumSGPRsForWavesPerEU: 67
; NumVGPRsForWavesPerEU: 160
; AccumOffset: 140
; Occupancy: 1
; WaveLimiterHint : 1
; COMPUTE_PGM_RSRC2:SCRATCH_EN: 0
; COMPUTE_PGM_RSRC2:USER_SGPR: 2
; COMPUTE_PGM_RSRC2:TRAP_HANDLER: 0
; COMPUTE_PGM_RSRC2:TGID_X_EN: 1
; COMPUTE_PGM_RSRC2:TGID_Y_EN: 1
; COMPUTE_PGM_RSRC2:TGID_Z_EN: 0
; COMPUTE_PGM_RSRC2:TIDIG_COMP_CNT: 0
; COMPUTE_PGM_RSRC3_GFX90A:ACCUM_OFFSET: 34
; COMPUTE_PGM_RSRC3_GFX90A:TG_SPLIT: 0
	.section	.text._ZN12_GLOBAL__N_139chunk_gated_delta_rule_fwd_h_hip_kernelILi32ELb1ELb1ELb1ELb0ELb1ELb1ELb1ELb1EEEvPK12hip_bfloat16S3_S3_PKfS5_PKvPS1_S8_PvPKiSB_iiiiilll,"axG",@progbits,_ZN12_GLOBAL__N_139chunk_gated_delta_rule_fwd_h_hip_kernelILi32ELb1ELb1ELb1ELb0ELb1ELb1ELb1ELb1EEEvPK12hip_bfloat16S3_S3_PKfS5_PKvPS1_S8_PvPKiSB_iiiiilll,comdat
	.globl	_ZN12_GLOBAL__N_139chunk_gated_delta_rule_fwd_h_hip_kernelILi32ELb1ELb1ELb1ELb0ELb1ELb1ELb1ELb1EEEvPK12hip_bfloat16S3_S3_PKfS5_PKvPS1_S8_PvPKiSB_iiiiilll ; -- Begin function _ZN12_GLOBAL__N_139chunk_gated_delta_rule_fwd_h_hip_kernelILi32ELb1ELb1ELb1ELb0ELb1ELb1ELb1ELb1EEEvPK12hip_bfloat16S3_S3_PKfS5_PKvPS1_S8_PvPKiSB_iiiiilll
	.p2align	8
	.type	_ZN12_GLOBAL__N_139chunk_gated_delta_rule_fwd_h_hip_kernelILi32ELb1ELb1ELb1ELb0ELb1ELb1ELb1ELb1EEEvPK12hip_bfloat16S3_S3_PKfS5_PKvPS1_S8_PvPKiSB_iiiiilll,@function
_ZN12_GLOBAL__N_139chunk_gated_delta_rule_fwd_h_hip_kernelILi32ELb1ELb1ELb1ELb0ELb1ELb1ELb1ELb1EEEvPK12hip_bfloat16S3_S3_PKfS5_PKvPS1_S8_PvPKiSB_iiiiilll: ; @_ZN12_GLOBAL__N_139chunk_gated_delta_rule_fwd_h_hip_kernelILi32ELb1ELb1ELb1ELb0ELb1ELb1ELb1ELb1EEEvPK12hip_bfloat16S3_S3_PKfS5_PKvPS1_S8_PvPKiSB_iiiiilll
; %bb.0:
	s_load_dwordx4 s[24:27], s[0:1], 0x5c
	s_abs_i32 s6, s3
	s_ashr_i32 s5, s3, 31
	v_and_b32_e32 v71, 15, v0
	v_bfe_u32 v70, v0, 4, 2
	s_waitcnt lgkmcnt(0)
	s_abs_i32 s4, s25
	v_cvt_f32_u32_e32 v1, s4
	s_sub_i32 s8, 0, s4
	s_ashr_i32 s7, s25, 31
	s_xor_b32 s5, s5, s7
	v_rcp_iflag_f32_e32 v1, v1
	v_mov_b32_e32 v55, 0
	v_lshlrev_b32_e32 v72, 3, v0
	v_mul_f32_e32 v1, 0x4f7ffffe, v1
	v_cvt_u32_f32_e32 v1, v1
	s_nop 0
	v_readfirstlane_b32 s9, v1
	s_mul_i32 s8, s8, s9
	s_mul_hi_u32 s8, s9, s8
	s_add_i32 s9, s9, s8
	s_mul_hi_u32 s8, s6, s9
	s_mul_i32 s9, s8, s4
	s_sub_i32 s6, s6, s9
	s_add_i32 s10, s8, 1
	s_sub_i32 s9, s6, s4
	s_cmp_ge_u32 s6, s4
	s_cselect_b32 s8, s10, s8
	s_cselect_b32 s6, s9, s6
	s_add_i32 s9, s8, 1
	s_cmp_ge_u32 s6, s4
	s_cselect_b32 s6, s9, s8
	s_xor_b32 s6, s6, s5
	s_sub_i32 s59, s6, s5
	s_mul_i32 s6, s59, s25
	s_sub_i32 s33, s3, s6
	s_abs_i32 s3, s26
	v_cvt_f32_u32_e32 v1, s3
	s_add_i32 s8, s24, 63
	s_ashr_i32 s9, s8, 31
	s_lshr_b32 s5, s9, 26
	v_rcp_iflag_f32_e32 v1, v1
	s_ashr_i32 s58, s24, 31
	s_add_i32 s8, s8, s5
	s_lshr_b32 s5, s58, 26
	v_mul_f32_e32 v1, 0x4f7ffffe, v1
	v_cvt_u32_f32_e32 v1, v1
	s_add_i32 s5, s24, s5
	s_ashr_i32 s61, s26, 31
	s_ashr_i32 s28, s8, 6
	;; [unrolled: 1-line block ×3, first 2 shown]
	s_xor_b32 s5, s7, s61
	s_sub_i32 s7, 0, s3
	v_readfirstlane_b32 s8, v1
	s_mul_i32 s7, s7, s8
	s_mul_hi_u32 s7, s8, s7
	s_add_i32 s8, s8, s7
	s_mul_hi_u32 s7, s4, s8
	s_mul_i32 s8, s7, s3
	s_sub_i32 s4, s4, s8
	s_lshl_b32 s2, s2, 5
	s_add_i32 s8, s7, 1
	s_sub_i32 s9, s4, s3
	s_cmp_ge_u32 s4, s3
	s_cselect_b32 s7, s8, s7
	s_cselect_b32 s4, s9, s4
	s_add_i32 s8, s7, 1
	s_cmp_ge_u32 s4, s3
	s_cselect_b32 s3, s8, s7
	s_xor_b32 s3, s3, s5
	s_sub_i32 s3, s3, s5
	s_abs_i32 s4, s3
	v_cvt_f32_u32_e32 v1, s4
	s_sub_i32 s7, 0, s4
	s_abs_i32 s5, s33
	s_xor_b32 s3, s33, s3
	v_rcp_iflag_f32_e32 v2, v1
	s_ashr_i32 s3, s3, 31
	s_load_dwordx8 s[8:15], s[0:1], 0x20
	v_lshrrev_b32_e32 v1, 6, v0
	v_mul_f32_e32 v2, 0x4f7ffffe, v2
	v_cvt_u32_f32_e32 v2, v2
	v_or_b32_e32 v60, s2, v71
	v_lshlrev_b32_e32 v53, 4, v1
	v_lshlrev_b32_e32 v56, 7, v60
	v_readfirstlane_b32 s16, v2
	s_mul_i32 s7, s7, s16
	s_mul_hi_u32 s7, s16, s7
	s_add_i32 s16, s16, s7
	s_mul_hi_u32 s7, s5, s16
	s_mul_i32 s16, s7, s4
	s_sub_i32 s5, s5, s16
	s_add_i32 s16, s7, 1
	s_sub_i32 s17, s5, s4
	s_cmp_ge_u32 s5, s4
	s_cselect_b32 s7, s16, s7
	s_cselect_b32 s5, s17, s5
	s_add_i32 s16, s7, 1
	s_cmp_ge_u32 s5, s4
	s_cselect_b32 s4, s16, s7
	s_xor_b32 s4, s4, s3
	s_sub_i32 s62, s4, s3
	s_ashr_i32 s3, s59, 31
	s_ashr_i32 s50, s33, 31
	s_mul_hi_i32 s4, s59, s25
	s_add_u32 s42, s6, s33
	s_addc_u32 s43, s4, s50
	s_lshl_b64 s[34:35], s[42:43], 15
	s_waitcnt lgkmcnt(0)
	s_add_u32 s4, s10, s34
	v_lshl_or_b32 v74, v70, 2, v53
	s_addc_u32 s5, s11, s35
	v_ashrrev_i32_e32 v57, 31, v56
	v_lshl_add_u64 v[2:3], v[56:57], 1, s[4:5]
	v_lshlrev_b32_e32 v54, 1, v74
	v_or_b32_e32 v58, 0x800, v56
	v_lshl_add_u64 v[2:3], v[2:3], 0, v[54:55]
	v_ashrrev_i32_e32 v59, 31, v58
	global_load_dwordx2 v[6:7], v[2:3], off
	global_load_dwordx2 v[10:11], v[2:3], off offset:128
	v_lshl_add_u64 v[2:3], v[58:59], 1, s[4:5]
	v_lshl_add_u64 v[2:3], v[2:3], 0, v[54:55]
	global_load_dwordx2 v[12:13], v[2:3], off
	global_load_dwordx2 v[14:15], v[2:3], off offset:128
	s_load_dwordx2 s[10:11], s[0:1], 0x40
	s_load_dwordx8 s[16:23], s[0:1], 0x0
	s_load_dwordx2 s[36:37], s[0:1], 0x80
	s_load_dwordx4 s[4:7], s[0:1], 0x70
	v_and_b32_e32 v55, 63, v0
	v_lshrrev_b32_e32 v73, 3, v55
	v_or_b32_e32 v75, 64, v74
	s_mul_i32 s51, s59, s24
	s_waitcnt lgkmcnt(0)
	s_mul_i32 s52, s59, s5
	s_mul_hi_u32 s53, s59, s4
	s_mul_i32 s38, s59, s4
	s_mul_i32 s63, s59, s28
	;; [unrolled: 1-line block ×3, first 2 shown]
	s_mul_hi_u32 s55, s33, s6
	s_mul_i32 s57, s3, s4
	s_mul_i32 s56, s50, s6
	s_mul_hi_u32 s64, s42, s24
	s_mul_i32 s44, s42, s24
	s_mul_i32 s43, s43, s24
	s_cmp_lt_i32 s24, 64
	s_mul_i32 s40, s33, s6
	s_waitcnt vmcnt(3)
	v_and_b32_e32 v3, 0xffff0000, v6
	v_lshlrev_b32_e32 v2, 16, v6
	v_and_b32_e32 v5, 0xffff0000, v7
	v_lshlrev_b32_e32 v4, 16, v7
	s_waitcnt vmcnt(2)
	v_and_b32_e32 v7, 0xffff0000, v10
	v_lshlrev_b32_e32 v6, 16, v10
	v_and_b32_e32 v9, 0xffff0000, v11
	v_lshlrev_b32_e32 v8, 16, v11
	s_waitcnt vmcnt(1)
	v_and_b32_e32 v77, 0xffff0000, v12
	v_lshlrev_b32_e32 v76, 16, v12
	v_and_b32_e32 v87, 0xffff0000, v13
	v_lshlrev_b32_e32 v78, 16, v13
	s_waitcnt vmcnt(0)
	v_and_b32_e32 v80, 0xffff0000, v14
	v_lshlrev_b32_e32 v79, 16, v14
	v_and_b32_e32 v85, 0xffff0000, v15
	v_lshlrev_b32_e32 v81, 16, v15
	s_cbranch_scc1 .LBB265_3
; %bb.1:
	s_add_i32 s45, s64, s43
	s_lshl_b64 s[0:1], s[44:45], 8
	v_and_b32_e32 v83, 56, v72
	s_add_u32 s4, s18, s0
	v_lshl_or_b32 v82, v1, 3, v73
	v_lshlrev_b32_e32 v10, 1, v83
	s_addc_u32 s0, s19, s1
	v_lshl_or_b32 v84, v82, 8, v10
	s_and_b32 s5, s0, 0xffff
	s_mov_b32 s7, 0x20000
	s_movk_i32 s6, 0x4000
	s_movk_i32 s0, 0x80
	v_or_b32_e32 v86, 0x2000, v84
	buffer_load_dwordx4 v[12:15], v84, s[4:7], 0 offen
	buffer_load_dwordx4 v[16:19], v84, s[4:7], s0 offen
	buffer_load_dwordx4 v[20:23], v86, s[4:7], 0 offen
	buffer_load_dwordx4 v[24:27], v86, s[4:7], s0 offen
	v_lshlrev_b32_e32 v11, 3, v82
	v_and_or_b32 v29, v0, 7, v11
	v_and_b32_e32 v11, 0x78, v11
	v_lshlrev_b32_e32 v29, 4, v29
	v_xor_b32_e32 v88, v29, v11
	v_mul_lo_u32 v28, v82, s27
	v_or_b32_e32 v89, 0x1000, v88
	v_xor_b32_e32 v11, 8, v88
	s_cmpk_eq_i32 s27, 0x80
	s_mov_b32 s65, s26
	v_xor_b32_e32 v29, 8, v89
	s_cselect_b64 s[0:1], -1, 0
	s_cmpk_lg_i32 s27, 0x80
	s_waitcnt vmcnt(3)
	ds_write_b64 v88, v[12:13] offset:24576
	ds_write_b64 v11, v[14:15] offset:24576
	s_waitcnt vmcnt(2)
	ds_write_b64 v88, v[16:17] offset:32768
	ds_write_b64 v11, v[18:19] offset:32768
	;; [unrolled: 3-line block ×4, first 2 shown]
	v_lshl_add_u32 v11, v28, 1, v83
	s_cbranch_scc0 .LBB265_4
; %bb.2:
	v_lshlrev_b32_e32 v13, 1, v11
	v_add_lshl_u32 v12, v11, s27, 1
	s_lshl_b32 s6, s27, 7
	v_lshl_or_b32 v10, v82, 9, v10
	s_cbranch_execz .LBB265_5
	s_branch .LBB265_6
.LBB265_3:
	v_mov_b32_e32 v17, v85
	v_mov_b32_e32 v16, v81
	;; [unrolled: 1-line block ×5, first 2 shown]
	s_branch .LBB265_20
.LBB265_4:
                                        ; implicit-def: $vgpr12
                                        ; implicit-def: $vgpr13
                                        ; implicit-def: $sgpr6
	v_lshl_or_b32 v10, v82, 9, v10
.LBB265_5:
	v_or_b32_e32 v12, 0x100, v10
	s_movk_i32 s6, 0x4000
	v_mov_b32_e32 v13, v10
.LBB265_6:
	s_mul_hi_u32 s4, s26, s24
	s_mul_i32 s5, s61, s24
	s_add_i32 s4, s4, s5
	s_mul_i32 s5, s26, s24
	s_mul_i32 s7, s5, s3
	s_mul_hi_u32 s28, s5, s59
	s_add_i32 s7, s28, s7
	s_mul_i32 s4, s4, s59
	s_add_i32 s7, s7, s4
	s_mul_i32 s5, s5, s59
	s_ashr_i32 s66, s62, 31
	s_add_u32 s4, s5, s62
	s_addc_u32 s5, s7, s66
	s_lshl_b64 s[4:5], s[4:5], 8
	s_add_u32 s4, s16, s4
	s_addc_u32 s5, s17, s5
	s_and_b32 s5, s5, 0xffff
	s_mov_b32 s7, 0x20000
	s_movk_i32 s67, 0x80
	buffer_load_dwordx4 v[14:17], v13, s[4:7], 0 offen
	buffer_load_dwordx4 v[18:21], v13, s[4:7], s67 offen
	;; [unrolled: 1-line block ×4, first 2 shown]
	v_and_b32_e32 v12, 6, v0
	v_lshlrev_b32_e32 v31, 6, v74
	v_or_b32_e32 v33, 16, v71
	v_xor_b32_e32 v34, v82, v12
	v_and_b32_e32 v13, 1, v0
	s_mul_i32 s3, s3, s24
	s_mul_hi_u32 s4, s59, s24
	v_lshl_or_b32 v37, v71, 3, v31
	v_lshl_or_b32 v31, v33, 3, v31
	v_lshlrev_b32_e32 v34, 2, v34
	v_lshlrev_b32_e32 v30, 2, v71
	v_or_b32_e32 v92, 0xa000, v31
	v_or_b32_e32 v93, 0xb000, v31
	v_xor_b32_e32 v31, 0x440, v34
	v_cmp_eq_u32_e32 vcc, 0, v13
	s_add_i32 s71, s4, s3
	s_add_i32 s3, s53, s52
	v_xor_b32_e32 v35, v74, v30
	v_xor_b32_e32 v36, v75, v30
	v_cndmask_b32_e32 v13, v31, v34, vcc
	s_add_i32 s39, s3, s57
	s_add_i32 s3, s55, s54
	s_mov_b32 s69, 0x1000504
	v_lshlrev_b32_e32 v32, 8, v71
	v_lshlrev_b32_e32 v35, 1, v35
	;; [unrolled: 1-line block ×3, first 2 shown]
	v_lshl_or_b32 v12, v12, 10, v13
	s_add_i32 s41, s3, s56
	s_lshl_b64 s[4:5], s[38:39], 2
	s_mov_b32 s70, 0x3020706
	v_or_b32_e32 v90, 0xa000, v37
	v_or_b32_e32 v91, 0xb000, v37
	;; [unrolled: 1-line block ×4, first 2 shown]
	v_xor_b32_e32 v13, 8, v12
	v_xor_b32_e32 v32, 24, v12
	;; [unrolled: 1-line block ×4, first 2 shown]
	s_add_u32 s3, s22, s4
	v_xor_b32_e32 v31, 16, v12
	v_xor_b32_e32 v34, 32, v12
	;; [unrolled: 1-line block ×3, first 2 shown]
	v_add_u32_e32 v13, 0x80, v13
	v_add_u32_e32 v32, 0x80, v32
	;; [unrolled: 1-line block ×4, first 2 shown]
	s_addc_u32 s6, s23, s5
	s_lshl_b64 s[4:5], s[40:41], 2
	s_add_u32 s46, s3, s4
	s_movk_i32 s3, 0xf8
	s_addc_u32 s47, s6, s5
	s_lshl_b32 s30, s27, 7
	s_movk_i32 s28, 0x100
	v_mov_b32_e32 v63, 0
	v_lshlrev_b32_e32 v62, 4, v71
	v_cmp_gt_u32_e32 vcc, s28, v0
	v_ashrrev_i32_e32 v61, 31, v60
	v_lshlrev_b32_e32 v33, 8, v33
	s_mov_b32 s68, 0
	v_or_b32_e32 v96, v33, v35
	v_or_b32_e32 v97, v33, v36
	s_movk_i32 s39, 0x1000
	s_movk_i32 s6, 0x4000
	s_mov_b32 s41, 0x7060302
	s_mov_b32 s73, 0
	s_waitcnt vmcnt(1)
	v_perm_b32 v40, v14, v22, s69
	s_waitcnt vmcnt(0)
	v_perm_b32 v41, v18, v26, s69
	v_perm_b32 v14, v14, v22, s70
	v_perm_b32 v18, v18, v26, s70
	v_perm_b32 v22, v15, v23, s69
	v_perm_b32 v26, v19, v27, s69
	v_perm_b32 v15, v15, v23, s70
	v_perm_b32 v19, v19, v27, s70
	v_perm_b32 v23, v16, v24, s69
	v_perm_b32 v27, v20, v28, s69
	v_perm_b32 v16, v16, v24, s70
	v_perm_b32 v20, v20, v28, s70
	v_perm_b32 v24, v17, v25, s69
	v_perm_b32 v28, v21, v29, s69
	v_perm_b32 v17, v17, v25, s70
	v_perm_b32 v21, v21, v29, s70
	ds_write2st64_b32 v12, v40, v41 offset0:32 offset1:64
	ds_write2st64_b32 v13, v14, v18 offset0:32 offset1:64
	;; [unrolled: 1-line block ×8, first 2 shown]
	v_or_b32_e32 v12, v53, v71
	v_lshlrev_b32_e32 v12, 3, v12
	v_lshrrev_b32_e32 v15, 5, v55
	v_and_or_b32 v15, v12, s3, v15
	v_lshlrev_b32_e32 v15, 4, v15
	v_lshlrev_b32_e32 v17, 11, v1
	v_and_b32_e32 v12, 0x78, v12
	v_or_b32_e32 v20, 32, v15
	v_and_b32_e32 v14, 0x1000, v17
	v_lshrrev_b32_e32 v18, 1, v55
	v_xor_b32_e32 v20, v20, v12
	v_xor_b32_e32 v16, v15, v12
	v_and_b32_e32 v18, 8, v18
	v_or_b32_e32 v20, v20, v14
	v_or_b32_e32 v16, v16, v14
	v_lshlrev_b32_e32 v19, 7, v70
	v_xor_b32_e32 v100, v20, v18
	v_or_b32_e32 v20, 64, v15
	v_or_b32_e32 v15, 0x60, v15
	s_ashr_i32 s3, s2, 31
	v_xor_b32_e32 v98, v16, v18
	v_or_b32_e32 v16, v19, v30
	v_xor_b32_e32 v20, v20, v12
	v_xor_b32_e32 v12, v15, v12
	s_lshl_b64 s[4:5], s[2:3], 8
	v_lshlrev_b32_e32 v16, 1, v16
	v_or_b32_e32 v20, v20, v14
	v_or_b32_e32 v12, v12, v14
	s_add_u32 s4, s12, s4
	v_lshlrev_b32_e32 v14, 1, v71
	v_or_b32_e32 v99, 0xa000, v16
	v_or_b32_e32 v101, 0xa080, v16
	;; [unrolled: 1-line block ×4, first 2 shown]
	v_lshrrev_b32_e32 v16, 4, v0
	s_addc_u32 s5, s13, s5
	v_or_b32_e32 v15, 1, v14
	v_mov_b32_e32 v25, 0x4000
	v_mov_b32_e32 v26, 0x2000
	v_lshrrev_b32_e32 v27, 1, v0
	v_xor_b32_e32 v102, v20, v18
	v_xor_b32_e32 v103, v12, v18
	;; [unrolled: 1-line block ×4, first 2 shown]
	v_lshl_add_u64 v[14:15], s[4:5], 0, v[62:63]
	v_lshlrev_b32_e32 v62, 8, v16
	v_cndmask_b32_e32 v25, v25, v26, vcc
	v_lshlrev_b32_e32 v26, 3, v1
	v_and_b32_e32 v27, 24, v27
	v_lshl_or_b32 v106, v18, 3, v62
	v_and_b32_e32 v18, 8, v0
	v_xor_b32_e32 v28, v26, v27
	v_or_b32_e32 v29, 0x440, v28
	v_cmp_eq_u32_e32 vcc, 0, v18
	v_and_b32_e32 v16, 7, v0
	v_lshl_or_b32 v107, v22, 3, v62
	v_cndmask_b32_e32 v18, v29, v28, vcc
	v_lshlrev_b32_e32 v22, 3, v16
	v_lshlrev_b32_e32 v24, 2, v0
	v_or_b32_e32 v18, v18, v17
	v_xor_b32_e32 v28, v18, v22
	v_and_or_b32 v18, v24, 60, v19
	v_mov_b32_e32 v19, 0xb000
	v_lshl_or_b32 v108, v18, 1, v19
	v_or_b32_e32 v18, 32, v27
	v_xor_b32_e32 v18, v26, v18
	v_or_b32_e32 v19, 0x440, v18
	v_cndmask_b32_e32 v18, v19, v18, vcc
	v_or_b32_e32 v18, v18, v17
	v_xor_b32_e32 v19, v18, v22
	v_or_b32_e32 v18, 64, v27
	v_xor_b32_e32 v18, v26, v18
	v_xor_b32_e32 v30, 0x440, v18
	v_cndmask_b32_e32 v18, v30, v18, vcc
	v_or_b32_e32 v18, v18, v17
	v_xor_b32_e32 v30, v18, v22
	v_or_b32_e32 v18, 0x60, v27
	v_xor_b32_e32 v18, v26, v18
	v_xor_b32_e32 v26, 0x440, v18
	v_cndmask_b32_e32 v18, v26, v18, vcc
	v_lshrrev_b32_e32 v13, 2, v55
	v_or_b32_e32 v17, v18, v17
	v_and_b32_e32 v13, 12, v13
	v_lshlrev_b32_e32 v20, 1, v11
	v_add_lshl_u32 v11, v11, s27, 1
	v_or_b32_e32 v21, 0x100, v10
	v_xor_b32_e32 v17, v17, v22
	v_lshlrev_b32_e32 v12, 7, v74
	v_lshlrev_b32_e32 v23, 7, v16
	v_or_b32_e32 v16, v13, v53
	v_add_u32_e32 v29, v25, v28
	v_add_u32_e32 v24, v25, v19
	;; [unrolled: 1-line block ×4, first 2 shown]
	v_or3_b32 v18, v53, v13, 64
	v_add_u32_e32 v13, 0x4000, v28
	v_add_u32_e32 v19, 0x4000, v19
	;; [unrolled: 1-line block ×4, first 2 shown]
	v_cndmask_b32_e64 v109, v20, v10, s[0:1]
	v_cndmask_b32_e64 v110, v11, v21, s[0:1]
	v_lshlrev_b64 v[10:11], 1, v[60:61]
	v_lshl_add_u64 v[64:65], s[20:21], 0, v[10:11]
	v_lshl_add_u64 v[66:67], s[14:15], 0, v[10:11]
	;; [unrolled: 1-line block ×3, first 2 shown]
	s_add_i32 s3, s51, 63
	v_lshlrev_b32_e32 v62, 1, v12
	v_lshlrev_b32_e32 v61, 2, v16
	v_add_u32_e32 v111, v29, v23
	v_add_u32_e32 v112, v24, v23
	;; [unrolled: 1-line block ×4, first 2 shown]
	v_lshlrev_b32_e32 v115, 2, v18
	v_add_u32_e32 v116, v13, v23
	v_add_u32_e32 v117, v19, v23
	;; [unrolled: 1-line block ×4, first 2 shown]
	s_waitcnt lgkmcnt(0)
	s_barrier
.LBB265_7:                              ; =>This Inner Loop Header: Depth=1
	s_add_i32 s72, s73, 1
	s_cmp_lt_i32 s72, s60
	s_mov_b64 s[28:29], 0
	s_cselect_b64 s[48:49], -1, 0
	s_cmp_ge_i32 s72, s60
	s_mov_b64 s[4:5], 0
	s_cbranch_scc1 .LBB265_9
; %bb.8:                                ;   in Loop: Header=BB265_7 Depth=1
	s_add_i32 s0, s68, 64
	s_add_u32 s0, s44, s0
	s_addc_u32 s1, s45, 0
	s_lshl_b64 s[0:1], s[0:1], 8
	s_add_u32 s4, s18, s0
	s_addc_u32 s5, s19, s1
.LBB265_9:                              ;   in Loop: Header=BB265_7 Depth=1
	v_cndmask_b32_e64 v10, 0, 1, s[48:49]
	v_cmp_ne_u32_e64 s[0:1], 1, v10
	s_andn2_b64 vcc, exec, s[48:49]
	s_cbranch_vccnz .LBB265_11
; %bb.10:                               ;   in Loop: Header=BB265_7 Depth=1
	s_add_i32 s28, s68, 64
	s_add_u32 s28, s51, s28
	s_addc_u32 s29, s71, 0
	s_mul_i32 s31, s28, s61
	s_mul_hi_u32 s48, s28, s65
	s_add_i32 s31, s48, s31
	s_mul_i32 s29, s29, s65
	s_add_i32 s31, s31, s29
	s_mul_i32 s28, s28, s65
	s_add_u32 s28, s28, s62
	s_addc_u32 s29, s31, s66
	s_lshl_b64 s[28:29], s[28:29], 8
	s_add_u32 s28, s16, s28
	s_addc_u32 s29, s17, s29
.LBB265_11:                             ;   in Loop: Header=BB265_7 Depth=1
	v_perm_b32 v11, v5, v4, s41
	v_perm_b32 v10, v3, v2, s41
	;; [unrolled: 1-line block ×4, first 2 shown]
	ds_write_b64 v90, v[10:11]
	ds_write_b64 v91, v[12:13]
	;; [unrolled: 1-line block ×4, first 2 shown]
	v_perm_b32 v11, v87, v78, s41
	v_perm_b32 v10, v77, v76, s41
	v_perm_b32 v13, v85, v81, s41
	v_perm_b32 v12, v80, v79, s41
	ds_write_b64 v92, v[10:11]
	ds_write_b64 v93, v[12:13]
	;; [unrolled: 1-line block ×4, first 2 shown]
	s_waitcnt lgkmcnt(0)
	s_barrier
	ds_read_b64 v[14:15], v98 offset:24576
	ds_read2_b64 v[10:13], v99 offset1:16
	ds_read_b64 v[18:19], v101 offset:3072
	ds_read_b64 v[20:21], v99 offset:3072
	ds_read_b64 v[22:23], v100 offset:24576
	s_waitcnt lgkmcnt(3)
	v_mfma_f32_16x16x16_bf16 a[0:3], v[14:15], v[10:11], 0
	s_add_i32 s31, s68, 63
	s_mul_i32 s48, s31, s37
	s_mul_hi_u32 s49, s31, s36
	v_mfma_f32_16x16x16_bf16 a[4:7], v[14:15], v[12:13], 0
	ds_read2st64_b64 v[10:13], v99 offset0:2 offset1:4
	ds_read2st64_b64 v[14:17], v101 offset0:2 offset1:4
	s_add_i32 s49, s49, s48
	s_waitcnt lgkmcnt(1)
	v_mfma_f32_16x16x16_bf16 a[0:3], v[22:23], v[10:11], a[0:3]
	s_mul_i32 s48, s31, s36
	s_lshl_b64 s[48:49], s[48:49], 2
	s_add_u32 s48, s46, s48
	s_waitcnt lgkmcnt(0)
	v_mfma_f32_16x16x16_bf16 a[4:7], v[22:23], v[14:15], a[4:7]
	ds_read_b64 v[10:11], v102 offset:24576
	ds_read_b64 v[14:15], v103 offset:24576
	s_addc_u32 s49, s47, s49
	s_and_b64 vcc, exec, s[0:1]
	s_waitcnt lgkmcnt(1)
	v_mfma_f32_16x16x16_bf16 a[0:3], v[10:11], v[12:13], a[0:3]
	v_mov_b32_e32 v122, 0
	v_mov_b32_e32 v121, 0
	;; [unrolled: 1-line block ×3, first 2 shown]
	v_mfma_f32_16x16x16_bf16 a[8:11], v[10:11], v[16:17], a[4:7]
	v_mov_b32_e32 v10, 0
	v_mov_b32_e32 v11, 0
	;; [unrolled: 1-line block ×3, first 2 shown]
	s_waitcnt lgkmcnt(0)
	v_mfma_f32_16x16x16_bf16 a[4:7], v[14:15], v[20:21], a[0:3]
	v_mov_b32_e32 v13, 0
	v_mov_b32_e32 v16, 0
	;; [unrolled: 1-line block ×3, first 2 shown]
	v_mfma_f32_16x16x16_bf16 a[0:3], v[14:15], v[18:19], a[8:11]
	v_mov_b32_e32 v14, 0
	v_mov_b32_e32 v15, 0
	;; [unrolled: 1-line block ×10, first 2 shown]
	s_cbranch_vccnz .LBB265_13
; %bb.12:                               ;   in Loop: Header=BB265_7 Depth=1
	s_and_b32 s5, s5, 0xffff
	buffer_load_dwordx4 v[22:25], v84, s[4:7], 0 offen
	buffer_load_dwordx4 v[18:21], v84, s[4:7], s67 offen
	;; [unrolled: 1-line block ×4, first 2 shown]
	v_mov_b32_e32 v121, v88
	v_mov_b32_e32 v120, v89
.LBB265_13:                             ;   in Loop: Header=BB265_7 Depth=1
	ds_read_b64 v[34:35], v98 offset:32768
	ds_read2_b64 v[26:29], v104 offset1:16
	ds_read_b64 v[36:37], v100 offset:32768
	ds_read_b64 v[38:39], v102 offset:32768
	;; [unrolled: 1-line block ×3, first 2 shown]
	ds_read2st64_b64 v[30:33], v104 offset0:2 offset1:4
	v_add_u32_e32 v42, s68, v74
	s_waitcnt lgkmcnt(4)
	v_mfma_f32_16x16x16_bf16 a[4:7], v[34:35], v[26:27], a[4:7]
	v_ashrrev_i32_e32 v26, 31, v42
	v_mfma_f32_16x16x16_bf16 a[0:3], v[34:35], v[28:29], a[0:3]
	v_mul_lo_u32 v28, v42, s37
	v_mul_lo_u32 v29, v26, s36
	v_mad_u64_u32 v[26:27], s[4:5], v42, s36, 0
	v_add3_u32 v27, v27, v28, v29
	v_add_u32_e32 v28, 1, v42
	v_ashrrev_i32_e32 v29, 31, v28
	s_waitcnt lgkmcnt(0)
	v_mfma_f32_16x16x16_bf16 a[4:7], v[36:37], v[30:31], a[4:7]
	v_mul_lo_u32 v30, v29, s36
	v_mul_lo_u32 v31, v28, s37
	v_mad_u64_u32 v[28:29], s[4:5], v28, s36, 0
	v_add3_u32 v29, v29, v31, v30
	v_add_u32_e32 v30, 2, v42
	v_ashrrev_i32_e32 v31, 31, v30
	v_mul_lo_u32 v34, v31, s36
	v_mul_lo_u32 v35, v30, s37
	v_mad_u64_u32 v[30:31], s[4:5], v30, s36, 0
	v_add3_u32 v31, v31, v35, v34
	v_add_u32_e32 v34, 3, v42
	v_ashrrev_i32_e32 v35, 31, v34
	v_mul_lo_u32 v42, v35, s36
	v_mul_lo_u32 v43, v34, s37
	v_mad_u64_u32 v[34:35], s[4:5], v34, s36, 0
	s_add_u32 s4, s44, s68
	s_addc_u32 s5, s45, 0
	s_lshl_b64 s[74:75], s[4:5], 8
	v_lshl_add_u64 v[26:27], v[26:27], 2, s[46:47]
	v_add3_u32 v35, v35, v43, v42
	v_lshl_add_u64 v[42:43], v[64:65], 0, s[74:75]
	v_lshl_add_u64 v[28:29], v[28:29], 2, s[46:47]
	;; [unrolled: 1-line block ×3, first 2 shown]
	global_load_dword v44, v[26:27], off
	global_load_ushort v45, v[42:43], off offset:256
	global_load_ushort v46, v[42:43], off
	global_load_ushort v47, v[42:43], off offset:768
	v_lshl_add_u64 v[26:27], v[34:35], 2, s[46:47]
	v_lshl_add_u64 v[30:31], v[30:31], 2, s[46:47]
	global_load_dword v48, v[28:29], off
	global_load_dword v49, v[30:31], off
	global_load_dword v50, v[26:27], off
	ds_read2st64_b64 v[26:29], v105 offset0:2 offset1:4
	s_waitcnt lgkmcnt(0)
	v_mfma_f32_16x16x16_bf16 a[0:3], v[36:37], v[26:27], a[0:3]
	global_load_ushort v36, v[42:43], off offset:512
	global_load_ushort v51, v[42:43], off offset:800
	;; [unrolled: 1-line block ×4, first 2 shown]
	s_nop 0
	global_load_ushort v42, v[42:43], off offset:32
	s_and_b64 vcc, exec, s[0:1]
	v_mfma_f32_16x16x16_bf16 a[4:7], v[38:39], v[32:33], a[4:7]
	s_waitcnt vmcnt(10)
	v_lshlrev_b32_e32 v35, 16, v45
	v_mfma_f32_16x16x16_bf16 a[0:3], v[38:39], v[28:29], a[0:3]
	ds_read_b64 v[26:27], v104 offset:3072
	ds_read_b64 v[28:29], v105 offset:3072
	s_load_dword s4, s[48:49], 0x0
	s_waitcnt vmcnt(9)
	v_lshlrev_b32_e32 v34, 16, v46
	s_waitcnt lgkmcnt(0)
	v_mfma_f32_16x16x16_bf16 a[4:7], v[40:41], v[26:27], a[4:7]
	v_lshl_add_u64 v[26:27], v[66:67], 0, s[74:75]
	v_sub_f32_e32 v38, s4, v44
	s_waitcnt vmcnt(7)
	v_sub_f32_e32 v39, s4, v48
	v_mfma_f32_16x16x16_bf16 a[0:3], v[40:41], v[28:29], a[0:3]
	s_waitcnt vmcnt(6)
	v_sub_f32_e32 v40, s4, v49
	s_waitcnt vmcnt(5)
	v_sub_f32_e32 v41, s4, v50
	v_accvgpr_read_b32 v33, a5
	v_accvgpr_read_b32 v32, a4
	v_exp_f32_e32 v38, v38
	v_pk_add_f32 v[32:33], v[34:35], v[32:33] neg_lo:[0,1] neg_hi:[0,1]
	v_exp_f32_e32 v39, v39
	v_exp_f32_e32 v34, v40
	;; [unrolled: 1-line block ×3, first 2 shown]
	v_accvgpr_read_b32 v29, a7
	v_accvgpr_read_b32 v28, a6
	v_lshlrev_b32_e32 v37, 16, v47
	s_waitcnt vmcnt(4)
	v_lshlrev_b32_e32 v36, 16, v36
	v_lshl_add_u64 v[26:27], v[26:27], 0, v[62:63]
	v_pk_add_f32 v[28:29], v[36:37], v[28:29] neg_lo:[0,1] neg_hi:[0,1]
	global_store_short_d16_hi v[26:27], v32, off
	global_store_short_d16_hi v[26:27], v33, off offset:256
	global_store_short_d16_hi v[26:27], v28, off offset:512
	;; [unrolled: 1-line block ×3, first 2 shown]
	v_pk_mul_f32 v[32:33], v[38:39], v[32:33]
	v_pk_mul_f32 v[28:29], v[34:35], v[28:29]
	v_accvgpr_read_b32 v37, a1
	v_perm_b32 v32, v33, v32, s41
	v_perm_b32 v33, v29, v28, s41
	s_waitcnt vmcnt(5)
	v_lshlrev_b32_e32 v29, 16, v123
	s_waitcnt vmcnt(4)
	v_lshlrev_b32_e32 v28, 16, v42
	v_accvgpr_read_b32 v36, a0
	v_accvgpr_read_b32 v31, a3
	;; [unrolled: 1-line block ×3, first 2 shown]
	v_pk_add_f32 v[28:29], v[28:29], v[36:37] neg_lo:[0,1] neg_hi:[0,1]
	v_lshlrev_b32_e32 v37, 16, v51
	v_lshlrev_b32_e32 v36, 16, v52
	v_pk_add_f32 v[30:31], v[36:37], v[30:31] neg_lo:[0,1] neg_hi:[0,1]
	global_store_short_d16_hi v[26:27], v28, off offset:32
	global_store_short_d16_hi v[26:27], v29, off offset:288
	;; [unrolled: 1-line block ×4, first 2 shown]
	v_pk_mul_f32 v[26:27], v[38:39], v[28:29]
	v_pk_mul_f32 v[28:29], v[34:35], v[30:31]
	v_mov_b32_e32 v123, 0
	v_perm_b32 v29, v29, v28, s41
	v_perm_b32 v28, v27, v26, s41
	ds_write2_b64 v91, v[32:33], v[28:29] offset1:16
	v_mov_b32_e32 v26, 0
	v_mov_b32_e32 v27, 0
	;; [unrolled: 1-line block ×16, first 2 shown]
	s_cbranch_vccnz .LBB265_15
; %bb.14:                               ;   in Loop: Header=BB265_7 Depth=1
	s_and_b32 s29, s29, 0xffff
	s_mov_b32 s31, s7
	buffer_load_dwordx4 v[38:41], v109, s[28:31], 0 offen
	buffer_load_dwordx4 v[30:33], v109, s[28:31], s67 offen
	;; [unrolled: 1-line block ×4, first 2 shown]
	v_mov_b32_e32 v122, v83
	v_mov_b32_e32 v123, v82
.LBB265_15:                             ;   in Loop: Header=BB265_7 Depth=1
	s_waitcnt lgkmcnt(0)
	s_barrier
	ds_read_b64 v[46:47], v111
	ds_read_b64 v[128:129], v108
	;; [unrolled: 1-line block ×5, first 2 shown]
	ds_read_b64 v[142:143], v105 offset:3072
	ds_read2_b64 v[42:45], v104 offset0:16 offset1:128
	s_waitcnt lgkmcnt(5)
	v_mfma_f32_16x16x16_bf16 a[0:3], v[46:47], v[128:129], 0
	s_add_i32 s5, s63, s73
	s_mul_hi_i32 s29, s5, s25
	s_mul_i32 s5, s5, s25
	s_waitcnt lgkmcnt(0)
	v_mfma_f32_16x16x16_bf16 a[4:7], v[46:47], v[42:43], 0
	ds_read_b64 v[46:47], v116
	ds_read2st64_b64 v[48:51], v105 offset0:2 offset1:4
	s_add_u32 s28, s5, s33
	s_addc_u32 s29, s29, s50
	s_add_i32 s5, s3, s68
	s_lshl_b64 s[28:29], s[28:29], 15
	s_mul_hi_i32 s31, s5, s25
	s_mul_i32 s5, s5, s25
	s_add_u32 s48, s5, s33
	s_waitcnt lgkmcnt(1)
	v_mfma_f32_16x16x16_bf16 a[8:11], v[46:47], v[128:129], 0
	s_addc_u32 s49, s31, s50
	ds_read2st64_b64 v[124:127], v104 offset0:4 offset1:6
	s_lshl_b64 s[48:49], s[48:49], 9
	v_mfma_f32_16x16x16_bf16 a[0:3], v[130:131], v[44:45], a[0:3]
	s_add_u32 s48, s8, s48
	s_addc_u32 s49, s9, s49
	s_waitcnt lgkmcnt(1)
	v_mfma_f32_16x16x16_bf16 a[4:7], v[130:131], v[48:49], a[4:7]
	ds_read_b64 v[130:131], v117
	ds_read_b64 v[138:139], v118
	;; [unrolled: 1-line block ×3, first 2 shown]
	v_mfma_f32_16x16x16_bf16 a[12:15], v[46:47], v[42:43], 0
	s_waitcnt lgkmcnt(2)
	v_mfma_f32_16x16x16_bf16 a[8:11], v[130:131], v[44:45], a[8:11]
	global_load_dwordx4 v[42:45], v115, s[48:49]
	v_mfma_f32_16x16x16_bf16 a[12:15], v[130:131], v[48:49], a[12:15]
	global_load_dwordx4 v[46:49], v61, s[48:49]
	ds_read2st64_b64 v[128:131], v106 offset1:8
	s_waitcnt lgkmcnt(0)
	v_mov_b32_e32 v136, v128
	v_mfma_f32_16x16x16_bf16 a[0:3], v[132:133], v[124:125], a[0:3]
	v_mov_b32_e32 v137, v129
	v_mfma_f32_16x16x16_bf16 a[4:7], v[132:133], v[50:51], a[4:7]
	ds_read2st64_b64 v[132:135], v107 offset1:8
	v_mfma_f32_16x16x16_bf16 a[8:11], v[138:139], v[124:125], a[8:11]
	v_lshl_add_u64 v[124:125], v[68:69], 0, s[28:29]
	v_mfma_f32_16x16x16_bf16 a[16:19], v[138:139], v[50:51], a[12:15]
	v_add_co_u32_e32 v50, vcc, s39, v124
	s_waitcnt lgkmcnt(0)
	v_mov_b32_e32 v138, v132
	v_mfma_f32_16x16x16_bf16 a[0:3], v[140:141], v[126:127], a[0:3]
	v_mov_b32_e32 v139, v133
	v_mov_b32_e32 v132, v130
	;; [unrolled: 1-line block ×3, first 2 shown]
	v_mfma_f32_16x16x16_bf16 a[4:7], v[140:141], v[142:143], a[4:7]
	v_addc_co_u32_e32 v51, vcc, 0, v125, vcc
	global_store_dwordx4 v[50:51], v[132:135], off
	v_mfma_f32_16x16x16_bf16 a[12:15], v[144:145], v[126:127], a[8:11]
	s_and_b64 vcc, exec, s[0:1]
	global_store_dwordx4 v[124:125], v[136:139], off
	s_waitcnt vmcnt(3)
	v_mov_b32_e32 v52, v45
	v_mfma_f32_16x16x16_bf16 a[8:11], v[144:145], v[142:143], a[16:19]
	v_mov_b32_e32 v51, v44
	v_mov_b32_e32 v50, v43
	s_cbranch_vccnz .LBB265_17
; %bb.16:                               ;   in Loop: Header=BB265_7 Depth=1
	v_lshrrev_b32_e32 v43, 3, v122
	v_and_b32_e32 v43, 6, v43
	v_xor_b32_e32 v44, v43, v123
	v_lshlrev_b32_e32 v44, 2, v44
	v_and_b32_e32 v45, 8, v122
	v_xor_b32_e32 v122, 0x440, v44
	v_cmp_eq_u32_e32 vcc, 0, v45
	v_perm_b32 v45, v30, v26, s69
	s_nop 0
	v_cndmask_b32_e32 v44, v122, v44, vcc
	v_lshl_or_b32 v43, v43, 10, v44
	v_perm_b32 v44, v38, v34, s69
	s_barrier
	ds_write2st64_b32 v43, v44, v45 offset0:32 offset1:64
	v_xor_b32_e32 v44, 8, v43
	v_perm_b32 v34, v38, v34, s70
	v_perm_b32 v26, v30, v26, s70
	v_add_u32_e32 v30, 0x80, v44
	ds_write2st64_b32 v30, v34, v26 offset0:32 offset1:64
	v_xor_b32_e32 v26, 16, v43
	v_perm_b32 v30, v39, v35, s69
	v_perm_b32 v34, v31, v27, s69
	ds_write2st64_b32 v26, v30, v34 offset0:33 offset1:65
	v_xor_b32_e32 v26, 24, v43
	v_perm_b32 v30, v39, v35, s70
	v_perm_b32 v27, v31, v27, s70
	v_add_u32_e32 v26, 0x80, v26
	ds_write2st64_b32 v26, v30, v27 offset0:33 offset1:65
	v_xor_b32_e32 v26, 32, v43
	v_perm_b32 v27, v40, v36, s69
	v_perm_b32 v30, v32, v28, s69
	;; [unrolled: 9-line block ×3, first 2 shown]
	ds_write2st64_b32 v26, v27, v28 offset0:35 offset1:67
	v_xor_b32_e32 v26, 56, v43
	v_perm_b32 v27, v41, v37, s70
	v_perm_b32 v28, v33, v29, s70
	v_add_u32_e32 v26, 0x80, v26
	ds_write2st64_b32 v26, v27, v28 offset0:35 offset1:67
	ds_write_b64 v121, v[22:23] offset:24576
	v_xor_b32_e32 v22, 8, v121
	ds_write_b64 v22, v[24:25] offset:24576
	ds_write_b64 v121, v[18:19] offset:32768
	;; [unrolled: 1-line block ×4, first 2 shown]
	v_xor_b32_e32 v14, 8, v120
	ds_write_b64 v14, v[16:17] offset:24576
	ds_write_b64 v120, v[10:11] offset:32768
	;; [unrolled: 1-line block ×3, first 2 shown]
.LBB265_17:                             ;   in Loop: Header=BB265_7 Depth=1
	v_exp_f32_e32 v26, s4
	s_waitcnt vmcnt(2)
	v_exp_f32_e32 v28, v46
	v_exp_f32_e32 v29, v47
	;; [unrolled: 1-line block ×4, first 2 shown]
	v_accvgpr_read_b32 v21, a3
	v_accvgpr_read_b32 v19, a1
	;; [unrolled: 1-line block ×4, first 2 shown]
	v_pk_mul_f32 v[28:29], v[26:27], v[28:29] op_sel_hi:[0,1]
	v_accvgpr_read_b32 v20, a2
	v_accvgpr_read_b32 v11, a5
	v_accvgpr_read_b32 v10, a4
	v_pk_fma_f32 v[2:3], v[2:3], v[28:29], v[18:19]
	v_pk_mul_f32 v[18:19], v[26:27], v[30:31] op_sel_hi:[0,1]
	v_pk_fma_f32 v[4:5], v[4:5], v[18:19], v[20:21]
	v_fma_f32 v76, v76, v28, v10
	v_fma_f32 v77, v77, v29, v11
	v_exp_f32_e32 v10, v42
	v_exp_f32_e32 v11, v50
	;; [unrolled: 1-line block ×4, first 2 shown]
	v_accvgpr_read_b32 v12, a6
	v_accvgpr_read_b32 v25, a15
	;; [unrolled: 1-line block ×9, first 2 shown]
	v_fma_f32 v78, v78, v18, v12
	v_fmac_f32_e32 v13, v87, v19
	v_pk_mul_f32 v[10:11], v[26:27], v[10:11] op_sel_hi:[0,1]
	v_pk_mul_f32 v[18:19], v[26:27], v[20:21] op_sel_hi:[0,1]
	s_add_i32 s68, s68, 64
	v_pk_fma_f32 v[6:7], v[6:7], v[10:11], v[22:23]
	v_pk_fma_f32 v[8:9], v[8:9], v[18:19], v[24:25]
	v_fma_f32 v79, v79, v10, v14
	v_fma_f32 v80, v80, v11, v15
	;; [unrolled: 1-line block ×3, first 2 shown]
	s_cmp_eq_u32 s60, s72
	v_fmac_f32_e32 v17, v85, v19
	s_cbranch_scc1 .LBB265_19
; %bb.18:                               ;   in Loop: Header=BB265_7 Depth=1
	s_mov_b32 s73, s72
	v_mov_b32_e32 v87, v13
	v_mov_b32_e32 v85, v17
	s_branch .LBB265_7
.LBB265_19:
	v_mov_b32_e32 v16, v81
	v_mov_b32_e32 v15, v80
	;; [unrolled: 1-line block ×3, first 2 shown]
.LBB265_20:
	s_lshl_b32 s45, s60, 6
	s_sub_i32 s48, s24, s45
	v_mov_b32_e32 v12, v78
	v_mov_b32_e32 v11, v77
	;; [unrolled: 1-line block ×3, first 2 shown]
	s_cmp_gt_i32 s48, 0
	s_cbranch_scc0 .LBB265_85
; %bb.21:
	s_ashr_i32 s3, s45, 31
	s_cmpk_lg_i32 s27, 0x80
	s_cselect_b64 s[30:31], -1, 0
	s_and_b64 vcc, exec, s[30:31]
	s_cbranch_vccz .LBB265_23
; %bb.22:
	s_mul_hi_i32 s0, s59, s24
	s_add_u32 s1, s51, s45
	s_addc_u32 s0, s0, s3
	s_mul_i32 s4, s1, s61
	s_mul_hi_u32 s5, s1, s26
	s_add_i32 s4, s5, s4
	s_mul_i32 s0, s0, s26
	s_add_i32 s4, s4, s0
	s_mul_i32 s1, s1, s26
	s_ashr_i32 s0, s62, 31
	s_add_u32 s46, s1, s62
	s_addc_u32 s47, s4, s0
	s_cbranch_execz .LBB265_24
	s_branch .LBB265_25
.LBB265_23:
                                        ; implicit-def: $sgpr46_sgpr47
.LBB265_24:
	s_mul_hi_i32 s0, s59, s26
	s_mul_i32 s59, s59, s26
	s_ashr_i32 s1, s62, 31
	s_add_u32 s4, s59, s62
	s_addc_u32 s0, s0, s1
	s_mul_i32 s1, s4, s58
	s_mul_hi_u32 s5, s4, s24
	s_add_i32 s1, s5, s1
	s_mul_i32 s0, s0, s24
	s_add_i32 s1, s1, s0
	s_mul_i32 s4, s4, s24
	s_add_u32 s46, s4, s45
	s_addc_u32 s47, s1, s3
.LBB265_25:
	s_mul_i32 s0, s42, s58
	s_add_i32 s0, s64, s0
	s_add_i32 s4, s63, s60
	;; [unrolled: 1-line block ×3, first 2 shown]
	s_add_u32 s0, s44, s45
	v_lshlrev_b32_e32 v22, 5, v74
	v_lshlrev_b32_e32 v38, 2, v71
	s_addc_u32 s1, s1, s3
	s_mov_b32 s3, 0x7060302
	v_or_b32_e32 v25, v22, v38
	v_xor_b32_e32 v23, v74, v38
	v_perm_b32 v19, v5, v4, s3
	v_perm_b32 v18, v3, v2, s3
	;; [unrolled: 1-line block ×4, first 2 shown]
	v_lshlrev_b32_e32 v25, 1, v25
	v_xor_b32_e32 v24, v75, v38
	ds_write2st64_b64 v25, v[18:19], v[20:21] offset0:80 offset1:88
	v_lshlrev_b32_e32 v23, 1, v23
	v_lshlrev_b32_e32 v25, 8, v71
	s_lshl_b64 s[28:29], s[0:1], 8
	v_or_b32_e32 v26, v23, v25
	v_lshlrev_b32_e32 v24, 1, v24
	s_add_u32 s0, s18, s28
	ds_write_b64 v26, v[18:19]
	v_or_b32_e32 v18, v24, v25
	s_addc_u32 s1, s19, s29
	ds_write_b64 v18, v[20:21]
	v_perm_b32 v19, v13, v12, s3
	v_perm_b32 v18, v11, v10, s3
	;; [unrolled: 1-line block ×4, first 2 shown]
	v_or_b32_e32 v25, 16, v71
	s_mul_hi_i32 s3, s4, s25
	s_mul_i32 s4, s4, s25
	v_lshlrev_b32_e32 v35, 2, v25
	s_add_u32 s4, s4, s33
	v_or_b32_e32 v22, v22, v35
	s_addc_u32 s5, s3, s50
	v_lshlrev_b32_e32 v22, 1, v22
	s_ashr_i32 s3, s2, 31
	s_lshl_b64 s[4:5], s[4:5], 15
	ds_write2st64_b64 v22, v[18:19], v[20:21] offset0:80 offset1:88
	v_lshlrev_b32_e32 v22, 8, v25
	s_add_u32 s4, s12, s4
	v_or_b32_e32 v23, v23, v22
	s_addc_u32 s5, s13, s5
	s_lshl_b64 s[2:3], s[2:3], 8
	ds_write_b64 v23, v[18:19]
	v_or_b32_e32 v18, v24, v22
	s_add_u32 s2, s4, s2
	ds_write_b64 v18, v[20:21]
	v_lshrrev_b32_e32 v18, 4, v0
	s_addc_u32 s3, s5, s3
	v_lshlrev_b32_e32 v19, 1, v71
	v_lshlrev_b32_e32 v26, 4, v71
	v_mov_b32_e32 v27, 0
	v_or_b32_e32 v20, 1, v19
	v_xor_b32_e32 v19, v18, v19
	v_lshl_add_u64 v[28:29], s[2:3], 0, v[26:27]
	v_lshlrev_b32_e32 v26, 8, v18
	v_xor_b32_e32 v22, v20, v18
	v_lshl_or_b32 v18, v19, 3, v26
	s_waitcnt lgkmcnt(0)
	s_barrier
	ds_read2st64_b64 v[18:21], v18 offset1:8
	v_lshl_or_b32 v22, v22, 3, v26
	ds_read2st64_b64 v[22:25], v22 offset1:8
	v_lshl_add_u64 v[30:31], v[28:29], 0, v[26:27]
	s_movk_i32 s2, 0x1000
	s_waitcnt lgkmcnt(1)
	v_mov_b32_e32 v26, v18
	v_add_co_u32_e32 v18, vcc, s2, v30
	s_cmp_lg_u32 s48, 64
	v_mov_b32_e32 v27, v19
	v_addc_co_u32_e32 v19, vcc, 0, v31, vcc
	s_cselect_b64 s[18:19], -1, 0
	v_lshl_or_b32 v42, v1, 3, v73
	s_waitcnt lgkmcnt(0)
	v_mov_b32_e32 v28, v22
	v_mov_b32_e32 v29, v23
	;; [unrolled: 1-line block ×4, first 2 shown]
	s_mov_b32 s4, 0
	v_or_b32_e32 v36, 32, v42
	v_and_b32_e32 v34, 56, v72
	s_and_b64 vcc, exec, s[18:19]
	global_store_dwordx4 v[30:31], v[26:29], off
	global_store_dwordx4 v[18:19], v[22:25], off
	s_cbranch_vccz .LBB265_31
; %bb.26:
	s_mov_b32 s6, s4
	s_mov_b32 s7, s4
	;; [unrolled: 1-line block ×3, first 2 shown]
	v_mov_b64_e32 v[24:25], s[6:7]
	v_mov_b64_e32 v[22:23], s[4:5]
	;; [unrolled: 1-line block ×3, first 2 shown]
	v_cmp_gt_i32_e32 vcc, s48, v42
	v_mov_b64_e32 v[20:21], v[24:25]
	s_and_saveexec_b64 s[2:3], vcc
	s_cbranch_execz .LBB265_28
; %bb.27:
	v_lshlrev_b32_e32 v18, 8, v42
	v_mov_b32_e32 v19, 0
	v_lshl_add_u64 v[20:21], s[0:1], 0, v[18:19]
	v_lshlrev_b32_e32 v18, 1, v34
	v_lshl_add_u64 v[26:27], v[20:21], 0, v[18:19]
	global_load_dwordx4 v[22:25], v[26:27], off
	global_load_dwordx4 v[18:21], v[26:27], off offset:128
.LBB265_28:
	s_or_b64 exec, exec, s[2:3]
	s_mov_b32 s6, s4
	s_mov_b32 s7, s4
	;; [unrolled: 1-line block ×3, first 2 shown]
	v_mov_b64_e32 v[32:33], s[6:7]
	v_mov_b64_e32 v[30:31], s[4:5]
	;; [unrolled: 1-line block ×3, first 2 shown]
	v_cmp_gt_i32_e32 vcc, s48, v36
	v_lshlrev_b32_e32 v37, 7, v36
	v_mov_b64_e32 v[28:29], v[32:33]
	s_and_saveexec_b64 s[2:3], vcc
	s_cbranch_execz .LBB265_30
; %bb.29:
	v_lshlrev_b32_e32 v26, 1, v37
	v_mov_b32_e32 v27, 0
	v_lshl_add_u64 v[28:29], s[0:1], 0, v[26:27]
	v_lshlrev_b32_e32 v26, 1, v34
	v_lshl_add_u64 v[40:41], v[28:29], 0, v[26:27]
	global_load_dwordx4 v[30:33], v[40:41], off
	global_load_dwordx4 v[26:29], v[40:41], off offset:128
.LBB265_30:
	s_or_b64 exec, exec, s[2:3]
	v_lshrrev_b32_e32 v39, 3, v34
	v_lshlrev_b32_e32 v40, 3, v42
	v_or_b32_e32 v39, v40, v39
	v_lshlrev_b32_e32 v39, 4, v39
	v_and_b32_e32 v40, 0x78, v40
	v_xor_b32_e32 v39, v39, v40
	s_branch .LBB265_33
.LBB265_31:
                                        ; implicit-def: $vgpr39
                                        ; implicit-def: $vgpr37
                                        ; implicit-def: $vgpr22_vgpr23_vgpr24_vgpr25
                                        ; implicit-def: $vgpr18_vgpr19_vgpr20_vgpr21
                                        ; implicit-def: $vgpr30_vgpr31_vgpr32_vgpr33
                                        ; implicit-def: $vgpr26_vgpr27_vgpr28_vgpr29
	s_cbranch_execz .LBB265_33
; %bb.32:
	s_waitcnt vmcnt(0)
	v_lshlrev_b32_e32 v18, 1, v34
	v_lshl_or_b32 v37, v42, 8, v18
	s_and_b32 s1, s1, 0xffff
	s_mov_b32 s3, 0x20000
	s_movk_i32 s2, 0x4000
	v_lshl_or_b32 v39, v36, 8, v18
	s_movk_i32 s4, 0x80
	buffer_load_dwordx4 v[22:25], v37, s[0:3], 0 offen
	buffer_load_dwordx4 v[18:21], v37, s[0:3], s4 offen
	;; [unrolled: 1-line block ×4, first 2 shown]
	v_lshrrev_b32_e32 v37, 3, v34
	v_lshlrev_b32_e32 v39, 3, v42
	v_or_b32_e32 v37, v39, v37
	v_lshlrev_b32_e32 v37, 4, v37
	v_and_b32_e32 v39, 0x78, v39
	v_xor_b32_e32 v39, v37, v39
	v_lshlrev_b32_e32 v37, 7, v36
.LBB265_33:
	s_lshl_b64 s[0:1], s[46:47], 8
	s_add_u32 s4, s16, s0
	s_movk_i32 s0, 0x1000
	v_and_or_b32 v36, v37, s0, v39
	s_waitcnt vmcnt(1)
	ds_write_b64 v39, v[22:23] offset:24576
	v_xor_b32_e32 v22, 8, v39
	ds_write_b64 v22, v[24:25] offset:24576
	s_waitcnt vmcnt(0)
	ds_write_b64 v39, v[18:19] offset:32768
	ds_write_b64 v22, v[20:21] offset:32768
	;; [unrolled: 1-line block ×3, first 2 shown]
	v_xor_b32_e32 v18, 8, v36
	ds_write_b64 v18, v[32:33] offset:24576
	ds_write_b64 v36, v[26:27] offset:32768
	;; [unrolled: 1-line block ×3, first 2 shown]
	v_or_b32_e32 v18, v53, v71
	v_lshlrev_b32_e32 v18, 3, v18
	v_lshrrev_b32_e32 v19, 5, v55
	s_movk_i32 s2, 0xf8
	v_and_or_b32 v19, v18, s2, v19
	v_lshlrev_b32_e32 v23, 4, v19
	v_lshlrev_b32_e32 v39, 11, v1
	v_and_b32_e32 v24, 0x78, v18
	v_or_b32_e32 v26, 32, v23
	v_and_b32_e32 v22, 0x1000, v39
	v_lshrrev_b32_e32 v19, 1, v55
	v_xor_b32_e32 v26, v26, v24
	v_xor_b32_e32 v18, v23, v24
	v_and_b32_e32 v25, 8, v19
	v_or_b32_e32 v26, v26, v22
	v_or_b32_e32 v18, v18, v22
	v_xor_b32_e32 v44, v26, v25
	v_or_b32_e32 v26, 64, v23
	v_xor_b32_e32 v43, v18, v25
	v_xor_b32_e32 v26, v26, v24
	s_waitcnt lgkmcnt(0)
	s_barrier
	v_or_b32_e32 v28, v26, v22
	ds_read_b64 v[26:27], v43 offset:24576
	v_lshl_or_b32 v36, v70, 7, v38
	v_lshlrev_b32_e32 v40, 1, v36
	v_add_u32_e32 v18, 0xa000, v40
	ds_read2_b64 v[18:21], v18 offset1:16
	v_or_b32_e32 v23, 0x60, v23
	v_xor_b32_e32 v23, v23, v24
	s_waitcnt lgkmcnt(0)
	v_mfma_f32_16x16x16_bf16 a[0:3], v[26:27], v[18:19], 0
	v_or_b32_e32 v18, 64, v36
	v_or_b32_e32 v22, v23, v22
	v_lshlrev_b32_e32 v41, 1, v18
	v_xor_b32_e32 v45, v28, v25
	v_xor_b32_e32 v46, v22, v25
	ds_read_b64 v[28:29], v44 offset:24576
	ds_read_b64 v[30:31], v45 offset:24576
	;; [unrolled: 1-line block ×3, first 2 shown]
	v_mfma_f32_16x16x16_bf16 a[4:7], v[26:27], v[20:21], 0
	ds_read2st64_b64 v[18:21], v41 offset0:82 offset1:84
	ds_read2st64_b64 v[22:25], v40 offset0:82 offset1:84
	s_addc_u32 s5, s17, s1
	s_add_i32 s0, s53, s52
	s_add_i32 s16, s24, -1
	s_add_i32 s39, s0, s57
	s_add_i32 s0, s55, s54
	;; [unrolled: 1-line block ×3, first 2 shown]
	s_ashr_i32 s0, s16, 31
	s_mul_i32 s1, s16, s37
	s_mul_hi_u32 s2, s16, s36
	s_add_i32 s1, s2, s1
	s_mul_i32 s0, s0, s36
	s_waitcnt lgkmcnt(1)
	v_mfma_f32_16x16x16_bf16 a[4:7], v[28:29], v[18:19], a[4:7]
	s_add_i32 s1, s1, s0
	s_lshl_b64 s[2:3], s[38:39], 2
	s_add_u32 s6, s22, s2
	s_waitcnt lgkmcnt(0)
	v_mfma_f32_16x16x16_bf16 a[0:3], v[28:29], v[22:23], a[0:3]
	s_addc_u32 s7, s23, s3
	s_lshl_b64 s[2:3], s[40:41], 2
	s_mul_i32 s0, s16, s36
	s_add_u32 s12, s6, s2
	ds_read_b64 v[18:19], v40 offset:44032
	v_mfma_f32_16x16x16_bf16 a[4:7], v[30:31], v[20:21], a[4:7]
	ds_read_b64 v[20:21], v41 offset:44032
	s_addc_u32 s13, s7, s3
	s_lshl_b64 s[0:1], s[0:1], 2
	v_mfma_f32_16x16x16_bf16 a[0:3], v[30:31], v[24:25], a[0:3]
	s_add_u32 s0, s12, s0
	s_addc_u32 s1, s13, s1
	s_load_dword s17, s[0:1], 0x0
	s_waitcnt lgkmcnt(0)
	v_mfma_f32_16x16x16_bf16 a[0:3], v[32:33], v[18:19], a[0:3]
	s_and_b64 vcc, exec, s[30:31]
	v_mfma_f32_16x16x16_bf16 a[4:7], v[32:33], v[20:21], a[4:7]
	s_cbranch_vccz .LBB265_44
; %bb.34:
	v_lshlrev_b32_e32 v36, 1, v42
	s_and_b64 vcc, exec, s[18:19]
	s_cbranch_vccz .LBB265_45
; %bb.35:
	v_cmp_gt_i32_e32 vcc, s48, v36
	v_mov_b32_e32 v22, 0
	v_mov_b32_e32 v18, 0
	;; [unrolled: 1-line block ×5, first 2 shown]
	s_and_saveexec_b64 s[0:1], vcc
	s_cbranch_execz .LBB265_37
; %bb.36:
	v_mad_i64_i32 v[18:19], s[2:3], s27, v36, 0
	v_lshl_add_u64 v[18:19], v[18:19], 1, s[4:5]
	v_lshlrev_b32_e32 v20, 1, v34
	v_mov_b32_e32 v21, 0
	v_lshl_add_u64 v[18:19], v[18:19], 0, v[20:21]
	global_load_dwordx4 v[18:21], v[18:19], off
.LBB265_37:
	s_or_b64 exec, exec, s[0:1]
	v_or_b32_e32 v37, 1, v36
	v_cmp_gt_i32_e64 s[0:1], s48, v37
	v_mov_b32_e32 v23, 0
	v_mov_b32_e32 v24, 0
	;; [unrolled: 1-line block ×3, first 2 shown]
	s_and_saveexec_b64 s[2:3], s[0:1]
	s_cbranch_execz .LBB265_39
; %bb.38:
	v_mad_i64_i32 v[22:23], s[6:7], s27, v37, 0
	v_lshl_add_u64 v[22:23], v[22:23], 1, s[4:5]
	v_lshlrev_b32_e32 v24, 1, v34
	v_mov_b32_e32 v25, 0
	v_lshl_add_u64 v[22:23], v[22:23], 0, v[24:25]
	global_load_dwordx4 v[22:25], v[22:23], off
.LBB265_39:
	s_or_b64 exec, exec, s[2:3]
	v_mov_b32_e32 v33, 0
	v_mov_b32_e32 v26, 0
	;; [unrolled: 1-line block ×5, first 2 shown]
	s_and_saveexec_b64 s[2:3], vcc
	s_cbranch_execz .LBB265_41
; %bb.40:
	v_mad_i64_i32 v[26:27], s[6:7], s27, v36, 0
	v_lshl_add_u64 v[26:27], v[26:27], 1, s[4:5]
	v_lshlrev_b32_e32 v28, 1, v34
	v_mov_b32_e32 v29, 0
	v_lshl_add_u64 v[26:27], v[26:27], 0, v[28:29]
	global_load_dwordx4 v[26:29], v[26:27], off offset:128
.LBB265_41:
	s_or_b64 exec, exec, s[2:3]
	v_mov_b32_e32 v32, 0
	v_mov_b32_e32 v31, 0
	;; [unrolled: 1-line block ×3, first 2 shown]
	s_and_saveexec_b64 s[2:3], s[0:1]
	s_cbranch_execz .LBB265_43
; %bb.42:
	v_mad_i64_i32 v[30:31], s[0:1], s27, v37, 0
	v_lshl_add_u64 v[30:31], v[30:31], 1, s[4:5]
	v_lshlrev_b32_e32 v32, 1, v34
	v_mov_b32_e32 v33, 0
	v_lshl_add_u64 v[30:31], v[30:31], 0, v[32:33]
	global_load_dwordx4 v[30:33], v[30:31], off offset:128
.LBB265_43:
	s_or_b64 exec, exec, s[2:3]
	s_branch .LBB265_47
.LBB265_44:
                                        ; implicit-def: $vgpr21
                                        ; implicit-def: $vgpr25
                                        ; implicit-def: $vgpr29
                                        ; implicit-def: $vgpr33
	v_lshrrev_b32_e32 v47, 2, v55
	s_branch .LBB265_48
.LBB265_45:
                                        ; implicit-def: $vgpr21
                                        ; implicit-def: $vgpr25
                                        ; implicit-def: $vgpr29
                                        ; implicit-def: $vgpr33
	s_cbranch_execz .LBB265_47
; %bb.46:
	s_waitcnt vmcnt(0)
	v_mad_u64_u32 v[18:19], s[0:1], v36, s27, v[34:35]
	v_lshlrev_b32_e32 v36, 1, v18
	s_lshl_b32 s2, s27, 7
	s_and_b32 s1, s5, 0xffff
	s_mov_b32 s3, 0x20000
	s_mov_b32 s0, s4
	v_add_lshl_u32 v37, v18, s27, 1
	s_movk_i32 s6, 0x80
	buffer_load_dwordx4 v[18:21], v36, s[0:3], 0 offen
	buffer_load_dwordx4 v[26:29], v36, s[0:3], s6 offen
	;; [unrolled: 1-line block ×4, first 2 shown]
.LBB265_47:
	v_lshrrev_b32_e32 v47, 2, v55
	s_cbranch_execnz .LBB265_60
.LBB265_48:
	s_and_b64 vcc, exec, s[18:19]
	s_cbranch_vccz .LBB265_58
; %bb.49:
	s_waitcnt vmcnt(0)
	v_lshlrev_b32_e32 v23, 1, v42
	v_cmp_gt_i32_e32 vcc, s48, v23
	v_mov_b32_e32 v22, 0
	v_lshlrev_b32_e32 v30, 9, v42
	v_mov_b32_e32 v18, 0
	v_mov_b32_e32 v19, 0
	;; [unrolled: 1-line block ×4, first 2 shown]
	s_and_saveexec_b64 s[0:1], vcc
	s_cbranch_execz .LBB265_51
; %bb.50:
	v_mov_b32_e32 v31, 0
	v_lshl_add_u64 v[18:19], s[4:5], 0, v[30:31]
	v_lshlrev_b32_e32 v20, 1, v34
	v_mov_b32_e32 v21, v31
	v_lshl_add_u64 v[18:19], v[18:19], 0, v[20:21]
	global_load_dwordx4 v[18:21], v[18:19], off
.LBB265_51:
	s_or_b64 exec, exec, s[0:1]
	v_or_b32_e32 v23, 1, v23
	v_cmp_gt_i32_e64 s[0:1], s48, v23
	v_lshlrev_b32_e32 v36, 8, v23
	v_mov_b32_e32 v23, 0
	v_mov_b32_e32 v24, 0
	;; [unrolled: 1-line block ×3, first 2 shown]
	s_and_saveexec_b64 s[2:3], s[0:1]
	s_cbranch_execz .LBB265_53
; %bb.52:
	v_mov_b32_e32 v37, 0
	v_lshl_add_u64 v[22:23], s[4:5], 0, v[36:37]
	v_lshlrev_b32_e32 v24, 1, v34
	v_mov_b32_e32 v25, v37
	v_lshl_add_u64 v[22:23], v[22:23], 0, v[24:25]
	global_load_dwordx4 v[22:25], v[22:23], off
.LBB265_53:
	s_or_b64 exec, exec, s[2:3]
	v_mov_b32_e32 v33, 0
	v_mov_b32_e32 v26, 0
	;; [unrolled: 1-line block ×5, first 2 shown]
	s_and_saveexec_b64 s[2:3], vcc
	s_cbranch_execz .LBB265_55
; %bb.54:
	v_mov_b32_e32 v31, 0
	v_lshl_add_u64 v[26:27], s[4:5], 0, v[30:31]
	v_lshlrev_b32_e32 v30, 1, v34
	v_lshl_add_u64 v[26:27], v[26:27], 0, v[30:31]
	global_load_dwordx4 v[26:29], v[26:27], off offset:128
.LBB265_55:
	s_or_b64 exec, exec, s[2:3]
	v_mov_b32_e32 v32, 0
	v_mov_b32_e32 v31, 0
	;; [unrolled: 1-line block ×3, first 2 shown]
	s_and_saveexec_b64 s[2:3], s[0:1]
	s_cbranch_execz .LBB265_57
; %bb.56:
	v_mov_b32_e32 v37, 0
	v_lshl_add_u64 v[30:31], s[4:5], 0, v[36:37]
	v_lshlrev_b32_e32 v36, 1, v34
	v_lshl_add_u64 v[30:31], v[30:31], 0, v[36:37]
	global_load_dwordx4 v[30:33], v[30:31], off offset:128
.LBB265_57:
	s_or_b64 exec, exec, s[2:3]
	s_branch .LBB265_60
.LBB265_58:
                                        ; implicit-def: $vgpr21
                                        ; implicit-def: $vgpr25
                                        ; implicit-def: $vgpr29
                                        ; implicit-def: $vgpr33
	s_cbranch_execz .LBB265_60
; %bb.59:
	s_waitcnt vmcnt(0)
	v_lshlrev_b32_e32 v18, 1, v34
	v_lshl_or_b32 v34, v42, 9, v18
	s_and_b32 s5, s5, 0xffff
	s_mov_b32 s7, 0x20000
	s_movk_i32 s6, 0x4000
	s_movk_i32 s0, 0x80
	buffer_load_dwordx4 v[18:21], v34, s[4:7], 0 offen
	buffer_load_dwordx4 v[22:25], v34, s[4:7], 0 offen offset:256
	buffer_load_dwordx4 v[26:29], v34, s[4:7], s0 offen
	buffer_load_dwordx4 v[30:33], v34, s[4:7], s0 offen offset:256
.LBB265_60:
	ds_read_b64 v[36:37], v43 offset:32768
	v_add_u32_e32 v34, 0xb000, v40
	ds_read2_b64 v[48:51], v34 offset1:16
	ds_read_b64 v[66:67], v44 offset:32768
	ds_read_b64 v[44:45], v45 offset:32768
	;; [unrolled: 1-line block ×3, first 2 shown]
	ds_read2st64_b64 v[62:65], v41 offset0:90 offset1:92
	v_and_b32_e32 v43, 6, v0
	v_and_b32_e32 v34, 12, v47
	v_xor_b32_e32 v42, v42, v43
	v_lshlrev_b32_e32 v42, 2, v42
	s_mov_b32 s0, 0x1000504
	s_waitcnt lgkmcnt(4)
	v_mfma_f32_16x16x16_bf16 a[0:3], v[36:37], v[48:49], a[0:3]
	s_mov_b32 s1, 0x3020706
	v_mfma_f32_16x16x16_bf16 a[4:7], v[36:37], v[50:51], a[4:7]
	ds_read2st64_b64 v[48:51], v40 offset0:90 offset1:92
	ds_read_b64 v[36:37], v40 offset:48128
	ds_read_b64 v[46:47], v41 offset:48128
	s_waitcnt lgkmcnt(2)
	v_mfma_f32_16x16x16_bf16 a[0:3], v[66:67], v[48:49], a[0:3]
	v_and_b32_e32 v48, 1, v0
	v_xor_b32_e32 v49, 0x440, v42
	v_cmp_eq_u32_e32 vcc, 0, v48
	v_mfma_f32_16x16x16_bf16 a[4:7], v[66:67], v[62:63], a[4:7]
	s_nop 0
	v_cndmask_b32_e32 v42, v49, v42, vcc
	v_lshl_or_b32 v42, v43, 10, v42
	v_mfma_f32_16x16x16_bf16 a[0:3], v[44:45], v[50:51], a[0:3]
	v_mov_b32_e32 v43, 0
	v_mfma_f32_16x16x16_bf16 a[8:11], v[44:45], v[64:65], a[4:7]
	s_waitcnt lgkmcnt(1)
	v_mfma_f32_16x16x16_bf16 a[4:7], v[68:69], v[36:37], a[0:3]
	s_waitcnt vmcnt(0)
	v_perm_b32 v36, v18, v22, s0
	v_perm_b32 v37, v26, v30, s0
	ds_write2st64_b32 v42, v36, v37 offset0:32 offset1:64
	v_xor_b32_e32 v36, 8, v42
	v_perm_b32 v18, v18, v22, s1
	v_perm_b32 v22, v26, v30, s1
	v_add_u32_e32 v26, 0x80, v36
	ds_write2st64_b32 v26, v18, v22 offset0:32 offset1:64
	v_xor_b32_e32 v18, 16, v42
	v_perm_b32 v22, v19, v23, s0
	v_perm_b32 v26, v27, v31, s0
	ds_write2st64_b32 v18, v22, v26 offset0:33 offset1:65
	v_xor_b32_e32 v18, 24, v42
	v_perm_b32 v19, v19, v23, s1
	v_perm_b32 v22, v27, v31, s1
	v_add_u32_e32 v18, 0x80, v18
	ds_write2st64_b32 v18, v19, v22 offset0:33 offset1:65
	v_xor_b32_e32 v18, 32, v42
	v_perm_b32 v19, v20, v24, s0
	v_perm_b32 v22, v28, v32, s0
	ds_write2st64_b32 v18, v19, v22 offset0:34 offset1:66
	v_xor_b32_e32 v18, 40, v42
	s_waitcnt lgkmcnt(5)
	v_mfma_f32_16x16x16_bf16 a[0:3], v[68:69], v[46:47], a[8:11]
	v_perm_b32 v19, v20, v24, s1
	v_perm_b32 v20, v28, v32, s1
	v_add_u32_e32 v18, 0x80, v18
	ds_write2st64_b32 v18, v19, v20 offset0:34 offset1:66
	v_xor_b32_e32 v18, 48, v42
	v_perm_b32 v19, v21, v25, s0
	v_perm_b32 v20, v29, v33, s0
	ds_write2st64_b32 v18, v19, v20 offset0:35 offset1:67
	v_xor_b32_e32 v18, 56, v42
	v_or_b32_e32 v36, v34, v53
	v_perm_b32 v19, v21, v25, s1
	v_perm_b32 v20, v29, v33, s1
	v_add_u32_e32 v18, 0x80, v18
	v_cmp_gt_i32_e64 s[0:1], s48, v36
	v_mov_b32_e32 v42, 0
	ds_write2st64_b32 v18, v19, v20 offset0:35 offset1:67
	s_and_saveexec_b64 s[2:3], s[0:1]
	s_cbranch_execz .LBB265_62
; %bb.61:
	v_add_u32_e32 v18, s45, v36
	v_ashrrev_i32_e32 v19, 31, v18
	v_mul_lo_u32 v20, v19, s36
	v_mul_lo_u32 v21, v18, s37
	v_mad_u64_u32 v[18:19], s[4:5], v18, s36, 0
	v_add3_u32 v19, v19, v21, v20
	v_lshl_add_u64 v[18:19], v[18:19], 2, s[12:13]
	global_load_dword v18, v[18:19], off
	s_waitcnt vmcnt(0)
	v_sub_f32_e32 v18, s17, v18
	v_exp_f32_e32 v43, v18
.LBB265_62:
	s_or_b64 exec, exec, s[2:3]
	v_or_b32_e32 v30, 1, v36
	v_cmp_gt_i32_e64 s[4:5], s48, v30
	s_and_saveexec_b64 s[2:3], s[4:5]
	s_cbranch_execz .LBB265_64
; %bb.63:
	v_add_u32_e32 v18, s45, v30
	v_ashrrev_i32_e32 v19, 31, v18
	v_mul_lo_u32 v20, v19, s36
	v_mul_lo_u32 v21, v18, s37
	v_mad_u64_u32 v[18:19], s[6:7], v18, s36, 0
	v_add3_u32 v19, v19, v21, v20
	v_lshl_add_u64 v[18:19], v[18:19], 2, s[12:13]
	global_load_dword v18, v[18:19], off
	s_waitcnt vmcnt(0)
	v_sub_f32_e32 v18, s17, v18
	v_exp_f32_e32 v42, v18
.LBB265_64:
	s_or_b64 exec, exec, s[2:3]
	v_or_b32_e32 v28, 2, v36
	v_cmp_gt_i32_e64 s[2:3], s48, v28
	v_mov_b32_e32 v37, 0
	v_mov_b32_e32 v44, 0
	s_and_saveexec_b64 s[6:7], s[2:3]
	s_cbranch_execz .LBB265_66
; %bb.65:
	v_add_u32_e32 v18, s45, v28
	v_ashrrev_i32_e32 v19, 31, v18
	v_mul_lo_u32 v20, v19, s36
	v_mul_lo_u32 v21, v18, s37
	v_mad_u64_u32 v[18:19], s[18:19], v18, s36, 0
	v_add3_u32 v19, v19, v21, v20
	v_lshl_add_u64 v[18:19], v[18:19], 2, s[12:13]
	global_load_dword v18, v[18:19], off
	s_waitcnt vmcnt(0)
	v_sub_f32_e32 v18, s17, v18
	v_exp_f32_e32 v44, v18
.LBB265_66:
	s_or_b64 exec, exec, s[6:7]
	v_or_b32_e32 v29, 3, v36
	v_cmp_gt_i32_e32 vcc, s48, v29
	s_and_saveexec_b64 s[6:7], vcc
	s_cbranch_execz .LBB265_68
; %bb.67:
	v_add_u32_e32 v18, s45, v29
	v_ashrrev_i32_e32 v19, 31, v18
	v_mul_lo_u32 v20, v19, s36
	v_mul_lo_u32 v21, v18, s37
	v_mad_u64_u32 v[18:19], s[18:19], v18, s36, 0
	v_add3_u32 v19, v19, v21, v20
	v_lshl_add_u64 v[18:19], v[18:19], 2, s[12:13]
	global_load_dword v18, v[18:19], off
	s_waitcnt vmcnt(0)
	v_sub_f32_e32 v18, s17, v18
	v_exp_f32_e32 v37, v18
.LBB265_68:
	s_or_b64 exec, exec, s[6:7]
	s_add_u32 s6, s20, s28
	s_addc_u32 s7, s21, s29
	s_add_u32 s12, s14, s28
	v_ashrrev_i32_e32 v61, 31, v60
	v_accvgpr_read_b32 v21, a7
	s_addc_u32 s13, s15, s29
	v_lshlrev_b64 v[22:23], 1, v[60:61]
	v_accvgpr_read_b32 v20, a6
	v_accvgpr_read_b32 v19, a5
	;; [unrolled: 1-line block ×3, first 2 shown]
	v_lshl_add_u64 v[24:25], s[6:7], 0, v[22:23]
	v_lshl_add_u64 v[22:23], s[12:13], 0, v[22:23]
	v_mov_b32_e32 v31, 0
	v_lshlrev_b32_e32 v26, 8, v36
	v_mov_b32_e32 v27, 0
	s_and_saveexec_b64 s[6:7], s[0:1]
	s_cbranch_execz .LBB265_70
; %bb.69:
	v_mov_b32_e32 v27, 0
	v_lshl_add_u64 v[32:33], v[24:25], 0, v[26:27]
	global_load_ushort v45, v[32:33], off
	v_lshl_add_u64 v[32:33], v[22:23], 0, v[26:27]
	s_waitcnt vmcnt(0)
	v_lshlrev_b32_e32 v27, 16, v45
	v_sub_f32_e32 v18, v27, v18
	global_store_short_d16_hi v[32:33], v18, off
	v_mul_f32_e32 v18, v43, v18
	v_lshrrev_b32_e32 v27, 16, v18
.LBB265_70:
	s_or_b64 exec, exec, s[6:7]
	v_lshlrev_b32_e32 v30, 8, v30
	s_and_saveexec_b64 s[6:7], s[4:5]
	s_cbranch_execz .LBB265_72
; %bb.71:
	v_mov_b32_e32 v31, 0
	v_lshl_add_u64 v[32:33], v[24:25], 0, v[30:31]
	global_load_ushort v18, v[32:33], off
	v_lshl_add_u64 v[32:33], v[22:23], 0, v[30:31]
	s_waitcnt vmcnt(0)
	v_lshlrev_b32_e32 v18, 16, v18
	v_sub_f32_e32 v18, v18, v19
	global_store_short_d16_hi v[32:33], v18, off
	v_mul_f32_e32 v18, v42, v18
	v_lshrrev_b32_e32 v31, 16, v18
.LBB265_72:
	s_or_b64 exec, exec, s[6:7]
	v_mov_b32_e32 v46, 0
	v_lshlrev_b32_e32 v32, 8, v28
	v_mov_b32_e32 v33, 0
	s_and_saveexec_b64 s[6:7], s[2:3]
	s_cbranch_execz .LBB265_74
; %bb.73:
	v_mov_b32_e32 v33, 0
	v_lshl_add_u64 v[18:19], v[24:25], 0, v[32:33]
	global_load_ushort v28, v[18:19], off
	v_lshl_add_u64 v[18:19], v[22:23], 0, v[32:33]
	s_waitcnt vmcnt(0)
	v_lshlrev_b32_e32 v28, 16, v28
	v_sub_f32_e32 v20, v28, v20
	global_store_short_d16_hi v[18:19], v20, off
	v_mul_f32_e32 v18, v44, v20
	v_lshrrev_b32_e32 v33, 16, v18
.LBB265_74:
	s_or_b64 exec, exec, s[6:7]
	v_lshlrev_b32_e32 v28, 8, v29
	s_and_saveexec_b64 s[6:7], vcc
	s_cbranch_execz .LBB265_76
; %bb.75:
	v_mov_b32_e32 v29, 0
	v_lshl_add_u64 v[18:19], v[24:25], 0, v[28:29]
	global_load_ushort v20, v[18:19], off
	v_lshl_add_u64 v[18:19], v[22:23], 0, v[28:29]
	s_waitcnt vmcnt(0)
	v_lshlrev_b32_e32 v20, 16, v20
	v_sub_f32_e32 v20, v20, v21
	global_store_short_d16_hi v[18:19], v20, off
	v_mul_f32_e32 v18, v37, v20
	v_lshrrev_b32_e32 v46, 16, v18
.LBB265_76:
	s_or_b64 exec, exec, s[6:7]
	v_lshlrev_b32_e32 v45, 5, v36
	s_mov_b32 s6, 0x5040100
	v_perm_b32 v47, v46, v33, s6
	v_perm_b32 v46, v31, v27, s6
	v_or_b32_e32 v27, v45, v38
	v_accvgpr_read_b32 v21, a3
	v_lshlrev_b32_e32 v27, 1, v27
	v_accvgpr_read_b32 v20, a2
	v_accvgpr_read_b32 v19, a1
	;; [unrolled: 1-line block ×3, first 2 shown]
	ds_write_b64 v27, v[46:47] offset:45056
	v_mov_b32_e32 v31, 0
	v_mov_b32_e32 v27, 0
	s_and_saveexec_b64 s[6:7], s[0:1]
	s_cbranch_execz .LBB265_78
; %bb.77:
	v_mov_b32_e32 v27, 0
	v_lshl_add_u64 v[46:47], v[24:25], 0, v[26:27]
	global_load_ushort v29, v[46:47], off offset:32
	v_lshl_add_u64 v[26:27], v[22:23], 0, v[26:27]
	s_waitcnt vmcnt(0)
	v_lshlrev_b32_e32 v29, 16, v29
	v_sub_f32_e32 v18, v29, v18
	global_store_short_d16_hi v[26:27], v18, off offset:32
	v_mul_f32_e32 v18, v43, v18
	v_lshrrev_b32_e32 v27, 16, v18
.LBB265_78:
	s_or_b64 exec, exec, s[6:7]
	s_and_saveexec_b64 s[0:1], s[4:5]
	s_cbranch_execz .LBB265_80
; %bb.79:
	v_mov_b32_e32 v31, 0
	v_lshl_add_u64 v[46:47], v[24:25], 0, v[30:31]
	global_load_ushort v18, v[46:47], off offset:32
	v_lshl_add_u64 v[30:31], v[22:23], 0, v[30:31]
	s_waitcnt vmcnt(0)
	v_lshlrev_b32_e32 v18, 16, v18
	v_sub_f32_e32 v18, v18, v19
	global_store_short_d16_hi v[30:31], v18, off offset:32
	v_mul_f32_e32 v18, v42, v18
	v_lshrrev_b32_e32 v31, 16, v18
.LBB265_80:
	s_or_b64 exec, exec, s[0:1]
	v_mov_b32_e32 v26, 0
	v_mov_b32_e32 v30, 0
	s_and_saveexec_b64 s[0:1], s[2:3]
	s_cbranch_execz .LBB265_82
; %bb.81:
	v_mov_b32_e32 v33, 0
	v_lshl_add_u64 v[18:19], v[24:25], 0, v[32:33]
	global_load_ushort v29, v[18:19], off offset:32
	v_lshl_add_u64 v[18:19], v[22:23], 0, v[32:33]
	s_waitcnt vmcnt(0)
	v_lshlrev_b32_e32 v29, 16, v29
	v_sub_f32_e32 v20, v29, v20
	global_store_short_d16_hi v[18:19], v20, off offset:32
	v_mul_f32_e32 v18, v44, v20
	v_lshrrev_b32_e32 v30, 16, v18
.LBB265_82:
	s_or_b64 exec, exec, s[0:1]
	v_or_b32_e32 v19, 0xb000, v40
	v_or_b32_e32 v18, 0xb000, v41
	s_and_saveexec_b64 s[0:1], vcc
	s_cbranch_execz .LBB265_84
; %bb.83:
	v_mov_b32_e32 v29, 0
	v_lshl_add_u64 v[24:25], v[24:25], 0, v[28:29]
	global_load_ushort v20, v[24:25], off offset:32
	v_lshl_add_u64 v[22:23], v[22:23], 0, v[28:29]
	s_waitcnt vmcnt(0)
	v_lshlrev_b32_e32 v20, 16, v20
	v_sub_f32_e32 v20, v20, v21
	global_store_short_d16_hi v[22:23], v20, off offset:32
	v_mul_f32_e32 v20, v37, v20
	v_lshrrev_b32_e32 v26, 16, v20
.LBB265_84:
	s_or_b64 exec, exec, s[0:1]
	s_mov_b32 s0, 0x5040100
	v_or_b32_e32 v22, v45, v35
	v_perm_b32 v21, v26, v30, s0
	v_perm_b32 v20, v31, v27, s0
	v_lshlrev_b32_e32 v22, 1, v22
	s_movk_i32 s2, 0x100
	ds_write_b64 v22, v[20:21] offset:45056
	v_and_b32_e32 v20, 7, v0
	v_and_b32_e32 v21, 8, v0
	v_cmp_gt_u32_e32 vcc, s2, v0
	v_lshrrev_b32_e32 v0, 1, v0
	v_lshlrev_b32_e32 v26, 3, v20
	v_lshlrev_b32_e32 v47, 7, v20
	v_mov_b32_e32 v20, 0x4000
	v_mov_b32_e32 v22, 0x2000
	v_lshlrev_b32_e32 v24, 3, v1
	v_and_b32_e32 v0, 24, v0
	v_cndmask_b32_e32 v27, v20, v22, vcc
	v_xor_b32_e32 v20, v24, v0
	v_or_b32_e32 v22, 0x440, v20
	v_cmp_eq_u32_e32 vcc, 0, v21
	v_or_b32_e32 v28, 32, v0
	v_xor_b32_e32 v28, v24, v28
	v_cndmask_b32_e32 v20, v22, v20, vcc
	v_or_b32_e32 v20, v20, v39
	v_xor_b32_e32 v48, v20, v26
	v_or_b32_e32 v29, 0x440, v28
	v_add3_u32 v25, v27, v48, v47
	v_cndmask_b32_e32 v28, v29, v28, vcc
	v_or_b32_e32 v29, 64, v0
	v_or_b32_e32 v0, 0x60, v0
	s_waitcnt lgkmcnt(0)
	s_barrier
	v_xor_b32_e32 v29, v24, v29
	v_xor_b32_e32 v0, v24, v0
	ds_read_b64 v[24:25], v25
	v_xor_b32_e32 v30, 0x440, v29
	v_cndmask_b32_e32 v29, v30, v29, vcc
	v_xor_b32_e32 v30, 0x440, v0
	ds_read2_b64 v[20:23], v19 offset1:16
	v_cndmask_b32_e32 v0, v30, v0, vcc
	v_or_b32_e32 v28, v28, v39
	v_or_b32_e32 v29, v29, v39
	;; [unrolled: 1-line block ×3, first 2 shown]
	v_xor_b32_e32 v49, v28, v26
	v_xor_b32_e32 v50, v29, v26
	;; [unrolled: 1-line block ×3, first 2 shown]
	s_add_i32 s0, s16, s51
	v_add3_u32 v28, v27, v49, v47
	v_add3_u32 v29, v27, v50, v47
	;; [unrolled: 1-line block ×3, first 2 shown]
	s_mul_hi_i32 s1, s0, s25
	s_mul_i32 s0, s0, s25
	ds_read_b64 v[26:27], v28
	ds_read_b64 v[32:33], v29
	ds_read_b64 v[42:43], v30
	ds_read2st64_b64 v[28:31], v19 offset0:2 offset1:4
	ds_read2st64_b64 v[38:41], v18 offset0:2 offset1:4
	s_add_u32 s0, s0, s33
	s_waitcnt lgkmcnt(5)
	v_mfma_f32_16x16x16_bf16 a[0:3], v[24:25], v[20:21], 0
	s_addc_u32 s1, s1, s50
	s_lshl_b64 s[0:1], s[0:1], 9
	s_add_u32 s0, s8, s0
	v_mfma_f32_16x16x16_bf16 a[4:7], v[24:25], v[22:23], 0
	s_addc_u32 s1, s9, s1
	v_lshlrev_b32_e32 v24, 2, v36
	v_lshlrev_b32_e32 v1, 6, v1
	s_waitcnt lgkmcnt(1)
	v_mfma_f32_16x16x16_bf16 a[0:3], v[26:27], v[28:29], a[0:3]
	v_add_u32_e32 v48, v48, v47
	v_exp_f32_e32 v46, s17
	v_add_u32_e32 v0, v0, v47
	s_waitcnt lgkmcnt(0)
	v_mfma_f32_16x16x16_bf16 a[4:7], v[26:27], v[38:39], a[4:7]
	global_load_dwordx4 v[24:27], v24, s[0:1]
	ds_read_b64 v[36:37], v19 offset:3072
	ds_read_b64 v[44:45], v18 offset:3072
	v_lshlrev_b32_e32 v18, 2, v34
	v_or3_b32 v1, v1, v18, s2
	v_mfma_f32_16x16x16_bf16 a[0:3], v[32:33], v[30:31], a[0:3]
	s_waitcnt vmcnt(0)
	v_exp_f32_e32 v18, v24
	v_mfma_f32_16x16x16_bf16 a[4:7], v[32:33], v[40:41], a[4:7]
	global_load_dwordx4 v[32:35], v1, s[0:1]
	v_exp_f32_e32 v19, v25
	ds_read_b64 v[24:25], v48 offset:16384
	s_waitcnt lgkmcnt(2)
	v_mfma_f32_16x16x16_bf16 a[0:3], v[42:43], v[36:37], a[0:3]
	v_add_u32_e32 v48, v50, v47
	v_pk_mul_f32 v[52:53], v[46:47], v[18:19] op_sel_hi:[0,1]
	v_exp_f32_e32 v26, v26
	s_waitcnt lgkmcnt(1)
	v_mfma_f32_16x16x16_bf16 a[4:7], v[42:43], v[44:45], a[4:7]
	v_add_u32_e32 v42, v49, v47
	ds_read_b64 v[42:43], v42 offset:16384
	ds_read_b64 v[48:49], v48 offset:16384
	ds_read_b64 v[50:51], v0 offset:16384
	v_accvgpr_read_b32 v19, a1
	s_waitcnt lgkmcnt(3)
	v_mfma_f32_16x16x16_bf16 a[8:11], v[24:25], v[20:21], 0
	v_accvgpr_read_b32 v1, a3
	v_accvgpr_read_b32 v0, a2
	;; [unrolled: 1-line block ×3, first 2 shown]
	v_mfma_f32_16x16x16_bf16 a[0:3], v[24:25], v[22:23], 0
	v_exp_f32_e32 v27, v27
	v_pk_fma_f32 v[18:19], v[2:3], v[52:53], v[18:19]
	v_pk_mul_f32 v[2:3], v[46:47], v[26:27] op_sel_hi:[0,1]
	s_waitcnt lgkmcnt(2)
	v_mfma_f32_16x16x16_bf16 a[8:11], v[42:43], v[28:29], a[8:11]
	v_pk_fma_f32 v[20:21], v[4:5], v[2:3], v[0:1]
	v_accvgpr_read_b32 v0, a4
	v_fma_f32 v26, v10, v52, v0
	v_mfma_f32_16x16x16_bf16 a[0:3], v[42:43], v[38:39], a[0:3]
	v_accvgpr_read_b32 v0, a5
	v_fma_f32 v27, v11, v53, v0
	v_accvgpr_read_b32 v0, a6
	s_waitcnt lgkmcnt(1)
	v_mfma_f32_16x16x16_bf16 a[8:11], v[48:49], v[30:31], a[8:11]
	v_fma_f32 v28, v12, v2, v0
	v_accvgpr_read_b32 v29, a7
	v_fmac_f32_e32 v29, v13, v3
	v_mfma_f32_16x16x16_bf16 a[0:3], v[48:49], v[40:41], a[0:3]
	s_waitcnt vmcnt(0)
	v_mov_b32_e32 v0, v33
	v_mov_b32_e32 v1, v34
	;; [unrolled: 1-line block ×3, first 2 shown]
	v_exp_f32_e32 v5, v0
	v_exp_f32_e32 v0, v1
	s_waitcnt lgkmcnt(0)
	v_mfma_f32_16x16x16_bf16 a[4:7], v[50:51], v[36:37], a[8:11]
	v_exp_f32_e32 v1, v2
	v_exp_f32_e32 v4, v32
	v_pk_mul_f32 v[0:1], v[46:47], v[0:1] op_sel_hi:[0,1]
	v_mfma_f32_16x16x16_bf16 a[0:3], v[50:51], v[44:45], a[0:3]
	v_pk_mul_f32 v[4:5], v[46:47], v[4:5] op_sel_hi:[0,1]
	s_nop 1
	v_accvgpr_read_b32 v3, a7
	v_accvgpr_read_b32 v2, a6
	v_pk_fma_f32 v[24:25], v[8:9], v[0:1], v[2:3]
	v_accvgpr_read_b32 v11, a5
	v_accvgpr_read_b32 v10, a4
	v_pk_fma_f32 v[22:23], v[6:7], v[4:5], v[10:11]
	v_accvgpr_read_b32 v2, a0
	v_fma_f32 v30, v14, v4, v2
	v_accvgpr_read_b32 v2, a1
	v_fma_f32 v31, v15, v5, v2
	v_accvgpr_read_b32 v2, a2
	v_accvgpr_read_b32 v33, a3
	v_fma_f32 v32, v16, v0, v2
	v_fmac_f32_e32 v33, v17, v1
	v_mov_b64_e32 v[2:3], v[18:19]
	v_mov_b64_e32 v[4:5], v[20:21]
	;; [unrolled: 1-line block ×8, first 2 shown]
.LBB265_85:
	s_add_u32 s0, s10, s34
	s_addc_u32 s1, s11, s35
	v_lshl_add_u64 v[0:1], v[56:57], 1, s[0:1]
	v_mov_b32_e32 v55, 0
	s_mov_b32 s2, 0x7060302
	v_lshl_add_u64 v[0:1], v[0:1], 0, v[54:55]
	v_perm_b32 v5, v5, v4, s2
	v_perm_b32 v4, v3, v2, s2
	;; [unrolled: 1-line block ×4, first 2 shown]
	global_store_dwordx2 v[0:1], v[4:5], off
	global_store_dwordx2 v[0:1], v[2:3], off offset:128
	v_lshl_add_u64 v[0:1], v[58:59], 1, s[0:1]
	v_lshl_add_u64 v[0:1], v[0:1], 0, v[54:55]
	v_perm_b32 v3, v13, v12, s2
	v_perm_b32 v2, v11, v10, s2
	global_store_dwordx2 v[0:1], v[2:3], off
	v_perm_b32 v3, v17, v16, s2
	v_perm_b32 v2, v15, v14, s2
	global_store_dwordx2 v[0:1], v[2:3], off offset:128
	s_endpgm
	.section	.rodata,"a",@progbits
	.p2align	6, 0x0
	.amdhsa_kernel _ZN12_GLOBAL__N_139chunk_gated_delta_rule_fwd_h_hip_kernelILi32ELb1ELb1ELb1ELb0ELb1ELb1ELb1ELb1EEEvPK12hip_bfloat16S3_S3_PKfS5_PKvPS1_S8_PvPKiSB_iiiiilll
		.amdhsa_group_segment_fixed_size 49152
		.amdhsa_private_segment_fixed_size 0
		.amdhsa_kernarg_size 136
		.amdhsa_user_sgpr_count 2
		.amdhsa_user_sgpr_dispatch_ptr 0
		.amdhsa_user_sgpr_queue_ptr 0
		.amdhsa_user_sgpr_kernarg_segment_ptr 1
		.amdhsa_user_sgpr_dispatch_id 0
		.amdhsa_user_sgpr_kernarg_preload_length 0
		.amdhsa_user_sgpr_kernarg_preload_offset 0
		.amdhsa_user_sgpr_private_segment_size 0
		.amdhsa_uses_dynamic_stack 0
		.amdhsa_enable_private_segment 0
		.amdhsa_system_sgpr_workgroup_id_x 1
		.amdhsa_system_sgpr_workgroup_id_y 1
		.amdhsa_system_sgpr_workgroup_id_z 0
		.amdhsa_system_sgpr_workgroup_info 0
		.amdhsa_system_vgpr_workitem_id 0
		.amdhsa_next_free_vgpr 168
		.amdhsa_next_free_sgpr 76
		.amdhsa_accum_offset 148
		.amdhsa_reserve_vcc 1
		.amdhsa_float_round_mode_32 0
		.amdhsa_float_round_mode_16_64 0
		.amdhsa_float_denorm_mode_32 3
		.amdhsa_float_denorm_mode_16_64 3
		.amdhsa_dx10_clamp 1
		.amdhsa_ieee_mode 1
		.amdhsa_fp16_overflow 0
		.amdhsa_tg_split 0
		.amdhsa_exception_fp_ieee_invalid_op 0
		.amdhsa_exception_fp_denorm_src 0
		.amdhsa_exception_fp_ieee_div_zero 0
		.amdhsa_exception_fp_ieee_overflow 0
		.amdhsa_exception_fp_ieee_underflow 0
		.amdhsa_exception_fp_ieee_inexact 0
		.amdhsa_exception_int_div_zero 0
	.end_amdhsa_kernel
	.section	.text._ZN12_GLOBAL__N_139chunk_gated_delta_rule_fwd_h_hip_kernelILi32ELb1ELb1ELb1ELb0ELb1ELb1ELb1ELb1EEEvPK12hip_bfloat16S3_S3_PKfS5_PKvPS1_S8_PvPKiSB_iiiiilll,"axG",@progbits,_ZN12_GLOBAL__N_139chunk_gated_delta_rule_fwd_h_hip_kernelILi32ELb1ELb1ELb1ELb0ELb1ELb1ELb1ELb1EEEvPK12hip_bfloat16S3_S3_PKfS5_PKvPS1_S8_PvPKiSB_iiiiilll,comdat
.Lfunc_end265:
	.size	_ZN12_GLOBAL__N_139chunk_gated_delta_rule_fwd_h_hip_kernelILi32ELb1ELb1ELb1ELb0ELb1ELb1ELb1ELb1EEEvPK12hip_bfloat16S3_S3_PKfS5_PKvPS1_S8_PvPKiSB_iiiiilll, .Lfunc_end265-_ZN12_GLOBAL__N_139chunk_gated_delta_rule_fwd_h_hip_kernelILi32ELb1ELb1ELb1ELb0ELb1ELb1ELb1ELb1EEEvPK12hip_bfloat16S3_S3_PKfS5_PKvPS1_S8_PvPKiSB_iiiiilll
                                        ; -- End function
	.section	.AMDGPU.csdata,"",@progbits
; Kernel info:
; codeLenInByte = 9996
; NumSgprs: 82
; NumVgprs: 146
; NumAgprs: 20
; TotalNumVgprs: 168
; ScratchSize: 0
; MemoryBound: 0
; FloatMode: 240
; IeeeMode: 1
; LDSByteSize: 49152 bytes/workgroup (compile time only)
; SGPRBlocks: 10
; VGPRBlocks: 20
; NumSGPRsForWavesPerEU: 82
; NumVGPRsForWavesPerEU: 168
; AccumOffset: 148
; Occupancy: 1
; WaveLimiterHint : 1
; COMPUTE_PGM_RSRC2:SCRATCH_EN: 0
; COMPUTE_PGM_RSRC2:USER_SGPR: 2
; COMPUTE_PGM_RSRC2:TRAP_HANDLER: 0
; COMPUTE_PGM_RSRC2:TGID_X_EN: 1
; COMPUTE_PGM_RSRC2:TGID_Y_EN: 1
; COMPUTE_PGM_RSRC2:TGID_Z_EN: 0
; COMPUTE_PGM_RSRC2:TIDIG_COMP_CNT: 0
; COMPUTE_PGM_RSRC3_GFX90A:ACCUM_OFFSET: 36
; COMPUTE_PGM_RSRC3_GFX90A:TG_SPLIT: 0
	.section	.text._ZN12_GLOBAL__N_139chunk_gated_delta_rule_fwd_h_hip_kernelILi32ELb1ELb1ELb0ELb0ELb1ELb1ELb1ELb1EEEvPK12hip_bfloat16S3_S3_PKfS5_PKvPS1_S8_PvPKiSB_iiiiilll,"axG",@progbits,_ZN12_GLOBAL__N_139chunk_gated_delta_rule_fwd_h_hip_kernelILi32ELb1ELb1ELb0ELb0ELb1ELb1ELb1ELb1EEEvPK12hip_bfloat16S3_S3_PKfS5_PKvPS1_S8_PvPKiSB_iiiiilll,comdat
	.globl	_ZN12_GLOBAL__N_139chunk_gated_delta_rule_fwd_h_hip_kernelILi32ELb1ELb1ELb0ELb0ELb1ELb1ELb1ELb1EEEvPK12hip_bfloat16S3_S3_PKfS5_PKvPS1_S8_PvPKiSB_iiiiilll ; -- Begin function _ZN12_GLOBAL__N_139chunk_gated_delta_rule_fwd_h_hip_kernelILi32ELb1ELb1ELb0ELb0ELb1ELb1ELb1ELb1EEEvPK12hip_bfloat16S3_S3_PKfS5_PKvPS1_S8_PvPKiSB_iiiiilll
	.p2align	8
	.type	_ZN12_GLOBAL__N_139chunk_gated_delta_rule_fwd_h_hip_kernelILi32ELb1ELb1ELb0ELb0ELb1ELb1ELb1ELb1EEEvPK12hip_bfloat16S3_S3_PKfS5_PKvPS1_S8_PvPKiSB_iiiiilll,@function
_ZN12_GLOBAL__N_139chunk_gated_delta_rule_fwd_h_hip_kernelILi32ELb1ELb1ELb0ELb0ELb1ELb1ELb1ELb1EEEvPK12hip_bfloat16S3_S3_PKfS5_PKvPS1_S8_PvPKiSB_iiiiilll: ; @_ZN12_GLOBAL__N_139chunk_gated_delta_rule_fwd_h_hip_kernelILi32ELb1ELb1ELb0ELb0ELb1ELb1ELb1ELb1EEEvPK12hip_bfloat16S3_S3_PKfS5_PKvPS1_S8_PvPKiSB_iiiiilll
; %bb.0:
	s_load_dwordx4 s[12:15], s[0:1], 0x5c
	s_abs_i32 s6, s3
	s_ashr_i32 s5, s3, 31
	s_load_dwordx4 s[16:19], s[0:1], 0x20
	s_load_dwordx2 s[38:39], s[0:1], 0x30
	v_and_b32_e32 v69, 15, v0
	s_waitcnt lgkmcnt(0)
	s_abs_i32 s4, s13
	v_cvt_f32_u32_e32 v1, s4
	s_sub_i32 s8, 0, s4
	s_ashr_i32 s7, s13, 31
	s_xor_b32 s5, s5, s7
	v_rcp_iflag_f32_e32 v1, v1
	v_bfe_u32 v68, v0, 4, 2
	v_mov_b32_e32 v55, 0
	v_lshlrev_b32_e32 v70, 3, v0
	v_mul_f32_e32 v1, 0x4f7ffffe, v1
	v_cvt_u32_f32_e32 v1, v1
	s_nop 0
	v_readfirstlane_b32 s9, v1
	s_mul_i32 s8, s8, s9
	s_mul_hi_u32 s8, s9, s8
	s_add_i32 s9, s9, s8
	s_mul_hi_u32 s8, s6, s9
	s_mul_i32 s9, s8, s4
	s_sub_i32 s6, s6, s9
	s_add_i32 s10, s8, 1
	s_sub_i32 s9, s6, s4
	s_cmp_ge_u32 s6, s4
	s_cselect_b32 s8, s10, s8
	s_cselect_b32 s6, s9, s6
	s_add_i32 s9, s8, 1
	s_cmp_ge_u32 s6, s4
	s_cselect_b32 s6, s9, s8
	s_xor_b32 s6, s6, s5
	s_sub_i32 s57, s6, s5
	s_mul_i32 s6, s57, s13
	s_sub_i32 s33, s3, s6
	s_abs_i32 s3, s14
	v_cvt_f32_u32_e32 v1, s3
	s_add_i32 s8, s12, 63
	s_ashr_i32 s9, s8, 31
	s_lshr_b32 s5, s9, 26
	v_rcp_iflag_f32_e32 v1, v1
	s_ashr_i32 s56, s12, 31
	s_add_i32 s8, s8, s5
	s_lshr_b32 s5, s56, 26
	v_mul_f32_e32 v1, 0x4f7ffffe, v1
	v_cvt_u32_f32_e32 v1, v1
	s_add_i32 s5, s12, s5
	s_ashr_i32 s59, s14, 31
	s_ashr_i32 s24, s8, 6
	;; [unrolled: 1-line block ×3, first 2 shown]
	s_xor_b32 s5, s7, s59
	s_sub_i32 s7, 0, s3
	v_readfirstlane_b32 s8, v1
	s_mul_i32 s7, s7, s8
	s_mul_hi_u32 s7, s8, s7
	s_add_i32 s8, s8, s7
	s_mul_hi_u32 s7, s4, s8
	s_mul_i32 s8, s7, s3
	s_sub_i32 s4, s4, s8
	s_lshl_b32 s2, s2, 5
	s_add_i32 s8, s7, 1
	s_sub_i32 s9, s4, s3
	s_cmp_ge_u32 s4, s3
	s_cselect_b32 s7, s8, s7
	s_cselect_b32 s4, s9, s4
	s_add_i32 s8, s7, 1
	s_cmp_ge_u32 s4, s3
	s_cselect_b32 s3, s8, s7
	s_xor_b32 s3, s3, s5
	s_sub_i32 s3, s3, s5
	s_abs_i32 s4, s3
	v_cvt_f32_u32_e32 v1, s4
	s_sub_i32 s7, 0, s4
	s_abs_i32 s5, s33
	s_xor_b32 s3, s33, s3
	v_rcp_iflag_f32_e32 v2, v1
	s_ashr_i32 s3, s3, 31
	v_lshrrev_b32_e32 v1, 6, v0
	v_or_b32_e32 v60, s2, v69
	v_mul_f32_e32 v2, 0x4f7ffffe, v2
	v_cvt_u32_f32_e32 v2, v2
	v_lshlrev_b32_e32 v53, 4, v1
	v_lshlrev_b32_e32 v56, 7, v60
	v_lshl_or_b32 v72, v68, 2, v53
	v_readfirstlane_b32 s8, v2
	s_mul_i32 s7, s7, s8
	s_mul_hi_u32 s7, s8, s7
	s_add_i32 s8, s8, s7
	s_mul_hi_u32 s7, s5, s8
	s_mul_i32 s8, s7, s4
	s_sub_i32 s5, s5, s8
	s_add_i32 s8, s7, 1
	s_sub_i32 s9, s5, s4
	s_cmp_ge_u32 s5, s4
	s_cselect_b32 s7, s8, s7
	s_cselect_b32 s5, s9, s5
	s_add_i32 s8, s7, 1
	s_cmp_ge_u32 s5, s4
	s_cselect_b32 s4, s8, s7
	s_xor_b32 s4, s4, s3
	s_sub_i32 s60, s4, s3
	s_ashr_i32 s3, s57, 31
	s_ashr_i32 s48, s33, 31
	s_mul_hi_i32 s4, s57, s13
	s_add_u32 s40, s6, s33
	s_addc_u32 s41, s4, s48
	s_lshl_b64 s[28:29], s[40:41], 15
	s_add_u32 s4, s18, s28
	s_addc_u32 s5, s19, s29
	v_ashrrev_i32_e32 v57, 31, v56
	v_lshl_add_u64 v[2:3], v[56:57], 1, s[4:5]
	v_lshlrev_b32_e32 v54, 1, v72
	v_or_b32_e32 v58, 0x800, v56
	v_lshl_add_u64 v[2:3], v[2:3], 0, v[54:55]
	v_ashrrev_i32_e32 v59, 31, v58
	global_load_dwordx2 v[6:7], v[2:3], off
	global_load_dwordx2 v[10:11], v[2:3], off offset:128
	v_lshl_add_u64 v[2:3], v[58:59], 1, s[4:5]
	v_lshl_add_u64 v[2:3], v[2:3], 0, v[54:55]
	global_load_dwordx2 v[12:13], v[2:3], off
	global_load_dwordx2 v[14:15], v[2:3], off offset:128
	s_load_dwordx2 s[18:19], s[0:1], 0x40
	s_load_dwordx8 s[4:11], s[0:1], 0x0
	s_load_dwordx2 s[30:31], s[0:1], 0x80
	s_load_dwordx4 s[20:23], s[0:1], 0x70
	v_and_b32_e32 v55, 63, v0
	v_lshrrev_b32_e32 v71, 3, v55
	v_or_b32_e32 v73, 64, v72
	s_mul_i32 s49, s57, s12
	s_waitcnt lgkmcnt(0)
	s_mul_i32 s50, s57, s21
	s_mul_hi_u32 s51, s57, s20
	s_mul_i32 s34, s57, s20
	s_mul_i32 s61, s57, s24
	;; [unrolled: 1-line block ×3, first 2 shown]
	s_mul_hi_u32 s53, s33, s22
	s_mul_i32 s55, s3, s20
	s_mul_i32 s54, s48, s22
	s_mul_hi_u32 s62, s40, s12
	s_mul_i32 s42, s40, s12
	s_mul_i32 s41, s41, s12
	s_cmp_lt_i32 s12, 64
	s_mul_i32 s36, s33, s22
	s_waitcnt vmcnt(3)
	v_and_b32_e32 v3, 0xffff0000, v6
	v_lshlrev_b32_e32 v2, 16, v6
	v_and_b32_e32 v5, 0xffff0000, v7
	v_lshlrev_b32_e32 v4, 16, v7
	s_waitcnt vmcnt(2)
	v_and_b32_e32 v7, 0xffff0000, v10
	v_lshlrev_b32_e32 v6, 16, v10
	v_and_b32_e32 v9, 0xffff0000, v11
	v_lshlrev_b32_e32 v8, 16, v11
	;; [unrolled: 5-line block ×4, first 2 shown]
	s_cbranch_scc1 .LBB266_3
; %bb.1:
	s_add_i32 s43, s62, s41
	s_lshl_b64 s[0:1], s[42:43], 8
	v_and_b32_e32 v81, 56, v70
	s_add_u32 s20, s6, s0
	v_lshl_or_b32 v80, v1, 3, v71
	v_lshlrev_b32_e32 v10, 1, v81
	s_addc_u32 s0, s7, s1
	v_lshl_or_b32 v82, v80, 8, v10
	s_and_b32 s21, s0, 0xffff
	s_mov_b32 s23, 0x20000
	s_movk_i32 s22, 0x4000
	s_movk_i32 s0, 0x80
	v_or_b32_e32 v84, 0x2000, v82
	buffer_load_dwordx4 v[12:15], v82, s[20:23], 0 offen
	buffer_load_dwordx4 v[16:19], v82, s[20:23], s0 offen
	;; [unrolled: 1-line block ×4, first 2 shown]
	v_lshlrev_b32_e32 v11, 3, v80
	v_and_or_b32 v29, v0, 7, v11
	v_and_b32_e32 v11, 0x78, v11
	v_lshlrev_b32_e32 v29, 4, v29
	v_xor_b32_e32 v86, v29, v11
	v_mul_lo_u32 v28, v80, s15
	v_or_b32_e32 v87, 0x1000, v86
	v_xor_b32_e32 v11, 8, v86
	s_cmpk_eq_i32 s15, 0x80
	s_mov_b32 s63, s14
	v_xor_b32_e32 v29, 8, v87
	s_cselect_b64 s[0:1], -1, 0
	s_cmpk_lg_i32 s15, 0x80
	s_waitcnt vmcnt(3)
	ds_write_b64 v86, v[12:13] offset:24576
	ds_write_b64 v11, v[14:15] offset:24576
	s_waitcnt vmcnt(2)
	ds_write_b64 v86, v[16:17] offset:32768
	ds_write_b64 v11, v[18:19] offset:32768
	;; [unrolled: 3-line block ×4, first 2 shown]
	v_lshl_add_u32 v11, v28, 1, v81
	s_cbranch_scc0 .LBB266_4
; %bb.2:
	v_lshlrev_b32_e32 v13, 1, v11
	v_add_lshl_u32 v12, v11, s15, 1
	s_lshl_b32 s22, s15, 7
	v_lshl_or_b32 v10, v80, 9, v10
	s_cbranch_execz .LBB266_5
	s_branch .LBB266_6
.LBB266_3:
	v_mov_b32_e32 v17, v83
	v_mov_b32_e32 v16, v79
	;; [unrolled: 1-line block ×5, first 2 shown]
	s_branch .LBB266_20
.LBB266_4:
                                        ; implicit-def: $vgpr12
                                        ; implicit-def: $vgpr13
                                        ; implicit-def: $sgpr22
	v_lshl_or_b32 v10, v80, 9, v10
.LBB266_5:
	v_or_b32_e32 v12, 0x100, v10
	s_movk_i32 s22, 0x4000
	v_mov_b32_e32 v13, v10
.LBB266_6:
	s_mul_hi_u32 s20, s14, s12
	s_mul_i32 s21, s59, s12
	s_add_i32 s20, s20, s21
	s_mul_i32 s21, s14, s12
	s_mul_i32 s23, s21, s3
	s_mul_hi_u32 s24, s21, s57
	s_add_i32 s23, s24, s23
	s_mul_i32 s20, s20, s57
	s_add_i32 s23, s23, s20
	s_mul_i32 s21, s21, s57
	s_ashr_i32 s64, s60, 31
	s_add_u32 s20, s21, s60
	s_addc_u32 s21, s23, s64
	s_lshl_b64 s[20:21], s[20:21], 8
	s_add_u32 s20, s4, s20
	s_addc_u32 s21, s5, s21
	s_and_b32 s21, s21, 0xffff
	s_mov_b32 s23, 0x20000
	s_movk_i32 s65, 0x80
	buffer_load_dwordx4 v[14:17], v13, s[20:23], 0 offen
	buffer_load_dwordx4 v[18:21], v13, s[20:23], s65 offen
	;; [unrolled: 1-line block ×4, first 2 shown]
	v_and_b32_e32 v12, 6, v0
	v_lshlrev_b32_e32 v31, 6, v72
	v_or_b32_e32 v33, 16, v69
	v_xor_b32_e32 v34, v80, v12
	v_and_b32_e32 v13, 1, v0
	s_mul_i32 s3, s3, s12
	s_mul_hi_u32 s20, s57, s12
	v_lshl_or_b32 v37, v69, 3, v31
	v_lshl_or_b32 v31, v33, 3, v31
	v_lshlrev_b32_e32 v34, 2, v34
	v_lshlrev_b32_e32 v30, 2, v69
	v_or_b32_e32 v90, 0xa000, v31
	v_or_b32_e32 v91, 0xb000, v31
	v_xor_b32_e32 v31, 0x440, v34
	v_cmp_eq_u32_e32 vcc, 0, v13
	s_add_i32 s69, s20, s3
	s_add_i32 s3, s51, s50
	v_xor_b32_e32 v35, v72, v30
	v_xor_b32_e32 v36, v73, v30
	v_cndmask_b32_e32 v13, v31, v34, vcc
	s_add_i32 s35, s3, s55
	s_add_i32 s3, s53, s52
	s_mov_b32 s67, 0x1000504
	v_lshlrev_b32_e32 v32, 8, v69
	v_lshlrev_b32_e32 v35, 1, v35
	;; [unrolled: 1-line block ×3, first 2 shown]
	v_lshl_or_b32 v12, v12, 10, v13
	s_add_i32 s37, s3, s54
	s_lshl_b64 s[20:21], s[34:35], 2
	s_mov_b32 s68, 0x3020706
	v_or_b32_e32 v88, 0xa000, v37
	v_or_b32_e32 v89, 0xb000, v37
	;; [unrolled: 1-line block ×4, first 2 shown]
	v_xor_b32_e32 v13, 8, v12
	v_xor_b32_e32 v32, 24, v12
	;; [unrolled: 1-line block ×4, first 2 shown]
	s_add_u32 s3, s10, s20
	v_xor_b32_e32 v31, 16, v12
	v_xor_b32_e32 v34, 32, v12
	;; [unrolled: 1-line block ×3, first 2 shown]
	v_add_u32_e32 v13, 0x80, v13
	v_add_u32_e32 v32, 0x80, v32
	v_add_u32_e32 v37, 0x80, v37
	v_add_u32_e32 v39, 0x80, v39
	s_addc_u32 s22, s11, s21
	s_lshl_b64 s[20:21], s[36:37], 2
	s_add_u32 s44, s3, s20
	s_movk_i32 s3, 0xf8
	s_addc_u32 s45, s22, s21
	s_lshl_b32 s26, s15, 7
	s_movk_i32 s24, 0x100
	v_mov_b32_e32 v63, 0
	v_lshlrev_b32_e32 v62, 4, v69
	v_cmp_gt_u32_e32 vcc, s24, v0
	v_lshlrev_b32_e32 v33, 8, v33
	v_ashrrev_i32_e32 v61, 31, v60
	s_mov_b32 s66, 0
	v_or_b32_e32 v94, v33, v35
	v_or_b32_e32 v95, v33, v36
	s_movk_i32 s35, 0x1000
	s_movk_i32 s22, 0x4000
	v_lshl_add_u64 v[64:65], v[60:61], 1, s[8:9]
	s_mov_b32 s37, 0x7060302
	s_mov_b32 s71, 0
	s_waitcnt vmcnt(1)
	v_perm_b32 v40, v14, v22, s67
	s_waitcnt vmcnt(0)
	v_perm_b32 v41, v18, v26, s67
	v_perm_b32 v14, v14, v22, s68
	;; [unrolled: 1-line block ×15, first 2 shown]
	ds_write2st64_b32 v12, v40, v41 offset0:32 offset1:64
	ds_write2st64_b32 v13, v14, v18 offset0:32 offset1:64
	;; [unrolled: 1-line block ×8, first 2 shown]
	v_or_b32_e32 v12, v53, v69
	v_lshlrev_b32_e32 v12, 3, v12
	v_lshrrev_b32_e32 v15, 5, v55
	v_and_or_b32 v15, v12, s3, v15
	v_lshlrev_b32_e32 v15, 4, v15
	v_lshlrev_b32_e32 v17, 11, v1
	v_and_b32_e32 v12, 0x78, v12
	v_or_b32_e32 v20, 32, v15
	v_and_b32_e32 v14, 0x1000, v17
	v_lshrrev_b32_e32 v18, 1, v55
	v_xor_b32_e32 v20, v20, v12
	v_xor_b32_e32 v16, v15, v12
	v_and_b32_e32 v18, 8, v18
	v_or_b32_e32 v20, v20, v14
	v_or_b32_e32 v16, v16, v14
	v_lshlrev_b32_e32 v19, 7, v68
	v_xor_b32_e32 v98, v20, v18
	v_or_b32_e32 v20, 64, v15
	v_or_b32_e32 v15, 0x60, v15
	s_ashr_i32 s3, s2, 31
	v_xor_b32_e32 v96, v16, v18
	v_or_b32_e32 v16, v19, v30
	v_xor_b32_e32 v20, v20, v12
	v_xor_b32_e32 v12, v15, v12
	s_lshl_b64 s[20:21], s[2:3], 8
	v_lshlrev_b32_e32 v16, 1, v16
	v_or_b32_e32 v20, v20, v14
	v_or_b32_e32 v12, v12, v14
	s_add_u32 s20, s38, s20
	v_lshlrev_b32_e32 v14, 1, v69
	v_or_b32_e32 v97, 0xa000, v16
	v_or_b32_e32 v99, 0xa080, v16
	;; [unrolled: 1-line block ×4, first 2 shown]
	v_lshrrev_b32_e32 v16, 4, v0
	s_addc_u32 s21, s39, s21
	v_or_b32_e32 v15, 1, v14
	v_mov_b32_e32 v25, 0x4000
	v_mov_b32_e32 v26, 0x2000
	v_lshrrev_b32_e32 v27, 1, v0
	v_xor_b32_e32 v100, v20, v18
	v_xor_b32_e32 v101, v12, v18
	;; [unrolled: 1-line block ×4, first 2 shown]
	v_lshl_add_u64 v[14:15], s[20:21], 0, v[62:63]
	v_lshlrev_b32_e32 v62, 8, v16
	v_cndmask_b32_e32 v25, v25, v26, vcc
	v_lshlrev_b32_e32 v26, 3, v1
	v_and_b32_e32 v27, 24, v27
	v_lshl_or_b32 v104, v18, 3, v62
	v_and_b32_e32 v18, 8, v0
	v_xor_b32_e32 v28, v26, v27
	v_or_b32_e32 v29, 0x440, v28
	v_cmp_eq_u32_e32 vcc, 0, v18
	v_and_b32_e32 v16, 7, v0
	v_lshl_or_b32 v105, v22, 3, v62
	v_cndmask_b32_e32 v18, v29, v28, vcc
	v_lshlrev_b32_e32 v22, 3, v16
	v_lshlrev_b32_e32 v24, 2, v0
	v_or_b32_e32 v18, v18, v17
	v_xor_b32_e32 v28, v18, v22
	v_and_or_b32 v18, v24, 60, v19
	v_mov_b32_e32 v19, 0xb000
	v_lshl_or_b32 v106, v18, 1, v19
	v_or_b32_e32 v18, 32, v27
	v_xor_b32_e32 v18, v26, v18
	v_or_b32_e32 v19, 0x440, v18
	v_cndmask_b32_e32 v18, v19, v18, vcc
	v_or_b32_e32 v18, v18, v17
	v_xor_b32_e32 v19, v18, v22
	v_or_b32_e32 v18, 64, v27
	v_xor_b32_e32 v18, v26, v18
	v_xor_b32_e32 v30, 0x440, v18
	v_cndmask_b32_e32 v18, v30, v18, vcc
	v_or_b32_e32 v18, v18, v17
	v_xor_b32_e32 v30, v18, v22
	v_or_b32_e32 v18, 0x60, v27
	v_xor_b32_e32 v18, v26, v18
	v_xor_b32_e32 v26, 0x440, v18
	v_cndmask_b32_e32 v18, v26, v18, vcc
	v_lshrrev_b32_e32 v13, 2, v55
	v_or_b32_e32 v17, v18, v17
	v_and_b32_e32 v13, 12, v13
	v_xor_b32_e32 v17, v17, v22
	v_lshlrev_b32_e32 v12, 7, v72
	v_lshlrev_b32_e32 v20, 1, v11
	v_add_lshl_u32 v11, v11, s15, 1
	v_or_b32_e32 v21, 0x100, v10
	v_lshlrev_b32_e32 v23, 7, v16
	v_or_b32_e32 v16, v13, v53
	v_add_u32_e32 v29, v25, v28
	v_add_u32_e32 v24, v25, v19
	;; [unrolled: 1-line block ×4, first 2 shown]
	v_or3_b32 v18, v53, v13, 64
	v_add_u32_e32 v13, 0x4000, v28
	v_add_u32_e32 v19, 0x4000, v19
	;; [unrolled: 1-line block ×4, first 2 shown]
	v_cndmask_b32_e64 v107, v20, v10, s[0:1]
	v_cndmask_b32_e64 v108, v11, v21, s[0:1]
	v_lshl_add_u64 v[66:67], v[14:15], 0, v[62:63]
	s_add_i32 s3, s49, 63
	v_lshlrev_b32_e32 v62, 1, v12
	v_lshlrev_b32_e32 v61, 2, v16
	v_add_u32_e32 v109, v29, v23
	v_add_u32_e32 v110, v24, v23
	;; [unrolled: 1-line block ×4, first 2 shown]
	v_lshlrev_b32_e32 v113, 2, v18
	v_add_u32_e32 v114, v13, v23
	v_add_u32_e32 v115, v19, v23
	;; [unrolled: 1-line block ×4, first 2 shown]
	s_waitcnt lgkmcnt(0)
	s_barrier
.LBB266_7:                              ; =>This Inner Loop Header: Depth=1
	s_add_i32 s70, s71, 1
	s_cmp_lt_i32 s70, s58
	s_mov_b64 s[24:25], 0
	s_cselect_b64 s[46:47], -1, 0
	s_cmp_ge_i32 s70, s58
	s_mov_b64 s[20:21], 0
	s_cbranch_scc1 .LBB266_9
; %bb.8:                                ;   in Loop: Header=BB266_7 Depth=1
	s_add_i32 s0, s66, 64
	s_add_u32 s0, s42, s0
	s_addc_u32 s1, s43, 0
	s_lshl_b64 s[0:1], s[0:1], 8
	s_add_u32 s20, s6, s0
	s_addc_u32 s21, s7, s1
.LBB266_9:                              ;   in Loop: Header=BB266_7 Depth=1
	v_cndmask_b32_e64 v10, 0, 1, s[46:47]
	v_cmp_ne_u32_e64 s[0:1], 1, v10
	s_andn2_b64 vcc, exec, s[46:47]
	s_cbranch_vccnz .LBB266_11
; %bb.10:                               ;   in Loop: Header=BB266_7 Depth=1
	s_add_i32 s24, s66, 64
	s_add_u32 s24, s49, s24
	s_addc_u32 s25, s69, 0
	s_mul_i32 s27, s24, s59
	s_mul_hi_u32 s46, s24, s63
	s_add_i32 s27, s46, s27
	s_mul_i32 s25, s25, s63
	s_add_i32 s27, s27, s25
	s_mul_i32 s24, s24, s63
	s_add_u32 s24, s24, s60
	s_addc_u32 s25, s27, s64
	s_lshl_b64 s[24:25], s[24:25], 8
	s_add_u32 s24, s4, s24
	s_addc_u32 s25, s5, s25
.LBB266_11:                             ;   in Loop: Header=BB266_7 Depth=1
	v_perm_b32 v11, v5, v4, s37
	v_perm_b32 v10, v3, v2, s37
	;; [unrolled: 1-line block ×4, first 2 shown]
	ds_write_b64 v88, v[10:11]
	ds_write_b64 v89, v[12:13]
	;; [unrolled: 1-line block ×4, first 2 shown]
	v_perm_b32 v11, v85, v76, s37
	v_perm_b32 v10, v75, v74, s37
	;; [unrolled: 1-line block ×4, first 2 shown]
	ds_write_b64 v90, v[10:11]
	ds_write_b64 v91, v[12:13]
	;; [unrolled: 1-line block ×4, first 2 shown]
	s_waitcnt lgkmcnt(0)
	s_barrier
	ds_read_b64 v[14:15], v96 offset:24576
	ds_read2_b64 v[10:13], v97 offset1:16
	ds_read_b64 v[18:19], v99 offset:3072
	ds_read_b64 v[20:21], v97 offset:3072
	;; [unrolled: 1-line block ×3, first 2 shown]
	s_waitcnt lgkmcnt(3)
	v_mfma_f32_16x16x16_bf16 a[0:3], v[14:15], v[10:11], 0
	s_add_i32 s27, s66, 63
	s_mul_i32 s46, s27, s31
	s_mul_hi_u32 s47, s27, s30
	v_mfma_f32_16x16x16_bf16 a[4:7], v[14:15], v[12:13], 0
	ds_read2st64_b64 v[10:13], v97 offset0:2 offset1:4
	ds_read2st64_b64 v[14:17], v99 offset0:2 offset1:4
	s_add_i32 s47, s47, s46
	s_waitcnt lgkmcnt(1)
	v_mfma_f32_16x16x16_bf16 a[0:3], v[22:23], v[10:11], a[0:3]
	s_mul_i32 s46, s27, s30
	s_lshl_b64 s[46:47], s[46:47], 2
	s_add_u32 s46, s44, s46
	s_waitcnt lgkmcnt(0)
	v_mfma_f32_16x16x16_bf16 a[4:7], v[22:23], v[14:15], a[4:7]
	ds_read_b64 v[10:11], v100 offset:24576
	ds_read_b64 v[14:15], v101 offset:24576
	s_addc_u32 s47, s45, s47
	s_and_b64 vcc, exec, s[0:1]
	s_waitcnt lgkmcnt(1)
	v_mfma_f32_16x16x16_bf16 a[0:3], v[10:11], v[12:13], a[0:3]
	v_mov_b32_e32 v120, 0
	v_mov_b32_e32 v119, 0
	;; [unrolled: 1-line block ×3, first 2 shown]
	v_mfma_f32_16x16x16_bf16 a[4:7], v[10:11], v[16:17], a[4:7]
	v_mov_b32_e32 v10, 0
	v_mov_b32_e32 v11, 0
	;; [unrolled: 1-line block ×3, first 2 shown]
	s_waitcnt lgkmcnt(0)
	v_mfma_f32_16x16x16_bf16 a[0:3], v[14:15], v[20:21], a[0:3]
	v_mov_b32_e32 v13, 0
	v_mov_b32_e32 v16, 0
	;; [unrolled: 1-line block ×3, first 2 shown]
	v_mfma_f32_16x16x16_bf16 a[4:7], v[14:15], v[18:19], a[4:7]
	v_mov_b32_e32 v14, 0
	v_mov_b32_e32 v15, 0
	;; [unrolled: 1-line block ×10, first 2 shown]
	s_cbranch_vccnz .LBB266_13
; %bb.12:                               ;   in Loop: Header=BB266_7 Depth=1
	s_and_b32 s21, s21, 0xffff
	buffer_load_dwordx4 v[22:25], v82, s[20:23], 0 offen
	buffer_load_dwordx4 v[18:21], v82, s[20:23], s65 offen
	;; [unrolled: 1-line block ×4, first 2 shown]
	v_mov_b32_e32 v119, v86
	v_mov_b32_e32 v118, v87
.LBB266_13:                             ;   in Loop: Header=BB266_7 Depth=1
	ds_read_b64 v[30:31], v96 offset:32768
	ds_read2_b64 v[26:29], v102 offset1:16
	ds_read_b64 v[34:35], v98 offset:32768
	ds_read_b64 v[36:37], v100 offset:32768
	;; [unrolled: 1-line block ×3, first 2 shown]
	v_add_u32_e32 v42, s66, v72
	s_waitcnt lgkmcnt(3)
	v_mfma_f32_16x16x16_bf16 a[0:3], v[30:31], v[26:27], a[0:3]
	v_mov_b32_e32 v121, 0
	v_mfma_f32_16x16x16_bf16 a[4:7], v[30:31], v[28:29], a[4:7]
	ds_read2st64_b64 v[26:29], v102 offset0:2 offset1:4
	ds_read2st64_b64 v[30:33], v103 offset0:2 offset1:4
	s_waitcnt lgkmcnt(1)
	v_mfma_f32_16x16x16_bf16 a[0:3], v[34:35], v[26:27], a[0:3]
	ds_read_b64 v[26:27], v102 offset:3072
	ds_read_b64 v[40:41], v103 offset:3072
	s_waitcnt lgkmcnt(2)
	v_mfma_f32_16x16x16_bf16 a[4:7], v[34:35], v[30:31], a[4:7]
	v_ashrrev_i32_e32 v30, 31, v42
	v_mul_lo_u32 v31, v42, s31
	v_mul_lo_u32 v30, v30, s30
	v_mfma_f32_16x16x16_bf16 a[0:3], v[36:37], v[28:29], a[0:3]
	v_mad_u64_u32 v[28:29], s[20:21], v42, s30, 0
	v_add3_u32 v29, v29, v31, v30
	v_lshl_add_u64 v[28:29], v[28:29], 2, s[44:45]
	global_load_dword v34, v[28:29], off
	v_add_u32_e32 v28, 1, v42
	v_ashrrev_i32_e32 v29, 31, v28
	s_waitcnt lgkmcnt(1)
	v_mfma_f32_16x16x16_bf16 a[0:3], v[38:39], v[26:27], a[0:3]
	v_mul_lo_u32 v29, v29, s30
	v_mul_lo_u32 v30, v28, s31
	v_mad_u64_u32 v[26:27], s[20:21], v28, s30, 0
	v_add_u32_e32 v28, 2, v42
	v_add3_u32 v27, v27, v30, v29
	v_ashrrev_i32_e32 v29, 31, v28
	v_mul_lo_u32 v30, v29, s30
	v_mul_lo_u32 v31, v28, s31
	v_mad_u64_u32 v[28:29], s[20:21], v28, s30, 0
	v_add3_u32 v29, v29, v31, v30
	v_add_u32_e32 v30, 3, v42
	v_ashrrev_i32_e32 v31, 31, v30
	v_mfma_f32_16x16x16_bf16 a[4:7], v[36:37], v[32:33], a[4:7]
	v_mul_lo_u32 v32, v31, s30
	v_mul_lo_u32 v33, v30, s31
	v_mad_u64_u32 v[30:31], s[20:21], v30, s30, 0
	s_add_u32 s20, s42, s66
	s_addc_u32 s21, s43, 0
	s_lshl_b64 s[20:21], s[20:21], 8
	v_add3_u32 v31, v31, v33, v32
	v_lshl_add_u64 v[32:33], v[64:65], 0, s[20:21]
	v_lshl_add_u64 v[26:27], v[26:27], 2, s[44:45]
	;; [unrolled: 1-line block ×4, first 2 shown]
	global_load_ushort v36, v[32:33], off
	global_load_ushort v35, v[32:33], off offset:256
	global_load_ushort v44, v[32:33], off offset:800
	;; [unrolled: 1-line block ×7, first 2 shown]
	v_lshl_add_u64 v[30:31], v[30:31], 2, s[44:45]
	global_load_dword v47, v[26:27], off
	global_load_dword v48, v[28:29], off
	;; [unrolled: 1-line block ×3, first 2 shown]
	s_load_dword s20, s[46:47], 0x0
	s_waitcnt lgkmcnt(0)
	v_mfma_f32_16x16x16_bf16 a[4:7], v[38:39], v[40:41], a[4:7]
	v_accvgpr_read_b32 v31, a1
	v_accvgpr_read_b32 v27, a3
	;; [unrolled: 1-line block ×4, first 2 shown]
	s_and_b64 vcc, exec, s[0:1]
	s_waitcnt vmcnt(11)
	v_sub_f32_e32 v40, s20, v34
	v_exp_f32_e32 v40, v40
	v_accvgpr_read_b32 v33, a5
	v_accvgpr_read_b32 v32, a4
	;; [unrolled: 1-line block ×4, first 2 shown]
	s_waitcnt vmcnt(10)
	v_lshlrev_b32_e32 v34, 16, v36
	s_waitcnt vmcnt(9)
	v_lshlrev_b32_e32 v35, 16, v35
	v_pk_add_f32 v[30:31], v[34:35], v[30:31] neg_lo:[0,1] neg_hi:[0,1]
	s_waitcnt vmcnt(7)
	v_lshlrev_b32_e32 v37, 16, v37
	v_mov_b32_e32 v34, 0
	s_waitcnt vmcnt(5)
	v_lshlrev_b32_e32 v36, 16, v42
	s_waitcnt vmcnt(4)
	v_lshlrev_b32_e32 v39, 16, v43
	s_waitcnt vmcnt(2)
	v_sub_f32_e32 v41, s20, v47
	s_waitcnt vmcnt(1)
	v_sub_f32_e32 v42, s20, v48
	;; [unrolled: 2-line block ×3, first 2 shown]
	v_exp_f32_e32 v41, v41
	v_exp_f32_e32 v42, v42
	;; [unrolled: 1-line block ×3, first 2 shown]
	v_pk_add_f32 v[26:27], v[36:37], v[26:27] neg_lo:[0,1] neg_hi:[0,1]
	v_lshlrev_b32_e32 v38, 16, v46
	v_pk_mul_f32 v[30:31], v[40:41], v[30:31]
	v_pk_mul_f32 v[26:27], v[42:43], v[26:27]
	v_mov_b32_e32 v35, 0
	v_perm_b32 v27, v27, v26, s37
	v_perm_b32 v26, v31, v30, s37
	v_pk_add_f32 v[30:31], v[38:39], v[32:33] neg_lo:[0,1] neg_hi:[0,1]
	v_lshlrev_b32_e32 v33, 16, v44
	v_lshlrev_b32_e32 v32, 16, v45
	v_pk_add_f32 v[28:29], v[32:33], v[28:29] neg_lo:[0,1] neg_hi:[0,1]
	v_pk_mul_f32 v[30:31], v[40:41], v[30:31]
	v_pk_mul_f32 v[28:29], v[42:43], v[28:29]
	v_mov_b32_e32 v32, 0
	v_perm_b32 v29, v29, v28, s37
	v_perm_b32 v28, v31, v30, s37
	ds_write2_b64 v89, v[26:27], v[28:29] offset1:16
	v_mov_b32_e32 v26, 0
	v_mov_b32_e32 v27, 0
	;; [unrolled: 1-line block ×13, first 2 shown]
	s_cbranch_vccnz .LBB266_15
; %bb.14:                               ;   in Loop: Header=BB266_7 Depth=1
	s_and_b32 s25, s25, 0xffff
	s_mov_b32 s27, s23
	buffer_load_dwordx4 v[38:41], v107, s[24:27], 0 offen
	buffer_load_dwordx4 v[30:33], v107, s[24:27], s65 offen
	;; [unrolled: 1-line block ×4, first 2 shown]
	v_mov_b32_e32 v120, v81
	v_mov_b32_e32 v121, v80
.LBB266_15:                             ;   in Loop: Header=BB266_7 Depth=1
	s_waitcnt lgkmcnt(0)
	s_barrier
	ds_read_b64 v[46:47], v109
	ds_read_b64 v[126:127], v106
	;; [unrolled: 1-line block ×5, first 2 shown]
	ds_read_b64 v[140:141], v103 offset:3072
	ds_read2_b64 v[42:45], v102 offset0:16 offset1:128
	s_waitcnt lgkmcnt(5)
	v_mfma_f32_16x16x16_bf16 a[0:3], v[46:47], v[126:127], 0
	s_add_i32 s21, s61, s71
	s_mul_hi_i32 s25, s21, s13
	s_mul_i32 s21, s21, s13
	s_waitcnt lgkmcnt(0)
	v_mfma_f32_16x16x16_bf16 a[4:7], v[46:47], v[42:43], 0
	ds_read_b64 v[46:47], v114
	ds_read2st64_b64 v[48:51], v103 offset0:2 offset1:4
	s_add_u32 s24, s21, s33
	s_addc_u32 s25, s25, s48
	s_add_i32 s21, s3, s66
	s_lshl_b64 s[24:25], s[24:25], 15
	s_mul_hi_i32 s27, s21, s13
	s_mul_i32 s21, s21, s13
	s_add_u32 s46, s21, s33
	s_waitcnt lgkmcnt(1)
	v_mfma_f32_16x16x16_bf16 a[8:11], v[46:47], v[126:127], 0
	s_addc_u32 s47, s27, s48
	ds_read2st64_b64 v[122:125], v102 offset0:4 offset1:6
	s_lshl_b64 s[46:47], s[46:47], 9
	v_mfma_f32_16x16x16_bf16 a[0:3], v[128:129], v[44:45], a[0:3]
	s_add_u32 s46, s16, s46
	s_addc_u32 s47, s17, s47
	s_waitcnt lgkmcnt(1)
	v_mfma_f32_16x16x16_bf16 a[4:7], v[128:129], v[48:49], a[4:7]
	ds_read_b64 v[128:129], v115
	ds_read_b64 v[136:137], v116
	;; [unrolled: 1-line block ×3, first 2 shown]
	v_mfma_f32_16x16x16_bf16 a[12:15], v[46:47], v[42:43], 0
	s_waitcnt lgkmcnt(2)
	v_mfma_f32_16x16x16_bf16 a[8:11], v[128:129], v[44:45], a[8:11]
	global_load_dwordx4 v[42:45], v113, s[46:47]
	v_mfma_f32_16x16x16_bf16 a[12:15], v[128:129], v[48:49], a[12:15]
	global_load_dwordx4 v[46:49], v61, s[46:47]
	ds_read2st64_b64 v[126:129], v104 offset1:8
	s_waitcnt lgkmcnt(0)
	v_mov_b32_e32 v134, v126
	v_mfma_f32_16x16x16_bf16 a[0:3], v[130:131], v[122:123], a[0:3]
	v_mov_b32_e32 v135, v127
	v_mfma_f32_16x16x16_bf16 a[4:7], v[130:131], v[50:51], a[4:7]
	ds_read2st64_b64 v[130:133], v105 offset1:8
	v_mfma_f32_16x16x16_bf16 a[8:11], v[136:137], v[122:123], a[8:11]
	v_lshl_add_u64 v[122:123], v[66:67], 0, s[24:25]
	v_mfma_f32_16x16x16_bf16 a[16:19], v[136:137], v[50:51], a[12:15]
	v_add_co_u32_e32 v50, vcc, s35, v122
	s_waitcnt lgkmcnt(0)
	v_mov_b32_e32 v136, v130
	v_mfma_f32_16x16x16_bf16 a[0:3], v[138:139], v[124:125], a[0:3]
	v_mov_b32_e32 v137, v131
	v_mov_b32_e32 v130, v128
	;; [unrolled: 1-line block ×3, first 2 shown]
	v_mfma_f32_16x16x16_bf16 a[4:7], v[138:139], v[140:141], a[4:7]
	v_addc_co_u32_e32 v51, vcc, 0, v123, vcc
	global_store_dwordx4 v[50:51], v[130:133], off
	v_mfma_f32_16x16x16_bf16 a[12:15], v[142:143], v[124:125], a[8:11]
	s_and_b64 vcc, exec, s[0:1]
	global_store_dwordx4 v[122:123], v[134:137], off
	s_waitcnt vmcnt(3)
	v_mov_b32_e32 v52, v45
	v_mfma_f32_16x16x16_bf16 a[8:11], v[142:143], v[140:141], a[16:19]
	v_mov_b32_e32 v51, v44
	v_mov_b32_e32 v50, v43
	s_cbranch_vccnz .LBB266_17
; %bb.16:                               ;   in Loop: Header=BB266_7 Depth=1
	v_lshrrev_b32_e32 v43, 3, v120
	v_and_b32_e32 v43, 6, v43
	v_xor_b32_e32 v44, v43, v121
	v_lshlrev_b32_e32 v44, 2, v44
	v_and_b32_e32 v45, 8, v120
	v_xor_b32_e32 v120, 0x440, v44
	v_cmp_eq_u32_e32 vcc, 0, v45
	v_perm_b32 v45, v30, v26, s67
	s_nop 0
	v_cndmask_b32_e32 v44, v120, v44, vcc
	v_lshl_or_b32 v43, v43, 10, v44
	v_perm_b32 v44, v38, v34, s67
	s_barrier
	ds_write2st64_b32 v43, v44, v45 offset0:32 offset1:64
	v_xor_b32_e32 v44, 8, v43
	v_perm_b32 v34, v38, v34, s68
	v_perm_b32 v26, v30, v26, s68
	v_add_u32_e32 v30, 0x80, v44
	ds_write2st64_b32 v30, v34, v26 offset0:32 offset1:64
	v_xor_b32_e32 v26, 16, v43
	v_perm_b32 v30, v39, v35, s67
	v_perm_b32 v34, v31, v27, s67
	ds_write2st64_b32 v26, v30, v34 offset0:33 offset1:65
	v_xor_b32_e32 v26, 24, v43
	v_perm_b32 v30, v39, v35, s68
	v_perm_b32 v27, v31, v27, s68
	v_add_u32_e32 v26, 0x80, v26
	ds_write2st64_b32 v26, v30, v27 offset0:33 offset1:65
	v_xor_b32_e32 v26, 32, v43
	v_perm_b32 v27, v40, v36, s67
	v_perm_b32 v30, v32, v28, s67
	;; [unrolled: 9-line block ×3, first 2 shown]
	ds_write2st64_b32 v26, v27, v28 offset0:35 offset1:67
	v_xor_b32_e32 v26, 56, v43
	v_perm_b32 v27, v41, v37, s68
	v_perm_b32 v28, v33, v29, s68
	v_add_u32_e32 v26, 0x80, v26
	ds_write2st64_b32 v26, v27, v28 offset0:35 offset1:67
	ds_write_b64 v119, v[22:23] offset:24576
	v_xor_b32_e32 v22, 8, v119
	ds_write_b64 v22, v[24:25] offset:24576
	ds_write_b64 v119, v[18:19] offset:32768
	;; [unrolled: 1-line block ×4, first 2 shown]
	v_xor_b32_e32 v14, 8, v118
	ds_write_b64 v14, v[16:17] offset:24576
	ds_write_b64 v118, v[10:11] offset:32768
	;; [unrolled: 1-line block ×3, first 2 shown]
.LBB266_17:                             ;   in Loop: Header=BB266_7 Depth=1
	v_exp_f32_e32 v26, s20
	s_waitcnt vmcnt(2)
	v_exp_f32_e32 v28, v46
	v_exp_f32_e32 v29, v47
	;; [unrolled: 1-line block ×4, first 2 shown]
	v_accvgpr_read_b32 v21, a3
	v_accvgpr_read_b32 v19, a1
	;; [unrolled: 1-line block ×4, first 2 shown]
	v_pk_mul_f32 v[28:29], v[26:27], v[28:29] op_sel_hi:[0,1]
	v_accvgpr_read_b32 v20, a2
	v_accvgpr_read_b32 v11, a5
	v_accvgpr_read_b32 v10, a4
	v_pk_fma_f32 v[2:3], v[2:3], v[28:29], v[18:19]
	v_pk_mul_f32 v[18:19], v[26:27], v[30:31] op_sel_hi:[0,1]
	v_pk_fma_f32 v[4:5], v[4:5], v[18:19], v[20:21]
	v_fma_f32 v74, v74, v28, v10
	v_fma_f32 v75, v75, v29, v11
	v_exp_f32_e32 v10, v42
	v_exp_f32_e32 v11, v50
	;; [unrolled: 1-line block ×4, first 2 shown]
	v_accvgpr_read_b32 v12, a6
	v_accvgpr_read_b32 v25, a15
	;; [unrolled: 1-line block ×9, first 2 shown]
	v_fma_f32 v76, v76, v18, v12
	v_fmac_f32_e32 v13, v85, v19
	v_pk_mul_f32 v[10:11], v[26:27], v[10:11] op_sel_hi:[0,1]
	v_pk_mul_f32 v[18:19], v[26:27], v[20:21] op_sel_hi:[0,1]
	s_add_i32 s66, s66, 64
	v_pk_fma_f32 v[6:7], v[6:7], v[10:11], v[22:23]
	v_pk_fma_f32 v[8:9], v[8:9], v[18:19], v[24:25]
	v_fma_f32 v77, v77, v10, v14
	v_fma_f32 v78, v78, v11, v15
	;; [unrolled: 1-line block ×3, first 2 shown]
	s_cmp_eq_u32 s58, s70
	v_fmac_f32_e32 v17, v83, v19
	s_cbranch_scc1 .LBB266_19
; %bb.18:                               ;   in Loop: Header=BB266_7 Depth=1
	s_mov_b32 s71, s70
	v_mov_b32_e32 v85, v13
	v_mov_b32_e32 v83, v17
	s_branch .LBB266_7
.LBB266_19:
	v_mov_b32_e32 v16, v79
	v_mov_b32_e32 v15, v78
	;; [unrolled: 1-line block ×3, first 2 shown]
.LBB266_20:
	s_lshl_b32 s43, s58, 6
	s_sub_i32 s46, s12, s43
	v_mov_b32_e32 v12, v76
	v_mov_b32_e32 v11, v75
	;; [unrolled: 1-line block ×3, first 2 shown]
	s_cmp_gt_i32 s46, 0
	s_cbranch_scc0 .LBB266_85
; %bb.21:
	s_ashr_i32 s3, s43, 31
	s_cmpk_lg_i32 s15, 0x80
	s_cselect_b64 s[26:27], -1, 0
	s_and_b64 vcc, exec, s[26:27]
	s_cbranch_vccz .LBB266_23
; %bb.22:
	s_mul_hi_i32 s0, s57, s12
	s_add_u32 s1, s49, s43
	s_addc_u32 s0, s0, s3
	s_mul_i32 s20, s1, s59
	s_mul_hi_u32 s21, s1, s14
	s_add_i32 s20, s21, s20
	s_mul_i32 s0, s0, s14
	s_add_i32 s20, s20, s0
	s_mul_i32 s1, s1, s14
	s_ashr_i32 s0, s60, 31
	s_add_u32 s44, s1, s60
	s_addc_u32 s45, s20, s0
	s_cbranch_execz .LBB266_24
	s_branch .LBB266_25
.LBB266_23:
                                        ; implicit-def: $sgpr44_sgpr45
.LBB266_24:
	s_mul_hi_i32 s0, s57, s14
	s_mul_i32 s57, s57, s14
	s_ashr_i32 s1, s60, 31
	s_add_u32 s14, s57, s60
	s_addc_u32 s0, s0, s1
	s_mul_i32 s1, s14, s56
	s_mul_hi_u32 s20, s14, s12
	s_add_i32 s1, s20, s1
	s_mul_i32 s0, s0, s12
	s_add_i32 s1, s1, s0
	s_mul_i32 s14, s14, s12
	s_add_u32 s44, s14, s43
	s_addc_u32 s45, s1, s3
.LBB266_25:
	s_mul_i32 s0, s40, s56
	s_add_i32 s0, s62, s0
	s_add_i32 s14, s61, s58
	;; [unrolled: 1-line block ×3, first 2 shown]
	s_add_u32 s0, s42, s43
	v_lshlrev_b32_e32 v22, 5, v72
	v_lshlrev_b32_e32 v38, 2, v69
	s_addc_u32 s1, s1, s3
	s_mov_b32 s3, 0x7060302
	v_or_b32_e32 v25, v22, v38
	v_xor_b32_e32 v23, v72, v38
	v_perm_b32 v19, v5, v4, s3
	v_perm_b32 v18, v3, v2, s3
	;; [unrolled: 1-line block ×4, first 2 shown]
	v_lshlrev_b32_e32 v25, 1, v25
	v_xor_b32_e32 v24, v73, v38
	ds_write2st64_b64 v25, v[18:19], v[20:21] offset0:80 offset1:88
	v_lshlrev_b32_e32 v23, 1, v23
	v_lshlrev_b32_e32 v25, 8, v69
	s_lshl_b64 s[24:25], s[0:1], 8
	v_or_b32_e32 v26, v23, v25
	v_lshlrev_b32_e32 v24, 1, v24
	s_add_u32 s0, s6, s24
	ds_write_b64 v26, v[18:19]
	v_or_b32_e32 v18, v24, v25
	s_addc_u32 s1, s7, s25
	ds_write_b64 v18, v[20:21]
	v_perm_b32 v19, v13, v12, s3
	v_perm_b32 v18, v11, v10, s3
	;; [unrolled: 1-line block ×4, first 2 shown]
	v_or_b32_e32 v25, 16, v69
	s_mul_hi_i32 s3, s14, s13
	s_mul_i32 s14, s14, s13
	v_lshlrev_b32_e32 v35, 2, v25
	s_add_u32 s6, s14, s33
	v_or_b32_e32 v22, v22, v35
	s_addc_u32 s7, s3, s48
	v_lshlrev_b32_e32 v22, 1, v22
	s_ashr_i32 s3, s2, 31
	s_lshl_b64 s[6:7], s[6:7], 15
	ds_write2st64_b64 v22, v[18:19], v[20:21] offset0:80 offset1:88
	v_lshlrev_b32_e32 v22, 8, v25
	s_add_u32 s6, s38, s6
	v_or_b32_e32 v23, v23, v22
	s_addc_u32 s7, s39, s7
	s_lshl_b64 s[2:3], s[2:3], 8
	ds_write_b64 v23, v[18:19]
	v_or_b32_e32 v18, v24, v22
	s_add_u32 s2, s6, s2
	ds_write_b64 v18, v[20:21]
	v_lshrrev_b32_e32 v18, 4, v0
	s_addc_u32 s3, s7, s3
	v_lshlrev_b32_e32 v19, 1, v69
	v_lshlrev_b32_e32 v26, 4, v69
	v_mov_b32_e32 v27, 0
	v_or_b32_e32 v20, 1, v19
	v_xor_b32_e32 v19, v18, v19
	v_lshl_add_u64 v[28:29], s[2:3], 0, v[26:27]
	v_lshlrev_b32_e32 v26, 8, v18
	v_xor_b32_e32 v22, v20, v18
	v_lshl_or_b32 v18, v19, 3, v26
	s_waitcnt lgkmcnt(0)
	s_barrier
	ds_read2st64_b64 v[18:21], v18 offset1:8
	v_lshl_or_b32 v22, v22, 3, v26
	ds_read2st64_b64 v[22:25], v22 offset1:8
	v_lshl_add_u64 v[30:31], v[28:29], 0, v[26:27]
	s_movk_i32 s2, 0x1000
	s_waitcnt lgkmcnt(1)
	v_mov_b32_e32 v26, v18
	v_add_co_u32_e32 v18, vcc, s2, v30
	s_cmp_lg_u32 s46, 64
	v_mov_b32_e32 v27, v19
	v_addc_co_u32_e32 v19, vcc, 0, v31, vcc
	s_cselect_b64 s[6:7], -1, 0
	v_lshl_or_b32 v42, v1, 3, v71
	s_waitcnt lgkmcnt(0)
	v_mov_b32_e32 v28, v22
	v_mov_b32_e32 v29, v23
	v_mov_b32_e32 v22, v20
	v_mov_b32_e32 v23, v21
	s_mov_b32 s20, 0
	v_or_b32_e32 v36, 32, v42
	v_and_b32_e32 v34, 56, v70
	s_and_b64 vcc, exec, s[6:7]
	global_store_dwordx4 v[30:31], v[26:29], off
	global_store_dwordx4 v[18:19], v[22:25], off
	s_cbranch_vccz .LBB266_31
; %bb.26:
	s_mov_b32 s22, s20
	s_mov_b32 s23, s20
	;; [unrolled: 1-line block ×3, first 2 shown]
	v_mov_b64_e32 v[24:25], s[22:23]
	v_mov_b64_e32 v[22:23], s[20:21]
	v_mov_b64_e32 v[18:19], v[22:23]
	v_cmp_gt_i32_e32 vcc, s46, v42
	v_mov_b64_e32 v[20:21], v[24:25]
	s_and_saveexec_b64 s[2:3], vcc
	s_cbranch_execz .LBB266_28
; %bb.27:
	v_lshlrev_b32_e32 v18, 8, v42
	v_mov_b32_e32 v19, 0
	v_lshl_add_u64 v[20:21], s[0:1], 0, v[18:19]
	v_lshlrev_b32_e32 v18, 1, v34
	v_lshl_add_u64 v[26:27], v[20:21], 0, v[18:19]
	global_load_dwordx4 v[22:25], v[26:27], off
	global_load_dwordx4 v[18:21], v[26:27], off offset:128
.LBB266_28:
	s_or_b64 exec, exec, s[2:3]
	s_mov_b32 s22, s20
	s_mov_b32 s23, s20
	;; [unrolled: 1-line block ×3, first 2 shown]
	v_mov_b64_e32 v[32:33], s[22:23]
	v_mov_b64_e32 v[30:31], s[20:21]
	v_mov_b64_e32 v[26:27], v[30:31]
	v_cmp_gt_i32_e32 vcc, s46, v36
	v_lshlrev_b32_e32 v37, 7, v36
	v_mov_b64_e32 v[28:29], v[32:33]
	s_and_saveexec_b64 s[2:3], vcc
	s_cbranch_execz .LBB266_30
; %bb.29:
	v_lshlrev_b32_e32 v26, 1, v37
	v_mov_b32_e32 v27, 0
	v_lshl_add_u64 v[28:29], s[0:1], 0, v[26:27]
	v_lshlrev_b32_e32 v26, 1, v34
	v_lshl_add_u64 v[40:41], v[28:29], 0, v[26:27]
	global_load_dwordx4 v[30:33], v[40:41], off
	global_load_dwordx4 v[26:29], v[40:41], off offset:128
.LBB266_30:
	s_or_b64 exec, exec, s[2:3]
	v_lshrrev_b32_e32 v39, 3, v34
	v_lshlrev_b32_e32 v40, 3, v42
	v_or_b32_e32 v39, v40, v39
	v_lshlrev_b32_e32 v39, 4, v39
	v_and_b32_e32 v40, 0x78, v40
	v_xor_b32_e32 v39, v39, v40
	s_branch .LBB266_33
.LBB266_31:
                                        ; implicit-def: $vgpr39
                                        ; implicit-def: $vgpr37
                                        ; implicit-def: $vgpr22_vgpr23_vgpr24_vgpr25
                                        ; implicit-def: $vgpr18_vgpr19_vgpr20_vgpr21
                                        ; implicit-def: $vgpr30_vgpr31_vgpr32_vgpr33
                                        ; implicit-def: $vgpr26_vgpr27_vgpr28_vgpr29
	s_cbranch_execz .LBB266_33
; %bb.32:
	s_waitcnt vmcnt(0)
	v_lshlrev_b32_e32 v18, 1, v34
	v_lshl_or_b32 v37, v42, 8, v18
	s_and_b32 s1, s1, 0xffff
	s_mov_b32 s3, 0x20000
	s_movk_i32 s2, 0x4000
	v_lshl_or_b32 v39, v36, 8, v18
	s_movk_i32 s14, 0x80
	buffer_load_dwordx4 v[22:25], v37, s[0:3], 0 offen
	buffer_load_dwordx4 v[18:21], v37, s[0:3], s14 offen
	;; [unrolled: 1-line block ×4, first 2 shown]
	v_lshrrev_b32_e32 v37, 3, v34
	v_lshlrev_b32_e32 v39, 3, v42
	v_or_b32_e32 v37, v39, v37
	v_lshlrev_b32_e32 v37, 4, v37
	v_and_b32_e32 v39, 0x78, v39
	v_xor_b32_e32 v39, v37, v39
	v_lshlrev_b32_e32 v37, 7, v36
.LBB266_33:
	s_lshl_b64 s[0:1], s[44:45], 8
	s_add_u32 s4, s4, s0
	s_movk_i32 s0, 0x1000
	v_and_or_b32 v36, v37, s0, v39
	s_waitcnt vmcnt(1)
	ds_write_b64 v39, v[22:23] offset:24576
	v_xor_b32_e32 v22, 8, v39
	ds_write_b64 v22, v[24:25] offset:24576
	s_waitcnt vmcnt(0)
	ds_write_b64 v39, v[18:19] offset:32768
	ds_write_b64 v22, v[20:21] offset:32768
	;; [unrolled: 1-line block ×3, first 2 shown]
	v_xor_b32_e32 v18, 8, v36
	ds_write_b64 v18, v[32:33] offset:24576
	ds_write_b64 v36, v[26:27] offset:32768
	;; [unrolled: 1-line block ×3, first 2 shown]
	v_or_b32_e32 v18, v53, v69
	v_lshlrev_b32_e32 v18, 3, v18
	v_lshrrev_b32_e32 v19, 5, v55
	s_movk_i32 s2, 0xf8
	v_and_or_b32 v19, v18, s2, v19
	v_lshlrev_b32_e32 v23, 4, v19
	v_lshlrev_b32_e32 v39, 11, v1
	v_and_b32_e32 v24, 0x78, v18
	v_or_b32_e32 v26, 32, v23
	v_and_b32_e32 v22, 0x1000, v39
	v_lshrrev_b32_e32 v19, 1, v55
	v_xor_b32_e32 v26, v26, v24
	v_xor_b32_e32 v18, v23, v24
	v_and_b32_e32 v25, 8, v19
	v_or_b32_e32 v26, v26, v22
	v_or_b32_e32 v18, v18, v22
	v_xor_b32_e32 v44, v26, v25
	v_or_b32_e32 v26, 64, v23
	v_xor_b32_e32 v43, v18, v25
	v_xor_b32_e32 v26, v26, v24
	s_waitcnt lgkmcnt(0)
	s_barrier
	v_or_b32_e32 v28, v26, v22
	ds_read_b64 v[26:27], v43 offset:24576
	v_lshl_or_b32 v36, v68, 7, v38
	v_lshlrev_b32_e32 v40, 1, v36
	v_add_u32_e32 v18, 0xa000, v40
	ds_read2_b64 v[18:21], v18 offset1:16
	v_or_b32_e32 v23, 0x60, v23
	v_xor_b32_e32 v23, v23, v24
	s_waitcnt lgkmcnt(0)
	v_mfma_f32_16x16x16_bf16 a[0:3], v[26:27], v[18:19], 0
	v_or_b32_e32 v18, 64, v36
	v_or_b32_e32 v22, v23, v22
	v_lshlrev_b32_e32 v41, 1, v18
	v_xor_b32_e32 v45, v28, v25
	v_xor_b32_e32 v46, v22, v25
	ds_read_b64 v[28:29], v44 offset:24576
	ds_read_b64 v[30:31], v45 offset:24576
	;; [unrolled: 1-line block ×3, first 2 shown]
	v_mfma_f32_16x16x16_bf16 a[4:7], v[26:27], v[20:21], 0
	ds_read2st64_b64 v[18:21], v41 offset0:82 offset1:84
	ds_read2st64_b64 v[22:25], v40 offset0:82 offset1:84
	s_addc_u32 s5, s5, s1
	s_add_i32 s0, s51, s50
	s_add_i32 s12, s12, -1
	s_add_i32 s35, s0, s55
	s_add_i32 s0, s53, s52
	;; [unrolled: 1-line block ×3, first 2 shown]
	s_ashr_i32 s0, s12, 31
	s_mul_i32 s1, s12, s31
	s_mul_hi_u32 s2, s12, s30
	s_add_i32 s1, s2, s1
	s_mul_i32 s0, s0, s30
	s_waitcnt lgkmcnt(1)
	v_mfma_f32_16x16x16_bf16 a[4:7], v[28:29], v[18:19], a[4:7]
	s_add_i32 s1, s1, s0
	s_lshl_b64 s[2:3], s[34:35], 2
	s_add_u32 s10, s10, s2
	s_waitcnt lgkmcnt(0)
	v_mfma_f32_16x16x16_bf16 a[0:3], v[28:29], v[22:23], a[0:3]
	s_addc_u32 s11, s11, s3
	s_lshl_b64 s[2:3], s[36:37], 2
	s_mul_i32 s0, s12, s30
	s_add_u32 s10, s10, s2
	ds_read_b64 v[18:19], v40 offset:44032
	v_mfma_f32_16x16x16_bf16 a[4:7], v[30:31], v[20:21], a[4:7]
	ds_read_b64 v[20:21], v41 offset:44032
	s_addc_u32 s11, s11, s3
	s_lshl_b64 s[0:1], s[0:1], 2
	v_mfma_f32_16x16x16_bf16 a[0:3], v[30:31], v[24:25], a[0:3]
	s_add_u32 s0, s10, s0
	s_addc_u32 s1, s11, s1
	s_load_dword s14, s[0:1], 0x0
	s_waitcnt lgkmcnt(0)
	v_mfma_f32_16x16x16_bf16 a[0:3], v[32:33], v[18:19], a[0:3]
	s_and_b64 vcc, exec, s[26:27]
	v_mfma_f32_16x16x16_bf16 a[4:7], v[32:33], v[20:21], a[4:7]
	s_cbranch_vccz .LBB266_44
; %bb.34:
	v_lshlrev_b32_e32 v36, 1, v42
	s_and_b64 vcc, exec, s[6:7]
	s_cbranch_vccz .LBB266_45
; %bb.35:
	v_cmp_gt_i32_e32 vcc, s46, v36
	v_mov_b32_e32 v22, 0
	v_mov_b32_e32 v18, 0
	;; [unrolled: 1-line block ×5, first 2 shown]
	s_and_saveexec_b64 s[0:1], vcc
	s_cbranch_execz .LBB266_37
; %bb.36:
	v_mad_i64_i32 v[18:19], s[2:3], s15, v36, 0
	v_lshl_add_u64 v[18:19], v[18:19], 1, s[4:5]
	v_lshlrev_b32_e32 v20, 1, v34
	v_mov_b32_e32 v21, 0
	v_lshl_add_u64 v[18:19], v[18:19], 0, v[20:21]
	global_load_dwordx4 v[18:21], v[18:19], off
.LBB266_37:
	s_or_b64 exec, exec, s[0:1]
	v_or_b32_e32 v37, 1, v36
	v_cmp_gt_i32_e64 s[0:1], s46, v37
	v_mov_b32_e32 v23, 0
	v_mov_b32_e32 v24, 0
	v_mov_b32_e32 v25, 0
	s_and_saveexec_b64 s[2:3], s[0:1]
	s_cbranch_execz .LBB266_39
; %bb.38:
	v_mad_i64_i32 v[22:23], s[20:21], s15, v37, 0
	v_lshl_add_u64 v[22:23], v[22:23], 1, s[4:5]
	v_lshlrev_b32_e32 v24, 1, v34
	v_mov_b32_e32 v25, 0
	v_lshl_add_u64 v[22:23], v[22:23], 0, v[24:25]
	global_load_dwordx4 v[22:25], v[22:23], off
.LBB266_39:
	s_or_b64 exec, exec, s[2:3]
	v_mov_b32_e32 v33, 0
	v_mov_b32_e32 v26, 0
	;; [unrolled: 1-line block ×5, first 2 shown]
	s_and_saveexec_b64 s[2:3], vcc
	s_cbranch_execz .LBB266_41
; %bb.40:
	v_mad_i64_i32 v[26:27], s[20:21], s15, v36, 0
	v_lshl_add_u64 v[26:27], v[26:27], 1, s[4:5]
	v_lshlrev_b32_e32 v28, 1, v34
	v_mov_b32_e32 v29, 0
	v_lshl_add_u64 v[26:27], v[26:27], 0, v[28:29]
	global_load_dwordx4 v[26:29], v[26:27], off offset:128
.LBB266_41:
	s_or_b64 exec, exec, s[2:3]
	v_mov_b32_e32 v32, 0
	v_mov_b32_e32 v31, 0
	;; [unrolled: 1-line block ×3, first 2 shown]
	s_and_saveexec_b64 s[2:3], s[0:1]
	s_cbranch_execz .LBB266_43
; %bb.42:
	v_mad_i64_i32 v[30:31], s[0:1], s15, v37, 0
	v_lshl_add_u64 v[30:31], v[30:31], 1, s[4:5]
	v_lshlrev_b32_e32 v32, 1, v34
	v_mov_b32_e32 v33, 0
	v_lshl_add_u64 v[30:31], v[30:31], 0, v[32:33]
	global_load_dwordx4 v[30:33], v[30:31], off offset:128
.LBB266_43:
	s_or_b64 exec, exec, s[2:3]
	s_branch .LBB266_47
.LBB266_44:
                                        ; implicit-def: $vgpr21
                                        ; implicit-def: $vgpr25
                                        ; implicit-def: $vgpr29
                                        ; implicit-def: $vgpr33
	v_lshrrev_b32_e32 v47, 2, v55
	s_branch .LBB266_48
.LBB266_45:
                                        ; implicit-def: $vgpr21
                                        ; implicit-def: $vgpr25
                                        ; implicit-def: $vgpr29
                                        ; implicit-def: $vgpr33
	s_cbranch_execz .LBB266_47
; %bb.46:
	s_waitcnt vmcnt(0)
	v_mad_u64_u32 v[18:19], s[0:1], v36, s15, v[34:35]
	v_lshlrev_b32_e32 v36, 1, v18
	s_lshl_b32 s2, s15, 7
	s_and_b32 s1, s5, 0xffff
	s_mov_b32 s3, 0x20000
	s_mov_b32 s0, s4
	v_add_lshl_u32 v37, v18, s15, 1
	s_movk_i32 s15, 0x80
	buffer_load_dwordx4 v[18:21], v36, s[0:3], 0 offen
	buffer_load_dwordx4 v[26:29], v36, s[0:3], s15 offen
	;; [unrolled: 1-line block ×4, first 2 shown]
.LBB266_47:
	v_lshrrev_b32_e32 v47, 2, v55
	s_cbranch_execnz .LBB266_60
.LBB266_48:
	s_and_b64 vcc, exec, s[6:7]
	s_cbranch_vccz .LBB266_58
; %bb.49:
	s_waitcnt vmcnt(0)
	v_lshlrev_b32_e32 v23, 1, v42
	v_cmp_gt_i32_e32 vcc, s46, v23
	v_mov_b32_e32 v22, 0
	v_lshlrev_b32_e32 v30, 9, v42
	v_mov_b32_e32 v18, 0
	v_mov_b32_e32 v19, 0
	;; [unrolled: 1-line block ×4, first 2 shown]
	s_and_saveexec_b64 s[0:1], vcc
	s_cbranch_execz .LBB266_51
; %bb.50:
	v_mov_b32_e32 v31, 0
	v_lshl_add_u64 v[18:19], s[4:5], 0, v[30:31]
	v_lshlrev_b32_e32 v20, 1, v34
	v_mov_b32_e32 v21, v31
	v_lshl_add_u64 v[18:19], v[18:19], 0, v[20:21]
	global_load_dwordx4 v[18:21], v[18:19], off
.LBB266_51:
	s_or_b64 exec, exec, s[0:1]
	v_or_b32_e32 v23, 1, v23
	v_cmp_gt_i32_e64 s[0:1], s46, v23
	v_lshlrev_b32_e32 v36, 8, v23
	v_mov_b32_e32 v23, 0
	v_mov_b32_e32 v24, 0
	;; [unrolled: 1-line block ×3, first 2 shown]
	s_and_saveexec_b64 s[2:3], s[0:1]
	s_cbranch_execz .LBB266_53
; %bb.52:
	v_mov_b32_e32 v37, 0
	v_lshl_add_u64 v[22:23], s[4:5], 0, v[36:37]
	v_lshlrev_b32_e32 v24, 1, v34
	v_mov_b32_e32 v25, v37
	v_lshl_add_u64 v[22:23], v[22:23], 0, v[24:25]
	global_load_dwordx4 v[22:25], v[22:23], off
.LBB266_53:
	s_or_b64 exec, exec, s[2:3]
	v_mov_b32_e32 v33, 0
	v_mov_b32_e32 v26, 0
	;; [unrolled: 1-line block ×5, first 2 shown]
	s_and_saveexec_b64 s[2:3], vcc
	s_cbranch_execz .LBB266_55
; %bb.54:
	v_mov_b32_e32 v31, 0
	v_lshl_add_u64 v[26:27], s[4:5], 0, v[30:31]
	v_lshlrev_b32_e32 v30, 1, v34
	v_lshl_add_u64 v[26:27], v[26:27], 0, v[30:31]
	global_load_dwordx4 v[26:29], v[26:27], off offset:128
.LBB266_55:
	s_or_b64 exec, exec, s[2:3]
	v_mov_b32_e32 v32, 0
	v_mov_b32_e32 v31, 0
	;; [unrolled: 1-line block ×3, first 2 shown]
	s_and_saveexec_b64 s[2:3], s[0:1]
	s_cbranch_execz .LBB266_57
; %bb.56:
	v_mov_b32_e32 v37, 0
	v_lshl_add_u64 v[30:31], s[4:5], 0, v[36:37]
	v_lshlrev_b32_e32 v36, 1, v34
	v_lshl_add_u64 v[30:31], v[30:31], 0, v[36:37]
	global_load_dwordx4 v[30:33], v[30:31], off offset:128
.LBB266_57:
	s_or_b64 exec, exec, s[2:3]
	s_branch .LBB266_60
.LBB266_58:
                                        ; implicit-def: $vgpr21
                                        ; implicit-def: $vgpr25
                                        ; implicit-def: $vgpr29
                                        ; implicit-def: $vgpr33
	s_cbranch_execz .LBB266_60
; %bb.59:
	s_waitcnt vmcnt(0)
	v_lshlrev_b32_e32 v18, 1, v34
	v_lshl_or_b32 v34, v42, 9, v18
	s_and_b32 s5, s5, 0xffff
	s_mov_b32 s7, 0x20000
	s_movk_i32 s6, 0x4000
	s_movk_i32 s0, 0x80
	buffer_load_dwordx4 v[18:21], v34, s[4:7], 0 offen
	buffer_load_dwordx4 v[22:25], v34, s[4:7], 0 offen offset:256
	buffer_load_dwordx4 v[26:29], v34, s[4:7], s0 offen
	buffer_load_dwordx4 v[30:33], v34, s[4:7], s0 offen offset:256
.LBB266_60:
	ds_read_b64 v[36:37], v43 offset:32768
	v_add_u32_e32 v34, 0xb000, v40
	ds_read2_b64 v[48:51], v34 offset1:16
	ds_read_b64 v[66:67], v44 offset:32768
	ds_read_b64 v[44:45], v45 offset:32768
	;; [unrolled: 1-line block ×3, first 2 shown]
	ds_read2st64_b64 v[62:65], v41 offset0:90 offset1:92
	v_and_b32_e32 v43, 6, v0
	v_and_b32_e32 v34, 12, v47
	v_xor_b32_e32 v42, v42, v43
	v_lshlrev_b32_e32 v42, 2, v42
	s_mov_b32 s0, 0x1000504
	s_waitcnt lgkmcnt(4)
	v_mfma_f32_16x16x16_bf16 a[0:3], v[36:37], v[48:49], a[0:3]
	s_mov_b32 s1, 0x3020706
	v_mfma_f32_16x16x16_bf16 a[4:7], v[36:37], v[50:51], a[4:7]
	ds_read2st64_b64 v[48:51], v40 offset0:90 offset1:92
	ds_read_b64 v[36:37], v40 offset:48128
	ds_read_b64 v[46:47], v41 offset:48128
	s_waitcnt lgkmcnt(2)
	v_mfma_f32_16x16x16_bf16 a[0:3], v[66:67], v[48:49], a[0:3]
	v_and_b32_e32 v48, 1, v0
	v_xor_b32_e32 v49, 0x440, v42
	v_cmp_eq_u32_e32 vcc, 0, v48
	v_mfma_f32_16x16x16_bf16 a[4:7], v[66:67], v[62:63], a[4:7]
	s_nop 0
	v_cndmask_b32_e32 v42, v49, v42, vcc
	v_lshl_or_b32 v42, v43, 10, v42
	v_mfma_f32_16x16x16_bf16 a[0:3], v[44:45], v[50:51], a[0:3]
	v_mfma_f32_16x16x16_bf16 a[8:11], v[44:45], v[64:65], a[4:7]
	s_waitcnt lgkmcnt(1)
	v_mfma_f32_16x16x16_bf16 a[4:7], v[68:69], v[36:37], a[0:3]
	s_waitcnt vmcnt(0)
	v_perm_b32 v36, v18, v22, s0
	v_perm_b32 v37, v26, v30, s0
	ds_write2st64_b32 v42, v36, v37 offset0:32 offset1:64
	v_xor_b32_e32 v36, 8, v42
	v_perm_b32 v18, v18, v22, s1
	v_perm_b32 v22, v26, v30, s1
	v_add_u32_e32 v26, 0x80, v36
	ds_write2st64_b32 v26, v18, v22 offset0:32 offset1:64
	v_xor_b32_e32 v18, 16, v42
	v_perm_b32 v22, v19, v23, s0
	v_perm_b32 v26, v27, v31, s0
	ds_write2st64_b32 v18, v22, v26 offset0:33 offset1:65
	v_xor_b32_e32 v18, 24, v42
	v_perm_b32 v19, v19, v23, s1
	v_perm_b32 v22, v27, v31, s1
	v_add_u32_e32 v18, 0x80, v18
	ds_write2st64_b32 v18, v19, v22 offset0:33 offset1:65
	v_xor_b32_e32 v18, 32, v42
	v_perm_b32 v19, v20, v24, s0
	v_perm_b32 v22, v28, v32, s0
	ds_write2st64_b32 v18, v19, v22 offset0:34 offset1:66
	v_xor_b32_e32 v18, 40, v42
	s_waitcnt lgkmcnt(5)
	v_mfma_f32_16x16x16_bf16 a[0:3], v[68:69], v[46:47], a[8:11]
	v_perm_b32 v19, v20, v24, s1
	v_perm_b32 v20, v28, v32, s1
	v_add_u32_e32 v18, 0x80, v18
	ds_write2st64_b32 v18, v19, v20 offset0:34 offset1:66
	v_xor_b32_e32 v18, 48, v42
	v_perm_b32 v19, v21, v25, s0
	v_perm_b32 v20, v29, v33, s0
	ds_write2st64_b32 v18, v19, v20 offset0:35 offset1:67
	v_xor_b32_e32 v18, 56, v42
	v_or_b32_e32 v32, v34, v53
	v_perm_b32 v19, v21, v25, s1
	v_perm_b32 v20, v29, v33, s1
	v_add_u32_e32 v18, 0x80, v18
	v_cmp_gt_i32_e32 vcc, s46, v32
	v_mov_b32_e32 v33, 0
	v_mov_b32_e32 v37, 0
	ds_write2st64_b32 v18, v19, v20 offset0:35 offset1:67
	s_and_saveexec_b64 s[0:1], vcc
	s_cbranch_execz .LBB266_62
; %bb.61:
	v_add_u32_e32 v18, s43, v32
	v_ashrrev_i32_e32 v19, 31, v18
	v_mul_lo_u32 v20, v19, s30
	v_mul_lo_u32 v21, v18, s31
	v_mad_u64_u32 v[18:19], s[2:3], v18, s30, 0
	v_add3_u32 v19, v19, v21, v20
	v_lshl_add_u64 v[18:19], v[18:19], 2, s[10:11]
	global_load_dword v18, v[18:19], off
	s_waitcnt vmcnt(0)
	v_sub_f32_e32 v18, s14, v18
	v_exp_f32_e32 v37, v18
.LBB266_62:
	s_or_b64 exec, exec, s[0:1]
	v_or_b32_e32 v26, 1, v32
	v_cmp_gt_i32_e64 s[0:1], s46, v26
	s_and_saveexec_b64 s[2:3], s[0:1]
	s_cbranch_execz .LBB266_64
; %bb.63:
	v_add_u32_e32 v18, s43, v26
	v_ashrrev_i32_e32 v19, 31, v18
	v_mul_lo_u32 v20, v19, s30
	v_mul_lo_u32 v21, v18, s31
	v_mad_u64_u32 v[18:19], s[4:5], v18, s30, 0
	v_add3_u32 v19, v19, v21, v20
	v_lshl_add_u64 v[18:19], v[18:19], 2, s[10:11]
	global_load_dword v18, v[18:19], off
	s_waitcnt vmcnt(0)
	v_sub_f32_e32 v18, s14, v18
	v_exp_f32_e32 v33, v18
.LBB266_64:
	s_or_b64 exec, exec, s[2:3]
	v_or_b32_e32 v27, 2, v32
	v_cmp_gt_i32_e64 s[2:3], s46, v27
	v_mov_b32_e32 v36, 0
	v_mov_b32_e32 v42, 0
	s_and_saveexec_b64 s[4:5], s[2:3]
	s_cbranch_execz .LBB266_66
; %bb.65:
	v_add_u32_e32 v18, s43, v27
	v_ashrrev_i32_e32 v19, 31, v18
	v_mul_lo_u32 v20, v19, s30
	v_mul_lo_u32 v21, v18, s31
	v_mad_u64_u32 v[18:19], s[6:7], v18, s30, 0
	v_add3_u32 v19, v19, v21, v20
	v_lshl_add_u64 v[18:19], v[18:19], 2, s[10:11]
	global_load_dword v18, v[18:19], off
	s_waitcnt vmcnt(0)
	v_sub_f32_e32 v18, s14, v18
	v_exp_f32_e32 v42, v18
.LBB266_66:
	s_or_b64 exec, exec, s[4:5]
	v_or_b32_e32 v43, 3, v32
	v_cmp_gt_i32_e64 s[4:5], s46, v43
	s_and_saveexec_b64 s[6:7], s[4:5]
	s_cbranch_execz .LBB266_68
; %bb.67:
	v_add_u32_e32 v18, s43, v43
	v_ashrrev_i32_e32 v19, 31, v18
	v_mul_lo_u32 v20, v19, s30
	v_mul_lo_u32 v21, v18, s31
	v_mad_u64_u32 v[18:19], s[20:21], v18, s30, 0
	v_add3_u32 v19, v19, v21, v20
	v_lshl_add_u64 v[18:19], v[18:19], 2, s[10:11]
	global_load_dword v18, v[18:19], off
	s_waitcnt vmcnt(0)
	v_sub_f32_e32 v18, s14, v18
	v_exp_f32_e32 v36, v18
.LBB266_68:
	s_or_b64 exec, exec, s[6:7]
	s_add_u32 s6, s8, s24
	v_accvgpr_read_b32 v21, a7
	s_addc_u32 s7, s9, s25
	v_ashrrev_i32_e32 v61, 31, v60
	v_accvgpr_read_b32 v20, a6
	v_accvgpr_read_b32 v19, a5
	;; [unrolled: 1-line block ×3, first 2 shown]
	v_lshl_add_u64 v[22:23], v[60:61], 1, s[6:7]
	v_mov_b32_e32 v29, 0
	v_lshlrev_b32_e32 v24, 8, v32
	v_mov_b32_e32 v25, 0
	s_and_saveexec_b64 s[6:7], vcc
	s_cbranch_execz .LBB266_70
; %bb.69:
	v_mov_b32_e32 v25, 0
	v_lshl_add_u64 v[30:31], v[22:23], 0, v[24:25]
	global_load_ushort v25, v[30:31], off
	s_waitcnt vmcnt(0)
	v_lshlrev_b32_e32 v25, 16, v25
	v_sub_f32_e32 v18, v25, v18
	v_mul_f32_e32 v18, v37, v18
	v_lshrrev_b32_e32 v25, 16, v18
.LBB266_70:
	s_or_b64 exec, exec, s[6:7]
	v_lshlrev_b32_e32 v28, 8, v26
	s_and_saveexec_b64 s[6:7], s[0:1]
	s_cbranch_execz .LBB266_72
; %bb.71:
	v_mov_b32_e32 v29, 0
	v_lshl_add_u64 v[30:31], v[22:23], 0, v[28:29]
	global_load_ushort v18, v[30:31], off
	s_waitcnt vmcnt(0)
	v_lshlrev_b32_e32 v18, 16, v18
	v_sub_f32_e32 v18, v18, v19
	v_mul_f32_e32 v18, v33, v18
	v_lshrrev_b32_e32 v29, 16, v18
.LBB266_72:
	s_or_b64 exec, exec, s[6:7]
	v_mov_b32_e32 v44, 0
	v_lshlrev_b32_e32 v30, 8, v27
	v_mov_b32_e32 v31, 0
	s_and_saveexec_b64 s[6:7], s[2:3]
	s_cbranch_execz .LBB266_74
; %bb.73:
	v_mov_b32_e32 v31, 0
	v_lshl_add_u64 v[18:19], v[22:23], 0, v[30:31]
	global_load_ushort v18, v[18:19], off
	s_waitcnt vmcnt(0)
	v_lshlrev_b32_e32 v18, 16, v18
	v_sub_f32_e32 v18, v18, v20
	v_mul_f32_e32 v18, v42, v18
	v_lshrrev_b32_e32 v31, 16, v18
.LBB266_74:
	s_or_b64 exec, exec, s[6:7]
	v_lshlrev_b32_e32 v26, 8, v43
	s_and_saveexec_b64 s[6:7], s[4:5]
	s_cbranch_execz .LBB266_76
; %bb.75:
	v_mov_b32_e32 v27, 0
	v_lshl_add_u64 v[18:19], v[22:23], 0, v[26:27]
	global_load_ushort v18, v[18:19], off
	s_waitcnt vmcnt(0)
	v_lshlrev_b32_e32 v18, 16, v18
	v_sub_f32_e32 v18, v18, v21
	v_mul_f32_e32 v18, v36, v18
	v_lshrrev_b32_e32 v44, 16, v18
.LBB266_76:
	s_or_b64 exec, exec, s[6:7]
	v_lshlrev_b32_e32 v43, 5, v32
	s_mov_b32 s6, 0x5040100
	v_perm_b32 v45, v44, v31, s6
	v_perm_b32 v44, v29, v25, s6
	v_or_b32_e32 v25, v43, v38
	v_accvgpr_read_b32 v21, a3
	v_lshlrev_b32_e32 v25, 1, v25
	v_accvgpr_read_b32 v20, a2
	v_accvgpr_read_b32 v19, a1
	;; [unrolled: 1-line block ×3, first 2 shown]
	ds_write_b64 v25, v[44:45] offset:45056
	v_mov_b32_e32 v29, 0
	v_mov_b32_e32 v25, 0
	s_and_saveexec_b64 s[6:7], vcc
	s_cbranch_execz .LBB266_78
; %bb.77:
	v_mov_b32_e32 v25, 0
	v_lshl_add_u64 v[24:25], v[22:23], 0, v[24:25]
	global_load_ushort v24, v[24:25], off offset:32
	s_waitcnt vmcnt(0)
	v_lshlrev_b32_e32 v24, 16, v24
	v_sub_f32_e32 v18, v24, v18
	v_mul_f32_e32 v18, v37, v18
	v_lshrrev_b32_e32 v25, 16, v18
.LBB266_78:
	s_or_b64 exec, exec, s[6:7]
	s_and_saveexec_b64 s[6:7], s[0:1]
	s_cbranch_execz .LBB266_80
; %bb.79:
	v_mov_b32_e32 v29, 0
	v_lshl_add_u64 v[28:29], v[22:23], 0, v[28:29]
	global_load_ushort v18, v[28:29], off offset:32
	s_waitcnt vmcnt(0)
	v_lshlrev_b32_e32 v18, 16, v18
	v_sub_f32_e32 v18, v18, v19
	v_mul_f32_e32 v18, v33, v18
	v_lshrrev_b32_e32 v29, 16, v18
.LBB266_80:
	s_or_b64 exec, exec, s[6:7]
	v_mov_b32_e32 v24, 0
	v_mov_b32_e32 v28, 0
	s_and_saveexec_b64 s[0:1], s[2:3]
	s_cbranch_execz .LBB266_82
; %bb.81:
	v_mov_b32_e32 v31, 0
	v_lshl_add_u64 v[18:19], v[22:23], 0, v[30:31]
	global_load_ushort v18, v[18:19], off offset:32
	s_waitcnt vmcnt(0)
	v_lshlrev_b32_e32 v18, 16, v18
	v_sub_f32_e32 v18, v18, v20
	v_mul_f32_e32 v18, v42, v18
	v_lshrrev_b32_e32 v28, 16, v18
.LBB266_82:
	s_or_b64 exec, exec, s[0:1]
	v_or_b32_e32 v19, 0xb000, v40
	v_or_b32_e32 v18, 0xb000, v41
	s_and_saveexec_b64 s[0:1], s[4:5]
	s_cbranch_execz .LBB266_84
; %bb.83:
	v_mov_b32_e32 v27, 0
	v_lshl_add_u64 v[22:23], v[22:23], 0, v[26:27]
	global_load_ushort v20, v[22:23], off offset:32
	s_waitcnt vmcnt(0)
	v_lshlrev_b32_e32 v20, 16, v20
	v_sub_f32_e32 v20, v20, v21
	v_mul_f32_e32 v20, v36, v20
	v_lshrrev_b32_e32 v24, 16, v20
.LBB266_84:
	s_or_b64 exec, exec, s[0:1]
	s_mov_b32 s0, 0x5040100
	v_or_b32_e32 v22, v43, v35
	v_perm_b32 v21, v24, v28, s0
	v_perm_b32 v20, v29, v25, s0
	v_lshlrev_b32_e32 v22, 1, v22
	s_movk_i32 s2, 0x100
	ds_write_b64 v22, v[20:21] offset:45056
	v_and_b32_e32 v20, 7, v0
	v_and_b32_e32 v21, 8, v0
	v_cmp_gt_u32_e32 vcc, s2, v0
	v_lshrrev_b32_e32 v0, 1, v0
	v_lshlrev_b32_e32 v26, 3, v20
	v_lshlrev_b32_e32 v47, 7, v20
	v_mov_b32_e32 v20, 0x4000
	v_mov_b32_e32 v22, 0x2000
	v_lshlrev_b32_e32 v24, 3, v1
	v_and_b32_e32 v0, 24, v0
	v_cndmask_b32_e32 v27, v20, v22, vcc
	v_xor_b32_e32 v20, v24, v0
	v_or_b32_e32 v22, 0x440, v20
	v_cmp_eq_u32_e32 vcc, 0, v21
	v_or_b32_e32 v28, 32, v0
	v_xor_b32_e32 v28, v24, v28
	v_cndmask_b32_e32 v20, v22, v20, vcc
	v_or_b32_e32 v20, v20, v39
	v_xor_b32_e32 v48, v20, v26
	v_or_b32_e32 v29, 0x440, v28
	v_add3_u32 v25, v27, v48, v47
	v_cndmask_b32_e32 v28, v29, v28, vcc
	v_or_b32_e32 v29, 64, v0
	v_or_b32_e32 v0, 0x60, v0
	s_waitcnt lgkmcnt(0)
	s_barrier
	v_xor_b32_e32 v29, v24, v29
	v_xor_b32_e32 v0, v24, v0
	ds_read_b64 v[24:25], v25
	v_xor_b32_e32 v30, 0x440, v29
	v_cndmask_b32_e32 v29, v30, v29, vcc
	v_xor_b32_e32 v30, 0x440, v0
	ds_read2_b64 v[20:23], v19 offset1:16
	v_cndmask_b32_e32 v0, v30, v0, vcc
	v_or_b32_e32 v28, v28, v39
	v_or_b32_e32 v29, v29, v39
	;; [unrolled: 1-line block ×3, first 2 shown]
	v_xor_b32_e32 v49, v28, v26
	v_xor_b32_e32 v50, v29, v26
	;; [unrolled: 1-line block ×3, first 2 shown]
	s_add_i32 s0, s12, s49
	v_add3_u32 v28, v27, v49, v47
	v_add3_u32 v29, v27, v50, v47
	;; [unrolled: 1-line block ×3, first 2 shown]
	s_mul_hi_i32 s1, s0, s13
	s_mul_i32 s0, s0, s13
	ds_read_b64 v[26:27], v28
	ds_read_b64 v[40:41], v29
	;; [unrolled: 1-line block ×3, first 2 shown]
	ds_read2st64_b64 v[28:31], v19 offset0:2 offset1:4
	ds_read2st64_b64 v[36:39], v18 offset0:2 offset1:4
	s_add_u32 s0, s0, s33
	s_waitcnt lgkmcnt(5)
	v_mfma_f32_16x16x16_bf16 a[0:3], v[24:25], v[20:21], 0
	s_addc_u32 s1, s1, s48
	s_lshl_b64 s[0:1], s[0:1], 9
	s_add_u32 s0, s16, s0
	v_mfma_f32_16x16x16_bf16 a[4:7], v[24:25], v[22:23], 0
	s_addc_u32 s1, s17, s1
	v_lshlrev_b32_e32 v24, 2, v32
	v_lshlrev_b32_e32 v1, 6, v1
	s_waitcnt lgkmcnt(1)
	v_mfma_f32_16x16x16_bf16 a[0:3], v[26:27], v[28:29], a[0:3]
	v_add_u32_e32 v48, v48, v47
	v_exp_f32_e32 v46, s14
	v_add_u32_e32 v0, v0, v47
	s_waitcnt lgkmcnt(0)
	v_mfma_f32_16x16x16_bf16 a[4:7], v[26:27], v[36:37], a[4:7]
	global_load_dwordx4 v[24:27], v24, s[0:1]
	s_waitcnt vmcnt(0)
	v_exp_f32_e32 v26, v26
	v_mfma_f32_16x16x16_bf16 a[0:3], v[40:41], v[30:31], a[0:3]
	v_exp_f32_e32 v27, v27
	v_mfma_f32_16x16x16_bf16 a[4:7], v[40:41], v[38:39], a[4:7]
	ds_read_b64 v[40:41], v19 offset:3072
	ds_read_b64 v[44:45], v18 offset:3072
	v_lshlrev_b32_e32 v18, 2, v34
	v_or3_b32 v1, v1, v18, s2
	global_load_dwordx4 v[32:35], v1, s[0:1]
	v_exp_f32_e32 v18, v24
	v_exp_f32_e32 v19, v25
	ds_read_b64 v[24:25], v48 offset:16384
	s_waitcnt lgkmcnt(2)
	v_mfma_f32_16x16x16_bf16 a[0:3], v[42:43], v[40:41], a[0:3]
	v_add_u32_e32 v48, v50, v47
	v_pk_mul_f32 v[52:53], v[46:47], v[18:19] op_sel_hi:[0,1]
	s_waitcnt lgkmcnt(1)
	v_mfma_f32_16x16x16_bf16 a[4:7], v[42:43], v[44:45], a[4:7]
	v_add_u32_e32 v42, v49, v47
	ds_read_b64 v[42:43], v42 offset:16384
	ds_read_b64 v[48:49], v48 offset:16384
	;; [unrolled: 1-line block ×3, first 2 shown]
	v_accvgpr_read_b32 v19, a1
	s_waitcnt lgkmcnt(3)
	v_mfma_f32_16x16x16_bf16 a[8:11], v[24:25], v[20:21], 0
	v_accvgpr_read_b32 v1, a3
	v_accvgpr_read_b32 v0, a2
	;; [unrolled: 1-line block ×3, first 2 shown]
	v_mfma_f32_16x16x16_bf16 a[0:3], v[24:25], v[22:23], 0
	v_pk_fma_f32 v[18:19], v[2:3], v[52:53], v[18:19]
	v_pk_mul_f32 v[2:3], v[46:47], v[26:27] op_sel_hi:[0,1]
	v_pk_fma_f32 v[20:21], v[4:5], v[2:3], v[0:1]
	s_waitcnt lgkmcnt(2)
	v_mfma_f32_16x16x16_bf16 a[8:11], v[42:43], v[28:29], a[8:11]
	v_accvgpr_read_b32 v0, a4
	v_fma_f32 v26, v10, v52, v0
	v_accvgpr_read_b32 v0, a5
	v_mfma_f32_16x16x16_bf16 a[0:3], v[42:43], v[36:37], a[0:3]
	v_fma_f32 v27, v11, v53, v0
	v_accvgpr_read_b32 v0, a6
	v_fma_f32 v28, v12, v2, v0
	s_waitcnt lgkmcnt(1)
	v_mfma_f32_16x16x16_bf16 a[8:11], v[48:49], v[30:31], a[8:11]
	v_accvgpr_read_b32 v29, a7
	v_fmac_f32_e32 v29, v13, v3
	s_waitcnt vmcnt(0)
	v_mov_b32_e32 v0, v33
	v_mfma_f32_16x16x16_bf16 a[0:3], v[48:49], v[38:39], a[0:3]
	v_mov_b32_e32 v1, v34
	v_mov_b32_e32 v2, v35
	v_exp_f32_e32 v5, v0
	v_exp_f32_e32 v0, v1
	s_waitcnt lgkmcnt(0)
	v_mfma_f32_16x16x16_bf16 a[4:7], v[50:51], v[40:41], a[8:11]
	v_exp_f32_e32 v1, v2
	v_exp_f32_e32 v4, v32
	v_pk_mul_f32 v[0:1], v[46:47], v[0:1] op_sel_hi:[0,1]
	v_mfma_f32_16x16x16_bf16 a[0:3], v[50:51], v[44:45], a[0:3]
	v_pk_mul_f32 v[4:5], v[46:47], v[4:5] op_sel_hi:[0,1]
	s_nop 1
	v_accvgpr_read_b32 v3, a7
	v_accvgpr_read_b32 v2, a6
	v_pk_fma_f32 v[24:25], v[8:9], v[0:1], v[2:3]
	v_accvgpr_read_b32 v11, a5
	v_accvgpr_read_b32 v10, a4
	v_pk_fma_f32 v[22:23], v[6:7], v[4:5], v[10:11]
	v_accvgpr_read_b32 v2, a0
	v_fma_f32 v30, v14, v4, v2
	v_accvgpr_read_b32 v2, a1
	v_fma_f32 v31, v15, v5, v2
	v_accvgpr_read_b32 v2, a2
	v_accvgpr_read_b32 v33, a3
	v_fma_f32 v32, v16, v0, v2
	v_fmac_f32_e32 v33, v17, v1
	v_mov_b64_e32 v[2:3], v[18:19]
	v_mov_b64_e32 v[4:5], v[20:21]
	v_mov_b64_e32 v[6:7], v[22:23]
	v_mov_b64_e32 v[8:9], v[24:25]
	v_mov_b64_e32 v[10:11], v[26:27]
	v_mov_b64_e32 v[12:13], v[28:29]
	v_mov_b64_e32 v[14:15], v[30:31]
	v_mov_b64_e32 v[16:17], v[32:33]
.LBB266_85:
	s_add_u32 s0, s18, s28
	s_addc_u32 s1, s19, s29
	v_lshl_add_u64 v[0:1], v[56:57], 1, s[0:1]
	v_mov_b32_e32 v55, 0
	s_mov_b32 s2, 0x7060302
	v_lshl_add_u64 v[0:1], v[0:1], 0, v[54:55]
	v_perm_b32 v5, v5, v4, s2
	v_perm_b32 v4, v3, v2, s2
	;; [unrolled: 1-line block ×4, first 2 shown]
	global_store_dwordx2 v[0:1], v[4:5], off
	global_store_dwordx2 v[0:1], v[2:3], off offset:128
	v_lshl_add_u64 v[0:1], v[58:59], 1, s[0:1]
	v_lshl_add_u64 v[0:1], v[0:1], 0, v[54:55]
	v_perm_b32 v3, v13, v12, s2
	v_perm_b32 v2, v11, v10, s2
	global_store_dwordx2 v[0:1], v[2:3], off
	v_perm_b32 v3, v17, v16, s2
	v_perm_b32 v2, v15, v14, s2
	global_store_dwordx2 v[0:1], v[2:3], off offset:128
	s_endpgm
	.section	.rodata,"a",@progbits
	.p2align	6, 0x0
	.amdhsa_kernel _ZN12_GLOBAL__N_139chunk_gated_delta_rule_fwd_h_hip_kernelILi32ELb1ELb1ELb0ELb0ELb1ELb1ELb1ELb1EEEvPK12hip_bfloat16S3_S3_PKfS5_PKvPS1_S8_PvPKiSB_iiiiilll
		.amdhsa_group_segment_fixed_size 49152
		.amdhsa_private_segment_fixed_size 0
		.amdhsa_kernarg_size 136
		.amdhsa_user_sgpr_count 2
		.amdhsa_user_sgpr_dispatch_ptr 0
		.amdhsa_user_sgpr_queue_ptr 0
		.amdhsa_user_sgpr_kernarg_segment_ptr 1
		.amdhsa_user_sgpr_dispatch_id 0
		.amdhsa_user_sgpr_kernarg_preload_length 0
		.amdhsa_user_sgpr_kernarg_preload_offset 0
		.amdhsa_user_sgpr_private_segment_size 0
		.amdhsa_uses_dynamic_stack 0
		.amdhsa_enable_private_segment 0
		.amdhsa_system_sgpr_workgroup_id_x 1
		.amdhsa_system_sgpr_workgroup_id_y 1
		.amdhsa_system_sgpr_workgroup_id_z 0
		.amdhsa_system_sgpr_workgroup_info 0
		.amdhsa_system_vgpr_workitem_id 0
		.amdhsa_next_free_vgpr 164
		.amdhsa_next_free_sgpr 72
		.amdhsa_accum_offset 144
		.amdhsa_reserve_vcc 1
		.amdhsa_float_round_mode_32 0
		.amdhsa_float_round_mode_16_64 0
		.amdhsa_float_denorm_mode_32 3
		.amdhsa_float_denorm_mode_16_64 3
		.amdhsa_dx10_clamp 1
		.amdhsa_ieee_mode 1
		.amdhsa_fp16_overflow 0
		.amdhsa_tg_split 0
		.amdhsa_exception_fp_ieee_invalid_op 0
		.amdhsa_exception_fp_denorm_src 0
		.amdhsa_exception_fp_ieee_div_zero 0
		.amdhsa_exception_fp_ieee_overflow 0
		.amdhsa_exception_fp_ieee_underflow 0
		.amdhsa_exception_fp_ieee_inexact 0
		.amdhsa_exception_int_div_zero 0
	.end_amdhsa_kernel
	.section	.text._ZN12_GLOBAL__N_139chunk_gated_delta_rule_fwd_h_hip_kernelILi32ELb1ELb1ELb0ELb0ELb1ELb1ELb1ELb1EEEvPK12hip_bfloat16S3_S3_PKfS5_PKvPS1_S8_PvPKiSB_iiiiilll,"axG",@progbits,_ZN12_GLOBAL__N_139chunk_gated_delta_rule_fwd_h_hip_kernelILi32ELb1ELb1ELb0ELb0ELb1ELb1ELb1ELb1EEEvPK12hip_bfloat16S3_S3_PKfS5_PKvPS1_S8_PvPKiSB_iiiiilll,comdat
.Lfunc_end266:
	.size	_ZN12_GLOBAL__N_139chunk_gated_delta_rule_fwd_h_hip_kernelILi32ELb1ELb1ELb0ELb0ELb1ELb1ELb1ELb1EEEvPK12hip_bfloat16S3_S3_PKfS5_PKvPS1_S8_PvPKiSB_iiiiilll, .Lfunc_end266-_ZN12_GLOBAL__N_139chunk_gated_delta_rule_fwd_h_hip_kernelILi32ELb1ELb1ELb0ELb0ELb1ELb1ELb1ELb1EEEvPK12hip_bfloat16S3_S3_PKfS5_PKvPS1_S8_PvPKiSB_iiiiilll
                                        ; -- End function
	.section	.AMDGPU.csdata,"",@progbits
; Kernel info:
; codeLenInByte = 9756
; NumSgprs: 78
; NumVgprs: 144
; NumAgprs: 20
; TotalNumVgprs: 164
; ScratchSize: 0
; MemoryBound: 0
; FloatMode: 240
; IeeeMode: 1
; LDSByteSize: 49152 bytes/workgroup (compile time only)
; SGPRBlocks: 9
; VGPRBlocks: 20
; NumSGPRsForWavesPerEU: 78
; NumVGPRsForWavesPerEU: 164
; AccumOffset: 144
; Occupancy: 1
; WaveLimiterHint : 1
; COMPUTE_PGM_RSRC2:SCRATCH_EN: 0
; COMPUTE_PGM_RSRC2:USER_SGPR: 2
; COMPUTE_PGM_RSRC2:TRAP_HANDLER: 0
; COMPUTE_PGM_RSRC2:TGID_X_EN: 1
; COMPUTE_PGM_RSRC2:TGID_Y_EN: 1
; COMPUTE_PGM_RSRC2:TGID_Z_EN: 0
; COMPUTE_PGM_RSRC2:TIDIG_COMP_CNT: 0
; COMPUTE_PGM_RSRC3_GFX90A:ACCUM_OFFSET: 35
; COMPUTE_PGM_RSRC3_GFX90A:TG_SPLIT: 0
	.section	.text._ZN12_GLOBAL__N_139chunk_gated_delta_rule_fwd_h_hip_kernelILi32ELb1ELb0ELb1ELb0ELb1ELb1ELb1ELb1EEEvPK12hip_bfloat16S3_S3_PKfS5_PKvPS1_S8_PvPKiSB_iiiiilll,"axG",@progbits,_ZN12_GLOBAL__N_139chunk_gated_delta_rule_fwd_h_hip_kernelILi32ELb1ELb0ELb1ELb0ELb1ELb1ELb1ELb1EEEvPK12hip_bfloat16S3_S3_PKfS5_PKvPS1_S8_PvPKiSB_iiiiilll,comdat
	.globl	_ZN12_GLOBAL__N_139chunk_gated_delta_rule_fwd_h_hip_kernelILi32ELb1ELb0ELb1ELb0ELb1ELb1ELb1ELb1EEEvPK12hip_bfloat16S3_S3_PKfS5_PKvPS1_S8_PvPKiSB_iiiiilll ; -- Begin function _ZN12_GLOBAL__N_139chunk_gated_delta_rule_fwd_h_hip_kernelILi32ELb1ELb0ELb1ELb0ELb1ELb1ELb1ELb1EEEvPK12hip_bfloat16S3_S3_PKfS5_PKvPS1_S8_PvPKiSB_iiiiilll
	.p2align	8
	.type	_ZN12_GLOBAL__N_139chunk_gated_delta_rule_fwd_h_hip_kernelILi32ELb1ELb0ELb1ELb0ELb1ELb1ELb1ELb1EEEvPK12hip_bfloat16S3_S3_PKfS5_PKvPS1_S8_PvPKiSB_iiiiilll,@function
_ZN12_GLOBAL__N_139chunk_gated_delta_rule_fwd_h_hip_kernelILi32ELb1ELb0ELb1ELb0ELb1ELb1ELb1ELb1EEEvPK12hip_bfloat16S3_S3_PKfS5_PKvPS1_S8_PvPKiSB_iiiiilll: ; @_ZN12_GLOBAL__N_139chunk_gated_delta_rule_fwd_h_hip_kernelILi32ELb1ELb0ELb1ELb0ELb1ELb1ELb1ELb1EEEvPK12hip_bfloat16S3_S3_PKfS5_PKvPS1_S8_PvPKiSB_iiiiilll
; %bb.0:
	s_load_dwordx4 s[12:15], s[0:1], 0x5c
	s_load_dwordx4 s[20:23], s[0:1], 0x70
	s_abs_i32 s6, s3
	s_ashr_i32 s5, s3, 31
	s_load_dwordx4 s[16:19], s[0:1], 0x28
	s_load_dwordx2 s[28:29], s[0:1], 0x38
	s_waitcnt lgkmcnt(0)
	s_abs_i32 s4, s13
	v_cvt_f32_u32_e32 v1, s4
	s_sub_i32 s8, 0, s4
	s_ashr_i32 s7, s13, 31
	s_xor_b32 s5, s5, s7
	v_rcp_iflag_f32_e32 v1, v1
	v_and_b32_e32 v66, 15, v0
	v_lshrrev_b32_e32 v64, 6, v0
	v_bfe_u32 v65, v0, 4, 2
	v_mul_f32_e32 v1, 0x4f7ffffe, v1
	v_cvt_u32_f32_e32 v1, v1
	v_mov_b32_e32 v7, 0
	v_and_b32_e32 v45, 63, v0
	v_lshlrev_b32_e32 v67, 3, v0
	v_readfirstlane_b32 s9, v1
	s_mul_i32 s8, s8, s9
	s_mul_hi_u32 s8, s9, s8
	s_add_i32 s9, s9, s8
	s_mul_hi_u32 s8, s6, s9
	s_mul_i32 s9, s8, s4
	s_sub_i32 s6, s6, s9
	s_add_i32 s10, s8, 1
	s_sub_i32 s9, s6, s4
	s_cmp_ge_u32 s6, s4
	s_cselect_b32 s8, s10, s8
	s_cselect_b32 s6, s9, s6
	s_add_i32 s9, s8, 1
	s_cmp_ge_u32 s6, s4
	s_cselect_b32 s6, s9, s8
	s_xor_b32 s6, s6, s5
	s_add_i32 s8, s12, 63
	s_sub_i32 s53, s6, s5
	s_ashr_i32 s9, s8, 31
	s_mul_i32 s5, s53, s13
	s_sub_i32 s51, s3, s5
	s_lshr_b32 s3, s9, 26
	s_add_i32 s8, s8, s3
	s_abs_i32 s3, s14
	v_cvt_f32_u32_e32 v1, s3
	s_ashr_i32 s52, s12, 31
	s_lshr_b32 s6, s52, 26
	s_add_i32 s6, s12, s6
	v_rcp_iflag_f32_e32 v1, v1
	s_ashr_i32 s56, s14, 31
	s_ashr_i32 s54, s6, 6
	s_lshl_b32 s38, s2, 5
	v_mul_f32_e32 v1, 0x4f7ffffe, v1
	v_cvt_u32_f32_e32 v1, v1
	s_xor_b32 s2, s7, s56
	s_sub_i32 s6, 0, s3
	s_ashr_i32 s25, s8, 6
	v_readfirstlane_b32 s7, v1
	s_mul_i32 s6, s6, s7
	s_mul_hi_u32 s6, s7, s6
	s_add_i32 s7, s7, s6
	s_mul_hi_u32 s6, s4, s7
	s_mul_i32 s7, s6, s3
	s_sub_i32 s4, s4, s7
	s_add_i32 s7, s6, 1
	s_sub_i32 s8, s4, s3
	s_cmp_ge_u32 s4, s3
	s_cselect_b32 s6, s7, s6
	s_cselect_b32 s4, s8, s4
	s_add_i32 s7, s6, 1
	s_cmp_ge_u32 s4, s3
	s_cselect_b32 s3, s7, s6
	s_xor_b32 s3, s3, s2
	s_sub_i32 s2, s3, s2
	s_abs_i32 s3, s2
	v_cvt_f32_u32_e32 v1, s3
	s_sub_i32 s6, 0, s3
	s_abs_i32 s4, s51
	s_xor_b32 s2, s51, s2
	v_rcp_iflag_f32_e32 v1, v1
	s_ashr_i32 s2, s2, 31
	v_or_b32_e32 v46, s38, v66
	v_lshlrev_b32_e32 v2, 7, v46
	v_mul_f32_e32 v1, 0x4f7ffffe, v1
	v_cvt_u32_f32_e32 v1, v1
	v_ashrrev_i32_e32 v3, 31, v2
	v_lshrrev_b32_e32 v68, 3, v45
	s_mul_i32 s33, s53, s21
	v_readfirstlane_b32 s7, v1
	s_mul_i32 s6, s6, s7
	s_mul_hi_u32 s6, s7, s6
	s_add_i32 s7, s7, s6
	s_mul_hi_u32 s6, s4, s7
	s_mul_i32 s7, s6, s3
	s_sub_i32 s4, s4, s7
	s_add_i32 s7, s6, 1
	s_sub_i32 s8, s4, s3
	s_cmp_ge_u32 s4, s3
	s_cselect_b32 s6, s7, s6
	s_cselect_b32 s4, s8, s4
	s_add_i32 s7, s6, 1
	s_cmp_ge_u32 s4, s3
	s_cselect_b32 s3, s7, s6
	s_xor_b32 s3, s3, s2
	s_sub_i32 s57, s3, s2
	s_ashr_i32 s24, s53, 31
	s_ashr_i32 s55, s51, 31
	s_mul_hi_i32 s2, s53, s13
	s_add_u32 s40, s5, s51
	s_addc_u32 s41, s2, s55
	s_lshl_b64 s[2:3], s[40:41], 15
	s_add_u32 s2, s16, s2
	s_addc_u32 s3, s17, s3
	v_lshlrev_b32_e32 v1, 4, v64
	v_lshl_add_u64 v[4:5], v[2:3], 1, s[2:3]
	v_or_b32_e32 v2, 0x800, v2
	v_lshl_or_b32 v69, v65, 2, v1
	v_ashrrev_i32_e32 v3, 31, v2
	v_lshlrev_b32_e32 v6, 1, v69
	v_lshl_add_u64 v[2:3], v[2:3], 1, s[2:3]
	v_lshl_add_u64 v[4:5], v[4:5], 0, v[6:7]
	;; [unrolled: 1-line block ×3, first 2 shown]
	global_load_dwordx2 v[8:9], v[4:5], off
	v_or_b32_e32 v70, 64, v69
	global_load_dwordx2 v[4:5], v[4:5], off offset:128
	s_nop 0
	global_load_dwordx2 v[6:7], v[2:3], off
	global_load_dwordx2 v[10:11], v[2:3], off offset:128
	s_load_dwordx8 s[4:11], s[0:1], 0x0
	s_load_dwordx2 s[30:31], s[0:1], 0x80
	s_mul_hi_u32 s46, s53, s20
	s_mul_i32 s34, s53, s20
	s_mul_i32 s58, s53, s25
	;; [unrolled: 1-line block ×3, first 2 shown]
	s_mul_hi_u32 s48, s51, s22
	s_mul_i32 s50, s24, s20
	s_mul_i32 s49, s55, s22
	s_mul_hi_u32 s59, s40, s12
	s_mul_i32 s16, s40, s12
	s_mul_i32 s41, s41, s12
	s_cmp_lt_i32 s12, 64
	s_mul_i32 s36, s51, s22
	s_waitcnt vmcnt(3)
	v_and_b32_e32 v51, 0xffff0000, v8
	v_lshlrev_b32_e32 v50, 16, v8
	v_and_b32_e32 v55, 0xffff0000, v9
	v_lshlrev_b32_e32 v54, 16, v9
	s_waitcnt vmcnt(2)
	v_and_b32_e32 v49, 0xffff0000, v4
	v_lshlrev_b32_e32 v48, 16, v4
	v_and_b32_e32 v53, 0xffff0000, v5
	v_lshlrev_b32_e32 v52, 16, v5
	;; [unrolled: 5-line block ×4, first 2 shown]
	s_cbranch_scc1 .LBB267_3
; %bb.1:
	s_add_i32 s17, s59, s41
	s_lshl_b64 s[2:3], s[16:17], 8
	v_and_b32_e32 v78, 56, v67
	s_waitcnt lgkmcnt(0)
	s_add_u32 s20, s6, s2
	v_lshl_or_b32 v77, v64, 3, v68
	v_lshlrev_b32_e32 v2, 1, v78
	s_addc_u32 s2, s7, s3
	v_lshl_or_b32 v79, v77, 8, v2
	s_and_b32 s21, s2, 0xffff
	s_mov_b32 s23, 0x20000
	s_movk_i32 s22, 0x4000
	s_movk_i32 s2, 0x80
	v_or_b32_e32 v81, 0x2000, v79
	buffer_load_dwordx4 v[4:7], v79, s[20:23], 0 offen
	buffer_load_dwordx4 v[8:11], v79, s[20:23], s2 offen
	;; [unrolled: 1-line block ×4, first 2 shown]
	v_lshlrev_b32_e32 v3, 3, v77
	v_and_or_b32 v21, v0, 7, v3
	v_and_b32_e32 v3, 0x78, v3
	v_lshlrev_b32_e32 v21, 4, v21
	v_xor_b32_e32 v83, v21, v3
	v_mul_lo_u32 v20, v77, s15
	v_or_b32_e32 v84, 0x1000, v83
	v_xor_b32_e32 v3, 8, v83
	s_cmpk_eq_i32 s15, 0x80
	s_mov_b32 s60, s14
	v_xor_b32_e32 v21, 8, v84
	s_cselect_b64 s[2:3], -1, 0
	s_cmpk_lg_i32 s15, 0x80
	s_waitcnt vmcnt(3)
	ds_write_b64 v83, v[4:5] offset:24576
	ds_write_b64 v3, v[6:7] offset:24576
	s_waitcnt vmcnt(2)
	ds_write_b64 v83, v[8:9] offset:32768
	ds_write_b64 v3, v[10:11] offset:32768
	;; [unrolled: 3-line block ×4, first 2 shown]
	v_lshl_add_u32 v3, v20, 1, v78
	s_cbranch_scc0 .LBB267_29
; %bb.2:
	v_lshlrev_b32_e32 v5, 1, v3
	v_add_lshl_u32 v4, v3, s15, 1
	s_lshl_b32 s22, s15, 7
	s_load_dwordx2 s[42:43], s[0:1], 0x20
	v_lshl_or_b32 v2, v77, 9, v2
	s_cbranch_execz .LBB267_30
	s_branch .LBB267_31
.LBB267_3:
	v_mov_b32_e32 v5, v80
	v_mov_b32_e32 v9, v82
.LBB267_4:
	s_lshl_b32 s26, s54, 6
	s_sub_i32 s27, s12, s26
	s_cmp_gt_i32 s27, 0
	s_cbranch_scc0 .LBB267_84
; %bb.5:
	s_ashr_i32 s2, s26, 31
	s_cmpk_lg_i32 s15, 0x80
	s_cselect_b64 s[22:23], -1, 0
	s_and_b64 vcc, exec, s[22:23]
	s_cbranch_vccz .LBB267_7
; %bb.6:
	s_mul_i32 s1, s53, s12
	s_mul_hi_i32 s0, s53, s12
	s_add_u32 s1, s1, s26
	s_addc_u32 s0, s0, s2
	s_mul_i32 s3, s1, s56
	s_mul_hi_u32 s17, s1, s14
	s_add_i32 s3, s17, s3
	s_mul_i32 s0, s0, s14
	s_add_i32 s3, s3, s0
	s_mul_i32 s1, s1, s14
	s_ashr_i32 s0, s57, 31
	s_add_u32 s24, s1, s57
	s_addc_u32 s25, s3, s0
	s_cbranch_execz .LBB267_8
	s_branch .LBB267_9
.LBB267_7:
                                        ; implicit-def: $sgpr24_sgpr25
.LBB267_8:
	s_mul_hi_i32 s0, s53, s14
	s_mul_i32 s53, s53, s14
	s_ashr_i32 s1, s57, 31
	s_add_u32 s3, s53, s57
	s_addc_u32 s0, s0, s1
	s_mul_i32 s1, s3, s52
	s_mul_hi_u32 s14, s3, s12
	s_add_i32 s1, s14, s1
	s_mul_i32 s0, s0, s12
	s_add_i32 s1, s1, s0
	s_mul_i32 s3, s3, s12
	s_add_u32 s24, s3, s26
	s_addc_u32 s25, s1, s2
.LBB267_9:
	s_mul_i32 s0, s40, s52
	s_add_i32 s0, s59, s0
	s_add_i32 s3, s58, s54
	s_add_i32 s1, s0, s41
	s_add_u32 s0, s16, s26
	v_lshlrev_b32_e32 v8, 5, v69
	v_lshlrev_b32_e32 v22, 2, v66
	s_addc_u32 s1, s1, s2
	s_mov_b32 s2, 0x7060302
	v_or_b32_e32 v11, v8, v22
	v_xor_b32_e32 v4, v69, v22
	v_perm_b32 v3, v55, v54, s2
	v_perm_b32 v2, v51, v50, s2
	;; [unrolled: 1-line block ×4, first 2 shown]
	v_lshlrev_b32_e32 v11, 1, v11
	s_lshl_b64 s[20:21], s[0:1], 8
	v_xor_b32_e32 v10, v70, v22
	ds_write2st64_b64 v11, v[2:3], v[6:7] offset0:80 offset1:88
	v_lshlrev_b32_e32 v11, 1, v4
	v_lshlrev_b32_e32 v4, 8, v66
	s_waitcnt lgkmcnt(0)
	s_add_u32 s0, s6, s20
	v_or_b32_e32 v12, v11, v4
	v_lshlrev_b32_e32 v10, 1, v10
	s_addc_u32 s1, s7, s21
	ds_write_b64 v12, v[2:3]
	v_or_b32_e32 v2, v10, v4
	s_mul_hi_i32 s6, s3, s13
	s_mul_i32 s3, s3, s13
	ds_write_b64 v2, v[6:7]
	v_perm_b32 v3, v9, v75, s2
	v_perm_b32 v2, v71, v73, s2
	;; [unrolled: 1-line block ×4, first 2 shown]
	v_or_b32_e32 v6, 16, v66
	s_add_u32 s2, s3, s51
	v_lshlrev_b32_e32 v19, 2, v6
	s_addc_u32 s3, s6, s55
	v_or_b32_e32 v7, v8, v19
	s_ashr_i32 s39, s38, 31
	s_lshl_b64 s[2:3], s[2:3], 15
	v_lshlrev_b32_e32 v7, 1, v7
	v_lshlrev_b32_e32 v6, 8, v6
	s_add_u32 s6, s18, s2
	ds_write2st64_b64 v7, v[2:3], v[4:5] offset0:80 offset1:88
	v_or_b32_e32 v7, v11, v6
	s_addc_u32 s7, s19, s3
	s_lshl_b64 s[2:3], s[38:39], 8
	ds_write_b64 v7, v[2:3]
	v_or_b32_e32 v2, v10, v6
	s_add_u32 s2, s6, s2
	ds_write_b64 v2, v[4:5]
	v_lshrrev_b32_e32 v2, 4, v0
	s_addc_u32 s3, s7, s3
	v_lshlrev_b32_e32 v3, 1, v66
	v_lshlrev_b32_e32 v10, 4, v66
	v_mov_b32_e32 v11, 0
	v_or_b32_e32 v4, 1, v3
	v_xor_b32_e32 v3, v2, v3
	v_lshl_add_u64 v[12:13], s[2:3], 0, v[10:11]
	v_lshlrev_b32_e32 v10, 8, v2
	v_xor_b32_e32 v6, v4, v2
	v_lshl_or_b32 v2, v3, 3, v10
	s_waitcnt lgkmcnt(0)
	s_barrier
	ds_read2st64_b64 v[2:5], v2 offset1:8
	v_lshl_or_b32 v6, v6, 3, v10
	ds_read2st64_b64 v[6:9], v6 offset1:8
	v_lshl_add_u64 v[14:15], v[12:13], 0, v[10:11]
	s_movk_i32 s2, 0x1000
	s_waitcnt lgkmcnt(1)
	v_mov_b32_e32 v10, v2
	v_add_co_u32_e32 v2, vcc, s2, v14
	s_cmp_lg_u32 s27, 64
	v_mov_b32_e32 v11, v3
	v_addc_co_u32_e32 v3, vcc, 0, v15, vcc
	s_cselect_b64 s[6:7], -1, 0
	v_lshl_or_b32 v23, v64, 3, v68
	s_waitcnt lgkmcnt(0)
	v_mov_b32_e32 v12, v6
	v_mov_b32_e32 v13, v7
	;; [unrolled: 1-line block ×4, first 2 shown]
	s_mov_b32 s16, 0
	v_or_b32_e32 v20, 32, v23
	v_and_b32_e32 v18, 56, v67
	s_and_b64 vcc, exec, s[6:7]
	global_store_dwordx4 v[14:15], v[10:13], off
	global_store_dwordx4 v[2:3], v[6:9], off
	s_cbranch_vccz .LBB267_15
; %bb.10:
	s_mov_b32 s17, s16
	s_mov_b32 s18, s16
	;; [unrolled: 1-line block ×3, first 2 shown]
	v_mov_b64_e32 v[6:7], s[16:17]
	v_mov_b64_e32 v[8:9], s[18:19]
	;; [unrolled: 1-line block ×3, first 2 shown]
	v_cmp_gt_i32_e32 vcc, s27, v23
	v_mov_b64_e32 v[4:5], v[8:9]
	s_and_saveexec_b64 s[2:3], vcc
	s_cbranch_execz .LBB267_12
; %bb.11:
	v_lshlrev_b32_e32 v2, 8, v23
	v_mov_b32_e32 v3, 0
	v_lshl_add_u64 v[4:5], s[0:1], 0, v[2:3]
	v_lshlrev_b32_e32 v2, 1, v18
	v_lshl_add_u64 v[10:11], v[4:5], 0, v[2:3]
	global_load_dwordx4 v[6:9], v[10:11], off
	global_load_dwordx4 v[2:5], v[10:11], off offset:128
.LBB267_12:
	s_or_b64 exec, exec, s[2:3]
	s_mov_b32 s17, s16
	s_mov_b32 s18, s16
	;; [unrolled: 1-line block ×3, first 2 shown]
	v_mov_b64_e32 v[14:15], s[16:17]
	v_mov_b64_e32 v[16:17], s[18:19]
	;; [unrolled: 1-line block ×3, first 2 shown]
	v_cmp_gt_i32_e32 vcc, s27, v20
	v_lshlrev_b32_e32 v21, 7, v20
	v_mov_b64_e32 v[12:13], v[16:17]
	s_and_saveexec_b64 s[2:3], vcc
	s_cbranch_execz .LBB267_14
; %bb.13:
	v_lshlrev_b32_e32 v10, 1, v21
	v_mov_b32_e32 v11, 0
	v_lshl_add_u64 v[12:13], s[0:1], 0, v[10:11]
	v_lshlrev_b32_e32 v10, 1, v18
	v_lshl_add_u64 v[24:25], v[12:13], 0, v[10:11]
	global_load_dwordx4 v[14:17], v[24:25], off
	global_load_dwordx4 v[10:13], v[24:25], off offset:128
.LBB267_14:
	s_or_b64 exec, exec, s[2:3]
	v_lshrrev_b32_e32 v24, 3, v18
	v_lshlrev_b32_e32 v25, 3, v23
	v_or_b32_e32 v24, v25, v24
	v_lshlrev_b32_e32 v24, 4, v24
	v_and_b32_e32 v25, 0x78, v25
	v_xor_b32_e32 v24, v24, v25
	s_branch .LBB267_17
.LBB267_15:
                                        ; implicit-def: $vgpr24
                                        ; implicit-def: $vgpr21
                                        ; implicit-def: $vgpr6_vgpr7_vgpr8_vgpr9
                                        ; implicit-def: $vgpr2_vgpr3_vgpr4_vgpr5
                                        ; implicit-def: $vgpr14_vgpr15_vgpr16_vgpr17
                                        ; implicit-def: $vgpr10_vgpr11_vgpr12_vgpr13
	s_cbranch_execz .LBB267_17
; %bb.16:
	s_waitcnt vmcnt(0)
	v_lshlrev_b32_e32 v2, 1, v18
	v_lshl_or_b32 v21, v23, 8, v2
	s_and_b32 s1, s1, 0xffff
	s_mov_b32 s3, 0x20000
	s_movk_i32 s2, 0x4000
	v_lshl_or_b32 v24, v20, 8, v2
	s_movk_i32 s13, 0x80
	buffer_load_dwordx4 v[6:9], v21, s[0:3], 0 offen
	buffer_load_dwordx4 v[2:5], v21, s[0:3], s13 offen
	;; [unrolled: 1-line block ×4, first 2 shown]
	v_lshrrev_b32_e32 v21, 3, v18
	v_lshlrev_b32_e32 v24, 3, v23
	v_or_b32_e32 v21, v24, v21
	v_lshlrev_b32_e32 v21, 4, v21
	v_and_b32_e32 v24, 0x78, v24
	v_xor_b32_e32 v24, v21, v24
	v_lshlrev_b32_e32 v21, 7, v20
.LBB267_17:
	s_lshl_b64 s[0:1], s[24:25], 8
	s_add_u32 s4, s4, s0
	s_movk_i32 s0, 0x1000
	v_and_or_b32 v20, v21, s0, v24
	s_waitcnt vmcnt(1)
	ds_write_b64 v24, v[6:7] offset:24576
	v_xor_b32_e32 v6, 8, v24
	ds_write_b64 v6, v[8:9] offset:24576
	s_waitcnt vmcnt(0)
	ds_write_b64 v24, v[2:3] offset:32768
	ds_write_b64 v6, v[4:5] offset:32768
	;; [unrolled: 1-line block ×3, first 2 shown]
	v_xor_b32_e32 v2, 8, v20
	ds_write_b64 v2, v[16:17] offset:24576
	ds_write_b64 v20, v[10:11] offset:32768
	;; [unrolled: 1-line block ×3, first 2 shown]
	v_or_b32_e32 v2, v1, v66
	v_lshlrev_b32_e32 v3, 11, v64
	v_lshlrev_b32_e32 v2, 3, v2
	v_and_b32_e32 v6, 0x1000, v3
	v_lshrrev_b32_e32 v3, 5, v45
	s_movk_i32 s3, 0xf8
	v_and_or_b32 v3, v2, s3, v3
	v_lshlrev_b32_e32 v7, 4, v3
	v_and_b32_e32 v8, 0x78, v2
	v_or_b32_e32 v10, 32, v7
	v_lshrrev_b32_e32 v3, 1, v45
	v_xor_b32_e32 v10, v10, v8
	v_xor_b32_e32 v2, v7, v8
	v_and_b32_e32 v9, 8, v3
	v_or_b32_e32 v10, v10, v6
	v_or_b32_e32 v2, v2, v6
	v_xor_b32_e32 v26, v10, v9
	v_or_b32_e32 v10, 64, v7
	v_xor_b32_e32 v25, v2, v9
	v_xor_b32_e32 v10, v10, v8
	s_waitcnt lgkmcnt(0)
	s_barrier
	v_or_b32_e32 v12, v10, v6
	ds_read_b64 v[10:11], v25 offset:24576
	v_lshl_or_b32 v20, v65, 7, v22
	v_lshlrev_b32_e32 v24, 1, v20
	v_add_u32_e32 v2, 0xa000, v24
	ds_read2_b64 v[2:5], v2 offset1:16
	v_or_b32_e32 v7, 0x60, v7
	v_xor_b32_e32 v7, v7, v8
	s_waitcnt lgkmcnt(0)
	v_mfma_f32_16x16x16_bf16 a[0:3], v[10:11], v[2:3], 0
	v_or_b32_e32 v2, 64, v20
	v_or_b32_e32 v6, v7, v6
	v_lshlrev_b32_e32 v29, 1, v2
	v_xor_b32_e32 v27, v12, v9
	v_xor_b32_e32 v28, v6, v9
	ds_read_b64 v[12:13], v26 offset:24576
	ds_read_b64 v[14:15], v27 offset:24576
	;; [unrolled: 1-line block ×3, first 2 shown]
	v_mfma_f32_16x16x16_bf16 a[4:7], v[10:11], v[4:5], 0
	ds_read2st64_b64 v[2:5], v29 offset0:82 offset1:84
	ds_read2st64_b64 v[6:9], v24 offset0:82 offset1:84
	s_addc_u32 s5, s5, s1
	s_add_i32 s1, s46, s33
	s_add_i32 s0, s12, -1
	s_add_i32 s35, s1, s50
	s_add_i32 s1, s48, s47
	;; [unrolled: 1-line block ×3, first 2 shown]
	s_ashr_i32 s1, s0, 31
	s_mul_i32 s2, s0, s31
	s_mul_hi_u32 s3, s0, s30
	s_add_i32 s2, s3, s2
	s_mul_i32 s1, s1, s30
	s_waitcnt lgkmcnt(1)
	v_mfma_f32_16x16x16_bf16 a[4:7], v[12:13], v[2:3], a[4:7]
	s_add_i32 s1, s2, s1
	s_lshl_b64 s[2:3], s[34:35], 2
	s_add_u32 s10, s10, s2
	s_waitcnt lgkmcnt(0)
	v_mfma_f32_16x16x16_bf16 a[0:3], v[12:13], v[6:7], a[0:3]
	s_addc_u32 s11, s11, s3
	s_lshl_b64 s[2:3], s[36:37], 2
	s_mul_i32 s0, s0, s30
	s_add_u32 s10, s10, s2
	ds_read_b64 v[2:3], v24 offset:44032
	v_mfma_f32_16x16x16_bf16 a[4:7], v[14:15], v[4:5], a[4:7]
	ds_read_b64 v[4:5], v29 offset:44032
	s_addc_u32 s11, s11, s3
	s_lshl_b64 s[0:1], s[0:1], 2
	v_mfma_f32_16x16x16_bf16 a[0:3], v[14:15], v[8:9], a[0:3]
	s_add_u32 s0, s10, s0
	s_addc_u32 s1, s11, s1
	s_load_dword s12, s[0:1], 0x0
	s_waitcnt lgkmcnt(0)
	v_mfma_f32_16x16x16_bf16 a[0:3], v[16:17], v[2:3], a[0:3]
	s_and_b64 vcc, exec, s[22:23]
	v_mfma_f32_16x16x16_bf16 a[4:7], v[16:17], v[4:5], a[4:7]
	s_cbranch_vccz .LBB267_28
; %bb.18:
	v_lshlrev_b32_e32 v20, 1, v23
	s_and_b64 vcc, exec, s[6:7]
	s_cbranch_vccz .LBB267_44
; %bb.19:
	v_cmp_gt_i32_e32 vcc, s27, v20
	v_mov_b32_e32 v6, 0
	v_mov_b32_e32 v2, 0
	;; [unrolled: 1-line block ×5, first 2 shown]
	s_and_saveexec_b64 s[0:1], vcc
	s_cbranch_execz .LBB267_21
; %bb.20:
	v_mad_i64_i32 v[2:3], s[2:3], s15, v20, 0
	v_lshl_add_u64 v[2:3], v[2:3], 1, s[4:5]
	v_lshlrev_b32_e32 v4, 1, v18
	v_mov_b32_e32 v5, 0
	v_lshl_add_u64 v[2:3], v[2:3], 0, v[4:5]
	global_load_dwordx4 v[2:5], v[2:3], off
.LBB267_21:
	s_or_b64 exec, exec, s[0:1]
	v_or_b32_e32 v21, 1, v20
	v_cmp_gt_i32_e64 s[0:1], s27, v21
	v_mov_b32_e32 v7, 0
	v_mov_b32_e32 v8, 0
	;; [unrolled: 1-line block ×3, first 2 shown]
	s_and_saveexec_b64 s[2:3], s[0:1]
	s_cbranch_execz .LBB267_23
; %bb.22:
	v_mad_i64_i32 v[6:7], s[16:17], s15, v21, 0
	v_lshl_add_u64 v[6:7], v[6:7], 1, s[4:5]
	v_lshlrev_b32_e32 v8, 1, v18
	v_mov_b32_e32 v9, 0
	v_lshl_add_u64 v[6:7], v[6:7], 0, v[8:9]
	global_load_dwordx4 v[6:9], v[6:7], off
.LBB267_23:
	s_or_b64 exec, exec, s[2:3]
	v_mov_b32_e32 v17, 0
	v_mov_b32_e32 v10, 0
	;; [unrolled: 1-line block ×5, first 2 shown]
	s_and_saveexec_b64 s[2:3], vcc
	s_cbranch_execz .LBB267_25
; %bb.24:
	v_mad_i64_i32 v[10:11], s[16:17], s15, v20, 0
	v_lshl_add_u64 v[10:11], v[10:11], 1, s[4:5]
	v_lshlrev_b32_e32 v12, 1, v18
	v_mov_b32_e32 v13, 0
	v_lshl_add_u64 v[10:11], v[10:11], 0, v[12:13]
	global_load_dwordx4 v[10:13], v[10:11], off offset:128
.LBB267_25:
	s_or_b64 exec, exec, s[2:3]
	v_mov_b32_e32 v16, 0
	v_mov_b32_e32 v15, 0
	;; [unrolled: 1-line block ×3, first 2 shown]
	s_and_saveexec_b64 s[2:3], s[0:1]
	s_cbranch_execz .LBB267_27
; %bb.26:
	v_mad_i64_i32 v[14:15], s[0:1], s15, v21, 0
	v_lshl_add_u64 v[14:15], v[14:15], 1, s[4:5]
	v_lshlrev_b32_e32 v16, 1, v18
	v_mov_b32_e32 v17, 0
	v_lshl_add_u64 v[14:15], v[14:15], 0, v[16:17]
	global_load_dwordx4 v[14:17], v[14:15], off offset:128
.LBB267_27:
	s_or_b64 exec, exec, s[2:3]
	s_branch .LBB267_46
.LBB267_28:
                                        ; implicit-def: $vgpr5
                                        ; implicit-def: $vgpr9
                                        ; implicit-def: $vgpr13
                                        ; implicit-def: $vgpr17
	v_lshrrev_b32_e32 v30, 2, v45
	s_branch .LBB267_47
.LBB267_29:
                                        ; implicit-def: $vgpr4
                                        ; implicit-def: $vgpr5
                                        ; implicit-def: $sgpr22
	s_load_dwordx2 s[42:43], s[0:1], 0x20
	v_lshl_or_b32 v2, v77, 9, v2
.LBB267_30:
	v_or_b32_e32 v4, 0x100, v2
	s_movk_i32 s22, 0x4000
	v_mov_b32_e32 v5, v2
.LBB267_31:
	s_mul_hi_u32 s0, s14, s12
	s_mul_i32 s1, s56, s12
	s_add_i32 s0, s0, s1
	s_mul_i32 s1, s14, s12
	s_mul_i32 s20, s1, s24
	s_mul_hi_u32 s21, s1, s53
	s_add_i32 s20, s21, s20
	s_mul_i32 s0, s0, s53
	s_add_i32 s20, s20, s0
	s_mul_i32 s1, s1, s53
	s_ashr_i32 s61, s57, 31
	s_add_u32 s0, s1, s57
	s_addc_u32 s1, s20, s61
	s_lshl_b64 s[0:1], s[0:1], 8
	s_add_u32 s20, s4, s0
	s_addc_u32 s0, s5, s1
	s_and_b32 s21, s0, 0xffff
	s_movk_i32 s62, 0x80
	buffer_load_dwordx4 v[6:9], v5, s[20:23], 0 offen
	buffer_load_dwordx4 v[10:13], v5, s[20:23], s62 offen
	;; [unrolled: 1-line block ×4, first 2 shown]
	v_and_b32_e32 v4, 6, v0
	v_lshlrev_b32_e32 v23, 6, v69
	v_or_b32_e32 v25, 16, v66
	v_xor_b32_e32 v26, v77, v4
	v_and_b32_e32 v5, 1, v0
	v_lshl_or_b32 v29, v66, 3, v23
	v_lshl_or_b32 v23, v25, 3, v23
	v_lshlrev_b32_e32 v26, 2, v26
	s_mul_i32 s24, s24, s12
	s_mul_hi_u32 s0, s53, s12
	v_lshlrev_b32_e32 v22, 2, v66
	v_or_b32_e32 v87, 0xa000, v23
	v_or_b32_e32 v88, 0xb000, v23
	v_xor_b32_e32 v23, 0x440, v26
	v_cmp_eq_u32_e32 vcc, 0, v5
	v_xor_b32_e32 v27, v69, v22
	v_xor_b32_e32 v28, v70, v22
	v_cndmask_b32_e32 v5, v23, v26, vcc
	s_add_i32 s67, s0, s24
	s_add_i32 s0, s46, s33
	s_mov_b32 s65, 0x1000504
	v_lshlrev_b32_e32 v24, 8, v66
	v_lshlrev_b32_e32 v27, 1, v27
	;; [unrolled: 1-line block ×3, first 2 shown]
	v_lshl_or_b32 v4, v4, 10, v5
	s_add_i32 s35, s0, s50
	s_add_i32 s0, s48, s47
	s_mov_b32 s66, 0x3020706
	v_or_b32_e32 v85, 0xa000, v29
	v_or_b32_e32 v86, 0xb000, v29
	;; [unrolled: 1-line block ×4, first 2 shown]
	v_xor_b32_e32 v5, 8, v4
	v_xor_b32_e32 v24, 24, v4
	;; [unrolled: 1-line block ×4, first 2 shown]
	s_add_i32 s37, s0, s49
	s_lshl_b64 s[0:1], s[34:35], 2
	v_xor_b32_e32 v23, 16, v4
	v_xor_b32_e32 v26, 32, v4
	;; [unrolled: 1-line block ×3, first 2 shown]
	v_add_u32_e32 v5, 0x80, v5
	v_add_u32_e32 v24, 0x80, v24
	;; [unrolled: 1-line block ×4, first 2 shown]
	s_add_u32 s20, s10, s0
	s_addc_u32 s21, s11, s1
	s_lshl_b64 s[0:1], s[36:37], 2
	s_add_u32 s44, s20, s0
	s_movk_i32 s0, 0xf8
	s_addc_u32 s45, s21, s1
	s_ashr_i32 s39, s38, 31
	s_lshl_b32 s26, s15, 7
	s_movk_i32 s20, 0x100
	v_mov_b32_e32 v57, 0
	v_lshlrev_b32_e32 v56, 4, v66
	v_cmp_gt_u32_e32 vcc, s20, v0
	v_ashrrev_i32_e32 v47, 31, v46
	s_mul_i32 s63, s53, s12
	s_mov_b32 s64, 0
	s_movk_i32 s35, 0x1000
	s_movk_i32 s22, 0x4000
	s_mov_b32 s69, 0
	s_waitcnt vmcnt(1)
	v_perm_b32 v32, v6, v14, s65
	s_waitcnt vmcnt(0)
	v_perm_b32 v33, v10, v18, s65
	v_perm_b32 v6, v6, v14, s66
	v_perm_b32 v10, v10, v18, s66
	v_perm_b32 v14, v7, v15, s65
	v_perm_b32 v18, v11, v19, s65
	v_perm_b32 v7, v7, v15, s66
	v_perm_b32 v11, v11, v19, s66
	v_perm_b32 v15, v8, v16, s65
	v_perm_b32 v19, v12, v20, s65
	v_perm_b32 v8, v8, v16, s66
	v_perm_b32 v12, v12, v20, s66
	v_perm_b32 v16, v9, v17, s65
	v_perm_b32 v20, v13, v21, s65
	v_perm_b32 v9, v9, v17, s66
	v_perm_b32 v13, v13, v21, s66
	ds_write2st64_b32 v4, v32, v33 offset0:32 offset1:64
	ds_write2st64_b32 v5, v6, v10 offset0:32 offset1:64
	;; [unrolled: 1-line block ×8, first 2 shown]
	v_lshlrev_b32_e32 v4, 8, v25
	v_or_b32_e32 v91, v4, v27
	v_or_b32_e32 v92, v4, v28
	;; [unrolled: 1-line block ×3, first 2 shown]
	v_lshlrev_b32_e32 v4, 3, v4
	v_lshrrev_b32_e32 v7, 5, v45
	v_and_or_b32 v7, v4, s0, v7
	v_lshlrev_b32_e32 v7, 4, v7
	v_lshlrev_b32_e32 v9, 11, v64
	v_and_b32_e32 v4, 0x78, v4
	v_or_b32_e32 v12, 32, v7
	v_and_b32_e32 v6, 0x1000, v9
	v_lshrrev_b32_e32 v10, 1, v45
	v_xor_b32_e32 v12, v12, v4
	v_xor_b32_e32 v8, v7, v4
	v_and_b32_e32 v10, 8, v10
	v_or_b32_e32 v12, v12, v6
	v_or_b32_e32 v8, v8, v6
	v_lshlrev_b32_e32 v11, 7, v65
	v_xor_b32_e32 v95, v12, v10
	v_or_b32_e32 v12, 64, v7
	v_or_b32_e32 v7, 0x60, v7
	v_xor_b32_e32 v93, v8, v10
	v_or_b32_e32 v8, v11, v22
	v_xor_b32_e32 v12, v12, v4
	v_xor_b32_e32 v4, v7, v4
	s_lshl_b64 s[0:1], s[38:39], 8
	v_lshlrev_b32_e32 v8, 1, v8
	v_or_b32_e32 v12, v12, v6
	v_or_b32_e32 v4, v4, v6
	s_add_u32 s0, s18, s0
	v_lshlrev_b32_e32 v6, 1, v66
	v_or_b32_e32 v94, 0xa000, v8
	v_or_b32_e32 v96, 0xa080, v8
	;; [unrolled: 1-line block ×4, first 2 shown]
	v_lshrrev_b32_e32 v8, 4, v0
	s_addc_u32 s1, s19, s1
	v_or_b32_e32 v7, 1, v6
	v_mov_b32_e32 v17, 0x4000
	v_mov_b32_e32 v18, 0x2000
	v_lshrrev_b32_e32 v19, 1, v0
	v_xor_b32_e32 v97, v12, v10
	v_xor_b32_e32 v98, v4, v10
	;; [unrolled: 1-line block ×4, first 2 shown]
	v_lshl_add_u64 v[6:7], s[0:1], 0, v[56:57]
	v_lshlrev_b32_e32 v56, 8, v8
	v_cndmask_b32_e32 v17, v17, v18, vcc
	v_lshlrev_b32_e32 v18, 3, v64
	v_and_b32_e32 v19, 24, v19
	v_lshl_or_b32 v101, v10, 3, v56
	v_and_b32_e32 v10, 8, v0
	v_xor_b32_e32 v20, v18, v19
	v_or_b32_e32 v21, 0x440, v20
	v_cmp_eq_u32_e32 vcc, 0, v10
	v_and_b32_e32 v8, 7, v0
	v_lshl_or_b32 v102, v14, 3, v56
	v_cndmask_b32_e32 v10, v21, v20, vcc
	v_lshlrev_b32_e32 v14, 3, v8
	v_lshlrev_b32_e32 v16, 2, v0
	v_or_b32_e32 v10, v10, v9
	v_xor_b32_e32 v20, v10, v14
	v_and_or_b32 v10, v16, 60, v11
	v_mov_b32_e32 v11, 0xb000
	v_lshl_or_b32 v103, v10, 1, v11
	v_or_b32_e32 v10, 32, v19
	v_xor_b32_e32 v10, v18, v10
	v_or_b32_e32 v11, 0x440, v10
	v_cndmask_b32_e32 v10, v11, v10, vcc
	v_or_b32_e32 v10, v10, v9
	v_xor_b32_e32 v11, v10, v14
	v_or_b32_e32 v10, 64, v19
	v_xor_b32_e32 v10, v18, v10
	v_xor_b32_e32 v22, 0x440, v10
	v_cndmask_b32_e32 v10, v22, v10, vcc
	v_or_b32_e32 v10, v10, v9
	v_xor_b32_e32 v22, v10, v14
	v_or_b32_e32 v10, 0x60, v19
	v_xor_b32_e32 v10, v18, v10
	v_xor_b32_e32 v18, 0x440, v10
	v_cndmask_b32_e32 v10, v18, v10, vcc
	v_lshrrev_b32_e32 v5, 2, v45
	v_or_b32_e32 v9, v10, v9
	v_and_b32_e32 v5, 12, v5
	v_lshlrev_b32_e32 v12, 1, v3
	v_add_lshl_u32 v3, v3, s15, 1
	v_or_b32_e32 v13, 0x100, v2
	v_xor_b32_e32 v9, v9, v14
	v_lshlrev_b32_e32 v4, 7, v69
	v_lshlrev_b32_e32 v15, 7, v8
	v_or_b32_e32 v8, v5, v1
	v_add_u32_e32 v21, v17, v20
	v_add_u32_e32 v16, v17, v11
	;; [unrolled: 1-line block ×4, first 2 shown]
	v_or3_b32 v10, v1, v5, 64
	v_add_u32_e32 v5, 0x4000, v20
	v_add_u32_e32 v11, 0x4000, v11
	;; [unrolled: 1-line block ×4, first 2 shown]
	v_cndmask_b32_e64 v104, v12, v2, s[2:3]
	v_cndmask_b32_e64 v105, v3, v13, s[2:3]
	v_lshlrev_b64 v[2:3], 1, v[46:47]
	v_lshl_add_u64 v[58:59], s[8:9], 0, v[2:3]
	v_lshl_add_u64 v[60:61], s[28:29], 0, v[2:3]
	;; [unrolled: 1-line block ×3, first 2 shown]
	s_add_i32 s37, s63, 63
	s_mov_b32 s39, 0x7060302
	v_lshlrev_b32_e32 v56, 1, v4
	v_lshlrev_b32_e32 v47, 2, v8
	v_add_u32_e32 v106, v21, v15
	v_add_u32_e32 v107, v16, v15
	;; [unrolled: 1-line block ×4, first 2 shown]
	v_lshlrev_b32_e32 v110, 2, v10
	v_add_u32_e32 v111, v5, v15
	v_add_u32_e32 v112, v11, v15
	;; [unrolled: 1-line block ×4, first 2 shown]
	s_waitcnt lgkmcnt(0)
	s_barrier
.LBB267_32:                             ; =>This Inner Loop Header: Depth=1
	s_add_i32 s68, s69, 1
	s_cmp_lt_i32 s68, s54
	s_mov_b64 s[24:25], 0
	s_cselect_b64 s[2:3], -1, 0
	s_cmp_ge_i32 s68, s54
	s_mov_b64 s[20:21], 0
	s_cbranch_scc1 .LBB267_34
; %bb.33:                               ;   in Loop: Header=BB267_32 Depth=1
	s_add_i32 s0, s64, 64
	s_add_u32 s0, s16, s0
	s_addc_u32 s1, s17, 0
	s_lshl_b64 s[0:1], s[0:1], 8
	s_add_u32 s20, s6, s0
	s_addc_u32 s21, s7, s1
.LBB267_34:                             ;   in Loop: Header=BB267_32 Depth=1
	v_cndmask_b32_e64 v2, 0, 1, s[2:3]
	v_cmp_ne_u32_e64 s[0:1], 1, v2
	s_andn2_b64 vcc, exec, s[2:3]
	s_cbranch_vccnz .LBB267_36
; %bb.35:                               ;   in Loop: Header=BB267_32 Depth=1
	s_add_i32 s2, s64, 64
	s_add_u32 s2, s63, s2
	s_addc_u32 s3, s67, 0
	s_mul_i32 s24, s2, s56
	s_mul_hi_u32 s25, s2, s60
	s_add_i32 s24, s25, s24
	s_mul_i32 s3, s3, s60
	s_add_i32 s24, s24, s3
	s_mul_i32 s2, s2, s60
	s_add_u32 s2, s2, s57
	s_addc_u32 s3, s24, s61
	s_lshl_b64 s[2:3], s[2:3], 8
	s_add_u32 s24, s4, s2
	s_addc_u32 s25, s5, s3
.LBB267_36:                             ;   in Loop: Header=BB267_32 Depth=1
	v_perm_b32 v3, v55, v54, s39
	v_perm_b32 v2, v51, v50, s39
	;; [unrolled: 1-line block ×4, first 2 shown]
	ds_write_b64 v85, v[2:3]
	ds_write_b64 v86, v[4:5]
	;; [unrolled: 1-line block ×4, first 2 shown]
	v_perm_b32 v3, v82, v75, s39
	v_perm_b32 v2, v71, v73, s39
	;; [unrolled: 1-line block ×4, first 2 shown]
	ds_write_b64 v87, v[2:3]
	ds_write_b64 v88, v[4:5]
	;; [unrolled: 1-line block ×4, first 2 shown]
	s_waitcnt lgkmcnt(0)
	s_barrier
	ds_read_b64 v[6:7], v93 offset:24576
	ds_read2_b64 v[2:5], v94 offset1:16
	ds_read_b64 v[10:11], v96 offset:3072
	ds_read_b64 v[12:13], v94 offset:3072
	;; [unrolled: 1-line block ×3, first 2 shown]
	s_waitcnt lgkmcnt(3)
	v_mfma_f32_16x16x16_bf16 a[0:3], v[6:7], v[2:3], 0
	s_add_i32 s2, s64, 63
	s_mul_i32 s3, s2, s31
	s_mul_hi_u32 s27, s2, s30
	v_mfma_f32_16x16x16_bf16 a[4:7], v[6:7], v[4:5], 0
	ds_read2st64_b64 v[2:5], v94 offset0:2 offset1:4
	ds_read2st64_b64 v[6:9], v96 offset0:2 offset1:4
	s_add_i32 s3, s27, s3
	s_waitcnt lgkmcnt(1)
	v_mfma_f32_16x16x16_bf16 a[0:3], v[14:15], v[2:3], a[0:3]
	s_mul_i32 s2, s2, s30
	s_lshl_b64 s[2:3], s[2:3], 2
	s_add_u32 s2, s44, s2
	s_waitcnt lgkmcnt(0)
	v_mfma_f32_16x16x16_bf16 a[4:7], v[14:15], v[6:7], a[4:7]
	ds_read_b64 v[2:3], v97 offset:24576
	ds_read_b64 v[6:7], v98 offset:24576
	s_addc_u32 s3, s45, s3
	s_and_b64 vcc, exec, s[0:1]
	s_waitcnt lgkmcnt(1)
	v_mfma_f32_16x16x16_bf16 a[0:3], v[2:3], v[4:5], a[0:3]
	v_mov_b32_e32 v117, 0
	v_mov_b32_e32 v116, 0
	;; [unrolled: 1-line block ×3, first 2 shown]
	v_mfma_f32_16x16x16_bf16 a[8:11], v[2:3], v[8:9], a[4:7]
	v_mov_b32_e32 v2, 0
	v_mov_b32_e32 v3, 0
	;; [unrolled: 1-line block ×3, first 2 shown]
	s_waitcnt lgkmcnt(0)
	v_mfma_f32_16x16x16_bf16 a[4:7], v[6:7], v[12:13], a[0:3]
	v_mov_b32_e32 v5, 0
	v_mov_b32_e32 v8, 0
	;; [unrolled: 1-line block ×3, first 2 shown]
	v_mfma_f32_16x16x16_bf16 a[0:3], v[6:7], v[10:11], a[8:11]
	v_mov_b32_e32 v6, 0
	v_mov_b32_e32 v7, 0
	;; [unrolled: 1-line block ×10, first 2 shown]
	s_cbranch_vccnz .LBB267_38
; %bb.37:                               ;   in Loop: Header=BB267_32 Depth=1
	s_and_b32 s21, s21, 0xffff
	buffer_load_dwordx4 v[14:17], v79, s[20:23], 0 offen
	buffer_load_dwordx4 v[10:13], v79, s[20:23], s62 offen
	;; [unrolled: 1-line block ×4, first 2 shown]
	v_mov_b32_e32 v116, v83
	v_mov_b32_e32 v115, v84
.LBB267_38:                             ;   in Loop: Header=BB267_32 Depth=1
	ds_read_b64 v[26:27], v93 offset:32768
	ds_read2_b64 v[18:21], v99 offset1:16
	ds_read_b64 v[28:29], v95 offset:32768
	ds_read_b64 v[30:31], v97 offset:32768
	;; [unrolled: 1-line block ×3, first 2 shown]
	ds_read2st64_b64 v[22:25], v99 offset0:2 offset1:4
	v_add_u32_e32 v34, s64, v69
	s_waitcnt lgkmcnt(4)
	v_mfma_f32_16x16x16_bf16 a[4:7], v[26:27], v[18:19], a[4:7]
	v_ashrrev_i32_e32 v18, 31, v34
	v_mfma_f32_16x16x16_bf16 a[0:3], v[26:27], v[20:21], a[0:3]
	v_mul_lo_u32 v20, v34, s31
	v_mul_lo_u32 v21, v18, s30
	v_mad_u64_u32 v[18:19], s[20:21], v34, s30, 0
	v_add3_u32 v19, v19, v20, v21
	v_add_u32_e32 v20, 1, v34
	v_ashrrev_i32_e32 v21, 31, v20
	s_waitcnt lgkmcnt(0)
	v_mfma_f32_16x16x16_bf16 a[4:7], v[28:29], v[22:23], a[4:7]
	v_mul_lo_u32 v22, v21, s30
	v_mul_lo_u32 v23, v20, s31
	v_mad_u64_u32 v[20:21], s[20:21], v20, s30, 0
	v_add3_u32 v21, v21, v23, v22
	v_add_u32_e32 v22, 2, v34
	v_ashrrev_i32_e32 v23, 31, v22
	v_mul_lo_u32 v26, v23, s30
	v_mul_lo_u32 v27, v22, s31
	v_mad_u64_u32 v[22:23], s[20:21], v22, s30, 0
	v_add3_u32 v23, v23, v27, v26
	v_add_u32_e32 v26, 3, v34
	v_ashrrev_i32_e32 v27, 31, v26
	v_mul_lo_u32 v34, v27, s30
	v_mul_lo_u32 v35, v26, s31
	v_mad_u64_u32 v[26:27], s[20:21], v26, s30, 0
	s_add_u32 s20, s16, s64
	s_addc_u32 s21, s17, 0
	s_lshl_b64 s[20:21], s[20:21], 8
	v_lshl_add_u64 v[18:19], v[18:19], 2, s[44:45]
	v_add3_u32 v27, v27, v35, v34
	v_lshl_add_u64 v[34:35], v[58:59], 0, s[20:21]
	v_lshl_add_u64 v[20:21], v[20:21], 2, s[44:45]
	;; [unrolled: 1-line block ×3, first 2 shown]
	global_load_dword v36, v[18:19], off
	global_load_ushort v37, v[34:35], off offset:256
	global_load_ushort v38, v[34:35], off
	global_load_ushort v39, v[34:35], off offset:768
	v_lshl_add_u64 v[18:19], v[26:27], 2, s[44:45]
	v_lshl_add_u64 v[22:23], v[22:23], 2, s[44:45]
	global_load_dword v40, v[20:21], off
	global_load_dword v41, v[22:23], off
	;; [unrolled: 1-line block ×3, first 2 shown]
	ds_read2st64_b64 v[18:21], v100 offset0:2 offset1:4
	s_waitcnt lgkmcnt(0)
	v_mfma_f32_16x16x16_bf16 a[0:3], v[28:29], v[18:19], a[0:3]
	global_load_ushort v28, v[34:35], off offset:512
	global_load_ushort v43, v[34:35], off offset:800
	;; [unrolled: 1-line block ×4, first 2 shown]
	s_nop 0
	global_load_ushort v34, v[34:35], off offset:32
	s_and_b64 vcc, exec, s[0:1]
	v_mfma_f32_16x16x16_bf16 a[4:7], v[30:31], v[24:25], a[4:7]
	s_waitcnt vmcnt(10)
	v_lshlrev_b32_e32 v27, 16, v37
	v_mfma_f32_16x16x16_bf16 a[0:3], v[30:31], v[20:21], a[0:3]
	ds_read_b64 v[18:19], v99 offset:3072
	ds_read_b64 v[20:21], v100 offset:3072
	s_load_dword s2, s[2:3], 0x0
	s_waitcnt vmcnt(9)
	v_lshlrev_b32_e32 v26, 16, v38
	s_waitcnt lgkmcnt(0)
	v_mfma_f32_16x16x16_bf16 a[4:7], v[32:33], v[18:19], a[4:7]
	v_lshl_add_u64 v[18:19], v[60:61], 0, s[20:21]
	v_sub_f32_e32 v30, s2, v36
	s_waitcnt vmcnt(7)
	v_sub_f32_e32 v31, s2, v40
	v_mfma_f32_16x16x16_bf16 a[0:3], v[32:33], v[20:21], a[0:3]
	s_waitcnt vmcnt(6)
	v_sub_f32_e32 v32, s2, v41
	s_waitcnt vmcnt(5)
	v_sub_f32_e32 v33, s2, v42
	v_accvgpr_read_b32 v25, a5
	v_accvgpr_read_b32 v24, a4
	v_exp_f32_e32 v30, v30
	v_pk_add_f32 v[24:25], v[26:27], v[24:25] neg_lo:[0,1] neg_hi:[0,1]
	v_exp_f32_e32 v31, v31
	v_exp_f32_e32 v26, v32
	;; [unrolled: 1-line block ×3, first 2 shown]
	v_accvgpr_read_b32 v21, a7
	v_accvgpr_read_b32 v20, a6
	v_lshlrev_b32_e32 v29, 16, v39
	s_waitcnt vmcnt(4)
	v_lshlrev_b32_e32 v28, 16, v28
	v_lshl_add_u64 v[18:19], v[18:19], 0, v[56:57]
	v_pk_add_f32 v[20:21], v[28:29], v[20:21] neg_lo:[0,1] neg_hi:[0,1]
	global_store_short_d16_hi v[18:19], v24, off
	global_store_short_d16_hi v[18:19], v25, off offset:256
	global_store_short_d16_hi v[18:19], v20, off offset:512
	;; [unrolled: 1-line block ×3, first 2 shown]
	v_pk_mul_f32 v[24:25], v[30:31], v[24:25]
	v_pk_mul_f32 v[20:21], v[26:27], v[20:21]
	v_accvgpr_read_b32 v29, a1
	v_perm_b32 v24, v25, v24, s39
	v_perm_b32 v25, v21, v20, s39
	s_waitcnt vmcnt(5)
	v_lshlrev_b32_e32 v21, 16, v118
	s_waitcnt vmcnt(4)
	v_lshlrev_b32_e32 v20, 16, v34
	v_accvgpr_read_b32 v28, a0
	v_accvgpr_read_b32 v23, a3
	;; [unrolled: 1-line block ×3, first 2 shown]
	v_pk_add_f32 v[20:21], v[20:21], v[28:29] neg_lo:[0,1] neg_hi:[0,1]
	v_lshlrev_b32_e32 v29, 16, v43
	v_lshlrev_b32_e32 v28, 16, v44
	v_pk_add_f32 v[22:23], v[28:29], v[22:23] neg_lo:[0,1] neg_hi:[0,1]
	global_store_short_d16_hi v[18:19], v20, off offset:32
	global_store_short_d16_hi v[18:19], v21, off offset:288
	;; [unrolled: 1-line block ×4, first 2 shown]
	v_pk_mul_f32 v[18:19], v[30:31], v[20:21]
	v_pk_mul_f32 v[20:21], v[26:27], v[22:23]
	v_mov_b32_e32 v118, 0
	v_perm_b32 v21, v21, v20, s39
	v_perm_b32 v20, v19, v18, s39
	ds_write2_b64 v86, v[24:25], v[20:21] offset1:16
	v_mov_b32_e32 v18, 0
	v_mov_b32_e32 v19, 0
	;; [unrolled: 1-line block ×16, first 2 shown]
	s_cbranch_vccnz .LBB267_40
; %bb.39:                               ;   in Loop: Header=BB267_32 Depth=1
	s_and_b32 s25, s25, 0xffff
	s_mov_b32 s27, s23
	buffer_load_dwordx4 v[30:33], v104, s[24:27], 0 offen
	buffer_load_dwordx4 v[22:25], v104, s[24:27], s62 offen
	;; [unrolled: 1-line block ×4, first 2 shown]
	v_mov_b32_e32 v117, v78
	v_mov_b32_e32 v118, v77
.LBB267_40:                             ;   in Loop: Header=BB267_32 Depth=1
	s_waitcnt lgkmcnt(0)
	s_barrier
	ds_read_b64 v[38:39], v106
	ds_read_b64 v[124:125], v103
	;; [unrolled: 1-line block ×5, first 2 shown]
	ds_read_b64 v[138:139], v100 offset:3072
	ds_read2_b64 v[34:37], v99 offset0:16 offset1:128
	s_waitcnt lgkmcnt(5)
	v_mfma_f32_16x16x16_bf16 a[0:3], v[38:39], v[124:125], 0
	s_add_i32 s3, s58, s69
	s_mul_hi_i32 s21, s3, s13
	s_mul_i32 s3, s3, s13
	s_waitcnt lgkmcnt(0)
	v_mfma_f32_16x16x16_bf16 a[4:7], v[38:39], v[34:35], 0
	ds_read_b64 v[38:39], v111
	ds_read2st64_b64 v[40:43], v100 offset0:2 offset1:4
	s_add_u32 s20, s3, s51
	s_addc_u32 s21, s21, s55
	s_add_i32 s3, s37, s64
	s_lshl_b64 s[20:21], s[20:21], 15
	s_mul_hi_i32 s25, s3, s13
	s_mul_i32 s3, s3, s13
	s_add_u32 s24, s3, s51
	s_waitcnt lgkmcnt(1)
	v_mfma_f32_16x16x16_bf16 a[8:11], v[38:39], v[124:125], 0
	s_addc_u32 s25, s25, s55
	ds_read2st64_b64 v[120:123], v99 offset0:4 offset1:6
	s_lshl_b64 s[24:25], s[24:25], 9
	v_mfma_f32_16x16x16_bf16 a[0:3], v[126:127], v[36:37], a[0:3]
	s_add_u32 s24, s42, s24
	s_addc_u32 s25, s43, s25
	s_waitcnt lgkmcnt(1)
	v_mfma_f32_16x16x16_bf16 a[4:7], v[126:127], v[40:41], a[4:7]
	ds_read_b64 v[126:127], v112
	ds_read_b64 v[134:135], v113
	;; [unrolled: 1-line block ×3, first 2 shown]
	v_mfma_f32_16x16x16_bf16 a[12:15], v[38:39], v[34:35], 0
	s_waitcnt lgkmcnt(2)
	v_mfma_f32_16x16x16_bf16 a[8:11], v[126:127], v[36:37], a[8:11]
	global_load_dwordx4 v[34:37], v110, s[24:25]
	v_mfma_f32_16x16x16_bf16 a[12:15], v[126:127], v[40:41], a[12:15]
	global_load_dwordx4 v[38:41], v47, s[24:25]
	ds_read2st64_b64 v[124:127], v101 offset1:8
	s_waitcnt lgkmcnt(0)
	v_mov_b32_e32 v132, v124
	v_mfma_f32_16x16x16_bf16 a[0:3], v[128:129], v[120:121], a[0:3]
	v_mov_b32_e32 v133, v125
	v_mfma_f32_16x16x16_bf16 a[4:7], v[128:129], v[42:43], a[4:7]
	ds_read2st64_b64 v[128:131], v102 offset1:8
	v_mfma_f32_16x16x16_bf16 a[8:11], v[134:135], v[120:121], a[8:11]
	v_lshl_add_u64 v[120:121], v[62:63], 0, s[20:21]
	v_mfma_f32_16x16x16_bf16 a[16:19], v[134:135], v[42:43], a[12:15]
	v_add_co_u32_e32 v42, vcc, s35, v120
	s_waitcnt lgkmcnt(0)
	v_mov_b32_e32 v134, v128
	v_mfma_f32_16x16x16_bf16 a[0:3], v[136:137], v[122:123], a[0:3]
	v_mov_b32_e32 v135, v129
	v_mov_b32_e32 v128, v126
	;; [unrolled: 1-line block ×3, first 2 shown]
	v_mfma_f32_16x16x16_bf16 a[4:7], v[136:137], v[138:139], a[4:7]
	v_addc_co_u32_e32 v43, vcc, 0, v121, vcc
	global_store_dwordx4 v[42:43], v[128:131], off
	v_mfma_f32_16x16x16_bf16 a[12:15], v[140:141], v[122:123], a[8:11]
	s_and_b64 vcc, exec, s[0:1]
	global_store_dwordx4 v[120:121], v[132:135], off
	s_waitcnt vmcnt(3)
	v_mov_b32_e32 v44, v37
	v_mfma_f32_16x16x16_bf16 a[8:11], v[140:141], v[138:139], a[16:19]
	v_mov_b32_e32 v43, v36
	v_mov_b32_e32 v42, v35
	s_cbranch_vccnz .LBB267_42
; %bb.41:                               ;   in Loop: Header=BB267_32 Depth=1
	v_lshrrev_b32_e32 v35, 3, v117
	v_and_b32_e32 v35, 6, v35
	v_xor_b32_e32 v36, v35, v118
	v_lshlrev_b32_e32 v36, 2, v36
	v_and_b32_e32 v37, 8, v117
	v_xor_b32_e32 v117, 0x440, v36
	v_cmp_eq_u32_e32 vcc, 0, v37
	v_perm_b32 v37, v22, v18, s65
	s_nop 0
	v_cndmask_b32_e32 v36, v117, v36, vcc
	v_lshl_or_b32 v35, v35, 10, v36
	v_perm_b32 v36, v30, v26, s65
	s_barrier
	ds_write2st64_b32 v35, v36, v37 offset0:32 offset1:64
	v_xor_b32_e32 v36, 8, v35
	v_perm_b32 v26, v30, v26, s66
	v_perm_b32 v18, v22, v18, s66
	v_add_u32_e32 v22, 0x80, v36
	ds_write2st64_b32 v22, v26, v18 offset0:32 offset1:64
	v_xor_b32_e32 v18, 16, v35
	v_perm_b32 v22, v31, v27, s65
	v_perm_b32 v26, v23, v19, s65
	ds_write2st64_b32 v18, v22, v26 offset0:33 offset1:65
	v_xor_b32_e32 v18, 24, v35
	v_perm_b32 v22, v31, v27, s66
	v_perm_b32 v19, v23, v19, s66
	v_add_u32_e32 v18, 0x80, v18
	ds_write2st64_b32 v18, v22, v19 offset0:33 offset1:65
	v_xor_b32_e32 v18, 32, v35
	v_perm_b32 v19, v32, v28, s65
	v_perm_b32 v22, v24, v20, s65
	;; [unrolled: 9-line block ×3, first 2 shown]
	ds_write2st64_b32 v18, v19, v20 offset0:35 offset1:67
	v_xor_b32_e32 v18, 56, v35
	v_perm_b32 v19, v33, v29, s66
	v_perm_b32 v20, v25, v21, s66
	v_add_u32_e32 v18, 0x80, v18
	ds_write2st64_b32 v18, v19, v20 offset0:35 offset1:67
	ds_write_b64 v116, v[14:15] offset:24576
	v_xor_b32_e32 v14, 8, v116
	ds_write_b64 v14, v[16:17] offset:24576
	ds_write_b64 v116, v[10:11] offset:32768
	;; [unrolled: 1-line block ×4, first 2 shown]
	v_xor_b32_e32 v6, 8, v115
	ds_write_b64 v6, v[8:9] offset:24576
	ds_write_b64 v115, v[2:3] offset:32768
	;; [unrolled: 1-line block ×3, first 2 shown]
.LBB267_42:                             ;   in Loop: Header=BB267_32 Depth=1
	v_exp_f32_e32 v18, s2
	s_waitcnt vmcnt(2)
	v_exp_f32_e32 v20, v38
	v_exp_f32_e32 v21, v39
	;; [unrolled: 1-line block ×4, first 2 shown]
	v_accvgpr_read_b32 v13, a3
	v_accvgpr_read_b32 v11, a1
	;; [unrolled: 1-line block ×4, first 2 shown]
	v_pk_mul_f32 v[20:21], v[18:19], v[20:21] op_sel_hi:[0,1]
	v_accvgpr_read_b32 v12, a2
	v_accvgpr_read_b32 v7, a5
	;; [unrolled: 1-line block ×3, first 2 shown]
	v_pk_fma_f32 v[50:51], v[50:51], v[20:21], v[10:11]
	v_pk_mul_f32 v[10:11], v[18:19], v[22:23] op_sel_hi:[0,1]
	v_pk_fma_f32 v[54:55], v[54:55], v[10:11], v[12:13]
	v_fma_f32 v73, v73, v20, v6
	v_fma_f32 v71, v71, v21, v7
	v_exp_f32_e32 v6, v34
	v_exp_f32_e32 v7, v42
	;; [unrolled: 1-line block ×4, first 2 shown]
	v_accvgpr_read_b32 v8, a6
	v_accvgpr_read_b32 v17, a15
	;; [unrolled: 1-line block ×9, first 2 shown]
	v_fma_f32 v75, v75, v10, v8
	v_fmac_f32_e32 v9, v82, v11
	v_pk_mul_f32 v[6:7], v[18:19], v[6:7] op_sel_hi:[0,1]
	v_pk_mul_f32 v[10:11], v[18:19], v[12:13] op_sel_hi:[0,1]
	s_add_i32 s64, s64, 64
	v_pk_fma_f32 v[48:49], v[48:49], v[6:7], v[14:15]
	v_pk_fma_f32 v[52:53], v[52:53], v[10:11], v[16:17]
	v_fma_f32 v74, v74, v6, v2
	v_fma_f32 v72, v72, v7, v3
	;; [unrolled: 1-line block ×3, first 2 shown]
	s_cmp_eq_u32 s54, s68
	v_fmac_f32_e32 v5, v80, v11
	s_cbranch_scc1 .LBB267_4
; %bb.43:                               ;   in Loop: Header=BB267_32 Depth=1
	s_mov_b32 s69, s68
	v_mov_b32_e32 v82, v9
	v_mov_b32_e32 v80, v5
	s_branch .LBB267_32
.LBB267_44:
                                        ; implicit-def: $vgpr5
                                        ; implicit-def: $vgpr9
                                        ; implicit-def: $vgpr13
                                        ; implicit-def: $vgpr17
	s_cbranch_execz .LBB267_46
; %bb.45:
	s_waitcnt vmcnt(0)
	v_mad_u64_u32 v[2:3], s[0:1], v20, s15, v[18:19]
	v_lshlrev_b32_e32 v20, 1, v2
	s_lshl_b32 s2, s15, 7
	s_and_b32 s1, s5, 0xffff
	s_mov_b32 s3, 0x20000
	s_mov_b32 s0, s4
	v_add_lshl_u32 v21, v2, s15, 1
	s_movk_i32 s13, 0x80
	buffer_load_dwordx4 v[2:5], v20, s[0:3], 0 offen
	buffer_load_dwordx4 v[10:13], v20, s[0:3], s13 offen
	;; [unrolled: 1-line block ×4, first 2 shown]
.LBB267_46:
	v_lshrrev_b32_e32 v30, 2, v45
	s_cbranch_execnz .LBB267_59
.LBB267_47:
	s_and_b64 vcc, exec, s[6:7]
	s_cbranch_vccz .LBB267_57
; %bb.48:
	s_waitcnt vmcnt(0)
	v_lshlrev_b32_e32 v7, 1, v23
	v_cmp_gt_i32_e32 vcc, s27, v7
	v_mov_b32_e32 v6, 0
	v_lshlrev_b32_e32 v14, 9, v23
	v_mov_b32_e32 v2, 0
	v_mov_b32_e32 v3, 0
	;; [unrolled: 1-line block ×4, first 2 shown]
	s_and_saveexec_b64 s[0:1], vcc
	s_cbranch_execz .LBB267_50
; %bb.49:
	v_mov_b32_e32 v15, 0
	v_lshl_add_u64 v[2:3], s[4:5], 0, v[14:15]
	v_lshlrev_b32_e32 v4, 1, v18
	v_mov_b32_e32 v5, v15
	v_lshl_add_u64 v[2:3], v[2:3], 0, v[4:5]
	global_load_dwordx4 v[2:5], v[2:3], off
.LBB267_50:
	s_or_b64 exec, exec, s[0:1]
	v_or_b32_e32 v7, 1, v7
	v_cmp_gt_i32_e64 s[0:1], s27, v7
	v_lshlrev_b32_e32 v20, 8, v7
	v_mov_b32_e32 v7, 0
	v_mov_b32_e32 v8, 0
	;; [unrolled: 1-line block ×3, first 2 shown]
	s_and_saveexec_b64 s[2:3], s[0:1]
	s_cbranch_execz .LBB267_52
; %bb.51:
	v_mov_b32_e32 v21, 0
	v_lshl_add_u64 v[6:7], s[4:5], 0, v[20:21]
	v_lshlrev_b32_e32 v8, 1, v18
	v_mov_b32_e32 v9, v21
	v_lshl_add_u64 v[6:7], v[6:7], 0, v[8:9]
	global_load_dwordx4 v[6:9], v[6:7], off
.LBB267_52:
	s_or_b64 exec, exec, s[2:3]
	v_mov_b32_e32 v17, 0
	v_mov_b32_e32 v10, 0
	;; [unrolled: 1-line block ×5, first 2 shown]
	s_and_saveexec_b64 s[2:3], vcc
	s_cbranch_execz .LBB267_54
; %bb.53:
	v_mov_b32_e32 v15, 0
	v_lshl_add_u64 v[10:11], s[4:5], 0, v[14:15]
	v_lshlrev_b32_e32 v14, 1, v18
	v_lshl_add_u64 v[10:11], v[10:11], 0, v[14:15]
	global_load_dwordx4 v[10:13], v[10:11], off offset:128
.LBB267_54:
	s_or_b64 exec, exec, s[2:3]
	v_mov_b32_e32 v16, 0
	v_mov_b32_e32 v15, 0
	;; [unrolled: 1-line block ×3, first 2 shown]
	s_and_saveexec_b64 s[2:3], s[0:1]
	s_cbranch_execz .LBB267_56
; %bb.55:
	v_mov_b32_e32 v21, 0
	v_lshl_add_u64 v[14:15], s[4:5], 0, v[20:21]
	v_lshlrev_b32_e32 v20, 1, v18
	v_lshl_add_u64 v[14:15], v[14:15], 0, v[20:21]
	global_load_dwordx4 v[14:17], v[14:15], off offset:128
.LBB267_56:
	s_or_b64 exec, exec, s[2:3]
	s_branch .LBB267_59
.LBB267_57:
                                        ; implicit-def: $vgpr5
                                        ; implicit-def: $vgpr9
                                        ; implicit-def: $vgpr13
                                        ; implicit-def: $vgpr17
	s_cbranch_execz .LBB267_59
; %bb.58:
	s_waitcnt vmcnt(0)
	v_lshlrev_b32_e32 v2, 1, v18
	v_lshl_or_b32 v18, v23, 9, v2
	s_and_b32 s5, s5, 0xffff
	s_mov_b32 s7, 0x20000
	s_movk_i32 s6, 0x4000
	s_movk_i32 s0, 0x80
	buffer_load_dwordx4 v[2:5], v18, s[4:7], 0 offen
	buffer_load_dwordx4 v[6:9], v18, s[4:7], 0 offen offset:256
	buffer_load_dwordx4 v[10:13], v18, s[4:7], s0 offen
	buffer_load_dwordx4 v[14:17], v18, s[4:7], s0 offen offset:256
.LBB267_59:
	ds_read_b64 v[20:21], v25 offset:32768
	v_add_u32_e32 v18, 0xb000, v24
	ds_read2_b64 v[32:35], v18 offset1:16
	ds_read_b64 v[40:41], v26 offset:32768
	ds_read_b64 v[26:27], v27 offset:32768
	;; [unrolled: 1-line block ×3, first 2 shown]
	v_and_b32_e32 v18, 6, v0
	v_xor_b32_e32 v23, v23, v18
	v_lshlrev_b32_e32 v23, 2, v23
	v_and_b32_e32 v0, 1, v0
	v_xor_b32_e32 v28, 0x440, v23
	v_cmp_eq_u32_e32 vcc, 0, v0
	s_waitcnt lgkmcnt(3)
	v_mfma_f32_16x16x16_bf16 a[0:3], v[20:21], v[32:33], a[0:3]
	s_mov_b32 s0, 0x1000504
	v_cndmask_b32_e32 v0, v28, v23, vcc
	v_lshl_or_b32 v0, v18, 10, v0
	v_mfma_f32_16x16x16_bf16 a[4:7], v[20:21], v[34:35], a[4:7]
	ds_read2st64_b64 v[32:35], v24 offset0:90 offset1:92
	ds_read2st64_b64 v[36:39], v29 offset0:90 offset1:92
	ds_read_b64 v[20:21], v24 offset:48128
	ds_read_b64 v[24:25], v29 offset:48128
	s_waitcnt vmcnt(0)
	v_perm_b32 v18, v2, v6, s0
	s_waitcnt lgkmcnt(3)
	v_mfma_f32_16x16x16_bf16 a[0:3], v[40:41], v[32:33], a[0:3]
	s_mov_b32 s1, 0x3020706
	v_perm_b32 v2, v2, v6, s1
	v_perm_b32 v6, v10, v14, s1
	s_waitcnt lgkmcnt(2)
	v_mfma_f32_16x16x16_bf16 a[4:7], v[40:41], v[36:37], a[4:7]
	v_mfma_f32_16x16x16_bf16 a[0:3], v[26:27], v[34:35], a[0:3]
	;; [unrolled: 1-line block ×3, first 2 shown]
	s_waitcnt lgkmcnt(1)
	v_mfma_f32_16x16x16_bf16 a[4:7], v[42:43], v[20:21], a[0:3]
	v_perm_b32 v20, v10, v14, s0
	ds_write2st64_b32 v0, v18, v20 offset0:32 offset1:64
	v_xor_b32_e32 v18, 8, v0
	v_add_u32_e32 v10, 0x80, v18
	ds_write2st64_b32 v10, v2, v6 offset0:32 offset1:64
	v_xor_b32_e32 v2, 16, v0
	v_perm_b32 v6, v3, v7, s0
	v_perm_b32 v10, v11, v15, s0
	ds_write2st64_b32 v2, v6, v10 offset0:33 offset1:65
	v_xor_b32_e32 v2, 24, v0
	v_perm_b32 v3, v3, v7, s1
	v_perm_b32 v6, v11, v15, s1
	v_add_u32_e32 v2, 0x80, v2
	ds_write2st64_b32 v2, v3, v6 offset0:33 offset1:65
	v_xor_b32_e32 v2, 32, v0
	v_perm_b32 v3, v4, v8, s0
	v_perm_b32 v6, v12, v16, s0
	s_waitcnt lgkmcnt(4)
	v_mfma_f32_16x16x16_bf16 a[0:3], v[42:43], v[24:25], a[8:11]
	ds_write2st64_b32 v2, v3, v6 offset0:34 offset1:66
	v_xor_b32_e32 v2, 40, v0
	v_perm_b32 v3, v4, v8, s1
	v_perm_b32 v4, v12, v16, s1
	v_add_u32_e32 v2, 0x80, v2
	ds_write2st64_b32 v2, v3, v4 offset0:34 offset1:66
	v_xor_b32_e32 v2, 48, v0
	v_perm_b32 v3, v5, v9, s0
	v_perm_b32 v4, v13, v17, s0
	v_xor_b32_e32 v0, 56, v0
	v_and_or_b32 v21, v30, 12, v1
	ds_write2st64_b32 v2, v3, v4 offset0:35 offset1:67
	v_perm_b32 v2, v5, v9, s1
	v_perm_b32 v3, v13, v17, s1
	v_add_u32_e32 v0, 0x80, v0
	v_cmp_gt_i32_e32 vcc, s27, v21
	v_mov_b32_e32 v16, 0
	v_mov_b32_e32 v18, 0
	ds_write2st64_b32 v0, v2, v3 offset0:35 offset1:67
	s_and_saveexec_b64 s[0:1], vcc
	s_cbranch_execz .LBB267_61
; %bb.60:
	v_add_u32_e32 v0, s26, v21
	v_ashrrev_i32_e32 v1, 31, v0
	v_mul_lo_u32 v2, v1, s30
	v_mul_lo_u32 v3, v0, s31
	v_mad_u64_u32 v[0:1], s[2:3], v0, s30, 0
	v_add3_u32 v1, v1, v3, v2
	v_lshl_add_u64 v[0:1], v[0:1], 2, s[10:11]
	global_load_dword v0, v[0:1], off
	s_waitcnt vmcnt(0)
	v_sub_f32_e32 v0, s12, v0
	v_exp_f32_e32 v18, v0
.LBB267_61:
	s_or_b64 exec, exec, s[0:1]
	v_or_b32_e32 v10, 1, v21
	v_cmp_gt_i32_e64 s[2:3], s27, v10
	s_and_saveexec_b64 s[0:1], s[2:3]
	s_cbranch_execz .LBB267_63
; %bb.62:
	v_add_u32_e32 v0, s26, v10
	v_ashrrev_i32_e32 v1, 31, v0
	v_mul_lo_u32 v2, v1, s30
	v_mul_lo_u32 v3, v0, s31
	v_mad_u64_u32 v[0:1], s[4:5], v0, s30, 0
	v_add3_u32 v1, v1, v3, v2
	v_lshl_add_u64 v[0:1], v[0:1], 2, s[10:11]
	global_load_dword v0, v[0:1], off
	s_waitcnt vmcnt(0)
	v_sub_f32_e32 v0, s12, v0
	v_exp_f32_e32 v16, v0
.LBB267_63:
	s_or_b64 exec, exec, s[0:1]
	v_or_b32_e32 v12, 2, v21
	v_cmp_gt_i32_e64 s[0:1], s27, v12
	v_mov_b32_e32 v17, 0
	v_mov_b32_e32 v20, 0
	s_and_saveexec_b64 s[4:5], s[0:1]
	s_cbranch_execz .LBB267_65
; %bb.64:
	v_add_u32_e32 v0, s26, v12
	v_ashrrev_i32_e32 v1, 31, v0
	v_mul_lo_u32 v2, v1, s30
	v_mul_lo_u32 v3, v0, s31
	v_mad_u64_u32 v[0:1], s[6:7], v0, s30, 0
	v_add3_u32 v1, v1, v3, v2
	v_lshl_add_u64 v[0:1], v[0:1], 2, s[10:11]
	global_load_dword v0, v[0:1], off
	s_waitcnt vmcnt(0)
	v_sub_f32_e32 v0, s12, v0
	v_exp_f32_e32 v20, v0
.LBB267_65:
	s_or_b64 exec, exec, s[4:5]
	v_or_b32_e32 v14, 3, v21
	v_cmp_gt_i32_e64 s[4:5], s27, v14
	s_and_saveexec_b64 s[6:7], s[4:5]
	s_cbranch_execz .LBB267_67
; %bb.66:
	v_add_u32_e32 v0, s26, v14
	v_ashrrev_i32_e32 v1, 31, v0
	v_mul_lo_u32 v2, v1, s30
	v_mul_lo_u32 v3, v0, s31
	v_mad_u64_u32 v[0:1], s[14:15], v0, s30, 0
	v_add3_u32 v1, v1, v3, v2
	v_lshl_add_u64 v[0:1], v[0:1], 2, s[10:11]
	global_load_dword v0, v[0:1], off
	s_waitcnt vmcnt(0)
	v_sub_f32_e32 v0, s12, v0
	v_exp_f32_e32 v17, v0
.LBB267_67:
	s_or_b64 exec, exec, s[6:7]
	s_add_u32 s6, s8, s20
	s_addc_u32 s7, s9, s21
	s_add_u32 s8, s28, s20
	v_ashrrev_i32_e32 v47, 31, v46
	v_accvgpr_read_b32 v0, a4
	s_addc_u32 s9, s29, s21
	v_lshlrev_b64 v[4:5], 1, v[46:47]
	v_accvgpr_read_b32 v1, a5
	v_accvgpr_read_b32 v2, a6
	v_accvgpr_read_b32 v3, a7
	v_lshl_add_u64 v[6:7], s[6:7], 0, v[4:5]
	v_lshl_add_u64 v[4:5], s[8:9], 0, v[4:5]
	v_mov_b32_e32 v11, 0
	v_lshlrev_b32_e32 v8, 8, v21
	v_mov_b32_e32 v9, 0
	s_and_saveexec_b64 s[6:7], vcc
	s_cbranch_execz .LBB267_69
; %bb.68:
	v_mov_b32_e32 v9, 0
	v_lshl_add_u64 v[24:25], v[6:7], 0, v[8:9]
	global_load_ushort v13, v[24:25], off
	v_lshl_add_u64 v[24:25], v[4:5], 0, v[8:9]
	s_waitcnt vmcnt(0)
	v_lshlrev_b32_e32 v9, 16, v13
	v_sub_f32_e32 v0, v9, v0
	global_store_short_d16_hi v[24:25], v0, off
	v_mul_f32_e32 v0, v18, v0
	v_lshrrev_b32_e32 v9, 16, v0
.LBB267_69:
	s_or_b64 exec, exec, s[6:7]
	v_lshlrev_b32_e32 v10, 8, v10
	s_and_saveexec_b64 s[6:7], s[2:3]
	s_cbranch_execz .LBB267_71
; %bb.70:
	v_mov_b32_e32 v11, 0
	v_lshl_add_u64 v[24:25], v[6:7], 0, v[10:11]
	global_load_ushort v0, v[24:25], off
	v_lshl_add_u64 v[24:25], v[4:5], 0, v[10:11]
	s_waitcnt vmcnt(0)
	v_lshlrev_b32_e32 v0, 16, v0
	v_sub_f32_e32 v0, v0, v1
	global_store_short_d16_hi v[24:25], v0, off
	v_mul_f32_e32 v0, v16, v0
	v_lshrrev_b32_e32 v11, 16, v0
.LBB267_71:
	s_or_b64 exec, exec, s[6:7]
	v_mov_b32_e32 v15, 0
	v_lshlrev_b32_e32 v12, 8, v12
	v_mov_b32_e32 v13, 0
	s_and_saveexec_b64 s[6:7], s[0:1]
	s_cbranch_execz .LBB267_73
; %bb.72:
	v_mov_b32_e32 v13, 0
	v_lshl_add_u64 v[0:1], v[6:7], 0, v[12:13]
	global_load_ushort v23, v[0:1], off
	v_lshl_add_u64 v[0:1], v[4:5], 0, v[12:13]
	s_waitcnt vmcnt(0)
	v_lshlrev_b32_e32 v13, 16, v23
	v_sub_f32_e32 v2, v13, v2
	global_store_short_d16_hi v[0:1], v2, off
	v_mul_f32_e32 v0, v20, v2
	v_lshrrev_b32_e32 v13, 16, v0
.LBB267_73:
	s_or_b64 exec, exec, s[6:7]
	v_lshlrev_b32_e32 v14, 8, v14
	s_and_saveexec_b64 s[6:7], s[4:5]
	s_cbranch_execz .LBB267_75
; %bb.74:
	v_mov_b32_e32 v15, 0
	v_lshl_add_u64 v[0:1], v[6:7], 0, v[14:15]
	global_load_ushort v2, v[0:1], off
	v_lshl_add_u64 v[0:1], v[4:5], 0, v[14:15]
	s_waitcnt vmcnt(0)
	v_lshlrev_b32_e32 v2, 16, v2
	v_sub_f32_e32 v2, v2, v3
	global_store_short_d16_hi v[0:1], v2, off
	v_mul_f32_e32 v0, v17, v2
	v_lshrrev_b32_e32 v15, 16, v0
.LBB267_75:
	s_or_b64 exec, exec, s[6:7]
	v_lshlrev_b32_e32 v21, 5, v21
	s_mov_b32 s6, 0x5040100
	v_perm_b32 v24, v11, v9, s6
	v_or_b32_e32 v9, v21, v22
	v_accvgpr_read_b32 v0, a0
	v_perm_b32 v25, v15, v13, s6
	v_lshlrev_b32_e32 v9, 1, v9
	v_accvgpr_read_b32 v1, a1
	v_accvgpr_read_b32 v2, a2
	;; [unrolled: 1-line block ×3, first 2 shown]
	ds_write_b64 v9, v[24:25] offset:45056
	v_mov_b32_e32 v11, 0
	v_mov_b32_e32 v9, 0
	s_and_saveexec_b64 s[6:7], vcc
	s_cbranch_execz .LBB267_77
; %bb.76:
	v_mov_b32_e32 v9, 0
	v_lshl_add_u64 v[22:23], v[6:7], 0, v[8:9]
	global_load_ushort v13, v[22:23], off offset:32
	v_lshl_add_u64 v[8:9], v[4:5], 0, v[8:9]
	s_waitcnt vmcnt(0)
	v_lshlrev_b32_e32 v13, 16, v13
	v_sub_f32_e32 v0, v13, v0
	global_store_short_d16_hi v[8:9], v0, off offset:32
	v_mul_f32_e32 v0, v18, v0
	v_lshrrev_b32_e32 v9, 16, v0
.LBB267_77:
	s_or_b64 exec, exec, s[6:7]
	s_and_saveexec_b64 s[6:7], s[2:3]
	s_cbranch_execz .LBB267_79
; %bb.78:
	v_mov_b32_e32 v11, 0
	v_lshl_add_u64 v[22:23], v[6:7], 0, v[10:11]
	global_load_ushort v0, v[22:23], off offset:32
	v_lshl_add_u64 v[10:11], v[4:5], 0, v[10:11]
	s_waitcnt vmcnt(0)
	v_lshlrev_b32_e32 v0, 16, v0
	v_sub_f32_e32 v0, v0, v1
	global_store_short_d16_hi v[10:11], v0, off offset:32
	v_mul_f32_e32 v0, v16, v0
	v_lshrrev_b32_e32 v11, 16, v0
.LBB267_79:
	s_or_b64 exec, exec, s[6:7]
	v_mov_b32_e32 v0, 0
	v_mov_b32_e32 v1, 0
	s_and_saveexec_b64 s[2:3], s[0:1]
	s_cbranch_execz .LBB267_81
; %bb.80:
	v_mov_b32_e32 v13, 0
	v_lshl_add_u64 v[22:23], v[6:7], 0, v[12:13]
	global_load_ushort v1, v[22:23], off offset:32
	v_lshl_add_u64 v[12:13], v[4:5], 0, v[12:13]
	s_waitcnt vmcnt(0)
	v_lshlrev_b32_e32 v1, 16, v1
	v_sub_f32_e32 v1, v1, v2
	global_store_short_d16_hi v[12:13], v1, off offset:32
	v_mul_f32_e32 v1, v20, v1
	v_lshrrev_b32_e32 v1, 16, v1
.LBB267_81:
	s_or_b64 exec, exec, s[2:3]
	s_and_saveexec_b64 s[0:1], s[4:5]
	s_cbranch_execz .LBB267_83
; %bb.82:
	v_mov_b32_e32 v15, 0
	v_lshl_add_u64 v[6:7], v[6:7], 0, v[14:15]
	global_load_ushort v0, v[6:7], off offset:32
	v_lshl_add_u64 v[4:5], v[4:5], 0, v[14:15]
	s_waitcnt vmcnt(0)
	v_lshlrev_b32_e32 v0, 16, v0
	v_sub_f32_e32 v0, v0, v3
	global_store_short_d16_hi v[4:5], v0, off offset:32
	v_mul_f32_e32 v0, v17, v0
	v_lshrrev_b32_e32 v0, 16, v0
.LBB267_83:
	s_or_b64 exec, exec, s[0:1]
	s_mov_b32 s0, 0x5040100
	v_or_b32_e32 v2, v21, v19
	v_perm_b32 v1, v0, v1, s0
	v_perm_b32 v0, v11, v9, s0
	v_lshlrev_b32_e32 v2, 1, v2
	ds_write_b64 v2, v[0:1] offset:45056
	s_waitcnt lgkmcnt(0)
	s_barrier
.LBB267_84:
	s_endpgm
	.section	.rodata,"a",@progbits
	.p2align	6, 0x0
	.amdhsa_kernel _ZN12_GLOBAL__N_139chunk_gated_delta_rule_fwd_h_hip_kernelILi32ELb1ELb0ELb1ELb0ELb1ELb1ELb1ELb1EEEvPK12hip_bfloat16S3_S3_PKfS5_PKvPS1_S8_PvPKiSB_iiiiilll
		.amdhsa_group_segment_fixed_size 49152
		.amdhsa_private_segment_fixed_size 0
		.amdhsa_kernarg_size 136
		.amdhsa_user_sgpr_count 2
		.amdhsa_user_sgpr_dispatch_ptr 0
		.amdhsa_user_sgpr_queue_ptr 0
		.amdhsa_user_sgpr_kernarg_segment_ptr 1
		.amdhsa_user_sgpr_dispatch_id 0
		.amdhsa_user_sgpr_kernarg_preload_length 0
		.amdhsa_user_sgpr_kernarg_preload_offset 0
		.amdhsa_user_sgpr_private_segment_size 0
		.amdhsa_uses_dynamic_stack 0
		.amdhsa_enable_private_segment 0
		.amdhsa_system_sgpr_workgroup_id_x 1
		.amdhsa_system_sgpr_workgroup_id_y 1
		.amdhsa_system_sgpr_workgroup_id_z 0
		.amdhsa_system_sgpr_workgroup_info 0
		.amdhsa_system_vgpr_workitem_id 0
		.amdhsa_next_free_vgpr 164
		.amdhsa_next_free_sgpr 70
		.amdhsa_accum_offset 144
		.amdhsa_reserve_vcc 1
		.amdhsa_float_round_mode_32 0
		.amdhsa_float_round_mode_16_64 0
		.amdhsa_float_denorm_mode_32 3
		.amdhsa_float_denorm_mode_16_64 3
		.amdhsa_dx10_clamp 1
		.amdhsa_ieee_mode 1
		.amdhsa_fp16_overflow 0
		.amdhsa_tg_split 0
		.amdhsa_exception_fp_ieee_invalid_op 0
		.amdhsa_exception_fp_denorm_src 0
		.amdhsa_exception_fp_ieee_div_zero 0
		.amdhsa_exception_fp_ieee_overflow 0
		.amdhsa_exception_fp_ieee_underflow 0
		.amdhsa_exception_fp_ieee_inexact 0
		.amdhsa_exception_int_div_zero 0
	.end_amdhsa_kernel
	.section	.text._ZN12_GLOBAL__N_139chunk_gated_delta_rule_fwd_h_hip_kernelILi32ELb1ELb0ELb1ELb0ELb1ELb1ELb1ELb1EEEvPK12hip_bfloat16S3_S3_PKfS5_PKvPS1_S8_PvPKiSB_iiiiilll,"axG",@progbits,_ZN12_GLOBAL__N_139chunk_gated_delta_rule_fwd_h_hip_kernelILi32ELb1ELb0ELb1ELb0ELb1ELb1ELb1ELb1EEEvPK12hip_bfloat16S3_S3_PKfS5_PKvPS1_S8_PvPKiSB_iiiiilll,comdat
.Lfunc_end267:
	.size	_ZN12_GLOBAL__N_139chunk_gated_delta_rule_fwd_h_hip_kernelILi32ELb1ELb0ELb1ELb0ELb1ELb1ELb1ELb1EEEvPK12hip_bfloat16S3_S3_PKfS5_PKvPS1_S8_PvPKiSB_iiiiilll, .Lfunc_end267-_ZN12_GLOBAL__N_139chunk_gated_delta_rule_fwd_h_hip_kernelILi32ELb1ELb0ELb1ELb0ELb1ELb1ELb1ELb1EEEvPK12hip_bfloat16S3_S3_PKfS5_PKvPS1_S8_PvPKiSB_iiiiilll
                                        ; -- End function
	.section	.AMDGPU.csdata,"",@progbits
; Kernel info:
; codeLenInByte = 8908
; NumSgprs: 76
; NumVgprs: 142
; NumAgprs: 20
; TotalNumVgprs: 164
; ScratchSize: 0
; MemoryBound: 0
; FloatMode: 240
; IeeeMode: 1
; LDSByteSize: 49152 bytes/workgroup (compile time only)
; SGPRBlocks: 9
; VGPRBlocks: 20
; NumSGPRsForWavesPerEU: 76
; NumVGPRsForWavesPerEU: 164
; AccumOffset: 144
; Occupancy: 1
; WaveLimiterHint : 1
; COMPUTE_PGM_RSRC2:SCRATCH_EN: 0
; COMPUTE_PGM_RSRC2:USER_SGPR: 2
; COMPUTE_PGM_RSRC2:TRAP_HANDLER: 0
; COMPUTE_PGM_RSRC2:TGID_X_EN: 1
; COMPUTE_PGM_RSRC2:TGID_Y_EN: 1
; COMPUTE_PGM_RSRC2:TGID_Z_EN: 0
; COMPUTE_PGM_RSRC2:TIDIG_COMP_CNT: 0
; COMPUTE_PGM_RSRC3_GFX90A:ACCUM_OFFSET: 35
; COMPUTE_PGM_RSRC3_GFX90A:TG_SPLIT: 0
	.section	.text._ZN12_GLOBAL__N_139chunk_gated_delta_rule_fwd_h_hip_kernelILi32ELb1ELb0ELb0ELb0ELb1ELb1ELb1ELb1EEEvPK12hip_bfloat16S3_S3_PKfS5_PKvPS1_S8_PvPKiSB_iiiiilll,"axG",@progbits,_ZN12_GLOBAL__N_139chunk_gated_delta_rule_fwd_h_hip_kernelILi32ELb1ELb0ELb0ELb0ELb1ELb1ELb1ELb1EEEvPK12hip_bfloat16S3_S3_PKfS5_PKvPS1_S8_PvPKiSB_iiiiilll,comdat
	.globl	_ZN12_GLOBAL__N_139chunk_gated_delta_rule_fwd_h_hip_kernelILi32ELb1ELb0ELb0ELb0ELb1ELb1ELb1ELb1EEEvPK12hip_bfloat16S3_S3_PKfS5_PKvPS1_S8_PvPKiSB_iiiiilll ; -- Begin function _ZN12_GLOBAL__N_139chunk_gated_delta_rule_fwd_h_hip_kernelILi32ELb1ELb0ELb0ELb0ELb1ELb1ELb1ELb1EEEvPK12hip_bfloat16S3_S3_PKfS5_PKvPS1_S8_PvPKiSB_iiiiilll
	.p2align	8
	.type	_ZN12_GLOBAL__N_139chunk_gated_delta_rule_fwd_h_hip_kernelILi32ELb1ELb0ELb0ELb0ELb1ELb1ELb1ELb1EEEvPK12hip_bfloat16S3_S3_PKfS5_PKvPS1_S8_PvPKiSB_iiiiilll,@function
_ZN12_GLOBAL__N_139chunk_gated_delta_rule_fwd_h_hip_kernelILi32ELb1ELb0ELb0ELb0ELb1ELb1ELb1ELb1EEEvPK12hip_bfloat16S3_S3_PKfS5_PKvPS1_S8_PvPKiSB_iiiiilll: ; @_ZN12_GLOBAL__N_139chunk_gated_delta_rule_fwd_h_hip_kernelILi32ELb1ELb0ELb0ELb0ELb1ELb1ELb1ELb1EEEvPK12hip_bfloat16S3_S3_PKfS5_PKvPS1_S8_PvPKiSB_iiiiilll
; %bb.0:
	s_load_dwordx4 s[12:15], s[0:1], 0x5c
	s_load_dwordx4 s[16:19], s[0:1], 0x28
	s_abs_i32 s6, s3
	s_ashr_i32 s5, s3, 31
	v_and_b32_e32 v64, 15, v0
	s_waitcnt lgkmcnt(0)
	s_abs_i32 s4, s13
	v_cvt_f32_u32_e32 v1, s4
	s_sub_i32 s8, 0, s4
	s_ashr_i32 s7, s13, 31
	s_xor_b32 s5, s5, s7
	v_rcp_iflag_f32_e32 v1, v1
	v_lshrrev_b32_e32 v62, 6, v0
	v_bfe_u32 v63, v0, 4, 2
	v_mov_b32_e32 v7, 0
	v_mul_f32_e32 v1, 0x4f7ffffe, v1
	v_cvt_u32_f32_e32 v1, v1
	v_and_b32_e32 v45, 63, v0
	v_lshlrev_b32_e32 v65, 3, v0
	v_lshrrev_b32_e32 v66, 3, v45
	v_readfirstlane_b32 s9, v1
	s_mul_i32 s8, s8, s9
	s_mul_hi_u32 s8, s9, s8
	s_add_i32 s9, s9, s8
	s_mul_hi_u32 s8, s6, s9
	s_mul_i32 s9, s8, s4
	s_sub_i32 s6, s6, s9
	s_add_i32 s10, s8, 1
	s_sub_i32 s9, s6, s4
	s_cmp_ge_u32 s6, s4
	s_cselect_b32 s8, s10, s8
	s_cselect_b32 s6, s9, s6
	s_add_i32 s9, s8, 1
	s_cmp_ge_u32 s6, s4
	s_cselect_b32 s6, s9, s8
	s_xor_b32 s6, s6, s5
	s_sub_i32 s51, s6, s5
	s_mul_i32 s6, s51, s13
	s_sub_i32 s49, s3, s6
	s_abs_i32 s3, s14
	v_cvt_f32_u32_e32 v1, s3
	s_add_i32 s8, s12, 63
	s_ashr_i32 s9, s8, 31
	s_lshr_b32 s5, s9, 26
	v_rcp_iflag_f32_e32 v1, v1
	s_ashr_i32 s50, s12, 31
	s_add_i32 s8, s8, s5
	s_lshr_b32 s5, s50, 26
	v_mul_f32_e32 v1, 0x4f7ffffe, v1
	v_cvt_u32_f32_e32 v1, v1
	s_add_i32 s5, s12, s5
	s_ashr_i32 s54, s14, 31
	s_ashr_i32 s52, s5, 6
	s_lshl_b32 s36, s2, 5
	s_xor_b32 s2, s7, s54
	s_sub_i32 s5, 0, s3
	v_readfirstlane_b32 s7, v1
	s_mul_i32 s5, s5, s7
	s_mul_hi_u32 s5, s7, s5
	s_add_i32 s7, s7, s5
	s_mul_hi_u32 s5, s4, s7
	s_mul_i32 s7, s5, s3
	s_sub_i32 s4, s4, s7
	s_ashr_i32 s25, s8, 6
	s_add_i32 s7, s5, 1
	s_sub_i32 s8, s4, s3
	s_cmp_ge_u32 s4, s3
	s_cselect_b32 s5, s7, s5
	s_cselect_b32 s4, s8, s4
	s_add_i32 s7, s5, 1
	s_cmp_ge_u32 s4, s3
	s_cselect_b32 s3, s7, s5
	s_xor_b32 s3, s3, s2
	s_sub_i32 s2, s3, s2
	s_abs_i32 s3, s2
	v_cvt_f32_u32_e32 v1, s3
	s_sub_i32 s5, 0, s3
	s_abs_i32 s4, s49
	s_xor_b32 s2, s49, s2
	v_rcp_iflag_f32_e32 v1, v1
	s_ashr_i32 s2, s2, 31
	v_or_b32_e32 v46, s36, v64
	v_lshlrev_b32_e32 v2, 7, v46
	v_mul_f32_e32 v1, 0x4f7ffffe, v1
	v_cvt_u32_f32_e32 v1, v1
	v_ashrrev_i32_e32 v3, 31, v2
	s_mul_i32 s56, s51, s25
	v_readfirstlane_b32 s7, v1
	s_mul_i32 s5, s5, s7
	s_mul_hi_u32 s5, s7, s5
	s_add_i32 s7, s7, s5
	s_mul_hi_u32 s5, s4, s7
	s_mul_i32 s7, s5, s3
	s_sub_i32 s4, s4, s7
	s_add_i32 s7, s5, 1
	s_sub_i32 s8, s4, s3
	s_cmp_ge_u32 s4, s3
	s_cselect_b32 s5, s7, s5
	s_cselect_b32 s4, s8, s4
	s_add_i32 s7, s5, 1
	s_cmp_ge_u32 s4, s3
	s_cselect_b32 s3, s7, s5
	s_xor_b32 s3, s3, s2
	s_sub_i32 s55, s3, s2
	s_ashr_i32 s24, s51, 31
	s_ashr_i32 s53, s49, 31
	s_mul_hi_i32 s2, s51, s13
	s_add_u32 s38, s6, s49
	s_addc_u32 s39, s2, s53
	s_lshl_b64 s[2:3], s[38:39], 15
	s_add_u32 s2, s16, s2
	s_addc_u32 s3, s17, s3
	v_lshlrev_b32_e32 v1, 4, v62
	v_lshl_add_u64 v[4:5], v[2:3], 1, s[2:3]
	v_or_b32_e32 v2, 0x800, v2
	v_lshl_or_b32 v67, v63, 2, v1
	v_ashrrev_i32_e32 v3, 31, v2
	v_lshlrev_b32_e32 v6, 1, v67
	v_lshl_add_u64 v[2:3], v[2:3], 1, s[2:3]
	v_lshl_add_u64 v[4:5], v[4:5], 0, v[6:7]
	;; [unrolled: 1-line block ×3, first 2 shown]
	global_load_dwordx2 v[8:9], v[4:5], off
	v_or_b32_e32 v68, 64, v67
	global_load_dwordx2 v[4:5], v[4:5], off offset:128
	s_nop 0
	global_load_dwordx2 v[6:7], v[2:3], off
	global_load_dwordx2 v[10:11], v[2:3], off offset:128
	s_load_dwordx8 s[4:11], s[0:1], 0x0
	s_load_dwordx2 s[28:29], s[0:1], 0x80
	s_load_dwordx4 s[20:23], s[0:1], 0x70
	s_mul_hi_u32 s57, s38, s12
	s_mul_i32 s16, s38, s12
	s_mul_i32 s39, s39, s12
	s_cmp_lt_i32 s12, 64
	s_waitcnt lgkmcnt(0)
	s_mul_i32 s33, s51, s21
	s_mul_hi_u32 s44, s51, s20
	s_mul_i32 s30, s51, s20
	s_mul_i32 s45, s49, s23
	s_mul_hi_u32 s46, s49, s22
	s_mul_i32 s48, s24, s20
	s_mul_i32 s47, s53, s22
	;; [unrolled: 1-line block ×3, first 2 shown]
	s_waitcnt vmcnt(3)
	v_and_b32_e32 v51, 0xffff0000, v8
	v_lshlrev_b32_e32 v50, 16, v8
	v_and_b32_e32 v55, 0xffff0000, v9
	v_lshlrev_b32_e32 v54, 16, v9
	s_waitcnt vmcnt(2)
	v_and_b32_e32 v49, 0xffff0000, v4
	v_lshlrev_b32_e32 v48, 16, v4
	v_and_b32_e32 v53, 0xffff0000, v5
	v_lshlrev_b32_e32 v52, 16, v5
	;; [unrolled: 5-line block ×4, first 2 shown]
	s_cbranch_scc1 .LBB268_3
; %bb.1:
	s_add_i32 s17, s57, s39
	s_lshl_b64 s[2:3], s[16:17], 8
	v_and_b32_e32 v76, 56, v65
	s_add_u32 s20, s6, s2
	v_lshl_or_b32 v75, v62, 3, v66
	v_lshlrev_b32_e32 v2, 1, v76
	s_addc_u32 s2, s7, s3
	v_lshl_or_b32 v77, v75, 8, v2
	s_and_b32 s21, s2, 0xffff
	s_mov_b32 s23, 0x20000
	s_movk_i32 s22, 0x4000
	s_movk_i32 s2, 0x80
	v_or_b32_e32 v79, 0x2000, v77
	buffer_load_dwordx4 v[4:7], v77, s[20:23], 0 offen
	buffer_load_dwordx4 v[8:11], v77, s[20:23], s2 offen
	;; [unrolled: 1-line block ×4, first 2 shown]
	v_lshlrev_b32_e32 v3, 3, v75
	v_and_or_b32 v21, v0, 7, v3
	v_and_b32_e32 v3, 0x78, v3
	v_lshlrev_b32_e32 v21, 4, v21
	v_xor_b32_e32 v81, v21, v3
	v_mul_lo_u32 v20, v75, s15
	v_or_b32_e32 v82, 0x1000, v81
	v_xor_b32_e32 v3, 8, v81
	s_cmpk_eq_i32 s15, 0x80
	s_mov_b32 s58, s14
	v_xor_b32_e32 v21, 8, v82
	s_cselect_b64 s[2:3], -1, 0
	s_cmpk_lg_i32 s15, 0x80
	s_waitcnt vmcnt(3)
	ds_write_b64 v81, v[4:5] offset:24576
	ds_write_b64 v3, v[6:7] offset:24576
	s_waitcnt vmcnt(2)
	ds_write_b64 v81, v[8:9] offset:32768
	ds_write_b64 v3, v[10:11] offset:32768
	;; [unrolled: 3-line block ×4, first 2 shown]
	v_lshl_add_u32 v3, v20, 1, v76
	s_cbranch_scc0 .LBB268_29
; %bb.2:
	v_lshlrev_b32_e32 v5, 1, v3
	v_add_lshl_u32 v4, v3, s15, 1
	s_lshl_b32 s22, s15, 7
	s_load_dwordx2 s[40:41], s[0:1], 0x20
	v_lshl_or_b32 v2, v75, 9, v2
	s_cbranch_execz .LBB268_30
	s_branch .LBB268_31
.LBB268_3:
	v_mov_b32_e32 v5, v78
	v_mov_b32_e32 v9, v80
.LBB268_4:
	s_lshl_b32 s26, s52, 6
	s_sub_i32 s27, s12, s26
	s_cmp_gt_i32 s27, 0
	s_cbranch_scc0 .LBB268_84
; %bb.5:
	s_ashr_i32 s2, s26, 31
	s_cmpk_lg_i32 s15, 0x80
	s_cselect_b64 s[22:23], -1, 0
	s_and_b64 vcc, exec, s[22:23]
	s_cbranch_vccz .LBB268_7
; %bb.6:
	s_mul_i32 s1, s51, s12
	s_mul_hi_i32 s0, s51, s12
	s_add_u32 s1, s1, s26
	s_addc_u32 s0, s0, s2
	s_mul_i32 s3, s1, s54
	s_mul_hi_u32 s17, s1, s14
	s_add_i32 s3, s17, s3
	s_mul_i32 s0, s0, s14
	s_add_i32 s3, s3, s0
	s_mul_i32 s1, s1, s14
	s_ashr_i32 s0, s55, 31
	s_add_u32 s24, s1, s55
	s_addc_u32 s25, s3, s0
	s_cbranch_execz .LBB268_8
	s_branch .LBB268_9
.LBB268_7:
                                        ; implicit-def: $sgpr24_sgpr25
.LBB268_8:
	s_mul_hi_i32 s0, s51, s14
	s_mul_i32 s51, s51, s14
	s_ashr_i32 s1, s55, 31
	s_add_u32 s3, s51, s55
	s_addc_u32 s0, s0, s1
	s_mul_i32 s1, s3, s50
	s_mul_hi_u32 s14, s3, s12
	s_add_i32 s1, s14, s1
	s_mul_i32 s0, s0, s12
	s_add_i32 s1, s1, s0
	s_mul_i32 s3, s3, s12
	s_add_u32 s24, s3, s26
	s_addc_u32 s25, s1, s2
.LBB268_9:
	s_mul_i32 s0, s38, s50
	s_add_i32 s0, s57, s0
	s_add_i32 s3, s56, s52
	;; [unrolled: 1-line block ×3, first 2 shown]
	s_add_u32 s0, s16, s26
	v_lshlrev_b32_e32 v8, 5, v67
	v_lshlrev_b32_e32 v22, 2, v64
	s_addc_u32 s1, s1, s2
	s_mov_b32 s2, 0x7060302
	v_or_b32_e32 v11, v8, v22
	v_xor_b32_e32 v4, v67, v22
	v_perm_b32 v3, v55, v54, s2
	v_perm_b32 v2, v51, v50, s2
	;; [unrolled: 1-line block ×4, first 2 shown]
	v_lshlrev_b32_e32 v11, 1, v11
	s_lshl_b64 s[20:21], s[0:1], 8
	v_xor_b32_e32 v10, v68, v22
	ds_write2st64_b64 v11, v[2:3], v[6:7] offset0:80 offset1:88
	v_lshlrev_b32_e32 v11, 1, v4
	v_lshlrev_b32_e32 v4, 8, v64
	s_add_u32 s0, s6, s20
	v_or_b32_e32 v12, v11, v4
	v_lshlrev_b32_e32 v10, 1, v10
	s_addc_u32 s1, s7, s21
	ds_write_b64 v12, v[2:3]
	v_or_b32_e32 v2, v10, v4
	s_mul_hi_i32 s6, s3, s13
	s_mul_i32 s3, s3, s13
	ds_write_b64 v2, v[6:7]
	v_perm_b32 v3, v9, v73, s2
	v_perm_b32 v2, v69, v71, s2
	;; [unrolled: 1-line block ×4, first 2 shown]
	v_or_b32_e32 v6, 16, v64
	s_add_u32 s2, s3, s49
	v_lshlrev_b32_e32 v19, 2, v6
	s_addc_u32 s3, s6, s53
	v_or_b32_e32 v7, v8, v19
	s_ashr_i32 s37, s36, 31
	s_lshl_b64 s[2:3], s[2:3], 15
	v_lshlrev_b32_e32 v7, 1, v7
	v_lshlrev_b32_e32 v6, 8, v6
	s_add_u32 s6, s18, s2
	ds_write2st64_b64 v7, v[2:3], v[4:5] offset0:80 offset1:88
	v_or_b32_e32 v7, v11, v6
	s_addc_u32 s7, s19, s3
	s_lshl_b64 s[2:3], s[36:37], 8
	ds_write_b64 v7, v[2:3]
	v_or_b32_e32 v2, v10, v6
	s_add_u32 s2, s6, s2
	ds_write_b64 v2, v[4:5]
	v_lshrrev_b32_e32 v2, 4, v0
	s_addc_u32 s3, s7, s3
	v_lshlrev_b32_e32 v3, 1, v64
	v_lshlrev_b32_e32 v10, 4, v64
	v_mov_b32_e32 v11, 0
	v_or_b32_e32 v4, 1, v3
	v_xor_b32_e32 v3, v2, v3
	v_lshl_add_u64 v[12:13], s[2:3], 0, v[10:11]
	v_lshlrev_b32_e32 v10, 8, v2
	v_xor_b32_e32 v6, v4, v2
	v_lshl_or_b32 v2, v3, 3, v10
	s_waitcnt lgkmcnt(0)
	s_barrier
	ds_read2st64_b64 v[2:5], v2 offset1:8
	v_lshl_or_b32 v6, v6, 3, v10
	ds_read2st64_b64 v[6:9], v6 offset1:8
	v_lshl_add_u64 v[14:15], v[12:13], 0, v[10:11]
	s_movk_i32 s2, 0x1000
	s_waitcnt lgkmcnt(1)
	v_mov_b32_e32 v10, v2
	v_add_co_u32_e32 v2, vcc, s2, v14
	s_cmp_lg_u32 s27, 64
	v_mov_b32_e32 v11, v3
	v_addc_co_u32_e32 v3, vcc, 0, v15, vcc
	s_cselect_b64 s[6:7], -1, 0
	v_lshl_or_b32 v23, v62, 3, v66
	s_waitcnt lgkmcnt(0)
	v_mov_b32_e32 v12, v6
	v_mov_b32_e32 v13, v7
	;; [unrolled: 1-line block ×4, first 2 shown]
	s_mov_b32 s16, 0
	v_or_b32_e32 v20, 32, v23
	v_and_b32_e32 v18, 56, v65
	s_and_b64 vcc, exec, s[6:7]
	global_store_dwordx4 v[14:15], v[10:13], off
	global_store_dwordx4 v[2:3], v[6:9], off
	s_cbranch_vccz .LBB268_15
; %bb.10:
	s_mov_b32 s17, s16
	s_mov_b32 s18, s16
	;; [unrolled: 1-line block ×3, first 2 shown]
	v_mov_b64_e32 v[6:7], s[16:17]
	v_mov_b64_e32 v[8:9], s[18:19]
	v_mov_b64_e32 v[2:3], v[6:7]
	v_cmp_gt_i32_e32 vcc, s27, v23
	v_mov_b64_e32 v[4:5], v[8:9]
	s_and_saveexec_b64 s[2:3], vcc
	s_cbranch_execz .LBB268_12
; %bb.11:
	v_lshlrev_b32_e32 v2, 8, v23
	v_mov_b32_e32 v3, 0
	v_lshl_add_u64 v[4:5], s[0:1], 0, v[2:3]
	v_lshlrev_b32_e32 v2, 1, v18
	v_lshl_add_u64 v[10:11], v[4:5], 0, v[2:3]
	global_load_dwordx4 v[6:9], v[10:11], off
	global_load_dwordx4 v[2:5], v[10:11], off offset:128
.LBB268_12:
	s_or_b64 exec, exec, s[2:3]
	s_mov_b32 s17, s16
	s_mov_b32 s18, s16
	;; [unrolled: 1-line block ×3, first 2 shown]
	v_mov_b64_e32 v[14:15], s[16:17]
	v_mov_b64_e32 v[16:17], s[18:19]
	;; [unrolled: 1-line block ×3, first 2 shown]
	v_cmp_gt_i32_e32 vcc, s27, v20
	v_lshlrev_b32_e32 v21, 7, v20
	v_mov_b64_e32 v[12:13], v[16:17]
	s_and_saveexec_b64 s[2:3], vcc
	s_cbranch_execz .LBB268_14
; %bb.13:
	v_lshlrev_b32_e32 v10, 1, v21
	v_mov_b32_e32 v11, 0
	v_lshl_add_u64 v[12:13], s[0:1], 0, v[10:11]
	v_lshlrev_b32_e32 v10, 1, v18
	v_lshl_add_u64 v[24:25], v[12:13], 0, v[10:11]
	global_load_dwordx4 v[14:17], v[24:25], off
	global_load_dwordx4 v[10:13], v[24:25], off offset:128
.LBB268_14:
	s_or_b64 exec, exec, s[2:3]
	v_lshrrev_b32_e32 v24, 3, v18
	v_lshlrev_b32_e32 v25, 3, v23
	v_or_b32_e32 v24, v25, v24
	v_lshlrev_b32_e32 v24, 4, v24
	v_and_b32_e32 v25, 0x78, v25
	v_xor_b32_e32 v24, v24, v25
	s_branch .LBB268_17
.LBB268_15:
                                        ; implicit-def: $vgpr24
                                        ; implicit-def: $vgpr21
                                        ; implicit-def: $vgpr6_vgpr7_vgpr8_vgpr9
                                        ; implicit-def: $vgpr2_vgpr3_vgpr4_vgpr5
                                        ; implicit-def: $vgpr14_vgpr15_vgpr16_vgpr17
                                        ; implicit-def: $vgpr10_vgpr11_vgpr12_vgpr13
	s_cbranch_execz .LBB268_17
; %bb.16:
	s_waitcnt vmcnt(0)
	v_lshlrev_b32_e32 v2, 1, v18
	v_lshl_or_b32 v21, v23, 8, v2
	s_and_b32 s1, s1, 0xffff
	s_mov_b32 s3, 0x20000
	s_movk_i32 s2, 0x4000
	v_lshl_or_b32 v24, v20, 8, v2
	s_movk_i32 s13, 0x80
	buffer_load_dwordx4 v[6:9], v21, s[0:3], 0 offen
	buffer_load_dwordx4 v[2:5], v21, s[0:3], s13 offen
	;; [unrolled: 1-line block ×4, first 2 shown]
	v_lshrrev_b32_e32 v21, 3, v18
	v_lshlrev_b32_e32 v24, 3, v23
	v_or_b32_e32 v21, v24, v21
	v_lshlrev_b32_e32 v21, 4, v21
	v_and_b32_e32 v24, 0x78, v24
	v_xor_b32_e32 v24, v21, v24
	v_lshlrev_b32_e32 v21, 7, v20
.LBB268_17:
	s_lshl_b64 s[0:1], s[24:25], 8
	s_add_u32 s4, s4, s0
	s_movk_i32 s0, 0x1000
	v_and_or_b32 v20, v21, s0, v24
	s_waitcnt vmcnt(1)
	ds_write_b64 v24, v[6:7] offset:24576
	v_xor_b32_e32 v6, 8, v24
	ds_write_b64 v6, v[8:9] offset:24576
	s_waitcnt vmcnt(0)
	ds_write_b64 v24, v[2:3] offset:32768
	ds_write_b64 v6, v[4:5] offset:32768
	;; [unrolled: 1-line block ×3, first 2 shown]
	v_xor_b32_e32 v2, 8, v20
	ds_write_b64 v2, v[16:17] offset:24576
	ds_write_b64 v20, v[10:11] offset:32768
	;; [unrolled: 1-line block ×3, first 2 shown]
	v_or_b32_e32 v2, v1, v64
	v_lshlrev_b32_e32 v3, 11, v62
	v_lshlrev_b32_e32 v2, 3, v2
	v_and_b32_e32 v6, 0x1000, v3
	v_lshrrev_b32_e32 v3, 5, v45
	s_movk_i32 s3, 0xf8
	v_and_or_b32 v3, v2, s3, v3
	v_lshlrev_b32_e32 v7, 4, v3
	v_and_b32_e32 v8, 0x78, v2
	v_or_b32_e32 v10, 32, v7
	v_lshrrev_b32_e32 v3, 1, v45
	v_xor_b32_e32 v10, v10, v8
	v_xor_b32_e32 v2, v7, v8
	v_and_b32_e32 v9, 8, v3
	v_or_b32_e32 v10, v10, v6
	v_or_b32_e32 v2, v2, v6
	v_xor_b32_e32 v26, v10, v9
	v_or_b32_e32 v10, 64, v7
	v_xor_b32_e32 v25, v2, v9
	v_xor_b32_e32 v10, v10, v8
	s_waitcnt lgkmcnt(0)
	s_barrier
	v_or_b32_e32 v12, v10, v6
	ds_read_b64 v[10:11], v25 offset:24576
	v_lshl_or_b32 v20, v63, 7, v22
	v_lshlrev_b32_e32 v24, 1, v20
	v_add_u32_e32 v2, 0xa000, v24
	ds_read2_b64 v[2:5], v2 offset1:16
	v_or_b32_e32 v7, 0x60, v7
	v_xor_b32_e32 v7, v7, v8
	s_waitcnt lgkmcnt(0)
	v_mfma_f32_16x16x16_bf16 a[0:3], v[10:11], v[2:3], 0
	v_or_b32_e32 v2, 64, v20
	v_or_b32_e32 v6, v7, v6
	v_lshlrev_b32_e32 v29, 1, v2
	v_xor_b32_e32 v27, v12, v9
	v_xor_b32_e32 v28, v6, v9
	ds_read_b64 v[12:13], v26 offset:24576
	ds_read_b64 v[14:15], v27 offset:24576
	;; [unrolled: 1-line block ×3, first 2 shown]
	v_mfma_f32_16x16x16_bf16 a[4:7], v[10:11], v[4:5], 0
	ds_read2st64_b64 v[2:5], v29 offset0:82 offset1:84
	ds_read2st64_b64 v[6:9], v24 offset0:82 offset1:84
	s_addc_u32 s5, s5, s1
	s_add_i32 s1, s44, s33
	s_add_i32 s0, s12, -1
	s_add_i32 s31, s1, s48
	s_add_i32 s1, s46, s45
	;; [unrolled: 1-line block ×3, first 2 shown]
	s_ashr_i32 s1, s0, 31
	s_mul_i32 s2, s0, s29
	s_mul_hi_u32 s3, s0, s28
	s_add_i32 s2, s3, s2
	s_mul_i32 s1, s1, s28
	s_waitcnt lgkmcnt(1)
	v_mfma_f32_16x16x16_bf16 a[4:7], v[12:13], v[2:3], a[4:7]
	s_add_i32 s1, s2, s1
	s_lshl_b64 s[2:3], s[30:31], 2
	s_add_u32 s10, s10, s2
	s_waitcnt lgkmcnt(0)
	v_mfma_f32_16x16x16_bf16 a[0:3], v[12:13], v[6:7], a[0:3]
	s_addc_u32 s11, s11, s3
	s_lshl_b64 s[2:3], s[34:35], 2
	s_mul_i32 s0, s0, s28
	s_add_u32 s10, s10, s2
	ds_read_b64 v[2:3], v24 offset:44032
	v_mfma_f32_16x16x16_bf16 a[4:7], v[14:15], v[4:5], a[4:7]
	ds_read_b64 v[4:5], v29 offset:44032
	s_addc_u32 s11, s11, s3
	s_lshl_b64 s[0:1], s[0:1], 2
	v_mfma_f32_16x16x16_bf16 a[0:3], v[14:15], v[8:9], a[0:3]
	s_add_u32 s0, s10, s0
	s_addc_u32 s1, s11, s1
	s_load_dword s12, s[0:1], 0x0
	s_waitcnt lgkmcnt(0)
	v_mfma_f32_16x16x16_bf16 a[0:3], v[16:17], v[2:3], a[0:3]
	s_and_b64 vcc, exec, s[22:23]
	v_mfma_f32_16x16x16_bf16 a[4:7], v[16:17], v[4:5], a[4:7]
	s_cbranch_vccz .LBB268_28
; %bb.18:
	v_lshlrev_b32_e32 v20, 1, v23
	s_and_b64 vcc, exec, s[6:7]
	s_cbranch_vccz .LBB268_44
; %bb.19:
	v_cmp_gt_i32_e32 vcc, s27, v20
	v_mov_b32_e32 v6, 0
	v_mov_b32_e32 v2, 0
	;; [unrolled: 1-line block ×5, first 2 shown]
	s_and_saveexec_b64 s[0:1], vcc
	s_cbranch_execz .LBB268_21
; %bb.20:
	v_mad_i64_i32 v[2:3], s[2:3], s15, v20, 0
	v_lshl_add_u64 v[2:3], v[2:3], 1, s[4:5]
	v_lshlrev_b32_e32 v4, 1, v18
	v_mov_b32_e32 v5, 0
	v_lshl_add_u64 v[2:3], v[2:3], 0, v[4:5]
	global_load_dwordx4 v[2:5], v[2:3], off
.LBB268_21:
	s_or_b64 exec, exec, s[0:1]
	v_or_b32_e32 v21, 1, v20
	v_cmp_gt_i32_e64 s[0:1], s27, v21
	v_mov_b32_e32 v7, 0
	v_mov_b32_e32 v8, 0
	;; [unrolled: 1-line block ×3, first 2 shown]
	s_and_saveexec_b64 s[2:3], s[0:1]
	s_cbranch_execz .LBB268_23
; %bb.22:
	v_mad_i64_i32 v[6:7], s[16:17], s15, v21, 0
	v_lshl_add_u64 v[6:7], v[6:7], 1, s[4:5]
	v_lshlrev_b32_e32 v8, 1, v18
	v_mov_b32_e32 v9, 0
	v_lshl_add_u64 v[6:7], v[6:7], 0, v[8:9]
	global_load_dwordx4 v[6:9], v[6:7], off
.LBB268_23:
	s_or_b64 exec, exec, s[2:3]
	v_mov_b32_e32 v17, 0
	v_mov_b32_e32 v10, 0
	;; [unrolled: 1-line block ×5, first 2 shown]
	s_and_saveexec_b64 s[2:3], vcc
	s_cbranch_execz .LBB268_25
; %bb.24:
	v_mad_i64_i32 v[10:11], s[16:17], s15, v20, 0
	v_lshl_add_u64 v[10:11], v[10:11], 1, s[4:5]
	v_lshlrev_b32_e32 v12, 1, v18
	v_mov_b32_e32 v13, 0
	v_lshl_add_u64 v[10:11], v[10:11], 0, v[12:13]
	global_load_dwordx4 v[10:13], v[10:11], off offset:128
.LBB268_25:
	s_or_b64 exec, exec, s[2:3]
	v_mov_b32_e32 v16, 0
	v_mov_b32_e32 v15, 0
	;; [unrolled: 1-line block ×3, first 2 shown]
	s_and_saveexec_b64 s[2:3], s[0:1]
	s_cbranch_execz .LBB268_27
; %bb.26:
	v_mad_i64_i32 v[14:15], s[0:1], s15, v21, 0
	v_lshl_add_u64 v[14:15], v[14:15], 1, s[4:5]
	v_lshlrev_b32_e32 v16, 1, v18
	v_mov_b32_e32 v17, 0
	v_lshl_add_u64 v[14:15], v[14:15], 0, v[16:17]
	global_load_dwordx4 v[14:17], v[14:15], off offset:128
.LBB268_27:
	s_or_b64 exec, exec, s[2:3]
	s_branch .LBB268_46
.LBB268_28:
                                        ; implicit-def: $vgpr5
                                        ; implicit-def: $vgpr9
                                        ; implicit-def: $vgpr13
                                        ; implicit-def: $vgpr17
	v_lshrrev_b32_e32 v30, 2, v45
	s_branch .LBB268_47
.LBB268_29:
                                        ; implicit-def: $vgpr4
                                        ; implicit-def: $vgpr5
                                        ; implicit-def: $sgpr22
	s_load_dwordx2 s[40:41], s[0:1], 0x20
	v_lshl_or_b32 v2, v75, 9, v2
.LBB268_30:
	v_or_b32_e32 v4, 0x100, v2
	s_movk_i32 s22, 0x4000
	v_mov_b32_e32 v5, v2
.LBB268_31:
	s_mul_hi_u32 s0, s14, s12
	s_mul_i32 s1, s54, s12
	s_add_i32 s0, s0, s1
	s_mul_i32 s1, s14, s12
	s_mul_i32 s20, s1, s24
	s_mul_hi_u32 s21, s1, s51
	s_add_i32 s20, s21, s20
	s_mul_i32 s0, s0, s51
	s_add_i32 s20, s20, s0
	s_mul_i32 s1, s1, s51
	s_ashr_i32 s59, s55, 31
	s_add_u32 s0, s1, s55
	s_addc_u32 s1, s20, s59
	s_lshl_b64 s[0:1], s[0:1], 8
	s_add_u32 s20, s4, s0
	s_addc_u32 s0, s5, s1
	s_and_b32 s21, s0, 0xffff
	s_movk_i32 s60, 0x80
	buffer_load_dwordx4 v[6:9], v5, s[20:23], 0 offen
	buffer_load_dwordx4 v[10:13], v5, s[20:23], s60 offen
	;; [unrolled: 1-line block ×4, first 2 shown]
	v_and_b32_e32 v4, 6, v0
	v_lshlrev_b32_e32 v23, 6, v67
	v_or_b32_e32 v25, 16, v64
	v_xor_b32_e32 v26, v75, v4
	v_and_b32_e32 v5, 1, v0
	v_lshl_or_b32 v29, v64, 3, v23
	v_lshl_or_b32 v23, v25, 3, v23
	v_lshlrev_b32_e32 v26, 2, v26
	s_mul_i32 s24, s24, s12
	s_mul_hi_u32 s0, s51, s12
	v_lshlrev_b32_e32 v22, 2, v64
	v_or_b32_e32 v85, 0xa000, v23
	v_or_b32_e32 v86, 0xb000, v23
	v_xor_b32_e32 v23, 0x440, v26
	v_cmp_eq_u32_e32 vcc, 0, v5
	v_xor_b32_e32 v27, v67, v22
	v_xor_b32_e32 v28, v68, v22
	v_cndmask_b32_e32 v5, v23, v26, vcc
	s_add_i32 s65, s0, s24
	s_add_i32 s0, s44, s33
	s_mov_b32 s63, 0x1000504
	v_lshlrev_b32_e32 v24, 8, v64
	v_lshlrev_b32_e32 v27, 1, v27
	;; [unrolled: 1-line block ×3, first 2 shown]
	v_lshl_or_b32 v4, v4, 10, v5
	s_add_i32 s31, s0, s48
	s_add_i32 s0, s46, s45
	s_mov_b32 s64, 0x3020706
	v_or_b32_e32 v83, 0xa000, v29
	v_or_b32_e32 v84, 0xb000, v29
	;; [unrolled: 1-line block ×4, first 2 shown]
	v_xor_b32_e32 v5, 8, v4
	v_xor_b32_e32 v24, 24, v4
	;; [unrolled: 1-line block ×4, first 2 shown]
	s_add_i32 s35, s0, s47
	s_lshl_b64 s[0:1], s[30:31], 2
	v_xor_b32_e32 v23, 16, v4
	v_xor_b32_e32 v26, 32, v4
	;; [unrolled: 1-line block ×3, first 2 shown]
	v_add_u32_e32 v5, 0x80, v5
	v_add_u32_e32 v24, 0x80, v24
	;; [unrolled: 1-line block ×4, first 2 shown]
	s_add_u32 s20, s10, s0
	s_addc_u32 s21, s11, s1
	s_lshl_b64 s[0:1], s[34:35], 2
	s_add_u32 s42, s20, s0
	s_movk_i32 s0, 0xf8
	s_addc_u32 s43, s21, s1
	s_ashr_i32 s37, s36, 31
	s_lshl_b32 s26, s15, 7
	s_movk_i32 s20, 0x100
	v_mov_b32_e32 v57, 0
	v_lshlrev_b32_e32 v56, 4, v64
	v_cmp_gt_u32_e32 vcc, s20, v0
	s_mul_i32 s61, s51, s12
	v_ashrrev_i32_e32 v47, 31, v46
	s_mov_b32 s62, 0
	s_movk_i32 s31, 0x1000
	s_movk_i32 s22, 0x4000
	v_lshl_add_u64 v[58:59], v[46:47], 1, s[8:9]
	s_mov_b32 s67, 0
	s_waitcnt vmcnt(1)
	v_perm_b32 v32, v6, v14, s63
	s_waitcnt vmcnt(0)
	v_perm_b32 v33, v10, v18, s63
	v_perm_b32 v6, v6, v14, s64
	v_perm_b32 v10, v10, v18, s64
	v_perm_b32 v14, v7, v15, s63
	v_perm_b32 v18, v11, v19, s63
	v_perm_b32 v7, v7, v15, s64
	v_perm_b32 v11, v11, v19, s64
	v_perm_b32 v15, v8, v16, s63
	v_perm_b32 v19, v12, v20, s63
	v_perm_b32 v8, v8, v16, s64
	v_perm_b32 v12, v12, v20, s64
	v_perm_b32 v16, v9, v17, s63
	v_perm_b32 v20, v13, v21, s63
	v_perm_b32 v9, v9, v17, s64
	v_perm_b32 v13, v13, v21, s64
	ds_write2st64_b32 v4, v32, v33 offset0:32 offset1:64
	ds_write2st64_b32 v5, v6, v10 offset0:32 offset1:64
	;; [unrolled: 1-line block ×8, first 2 shown]
	v_lshlrev_b32_e32 v4, 8, v25
	v_or_b32_e32 v89, v4, v27
	v_or_b32_e32 v90, v4, v28
	;; [unrolled: 1-line block ×3, first 2 shown]
	v_lshlrev_b32_e32 v4, 3, v4
	v_lshrrev_b32_e32 v7, 5, v45
	v_and_or_b32 v7, v4, s0, v7
	v_lshlrev_b32_e32 v7, 4, v7
	v_lshlrev_b32_e32 v9, 11, v62
	v_and_b32_e32 v4, 0x78, v4
	v_or_b32_e32 v12, 32, v7
	v_and_b32_e32 v6, 0x1000, v9
	v_lshrrev_b32_e32 v10, 1, v45
	v_xor_b32_e32 v12, v12, v4
	v_xor_b32_e32 v8, v7, v4
	v_and_b32_e32 v10, 8, v10
	v_or_b32_e32 v12, v12, v6
	v_or_b32_e32 v8, v8, v6
	v_lshlrev_b32_e32 v11, 7, v63
	v_xor_b32_e32 v93, v12, v10
	v_or_b32_e32 v12, 64, v7
	v_or_b32_e32 v7, 0x60, v7
	v_xor_b32_e32 v91, v8, v10
	v_or_b32_e32 v8, v11, v22
	v_xor_b32_e32 v12, v12, v4
	v_xor_b32_e32 v4, v7, v4
	s_lshl_b64 s[0:1], s[36:37], 8
	v_lshlrev_b32_e32 v8, 1, v8
	v_or_b32_e32 v12, v12, v6
	v_or_b32_e32 v4, v4, v6
	s_add_u32 s0, s18, s0
	v_lshlrev_b32_e32 v6, 1, v64
	v_or_b32_e32 v92, 0xa000, v8
	v_or_b32_e32 v94, 0xa080, v8
	;; [unrolled: 1-line block ×4, first 2 shown]
	v_lshrrev_b32_e32 v8, 4, v0
	s_addc_u32 s1, s19, s1
	v_or_b32_e32 v7, 1, v6
	v_mov_b32_e32 v17, 0x4000
	v_mov_b32_e32 v18, 0x2000
	v_lshrrev_b32_e32 v19, 1, v0
	v_xor_b32_e32 v95, v12, v10
	v_xor_b32_e32 v96, v4, v10
	;; [unrolled: 1-line block ×4, first 2 shown]
	v_lshl_add_u64 v[6:7], s[0:1], 0, v[56:57]
	v_lshlrev_b32_e32 v56, 8, v8
	v_cndmask_b32_e32 v17, v17, v18, vcc
	v_lshlrev_b32_e32 v18, 3, v62
	v_and_b32_e32 v19, 24, v19
	v_lshl_or_b32 v99, v10, 3, v56
	v_and_b32_e32 v10, 8, v0
	v_xor_b32_e32 v20, v18, v19
	v_or_b32_e32 v21, 0x440, v20
	v_cmp_eq_u32_e32 vcc, 0, v10
	v_and_b32_e32 v8, 7, v0
	v_lshl_or_b32 v100, v14, 3, v56
	v_cndmask_b32_e32 v10, v21, v20, vcc
	v_lshlrev_b32_e32 v14, 3, v8
	v_lshlrev_b32_e32 v16, 2, v0
	v_or_b32_e32 v10, v10, v9
	v_xor_b32_e32 v20, v10, v14
	v_and_or_b32 v10, v16, 60, v11
	v_mov_b32_e32 v11, 0xb000
	v_lshl_or_b32 v101, v10, 1, v11
	v_or_b32_e32 v10, 32, v19
	v_xor_b32_e32 v10, v18, v10
	v_or_b32_e32 v11, 0x440, v10
	v_cndmask_b32_e32 v10, v11, v10, vcc
	v_or_b32_e32 v10, v10, v9
	v_xor_b32_e32 v11, v10, v14
	v_or_b32_e32 v10, 64, v19
	v_xor_b32_e32 v10, v18, v10
	v_xor_b32_e32 v22, 0x440, v10
	v_cndmask_b32_e32 v10, v22, v10, vcc
	v_or_b32_e32 v10, v10, v9
	v_xor_b32_e32 v22, v10, v14
	v_or_b32_e32 v10, 0x60, v19
	v_xor_b32_e32 v10, v18, v10
	v_xor_b32_e32 v18, 0x440, v10
	v_cndmask_b32_e32 v10, v18, v10, vcc
	v_lshrrev_b32_e32 v5, 2, v45
	v_or_b32_e32 v9, v10, v9
	v_and_b32_e32 v5, 12, v5
	v_xor_b32_e32 v9, v9, v14
	v_lshlrev_b32_e32 v4, 7, v67
	v_lshlrev_b32_e32 v12, 1, v3
	v_add_lshl_u32 v3, v3, s15, 1
	v_or_b32_e32 v13, 0x100, v2
	v_lshlrev_b32_e32 v15, 7, v8
	v_or_b32_e32 v8, v5, v1
	v_add_u32_e32 v21, v17, v20
	v_add_u32_e32 v16, v17, v11
	v_add_u32_e32 v23, v17, v22
	v_add_u32_e32 v14, v17, v9
	v_or3_b32 v10, v1, v5, 64
	v_add_u32_e32 v5, 0x4000, v20
	v_add_u32_e32 v11, 0x4000, v11
	;; [unrolled: 1-line block ×4, first 2 shown]
	v_cndmask_b32_e64 v102, v12, v2, s[2:3]
	v_cndmask_b32_e64 v103, v3, v13, s[2:3]
	v_lshl_add_u64 v[60:61], v[6:7], 0, v[56:57]
	s_add_i32 s35, s61, 63
	s_mov_b32 s37, 0x7060302
	v_lshlrev_b32_e32 v56, 1, v4
	v_lshlrev_b32_e32 v47, 2, v8
	v_add_u32_e32 v104, v21, v15
	v_add_u32_e32 v105, v16, v15
	;; [unrolled: 1-line block ×4, first 2 shown]
	v_lshlrev_b32_e32 v108, 2, v10
	v_add_u32_e32 v109, v5, v15
	v_add_u32_e32 v110, v11, v15
	;; [unrolled: 1-line block ×4, first 2 shown]
	s_waitcnt lgkmcnt(0)
	s_barrier
.LBB268_32:                             ; =>This Inner Loop Header: Depth=1
	s_add_i32 s66, s67, 1
	s_cmp_lt_i32 s66, s52
	s_mov_b64 s[24:25], 0
	s_cselect_b64 s[2:3], -1, 0
	s_cmp_ge_i32 s66, s52
	s_mov_b64 s[20:21], 0
	s_cbranch_scc1 .LBB268_34
; %bb.33:                               ;   in Loop: Header=BB268_32 Depth=1
	s_add_i32 s0, s62, 64
	s_add_u32 s0, s16, s0
	s_addc_u32 s1, s17, 0
	s_lshl_b64 s[0:1], s[0:1], 8
	s_add_u32 s20, s6, s0
	s_addc_u32 s21, s7, s1
.LBB268_34:                             ;   in Loop: Header=BB268_32 Depth=1
	v_cndmask_b32_e64 v2, 0, 1, s[2:3]
	v_cmp_ne_u32_e64 s[0:1], 1, v2
	s_andn2_b64 vcc, exec, s[2:3]
	s_cbranch_vccnz .LBB268_36
; %bb.35:                               ;   in Loop: Header=BB268_32 Depth=1
	s_add_i32 s2, s62, 64
	s_add_u32 s2, s61, s2
	s_addc_u32 s3, s65, 0
	s_mul_i32 s24, s2, s54
	s_mul_hi_u32 s25, s2, s58
	s_add_i32 s24, s25, s24
	s_mul_i32 s3, s3, s58
	s_add_i32 s24, s24, s3
	s_mul_i32 s2, s2, s58
	s_add_u32 s2, s2, s55
	s_addc_u32 s3, s24, s59
	s_lshl_b64 s[2:3], s[2:3], 8
	s_add_u32 s24, s4, s2
	s_addc_u32 s25, s5, s3
.LBB268_36:                             ;   in Loop: Header=BB268_32 Depth=1
	v_perm_b32 v3, v55, v54, s37
	v_perm_b32 v2, v51, v50, s37
	;; [unrolled: 1-line block ×4, first 2 shown]
	ds_write_b64 v83, v[2:3]
	ds_write_b64 v84, v[4:5]
	;; [unrolled: 1-line block ×4, first 2 shown]
	v_perm_b32 v3, v80, v73, s37
	v_perm_b32 v2, v69, v71, s37
	v_perm_b32 v5, v78, v74, s37
	v_perm_b32 v4, v70, v72, s37
	ds_write_b64 v85, v[2:3]
	ds_write_b64 v86, v[4:5]
	;; [unrolled: 1-line block ×4, first 2 shown]
	s_waitcnt lgkmcnt(0)
	s_barrier
	ds_read_b64 v[6:7], v91 offset:24576
	ds_read2_b64 v[2:5], v92 offset1:16
	ds_read_b64 v[10:11], v94 offset:3072
	ds_read_b64 v[12:13], v92 offset:3072
	;; [unrolled: 1-line block ×3, first 2 shown]
	s_waitcnt lgkmcnt(3)
	v_mfma_f32_16x16x16_bf16 a[0:3], v[6:7], v[2:3], 0
	s_add_i32 s2, s62, 63
	s_mul_i32 s3, s2, s29
	s_mul_hi_u32 s27, s2, s28
	v_mfma_f32_16x16x16_bf16 a[4:7], v[6:7], v[4:5], 0
	ds_read2st64_b64 v[2:5], v92 offset0:2 offset1:4
	ds_read2st64_b64 v[6:9], v94 offset0:2 offset1:4
	s_add_i32 s3, s27, s3
	s_waitcnt lgkmcnt(1)
	v_mfma_f32_16x16x16_bf16 a[0:3], v[14:15], v[2:3], a[0:3]
	s_mul_i32 s2, s2, s28
	s_lshl_b64 s[2:3], s[2:3], 2
	s_add_u32 s2, s42, s2
	s_waitcnt lgkmcnt(0)
	v_mfma_f32_16x16x16_bf16 a[4:7], v[14:15], v[6:7], a[4:7]
	ds_read_b64 v[2:3], v95 offset:24576
	ds_read_b64 v[6:7], v96 offset:24576
	s_addc_u32 s3, s43, s3
	s_and_b64 vcc, exec, s[0:1]
	s_waitcnt lgkmcnt(1)
	v_mfma_f32_16x16x16_bf16 a[0:3], v[2:3], v[4:5], a[0:3]
	v_mov_b32_e32 v115, 0
	v_mov_b32_e32 v114, 0
	;; [unrolled: 1-line block ×3, first 2 shown]
	v_mfma_f32_16x16x16_bf16 a[4:7], v[2:3], v[8:9], a[4:7]
	v_mov_b32_e32 v2, 0
	v_mov_b32_e32 v3, 0
	;; [unrolled: 1-line block ×3, first 2 shown]
	s_waitcnt lgkmcnt(0)
	v_mfma_f32_16x16x16_bf16 a[0:3], v[6:7], v[12:13], a[0:3]
	v_mov_b32_e32 v5, 0
	v_mov_b32_e32 v8, 0
	;; [unrolled: 1-line block ×3, first 2 shown]
	v_mfma_f32_16x16x16_bf16 a[4:7], v[6:7], v[10:11], a[4:7]
	v_mov_b32_e32 v6, 0
	v_mov_b32_e32 v7, 0
	;; [unrolled: 1-line block ×10, first 2 shown]
	s_cbranch_vccnz .LBB268_38
; %bb.37:                               ;   in Loop: Header=BB268_32 Depth=1
	s_and_b32 s21, s21, 0xffff
	buffer_load_dwordx4 v[14:17], v77, s[20:23], 0 offen
	buffer_load_dwordx4 v[10:13], v77, s[20:23], s60 offen
	;; [unrolled: 1-line block ×4, first 2 shown]
	v_mov_b32_e32 v114, v81
	v_mov_b32_e32 v113, v82
.LBB268_38:                             ;   in Loop: Header=BB268_32 Depth=1
	ds_read_b64 v[22:23], v91 offset:32768
	ds_read2_b64 v[18:21], v97 offset1:16
	ds_read_b64 v[26:27], v93 offset:32768
	ds_read_b64 v[28:29], v95 offset:32768
	;; [unrolled: 1-line block ×3, first 2 shown]
	v_add_u32_e32 v34, s62, v67
	s_waitcnt lgkmcnt(3)
	v_mfma_f32_16x16x16_bf16 a[0:3], v[22:23], v[18:19], a[0:3]
	v_mov_b32_e32 v116, 0
	v_mfma_f32_16x16x16_bf16 a[4:7], v[22:23], v[20:21], a[4:7]
	ds_read2st64_b64 v[18:21], v97 offset0:2 offset1:4
	ds_read2st64_b64 v[22:25], v98 offset0:2 offset1:4
	s_waitcnt lgkmcnt(1)
	v_mfma_f32_16x16x16_bf16 a[0:3], v[26:27], v[18:19], a[0:3]
	ds_read_b64 v[18:19], v97 offset:3072
	ds_read_b64 v[32:33], v98 offset:3072
	s_waitcnt lgkmcnt(2)
	v_mfma_f32_16x16x16_bf16 a[4:7], v[26:27], v[22:23], a[4:7]
	v_ashrrev_i32_e32 v22, 31, v34
	v_mul_lo_u32 v23, v34, s29
	v_mul_lo_u32 v22, v22, s28
	v_mfma_f32_16x16x16_bf16 a[0:3], v[28:29], v[20:21], a[0:3]
	v_mad_u64_u32 v[20:21], s[20:21], v34, s28, 0
	v_add3_u32 v21, v21, v23, v22
	v_lshl_add_u64 v[20:21], v[20:21], 2, s[42:43]
	global_load_dword v26, v[20:21], off
	v_add_u32_e32 v20, 1, v34
	v_ashrrev_i32_e32 v21, 31, v20
	s_waitcnt lgkmcnt(1)
	v_mfma_f32_16x16x16_bf16 a[0:3], v[30:31], v[18:19], a[0:3]
	v_mul_lo_u32 v21, v21, s28
	v_mul_lo_u32 v22, v20, s29
	v_mad_u64_u32 v[18:19], s[20:21], v20, s28, 0
	v_add_u32_e32 v20, 2, v34
	v_add3_u32 v19, v19, v22, v21
	v_ashrrev_i32_e32 v21, 31, v20
	v_mul_lo_u32 v22, v21, s28
	v_mul_lo_u32 v23, v20, s29
	v_mad_u64_u32 v[20:21], s[20:21], v20, s28, 0
	v_add3_u32 v21, v21, v23, v22
	v_add_u32_e32 v22, 3, v34
	v_ashrrev_i32_e32 v23, 31, v22
	v_mfma_f32_16x16x16_bf16 a[4:7], v[28:29], v[24:25], a[4:7]
	v_mul_lo_u32 v24, v23, s28
	v_mul_lo_u32 v25, v22, s29
	v_mad_u64_u32 v[22:23], s[20:21], v22, s28, 0
	s_add_u32 s20, s16, s62
	s_addc_u32 s21, s17, 0
	s_lshl_b64 s[20:21], s[20:21], 8
	v_add3_u32 v23, v23, v25, v24
	v_lshl_add_u64 v[24:25], v[58:59], 0, s[20:21]
	v_lshl_add_u64 v[18:19], v[18:19], 2, s[42:43]
	v_lshl_add_u64 v[24:25], v[24:25], 0, v[56:57]
	v_lshl_add_u64 v[20:21], v[20:21], 2, s[42:43]
	global_load_ushort v28, v[24:25], off
	global_load_ushort v27, v[24:25], off offset:256
	global_load_ushort v36, v[24:25], off offset:800
	;; [unrolled: 1-line block ×7, first 2 shown]
	v_lshl_add_u64 v[22:23], v[22:23], 2, s[42:43]
	global_load_dword v39, v[18:19], off
	global_load_dword v40, v[20:21], off
	;; [unrolled: 1-line block ×3, first 2 shown]
	s_load_dword s2, s[2:3], 0x0
	s_waitcnt lgkmcnt(0)
	v_mfma_f32_16x16x16_bf16 a[4:7], v[30:31], v[32:33], a[4:7]
	v_accvgpr_read_b32 v23, a1
	v_accvgpr_read_b32 v19, a3
	;; [unrolled: 1-line block ×4, first 2 shown]
	s_and_b64 vcc, exec, s[0:1]
	s_waitcnt vmcnt(11)
	v_sub_f32_e32 v32, s2, v26
	v_exp_f32_e32 v32, v32
	v_accvgpr_read_b32 v25, a5
	v_accvgpr_read_b32 v24, a4
	;; [unrolled: 1-line block ×4, first 2 shown]
	s_waitcnt vmcnt(10)
	v_lshlrev_b32_e32 v26, 16, v28
	s_waitcnt vmcnt(9)
	v_lshlrev_b32_e32 v27, 16, v27
	v_pk_add_f32 v[22:23], v[26:27], v[22:23] neg_lo:[0,1] neg_hi:[0,1]
	s_waitcnt vmcnt(7)
	v_lshlrev_b32_e32 v29, 16, v29
	v_mov_b32_e32 v26, 0
	s_waitcnt vmcnt(5)
	v_lshlrev_b32_e32 v28, 16, v34
	s_waitcnt vmcnt(4)
	v_lshlrev_b32_e32 v31, 16, v35
	s_waitcnt vmcnt(2)
	v_sub_f32_e32 v33, s2, v39
	s_waitcnt vmcnt(1)
	v_sub_f32_e32 v34, s2, v40
	;; [unrolled: 2-line block ×3, first 2 shown]
	v_exp_f32_e32 v33, v33
	v_exp_f32_e32 v34, v34
	v_exp_f32_e32 v35, v35
	v_pk_add_f32 v[18:19], v[28:29], v[18:19] neg_lo:[0,1] neg_hi:[0,1]
	v_lshlrev_b32_e32 v30, 16, v38
	v_pk_mul_f32 v[22:23], v[32:33], v[22:23]
	v_pk_mul_f32 v[18:19], v[34:35], v[18:19]
	v_mov_b32_e32 v27, 0
	v_perm_b32 v19, v19, v18, s37
	v_perm_b32 v18, v23, v22, s37
	v_pk_add_f32 v[22:23], v[30:31], v[24:25] neg_lo:[0,1] neg_hi:[0,1]
	v_lshlrev_b32_e32 v25, 16, v36
	v_lshlrev_b32_e32 v24, 16, v37
	v_pk_add_f32 v[20:21], v[24:25], v[20:21] neg_lo:[0,1] neg_hi:[0,1]
	v_pk_mul_f32 v[22:23], v[32:33], v[22:23]
	v_pk_mul_f32 v[20:21], v[34:35], v[20:21]
	v_mov_b32_e32 v24, 0
	v_perm_b32 v21, v21, v20, s37
	v_perm_b32 v20, v23, v22, s37
	ds_write2_b64 v84, v[18:19], v[20:21] offset1:16
	v_mov_b32_e32 v18, 0
	v_mov_b32_e32 v19, 0
	v_mov_b32_e32 v20, 0
	v_mov_b32_e32 v21, 0
	v_mov_b32_e32 v22, 0
	v_mov_b32_e32 v23, 0
	v_mov_b32_e32 v25, 0
	v_mov_b32_e32 v28, 0
	v_mov_b32_e32 v29, 0
	v_mov_b32_e32 v30, 0
	v_mov_b32_e32 v31, 0
	v_mov_b32_e32 v32, 0
	v_mov_b32_e32 v33, 0
	s_cbranch_vccnz .LBB268_40
; %bb.39:                               ;   in Loop: Header=BB268_32 Depth=1
	s_and_b32 s25, s25, 0xffff
	s_mov_b32 s27, s23
	buffer_load_dwordx4 v[30:33], v102, s[24:27], 0 offen
	buffer_load_dwordx4 v[22:25], v102, s[24:27], s60 offen
	;; [unrolled: 1-line block ×4, first 2 shown]
	v_mov_b32_e32 v115, v76
	v_mov_b32_e32 v116, v75
.LBB268_40:                             ;   in Loop: Header=BB268_32 Depth=1
	s_waitcnt lgkmcnt(0)
	s_barrier
	ds_read_b64 v[38:39], v104
	ds_read_b64 v[122:123], v101
	;; [unrolled: 1-line block ×5, first 2 shown]
	ds_read_b64 v[136:137], v98 offset:3072
	ds_read2_b64 v[34:37], v97 offset0:16 offset1:128
	s_waitcnt lgkmcnt(5)
	v_mfma_f32_16x16x16_bf16 a[0:3], v[38:39], v[122:123], 0
	s_add_i32 s3, s56, s67
	s_mul_hi_i32 s21, s3, s13
	s_mul_i32 s3, s3, s13
	s_waitcnt lgkmcnt(0)
	v_mfma_f32_16x16x16_bf16 a[4:7], v[38:39], v[34:35], 0
	ds_read_b64 v[38:39], v109
	ds_read2st64_b64 v[40:43], v98 offset0:2 offset1:4
	s_add_u32 s20, s3, s49
	s_addc_u32 s21, s21, s53
	s_add_i32 s3, s35, s62
	s_lshl_b64 s[20:21], s[20:21], 15
	s_mul_hi_i32 s25, s3, s13
	s_mul_i32 s3, s3, s13
	s_add_u32 s24, s3, s49
	s_waitcnt lgkmcnt(1)
	v_mfma_f32_16x16x16_bf16 a[8:11], v[38:39], v[122:123], 0
	s_addc_u32 s25, s25, s53
	ds_read2st64_b64 v[118:121], v97 offset0:4 offset1:6
	s_lshl_b64 s[24:25], s[24:25], 9
	v_mfma_f32_16x16x16_bf16 a[0:3], v[124:125], v[36:37], a[0:3]
	s_add_u32 s24, s40, s24
	s_addc_u32 s25, s41, s25
	s_waitcnt lgkmcnt(1)
	v_mfma_f32_16x16x16_bf16 a[4:7], v[124:125], v[40:41], a[4:7]
	ds_read_b64 v[124:125], v110
	ds_read_b64 v[132:133], v111
	;; [unrolled: 1-line block ×3, first 2 shown]
	v_mfma_f32_16x16x16_bf16 a[12:15], v[38:39], v[34:35], 0
	s_waitcnt lgkmcnt(2)
	v_mfma_f32_16x16x16_bf16 a[8:11], v[124:125], v[36:37], a[8:11]
	global_load_dwordx4 v[34:37], v108, s[24:25]
	v_mfma_f32_16x16x16_bf16 a[12:15], v[124:125], v[40:41], a[12:15]
	global_load_dwordx4 v[38:41], v47, s[24:25]
	ds_read2st64_b64 v[122:125], v99 offset1:8
	s_waitcnt lgkmcnt(0)
	v_mov_b32_e32 v130, v122
	v_mfma_f32_16x16x16_bf16 a[0:3], v[126:127], v[118:119], a[0:3]
	v_mov_b32_e32 v131, v123
	v_mfma_f32_16x16x16_bf16 a[4:7], v[126:127], v[42:43], a[4:7]
	ds_read2st64_b64 v[126:129], v100 offset1:8
	v_mfma_f32_16x16x16_bf16 a[8:11], v[132:133], v[118:119], a[8:11]
	v_lshl_add_u64 v[118:119], v[60:61], 0, s[20:21]
	v_mfma_f32_16x16x16_bf16 a[16:19], v[132:133], v[42:43], a[12:15]
	v_add_co_u32_e32 v42, vcc, s31, v118
	s_waitcnt lgkmcnt(0)
	v_mov_b32_e32 v132, v126
	v_mfma_f32_16x16x16_bf16 a[0:3], v[134:135], v[120:121], a[0:3]
	v_mov_b32_e32 v133, v127
	v_mov_b32_e32 v126, v124
	;; [unrolled: 1-line block ×3, first 2 shown]
	v_mfma_f32_16x16x16_bf16 a[4:7], v[134:135], v[136:137], a[4:7]
	v_addc_co_u32_e32 v43, vcc, 0, v119, vcc
	global_store_dwordx4 v[42:43], v[126:129], off
	v_mfma_f32_16x16x16_bf16 a[12:15], v[138:139], v[120:121], a[8:11]
	s_and_b64 vcc, exec, s[0:1]
	global_store_dwordx4 v[118:119], v[130:133], off
	s_waitcnt vmcnt(3)
	v_mov_b32_e32 v44, v37
	v_mfma_f32_16x16x16_bf16 a[8:11], v[138:139], v[136:137], a[16:19]
	v_mov_b32_e32 v43, v36
	v_mov_b32_e32 v42, v35
	s_cbranch_vccnz .LBB268_42
; %bb.41:                               ;   in Loop: Header=BB268_32 Depth=1
	v_lshrrev_b32_e32 v35, 3, v115
	v_and_b32_e32 v35, 6, v35
	v_xor_b32_e32 v36, v35, v116
	v_lshlrev_b32_e32 v36, 2, v36
	v_and_b32_e32 v37, 8, v115
	v_xor_b32_e32 v115, 0x440, v36
	v_cmp_eq_u32_e32 vcc, 0, v37
	v_perm_b32 v37, v22, v18, s63
	s_nop 0
	v_cndmask_b32_e32 v36, v115, v36, vcc
	v_lshl_or_b32 v35, v35, 10, v36
	v_perm_b32 v36, v30, v26, s63
	s_barrier
	ds_write2st64_b32 v35, v36, v37 offset0:32 offset1:64
	v_xor_b32_e32 v36, 8, v35
	v_perm_b32 v26, v30, v26, s64
	v_perm_b32 v18, v22, v18, s64
	v_add_u32_e32 v22, 0x80, v36
	ds_write2st64_b32 v22, v26, v18 offset0:32 offset1:64
	v_xor_b32_e32 v18, 16, v35
	v_perm_b32 v22, v31, v27, s63
	v_perm_b32 v26, v23, v19, s63
	ds_write2st64_b32 v18, v22, v26 offset0:33 offset1:65
	v_xor_b32_e32 v18, 24, v35
	v_perm_b32 v22, v31, v27, s64
	v_perm_b32 v19, v23, v19, s64
	v_add_u32_e32 v18, 0x80, v18
	ds_write2st64_b32 v18, v22, v19 offset0:33 offset1:65
	v_xor_b32_e32 v18, 32, v35
	v_perm_b32 v19, v32, v28, s63
	v_perm_b32 v22, v24, v20, s63
	;; [unrolled: 9-line block ×3, first 2 shown]
	ds_write2st64_b32 v18, v19, v20 offset0:35 offset1:67
	v_xor_b32_e32 v18, 56, v35
	v_perm_b32 v19, v33, v29, s64
	v_perm_b32 v20, v25, v21, s64
	v_add_u32_e32 v18, 0x80, v18
	ds_write2st64_b32 v18, v19, v20 offset0:35 offset1:67
	ds_write_b64 v114, v[14:15] offset:24576
	v_xor_b32_e32 v14, 8, v114
	ds_write_b64 v14, v[16:17] offset:24576
	ds_write_b64 v114, v[10:11] offset:32768
	;; [unrolled: 1-line block ×4, first 2 shown]
	v_xor_b32_e32 v6, 8, v113
	ds_write_b64 v6, v[8:9] offset:24576
	ds_write_b64 v113, v[2:3] offset:32768
	;; [unrolled: 1-line block ×3, first 2 shown]
.LBB268_42:                             ;   in Loop: Header=BB268_32 Depth=1
	v_exp_f32_e32 v18, s2
	s_waitcnt vmcnt(2)
	v_exp_f32_e32 v20, v38
	v_exp_f32_e32 v21, v39
	;; [unrolled: 1-line block ×4, first 2 shown]
	v_accvgpr_read_b32 v13, a3
	v_accvgpr_read_b32 v11, a1
	;; [unrolled: 1-line block ×4, first 2 shown]
	v_pk_mul_f32 v[20:21], v[18:19], v[20:21] op_sel_hi:[0,1]
	v_accvgpr_read_b32 v12, a2
	v_accvgpr_read_b32 v7, a5
	;; [unrolled: 1-line block ×3, first 2 shown]
	v_pk_fma_f32 v[50:51], v[50:51], v[20:21], v[10:11]
	v_pk_mul_f32 v[10:11], v[18:19], v[22:23] op_sel_hi:[0,1]
	v_pk_fma_f32 v[54:55], v[54:55], v[10:11], v[12:13]
	v_fma_f32 v71, v71, v20, v6
	v_fma_f32 v69, v69, v21, v7
	v_exp_f32_e32 v6, v34
	v_exp_f32_e32 v7, v42
	;; [unrolled: 1-line block ×4, first 2 shown]
	v_accvgpr_read_b32 v8, a6
	v_accvgpr_read_b32 v17, a15
	;; [unrolled: 1-line block ×9, first 2 shown]
	v_fma_f32 v73, v73, v10, v8
	v_fmac_f32_e32 v9, v80, v11
	v_pk_mul_f32 v[6:7], v[18:19], v[6:7] op_sel_hi:[0,1]
	v_pk_mul_f32 v[10:11], v[18:19], v[12:13] op_sel_hi:[0,1]
	s_add_i32 s62, s62, 64
	v_pk_fma_f32 v[48:49], v[48:49], v[6:7], v[14:15]
	v_pk_fma_f32 v[52:53], v[52:53], v[10:11], v[16:17]
	v_fma_f32 v72, v72, v6, v2
	v_fma_f32 v70, v70, v7, v3
	;; [unrolled: 1-line block ×3, first 2 shown]
	s_cmp_eq_u32 s52, s66
	v_fmac_f32_e32 v5, v78, v11
	s_cbranch_scc1 .LBB268_4
; %bb.43:                               ;   in Loop: Header=BB268_32 Depth=1
	s_mov_b32 s67, s66
	v_mov_b32_e32 v80, v9
	v_mov_b32_e32 v78, v5
	s_branch .LBB268_32
.LBB268_44:
                                        ; implicit-def: $vgpr5
                                        ; implicit-def: $vgpr9
                                        ; implicit-def: $vgpr13
                                        ; implicit-def: $vgpr17
	s_cbranch_execz .LBB268_46
; %bb.45:
	s_waitcnt vmcnt(0)
	v_mad_u64_u32 v[2:3], s[0:1], v20, s15, v[18:19]
	v_lshlrev_b32_e32 v20, 1, v2
	s_lshl_b32 s2, s15, 7
	s_and_b32 s1, s5, 0xffff
	s_mov_b32 s3, 0x20000
	s_mov_b32 s0, s4
	v_add_lshl_u32 v21, v2, s15, 1
	s_movk_i32 s13, 0x80
	buffer_load_dwordx4 v[2:5], v20, s[0:3], 0 offen
	buffer_load_dwordx4 v[10:13], v20, s[0:3], s13 offen
	;; [unrolled: 1-line block ×4, first 2 shown]
.LBB268_46:
	v_lshrrev_b32_e32 v30, 2, v45
	s_cbranch_execnz .LBB268_59
.LBB268_47:
	s_and_b64 vcc, exec, s[6:7]
	s_cbranch_vccz .LBB268_57
; %bb.48:
	s_waitcnt vmcnt(0)
	v_lshlrev_b32_e32 v7, 1, v23
	v_cmp_gt_i32_e32 vcc, s27, v7
	v_mov_b32_e32 v6, 0
	v_lshlrev_b32_e32 v14, 9, v23
	v_mov_b32_e32 v2, 0
	v_mov_b32_e32 v3, 0
	;; [unrolled: 1-line block ×4, first 2 shown]
	s_and_saveexec_b64 s[0:1], vcc
	s_cbranch_execz .LBB268_50
; %bb.49:
	v_mov_b32_e32 v15, 0
	v_lshl_add_u64 v[2:3], s[4:5], 0, v[14:15]
	v_lshlrev_b32_e32 v4, 1, v18
	v_mov_b32_e32 v5, v15
	v_lshl_add_u64 v[2:3], v[2:3], 0, v[4:5]
	global_load_dwordx4 v[2:5], v[2:3], off
.LBB268_50:
	s_or_b64 exec, exec, s[0:1]
	v_or_b32_e32 v7, 1, v7
	v_cmp_gt_i32_e64 s[0:1], s27, v7
	v_lshlrev_b32_e32 v20, 8, v7
	v_mov_b32_e32 v7, 0
	v_mov_b32_e32 v8, 0
	;; [unrolled: 1-line block ×3, first 2 shown]
	s_and_saveexec_b64 s[2:3], s[0:1]
	s_cbranch_execz .LBB268_52
; %bb.51:
	v_mov_b32_e32 v21, 0
	v_lshl_add_u64 v[6:7], s[4:5], 0, v[20:21]
	v_lshlrev_b32_e32 v8, 1, v18
	v_mov_b32_e32 v9, v21
	v_lshl_add_u64 v[6:7], v[6:7], 0, v[8:9]
	global_load_dwordx4 v[6:9], v[6:7], off
.LBB268_52:
	s_or_b64 exec, exec, s[2:3]
	v_mov_b32_e32 v17, 0
	v_mov_b32_e32 v10, 0
	;; [unrolled: 1-line block ×5, first 2 shown]
	s_and_saveexec_b64 s[2:3], vcc
	s_cbranch_execz .LBB268_54
; %bb.53:
	v_mov_b32_e32 v15, 0
	v_lshl_add_u64 v[10:11], s[4:5], 0, v[14:15]
	v_lshlrev_b32_e32 v14, 1, v18
	v_lshl_add_u64 v[10:11], v[10:11], 0, v[14:15]
	global_load_dwordx4 v[10:13], v[10:11], off offset:128
.LBB268_54:
	s_or_b64 exec, exec, s[2:3]
	v_mov_b32_e32 v16, 0
	v_mov_b32_e32 v15, 0
	v_mov_b32_e32 v14, 0
	s_and_saveexec_b64 s[2:3], s[0:1]
	s_cbranch_execz .LBB268_56
; %bb.55:
	v_mov_b32_e32 v21, 0
	v_lshl_add_u64 v[14:15], s[4:5], 0, v[20:21]
	v_lshlrev_b32_e32 v20, 1, v18
	v_lshl_add_u64 v[14:15], v[14:15], 0, v[20:21]
	global_load_dwordx4 v[14:17], v[14:15], off offset:128
.LBB268_56:
	s_or_b64 exec, exec, s[2:3]
	s_branch .LBB268_59
.LBB268_57:
                                        ; implicit-def: $vgpr5
                                        ; implicit-def: $vgpr9
                                        ; implicit-def: $vgpr13
                                        ; implicit-def: $vgpr17
	s_cbranch_execz .LBB268_59
; %bb.58:
	s_waitcnt vmcnt(0)
	v_lshlrev_b32_e32 v2, 1, v18
	v_lshl_or_b32 v18, v23, 9, v2
	s_and_b32 s5, s5, 0xffff
	s_mov_b32 s7, 0x20000
	s_movk_i32 s6, 0x4000
	s_movk_i32 s0, 0x80
	buffer_load_dwordx4 v[2:5], v18, s[4:7], 0 offen
	buffer_load_dwordx4 v[6:9], v18, s[4:7], 0 offen offset:256
	buffer_load_dwordx4 v[10:13], v18, s[4:7], s0 offen
	buffer_load_dwordx4 v[14:17], v18, s[4:7], s0 offen offset:256
.LBB268_59:
	ds_read_b64 v[20:21], v25 offset:32768
	v_add_u32_e32 v18, 0xb000, v24
	ds_read2_b64 v[32:35], v18 offset1:16
	ds_read_b64 v[40:41], v26 offset:32768
	ds_read_b64 v[26:27], v27 offset:32768
	;; [unrolled: 1-line block ×3, first 2 shown]
	v_and_b32_e32 v18, 6, v0
	v_xor_b32_e32 v23, v23, v18
	v_lshlrev_b32_e32 v23, 2, v23
	v_and_b32_e32 v0, 1, v0
	v_xor_b32_e32 v28, 0x440, v23
	v_cmp_eq_u32_e32 vcc, 0, v0
	s_waitcnt lgkmcnt(3)
	v_mfma_f32_16x16x16_bf16 a[0:3], v[20:21], v[32:33], a[0:3]
	s_mov_b32 s0, 0x1000504
	v_cndmask_b32_e32 v0, v28, v23, vcc
	v_lshl_or_b32 v0, v18, 10, v0
	v_mfma_f32_16x16x16_bf16 a[4:7], v[20:21], v[34:35], a[4:7]
	ds_read2st64_b64 v[32:35], v24 offset0:90 offset1:92
	ds_read2st64_b64 v[36:39], v29 offset0:90 offset1:92
	ds_read_b64 v[20:21], v24 offset:48128
	ds_read_b64 v[24:25], v29 offset:48128
	s_waitcnt vmcnt(0)
	v_perm_b32 v18, v2, v6, s0
	s_waitcnt lgkmcnt(3)
	v_mfma_f32_16x16x16_bf16 a[0:3], v[40:41], v[32:33], a[0:3]
	s_mov_b32 s1, 0x3020706
	v_perm_b32 v2, v2, v6, s1
	v_perm_b32 v6, v10, v14, s1
	s_waitcnt lgkmcnt(2)
	v_mfma_f32_16x16x16_bf16 a[4:7], v[40:41], v[36:37], a[4:7]
	v_mfma_f32_16x16x16_bf16 a[0:3], v[26:27], v[34:35], a[0:3]
	;; [unrolled: 1-line block ×3, first 2 shown]
	s_waitcnt lgkmcnt(1)
	v_mfma_f32_16x16x16_bf16 a[4:7], v[42:43], v[20:21], a[0:3]
	v_perm_b32 v20, v10, v14, s0
	ds_write2st64_b32 v0, v18, v20 offset0:32 offset1:64
	v_xor_b32_e32 v18, 8, v0
	v_add_u32_e32 v10, 0x80, v18
	ds_write2st64_b32 v10, v2, v6 offset0:32 offset1:64
	v_xor_b32_e32 v2, 16, v0
	v_perm_b32 v6, v3, v7, s0
	v_perm_b32 v10, v11, v15, s0
	ds_write2st64_b32 v2, v6, v10 offset0:33 offset1:65
	v_xor_b32_e32 v2, 24, v0
	v_perm_b32 v3, v3, v7, s1
	v_perm_b32 v6, v11, v15, s1
	v_add_u32_e32 v2, 0x80, v2
	ds_write2st64_b32 v2, v3, v6 offset0:33 offset1:65
	v_xor_b32_e32 v2, 32, v0
	v_perm_b32 v3, v4, v8, s0
	v_perm_b32 v6, v12, v16, s0
	s_waitcnt lgkmcnt(4)
	v_mfma_f32_16x16x16_bf16 a[0:3], v[42:43], v[24:25], a[8:11]
	ds_write2st64_b32 v2, v3, v6 offset0:34 offset1:66
	v_xor_b32_e32 v2, 40, v0
	v_perm_b32 v3, v4, v8, s1
	v_perm_b32 v4, v12, v16, s1
	v_add_u32_e32 v2, 0x80, v2
	ds_write2st64_b32 v2, v3, v4 offset0:34 offset1:66
	v_xor_b32_e32 v2, 48, v0
	v_perm_b32 v3, v5, v9, s0
	v_perm_b32 v4, v13, v17, s0
	v_xor_b32_e32 v0, 56, v0
	v_and_or_b32 v18, v30, 12, v1
	ds_write2st64_b32 v2, v3, v4 offset0:35 offset1:67
	v_perm_b32 v2, v5, v9, s1
	v_perm_b32 v3, v13, v17, s1
	v_add_u32_e32 v0, 0x80, v0
	v_cmp_gt_i32_e32 vcc, s27, v18
	v_mov_b32_e32 v14, 0
	v_mov_b32_e32 v16, 0
	ds_write2st64_b32 v0, v2, v3 offset0:35 offset1:67
	s_and_saveexec_b64 s[0:1], vcc
	s_cbranch_execz .LBB268_61
; %bb.60:
	v_add_u32_e32 v0, s26, v18
	v_ashrrev_i32_e32 v1, 31, v0
	v_mul_lo_u32 v2, v1, s28
	v_mul_lo_u32 v3, v0, s29
	v_mad_u64_u32 v[0:1], s[2:3], v0, s28, 0
	v_add3_u32 v1, v1, v3, v2
	v_lshl_add_u64 v[0:1], v[0:1], 2, s[10:11]
	global_load_dword v0, v[0:1], off
	s_waitcnt vmcnt(0)
	v_sub_f32_e32 v0, s12, v0
	v_exp_f32_e32 v16, v0
.LBB268_61:
	s_or_b64 exec, exec, s[0:1]
	v_or_b32_e32 v8, 1, v18
	v_cmp_gt_i32_e64 s[0:1], s27, v8
	s_and_saveexec_b64 s[2:3], s[0:1]
	s_cbranch_execz .LBB268_63
; %bb.62:
	v_add_u32_e32 v0, s26, v8
	v_ashrrev_i32_e32 v1, 31, v0
	v_mul_lo_u32 v2, v1, s28
	v_mul_lo_u32 v3, v0, s29
	v_mad_u64_u32 v[0:1], s[4:5], v0, s28, 0
	v_add3_u32 v1, v1, v3, v2
	v_lshl_add_u64 v[0:1], v[0:1], 2, s[10:11]
	global_load_dword v0, v[0:1], off
	s_waitcnt vmcnt(0)
	v_sub_f32_e32 v0, s12, v0
	v_exp_f32_e32 v14, v0
.LBB268_63:
	s_or_b64 exec, exec, s[2:3]
	v_or_b32_e32 v10, 2, v18
	v_cmp_gt_i32_e64 s[2:3], s27, v10
	v_mov_b32_e32 v15, 0
	v_mov_b32_e32 v17, 0
	s_and_saveexec_b64 s[4:5], s[2:3]
	s_cbranch_execz .LBB268_65
; %bb.64:
	v_add_u32_e32 v0, s26, v10
	v_ashrrev_i32_e32 v1, 31, v0
	v_mul_lo_u32 v2, v1, s28
	v_mul_lo_u32 v3, v0, s29
	v_mad_u64_u32 v[0:1], s[6:7], v0, s28, 0
	v_add3_u32 v1, v1, v3, v2
	v_lshl_add_u64 v[0:1], v[0:1], 2, s[10:11]
	global_load_dword v0, v[0:1], off
	s_waitcnt vmcnt(0)
	v_sub_f32_e32 v0, s12, v0
	v_exp_f32_e32 v17, v0
.LBB268_65:
	s_or_b64 exec, exec, s[4:5]
	v_or_b32_e32 v12, 3, v18
	v_cmp_gt_i32_e64 s[4:5], s27, v12
	s_and_saveexec_b64 s[6:7], s[4:5]
	s_cbranch_execz .LBB268_67
; %bb.66:
	v_add_u32_e32 v0, s26, v12
	v_ashrrev_i32_e32 v1, 31, v0
	v_mul_lo_u32 v2, v1, s28
	v_mul_lo_u32 v3, v0, s29
	v_mad_u64_u32 v[0:1], s[14:15], v0, s28, 0
	v_add3_u32 v1, v1, v3, v2
	v_lshl_add_u64 v[0:1], v[0:1], 2, s[10:11]
	global_load_dword v0, v[0:1], off
	s_waitcnt vmcnt(0)
	v_sub_f32_e32 v0, s12, v0
	v_exp_f32_e32 v15, v0
.LBB268_67:
	s_or_b64 exec, exec, s[6:7]
	s_add_u32 s6, s8, s20
	v_accvgpr_read_b32 v0, a4
	s_addc_u32 s7, s9, s21
	v_ashrrev_i32_e32 v47, 31, v46
	v_accvgpr_read_b32 v1, a5
	v_accvgpr_read_b32 v2, a6
	;; [unrolled: 1-line block ×3, first 2 shown]
	v_lshl_add_u64 v[4:5], v[46:47], 1, s[6:7]
	v_mov_b32_e32 v9, 0
	v_lshlrev_b32_e32 v6, 8, v18
	v_mov_b32_e32 v7, 0
	s_and_saveexec_b64 s[6:7], vcc
	s_cbranch_execz .LBB268_69
; %bb.68:
	v_mov_b32_e32 v7, 0
	v_lshl_add_u64 v[20:21], v[4:5], 0, v[6:7]
	global_load_ushort v7, v[20:21], off
	s_waitcnt vmcnt(0)
	v_lshlrev_b32_e32 v7, 16, v7
	v_sub_f32_e32 v0, v7, v0
	v_mul_f32_e32 v0, v16, v0
	v_lshrrev_b32_e32 v7, 16, v0
.LBB268_69:
	s_or_b64 exec, exec, s[6:7]
	v_lshlrev_b32_e32 v8, 8, v8
	s_and_saveexec_b64 s[6:7], s[0:1]
	s_cbranch_execz .LBB268_71
; %bb.70:
	v_mov_b32_e32 v9, 0
	v_lshl_add_u64 v[20:21], v[4:5], 0, v[8:9]
	global_load_ushort v0, v[20:21], off
	s_waitcnt vmcnt(0)
	v_lshlrev_b32_e32 v0, 16, v0
	v_sub_f32_e32 v0, v0, v1
	v_mul_f32_e32 v0, v14, v0
	v_lshrrev_b32_e32 v9, 16, v0
.LBB268_71:
	s_or_b64 exec, exec, s[6:7]
	v_mov_b32_e32 v13, 0
	v_lshlrev_b32_e32 v10, 8, v10
	v_mov_b32_e32 v11, 0
	s_and_saveexec_b64 s[6:7], s[2:3]
	s_cbranch_execz .LBB268_73
; %bb.72:
	v_mov_b32_e32 v11, 0
	v_lshl_add_u64 v[0:1], v[4:5], 0, v[10:11]
	global_load_ushort v0, v[0:1], off
	s_waitcnt vmcnt(0)
	v_lshlrev_b32_e32 v0, 16, v0
	v_sub_f32_e32 v0, v0, v2
	v_mul_f32_e32 v0, v17, v0
	v_lshrrev_b32_e32 v11, 16, v0
.LBB268_73:
	s_or_b64 exec, exec, s[6:7]
	v_lshlrev_b32_e32 v12, 8, v12
	s_and_saveexec_b64 s[6:7], s[4:5]
	s_cbranch_execz .LBB268_75
; %bb.74:
	v_mov_b32_e32 v13, 0
	v_lshl_add_u64 v[0:1], v[4:5], 0, v[12:13]
	global_load_ushort v0, v[0:1], off
	s_waitcnt vmcnt(0)
	v_lshlrev_b32_e32 v0, 16, v0
	v_sub_f32_e32 v0, v0, v3
	v_mul_f32_e32 v0, v15, v0
	v_lshrrev_b32_e32 v13, 16, v0
.LBB268_75:
	s_or_b64 exec, exec, s[6:7]
	v_lshlrev_b32_e32 v18, 5, v18
	s_mov_b32 s6, 0x5040100
	v_perm_b32 v20, v9, v7, s6
	v_or_b32_e32 v7, v18, v22
	v_accvgpr_read_b32 v0, a0
	v_perm_b32 v21, v13, v11, s6
	v_lshlrev_b32_e32 v7, 1, v7
	v_accvgpr_read_b32 v1, a1
	v_accvgpr_read_b32 v2, a2
	v_accvgpr_read_b32 v3, a3
	ds_write_b64 v7, v[20:21] offset:45056
	v_mov_b32_e32 v9, 0
	v_mov_b32_e32 v7, 0
	s_and_saveexec_b64 s[6:7], vcc
	s_cbranch_execz .LBB268_77
; %bb.76:
	v_mov_b32_e32 v7, 0
	v_lshl_add_u64 v[6:7], v[4:5], 0, v[6:7]
	global_load_ushort v6, v[6:7], off offset:32
	s_waitcnt vmcnt(0)
	v_lshlrev_b32_e32 v6, 16, v6
	v_sub_f32_e32 v0, v6, v0
	v_mul_f32_e32 v0, v16, v0
	v_lshrrev_b32_e32 v7, 16, v0
.LBB268_77:
	s_or_b64 exec, exec, s[6:7]
	s_and_saveexec_b64 s[6:7], s[0:1]
	s_cbranch_execz .LBB268_79
; %bb.78:
	v_mov_b32_e32 v9, 0
	v_lshl_add_u64 v[8:9], v[4:5], 0, v[8:9]
	global_load_ushort v0, v[8:9], off offset:32
	s_waitcnt vmcnt(0)
	v_lshlrev_b32_e32 v0, 16, v0
	v_sub_f32_e32 v0, v0, v1
	v_mul_f32_e32 v0, v14, v0
	v_lshrrev_b32_e32 v9, 16, v0
.LBB268_79:
	s_or_b64 exec, exec, s[6:7]
	v_mov_b32_e32 v0, 0
	v_mov_b32_e32 v1, 0
	s_and_saveexec_b64 s[0:1], s[2:3]
	s_cbranch_execz .LBB268_81
; %bb.80:
	v_mov_b32_e32 v11, 0
	v_lshl_add_u64 v[10:11], v[4:5], 0, v[10:11]
	global_load_ushort v1, v[10:11], off offset:32
	s_waitcnt vmcnt(0)
	v_lshlrev_b32_e32 v1, 16, v1
	v_sub_f32_e32 v1, v1, v2
	v_mul_f32_e32 v1, v17, v1
	v_lshrrev_b32_e32 v1, 16, v1
.LBB268_81:
	s_or_b64 exec, exec, s[0:1]
	s_and_saveexec_b64 s[0:1], s[4:5]
	s_cbranch_execz .LBB268_83
; %bb.82:
	v_mov_b32_e32 v13, 0
	v_lshl_add_u64 v[4:5], v[4:5], 0, v[12:13]
	global_load_ushort v0, v[4:5], off offset:32
	s_waitcnt vmcnt(0)
	v_lshlrev_b32_e32 v0, 16, v0
	v_sub_f32_e32 v0, v0, v3
	v_mul_f32_e32 v0, v15, v0
	v_lshrrev_b32_e32 v0, 16, v0
.LBB268_83:
	s_or_b64 exec, exec, s[0:1]
	s_mov_b32 s0, 0x5040100
	v_or_b32_e32 v2, v18, v19
	v_perm_b32 v1, v0, v1, s0
	v_perm_b32 v0, v9, v7, s0
	v_lshlrev_b32_e32 v2, 1, v2
	ds_write_b64 v2, v[0:1] offset:45056
	s_waitcnt lgkmcnt(0)
	s_barrier
.LBB268_84:
	s_endpgm
	.section	.rodata,"a",@progbits
	.p2align	6, 0x0
	.amdhsa_kernel _ZN12_GLOBAL__N_139chunk_gated_delta_rule_fwd_h_hip_kernelILi32ELb1ELb0ELb0ELb0ELb1ELb1ELb1ELb1EEEvPK12hip_bfloat16S3_S3_PKfS5_PKvPS1_S8_PvPKiSB_iiiiilll
		.amdhsa_group_segment_fixed_size 49152
		.amdhsa_private_segment_fixed_size 0
		.amdhsa_kernarg_size 136
		.amdhsa_user_sgpr_count 2
		.amdhsa_user_sgpr_dispatch_ptr 0
		.amdhsa_user_sgpr_queue_ptr 0
		.amdhsa_user_sgpr_kernarg_segment_ptr 1
		.amdhsa_user_sgpr_dispatch_id 0
		.amdhsa_user_sgpr_kernarg_preload_length 0
		.amdhsa_user_sgpr_kernarg_preload_offset 0
		.amdhsa_user_sgpr_private_segment_size 0
		.amdhsa_uses_dynamic_stack 0
		.amdhsa_enable_private_segment 0
		.amdhsa_system_sgpr_workgroup_id_x 1
		.amdhsa_system_sgpr_workgroup_id_y 1
		.amdhsa_system_sgpr_workgroup_id_z 0
		.amdhsa_system_sgpr_workgroup_info 0
		.amdhsa_system_vgpr_workitem_id 0
		.amdhsa_next_free_vgpr 160
		.amdhsa_next_free_sgpr 68
		.amdhsa_accum_offset 140
		.amdhsa_reserve_vcc 1
		.amdhsa_float_round_mode_32 0
		.amdhsa_float_round_mode_16_64 0
		.amdhsa_float_denorm_mode_32 3
		.amdhsa_float_denorm_mode_16_64 3
		.amdhsa_dx10_clamp 1
		.amdhsa_ieee_mode 1
		.amdhsa_fp16_overflow 0
		.amdhsa_tg_split 0
		.amdhsa_exception_fp_ieee_invalid_op 0
		.amdhsa_exception_fp_denorm_src 0
		.amdhsa_exception_fp_ieee_div_zero 0
		.amdhsa_exception_fp_ieee_overflow 0
		.amdhsa_exception_fp_ieee_underflow 0
		.amdhsa_exception_fp_ieee_inexact 0
		.amdhsa_exception_int_div_zero 0
	.end_amdhsa_kernel
	.section	.text._ZN12_GLOBAL__N_139chunk_gated_delta_rule_fwd_h_hip_kernelILi32ELb1ELb0ELb0ELb0ELb1ELb1ELb1ELb1EEEvPK12hip_bfloat16S3_S3_PKfS5_PKvPS1_S8_PvPKiSB_iiiiilll,"axG",@progbits,_ZN12_GLOBAL__N_139chunk_gated_delta_rule_fwd_h_hip_kernelILi32ELb1ELb0ELb0ELb0ELb1ELb1ELb1ELb1EEEvPK12hip_bfloat16S3_S3_PKfS5_PKvPS1_S8_PvPKiSB_iiiiilll,comdat
.Lfunc_end268:
	.size	_ZN12_GLOBAL__N_139chunk_gated_delta_rule_fwd_h_hip_kernelILi32ELb1ELb0ELb0ELb0ELb1ELb1ELb1ELb1EEEvPK12hip_bfloat16S3_S3_PKfS5_PKvPS1_S8_PvPKiSB_iiiiilll, .Lfunc_end268-_ZN12_GLOBAL__N_139chunk_gated_delta_rule_fwd_h_hip_kernelILi32ELb1ELb0ELb0ELb0ELb1ELb1ELb1ELb1EEEvPK12hip_bfloat16S3_S3_PKfS5_PKvPS1_S8_PvPKiSB_iiiiilll
                                        ; -- End function
	.section	.AMDGPU.csdata,"",@progbits
; Kernel info:
; codeLenInByte = 8652
; NumSgprs: 74
; NumVgprs: 140
; NumAgprs: 20
; TotalNumVgprs: 160
; ScratchSize: 0
; MemoryBound: 0
; FloatMode: 240
; IeeeMode: 1
; LDSByteSize: 49152 bytes/workgroup (compile time only)
; SGPRBlocks: 9
; VGPRBlocks: 19
; NumSGPRsForWavesPerEU: 74
; NumVGPRsForWavesPerEU: 160
; AccumOffset: 140
; Occupancy: 1
; WaveLimiterHint : 1
; COMPUTE_PGM_RSRC2:SCRATCH_EN: 0
; COMPUTE_PGM_RSRC2:USER_SGPR: 2
; COMPUTE_PGM_RSRC2:TRAP_HANDLER: 0
; COMPUTE_PGM_RSRC2:TGID_X_EN: 1
; COMPUTE_PGM_RSRC2:TGID_Y_EN: 1
; COMPUTE_PGM_RSRC2:TGID_Z_EN: 0
; COMPUTE_PGM_RSRC2:TIDIG_COMP_CNT: 0
; COMPUTE_PGM_RSRC3_GFX90A:ACCUM_OFFSET: 34
; COMPUTE_PGM_RSRC3_GFX90A:TG_SPLIT: 0
	.section	.text._ZN12_GLOBAL__N_139chunk_gated_delta_rule_fwd_h_hip_kernelILi32ELb0ELb1ELb1ELb0ELb1ELb1ELb1ELb1EEEvPK12hip_bfloat16S3_S3_PKfS5_PKvPS1_S8_PvPKiSB_iiiiilll,"axG",@progbits,_ZN12_GLOBAL__N_139chunk_gated_delta_rule_fwd_h_hip_kernelILi32ELb0ELb1ELb1ELb0ELb1ELb1ELb1ELb1EEEvPK12hip_bfloat16S3_S3_PKfS5_PKvPS1_S8_PvPKiSB_iiiiilll,comdat
	.globl	_ZN12_GLOBAL__N_139chunk_gated_delta_rule_fwd_h_hip_kernelILi32ELb0ELb1ELb1ELb0ELb1ELb1ELb1ELb1EEEvPK12hip_bfloat16S3_S3_PKfS5_PKvPS1_S8_PvPKiSB_iiiiilll ; -- Begin function _ZN12_GLOBAL__N_139chunk_gated_delta_rule_fwd_h_hip_kernelILi32ELb0ELb1ELb1ELb0ELb1ELb1ELb1ELb1EEEvPK12hip_bfloat16S3_S3_PKfS5_PKvPS1_S8_PvPKiSB_iiiiilll
	.p2align	8
	.type	_ZN12_GLOBAL__N_139chunk_gated_delta_rule_fwd_h_hip_kernelILi32ELb0ELb1ELb1ELb0ELb1ELb1ELb1ELb1EEEvPK12hip_bfloat16S3_S3_PKfS5_PKvPS1_S8_PvPKiSB_iiiiilll,@function
_ZN12_GLOBAL__N_139chunk_gated_delta_rule_fwd_h_hip_kernelILi32ELb0ELb1ELb1ELb0ELb1ELb1ELb1ELb1EEEvPK12hip_bfloat16S3_S3_PKfS5_PKvPS1_S8_PvPKiSB_iiiiilll: ; @_ZN12_GLOBAL__N_139chunk_gated_delta_rule_fwd_h_hip_kernelILi32ELb0ELb1ELb1ELb0ELb1ELb1ELb1ELb1EEEvPK12hip_bfloat16S3_S3_PKfS5_PKvPS1_S8_PvPKiSB_iiiiilll
; %bb.0:
	s_load_dwordx4 s[12:15], s[0:1], 0x5c
	s_load_dwordx2 s[34:35], s[0:1], 0x40
	s_abs_i32 s22, s3
	s_ashr_i32 s21, s3, 31
	s_load_dwordx8 s[4:11], s[0:1], 0x0
	s_load_dwordx2 s[36:37], s[0:1], 0x20
	s_load_dwordx4 s[16:19], s[0:1], 0x30
	s_waitcnt lgkmcnt(0)
	s_abs_i32 s20, s13
	v_cvt_f32_u32_e32 v1, s20
	s_sub_i32 s24, 0, s20
	s_ashr_i32 s23, s13, 31
	s_xor_b32 s21, s21, s23
	v_rcp_iflag_f32_e32 v1, v1
	v_lshrrev_b32_e32 v53, 6, v0
	v_bfe_u32 v64, v0, 4, 2
	v_lshlrev_b32_e32 v62, 4, v53
	v_mul_f32_e32 v1, 0x4f7ffffe, v1
	v_cvt_u32_f32_e32 v1, v1
	v_lshlrev_b32_e32 v18, 2, v64
	v_and_b32_e32 v63, 63, v0
	v_mov_b32_e32 v17, 0
	v_readfirstlane_b32 s25, v1
	s_mul_i32 s24, s24, s25
	s_mul_hi_u32 s24, s25, s24
	s_add_i32 s25, s25, s24
	s_mul_hi_u32 s24, s22, s25
	s_mul_i32 s25, s24, s20
	s_sub_i32 s22, s22, s25
	s_add_i32 s25, s24, 1
	s_sub_i32 s26, s22, s20
	s_cmp_ge_u32 s22, s20
	s_cselect_b32 s24, s25, s24
	s_cselect_b32 s22, s26, s22
	s_add_i32 s25, s24, 1
	s_cmp_ge_u32 s22, s20
	s_cselect_b32 s22, s25, s24
	s_xor_b32 s22, s22, s21
	s_sub_i32 s52, s22, s21
	s_abs_i32 s21, s14
	v_cvt_f32_u32_e32 v1, s21
	s_ashr_i32 s51, s12, 31
	s_lshr_b32 s22, s51, 26
	s_add_i32 s22, s12, s22
	v_rcp_iflag_f32_e32 v1, v1
	s_ashr_i32 s54, s14, 31
	s_ashr_i32 s53, s22, 6
	s_xor_b32 s22, s23, s54
	v_mul_f32_e32 v1, 0x4f7ffffe, v1
	v_cvt_u32_f32_e32 v1, v1
	s_sub_i32 s23, 0, s21
	s_mul_i32 s50, s52, s13
	s_sub_i32 s33, s3, s50
	v_readfirstlane_b32 s24, v1
	s_mul_i32 s23, s23, s24
	s_mul_hi_u32 s23, s24, s23
	s_add_i32 s24, s24, s23
	s_mul_hi_u32 s23, s20, s24
	s_mul_i32 s24, s23, s21
	s_sub_i32 s20, s20, s24
	s_add_i32 s3, s12, 63
	s_add_i32 s24, s23, 1
	s_sub_i32 s25, s20, s21
	s_cmp_ge_u32 s20, s21
	s_cselect_b32 s23, s24, s23
	s_cselect_b32 s20, s25, s20
	s_add_i32 s24, s23, 1
	s_cmp_ge_u32 s20, s21
	s_cselect_b32 s20, s24, s23
	s_xor_b32 s20, s20, s22
	s_sub_i32 s24, s20, s22
	s_abs_i32 s25, s24
	v_cvt_f32_u32_e32 v1, s25
	s_load_dwordx2 s[38:39], s[0:1], 0x80
	s_load_dwordx4 s[20:23], s[0:1], 0x70
	s_xor_b32 s0, s33, s24
	s_sub_i32 s24, 0, s25
	v_rcp_iflag_f32_e32 v1, v1
	s_abs_i32 s1, s33
	s_ashr_i32 s0, s0, 31
	s_mul_i32 s48, s52, s12
	v_mul_f32_e32 v1, 0x4f7ffffe, v1
	v_cvt_u32_f32_e32 v1, v1
	v_and_b32_e32 v65, 15, v0
	s_mul_hi_i32 s56, s52, s13
	v_lshrrev_b32_e32 v67, 3, v63
	v_readfirstlane_b32 s26, v1
	s_mul_i32 s24, s24, s26
	s_mul_hi_u32 s24, s26, s24
	s_add_i32 s26, s26, s24
	s_mul_hi_u32 s24, s1, s26
	s_mul_i32 s26, s24, s25
	s_sub_i32 s1, s1, s26
	s_add_i32 s26, s24, 1
	s_sub_i32 s27, s1, s25
	s_cmp_ge_u32 s1, s25
	s_cselect_b32 s24, s26, s24
	s_cselect_b32 s1, s27, s1
	s_add_i32 s26, s24, 1
	s_cmp_ge_u32 s1, s25
	s_cselect_b32 s1, s26, s24
	s_xor_b32 s1, s1, s0
	s_sub_i32 s57, s1, s0
	s_ashr_i32 s0, s3, 31
	s_lshr_b32 s0, s0, 26
	s_add_i32 s3, s3, s0
	v_or_b32_e32 v1, v18, v62
	s_ashr_i32 s0, s3, 6
	s_lshl_b32 s2, s2, 5
	s_mul_i32 s55, s52, s0
	v_or_b32_e32 v68, 64, v1
	s_cmp_lt_i32 s12, 64
	v_lshlrev_b32_e32 v66, 3, v0
	s_waitcnt lgkmcnt(0)
	s_mul_i32 s21, s52, s21
	s_mul_hi_u32 s49, s52, s20
	s_mul_i32 s40, s52, s20
	v_mov_b32_e32 v16, v17
	v_mov_b32_e32 v15, v17
	;; [unrolled: 1-line block ×15, first 2 shown]
	s_cbranch_scc1 .LBB269_19
; %bb.1:
	s_ashr_i32 s3, s52, 31
	s_ashr_i32 s59, s33, 31
	s_add_u32 s0, s50, s33
	s_addc_u32 s1, s56, s59
	s_mul_i32 s1, s12, s1
	s_mul_hi_u32 s24, s12, s0
	s_add_i32 s43, s24, s1
	s_mul_i32 s42, s12, s0
	s_lshl_b64 s[0:1], s[42:43], 8
	v_and_b32_e32 v70, 56, v66
	s_add_u32 s24, s6, s0
	v_lshl_or_b32 v69, v53, 3, v67
	v_lshlrev_b32_e32 v2, 1, v70
	s_addc_u32 s0, s7, s1
	v_lshl_or_b32 v71, v69, 8, v2
	s_and_b32 s25, s0, 0xffff
	s_mov_b32 s27, 0x20000
	s_movk_i32 s26, 0x4000
	s_movk_i32 s0, 0x80
	v_or_b32_e32 v72, 0x2000, v71
	buffer_load_dwordx4 v[4:7], v71, s[24:27], 0 offen
	buffer_load_dwordx4 v[8:11], v71, s[24:27], s0 offen
	;; [unrolled: 1-line block ×4, first 2 shown]
	v_lshlrev_b32_e32 v3, 3, v69
	v_and_or_b32 v17, v0, 7, v3
	v_and_b32_e32 v3, 0x78, v3
	v_lshlrev_b32_e32 v17, 4, v17
	v_xor_b32_e32 v73, v17, v3
	v_mul_lo_u32 v16, v69, s15
	v_or_b32_e32 v74, 0x1000, v73
	v_xor_b32_e32 v3, 8, v73
	s_cmpk_eq_i32 s15, 0x80
	s_mov_b32 s58, s14
	v_xor_b32_e32 v17, 8, v74
	s_cselect_b64 s[0:1], -1, 0
	s_cmpk_lg_i32 s15, 0x80
	s_waitcnt vmcnt(3)
	ds_write_b64 v73, v[4:5] offset:24576
	ds_write_b64 v3, v[6:7] offset:24576
	s_waitcnt vmcnt(2)
	ds_write_b64 v73, v[8:9] offset:32768
	ds_write_b64 v3, v[10:11] offset:32768
	s_waitcnt vmcnt(1)
	ds_write_b64 v73, v[12:13] offset:28672
	ds_write_b64 v17, v[14:15] offset:24576
	s_waitcnt vmcnt(0)
	ds_write_b64 v73, v[20:21] offset:36864
	ds_write_b64 v17, v[22:23] offset:32768
	v_lshl_add_u32 v3, v16, 1, v70
	s_cbranch_scc0 .LBB269_3
; %bb.2:
	v_lshlrev_b32_e32 v5, 1, v3
	v_add_lshl_u32 v4, v3, s15, 1
	s_lshl_b32 s26, s15, 7
	v_lshl_or_b32 v2, v69, 9, v2
	s_cbranch_execz .LBB269_4
	s_branch .LBB269_5
.LBB269_3:
                                        ; implicit-def: $vgpr4
                                        ; implicit-def: $vgpr5
                                        ; implicit-def: $sgpr26
	v_lshl_or_b32 v2, v69, 9, v2
.LBB269_4:
	v_or_b32_e32 v4, 0x100, v2
	s_movk_i32 s26, 0x4000
	v_mov_b32_e32 v5, v2
.LBB269_5:
	s_mul_hi_u32 s24, s14, s12
	s_mul_i32 s25, s54, s12
	s_add_i32 s24, s24, s25
	s_mul_i32 s25, s14, s12
	s_mul_i32 s27, s25, s3
	s_mul_hi_u32 s28, s25, s52
	s_add_i32 s27, s28, s27
	s_mul_i32 s24, s24, s52
	s_add_i32 s27, s27, s24
	s_mul_i32 s25, s25, s52
	s_ashr_i32 s60, s57, 31
	s_add_u32 s24, s25, s57
	s_addc_u32 s25, s27, s60
	s_lshl_b64 s[24:25], s[24:25], 8
	s_add_u32 s24, s4, s24
	s_addc_u32 s25, s5, s25
	s_and_b32 s25, s25, 0xffff
	s_mov_b32 s27, 0x20000
	s_movk_i32 s61, 0x80
	buffer_load_dwordx4 v[6:9], v5, s[24:27], 0 offen
	buffer_load_dwordx4 v[10:13], v5, s[24:27], s61 offen
	;; [unrolled: 1-line block ×4, first 2 shown]
	v_and_b32_e32 v4, 6, v0
	s_mul_i32 s24, s3, s12
	s_mul_hi_u32 s25, s52, s12
	v_lshlrev_b32_e32 v24, 6, v1
	v_or_b32_e32 v26, 16, v65
	v_xor_b32_e32 v27, v69, v4
	v_and_b32_e32 v5, 1, v0
	v_lshl_or_b32 v30, v65, 3, v24
	v_lshl_or_b32 v24, v26, 3, v24
	v_lshlrev_b32_e32 v27, 2, v27
	s_add_i32 s65, s25, s24
	s_add_i32 s24, s49, s21
	s_mul_i32 s3, s3, s20
	v_lshlrev_b32_e32 v19, 2, v65
	v_or_b32_e32 v77, 0xa000, v24
	v_or_b32_e32 v78, 0xb000, v24
	v_xor_b32_e32 v24, 0x440, v27
	v_cmp_eq_u32_e32 vcc, 0, v5
	s_add_i32 s41, s24, s3
	s_mul_i32 s3, s33, s23
	s_mul_hi_u32 s24, s33, s22
	v_xor_b32_e32 v28, v1, v19
	v_xor_b32_e32 v29, v68, v19
	v_cndmask_b32_e32 v5, v24, v27, vcc
	s_add_i32 s3, s24, s3
	s_mul_i32 s24, s59, s22
	s_mov_b32 s63, 0x1000504
	v_lshlrev_b32_e32 v25, 8, v65
	v_lshlrev_b32_e32 v28, 1, v28
	;; [unrolled: 1-line block ×3, first 2 shown]
	v_lshl_or_b32 v4, v4, 10, v5
	s_add_i32 s25, s3, s24
	s_lshl_b64 s[28:29], s[40:41], 2
	s_mov_b32 s64, 0x3020706
	v_or_b32_e32 v75, 0xa000, v30
	v_or_b32_e32 v76, 0xb000, v30
	;; [unrolled: 1-line block ×4, first 2 shown]
	v_xor_b32_e32 v5, 8, v4
	v_xor_b32_e32 v25, 24, v4
	;; [unrolled: 1-line block ×4, first 2 shown]
	s_mul_i32 s24, s33, s22
	s_add_u32 s3, s10, s28
	v_xor_b32_e32 v24, 16, v4
	v_xor_b32_e32 v27, 32, v4
	;; [unrolled: 1-line block ×3, first 2 shown]
	v_add_u32_e32 v5, 0x80, v5
	v_add_u32_e32 v25, 0x80, v25
	;; [unrolled: 1-line block ×4, first 2 shown]
	s_addc_u32 s26, s11, s29
	s_lshl_b64 s[24:25], s[24:25], 2
	s_add_u32 s44, s3, s24
	s_movk_i32 s3, 0xf8
	s_addc_u32 s45, s26, s25
	s_lshl_b32 s30, s15, 7
	s_movk_i32 s28, 0x100
	v_mov_b32_e32 v55, 0
	v_lshlrev_b32_e32 v54, 4, v65
	v_cmp_gt_u32_e32 vcc, s28, v0
	v_lshlrev_b32_e32 v26, 8, v26
	v_or_b32_e32 v81, v26, v28
	v_or_b32_e32 v82, v26, v29
	s_mov_b32 s62, 0
	s_movk_i32 s41, 0x1000
	s_movk_i32 s26, 0x4000
	v_add_u32_e32 v96, v62, v18
	s_mov_b32 s66, 0x7060302
	s_mov_b32 s68, 0
	v_mov_b32_e32 v107, v55
	v_mov_b32_e32 v108, v55
	;; [unrolled: 1-line block ×8, first 2 shown]
	s_waitcnt vmcnt(1)
	v_perm_b32 v33, v6, v14, s63
	s_waitcnt vmcnt(0)
	v_perm_b32 v34, v10, v20, s63
	v_perm_b32 v6, v6, v14, s64
	;; [unrolled: 1-line block ×15, first 2 shown]
	ds_write2st64_b32 v4, v33, v34 offset0:32 offset1:64
	ds_write2st64_b32 v5, v6, v10 offset0:32 offset1:64
	;; [unrolled: 1-line block ×8, first 2 shown]
	v_or_b32_e32 v4, v62, v65
	v_lshlrev_b32_e32 v4, 3, v4
	v_lshrrev_b32_e32 v6, 5, v63
	v_and_or_b32 v6, v4, s3, v6
	v_lshlrev_b32_e32 v6, 4, v6
	v_lshrrev_b32_e32 v5, 2, v63
	v_lshlrev_b32_e32 v11, 11, v53
	v_and_b32_e32 v4, 0x78, v4
	v_or_b32_e32 v10, 32, v6
	v_and_b32_e32 v7, 12, v5
	v_and_b32_e32 v5, 0x1000, v11
	v_xor_b32_e32 v8, v6, v4
	v_lshrrev_b32_e32 v9, 1, v63
	v_xor_b32_e32 v10, v10, v4
	v_or_b32_e32 v8, v8, v5
	v_and_b32_e32 v9, 8, v9
	v_lshlrev_b32_e32 v12, 7, v64
	v_or_b32_e32 v10, v10, v5
	v_xor_b32_e32 v83, v8, v9
	v_or_b32_e32 v8, v12, v19
	v_xor_b32_e32 v85, v10, v9
	v_or_b32_e32 v10, 64, v6
	v_or_b32_e32 v6, 0x60, v6
	s_ashr_i32 s3, s2, 31
	v_lshlrev_b32_e32 v8, 1, v8
	v_xor_b32_e32 v10, v10, v4
	v_xor_b32_e32 v4, v6, v4
	s_lshl_b64 s[24:25], s[2:3], 8
	v_or_b32_e32 v84, 0xa000, v8
	v_or_b32_e32 v86, 0xa080, v8
	;; [unrolled: 1-line block ×6, first 2 shown]
	s_add_u32 s24, s16, s24
	v_lshlrev_b32_e32 v8, 1, v65
	v_lshlrev_b32_e32 v19, 2, v0
	v_lshrrev_b32_e32 v22, 1, v0
	v_xor_b32_e32 v87, v10, v9
	v_xor_b32_e32 v88, v4, v9
	v_lshrrev_b32_e32 v10, 4, v0
	s_addc_u32 s25, s17, s25
	v_or_b32_e32 v9, 1, v8
	v_mov_b32_e32 v20, 0x4000
	v_mov_b32_e32 v21, 0x2000
	v_and_b32_e32 v22, 24, v22
	v_and_or_b32 v12, v19, 60, v12
	v_mov_b32_e32 v19, 0xb000
	v_xor_b32_e32 v15, v10, v8
	v_xor_b32_e32 v16, v9, v10
	v_lshl_add_u64 v[8:9], s[24:25], 0, v[54:55]
	v_lshlrev_b32_e32 v54, 8, v10
	v_cndmask_b32_e32 v20, v20, v21, vcc
	v_lshlrev_b32_e32 v21, 3, v53
	v_lshl_or_b32 v93, v12, 1, v19
	v_or_b32_e32 v12, 32, v22
	v_lshl_or_b32 v91, v15, 3, v54
	v_and_b32_e32 v15, 8, v0
	v_xor_b32_e32 v12, v21, v12
	v_cmp_eq_u32_e32 vcc, 0, v15
	v_or_b32_e32 v19, 0x440, v12
	v_and_b32_e32 v10, 7, v0
	v_cndmask_b32_e32 v12, v19, v12, vcc
	v_lshl_or_b32 v92, v16, 3, v54
	v_lshlrev_b32_e32 v16, 3, v10
	v_or_b32_e32 v12, v12, v11
	v_xor_b32_e32 v19, v12, v16
	v_or_b32_e32 v12, 64, v22
	v_xor_b32_e32 v12, v21, v12
	v_xor_b32_e32 v25, 0x440, v12
	v_cndmask_b32_e32 v12, v25, v12, vcc
	v_or_b32_e32 v12, v12, v11
	v_xor_b32_e32 v25, v12, v16
	v_or_b32_e32 v12, 0x60, v22
	v_xor_b32_e32 v23, v21, v22
	v_xor_b32_e32 v12, v21, v12
	v_or_b32_e32 v24, 0x440, v23
	v_xor_b32_e32 v21, 0x440, v12
	v_cndmask_b32_e32 v15, v24, v23, vcc
	v_cndmask_b32_e32 v12, v21, v12, vcc
	v_or_b32_e32 v4, s2, v65
	v_or_b32_e32 v15, v15, v11
	;; [unrolled: 1-line block ×3, first 2 shown]
	v_ashrrev_i32_e32 v5, 31, v4
	v_lshlrev_b32_e32 v13, 1, v3
	v_add_lshl_u32 v3, v3, s15, 1
	v_or_b32_e32 v14, 0x100, v2
	v_xor_b32_e32 v15, v15, v16
	v_xor_b32_e32 v11, v11, v16
	v_lshlrev_b32_e32 v6, 7, v1
	v_lshlrev_b32_e32 v17, 7, v10
	v_or_b32_e32 v10, v7, v62
	v_add_u32_e32 v23, v20, v15
	v_add_u32_e32 v24, v20, v19
	;; [unrolled: 1-line block ×4, first 2 shown]
	v_or3_b32 v12, v62, v7, 64
	v_add_u32_e32 v7, 0x4000, v15
	v_add_u32_e32 v15, 0x4000, v19
	;; [unrolled: 1-line block ×4, first 2 shown]
	v_cndmask_b32_e64 v94, v13, v2, s[0:1]
	v_cndmask_b32_e64 v95, v3, v14, s[0:1]
	v_lshlrev_b64 v[2:3], 1, v[4:5]
	v_lshl_add_u64 v[56:57], s[8:9], 0, v[2:3]
	v_lshl_add_u64 v[58:59], s[18:19], 0, v[2:3]
	;; [unrolled: 1-line block ×3, first 2 shown]
	s_add_i32 s3, s48, 63
	v_lshlrev_b32_e32 v54, 1, v6
	v_lshlrev_b32_e32 v97, 2, v10
	v_add_u32_e32 v98, v23, v17
	v_add_u32_e32 v99, v24, v17
	;; [unrolled: 1-line block ×4, first 2 shown]
	v_lshlrev_b32_e32 v102, 2, v12
	v_add_u32_e32 v103, v7, v17
	v_add_u32_e32 v104, v15, v17
	;; [unrolled: 1-line block ×4, first 2 shown]
	v_mov_b32_e32 v2, v55
	v_mov_b32_e32 v3, v55
	;; [unrolled: 1-line block ×8, first 2 shown]
	s_waitcnt lgkmcnt(0)
	s_barrier
.LBB269_6:                              ; =>This Inner Loop Header: Depth=1
	s_add_i32 s67, s68, 1
	s_cmp_lt_i32 s67, s53
	s_mov_b64 s[28:29], 0
	s_cselect_b64 s[46:47], -1, 0
	s_cmp_ge_i32 s67, s53
	s_mov_b64 s[24:25], 0
	s_cbranch_scc1 .LBB269_8
; %bb.7:                                ;   in Loop: Header=BB269_6 Depth=1
	s_add_i32 s0, s62, 64
	s_add_u32 s0, s42, s0
	s_addc_u32 s1, s43, 0
	s_lshl_b64 s[0:1], s[0:1], 8
	s_add_u32 s24, s6, s0
	s_addc_u32 s25, s7, s1
.LBB269_8:                              ;   in Loop: Header=BB269_6 Depth=1
	v_cndmask_b32_e64 v10, 0, 1, s[46:47]
	v_cmp_ne_u32_e64 s[0:1], 1, v10
	s_andn2_b64 vcc, exec, s[46:47]
	s_cbranch_vccnz .LBB269_10
; %bb.9:                                ;   in Loop: Header=BB269_6 Depth=1
	s_add_i32 s28, s62, 64
	s_add_u32 s28, s48, s28
	s_addc_u32 s29, s65, 0
	s_mul_i32 s31, s28, s54
	s_mul_hi_u32 s46, s28, s58
	s_add_i32 s31, s46, s31
	s_mul_i32 s29, s29, s58
	s_add_i32 s31, s31, s29
	s_mul_i32 s28, s28, s58
	s_add_u32 s28, s28, s57
	s_addc_u32 s29, s31, s60
	s_lshl_b64 s[28:29], s[28:29], 8
	s_add_u32 s28, s4, s28
	s_addc_u32 s29, s5, s29
.LBB269_10:                             ;   in Loop: Header=BB269_6 Depth=1
	v_perm_b32 v11, v5, v4, s66
	v_perm_b32 v10, v3, v2, s66
	;; [unrolled: 1-line block ×4, first 2 shown]
	ds_write_b64 v75, v[10:11]
	ds_write_b64 v76, v[12:13]
	;; [unrolled: 1-line block ×4, first 2 shown]
	v_perm_b32 v11, v114, v109, s66
	v_perm_b32 v10, v108, v107, s66
	;; [unrolled: 1-line block ×4, first 2 shown]
	ds_write_b64 v77, v[10:11]
	ds_write_b64 v78, v[12:13]
	;; [unrolled: 1-line block ×4, first 2 shown]
	s_waitcnt lgkmcnt(0)
	s_barrier
	ds_read_b64 v[14:15], v83 offset:24576
	ds_read2_b64 v[10:13], v84 offset1:16
	ds_read_b64 v[18:19], v86 offset:3072
	ds_read_b64 v[20:21], v84 offset:3072
	;; [unrolled: 1-line block ×3, first 2 shown]
	s_waitcnt lgkmcnt(3)
	v_mfma_f32_16x16x16_bf16 a[0:3], v[14:15], v[10:11], 0
	s_add_i32 s31, s62, 63
	s_mul_i32 s46, s31, s39
	s_mul_hi_u32 s47, s31, s38
	v_mfma_f32_16x16x16_bf16 a[4:7], v[14:15], v[12:13], 0
	ds_read2st64_b64 v[10:13], v84 offset0:2 offset1:4
	ds_read2st64_b64 v[14:17], v86 offset0:2 offset1:4
	s_add_i32 s47, s47, s46
	s_waitcnt lgkmcnt(1)
	v_mfma_f32_16x16x16_bf16 a[0:3], v[22:23], v[10:11], a[0:3]
	s_mul_i32 s46, s31, s38
	s_lshl_b64 s[46:47], s[46:47], 2
	s_add_u32 s46, s44, s46
	s_waitcnt lgkmcnt(0)
	v_mfma_f32_16x16x16_bf16 a[4:7], v[22:23], v[14:15], a[4:7]
	ds_read_b64 v[10:11], v87 offset:24576
	ds_read_b64 v[14:15], v88 offset:24576
	s_addc_u32 s47, s45, s47
	s_and_b64 vcc, exec, s[0:1]
	s_waitcnt lgkmcnt(1)
	v_mfma_f32_16x16x16_bf16 a[0:3], v[10:11], v[12:13], a[0:3]
	v_mov_b32_e32 v117, 0
	v_mov_b32_e32 v116, 0
	;; [unrolled: 1-line block ×3, first 2 shown]
	v_mfma_f32_16x16x16_bf16 a[8:11], v[10:11], v[16:17], a[4:7]
	v_mov_b32_e32 v10, 0
	v_mov_b32_e32 v11, 0
	v_mov_b32_e32 v12, 0
	s_waitcnt lgkmcnt(0)
	v_mfma_f32_16x16x16_bf16 a[4:7], v[14:15], v[20:21], a[0:3]
	v_mov_b32_e32 v13, 0
	v_mov_b32_e32 v16, 0
	;; [unrolled: 1-line block ×3, first 2 shown]
	v_mfma_f32_16x16x16_bf16 a[0:3], v[14:15], v[18:19], a[8:11]
	v_mov_b32_e32 v14, 0
	v_mov_b32_e32 v15, 0
	v_mov_b32_e32 v18, 0
	v_mov_b32_e32 v19, 0
	v_mov_b32_e32 v20, 0
	v_mov_b32_e32 v21, 0
	v_mov_b32_e32 v22, 0
	v_mov_b32_e32 v23, 0
	v_mov_b32_e32 v24, 0
	v_mov_b32_e32 v25, 0
	s_cbranch_vccnz .LBB269_12
; %bb.11:                               ;   in Loop: Header=BB269_6 Depth=1
	s_and_b32 s25, s25, 0xffff
	buffer_load_dwordx4 v[22:25], v71, s[24:27], 0 offen
	buffer_load_dwordx4 v[18:21], v71, s[24:27], s61 offen
	;; [unrolled: 1-line block ×4, first 2 shown]
	v_mov_b32_e32 v116, v73
	v_mov_b32_e32 v115, v74
.LBB269_12:                             ;   in Loop: Header=BB269_6 Depth=1
	ds_read_b64 v[34:35], v83 offset:32768
	ds_read2_b64 v[26:29], v89 offset1:16
	ds_read_b64 v[36:37], v85 offset:32768
	ds_read_b64 v[38:39], v87 offset:32768
	;; [unrolled: 1-line block ×3, first 2 shown]
	ds_read2st64_b64 v[30:33], v89 offset0:2 offset1:4
	v_add_u32_e32 v42, s62, v96
	s_waitcnt lgkmcnt(4)
	v_mfma_f32_16x16x16_bf16 a[4:7], v[34:35], v[26:27], a[4:7]
	v_ashrrev_i32_e32 v26, 31, v42
	v_mfma_f32_16x16x16_bf16 a[0:3], v[34:35], v[28:29], a[0:3]
	v_mul_lo_u32 v28, v42, s39
	v_mul_lo_u32 v29, v26, s38
	v_mad_u64_u32 v[26:27], s[24:25], v42, s38, 0
	v_add3_u32 v27, v27, v28, v29
	v_add_u32_e32 v28, 1, v42
	v_ashrrev_i32_e32 v29, 31, v28
	s_waitcnt lgkmcnt(0)
	v_mfma_f32_16x16x16_bf16 a[4:7], v[36:37], v[30:31], a[4:7]
	v_mul_lo_u32 v30, v29, s38
	v_mul_lo_u32 v31, v28, s39
	v_mad_u64_u32 v[28:29], s[24:25], v28, s38, 0
	v_add3_u32 v29, v29, v31, v30
	v_add_u32_e32 v30, 2, v42
	v_ashrrev_i32_e32 v31, 31, v30
	v_mul_lo_u32 v34, v31, s38
	v_mul_lo_u32 v35, v30, s39
	v_mad_u64_u32 v[30:31], s[24:25], v30, s38, 0
	v_add3_u32 v31, v31, v35, v34
	v_add_u32_e32 v34, 3, v42
	v_ashrrev_i32_e32 v35, 31, v34
	v_mul_lo_u32 v42, v35, s38
	v_mul_lo_u32 v43, v34, s39
	v_mad_u64_u32 v[34:35], s[24:25], v34, s38, 0
	s_add_u32 s24, s42, s62
	s_addc_u32 s25, s43, 0
	s_lshl_b64 s[70:71], s[24:25], 8
	v_lshl_add_u64 v[26:27], v[26:27], 2, s[44:45]
	v_add3_u32 v35, v35, v43, v42
	v_lshl_add_u64 v[42:43], v[56:57], 0, s[70:71]
	v_lshl_add_u64 v[28:29], v[28:29], 2, s[44:45]
	v_lshl_add_u64 v[42:43], v[42:43], 0, v[54:55]
	global_load_dword v44, v[26:27], off
	global_load_ushort v45, v[42:43], off offset:256
	global_load_ushort v46, v[42:43], off
	global_load_ushort v47, v[42:43], off offset:768
	v_lshl_add_u64 v[26:27], v[34:35], 2, s[44:45]
	v_lshl_add_u64 v[30:31], v[30:31], 2, s[44:45]
	global_load_dword v48, v[28:29], off
	global_load_dword v49, v[30:31], off
	;; [unrolled: 1-line block ×3, first 2 shown]
	ds_read2st64_b64 v[26:29], v90 offset0:2 offset1:4
	s_waitcnt lgkmcnt(0)
	v_mfma_f32_16x16x16_bf16 a[0:3], v[36:37], v[26:27], a[0:3]
	global_load_ushort v36, v[42:43], off offset:512
	global_load_ushort v51, v[42:43], off offset:800
	;; [unrolled: 1-line block ×4, first 2 shown]
	s_nop 0
	global_load_ushort v42, v[42:43], off offset:32
	s_and_b64 vcc, exec, s[0:1]
	v_mfma_f32_16x16x16_bf16 a[4:7], v[38:39], v[32:33], a[4:7]
	s_waitcnt vmcnt(10)
	v_lshlrev_b32_e32 v35, 16, v45
	v_mfma_f32_16x16x16_bf16 a[0:3], v[38:39], v[28:29], a[0:3]
	ds_read_b64 v[26:27], v89 offset:3072
	ds_read_b64 v[28:29], v90 offset:3072
	s_load_dword s24, s[46:47], 0x0
	s_waitcnt vmcnt(9)
	v_lshlrev_b32_e32 v34, 16, v46
	s_waitcnt lgkmcnt(0)
	v_mfma_f32_16x16x16_bf16 a[4:7], v[40:41], v[26:27], a[4:7]
	v_lshl_add_u64 v[26:27], v[58:59], 0, s[70:71]
	v_sub_f32_e32 v38, s24, v44
	s_waitcnt vmcnt(7)
	v_sub_f32_e32 v39, s24, v48
	v_mfma_f32_16x16x16_bf16 a[0:3], v[40:41], v[28:29], a[0:3]
	s_waitcnt vmcnt(6)
	v_sub_f32_e32 v40, s24, v49
	s_waitcnt vmcnt(5)
	v_sub_f32_e32 v41, s24, v50
	v_accvgpr_read_b32 v33, a5
	v_accvgpr_read_b32 v32, a4
	v_exp_f32_e32 v38, v38
	v_pk_add_f32 v[32:33], v[34:35], v[32:33] neg_lo:[0,1] neg_hi:[0,1]
	v_exp_f32_e32 v39, v39
	v_exp_f32_e32 v34, v40
	;; [unrolled: 1-line block ×3, first 2 shown]
	v_accvgpr_read_b32 v29, a7
	v_accvgpr_read_b32 v28, a6
	v_lshlrev_b32_e32 v37, 16, v47
	s_waitcnt vmcnt(4)
	v_lshlrev_b32_e32 v36, 16, v36
	v_lshl_add_u64 v[26:27], v[26:27], 0, v[54:55]
	v_pk_add_f32 v[28:29], v[36:37], v[28:29] neg_lo:[0,1] neg_hi:[0,1]
	global_store_short_d16_hi v[26:27], v32, off
	global_store_short_d16_hi v[26:27], v33, off offset:256
	global_store_short_d16_hi v[26:27], v28, off offset:512
	;; [unrolled: 1-line block ×3, first 2 shown]
	v_pk_mul_f32 v[32:33], v[38:39], v[32:33]
	v_pk_mul_f32 v[28:29], v[34:35], v[28:29]
	v_accvgpr_read_b32 v37, a1
	v_perm_b32 v32, v33, v32, s66
	v_perm_b32 v33, v29, v28, s66
	s_waitcnt vmcnt(5)
	v_lshlrev_b32_e32 v29, 16, v118
	s_waitcnt vmcnt(4)
	v_lshlrev_b32_e32 v28, 16, v42
	v_accvgpr_read_b32 v36, a0
	v_accvgpr_read_b32 v31, a3
	;; [unrolled: 1-line block ×3, first 2 shown]
	v_pk_add_f32 v[28:29], v[28:29], v[36:37] neg_lo:[0,1] neg_hi:[0,1]
	v_lshlrev_b32_e32 v37, 16, v51
	v_lshlrev_b32_e32 v36, 16, v52
	v_pk_add_f32 v[30:31], v[36:37], v[30:31] neg_lo:[0,1] neg_hi:[0,1]
	global_store_short_d16_hi v[26:27], v28, off offset:32
	global_store_short_d16_hi v[26:27], v29, off offset:288
	;; [unrolled: 1-line block ×4, first 2 shown]
	v_pk_mul_f32 v[26:27], v[38:39], v[28:29]
	v_pk_mul_f32 v[28:29], v[34:35], v[30:31]
	v_mov_b32_e32 v118, 0
	v_perm_b32 v29, v29, v28, s66
	v_perm_b32 v28, v27, v26, s66
	ds_write2_b64 v76, v[32:33], v[28:29] offset1:16
	v_mov_b32_e32 v26, 0
	v_mov_b32_e32 v27, 0
	;; [unrolled: 1-line block ×16, first 2 shown]
	s_cbranch_vccnz .LBB269_14
; %bb.13:                               ;   in Loop: Header=BB269_6 Depth=1
	s_and_b32 s29, s29, 0xffff
	s_mov_b32 s31, s27
	buffer_load_dwordx4 v[38:41], v94, s[28:31], 0 offen
	buffer_load_dwordx4 v[30:33], v94, s[28:31], s61 offen
	;; [unrolled: 1-line block ×4, first 2 shown]
	v_mov_b32_e32 v117, v70
	v_mov_b32_e32 v118, v69
.LBB269_14:                             ;   in Loop: Header=BB269_6 Depth=1
	s_waitcnt lgkmcnt(0)
	s_barrier
	ds_read_b64 v[46:47], v98
	ds_read_b64 v[124:125], v93
	;; [unrolled: 1-line block ×5, first 2 shown]
	ds_read_b64 v[138:139], v90 offset:3072
	ds_read2_b64 v[42:45], v89 offset0:16 offset1:128
	s_waitcnt lgkmcnt(5)
	v_mfma_f32_16x16x16_bf16 a[0:3], v[46:47], v[124:125], 0
	s_add_i32 s25, s55, s68
	s_mul_hi_i32 s29, s25, s13
	s_mul_i32 s25, s25, s13
	s_waitcnt lgkmcnt(0)
	v_mfma_f32_16x16x16_bf16 a[4:7], v[46:47], v[42:43], 0
	ds_read_b64 v[46:47], v103
	ds_read2st64_b64 v[48:51], v90 offset0:2 offset1:4
	s_add_u32 s28, s25, s33
	s_addc_u32 s29, s29, s59
	s_add_i32 s25, s3, s62
	s_lshl_b64 s[28:29], s[28:29], 15
	s_mul_hi_i32 s31, s25, s13
	s_mul_i32 s25, s25, s13
	s_add_u32 s46, s25, s33
	s_waitcnt lgkmcnt(1)
	v_mfma_f32_16x16x16_bf16 a[8:11], v[46:47], v[124:125], 0
	s_addc_u32 s47, s31, s59
	ds_read2st64_b64 v[120:123], v89 offset0:4 offset1:6
	s_lshl_b64 s[46:47], s[46:47], 9
	v_mfma_f32_16x16x16_bf16 a[0:3], v[126:127], v[44:45], a[0:3]
	s_add_u32 s46, s36, s46
	s_addc_u32 s47, s37, s47
	s_waitcnt lgkmcnt(1)
	v_mfma_f32_16x16x16_bf16 a[4:7], v[126:127], v[48:49], a[4:7]
	ds_read_b64 v[126:127], v104
	ds_read_b64 v[134:135], v105
	;; [unrolled: 1-line block ×3, first 2 shown]
	v_mfma_f32_16x16x16_bf16 a[12:15], v[46:47], v[42:43], 0
	s_waitcnt lgkmcnt(2)
	v_mfma_f32_16x16x16_bf16 a[8:11], v[126:127], v[44:45], a[8:11]
	global_load_dwordx4 v[42:45], v102, s[46:47]
	v_mfma_f32_16x16x16_bf16 a[12:15], v[126:127], v[48:49], a[12:15]
	global_load_dwordx4 v[46:49], v97, s[46:47]
	ds_read2st64_b64 v[124:127], v91 offset1:8
	s_waitcnt lgkmcnt(0)
	v_mov_b32_e32 v132, v124
	v_mfma_f32_16x16x16_bf16 a[0:3], v[128:129], v[120:121], a[0:3]
	v_mov_b32_e32 v133, v125
	v_mfma_f32_16x16x16_bf16 a[4:7], v[128:129], v[50:51], a[4:7]
	ds_read2st64_b64 v[128:131], v92 offset1:8
	v_mfma_f32_16x16x16_bf16 a[8:11], v[134:135], v[120:121], a[8:11]
	v_lshl_add_u64 v[120:121], v[60:61], 0, s[28:29]
	v_mfma_f32_16x16x16_bf16 a[16:19], v[134:135], v[50:51], a[12:15]
	v_add_co_u32_e32 v50, vcc, s41, v120
	s_waitcnt lgkmcnt(0)
	v_mov_b32_e32 v134, v128
	v_mfma_f32_16x16x16_bf16 a[0:3], v[136:137], v[122:123], a[0:3]
	v_mov_b32_e32 v135, v129
	v_mov_b32_e32 v128, v126
	;; [unrolled: 1-line block ×3, first 2 shown]
	v_mfma_f32_16x16x16_bf16 a[4:7], v[136:137], v[138:139], a[4:7]
	v_addc_co_u32_e32 v51, vcc, 0, v121, vcc
	global_store_dwordx4 v[50:51], v[128:131], off
	v_mfma_f32_16x16x16_bf16 a[12:15], v[140:141], v[122:123], a[8:11]
	s_and_b64 vcc, exec, s[0:1]
	global_store_dwordx4 v[120:121], v[132:135], off
	s_waitcnt vmcnt(3)
	v_mov_b32_e32 v52, v45
	v_mfma_f32_16x16x16_bf16 a[8:11], v[140:141], v[138:139], a[16:19]
	v_mov_b32_e32 v51, v44
	v_mov_b32_e32 v50, v43
	s_cbranch_vccnz .LBB269_16
; %bb.15:                               ;   in Loop: Header=BB269_6 Depth=1
	v_lshrrev_b32_e32 v43, 3, v117
	v_and_b32_e32 v43, 6, v43
	v_xor_b32_e32 v44, v43, v118
	v_lshlrev_b32_e32 v44, 2, v44
	v_and_b32_e32 v45, 8, v117
	v_xor_b32_e32 v117, 0x440, v44
	v_cmp_eq_u32_e32 vcc, 0, v45
	v_perm_b32 v45, v30, v26, s63
	s_nop 0
	v_cndmask_b32_e32 v44, v117, v44, vcc
	v_lshl_or_b32 v43, v43, 10, v44
	v_perm_b32 v44, v38, v34, s63
	s_barrier
	ds_write2st64_b32 v43, v44, v45 offset0:32 offset1:64
	v_xor_b32_e32 v44, 8, v43
	v_perm_b32 v34, v38, v34, s64
	v_perm_b32 v26, v30, v26, s64
	v_add_u32_e32 v30, 0x80, v44
	ds_write2st64_b32 v30, v34, v26 offset0:32 offset1:64
	v_xor_b32_e32 v26, 16, v43
	v_perm_b32 v30, v39, v35, s63
	v_perm_b32 v34, v31, v27, s63
	ds_write2st64_b32 v26, v30, v34 offset0:33 offset1:65
	v_xor_b32_e32 v26, 24, v43
	v_perm_b32 v30, v39, v35, s64
	v_perm_b32 v27, v31, v27, s64
	v_add_u32_e32 v26, 0x80, v26
	ds_write2st64_b32 v26, v30, v27 offset0:33 offset1:65
	v_xor_b32_e32 v26, 32, v43
	v_perm_b32 v27, v40, v36, s63
	v_perm_b32 v30, v32, v28, s63
	;; [unrolled: 9-line block ×3, first 2 shown]
	ds_write2st64_b32 v26, v27, v28 offset0:35 offset1:67
	v_xor_b32_e32 v26, 56, v43
	v_perm_b32 v27, v41, v37, s64
	v_perm_b32 v28, v33, v29, s64
	v_add_u32_e32 v26, 0x80, v26
	ds_write2st64_b32 v26, v27, v28 offset0:35 offset1:67
	ds_write_b64 v116, v[22:23] offset:24576
	v_xor_b32_e32 v22, 8, v116
	ds_write_b64 v22, v[24:25] offset:24576
	ds_write_b64 v116, v[18:19] offset:32768
	;; [unrolled: 1-line block ×4, first 2 shown]
	v_xor_b32_e32 v14, 8, v115
	ds_write_b64 v14, v[16:17] offset:24576
	ds_write_b64 v115, v[10:11] offset:32768
	;; [unrolled: 1-line block ×3, first 2 shown]
.LBB269_16:                             ;   in Loop: Header=BB269_6 Depth=1
	v_exp_f32_e32 v26, s24
	s_waitcnt vmcnt(2)
	v_exp_f32_e32 v28, v46
	v_exp_f32_e32 v29, v47
	;; [unrolled: 1-line block ×4, first 2 shown]
	v_accvgpr_read_b32 v21, a3
	v_accvgpr_read_b32 v19, a1
	;; [unrolled: 1-line block ×4, first 2 shown]
	v_pk_mul_f32 v[28:29], v[26:27], v[28:29] op_sel_hi:[0,1]
	v_accvgpr_read_b32 v20, a2
	v_accvgpr_read_b32 v11, a5
	;; [unrolled: 1-line block ×3, first 2 shown]
	v_pk_fma_f32 v[2:3], v[2:3], v[28:29], v[18:19]
	v_pk_mul_f32 v[18:19], v[26:27], v[30:31] op_sel_hi:[0,1]
	v_pk_fma_f32 v[4:5], v[4:5], v[18:19], v[20:21]
	v_fma_f32 v107, v107, v28, v10
	v_fma_f32 v108, v108, v29, v11
	v_exp_f32_e32 v10, v42
	v_exp_f32_e32 v11, v50
	;; [unrolled: 1-line block ×4, first 2 shown]
	v_accvgpr_read_b32 v12, a6
	v_accvgpr_read_b32 v25, a15
	;; [unrolled: 1-line block ×9, first 2 shown]
	v_fma_f32 v109, v109, v18, v12
	v_fmac_f32_e32 v13, v114, v19
	v_pk_mul_f32 v[10:11], v[26:27], v[10:11] op_sel_hi:[0,1]
	v_pk_mul_f32 v[18:19], v[26:27], v[20:21] op_sel_hi:[0,1]
	s_add_i32 s62, s62, 64
	v_pk_fma_f32 v[6:7], v[6:7], v[10:11], v[22:23]
	v_pk_fma_f32 v[8:9], v[8:9], v[18:19], v[24:25]
	v_fma_f32 v110, v110, v10, v14
	v_fma_f32 v111, v111, v11, v15
	;; [unrolled: 1-line block ×3, first 2 shown]
	s_cmp_eq_u32 s53, s67
	v_fmac_f32_e32 v17, v113, v19
	s_cbranch_scc1 .LBB269_18
; %bb.17:                               ;   in Loop: Header=BB269_6 Depth=1
	s_mov_b32 s68, s67
	v_mov_b32_e32 v114, v13
	v_mov_b32_e32 v113, v17
	s_branch .LBB269_6
.LBB269_18:
	v_mov_b32_e32 v16, v112
	v_mov_b32_e32 v15, v111
	;; [unrolled: 1-line block ×6, first 2 shown]
.LBB269_19:
	s_lshl_b32 s46, s53, 6
	s_sub_i32 s47, s12, s46
	s_cmp_gt_i32 s47, 0
	v_or_b32_e32 v34, s2, v65
	s_cbranch_scc1 .LBB269_21
; %bb.20:
	s_ashr_i32 s0, s33, 31
	s_add_u32 s28, s50, s33
	s_addc_u32 s29, s56, s0
	v_or_b32_e32 v35, s2, v65
	s_cbranch_execz .LBB269_22
	s_branch .LBB269_86
.LBB269_21:
                                        ; implicit-def: $sgpr28_sgpr29
                                        ; implicit-def: $vgpr35
.LBB269_22:
	s_ashr_i32 s41, s52, 31
	s_ashr_i32 s3, s46, 31
	s_cmpk_lg_i32 s15, 0x80
	s_cselect_b64 s[42:43], -1, 0
	s_and_b64 vcc, exec, s[42:43]
	s_cbranch_vccz .LBB269_24
; %bb.23:
	s_mul_hi_i32 s0, s52, s12
	s_add_u32 s1, s48, s46
	s_addc_u32 s0, s0, s3
	s_mul_i32 s24, s1, s54
	s_mul_hi_u32 s25, s1, s14
	s_add_i32 s24, s25, s24
	s_mul_i32 s0, s0, s14
	s_add_i32 s24, s24, s0
	s_mul_i32 s1, s1, s14
	s_ashr_i32 s0, s57, 31
	s_add_u32 s44, s1, s57
	s_addc_u32 s45, s24, s0
	s_cbranch_execz .LBB269_25
	s_branch .LBB269_26
.LBB269_24:
                                        ; implicit-def: $sgpr44_sgpr45
.LBB269_25:
	s_mul_hi_i32 s0, s52, s14
	s_mul_i32 s52, s52, s14
	s_ashr_i32 s1, s57, 31
	s_add_u32 s14, s52, s57
	s_addc_u32 s0, s0, s1
	s_mul_i32 s1, s14, s51
	s_mul_hi_u32 s24, s14, s12
	s_add_i32 s1, s24, s1
	s_mul_i32 s0, s0, s12
	s_add_i32 s1, s1, s0
	s_mul_i32 s14, s14, s12
	s_add_u32 s44, s14, s46
	s_addc_u32 s45, s1, s3
.LBB269_26:
	s_add_i32 s24, s55, s53
	s_ashr_i32 s14, s33, 31
	s_add_u32 s28, s50, s33
	s_addc_u32 s29, s56, s14
	s_mul_i32 s0, s28, s51
	s_mul_hi_u32 s1, s28, s12
	s_add_i32 s0, s1, s0
	s_mul_i32 s1, s29, s12
	s_add_i32 s1, s0, s1
	s_mul_i32 s0, s28, s12
	s_add_u32 s0, s0, s46
	v_lshlrev_b32_e32 v22, 5, v1
	v_lshlrev_b32_e32 v40, 2, v65
	s_addc_u32 s1, s1, s3
	s_mov_b32 s3, 0x7060302
	v_or_b32_e32 v25, v22, v40
	v_xor_b32_e32 v23, v1, v40
	v_perm_b32 v19, v5, v4, s3
	v_perm_b32 v18, v3, v2, s3
	;; [unrolled: 1-line block ×4, first 2 shown]
	v_lshlrev_b32_e32 v25, 1, v25
	v_xor_b32_e32 v24, v68, v40
	ds_write2st64_b64 v25, v[18:19], v[20:21] offset0:80 offset1:88
	v_lshlrev_b32_e32 v23, 1, v23
	v_lshlrev_b32_e32 v25, 8, v65
	s_lshl_b64 s[30:31], s[0:1], 8
	v_or_b32_e32 v26, v23, v25
	v_lshlrev_b32_e32 v24, 1, v24
	s_add_u32 s0, s6, s30
	ds_write_b64 v26, v[18:19]
	v_or_b32_e32 v18, v24, v25
	s_addc_u32 s1, s7, s31
	ds_write_b64 v18, v[20:21]
	v_perm_b32 v19, v13, v12, s3
	v_perm_b32 v18, v11, v10, s3
	;; [unrolled: 1-line block ×4, first 2 shown]
	v_or_b32_e32 v25, 16, v65
	s_mul_hi_i32 s3, s24, s13
	s_mul_i32 s24, s24, s13
	v_lshlrev_b32_e32 v37, 2, v25
	s_add_u32 s6, s24, s33
	v_or_b32_e32 v22, v22, v37
	s_addc_u32 s7, s3, s14
	v_lshlrev_b32_e32 v22, 1, v22
	s_ashr_i32 s3, s2, 31
	s_lshl_b64 s[6:7], s[6:7], 15
	ds_write2st64_b64 v22, v[18:19], v[20:21] offset0:80 offset1:88
	v_lshlrev_b32_e32 v22, 8, v25
	s_add_u32 s6, s16, s6
	v_or_b32_e32 v23, v23, v22
	s_addc_u32 s7, s17, s7
	s_lshl_b64 s[2:3], s[2:3], 8
	ds_write_b64 v23, v[18:19]
	v_or_b32_e32 v18, v24, v22
	s_add_u32 s2, s6, s2
	ds_write_b64 v18, v[20:21]
	v_lshrrev_b32_e32 v18, 4, v0
	s_addc_u32 s3, s7, s3
	v_lshlrev_b32_e32 v19, 1, v65
	v_lshlrev_b32_e32 v26, 4, v65
	v_mov_b32_e32 v27, 0
	v_or_b32_e32 v20, 1, v19
	v_xor_b32_e32 v19, v18, v19
	v_lshl_add_u64 v[28:29], s[2:3], 0, v[26:27]
	v_lshlrev_b32_e32 v26, 8, v18
	v_xor_b32_e32 v22, v20, v18
	v_lshl_or_b32 v18, v19, 3, v26
	s_waitcnt lgkmcnt(0)
	s_barrier
	ds_read2st64_b64 v[18:21], v18 offset1:8
	v_lshl_or_b32 v22, v22, 3, v26
	ds_read2st64_b64 v[22:25], v22 offset1:8
	v_lshl_add_u64 v[30:31], v[28:29], 0, v[26:27]
	s_movk_i32 s2, 0x1000
	s_waitcnt lgkmcnt(1)
	v_mov_b32_e32 v26, v18
	v_add_co_u32_e32 v18, vcc, s2, v30
	s_cmp_lg_u32 s47, 64
	v_mov_b32_e32 v27, v19
	v_addc_co_u32_e32 v19, vcc, 0, v31, vcc
	s_cselect_b64 s[6:7], -1, 0
	v_lshl_or_b32 v35, v53, 3, v67
	s_waitcnt lgkmcnt(0)
	v_mov_b32_e32 v28, v22
	v_mov_b32_e32 v29, v23
	;; [unrolled: 1-line block ×4, first 2 shown]
	s_mov_b32 s24, 0
	v_or_b32_e32 v38, 32, v35
	v_and_b32_e32 v36, 56, v66
	s_and_b64 vcc, exec, s[6:7]
	global_store_dwordx4 v[30:31], v[26:29], off
	global_store_dwordx4 v[18:19], v[22:25], off
	s_cbranch_vccz .LBB269_32
; %bb.27:
	s_mov_b32 s25, s24
	s_mov_b32 s26, s24
	;; [unrolled: 1-line block ×3, first 2 shown]
	v_mov_b64_e32 v[22:23], s[24:25]
	v_mov_b64_e32 v[24:25], s[26:27]
	;; [unrolled: 1-line block ×3, first 2 shown]
	v_cmp_gt_i32_e32 vcc, s47, v35
	v_mov_b64_e32 v[20:21], v[24:25]
	s_and_saveexec_b64 s[2:3], vcc
	s_cbranch_execz .LBB269_29
; %bb.28:
	v_lshlrev_b32_e32 v18, 8, v35
	v_mov_b32_e32 v19, 0
	v_lshl_add_u64 v[20:21], s[0:1], 0, v[18:19]
	v_lshlrev_b32_e32 v18, 1, v36
	v_lshl_add_u64 v[26:27], v[20:21], 0, v[18:19]
	global_load_dwordx4 v[22:25], v[26:27], off
	global_load_dwordx4 v[18:21], v[26:27], off offset:128
.LBB269_29:
	s_or_b64 exec, exec, s[2:3]
	s_mov_b32 s26, s24
	s_mov_b32 s27, s24
	s_mov_b32 s25, s24
	v_mov_b64_e32 v[32:33], s[26:27]
	v_mov_b64_e32 v[30:31], s[24:25]
	;; [unrolled: 1-line block ×3, first 2 shown]
	v_cmp_gt_i32_e32 vcc, s47, v38
	v_lshlrev_b32_e32 v39, 7, v38
	v_mov_b64_e32 v[28:29], v[32:33]
	s_and_saveexec_b64 s[2:3], vcc
	s_cbranch_execz .LBB269_31
; %bb.30:
	v_lshlrev_b32_e32 v26, 1, v39
	v_mov_b32_e32 v27, 0
	v_lshl_add_u64 v[28:29], s[0:1], 0, v[26:27]
	v_lshlrev_b32_e32 v26, 1, v36
	v_lshl_add_u64 v[42:43], v[28:29], 0, v[26:27]
	global_load_dwordx4 v[30:33], v[42:43], off
	global_load_dwordx4 v[26:29], v[42:43], off offset:128
.LBB269_31:
	s_or_b64 exec, exec, s[2:3]
	v_lshrrev_b32_e32 v41, 3, v36
	v_lshlrev_b32_e32 v42, 3, v35
	v_or_b32_e32 v41, v42, v41
	v_lshlrev_b32_e32 v41, 4, v41
	v_and_b32_e32 v42, 0x78, v42
	v_xor_b32_e32 v41, v41, v42
	s_branch .LBB269_34
.LBB269_32:
                                        ; implicit-def: $vgpr41
                                        ; implicit-def: $vgpr39
                                        ; implicit-def: $vgpr22_vgpr23_vgpr24_vgpr25
                                        ; implicit-def: $vgpr18_vgpr19_vgpr20_vgpr21
                                        ; implicit-def: $vgpr30_vgpr31_vgpr32_vgpr33
                                        ; implicit-def: $vgpr26_vgpr27_vgpr28_vgpr29
	s_cbranch_execz .LBB269_34
; %bb.33:
	s_waitcnt vmcnt(0)
	v_lshlrev_b32_e32 v18, 1, v36
	v_lshl_or_b32 v39, v35, 8, v18
	s_and_b32 s1, s1, 0xffff
	s_mov_b32 s3, 0x20000
	s_movk_i32 s2, 0x4000
	v_lshl_or_b32 v41, v38, 8, v18
	s_movk_i32 s16, 0x80
	buffer_load_dwordx4 v[22:25], v39, s[0:3], 0 offen
	buffer_load_dwordx4 v[18:21], v39, s[0:3], s16 offen
	;; [unrolled: 1-line block ×4, first 2 shown]
	v_lshrrev_b32_e32 v39, 3, v36
	v_lshlrev_b32_e32 v41, 3, v35
	v_or_b32_e32 v39, v41, v39
	v_lshlrev_b32_e32 v39, 4, v39
	v_and_b32_e32 v41, 0x78, v41
	v_xor_b32_e32 v41, v39, v41
	v_lshlrev_b32_e32 v39, 7, v38
.LBB269_34:
	s_lshl_b64 s[0:1], s[44:45], 8
	s_add_u32 s4, s4, s0
	s_movk_i32 s0, 0x1000
	v_and_or_b32 v38, v39, s0, v41
	s_waitcnt vmcnt(1)
	ds_write_b64 v41, v[22:23] offset:24576
	v_xor_b32_e32 v22, 8, v41
	ds_write_b64 v22, v[24:25] offset:24576
	s_waitcnt vmcnt(0)
	ds_write_b64 v41, v[18:19] offset:32768
	ds_write_b64 v22, v[20:21] offset:32768
	;; [unrolled: 1-line block ×3, first 2 shown]
	v_xor_b32_e32 v18, 8, v38
	ds_write_b64 v18, v[32:33] offset:24576
	ds_write_b64 v38, v[26:27] offset:32768
	;; [unrolled: 1-line block ×3, first 2 shown]
	v_or_b32_e32 v18, v62, v65
	v_lshlrev_b32_e32 v18, 3, v18
	v_lshrrev_b32_e32 v19, 5, v63
	s_movk_i32 s16, 0xf8
	v_and_or_b32 v19, v18, s16, v19
	v_lshlrev_b32_e32 v23, 4, v19
	v_lshlrev_b32_e32 v41, 11, v53
	v_and_b32_e32 v24, 0x78, v18
	v_or_b32_e32 v26, 32, v23
	v_and_b32_e32 v22, 0x1000, v41
	v_lshrrev_b32_e32 v19, 1, v63
	v_xor_b32_e32 v26, v26, v24
	v_xor_b32_e32 v18, v23, v24
	v_and_b32_e32 v25, 8, v19
	v_or_b32_e32 v26, v26, v22
	v_or_b32_e32 v18, v18, v22
	v_xor_b32_e32 v45, v26, v25
	v_or_b32_e32 v26, 64, v23
	v_xor_b32_e32 v44, v18, v25
	v_xor_b32_e32 v26, v26, v24
	s_waitcnt lgkmcnt(0)
	s_barrier
	v_or_b32_e32 v28, v26, v22
	ds_read_b64 v[26:27], v44 offset:24576
	v_lshl_or_b32 v38, v64, 7, v40
	v_lshlrev_b32_e32 v42, 1, v38
	v_add_u32_e32 v18, 0xa000, v42
	ds_read2_b64 v[18:21], v18 offset1:16
	v_or_b32_e32 v23, 0x60, v23
	v_xor_b32_e32 v23, v23, v24
	s_waitcnt lgkmcnt(0)
	v_mfma_f32_16x16x16_bf16 a[0:3], v[26:27], v[18:19], 0
	v_or_b32_e32 v18, 64, v38
	v_or_b32_e32 v22, v23, v22
	v_lshlrev_b32_e32 v43, 1, v18
	v_xor_b32_e32 v46, v28, v25
	v_xor_b32_e32 v47, v22, v25
	ds_read_b64 v[28:29], v45 offset:24576
	ds_read_b64 v[30:31], v46 offset:24576
	;; [unrolled: 1-line block ×3, first 2 shown]
	v_mfma_f32_16x16x16_bf16 a[4:7], v[26:27], v[20:21], 0
	ds_read2st64_b64 v[18:21], v43 offset0:82 offset1:84
	ds_read2st64_b64 v[22:25], v42 offset0:82 offset1:84
	s_addc_u32 s5, s5, s1
	s_add_i32 s12, s12, -1
	s_add_i32 s0, s49, s21
	s_mul_i32 s41, s41, s20
	s_add_i32 s41, s0, s41
	s_mul_i32 s0, s33, s23
	s_mul_hi_u32 s1, s33, s22
	s_ashr_i32 s2, s12, 31
	s_mul_i32 s3, s12, s39
	s_mul_hi_u32 s16, s12, s38
	s_add_i32 s0, s1, s0
	s_mul_i32 s1, s14, s22
	s_add_i32 s3, s16, s3
	s_mul_i32 s2, s2, s38
	s_waitcnt lgkmcnt(1)
	v_mfma_f32_16x16x16_bf16 a[4:7], v[28:29], v[18:19], a[4:7]
	s_add_i32 s1, s0, s1
	s_add_i32 s3, s3, s2
	s_lshl_b64 s[16:17], s[40:41], 2
	s_waitcnt lgkmcnt(0)
	v_mfma_f32_16x16x16_bf16 a[0:3], v[28:29], v[22:23], a[0:3]
	s_mul_i32 s0, s33, s22
	s_add_u32 s10, s10, s16
	s_addc_u32 s11, s11, s17
	s_lshl_b64 s[0:1], s[0:1], 2
	s_mul_i32 s2, s12, s38
	s_add_u32 s10, s10, s0
	ds_read_b64 v[18:19], v42 offset:44032
	v_mfma_f32_16x16x16_bf16 a[4:7], v[30:31], v[20:21], a[4:7]
	ds_read_b64 v[20:21], v43 offset:44032
	s_addc_u32 s11, s11, s1
	s_lshl_b64 s[0:1], s[2:3], 2
	v_mfma_f32_16x16x16_bf16 a[0:3], v[30:31], v[24:25], a[0:3]
	s_add_u32 s0, s10, s0
	s_addc_u32 s1, s11, s1
	s_load_dword s16, s[0:1], 0x0
	s_waitcnt lgkmcnt(0)
	v_mfma_f32_16x16x16_bf16 a[0:3], v[32:33], v[18:19], a[0:3]
	s_and_b64 vcc, exec, s[42:43]
	v_mfma_f32_16x16x16_bf16 a[4:7], v[32:33], v[20:21], a[4:7]
	s_cbranch_vccz .LBB269_45
; %bb.35:
	v_lshlrev_b32_e32 v38, 1, v35
	s_and_b64 vcc, exec, s[6:7]
	s_cbranch_vccz .LBB269_46
; %bb.36:
	v_cmp_gt_i32_e32 vcc, s47, v38
	v_mov_b32_e32 v22, 0
	v_mov_b32_e32 v18, 0
	;; [unrolled: 1-line block ×5, first 2 shown]
	s_and_saveexec_b64 s[0:1], vcc
	s_cbranch_execz .LBB269_38
; %bb.37:
	v_mad_i64_i32 v[18:19], s[2:3], s15, v38, 0
	v_lshl_add_u64 v[18:19], v[18:19], 1, s[4:5]
	v_lshlrev_b32_e32 v20, 1, v36
	v_mov_b32_e32 v21, 0
	v_lshl_add_u64 v[18:19], v[18:19], 0, v[20:21]
	global_load_dwordx4 v[18:21], v[18:19], off
.LBB269_38:
	s_or_b64 exec, exec, s[0:1]
	v_or_b32_e32 v39, 1, v38
	v_cmp_gt_i32_e64 s[0:1], s47, v39
	v_mov_b32_e32 v23, 0
	v_mov_b32_e32 v24, 0
	;; [unrolled: 1-line block ×3, first 2 shown]
	s_and_saveexec_b64 s[2:3], s[0:1]
	s_cbranch_execz .LBB269_40
; %bb.39:
	v_mad_i64_i32 v[22:23], s[20:21], s15, v39, 0
	v_lshl_add_u64 v[22:23], v[22:23], 1, s[4:5]
	v_lshlrev_b32_e32 v24, 1, v36
	v_mov_b32_e32 v25, 0
	v_lshl_add_u64 v[22:23], v[22:23], 0, v[24:25]
	global_load_dwordx4 v[22:25], v[22:23], off
.LBB269_40:
	s_or_b64 exec, exec, s[2:3]
	v_mov_b32_e32 v33, 0
	v_mov_b32_e32 v26, 0
	;; [unrolled: 1-line block ×5, first 2 shown]
	s_and_saveexec_b64 s[2:3], vcc
	s_cbranch_execz .LBB269_42
; %bb.41:
	v_mad_i64_i32 v[26:27], s[20:21], s15, v38, 0
	v_lshl_add_u64 v[26:27], v[26:27], 1, s[4:5]
	v_lshlrev_b32_e32 v28, 1, v36
	v_mov_b32_e32 v29, 0
	v_lshl_add_u64 v[26:27], v[26:27], 0, v[28:29]
	global_load_dwordx4 v[26:29], v[26:27], off offset:128
.LBB269_42:
	s_or_b64 exec, exec, s[2:3]
	v_mov_b32_e32 v32, 0
	v_mov_b32_e32 v31, 0
	;; [unrolled: 1-line block ×3, first 2 shown]
	s_and_saveexec_b64 s[2:3], s[0:1]
	s_cbranch_execz .LBB269_44
; %bb.43:
	v_mad_i64_i32 v[30:31], s[0:1], s15, v39, 0
	v_lshl_add_u64 v[30:31], v[30:31], 1, s[4:5]
	v_lshlrev_b32_e32 v32, 1, v36
	v_mov_b32_e32 v33, 0
	v_lshl_add_u64 v[30:31], v[30:31], 0, v[32:33]
	global_load_dwordx4 v[30:33], v[30:31], off offset:128
.LBB269_44:
	s_or_b64 exec, exec, s[2:3]
	s_branch .LBB269_48
.LBB269_45:
                                        ; implicit-def: $vgpr21
                                        ; implicit-def: $vgpr25
                                        ; implicit-def: $vgpr29
                                        ; implicit-def: $vgpr33
	v_lshrrev_b32_e32 v48, 2, v63
	s_branch .LBB269_49
.LBB269_46:
                                        ; implicit-def: $vgpr21
                                        ; implicit-def: $vgpr25
                                        ; implicit-def: $vgpr29
                                        ; implicit-def: $vgpr33
	s_cbranch_execz .LBB269_48
; %bb.47:
	s_waitcnt vmcnt(0)
	v_mad_u64_u32 v[18:19], s[0:1], v38, s15, v[36:37]
	v_lshlrev_b32_e32 v38, 1, v18
	s_lshl_b32 s2, s15, 7
	s_and_b32 s1, s5, 0xffff
	s_mov_b32 s3, 0x20000
	s_mov_b32 s0, s4
	v_add_lshl_u32 v39, v18, s15, 1
	s_movk_i32 s15, 0x80
	buffer_load_dwordx4 v[18:21], v38, s[0:3], 0 offen
	buffer_load_dwordx4 v[26:29], v38, s[0:3], s15 offen
	;; [unrolled: 1-line block ×4, first 2 shown]
.LBB269_48:
	v_lshrrev_b32_e32 v48, 2, v63
	s_cbranch_execnz .LBB269_61
.LBB269_49:
	s_and_b64 vcc, exec, s[6:7]
	s_cbranch_vccz .LBB269_59
; %bb.50:
	s_waitcnt vmcnt(0)
	v_lshlrev_b32_e32 v23, 1, v35
	v_cmp_gt_i32_e32 vcc, s47, v23
	v_mov_b32_e32 v22, 0
	v_lshlrev_b32_e32 v30, 9, v35
	v_mov_b32_e32 v18, 0
	v_mov_b32_e32 v19, 0
	;; [unrolled: 1-line block ×4, first 2 shown]
	s_and_saveexec_b64 s[0:1], vcc
	s_cbranch_execz .LBB269_52
; %bb.51:
	v_mov_b32_e32 v31, 0
	v_lshl_add_u64 v[18:19], s[4:5], 0, v[30:31]
	v_lshlrev_b32_e32 v20, 1, v36
	v_mov_b32_e32 v21, v31
	v_lshl_add_u64 v[18:19], v[18:19], 0, v[20:21]
	global_load_dwordx4 v[18:21], v[18:19], off
.LBB269_52:
	s_or_b64 exec, exec, s[0:1]
	v_or_b32_e32 v23, 1, v23
	v_cmp_gt_i32_e64 s[0:1], s47, v23
	v_lshlrev_b32_e32 v38, 8, v23
	v_mov_b32_e32 v23, 0
	v_mov_b32_e32 v24, 0
	;; [unrolled: 1-line block ×3, first 2 shown]
	s_and_saveexec_b64 s[2:3], s[0:1]
	s_cbranch_execz .LBB269_54
; %bb.53:
	v_mov_b32_e32 v39, 0
	v_lshl_add_u64 v[22:23], s[4:5], 0, v[38:39]
	v_lshlrev_b32_e32 v24, 1, v36
	v_mov_b32_e32 v25, v39
	v_lshl_add_u64 v[22:23], v[22:23], 0, v[24:25]
	global_load_dwordx4 v[22:25], v[22:23], off
.LBB269_54:
	s_or_b64 exec, exec, s[2:3]
	v_mov_b32_e32 v33, 0
	v_mov_b32_e32 v26, 0
	;; [unrolled: 1-line block ×5, first 2 shown]
	s_and_saveexec_b64 s[2:3], vcc
	s_cbranch_execz .LBB269_56
; %bb.55:
	v_mov_b32_e32 v31, 0
	v_lshl_add_u64 v[26:27], s[4:5], 0, v[30:31]
	v_lshlrev_b32_e32 v30, 1, v36
	v_lshl_add_u64 v[26:27], v[26:27], 0, v[30:31]
	global_load_dwordx4 v[26:29], v[26:27], off offset:128
.LBB269_56:
	s_or_b64 exec, exec, s[2:3]
	v_mov_b32_e32 v32, 0
	v_mov_b32_e32 v31, 0
	;; [unrolled: 1-line block ×3, first 2 shown]
	s_and_saveexec_b64 s[2:3], s[0:1]
	s_cbranch_execz .LBB269_58
; %bb.57:
	v_mov_b32_e32 v39, 0
	v_lshl_add_u64 v[30:31], s[4:5], 0, v[38:39]
	v_lshlrev_b32_e32 v38, 1, v36
	v_lshl_add_u64 v[30:31], v[30:31], 0, v[38:39]
	global_load_dwordx4 v[30:33], v[30:31], off offset:128
.LBB269_58:
	s_or_b64 exec, exec, s[2:3]
	s_branch .LBB269_61
.LBB269_59:
                                        ; implicit-def: $vgpr21
                                        ; implicit-def: $vgpr25
                                        ; implicit-def: $vgpr29
                                        ; implicit-def: $vgpr33
	s_cbranch_execz .LBB269_61
; %bb.60:
	s_waitcnt vmcnt(0)
	v_lshlrev_b32_e32 v18, 1, v36
	v_lshl_or_b32 v36, v35, 9, v18
	s_and_b32 s5, s5, 0xffff
	s_mov_b32 s7, 0x20000
	s_movk_i32 s6, 0x4000
	s_movk_i32 s0, 0x80
	buffer_load_dwordx4 v[18:21], v36, s[4:7], 0 offen
	buffer_load_dwordx4 v[22:25], v36, s[4:7], 0 offen offset:256
	buffer_load_dwordx4 v[26:29], v36, s[4:7], s0 offen
	buffer_load_dwordx4 v[30:33], v36, s[4:7], s0 offen offset:256
.LBB269_61:
	ds_read_b64 v[38:39], v44 offset:32768
	v_add_u32_e32 v36, 0xb000, v42
	ds_read2_b64 v[54:57], v36 offset1:16
	ds_read_b64 v[50:51], v45 offset:32768
	ds_read_b64 v[58:59], v46 offset:32768
	ds_read_b64 v[60:61], v47 offset:32768
	ds_read2st64_b64 v[44:47], v42 offset0:90 offset1:92
	v_and_b32_e32 v36, 12, v48
	v_and_b32_e32 v48, 6, v0
	v_xor_b32_e32 v35, v35, v48
	v_lshlrev_b32_e32 v35, 2, v35
	s_mov_b32 s0, 0x1000504
	s_waitcnt lgkmcnt(4)
	v_mfma_f32_16x16x16_bf16 a[0:3], v[38:39], v[54:55], a[0:3]
	s_mov_b32 s1, 0x3020706
	v_mfma_f32_16x16x16_bf16 a[4:7], v[38:39], v[56:57], a[4:7]
	ds_read2st64_b64 v[54:57], v43 offset0:90 offset1:92
	s_waitcnt lgkmcnt(1)
	v_mfma_f32_16x16x16_bf16 a[0:3], v[50:51], v[44:45], a[0:3]
	ds_read_b64 v[38:39], v42 offset:48128
	ds_read_b64 v[44:45], v43 offset:48128
	s_waitcnt lgkmcnt(2)
	v_mfma_f32_16x16x16_bf16 a[4:7], v[50:51], v[54:55], a[4:7]
	v_mfma_f32_16x16x16_bf16 a[0:3], v[58:59], v[46:47], a[0:3]
	v_and_b32_e32 v46, 1, v0
	v_xor_b32_e32 v47, 0x440, v35
	v_cmp_eq_u32_e32 vcc, 0, v46
	v_mfma_f32_16x16x16_bf16 a[8:11], v[58:59], v[56:57], a[4:7]
	s_nop 0
	v_cndmask_b32_e32 v35, v47, v35, vcc
	v_lshl_or_b32 v35, v48, 10, v35
	s_waitcnt lgkmcnt(1)
	v_mfma_f32_16x16x16_bf16 a[4:7], v[60:61], v[38:39], a[0:3]
	s_waitcnt vmcnt(0)
	v_perm_b32 v38, v18, v22, s0
	v_perm_b32 v39, v26, v30, s0
	ds_write2st64_b32 v35, v38, v39 offset0:32 offset1:64
	v_xor_b32_e32 v38, 8, v35
	v_perm_b32 v18, v18, v22, s1
	v_perm_b32 v22, v26, v30, s1
	v_add_u32_e32 v26, 0x80, v38
	ds_write2st64_b32 v26, v18, v22 offset0:32 offset1:64
	v_xor_b32_e32 v18, 16, v35
	v_perm_b32 v22, v19, v23, s0
	v_perm_b32 v26, v27, v31, s0
	ds_write2st64_b32 v18, v22, v26 offset0:33 offset1:65
	v_xor_b32_e32 v18, 24, v35
	v_perm_b32 v19, v19, v23, s1
	v_perm_b32 v22, v27, v31, s1
	v_add_u32_e32 v18, 0x80, v18
	ds_write2st64_b32 v18, v19, v22 offset0:33 offset1:65
	v_xor_b32_e32 v18, 32, v35
	v_perm_b32 v19, v20, v24, s0
	v_perm_b32 v22, v28, v32, s0
	ds_write2st64_b32 v18, v19, v22 offset0:34 offset1:66
	v_xor_b32_e32 v18, 40, v35
	s_waitcnt lgkmcnt(5)
	v_mfma_f32_16x16x16_bf16 a[0:3], v[60:61], v[44:45], a[8:11]
	v_perm_b32 v19, v20, v24, s1
	v_perm_b32 v20, v28, v32, s1
	v_add_u32_e32 v18, 0x80, v18
	ds_write2st64_b32 v18, v19, v20 offset0:34 offset1:66
	v_xor_b32_e32 v18, 48, v35
	v_perm_b32 v19, v21, v25, s0
	v_perm_b32 v20, v29, v33, s0
	ds_write2st64_b32 v18, v19, v20 offset0:35 offset1:67
	v_xor_b32_e32 v18, 56, v35
	v_or_b32_e32 v38, v36, v62
	v_perm_b32 v19, v21, v25, s1
	v_perm_b32 v20, v29, v33, s1
	v_add_u32_e32 v18, 0x80, v18
	v_cmp_gt_i32_e64 s[0:1], s47, v38
	v_mov_b32_e32 v44, 0
	v_mov_b32_e32 v45, 0
	ds_write2st64_b32 v18, v19, v20 offset0:35 offset1:67
	s_and_saveexec_b64 s[2:3], s[0:1]
	s_cbranch_execz .LBB269_63
; %bb.62:
	v_add_u32_e32 v18, s46, v38
	v_ashrrev_i32_e32 v19, 31, v18
	v_mul_lo_u32 v20, v19, s38
	v_mul_lo_u32 v21, v18, s39
	v_mad_u64_u32 v[18:19], s[4:5], v18, s38, 0
	v_add3_u32 v19, v19, v21, v20
	v_lshl_add_u64 v[18:19], v[18:19], 2, s[10:11]
	global_load_dword v18, v[18:19], off
	s_waitcnt vmcnt(0)
	v_sub_f32_e32 v18, s16, v18
	v_exp_f32_e32 v45, v18
.LBB269_63:
	s_or_b64 exec, exec, s[2:3]
	v_or_b32_e32 v30, 1, v38
	v_cmp_gt_i32_e64 s[4:5], s47, v30
	s_and_saveexec_b64 s[2:3], s[4:5]
	s_cbranch_execz .LBB269_65
; %bb.64:
	v_add_u32_e32 v18, s46, v30
	v_ashrrev_i32_e32 v19, 31, v18
	v_mul_lo_u32 v20, v19, s38
	v_mul_lo_u32 v21, v18, s39
	v_mad_u64_u32 v[18:19], s[6:7], v18, s38, 0
	v_add3_u32 v19, v19, v21, v20
	v_lshl_add_u64 v[18:19], v[18:19], 2, s[10:11]
	global_load_dword v18, v[18:19], off
	s_waitcnt vmcnt(0)
	v_sub_f32_e32 v18, s16, v18
	v_exp_f32_e32 v44, v18
.LBB269_65:
	s_or_b64 exec, exec, s[2:3]
	v_or_b32_e32 v28, 2, v38
	v_cmp_gt_i32_e64 s[2:3], s47, v28
	v_mov_b32_e32 v39, 0
	v_mov_b32_e32 v46, 0
	s_and_saveexec_b64 s[6:7], s[2:3]
	s_cbranch_execz .LBB269_67
; %bb.66:
	v_add_u32_e32 v18, s46, v28
	v_ashrrev_i32_e32 v19, 31, v18
	v_mul_lo_u32 v20, v19, s38
	v_mul_lo_u32 v21, v18, s39
	v_mad_u64_u32 v[18:19], s[20:21], v18, s38, 0
	v_add3_u32 v19, v19, v21, v20
	v_lshl_add_u64 v[18:19], v[18:19], 2, s[10:11]
	global_load_dword v18, v[18:19], off
	s_waitcnt vmcnt(0)
	v_sub_f32_e32 v18, s16, v18
	v_exp_f32_e32 v46, v18
.LBB269_67:
	s_or_b64 exec, exec, s[6:7]
	v_or_b32_e32 v29, 3, v38
	v_cmp_gt_i32_e32 vcc, s47, v29
	s_and_saveexec_b64 s[6:7], vcc
	s_cbranch_execz .LBB269_69
; %bb.68:
	v_add_u32_e32 v18, s46, v29
	v_ashrrev_i32_e32 v19, 31, v18
	v_mul_lo_u32 v20, v19, s38
	v_mul_lo_u32 v21, v18, s39
	v_mad_u64_u32 v[18:19], s[20:21], v18, s38, 0
	v_add3_u32 v19, v19, v21, v20
	v_lshl_add_u64 v[18:19], v[18:19], 2, s[10:11]
	global_load_dword v18, v[18:19], off
	s_waitcnt vmcnt(0)
	v_sub_f32_e32 v18, s16, v18
	v_exp_f32_e32 v39, v18
.LBB269_69:
	s_or_b64 exec, exec, s[6:7]
	s_add_u32 s6, s8, s30
	s_addc_u32 s7, s9, s31
	s_add_u32 s8, s18, s30
	v_ashrrev_i32_e32 v35, 31, v34
	v_accvgpr_read_b32 v21, a7
	s_addc_u32 s9, s19, s31
	v_lshlrev_b64 v[22:23], 1, v[34:35]
	v_accvgpr_read_b32 v20, a6
	v_accvgpr_read_b32 v19, a5
	v_accvgpr_read_b32 v18, a4
	v_lshl_add_u64 v[24:25], s[6:7], 0, v[22:23]
	v_lshl_add_u64 v[22:23], s[8:9], 0, v[22:23]
	v_mov_b32_e32 v31, 0
	v_lshlrev_b32_e32 v26, 8, v38
	v_mov_b32_e32 v27, 0
	s_and_saveexec_b64 s[6:7], s[0:1]
	s_cbranch_execz .LBB269_71
; %bb.70:
	v_mov_b32_e32 v27, 0
	v_lshl_add_u64 v[32:33], v[24:25], 0, v[26:27]
	global_load_ushort v35, v[32:33], off
	v_lshl_add_u64 v[32:33], v[22:23], 0, v[26:27]
	s_waitcnt vmcnt(0)
	v_lshlrev_b32_e32 v27, 16, v35
	v_sub_f32_e32 v18, v27, v18
	global_store_short_d16_hi v[32:33], v18, off
	v_mul_f32_e32 v18, v45, v18
	v_lshrrev_b32_e32 v27, 16, v18
.LBB269_71:
	s_or_b64 exec, exec, s[6:7]
	v_lshlrev_b32_e32 v30, 8, v30
	s_and_saveexec_b64 s[6:7], s[4:5]
	s_cbranch_execz .LBB269_73
; %bb.72:
	v_mov_b32_e32 v31, 0
	v_lshl_add_u64 v[32:33], v[24:25], 0, v[30:31]
	global_load_ushort v18, v[32:33], off
	v_lshl_add_u64 v[32:33], v[22:23], 0, v[30:31]
	s_waitcnt vmcnt(0)
	v_lshlrev_b32_e32 v18, 16, v18
	v_sub_f32_e32 v18, v18, v19
	global_store_short_d16_hi v[32:33], v18, off
	v_mul_f32_e32 v18, v44, v18
	v_lshrrev_b32_e32 v31, 16, v18
.LBB269_73:
	s_or_b64 exec, exec, s[6:7]
	v_mov_b32_e32 v47, 0
	v_lshlrev_b32_e32 v32, 8, v28
	v_mov_b32_e32 v33, 0
	s_and_saveexec_b64 s[6:7], s[2:3]
	s_cbranch_execz .LBB269_75
; %bb.74:
	v_mov_b32_e32 v33, 0
	v_lshl_add_u64 v[18:19], v[24:25], 0, v[32:33]
	global_load_ushort v28, v[18:19], off
	v_lshl_add_u64 v[18:19], v[22:23], 0, v[32:33]
	s_waitcnt vmcnt(0)
	v_lshlrev_b32_e32 v28, 16, v28
	v_sub_f32_e32 v20, v28, v20
	global_store_short_d16_hi v[18:19], v20, off
	v_mul_f32_e32 v18, v46, v20
	v_lshrrev_b32_e32 v33, 16, v18
.LBB269_75:
	s_or_b64 exec, exec, s[6:7]
	v_lshlrev_b32_e32 v28, 8, v29
	s_and_saveexec_b64 s[6:7], vcc
	s_cbranch_execz .LBB269_77
; %bb.76:
	v_mov_b32_e32 v29, 0
	v_lshl_add_u64 v[18:19], v[24:25], 0, v[28:29]
	global_load_ushort v20, v[18:19], off
	v_lshl_add_u64 v[18:19], v[22:23], 0, v[28:29]
	s_waitcnt vmcnt(0)
	v_lshlrev_b32_e32 v20, 16, v20
	v_sub_f32_e32 v20, v20, v21
	global_store_short_d16_hi v[18:19], v20, off
	v_mul_f32_e32 v18, v39, v20
	v_lshrrev_b32_e32 v47, 16, v18
.LBB269_77:
	s_or_b64 exec, exec, s[6:7]
	v_lshlrev_b32_e32 v35, 5, v38
	s_mov_b32 s6, 0x5040100
	v_perm_b32 v48, v31, v27, s6
	v_or_b32_e32 v27, v35, v40
	v_accvgpr_read_b32 v21, a3
	v_perm_b32 v49, v47, v33, s6
	v_lshlrev_b32_e32 v27, 1, v27
	v_accvgpr_read_b32 v20, a2
	v_accvgpr_read_b32 v19, a1
	v_accvgpr_read_b32 v18, a0
	ds_write_b64 v27, v[48:49] offset:45056
	v_mov_b32_e32 v31, 0
	v_mov_b32_e32 v27, 0
	s_and_saveexec_b64 s[6:7], s[0:1]
	s_cbranch_execz .LBB269_79
; %bb.78:
	v_mov_b32_e32 v27, 0
	v_lshl_add_u64 v[48:49], v[24:25], 0, v[26:27]
	global_load_ushort v29, v[48:49], off offset:32
	v_lshl_add_u64 v[26:27], v[22:23], 0, v[26:27]
	s_waitcnt vmcnt(0)
	v_lshlrev_b32_e32 v29, 16, v29
	v_sub_f32_e32 v18, v29, v18
	global_store_short_d16_hi v[26:27], v18, off offset:32
	v_mul_f32_e32 v18, v45, v18
	v_lshrrev_b32_e32 v27, 16, v18
.LBB269_79:
	s_or_b64 exec, exec, s[6:7]
	s_and_saveexec_b64 s[0:1], s[4:5]
	s_cbranch_execz .LBB269_81
; %bb.80:
	v_mov_b32_e32 v31, 0
	v_lshl_add_u64 v[48:49], v[24:25], 0, v[30:31]
	global_load_ushort v18, v[48:49], off offset:32
	v_lshl_add_u64 v[30:31], v[22:23], 0, v[30:31]
	s_waitcnt vmcnt(0)
	v_lshlrev_b32_e32 v18, 16, v18
	v_sub_f32_e32 v18, v18, v19
	global_store_short_d16_hi v[30:31], v18, off offset:32
	v_mul_f32_e32 v18, v44, v18
	v_lshrrev_b32_e32 v31, 16, v18
.LBB269_81:
	s_or_b64 exec, exec, s[0:1]
	v_mov_b32_e32 v26, 0
	v_mov_b32_e32 v30, 0
	s_and_saveexec_b64 s[0:1], s[2:3]
	s_cbranch_execz .LBB269_83
; %bb.82:
	v_mov_b32_e32 v33, 0
	v_lshl_add_u64 v[18:19], v[24:25], 0, v[32:33]
	global_load_ushort v29, v[18:19], off offset:32
	v_lshl_add_u64 v[18:19], v[22:23], 0, v[32:33]
	s_waitcnt vmcnt(0)
	v_lshlrev_b32_e32 v29, 16, v29
	v_sub_f32_e32 v20, v29, v20
	global_store_short_d16_hi v[18:19], v20, off offset:32
	v_mul_f32_e32 v18, v46, v20
	v_lshrrev_b32_e32 v30, 16, v18
.LBB269_83:
	s_or_b64 exec, exec, s[0:1]
	v_or_b32_e32 v19, 0xb000, v42
	v_or_b32_e32 v18, 0xb000, v43
	s_and_saveexec_b64 s[0:1], vcc
	s_cbranch_execz .LBB269_85
; %bb.84:
	v_mov_b32_e32 v29, 0
	v_lshl_add_u64 v[24:25], v[24:25], 0, v[28:29]
	global_load_ushort v20, v[24:25], off offset:32
	v_lshl_add_u64 v[22:23], v[22:23], 0, v[28:29]
	s_waitcnt vmcnt(0)
	v_lshlrev_b32_e32 v20, 16, v20
	v_sub_f32_e32 v20, v20, v21
	global_store_short_d16_hi v[22:23], v20, off offset:32
	v_mul_f32_e32 v20, v39, v20
	v_lshrrev_b32_e32 v26, 16, v20
.LBB269_85:
	s_or_b64 exec, exec, s[0:1]
	s_mov_b32 s0, 0x5040100
	v_or_b32_e32 v22, v35, v37
	v_perm_b32 v21, v26, v30, s0
	v_perm_b32 v20, v31, v27, s0
	v_lshlrev_b32_e32 v22, 1, v22
	s_movk_i32 s2, 0x100
	ds_write_b64 v22, v[20:21] offset:45056
	v_and_b32_e32 v20, 7, v0
	v_and_b32_e32 v21, 8, v0
	v_cmp_gt_u32_e32 vcc, s2, v0
	v_lshrrev_b32_e32 v0, 1, v0
	v_lshlrev_b32_e32 v26, 3, v20
	v_lshlrev_b32_e32 v35, 7, v20
	v_mov_b32_e32 v20, 0x4000
	v_mov_b32_e32 v22, 0x2000
	v_lshlrev_b32_e32 v24, 3, v53
	v_and_b32_e32 v0, 24, v0
	v_cndmask_b32_e32 v27, v20, v22, vcc
	v_xor_b32_e32 v20, v24, v0
	v_or_b32_e32 v22, 0x440, v20
	v_cmp_eq_u32_e32 vcc, 0, v21
	v_or_b32_e32 v28, 32, v0
	v_xor_b32_e32 v28, v24, v28
	v_cndmask_b32_e32 v20, v22, v20, vcc
	v_or_b32_e32 v20, v20, v41
	v_xor_b32_e32 v48, v20, v26
	v_or_b32_e32 v29, 0x440, v28
	v_add3_u32 v25, v27, v48, v35
	v_cndmask_b32_e32 v28, v29, v28, vcc
	v_or_b32_e32 v29, 64, v0
	v_or_b32_e32 v0, 0x60, v0
	s_waitcnt lgkmcnt(0)
	s_barrier
	v_xor_b32_e32 v29, v24, v29
	v_xor_b32_e32 v0, v24, v0
	ds_read_b64 v[24:25], v25
	v_xor_b32_e32 v30, 0x440, v29
	ds_read2_b64 v[20:23], v19 offset1:16
	v_cndmask_b32_e32 v29, v30, v29, vcc
	v_xor_b32_e32 v30, 0x440, v0
	v_or_b32_e32 v28, v28, v41
	v_or_b32_e32 v29, v29, v41
	v_cndmask_b32_e32 v0, v30, v0, vcc
	v_xor_b32_e32 v49, v28, v26
	v_xor_b32_e32 v50, v29, v26
	v_or_b32_e32 v0, v0, v41
	s_add_i32 s0, s12, s48
	v_add3_u32 v28, v27, v49, v35
	v_add3_u32 v29, v27, v50, v35
	v_xor_b32_e32 v51, v0, v26
	s_mul_hi_i32 s1, s0, s13
	s_mul_i32 s0, s0, s13
	v_add3_u32 v0, v27, v51, v35
	ds_read_b64 v[26:27], v28
	ds_read_b64 v[32:33], v29
	;; [unrolled: 1-line block ×3, first 2 shown]
	ds_read2st64_b64 v[28:31], v19 offset0:2 offset1:4
	ds_read2st64_b64 v[40:43], v18 offset0:2 offset1:4
	s_add_u32 s0, s0, s33
	s_waitcnt lgkmcnt(5)
	v_mfma_f32_16x16x16_bf16 a[0:3], v[24:25], v[20:21], 0
	s_addc_u32 s1, s1, s14
	s_lshl_b64 s[0:1], s[0:1], 9
	s_add_u32 s0, s36, s0
	v_mfma_f32_16x16x16_bf16 a[4:7], v[24:25], v[22:23], 0
	s_addc_u32 s1, s37, s1
	v_lshlrev_b32_e32 v0, 2, v38
	v_add_u32_e32 v48, v48, v35
	s_waitcnt lgkmcnt(1)
	v_mfma_f32_16x16x16_bf16 a[0:3], v[26:27], v[28:29], a[0:3]
	v_add_u32_e32 v50, v50, v35
	s_waitcnt lgkmcnt(0)
	v_mfma_f32_16x16x16_bf16 a[4:7], v[26:27], v[40:41], a[4:7]
	global_load_dwordx4 v[24:27], v0, s[0:1]
	v_lshlrev_b32_e32 v0, 6, v53
	s_waitcnt vmcnt(0)
	v_exp_f32_e32 v26, v26
	v_mfma_f32_16x16x16_bf16 a[0:3], v[32:33], v[30:31], a[0:3]
	v_exp_f32_e32 v27, v27
	v_mfma_f32_16x16x16_bf16 a[4:7], v[32:33], v[42:43], a[4:7]
	ds_read_b64 v[32:33], v19 offset:3072
	ds_read_b64 v[46:47], v18 offset:3072
	v_lshlrev_b32_e32 v18, 2, v36
	v_or3_b32 v0, v0, v18, s2
	global_load_dwordx4 v[36:39], v0, s[0:1]
	v_exp_f32_e32 v18, v24
	v_exp_f32_e32 v19, v25
	ds_read_b64 v[24:25], v48 offset:16384
	s_waitcnt lgkmcnt(2)
	v_mfma_f32_16x16x16_bf16 a[0:3], v[44:45], v[32:33], a[0:3]
	v_exp_f32_e32 v0, s16
	s_nop 0
	v_pk_mul_f32 v[54:55], v[0:1], v[18:19] op_sel_hi:[0,1]
	s_waitcnt lgkmcnt(1)
	v_mfma_f32_16x16x16_bf16 a[4:7], v[44:45], v[46:47], a[4:7]
	v_add_u32_e32 v44, v49, v35
	s_nop 0
	v_accvgpr_read_b32 v19, a1
	v_accvgpr_read_b32 v45, a3
	v_add_u32_e32 v35, v51, v35
	ds_read_b64 v[48:49], v44 offset:16384
	ds_read_b64 v[50:51], v50 offset:16384
	;; [unrolled: 1-line block ×3, first 2 shown]
	v_accvgpr_read_b32 v44, a2
	v_accvgpr_read_b32 v18, a0
	s_waitcnt lgkmcnt(3)
	v_mfma_f32_16x16x16_bf16 a[0:3], v[24:25], v[22:23], 0
	v_pk_fma_f32 v[18:19], v[2:3], v[54:55], v[18:19]
	v_pk_mul_f32 v[2:3], v[0:1], v[26:27] op_sel_hi:[0,1]
	v_mov_b32_e32 v35, v34
	v_mfma_f32_16x16x16_bf16 a[8:11], v[24:25], v[20:21], 0
	v_pk_fma_f32 v[20:21], v[4:5], v[2:3], v[44:45]
	v_accvgpr_read_b32 v4, a4
	v_fma_f32 v26, v10, v54, v4
	s_waitcnt lgkmcnt(2)
	v_mfma_f32_16x16x16_bf16 a[0:3], v[48:49], v[40:41], a[0:3]
	v_accvgpr_read_b32 v4, a5
	v_fma_f32 v27, v11, v55, v4
	v_accvgpr_read_b32 v4, a6
	v_mfma_f32_16x16x16_bf16 a[8:11], v[48:49], v[28:29], a[8:11]
	v_accvgpr_read_b32 v29, a7
	v_fma_f32 v28, v12, v2, v4
	v_fmac_f32_e32 v29, v13, v3
	s_waitcnt lgkmcnt(1)
	v_mfma_f32_16x16x16_bf16 a[0:3], v[50:51], v[42:43], a[0:3]
	s_waitcnt vmcnt(0)
	v_mov_b32_e32 v2, v37
	v_mfma_f32_16x16x16_bf16 a[8:11], v[50:51], v[30:31], a[8:11]
	v_mov_b32_e32 v3, v38
	v_mov_b32_e32 v4, v39
	v_exp_f32_e32 v10, v36
	v_exp_f32_e32 v11, v2
	;; [unrolled: 1-line block ×4, first 2 shown]
	s_waitcnt lgkmcnt(0)
	v_mfma_f32_16x16x16_bf16 a[0:3], v[52:53], v[46:47], a[0:3]
	v_pk_mul_f32 v[10:11], v[0:1], v[10:11] op_sel_hi:[0,1]
	v_pk_mul_f32 v[2:3], v[0:1], v[2:3] op_sel_hi:[0,1]
	v_mfma_f32_16x16x16_bf16 a[4:7], v[52:53], v[32:33], a[8:11]
	s_nop 3
	v_accvgpr_read_b32 v0, a0
	v_fma_f32 v30, v14, v10, v0
	v_accvgpr_read_b32 v0, a1
	v_fma_f32 v31, v15, v11, v0
	v_accvgpr_read_b32 v13, a5
	v_accvgpr_read_b32 v5, a7
	;; [unrolled: 1-line block ×6, first 2 shown]
	v_pk_fma_f32 v[22:23], v[6:7], v[10:11], v[12:13]
	v_pk_fma_f32 v[24:25], v[8:9], v[2:3], v[4:5]
	v_fma_f32 v32, v16, v2, v0
	v_fmac_f32_e32 v33, v17, v3
	v_mov_b64_e32 v[2:3], v[18:19]
	v_mov_b64_e32 v[4:5], v[20:21]
	;; [unrolled: 1-line block ×8, first 2 shown]
.LBB269_86:
	s_lshl_b64 s[0:1], s[28:29], 15
	s_add_u32 s0, s34, s0
	v_lshlrev_b32_e32 v18, 7, v35
	s_addc_u32 s1, s35, s1
	v_ashrrev_i32_e32 v19, 31, v18
	v_lshl_add_u64 v[20:21], v[18:19], 1, s[0:1]
	v_lshlrev_b32_e32 v0, 1, v1
	v_mov_b32_e32 v1, 0
	s_mov_b32 s2, 0x7060302
	v_lshl_add_u64 v[20:21], v[20:21], 0, v[0:1]
	v_perm_b32 v5, v5, v4, s2
	v_perm_b32 v4, v3, v2, s2
	v_perm_b32 v3, v9, v8, s2
	v_perm_b32 v2, v7, v6, s2
	global_store_dwordx2 v[20:21], v[2:3], off offset:128
	v_or_b32_e32 v2, 0x800, v18
	v_ashrrev_i32_e32 v3, 31, v2
	v_lshl_add_u64 v[2:3], v[2:3], 1, s[0:1]
	v_lshl_add_u64 v[0:1], v[2:3], 0, v[0:1]
	v_perm_b32 v3, v13, v12, s2
	v_perm_b32 v2, v11, v10, s2
	global_store_dwordx2 v[0:1], v[2:3], off
	v_perm_b32 v3, v17, v16, s2
	v_perm_b32 v2, v15, v14, s2
	global_store_dwordx2 v[20:21], v[4:5], off
	global_store_dwordx2 v[0:1], v[2:3], off offset:128
	s_endpgm
	.section	.rodata,"a",@progbits
	.p2align	6, 0x0
	.amdhsa_kernel _ZN12_GLOBAL__N_139chunk_gated_delta_rule_fwd_h_hip_kernelILi32ELb0ELb1ELb1ELb0ELb1ELb1ELb1ELb1EEEvPK12hip_bfloat16S3_S3_PKfS5_PKvPS1_S8_PvPKiSB_iiiiilll
		.amdhsa_group_segment_fixed_size 49152
		.amdhsa_private_segment_fixed_size 0
		.amdhsa_kernarg_size 136
		.amdhsa_user_sgpr_count 2
		.amdhsa_user_sgpr_dispatch_ptr 0
		.amdhsa_user_sgpr_queue_ptr 0
		.amdhsa_user_sgpr_kernarg_segment_ptr 1
		.amdhsa_user_sgpr_dispatch_id 0
		.amdhsa_user_sgpr_kernarg_preload_length 0
		.amdhsa_user_sgpr_kernarg_preload_offset 0
		.amdhsa_user_sgpr_private_segment_size 0
		.amdhsa_uses_dynamic_stack 0
		.amdhsa_enable_private_segment 0
		.amdhsa_system_sgpr_workgroup_id_x 1
		.amdhsa_system_sgpr_workgroup_id_y 1
		.amdhsa_system_sgpr_workgroup_id_z 0
		.amdhsa_system_sgpr_workgroup_info 0
		.amdhsa_system_vgpr_workitem_id 0
		.amdhsa_next_free_vgpr 164
		.amdhsa_next_free_sgpr 72
		.amdhsa_accum_offset 144
		.amdhsa_reserve_vcc 1
		.amdhsa_float_round_mode_32 0
		.amdhsa_float_round_mode_16_64 0
		.amdhsa_float_denorm_mode_32 3
		.amdhsa_float_denorm_mode_16_64 3
		.amdhsa_dx10_clamp 1
		.amdhsa_ieee_mode 1
		.amdhsa_fp16_overflow 0
		.amdhsa_tg_split 0
		.amdhsa_exception_fp_ieee_invalid_op 0
		.amdhsa_exception_fp_denorm_src 0
		.amdhsa_exception_fp_ieee_div_zero 0
		.amdhsa_exception_fp_ieee_overflow 0
		.amdhsa_exception_fp_ieee_underflow 0
		.amdhsa_exception_fp_ieee_inexact 0
		.amdhsa_exception_int_div_zero 0
	.end_amdhsa_kernel
	.section	.text._ZN12_GLOBAL__N_139chunk_gated_delta_rule_fwd_h_hip_kernelILi32ELb0ELb1ELb1ELb0ELb1ELb1ELb1ELb1EEEvPK12hip_bfloat16S3_S3_PKfS5_PKvPS1_S8_PvPKiSB_iiiiilll,"axG",@progbits,_ZN12_GLOBAL__N_139chunk_gated_delta_rule_fwd_h_hip_kernelILi32ELb0ELb1ELb1ELb0ELb1ELb1ELb1ELb1EEEvPK12hip_bfloat16S3_S3_PKfS5_PKvPS1_S8_PvPKiSB_iiiiilll,comdat
.Lfunc_end269:
	.size	_ZN12_GLOBAL__N_139chunk_gated_delta_rule_fwd_h_hip_kernelILi32ELb0ELb1ELb1ELb0ELb1ELb1ELb1ELb1EEEvPK12hip_bfloat16S3_S3_PKfS5_PKvPS1_S8_PvPKiSB_iiiiilll, .Lfunc_end269-_ZN12_GLOBAL__N_139chunk_gated_delta_rule_fwd_h_hip_kernelILi32ELb0ELb1ELb1ELb0ELb1ELb1ELb1ELb1EEEvPK12hip_bfloat16S3_S3_PKfS5_PKvPS1_S8_PvPKiSB_iiiiilll
                                        ; -- End function
	.section	.AMDGPU.csdata,"",@progbits
; Kernel info:
; codeLenInByte = 10008
; NumSgprs: 78
; NumVgprs: 142
; NumAgprs: 20
; TotalNumVgprs: 164
; ScratchSize: 0
; MemoryBound: 0
; FloatMode: 240
; IeeeMode: 1
; LDSByteSize: 49152 bytes/workgroup (compile time only)
; SGPRBlocks: 9
; VGPRBlocks: 20
; NumSGPRsForWavesPerEU: 78
; NumVGPRsForWavesPerEU: 164
; AccumOffset: 144
; Occupancy: 1
; WaveLimiterHint : 1
; COMPUTE_PGM_RSRC2:SCRATCH_EN: 0
; COMPUTE_PGM_RSRC2:USER_SGPR: 2
; COMPUTE_PGM_RSRC2:TRAP_HANDLER: 0
; COMPUTE_PGM_RSRC2:TGID_X_EN: 1
; COMPUTE_PGM_RSRC2:TGID_Y_EN: 1
; COMPUTE_PGM_RSRC2:TGID_Z_EN: 0
; COMPUTE_PGM_RSRC2:TIDIG_COMP_CNT: 0
; COMPUTE_PGM_RSRC3_GFX90A:ACCUM_OFFSET: 35
; COMPUTE_PGM_RSRC3_GFX90A:TG_SPLIT: 0
	.section	.text._ZN12_GLOBAL__N_139chunk_gated_delta_rule_fwd_h_hip_kernelILi32ELb0ELb1ELb0ELb0ELb1ELb1ELb1ELb1EEEvPK12hip_bfloat16S3_S3_PKfS5_PKvPS1_S8_PvPKiSB_iiiiilll,"axG",@progbits,_ZN12_GLOBAL__N_139chunk_gated_delta_rule_fwd_h_hip_kernelILi32ELb0ELb1ELb0ELb0ELb1ELb1ELb1ELb1EEEvPK12hip_bfloat16S3_S3_PKfS5_PKvPS1_S8_PvPKiSB_iiiiilll,comdat
	.globl	_ZN12_GLOBAL__N_139chunk_gated_delta_rule_fwd_h_hip_kernelILi32ELb0ELb1ELb0ELb0ELb1ELb1ELb1ELb1EEEvPK12hip_bfloat16S3_S3_PKfS5_PKvPS1_S8_PvPKiSB_iiiiilll ; -- Begin function _ZN12_GLOBAL__N_139chunk_gated_delta_rule_fwd_h_hip_kernelILi32ELb0ELb1ELb0ELb0ELb1ELb1ELb1ELb1EEEvPK12hip_bfloat16S3_S3_PKfS5_PKvPS1_S8_PvPKiSB_iiiiilll
	.p2align	8
	.type	_ZN12_GLOBAL__N_139chunk_gated_delta_rule_fwd_h_hip_kernelILi32ELb0ELb1ELb0ELb0ELb1ELb1ELb1ELb1EEEvPK12hip_bfloat16S3_S3_PKfS5_PKvPS1_S8_PvPKiSB_iiiiilll,@function
_ZN12_GLOBAL__N_139chunk_gated_delta_rule_fwd_h_hip_kernelILi32ELb0ELb1ELb0ELb0ELb1ELb1ELb1ELb1EEEvPK12hip_bfloat16S3_S3_PKfS5_PKvPS1_S8_PvPKiSB_iiiiilll: ; @_ZN12_GLOBAL__N_139chunk_gated_delta_rule_fwd_h_hip_kernelILi32ELb0ELb1ELb0ELb0ELb1ELb1ELb1ELb1EEEvPK12hip_bfloat16S3_S3_PKfS5_PKvPS1_S8_PvPKiSB_iiiiilll
; %bb.0:
	s_load_dwordx4 s[12:15], s[0:1], 0x5c
	s_load_dwordx4 s[16:19], s[0:1], 0x70
	s_abs_i32 s22, s3
	s_ashr_i32 s21, s3, 31
	s_load_dwordx8 s[4:11], s[0:1], 0x0
	s_load_dwordx2 s[30:31], s[0:1], 0x20
	s_waitcnt lgkmcnt(0)
	s_abs_i32 s20, s13
	v_cvt_f32_u32_e32 v1, s20
	s_sub_i32 s24, 0, s20
	s_ashr_i32 s23, s13, 31
	s_xor_b32 s21, s21, s23
	v_rcp_iflag_f32_e32 v1, v1
	s_load_dwordx2 s[28:29], s[0:1], 0x40
	s_load_dwordx2 s[38:39], s[0:1], 0x30
	;; [unrolled: 1-line block ×3, first 2 shown]
	v_lshrrev_b32_e32 v53, 6, v0
	v_mul_f32_e32 v1, 0x4f7ffffe, v1
	v_cvt_u32_f32_e32 v1, v1
	v_bfe_u32 v62, v0, 4, 2
	v_lshlrev_b32_e32 v60, 4, v53
	v_lshlrev_b32_e32 v18, 2, v62
	v_readfirstlane_b32 s25, v1
	s_mul_i32 s24, s24, s25
	s_mul_hi_u32 s24, s25, s24
	s_add_i32 s25, s25, s24
	s_mul_hi_u32 s24, s22, s25
	s_mul_i32 s25, s24, s20
	s_sub_i32 s22, s22, s25
	s_add_i32 s25, s24, 1
	s_sub_i32 s26, s22, s20
	s_cmp_ge_u32 s22, s20
	s_cselect_b32 s24, s25, s24
	s_cselect_b32 s22, s26, s22
	s_add_i32 s25, s24, 1
	s_cmp_ge_u32 s22, s20
	s_cselect_b32 s22, s25, s24
	s_xor_b32 s22, s22, s21
	s_sub_i32 s50, s22, s21
	s_abs_i32 s21, s14
	v_cvt_f32_u32_e32 v1, s21
	s_ashr_i32 s49, s12, 31
	s_lshr_b32 s22, s49, 26
	s_add_i32 s22, s12, s22
	v_rcp_iflag_f32_e32 v1, v1
	s_ashr_i32 s52, s14, 31
	s_ashr_i32 s51, s22, 6
	s_xor_b32 s22, s23, s52
	v_mul_f32_e32 v1, 0x4f7ffffe, v1
	v_cvt_u32_f32_e32 v1, v1
	s_sub_i32 s23, 0, s21
	s_mul_i32 s48, s50, s13
	s_sub_i32 s33, s3, s48
	v_readfirstlane_b32 s24, v1
	s_mul_i32 s23, s23, s24
	s_mul_hi_u32 s23, s24, s23
	s_add_i32 s24, s24, s23
	s_mul_hi_u32 s23, s20, s24
	s_mul_i32 s24, s23, s21
	s_sub_i32 s20, s20, s24
	s_add_i32 s3, s12, 63
	s_add_i32 s24, s23, 1
	s_sub_i32 s25, s20, s21
	s_cmp_ge_u32 s20, s21
	s_cselect_b32 s23, s24, s23
	s_cselect_b32 s20, s25, s20
	s_add_i32 s24, s23, 1
	s_cmp_ge_u32 s20, s21
	s_cselect_b32 s20, s24, s23
	s_xor_b32 s20, s20, s22
	s_sub_i32 s20, s20, s22
	s_abs_i32 s21, s20
	v_cvt_f32_u32_e32 v1, s21
	s_xor_b32 s0, s33, s20
	s_sub_i32 s20, 0, s21
	s_abs_i32 s1, s33
	v_rcp_iflag_f32_e32 v1, v1
	s_ashr_i32 s0, s0, 31
	v_and_b32_e32 v61, 63, v0
	v_mov_b32_e32 v17, 0
	v_mul_f32_e32 v1, 0x4f7ffffe, v1
	v_cvt_u32_f32_e32 v1, v1
	s_mul_i32 s46, s50, s12
	v_and_b32_e32 v63, 15, v0
	s_mul_hi_i32 s54, s50, s13
	v_readfirstlane_b32 s22, v1
	s_mul_i32 s20, s20, s22
	s_mul_hi_u32 s20, s22, s20
	s_add_i32 s22, s22, s20
	s_mul_hi_u32 s20, s1, s22
	s_mul_i32 s22, s20, s21
	s_sub_i32 s1, s1, s22
	s_add_i32 s22, s20, 1
	s_sub_i32 s23, s1, s21
	s_cmp_ge_u32 s1, s21
	s_cselect_b32 s20, s22, s20
	s_cselect_b32 s1, s23, s1
	s_add_i32 s22, s20, 1
	s_cmp_ge_u32 s1, s21
	s_cselect_b32 s1, s22, s20
	s_xor_b32 s1, s1, s0
	s_sub_i32 s55, s1, s0
	s_ashr_i32 s0, s3, 31
	s_lshr_b32 s0, s0, 26
	s_add_i32 s3, s3, s0
	v_or_b32_e32 v1, v18, v60
	s_ashr_i32 s0, s3, 6
	s_lshl_b32 s2, s2, 5
	s_mul_i32 s53, s50, s0
	v_or_b32_e32 v66, 64, v1
	s_cmp_lt_i32 s12, 64
	v_lshrrev_b32_e32 v65, 3, v61
	v_lshlrev_b32_e32 v64, 3, v0
	s_mul_i32 s17, s50, s17
	s_mul_hi_u32 s47, s50, s16
	s_mul_i32 s36, s50, s16
	v_mov_b32_e32 v16, v17
	v_mov_b32_e32 v15, v17
	;; [unrolled: 1-line block ×15, first 2 shown]
	s_cbranch_scc1 .LBB270_19
; %bb.1:
	s_ashr_i32 s3, s50, 31
	s_ashr_i32 s57, s33, 31
	s_add_u32 s0, s48, s33
	s_addc_u32 s1, s54, s57
	s_mul_i32 s1, s12, s1
	s_mul_hi_u32 s20, s12, s0
	s_add_i32 s41, s20, s1
	s_mul_i32 s40, s12, s0
	s_lshl_b64 s[0:1], s[40:41], 8
	v_and_b32_e32 v68, 56, v64
	s_add_u32 s20, s6, s0
	v_lshl_or_b32 v67, v53, 3, v65
	v_lshlrev_b32_e32 v2, 1, v68
	s_addc_u32 s0, s7, s1
	v_lshl_or_b32 v69, v67, 8, v2
	s_and_b32 s21, s0, 0xffff
	s_mov_b32 s23, 0x20000
	s_movk_i32 s22, 0x4000
	s_movk_i32 s0, 0x80
	v_or_b32_e32 v70, 0x2000, v69
	buffer_load_dwordx4 v[4:7], v69, s[20:23], 0 offen
	buffer_load_dwordx4 v[8:11], v69, s[20:23], s0 offen
	;; [unrolled: 1-line block ×4, first 2 shown]
	v_lshlrev_b32_e32 v3, 3, v67
	v_and_or_b32 v17, v0, 7, v3
	v_and_b32_e32 v3, 0x78, v3
	v_lshlrev_b32_e32 v17, 4, v17
	v_xor_b32_e32 v71, v17, v3
	v_mul_lo_u32 v16, v67, s15
	v_or_b32_e32 v72, 0x1000, v71
	v_xor_b32_e32 v3, 8, v71
	s_cmpk_eq_i32 s15, 0x80
	s_mov_b32 s56, s14
	v_xor_b32_e32 v17, 8, v72
	s_cselect_b64 s[0:1], -1, 0
	s_cmpk_lg_i32 s15, 0x80
	s_waitcnt vmcnt(3)
	ds_write_b64 v71, v[4:5] offset:24576
	ds_write_b64 v3, v[6:7] offset:24576
	s_waitcnt vmcnt(2)
	ds_write_b64 v71, v[8:9] offset:32768
	ds_write_b64 v3, v[10:11] offset:32768
	s_waitcnt vmcnt(1)
	ds_write_b64 v71, v[12:13] offset:28672
	ds_write_b64 v17, v[14:15] offset:24576
	s_waitcnt vmcnt(0)
	ds_write_b64 v71, v[20:21] offset:36864
	ds_write_b64 v17, v[22:23] offset:32768
	v_lshl_add_u32 v3, v16, 1, v68
	s_cbranch_scc0 .LBB270_3
; %bb.2:
	v_lshlrev_b32_e32 v5, 1, v3
	v_add_lshl_u32 v4, v3, s15, 1
	s_lshl_b32 s22, s15, 7
	v_lshl_or_b32 v2, v67, 9, v2
	s_cbranch_execz .LBB270_4
	s_branch .LBB270_5
.LBB270_3:
                                        ; implicit-def: $vgpr4
                                        ; implicit-def: $vgpr5
                                        ; implicit-def: $sgpr22
	v_lshl_or_b32 v2, v67, 9, v2
.LBB270_4:
	v_or_b32_e32 v4, 0x100, v2
	s_movk_i32 s22, 0x4000
	v_mov_b32_e32 v5, v2
.LBB270_5:
	s_mul_hi_u32 s20, s14, s12
	s_mul_i32 s21, s52, s12
	s_add_i32 s20, s20, s21
	s_mul_i32 s21, s14, s12
	s_mul_i32 s23, s21, s3
	s_mul_hi_u32 s24, s21, s50
	s_add_i32 s23, s24, s23
	s_mul_i32 s20, s20, s50
	s_add_i32 s23, s23, s20
	s_mul_i32 s21, s21, s50
	s_ashr_i32 s58, s55, 31
	s_add_u32 s20, s21, s55
	s_addc_u32 s21, s23, s58
	s_lshl_b64 s[20:21], s[20:21], 8
	s_add_u32 s20, s4, s20
	s_addc_u32 s21, s5, s21
	s_and_b32 s21, s21, 0xffff
	s_mov_b32 s23, 0x20000
	s_movk_i32 s59, 0x80
	buffer_load_dwordx4 v[6:9], v5, s[20:23], 0 offen
	buffer_load_dwordx4 v[10:13], v5, s[20:23], s59 offen
	;; [unrolled: 1-line block ×4, first 2 shown]
	v_and_b32_e32 v4, 6, v0
	s_mul_i32 s20, s3, s12
	s_mul_hi_u32 s21, s50, s12
	v_lshlrev_b32_e32 v24, 6, v1
	v_or_b32_e32 v26, 16, v63
	v_xor_b32_e32 v27, v67, v4
	v_and_b32_e32 v5, 1, v0
	v_lshl_or_b32 v30, v63, 3, v24
	v_lshl_or_b32 v24, v26, 3, v24
	v_lshlrev_b32_e32 v27, 2, v27
	s_add_i32 s63, s21, s20
	s_add_i32 s20, s47, s17
	s_mul_i32 s3, s3, s16
	v_lshlrev_b32_e32 v19, 2, v63
	v_or_b32_e32 v75, 0xa000, v24
	v_or_b32_e32 v76, 0xb000, v24
	v_xor_b32_e32 v24, 0x440, v27
	v_cmp_eq_u32_e32 vcc, 0, v5
	s_add_i32 s37, s20, s3
	s_mul_i32 s3, s33, s19
	s_mul_hi_u32 s20, s33, s18
	v_xor_b32_e32 v28, v1, v19
	v_xor_b32_e32 v29, v66, v19
	v_cndmask_b32_e32 v5, v24, v27, vcc
	s_add_i32 s3, s20, s3
	s_mul_i32 s20, s57, s18
	s_mov_b32 s61, 0x1000504
	v_lshlrev_b32_e32 v25, 8, v63
	v_lshlrev_b32_e32 v28, 1, v28
	v_lshlrev_b32_e32 v29, 1, v29
	v_lshl_or_b32 v4, v4, 10, v5
	s_add_i32 s21, s3, s20
	s_lshl_b64 s[24:25], s[36:37], 2
	s_mov_b32 s62, 0x3020706
	v_or_b32_e32 v73, 0xa000, v30
	v_or_b32_e32 v74, 0xb000, v30
	;; [unrolled: 1-line block ×4, first 2 shown]
	v_xor_b32_e32 v5, 8, v4
	v_xor_b32_e32 v25, 24, v4
	v_xor_b32_e32 v30, 40, v4
	v_xor_b32_e32 v32, 56, v4
	s_mul_i32 s20, s33, s18
	s_add_u32 s3, s10, s24
	v_xor_b32_e32 v24, 16, v4
	v_xor_b32_e32 v27, 32, v4
	;; [unrolled: 1-line block ×3, first 2 shown]
	v_add_u32_e32 v5, 0x80, v5
	v_add_u32_e32 v25, 0x80, v25
	;; [unrolled: 1-line block ×4, first 2 shown]
	s_addc_u32 s22, s11, s25
	s_lshl_b64 s[20:21], s[20:21], 2
	s_add_u32 s42, s3, s20
	s_movk_i32 s3, 0xf8
	s_addc_u32 s43, s22, s21
	s_lshl_b32 s26, s15, 7
	s_movk_i32 s24, 0x100
	v_mov_b32_e32 v55, 0
	v_lshlrev_b32_e32 v54, 4, v63
	v_cmp_gt_u32_e32 vcc, s24, v0
	v_lshlrev_b32_e32 v26, 8, v26
	v_or_b32_e32 v79, v26, v28
	v_or_b32_e32 v80, v26, v29
	s_mov_b32 s60, 0
	s_movk_i32 s37, 0x1000
	s_movk_i32 s22, 0x4000
	v_add_u32_e32 v94, v60, v18
	s_mov_b32 s64, 0x7060302
	s_mov_b32 s66, 0
	v_mov_b32_e32 v105, v55
	v_mov_b32_e32 v106, v55
	;; [unrolled: 1-line block ×8, first 2 shown]
	s_waitcnt vmcnt(1)
	v_perm_b32 v33, v6, v14, s61
	s_waitcnt vmcnt(0)
	v_perm_b32 v34, v10, v20, s61
	v_perm_b32 v6, v6, v14, s62
	;; [unrolled: 1-line block ×15, first 2 shown]
	ds_write2st64_b32 v4, v33, v34 offset0:32 offset1:64
	ds_write2st64_b32 v5, v6, v10 offset0:32 offset1:64
	ds_write2st64_b32 v24, v14, v20 offset0:33 offset1:65
	ds_write2st64_b32 v25, v7, v11 offset0:33 offset1:65
	ds_write2st64_b32 v27, v15, v21 offset0:34 offset1:66
	ds_write2st64_b32 v30, v8, v12 offset0:34 offset1:66
	ds_write2st64_b32 v31, v16, v22 offset0:35 offset1:67
	ds_write2st64_b32 v32, v9, v13 offset0:35 offset1:67
	v_or_b32_e32 v4, v60, v63
	v_lshlrev_b32_e32 v4, 3, v4
	v_lshrrev_b32_e32 v6, 5, v61
	v_and_or_b32 v6, v4, s3, v6
	v_lshlrev_b32_e32 v6, 4, v6
	v_lshrrev_b32_e32 v5, 2, v61
	v_lshlrev_b32_e32 v11, 11, v53
	v_and_b32_e32 v4, 0x78, v4
	v_or_b32_e32 v10, 32, v6
	v_and_b32_e32 v7, 12, v5
	v_and_b32_e32 v5, 0x1000, v11
	v_xor_b32_e32 v8, v6, v4
	v_lshrrev_b32_e32 v9, 1, v61
	v_xor_b32_e32 v10, v10, v4
	v_or_b32_e32 v8, v8, v5
	v_and_b32_e32 v9, 8, v9
	v_lshlrev_b32_e32 v12, 7, v62
	v_or_b32_e32 v10, v10, v5
	v_xor_b32_e32 v81, v8, v9
	v_or_b32_e32 v8, v12, v19
	v_xor_b32_e32 v83, v10, v9
	v_or_b32_e32 v10, 64, v6
	v_or_b32_e32 v6, 0x60, v6
	s_ashr_i32 s3, s2, 31
	v_lshlrev_b32_e32 v8, 1, v8
	v_xor_b32_e32 v10, v10, v4
	v_xor_b32_e32 v4, v6, v4
	s_lshl_b64 s[20:21], s[2:3], 8
	v_or_b32_e32 v82, 0xa000, v8
	v_or_b32_e32 v84, 0xa080, v8
	;; [unrolled: 1-line block ×6, first 2 shown]
	s_waitcnt lgkmcnt(0)
	s_add_u32 s20, s38, s20
	v_lshlrev_b32_e32 v8, 1, v63
	v_lshlrev_b32_e32 v19, 2, v0
	v_lshrrev_b32_e32 v22, 1, v0
	v_xor_b32_e32 v85, v10, v9
	v_xor_b32_e32 v86, v4, v9
	v_lshrrev_b32_e32 v10, 4, v0
	s_addc_u32 s21, s39, s21
	v_or_b32_e32 v9, 1, v8
	v_mov_b32_e32 v20, 0x4000
	v_mov_b32_e32 v21, 0x2000
	v_and_b32_e32 v22, 24, v22
	v_and_or_b32 v12, v19, 60, v12
	v_mov_b32_e32 v19, 0xb000
	v_xor_b32_e32 v15, v10, v8
	v_xor_b32_e32 v16, v9, v10
	v_lshl_add_u64 v[8:9], s[20:21], 0, v[54:55]
	v_lshlrev_b32_e32 v54, 8, v10
	v_cndmask_b32_e32 v20, v20, v21, vcc
	v_lshlrev_b32_e32 v21, 3, v53
	v_lshl_or_b32 v91, v12, 1, v19
	v_or_b32_e32 v12, 32, v22
	v_lshl_or_b32 v89, v15, 3, v54
	v_and_b32_e32 v15, 8, v0
	v_xor_b32_e32 v12, v21, v12
	v_cmp_eq_u32_e32 vcc, 0, v15
	v_or_b32_e32 v19, 0x440, v12
	v_and_b32_e32 v10, 7, v0
	v_cndmask_b32_e32 v12, v19, v12, vcc
	v_lshl_or_b32 v90, v16, 3, v54
	v_lshlrev_b32_e32 v16, 3, v10
	v_or_b32_e32 v12, v12, v11
	v_xor_b32_e32 v19, v12, v16
	v_or_b32_e32 v12, 64, v22
	v_xor_b32_e32 v12, v21, v12
	v_xor_b32_e32 v25, 0x440, v12
	v_cndmask_b32_e32 v12, v25, v12, vcc
	v_or_b32_e32 v12, v12, v11
	v_xor_b32_e32 v25, v12, v16
	v_or_b32_e32 v12, 0x60, v22
	v_xor_b32_e32 v23, v21, v22
	v_xor_b32_e32 v12, v21, v12
	v_or_b32_e32 v24, 0x440, v23
	v_xor_b32_e32 v21, 0x440, v12
	v_cndmask_b32_e32 v15, v24, v23, vcc
	v_cndmask_b32_e32 v12, v21, v12, vcc
	v_or_b32_e32 v15, v15, v11
	v_or_b32_e32 v11, v12, v11
	;; [unrolled: 1-line block ×3, first 2 shown]
	v_xor_b32_e32 v15, v15, v16
	v_xor_b32_e32 v11, v11, v16
	v_lshlrev_b32_e32 v6, 7, v1
	v_ashrrev_i32_e32 v5, 31, v4
	v_lshlrev_b32_e32 v13, 1, v3
	v_add_lshl_u32 v3, v3, s15, 1
	v_or_b32_e32 v14, 0x100, v2
	v_lshlrev_b32_e32 v17, 7, v10
	v_or_b32_e32 v10, v7, v60
	v_add_u32_e32 v23, v20, v15
	v_add_u32_e32 v24, v20, v19
	;; [unrolled: 1-line block ×4, first 2 shown]
	v_or3_b32 v12, v60, v7, 64
	v_add_u32_e32 v7, 0x4000, v15
	v_add_u32_e32 v15, 0x4000, v19
	;; [unrolled: 1-line block ×4, first 2 shown]
	v_cndmask_b32_e64 v92, v13, v2, s[0:1]
	v_cndmask_b32_e64 v93, v3, v14, s[0:1]
	v_lshl_add_u64 v[56:57], v[4:5], 1, s[8:9]
	v_lshl_add_u64 v[58:59], v[8:9], 0, v[54:55]
	s_add_i32 s3, s46, 63
	v_lshlrev_b32_e32 v54, 1, v6
	v_lshlrev_b32_e32 v95, 2, v10
	v_add_u32_e32 v96, v23, v17
	v_add_u32_e32 v97, v24, v17
	;; [unrolled: 1-line block ×4, first 2 shown]
	v_lshlrev_b32_e32 v100, 2, v12
	v_add_u32_e32 v101, v7, v17
	v_add_u32_e32 v102, v15, v17
	v_add_u32_e32 v103, v19, v17
	v_add_u32_e32 v104, v11, v17
	v_mov_b32_e32 v2, v55
	v_mov_b32_e32 v3, v55
	;; [unrolled: 1-line block ×8, first 2 shown]
	s_barrier
.LBB270_6:                              ; =>This Inner Loop Header: Depth=1
	s_add_i32 s65, s66, 1
	s_cmp_lt_i32 s65, s51
	s_mov_b64 s[24:25], 0
	s_cselect_b64 s[44:45], -1, 0
	s_cmp_ge_i32 s65, s51
	s_mov_b64 s[20:21], 0
	s_cbranch_scc1 .LBB270_8
; %bb.7:                                ;   in Loop: Header=BB270_6 Depth=1
	s_add_i32 s0, s60, 64
	s_add_u32 s0, s40, s0
	s_addc_u32 s1, s41, 0
	s_lshl_b64 s[0:1], s[0:1], 8
	s_add_u32 s20, s6, s0
	s_addc_u32 s21, s7, s1
.LBB270_8:                              ;   in Loop: Header=BB270_6 Depth=1
	v_cndmask_b32_e64 v10, 0, 1, s[44:45]
	v_cmp_ne_u32_e64 s[0:1], 1, v10
	s_andn2_b64 vcc, exec, s[44:45]
	s_cbranch_vccnz .LBB270_10
; %bb.9:                                ;   in Loop: Header=BB270_6 Depth=1
	s_add_i32 s24, s60, 64
	s_add_u32 s24, s46, s24
	s_addc_u32 s25, s63, 0
	s_mul_i32 s27, s24, s52
	s_mul_hi_u32 s44, s24, s56
	s_add_i32 s27, s44, s27
	s_mul_i32 s25, s25, s56
	s_add_i32 s27, s27, s25
	s_mul_i32 s24, s24, s56
	s_add_u32 s24, s24, s55
	s_addc_u32 s25, s27, s58
	s_lshl_b64 s[24:25], s[24:25], 8
	s_add_u32 s24, s4, s24
	s_addc_u32 s25, s5, s25
.LBB270_10:                             ;   in Loop: Header=BB270_6 Depth=1
	v_perm_b32 v11, v5, v4, s64
	v_perm_b32 v10, v3, v2, s64
	;; [unrolled: 1-line block ×4, first 2 shown]
	ds_write_b64 v73, v[10:11]
	ds_write_b64 v74, v[12:13]
	;; [unrolled: 1-line block ×4, first 2 shown]
	v_perm_b32 v11, v112, v107, s64
	v_perm_b32 v10, v106, v105, s64
	;; [unrolled: 1-line block ×4, first 2 shown]
	ds_write_b64 v75, v[10:11]
	ds_write_b64 v76, v[12:13]
	;; [unrolled: 1-line block ×4, first 2 shown]
	s_waitcnt lgkmcnt(0)
	s_barrier
	ds_read_b64 v[14:15], v81 offset:24576
	ds_read2_b64 v[10:13], v82 offset1:16
	ds_read_b64 v[18:19], v84 offset:3072
	ds_read_b64 v[20:21], v82 offset:3072
	;; [unrolled: 1-line block ×3, first 2 shown]
	s_waitcnt lgkmcnt(3)
	v_mfma_f32_16x16x16_bf16 a[0:3], v[14:15], v[10:11], 0
	s_add_i32 s27, s60, 63
	s_mul_i32 s44, s27, s35
	s_mul_hi_u32 s45, s27, s34
	v_mfma_f32_16x16x16_bf16 a[4:7], v[14:15], v[12:13], 0
	ds_read2st64_b64 v[10:13], v82 offset0:2 offset1:4
	ds_read2st64_b64 v[14:17], v84 offset0:2 offset1:4
	s_add_i32 s45, s45, s44
	s_waitcnt lgkmcnt(1)
	v_mfma_f32_16x16x16_bf16 a[0:3], v[22:23], v[10:11], a[0:3]
	s_mul_i32 s44, s27, s34
	s_lshl_b64 s[44:45], s[44:45], 2
	s_add_u32 s44, s42, s44
	s_waitcnt lgkmcnt(0)
	v_mfma_f32_16x16x16_bf16 a[4:7], v[22:23], v[14:15], a[4:7]
	ds_read_b64 v[10:11], v85 offset:24576
	ds_read_b64 v[14:15], v86 offset:24576
	s_addc_u32 s45, s43, s45
	s_and_b64 vcc, exec, s[0:1]
	s_waitcnt lgkmcnt(1)
	v_mfma_f32_16x16x16_bf16 a[0:3], v[10:11], v[12:13], a[0:3]
	v_mov_b32_e32 v115, 0
	v_mov_b32_e32 v114, 0
	;; [unrolled: 1-line block ×3, first 2 shown]
	v_mfma_f32_16x16x16_bf16 a[4:7], v[10:11], v[16:17], a[4:7]
	v_mov_b32_e32 v10, 0
	v_mov_b32_e32 v11, 0
	;; [unrolled: 1-line block ×3, first 2 shown]
	s_waitcnt lgkmcnt(0)
	v_mfma_f32_16x16x16_bf16 a[0:3], v[14:15], v[20:21], a[0:3]
	v_mov_b32_e32 v13, 0
	v_mov_b32_e32 v16, 0
	v_mov_b32_e32 v17, 0
	v_mfma_f32_16x16x16_bf16 a[4:7], v[14:15], v[18:19], a[4:7]
	v_mov_b32_e32 v14, 0
	v_mov_b32_e32 v15, 0
	;; [unrolled: 1-line block ×10, first 2 shown]
	s_cbranch_vccnz .LBB270_12
; %bb.11:                               ;   in Loop: Header=BB270_6 Depth=1
	s_and_b32 s21, s21, 0xffff
	buffer_load_dwordx4 v[22:25], v69, s[20:23], 0 offen
	buffer_load_dwordx4 v[18:21], v69, s[20:23], s59 offen
	buffer_load_dwordx4 v[14:17], v70, s[20:23], 0 offen
	buffer_load_dwordx4 v[10:13], v70, s[20:23], s59 offen
	v_mov_b32_e32 v114, v71
	v_mov_b32_e32 v113, v72
.LBB270_12:                             ;   in Loop: Header=BB270_6 Depth=1
	ds_read_b64 v[30:31], v81 offset:32768
	ds_read2_b64 v[26:29], v87 offset1:16
	ds_read_b64 v[34:35], v83 offset:32768
	ds_read_b64 v[36:37], v85 offset:32768
	;; [unrolled: 1-line block ×3, first 2 shown]
	v_add_u32_e32 v42, s60, v94
	s_waitcnt lgkmcnt(3)
	v_mfma_f32_16x16x16_bf16 a[0:3], v[30:31], v[26:27], a[0:3]
	v_mov_b32_e32 v116, 0
	v_mfma_f32_16x16x16_bf16 a[4:7], v[30:31], v[28:29], a[4:7]
	ds_read2st64_b64 v[26:29], v87 offset0:2 offset1:4
	ds_read2st64_b64 v[30:33], v88 offset0:2 offset1:4
	s_waitcnt lgkmcnt(1)
	v_mfma_f32_16x16x16_bf16 a[0:3], v[34:35], v[26:27], a[0:3]
	ds_read_b64 v[26:27], v87 offset:3072
	ds_read_b64 v[40:41], v88 offset:3072
	s_waitcnt lgkmcnt(2)
	v_mfma_f32_16x16x16_bf16 a[4:7], v[34:35], v[30:31], a[4:7]
	v_ashrrev_i32_e32 v30, 31, v42
	v_mul_lo_u32 v31, v42, s35
	v_mul_lo_u32 v30, v30, s34
	v_mfma_f32_16x16x16_bf16 a[0:3], v[36:37], v[28:29], a[0:3]
	v_mad_u64_u32 v[28:29], s[20:21], v42, s34, 0
	v_add3_u32 v29, v29, v31, v30
	v_lshl_add_u64 v[28:29], v[28:29], 2, s[42:43]
	global_load_dword v34, v[28:29], off
	v_add_u32_e32 v28, 1, v42
	v_ashrrev_i32_e32 v29, 31, v28
	s_waitcnt lgkmcnt(1)
	v_mfma_f32_16x16x16_bf16 a[0:3], v[38:39], v[26:27], a[0:3]
	v_mul_lo_u32 v29, v29, s34
	v_mul_lo_u32 v30, v28, s35
	v_mad_u64_u32 v[26:27], s[20:21], v28, s34, 0
	v_add_u32_e32 v28, 2, v42
	v_add3_u32 v27, v27, v30, v29
	v_ashrrev_i32_e32 v29, 31, v28
	v_mul_lo_u32 v30, v29, s34
	v_mul_lo_u32 v31, v28, s35
	v_mad_u64_u32 v[28:29], s[20:21], v28, s34, 0
	v_add3_u32 v29, v29, v31, v30
	v_add_u32_e32 v30, 3, v42
	v_ashrrev_i32_e32 v31, 31, v30
	v_mfma_f32_16x16x16_bf16 a[4:7], v[36:37], v[32:33], a[4:7]
	v_mul_lo_u32 v32, v31, s34
	v_mul_lo_u32 v33, v30, s35
	v_mad_u64_u32 v[30:31], s[20:21], v30, s34, 0
	s_add_u32 s20, s40, s60
	s_addc_u32 s21, s41, 0
	s_lshl_b64 s[20:21], s[20:21], 8
	v_add3_u32 v31, v31, v33, v32
	v_lshl_add_u64 v[32:33], v[56:57], 0, s[20:21]
	v_lshl_add_u64 v[26:27], v[26:27], 2, s[42:43]
	;; [unrolled: 1-line block ×4, first 2 shown]
	global_load_ushort v36, v[32:33], off
	global_load_ushort v35, v[32:33], off offset:256
	global_load_ushort v44, v[32:33], off offset:800
	;; [unrolled: 1-line block ×7, first 2 shown]
	v_lshl_add_u64 v[30:31], v[30:31], 2, s[42:43]
	global_load_dword v47, v[26:27], off
	global_load_dword v48, v[28:29], off
	;; [unrolled: 1-line block ×3, first 2 shown]
	s_load_dword s20, s[44:45], 0x0
	s_waitcnt lgkmcnt(0)
	v_mfma_f32_16x16x16_bf16 a[4:7], v[38:39], v[40:41], a[4:7]
	v_accvgpr_read_b32 v31, a1
	v_accvgpr_read_b32 v27, a3
	;; [unrolled: 1-line block ×4, first 2 shown]
	s_and_b64 vcc, exec, s[0:1]
	s_waitcnt vmcnt(11)
	v_sub_f32_e32 v40, s20, v34
	v_exp_f32_e32 v40, v40
	v_accvgpr_read_b32 v33, a5
	v_accvgpr_read_b32 v32, a4
	;; [unrolled: 1-line block ×4, first 2 shown]
	s_waitcnt vmcnt(10)
	v_lshlrev_b32_e32 v34, 16, v36
	s_waitcnt vmcnt(9)
	v_lshlrev_b32_e32 v35, 16, v35
	v_pk_add_f32 v[30:31], v[34:35], v[30:31] neg_lo:[0,1] neg_hi:[0,1]
	s_waitcnt vmcnt(7)
	v_lshlrev_b32_e32 v37, 16, v37
	v_mov_b32_e32 v34, 0
	s_waitcnt vmcnt(5)
	v_lshlrev_b32_e32 v36, 16, v42
	s_waitcnt vmcnt(4)
	v_lshlrev_b32_e32 v39, 16, v43
	s_waitcnt vmcnt(2)
	v_sub_f32_e32 v41, s20, v47
	s_waitcnt vmcnt(1)
	v_sub_f32_e32 v42, s20, v48
	;; [unrolled: 2-line block ×3, first 2 shown]
	v_exp_f32_e32 v41, v41
	v_exp_f32_e32 v42, v42
	;; [unrolled: 1-line block ×3, first 2 shown]
	v_pk_add_f32 v[26:27], v[36:37], v[26:27] neg_lo:[0,1] neg_hi:[0,1]
	v_lshlrev_b32_e32 v38, 16, v46
	v_pk_mul_f32 v[30:31], v[40:41], v[30:31]
	v_pk_mul_f32 v[26:27], v[42:43], v[26:27]
	v_mov_b32_e32 v35, 0
	v_perm_b32 v27, v27, v26, s64
	v_perm_b32 v26, v31, v30, s64
	v_pk_add_f32 v[30:31], v[38:39], v[32:33] neg_lo:[0,1] neg_hi:[0,1]
	v_lshlrev_b32_e32 v33, 16, v44
	v_lshlrev_b32_e32 v32, 16, v45
	v_pk_add_f32 v[28:29], v[32:33], v[28:29] neg_lo:[0,1] neg_hi:[0,1]
	v_pk_mul_f32 v[30:31], v[40:41], v[30:31]
	v_pk_mul_f32 v[28:29], v[42:43], v[28:29]
	v_mov_b32_e32 v32, 0
	v_perm_b32 v29, v29, v28, s64
	v_perm_b32 v28, v31, v30, s64
	ds_write2_b64 v74, v[26:27], v[28:29] offset1:16
	v_mov_b32_e32 v26, 0
	v_mov_b32_e32 v27, 0
	;; [unrolled: 1-line block ×13, first 2 shown]
	s_cbranch_vccnz .LBB270_14
; %bb.13:                               ;   in Loop: Header=BB270_6 Depth=1
	s_and_b32 s25, s25, 0xffff
	s_mov_b32 s27, s23
	buffer_load_dwordx4 v[38:41], v92, s[24:27], 0 offen
	buffer_load_dwordx4 v[30:33], v92, s[24:27], s59 offen
	buffer_load_dwordx4 v[34:37], v93, s[24:27], 0 offen
	buffer_load_dwordx4 v[26:29], v93, s[24:27], s59 offen
	v_mov_b32_e32 v115, v68
	v_mov_b32_e32 v116, v67
.LBB270_14:                             ;   in Loop: Header=BB270_6 Depth=1
	s_waitcnt lgkmcnt(0)
	s_barrier
	ds_read_b64 v[46:47], v96
	ds_read_b64 v[122:123], v91
	;; [unrolled: 1-line block ×5, first 2 shown]
	ds_read_b64 v[136:137], v88 offset:3072
	ds_read2_b64 v[42:45], v87 offset0:16 offset1:128
	s_waitcnt lgkmcnt(5)
	v_mfma_f32_16x16x16_bf16 a[0:3], v[46:47], v[122:123], 0
	s_add_i32 s21, s53, s66
	s_mul_hi_i32 s25, s21, s13
	s_mul_i32 s21, s21, s13
	s_waitcnt lgkmcnt(0)
	v_mfma_f32_16x16x16_bf16 a[4:7], v[46:47], v[42:43], 0
	ds_read_b64 v[46:47], v101
	ds_read2st64_b64 v[48:51], v88 offset0:2 offset1:4
	s_add_u32 s24, s21, s33
	s_addc_u32 s25, s25, s57
	s_add_i32 s21, s3, s60
	s_lshl_b64 s[24:25], s[24:25], 15
	s_mul_hi_i32 s27, s21, s13
	s_mul_i32 s21, s21, s13
	s_add_u32 s44, s21, s33
	s_waitcnt lgkmcnt(1)
	v_mfma_f32_16x16x16_bf16 a[8:11], v[46:47], v[122:123], 0
	s_addc_u32 s45, s27, s57
	ds_read2st64_b64 v[118:121], v87 offset0:4 offset1:6
	s_lshl_b64 s[44:45], s[44:45], 9
	v_mfma_f32_16x16x16_bf16 a[0:3], v[124:125], v[44:45], a[0:3]
	s_add_u32 s44, s30, s44
	s_addc_u32 s45, s31, s45
	s_waitcnt lgkmcnt(1)
	v_mfma_f32_16x16x16_bf16 a[4:7], v[124:125], v[48:49], a[4:7]
	ds_read_b64 v[124:125], v102
	ds_read_b64 v[132:133], v103
	;; [unrolled: 1-line block ×3, first 2 shown]
	v_mfma_f32_16x16x16_bf16 a[12:15], v[46:47], v[42:43], 0
	s_waitcnt lgkmcnt(2)
	v_mfma_f32_16x16x16_bf16 a[8:11], v[124:125], v[44:45], a[8:11]
	global_load_dwordx4 v[42:45], v100, s[44:45]
	v_mfma_f32_16x16x16_bf16 a[12:15], v[124:125], v[48:49], a[12:15]
	global_load_dwordx4 v[46:49], v95, s[44:45]
	ds_read2st64_b64 v[122:125], v89 offset1:8
	s_waitcnt lgkmcnt(0)
	v_mov_b32_e32 v130, v122
	v_mfma_f32_16x16x16_bf16 a[0:3], v[126:127], v[118:119], a[0:3]
	v_mov_b32_e32 v131, v123
	v_mfma_f32_16x16x16_bf16 a[4:7], v[126:127], v[50:51], a[4:7]
	ds_read2st64_b64 v[126:129], v90 offset1:8
	v_mfma_f32_16x16x16_bf16 a[8:11], v[132:133], v[118:119], a[8:11]
	v_lshl_add_u64 v[118:119], v[58:59], 0, s[24:25]
	v_mfma_f32_16x16x16_bf16 a[16:19], v[132:133], v[50:51], a[12:15]
	v_add_co_u32_e32 v50, vcc, s37, v118
	s_waitcnt lgkmcnt(0)
	v_mov_b32_e32 v132, v126
	v_mfma_f32_16x16x16_bf16 a[0:3], v[134:135], v[120:121], a[0:3]
	v_mov_b32_e32 v133, v127
	v_mov_b32_e32 v126, v124
	v_mov_b32_e32 v127, v125
	v_mfma_f32_16x16x16_bf16 a[4:7], v[134:135], v[136:137], a[4:7]
	v_addc_co_u32_e32 v51, vcc, 0, v119, vcc
	global_store_dwordx4 v[50:51], v[126:129], off
	v_mfma_f32_16x16x16_bf16 a[12:15], v[138:139], v[120:121], a[8:11]
	s_and_b64 vcc, exec, s[0:1]
	global_store_dwordx4 v[118:119], v[130:133], off
	s_waitcnt vmcnt(3)
	v_mov_b32_e32 v52, v45
	v_mfma_f32_16x16x16_bf16 a[8:11], v[138:139], v[136:137], a[16:19]
	v_mov_b32_e32 v51, v44
	v_mov_b32_e32 v50, v43
	s_cbranch_vccnz .LBB270_16
; %bb.15:                               ;   in Loop: Header=BB270_6 Depth=1
	v_lshrrev_b32_e32 v43, 3, v115
	v_and_b32_e32 v43, 6, v43
	v_xor_b32_e32 v44, v43, v116
	v_lshlrev_b32_e32 v44, 2, v44
	v_and_b32_e32 v45, 8, v115
	v_xor_b32_e32 v115, 0x440, v44
	v_cmp_eq_u32_e32 vcc, 0, v45
	v_perm_b32 v45, v30, v26, s61
	s_nop 0
	v_cndmask_b32_e32 v44, v115, v44, vcc
	v_lshl_or_b32 v43, v43, 10, v44
	v_perm_b32 v44, v38, v34, s61
	s_barrier
	ds_write2st64_b32 v43, v44, v45 offset0:32 offset1:64
	v_xor_b32_e32 v44, 8, v43
	v_perm_b32 v34, v38, v34, s62
	v_perm_b32 v26, v30, v26, s62
	v_add_u32_e32 v30, 0x80, v44
	ds_write2st64_b32 v30, v34, v26 offset0:32 offset1:64
	v_xor_b32_e32 v26, 16, v43
	v_perm_b32 v30, v39, v35, s61
	v_perm_b32 v34, v31, v27, s61
	ds_write2st64_b32 v26, v30, v34 offset0:33 offset1:65
	v_xor_b32_e32 v26, 24, v43
	v_perm_b32 v30, v39, v35, s62
	v_perm_b32 v27, v31, v27, s62
	v_add_u32_e32 v26, 0x80, v26
	ds_write2st64_b32 v26, v30, v27 offset0:33 offset1:65
	v_xor_b32_e32 v26, 32, v43
	v_perm_b32 v27, v40, v36, s61
	v_perm_b32 v30, v32, v28, s61
	;; [unrolled: 9-line block ×3, first 2 shown]
	ds_write2st64_b32 v26, v27, v28 offset0:35 offset1:67
	v_xor_b32_e32 v26, 56, v43
	v_perm_b32 v27, v41, v37, s62
	v_perm_b32 v28, v33, v29, s62
	v_add_u32_e32 v26, 0x80, v26
	ds_write2st64_b32 v26, v27, v28 offset0:35 offset1:67
	ds_write_b64 v114, v[22:23] offset:24576
	v_xor_b32_e32 v22, 8, v114
	ds_write_b64 v22, v[24:25] offset:24576
	ds_write_b64 v114, v[18:19] offset:32768
	;; [unrolled: 1-line block ×4, first 2 shown]
	v_xor_b32_e32 v14, 8, v113
	ds_write_b64 v14, v[16:17] offset:24576
	ds_write_b64 v113, v[10:11] offset:32768
	;; [unrolled: 1-line block ×3, first 2 shown]
.LBB270_16:                             ;   in Loop: Header=BB270_6 Depth=1
	v_exp_f32_e32 v26, s20
	s_waitcnt vmcnt(2)
	v_exp_f32_e32 v28, v46
	v_exp_f32_e32 v29, v47
	;; [unrolled: 1-line block ×4, first 2 shown]
	v_accvgpr_read_b32 v21, a3
	v_accvgpr_read_b32 v19, a1
	;; [unrolled: 1-line block ×4, first 2 shown]
	v_pk_mul_f32 v[28:29], v[26:27], v[28:29] op_sel_hi:[0,1]
	v_accvgpr_read_b32 v20, a2
	v_accvgpr_read_b32 v11, a5
	;; [unrolled: 1-line block ×3, first 2 shown]
	v_pk_fma_f32 v[2:3], v[2:3], v[28:29], v[18:19]
	v_pk_mul_f32 v[18:19], v[26:27], v[30:31] op_sel_hi:[0,1]
	v_pk_fma_f32 v[4:5], v[4:5], v[18:19], v[20:21]
	v_fma_f32 v105, v105, v28, v10
	v_fma_f32 v106, v106, v29, v11
	v_exp_f32_e32 v10, v42
	v_exp_f32_e32 v11, v50
	v_exp_f32_e32 v20, v51
	v_exp_f32_e32 v21, v52
	v_accvgpr_read_b32 v12, a6
	v_accvgpr_read_b32 v25, a15
	v_accvgpr_read_b32 v17, a11
	v_accvgpr_read_b32 v24, a14
	v_accvgpr_read_b32 v23, a13
	v_accvgpr_read_b32 v22, a12
	v_accvgpr_read_b32 v16, a10
	v_accvgpr_read_b32 v15, a9
	v_accvgpr_read_b32 v14, a8
	v_fma_f32 v107, v107, v18, v12
	v_fmac_f32_e32 v13, v112, v19
	v_pk_mul_f32 v[10:11], v[26:27], v[10:11] op_sel_hi:[0,1]
	v_pk_mul_f32 v[18:19], v[26:27], v[20:21] op_sel_hi:[0,1]
	s_add_i32 s60, s60, 64
	v_pk_fma_f32 v[6:7], v[6:7], v[10:11], v[22:23]
	v_pk_fma_f32 v[8:9], v[8:9], v[18:19], v[24:25]
	v_fma_f32 v108, v108, v10, v14
	v_fma_f32 v109, v109, v11, v15
	;; [unrolled: 1-line block ×3, first 2 shown]
	s_cmp_eq_u32 s51, s65
	v_fmac_f32_e32 v17, v111, v19
	s_cbranch_scc1 .LBB270_18
; %bb.17:                               ;   in Loop: Header=BB270_6 Depth=1
	s_mov_b32 s66, s65
	v_mov_b32_e32 v112, v13
	v_mov_b32_e32 v111, v17
	s_branch .LBB270_6
.LBB270_18:
	v_mov_b32_e32 v16, v110
	v_mov_b32_e32 v15, v109
	;; [unrolled: 1-line block ×6, first 2 shown]
.LBB270_19:
	s_lshl_b32 s44, s51, 6
	s_sub_i32 s45, s12, s44
	s_cmp_gt_i32 s45, 0
	v_or_b32_e32 v34, s2, v63
	s_cbranch_scc1 .LBB270_21
; %bb.20:
	s_ashr_i32 s0, s33, 31
	s_add_u32 s24, s48, s33
	s_addc_u32 s25, s54, s0
	v_or_b32_e32 v35, s2, v63
	s_cbranch_execz .LBB270_22
	s_branch .LBB270_86
.LBB270_21:
                                        ; implicit-def: $sgpr24_sgpr25
                                        ; implicit-def: $vgpr35
.LBB270_22:
	s_ashr_i32 s37, s50, 31
	s_ashr_i32 s3, s44, 31
	s_cmpk_lg_i32 s15, 0x80
	s_cselect_b64 s[40:41], -1, 0
	s_and_b64 vcc, exec, s[40:41]
	s_cbranch_vccz .LBB270_24
; %bb.23:
	s_mul_hi_i32 s0, s50, s12
	s_add_u32 s1, s46, s44
	s_addc_u32 s0, s0, s3
	s_mul_i32 s20, s1, s52
	s_mul_hi_u32 s21, s1, s14
	s_add_i32 s20, s21, s20
	s_mul_i32 s0, s0, s14
	s_add_i32 s20, s20, s0
	s_mul_i32 s1, s1, s14
	s_ashr_i32 s0, s55, 31
	s_add_u32 s42, s1, s55
	s_addc_u32 s43, s20, s0
	s_cbranch_execz .LBB270_25
	s_branch .LBB270_26
.LBB270_24:
                                        ; implicit-def: $sgpr42_sgpr43
.LBB270_25:
	s_mul_hi_i32 s0, s50, s14
	s_mul_i32 s50, s50, s14
	s_ashr_i32 s1, s55, 31
	s_add_u32 s14, s50, s55
	s_addc_u32 s0, s0, s1
	s_mul_i32 s1, s14, s49
	s_mul_hi_u32 s20, s14, s12
	s_add_i32 s1, s20, s1
	s_mul_i32 s0, s0, s12
	s_add_i32 s1, s1, s0
	s_mul_i32 s14, s14, s12
	s_add_u32 s42, s14, s44
	s_addc_u32 s43, s1, s3
.LBB270_26:
	s_add_i32 s20, s53, s51
	s_ashr_i32 s14, s33, 31
	s_add_u32 s24, s48, s33
	s_addc_u32 s25, s54, s14
	s_mul_i32 s0, s24, s49
	s_mul_hi_u32 s1, s24, s12
	s_add_i32 s0, s1, s0
	s_mul_i32 s1, s25, s12
	s_add_i32 s1, s0, s1
	s_mul_i32 s0, s24, s12
	s_add_u32 s0, s0, s44
	v_lshlrev_b32_e32 v22, 5, v1
	v_lshlrev_b32_e32 v40, 2, v63
	s_addc_u32 s1, s1, s3
	s_mov_b32 s3, 0x7060302
	v_or_b32_e32 v25, v22, v40
	v_xor_b32_e32 v23, v1, v40
	v_perm_b32 v19, v5, v4, s3
	v_perm_b32 v18, v3, v2, s3
	;; [unrolled: 1-line block ×4, first 2 shown]
	v_lshlrev_b32_e32 v25, 1, v25
	v_xor_b32_e32 v24, v66, v40
	ds_write2st64_b64 v25, v[18:19], v[20:21] offset0:80 offset1:88
	v_lshlrev_b32_e32 v23, 1, v23
	v_lshlrev_b32_e32 v25, 8, v63
	s_lshl_b64 s[26:27], s[0:1], 8
	v_or_b32_e32 v26, v23, v25
	v_lshlrev_b32_e32 v24, 1, v24
	s_add_u32 s0, s6, s26
	ds_write_b64 v26, v[18:19]
	v_or_b32_e32 v18, v24, v25
	s_addc_u32 s1, s7, s27
	ds_write_b64 v18, v[20:21]
	v_perm_b32 v19, v13, v12, s3
	v_perm_b32 v18, v11, v10, s3
	;; [unrolled: 1-line block ×4, first 2 shown]
	v_or_b32_e32 v25, 16, v63
	s_mul_hi_i32 s3, s20, s13
	s_mul_i32 s20, s20, s13
	v_lshlrev_b32_e32 v37, 2, v25
	s_add_u32 s6, s20, s33
	v_or_b32_e32 v22, v22, v37
	s_addc_u32 s7, s3, s14
	v_lshlrev_b32_e32 v22, 1, v22
	s_ashr_i32 s3, s2, 31
	s_lshl_b64 s[6:7], s[6:7], 15
	ds_write2st64_b64 v22, v[18:19], v[20:21] offset0:80 offset1:88
	v_lshlrev_b32_e32 v22, 8, v25
	s_waitcnt lgkmcnt(0)
	s_add_u32 s6, s38, s6
	v_or_b32_e32 v23, v23, v22
	s_addc_u32 s7, s39, s7
	s_lshl_b64 s[2:3], s[2:3], 8
	ds_write_b64 v23, v[18:19]
	v_or_b32_e32 v18, v24, v22
	s_add_u32 s2, s6, s2
	ds_write_b64 v18, v[20:21]
	v_lshrrev_b32_e32 v18, 4, v0
	s_addc_u32 s3, s7, s3
	v_lshlrev_b32_e32 v19, 1, v63
	v_lshlrev_b32_e32 v26, 4, v63
	v_mov_b32_e32 v27, 0
	v_or_b32_e32 v20, 1, v19
	v_xor_b32_e32 v19, v18, v19
	v_lshl_add_u64 v[28:29], s[2:3], 0, v[26:27]
	v_lshlrev_b32_e32 v26, 8, v18
	v_xor_b32_e32 v22, v20, v18
	v_lshl_or_b32 v18, v19, 3, v26
	s_waitcnt lgkmcnt(0)
	s_barrier
	ds_read2st64_b64 v[18:21], v18 offset1:8
	v_lshl_or_b32 v22, v22, 3, v26
	ds_read2st64_b64 v[22:25], v22 offset1:8
	v_lshl_add_u64 v[30:31], v[28:29], 0, v[26:27]
	s_movk_i32 s2, 0x1000
	s_waitcnt lgkmcnt(1)
	v_mov_b32_e32 v26, v18
	v_add_co_u32_e32 v18, vcc, s2, v30
	s_cmp_lg_u32 s45, 64
	v_mov_b32_e32 v27, v19
	v_addc_co_u32_e32 v19, vcc, 0, v31, vcc
	s_cselect_b64 s[6:7], -1, 0
	v_lshl_or_b32 v35, v53, 3, v65
	s_waitcnt lgkmcnt(0)
	v_mov_b32_e32 v28, v22
	v_mov_b32_e32 v29, v23
	;; [unrolled: 1-line block ×4, first 2 shown]
	s_mov_b32 s20, 0
	v_or_b32_e32 v38, 32, v35
	v_and_b32_e32 v36, 56, v64
	s_and_b64 vcc, exec, s[6:7]
	global_store_dwordx4 v[30:31], v[26:29], off
	global_store_dwordx4 v[18:19], v[22:25], off
	s_cbranch_vccz .LBB270_32
; %bb.27:
	s_mov_b32 s22, s20
	s_mov_b32 s23, s20
	;; [unrolled: 1-line block ×3, first 2 shown]
	v_mov_b64_e32 v[24:25], s[22:23]
	v_mov_b64_e32 v[22:23], s[20:21]
	;; [unrolled: 1-line block ×3, first 2 shown]
	v_cmp_gt_i32_e32 vcc, s45, v35
	v_mov_b64_e32 v[20:21], v[24:25]
	s_and_saveexec_b64 s[2:3], vcc
	s_cbranch_execz .LBB270_29
; %bb.28:
	v_lshlrev_b32_e32 v18, 8, v35
	v_mov_b32_e32 v19, 0
	v_lshl_add_u64 v[20:21], s[0:1], 0, v[18:19]
	v_lshlrev_b32_e32 v18, 1, v36
	v_lshl_add_u64 v[26:27], v[20:21], 0, v[18:19]
	global_load_dwordx4 v[22:25], v[26:27], off
	global_load_dwordx4 v[18:21], v[26:27], off offset:128
.LBB270_29:
	s_or_b64 exec, exec, s[2:3]
	s_mov_b32 s22, s20
	s_mov_b32 s23, s20
	;; [unrolled: 1-line block ×3, first 2 shown]
	v_mov_b64_e32 v[32:33], s[22:23]
	v_mov_b64_e32 v[30:31], s[20:21]
	;; [unrolled: 1-line block ×3, first 2 shown]
	v_cmp_gt_i32_e32 vcc, s45, v38
	v_lshlrev_b32_e32 v39, 7, v38
	v_mov_b64_e32 v[28:29], v[32:33]
	s_and_saveexec_b64 s[2:3], vcc
	s_cbranch_execz .LBB270_31
; %bb.30:
	v_lshlrev_b32_e32 v26, 1, v39
	v_mov_b32_e32 v27, 0
	v_lshl_add_u64 v[28:29], s[0:1], 0, v[26:27]
	v_lshlrev_b32_e32 v26, 1, v36
	v_lshl_add_u64 v[42:43], v[28:29], 0, v[26:27]
	global_load_dwordx4 v[30:33], v[42:43], off
	global_load_dwordx4 v[26:29], v[42:43], off offset:128
.LBB270_31:
	s_or_b64 exec, exec, s[2:3]
	v_lshrrev_b32_e32 v41, 3, v36
	v_lshlrev_b32_e32 v42, 3, v35
	v_or_b32_e32 v41, v42, v41
	v_lshlrev_b32_e32 v41, 4, v41
	v_and_b32_e32 v42, 0x78, v42
	v_xor_b32_e32 v41, v41, v42
	s_branch .LBB270_34
.LBB270_32:
                                        ; implicit-def: $vgpr41
                                        ; implicit-def: $vgpr39
                                        ; implicit-def: $vgpr22_vgpr23_vgpr24_vgpr25
                                        ; implicit-def: $vgpr18_vgpr19_vgpr20_vgpr21
                                        ; implicit-def: $vgpr30_vgpr31_vgpr32_vgpr33
                                        ; implicit-def: $vgpr26_vgpr27_vgpr28_vgpr29
	s_cbranch_execz .LBB270_34
; %bb.33:
	s_waitcnt vmcnt(0)
	v_lshlrev_b32_e32 v18, 1, v36
	v_lshl_or_b32 v39, v35, 8, v18
	s_and_b32 s1, s1, 0xffff
	s_mov_b32 s3, 0x20000
	s_movk_i32 s2, 0x4000
	v_lshl_or_b32 v41, v38, 8, v18
	s_movk_i32 s20, 0x80
	buffer_load_dwordx4 v[22:25], v39, s[0:3], 0 offen
	buffer_load_dwordx4 v[18:21], v39, s[0:3], s20 offen
	buffer_load_dwordx4 v[30:33], v41, s[0:3], 0 offen
	buffer_load_dwordx4 v[26:29], v41, s[0:3], s20 offen
	v_lshrrev_b32_e32 v39, 3, v36
	v_lshlrev_b32_e32 v41, 3, v35
	v_or_b32_e32 v39, v41, v39
	v_lshlrev_b32_e32 v39, 4, v39
	v_and_b32_e32 v41, 0x78, v41
	v_xor_b32_e32 v41, v39, v41
	v_lshlrev_b32_e32 v39, 7, v38
.LBB270_34:
	s_lshl_b64 s[0:1], s[42:43], 8
	s_add_u32 s4, s4, s0
	s_movk_i32 s0, 0x1000
	v_and_or_b32 v38, v39, s0, v41
	s_waitcnt vmcnt(1)
	ds_write_b64 v41, v[22:23] offset:24576
	v_xor_b32_e32 v22, 8, v41
	ds_write_b64 v22, v[24:25] offset:24576
	s_waitcnt vmcnt(0)
	ds_write_b64 v41, v[18:19] offset:32768
	ds_write_b64 v22, v[20:21] offset:32768
	;; [unrolled: 1-line block ×3, first 2 shown]
	v_xor_b32_e32 v18, 8, v38
	ds_write_b64 v18, v[32:33] offset:24576
	ds_write_b64 v38, v[26:27] offset:32768
	;; [unrolled: 1-line block ×3, first 2 shown]
	v_or_b32_e32 v18, v60, v63
	s_mul_i32 s37, s37, s16
	v_lshlrev_b32_e32 v18, 3, v18
	v_lshrrev_b32_e32 v19, 5, v61
	s_movk_i32 s16, 0xf8
	v_and_or_b32 v19, v18, s16, v19
	v_lshlrev_b32_e32 v23, 4, v19
	v_lshlrev_b32_e32 v41, 11, v53
	v_and_b32_e32 v24, 0x78, v18
	v_or_b32_e32 v26, 32, v23
	v_and_b32_e32 v22, 0x1000, v41
	v_lshrrev_b32_e32 v19, 1, v61
	v_xor_b32_e32 v26, v26, v24
	v_xor_b32_e32 v18, v23, v24
	v_and_b32_e32 v25, 8, v19
	v_or_b32_e32 v26, v26, v22
	v_or_b32_e32 v18, v18, v22
	v_xor_b32_e32 v45, v26, v25
	v_or_b32_e32 v26, 64, v23
	v_xor_b32_e32 v44, v18, v25
	v_xor_b32_e32 v26, v26, v24
	s_waitcnt lgkmcnt(0)
	s_barrier
	v_or_b32_e32 v28, v26, v22
	ds_read_b64 v[26:27], v44 offset:24576
	v_lshl_or_b32 v38, v62, 7, v40
	v_lshlrev_b32_e32 v42, 1, v38
	v_add_u32_e32 v18, 0xa000, v42
	ds_read2_b64 v[18:21], v18 offset1:16
	v_or_b32_e32 v23, 0x60, v23
	v_xor_b32_e32 v23, v23, v24
	s_waitcnt lgkmcnt(0)
	v_mfma_f32_16x16x16_bf16 a[0:3], v[26:27], v[18:19], 0
	v_or_b32_e32 v18, 64, v38
	v_or_b32_e32 v22, v23, v22
	v_lshlrev_b32_e32 v43, 1, v18
	v_xor_b32_e32 v46, v28, v25
	v_xor_b32_e32 v47, v22, v25
	ds_read_b64 v[28:29], v45 offset:24576
	ds_read_b64 v[30:31], v46 offset:24576
	;; [unrolled: 1-line block ×3, first 2 shown]
	v_mfma_f32_16x16x16_bf16 a[4:7], v[26:27], v[20:21], 0
	ds_read2st64_b64 v[18:21], v43 offset0:82 offset1:84
	ds_read2st64_b64 v[22:25], v42 offset0:82 offset1:84
	s_addc_u32 s5, s5, s1
	s_add_i32 s12, s12, -1
	s_add_i32 s0, s47, s17
	s_add_i32 s37, s0, s37
	s_mul_i32 s0, s33, s19
	s_mul_hi_u32 s1, s33, s18
	s_ashr_i32 s2, s12, 31
	s_mul_i32 s3, s12, s35
	s_mul_hi_u32 s16, s12, s34
	s_add_i32 s0, s1, s0
	s_mul_i32 s1, s14, s18
	s_add_i32 s3, s16, s3
	s_mul_i32 s2, s2, s34
	s_waitcnt lgkmcnt(1)
	v_mfma_f32_16x16x16_bf16 a[4:7], v[28:29], v[18:19], a[4:7]
	s_add_i32 s1, s0, s1
	s_add_i32 s3, s3, s2
	s_lshl_b64 s[16:17], s[36:37], 2
	s_waitcnt lgkmcnt(0)
	v_mfma_f32_16x16x16_bf16 a[0:3], v[28:29], v[22:23], a[0:3]
	s_mul_i32 s0, s33, s18
	s_add_u32 s10, s10, s16
	s_addc_u32 s11, s11, s17
	s_lshl_b64 s[0:1], s[0:1], 2
	s_mul_i32 s2, s12, s34
	s_add_u32 s10, s10, s0
	ds_read_b64 v[18:19], v42 offset:44032
	v_mfma_f32_16x16x16_bf16 a[4:7], v[30:31], v[20:21], a[4:7]
	ds_read_b64 v[20:21], v43 offset:44032
	s_addc_u32 s11, s11, s1
	s_lshl_b64 s[0:1], s[2:3], 2
	v_mfma_f32_16x16x16_bf16 a[0:3], v[30:31], v[24:25], a[0:3]
	s_add_u32 s0, s10, s0
	s_addc_u32 s1, s11, s1
	s_load_dword s16, s[0:1], 0x0
	s_waitcnt lgkmcnt(0)
	v_mfma_f32_16x16x16_bf16 a[0:3], v[32:33], v[18:19], a[0:3]
	s_and_b64 vcc, exec, s[40:41]
	v_mfma_f32_16x16x16_bf16 a[4:7], v[32:33], v[20:21], a[4:7]
	s_cbranch_vccz .LBB270_45
; %bb.35:
	v_lshlrev_b32_e32 v38, 1, v35
	s_and_b64 vcc, exec, s[6:7]
	s_cbranch_vccz .LBB270_46
; %bb.36:
	v_cmp_gt_i32_e32 vcc, s45, v38
	v_mov_b32_e32 v22, 0
	v_mov_b32_e32 v18, 0
	;; [unrolled: 1-line block ×5, first 2 shown]
	s_and_saveexec_b64 s[0:1], vcc
	s_cbranch_execz .LBB270_38
; %bb.37:
	v_mad_i64_i32 v[18:19], s[2:3], s15, v38, 0
	v_lshl_add_u64 v[18:19], v[18:19], 1, s[4:5]
	v_lshlrev_b32_e32 v20, 1, v36
	v_mov_b32_e32 v21, 0
	v_lshl_add_u64 v[18:19], v[18:19], 0, v[20:21]
	global_load_dwordx4 v[18:21], v[18:19], off
.LBB270_38:
	s_or_b64 exec, exec, s[0:1]
	v_or_b32_e32 v39, 1, v38
	v_cmp_gt_i32_e64 s[0:1], s45, v39
	v_mov_b32_e32 v23, 0
	v_mov_b32_e32 v24, 0
	v_mov_b32_e32 v25, 0
	s_and_saveexec_b64 s[2:3], s[0:1]
	s_cbranch_execz .LBB270_40
; %bb.39:
	v_mad_i64_i32 v[22:23], s[18:19], s15, v39, 0
	v_lshl_add_u64 v[22:23], v[22:23], 1, s[4:5]
	v_lshlrev_b32_e32 v24, 1, v36
	v_mov_b32_e32 v25, 0
	v_lshl_add_u64 v[22:23], v[22:23], 0, v[24:25]
	global_load_dwordx4 v[22:25], v[22:23], off
.LBB270_40:
	s_or_b64 exec, exec, s[2:3]
	v_mov_b32_e32 v33, 0
	v_mov_b32_e32 v26, 0
	;; [unrolled: 1-line block ×5, first 2 shown]
	s_and_saveexec_b64 s[2:3], vcc
	s_cbranch_execz .LBB270_42
; %bb.41:
	v_mad_i64_i32 v[26:27], s[18:19], s15, v38, 0
	v_lshl_add_u64 v[26:27], v[26:27], 1, s[4:5]
	v_lshlrev_b32_e32 v28, 1, v36
	v_mov_b32_e32 v29, 0
	v_lshl_add_u64 v[26:27], v[26:27], 0, v[28:29]
	global_load_dwordx4 v[26:29], v[26:27], off offset:128
.LBB270_42:
	s_or_b64 exec, exec, s[2:3]
	v_mov_b32_e32 v32, 0
	v_mov_b32_e32 v31, 0
	;; [unrolled: 1-line block ×3, first 2 shown]
	s_and_saveexec_b64 s[2:3], s[0:1]
	s_cbranch_execz .LBB270_44
; %bb.43:
	v_mad_i64_i32 v[30:31], s[0:1], s15, v39, 0
	v_lshl_add_u64 v[30:31], v[30:31], 1, s[4:5]
	v_lshlrev_b32_e32 v32, 1, v36
	v_mov_b32_e32 v33, 0
	v_lshl_add_u64 v[30:31], v[30:31], 0, v[32:33]
	global_load_dwordx4 v[30:33], v[30:31], off offset:128
.LBB270_44:
	s_or_b64 exec, exec, s[2:3]
	s_branch .LBB270_48
.LBB270_45:
                                        ; implicit-def: $vgpr21
                                        ; implicit-def: $vgpr25
                                        ; implicit-def: $vgpr29
                                        ; implicit-def: $vgpr33
	v_lshrrev_b32_e32 v48, 2, v61
	s_branch .LBB270_49
.LBB270_46:
                                        ; implicit-def: $vgpr21
                                        ; implicit-def: $vgpr25
                                        ; implicit-def: $vgpr29
                                        ; implicit-def: $vgpr33
	s_cbranch_execz .LBB270_48
; %bb.47:
	s_waitcnt vmcnt(0)
	v_mad_u64_u32 v[18:19], s[0:1], v38, s15, v[36:37]
	v_lshlrev_b32_e32 v38, 1, v18
	s_lshl_b32 s2, s15, 7
	s_and_b32 s1, s5, 0xffff
	s_mov_b32 s3, 0x20000
	s_mov_b32 s0, s4
	v_add_lshl_u32 v39, v18, s15, 1
	s_movk_i32 s15, 0x80
	buffer_load_dwordx4 v[18:21], v38, s[0:3], 0 offen
	buffer_load_dwordx4 v[26:29], v38, s[0:3], s15 offen
	;; [unrolled: 1-line block ×4, first 2 shown]
.LBB270_48:
	v_lshrrev_b32_e32 v48, 2, v61
	s_cbranch_execnz .LBB270_61
.LBB270_49:
	s_and_b64 vcc, exec, s[6:7]
	s_cbranch_vccz .LBB270_59
; %bb.50:
	s_waitcnt vmcnt(0)
	v_lshlrev_b32_e32 v23, 1, v35
	v_cmp_gt_i32_e32 vcc, s45, v23
	v_mov_b32_e32 v22, 0
	v_lshlrev_b32_e32 v30, 9, v35
	v_mov_b32_e32 v18, 0
	v_mov_b32_e32 v19, 0
	;; [unrolled: 1-line block ×4, first 2 shown]
	s_and_saveexec_b64 s[0:1], vcc
	s_cbranch_execz .LBB270_52
; %bb.51:
	v_mov_b32_e32 v31, 0
	v_lshl_add_u64 v[18:19], s[4:5], 0, v[30:31]
	v_lshlrev_b32_e32 v20, 1, v36
	v_mov_b32_e32 v21, v31
	v_lshl_add_u64 v[18:19], v[18:19], 0, v[20:21]
	global_load_dwordx4 v[18:21], v[18:19], off
.LBB270_52:
	s_or_b64 exec, exec, s[0:1]
	v_or_b32_e32 v23, 1, v23
	v_cmp_gt_i32_e64 s[0:1], s45, v23
	v_lshlrev_b32_e32 v38, 8, v23
	v_mov_b32_e32 v23, 0
	v_mov_b32_e32 v24, 0
	;; [unrolled: 1-line block ×3, first 2 shown]
	s_and_saveexec_b64 s[2:3], s[0:1]
	s_cbranch_execz .LBB270_54
; %bb.53:
	v_mov_b32_e32 v39, 0
	v_lshl_add_u64 v[22:23], s[4:5], 0, v[38:39]
	v_lshlrev_b32_e32 v24, 1, v36
	v_mov_b32_e32 v25, v39
	v_lshl_add_u64 v[22:23], v[22:23], 0, v[24:25]
	global_load_dwordx4 v[22:25], v[22:23], off
.LBB270_54:
	s_or_b64 exec, exec, s[2:3]
	v_mov_b32_e32 v33, 0
	v_mov_b32_e32 v26, 0
	;; [unrolled: 1-line block ×5, first 2 shown]
	s_and_saveexec_b64 s[2:3], vcc
	s_cbranch_execz .LBB270_56
; %bb.55:
	v_mov_b32_e32 v31, 0
	v_lshl_add_u64 v[26:27], s[4:5], 0, v[30:31]
	v_lshlrev_b32_e32 v30, 1, v36
	v_lshl_add_u64 v[26:27], v[26:27], 0, v[30:31]
	global_load_dwordx4 v[26:29], v[26:27], off offset:128
.LBB270_56:
	s_or_b64 exec, exec, s[2:3]
	v_mov_b32_e32 v32, 0
	v_mov_b32_e32 v31, 0
	;; [unrolled: 1-line block ×3, first 2 shown]
	s_and_saveexec_b64 s[2:3], s[0:1]
	s_cbranch_execz .LBB270_58
; %bb.57:
	v_mov_b32_e32 v39, 0
	v_lshl_add_u64 v[30:31], s[4:5], 0, v[38:39]
	v_lshlrev_b32_e32 v38, 1, v36
	v_lshl_add_u64 v[30:31], v[30:31], 0, v[38:39]
	global_load_dwordx4 v[30:33], v[30:31], off offset:128
.LBB270_58:
	s_or_b64 exec, exec, s[2:3]
	s_branch .LBB270_61
.LBB270_59:
                                        ; implicit-def: $vgpr21
                                        ; implicit-def: $vgpr25
                                        ; implicit-def: $vgpr29
                                        ; implicit-def: $vgpr33
	s_cbranch_execz .LBB270_61
; %bb.60:
	s_waitcnt vmcnt(0)
	v_lshlrev_b32_e32 v18, 1, v36
	v_lshl_or_b32 v36, v35, 9, v18
	s_and_b32 s5, s5, 0xffff
	s_mov_b32 s7, 0x20000
	s_movk_i32 s6, 0x4000
	s_movk_i32 s0, 0x80
	buffer_load_dwordx4 v[18:21], v36, s[4:7], 0 offen
	buffer_load_dwordx4 v[22:25], v36, s[4:7], 0 offen offset:256
	buffer_load_dwordx4 v[26:29], v36, s[4:7], s0 offen
	buffer_load_dwordx4 v[30:33], v36, s[4:7], s0 offen offset:256
.LBB270_61:
	ds_read_b64 v[38:39], v44 offset:32768
	v_add_u32_e32 v36, 0xb000, v42
	ds_read2_b64 v[54:57], v36 offset1:16
	ds_read_b64 v[50:51], v45 offset:32768
	ds_read_b64 v[58:59], v46 offset:32768
	;; [unrolled: 1-line block ×3, first 2 shown]
	ds_read2st64_b64 v[44:47], v42 offset0:90 offset1:92
	v_and_b32_e32 v36, 12, v48
	v_and_b32_e32 v48, 6, v0
	v_xor_b32_e32 v35, v35, v48
	v_lshlrev_b32_e32 v35, 2, v35
	s_mov_b32 s0, 0x1000504
	s_waitcnt lgkmcnt(4)
	v_mfma_f32_16x16x16_bf16 a[0:3], v[38:39], v[54:55], a[0:3]
	s_mov_b32 s1, 0x3020706
	v_mfma_f32_16x16x16_bf16 a[4:7], v[38:39], v[56:57], a[4:7]
	ds_read2st64_b64 v[54:57], v43 offset0:90 offset1:92
	s_waitcnt lgkmcnt(1)
	v_mfma_f32_16x16x16_bf16 a[0:3], v[50:51], v[44:45], a[0:3]
	ds_read_b64 v[38:39], v42 offset:48128
	ds_read_b64 v[44:45], v43 offset:48128
	s_waitcnt lgkmcnt(2)
	v_mfma_f32_16x16x16_bf16 a[4:7], v[50:51], v[54:55], a[4:7]
	v_mfma_f32_16x16x16_bf16 a[0:3], v[58:59], v[46:47], a[0:3]
	v_and_b32_e32 v46, 1, v0
	v_xor_b32_e32 v47, 0x440, v35
	v_cmp_eq_u32_e32 vcc, 0, v46
	v_mfma_f32_16x16x16_bf16 a[8:11], v[58:59], v[56:57], a[4:7]
	s_nop 0
	v_cndmask_b32_e32 v35, v47, v35, vcc
	v_lshl_or_b32 v35, v48, 10, v35
	s_waitcnt lgkmcnt(1)
	v_mfma_f32_16x16x16_bf16 a[4:7], v[62:63], v[38:39], a[0:3]
	s_waitcnt vmcnt(0)
	v_perm_b32 v38, v18, v22, s0
	v_perm_b32 v39, v26, v30, s0
	ds_write2st64_b32 v35, v38, v39 offset0:32 offset1:64
	v_xor_b32_e32 v38, 8, v35
	v_perm_b32 v18, v18, v22, s1
	v_perm_b32 v22, v26, v30, s1
	v_add_u32_e32 v26, 0x80, v38
	ds_write2st64_b32 v26, v18, v22 offset0:32 offset1:64
	v_xor_b32_e32 v18, 16, v35
	v_perm_b32 v22, v19, v23, s0
	v_perm_b32 v26, v27, v31, s0
	ds_write2st64_b32 v18, v22, v26 offset0:33 offset1:65
	v_xor_b32_e32 v18, 24, v35
	v_perm_b32 v19, v19, v23, s1
	v_perm_b32 v22, v27, v31, s1
	v_add_u32_e32 v18, 0x80, v18
	ds_write2st64_b32 v18, v19, v22 offset0:33 offset1:65
	v_xor_b32_e32 v18, 32, v35
	v_perm_b32 v19, v20, v24, s0
	v_perm_b32 v22, v28, v32, s0
	ds_write2st64_b32 v18, v19, v22 offset0:34 offset1:66
	v_xor_b32_e32 v18, 40, v35
	s_waitcnt lgkmcnt(5)
	v_mfma_f32_16x16x16_bf16 a[0:3], v[62:63], v[44:45], a[8:11]
	v_perm_b32 v19, v20, v24, s1
	v_perm_b32 v20, v28, v32, s1
	v_add_u32_e32 v18, 0x80, v18
	ds_write2st64_b32 v18, v19, v20 offset0:34 offset1:66
	v_xor_b32_e32 v18, 48, v35
	v_perm_b32 v19, v21, v25, s0
	v_perm_b32 v20, v29, v33, s0
	ds_write2st64_b32 v18, v19, v20 offset0:35 offset1:67
	v_xor_b32_e32 v18, 56, v35
	v_or_b32_e32 v32, v36, v60
	v_perm_b32 v19, v21, v25, s1
	v_perm_b32 v20, v29, v33, s1
	v_add_u32_e32 v18, 0x80, v18
	v_cmp_gt_i32_e32 vcc, s45, v32
	v_mov_b32_e32 v33, 0
	v_mov_b32_e32 v39, 0
	ds_write2st64_b32 v18, v19, v20 offset0:35 offset1:67
	s_and_saveexec_b64 s[0:1], vcc
	s_cbranch_execz .LBB270_63
; %bb.62:
	v_add_u32_e32 v18, s44, v32
	v_ashrrev_i32_e32 v19, 31, v18
	v_mul_lo_u32 v20, v19, s34
	v_mul_lo_u32 v21, v18, s35
	v_mad_u64_u32 v[18:19], s[2:3], v18, s34, 0
	v_add3_u32 v19, v19, v21, v20
	v_lshl_add_u64 v[18:19], v[18:19], 2, s[10:11]
	global_load_dword v18, v[18:19], off
	s_waitcnt vmcnt(0)
	v_sub_f32_e32 v18, s16, v18
	v_exp_f32_e32 v39, v18
.LBB270_63:
	s_or_b64 exec, exec, s[0:1]
	v_or_b32_e32 v26, 1, v32
	v_cmp_gt_i32_e64 s[0:1], s45, v26
	s_and_saveexec_b64 s[2:3], s[0:1]
	s_cbranch_execz .LBB270_65
; %bb.64:
	v_add_u32_e32 v18, s44, v26
	v_ashrrev_i32_e32 v19, 31, v18
	v_mul_lo_u32 v20, v19, s34
	v_mul_lo_u32 v21, v18, s35
	v_mad_u64_u32 v[18:19], s[4:5], v18, s34, 0
	v_add3_u32 v19, v19, v21, v20
	v_lshl_add_u64 v[18:19], v[18:19], 2, s[10:11]
	global_load_dword v18, v[18:19], off
	s_waitcnt vmcnt(0)
	v_sub_f32_e32 v18, s16, v18
	v_exp_f32_e32 v33, v18
.LBB270_65:
	s_or_b64 exec, exec, s[2:3]
	v_or_b32_e32 v27, 2, v32
	v_cmp_gt_i32_e64 s[2:3], s45, v27
	v_mov_b32_e32 v38, 0
	v_mov_b32_e32 v44, 0
	s_and_saveexec_b64 s[4:5], s[2:3]
	s_cbranch_execz .LBB270_67
; %bb.66:
	v_add_u32_e32 v18, s44, v27
	v_ashrrev_i32_e32 v19, 31, v18
	v_mul_lo_u32 v20, v19, s34
	v_mul_lo_u32 v21, v18, s35
	v_mad_u64_u32 v[18:19], s[6:7], v18, s34, 0
	v_add3_u32 v19, v19, v21, v20
	v_lshl_add_u64 v[18:19], v[18:19], 2, s[10:11]
	global_load_dword v18, v[18:19], off
	s_waitcnt vmcnt(0)
	v_sub_f32_e32 v18, s16, v18
	v_exp_f32_e32 v44, v18
.LBB270_67:
	s_or_b64 exec, exec, s[4:5]
	v_or_b32_e32 v45, 3, v32
	v_cmp_gt_i32_e64 s[4:5], s45, v45
	s_and_saveexec_b64 s[6:7], s[4:5]
	s_cbranch_execz .LBB270_69
; %bb.68:
	v_add_u32_e32 v18, s44, v45
	v_ashrrev_i32_e32 v19, 31, v18
	v_mul_lo_u32 v20, v19, s34
	v_mul_lo_u32 v21, v18, s35
	v_mad_u64_u32 v[18:19], s[18:19], v18, s34, 0
	v_add3_u32 v19, v19, v21, v20
	v_lshl_add_u64 v[18:19], v[18:19], 2, s[10:11]
	global_load_dword v18, v[18:19], off
	s_waitcnt vmcnt(0)
	v_sub_f32_e32 v18, s16, v18
	v_exp_f32_e32 v38, v18
.LBB270_69:
	s_or_b64 exec, exec, s[6:7]
	s_add_u32 s6, s8, s26
	v_accvgpr_read_b32 v21, a7
	s_addc_u32 s7, s9, s27
	v_ashrrev_i32_e32 v35, 31, v34
	v_accvgpr_read_b32 v20, a6
	v_accvgpr_read_b32 v19, a5
	;; [unrolled: 1-line block ×3, first 2 shown]
	v_lshl_add_u64 v[22:23], v[34:35], 1, s[6:7]
	v_mov_b32_e32 v29, 0
	v_lshlrev_b32_e32 v24, 8, v32
	v_mov_b32_e32 v25, 0
	s_and_saveexec_b64 s[6:7], vcc
	s_cbranch_execz .LBB270_71
; %bb.70:
	v_mov_b32_e32 v25, 0
	v_lshl_add_u64 v[30:31], v[22:23], 0, v[24:25]
	global_load_ushort v25, v[30:31], off
	s_waitcnt vmcnt(0)
	v_lshlrev_b32_e32 v25, 16, v25
	v_sub_f32_e32 v18, v25, v18
	v_mul_f32_e32 v18, v39, v18
	v_lshrrev_b32_e32 v25, 16, v18
.LBB270_71:
	s_or_b64 exec, exec, s[6:7]
	v_lshlrev_b32_e32 v28, 8, v26
	s_and_saveexec_b64 s[6:7], s[0:1]
	s_cbranch_execz .LBB270_73
; %bb.72:
	v_mov_b32_e32 v29, 0
	v_lshl_add_u64 v[30:31], v[22:23], 0, v[28:29]
	global_load_ushort v18, v[30:31], off
	s_waitcnt vmcnt(0)
	v_lshlrev_b32_e32 v18, 16, v18
	v_sub_f32_e32 v18, v18, v19
	v_mul_f32_e32 v18, v33, v18
	v_lshrrev_b32_e32 v29, 16, v18
.LBB270_73:
	s_or_b64 exec, exec, s[6:7]
	v_mov_b32_e32 v46, 0
	v_lshlrev_b32_e32 v30, 8, v27
	v_mov_b32_e32 v31, 0
	s_and_saveexec_b64 s[6:7], s[2:3]
	s_cbranch_execz .LBB270_75
; %bb.74:
	v_mov_b32_e32 v31, 0
	v_lshl_add_u64 v[18:19], v[22:23], 0, v[30:31]
	global_load_ushort v18, v[18:19], off
	s_waitcnt vmcnt(0)
	v_lshlrev_b32_e32 v18, 16, v18
	v_sub_f32_e32 v18, v18, v20
	v_mul_f32_e32 v18, v44, v18
	v_lshrrev_b32_e32 v31, 16, v18
.LBB270_75:
	s_or_b64 exec, exec, s[6:7]
	v_lshlrev_b32_e32 v26, 8, v45
	s_and_saveexec_b64 s[6:7], s[4:5]
	s_cbranch_execz .LBB270_77
; %bb.76:
	v_mov_b32_e32 v27, 0
	v_lshl_add_u64 v[18:19], v[22:23], 0, v[26:27]
	global_load_ushort v18, v[18:19], off
	s_waitcnt vmcnt(0)
	v_lshlrev_b32_e32 v18, 16, v18
	v_sub_f32_e32 v18, v18, v21
	v_mul_f32_e32 v18, v38, v18
	v_lshrrev_b32_e32 v46, 16, v18
.LBB270_77:
	s_or_b64 exec, exec, s[6:7]
	v_lshlrev_b32_e32 v35, 5, v32
	s_mov_b32 s6, 0x5040100
	v_perm_b32 v47, v46, v31, s6
	v_perm_b32 v46, v29, v25, s6
	v_or_b32_e32 v25, v35, v40
	v_accvgpr_read_b32 v21, a3
	v_lshlrev_b32_e32 v25, 1, v25
	v_accvgpr_read_b32 v20, a2
	v_accvgpr_read_b32 v19, a1
	;; [unrolled: 1-line block ×3, first 2 shown]
	ds_write_b64 v25, v[46:47] offset:45056
	v_mov_b32_e32 v29, 0
	v_mov_b32_e32 v25, 0
	s_and_saveexec_b64 s[6:7], vcc
	s_cbranch_execz .LBB270_79
; %bb.78:
	v_mov_b32_e32 v25, 0
	v_lshl_add_u64 v[24:25], v[22:23], 0, v[24:25]
	global_load_ushort v24, v[24:25], off offset:32
	s_waitcnt vmcnt(0)
	v_lshlrev_b32_e32 v24, 16, v24
	v_sub_f32_e32 v18, v24, v18
	v_mul_f32_e32 v18, v39, v18
	v_lshrrev_b32_e32 v25, 16, v18
.LBB270_79:
	s_or_b64 exec, exec, s[6:7]
	s_and_saveexec_b64 s[6:7], s[0:1]
	s_cbranch_execz .LBB270_81
; %bb.80:
	v_mov_b32_e32 v29, 0
	v_lshl_add_u64 v[28:29], v[22:23], 0, v[28:29]
	global_load_ushort v18, v[28:29], off offset:32
	s_waitcnt vmcnt(0)
	v_lshlrev_b32_e32 v18, 16, v18
	v_sub_f32_e32 v18, v18, v19
	v_mul_f32_e32 v18, v33, v18
	v_lshrrev_b32_e32 v29, 16, v18
.LBB270_81:
	s_or_b64 exec, exec, s[6:7]
	v_mov_b32_e32 v24, 0
	v_mov_b32_e32 v28, 0
	s_and_saveexec_b64 s[0:1], s[2:3]
	s_cbranch_execz .LBB270_83
; %bb.82:
	v_mov_b32_e32 v31, 0
	v_lshl_add_u64 v[18:19], v[22:23], 0, v[30:31]
	global_load_ushort v18, v[18:19], off offset:32
	s_waitcnt vmcnt(0)
	v_lshlrev_b32_e32 v18, 16, v18
	v_sub_f32_e32 v18, v18, v20
	v_mul_f32_e32 v18, v44, v18
	v_lshrrev_b32_e32 v28, 16, v18
.LBB270_83:
	s_or_b64 exec, exec, s[0:1]
	v_or_b32_e32 v19, 0xb000, v42
	v_or_b32_e32 v18, 0xb000, v43
	s_and_saveexec_b64 s[0:1], s[4:5]
	s_cbranch_execz .LBB270_85
; %bb.84:
	v_mov_b32_e32 v27, 0
	v_lshl_add_u64 v[22:23], v[22:23], 0, v[26:27]
	global_load_ushort v20, v[22:23], off offset:32
	s_waitcnt vmcnt(0)
	v_lshlrev_b32_e32 v20, 16, v20
	v_sub_f32_e32 v20, v20, v21
	v_mul_f32_e32 v20, v38, v20
	v_lshrrev_b32_e32 v24, 16, v20
.LBB270_85:
	s_or_b64 exec, exec, s[0:1]
	s_mov_b32 s0, 0x5040100
	v_or_b32_e32 v22, v35, v37
	v_perm_b32 v21, v24, v28, s0
	v_perm_b32 v20, v29, v25, s0
	v_lshlrev_b32_e32 v22, 1, v22
	s_movk_i32 s2, 0x100
	ds_write_b64 v22, v[20:21] offset:45056
	v_and_b32_e32 v20, 7, v0
	v_and_b32_e32 v21, 8, v0
	v_cmp_gt_u32_e32 vcc, s2, v0
	v_lshrrev_b32_e32 v0, 1, v0
	v_lshlrev_b32_e32 v26, 3, v20
	v_lshlrev_b32_e32 v35, 7, v20
	v_mov_b32_e32 v20, 0x4000
	v_mov_b32_e32 v22, 0x2000
	v_lshlrev_b32_e32 v24, 3, v53
	v_and_b32_e32 v0, 24, v0
	v_cndmask_b32_e32 v27, v20, v22, vcc
	v_xor_b32_e32 v20, v24, v0
	v_or_b32_e32 v22, 0x440, v20
	v_cmp_eq_u32_e32 vcc, 0, v21
	v_or_b32_e32 v28, 32, v0
	v_xor_b32_e32 v28, v24, v28
	v_cndmask_b32_e32 v20, v22, v20, vcc
	v_or_b32_e32 v20, v20, v41
	v_xor_b32_e32 v37, v20, v26
	v_or_b32_e32 v29, 0x440, v28
	v_add3_u32 v25, v27, v37, v35
	v_cndmask_b32_e32 v28, v29, v28, vcc
	v_or_b32_e32 v29, 64, v0
	v_or_b32_e32 v0, 0x60, v0
	s_waitcnt lgkmcnt(0)
	s_barrier
	v_xor_b32_e32 v29, v24, v29
	v_xor_b32_e32 v0, v24, v0
	ds_read_b64 v[24:25], v25
	v_xor_b32_e32 v30, 0x440, v29
	ds_read2_b64 v[20:23], v19 offset1:16
	v_cndmask_b32_e32 v29, v30, v29, vcc
	v_xor_b32_e32 v30, 0x440, v0
	v_or_b32_e32 v28, v28, v41
	v_or_b32_e32 v29, v29, v41
	v_cndmask_b32_e32 v0, v30, v0, vcc
	v_xor_b32_e32 v50, v28, v26
	v_xor_b32_e32 v51, v29, v26
	v_or_b32_e32 v0, v0, v41
	s_add_i32 s0, s12, s46
	v_add3_u32 v28, v27, v50, v35
	v_add3_u32 v29, v27, v51, v35
	v_xor_b32_e32 v52, v0, v26
	s_mul_hi_i32 s1, s0, s13
	s_mul_i32 s0, s0, s13
	v_add3_u32 v0, v27, v52, v35
	ds_read_b64 v[26:27], v28
	ds_read_b64 v[42:43], v29
	;; [unrolled: 1-line block ×3, first 2 shown]
	ds_read2st64_b64 v[28:31], v19 offset0:2 offset1:4
	ds_read2st64_b64 v[38:41], v18 offset0:2 offset1:4
	s_add_u32 s0, s0, s33
	s_waitcnt lgkmcnt(5)
	v_mfma_f32_16x16x16_bf16 a[0:3], v[24:25], v[20:21], 0
	s_addc_u32 s1, s1, s14
	s_lshl_b64 s[0:1], s[0:1], 9
	s_add_u32 s0, s30, s0
	v_mfma_f32_16x16x16_bf16 a[4:7], v[24:25], v[22:23], 0
	s_addc_u32 s1, s31, s1
	v_lshlrev_b32_e32 v0, 2, v32
	s_waitcnt lgkmcnt(1)
	v_mfma_f32_16x16x16_bf16 a[0:3], v[26:27], v[28:29], a[0:3]
	s_waitcnt lgkmcnt(0)
	v_mfma_f32_16x16x16_bf16 a[4:7], v[26:27], v[38:39], a[4:7]
	global_load_dwordx4 v[24:27], v0, s[0:1]
	ds_read_b64 v[32:33], v19 offset:3072
	ds_read_b64 v[48:49], v18 offset:3072
	v_lshlrev_b32_e32 v0, 6, v53
	v_lshlrev_b32_e32 v18, 2, v36
	v_or3_b32 v0, v0, v18, s2
	v_mfma_f32_16x16x16_bf16 a[0:3], v[42:43], v[30:31], a[0:3]
	v_add_u32_e32 v36, v37, v35
	s_waitcnt vmcnt(0)
	v_exp_f32_e32 v18, v24
	v_mfma_f32_16x16x16_bf16 a[4:7], v[42:43], v[40:41], a[4:7]
	global_load_dwordx4 v[42:45], v0, s[0:1]
	v_exp_f32_e32 v19, v25
	ds_read_b64 v[24:25], v36 offset:16384
	s_waitcnt lgkmcnt(2)
	v_mfma_f32_16x16x16_bf16 a[0:3], v[46:47], v[32:33], a[0:3]
	v_exp_f32_e32 v0, s16
	v_add_u32_e32 v36, v50, v35
	v_add_u32_e32 v50, v51, v35
	s_waitcnt lgkmcnt(1)
	v_mfma_f32_16x16x16_bf16 a[4:7], v[46:47], v[48:49], a[4:7]
	v_pk_mul_f32 v[54:55], v[0:1], v[18:19] op_sel_hi:[0,1]
	v_add_u32_e32 v35, v52, v35
	ds_read_b64 v[46:47], v36 offset:16384
	ds_read_b64 v[50:51], v50 offset:16384
	;; [unrolled: 1-line block ×3, first 2 shown]
	v_accvgpr_read_b32 v19, a1
	v_accvgpr_read_b32 v37, a3
	;; [unrolled: 1-line block ×4, first 2 shown]
	s_waitcnt lgkmcnt(3)
	v_mfma_f32_16x16x16_bf16 a[0:3], v[24:25], v[22:23], 0
	v_exp_f32_e32 v26, v26
	v_exp_f32_e32 v27, v27
	v_pk_fma_f32 v[18:19], v[2:3], v[54:55], v[18:19]
	v_mfma_f32_16x16x16_bf16 a[8:11], v[24:25], v[20:21], 0
	v_mov_b32_e32 v35, v34
	v_pk_mul_f32 v[2:3], v[0:1], v[26:27] op_sel_hi:[0,1]
	v_pk_fma_f32 v[20:21], v[4:5], v[2:3], v[36:37]
	s_waitcnt lgkmcnt(2)
	v_mfma_f32_16x16x16_bf16 a[0:3], v[46:47], v[38:39], a[0:3]
	v_accvgpr_read_b32 v4, a4
	v_fma_f32 v26, v10, v54, v4
	v_accvgpr_read_b32 v4, a5
	v_mfma_f32_16x16x16_bf16 a[8:11], v[46:47], v[28:29], a[8:11]
	v_fma_f32 v27, v11, v55, v4
	v_accvgpr_read_b32 v4, a6
	v_accvgpr_read_b32 v29, a7
	s_waitcnt lgkmcnt(1)
	v_mfma_f32_16x16x16_bf16 a[0:3], v[50:51], v[40:41], a[0:3]
	v_fma_f32 v28, v12, v2, v4
	v_fmac_f32_e32 v29, v13, v3
	s_waitcnt vmcnt(0)
	v_mov_b32_e32 v2, v43
	v_mfma_f32_16x16x16_bf16 a[8:11], v[50:51], v[30:31], a[8:11]
	v_mov_b32_e32 v3, v44
	v_mov_b32_e32 v4, v45
	v_exp_f32_e32 v10, v42
	v_exp_f32_e32 v11, v2
	;; [unrolled: 1-line block ×4, first 2 shown]
	s_waitcnt lgkmcnt(0)
	v_mfma_f32_16x16x16_bf16 a[0:3], v[52:53], v[48:49], a[0:3]
	v_pk_mul_f32 v[10:11], v[0:1], v[10:11] op_sel_hi:[0,1]
	v_pk_mul_f32 v[2:3], v[0:1], v[2:3] op_sel_hi:[0,1]
	v_mfma_f32_16x16x16_bf16 a[4:7], v[52:53], v[32:33], a[8:11]
	s_nop 3
	v_accvgpr_read_b32 v0, a0
	v_fma_f32 v30, v14, v10, v0
	v_accvgpr_read_b32 v0, a1
	v_fma_f32 v31, v15, v11, v0
	v_accvgpr_read_b32 v13, a5
	v_accvgpr_read_b32 v5, a7
	;; [unrolled: 1-line block ×6, first 2 shown]
	v_pk_fma_f32 v[22:23], v[6:7], v[10:11], v[12:13]
	v_pk_fma_f32 v[24:25], v[8:9], v[2:3], v[4:5]
	v_fma_f32 v32, v16, v2, v0
	v_fmac_f32_e32 v33, v17, v3
	v_mov_b64_e32 v[2:3], v[18:19]
	v_mov_b64_e32 v[4:5], v[20:21]
	;; [unrolled: 1-line block ×8, first 2 shown]
.LBB270_86:
	s_lshl_b64 s[0:1], s[24:25], 15
	s_waitcnt lgkmcnt(0)
	s_add_u32 s0, s28, s0
	v_lshlrev_b32_e32 v18, 7, v35
	s_addc_u32 s1, s29, s1
	v_ashrrev_i32_e32 v19, 31, v18
	v_lshl_add_u64 v[20:21], v[18:19], 1, s[0:1]
	v_lshlrev_b32_e32 v0, 1, v1
	v_mov_b32_e32 v1, 0
	s_mov_b32 s2, 0x7060302
	v_lshl_add_u64 v[20:21], v[20:21], 0, v[0:1]
	v_perm_b32 v5, v5, v4, s2
	v_perm_b32 v4, v3, v2, s2
	;; [unrolled: 1-line block ×4, first 2 shown]
	global_store_dwordx2 v[20:21], v[2:3], off offset:128
	v_or_b32_e32 v2, 0x800, v18
	v_ashrrev_i32_e32 v3, 31, v2
	v_lshl_add_u64 v[2:3], v[2:3], 1, s[0:1]
	v_lshl_add_u64 v[0:1], v[2:3], 0, v[0:1]
	v_perm_b32 v3, v13, v12, s2
	v_perm_b32 v2, v11, v10, s2
	global_store_dwordx2 v[0:1], v[2:3], off
	v_perm_b32 v3, v17, v16, s2
	v_perm_b32 v2, v15, v14, s2
	global_store_dwordx2 v[20:21], v[4:5], off
	global_store_dwordx2 v[0:1], v[2:3], off offset:128
	s_endpgm
	.section	.rodata,"a",@progbits
	.p2align	6, 0x0
	.amdhsa_kernel _ZN12_GLOBAL__N_139chunk_gated_delta_rule_fwd_h_hip_kernelILi32ELb0ELb1ELb0ELb0ELb1ELb1ELb1ELb1EEEvPK12hip_bfloat16S3_S3_PKfS5_PKvPS1_S8_PvPKiSB_iiiiilll
		.amdhsa_group_segment_fixed_size 49152
		.amdhsa_private_segment_fixed_size 0
		.amdhsa_kernarg_size 136
		.amdhsa_user_sgpr_count 2
		.amdhsa_user_sgpr_dispatch_ptr 0
		.amdhsa_user_sgpr_queue_ptr 0
		.amdhsa_user_sgpr_kernarg_segment_ptr 1
		.amdhsa_user_sgpr_dispatch_id 0
		.amdhsa_user_sgpr_kernarg_preload_length 0
		.amdhsa_user_sgpr_kernarg_preload_offset 0
		.amdhsa_user_sgpr_private_segment_size 0
		.amdhsa_uses_dynamic_stack 0
		.amdhsa_enable_private_segment 0
		.amdhsa_system_sgpr_workgroup_id_x 1
		.amdhsa_system_sgpr_workgroup_id_y 1
		.amdhsa_system_sgpr_workgroup_id_z 0
		.amdhsa_system_sgpr_workgroup_info 0
		.amdhsa_system_vgpr_workitem_id 0
		.amdhsa_next_free_vgpr 160
		.amdhsa_next_free_sgpr 67
		.amdhsa_accum_offset 140
		.amdhsa_reserve_vcc 1
		.amdhsa_float_round_mode_32 0
		.amdhsa_float_round_mode_16_64 0
		.amdhsa_float_denorm_mode_32 3
		.amdhsa_float_denorm_mode_16_64 3
		.amdhsa_dx10_clamp 1
		.amdhsa_ieee_mode 1
		.amdhsa_fp16_overflow 0
		.amdhsa_tg_split 0
		.amdhsa_exception_fp_ieee_invalid_op 0
		.amdhsa_exception_fp_denorm_src 0
		.amdhsa_exception_fp_ieee_div_zero 0
		.amdhsa_exception_fp_ieee_overflow 0
		.amdhsa_exception_fp_ieee_underflow 0
		.amdhsa_exception_fp_ieee_inexact 0
		.amdhsa_exception_int_div_zero 0
	.end_amdhsa_kernel
	.section	.text._ZN12_GLOBAL__N_139chunk_gated_delta_rule_fwd_h_hip_kernelILi32ELb0ELb1ELb0ELb0ELb1ELb1ELb1ELb1EEEvPK12hip_bfloat16S3_S3_PKfS5_PKvPS1_S8_PvPKiSB_iiiiilll,"axG",@progbits,_ZN12_GLOBAL__N_139chunk_gated_delta_rule_fwd_h_hip_kernelILi32ELb0ELb1ELb0ELb0ELb1ELb1ELb1ELb1EEEvPK12hip_bfloat16S3_S3_PKfS5_PKvPS1_S8_PvPKiSB_iiiiilll,comdat
.Lfunc_end270:
	.size	_ZN12_GLOBAL__N_139chunk_gated_delta_rule_fwd_h_hip_kernelILi32ELb0ELb1ELb0ELb0ELb1ELb1ELb1ELb1EEEvPK12hip_bfloat16S3_S3_PKfS5_PKvPS1_S8_PvPKiSB_iiiiilll, .Lfunc_end270-_ZN12_GLOBAL__N_139chunk_gated_delta_rule_fwd_h_hip_kernelILi32ELb0ELb1ELb0ELb0ELb1ELb1ELb1ELb1EEEvPK12hip_bfloat16S3_S3_PKfS5_PKvPS1_S8_PvPKiSB_iiiiilll
                                        ; -- End function
	.section	.AMDGPU.csdata,"",@progbits
; Kernel info:
; codeLenInByte = 9760
; NumSgprs: 73
; NumVgprs: 140
; NumAgprs: 20
; TotalNumVgprs: 160
; ScratchSize: 0
; MemoryBound: 0
; FloatMode: 240
; IeeeMode: 1
; LDSByteSize: 49152 bytes/workgroup (compile time only)
; SGPRBlocks: 9
; VGPRBlocks: 19
; NumSGPRsForWavesPerEU: 73
; NumVGPRsForWavesPerEU: 160
; AccumOffset: 140
; Occupancy: 1
; WaveLimiterHint : 1
; COMPUTE_PGM_RSRC2:SCRATCH_EN: 0
; COMPUTE_PGM_RSRC2:USER_SGPR: 2
; COMPUTE_PGM_RSRC2:TRAP_HANDLER: 0
; COMPUTE_PGM_RSRC2:TGID_X_EN: 1
; COMPUTE_PGM_RSRC2:TGID_Y_EN: 1
; COMPUTE_PGM_RSRC2:TGID_Z_EN: 0
; COMPUTE_PGM_RSRC2:TIDIG_COMP_CNT: 0
; COMPUTE_PGM_RSRC3_GFX90A:ACCUM_OFFSET: 34
; COMPUTE_PGM_RSRC3_GFX90A:TG_SPLIT: 0
	.section	.text._ZN12_GLOBAL__N_139chunk_gated_delta_rule_fwd_h_hip_kernelILi32ELb0ELb0ELb1ELb0ELb1ELb1ELb1ELb1EEEvPK12hip_bfloat16S3_S3_PKfS5_PKvPS1_S8_PvPKiSB_iiiiilll,"axG",@progbits,_ZN12_GLOBAL__N_139chunk_gated_delta_rule_fwd_h_hip_kernelILi32ELb0ELb0ELb1ELb0ELb1ELb1ELb1ELb1EEEvPK12hip_bfloat16S3_S3_PKfS5_PKvPS1_S8_PvPKiSB_iiiiilll,comdat
	.globl	_ZN12_GLOBAL__N_139chunk_gated_delta_rule_fwd_h_hip_kernelILi32ELb0ELb0ELb1ELb0ELb1ELb1ELb1ELb1EEEvPK12hip_bfloat16S3_S3_PKfS5_PKvPS1_S8_PvPKiSB_iiiiilll ; -- Begin function _ZN12_GLOBAL__N_139chunk_gated_delta_rule_fwd_h_hip_kernelILi32ELb0ELb0ELb1ELb0ELb1ELb1ELb1ELb1EEEvPK12hip_bfloat16S3_S3_PKfS5_PKvPS1_S8_PvPKiSB_iiiiilll
	.p2align	8
	.type	_ZN12_GLOBAL__N_139chunk_gated_delta_rule_fwd_h_hip_kernelILi32ELb0ELb0ELb1ELb0ELb1ELb1ELb1ELb1EEEvPK12hip_bfloat16S3_S3_PKfS5_PKvPS1_S8_PvPKiSB_iiiiilll,@function
_ZN12_GLOBAL__N_139chunk_gated_delta_rule_fwd_h_hip_kernelILi32ELb0ELb0ELb1ELb0ELb1ELb1ELb1ELb1EEEvPK12hip_bfloat16S3_S3_PKfS5_PKvPS1_S8_PvPKiSB_iiiiilll: ; @_ZN12_GLOBAL__N_139chunk_gated_delta_rule_fwd_h_hip_kernelILi32ELb0ELb0ELb1ELb0ELb1ELb1ELb1ELb1EEEvPK12hip_bfloat16S3_S3_PKfS5_PKvPS1_S8_PvPKiSB_iiiiilll
; %bb.0:
	s_load_dwordx4 s[16:19], s[0:1], 0x5c
	s_load_dwordx4 s[12:15], s[0:1], 0x30
	s_abs_i32 s22, s3
	s_ashr_i32 s21, s3, 31
	s_load_dwordx8 s[4:11], s[0:1], 0x0
	s_waitcnt lgkmcnt(0)
	s_abs_i32 s20, s17
	v_cvt_f32_u32_e32 v1, s20
	s_sub_i32 s24, 0, s20
	s_ashr_i32 s23, s17, 31
	s_xor_b32 s21, s21, s23
	v_rcp_iflag_f32_e32 v1, v1
	v_lshrrev_b32_e32 v63, 6, v0
	v_bfe_u32 v64, v0, 4, 2
	v_lshlrev_b32_e32 v2, 2, v64
	v_mul_f32_e32 v1, 0x4f7ffffe, v1
	v_cvt_u32_f32_e32 v1, v1
	v_and_b32_e32 v62, 63, v0
	v_mov_b32_e32 v5, 0
	v_and_b32_e32 v45, 15, v0
	v_readfirstlane_b32 s25, v1
	s_mul_i32 s24, s24, s25
	s_mul_hi_u32 s24, s25, s24
	s_add_i32 s25, s25, s24
	s_mul_hi_u32 s24, s22, s25
	s_mul_i32 s25, s24, s20
	s_sub_i32 s22, s22, s25
	s_add_i32 s26, s24, 1
	s_sub_i32 s25, s22, s20
	s_cmp_ge_u32 s22, s20
	s_cselect_b32 s24, s26, s24
	s_cselect_b32 s22, s25, s22
	s_add_i32 s25, s24, 1
	s_cmp_ge_u32 s22, s20
	s_cselect_b32 s22, s25, s24
	s_abs_i32 s24, s18
	v_cvt_f32_u32_e32 v1, s24
	s_xor_b32 s22, s22, s21
	s_ashr_i32 s48, s16, 31
	s_sub_i32 s50, s22, s21
	v_rcp_iflag_f32_e32 v1, v1
	s_lshr_b32 s21, s48, 26
	s_add_i32 s21, s16, s21
	s_ashr_i32 s51, s18, 31
	v_mul_f32_e32 v1, 0x4f7ffffe, v1
	v_cvt_u32_f32_e32 v1, v1
	s_ashr_i32 s49, s21, 6
	s_xor_b32 s21, s23, s51
	s_sub_i32 s22, 0, s24
	v_readfirstlane_b32 s23, v1
	s_mul_i32 s22, s22, s23
	s_mul_hi_u32 s22, s23, s22
	s_add_i32 s23, s23, s22
	s_mul_hi_u32 s22, s20, s23
	s_mul_i32 s23, s22, s24
	s_mul_i32 s47, s50, s17
	s_sub_i32 s20, s20, s23
	s_sub_i32 s33, s3, s47
	s_add_i32 s3, s16, 63
	s_add_i32 s23, s22, 1
	s_sub_i32 s25, s20, s24
	s_cmp_ge_u32 s20, s24
	s_cselect_b32 s22, s23, s22
	s_cselect_b32 s20, s25, s20
	s_add_i32 s23, s22, 1
	s_cmp_ge_u32 s20, s24
	s_cselect_b32 s20, s23, s22
	s_xor_b32 s20, s20, s21
	s_sub_i32 s24, s20, s21
	s_abs_i32 s25, s24
	v_cvt_f32_u32_e32 v1, s25
	s_sub_i32 s27, 0, s25
	s_abs_i32 s26, s33
	s_xor_b32 s24, s33, s24
	v_rcp_iflag_f32_e32 v1, v1
	s_ashr_i32 s24, s24, 31
	s_load_dwordx2 s[34:35], s[0:1], 0x80
	s_load_dwordx4 s[20:23], s[0:1], 0x70
	s_mul_hi_i32 s53, s50, s17
	v_mul_f32_e32 v1, 0x4f7ffffe, v1
	v_cvt_u32_f32_e32 v1, v1
	v_lshrrev_b32_e32 v66, 3, v62
	v_lshlrev_b32_e32 v65, 3, v0
	s_waitcnt lgkmcnt(0)
	s_mul_i32 s21, s50, s21
	v_readfirstlane_b32 s28, v1
	s_mul_i32 s27, s27, s28
	s_mul_hi_u32 s27, s28, s27
	s_add_i32 s28, s28, s27
	s_mul_hi_u32 s27, s26, s28
	s_mul_i32 s28, s27, s25
	s_sub_i32 s26, s26, s28
	s_add_i32 s28, s27, 1
	s_sub_i32 s29, s26, s25
	s_cmp_ge_u32 s26, s25
	s_cselect_b32 s27, s28, s27
	s_cselect_b32 s26, s29, s26
	s_add_i32 s28, s27, 1
	s_cmp_ge_u32 s26, s25
	s_cselect_b32 s25, s28, s27
	s_xor_b32 s25, s25, s24
	s_sub_i32 s54, s25, s24
	s_ashr_i32 s24, s3, 31
	s_lshr_b32 s24, s24, 26
	v_lshlrev_b32_e32 v1, 4, v63
	s_add_i32 s3, s3, s24
	v_or_b32_e32 v67, v2, v1
	s_ashr_i32 s3, s3, 6
	s_lshl_b32 s36, s2, 5
	s_mul_i32 s52, s50, s3
	v_or_b32_e32 v68, 64, v67
	s_cmp_lt_i32 s16, 64
	s_mul_hi_u32 s46, s50, s20
	s_mul_i32 s38, s50, s20
	v_mov_b32_e32 v85, 0
	v_mov_b32_e32 v83, 0
	v_mov_b32_e32 v84, 0
	v_mov_b32_e32 v9, 0
	v_mov_b32_e32 v88, 0
	v_mov_b32_e32 v86, 0
	v_mov_b32_e32 v87, 0
	v_mov_b32_e32 v49, 0
	v_mov_b32_e32 v48, v5
	v_mov_b32_e32 v47, 0
	v_mov_b32_e32 v46, v5
	v_mov_b32_e32 v53, 0
	v_mov_b32_e32 v52, v5
	v_mov_b32_e32 v51, v5
	v_mov_b32_e32 v50, v5
	s_cbranch_scc1 .LBB271_18
; %bb.1:
	s_ashr_i32 s28, s50, 31
	s_ashr_i32 s56, s33, 31
	s_add_u32 s2, s47, s33
	s_addc_u32 s3, s53, s56
	s_mul_i32 s3, s16, s3
	s_mul_hi_u32 s24, s16, s2
	s_add_i32 s41, s24, s3
	s_mul_i32 s40, s16, s2
	s_lshl_b64 s[2:3], s[40:41], 8
	v_and_b32_e32 v70, 56, v65
	s_add_u32 s24, s6, s2
	v_lshl_or_b32 v69, v63, 3, v66
	v_lshlrev_b32_e32 v3, 1, v70
	s_addc_u32 s2, s7, s3
	v_lshl_or_b32 v71, v69, 8, v3
	s_and_b32 s25, s2, 0xffff
	s_mov_b32 s27, 0x20000
	s_movk_i32 s26, 0x4000
	s_movk_i32 s2, 0x80
	v_or_b32_e32 v72, 0x2000, v71
	buffer_load_dwordx4 v[4:7], v71, s[24:27], 0 offen
	buffer_load_dwordx4 v[8:11], v71, s[24:27], s2 offen
	;; [unrolled: 1-line block ×4, first 2 shown]
	v_lshlrev_b32_e32 v20, 3, v69
	v_and_or_b32 v22, v0, 7, v20
	v_and_b32_e32 v20, 0x78, v20
	v_lshlrev_b32_e32 v22, 4, v22
	v_xor_b32_e32 v73, v22, v20
	v_mul_lo_u32 v21, v69, s19
	v_or_b32_e32 v74, 0x1000, v73
	s_cmpk_eq_i32 s19, 0x80
	s_mov_b32 s55, s18
	v_xor_b32_e32 v20, 8, v73
	v_xor_b32_e32 v22, 8, v74
	s_cselect_b64 s[2:3], -1, 0
	s_cmpk_lg_i32 s19, 0x80
	s_waitcnt vmcnt(3)
	ds_write_b64 v73, v[4:5] offset:24576
	ds_write_b64 v20, v[6:7] offset:24576
	s_waitcnt vmcnt(2)
	ds_write_b64 v73, v[8:9] offset:32768
	ds_write_b64 v20, v[10:11] offset:32768
	;; [unrolled: 3-line block ×4, first 2 shown]
	v_lshl_add_u32 v4, v21, 1, v70
	s_cbranch_scc0 .LBB271_3
; %bb.2:
	v_lshlrev_b32_e32 v6, 1, v4
	v_add_lshl_u32 v5, v4, s19, 1
	s_lshl_b32 s26, s19, 7
	s_load_dwordx2 s[42:43], s[0:1], 0x20
	v_lshl_or_b32 v3, v69, 9, v3
	s_cbranch_execz .LBB271_4
	s_branch .LBB271_5
.LBB271_3:
                                        ; implicit-def: $vgpr5
                                        ; implicit-def: $vgpr6
                                        ; implicit-def: $sgpr26
	s_load_dwordx2 s[42:43], s[0:1], 0x20
	v_lshl_or_b32 v3, v69, 9, v3
.LBB271_4:
	v_or_b32_e32 v5, 0x100, v3
	s_movk_i32 s26, 0x4000
	v_mov_b32_e32 v6, v3
.LBB271_5:
	s_mul_hi_u32 s0, s18, s16
	s_mul_i32 s1, s51, s16
	s_add_i32 s0, s0, s1
	s_mul_i32 s1, s18, s16
	s_mul_i32 s24, s1, s28
	s_mul_hi_u32 s25, s1, s50
	s_add_i32 s24, s25, s24
	s_mul_i32 s0, s0, s50
	s_add_i32 s24, s24, s0
	s_mul_i32 s1, s1, s50
	s_ashr_i32 s57, s54, 31
	s_add_u32 s0, s1, s54
	s_addc_u32 s1, s24, s57
	s_lshl_b64 s[0:1], s[0:1], 8
	s_add_u32 s24, s4, s0
	s_addc_u32 s0, s5, s1
	s_and_b32 s25, s0, 0xffff
	s_movk_i32 s58, 0x80
	buffer_load_dwordx4 v[8:11], v6, s[24:27], 0 offen
	buffer_load_dwordx4 v[12:15], v6, s[24:27], s58 offen
	;; [unrolled: 1-line block ×4, first 2 shown]
	v_and_b32_e32 v5, 6, v0
	v_lshlrev_b32_e32 v24, 6, v67
	v_or_b32_e32 v26, 16, v45
	v_xor_b32_e32 v27, v69, v5
	v_and_b32_e32 v6, 1, v0
	s_mul_i32 s0, s28, s16
	s_mul_hi_u32 s1, s50, s16
	v_lshl_or_b32 v30, v45, 3, v24
	v_lshl_or_b32 v24, v26, 3, v24
	v_lshlrev_b32_e32 v27, 2, v27
	v_lshlrev_b32_e32 v7, 2, v45
	v_or_b32_e32 v77, 0xa000, v24
	v_or_b32_e32 v78, 0xb000, v24
	v_xor_b32_e32 v24, 0x440, v27
	v_cmp_eq_u32_e32 vcc, 0, v6
	s_add_i32 s63, s1, s0
	s_add_i32 s0, s46, s21
	s_mul_i32 s28, s28, s20
	v_xor_b32_e32 v28, v67, v7
	v_xor_b32_e32 v29, v68, v7
	v_cndmask_b32_e32 v6, v24, v27, vcc
	s_add_i32 s39, s0, s28
	s_mul_i32 s0, s33, s23
	s_mul_hi_u32 s1, s33, s22
	s_mov_b32 s61, 0x1000504
	v_lshlrev_b32_e32 v25, 8, v45
	v_lshlrev_b32_e32 v28, 1, v28
	;; [unrolled: 1-line block ×3, first 2 shown]
	v_lshl_or_b32 v5, v5, 10, v6
	s_add_i32 s0, s1, s0
	s_mul_i32 s1, s56, s22
	s_mov_b32 s62, 0x3020706
	v_or_b32_e32 v75, 0xa000, v30
	v_or_b32_e32 v76, 0xb000, v30
	;; [unrolled: 1-line block ×4, first 2 shown]
	v_xor_b32_e32 v6, 8, v5
	v_xor_b32_e32 v25, 24, v5
	;; [unrolled: 1-line block ×4, first 2 shown]
	s_add_i32 s1, s0, s1
	s_lshl_b64 s[24:25], s[38:39], 2
	v_xor_b32_e32 v24, 16, v5
	v_xor_b32_e32 v27, 32, v5
	;; [unrolled: 1-line block ×3, first 2 shown]
	v_add_u32_e32 v6, 0x80, v6
	v_add_u32_e32 v25, 0x80, v25
	;; [unrolled: 1-line block ×4, first 2 shown]
	s_mul_i32 s0, s33, s22
	s_add_u32 s24, s10, s24
	s_addc_u32 s25, s11, s25
	s_lshl_b64 s[0:1], s[0:1], 2
	s_add_u32 s44, s24, s0
	s_movk_i32 s0, 0xf8
	s_addc_u32 s45, s25, s1
	s_ashr_i32 s37, s36, 31
	s_lshl_b32 s30, s19, 7
	s_movk_i32 s24, 0x100
	v_mov_b32_e32 v55, 0
	v_lshlrev_b32_e32 v54, 4, v45
	v_cmp_gt_u32_e32 vcc, s24, v0
	s_mul_i32 s59, s50, s16
	s_mov_b32 s60, 0
	s_movk_i32 s39, 0x1000
	s_movk_i32 s26, 0x4000
	v_add_u32_e32 v102, v1, v2
	s_mov_b32 s64, 0x7060302
	s_mov_b32 s66, 0
	v_mov_b32_e32 v50, v55
	v_mov_b32_e32 v51, v55
	;; [unrolled: 1-line block ×9, first 2 shown]
	s_waitcnt vmcnt(1)
	v_perm_b32 v33, v8, v16, s61
	s_waitcnt vmcnt(0)
	v_perm_b32 v34, v12, v20, s61
	v_perm_b32 v8, v8, v16, s62
	;; [unrolled: 1-line block ×15, first 2 shown]
	ds_write2st64_b32 v5, v33, v34 offset0:32 offset1:64
	ds_write2st64_b32 v6, v8, v12 offset0:32 offset1:64
	;; [unrolled: 1-line block ×8, first 2 shown]
	v_lshlrev_b32_e32 v5, 8, v26
	v_or_b32_e32 v81, v5, v28
	v_or_b32_e32 v82, v5, v29
	;; [unrolled: 1-line block ×3, first 2 shown]
	v_lshlrev_b32_e32 v5, 3, v5
	v_lshrrev_b32_e32 v8, 5, v62
	v_and_or_b32 v8, v5, s0, v8
	v_lshrrev_b32_e32 v6, 2, v62
	v_lshlrev_b32_e32 v11, 11, v63
	v_lshlrev_b32_e32 v8, 4, v8
	v_and_b32_e32 v5, 0x78, v5
	v_and_b32_e32 v9, 12, v6
	;; [unrolled: 1-line block ×3, first 2 shown]
	v_xor_b32_e32 v10, v8, v5
	v_lshrrev_b32_e32 v12, 1, v62
	v_or_b32_e32 v10, v10, v6
	v_and_b32_e32 v12, 8, v12
	v_xor_b32_e32 v89, v10, v12
	v_or_b32_e32 v10, 32, v8
	v_xor_b32_e32 v10, v10, v5
	v_or_b32_e32 v10, v10, v6
	;; [unrolled: 2-line block ×3, first 2 shown]
	v_or_b32_e32 v8, 0x60, v8
	v_xor_b32_e32 v10, v10, v5
	v_xor_b32_e32 v5, v8, v5
	s_lshl_b64 s[0:1], s[36:37], 8
	v_or_b32_e32 v10, v10, v6
	v_or_b32_e32 v5, v5, v6
	v_lshlrev_b32_e32 v14, 1, v4
	v_add_lshl_u32 v15, v4, s19, 1
	s_add_u32 s0, s12, s0
	v_lshlrev_b32_e32 v4, 1, v45
	v_xor_b32_e32 v93, v10, v12
	v_xor_b32_e32 v94, v5, v12
	v_lshrrev_b32_e32 v10, 4, v0
	s_addc_u32 s1, s13, s1
	v_or_b32_e32 v5, 1, v4
	v_mov_b32_e32 v20, 0x4000
	v_mov_b32_e32 v21, 0x2000
	v_lshrrev_b32_e32 v22, 1, v0
	v_xor_b32_e32 v12, v10, v4
	v_xor_b32_e32 v17, v5, v10
	v_lshl_add_u64 v[4:5], s[0:1], 0, v[54:55]
	v_lshlrev_b32_e32 v54, 8, v10
	v_cndmask_b32_e32 v20, v20, v21, vcc
	v_lshlrev_b32_e32 v21, 3, v63
	v_and_b32_e32 v22, 24, v22
	v_lshl_or_b32 v97, v12, 3, v54
	v_and_b32_e32 v12, 8, v0
	v_xor_b32_e32 v23, v21, v22
	v_or_b32_e32 v24, 0x440, v23
	v_cmp_eq_u32_e32 vcc, 0, v12
	v_and_b32_e32 v10, 7, v0
	v_lshlrev_b32_e32 v13, 7, v64
	v_cndmask_b32_e32 v12, v24, v23, vcc
	v_lshl_or_b32 v98, v17, 3, v54
	v_lshlrev_b32_e32 v17, 3, v10
	v_lshlrev_b32_e32 v19, 2, v0
	v_or_b32_e32 v12, v12, v11
	v_or_b32_e32 v7, v13, v7
	v_xor_b32_e32 v23, v12, v17
	v_and_or_b32 v12, v19, 60, v13
	v_mov_b32_e32 v13, 0xb000
	v_lshl_or_b32 v99, v12, 1, v13
	v_or_b32_e32 v12, 32, v22
	v_xor_b32_e32 v12, v21, v12
	v_or_b32_e32 v13, 0x440, v12
	v_cndmask_b32_e32 v12, v13, v12, vcc
	v_or_b32_e32 v12, v12, v11
	v_xor_b32_e32 v13, v12, v17
	v_or_b32_e32 v12, 64, v22
	v_xor_b32_e32 v12, v21, v12
	v_xor_b32_e32 v25, 0x440, v12
	v_cndmask_b32_e32 v12, v25, v12, vcc
	v_or_b32_e32 v12, v12, v11
	v_xor_b32_e32 v25, v12, v17
	v_or_b32_e32 v12, 0x60, v22
	v_xor_b32_e32 v12, v21, v12
	v_xor_b32_e32 v21, 0x440, v12
	v_cndmask_b32_e32 v12, v21, v12, vcc
	v_lshlrev_b32_e32 v7, 1, v7
	v_or_b32_e32 v6, s36, v45
	v_or_b32_e32 v11, v12, v11
	;; [unrolled: 1-line block ×6, first 2 shown]
	v_ashrrev_i32_e32 v7, 31, v6
	v_xor_b32_e32 v11, v11, v17
	v_lshlrev_b32_e32 v8, 7, v67
	v_or_b32_e32 v16, 0x100, v3
	v_lshlrev_b32_e32 v18, 7, v10
	v_or_b32_e32 v10, v9, v1
	v_add_u32_e32 v24, v20, v23
	v_add_u32_e32 v19, v20, v13
	;; [unrolled: 1-line block ×4, first 2 shown]
	v_or3_b32 v12, v1, v9, 64
	v_add_u32_e32 v9, 0x4000, v23
	v_add_u32_e32 v13, 0x4000, v13
	;; [unrolled: 1-line block ×4, first 2 shown]
	v_lshlrev_b64 v[6:7], 1, v[6:7]
	v_cndmask_b32_e64 v100, v14, v3, s[2:3]
	v_cndmask_b32_e64 v101, v15, v16, s[2:3]
	v_lshl_add_u64 v[56:57], s[8:9], 0, v[6:7]
	v_lshl_add_u64 v[58:59], s[14:15], 0, v[6:7]
	;; [unrolled: 1-line block ×3, first 2 shown]
	s_add_i32 s37, s59, 63
	v_lshlrev_b32_e32 v54, 1, v8
	v_lshlrev_b32_e32 v103, 2, v10
	v_add_u32_e32 v104, v24, v18
	v_add_u32_e32 v105, v19, v18
	;; [unrolled: 1-line block ×4, first 2 shown]
	v_lshlrev_b32_e32 v108, 2, v12
	v_add_u32_e32 v109, v9, v18
	v_add_u32_e32 v110, v13, v18
	;; [unrolled: 1-line block ×4, first 2 shown]
	v_mov_b32_e32 v86, v55
	v_mov_b32_e32 v88, v55
	;; [unrolled: 1-line block ×7, first 2 shown]
	s_waitcnt lgkmcnt(0)
	s_barrier
.LBB271_6:                              ; =>This Inner Loop Header: Depth=1
	s_add_i32 s65, s66, 1
	s_cmp_lt_i32 s65, s49
	s_mov_b64 s[28:29], 0
	s_cselect_b64 s[2:3], -1, 0
	s_cmp_ge_i32 s65, s49
	s_mov_b64 s[24:25], 0
	s_cbranch_scc1 .LBB271_8
; %bb.7:                                ;   in Loop: Header=BB271_6 Depth=1
	s_add_i32 s0, s60, 64
	s_add_u32 s0, s40, s0
	s_addc_u32 s1, s41, 0
	s_lshl_b64 s[0:1], s[0:1], 8
	s_add_u32 s24, s6, s0
	s_addc_u32 s25, s7, s1
.LBB271_8:                              ;   in Loop: Header=BB271_6 Depth=1
	v_cndmask_b32_e64 v2, 0, 1, s[2:3]
	v_cmp_ne_u32_e64 s[0:1], 1, v2
	s_andn2_b64 vcc, exec, s[2:3]
	s_cbranch_vccnz .LBB271_10
; %bb.9:                                ;   in Loop: Header=BB271_6 Depth=1
	s_add_i32 s2, s60, 64
	s_add_u32 s2, s59, s2
	s_addc_u32 s3, s63, 0
	s_mul_i32 s28, s2, s51
	s_mul_hi_u32 s29, s2, s55
	s_add_i32 s28, s29, s28
	s_mul_i32 s3, s3, s55
	s_add_i32 s28, s28, s3
	s_mul_i32 s2, s2, s55
	s_add_u32 s2, s2, s54
	s_addc_u32 s3, s28, s57
	s_lshl_b64 s[2:3], s[2:3], 8
	s_add_u32 s28, s4, s2
	s_addc_u32 s29, s5, s3
.LBB271_10:                             ;   in Loop: Header=BB271_6 Depth=1
	v_perm_b32 v3, v53, v52, s64
	v_perm_b32 v2, v51, v50, s64
	;; [unrolled: 1-line block ×4, first 2 shown]
	ds_write_b64 v75, v[2:3]
	ds_write_b64 v76, v[4:5]
	;; [unrolled: 1-line block ×4, first 2 shown]
	v_perm_b32 v3, v114, v88, s64
	v_perm_b32 v2, v86, v87, s64
	;; [unrolled: 1-line block ×4, first 2 shown]
	ds_write_b64 v77, v[2:3]
	ds_write_b64 v78, v[4:5]
	;; [unrolled: 1-line block ×4, first 2 shown]
	s_waitcnt lgkmcnt(0)
	s_barrier
	ds_read_b64 v[6:7], v89 offset:24576
	ds_read2_b64 v[2:5], v90 offset1:16
	ds_read_b64 v[10:11], v92 offset:3072
	ds_read_b64 v[12:13], v90 offset:3072
	;; [unrolled: 1-line block ×3, first 2 shown]
	s_waitcnt lgkmcnt(3)
	v_mfma_f32_16x16x16_bf16 a[0:3], v[6:7], v[2:3], 0
	s_add_i32 s2, s60, 63
	s_mul_i32 s3, s2, s35
	s_mul_hi_u32 s31, s2, s34
	v_mfma_f32_16x16x16_bf16 a[4:7], v[6:7], v[4:5], 0
	ds_read2st64_b64 v[2:5], v90 offset0:2 offset1:4
	ds_read2st64_b64 v[6:9], v92 offset0:2 offset1:4
	s_add_i32 s3, s31, s3
	s_waitcnt lgkmcnt(1)
	v_mfma_f32_16x16x16_bf16 a[0:3], v[14:15], v[2:3], a[0:3]
	s_mul_i32 s2, s2, s34
	s_lshl_b64 s[2:3], s[2:3], 2
	s_add_u32 s2, s44, s2
	s_waitcnt lgkmcnt(0)
	v_mfma_f32_16x16x16_bf16 a[4:7], v[14:15], v[6:7], a[4:7]
	ds_read_b64 v[2:3], v93 offset:24576
	ds_read_b64 v[6:7], v94 offset:24576
	s_addc_u32 s3, s45, s3
	s_and_b64 vcc, exec, s[0:1]
	s_waitcnt lgkmcnt(1)
	v_mfma_f32_16x16x16_bf16 a[0:3], v[2:3], v[4:5], a[0:3]
	v_mov_b32_e32 v117, 0
	v_mov_b32_e32 v116, 0
	;; [unrolled: 1-line block ×3, first 2 shown]
	v_mfma_f32_16x16x16_bf16 a[8:11], v[2:3], v[8:9], a[4:7]
	v_mov_b32_e32 v2, 0
	v_mov_b32_e32 v3, 0
	;; [unrolled: 1-line block ×3, first 2 shown]
	s_waitcnt lgkmcnt(0)
	v_mfma_f32_16x16x16_bf16 a[4:7], v[6:7], v[12:13], a[0:3]
	v_mov_b32_e32 v5, 0
	v_mov_b32_e32 v8, 0
	;; [unrolled: 1-line block ×3, first 2 shown]
	v_mfma_f32_16x16x16_bf16 a[0:3], v[6:7], v[10:11], a[8:11]
	v_mov_b32_e32 v6, 0
	v_mov_b32_e32 v7, 0
	;; [unrolled: 1-line block ×10, first 2 shown]
	s_cbranch_vccnz .LBB271_12
; %bb.11:                               ;   in Loop: Header=BB271_6 Depth=1
	s_and_b32 s25, s25, 0xffff
	buffer_load_dwordx4 v[14:17], v71, s[24:27], 0 offen
	buffer_load_dwordx4 v[10:13], v71, s[24:27], s58 offen
	;; [unrolled: 1-line block ×4, first 2 shown]
	v_mov_b32_e32 v116, v73
	v_mov_b32_e32 v115, v74
.LBB271_12:                             ;   in Loop: Header=BB271_6 Depth=1
	ds_read_b64 v[26:27], v89 offset:32768
	ds_read2_b64 v[18:21], v95 offset1:16
	ds_read_b64 v[28:29], v91 offset:32768
	ds_read_b64 v[30:31], v93 offset:32768
	;; [unrolled: 1-line block ×3, first 2 shown]
	ds_read2st64_b64 v[22:25], v95 offset0:2 offset1:4
	v_add_u32_e32 v34, s60, v102
	s_waitcnt lgkmcnt(4)
	v_mfma_f32_16x16x16_bf16 a[4:7], v[26:27], v[18:19], a[4:7]
	v_ashrrev_i32_e32 v18, 31, v34
	v_mfma_f32_16x16x16_bf16 a[0:3], v[26:27], v[20:21], a[0:3]
	v_mul_lo_u32 v20, v34, s35
	v_mul_lo_u32 v21, v18, s34
	v_mad_u64_u32 v[18:19], s[24:25], v34, s34, 0
	v_add3_u32 v19, v19, v20, v21
	v_add_u32_e32 v20, 1, v34
	v_ashrrev_i32_e32 v21, 31, v20
	s_waitcnt lgkmcnt(0)
	v_mfma_f32_16x16x16_bf16 a[4:7], v[28:29], v[22:23], a[4:7]
	v_mul_lo_u32 v22, v21, s34
	v_mul_lo_u32 v23, v20, s35
	v_mad_u64_u32 v[20:21], s[24:25], v20, s34, 0
	v_add3_u32 v21, v21, v23, v22
	v_add_u32_e32 v22, 2, v34
	v_ashrrev_i32_e32 v23, 31, v22
	v_mul_lo_u32 v26, v23, s34
	v_mul_lo_u32 v27, v22, s35
	v_mad_u64_u32 v[22:23], s[24:25], v22, s34, 0
	v_add3_u32 v23, v23, v27, v26
	v_add_u32_e32 v26, 3, v34
	v_ashrrev_i32_e32 v27, 31, v26
	v_mul_lo_u32 v34, v27, s34
	v_mul_lo_u32 v35, v26, s35
	v_mad_u64_u32 v[26:27], s[24:25], v26, s34, 0
	s_add_u32 s24, s40, s60
	s_addc_u32 s25, s41, 0
	s_lshl_b64 s[24:25], s[24:25], 8
	v_lshl_add_u64 v[18:19], v[18:19], 2, s[44:45]
	v_add3_u32 v27, v27, v35, v34
	v_lshl_add_u64 v[34:35], v[56:57], 0, s[24:25]
	v_lshl_add_u64 v[20:21], v[20:21], 2, s[44:45]
	;; [unrolled: 1-line block ×3, first 2 shown]
	global_load_dword v36, v[18:19], off
	global_load_ushort v37, v[34:35], off offset:256
	global_load_ushort v38, v[34:35], off
	global_load_ushort v39, v[34:35], off offset:768
	v_lshl_add_u64 v[18:19], v[26:27], 2, s[44:45]
	v_lshl_add_u64 v[22:23], v[22:23], 2, s[44:45]
	global_load_dword v40, v[20:21], off
	global_load_dword v41, v[22:23], off
	;; [unrolled: 1-line block ×3, first 2 shown]
	ds_read2st64_b64 v[18:21], v96 offset0:2 offset1:4
	s_waitcnt lgkmcnt(0)
	v_mfma_f32_16x16x16_bf16 a[0:3], v[28:29], v[18:19], a[0:3]
	global_load_ushort v28, v[34:35], off offset:512
	global_load_ushort v43, v[34:35], off offset:800
	;; [unrolled: 1-line block ×4, first 2 shown]
	s_nop 0
	global_load_ushort v34, v[34:35], off offset:32
	s_and_b64 vcc, exec, s[0:1]
	v_mfma_f32_16x16x16_bf16 a[4:7], v[30:31], v[24:25], a[4:7]
	s_waitcnt vmcnt(10)
	v_lshlrev_b32_e32 v27, 16, v37
	v_mfma_f32_16x16x16_bf16 a[0:3], v[30:31], v[20:21], a[0:3]
	ds_read_b64 v[18:19], v95 offset:3072
	ds_read_b64 v[20:21], v96 offset:3072
	s_load_dword s2, s[2:3], 0x0
	s_waitcnt vmcnt(9)
	v_lshlrev_b32_e32 v26, 16, v38
	s_waitcnt lgkmcnt(0)
	v_mfma_f32_16x16x16_bf16 a[4:7], v[32:33], v[18:19], a[4:7]
	v_lshl_add_u64 v[18:19], v[58:59], 0, s[24:25]
	v_sub_f32_e32 v30, s2, v36
	s_waitcnt vmcnt(7)
	v_sub_f32_e32 v31, s2, v40
	v_mfma_f32_16x16x16_bf16 a[0:3], v[32:33], v[20:21], a[0:3]
	s_waitcnt vmcnt(6)
	v_sub_f32_e32 v32, s2, v41
	s_waitcnt vmcnt(5)
	v_sub_f32_e32 v33, s2, v42
	v_accvgpr_read_b32 v25, a5
	v_accvgpr_read_b32 v24, a4
	v_exp_f32_e32 v30, v30
	v_pk_add_f32 v[24:25], v[26:27], v[24:25] neg_lo:[0,1] neg_hi:[0,1]
	v_exp_f32_e32 v31, v31
	v_exp_f32_e32 v26, v32
	;; [unrolled: 1-line block ×3, first 2 shown]
	v_accvgpr_read_b32 v21, a7
	v_accvgpr_read_b32 v20, a6
	v_lshlrev_b32_e32 v29, 16, v39
	s_waitcnt vmcnt(4)
	v_lshlrev_b32_e32 v28, 16, v28
	v_lshl_add_u64 v[18:19], v[18:19], 0, v[54:55]
	v_pk_add_f32 v[20:21], v[28:29], v[20:21] neg_lo:[0,1] neg_hi:[0,1]
	global_store_short_d16_hi v[18:19], v24, off
	global_store_short_d16_hi v[18:19], v25, off offset:256
	global_store_short_d16_hi v[18:19], v20, off offset:512
	;; [unrolled: 1-line block ×3, first 2 shown]
	v_pk_mul_f32 v[24:25], v[30:31], v[24:25]
	v_pk_mul_f32 v[20:21], v[26:27], v[20:21]
	v_accvgpr_read_b32 v29, a1
	v_perm_b32 v24, v25, v24, s64
	v_perm_b32 v25, v21, v20, s64
	s_waitcnt vmcnt(5)
	v_lshlrev_b32_e32 v21, 16, v118
	s_waitcnt vmcnt(4)
	v_lshlrev_b32_e32 v20, 16, v34
	v_accvgpr_read_b32 v28, a0
	v_accvgpr_read_b32 v23, a3
	;; [unrolled: 1-line block ×3, first 2 shown]
	v_pk_add_f32 v[20:21], v[20:21], v[28:29] neg_lo:[0,1] neg_hi:[0,1]
	v_lshlrev_b32_e32 v29, 16, v43
	v_lshlrev_b32_e32 v28, 16, v44
	v_pk_add_f32 v[22:23], v[28:29], v[22:23] neg_lo:[0,1] neg_hi:[0,1]
	global_store_short_d16_hi v[18:19], v20, off offset:32
	global_store_short_d16_hi v[18:19], v21, off offset:288
	;; [unrolled: 1-line block ×4, first 2 shown]
	v_pk_mul_f32 v[18:19], v[30:31], v[20:21]
	v_pk_mul_f32 v[20:21], v[26:27], v[22:23]
	v_mov_b32_e32 v118, 0
	v_perm_b32 v21, v21, v20, s64
	v_perm_b32 v20, v19, v18, s64
	ds_write2_b64 v76, v[24:25], v[20:21] offset1:16
	v_mov_b32_e32 v18, 0
	v_mov_b32_e32 v19, 0
	;; [unrolled: 1-line block ×16, first 2 shown]
	s_cbranch_vccnz .LBB271_14
; %bb.13:                               ;   in Loop: Header=BB271_6 Depth=1
	s_and_b32 s29, s29, 0xffff
	s_mov_b32 s31, s27
	buffer_load_dwordx4 v[30:33], v100, s[28:31], 0 offen
	buffer_load_dwordx4 v[22:25], v100, s[28:31], s58 offen
	;; [unrolled: 1-line block ×4, first 2 shown]
	v_mov_b32_e32 v117, v70
	v_mov_b32_e32 v118, v69
.LBB271_14:                             ;   in Loop: Header=BB271_6 Depth=1
	s_waitcnt lgkmcnt(0)
	s_barrier
	ds_read_b64 v[38:39], v104
	ds_read_b64 v[124:125], v99
	;; [unrolled: 1-line block ×5, first 2 shown]
	ds_read_b64 v[138:139], v96 offset:3072
	ds_read2_b64 v[34:37], v95 offset0:16 offset1:128
	s_waitcnt lgkmcnt(5)
	v_mfma_f32_16x16x16_bf16 a[0:3], v[38:39], v[124:125], 0
	s_add_i32 s3, s52, s66
	s_mul_hi_i32 s25, s3, s17
	s_mul_i32 s3, s3, s17
	s_waitcnt lgkmcnt(0)
	v_mfma_f32_16x16x16_bf16 a[4:7], v[38:39], v[34:35], 0
	ds_read_b64 v[38:39], v109
	ds_read2st64_b64 v[40:43], v96 offset0:2 offset1:4
	s_add_u32 s24, s3, s33
	s_addc_u32 s25, s25, s56
	s_add_i32 s3, s37, s60
	s_lshl_b64 s[24:25], s[24:25], 15
	s_mul_hi_i32 s29, s3, s17
	s_mul_i32 s3, s3, s17
	s_add_u32 s28, s3, s33
	s_waitcnt lgkmcnt(1)
	v_mfma_f32_16x16x16_bf16 a[8:11], v[38:39], v[124:125], 0
	s_addc_u32 s29, s29, s56
	ds_read2st64_b64 v[120:123], v95 offset0:4 offset1:6
	s_lshl_b64 s[28:29], s[28:29], 9
	v_mfma_f32_16x16x16_bf16 a[0:3], v[126:127], v[36:37], a[0:3]
	s_add_u32 s28, s42, s28
	s_addc_u32 s29, s43, s29
	s_waitcnt lgkmcnt(1)
	v_mfma_f32_16x16x16_bf16 a[4:7], v[126:127], v[40:41], a[4:7]
	ds_read_b64 v[126:127], v110
	ds_read_b64 v[134:135], v111
	;; [unrolled: 1-line block ×3, first 2 shown]
	v_mfma_f32_16x16x16_bf16 a[12:15], v[38:39], v[34:35], 0
	s_waitcnt lgkmcnt(2)
	v_mfma_f32_16x16x16_bf16 a[8:11], v[126:127], v[36:37], a[8:11]
	global_load_dwordx4 v[34:37], v108, s[28:29]
	v_mfma_f32_16x16x16_bf16 a[12:15], v[126:127], v[40:41], a[12:15]
	global_load_dwordx4 v[38:41], v103, s[28:29]
	ds_read2st64_b64 v[124:127], v97 offset1:8
	s_waitcnt lgkmcnt(0)
	v_mov_b32_e32 v132, v124
	v_mfma_f32_16x16x16_bf16 a[0:3], v[128:129], v[120:121], a[0:3]
	v_mov_b32_e32 v133, v125
	v_mfma_f32_16x16x16_bf16 a[4:7], v[128:129], v[42:43], a[4:7]
	ds_read2st64_b64 v[128:131], v98 offset1:8
	v_mfma_f32_16x16x16_bf16 a[8:11], v[134:135], v[120:121], a[8:11]
	v_lshl_add_u64 v[120:121], v[60:61], 0, s[24:25]
	v_mfma_f32_16x16x16_bf16 a[16:19], v[134:135], v[42:43], a[12:15]
	v_add_co_u32_e32 v42, vcc, s39, v120
	s_waitcnt lgkmcnt(0)
	v_mov_b32_e32 v134, v128
	v_mfma_f32_16x16x16_bf16 a[0:3], v[136:137], v[122:123], a[0:3]
	v_mov_b32_e32 v135, v129
	v_mov_b32_e32 v128, v126
	;; [unrolled: 1-line block ×3, first 2 shown]
	v_mfma_f32_16x16x16_bf16 a[4:7], v[136:137], v[138:139], a[4:7]
	v_addc_co_u32_e32 v43, vcc, 0, v121, vcc
	global_store_dwordx4 v[42:43], v[128:131], off
	v_mfma_f32_16x16x16_bf16 a[12:15], v[140:141], v[122:123], a[8:11]
	s_and_b64 vcc, exec, s[0:1]
	global_store_dwordx4 v[120:121], v[132:135], off
	s_waitcnt vmcnt(3)
	v_mov_b32_e32 v44, v37
	v_mfma_f32_16x16x16_bf16 a[8:11], v[140:141], v[138:139], a[16:19]
	v_mov_b32_e32 v43, v36
	v_mov_b32_e32 v42, v35
	s_cbranch_vccnz .LBB271_16
; %bb.15:                               ;   in Loop: Header=BB271_6 Depth=1
	v_lshrrev_b32_e32 v35, 3, v117
	v_and_b32_e32 v35, 6, v35
	v_xor_b32_e32 v36, v35, v118
	v_lshlrev_b32_e32 v36, 2, v36
	v_and_b32_e32 v37, 8, v117
	v_xor_b32_e32 v117, 0x440, v36
	v_cmp_eq_u32_e32 vcc, 0, v37
	v_perm_b32 v37, v22, v18, s61
	s_nop 0
	v_cndmask_b32_e32 v36, v117, v36, vcc
	v_lshl_or_b32 v35, v35, 10, v36
	v_perm_b32 v36, v30, v26, s61
	s_barrier
	ds_write2st64_b32 v35, v36, v37 offset0:32 offset1:64
	v_xor_b32_e32 v36, 8, v35
	v_perm_b32 v26, v30, v26, s62
	v_perm_b32 v18, v22, v18, s62
	v_add_u32_e32 v22, 0x80, v36
	ds_write2st64_b32 v22, v26, v18 offset0:32 offset1:64
	v_xor_b32_e32 v18, 16, v35
	v_perm_b32 v22, v31, v27, s61
	v_perm_b32 v26, v23, v19, s61
	ds_write2st64_b32 v18, v22, v26 offset0:33 offset1:65
	v_xor_b32_e32 v18, 24, v35
	v_perm_b32 v22, v31, v27, s62
	v_perm_b32 v19, v23, v19, s62
	v_add_u32_e32 v18, 0x80, v18
	ds_write2st64_b32 v18, v22, v19 offset0:33 offset1:65
	v_xor_b32_e32 v18, 32, v35
	v_perm_b32 v19, v32, v28, s61
	v_perm_b32 v22, v24, v20, s61
	;; [unrolled: 9-line block ×3, first 2 shown]
	ds_write2st64_b32 v18, v19, v20 offset0:35 offset1:67
	v_xor_b32_e32 v18, 56, v35
	v_perm_b32 v19, v33, v29, s62
	v_perm_b32 v20, v25, v21, s62
	v_add_u32_e32 v18, 0x80, v18
	ds_write2st64_b32 v18, v19, v20 offset0:35 offset1:67
	ds_write_b64 v116, v[14:15] offset:24576
	v_xor_b32_e32 v14, 8, v116
	ds_write_b64 v14, v[16:17] offset:24576
	ds_write_b64 v116, v[10:11] offset:32768
	ds_write_b64 v14, v[12:13] offset:32768
	ds_write_b64 v115, v[6:7] offset:24576
	v_xor_b32_e32 v6, 8, v115
	ds_write_b64 v6, v[8:9] offset:24576
	ds_write_b64 v115, v[2:3] offset:32768
	;; [unrolled: 1-line block ×3, first 2 shown]
.LBB271_16:                             ;   in Loop: Header=BB271_6 Depth=1
	v_exp_f32_e32 v18, s2
	s_waitcnt vmcnt(2)
	v_exp_f32_e32 v20, v38
	v_exp_f32_e32 v21, v39
	;; [unrolled: 1-line block ×4, first 2 shown]
	v_accvgpr_read_b32 v13, a3
	v_accvgpr_read_b32 v11, a1
	;; [unrolled: 1-line block ×4, first 2 shown]
	v_pk_mul_f32 v[20:21], v[18:19], v[20:21] op_sel_hi:[0,1]
	v_accvgpr_read_b32 v12, a2
	v_accvgpr_read_b32 v7, a5
	;; [unrolled: 1-line block ×3, first 2 shown]
	v_pk_fma_f32 v[50:51], v[50:51], v[20:21], v[10:11]
	v_pk_mul_f32 v[10:11], v[18:19], v[22:23] op_sel_hi:[0,1]
	v_pk_fma_f32 v[52:53], v[52:53], v[10:11], v[12:13]
	v_fma_f32 v87, v87, v20, v6
	v_fma_f32 v86, v86, v21, v7
	v_exp_f32_e32 v6, v34
	v_exp_f32_e32 v7, v42
	;; [unrolled: 1-line block ×4, first 2 shown]
	v_accvgpr_read_b32 v8, a6
	v_accvgpr_read_b32 v17, a15
	;; [unrolled: 1-line block ×9, first 2 shown]
	v_fma_f32 v88, v88, v10, v8
	v_fmac_f32_e32 v9, v114, v11
	v_pk_mul_f32 v[6:7], v[18:19], v[6:7] op_sel_hi:[0,1]
	v_pk_mul_f32 v[10:11], v[18:19], v[12:13] op_sel_hi:[0,1]
	s_add_i32 s60, s60, 64
	v_pk_fma_f32 v[46:47], v[46:47], v[6:7], v[14:15]
	v_pk_fma_f32 v[48:49], v[48:49], v[10:11], v[16:17]
	v_fma_f32 v84, v84, v6, v2
	v_fma_f32 v83, v83, v7, v3
	;; [unrolled: 1-line block ×3, first 2 shown]
	s_cmp_eq_u32 s49, s65
	v_fmac_f32_e32 v5, v113, v11
	s_cbranch_scc1 .LBB271_18
; %bb.17:                               ;   in Loop: Header=BB271_6 Depth=1
	s_mov_b32 s66, s65
	v_mov_b32_e32 v114, v9
	v_mov_b32_e32 v113, v5
	s_branch .LBB271_6
.LBB271_18:
	s_lshl_b32 s42, s49, 6
	s_sub_i32 s43, s16, s42
	s_cmp_gt_i32 s43, 0
	s_cbranch_scc0 .LBB271_83
; %bb.19:
	s_ashr_i32 s39, s50, 31
	s_ashr_i32 s2, s42, 31
	s_cmpk_lg_i32 s19, 0x80
	s_cselect_b64 s[30:31], -1, 0
	s_and_b64 vcc, exec, s[30:31]
	s_cbranch_vccz .LBB271_21
; %bb.20:
	s_mul_i32 s1, s50, s16
	s_mul_hi_i32 s0, s50, s16
	s_add_u32 s1, s1, s42
	s_addc_u32 s0, s0, s2
	s_mul_i32 s3, s1, s51
	s_mul_hi_u32 s24, s1, s18
	s_add_i32 s3, s24, s3
	s_mul_i32 s0, s0, s18
	s_add_i32 s3, s3, s0
	s_mul_i32 s1, s1, s18
	s_ashr_i32 s0, s54, 31
	s_add_u32 s40, s1, s54
	s_addc_u32 s41, s3, s0
	s_cbranch_execz .LBB271_22
	s_branch .LBB271_23
.LBB271_21:
                                        ; implicit-def: $sgpr40_sgpr41
.LBB271_22:
	s_mul_hi_i32 s0, s50, s18
	s_mul_i32 s50, s50, s18
	s_ashr_i32 s1, s54, 31
	s_add_u32 s3, s50, s54
	s_addc_u32 s0, s0, s1
	s_mul_i32 s1, s3, s48
	s_mul_hi_u32 s18, s3, s16
	s_add_i32 s1, s18, s1
	s_mul_i32 s0, s0, s16
	s_add_i32 s1, s1, s0
	s_mul_i32 s3, s3, s16
	s_add_u32 s40, s3, s42
	s_addc_u32 s41, s1, s2
.LBB271_23:
	s_add_i32 s3, s52, s49
	s_ashr_i32 s18, s33, 31
	s_add_u32 s0, s47, s33
	s_addc_u32 s1, s53, s18
	s_mul_i32 s24, s0, s48
	s_mul_hi_u32 s25, s0, s16
	s_add_i32 s24, s25, s24
	s_mul_i32 s1, s1, s16
	s_add_i32 s24, s24, s1
	s_mul_i32 s0, s0, s16
	s_add_u32 s0, s0, s42
	v_lshlrev_b32_e32 v8, 5, v67
	v_lshlrev_b32_e32 v22, 2, v45
	s_addc_u32 s1, s24, s2
	s_mov_b32 s2, 0x7060302
	v_or_b32_e32 v11, v8, v22
	v_xor_b32_e32 v4, v67, v22
	v_perm_b32 v3, v53, v52, s2
	v_perm_b32 v2, v51, v50, s2
	;; [unrolled: 1-line block ×4, first 2 shown]
	v_lshlrev_b32_e32 v11, 1, v11
	s_lshl_b64 s[28:29], s[0:1], 8
	v_xor_b32_e32 v10, v68, v22
	ds_write2st64_b64 v11, v[2:3], v[6:7] offset0:80 offset1:88
	v_lshlrev_b32_e32 v11, 1, v4
	v_lshlrev_b32_e32 v4, 8, v45
	s_add_u32 s0, s6, s28
	v_or_b32_e32 v12, v11, v4
	v_lshlrev_b32_e32 v10, 1, v10
	s_addc_u32 s1, s7, s29
	ds_write_b64 v12, v[2:3]
	v_or_b32_e32 v2, v10, v4
	s_mul_hi_i32 s6, s3, s17
	s_mul_i32 s3, s3, s17
	ds_write_b64 v2, v[6:7]
	v_perm_b32 v3, v9, v88, s2
	v_perm_b32 v2, v86, v87, s2
	;; [unrolled: 1-line block ×4, first 2 shown]
	v_or_b32_e32 v6, 16, v45
	s_add_u32 s2, s3, s33
	v_lshlrev_b32_e32 v19, 2, v6
	s_addc_u32 s3, s6, s18
	v_or_b32_e32 v7, v8, v19
	s_ashr_i32 s37, s36, 31
	s_lshl_b64 s[2:3], s[2:3], 15
	v_lshlrev_b32_e32 v7, 1, v7
	v_lshlrev_b32_e32 v6, 8, v6
	s_add_u32 s6, s12, s2
	ds_write2st64_b64 v7, v[2:3], v[4:5] offset0:80 offset1:88
	v_or_b32_e32 v7, v11, v6
	s_addc_u32 s7, s13, s3
	s_lshl_b64 s[2:3], s[36:37], 8
	ds_write_b64 v7, v[2:3]
	v_or_b32_e32 v2, v10, v6
	s_add_u32 s2, s6, s2
	ds_write_b64 v2, v[4:5]
	v_lshrrev_b32_e32 v2, 4, v0
	s_addc_u32 s3, s7, s3
	v_lshlrev_b32_e32 v3, 1, v45
	v_lshlrev_b32_e32 v10, 4, v45
	v_mov_b32_e32 v11, 0
	v_or_b32_e32 v4, 1, v3
	v_xor_b32_e32 v3, v2, v3
	v_lshl_add_u64 v[12:13], s[2:3], 0, v[10:11]
	v_lshlrev_b32_e32 v10, 8, v2
	v_xor_b32_e32 v6, v4, v2
	v_lshl_or_b32 v2, v3, 3, v10
	s_waitcnt lgkmcnt(0)
	s_barrier
	ds_read2st64_b64 v[2:5], v2 offset1:8
	v_lshl_or_b32 v6, v6, 3, v10
	ds_read2st64_b64 v[6:9], v6 offset1:8
	v_lshl_add_u64 v[14:15], v[12:13], 0, v[10:11]
	s_movk_i32 s2, 0x1000
	s_waitcnt lgkmcnt(1)
	v_mov_b32_e32 v10, v2
	v_add_co_u32_e32 v2, vcc, s2, v14
	s_cmp_lg_u32 s43, 64
	v_mov_b32_e32 v11, v3
	v_addc_co_u32_e32 v3, vcc, 0, v15, vcc
	s_cselect_b64 s[6:7], -1, 0
	v_lshl_or_b32 v23, v63, 3, v66
	s_waitcnt lgkmcnt(0)
	v_mov_b32_e32 v12, v6
	v_mov_b32_e32 v13, v7
	;; [unrolled: 1-line block ×4, first 2 shown]
	s_mov_b32 s24, 0
	v_or_b32_e32 v20, 32, v23
	v_and_b32_e32 v18, 56, v65
	s_and_b64 vcc, exec, s[6:7]
	global_store_dwordx4 v[14:15], v[10:13], off
	global_store_dwordx4 v[2:3], v[6:9], off
	s_cbranch_vccz .LBB271_29
; %bb.24:
	s_mov_b32 s25, s24
	s_mov_b32 s26, s24
	;; [unrolled: 1-line block ×3, first 2 shown]
	v_mov_b64_e32 v[6:7], s[24:25]
	v_mov_b64_e32 v[8:9], s[26:27]
	;; [unrolled: 1-line block ×3, first 2 shown]
	v_cmp_gt_i32_e32 vcc, s43, v23
	v_mov_b64_e32 v[4:5], v[8:9]
	s_and_saveexec_b64 s[2:3], vcc
	s_cbranch_execz .LBB271_26
; %bb.25:
	v_lshlrev_b32_e32 v2, 8, v23
	v_mov_b32_e32 v3, 0
	v_lshl_add_u64 v[4:5], s[0:1], 0, v[2:3]
	v_lshlrev_b32_e32 v2, 1, v18
	v_lshl_add_u64 v[10:11], v[4:5], 0, v[2:3]
	global_load_dwordx4 v[6:9], v[10:11], off
	global_load_dwordx4 v[2:5], v[10:11], off offset:128
.LBB271_26:
	s_or_b64 exec, exec, s[2:3]
	s_mov_b32 s25, s24
	s_mov_b32 s26, s24
	;; [unrolled: 1-line block ×3, first 2 shown]
	v_mov_b64_e32 v[14:15], s[24:25]
	v_mov_b64_e32 v[16:17], s[26:27]
	;; [unrolled: 1-line block ×3, first 2 shown]
	v_cmp_gt_i32_e32 vcc, s43, v20
	v_lshlrev_b32_e32 v21, 7, v20
	v_mov_b64_e32 v[12:13], v[16:17]
	s_and_saveexec_b64 s[2:3], vcc
	s_cbranch_execz .LBB271_28
; %bb.27:
	v_lshlrev_b32_e32 v10, 1, v21
	v_mov_b32_e32 v11, 0
	v_lshl_add_u64 v[12:13], s[0:1], 0, v[10:11]
	v_lshlrev_b32_e32 v10, 1, v18
	v_lshl_add_u64 v[24:25], v[12:13], 0, v[10:11]
	global_load_dwordx4 v[14:17], v[24:25], off
	global_load_dwordx4 v[10:13], v[24:25], off offset:128
.LBB271_28:
	s_or_b64 exec, exec, s[2:3]
	v_lshrrev_b32_e32 v24, 3, v18
	v_lshlrev_b32_e32 v25, 3, v23
	v_or_b32_e32 v24, v25, v24
	v_lshlrev_b32_e32 v24, 4, v24
	v_and_b32_e32 v25, 0x78, v25
	v_xor_b32_e32 v24, v24, v25
	s_branch .LBB271_31
.LBB271_29:
                                        ; implicit-def: $vgpr24
                                        ; implicit-def: $vgpr21
                                        ; implicit-def: $vgpr6_vgpr7_vgpr8_vgpr9
                                        ; implicit-def: $vgpr2_vgpr3_vgpr4_vgpr5
                                        ; implicit-def: $vgpr14_vgpr15_vgpr16_vgpr17
                                        ; implicit-def: $vgpr10_vgpr11_vgpr12_vgpr13
	s_cbranch_execz .LBB271_31
; %bb.30:
	s_waitcnt vmcnt(0)
	v_lshlrev_b32_e32 v2, 1, v18
	v_lshl_or_b32 v21, v23, 8, v2
	s_and_b32 s1, s1, 0xffff
	s_mov_b32 s3, 0x20000
	s_movk_i32 s2, 0x4000
	v_lshl_or_b32 v24, v20, 8, v2
	s_movk_i32 s12, 0x80
	buffer_load_dwordx4 v[6:9], v21, s[0:3], 0 offen
	buffer_load_dwordx4 v[2:5], v21, s[0:3], s12 offen
	;; [unrolled: 1-line block ×4, first 2 shown]
	v_lshrrev_b32_e32 v21, 3, v18
	v_lshlrev_b32_e32 v24, 3, v23
	v_or_b32_e32 v21, v24, v21
	v_lshlrev_b32_e32 v21, 4, v21
	v_and_b32_e32 v24, 0x78, v24
	v_xor_b32_e32 v24, v21, v24
	v_lshlrev_b32_e32 v21, 7, v20
.LBB271_31:
	s_lshl_b64 s[0:1], s[40:41], 8
	s_add_u32 s4, s4, s0
	s_movk_i32 s0, 0x1000
	v_and_or_b32 v20, v21, s0, v24
	s_waitcnt vmcnt(1)
	ds_write_b64 v24, v[6:7] offset:24576
	v_xor_b32_e32 v6, 8, v24
	ds_write_b64 v6, v[8:9] offset:24576
	s_waitcnt vmcnt(0)
	ds_write_b64 v24, v[2:3] offset:32768
	ds_write_b64 v6, v[4:5] offset:32768
	;; [unrolled: 1-line block ×3, first 2 shown]
	v_xor_b32_e32 v2, 8, v20
	ds_write_b64 v2, v[16:17] offset:24576
	ds_write_b64 v20, v[10:11] offset:32768
	;; [unrolled: 1-line block ×3, first 2 shown]
	v_or_b32_e32 v2, v1, v45
	v_lshlrev_b32_e32 v3, 11, v63
	v_lshlrev_b32_e32 v2, 3, v2
	v_and_b32_e32 v6, 0x1000, v3
	v_lshrrev_b32_e32 v3, 5, v62
	s_movk_i32 s13, 0xf8
	v_and_or_b32 v3, v2, s13, v3
	v_lshlrev_b32_e32 v7, 4, v3
	v_and_b32_e32 v8, 0x78, v2
	v_or_b32_e32 v10, 32, v7
	v_lshrrev_b32_e32 v3, 1, v62
	v_xor_b32_e32 v10, v10, v8
	v_xor_b32_e32 v2, v7, v8
	v_and_b32_e32 v9, 8, v3
	v_or_b32_e32 v10, v10, v6
	v_or_b32_e32 v2, v2, v6
	v_xor_b32_e32 v26, v10, v9
	v_or_b32_e32 v10, 64, v7
	v_xor_b32_e32 v25, v2, v9
	v_xor_b32_e32 v10, v10, v8
	s_waitcnt lgkmcnt(0)
	s_barrier
	v_or_b32_e32 v12, v10, v6
	ds_read_b64 v[10:11], v25 offset:24576
	v_lshl_or_b32 v20, v64, 7, v22
	v_lshlrev_b32_e32 v24, 1, v20
	v_add_u32_e32 v2, 0xa000, v24
	ds_read2_b64 v[2:5], v2 offset1:16
	v_or_b32_e32 v7, 0x60, v7
	v_xor_b32_e32 v7, v7, v8
	s_waitcnt lgkmcnt(0)
	v_mfma_f32_16x16x16_bf16 a[0:3], v[10:11], v[2:3], 0
	v_or_b32_e32 v2, 64, v20
	v_or_b32_e32 v6, v7, v6
	v_lshlrev_b32_e32 v29, 1, v2
	v_xor_b32_e32 v27, v12, v9
	v_xor_b32_e32 v28, v6, v9
	ds_read_b64 v[12:13], v26 offset:24576
	ds_read_b64 v[14:15], v27 offset:24576
	;; [unrolled: 1-line block ×3, first 2 shown]
	v_mfma_f32_16x16x16_bf16 a[4:7], v[10:11], v[4:5], 0
	ds_read2st64_b64 v[2:5], v29 offset0:82 offset1:84
	ds_read2st64_b64 v[6:9], v24 offset0:82 offset1:84
	s_addc_u32 s5, s5, s1
	s_add_i32 s2, s16, -1
	s_add_i32 s0, s46, s21
	s_mul_i32 s39, s39, s20
	s_add_i32 s39, s0, s39
	s_mul_i32 s0, s33, s23
	s_mul_hi_u32 s1, s33, s22
	s_ashr_i32 s3, s2, 31
	s_mul_i32 s12, s2, s35
	s_mul_hi_u32 s13, s2, s34
	s_add_i32 s0, s1, s0
	s_mul_i32 s1, s18, s22
	s_add_i32 s12, s13, s12
	s_mul_i32 s3, s3, s34
	s_waitcnt lgkmcnt(1)
	v_mfma_f32_16x16x16_bf16 a[4:7], v[12:13], v[2:3], a[4:7]
	s_add_i32 s1, s0, s1
	s_add_i32 s3, s12, s3
	s_lshl_b64 s[12:13], s[38:39], 2
	s_waitcnt lgkmcnt(0)
	v_mfma_f32_16x16x16_bf16 a[0:3], v[12:13], v[6:7], a[0:3]
	s_mul_i32 s0, s33, s22
	s_add_u32 s10, s10, s12
	s_addc_u32 s11, s11, s13
	s_lshl_b64 s[0:1], s[0:1], 2
	s_mul_i32 s2, s2, s34
	s_add_u32 s10, s10, s0
	ds_read_b64 v[2:3], v24 offset:44032
	v_mfma_f32_16x16x16_bf16 a[4:7], v[14:15], v[4:5], a[4:7]
	ds_read_b64 v[4:5], v29 offset:44032
	s_addc_u32 s11, s11, s1
	s_lshl_b64 s[0:1], s[2:3], 2
	v_mfma_f32_16x16x16_bf16 a[0:3], v[14:15], v[8:9], a[0:3]
	s_add_u32 s0, s10, s0
	s_addc_u32 s1, s11, s1
	s_load_dword s12, s[0:1], 0x0
	s_waitcnt lgkmcnt(0)
	v_mfma_f32_16x16x16_bf16 a[0:3], v[16:17], v[2:3], a[0:3]
	s_and_b64 vcc, exec, s[30:31]
	v_mfma_f32_16x16x16_bf16 a[4:7], v[16:17], v[4:5], a[4:7]
	s_cbranch_vccz .LBB271_42
; %bb.32:
	v_lshlrev_b32_e32 v20, 1, v23
	s_and_b64 vcc, exec, s[6:7]
	s_cbranch_vccz .LBB271_43
; %bb.33:
	v_cmp_gt_i32_e32 vcc, s43, v20
	v_mov_b32_e32 v6, 0
	v_mov_b32_e32 v2, 0
	;; [unrolled: 1-line block ×5, first 2 shown]
	s_and_saveexec_b64 s[0:1], vcc
	s_cbranch_execz .LBB271_35
; %bb.34:
	v_mad_i64_i32 v[2:3], s[2:3], s19, v20, 0
	v_lshl_add_u64 v[2:3], v[2:3], 1, s[4:5]
	v_lshlrev_b32_e32 v4, 1, v18
	v_mov_b32_e32 v5, 0
	v_lshl_add_u64 v[2:3], v[2:3], 0, v[4:5]
	global_load_dwordx4 v[2:5], v[2:3], off
.LBB271_35:
	s_or_b64 exec, exec, s[0:1]
	v_or_b32_e32 v21, 1, v20
	v_cmp_gt_i32_e64 s[0:1], s43, v21
	v_mov_b32_e32 v7, 0
	v_mov_b32_e32 v8, 0
	;; [unrolled: 1-line block ×3, first 2 shown]
	s_and_saveexec_b64 s[2:3], s[0:1]
	s_cbranch_execz .LBB271_37
; %bb.36:
	v_mad_i64_i32 v[6:7], s[16:17], s19, v21, 0
	v_lshl_add_u64 v[6:7], v[6:7], 1, s[4:5]
	v_lshlrev_b32_e32 v8, 1, v18
	v_mov_b32_e32 v9, 0
	v_lshl_add_u64 v[6:7], v[6:7], 0, v[8:9]
	global_load_dwordx4 v[6:9], v[6:7], off
.LBB271_37:
	s_or_b64 exec, exec, s[2:3]
	v_mov_b32_e32 v17, 0
	v_mov_b32_e32 v10, 0
	;; [unrolled: 1-line block ×5, first 2 shown]
	s_and_saveexec_b64 s[2:3], vcc
	s_cbranch_execz .LBB271_39
; %bb.38:
	v_mad_i64_i32 v[10:11], s[16:17], s19, v20, 0
	v_lshl_add_u64 v[10:11], v[10:11], 1, s[4:5]
	v_lshlrev_b32_e32 v12, 1, v18
	v_mov_b32_e32 v13, 0
	v_lshl_add_u64 v[10:11], v[10:11], 0, v[12:13]
	global_load_dwordx4 v[10:13], v[10:11], off offset:128
.LBB271_39:
	s_or_b64 exec, exec, s[2:3]
	v_mov_b32_e32 v16, 0
	v_mov_b32_e32 v15, 0
	;; [unrolled: 1-line block ×3, first 2 shown]
	s_and_saveexec_b64 s[2:3], s[0:1]
	s_cbranch_execz .LBB271_41
; %bb.40:
	v_mad_i64_i32 v[14:15], s[0:1], s19, v21, 0
	v_lshl_add_u64 v[14:15], v[14:15], 1, s[4:5]
	v_lshlrev_b32_e32 v16, 1, v18
	v_mov_b32_e32 v17, 0
	v_lshl_add_u64 v[14:15], v[14:15], 0, v[16:17]
	global_load_dwordx4 v[14:17], v[14:15], off offset:128
.LBB271_41:
	s_or_b64 exec, exec, s[2:3]
	s_branch .LBB271_45
.LBB271_42:
                                        ; implicit-def: $vgpr5
                                        ; implicit-def: $vgpr9
                                        ; implicit-def: $vgpr13
                                        ; implicit-def: $vgpr17
	v_lshrrev_b32_e32 v30, 2, v62
	s_branch .LBB271_46
.LBB271_43:
                                        ; implicit-def: $vgpr5
                                        ; implicit-def: $vgpr9
                                        ; implicit-def: $vgpr13
                                        ; implicit-def: $vgpr17
	s_cbranch_execz .LBB271_45
; %bb.44:
	s_waitcnt vmcnt(0)
	v_mad_u64_u32 v[2:3], s[0:1], v20, s19, v[18:19]
	v_lshlrev_b32_e32 v20, 1, v2
	s_lshl_b32 s2, s19, 7
	s_and_b32 s1, s5, 0xffff
	s_mov_b32 s3, 0x20000
	s_mov_b32 s0, s4
	v_add_lshl_u32 v21, v2, s19, 1
	s_movk_i32 s13, 0x80
	buffer_load_dwordx4 v[2:5], v20, s[0:3], 0 offen
	buffer_load_dwordx4 v[10:13], v20, s[0:3], s13 offen
	;; [unrolled: 1-line block ×4, first 2 shown]
.LBB271_45:
	v_lshrrev_b32_e32 v30, 2, v62
	s_cbranch_execnz .LBB271_58
.LBB271_46:
	s_and_b64 vcc, exec, s[6:7]
	s_cbranch_vccz .LBB271_56
; %bb.47:
	s_waitcnt vmcnt(0)
	v_lshlrev_b32_e32 v7, 1, v23
	v_cmp_gt_i32_e32 vcc, s43, v7
	v_mov_b32_e32 v6, 0
	v_lshlrev_b32_e32 v14, 9, v23
	v_mov_b32_e32 v2, 0
	v_mov_b32_e32 v3, 0
	;; [unrolled: 1-line block ×4, first 2 shown]
	s_and_saveexec_b64 s[0:1], vcc
	s_cbranch_execz .LBB271_49
; %bb.48:
	v_mov_b32_e32 v15, 0
	v_lshl_add_u64 v[2:3], s[4:5], 0, v[14:15]
	v_lshlrev_b32_e32 v4, 1, v18
	v_mov_b32_e32 v5, v15
	v_lshl_add_u64 v[2:3], v[2:3], 0, v[4:5]
	global_load_dwordx4 v[2:5], v[2:3], off
.LBB271_49:
	s_or_b64 exec, exec, s[0:1]
	v_or_b32_e32 v7, 1, v7
	v_cmp_gt_i32_e64 s[0:1], s43, v7
	v_lshlrev_b32_e32 v20, 8, v7
	v_mov_b32_e32 v7, 0
	v_mov_b32_e32 v8, 0
	;; [unrolled: 1-line block ×3, first 2 shown]
	s_and_saveexec_b64 s[2:3], s[0:1]
	s_cbranch_execz .LBB271_51
; %bb.50:
	v_mov_b32_e32 v21, 0
	v_lshl_add_u64 v[6:7], s[4:5], 0, v[20:21]
	v_lshlrev_b32_e32 v8, 1, v18
	v_mov_b32_e32 v9, v21
	v_lshl_add_u64 v[6:7], v[6:7], 0, v[8:9]
	global_load_dwordx4 v[6:9], v[6:7], off
.LBB271_51:
	s_or_b64 exec, exec, s[2:3]
	v_mov_b32_e32 v17, 0
	v_mov_b32_e32 v10, 0
	;; [unrolled: 1-line block ×5, first 2 shown]
	s_and_saveexec_b64 s[2:3], vcc
	s_cbranch_execz .LBB271_53
; %bb.52:
	v_mov_b32_e32 v15, 0
	v_lshl_add_u64 v[10:11], s[4:5], 0, v[14:15]
	v_lshlrev_b32_e32 v14, 1, v18
	v_lshl_add_u64 v[10:11], v[10:11], 0, v[14:15]
	global_load_dwordx4 v[10:13], v[10:11], off offset:128
.LBB271_53:
	s_or_b64 exec, exec, s[2:3]
	v_mov_b32_e32 v16, 0
	v_mov_b32_e32 v15, 0
	;; [unrolled: 1-line block ×3, first 2 shown]
	s_and_saveexec_b64 s[2:3], s[0:1]
	s_cbranch_execz .LBB271_55
; %bb.54:
	v_mov_b32_e32 v21, 0
	v_lshl_add_u64 v[14:15], s[4:5], 0, v[20:21]
	v_lshlrev_b32_e32 v20, 1, v18
	v_lshl_add_u64 v[14:15], v[14:15], 0, v[20:21]
	global_load_dwordx4 v[14:17], v[14:15], off offset:128
.LBB271_55:
	s_or_b64 exec, exec, s[2:3]
	s_branch .LBB271_58
.LBB271_56:
                                        ; implicit-def: $vgpr5
                                        ; implicit-def: $vgpr9
                                        ; implicit-def: $vgpr13
                                        ; implicit-def: $vgpr17
	s_cbranch_execz .LBB271_58
; %bb.57:
	s_waitcnt vmcnt(0)
	v_lshlrev_b32_e32 v2, 1, v18
	v_lshl_or_b32 v18, v23, 9, v2
	s_and_b32 s5, s5, 0xffff
	s_mov_b32 s7, 0x20000
	s_movk_i32 s6, 0x4000
	s_movk_i32 s0, 0x80
	buffer_load_dwordx4 v[2:5], v18, s[4:7], 0 offen
	buffer_load_dwordx4 v[6:9], v18, s[4:7], 0 offen offset:256
	buffer_load_dwordx4 v[10:13], v18, s[4:7], s0 offen
	buffer_load_dwordx4 v[14:17], v18, s[4:7], s0 offen offset:256
.LBB271_58:
	ds_read_b64 v[20:21], v25 offset:32768
	v_add_u32_e32 v18, 0xb000, v24
	ds_read2_b64 v[32:35], v18 offset1:16
	ds_read_b64 v[40:41], v26 offset:32768
	ds_read_b64 v[26:27], v27 offset:32768
	;; [unrolled: 1-line block ×3, first 2 shown]
	v_and_b32_e32 v18, 6, v0
	v_xor_b32_e32 v23, v23, v18
	v_lshlrev_b32_e32 v23, 2, v23
	v_and_b32_e32 v0, 1, v0
	v_xor_b32_e32 v28, 0x440, v23
	v_cmp_eq_u32_e32 vcc, 0, v0
	s_waitcnt lgkmcnt(3)
	v_mfma_f32_16x16x16_bf16 a[0:3], v[20:21], v[32:33], a[0:3]
	s_mov_b32 s0, 0x1000504
	v_cndmask_b32_e32 v0, v28, v23, vcc
	v_lshl_or_b32 v0, v18, 10, v0
	v_mfma_f32_16x16x16_bf16 a[4:7], v[20:21], v[34:35], a[4:7]
	ds_read2st64_b64 v[32:35], v24 offset0:90 offset1:92
	ds_read2st64_b64 v[36:39], v29 offset0:90 offset1:92
	ds_read_b64 v[20:21], v24 offset:48128
	ds_read_b64 v[24:25], v29 offset:48128
	s_waitcnt vmcnt(0)
	v_perm_b32 v18, v2, v6, s0
	s_waitcnt lgkmcnt(3)
	v_mfma_f32_16x16x16_bf16 a[0:3], v[40:41], v[32:33], a[0:3]
	s_mov_b32 s1, 0x3020706
	v_perm_b32 v2, v2, v6, s1
	v_perm_b32 v6, v10, v14, s1
	s_waitcnt lgkmcnt(2)
	v_mfma_f32_16x16x16_bf16 a[4:7], v[40:41], v[36:37], a[4:7]
	v_mfma_f32_16x16x16_bf16 a[0:3], v[26:27], v[34:35], a[0:3]
	;; [unrolled: 1-line block ×3, first 2 shown]
	s_waitcnt lgkmcnt(1)
	v_mfma_f32_16x16x16_bf16 a[4:7], v[42:43], v[20:21], a[0:3]
	v_perm_b32 v20, v10, v14, s0
	ds_write2st64_b32 v0, v18, v20 offset0:32 offset1:64
	v_xor_b32_e32 v18, 8, v0
	v_add_u32_e32 v10, 0x80, v18
	ds_write2st64_b32 v10, v2, v6 offset0:32 offset1:64
	v_xor_b32_e32 v2, 16, v0
	v_perm_b32 v6, v3, v7, s0
	v_perm_b32 v10, v11, v15, s0
	ds_write2st64_b32 v2, v6, v10 offset0:33 offset1:65
	v_xor_b32_e32 v2, 24, v0
	v_perm_b32 v3, v3, v7, s1
	v_perm_b32 v6, v11, v15, s1
	v_add_u32_e32 v2, 0x80, v2
	ds_write2st64_b32 v2, v3, v6 offset0:33 offset1:65
	v_xor_b32_e32 v2, 32, v0
	v_perm_b32 v3, v4, v8, s0
	v_perm_b32 v6, v12, v16, s0
	s_waitcnt lgkmcnt(4)
	v_mfma_f32_16x16x16_bf16 a[0:3], v[42:43], v[24:25], a[8:11]
	ds_write2st64_b32 v2, v3, v6 offset0:34 offset1:66
	v_xor_b32_e32 v2, 40, v0
	v_perm_b32 v3, v4, v8, s1
	v_perm_b32 v4, v12, v16, s1
	v_add_u32_e32 v2, 0x80, v2
	ds_write2st64_b32 v2, v3, v4 offset0:34 offset1:66
	v_xor_b32_e32 v2, 48, v0
	v_perm_b32 v3, v5, v9, s0
	v_perm_b32 v4, v13, v17, s0
	v_xor_b32_e32 v0, 56, v0
	v_and_or_b32 v21, v30, 12, v1
	ds_write2st64_b32 v2, v3, v4 offset0:35 offset1:67
	v_perm_b32 v2, v5, v9, s1
	v_perm_b32 v3, v13, v17, s1
	v_add_u32_e32 v0, 0x80, v0
	v_cmp_gt_i32_e32 vcc, s43, v21
	v_mov_b32_e32 v16, 0
	v_mov_b32_e32 v18, 0
	ds_write2st64_b32 v0, v2, v3 offset0:35 offset1:67
	s_and_saveexec_b64 s[0:1], vcc
	s_cbranch_execz .LBB271_60
; %bb.59:
	v_add_u32_e32 v0, s42, v21
	v_ashrrev_i32_e32 v1, 31, v0
	v_mul_lo_u32 v2, v1, s34
	v_mul_lo_u32 v3, v0, s35
	v_mad_u64_u32 v[0:1], s[2:3], v0, s34, 0
	v_add3_u32 v1, v1, v3, v2
	v_lshl_add_u64 v[0:1], v[0:1], 2, s[10:11]
	global_load_dword v0, v[0:1], off
	s_waitcnt vmcnt(0)
	v_sub_f32_e32 v0, s12, v0
	v_exp_f32_e32 v18, v0
.LBB271_60:
	s_or_b64 exec, exec, s[0:1]
	v_or_b32_e32 v10, 1, v21
	v_cmp_gt_i32_e64 s[2:3], s43, v10
	s_and_saveexec_b64 s[0:1], s[2:3]
	s_cbranch_execz .LBB271_62
; %bb.61:
	v_add_u32_e32 v0, s42, v10
	v_ashrrev_i32_e32 v1, 31, v0
	v_mul_lo_u32 v2, v1, s34
	v_mul_lo_u32 v3, v0, s35
	v_mad_u64_u32 v[0:1], s[4:5], v0, s34, 0
	v_add3_u32 v1, v1, v3, v2
	v_lshl_add_u64 v[0:1], v[0:1], 2, s[10:11]
	global_load_dword v0, v[0:1], off
	s_waitcnt vmcnt(0)
	v_sub_f32_e32 v0, s12, v0
	v_exp_f32_e32 v16, v0
.LBB271_62:
	s_or_b64 exec, exec, s[0:1]
	v_or_b32_e32 v12, 2, v21
	v_cmp_gt_i32_e64 s[0:1], s43, v12
	v_mov_b32_e32 v17, 0
	v_mov_b32_e32 v20, 0
	s_and_saveexec_b64 s[4:5], s[0:1]
	s_cbranch_execz .LBB271_64
; %bb.63:
	v_add_u32_e32 v0, s42, v12
	v_ashrrev_i32_e32 v1, 31, v0
	v_mul_lo_u32 v2, v1, s34
	v_mul_lo_u32 v3, v0, s35
	v_mad_u64_u32 v[0:1], s[6:7], v0, s34, 0
	v_add3_u32 v1, v1, v3, v2
	v_lshl_add_u64 v[0:1], v[0:1], 2, s[10:11]
	global_load_dword v0, v[0:1], off
	s_waitcnt vmcnt(0)
	v_sub_f32_e32 v0, s12, v0
	v_exp_f32_e32 v20, v0
.LBB271_64:
	s_or_b64 exec, exec, s[4:5]
	v_or_b32_e32 v14, 3, v21
	v_cmp_gt_i32_e64 s[4:5], s43, v14
	s_and_saveexec_b64 s[6:7], s[4:5]
	s_cbranch_execz .LBB271_66
; %bb.65:
	v_add_u32_e32 v0, s42, v14
	v_ashrrev_i32_e32 v1, 31, v0
	v_mul_lo_u32 v2, v1, s34
	v_mul_lo_u32 v3, v0, s35
	v_mad_u64_u32 v[0:1], s[16:17], v0, s34, 0
	v_add3_u32 v1, v1, v3, v2
	v_lshl_add_u64 v[0:1], v[0:1], 2, s[10:11]
	global_load_dword v0, v[0:1], off
	s_waitcnt vmcnt(0)
	v_sub_f32_e32 v0, s12, v0
	v_exp_f32_e32 v17, v0
.LBB271_66:
	s_or_b64 exec, exec, s[6:7]
	s_add_u32 s6, s8, s28
	v_or_b32_e32 v4, s36, v45
	s_addc_u32 s7, s9, s29
	s_add_u32 s8, s14, s28
	v_ashrrev_i32_e32 v5, 31, v4
	v_accvgpr_read_b32 v0, a4
	s_addc_u32 s9, s15, s29
	v_lshlrev_b64 v[4:5], 1, v[4:5]
	v_accvgpr_read_b32 v1, a5
	v_accvgpr_read_b32 v2, a6
	;; [unrolled: 1-line block ×3, first 2 shown]
	v_lshl_add_u64 v[6:7], s[6:7], 0, v[4:5]
	v_lshl_add_u64 v[4:5], s[8:9], 0, v[4:5]
	v_mov_b32_e32 v11, 0
	v_lshlrev_b32_e32 v8, 8, v21
	v_mov_b32_e32 v9, 0
	s_and_saveexec_b64 s[6:7], vcc
	s_cbranch_execz .LBB271_68
; %bb.67:
	v_mov_b32_e32 v9, 0
	v_lshl_add_u64 v[24:25], v[6:7], 0, v[8:9]
	global_load_ushort v13, v[24:25], off
	v_lshl_add_u64 v[24:25], v[4:5], 0, v[8:9]
	s_waitcnt vmcnt(0)
	v_lshlrev_b32_e32 v9, 16, v13
	v_sub_f32_e32 v0, v9, v0
	global_store_short_d16_hi v[24:25], v0, off
	v_mul_f32_e32 v0, v18, v0
	v_lshrrev_b32_e32 v9, 16, v0
.LBB271_68:
	s_or_b64 exec, exec, s[6:7]
	v_lshlrev_b32_e32 v10, 8, v10
	s_and_saveexec_b64 s[6:7], s[2:3]
	s_cbranch_execz .LBB271_70
; %bb.69:
	v_mov_b32_e32 v11, 0
	v_lshl_add_u64 v[24:25], v[6:7], 0, v[10:11]
	global_load_ushort v0, v[24:25], off
	v_lshl_add_u64 v[24:25], v[4:5], 0, v[10:11]
	s_waitcnt vmcnt(0)
	v_lshlrev_b32_e32 v0, 16, v0
	v_sub_f32_e32 v0, v0, v1
	global_store_short_d16_hi v[24:25], v0, off
	v_mul_f32_e32 v0, v16, v0
	v_lshrrev_b32_e32 v11, 16, v0
.LBB271_70:
	s_or_b64 exec, exec, s[6:7]
	v_mov_b32_e32 v15, 0
	v_lshlrev_b32_e32 v12, 8, v12
	v_mov_b32_e32 v13, 0
	s_and_saveexec_b64 s[6:7], s[0:1]
	s_cbranch_execz .LBB271_72
; %bb.71:
	v_mov_b32_e32 v13, 0
	v_lshl_add_u64 v[0:1], v[6:7], 0, v[12:13]
	global_load_ushort v23, v[0:1], off
	v_lshl_add_u64 v[0:1], v[4:5], 0, v[12:13]
	s_waitcnt vmcnt(0)
	v_lshlrev_b32_e32 v13, 16, v23
	v_sub_f32_e32 v2, v13, v2
	global_store_short_d16_hi v[0:1], v2, off
	v_mul_f32_e32 v0, v20, v2
	v_lshrrev_b32_e32 v13, 16, v0
.LBB271_72:
	s_or_b64 exec, exec, s[6:7]
	v_lshlrev_b32_e32 v14, 8, v14
	s_and_saveexec_b64 s[6:7], s[4:5]
	s_cbranch_execz .LBB271_74
; %bb.73:
	v_mov_b32_e32 v15, 0
	v_lshl_add_u64 v[0:1], v[6:7], 0, v[14:15]
	global_load_ushort v2, v[0:1], off
	v_lshl_add_u64 v[0:1], v[4:5], 0, v[14:15]
	s_waitcnt vmcnt(0)
	v_lshlrev_b32_e32 v2, 16, v2
	v_sub_f32_e32 v2, v2, v3
	global_store_short_d16_hi v[0:1], v2, off
	v_mul_f32_e32 v0, v17, v2
	v_lshrrev_b32_e32 v15, 16, v0
.LBB271_74:
	s_or_b64 exec, exec, s[6:7]
	v_lshlrev_b32_e32 v21, 5, v21
	s_mov_b32 s6, 0x5040100
	v_perm_b32 v24, v11, v9, s6
	v_or_b32_e32 v9, v21, v22
	v_accvgpr_read_b32 v0, a0
	v_perm_b32 v25, v15, v13, s6
	v_lshlrev_b32_e32 v9, 1, v9
	v_accvgpr_read_b32 v1, a1
	v_accvgpr_read_b32 v2, a2
	;; [unrolled: 1-line block ×3, first 2 shown]
	ds_write_b64 v9, v[24:25] offset:45056
	v_mov_b32_e32 v11, 0
	v_mov_b32_e32 v9, 0
	s_and_saveexec_b64 s[6:7], vcc
	s_cbranch_execz .LBB271_76
; %bb.75:
	v_mov_b32_e32 v9, 0
	v_lshl_add_u64 v[22:23], v[6:7], 0, v[8:9]
	global_load_ushort v13, v[22:23], off offset:32
	v_lshl_add_u64 v[8:9], v[4:5], 0, v[8:9]
	s_waitcnt vmcnt(0)
	v_lshlrev_b32_e32 v13, 16, v13
	v_sub_f32_e32 v0, v13, v0
	global_store_short_d16_hi v[8:9], v0, off offset:32
	v_mul_f32_e32 v0, v18, v0
	v_lshrrev_b32_e32 v9, 16, v0
.LBB271_76:
	s_or_b64 exec, exec, s[6:7]
	s_and_saveexec_b64 s[6:7], s[2:3]
	s_cbranch_execz .LBB271_78
; %bb.77:
	v_mov_b32_e32 v11, 0
	v_lshl_add_u64 v[22:23], v[6:7], 0, v[10:11]
	global_load_ushort v0, v[22:23], off offset:32
	v_lshl_add_u64 v[10:11], v[4:5], 0, v[10:11]
	s_waitcnt vmcnt(0)
	v_lshlrev_b32_e32 v0, 16, v0
	v_sub_f32_e32 v0, v0, v1
	global_store_short_d16_hi v[10:11], v0, off offset:32
	v_mul_f32_e32 v0, v16, v0
	v_lshrrev_b32_e32 v11, 16, v0
.LBB271_78:
	s_or_b64 exec, exec, s[6:7]
	v_mov_b32_e32 v0, 0
	v_mov_b32_e32 v1, 0
	s_and_saveexec_b64 s[2:3], s[0:1]
	s_cbranch_execz .LBB271_80
; %bb.79:
	v_mov_b32_e32 v13, 0
	v_lshl_add_u64 v[22:23], v[6:7], 0, v[12:13]
	global_load_ushort v1, v[22:23], off offset:32
	v_lshl_add_u64 v[12:13], v[4:5], 0, v[12:13]
	s_waitcnt vmcnt(0)
	v_lshlrev_b32_e32 v1, 16, v1
	v_sub_f32_e32 v1, v1, v2
	global_store_short_d16_hi v[12:13], v1, off offset:32
	v_mul_f32_e32 v1, v20, v1
	v_lshrrev_b32_e32 v1, 16, v1
.LBB271_80:
	s_or_b64 exec, exec, s[2:3]
	s_and_saveexec_b64 s[0:1], s[4:5]
	s_cbranch_execz .LBB271_82
; %bb.81:
	v_mov_b32_e32 v15, 0
	v_lshl_add_u64 v[6:7], v[6:7], 0, v[14:15]
	global_load_ushort v0, v[6:7], off offset:32
	v_lshl_add_u64 v[4:5], v[4:5], 0, v[14:15]
	s_waitcnt vmcnt(0)
	v_lshlrev_b32_e32 v0, 16, v0
	v_sub_f32_e32 v0, v0, v3
	global_store_short_d16_hi v[4:5], v0, off offset:32
	v_mul_f32_e32 v0, v17, v0
	v_lshrrev_b32_e32 v0, 16, v0
.LBB271_82:
	s_or_b64 exec, exec, s[0:1]
	s_mov_b32 s0, 0x5040100
	v_or_b32_e32 v2, v21, v19
	v_perm_b32 v1, v0, v1, s0
	v_perm_b32 v0, v11, v9, s0
	v_lshlrev_b32_e32 v2, 1, v2
	ds_write_b64 v2, v[0:1] offset:45056
	s_waitcnt lgkmcnt(0)
	s_barrier
.LBB271_83:
	s_endpgm
	.section	.rodata,"a",@progbits
	.p2align	6, 0x0
	.amdhsa_kernel _ZN12_GLOBAL__N_139chunk_gated_delta_rule_fwd_h_hip_kernelILi32ELb0ELb0ELb1ELb0ELb1ELb1ELb1ELb1EEEvPK12hip_bfloat16S3_S3_PKfS5_PKvPS1_S8_PvPKiSB_iiiiilll
		.amdhsa_group_segment_fixed_size 49152
		.amdhsa_private_segment_fixed_size 0
		.amdhsa_kernarg_size 136
		.amdhsa_user_sgpr_count 2
		.amdhsa_user_sgpr_dispatch_ptr 0
		.amdhsa_user_sgpr_queue_ptr 0
		.amdhsa_user_sgpr_kernarg_segment_ptr 1
		.amdhsa_user_sgpr_dispatch_id 0
		.amdhsa_user_sgpr_kernarg_preload_length 0
		.amdhsa_user_sgpr_kernarg_preload_offset 0
		.amdhsa_user_sgpr_private_segment_size 0
		.amdhsa_uses_dynamic_stack 0
		.amdhsa_enable_private_segment 0
		.amdhsa_system_sgpr_workgroup_id_x 1
		.amdhsa_system_sgpr_workgroup_id_y 1
		.amdhsa_system_sgpr_workgroup_id_z 0
		.amdhsa_system_sgpr_workgroup_info 0
		.amdhsa_system_vgpr_workitem_id 0
		.amdhsa_next_free_vgpr 164
		.amdhsa_next_free_sgpr 67
		.amdhsa_accum_offset 144
		.amdhsa_reserve_vcc 1
		.amdhsa_float_round_mode_32 0
		.amdhsa_float_round_mode_16_64 0
		.amdhsa_float_denorm_mode_32 3
		.amdhsa_float_denorm_mode_16_64 3
		.amdhsa_dx10_clamp 1
		.amdhsa_ieee_mode 1
		.amdhsa_fp16_overflow 0
		.amdhsa_tg_split 0
		.amdhsa_exception_fp_ieee_invalid_op 0
		.amdhsa_exception_fp_denorm_src 0
		.amdhsa_exception_fp_ieee_div_zero 0
		.amdhsa_exception_fp_ieee_overflow 0
		.amdhsa_exception_fp_ieee_underflow 0
		.amdhsa_exception_fp_ieee_inexact 0
		.amdhsa_exception_int_div_zero 0
	.end_amdhsa_kernel
	.section	.text._ZN12_GLOBAL__N_139chunk_gated_delta_rule_fwd_h_hip_kernelILi32ELb0ELb0ELb1ELb0ELb1ELb1ELb1ELb1EEEvPK12hip_bfloat16S3_S3_PKfS5_PKvPS1_S8_PvPKiSB_iiiiilll,"axG",@progbits,_ZN12_GLOBAL__N_139chunk_gated_delta_rule_fwd_h_hip_kernelILi32ELb0ELb0ELb1ELb0ELb1ELb1ELb1ELb1EEEvPK12hip_bfloat16S3_S3_PKfS5_PKvPS1_S8_PvPKiSB_iiiiilll,comdat
.Lfunc_end271:
	.size	_ZN12_GLOBAL__N_139chunk_gated_delta_rule_fwd_h_hip_kernelILi32ELb0ELb0ELb1ELb0ELb1ELb1ELb1ELb1EEEvPK12hip_bfloat16S3_S3_PKfS5_PKvPS1_S8_PvPKiSB_iiiiilll, .Lfunc_end271-_ZN12_GLOBAL__N_139chunk_gated_delta_rule_fwd_h_hip_kernelILi32ELb0ELb0ELb1ELb0ELb1ELb1ELb1ELb1EEEvPK12hip_bfloat16S3_S3_PKfS5_PKvPS1_S8_PvPKiSB_iiiiilll
                                        ; -- End function
	.section	.AMDGPU.csdata,"",@progbits
; Kernel info:
; codeLenInByte = 8852
; NumSgprs: 73
; NumVgprs: 142
; NumAgprs: 20
; TotalNumVgprs: 164
; ScratchSize: 0
; MemoryBound: 0
; FloatMode: 240
; IeeeMode: 1
; LDSByteSize: 49152 bytes/workgroup (compile time only)
; SGPRBlocks: 9
; VGPRBlocks: 20
; NumSGPRsForWavesPerEU: 73
; NumVGPRsForWavesPerEU: 164
; AccumOffset: 144
; Occupancy: 1
; WaveLimiterHint : 1
; COMPUTE_PGM_RSRC2:SCRATCH_EN: 0
; COMPUTE_PGM_RSRC2:USER_SGPR: 2
; COMPUTE_PGM_RSRC2:TRAP_HANDLER: 0
; COMPUTE_PGM_RSRC2:TGID_X_EN: 1
; COMPUTE_PGM_RSRC2:TGID_Y_EN: 1
; COMPUTE_PGM_RSRC2:TGID_Z_EN: 0
; COMPUTE_PGM_RSRC2:TIDIG_COMP_CNT: 0
; COMPUTE_PGM_RSRC3_GFX90A:ACCUM_OFFSET: 35
; COMPUTE_PGM_RSRC3_GFX90A:TG_SPLIT: 0
	.section	.text._ZN12_GLOBAL__N_139chunk_gated_delta_rule_fwd_h_hip_kernelILi32ELb0ELb0ELb0ELb0ELb1ELb1ELb1ELb1EEEvPK12hip_bfloat16S3_S3_PKfS5_PKvPS1_S8_PvPKiSB_iiiiilll,"axG",@progbits,_ZN12_GLOBAL__N_139chunk_gated_delta_rule_fwd_h_hip_kernelILi32ELb0ELb0ELb0ELb0ELb1ELb1ELb1ELb1EEEvPK12hip_bfloat16S3_S3_PKfS5_PKvPS1_S8_PvPKiSB_iiiiilll,comdat
	.globl	_ZN12_GLOBAL__N_139chunk_gated_delta_rule_fwd_h_hip_kernelILi32ELb0ELb0ELb0ELb0ELb1ELb1ELb1ELb1EEEvPK12hip_bfloat16S3_S3_PKfS5_PKvPS1_S8_PvPKiSB_iiiiilll ; -- Begin function _ZN12_GLOBAL__N_139chunk_gated_delta_rule_fwd_h_hip_kernelILi32ELb0ELb0ELb0ELb0ELb1ELb1ELb1ELb1EEEvPK12hip_bfloat16S3_S3_PKfS5_PKvPS1_S8_PvPKiSB_iiiiilll
	.p2align	8
	.type	_ZN12_GLOBAL__N_139chunk_gated_delta_rule_fwd_h_hip_kernelILi32ELb0ELb0ELb0ELb0ELb1ELb1ELb1ELb1EEEvPK12hip_bfloat16S3_S3_PKfS5_PKvPS1_S8_PvPKiSB_iiiiilll,@function
_ZN12_GLOBAL__N_139chunk_gated_delta_rule_fwd_h_hip_kernelILi32ELb0ELb0ELb0ELb0ELb1ELb1ELb1ELb1EEEvPK12hip_bfloat16S3_S3_PKfS5_PKvPS1_S8_PvPKiSB_iiiiilll: ; @_ZN12_GLOBAL__N_139chunk_gated_delta_rule_fwd_h_hip_kernelILi32ELb0ELb0ELb0ELb0ELb1ELb1ELb1ELb1EEEvPK12hip_bfloat16S3_S3_PKfS5_PKvPS1_S8_PvPKiSB_iiiiilll
; %bb.0:
	s_load_dwordx4 s[12:15], s[0:1], 0x5c
	s_load_dwordx2 s[36:37], s[0:1], 0x30
	s_abs_i32 s18, s3
	s_ashr_i32 s17, s3, 31
	s_load_dwordx8 s[4:11], s[0:1], 0x0
	s_waitcnt lgkmcnt(0)
	s_abs_i32 s16, s13
	v_cvt_f32_u32_e32 v1, s16
	s_sub_i32 s20, 0, s16
	s_ashr_i32 s19, s13, 31
	s_xor_b32 s17, s17, s19
	v_rcp_iflag_f32_e32 v1, v1
	v_lshrrev_b32_e32 v61, 6, v0
	v_bfe_u32 v62, v0, 4, 2
	v_lshlrev_b32_e32 v2, 2, v62
	v_mul_f32_e32 v1, 0x4f7ffffe, v1
	v_cvt_u32_f32_e32 v1, v1
	v_and_b32_e32 v60, 63, v0
	v_mov_b32_e32 v5, 0
	v_and_b32_e32 v45, 15, v0
	v_readfirstlane_b32 s21, v1
	s_mul_i32 s20, s20, s21
	s_mul_hi_u32 s20, s21, s20
	s_add_i32 s21, s21, s20
	s_mul_hi_u32 s20, s18, s21
	s_mul_i32 s21, s20, s16
	s_sub_i32 s18, s18, s21
	s_add_i32 s22, s20, 1
	s_sub_i32 s21, s18, s16
	s_cmp_ge_u32 s18, s16
	s_cselect_b32 s20, s22, s20
	s_cselect_b32 s18, s21, s18
	s_add_i32 s21, s20, 1
	s_cmp_ge_u32 s18, s16
	s_cselect_b32 s18, s21, s20
	s_abs_i32 s20, s14
	v_cvt_f32_u32_e32 v1, s20
	s_xor_b32 s18, s18, s17
	s_ashr_i32 s46, s12, 31
	s_sub_i32 s48, s18, s17
	v_rcp_iflag_f32_e32 v1, v1
	s_lshr_b32 s17, s46, 26
	s_add_i32 s17, s12, s17
	s_ashr_i32 s49, s14, 31
	v_mul_f32_e32 v1, 0x4f7ffffe, v1
	v_cvt_u32_f32_e32 v1, v1
	s_ashr_i32 s47, s17, 6
	s_xor_b32 s17, s19, s49
	s_sub_i32 s18, 0, s20
	v_readfirstlane_b32 s19, v1
	s_mul_i32 s18, s18, s19
	s_mul_hi_u32 s18, s19, s18
	s_add_i32 s19, s19, s18
	s_mul_hi_u32 s18, s16, s19
	s_mul_i32 s19, s18, s20
	s_mul_i32 s45, s48, s13
	s_sub_i32 s16, s16, s19
	s_sub_i32 s33, s3, s45
	s_add_i32 s3, s12, 63
	s_add_i32 s19, s18, 1
	s_sub_i32 s21, s16, s20
	s_cmp_ge_u32 s16, s20
	s_cselect_b32 s18, s19, s18
	s_cselect_b32 s16, s21, s16
	s_add_i32 s19, s18, 1
	s_cmp_ge_u32 s16, s20
	s_cselect_b32 s16, s19, s18
	s_xor_b32 s16, s16, s17
	s_sub_i32 s20, s16, s17
	s_abs_i32 s21, s20
	v_cvt_f32_u32_e32 v1, s21
	s_sub_i32 s23, 0, s21
	s_abs_i32 s22, s33
	s_xor_b32 s20, s33, s20
	v_rcp_iflag_f32_e32 v1, v1
	s_ashr_i32 s20, s20, 31
	s_load_dwordx2 s[28:29], s[0:1], 0x80
	s_load_dwordx4 s[16:19], s[0:1], 0x70
	s_mul_hi_i32 s51, s48, s13
	v_mul_f32_e32 v1, 0x4f7ffffe, v1
	v_cvt_u32_f32_e32 v1, v1
	v_lshrrev_b32_e32 v64, 3, v60
	v_lshlrev_b32_e32 v63, 3, v0
	s_waitcnt lgkmcnt(0)
	s_mul_i32 s17, s48, s17
	v_readfirstlane_b32 s24, v1
	s_mul_i32 s23, s23, s24
	s_mul_hi_u32 s23, s24, s23
	s_add_i32 s24, s24, s23
	s_mul_hi_u32 s23, s22, s24
	s_mul_i32 s24, s23, s21
	s_sub_i32 s22, s22, s24
	s_add_i32 s24, s23, 1
	s_sub_i32 s25, s22, s21
	s_cmp_ge_u32 s22, s21
	s_cselect_b32 s23, s24, s23
	s_cselect_b32 s22, s25, s22
	s_add_i32 s24, s23, 1
	s_cmp_ge_u32 s22, s21
	s_cselect_b32 s21, s24, s23
	s_xor_b32 s21, s21, s20
	s_sub_i32 s52, s21, s20
	s_ashr_i32 s20, s3, 31
	s_lshr_b32 s20, s20, 26
	v_lshlrev_b32_e32 v1, 4, v61
	s_add_i32 s3, s3, s20
	v_or_b32_e32 v65, v2, v1
	s_ashr_i32 s3, s3, 6
	s_lshl_b32 s30, s2, 5
	s_mul_i32 s50, s48, s3
	v_or_b32_e32 v66, 64, v65
	s_cmp_lt_i32 s12, 64
	s_mul_hi_u32 s44, s48, s16
	s_mul_i32 s34, s48, s16
	v_mov_b32_e32 v83, 0
	v_mov_b32_e32 v81, 0
	v_mov_b32_e32 v82, 0
	v_mov_b32_e32 v9, 0
	v_mov_b32_e32 v86, 0
	v_mov_b32_e32 v84, 0
	v_mov_b32_e32 v85, 0
	v_mov_b32_e32 v49, 0
	v_mov_b32_e32 v48, v5
	v_mov_b32_e32 v47, 0
	v_mov_b32_e32 v46, v5
	v_mov_b32_e32 v53, 0
	v_mov_b32_e32 v52, v5
	v_mov_b32_e32 v51, v5
	v_mov_b32_e32 v50, v5
	s_cbranch_scc1 .LBB272_18
; %bb.1:
	s_ashr_i32 s24, s48, 31
	s_ashr_i32 s54, s33, 31
	s_add_u32 s2, s45, s33
	s_addc_u32 s3, s51, s54
	s_mul_i32 s3, s12, s3
	s_mul_hi_u32 s20, s12, s2
	s_add_i32 s39, s20, s3
	s_mul_i32 s38, s12, s2
	s_lshl_b64 s[2:3], s[38:39], 8
	v_and_b32_e32 v68, 56, v63
	s_add_u32 s20, s6, s2
	v_lshl_or_b32 v67, v61, 3, v64
	v_lshlrev_b32_e32 v3, 1, v68
	s_addc_u32 s2, s7, s3
	v_lshl_or_b32 v69, v67, 8, v3
	s_and_b32 s21, s2, 0xffff
	s_mov_b32 s23, 0x20000
	s_movk_i32 s22, 0x4000
	s_movk_i32 s2, 0x80
	v_or_b32_e32 v70, 0x2000, v69
	buffer_load_dwordx4 v[4:7], v69, s[20:23], 0 offen
	buffer_load_dwordx4 v[8:11], v69, s[20:23], s2 offen
	buffer_load_dwordx4 v[12:15], v70, s[20:23], 0 offen
	buffer_load_dwordx4 v[16:19], v70, s[20:23], s2 offen
	v_lshlrev_b32_e32 v20, 3, v67
	v_and_or_b32 v22, v0, 7, v20
	v_and_b32_e32 v20, 0x78, v20
	v_lshlrev_b32_e32 v22, 4, v22
	v_xor_b32_e32 v71, v22, v20
	v_mul_lo_u32 v21, v67, s15
	v_or_b32_e32 v72, 0x1000, v71
	s_cmpk_eq_i32 s15, 0x80
	s_mov_b32 s53, s14
	v_xor_b32_e32 v20, 8, v71
	v_xor_b32_e32 v22, 8, v72
	s_cselect_b64 s[2:3], -1, 0
	s_cmpk_lg_i32 s15, 0x80
	s_waitcnt vmcnt(3)
	ds_write_b64 v71, v[4:5] offset:24576
	ds_write_b64 v20, v[6:7] offset:24576
	s_waitcnt vmcnt(2)
	ds_write_b64 v71, v[8:9] offset:32768
	ds_write_b64 v20, v[10:11] offset:32768
	;; [unrolled: 3-line block ×4, first 2 shown]
	v_lshl_add_u32 v4, v21, 1, v68
	s_cbranch_scc0 .LBB272_3
; %bb.2:
	v_lshlrev_b32_e32 v6, 1, v4
	v_add_lshl_u32 v5, v4, s15, 1
	s_lshl_b32 s22, s15, 7
	s_load_dwordx2 s[40:41], s[0:1], 0x20
	v_lshl_or_b32 v3, v67, 9, v3
	s_cbranch_execz .LBB272_4
	s_branch .LBB272_5
.LBB272_3:
                                        ; implicit-def: $vgpr5
                                        ; implicit-def: $vgpr6
                                        ; implicit-def: $sgpr22
	s_load_dwordx2 s[40:41], s[0:1], 0x20
	v_lshl_or_b32 v3, v67, 9, v3
.LBB272_4:
	v_or_b32_e32 v5, 0x100, v3
	s_movk_i32 s22, 0x4000
	v_mov_b32_e32 v6, v3
.LBB272_5:
	s_mul_hi_u32 s0, s14, s12
	s_mul_i32 s1, s49, s12
	s_add_i32 s0, s0, s1
	s_mul_i32 s1, s14, s12
	s_mul_i32 s20, s1, s24
	s_mul_hi_u32 s21, s1, s48
	s_add_i32 s20, s21, s20
	s_mul_i32 s0, s0, s48
	s_add_i32 s20, s20, s0
	s_mul_i32 s1, s1, s48
	s_ashr_i32 s55, s52, 31
	s_add_u32 s0, s1, s52
	s_addc_u32 s1, s20, s55
	s_lshl_b64 s[0:1], s[0:1], 8
	s_add_u32 s20, s4, s0
	s_addc_u32 s0, s5, s1
	s_and_b32 s21, s0, 0xffff
	s_movk_i32 s56, 0x80
	buffer_load_dwordx4 v[8:11], v6, s[20:23], 0 offen
	buffer_load_dwordx4 v[12:15], v6, s[20:23], s56 offen
	;; [unrolled: 1-line block ×4, first 2 shown]
	v_and_b32_e32 v5, 6, v0
	v_lshlrev_b32_e32 v24, 6, v65
	v_or_b32_e32 v26, 16, v45
	v_xor_b32_e32 v27, v67, v5
	v_and_b32_e32 v6, 1, v0
	s_mul_i32 s0, s24, s12
	s_mul_hi_u32 s1, s48, s12
	v_lshl_or_b32 v30, v45, 3, v24
	v_lshl_or_b32 v24, v26, 3, v24
	v_lshlrev_b32_e32 v27, 2, v27
	v_lshlrev_b32_e32 v7, 2, v45
	v_or_b32_e32 v75, 0xa000, v24
	v_or_b32_e32 v76, 0xb000, v24
	v_xor_b32_e32 v24, 0x440, v27
	v_cmp_eq_u32_e32 vcc, 0, v6
	s_add_i32 s61, s1, s0
	s_add_i32 s0, s44, s17
	s_mul_i32 s24, s24, s16
	v_xor_b32_e32 v28, v65, v7
	v_xor_b32_e32 v29, v66, v7
	v_cndmask_b32_e32 v6, v24, v27, vcc
	s_add_i32 s35, s0, s24
	s_mul_i32 s0, s33, s19
	s_mul_hi_u32 s1, s33, s18
	s_mov_b32 s59, 0x1000504
	v_lshlrev_b32_e32 v25, 8, v45
	v_lshlrev_b32_e32 v28, 1, v28
	;; [unrolled: 1-line block ×3, first 2 shown]
	v_lshl_or_b32 v5, v5, 10, v6
	s_add_i32 s0, s1, s0
	s_mul_i32 s1, s54, s18
	s_mov_b32 s60, 0x3020706
	v_or_b32_e32 v73, 0xa000, v30
	v_or_b32_e32 v74, 0xb000, v30
	;; [unrolled: 1-line block ×4, first 2 shown]
	v_xor_b32_e32 v6, 8, v5
	v_xor_b32_e32 v25, 24, v5
	;; [unrolled: 1-line block ×4, first 2 shown]
	s_add_i32 s1, s0, s1
	s_lshl_b64 s[20:21], s[34:35], 2
	v_xor_b32_e32 v24, 16, v5
	v_xor_b32_e32 v27, 32, v5
	;; [unrolled: 1-line block ×3, first 2 shown]
	v_add_u32_e32 v6, 0x80, v6
	v_add_u32_e32 v25, 0x80, v25
	;; [unrolled: 1-line block ×4, first 2 shown]
	s_mul_i32 s0, s33, s18
	s_add_u32 s20, s10, s20
	s_addc_u32 s21, s11, s21
	s_lshl_b64 s[0:1], s[0:1], 2
	s_add_u32 s42, s20, s0
	s_movk_i32 s0, 0xf8
	s_addc_u32 s43, s21, s1
	s_ashr_i32 s31, s30, 31
	s_lshl_b32 s26, s15, 7
	s_movk_i32 s20, 0x100
	v_mov_b32_e32 v55, 0
	v_lshlrev_b32_e32 v54, 4, v45
	v_cmp_gt_u32_e32 vcc, s20, v0
	s_mul_i32 s57, s48, s12
	s_mov_b32 s58, 0
	s_movk_i32 s35, 0x1000
	s_movk_i32 s22, 0x4000
	v_add_u32_e32 v100, v1, v2
	s_mov_b32 s62, 0x7060302
	s_mov_b32 s64, 0
	v_mov_b32_e32 v50, v55
	v_mov_b32_e32 v51, v55
	;; [unrolled: 1-line block ×9, first 2 shown]
	s_waitcnt vmcnt(1)
	v_perm_b32 v33, v8, v16, s59
	s_waitcnt vmcnt(0)
	v_perm_b32 v34, v12, v20, s59
	v_perm_b32 v8, v8, v16, s60
	;; [unrolled: 1-line block ×15, first 2 shown]
	ds_write2st64_b32 v5, v33, v34 offset0:32 offset1:64
	ds_write2st64_b32 v6, v8, v12 offset0:32 offset1:64
	ds_write2st64_b32 v24, v16, v20 offset0:33 offset1:65
	ds_write2st64_b32 v25, v9, v13 offset0:33 offset1:65
	ds_write2st64_b32 v27, v17, v21 offset0:34 offset1:66
	ds_write2st64_b32 v30, v10, v14 offset0:34 offset1:66
	ds_write2st64_b32 v31, v18, v22 offset0:35 offset1:67
	ds_write2st64_b32 v32, v11, v15 offset0:35 offset1:67
	v_lshlrev_b32_e32 v5, 8, v26
	v_or_b32_e32 v79, v5, v28
	v_or_b32_e32 v80, v5, v29
	;; [unrolled: 1-line block ×3, first 2 shown]
	v_lshlrev_b32_e32 v5, 3, v5
	v_lshrrev_b32_e32 v8, 5, v60
	v_and_or_b32 v8, v5, s0, v8
	v_lshrrev_b32_e32 v6, 2, v60
	v_lshlrev_b32_e32 v11, 11, v61
	v_lshlrev_b32_e32 v8, 4, v8
	v_and_b32_e32 v5, 0x78, v5
	v_and_b32_e32 v9, 12, v6
	;; [unrolled: 1-line block ×3, first 2 shown]
	v_xor_b32_e32 v10, v8, v5
	v_lshrrev_b32_e32 v12, 1, v60
	v_or_b32_e32 v10, v10, v6
	v_and_b32_e32 v12, 8, v12
	v_xor_b32_e32 v87, v10, v12
	v_or_b32_e32 v10, 32, v8
	v_xor_b32_e32 v10, v10, v5
	v_or_b32_e32 v10, v10, v6
	;; [unrolled: 2-line block ×3, first 2 shown]
	v_or_b32_e32 v8, 0x60, v8
	v_xor_b32_e32 v10, v10, v5
	v_xor_b32_e32 v5, v8, v5
	s_lshl_b64 s[0:1], s[30:31], 8
	v_or_b32_e32 v10, v10, v6
	v_or_b32_e32 v5, v5, v6
	v_lshlrev_b32_e32 v14, 1, v4
	v_add_lshl_u32 v15, v4, s15, 1
	s_add_u32 s0, s36, s0
	v_lshlrev_b32_e32 v4, 1, v45
	v_xor_b32_e32 v91, v10, v12
	v_xor_b32_e32 v92, v5, v12
	v_lshrrev_b32_e32 v10, 4, v0
	s_addc_u32 s1, s37, s1
	v_or_b32_e32 v5, 1, v4
	v_mov_b32_e32 v20, 0x4000
	v_mov_b32_e32 v21, 0x2000
	v_lshrrev_b32_e32 v22, 1, v0
	v_xor_b32_e32 v12, v10, v4
	v_xor_b32_e32 v17, v5, v10
	v_lshl_add_u64 v[4:5], s[0:1], 0, v[54:55]
	v_lshlrev_b32_e32 v54, 8, v10
	v_cndmask_b32_e32 v20, v20, v21, vcc
	v_lshlrev_b32_e32 v21, 3, v61
	v_and_b32_e32 v22, 24, v22
	v_lshl_or_b32 v95, v12, 3, v54
	v_and_b32_e32 v12, 8, v0
	v_xor_b32_e32 v23, v21, v22
	v_or_b32_e32 v24, 0x440, v23
	v_cmp_eq_u32_e32 vcc, 0, v12
	v_and_b32_e32 v10, 7, v0
	v_lshlrev_b32_e32 v13, 7, v62
	v_cndmask_b32_e32 v12, v24, v23, vcc
	v_lshl_or_b32 v96, v17, 3, v54
	v_lshlrev_b32_e32 v17, 3, v10
	v_lshlrev_b32_e32 v19, 2, v0
	v_or_b32_e32 v12, v12, v11
	v_or_b32_e32 v7, v13, v7
	v_xor_b32_e32 v23, v12, v17
	v_and_or_b32 v12, v19, 60, v13
	v_mov_b32_e32 v13, 0xb000
	v_lshl_or_b32 v97, v12, 1, v13
	v_or_b32_e32 v12, 32, v22
	v_xor_b32_e32 v12, v21, v12
	v_or_b32_e32 v13, 0x440, v12
	v_cndmask_b32_e32 v12, v13, v12, vcc
	v_or_b32_e32 v12, v12, v11
	v_xor_b32_e32 v13, v12, v17
	v_or_b32_e32 v12, 64, v22
	v_xor_b32_e32 v12, v21, v12
	v_xor_b32_e32 v25, 0x440, v12
	v_cndmask_b32_e32 v12, v25, v12, vcc
	v_or_b32_e32 v12, v12, v11
	v_xor_b32_e32 v25, v12, v17
	v_or_b32_e32 v12, 0x60, v22
	v_xor_b32_e32 v12, v21, v12
	v_xor_b32_e32 v21, 0x440, v12
	v_cndmask_b32_e32 v12, v21, v12, vcc
	v_or_b32_e32 v11, v12, v11
	v_lshlrev_b32_e32 v7, 1, v7
	v_or_b32_e32 v6, s30, v45
	v_xor_b32_e32 v11, v11, v17
	v_or_b32_e32 v88, 0xa000, v7
	v_or_b32_e32 v90, 0xa080, v7
	;; [unrolled: 1-line block ×4, first 2 shown]
	v_lshlrev_b32_e32 v8, 7, v65
	v_ashrrev_i32_e32 v7, 31, v6
	v_or_b32_e32 v16, 0x100, v3
	v_lshlrev_b32_e32 v18, 7, v10
	v_or_b32_e32 v10, v9, v1
	v_add_u32_e32 v24, v20, v23
	v_add_u32_e32 v19, v20, v13
	;; [unrolled: 1-line block ×4, first 2 shown]
	v_or3_b32 v12, v1, v9, 64
	v_add_u32_e32 v9, 0x4000, v23
	v_add_u32_e32 v13, 0x4000, v13
	;; [unrolled: 1-line block ×4, first 2 shown]
	v_cndmask_b32_e64 v98, v14, v3, s[2:3]
	v_cndmask_b32_e64 v99, v15, v16, s[2:3]
	v_lshl_add_u64 v[56:57], v[6:7], 1, s[8:9]
	v_lshl_add_u64 v[58:59], v[4:5], 0, v[54:55]
	s_add_i32 s31, s57, 63
	v_lshlrev_b32_e32 v54, 1, v8
	v_lshlrev_b32_e32 v101, 2, v10
	v_add_u32_e32 v102, v24, v18
	v_add_u32_e32 v103, v19, v18
	;; [unrolled: 1-line block ×4, first 2 shown]
	v_lshlrev_b32_e32 v106, 2, v12
	v_add_u32_e32 v107, v9, v18
	v_add_u32_e32 v108, v13, v18
	;; [unrolled: 1-line block ×4, first 2 shown]
	v_mov_b32_e32 v84, v55
	v_mov_b32_e32 v86, v55
	;; [unrolled: 1-line block ×7, first 2 shown]
	s_waitcnt lgkmcnt(0)
	s_barrier
.LBB272_6:                              ; =>This Inner Loop Header: Depth=1
	s_add_i32 s63, s64, 1
	s_cmp_lt_i32 s63, s47
	s_mov_b64 s[24:25], 0
	s_cselect_b64 s[2:3], -1, 0
	s_cmp_ge_i32 s63, s47
	s_mov_b64 s[20:21], 0
	s_cbranch_scc1 .LBB272_8
; %bb.7:                                ;   in Loop: Header=BB272_6 Depth=1
	s_add_i32 s0, s58, 64
	s_add_u32 s0, s38, s0
	s_addc_u32 s1, s39, 0
	s_lshl_b64 s[0:1], s[0:1], 8
	s_add_u32 s20, s6, s0
	s_addc_u32 s21, s7, s1
.LBB272_8:                              ;   in Loop: Header=BB272_6 Depth=1
	v_cndmask_b32_e64 v2, 0, 1, s[2:3]
	v_cmp_ne_u32_e64 s[0:1], 1, v2
	s_andn2_b64 vcc, exec, s[2:3]
	s_cbranch_vccnz .LBB272_10
; %bb.9:                                ;   in Loop: Header=BB272_6 Depth=1
	s_add_i32 s2, s58, 64
	s_add_u32 s2, s57, s2
	s_addc_u32 s3, s61, 0
	s_mul_i32 s24, s2, s49
	s_mul_hi_u32 s25, s2, s53
	s_add_i32 s24, s25, s24
	s_mul_i32 s3, s3, s53
	s_add_i32 s24, s24, s3
	s_mul_i32 s2, s2, s53
	s_add_u32 s2, s2, s52
	s_addc_u32 s3, s24, s55
	s_lshl_b64 s[2:3], s[2:3], 8
	s_add_u32 s24, s4, s2
	s_addc_u32 s25, s5, s3
.LBB272_10:                             ;   in Loop: Header=BB272_6 Depth=1
	v_perm_b32 v3, v53, v52, s62
	v_perm_b32 v2, v51, v50, s62
	;; [unrolled: 1-line block ×4, first 2 shown]
	ds_write_b64 v73, v[2:3]
	ds_write_b64 v74, v[4:5]
	;; [unrolled: 1-line block ×4, first 2 shown]
	v_perm_b32 v3, v112, v86, s62
	v_perm_b32 v2, v84, v85, s62
	;; [unrolled: 1-line block ×4, first 2 shown]
	ds_write_b64 v75, v[2:3]
	ds_write_b64 v76, v[4:5]
	;; [unrolled: 1-line block ×4, first 2 shown]
	s_waitcnt lgkmcnt(0)
	s_barrier
	ds_read_b64 v[6:7], v87 offset:24576
	ds_read2_b64 v[2:5], v88 offset1:16
	ds_read_b64 v[10:11], v90 offset:3072
	ds_read_b64 v[12:13], v88 offset:3072
	;; [unrolled: 1-line block ×3, first 2 shown]
	s_waitcnt lgkmcnt(3)
	v_mfma_f32_16x16x16_bf16 a[0:3], v[6:7], v[2:3], 0
	s_add_i32 s2, s58, 63
	s_mul_i32 s3, s2, s29
	s_mul_hi_u32 s27, s2, s28
	v_mfma_f32_16x16x16_bf16 a[4:7], v[6:7], v[4:5], 0
	ds_read2st64_b64 v[2:5], v88 offset0:2 offset1:4
	ds_read2st64_b64 v[6:9], v90 offset0:2 offset1:4
	s_add_i32 s3, s27, s3
	s_waitcnt lgkmcnt(1)
	v_mfma_f32_16x16x16_bf16 a[0:3], v[14:15], v[2:3], a[0:3]
	s_mul_i32 s2, s2, s28
	s_lshl_b64 s[2:3], s[2:3], 2
	s_add_u32 s2, s42, s2
	s_waitcnt lgkmcnt(0)
	v_mfma_f32_16x16x16_bf16 a[4:7], v[14:15], v[6:7], a[4:7]
	ds_read_b64 v[2:3], v91 offset:24576
	ds_read_b64 v[6:7], v92 offset:24576
	s_addc_u32 s3, s43, s3
	s_and_b64 vcc, exec, s[0:1]
	s_waitcnt lgkmcnt(1)
	v_mfma_f32_16x16x16_bf16 a[0:3], v[2:3], v[4:5], a[0:3]
	v_mov_b32_e32 v115, 0
	v_mov_b32_e32 v114, 0
	;; [unrolled: 1-line block ×3, first 2 shown]
	v_mfma_f32_16x16x16_bf16 a[4:7], v[2:3], v[8:9], a[4:7]
	v_mov_b32_e32 v2, 0
	v_mov_b32_e32 v3, 0
	;; [unrolled: 1-line block ×3, first 2 shown]
	s_waitcnt lgkmcnt(0)
	v_mfma_f32_16x16x16_bf16 a[0:3], v[6:7], v[12:13], a[0:3]
	v_mov_b32_e32 v5, 0
	v_mov_b32_e32 v8, 0
	;; [unrolled: 1-line block ×3, first 2 shown]
	v_mfma_f32_16x16x16_bf16 a[4:7], v[6:7], v[10:11], a[4:7]
	v_mov_b32_e32 v6, 0
	v_mov_b32_e32 v7, 0
	;; [unrolled: 1-line block ×10, first 2 shown]
	s_cbranch_vccnz .LBB272_12
; %bb.11:                               ;   in Loop: Header=BB272_6 Depth=1
	s_and_b32 s21, s21, 0xffff
	buffer_load_dwordx4 v[14:17], v69, s[20:23], 0 offen
	buffer_load_dwordx4 v[10:13], v69, s[20:23], s56 offen
	;; [unrolled: 1-line block ×4, first 2 shown]
	v_mov_b32_e32 v114, v71
	v_mov_b32_e32 v113, v72
.LBB272_12:                             ;   in Loop: Header=BB272_6 Depth=1
	ds_read_b64 v[22:23], v87 offset:32768
	ds_read2_b64 v[18:21], v93 offset1:16
	ds_read_b64 v[26:27], v89 offset:32768
	ds_read_b64 v[28:29], v91 offset:32768
	;; [unrolled: 1-line block ×3, first 2 shown]
	v_add_u32_e32 v34, s58, v100
	s_waitcnt lgkmcnt(3)
	v_mfma_f32_16x16x16_bf16 a[0:3], v[22:23], v[18:19], a[0:3]
	v_mov_b32_e32 v116, 0
	v_mfma_f32_16x16x16_bf16 a[4:7], v[22:23], v[20:21], a[4:7]
	ds_read2st64_b64 v[18:21], v93 offset0:2 offset1:4
	ds_read2st64_b64 v[22:25], v94 offset0:2 offset1:4
	s_waitcnt lgkmcnt(1)
	v_mfma_f32_16x16x16_bf16 a[0:3], v[26:27], v[18:19], a[0:3]
	ds_read_b64 v[18:19], v93 offset:3072
	ds_read_b64 v[32:33], v94 offset:3072
	s_waitcnt lgkmcnt(2)
	v_mfma_f32_16x16x16_bf16 a[4:7], v[26:27], v[22:23], a[4:7]
	v_ashrrev_i32_e32 v22, 31, v34
	v_mul_lo_u32 v23, v34, s29
	v_mul_lo_u32 v22, v22, s28
	v_mfma_f32_16x16x16_bf16 a[0:3], v[28:29], v[20:21], a[0:3]
	v_mad_u64_u32 v[20:21], s[20:21], v34, s28, 0
	v_add3_u32 v21, v21, v23, v22
	v_lshl_add_u64 v[20:21], v[20:21], 2, s[42:43]
	global_load_dword v26, v[20:21], off
	v_add_u32_e32 v20, 1, v34
	v_ashrrev_i32_e32 v21, 31, v20
	s_waitcnt lgkmcnt(1)
	v_mfma_f32_16x16x16_bf16 a[0:3], v[30:31], v[18:19], a[0:3]
	v_mul_lo_u32 v21, v21, s28
	v_mul_lo_u32 v22, v20, s29
	v_mad_u64_u32 v[18:19], s[20:21], v20, s28, 0
	v_add_u32_e32 v20, 2, v34
	v_add3_u32 v19, v19, v22, v21
	v_ashrrev_i32_e32 v21, 31, v20
	v_mul_lo_u32 v22, v21, s28
	v_mul_lo_u32 v23, v20, s29
	v_mad_u64_u32 v[20:21], s[20:21], v20, s28, 0
	v_add3_u32 v21, v21, v23, v22
	v_add_u32_e32 v22, 3, v34
	v_ashrrev_i32_e32 v23, 31, v22
	v_mfma_f32_16x16x16_bf16 a[4:7], v[28:29], v[24:25], a[4:7]
	v_mul_lo_u32 v24, v23, s28
	v_mul_lo_u32 v25, v22, s29
	v_mad_u64_u32 v[22:23], s[20:21], v22, s28, 0
	s_add_u32 s20, s38, s58
	s_addc_u32 s21, s39, 0
	s_lshl_b64 s[20:21], s[20:21], 8
	v_add3_u32 v23, v23, v25, v24
	v_lshl_add_u64 v[24:25], v[56:57], 0, s[20:21]
	v_lshl_add_u64 v[18:19], v[18:19], 2, s[42:43]
	;; [unrolled: 1-line block ×4, first 2 shown]
	global_load_ushort v28, v[24:25], off
	global_load_ushort v27, v[24:25], off offset:256
	global_load_ushort v36, v[24:25], off offset:800
	;; [unrolled: 1-line block ×7, first 2 shown]
	v_lshl_add_u64 v[22:23], v[22:23], 2, s[42:43]
	global_load_dword v39, v[18:19], off
	global_load_dword v40, v[20:21], off
	;; [unrolled: 1-line block ×3, first 2 shown]
	s_load_dword s2, s[2:3], 0x0
	s_waitcnt lgkmcnt(0)
	v_mfma_f32_16x16x16_bf16 a[4:7], v[30:31], v[32:33], a[4:7]
	v_accvgpr_read_b32 v23, a1
	v_accvgpr_read_b32 v19, a3
	;; [unrolled: 1-line block ×4, first 2 shown]
	s_and_b64 vcc, exec, s[0:1]
	s_waitcnt vmcnt(11)
	v_sub_f32_e32 v32, s2, v26
	v_exp_f32_e32 v32, v32
	v_accvgpr_read_b32 v25, a5
	v_accvgpr_read_b32 v24, a4
	v_accvgpr_read_b32 v21, a7
	v_accvgpr_read_b32 v20, a6
	s_waitcnt vmcnt(10)
	v_lshlrev_b32_e32 v26, 16, v28
	s_waitcnt vmcnt(9)
	v_lshlrev_b32_e32 v27, 16, v27
	v_pk_add_f32 v[22:23], v[26:27], v[22:23] neg_lo:[0,1] neg_hi:[0,1]
	s_waitcnt vmcnt(7)
	v_lshlrev_b32_e32 v29, 16, v29
	v_mov_b32_e32 v26, 0
	s_waitcnt vmcnt(5)
	v_lshlrev_b32_e32 v28, 16, v34
	s_waitcnt vmcnt(4)
	v_lshlrev_b32_e32 v31, 16, v35
	s_waitcnt vmcnt(2)
	v_sub_f32_e32 v33, s2, v39
	s_waitcnt vmcnt(1)
	v_sub_f32_e32 v34, s2, v40
	;; [unrolled: 2-line block ×3, first 2 shown]
	v_exp_f32_e32 v33, v33
	v_exp_f32_e32 v34, v34
	;; [unrolled: 1-line block ×3, first 2 shown]
	v_pk_add_f32 v[18:19], v[28:29], v[18:19] neg_lo:[0,1] neg_hi:[0,1]
	v_lshlrev_b32_e32 v30, 16, v38
	v_pk_mul_f32 v[22:23], v[32:33], v[22:23]
	v_pk_mul_f32 v[18:19], v[34:35], v[18:19]
	v_mov_b32_e32 v27, 0
	v_perm_b32 v19, v19, v18, s62
	v_perm_b32 v18, v23, v22, s62
	v_pk_add_f32 v[22:23], v[30:31], v[24:25] neg_lo:[0,1] neg_hi:[0,1]
	v_lshlrev_b32_e32 v25, 16, v36
	v_lshlrev_b32_e32 v24, 16, v37
	v_pk_add_f32 v[20:21], v[24:25], v[20:21] neg_lo:[0,1] neg_hi:[0,1]
	v_pk_mul_f32 v[22:23], v[32:33], v[22:23]
	v_pk_mul_f32 v[20:21], v[34:35], v[20:21]
	v_mov_b32_e32 v24, 0
	v_perm_b32 v21, v21, v20, s62
	v_perm_b32 v20, v23, v22, s62
	ds_write2_b64 v74, v[18:19], v[20:21] offset1:16
	v_mov_b32_e32 v18, 0
	v_mov_b32_e32 v19, 0
	;; [unrolled: 1-line block ×13, first 2 shown]
	s_cbranch_vccnz .LBB272_14
; %bb.13:                               ;   in Loop: Header=BB272_6 Depth=1
	s_and_b32 s25, s25, 0xffff
	s_mov_b32 s27, s23
	buffer_load_dwordx4 v[30:33], v98, s[24:27], 0 offen
	buffer_load_dwordx4 v[22:25], v98, s[24:27], s56 offen
	;; [unrolled: 1-line block ×4, first 2 shown]
	v_mov_b32_e32 v115, v68
	v_mov_b32_e32 v116, v67
.LBB272_14:                             ;   in Loop: Header=BB272_6 Depth=1
	s_waitcnt lgkmcnt(0)
	s_barrier
	ds_read_b64 v[38:39], v102
	ds_read_b64 v[122:123], v97
	;; [unrolled: 1-line block ×5, first 2 shown]
	ds_read_b64 v[136:137], v94 offset:3072
	ds_read2_b64 v[34:37], v93 offset0:16 offset1:128
	s_waitcnt lgkmcnt(5)
	v_mfma_f32_16x16x16_bf16 a[0:3], v[38:39], v[122:123], 0
	s_add_i32 s3, s50, s64
	s_mul_hi_i32 s21, s3, s13
	s_mul_i32 s3, s3, s13
	s_waitcnt lgkmcnt(0)
	v_mfma_f32_16x16x16_bf16 a[4:7], v[38:39], v[34:35], 0
	ds_read_b64 v[38:39], v107
	ds_read2st64_b64 v[40:43], v94 offset0:2 offset1:4
	s_add_u32 s20, s3, s33
	s_addc_u32 s21, s21, s54
	s_add_i32 s3, s31, s58
	s_lshl_b64 s[20:21], s[20:21], 15
	s_mul_hi_i32 s25, s3, s13
	s_mul_i32 s3, s3, s13
	s_add_u32 s24, s3, s33
	s_waitcnt lgkmcnt(1)
	v_mfma_f32_16x16x16_bf16 a[8:11], v[38:39], v[122:123], 0
	s_addc_u32 s25, s25, s54
	ds_read2st64_b64 v[118:121], v93 offset0:4 offset1:6
	s_lshl_b64 s[24:25], s[24:25], 9
	v_mfma_f32_16x16x16_bf16 a[0:3], v[124:125], v[36:37], a[0:3]
	s_add_u32 s24, s40, s24
	s_addc_u32 s25, s41, s25
	s_waitcnt lgkmcnt(1)
	v_mfma_f32_16x16x16_bf16 a[4:7], v[124:125], v[40:41], a[4:7]
	ds_read_b64 v[124:125], v108
	ds_read_b64 v[132:133], v109
	;; [unrolled: 1-line block ×3, first 2 shown]
	v_mfma_f32_16x16x16_bf16 a[12:15], v[38:39], v[34:35], 0
	s_waitcnt lgkmcnt(2)
	v_mfma_f32_16x16x16_bf16 a[8:11], v[124:125], v[36:37], a[8:11]
	global_load_dwordx4 v[34:37], v106, s[24:25]
	v_mfma_f32_16x16x16_bf16 a[12:15], v[124:125], v[40:41], a[12:15]
	global_load_dwordx4 v[38:41], v101, s[24:25]
	ds_read2st64_b64 v[122:125], v95 offset1:8
	s_waitcnt lgkmcnt(0)
	v_mov_b32_e32 v130, v122
	v_mfma_f32_16x16x16_bf16 a[0:3], v[126:127], v[118:119], a[0:3]
	v_mov_b32_e32 v131, v123
	v_mfma_f32_16x16x16_bf16 a[4:7], v[126:127], v[42:43], a[4:7]
	ds_read2st64_b64 v[126:129], v96 offset1:8
	v_mfma_f32_16x16x16_bf16 a[8:11], v[132:133], v[118:119], a[8:11]
	v_lshl_add_u64 v[118:119], v[58:59], 0, s[20:21]
	v_mfma_f32_16x16x16_bf16 a[16:19], v[132:133], v[42:43], a[12:15]
	v_add_co_u32_e32 v42, vcc, s35, v118
	s_waitcnt lgkmcnt(0)
	v_mov_b32_e32 v132, v126
	v_mfma_f32_16x16x16_bf16 a[0:3], v[134:135], v[120:121], a[0:3]
	v_mov_b32_e32 v133, v127
	v_mov_b32_e32 v126, v124
	v_mov_b32_e32 v127, v125
	v_mfma_f32_16x16x16_bf16 a[4:7], v[134:135], v[136:137], a[4:7]
	v_addc_co_u32_e32 v43, vcc, 0, v119, vcc
	global_store_dwordx4 v[42:43], v[126:129], off
	v_mfma_f32_16x16x16_bf16 a[12:15], v[138:139], v[120:121], a[8:11]
	s_and_b64 vcc, exec, s[0:1]
	global_store_dwordx4 v[118:119], v[130:133], off
	s_waitcnt vmcnt(3)
	v_mov_b32_e32 v44, v37
	v_mfma_f32_16x16x16_bf16 a[8:11], v[138:139], v[136:137], a[16:19]
	v_mov_b32_e32 v43, v36
	v_mov_b32_e32 v42, v35
	s_cbranch_vccnz .LBB272_16
; %bb.15:                               ;   in Loop: Header=BB272_6 Depth=1
	v_lshrrev_b32_e32 v35, 3, v115
	v_and_b32_e32 v35, 6, v35
	v_xor_b32_e32 v36, v35, v116
	v_lshlrev_b32_e32 v36, 2, v36
	v_and_b32_e32 v37, 8, v115
	v_xor_b32_e32 v115, 0x440, v36
	v_cmp_eq_u32_e32 vcc, 0, v37
	v_perm_b32 v37, v22, v18, s59
	s_nop 0
	v_cndmask_b32_e32 v36, v115, v36, vcc
	v_lshl_or_b32 v35, v35, 10, v36
	v_perm_b32 v36, v30, v26, s59
	s_barrier
	ds_write2st64_b32 v35, v36, v37 offset0:32 offset1:64
	v_xor_b32_e32 v36, 8, v35
	v_perm_b32 v26, v30, v26, s60
	v_perm_b32 v18, v22, v18, s60
	v_add_u32_e32 v22, 0x80, v36
	ds_write2st64_b32 v22, v26, v18 offset0:32 offset1:64
	v_xor_b32_e32 v18, 16, v35
	v_perm_b32 v22, v31, v27, s59
	v_perm_b32 v26, v23, v19, s59
	ds_write2st64_b32 v18, v22, v26 offset0:33 offset1:65
	v_xor_b32_e32 v18, 24, v35
	v_perm_b32 v22, v31, v27, s60
	v_perm_b32 v19, v23, v19, s60
	v_add_u32_e32 v18, 0x80, v18
	ds_write2st64_b32 v18, v22, v19 offset0:33 offset1:65
	v_xor_b32_e32 v18, 32, v35
	v_perm_b32 v19, v32, v28, s59
	v_perm_b32 v22, v24, v20, s59
	;; [unrolled: 9-line block ×3, first 2 shown]
	ds_write2st64_b32 v18, v19, v20 offset0:35 offset1:67
	v_xor_b32_e32 v18, 56, v35
	v_perm_b32 v19, v33, v29, s60
	v_perm_b32 v20, v25, v21, s60
	v_add_u32_e32 v18, 0x80, v18
	ds_write2st64_b32 v18, v19, v20 offset0:35 offset1:67
	ds_write_b64 v114, v[14:15] offset:24576
	v_xor_b32_e32 v14, 8, v114
	ds_write_b64 v14, v[16:17] offset:24576
	ds_write_b64 v114, v[10:11] offset:32768
	;; [unrolled: 1-line block ×4, first 2 shown]
	v_xor_b32_e32 v6, 8, v113
	ds_write_b64 v6, v[8:9] offset:24576
	ds_write_b64 v113, v[2:3] offset:32768
	;; [unrolled: 1-line block ×3, first 2 shown]
.LBB272_16:                             ;   in Loop: Header=BB272_6 Depth=1
	v_exp_f32_e32 v18, s2
	s_waitcnt vmcnt(2)
	v_exp_f32_e32 v20, v38
	v_exp_f32_e32 v21, v39
	;; [unrolled: 1-line block ×4, first 2 shown]
	v_accvgpr_read_b32 v13, a3
	v_accvgpr_read_b32 v11, a1
	;; [unrolled: 1-line block ×4, first 2 shown]
	v_pk_mul_f32 v[20:21], v[18:19], v[20:21] op_sel_hi:[0,1]
	v_accvgpr_read_b32 v12, a2
	v_accvgpr_read_b32 v7, a5
	;; [unrolled: 1-line block ×3, first 2 shown]
	v_pk_fma_f32 v[50:51], v[50:51], v[20:21], v[10:11]
	v_pk_mul_f32 v[10:11], v[18:19], v[22:23] op_sel_hi:[0,1]
	v_pk_fma_f32 v[52:53], v[52:53], v[10:11], v[12:13]
	v_fma_f32 v85, v85, v20, v6
	v_fma_f32 v84, v84, v21, v7
	v_exp_f32_e32 v6, v34
	v_exp_f32_e32 v7, v42
	;; [unrolled: 1-line block ×4, first 2 shown]
	v_accvgpr_read_b32 v8, a6
	v_accvgpr_read_b32 v17, a15
	;; [unrolled: 1-line block ×9, first 2 shown]
	v_fma_f32 v86, v86, v10, v8
	v_fmac_f32_e32 v9, v112, v11
	v_pk_mul_f32 v[6:7], v[18:19], v[6:7] op_sel_hi:[0,1]
	v_pk_mul_f32 v[10:11], v[18:19], v[12:13] op_sel_hi:[0,1]
	s_add_i32 s58, s58, 64
	v_pk_fma_f32 v[46:47], v[46:47], v[6:7], v[14:15]
	v_pk_fma_f32 v[48:49], v[48:49], v[10:11], v[16:17]
	v_fma_f32 v82, v82, v6, v2
	v_fma_f32 v81, v81, v7, v3
	;; [unrolled: 1-line block ×3, first 2 shown]
	s_cmp_eq_u32 s47, s63
	v_fmac_f32_e32 v5, v111, v11
	s_cbranch_scc1 .LBB272_18
; %bb.17:                               ;   in Loop: Header=BB272_6 Depth=1
	s_mov_b32 s64, s63
	v_mov_b32_e32 v112, v9
	v_mov_b32_e32 v111, v5
	s_branch .LBB272_6
.LBB272_18:
	s_lshl_b32 s40, s47, 6
	s_sub_i32 s41, s12, s40
	s_cmp_gt_i32 s41, 0
	s_cbranch_scc0 .LBB272_83
; %bb.19:
	s_ashr_i32 s35, s48, 31
	s_ashr_i32 s2, s40, 31
	s_cmpk_lg_i32 s15, 0x80
	s_cselect_b64 s[26:27], -1, 0
	s_and_b64 vcc, exec, s[26:27]
	s_cbranch_vccz .LBB272_21
; %bb.20:
	s_mul_i32 s1, s48, s12
	s_mul_hi_i32 s0, s48, s12
	s_add_u32 s1, s1, s40
	s_addc_u32 s0, s0, s2
	s_mul_i32 s3, s1, s49
	s_mul_hi_u32 s20, s1, s14
	s_add_i32 s3, s20, s3
	s_mul_i32 s0, s0, s14
	s_add_i32 s3, s3, s0
	s_mul_i32 s1, s1, s14
	s_ashr_i32 s0, s52, 31
	s_add_u32 s38, s1, s52
	s_addc_u32 s39, s3, s0
	s_cbranch_execz .LBB272_22
	s_branch .LBB272_23
.LBB272_21:
                                        ; implicit-def: $sgpr38_sgpr39
.LBB272_22:
	s_mul_hi_i32 s0, s48, s14
	s_mul_i32 s48, s48, s14
	s_ashr_i32 s1, s52, 31
	s_add_u32 s3, s48, s52
	s_addc_u32 s0, s0, s1
	s_mul_i32 s1, s3, s46
	s_mul_hi_u32 s14, s3, s12
	s_add_i32 s1, s14, s1
	s_mul_i32 s0, s0, s12
	s_add_i32 s1, s1, s0
	s_mul_i32 s3, s3, s12
	s_add_u32 s38, s3, s40
	s_addc_u32 s39, s1, s2
.LBB272_23:
	s_add_i32 s3, s50, s47
	s_ashr_i32 s14, s33, 31
	s_add_u32 s0, s45, s33
	s_addc_u32 s1, s51, s14
	s_mul_i32 s20, s0, s46
	s_mul_hi_u32 s21, s0, s12
	s_add_i32 s20, s21, s20
	s_mul_i32 s1, s1, s12
	s_add_i32 s20, s20, s1
	s_mul_i32 s0, s0, s12
	s_add_u32 s0, s0, s40
	v_lshlrev_b32_e32 v8, 5, v65
	v_lshlrev_b32_e32 v22, 2, v45
	s_addc_u32 s1, s20, s2
	s_mov_b32 s2, 0x7060302
	v_or_b32_e32 v11, v8, v22
	v_xor_b32_e32 v4, v65, v22
	v_perm_b32 v3, v53, v52, s2
	v_perm_b32 v2, v51, v50, s2
	;; [unrolled: 1-line block ×4, first 2 shown]
	v_lshlrev_b32_e32 v11, 1, v11
	s_lshl_b64 s[24:25], s[0:1], 8
	v_xor_b32_e32 v10, v66, v22
	ds_write2st64_b64 v11, v[2:3], v[6:7] offset0:80 offset1:88
	v_lshlrev_b32_e32 v11, 1, v4
	v_lshlrev_b32_e32 v4, 8, v45
	s_add_u32 s0, s6, s24
	v_or_b32_e32 v12, v11, v4
	v_lshlrev_b32_e32 v10, 1, v10
	s_addc_u32 s1, s7, s25
	ds_write_b64 v12, v[2:3]
	v_or_b32_e32 v2, v10, v4
	s_mul_hi_i32 s6, s3, s13
	s_mul_i32 s3, s3, s13
	ds_write_b64 v2, v[6:7]
	v_perm_b32 v3, v9, v86, s2
	v_perm_b32 v2, v84, v85, s2
	v_perm_b32 v5, v5, v83, s2
	v_perm_b32 v4, v81, v82, s2
	v_or_b32_e32 v6, 16, v45
	s_add_u32 s2, s3, s33
	v_lshlrev_b32_e32 v19, 2, v6
	s_addc_u32 s3, s6, s14
	v_or_b32_e32 v7, v8, v19
	s_ashr_i32 s31, s30, 31
	s_lshl_b64 s[2:3], s[2:3], 15
	v_lshlrev_b32_e32 v7, 1, v7
	v_lshlrev_b32_e32 v6, 8, v6
	s_add_u32 s6, s36, s2
	ds_write2st64_b64 v7, v[2:3], v[4:5] offset0:80 offset1:88
	v_or_b32_e32 v7, v11, v6
	s_addc_u32 s7, s37, s3
	s_lshl_b64 s[2:3], s[30:31], 8
	ds_write_b64 v7, v[2:3]
	v_or_b32_e32 v2, v10, v6
	s_add_u32 s2, s6, s2
	ds_write_b64 v2, v[4:5]
	v_lshrrev_b32_e32 v2, 4, v0
	s_addc_u32 s3, s7, s3
	v_lshlrev_b32_e32 v3, 1, v45
	v_lshlrev_b32_e32 v10, 4, v45
	v_mov_b32_e32 v11, 0
	v_or_b32_e32 v4, 1, v3
	v_xor_b32_e32 v3, v2, v3
	v_lshl_add_u64 v[12:13], s[2:3], 0, v[10:11]
	v_lshlrev_b32_e32 v10, 8, v2
	v_xor_b32_e32 v6, v4, v2
	v_lshl_or_b32 v2, v3, 3, v10
	s_waitcnt lgkmcnt(0)
	s_barrier
	ds_read2st64_b64 v[2:5], v2 offset1:8
	v_lshl_or_b32 v6, v6, 3, v10
	ds_read2st64_b64 v[6:9], v6 offset1:8
	v_lshl_add_u64 v[14:15], v[12:13], 0, v[10:11]
	s_movk_i32 s2, 0x1000
	s_waitcnt lgkmcnt(1)
	v_mov_b32_e32 v10, v2
	v_add_co_u32_e32 v2, vcc, s2, v14
	s_cmp_lg_u32 s41, 64
	v_mov_b32_e32 v11, v3
	v_addc_co_u32_e32 v3, vcc, 0, v15, vcc
	s_cselect_b64 s[6:7], -1, 0
	v_lshl_or_b32 v23, v61, 3, v64
	s_waitcnt lgkmcnt(0)
	v_mov_b32_e32 v12, v6
	v_mov_b32_e32 v13, v7
	;; [unrolled: 1-line block ×4, first 2 shown]
	s_mov_b32 s20, 0
	v_or_b32_e32 v20, 32, v23
	v_and_b32_e32 v18, 56, v63
	s_and_b64 vcc, exec, s[6:7]
	global_store_dwordx4 v[14:15], v[10:13], off
	global_store_dwordx4 v[2:3], v[6:9], off
	s_cbranch_vccz .LBB272_29
; %bb.24:
	s_mov_b32 s21, s20
	s_mov_b32 s22, s20
	;; [unrolled: 1-line block ×3, first 2 shown]
	v_mov_b64_e32 v[6:7], s[20:21]
	v_mov_b64_e32 v[8:9], s[22:23]
	;; [unrolled: 1-line block ×3, first 2 shown]
	v_cmp_gt_i32_e32 vcc, s41, v23
	v_mov_b64_e32 v[4:5], v[8:9]
	s_and_saveexec_b64 s[2:3], vcc
	s_cbranch_execz .LBB272_26
; %bb.25:
	v_lshlrev_b32_e32 v2, 8, v23
	v_mov_b32_e32 v3, 0
	v_lshl_add_u64 v[4:5], s[0:1], 0, v[2:3]
	v_lshlrev_b32_e32 v2, 1, v18
	v_lshl_add_u64 v[10:11], v[4:5], 0, v[2:3]
	global_load_dwordx4 v[6:9], v[10:11], off
	global_load_dwordx4 v[2:5], v[10:11], off offset:128
.LBB272_26:
	s_or_b64 exec, exec, s[2:3]
	s_mov_b32 s21, s20
	s_mov_b32 s22, s20
	;; [unrolled: 1-line block ×3, first 2 shown]
	v_mov_b64_e32 v[14:15], s[20:21]
	v_mov_b64_e32 v[16:17], s[22:23]
	;; [unrolled: 1-line block ×3, first 2 shown]
	v_cmp_gt_i32_e32 vcc, s41, v20
	v_lshlrev_b32_e32 v21, 7, v20
	v_mov_b64_e32 v[12:13], v[16:17]
	s_and_saveexec_b64 s[2:3], vcc
	s_cbranch_execz .LBB272_28
; %bb.27:
	v_lshlrev_b32_e32 v10, 1, v21
	v_mov_b32_e32 v11, 0
	v_lshl_add_u64 v[12:13], s[0:1], 0, v[10:11]
	v_lshlrev_b32_e32 v10, 1, v18
	v_lshl_add_u64 v[24:25], v[12:13], 0, v[10:11]
	global_load_dwordx4 v[14:17], v[24:25], off
	global_load_dwordx4 v[10:13], v[24:25], off offset:128
.LBB272_28:
	s_or_b64 exec, exec, s[2:3]
	v_lshrrev_b32_e32 v24, 3, v18
	v_lshlrev_b32_e32 v25, 3, v23
	v_or_b32_e32 v24, v25, v24
	v_lshlrev_b32_e32 v24, 4, v24
	v_and_b32_e32 v25, 0x78, v25
	v_xor_b32_e32 v24, v24, v25
	s_branch .LBB272_31
.LBB272_29:
                                        ; implicit-def: $vgpr24
                                        ; implicit-def: $vgpr21
                                        ; implicit-def: $vgpr6_vgpr7_vgpr8_vgpr9
                                        ; implicit-def: $vgpr2_vgpr3_vgpr4_vgpr5
                                        ; implicit-def: $vgpr14_vgpr15_vgpr16_vgpr17
                                        ; implicit-def: $vgpr10_vgpr11_vgpr12_vgpr13
	s_cbranch_execz .LBB272_31
; %bb.30:
	s_waitcnt vmcnt(0)
	v_lshlrev_b32_e32 v2, 1, v18
	v_lshl_or_b32 v21, v23, 8, v2
	s_and_b32 s1, s1, 0xffff
	s_mov_b32 s3, 0x20000
	s_movk_i32 s2, 0x4000
	v_lshl_or_b32 v24, v20, 8, v2
	s_movk_i32 s13, 0x80
	buffer_load_dwordx4 v[6:9], v21, s[0:3], 0 offen
	buffer_load_dwordx4 v[2:5], v21, s[0:3], s13 offen
	;; [unrolled: 1-line block ×4, first 2 shown]
	v_lshrrev_b32_e32 v21, 3, v18
	v_lshlrev_b32_e32 v24, 3, v23
	v_or_b32_e32 v21, v24, v21
	v_lshlrev_b32_e32 v21, 4, v21
	v_and_b32_e32 v24, 0x78, v24
	v_xor_b32_e32 v24, v21, v24
	v_lshlrev_b32_e32 v21, 7, v20
.LBB272_31:
	s_lshl_b64 s[0:1], s[38:39], 8
	s_add_u32 s4, s4, s0
	s_movk_i32 s0, 0x1000
	v_and_or_b32 v20, v21, s0, v24
	s_waitcnt vmcnt(1)
	ds_write_b64 v24, v[6:7] offset:24576
	v_xor_b32_e32 v6, 8, v24
	ds_write_b64 v6, v[8:9] offset:24576
	s_waitcnt vmcnt(0)
	ds_write_b64 v24, v[2:3] offset:32768
	ds_write_b64 v6, v[4:5] offset:32768
	;; [unrolled: 1-line block ×3, first 2 shown]
	v_xor_b32_e32 v2, 8, v20
	ds_write_b64 v2, v[16:17] offset:24576
	ds_write_b64 v20, v[10:11] offset:32768
	;; [unrolled: 1-line block ×3, first 2 shown]
	v_or_b32_e32 v2, v1, v45
	v_lshlrev_b32_e32 v3, 11, v61
	v_lshlrev_b32_e32 v2, 3, v2
	v_and_b32_e32 v6, 0x1000, v3
	v_lshrrev_b32_e32 v3, 5, v60
	s_movk_i32 s13, 0xf8
	v_and_or_b32 v3, v2, s13, v3
	v_lshlrev_b32_e32 v7, 4, v3
	v_and_b32_e32 v8, 0x78, v2
	v_or_b32_e32 v10, 32, v7
	v_lshrrev_b32_e32 v3, 1, v60
	v_xor_b32_e32 v10, v10, v8
	v_xor_b32_e32 v2, v7, v8
	v_and_b32_e32 v9, 8, v3
	v_or_b32_e32 v10, v10, v6
	v_or_b32_e32 v2, v2, v6
	v_xor_b32_e32 v26, v10, v9
	v_or_b32_e32 v10, 64, v7
	v_xor_b32_e32 v25, v2, v9
	v_xor_b32_e32 v10, v10, v8
	s_waitcnt lgkmcnt(0)
	s_barrier
	v_or_b32_e32 v12, v10, v6
	ds_read_b64 v[10:11], v25 offset:24576
	v_lshl_or_b32 v20, v62, 7, v22
	v_lshlrev_b32_e32 v24, 1, v20
	v_add_u32_e32 v2, 0xa000, v24
	ds_read2_b64 v[2:5], v2 offset1:16
	v_or_b32_e32 v7, 0x60, v7
	v_xor_b32_e32 v7, v7, v8
	s_waitcnt lgkmcnt(0)
	v_mfma_f32_16x16x16_bf16 a[0:3], v[10:11], v[2:3], 0
	v_or_b32_e32 v2, 64, v20
	v_or_b32_e32 v6, v7, v6
	v_lshlrev_b32_e32 v29, 1, v2
	v_xor_b32_e32 v27, v12, v9
	v_xor_b32_e32 v28, v6, v9
	ds_read_b64 v[12:13], v26 offset:24576
	ds_read_b64 v[14:15], v27 offset:24576
	ds_read_b64 v[16:17], v28 offset:24576
	v_mfma_f32_16x16x16_bf16 a[4:7], v[10:11], v[4:5], 0
	ds_read2st64_b64 v[2:5], v29 offset0:82 offset1:84
	ds_read2st64_b64 v[6:9], v24 offset0:82 offset1:84
	s_addc_u32 s5, s5, s1
	s_add_i32 s2, s12, -1
	s_add_i32 s0, s44, s17
	s_mul_i32 s35, s35, s16
	s_add_i32 s35, s0, s35
	s_mul_i32 s0, s33, s19
	s_mul_hi_u32 s1, s33, s18
	s_ashr_i32 s3, s2, 31
	s_mul_i32 s12, s2, s29
	s_mul_hi_u32 s13, s2, s28
	s_add_i32 s0, s1, s0
	s_mul_i32 s1, s14, s18
	s_add_i32 s12, s13, s12
	s_mul_i32 s3, s3, s28
	s_waitcnt lgkmcnt(1)
	v_mfma_f32_16x16x16_bf16 a[4:7], v[12:13], v[2:3], a[4:7]
	s_add_i32 s1, s0, s1
	s_add_i32 s3, s12, s3
	s_lshl_b64 s[12:13], s[34:35], 2
	s_waitcnt lgkmcnt(0)
	v_mfma_f32_16x16x16_bf16 a[0:3], v[12:13], v[6:7], a[0:3]
	s_mul_i32 s0, s33, s18
	s_add_u32 s10, s10, s12
	s_addc_u32 s11, s11, s13
	s_lshl_b64 s[0:1], s[0:1], 2
	s_mul_i32 s2, s2, s28
	s_add_u32 s10, s10, s0
	ds_read_b64 v[2:3], v24 offset:44032
	v_mfma_f32_16x16x16_bf16 a[4:7], v[14:15], v[4:5], a[4:7]
	ds_read_b64 v[4:5], v29 offset:44032
	s_addc_u32 s11, s11, s1
	s_lshl_b64 s[0:1], s[2:3], 2
	v_mfma_f32_16x16x16_bf16 a[0:3], v[14:15], v[8:9], a[0:3]
	s_add_u32 s0, s10, s0
	s_addc_u32 s1, s11, s1
	s_load_dword s12, s[0:1], 0x0
	s_waitcnt lgkmcnt(0)
	v_mfma_f32_16x16x16_bf16 a[0:3], v[16:17], v[2:3], a[0:3]
	s_and_b64 vcc, exec, s[26:27]
	v_mfma_f32_16x16x16_bf16 a[4:7], v[16:17], v[4:5], a[4:7]
	s_cbranch_vccz .LBB272_42
; %bb.32:
	v_lshlrev_b32_e32 v20, 1, v23
	s_and_b64 vcc, exec, s[6:7]
	s_cbranch_vccz .LBB272_43
; %bb.33:
	v_cmp_gt_i32_e32 vcc, s41, v20
	v_mov_b32_e32 v6, 0
	v_mov_b32_e32 v2, 0
	;; [unrolled: 1-line block ×5, first 2 shown]
	s_and_saveexec_b64 s[0:1], vcc
	s_cbranch_execz .LBB272_35
; %bb.34:
	v_mad_i64_i32 v[2:3], s[2:3], s15, v20, 0
	v_lshl_add_u64 v[2:3], v[2:3], 1, s[4:5]
	v_lshlrev_b32_e32 v4, 1, v18
	v_mov_b32_e32 v5, 0
	v_lshl_add_u64 v[2:3], v[2:3], 0, v[4:5]
	global_load_dwordx4 v[2:5], v[2:3], off
.LBB272_35:
	s_or_b64 exec, exec, s[0:1]
	v_or_b32_e32 v21, 1, v20
	v_cmp_gt_i32_e64 s[0:1], s41, v21
	v_mov_b32_e32 v7, 0
	v_mov_b32_e32 v8, 0
	;; [unrolled: 1-line block ×3, first 2 shown]
	s_and_saveexec_b64 s[2:3], s[0:1]
	s_cbranch_execz .LBB272_37
; %bb.36:
	v_mad_i64_i32 v[6:7], s[16:17], s15, v21, 0
	v_lshl_add_u64 v[6:7], v[6:7], 1, s[4:5]
	v_lshlrev_b32_e32 v8, 1, v18
	v_mov_b32_e32 v9, 0
	v_lshl_add_u64 v[6:7], v[6:7], 0, v[8:9]
	global_load_dwordx4 v[6:9], v[6:7], off
.LBB272_37:
	s_or_b64 exec, exec, s[2:3]
	v_mov_b32_e32 v17, 0
	v_mov_b32_e32 v10, 0
	;; [unrolled: 1-line block ×5, first 2 shown]
	s_and_saveexec_b64 s[2:3], vcc
	s_cbranch_execz .LBB272_39
; %bb.38:
	v_mad_i64_i32 v[10:11], s[16:17], s15, v20, 0
	v_lshl_add_u64 v[10:11], v[10:11], 1, s[4:5]
	v_lshlrev_b32_e32 v12, 1, v18
	v_mov_b32_e32 v13, 0
	v_lshl_add_u64 v[10:11], v[10:11], 0, v[12:13]
	global_load_dwordx4 v[10:13], v[10:11], off offset:128
.LBB272_39:
	s_or_b64 exec, exec, s[2:3]
	v_mov_b32_e32 v16, 0
	v_mov_b32_e32 v15, 0
	;; [unrolled: 1-line block ×3, first 2 shown]
	s_and_saveexec_b64 s[2:3], s[0:1]
	s_cbranch_execz .LBB272_41
; %bb.40:
	v_mad_i64_i32 v[14:15], s[0:1], s15, v21, 0
	v_lshl_add_u64 v[14:15], v[14:15], 1, s[4:5]
	v_lshlrev_b32_e32 v16, 1, v18
	v_mov_b32_e32 v17, 0
	v_lshl_add_u64 v[14:15], v[14:15], 0, v[16:17]
	global_load_dwordx4 v[14:17], v[14:15], off offset:128
.LBB272_41:
	s_or_b64 exec, exec, s[2:3]
	s_branch .LBB272_45
.LBB272_42:
                                        ; implicit-def: $vgpr5
                                        ; implicit-def: $vgpr9
                                        ; implicit-def: $vgpr13
                                        ; implicit-def: $vgpr17
	v_lshrrev_b32_e32 v30, 2, v60
	s_branch .LBB272_46
.LBB272_43:
                                        ; implicit-def: $vgpr5
                                        ; implicit-def: $vgpr9
                                        ; implicit-def: $vgpr13
                                        ; implicit-def: $vgpr17
	s_cbranch_execz .LBB272_45
; %bb.44:
	s_waitcnt vmcnt(0)
	v_mad_u64_u32 v[2:3], s[0:1], v20, s15, v[18:19]
	v_lshlrev_b32_e32 v20, 1, v2
	s_lshl_b32 s2, s15, 7
	s_and_b32 s1, s5, 0xffff
	s_mov_b32 s3, 0x20000
	s_mov_b32 s0, s4
	v_add_lshl_u32 v21, v2, s15, 1
	s_movk_i32 s13, 0x80
	buffer_load_dwordx4 v[2:5], v20, s[0:3], 0 offen
	buffer_load_dwordx4 v[10:13], v20, s[0:3], s13 offen
	buffer_load_dwordx4 v[6:9], v21, s[0:3], 0 offen
	buffer_load_dwordx4 v[14:17], v21, s[0:3], s13 offen
.LBB272_45:
	v_lshrrev_b32_e32 v30, 2, v60
	s_cbranch_execnz .LBB272_58
.LBB272_46:
	s_and_b64 vcc, exec, s[6:7]
	s_cbranch_vccz .LBB272_56
; %bb.47:
	s_waitcnt vmcnt(0)
	v_lshlrev_b32_e32 v7, 1, v23
	v_cmp_gt_i32_e32 vcc, s41, v7
	v_mov_b32_e32 v6, 0
	v_lshlrev_b32_e32 v14, 9, v23
	v_mov_b32_e32 v2, 0
	v_mov_b32_e32 v3, 0
	;; [unrolled: 1-line block ×4, first 2 shown]
	s_and_saveexec_b64 s[0:1], vcc
	s_cbranch_execz .LBB272_49
; %bb.48:
	v_mov_b32_e32 v15, 0
	v_lshl_add_u64 v[2:3], s[4:5], 0, v[14:15]
	v_lshlrev_b32_e32 v4, 1, v18
	v_mov_b32_e32 v5, v15
	v_lshl_add_u64 v[2:3], v[2:3], 0, v[4:5]
	global_load_dwordx4 v[2:5], v[2:3], off
.LBB272_49:
	s_or_b64 exec, exec, s[0:1]
	v_or_b32_e32 v7, 1, v7
	v_cmp_gt_i32_e64 s[0:1], s41, v7
	v_lshlrev_b32_e32 v20, 8, v7
	v_mov_b32_e32 v7, 0
	v_mov_b32_e32 v8, 0
	;; [unrolled: 1-line block ×3, first 2 shown]
	s_and_saveexec_b64 s[2:3], s[0:1]
	s_cbranch_execz .LBB272_51
; %bb.50:
	v_mov_b32_e32 v21, 0
	v_lshl_add_u64 v[6:7], s[4:5], 0, v[20:21]
	v_lshlrev_b32_e32 v8, 1, v18
	v_mov_b32_e32 v9, v21
	v_lshl_add_u64 v[6:7], v[6:7], 0, v[8:9]
	global_load_dwordx4 v[6:9], v[6:7], off
.LBB272_51:
	s_or_b64 exec, exec, s[2:3]
	v_mov_b32_e32 v17, 0
	v_mov_b32_e32 v10, 0
	;; [unrolled: 1-line block ×5, first 2 shown]
	s_and_saveexec_b64 s[2:3], vcc
	s_cbranch_execz .LBB272_53
; %bb.52:
	v_mov_b32_e32 v15, 0
	v_lshl_add_u64 v[10:11], s[4:5], 0, v[14:15]
	v_lshlrev_b32_e32 v14, 1, v18
	v_lshl_add_u64 v[10:11], v[10:11], 0, v[14:15]
	global_load_dwordx4 v[10:13], v[10:11], off offset:128
.LBB272_53:
	s_or_b64 exec, exec, s[2:3]
	v_mov_b32_e32 v16, 0
	v_mov_b32_e32 v15, 0
	;; [unrolled: 1-line block ×3, first 2 shown]
	s_and_saveexec_b64 s[2:3], s[0:1]
	s_cbranch_execz .LBB272_55
; %bb.54:
	v_mov_b32_e32 v21, 0
	v_lshl_add_u64 v[14:15], s[4:5], 0, v[20:21]
	v_lshlrev_b32_e32 v20, 1, v18
	v_lshl_add_u64 v[14:15], v[14:15], 0, v[20:21]
	global_load_dwordx4 v[14:17], v[14:15], off offset:128
.LBB272_55:
	s_or_b64 exec, exec, s[2:3]
	s_branch .LBB272_58
.LBB272_56:
                                        ; implicit-def: $vgpr5
                                        ; implicit-def: $vgpr9
                                        ; implicit-def: $vgpr13
                                        ; implicit-def: $vgpr17
	s_cbranch_execz .LBB272_58
; %bb.57:
	s_waitcnt vmcnt(0)
	v_lshlrev_b32_e32 v2, 1, v18
	v_lshl_or_b32 v18, v23, 9, v2
	s_and_b32 s5, s5, 0xffff
	s_mov_b32 s7, 0x20000
	s_movk_i32 s6, 0x4000
	s_movk_i32 s0, 0x80
	buffer_load_dwordx4 v[2:5], v18, s[4:7], 0 offen
	buffer_load_dwordx4 v[6:9], v18, s[4:7], 0 offen offset:256
	buffer_load_dwordx4 v[10:13], v18, s[4:7], s0 offen
	buffer_load_dwordx4 v[14:17], v18, s[4:7], s0 offen offset:256
.LBB272_58:
	ds_read_b64 v[20:21], v25 offset:32768
	v_add_u32_e32 v18, 0xb000, v24
	ds_read2_b64 v[32:35], v18 offset1:16
	ds_read_b64 v[40:41], v26 offset:32768
	ds_read_b64 v[26:27], v27 offset:32768
	;; [unrolled: 1-line block ×3, first 2 shown]
	v_and_b32_e32 v18, 6, v0
	v_xor_b32_e32 v23, v23, v18
	v_lshlrev_b32_e32 v23, 2, v23
	v_and_b32_e32 v0, 1, v0
	v_xor_b32_e32 v28, 0x440, v23
	v_cmp_eq_u32_e32 vcc, 0, v0
	s_waitcnt lgkmcnt(3)
	v_mfma_f32_16x16x16_bf16 a[0:3], v[20:21], v[32:33], a[0:3]
	s_mov_b32 s0, 0x1000504
	v_cndmask_b32_e32 v0, v28, v23, vcc
	v_lshl_or_b32 v0, v18, 10, v0
	v_mfma_f32_16x16x16_bf16 a[4:7], v[20:21], v[34:35], a[4:7]
	ds_read2st64_b64 v[32:35], v24 offset0:90 offset1:92
	ds_read2st64_b64 v[36:39], v29 offset0:90 offset1:92
	ds_read_b64 v[20:21], v24 offset:48128
	ds_read_b64 v[24:25], v29 offset:48128
	s_waitcnt vmcnt(0)
	v_perm_b32 v18, v2, v6, s0
	s_waitcnt lgkmcnt(3)
	v_mfma_f32_16x16x16_bf16 a[0:3], v[40:41], v[32:33], a[0:3]
	s_mov_b32 s1, 0x3020706
	v_perm_b32 v2, v2, v6, s1
	v_perm_b32 v6, v10, v14, s1
	s_waitcnt lgkmcnt(2)
	v_mfma_f32_16x16x16_bf16 a[4:7], v[40:41], v[36:37], a[4:7]
	v_mfma_f32_16x16x16_bf16 a[0:3], v[26:27], v[34:35], a[0:3]
	;; [unrolled: 1-line block ×3, first 2 shown]
	s_waitcnt lgkmcnt(1)
	v_mfma_f32_16x16x16_bf16 a[4:7], v[42:43], v[20:21], a[0:3]
	v_perm_b32 v20, v10, v14, s0
	ds_write2st64_b32 v0, v18, v20 offset0:32 offset1:64
	v_xor_b32_e32 v18, 8, v0
	v_add_u32_e32 v10, 0x80, v18
	ds_write2st64_b32 v10, v2, v6 offset0:32 offset1:64
	v_xor_b32_e32 v2, 16, v0
	v_perm_b32 v6, v3, v7, s0
	v_perm_b32 v10, v11, v15, s0
	ds_write2st64_b32 v2, v6, v10 offset0:33 offset1:65
	v_xor_b32_e32 v2, 24, v0
	v_perm_b32 v3, v3, v7, s1
	v_perm_b32 v6, v11, v15, s1
	v_add_u32_e32 v2, 0x80, v2
	ds_write2st64_b32 v2, v3, v6 offset0:33 offset1:65
	v_xor_b32_e32 v2, 32, v0
	v_perm_b32 v3, v4, v8, s0
	v_perm_b32 v6, v12, v16, s0
	s_waitcnt lgkmcnt(4)
	v_mfma_f32_16x16x16_bf16 a[0:3], v[42:43], v[24:25], a[8:11]
	ds_write2st64_b32 v2, v3, v6 offset0:34 offset1:66
	v_xor_b32_e32 v2, 40, v0
	v_perm_b32 v3, v4, v8, s1
	v_perm_b32 v4, v12, v16, s1
	v_add_u32_e32 v2, 0x80, v2
	ds_write2st64_b32 v2, v3, v4 offset0:34 offset1:66
	v_xor_b32_e32 v2, 48, v0
	v_perm_b32 v3, v5, v9, s0
	v_perm_b32 v4, v13, v17, s0
	v_xor_b32_e32 v0, 56, v0
	v_and_or_b32 v18, v30, 12, v1
	ds_write2st64_b32 v2, v3, v4 offset0:35 offset1:67
	v_perm_b32 v2, v5, v9, s1
	v_perm_b32 v3, v13, v17, s1
	v_add_u32_e32 v0, 0x80, v0
	v_cmp_gt_i32_e32 vcc, s41, v18
	v_mov_b32_e32 v14, 0
	v_mov_b32_e32 v16, 0
	ds_write2st64_b32 v0, v2, v3 offset0:35 offset1:67
	s_and_saveexec_b64 s[0:1], vcc
	s_cbranch_execz .LBB272_60
; %bb.59:
	v_add_u32_e32 v0, s40, v18
	v_ashrrev_i32_e32 v1, 31, v0
	v_mul_lo_u32 v2, v1, s28
	v_mul_lo_u32 v3, v0, s29
	v_mad_u64_u32 v[0:1], s[2:3], v0, s28, 0
	v_add3_u32 v1, v1, v3, v2
	v_lshl_add_u64 v[0:1], v[0:1], 2, s[10:11]
	global_load_dword v0, v[0:1], off
	s_waitcnt vmcnt(0)
	v_sub_f32_e32 v0, s12, v0
	v_exp_f32_e32 v16, v0
.LBB272_60:
	s_or_b64 exec, exec, s[0:1]
	v_or_b32_e32 v8, 1, v18
	v_cmp_gt_i32_e64 s[0:1], s41, v8
	s_and_saveexec_b64 s[2:3], s[0:1]
	s_cbranch_execz .LBB272_62
; %bb.61:
	v_add_u32_e32 v0, s40, v8
	v_ashrrev_i32_e32 v1, 31, v0
	v_mul_lo_u32 v2, v1, s28
	v_mul_lo_u32 v3, v0, s29
	v_mad_u64_u32 v[0:1], s[4:5], v0, s28, 0
	v_add3_u32 v1, v1, v3, v2
	v_lshl_add_u64 v[0:1], v[0:1], 2, s[10:11]
	global_load_dword v0, v[0:1], off
	s_waitcnt vmcnt(0)
	v_sub_f32_e32 v0, s12, v0
	v_exp_f32_e32 v14, v0
.LBB272_62:
	s_or_b64 exec, exec, s[2:3]
	v_or_b32_e32 v10, 2, v18
	v_cmp_gt_i32_e64 s[2:3], s41, v10
	v_mov_b32_e32 v15, 0
	v_mov_b32_e32 v17, 0
	s_and_saveexec_b64 s[4:5], s[2:3]
	s_cbranch_execz .LBB272_64
; %bb.63:
	v_add_u32_e32 v0, s40, v10
	v_ashrrev_i32_e32 v1, 31, v0
	v_mul_lo_u32 v2, v1, s28
	v_mul_lo_u32 v3, v0, s29
	v_mad_u64_u32 v[0:1], s[6:7], v0, s28, 0
	v_add3_u32 v1, v1, v3, v2
	v_lshl_add_u64 v[0:1], v[0:1], 2, s[10:11]
	global_load_dword v0, v[0:1], off
	s_waitcnt vmcnt(0)
	v_sub_f32_e32 v0, s12, v0
	v_exp_f32_e32 v17, v0
.LBB272_64:
	s_or_b64 exec, exec, s[4:5]
	v_or_b32_e32 v12, 3, v18
	v_cmp_gt_i32_e64 s[4:5], s41, v12
	s_and_saveexec_b64 s[6:7], s[4:5]
	s_cbranch_execz .LBB272_66
; %bb.65:
	v_add_u32_e32 v0, s40, v12
	v_ashrrev_i32_e32 v1, 31, v0
	v_mul_lo_u32 v2, v1, s28
	v_mul_lo_u32 v3, v0, s29
	v_mad_u64_u32 v[0:1], s[14:15], v0, s28, 0
	v_add3_u32 v1, v1, v3, v2
	v_lshl_add_u64 v[0:1], v[0:1], 2, s[10:11]
	global_load_dword v0, v[0:1], off
	s_waitcnt vmcnt(0)
	v_sub_f32_e32 v0, s12, v0
	v_exp_f32_e32 v15, v0
.LBB272_66:
	s_or_b64 exec, exec, s[6:7]
	v_or_b32_e32 v4, s30, v45
	s_add_u32 s6, s8, s24
	v_accvgpr_read_b32 v0, a4
	s_addc_u32 s7, s9, s25
	v_ashrrev_i32_e32 v5, 31, v4
	v_accvgpr_read_b32 v1, a5
	v_accvgpr_read_b32 v2, a6
	;; [unrolled: 1-line block ×3, first 2 shown]
	v_lshl_add_u64 v[4:5], v[4:5], 1, s[6:7]
	v_mov_b32_e32 v9, 0
	v_lshlrev_b32_e32 v6, 8, v18
	v_mov_b32_e32 v7, 0
	s_and_saveexec_b64 s[6:7], vcc
	s_cbranch_execz .LBB272_68
; %bb.67:
	v_mov_b32_e32 v7, 0
	v_lshl_add_u64 v[20:21], v[4:5], 0, v[6:7]
	global_load_ushort v7, v[20:21], off
	s_waitcnt vmcnt(0)
	v_lshlrev_b32_e32 v7, 16, v7
	v_sub_f32_e32 v0, v7, v0
	v_mul_f32_e32 v0, v16, v0
	v_lshrrev_b32_e32 v7, 16, v0
.LBB272_68:
	s_or_b64 exec, exec, s[6:7]
	v_lshlrev_b32_e32 v8, 8, v8
	s_and_saveexec_b64 s[6:7], s[0:1]
	s_cbranch_execz .LBB272_70
; %bb.69:
	v_mov_b32_e32 v9, 0
	v_lshl_add_u64 v[20:21], v[4:5], 0, v[8:9]
	global_load_ushort v0, v[20:21], off
	s_waitcnt vmcnt(0)
	v_lshlrev_b32_e32 v0, 16, v0
	v_sub_f32_e32 v0, v0, v1
	v_mul_f32_e32 v0, v14, v0
	v_lshrrev_b32_e32 v9, 16, v0
.LBB272_70:
	s_or_b64 exec, exec, s[6:7]
	v_mov_b32_e32 v13, 0
	v_lshlrev_b32_e32 v10, 8, v10
	v_mov_b32_e32 v11, 0
	s_and_saveexec_b64 s[6:7], s[2:3]
	s_cbranch_execz .LBB272_72
; %bb.71:
	v_mov_b32_e32 v11, 0
	v_lshl_add_u64 v[0:1], v[4:5], 0, v[10:11]
	global_load_ushort v0, v[0:1], off
	s_waitcnt vmcnt(0)
	v_lshlrev_b32_e32 v0, 16, v0
	v_sub_f32_e32 v0, v0, v2
	v_mul_f32_e32 v0, v17, v0
	v_lshrrev_b32_e32 v11, 16, v0
.LBB272_72:
	s_or_b64 exec, exec, s[6:7]
	v_lshlrev_b32_e32 v12, 8, v12
	s_and_saveexec_b64 s[6:7], s[4:5]
	s_cbranch_execz .LBB272_74
; %bb.73:
	v_mov_b32_e32 v13, 0
	v_lshl_add_u64 v[0:1], v[4:5], 0, v[12:13]
	global_load_ushort v0, v[0:1], off
	s_waitcnt vmcnt(0)
	v_lshlrev_b32_e32 v0, 16, v0
	v_sub_f32_e32 v0, v0, v3
	v_mul_f32_e32 v0, v15, v0
	v_lshrrev_b32_e32 v13, 16, v0
.LBB272_74:
	s_or_b64 exec, exec, s[6:7]
	v_lshlrev_b32_e32 v18, 5, v18
	s_mov_b32 s6, 0x5040100
	v_perm_b32 v20, v9, v7, s6
	v_or_b32_e32 v7, v18, v22
	v_accvgpr_read_b32 v0, a0
	v_perm_b32 v21, v13, v11, s6
	v_lshlrev_b32_e32 v7, 1, v7
	v_accvgpr_read_b32 v1, a1
	v_accvgpr_read_b32 v2, a2
	;; [unrolled: 1-line block ×3, first 2 shown]
	ds_write_b64 v7, v[20:21] offset:45056
	v_mov_b32_e32 v9, 0
	v_mov_b32_e32 v7, 0
	s_and_saveexec_b64 s[6:7], vcc
	s_cbranch_execz .LBB272_76
; %bb.75:
	v_mov_b32_e32 v7, 0
	v_lshl_add_u64 v[6:7], v[4:5], 0, v[6:7]
	global_load_ushort v6, v[6:7], off offset:32
	s_waitcnt vmcnt(0)
	v_lshlrev_b32_e32 v6, 16, v6
	v_sub_f32_e32 v0, v6, v0
	v_mul_f32_e32 v0, v16, v0
	v_lshrrev_b32_e32 v7, 16, v0
.LBB272_76:
	s_or_b64 exec, exec, s[6:7]
	s_and_saveexec_b64 s[6:7], s[0:1]
	s_cbranch_execz .LBB272_78
; %bb.77:
	v_mov_b32_e32 v9, 0
	v_lshl_add_u64 v[8:9], v[4:5], 0, v[8:9]
	global_load_ushort v0, v[8:9], off offset:32
	s_waitcnt vmcnt(0)
	v_lshlrev_b32_e32 v0, 16, v0
	v_sub_f32_e32 v0, v0, v1
	v_mul_f32_e32 v0, v14, v0
	v_lshrrev_b32_e32 v9, 16, v0
.LBB272_78:
	s_or_b64 exec, exec, s[6:7]
	v_mov_b32_e32 v0, 0
	v_mov_b32_e32 v1, 0
	s_and_saveexec_b64 s[0:1], s[2:3]
	s_cbranch_execz .LBB272_80
; %bb.79:
	v_mov_b32_e32 v11, 0
	v_lshl_add_u64 v[10:11], v[4:5], 0, v[10:11]
	global_load_ushort v1, v[10:11], off offset:32
	s_waitcnt vmcnt(0)
	v_lshlrev_b32_e32 v1, 16, v1
	v_sub_f32_e32 v1, v1, v2
	v_mul_f32_e32 v1, v17, v1
	v_lshrrev_b32_e32 v1, 16, v1
.LBB272_80:
	s_or_b64 exec, exec, s[0:1]
	s_and_saveexec_b64 s[0:1], s[4:5]
	s_cbranch_execz .LBB272_82
; %bb.81:
	v_mov_b32_e32 v13, 0
	v_lshl_add_u64 v[4:5], v[4:5], 0, v[12:13]
	global_load_ushort v0, v[4:5], off offset:32
	s_waitcnt vmcnt(0)
	v_lshlrev_b32_e32 v0, 16, v0
	v_sub_f32_e32 v0, v0, v3
	v_mul_f32_e32 v0, v15, v0
	v_lshrrev_b32_e32 v0, 16, v0
.LBB272_82:
	s_or_b64 exec, exec, s[0:1]
	s_mov_b32 s0, 0x5040100
	v_or_b32_e32 v2, v18, v19
	v_perm_b32 v1, v0, v1, s0
	v_perm_b32 v0, v9, v7, s0
	v_lshlrev_b32_e32 v2, 1, v2
	ds_write_b64 v2, v[0:1] offset:45056
	s_waitcnt lgkmcnt(0)
	s_barrier
.LBB272_83:
	s_endpgm
	.section	.rodata,"a",@progbits
	.p2align	6, 0x0
	.amdhsa_kernel _ZN12_GLOBAL__N_139chunk_gated_delta_rule_fwd_h_hip_kernelILi32ELb0ELb0ELb0ELb0ELb1ELb1ELb1ELb1EEEvPK12hip_bfloat16S3_S3_PKfS5_PKvPS1_S8_PvPKiSB_iiiiilll
		.amdhsa_group_segment_fixed_size 49152
		.amdhsa_private_segment_fixed_size 0
		.amdhsa_kernarg_size 136
		.amdhsa_user_sgpr_count 2
		.amdhsa_user_sgpr_dispatch_ptr 0
		.amdhsa_user_sgpr_queue_ptr 0
		.amdhsa_user_sgpr_kernarg_segment_ptr 1
		.amdhsa_user_sgpr_dispatch_id 0
		.amdhsa_user_sgpr_kernarg_preload_length 0
		.amdhsa_user_sgpr_kernarg_preload_offset 0
		.amdhsa_user_sgpr_private_segment_size 0
		.amdhsa_uses_dynamic_stack 0
		.amdhsa_enable_private_segment 0
		.amdhsa_system_sgpr_workgroup_id_x 1
		.amdhsa_system_sgpr_workgroup_id_y 1
		.amdhsa_system_sgpr_workgroup_id_z 0
		.amdhsa_system_sgpr_workgroup_info 0
		.amdhsa_system_vgpr_workitem_id 0
		.amdhsa_next_free_vgpr 160
		.amdhsa_next_free_sgpr 65
		.amdhsa_accum_offset 140
		.amdhsa_reserve_vcc 1
		.amdhsa_float_round_mode_32 0
		.amdhsa_float_round_mode_16_64 0
		.amdhsa_float_denorm_mode_32 3
		.amdhsa_float_denorm_mode_16_64 3
		.amdhsa_dx10_clamp 1
		.amdhsa_ieee_mode 1
		.amdhsa_fp16_overflow 0
		.amdhsa_tg_split 0
		.amdhsa_exception_fp_ieee_invalid_op 0
		.amdhsa_exception_fp_denorm_src 0
		.amdhsa_exception_fp_ieee_div_zero 0
		.amdhsa_exception_fp_ieee_overflow 0
		.amdhsa_exception_fp_ieee_underflow 0
		.amdhsa_exception_fp_ieee_inexact 0
		.amdhsa_exception_int_div_zero 0
	.end_amdhsa_kernel
	.section	.text._ZN12_GLOBAL__N_139chunk_gated_delta_rule_fwd_h_hip_kernelILi32ELb0ELb0ELb0ELb0ELb1ELb1ELb1ELb1EEEvPK12hip_bfloat16S3_S3_PKfS5_PKvPS1_S8_PvPKiSB_iiiiilll,"axG",@progbits,_ZN12_GLOBAL__N_139chunk_gated_delta_rule_fwd_h_hip_kernelILi32ELb0ELb0ELb0ELb0ELb1ELb1ELb1ELb1EEEvPK12hip_bfloat16S3_S3_PKfS5_PKvPS1_S8_PvPKiSB_iiiiilll,comdat
.Lfunc_end272:
	.size	_ZN12_GLOBAL__N_139chunk_gated_delta_rule_fwd_h_hip_kernelILi32ELb0ELb0ELb0ELb0ELb1ELb1ELb1ELb1EEEvPK12hip_bfloat16S3_S3_PKfS5_PKvPS1_S8_PvPKiSB_iiiiilll, .Lfunc_end272-_ZN12_GLOBAL__N_139chunk_gated_delta_rule_fwd_h_hip_kernelILi32ELb0ELb0ELb0ELb0ELb1ELb1ELb1ELb1EEEvPK12hip_bfloat16S3_S3_PKfS5_PKvPS1_S8_PvPKiSB_iiiiilll
                                        ; -- End function
	.section	.AMDGPU.csdata,"",@progbits
; Kernel info:
; codeLenInByte = 8608
; NumSgprs: 71
; NumVgprs: 140
; NumAgprs: 20
; TotalNumVgprs: 160
; ScratchSize: 0
; MemoryBound: 0
; FloatMode: 240
; IeeeMode: 1
; LDSByteSize: 49152 bytes/workgroup (compile time only)
; SGPRBlocks: 8
; VGPRBlocks: 19
; NumSGPRsForWavesPerEU: 71
; NumVGPRsForWavesPerEU: 160
; AccumOffset: 140
; Occupancy: 1
; WaveLimiterHint : 1
; COMPUTE_PGM_RSRC2:SCRATCH_EN: 0
; COMPUTE_PGM_RSRC2:USER_SGPR: 2
; COMPUTE_PGM_RSRC2:TRAP_HANDLER: 0
; COMPUTE_PGM_RSRC2:TGID_X_EN: 1
; COMPUTE_PGM_RSRC2:TGID_Y_EN: 1
; COMPUTE_PGM_RSRC2:TGID_Z_EN: 0
; COMPUTE_PGM_RSRC2:TIDIG_COMP_CNT: 0
; COMPUTE_PGM_RSRC3_GFX90A:ACCUM_OFFSET: 34
; COMPUTE_PGM_RSRC3_GFX90A:TG_SPLIT: 0
	.section	.text._ZN12_GLOBAL__N_139chunk_gated_delta_rule_fwd_h_hip_kernelILi32ELb1ELb1ELb1ELb1ELb1ELb1ELb0ELb1EEEvPK12hip_bfloat16S3_S3_PKfS5_PKvPS1_S8_PvPKiSB_iiiiilll,"axG",@progbits,_ZN12_GLOBAL__N_139chunk_gated_delta_rule_fwd_h_hip_kernelILi32ELb1ELb1ELb1ELb1ELb1ELb1ELb0ELb1EEEvPK12hip_bfloat16S3_S3_PKfS5_PKvPS1_S8_PvPKiSB_iiiiilll,comdat
	.globl	_ZN12_GLOBAL__N_139chunk_gated_delta_rule_fwd_h_hip_kernelILi32ELb1ELb1ELb1ELb1ELb1ELb1ELb0ELb1EEEvPK12hip_bfloat16S3_S3_PKfS5_PKvPS1_S8_PvPKiSB_iiiiilll ; -- Begin function _ZN12_GLOBAL__N_139chunk_gated_delta_rule_fwd_h_hip_kernelILi32ELb1ELb1ELb1ELb1ELb1ELb1ELb0ELb1EEEvPK12hip_bfloat16S3_S3_PKfS5_PKvPS1_S8_PvPKiSB_iiiiilll
	.p2align	8
	.type	_ZN12_GLOBAL__N_139chunk_gated_delta_rule_fwd_h_hip_kernelILi32ELb1ELb1ELb1ELb1ELb1ELb1ELb0ELb1EEEvPK12hip_bfloat16S3_S3_PKfS5_PKvPS1_S8_PvPKiSB_iiiiilll,@function
_ZN12_GLOBAL__N_139chunk_gated_delta_rule_fwd_h_hip_kernelILi32ELb1ELb1ELb1ELb1ELb1ELb1ELb0ELb1EEEvPK12hip_bfloat16S3_S3_PKfS5_PKvPS1_S8_PvPKiSB_iiiiilll: ; @_ZN12_GLOBAL__N_139chunk_gated_delta_rule_fwd_h_hip_kernelILi32ELb1ELb1ELb1ELb1ELb1ELb1ELb0ELb1EEEvPK12hip_bfloat16S3_S3_PKfS5_PKvPS1_S8_PvPKiSB_iiiiilll
; %bb.0:
	s_load_dwordx4 s[28:31], s[0:1], 0x5c
	s_load_dwordx4 s[4:7], s[0:1], 0x70
	s_abs_i32 s11, s3
	s_ashr_i32 s10, s3, 31
	s_load_dwordx4 s[24:27], s[0:1], 0x40
	s_load_dwordx2 s[8:9], s[0:1], 0x50
	s_waitcnt lgkmcnt(0)
	s_abs_i32 s14, s29
	v_cvt_f32_u32_e32 v1, s14
	s_sub_i32 s12, 0, s14
	s_ashr_i32 s15, s29, 31
	s_xor_b32 s10, s10, s15
	v_rcp_iflag_f32_e32 v1, v1
	v_and_b32_e32 v71, 15, v0
	v_bfe_u32 v70, v0, 4, 2
	v_mov_b32_e32 v55, 0
	v_mul_f32_e32 v1, 0x4f7ffffe, v1
	v_cvt_u32_f32_e32 v1, v1
	v_lshlrev_b32_e32 v72, 3, v0
	v_readfirstlane_b32 s13, v1
	s_mul_i32 s12, s12, s13
	s_mul_hi_u32 s12, s13, s12
	s_add_i32 s13, s13, s12
	s_mul_hi_u32 s12, s11, s13
	s_mul_i32 s13, s12, s14
	s_sub_i32 s11, s11, s13
	s_add_i32 s16, s12, 1
	s_sub_i32 s13, s11, s14
	s_cmp_ge_u32 s11, s14
	s_cselect_b32 s12, s16, s12
	s_cselect_b32 s11, s13, s11
	s_add_i32 s13, s12, 1
	s_cmp_ge_u32 s11, s14
	s_cselect_b32 s11, s13, s12
	s_xor_b32 s11, s11, s10
	s_sub_i32 s36, s11, s10
	s_mul_i32 s16, s36, s29
	s_ashr_i32 s37, s36, 31
	s_sub_i32 s33, s3, s16
	s_lshl_b64 s[10:11], s[36:37], 2
	s_add_u32 s12, s26, s10
	s_addc_u32 s13, s27, s11
	s_add_u32 s38, s8, s10
	s_addc_u32 s39, s9, s11
	s_abs_i32 s3, s30
	v_cvt_f32_u32_e32 v1, s3
	s_load_dwordx2 s[34:35], s[12:13], 0x0
	s_sub_i32 s9, 0, s3
	s_lshl_b32 s2, s2, 5
	v_rcp_iflag_f32_e32 v1, v1
	v_or_b32_e32 v60, s2, v71
	s_waitcnt lgkmcnt(0)
	s_sub_i32 s56, s35, s34
	s_ashr_i32 s8, s56, 31
	v_mul_f32_e32 v1, 0x4f7ffffe, v1
	v_cvt_u32_f32_e32 v1, v1
	s_lshr_b32 s8, s8, 26
	s_add_i32 s8, s56, s8
	s_ashr_i32 s55, s8, 6
	v_readfirstlane_b32 s10, v1
	s_mul_i32 s9, s9, s10
	s_mul_hi_u32 s9, s10, s9
	s_add_i32 s10, s10, s9
	s_mul_hi_u32 s9, s14, s10
	s_mul_i32 s10, s9, s3
	s_ashr_i32 s8, s30, 31
	s_sub_i32 s10, s14, s10
	s_xor_b32 s8, s15, s8
	s_add_i32 s11, s9, 1
	s_sub_i32 s12, s10, s3
	s_cmp_ge_u32 s10, s3
	s_cselect_b32 s9, s11, s9
	s_cselect_b32 s10, s12, s10
	s_add_i32 s11, s9, 1
	s_cmp_ge_u32 s10, s3
	s_cselect_b32 s3, s11, s9
	s_xor_b32 s3, s3, s8
	s_sub_i32 s3, s3, s8
	s_abs_i32 s17, s3
	v_cvt_f32_u32_e32 v1, s17
	s_sub_i32 s19, 0, s17
	s_abs_i32 s18, s33
	s_xor_b32 s3, s33, s3
	v_rcp_iflag_f32_e32 v2, v1
	s_ashr_i32 s3, s3, 31
	s_load_dwordx8 s[8:15], s[0:1], 0x20
	v_lshrrev_b32_e32 v1, 6, v0
	v_mul_f32_e32 v2, 0x4f7ffffe, v2
	v_cvt_u32_f32_e32 v2, v2
	v_lshlrev_b32_e32 v53, 4, v1
	v_lshlrev_b32_e32 v56, 7, v60
	v_lshl_or_b32 v74, v70, 2, v53
	v_readfirstlane_b32 s20, v2
	s_mul_i32 s19, s19, s20
	s_mul_hi_u32 s19, s20, s19
	s_add_i32 s20, s20, s19
	s_mul_hi_u32 s19, s18, s20
	s_mul_i32 s20, s19, s17
	s_sub_i32 s18, s18, s20
	s_add_i32 s20, s19, 1
	s_sub_i32 s21, s18, s17
	s_cmp_ge_u32 s18, s17
	s_cselect_b32 s19, s20, s19
	s_cselect_b32 s18, s21, s18
	s_add_i32 s20, s19, 1
	s_cmp_ge_u32 s18, s17
	s_cselect_b32 s17, s20, s19
	s_xor_b32 s17, s17, s3
	s_sub_i32 s57, s17, s3
	s_ashr_i32 s48, s33, 31
	s_mul_hi_i32 s3, s36, s29
	s_add_u32 s16, s16, s33
	s_addc_u32 s17, s3, s48
	s_lshl_b64 s[26:27], s[16:17], 15
	s_waitcnt lgkmcnt(0)
	s_add_u32 s10, s10, s26
	s_addc_u32 s11, s11, s27
	v_ashrrev_i32_e32 v57, 31, v56
	v_lshl_add_u64 v[2:3], v[56:57], 1, s[10:11]
	v_lshlrev_b32_e32 v54, 1, v74
	v_or_b32_e32 v58, 0x800, v56
	v_lshl_add_u64 v[2:3], v[2:3], 0, v[54:55]
	v_ashrrev_i32_e32 v59, 31, v58
	global_load_dwordx2 v[6:7], v[2:3], off
	global_load_dwordx2 v[10:11], v[2:3], off offset:128
	v_lshl_add_u64 v[2:3], v[58:59], 1, s[10:11]
	v_lshl_add_u64 v[2:3], v[2:3], 0, v[54:55]
	global_load_dwordx2 v[12:13], v[2:3], off
	global_load_dwordx2 v[14:15], v[2:3], off offset:128
	s_load_dwordx8 s[16:23], s[0:1], 0x0
	s_load_dwordx2 s[10:11], s[0:1], 0x80
	s_load_dword s60, s[38:39], 0x0
	v_and_b32_e32 v55, 63, v0
	v_lshrrev_b32_e32 v73, 3, v55
	v_or_b32_e32 v75, 64, v74
	s_mul_i32 s49, s36, s5
	s_mul_hi_u32 s50, s36, s4
	s_mul_i32 s40, s36, s4
	s_mul_i32 s51, s37, s4
	s_mul_hi_i32 s58, s33, s28
	s_mul_i32 s59, s33, s28
	s_mul_i32 s52, s33, s7
	s_mul_hi_u32 s53, s33, s6
	s_mul_i32 s54, s48, s6
	s_cmp_lt_i32 s56, 64
	s_mul_i32 s42, s33, s6
	s_waitcnt vmcnt(3)
	v_and_b32_e32 v3, 0xffff0000, v6
	v_lshlrev_b32_e32 v2, 16, v6
	v_and_b32_e32 v5, 0xffff0000, v7
	v_lshlrev_b32_e32 v4, 16, v7
	s_waitcnt vmcnt(2)
	v_and_b32_e32 v7, 0xffff0000, v10
	v_lshlrev_b32_e32 v6, 16, v10
	v_and_b32_e32 v9, 0xffff0000, v11
	v_lshlrev_b32_e32 v8, 16, v11
	;; [unrolled: 5-line block ×4, first 2 shown]
	s_cbranch_scc1 .LBB273_3
; %bb.1:
	s_ashr_i32 s1, s34, 31
	s_add_u32 s0, s59, s34
	s_addc_u32 s1, s58, s1
	s_lshl_b64 s[0:1], s[0:1], 8
	v_and_b32_e32 v83, 56, v72
	s_waitcnt lgkmcnt(0)
	s_add_u32 s4, s18, s0
	v_lshl_or_b32 v82, v1, 3, v73
	v_lshlrev_b32_e32 v10, 1, v83
	s_addc_u32 s0, s19, s1
	v_lshl_or_b32 v85, v82, 8, v10
	s_and_b32 s5, s0, 0xffff
	s_mov_b32 s7, 0x20000
	s_movk_i32 s6, 0x4000
	s_movk_i32 s0, 0x80
	v_or_b32_e32 v86, 0x2000, v85
	buffer_load_dwordx4 v[12:15], v85, s[4:7], 0 offen
	buffer_load_dwordx4 v[16:19], v85, s[4:7], s0 offen
	;; [unrolled: 1-line block ×4, first 2 shown]
	v_lshlrev_b32_e32 v11, 3, v82
	v_and_or_b32 v29, v0, 7, v11
	v_and_b32_e32 v11, 0x78, v11
	v_lshlrev_b32_e32 v29, 4, v29
	v_xor_b32_e32 v88, v29, v11
	v_mul_lo_u32 v28, v82, s31
	v_or_b32_e32 v89, 0x1000, v88
	v_xor_b32_e32 v11, 8, v88
	s_cmpk_eq_i32 s31, 0x80
	s_mov_b32 s61, s34
	v_xor_b32_e32 v29, 8, v89
	s_cselect_b64 s[0:1], -1, 0
	s_cmpk_lg_i32 s31, 0x80
	s_waitcnt vmcnt(3)
	ds_write_b64 v88, v[12:13] offset:24576
	ds_write_b64 v11, v[14:15] offset:24576
	s_waitcnt vmcnt(2)
	ds_write_b64 v88, v[16:17] offset:32768
	ds_write_b64 v11, v[18:19] offset:32768
	;; [unrolled: 3-line block ×4, first 2 shown]
	v_lshl_add_u32 v11, v28, 1, v83
	s_cbranch_scc0 .LBB273_4
; %bb.2:
	v_lshlrev_b32_e32 v13, 1, v11
	v_add_lshl_u32 v12, v11, s31, 1
	s_lshl_b32 s6, s31, 7
	v_lshl_or_b32 v10, v82, 9, v10
	s_cbranch_execz .LBB273_5
	s_branch .LBB273_6
.LBB273_3:
	v_mov_b32_e32 v17, v84
	v_mov_b32_e32 v16, v81
	;; [unrolled: 1-line block ×5, first 2 shown]
	s_branch .LBB273_20
.LBB273_4:
                                        ; implicit-def: $vgpr12
                                        ; implicit-def: $vgpr13
                                        ; implicit-def: $sgpr6
	v_lshl_or_b32 v10, v82, 9, v10
.LBB273_5:
	v_or_b32_e32 v12, 0x100, v10
	s_movk_i32 s6, 0x4000
	v_mov_b32_e32 v13, v10
.LBB273_6:
	s_mul_i32 s4, s34, s30
	s_ashr_i32 s62, s57, 31
	s_mul_hi_i32 s3, s34, s30
	s_add_u32 s4, s4, s57
	s_addc_u32 s5, s3, s62
	s_lshl_b64 s[4:5], s[4:5], 8
	s_add_u32 s4, s16, s4
	s_addc_u32 s3, s17, s5
	s_and_b32 s5, s3, 0xffff
	s_movk_i32 s63, 0x80
	buffer_load_dwordx4 v[14:17], v13, s[4:7], 0 offen
	buffer_load_dwordx4 v[18:21], v13, s[4:7], s63 offen
	;; [unrolled: 1-line block ×4, first 2 shown]
	v_and_b32_e32 v12, 6, v0
	v_lshlrev_b32_e32 v31, 6, v74
	v_or_b32_e32 v33, 16, v71
	v_xor_b32_e32 v34, v82, v12
	v_and_b32_e32 v13, 1, v0
	v_lshl_or_b32 v37, v71, 3, v31
	v_lshl_or_b32 v31, v33, 3, v31
	v_lshlrev_b32_e32 v34, 2, v34
	v_lshlrev_b32_e32 v30, 2, v71
	v_or_b32_e32 v92, 0xa000, v31
	v_or_b32_e32 v93, 0xb000, v31
	v_xor_b32_e32 v31, 0x440, v34
	v_cmp_eq_u32_e32 vcc, 0, v13
	s_add_i32 s3, s50, s49
	v_xor_b32_e32 v35, v74, v30
	v_xor_b32_e32 v36, v75, v30
	v_cndmask_b32_e32 v13, v31, v34, vcc
	s_add_i32 s4, s53, s52
	s_add_i32 s41, s3, s51
	s_mov_b32 s64, 0x1000504
	v_lshlrev_b32_e32 v32, 8, v71
	v_lshlrev_b32_e32 v33, 8, v33
	;; [unrolled: 1-line block ×4, first 2 shown]
	v_lshl_or_b32 v12, v12, 10, v13
	s_add_i32 s43, s4, s54
	s_lshl_b64 s[4:5], s[40:41], 2
	s_mov_b32 s65, 0x3020706
	v_or_b32_e32 v90, 0xa000, v37
	v_or_b32_e32 v91, 0xb000, v37
	;; [unrolled: 1-line block ×5, first 2 shown]
	v_xor_b32_e32 v13, 8, v12
	v_xor_b32_e32 v32, 24, v12
	;; [unrolled: 1-line block ×4, first 2 shown]
	s_add_u32 s3, s22, s4
	v_or_b32_e32 v96, v33, v35
	v_xor_b32_e32 v31, 16, v12
	v_xor_b32_e32 v33, 32, v12
	;; [unrolled: 1-line block ×3, first 2 shown]
	v_add_u32_e32 v13, 0x80, v13
	v_add_u32_e32 v32, 0x80, v32
	v_add_u32_e32 v34, 0x80, v34
	v_add_u32_e32 v36, 0x80, v36
	s_addc_u32 s6, s23, s5
	s_lshl_b64 s[4:5], s[42:43], 2
	s_add_u32 s44, s3, s4
	s_movk_i32 s3, 0xf8
	s_addc_u32 s45, s6, s5
	s_lshl_b32 s38, s31, 7
	s_movk_i32 s36, 0x100
	v_mov_b32_e32 v63, 0
	v_lshlrev_b32_e32 v62, 4, v71
	v_cmp_gt_u32_e32 vcc, s36, v0
	v_ashrrev_i32_e32 v61, 31, v60
	s_mov_b32 s66, 0
	s_movk_i32 s41, 0x1000
	s_movk_i32 s6, 0x4000
	s_waitcnt vmcnt(1)
	v_perm_b32 v37, v14, v22, s64
	s_waitcnt vmcnt(0)
	v_perm_b32 v38, v18, v26, s64
	v_perm_b32 v14, v14, v22, s65
	v_perm_b32 v18, v18, v26, s65
	v_perm_b32 v22, v15, v23, s64
	v_perm_b32 v26, v19, v27, s64
	v_perm_b32 v15, v15, v23, s65
	v_perm_b32 v19, v19, v27, s65
	v_perm_b32 v23, v16, v24, s64
	v_perm_b32 v27, v20, v28, s64
	v_perm_b32 v16, v16, v24, s65
	v_perm_b32 v20, v20, v28, s65
	v_perm_b32 v24, v17, v25, s64
	v_perm_b32 v28, v21, v29, s64
	v_perm_b32 v17, v17, v25, s65
	v_perm_b32 v21, v21, v29, s65
	ds_write2st64_b32 v12, v37, v38 offset0:32 offset1:64
	ds_write2st64_b32 v13, v14, v18 offset0:32 offset1:64
	ds_write2st64_b32 v31, v22, v26 offset0:33 offset1:65
	ds_write2st64_b32 v32, v15, v19 offset0:33 offset1:65
	ds_write2st64_b32 v33, v23, v27 offset0:34 offset1:66
	ds_write2st64_b32 v34, v16, v20 offset0:34 offset1:66
	ds_write2st64_b32 v35, v24, v28 offset0:35 offset1:67
	ds_write2st64_b32 v36, v17, v21 offset0:35 offset1:67
	v_or_b32_e32 v12, v53, v71
	v_lshlrev_b32_e32 v12, 3, v12
	v_lshrrev_b32_e32 v15, 5, v55
	v_and_or_b32 v15, v12, s3, v15
	v_lshlrev_b32_e32 v15, 4, v15
	v_lshlrev_b32_e32 v17, 11, v1
	v_and_b32_e32 v12, 0x78, v12
	v_or_b32_e32 v20, 32, v15
	v_and_b32_e32 v14, 0x1000, v17
	v_lshrrev_b32_e32 v18, 1, v55
	v_xor_b32_e32 v20, v20, v12
	v_xor_b32_e32 v16, v15, v12
	v_and_b32_e32 v18, 8, v18
	v_or_b32_e32 v20, v20, v14
	v_or_b32_e32 v16, v16, v14
	v_lshlrev_b32_e32 v19, 7, v70
	v_xor_b32_e32 v100, v20, v18
	v_or_b32_e32 v20, 64, v15
	v_or_b32_e32 v15, 0x60, v15
	s_ashr_i32 s3, s2, 31
	v_xor_b32_e32 v98, v16, v18
	v_or_b32_e32 v16, v19, v30
	v_xor_b32_e32 v20, v20, v12
	v_xor_b32_e32 v12, v15, v12
	s_lshl_b64 s[4:5], s[2:3], 8
	v_lshlrev_b32_e32 v16, 1, v16
	v_or_b32_e32 v20, v20, v14
	v_or_b32_e32 v12, v12, v14
	s_add_u32 s4, s12, s4
	v_lshlrev_b32_e32 v14, 1, v71
	v_or_b32_e32 v99, 0xa000, v16
	v_or_b32_e32 v101, 0xa080, v16
	;; [unrolled: 1-line block ×4, first 2 shown]
	v_lshrrev_b32_e32 v16, 4, v0
	s_addc_u32 s5, s13, s5
	v_or_b32_e32 v15, 1, v14
	v_mov_b32_e32 v25, 0x4000
	v_mov_b32_e32 v26, 0x2000
	v_lshrrev_b32_e32 v27, 1, v0
	v_xor_b32_e32 v102, v20, v18
	v_xor_b32_e32 v103, v12, v18
	;; [unrolled: 1-line block ×4, first 2 shown]
	v_lshl_add_u64 v[14:15], s[4:5], 0, v[62:63]
	v_lshlrev_b32_e32 v62, 8, v16
	v_cndmask_b32_e32 v25, v25, v26, vcc
	v_lshlrev_b32_e32 v26, 3, v1
	v_and_b32_e32 v27, 24, v27
	v_lshl_or_b32 v106, v18, 3, v62
	v_and_b32_e32 v18, 8, v0
	v_xor_b32_e32 v28, v26, v27
	v_or_b32_e32 v29, 0x440, v28
	v_cmp_eq_u32_e32 vcc, 0, v18
	v_and_b32_e32 v16, 7, v0
	v_lshl_or_b32 v107, v22, 3, v62
	v_cndmask_b32_e32 v18, v29, v28, vcc
	v_lshlrev_b32_e32 v22, 3, v16
	v_lshlrev_b32_e32 v24, 2, v0
	v_or_b32_e32 v18, v18, v17
	v_xor_b32_e32 v28, v18, v22
	v_and_or_b32 v18, v24, 60, v19
	v_mov_b32_e32 v19, 0xb000
	v_lshl_or_b32 v108, v18, 1, v19
	v_or_b32_e32 v18, 32, v27
	v_xor_b32_e32 v18, v26, v18
	v_or_b32_e32 v19, 0x440, v18
	v_cndmask_b32_e32 v18, v19, v18, vcc
	v_or_b32_e32 v18, v18, v17
	v_xor_b32_e32 v19, v18, v22
	v_or_b32_e32 v18, 64, v27
	v_xor_b32_e32 v18, v26, v18
	v_xor_b32_e32 v30, 0x440, v18
	v_cndmask_b32_e32 v18, v30, v18, vcc
	v_or_b32_e32 v18, v18, v17
	v_xor_b32_e32 v30, v18, v22
	v_or_b32_e32 v18, 0x60, v27
	v_xor_b32_e32 v18, v26, v18
	v_xor_b32_e32 v26, 0x440, v18
	v_cndmask_b32_e32 v18, v26, v18, vcc
	v_lshrrev_b32_e32 v13, 2, v55
	v_or_b32_e32 v17, v18, v17
	v_and_b32_e32 v13, 12, v13
	v_lshlrev_b32_e32 v20, 1, v11
	v_add_lshl_u32 v11, v11, s31, 1
	v_or_b32_e32 v21, 0x100, v10
	v_xor_b32_e32 v17, v17, v22
	v_lshlrev_b32_e32 v12, 7, v74
	v_lshlrev_b32_e32 v23, 7, v16
	v_or_b32_e32 v16, v13, v53
	v_add_u32_e32 v29, v25, v28
	v_add_u32_e32 v24, v25, v19
	;; [unrolled: 1-line block ×4, first 2 shown]
	v_or3_b32 v18, v53, v13, 64
	v_add_u32_e32 v13, 0x4000, v28
	v_add_u32_e32 v19, 0x4000, v19
	;; [unrolled: 1-line block ×4, first 2 shown]
	v_cndmask_b32_e64 v109, v20, v10, s[0:1]
	v_cndmask_b32_e64 v110, v11, v21, s[0:1]
	v_lshlrev_b64 v[10:11], 1, v[60:61]
	v_lshl_add_u64 v[64:65], s[20:21], 0, v[10:11]
	v_lshl_add_u64 v[66:67], s[14:15], 0, v[10:11]
	;; [unrolled: 1-line block ×3, first 2 shown]
	s_mov_b32 s3, 0x7060302
	v_lshlrev_b32_e32 v62, 1, v12
	v_lshlrev_b32_e32 v61, 2, v16
	v_add_u32_e32 v111, v29, v23
	v_add_u32_e32 v112, v24, v23
	;; [unrolled: 1-line block ×4, first 2 shown]
	v_lshlrev_b32_e32 v115, 2, v18
	v_add_u32_e32 v116, v13, v23
	v_add_u32_e32 v117, v19, v23
	;; [unrolled: 1-line block ×4, first 2 shown]
	s_waitcnt lgkmcnt(0)
	s_barrier
.LBB273_7:                              ; =>This Inner Loop Header: Depth=1
	s_add_i32 s43, s66, 1
	s_cmp_lt_i32 s43, s55
	s_mov_b64 s[36:37], 0
	s_cselect_b64 s[46:47], -1, 0
	s_cmp_ge_i32 s43, s55
	s_mov_b64 s[4:5], 0
	s_cbranch_scc1 .LBB273_9
; %bb.8:                                ;   in Loop: Header=BB273_7 Depth=1
	s_add_i32 s0, s61, 64
	s_ashr_i32 s1, s0, 31
	s_add_u32 s0, s59, s0
	s_addc_u32 s1, s58, s1
	s_lshl_b64 s[0:1], s[0:1], 8
	s_add_u32 s4, s18, s0
	s_addc_u32 s5, s19, s1
.LBB273_9:                              ;   in Loop: Header=BB273_7 Depth=1
	v_cndmask_b32_e64 v10, 0, 1, s[46:47]
	v_cmp_ne_u32_e64 s[0:1], 1, v10
	s_andn2_b64 vcc, exec, s[46:47]
	s_cbranch_vccnz .LBB273_11
; %bb.10:                               ;   in Loop: Header=BB273_7 Depth=1
	s_add_i32 s36, s61, 64
	s_mul_hi_i32 s37, s36, s30
	s_mul_i32 s36, s36, s30
	s_add_u32 s36, s36, s57
	s_addc_u32 s37, s37, s62
	s_lshl_b64 s[36:37], s[36:37], 8
	s_add_u32 s36, s16, s36
	s_addc_u32 s37, s17, s37
.LBB273_11:                             ;   in Loop: Header=BB273_7 Depth=1
	v_perm_b32 v11, v5, v4, s3
	v_perm_b32 v10, v3, v2, s3
	;; [unrolled: 1-line block ×4, first 2 shown]
	ds_write_b64 v90, v[10:11]
	ds_write_b64 v91, v[12:13]
	;; [unrolled: 1-line block ×4, first 2 shown]
	v_perm_b32 v11, v87, v78, s3
	v_perm_b32 v10, v77, v76, s3
	;; [unrolled: 1-line block ×4, first 2 shown]
	ds_write_b64 v92, v[10:11]
	ds_write_b64 v93, v[12:13]
	;; [unrolled: 1-line block ×4, first 2 shown]
	s_waitcnt lgkmcnt(0)
	s_barrier
	ds_read_b64 v[14:15], v98 offset:24576
	ds_read2_b64 v[10:13], v99 offset1:16
	ds_read_b64 v[18:19], v101 offset:3072
	ds_read_b64 v[20:21], v99 offset:3072
	;; [unrolled: 1-line block ×3, first 2 shown]
	s_waitcnt lgkmcnt(3)
	v_mfma_f32_16x16x16_bf16 a[0:3], v[14:15], v[10:11], 0
	s_add_i32 s67, s61, 63
	s_ashr_i32 s39, s67, 31
	s_mul_i32 s46, s67, s11
	v_mfma_f32_16x16x16_bf16 a[4:7], v[14:15], v[12:13], 0
	ds_read2st64_b64 v[10:13], v99 offset0:2 offset1:4
	s_mul_hi_u32 s47, s67, s10
	s_add_i32 s46, s47, s46
	s_waitcnt lgkmcnt(0)
	v_mfma_f32_16x16x16_bf16 a[0:3], v[22:23], v[10:11], a[0:3]
	ds_read2st64_b64 v[14:17], v101 offset0:2 offset1:4
	ds_read_b64 v[10:11], v102 offset:24576
	s_mul_i32 s39, s39, s10
	s_add_i32 s47, s46, s39
	s_waitcnt lgkmcnt(1)
	v_mfma_f32_16x16x16_bf16 a[4:7], v[22:23], v[14:15], a[4:7]
	ds_read_b64 v[14:15], v103 offset:24576
	s_mul_i32 s46, s67, s10
	s_lshl_b64 s[46:47], s[46:47], 2
	s_waitcnt lgkmcnt(1)
	v_mfma_f32_16x16x16_bf16 a[0:3], v[10:11], v[12:13], a[0:3]
	s_add_u32 s46, s44, s46
	s_addc_u32 s47, s45, s47
	s_and_b64 vcc, exec, s[0:1]
	v_mfma_f32_16x16x16_bf16 a[8:11], v[10:11], v[16:17], a[4:7]
	v_mov_b32_e32 v122, 0
	v_mov_b32_e32 v121, 0
	;; [unrolled: 1-line block ×3, first 2 shown]
	s_waitcnt lgkmcnt(0)
	v_mfma_f32_16x16x16_bf16 a[4:7], v[14:15], v[20:21], a[0:3]
	v_mov_b32_e32 v10, 0
	v_mov_b32_e32 v11, 0
	;; [unrolled: 1-line block ×3, first 2 shown]
	v_mfma_f32_16x16x16_bf16 a[0:3], v[14:15], v[18:19], a[8:11]
	v_mov_b32_e32 v13, 0
	v_mov_b32_e32 v14, 0
	;; [unrolled: 1-line block ×13, first 2 shown]
	s_cbranch_vccnz .LBB273_13
; %bb.12:                               ;   in Loop: Header=BB273_7 Depth=1
	s_and_b32 s5, s5, 0xffff
	buffer_load_dwordx4 v[22:25], v85, s[4:7], 0 offen
	buffer_load_dwordx4 v[18:21], v85, s[4:7], s63 offen
	;; [unrolled: 1-line block ×4, first 2 shown]
	v_mov_b32_e32 v121, v88
	v_mov_b32_e32 v120, v89
.LBB273_13:                             ;   in Loop: Header=BB273_7 Depth=1
	ds_read_b64 v[34:35], v98 offset:32768
	ds_read2_b64 v[26:29], v104 offset1:16
	ds_read_b64 v[36:37], v100 offset:32768
	ds_read_b64 v[38:39], v102 offset:32768
	;; [unrolled: 1-line block ×3, first 2 shown]
	ds_read2st64_b64 v[30:33], v104 offset0:2 offset1:4
	v_add_u32_e32 v42, s61, v74
	s_waitcnt lgkmcnt(4)
	v_mfma_f32_16x16x16_bf16 a[4:7], v[34:35], v[26:27], a[4:7]
	v_ashrrev_i32_e32 v26, 31, v42
	v_mov_b32_e32 v123, 0
	v_mfma_f32_16x16x16_bf16 a[0:3], v[34:35], v[28:29], a[0:3]
	v_mul_lo_u32 v28, v42, s11
	v_mul_lo_u32 v29, v26, s10
	v_mad_u64_u32 v[26:27], s[4:5], v42, s10, 0
	v_add3_u32 v27, v27, v28, v29
	v_add_u32_e32 v28, 1, v42
	v_ashrrev_i32_e32 v29, 31, v28
	s_waitcnt lgkmcnt(0)
	v_mfma_f32_16x16x16_bf16 a[4:7], v[36:37], v[30:31], a[4:7]
	v_mul_lo_u32 v30, v29, s10
	v_mul_lo_u32 v31, v28, s11
	v_mad_u64_u32 v[28:29], s[4:5], v28, s10, 0
	v_add3_u32 v29, v29, v31, v30
	v_add_u32_e32 v30, 2, v42
	v_ashrrev_i32_e32 v31, 31, v30
	v_mul_lo_u32 v34, v31, s10
	v_mul_lo_u32 v35, v30, s11
	v_mad_u64_u32 v[30:31], s[4:5], v30, s10, 0
	v_add3_u32 v31, v31, v35, v34
	v_add_u32_e32 v34, 3, v42
	v_ashrrev_i32_e32 v35, 31, v34
	v_mul_lo_u32 v42, v35, s10
	v_mul_lo_u32 v43, v34, s11
	v_mad_u64_u32 v[34:35], s[4:5], v34, s10, 0
	s_ashr_i32 s5, s61, 31
	v_add3_u32 v35, v35, v43, v42
	s_add_u32 s4, s59, s61
	v_lshl_add_u64 v[26:27], v[26:27], 2, s[44:45]
	v_lshl_add_u64 v[34:35], v[34:35], 2, s[44:45]
	s_addc_u32 s5, s58, s5
	v_lshl_add_u64 v[28:29], v[28:29], 2, s[44:45]
	v_lshl_add_u64 v[30:31], v[30:31], 2, s[44:45]
	global_load_dword v42, v[26:27], off
	global_load_dword v43, v[28:29], off
	;; [unrolled: 1-line block ×3, first 2 shown]
	s_nop 0
	global_load_dword v35, v[34:35], off
	s_lshl_b64 s[68:69], s[4:5], 8
	v_lshl_add_u64 v[26:27], v[64:65], 0, s[68:69]
	v_lshl_add_u64 v[30:31], v[26:27], 0, v[62:63]
	global_load_ushort v45, v[30:31], off offset:256
	global_load_ushort v46, v[30:31], off
	global_load_ushort v47, v[30:31], off offset:768
	global_load_ushort v48, v[30:31], off offset:512
	ds_read2st64_b64 v[26:29], v105 offset0:2 offset1:4
	global_load_ushort v49, v[30:31], off offset:800
	global_load_ushort v50, v[30:31], off offset:544
	;; [unrolled: 1-line block ×4, first 2 shown]
	s_waitcnt lgkmcnt(0)
	v_mfma_f32_16x16x16_bf16 a[0:3], v[36:37], v[26:27], a[0:3]
	s_and_b64 vcc, exec, s[0:1]
	s_waitcnt vmcnt(7)
	v_lshlrev_b32_e32 v37, 16, v45
	v_mfma_f32_16x16x16_bf16 a[4:7], v[38:39], v[32:33], a[4:7]
	s_waitcnt vmcnt(6)
	v_lshlrev_b32_e32 v36, 16, v46
	v_mfma_f32_16x16x16_bf16 a[0:3], v[38:39], v[28:29], a[0:3]
	ds_read_b64 v[26:27], v104 offset:3072
	ds_read_b64 v[28:29], v105 offset:3072
	s_load_dword s4, s[46:47], 0x0
	s_waitcnt vmcnt(5)
	v_lshlrev_b32_e32 v39, 16, v47
	s_waitcnt lgkmcnt(0)
	v_mfma_f32_16x16x16_bf16 a[4:7], v[40:41], v[26:27], a[4:7]
	v_lshl_add_u64 v[26:27], v[66:67], 0, s[68:69]
	v_sub_f32_e32 v34, s4, v42
	v_sub_f32_e32 v38, s4, v43
	v_mfma_f32_16x16x16_bf16 a[0:3], v[40:41], v[28:29], a[0:3]
	v_sub_f32_e32 v40, s4, v44
	v_sub_f32_e32 v41, s4, v35
	v_exp_f32_e32 v34, v34
	v_exp_f32_e32 v35, v38
	;; [unrolled: 1-line block ×4, first 2 shown]
	v_accvgpr_read_b32 v33, a5
	v_accvgpr_read_b32 v29, a7
	;; [unrolled: 1-line block ×4, first 2 shown]
	s_waitcnt vmcnt(4)
	v_lshlrev_b32_e32 v38, 16, v48
	v_lshl_add_u64 v[26:27], v[26:27], 0, v[62:63]
	v_pk_add_f32 v[32:33], v[36:37], v[32:33] neg_lo:[0,1] neg_hi:[0,1]
	v_pk_add_f32 v[28:29], v[38:39], v[28:29] neg_lo:[0,1] neg_hi:[0,1]
	global_store_short_d16_hi v[26:27], v32, off
	global_store_short_d16_hi v[26:27], v33, off offset:256
	global_store_short_d16_hi v[26:27], v28, off offset:512
	;; [unrolled: 1-line block ×3, first 2 shown]
	v_pk_mul_f32 v[32:33], v[34:35], v[32:33]
	v_pk_mul_f32 v[28:29], v[40:41], v[28:29]
	v_accvgpr_read_b32 v37, a1
	v_perm_b32 v32, v33, v32, s3
	v_perm_b32 v33, v29, v28, s3
	s_waitcnt vmcnt(5)
	v_lshlrev_b32_e32 v29, 16, v51
	s_waitcnt vmcnt(4)
	v_lshlrev_b32_e32 v28, 16, v52
	v_accvgpr_read_b32 v36, a0
	v_accvgpr_read_b32 v31, a3
	;; [unrolled: 1-line block ×3, first 2 shown]
	v_pk_add_f32 v[28:29], v[28:29], v[36:37] neg_lo:[0,1] neg_hi:[0,1]
	v_lshlrev_b32_e32 v37, 16, v49
	v_lshlrev_b32_e32 v36, 16, v50
	v_pk_add_f32 v[30:31], v[36:37], v[30:31] neg_lo:[0,1] neg_hi:[0,1]
	global_store_short_d16_hi v[26:27], v28, off offset:32
	global_store_short_d16_hi v[26:27], v29, off offset:288
	;; [unrolled: 1-line block ×4, first 2 shown]
	v_pk_mul_f32 v[26:27], v[34:35], v[28:29]
	v_pk_mul_f32 v[28:29], v[40:41], v[30:31]
	v_mov_b32_e32 v30, 0
	v_perm_b32 v29, v29, v28, s3
	v_perm_b32 v28, v27, v26, s3
	ds_write2_b64 v91, v[32:33], v[28:29] offset1:16
	v_mov_b32_e32 v26, 0
	v_mov_b32_e32 v27, 0
	;; [unrolled: 1-line block ×15, first 2 shown]
	s_cbranch_vccnz .LBB273_15
; %bb.14:                               ;   in Loop: Header=BB273_7 Depth=1
	s_and_b32 s37, s37, 0xffff
	s_mov_b32 s39, s7
	buffer_load_dwordx4 v[38:41], v109, s[36:39], 0 offen
	buffer_load_dwordx4 v[30:33], v109, s[36:39], s63 offen
	;; [unrolled: 1-line block ×4, first 2 shown]
	v_mov_b32_e32 v122, v83
	v_mov_b32_e32 v123, v82
.LBB273_15:                             ;   in Loop: Header=BB273_7 Depth=1
	s_waitcnt lgkmcnt(0)
	s_barrier
	ds_read_b64 v[46:47], v111
	ds_read_b64 v[128:129], v108
	;; [unrolled: 1-line block ×5, first 2 shown]
	ds_read_b64 v[142:143], v105 offset:3072
	ds_read2_b64 v[42:45], v104 offset0:16 offset1:128
	s_waitcnt lgkmcnt(5)
	v_mfma_f32_16x16x16_bf16 a[0:3], v[46:47], v[128:129], 0
	s_add_i32 s5, s60, s66
	s_mul_hi_i32 s37, s5, s29
	s_mul_i32 s5, s5, s29
	s_waitcnt lgkmcnt(0)
	v_mfma_f32_16x16x16_bf16 a[4:7], v[46:47], v[42:43], 0
	ds_read_b64 v[46:47], v116
	ds_read2st64_b64 v[48:51], v105 offset0:2 offset1:4
	s_add_u32 s36, s5, s33
	s_addc_u32 s37, s37, s48
	s_lshl_b64 s[36:37], s[36:37], 15
	s_mul_i32 s39, s67, s29
	s_mul_hi_i32 s5, s67, s29
	s_add_u32 s46, s39, s33
	s_waitcnt lgkmcnt(1)
	v_mfma_f32_16x16x16_bf16 a[8:11], v[46:47], v[128:129], 0
	s_addc_u32 s47, s5, s48
	ds_read2st64_b64 v[124:127], v104 offset0:4 offset1:6
	s_lshl_b64 s[46:47], s[46:47], 9
	v_mfma_f32_16x16x16_bf16 a[0:3], v[130:131], v[44:45], a[0:3]
	s_add_u32 s46, s8, s46
	s_addc_u32 s47, s9, s47
	s_waitcnt lgkmcnt(1)
	v_mfma_f32_16x16x16_bf16 a[4:7], v[130:131], v[48:49], a[4:7]
	ds_read_b64 v[130:131], v117
	ds_read_b64 v[138:139], v118
	;; [unrolled: 1-line block ×3, first 2 shown]
	v_mfma_f32_16x16x16_bf16 a[12:15], v[46:47], v[42:43], 0
	s_waitcnt lgkmcnt(2)
	v_mfma_f32_16x16x16_bf16 a[8:11], v[130:131], v[44:45], a[8:11]
	global_load_dwordx4 v[42:45], v115, s[46:47]
	v_mfma_f32_16x16x16_bf16 a[12:15], v[130:131], v[48:49], a[12:15]
	global_load_dwordx4 v[46:49], v61, s[46:47]
	ds_read2st64_b64 v[128:131], v106 offset1:8
	s_waitcnt lgkmcnt(0)
	v_mov_b32_e32 v136, v128
	v_mfma_f32_16x16x16_bf16 a[0:3], v[132:133], v[124:125], a[0:3]
	v_mov_b32_e32 v137, v129
	v_mfma_f32_16x16x16_bf16 a[4:7], v[132:133], v[50:51], a[4:7]
	ds_read2st64_b64 v[132:135], v107 offset1:8
	v_mfma_f32_16x16x16_bf16 a[8:11], v[138:139], v[124:125], a[8:11]
	v_lshl_add_u64 v[124:125], v[68:69], 0, s[36:37]
	v_mfma_f32_16x16x16_bf16 a[16:19], v[138:139], v[50:51], a[12:15]
	v_add_co_u32_e32 v50, vcc, s41, v124
	s_waitcnt lgkmcnt(0)
	v_mov_b32_e32 v138, v132
	v_mfma_f32_16x16x16_bf16 a[0:3], v[140:141], v[126:127], a[0:3]
	v_mov_b32_e32 v139, v133
	v_mov_b32_e32 v132, v130
	;; [unrolled: 1-line block ×3, first 2 shown]
	v_mfma_f32_16x16x16_bf16 a[4:7], v[140:141], v[142:143], a[4:7]
	v_addc_co_u32_e32 v51, vcc, 0, v125, vcc
	global_store_dwordx4 v[50:51], v[132:135], off
	v_mfma_f32_16x16x16_bf16 a[12:15], v[144:145], v[126:127], a[8:11]
	s_and_b64 vcc, exec, s[0:1]
	global_store_dwordx4 v[124:125], v[136:139], off
	s_waitcnt vmcnt(3)
	v_mov_b32_e32 v52, v45
	v_mfma_f32_16x16x16_bf16 a[8:11], v[144:145], v[142:143], a[16:19]
	v_mov_b32_e32 v51, v44
	v_mov_b32_e32 v50, v43
	s_cbranch_vccnz .LBB273_17
; %bb.16:                               ;   in Loop: Header=BB273_7 Depth=1
	v_lshrrev_b32_e32 v43, 3, v122
	v_and_b32_e32 v43, 6, v43
	v_xor_b32_e32 v44, v43, v123
	v_lshlrev_b32_e32 v44, 2, v44
	v_and_b32_e32 v45, 8, v122
	v_xor_b32_e32 v122, 0x440, v44
	v_cmp_eq_u32_e32 vcc, 0, v45
	v_perm_b32 v45, v30, v26, s64
	s_nop 0
	v_cndmask_b32_e32 v44, v122, v44, vcc
	v_lshl_or_b32 v43, v43, 10, v44
	v_perm_b32 v44, v38, v34, s64
	s_barrier
	ds_write2st64_b32 v43, v44, v45 offset0:32 offset1:64
	v_xor_b32_e32 v44, 8, v43
	v_perm_b32 v34, v38, v34, s65
	v_perm_b32 v26, v30, v26, s65
	v_add_u32_e32 v30, 0x80, v44
	ds_write2st64_b32 v30, v34, v26 offset0:32 offset1:64
	v_xor_b32_e32 v26, 16, v43
	v_perm_b32 v30, v39, v35, s64
	v_perm_b32 v34, v31, v27, s64
	ds_write2st64_b32 v26, v30, v34 offset0:33 offset1:65
	v_xor_b32_e32 v26, 24, v43
	v_perm_b32 v30, v39, v35, s65
	v_perm_b32 v27, v31, v27, s65
	v_add_u32_e32 v26, 0x80, v26
	ds_write2st64_b32 v26, v30, v27 offset0:33 offset1:65
	v_xor_b32_e32 v26, 32, v43
	v_perm_b32 v27, v40, v36, s64
	v_perm_b32 v30, v32, v28, s64
	;; [unrolled: 9-line block ×3, first 2 shown]
	ds_write2st64_b32 v26, v27, v28 offset0:35 offset1:67
	v_xor_b32_e32 v26, 56, v43
	v_perm_b32 v27, v41, v37, s65
	v_perm_b32 v28, v33, v29, s65
	v_add_u32_e32 v26, 0x80, v26
	ds_write2st64_b32 v26, v27, v28 offset0:35 offset1:67
	ds_write_b64 v121, v[22:23] offset:24576
	v_xor_b32_e32 v22, 8, v121
	ds_write_b64 v22, v[24:25] offset:24576
	ds_write_b64 v121, v[18:19] offset:32768
	;; [unrolled: 1-line block ×4, first 2 shown]
	v_xor_b32_e32 v14, 8, v120
	ds_write_b64 v14, v[16:17] offset:24576
	ds_write_b64 v120, v[10:11] offset:32768
	;; [unrolled: 1-line block ×3, first 2 shown]
.LBB273_17:                             ;   in Loop: Header=BB273_7 Depth=1
	v_exp_f32_e32 v26, s4
	s_waitcnt vmcnt(2)
	v_exp_f32_e32 v28, v46
	v_exp_f32_e32 v29, v47
	;; [unrolled: 1-line block ×4, first 2 shown]
	v_accvgpr_read_b32 v21, a3
	v_accvgpr_read_b32 v19, a1
	;; [unrolled: 1-line block ×4, first 2 shown]
	v_pk_mul_f32 v[28:29], v[26:27], v[28:29] op_sel_hi:[0,1]
	v_accvgpr_read_b32 v20, a2
	v_accvgpr_read_b32 v11, a5
	;; [unrolled: 1-line block ×3, first 2 shown]
	v_pk_fma_f32 v[2:3], v[2:3], v[28:29], v[18:19]
	v_pk_mul_f32 v[18:19], v[26:27], v[30:31] op_sel_hi:[0,1]
	v_pk_fma_f32 v[4:5], v[4:5], v[18:19], v[20:21]
	v_fma_f32 v76, v76, v28, v10
	v_fma_f32 v77, v77, v29, v11
	v_exp_f32_e32 v10, v42
	v_exp_f32_e32 v11, v50
	;; [unrolled: 1-line block ×4, first 2 shown]
	v_accvgpr_read_b32 v12, a6
	v_accvgpr_read_b32 v25, a15
	;; [unrolled: 1-line block ×9, first 2 shown]
	v_fma_f32 v78, v78, v18, v12
	v_fmac_f32_e32 v13, v87, v19
	v_pk_mul_f32 v[10:11], v[26:27], v[10:11] op_sel_hi:[0,1]
	v_pk_mul_f32 v[18:19], v[26:27], v[20:21] op_sel_hi:[0,1]
	s_add_i32 s61, s61, 64
	v_pk_fma_f32 v[6:7], v[6:7], v[10:11], v[22:23]
	v_pk_fma_f32 v[8:9], v[8:9], v[18:19], v[24:25]
	v_fma_f32 v79, v79, v10, v14
	v_fma_f32 v80, v80, v11, v15
	v_fma_f32 v81, v81, v18, v16
	s_cmp_eq_u32 s55, s43
	v_fmac_f32_e32 v17, v84, v19
	s_cbranch_scc1 .LBB273_19
; %bb.18:                               ;   in Loop: Header=BB273_7 Depth=1
	s_mov_b32 s66, s43
	v_mov_b32_e32 v87, v13
	v_mov_b32_e32 v84, v17
	s_branch .LBB273_7
.LBB273_19:
	v_mov_b32_e32 v16, v81
	v_mov_b32_e32 v15, v80
	;; [unrolled: 1-line block ×3, first 2 shown]
.LBB273_20:
	s_lshl_b32 s0, s55, 6
	s_sub_i32 s46, s56, s0
	v_mov_b32_e32 v12, v78
	v_mov_b32_e32 v11, v77
	v_mov_b32_e32 v10, v76
	s_cmp_gt_i32 s46, 0
	s_cbranch_scc0 .LBB273_85
; %bb.21:
	s_add_i32 s34, s0, s34
	s_ashr_i32 s3, s34, 31
	s_cmpk_lg_i32 s31, 0x80
	s_cselect_b64 s[38:39], -1, 0
	s_and_b64 vcc, exec, s[38:39]
	s_cbranch_vccz .LBB273_23
; %bb.22:
	s_mul_i32 s1, s34, s30
	s_ashr_i32 s4, s57, 31
	s_mul_hi_i32 s0, s34, s30
	s_add_u32 s44, s1, s57
	s_addc_u32 s45, s0, s4
	s_cbranch_execz .LBB273_24
	s_branch .LBB273_25
.LBB273_23:
                                        ; implicit-def: $sgpr44_sgpr45
.LBB273_24:
	s_mul_i32 s1, s57, s28
	s_mul_hi_i32 s0, s57, s28
	s_add_u32 s44, s1, s34
	s_addc_u32 s45, s0, s3
.LBB273_25:
	s_waitcnt lgkmcnt(0)
	s_add_i32 s4, s55, s60
	s_add_u32 s0, s59, s34
	v_lshlrev_b32_e32 v22, 5, v74
	v_lshlrev_b32_e32 v38, 2, v71
	s_addc_u32 s1, s58, s3
	s_mov_b32 s3, 0x7060302
	v_or_b32_e32 v25, v22, v38
	v_xor_b32_e32 v23, v74, v38
	v_perm_b32 v19, v5, v4, s3
	v_perm_b32 v18, v3, v2, s3
	;; [unrolled: 1-line block ×4, first 2 shown]
	v_lshlrev_b32_e32 v25, 1, v25
	v_xor_b32_e32 v24, v75, v38
	ds_write2st64_b64 v25, v[18:19], v[20:21] offset0:80 offset1:88
	v_lshlrev_b32_e32 v23, 1, v23
	v_lshlrev_b32_e32 v25, 8, v71
	s_lshl_b64 s[36:37], s[0:1], 8
	v_or_b32_e32 v26, v23, v25
	v_lshlrev_b32_e32 v24, 1, v24
	s_add_u32 s0, s18, s36
	ds_write_b64 v26, v[18:19]
	v_or_b32_e32 v18, v24, v25
	s_addc_u32 s1, s19, s37
	ds_write_b64 v18, v[20:21]
	v_perm_b32 v19, v13, v12, s3
	v_perm_b32 v18, v11, v10, s3
	;; [unrolled: 1-line block ×4, first 2 shown]
	v_or_b32_e32 v25, 16, v71
	s_mul_hi_i32 s3, s4, s29
	s_mul_i32 s4, s4, s29
	v_lshlrev_b32_e32 v35, 2, v25
	s_add_u32 s4, s4, s33
	v_or_b32_e32 v22, v22, v35
	s_addc_u32 s5, s3, s48
	v_lshlrev_b32_e32 v22, 1, v22
	s_ashr_i32 s3, s2, 31
	s_lshl_b64 s[4:5], s[4:5], 15
	ds_write2st64_b64 v22, v[18:19], v[20:21] offset0:80 offset1:88
	v_lshlrev_b32_e32 v22, 8, v25
	s_add_u32 s4, s12, s4
	v_or_b32_e32 v23, v23, v22
	s_addc_u32 s5, s13, s5
	s_lshl_b64 s[2:3], s[2:3], 8
	ds_write_b64 v23, v[18:19]
	v_or_b32_e32 v18, v24, v22
	s_add_u32 s2, s4, s2
	ds_write_b64 v18, v[20:21]
	v_lshrrev_b32_e32 v18, 4, v0
	s_addc_u32 s3, s5, s3
	v_lshlrev_b32_e32 v19, 1, v71
	v_lshlrev_b32_e32 v26, 4, v71
	v_mov_b32_e32 v27, 0
	v_or_b32_e32 v20, 1, v19
	v_xor_b32_e32 v19, v18, v19
	v_lshl_add_u64 v[28:29], s[2:3], 0, v[26:27]
	v_lshlrev_b32_e32 v26, 8, v18
	v_xor_b32_e32 v22, v20, v18
	v_lshl_or_b32 v18, v19, 3, v26
	s_waitcnt lgkmcnt(0)
	s_barrier
	ds_read2st64_b64 v[18:21], v18 offset1:8
	v_lshl_or_b32 v22, v22, 3, v26
	ds_read2st64_b64 v[22:25], v22 offset1:8
	v_lshl_add_u64 v[30:31], v[28:29], 0, v[26:27]
	s_movk_i32 s2, 0x1000
	s_waitcnt lgkmcnt(1)
	v_mov_b32_e32 v26, v18
	v_add_co_u32_e32 v18, vcc, s2, v30
	s_cmp_lg_u32 s46, 64
	v_mov_b32_e32 v27, v19
	v_addc_co_u32_e32 v19, vcc, 0, v31, vcc
	s_cselect_b64 s[18:19], -1, 0
	v_lshl_or_b32 v42, v1, 3, v73
	s_waitcnt lgkmcnt(0)
	v_mov_b32_e32 v28, v22
	v_mov_b32_e32 v29, v23
	;; [unrolled: 1-line block ×4, first 2 shown]
	s_mov_b32 s4, 0
	v_or_b32_e32 v36, 32, v42
	v_and_b32_e32 v34, 56, v72
	s_and_b64 vcc, exec, s[18:19]
	global_store_dwordx4 v[30:31], v[26:29], off
	global_store_dwordx4 v[18:19], v[22:25], off
	s_cbranch_vccz .LBB273_31
; %bb.26:
	s_mov_b32 s6, s4
	s_mov_b32 s7, s4
	;; [unrolled: 1-line block ×3, first 2 shown]
	v_mov_b64_e32 v[24:25], s[6:7]
	v_mov_b64_e32 v[22:23], s[4:5]
	;; [unrolled: 1-line block ×3, first 2 shown]
	v_cmp_gt_i32_e32 vcc, s46, v42
	v_mov_b64_e32 v[20:21], v[24:25]
	s_and_saveexec_b64 s[2:3], vcc
	s_cbranch_execz .LBB273_28
; %bb.27:
	v_lshlrev_b32_e32 v18, 8, v42
	v_mov_b32_e32 v19, 0
	v_lshl_add_u64 v[20:21], s[0:1], 0, v[18:19]
	v_lshlrev_b32_e32 v18, 1, v34
	v_lshl_add_u64 v[26:27], v[20:21], 0, v[18:19]
	global_load_dwordx4 v[22:25], v[26:27], off
	global_load_dwordx4 v[18:21], v[26:27], off offset:128
.LBB273_28:
	s_or_b64 exec, exec, s[2:3]
	s_mov_b32 s6, s4
	s_mov_b32 s7, s4
	s_mov_b32 s5, s4
	v_mov_b64_e32 v[32:33], s[6:7]
	v_mov_b64_e32 v[30:31], s[4:5]
	;; [unrolled: 1-line block ×3, first 2 shown]
	v_cmp_gt_i32_e32 vcc, s46, v36
	v_lshlrev_b32_e32 v37, 7, v36
	v_mov_b64_e32 v[28:29], v[32:33]
	s_and_saveexec_b64 s[2:3], vcc
	s_cbranch_execz .LBB273_30
; %bb.29:
	v_lshlrev_b32_e32 v26, 1, v37
	v_mov_b32_e32 v27, 0
	v_lshl_add_u64 v[28:29], s[0:1], 0, v[26:27]
	v_lshlrev_b32_e32 v26, 1, v34
	v_lshl_add_u64 v[40:41], v[28:29], 0, v[26:27]
	global_load_dwordx4 v[30:33], v[40:41], off
	global_load_dwordx4 v[26:29], v[40:41], off offset:128
.LBB273_30:
	s_or_b64 exec, exec, s[2:3]
	v_lshrrev_b32_e32 v39, 3, v34
	v_lshlrev_b32_e32 v40, 3, v42
	v_or_b32_e32 v39, v40, v39
	v_lshlrev_b32_e32 v39, 4, v39
	v_and_b32_e32 v40, 0x78, v40
	v_xor_b32_e32 v39, v39, v40
	s_branch .LBB273_33
.LBB273_31:
                                        ; implicit-def: $vgpr39
                                        ; implicit-def: $vgpr37
                                        ; implicit-def: $vgpr22_vgpr23_vgpr24_vgpr25
                                        ; implicit-def: $vgpr18_vgpr19_vgpr20_vgpr21
                                        ; implicit-def: $vgpr30_vgpr31_vgpr32_vgpr33
                                        ; implicit-def: $vgpr26_vgpr27_vgpr28_vgpr29
	s_cbranch_execz .LBB273_33
; %bb.32:
	s_waitcnt vmcnt(0)
	v_lshlrev_b32_e32 v18, 1, v34
	v_lshl_or_b32 v37, v42, 8, v18
	s_and_b32 s1, s1, 0xffff
	s_mov_b32 s3, 0x20000
	s_movk_i32 s2, 0x4000
	v_lshl_or_b32 v39, v36, 8, v18
	s_movk_i32 s4, 0x80
	buffer_load_dwordx4 v[22:25], v37, s[0:3], 0 offen
	buffer_load_dwordx4 v[18:21], v37, s[0:3], s4 offen
	;; [unrolled: 1-line block ×4, first 2 shown]
	v_lshrrev_b32_e32 v37, 3, v34
	v_lshlrev_b32_e32 v39, 3, v42
	v_or_b32_e32 v37, v39, v37
	v_lshlrev_b32_e32 v37, 4, v37
	v_and_b32_e32 v39, 0x78, v39
	v_xor_b32_e32 v39, v37, v39
	v_lshlrev_b32_e32 v37, 7, v36
.LBB273_33:
	s_lshl_b64 s[0:1], s[44:45], 8
	s_add_u32 s4, s16, s0
	s_movk_i32 s0, 0x1000
	v_and_or_b32 v36, v37, s0, v39
	s_waitcnt vmcnt(1)
	ds_write_b64 v39, v[22:23] offset:24576
	v_xor_b32_e32 v22, 8, v39
	ds_write_b64 v22, v[24:25] offset:24576
	s_waitcnt vmcnt(0)
	ds_write_b64 v39, v[18:19] offset:32768
	ds_write_b64 v22, v[20:21] offset:32768
	;; [unrolled: 1-line block ×3, first 2 shown]
	v_xor_b32_e32 v18, 8, v36
	ds_write_b64 v18, v[32:33] offset:24576
	ds_write_b64 v36, v[26:27] offset:32768
	;; [unrolled: 1-line block ×3, first 2 shown]
	v_or_b32_e32 v18, v53, v71
	v_lshlrev_b32_e32 v18, 3, v18
	v_lshrrev_b32_e32 v19, 5, v55
	s_movk_i32 s2, 0xf8
	v_and_or_b32 v19, v18, s2, v19
	v_lshlrev_b32_e32 v23, 4, v19
	v_lshlrev_b32_e32 v39, 11, v1
	v_and_b32_e32 v24, 0x78, v18
	v_or_b32_e32 v26, 32, v23
	v_and_b32_e32 v22, 0x1000, v39
	v_lshrrev_b32_e32 v19, 1, v55
	v_xor_b32_e32 v26, v26, v24
	v_xor_b32_e32 v18, v23, v24
	v_and_b32_e32 v25, 8, v19
	v_or_b32_e32 v26, v26, v22
	v_or_b32_e32 v18, v18, v22
	v_xor_b32_e32 v44, v26, v25
	v_or_b32_e32 v26, 64, v23
	v_xor_b32_e32 v43, v18, v25
	v_xor_b32_e32 v26, v26, v24
	s_waitcnt lgkmcnt(0)
	s_barrier
	v_or_b32_e32 v28, v26, v22
	ds_read_b64 v[26:27], v43 offset:24576
	v_lshl_or_b32 v36, v70, 7, v38
	v_lshlrev_b32_e32 v40, 1, v36
	v_add_u32_e32 v18, 0xa000, v40
	ds_read2_b64 v[18:21], v18 offset1:16
	v_or_b32_e32 v23, 0x60, v23
	v_xor_b32_e32 v23, v23, v24
	s_waitcnt lgkmcnt(0)
	v_mfma_f32_16x16x16_bf16 a[0:3], v[26:27], v[18:19], 0
	v_or_b32_e32 v18, 64, v36
	v_or_b32_e32 v22, v23, v22
	v_lshlrev_b32_e32 v41, 1, v18
	v_xor_b32_e32 v45, v28, v25
	v_xor_b32_e32 v46, v22, v25
	ds_read_b64 v[28:29], v44 offset:24576
	ds_read_b64 v[30:31], v45 offset:24576
	;; [unrolled: 1-line block ×3, first 2 shown]
	v_mfma_f32_16x16x16_bf16 a[4:7], v[26:27], v[20:21], 0
	ds_read2st64_b64 v[18:21], v41 offset0:82 offset1:84
	ds_read2st64_b64 v[22:25], v40 offset0:82 offset1:84
	s_addc_u32 s5, s17, s1
	s_add_i32 s0, s50, s49
	s_add_i32 s16, s35, -1
	s_add_i32 s41, s0, s51
	s_add_i32 s0, s53, s52
	;; [unrolled: 1-line block ×3, first 2 shown]
	s_ashr_i32 s0, s16, 31
	s_mul_i32 s1, s16, s11
	s_mul_hi_u32 s2, s16, s10
	s_add_i32 s1, s2, s1
	s_mul_i32 s0, s0, s10
	s_waitcnt lgkmcnt(1)
	v_mfma_f32_16x16x16_bf16 a[4:7], v[28:29], v[18:19], a[4:7]
	s_add_i32 s1, s1, s0
	s_lshl_b64 s[2:3], s[40:41], 2
	s_add_u32 s6, s22, s2
	s_waitcnt lgkmcnt(0)
	v_mfma_f32_16x16x16_bf16 a[0:3], v[28:29], v[22:23], a[0:3]
	s_addc_u32 s7, s23, s3
	s_lshl_b64 s[2:3], s[42:43], 2
	s_mul_i32 s0, s16, s10
	s_add_u32 s12, s6, s2
	ds_read_b64 v[18:19], v40 offset:44032
	v_mfma_f32_16x16x16_bf16 a[4:7], v[30:31], v[20:21], a[4:7]
	ds_read_b64 v[20:21], v41 offset:44032
	s_addc_u32 s13, s7, s3
	s_lshl_b64 s[0:1], s[0:1], 2
	v_mfma_f32_16x16x16_bf16 a[0:3], v[30:31], v[24:25], a[0:3]
	s_add_u32 s0, s12, s0
	s_addc_u32 s1, s13, s1
	s_load_dword s17, s[0:1], 0x0
	s_waitcnt lgkmcnt(0)
	v_mfma_f32_16x16x16_bf16 a[0:3], v[32:33], v[18:19], a[0:3]
	s_and_b64 vcc, exec, s[38:39]
	v_mfma_f32_16x16x16_bf16 a[4:7], v[32:33], v[20:21], a[4:7]
	s_cbranch_vccz .LBB273_44
; %bb.34:
	v_lshlrev_b32_e32 v36, 1, v42
	s_and_b64 vcc, exec, s[18:19]
	s_cbranch_vccz .LBB273_45
; %bb.35:
	v_cmp_gt_i32_e32 vcc, s46, v36
	v_mov_b32_e32 v22, 0
	v_mov_b32_e32 v18, 0
	;; [unrolled: 1-line block ×5, first 2 shown]
	s_and_saveexec_b64 s[0:1], vcc
	s_cbranch_execz .LBB273_37
; %bb.36:
	v_mad_i64_i32 v[18:19], s[2:3], s31, v36, 0
	v_lshl_add_u64 v[18:19], v[18:19], 1, s[4:5]
	v_lshlrev_b32_e32 v20, 1, v34
	v_mov_b32_e32 v21, 0
	v_lshl_add_u64 v[18:19], v[18:19], 0, v[20:21]
	global_load_dwordx4 v[18:21], v[18:19], off
.LBB273_37:
	s_or_b64 exec, exec, s[0:1]
	v_or_b32_e32 v37, 1, v36
	v_cmp_gt_i32_e64 s[0:1], s46, v37
	v_mov_b32_e32 v23, 0
	v_mov_b32_e32 v24, 0
	;; [unrolled: 1-line block ×3, first 2 shown]
	s_and_saveexec_b64 s[2:3], s[0:1]
	s_cbranch_execz .LBB273_39
; %bb.38:
	v_mad_i64_i32 v[22:23], s[6:7], s31, v37, 0
	v_lshl_add_u64 v[22:23], v[22:23], 1, s[4:5]
	v_lshlrev_b32_e32 v24, 1, v34
	v_mov_b32_e32 v25, 0
	v_lshl_add_u64 v[22:23], v[22:23], 0, v[24:25]
	global_load_dwordx4 v[22:25], v[22:23], off
.LBB273_39:
	s_or_b64 exec, exec, s[2:3]
	v_mov_b32_e32 v33, 0
	v_mov_b32_e32 v26, 0
	;; [unrolled: 1-line block ×5, first 2 shown]
	s_and_saveexec_b64 s[2:3], vcc
	s_cbranch_execz .LBB273_41
; %bb.40:
	v_mad_i64_i32 v[26:27], s[6:7], s31, v36, 0
	v_lshl_add_u64 v[26:27], v[26:27], 1, s[4:5]
	v_lshlrev_b32_e32 v28, 1, v34
	v_mov_b32_e32 v29, 0
	v_lshl_add_u64 v[26:27], v[26:27], 0, v[28:29]
	global_load_dwordx4 v[26:29], v[26:27], off offset:128
.LBB273_41:
	s_or_b64 exec, exec, s[2:3]
	v_mov_b32_e32 v32, 0
	v_mov_b32_e32 v31, 0
	;; [unrolled: 1-line block ×3, first 2 shown]
	s_and_saveexec_b64 s[2:3], s[0:1]
	s_cbranch_execz .LBB273_43
; %bb.42:
	v_mad_i64_i32 v[30:31], s[0:1], s31, v37, 0
	v_lshl_add_u64 v[30:31], v[30:31], 1, s[4:5]
	v_lshlrev_b32_e32 v32, 1, v34
	v_mov_b32_e32 v33, 0
	v_lshl_add_u64 v[30:31], v[30:31], 0, v[32:33]
	global_load_dwordx4 v[30:33], v[30:31], off offset:128
.LBB273_43:
	s_or_b64 exec, exec, s[2:3]
	s_branch .LBB273_47
.LBB273_44:
                                        ; implicit-def: $vgpr21
                                        ; implicit-def: $vgpr25
                                        ; implicit-def: $vgpr29
                                        ; implicit-def: $vgpr33
	v_lshrrev_b32_e32 v47, 2, v55
	s_branch .LBB273_48
.LBB273_45:
                                        ; implicit-def: $vgpr21
                                        ; implicit-def: $vgpr25
                                        ; implicit-def: $vgpr29
                                        ; implicit-def: $vgpr33
	s_cbranch_execz .LBB273_47
; %bb.46:
	s_waitcnt vmcnt(0)
	v_mad_u64_u32 v[18:19], s[0:1], v36, s31, v[34:35]
	v_lshlrev_b32_e32 v36, 1, v18
	s_lshl_b32 s2, s31, 7
	s_and_b32 s1, s5, 0xffff
	s_mov_b32 s3, 0x20000
	s_mov_b32 s0, s4
	v_add_lshl_u32 v37, v18, s31, 1
	s_movk_i32 s6, 0x80
	buffer_load_dwordx4 v[18:21], v36, s[0:3], 0 offen
	buffer_load_dwordx4 v[26:29], v36, s[0:3], s6 offen
	buffer_load_dwordx4 v[22:25], v37, s[0:3], 0 offen
	buffer_load_dwordx4 v[30:33], v37, s[0:3], s6 offen
.LBB273_47:
	v_lshrrev_b32_e32 v47, 2, v55
	s_cbranch_execnz .LBB273_60
.LBB273_48:
	s_and_b64 vcc, exec, s[18:19]
	s_cbranch_vccz .LBB273_58
; %bb.49:
	s_waitcnt vmcnt(0)
	v_lshlrev_b32_e32 v23, 1, v42
	v_cmp_gt_i32_e32 vcc, s46, v23
	v_mov_b32_e32 v22, 0
	v_lshlrev_b32_e32 v30, 9, v42
	v_mov_b32_e32 v18, 0
	v_mov_b32_e32 v19, 0
	;; [unrolled: 1-line block ×4, first 2 shown]
	s_and_saveexec_b64 s[0:1], vcc
	s_cbranch_execz .LBB273_51
; %bb.50:
	v_mov_b32_e32 v31, 0
	v_lshl_add_u64 v[18:19], s[4:5], 0, v[30:31]
	v_lshlrev_b32_e32 v20, 1, v34
	v_mov_b32_e32 v21, v31
	v_lshl_add_u64 v[18:19], v[18:19], 0, v[20:21]
	global_load_dwordx4 v[18:21], v[18:19], off
.LBB273_51:
	s_or_b64 exec, exec, s[0:1]
	v_or_b32_e32 v23, 1, v23
	v_cmp_gt_i32_e64 s[0:1], s46, v23
	v_lshlrev_b32_e32 v36, 8, v23
	v_mov_b32_e32 v23, 0
	v_mov_b32_e32 v24, 0
	v_mov_b32_e32 v25, 0
	s_and_saveexec_b64 s[2:3], s[0:1]
	s_cbranch_execz .LBB273_53
; %bb.52:
	v_mov_b32_e32 v37, 0
	v_lshl_add_u64 v[22:23], s[4:5], 0, v[36:37]
	v_lshlrev_b32_e32 v24, 1, v34
	v_mov_b32_e32 v25, v37
	v_lshl_add_u64 v[22:23], v[22:23], 0, v[24:25]
	global_load_dwordx4 v[22:25], v[22:23], off
.LBB273_53:
	s_or_b64 exec, exec, s[2:3]
	v_mov_b32_e32 v33, 0
	v_mov_b32_e32 v26, 0
	;; [unrolled: 1-line block ×5, first 2 shown]
	s_and_saveexec_b64 s[2:3], vcc
	s_cbranch_execz .LBB273_55
; %bb.54:
	v_mov_b32_e32 v31, 0
	v_lshl_add_u64 v[26:27], s[4:5], 0, v[30:31]
	v_lshlrev_b32_e32 v30, 1, v34
	v_lshl_add_u64 v[26:27], v[26:27], 0, v[30:31]
	global_load_dwordx4 v[26:29], v[26:27], off offset:128
.LBB273_55:
	s_or_b64 exec, exec, s[2:3]
	v_mov_b32_e32 v32, 0
	v_mov_b32_e32 v31, 0
	;; [unrolled: 1-line block ×3, first 2 shown]
	s_and_saveexec_b64 s[2:3], s[0:1]
	s_cbranch_execz .LBB273_57
; %bb.56:
	v_mov_b32_e32 v37, 0
	v_lshl_add_u64 v[30:31], s[4:5], 0, v[36:37]
	v_lshlrev_b32_e32 v36, 1, v34
	v_lshl_add_u64 v[30:31], v[30:31], 0, v[36:37]
	global_load_dwordx4 v[30:33], v[30:31], off offset:128
.LBB273_57:
	s_or_b64 exec, exec, s[2:3]
	s_branch .LBB273_60
.LBB273_58:
                                        ; implicit-def: $vgpr21
                                        ; implicit-def: $vgpr25
                                        ; implicit-def: $vgpr29
                                        ; implicit-def: $vgpr33
	s_cbranch_execz .LBB273_60
; %bb.59:
	s_waitcnt vmcnt(0)
	v_lshlrev_b32_e32 v18, 1, v34
	v_lshl_or_b32 v34, v42, 9, v18
	s_and_b32 s5, s5, 0xffff
	s_mov_b32 s7, 0x20000
	s_movk_i32 s6, 0x4000
	s_movk_i32 s0, 0x80
	buffer_load_dwordx4 v[18:21], v34, s[4:7], 0 offen
	buffer_load_dwordx4 v[22:25], v34, s[4:7], 0 offen offset:256
	buffer_load_dwordx4 v[26:29], v34, s[4:7], s0 offen
	buffer_load_dwordx4 v[30:33], v34, s[4:7], s0 offen offset:256
.LBB273_60:
	ds_read_b64 v[36:37], v43 offset:32768
	v_add_u32_e32 v34, 0xb000, v40
	ds_read2_b64 v[48:51], v34 offset1:16
	ds_read_b64 v[66:67], v44 offset:32768
	ds_read_b64 v[44:45], v45 offset:32768
	;; [unrolled: 1-line block ×3, first 2 shown]
	ds_read2st64_b64 v[62:65], v41 offset0:90 offset1:92
	v_and_b32_e32 v43, 6, v0
	v_and_b32_e32 v34, 12, v47
	v_xor_b32_e32 v42, v42, v43
	v_lshlrev_b32_e32 v42, 2, v42
	s_mov_b32 s0, 0x1000504
	s_waitcnt lgkmcnt(4)
	v_mfma_f32_16x16x16_bf16 a[0:3], v[36:37], v[48:49], a[0:3]
	s_mov_b32 s1, 0x3020706
	v_mfma_f32_16x16x16_bf16 a[4:7], v[36:37], v[50:51], a[4:7]
	ds_read2st64_b64 v[48:51], v40 offset0:90 offset1:92
	ds_read_b64 v[36:37], v40 offset:48128
	ds_read_b64 v[46:47], v41 offset:48128
	s_waitcnt lgkmcnt(2)
	v_mfma_f32_16x16x16_bf16 a[0:3], v[66:67], v[48:49], a[0:3]
	v_and_b32_e32 v48, 1, v0
	v_xor_b32_e32 v49, 0x440, v42
	v_cmp_eq_u32_e32 vcc, 0, v48
	v_mfma_f32_16x16x16_bf16 a[4:7], v[66:67], v[62:63], a[4:7]
	s_nop 0
	v_cndmask_b32_e32 v42, v49, v42, vcc
	v_lshl_or_b32 v42, v43, 10, v42
	v_mfma_f32_16x16x16_bf16 a[0:3], v[44:45], v[50:51], a[0:3]
	v_mov_b32_e32 v43, 0
	v_mfma_f32_16x16x16_bf16 a[8:11], v[44:45], v[64:65], a[4:7]
	s_waitcnt lgkmcnt(1)
	v_mfma_f32_16x16x16_bf16 a[4:7], v[68:69], v[36:37], a[0:3]
	s_waitcnt vmcnt(0)
	v_perm_b32 v36, v18, v22, s0
	v_perm_b32 v37, v26, v30, s0
	ds_write2st64_b32 v42, v36, v37 offset0:32 offset1:64
	v_xor_b32_e32 v36, 8, v42
	v_perm_b32 v18, v18, v22, s1
	v_perm_b32 v22, v26, v30, s1
	v_add_u32_e32 v26, 0x80, v36
	ds_write2st64_b32 v26, v18, v22 offset0:32 offset1:64
	v_xor_b32_e32 v18, 16, v42
	v_perm_b32 v22, v19, v23, s0
	v_perm_b32 v26, v27, v31, s0
	ds_write2st64_b32 v18, v22, v26 offset0:33 offset1:65
	v_xor_b32_e32 v18, 24, v42
	v_perm_b32 v19, v19, v23, s1
	v_perm_b32 v22, v27, v31, s1
	v_add_u32_e32 v18, 0x80, v18
	ds_write2st64_b32 v18, v19, v22 offset0:33 offset1:65
	v_xor_b32_e32 v18, 32, v42
	v_perm_b32 v19, v20, v24, s0
	v_perm_b32 v22, v28, v32, s0
	ds_write2st64_b32 v18, v19, v22 offset0:34 offset1:66
	v_xor_b32_e32 v18, 40, v42
	s_waitcnt lgkmcnt(5)
	v_mfma_f32_16x16x16_bf16 a[0:3], v[68:69], v[46:47], a[8:11]
	v_perm_b32 v19, v20, v24, s1
	v_perm_b32 v20, v28, v32, s1
	v_add_u32_e32 v18, 0x80, v18
	ds_write2st64_b32 v18, v19, v20 offset0:34 offset1:66
	v_xor_b32_e32 v18, 48, v42
	v_perm_b32 v19, v21, v25, s0
	v_perm_b32 v20, v29, v33, s0
	ds_write2st64_b32 v18, v19, v20 offset0:35 offset1:67
	v_xor_b32_e32 v18, 56, v42
	v_or_b32_e32 v36, v34, v53
	v_perm_b32 v19, v21, v25, s1
	v_perm_b32 v20, v29, v33, s1
	v_add_u32_e32 v18, 0x80, v18
	v_cmp_gt_i32_e64 s[0:1], s46, v36
	v_mov_b32_e32 v42, 0
	ds_write2st64_b32 v18, v19, v20 offset0:35 offset1:67
	s_and_saveexec_b64 s[2:3], s[0:1]
	s_cbranch_execz .LBB273_62
; %bb.61:
	v_add_u32_e32 v18, s34, v36
	v_ashrrev_i32_e32 v19, 31, v18
	v_mul_lo_u32 v20, v19, s10
	v_mul_lo_u32 v21, v18, s11
	v_mad_u64_u32 v[18:19], s[4:5], v18, s10, 0
	v_add3_u32 v19, v19, v21, v20
	v_lshl_add_u64 v[18:19], v[18:19], 2, s[12:13]
	global_load_dword v18, v[18:19], off
	s_waitcnt vmcnt(0)
	v_sub_f32_e32 v18, s17, v18
	v_exp_f32_e32 v43, v18
.LBB273_62:
	s_or_b64 exec, exec, s[2:3]
	v_or_b32_e32 v30, 1, v36
	v_cmp_gt_i32_e64 s[4:5], s46, v30
	s_and_saveexec_b64 s[2:3], s[4:5]
	s_cbranch_execz .LBB273_64
; %bb.63:
	v_add_u32_e32 v18, s34, v30
	v_ashrrev_i32_e32 v19, 31, v18
	v_mul_lo_u32 v20, v19, s10
	v_mul_lo_u32 v21, v18, s11
	v_mad_u64_u32 v[18:19], s[6:7], v18, s10, 0
	v_add3_u32 v19, v19, v21, v20
	v_lshl_add_u64 v[18:19], v[18:19], 2, s[12:13]
	global_load_dword v18, v[18:19], off
	s_waitcnt vmcnt(0)
	v_sub_f32_e32 v18, s17, v18
	v_exp_f32_e32 v42, v18
.LBB273_64:
	s_or_b64 exec, exec, s[2:3]
	v_or_b32_e32 v28, 2, v36
	v_cmp_gt_i32_e64 s[2:3], s46, v28
	v_mov_b32_e32 v37, 0
	v_mov_b32_e32 v44, 0
	s_and_saveexec_b64 s[6:7], s[2:3]
	s_cbranch_execz .LBB273_66
; %bb.65:
	v_add_u32_e32 v18, s34, v28
	v_ashrrev_i32_e32 v19, 31, v18
	v_mul_lo_u32 v20, v19, s10
	v_mul_lo_u32 v21, v18, s11
	v_mad_u64_u32 v[18:19], s[18:19], v18, s10, 0
	v_add3_u32 v19, v19, v21, v20
	v_lshl_add_u64 v[18:19], v[18:19], 2, s[12:13]
	global_load_dword v18, v[18:19], off
	s_waitcnt vmcnt(0)
	v_sub_f32_e32 v18, s17, v18
	v_exp_f32_e32 v44, v18
.LBB273_66:
	s_or_b64 exec, exec, s[6:7]
	v_or_b32_e32 v29, 3, v36
	v_cmp_gt_i32_e32 vcc, s46, v29
	s_and_saveexec_b64 s[6:7], vcc
	s_cbranch_execz .LBB273_68
; %bb.67:
	v_add_u32_e32 v18, s34, v29
	v_ashrrev_i32_e32 v19, 31, v18
	v_mul_lo_u32 v20, v19, s10
	v_mul_lo_u32 v21, v18, s11
	v_mad_u64_u32 v[18:19], s[10:11], v18, s10, 0
	v_add3_u32 v19, v19, v21, v20
	v_lshl_add_u64 v[18:19], v[18:19], 2, s[12:13]
	global_load_dword v18, v[18:19], off
	s_waitcnt vmcnt(0)
	v_sub_f32_e32 v18, s17, v18
	v_exp_f32_e32 v37, v18
.LBB273_68:
	s_or_b64 exec, exec, s[6:7]
	s_add_u32 s6, s20, s36
	s_addc_u32 s7, s21, s37
	s_add_u32 s10, s14, s36
	v_ashrrev_i32_e32 v61, 31, v60
	v_accvgpr_read_b32 v21, a7
	s_addc_u32 s11, s15, s37
	v_lshlrev_b64 v[22:23], 1, v[60:61]
	v_accvgpr_read_b32 v20, a6
	v_accvgpr_read_b32 v19, a5
	;; [unrolled: 1-line block ×3, first 2 shown]
	v_lshl_add_u64 v[24:25], s[6:7], 0, v[22:23]
	v_lshl_add_u64 v[22:23], s[10:11], 0, v[22:23]
	v_mov_b32_e32 v31, 0
	v_lshlrev_b32_e32 v26, 8, v36
	v_mov_b32_e32 v27, 0
	s_and_saveexec_b64 s[6:7], s[0:1]
	s_cbranch_execz .LBB273_70
; %bb.69:
	v_mov_b32_e32 v27, 0
	v_lshl_add_u64 v[32:33], v[24:25], 0, v[26:27]
	global_load_ushort v45, v[32:33], off
	v_lshl_add_u64 v[32:33], v[22:23], 0, v[26:27]
	s_waitcnt vmcnt(0)
	v_lshlrev_b32_e32 v27, 16, v45
	v_sub_f32_e32 v18, v27, v18
	global_store_short_d16_hi v[32:33], v18, off
	v_mul_f32_e32 v18, v43, v18
	v_lshrrev_b32_e32 v27, 16, v18
.LBB273_70:
	s_or_b64 exec, exec, s[6:7]
	v_lshlrev_b32_e32 v30, 8, v30
	s_and_saveexec_b64 s[6:7], s[4:5]
	s_cbranch_execz .LBB273_72
; %bb.71:
	v_mov_b32_e32 v31, 0
	v_lshl_add_u64 v[32:33], v[24:25], 0, v[30:31]
	global_load_ushort v18, v[32:33], off
	v_lshl_add_u64 v[32:33], v[22:23], 0, v[30:31]
	s_waitcnt vmcnt(0)
	v_lshlrev_b32_e32 v18, 16, v18
	v_sub_f32_e32 v18, v18, v19
	global_store_short_d16_hi v[32:33], v18, off
	v_mul_f32_e32 v18, v42, v18
	v_lshrrev_b32_e32 v31, 16, v18
.LBB273_72:
	s_or_b64 exec, exec, s[6:7]
	v_mov_b32_e32 v46, 0
	v_lshlrev_b32_e32 v32, 8, v28
	v_mov_b32_e32 v33, 0
	s_and_saveexec_b64 s[6:7], s[2:3]
	s_cbranch_execz .LBB273_74
; %bb.73:
	v_mov_b32_e32 v33, 0
	v_lshl_add_u64 v[18:19], v[24:25], 0, v[32:33]
	global_load_ushort v28, v[18:19], off
	v_lshl_add_u64 v[18:19], v[22:23], 0, v[32:33]
	s_waitcnt vmcnt(0)
	v_lshlrev_b32_e32 v28, 16, v28
	v_sub_f32_e32 v20, v28, v20
	global_store_short_d16_hi v[18:19], v20, off
	v_mul_f32_e32 v18, v44, v20
	v_lshrrev_b32_e32 v33, 16, v18
.LBB273_74:
	s_or_b64 exec, exec, s[6:7]
	v_lshlrev_b32_e32 v28, 8, v29
	s_and_saveexec_b64 s[6:7], vcc
	s_cbranch_execz .LBB273_76
; %bb.75:
	v_mov_b32_e32 v29, 0
	v_lshl_add_u64 v[18:19], v[24:25], 0, v[28:29]
	global_load_ushort v20, v[18:19], off
	v_lshl_add_u64 v[18:19], v[22:23], 0, v[28:29]
	s_waitcnt vmcnt(0)
	v_lshlrev_b32_e32 v20, 16, v20
	v_sub_f32_e32 v20, v20, v21
	global_store_short_d16_hi v[18:19], v20, off
	v_mul_f32_e32 v18, v37, v20
	v_lshrrev_b32_e32 v46, 16, v18
.LBB273_76:
	s_or_b64 exec, exec, s[6:7]
	v_lshlrev_b32_e32 v45, 5, v36
	s_mov_b32 s6, 0x5040100
	v_perm_b32 v47, v46, v33, s6
	v_perm_b32 v46, v31, v27, s6
	v_or_b32_e32 v27, v45, v38
	v_accvgpr_read_b32 v21, a3
	v_lshlrev_b32_e32 v27, 1, v27
	v_accvgpr_read_b32 v20, a2
	v_accvgpr_read_b32 v19, a1
	;; [unrolled: 1-line block ×3, first 2 shown]
	ds_write_b64 v27, v[46:47] offset:45056
	v_mov_b32_e32 v31, 0
	v_mov_b32_e32 v27, 0
	s_and_saveexec_b64 s[6:7], s[0:1]
	s_cbranch_execz .LBB273_78
; %bb.77:
	v_mov_b32_e32 v27, 0
	v_lshl_add_u64 v[46:47], v[24:25], 0, v[26:27]
	global_load_ushort v29, v[46:47], off offset:32
	v_lshl_add_u64 v[26:27], v[22:23], 0, v[26:27]
	s_waitcnt vmcnt(0)
	v_lshlrev_b32_e32 v29, 16, v29
	v_sub_f32_e32 v18, v29, v18
	global_store_short_d16_hi v[26:27], v18, off offset:32
	v_mul_f32_e32 v18, v43, v18
	v_lshrrev_b32_e32 v27, 16, v18
.LBB273_78:
	s_or_b64 exec, exec, s[6:7]
	s_and_saveexec_b64 s[0:1], s[4:5]
	s_cbranch_execz .LBB273_80
; %bb.79:
	v_mov_b32_e32 v31, 0
	v_lshl_add_u64 v[46:47], v[24:25], 0, v[30:31]
	global_load_ushort v18, v[46:47], off offset:32
	v_lshl_add_u64 v[30:31], v[22:23], 0, v[30:31]
	s_waitcnt vmcnt(0)
	v_lshlrev_b32_e32 v18, 16, v18
	v_sub_f32_e32 v18, v18, v19
	global_store_short_d16_hi v[30:31], v18, off offset:32
	v_mul_f32_e32 v18, v42, v18
	v_lshrrev_b32_e32 v31, 16, v18
.LBB273_80:
	s_or_b64 exec, exec, s[0:1]
	v_mov_b32_e32 v26, 0
	v_mov_b32_e32 v30, 0
	s_and_saveexec_b64 s[0:1], s[2:3]
	s_cbranch_execz .LBB273_82
; %bb.81:
	v_mov_b32_e32 v33, 0
	v_lshl_add_u64 v[18:19], v[24:25], 0, v[32:33]
	global_load_ushort v29, v[18:19], off offset:32
	v_lshl_add_u64 v[18:19], v[22:23], 0, v[32:33]
	s_waitcnt vmcnt(0)
	v_lshlrev_b32_e32 v29, 16, v29
	v_sub_f32_e32 v20, v29, v20
	global_store_short_d16_hi v[18:19], v20, off offset:32
	v_mul_f32_e32 v18, v44, v20
	v_lshrrev_b32_e32 v30, 16, v18
.LBB273_82:
	s_or_b64 exec, exec, s[0:1]
	v_or_b32_e32 v19, 0xb000, v40
	v_or_b32_e32 v18, 0xb000, v41
	s_and_saveexec_b64 s[0:1], vcc
	s_cbranch_execz .LBB273_84
; %bb.83:
	v_mov_b32_e32 v29, 0
	v_lshl_add_u64 v[24:25], v[24:25], 0, v[28:29]
	global_load_ushort v20, v[24:25], off offset:32
	v_lshl_add_u64 v[22:23], v[22:23], 0, v[28:29]
	s_waitcnt vmcnt(0)
	v_lshlrev_b32_e32 v20, 16, v20
	v_sub_f32_e32 v20, v20, v21
	global_store_short_d16_hi v[22:23], v20, off offset:32
	v_mul_f32_e32 v20, v37, v20
	v_lshrrev_b32_e32 v26, 16, v20
.LBB273_84:
	s_or_b64 exec, exec, s[0:1]
	s_mov_b32 s0, 0x5040100
	v_or_b32_e32 v22, v45, v35
	v_perm_b32 v21, v26, v30, s0
	v_perm_b32 v20, v31, v27, s0
	v_lshlrev_b32_e32 v22, 1, v22
	s_movk_i32 s2, 0x100
	ds_write_b64 v22, v[20:21] offset:45056
	v_and_b32_e32 v20, 7, v0
	v_and_b32_e32 v21, 8, v0
	v_cmp_gt_u32_e32 vcc, s2, v0
	v_lshrrev_b32_e32 v0, 1, v0
	v_lshlrev_b32_e32 v26, 3, v20
	v_lshlrev_b32_e32 v47, 7, v20
	v_mov_b32_e32 v20, 0x4000
	v_mov_b32_e32 v22, 0x2000
	v_lshlrev_b32_e32 v24, 3, v1
	v_and_b32_e32 v0, 24, v0
	v_cndmask_b32_e32 v27, v20, v22, vcc
	v_xor_b32_e32 v20, v24, v0
	v_or_b32_e32 v22, 0x440, v20
	v_cmp_eq_u32_e32 vcc, 0, v21
	v_or_b32_e32 v28, 32, v0
	v_xor_b32_e32 v28, v24, v28
	v_cndmask_b32_e32 v20, v22, v20, vcc
	v_or_b32_e32 v20, v20, v39
	v_xor_b32_e32 v48, v20, v26
	v_or_b32_e32 v29, 0x440, v28
	v_add3_u32 v25, v27, v48, v47
	v_cndmask_b32_e32 v28, v29, v28, vcc
	v_or_b32_e32 v29, 64, v0
	v_or_b32_e32 v0, 0x60, v0
	s_waitcnt lgkmcnt(0)
	s_barrier
	v_xor_b32_e32 v29, v24, v29
	v_xor_b32_e32 v0, v24, v0
	ds_read_b64 v[24:25], v25
	v_xor_b32_e32 v30, 0x440, v29
	v_cndmask_b32_e32 v29, v30, v29, vcc
	v_xor_b32_e32 v30, 0x440, v0
	ds_read2_b64 v[20:23], v19 offset1:16
	v_cndmask_b32_e32 v0, v30, v0, vcc
	v_or_b32_e32 v28, v28, v39
	v_or_b32_e32 v29, v29, v39
	;; [unrolled: 1-line block ×3, first 2 shown]
	v_xor_b32_e32 v49, v28, v26
	v_xor_b32_e32 v50, v29, v26
	;; [unrolled: 1-line block ×3, first 2 shown]
	v_add3_u32 v28, v27, v49, v47
	v_add3_u32 v29, v27, v50, v47
	;; [unrolled: 1-line block ×3, first 2 shown]
	s_mul_i32 s0, s16, s29
	ds_read_b64 v[26:27], v28
	ds_read_b64 v[32:33], v29
	;; [unrolled: 1-line block ×3, first 2 shown]
	ds_read2st64_b64 v[28:31], v19 offset0:2 offset1:4
	s_mul_hi_i32 s1, s16, s29
	ds_read2st64_b64 v[38:41], v18 offset0:2 offset1:4
	s_add_u32 s0, s0, s33
	s_waitcnt lgkmcnt(5)
	v_mfma_f32_16x16x16_bf16 a[0:3], v[24:25], v[20:21], 0
	s_addc_u32 s1, s1, s48
	s_lshl_b64 s[0:1], s[0:1], 9
	s_add_u32 s0, s8, s0
	v_mfma_f32_16x16x16_bf16 a[4:7], v[24:25], v[22:23], 0
	s_addc_u32 s1, s9, s1
	v_lshlrev_b32_e32 v24, 2, v36
	v_lshlrev_b32_e32 v1, 6, v1
	s_waitcnt lgkmcnt(1)
	v_mfma_f32_16x16x16_bf16 a[0:3], v[26:27], v[28:29], a[0:3]
	v_add_u32_e32 v48, v48, v47
	v_exp_f32_e32 v46, s17
	v_add_u32_e32 v0, v0, v47
	s_waitcnt lgkmcnt(0)
	v_mfma_f32_16x16x16_bf16 a[4:7], v[26:27], v[38:39], a[4:7]
	global_load_dwordx4 v[24:27], v24, s[0:1]
	ds_read_b64 v[36:37], v19 offset:3072
	ds_read_b64 v[44:45], v18 offset:3072
	v_lshlrev_b32_e32 v18, 2, v34
	v_or3_b32 v1, v1, v18, s2
	v_mfma_f32_16x16x16_bf16 a[0:3], v[32:33], v[30:31], a[0:3]
	s_waitcnt vmcnt(0)
	v_exp_f32_e32 v18, v24
	v_mfma_f32_16x16x16_bf16 a[4:7], v[32:33], v[40:41], a[4:7]
	global_load_dwordx4 v[32:35], v1, s[0:1]
	v_exp_f32_e32 v19, v25
	ds_read_b64 v[24:25], v48 offset:16384
	s_waitcnt lgkmcnt(2)
	v_mfma_f32_16x16x16_bf16 a[0:3], v[42:43], v[36:37], a[0:3]
	v_add_u32_e32 v48, v50, v47
	v_pk_mul_f32 v[52:53], v[46:47], v[18:19] op_sel_hi:[0,1]
	v_exp_f32_e32 v26, v26
	s_waitcnt lgkmcnt(1)
	v_mfma_f32_16x16x16_bf16 a[4:7], v[42:43], v[44:45], a[4:7]
	v_add_u32_e32 v42, v49, v47
	ds_read_b64 v[42:43], v42 offset:16384
	ds_read_b64 v[48:49], v48 offset:16384
	ds_read_b64 v[50:51], v0 offset:16384
	v_accvgpr_read_b32 v19, a1
	s_waitcnt lgkmcnt(3)
	v_mfma_f32_16x16x16_bf16 a[8:11], v[24:25], v[20:21], 0
	v_accvgpr_read_b32 v1, a3
	v_accvgpr_read_b32 v0, a2
	;; [unrolled: 1-line block ×3, first 2 shown]
	v_mfma_f32_16x16x16_bf16 a[0:3], v[24:25], v[22:23], 0
	v_exp_f32_e32 v27, v27
	v_pk_fma_f32 v[18:19], v[2:3], v[52:53], v[18:19]
	v_pk_mul_f32 v[2:3], v[46:47], v[26:27] op_sel_hi:[0,1]
	s_waitcnt lgkmcnt(2)
	v_mfma_f32_16x16x16_bf16 a[8:11], v[42:43], v[28:29], a[8:11]
	v_pk_fma_f32 v[20:21], v[4:5], v[2:3], v[0:1]
	v_accvgpr_read_b32 v0, a4
	v_fma_f32 v26, v10, v52, v0
	v_mfma_f32_16x16x16_bf16 a[0:3], v[42:43], v[38:39], a[0:3]
	v_accvgpr_read_b32 v0, a5
	v_fma_f32 v27, v11, v53, v0
	v_accvgpr_read_b32 v0, a6
	s_waitcnt lgkmcnt(1)
	v_mfma_f32_16x16x16_bf16 a[8:11], v[48:49], v[30:31], a[8:11]
	v_fma_f32 v28, v12, v2, v0
	v_accvgpr_read_b32 v29, a7
	v_fmac_f32_e32 v29, v13, v3
	v_mfma_f32_16x16x16_bf16 a[0:3], v[48:49], v[40:41], a[0:3]
	s_waitcnt vmcnt(0)
	v_mov_b32_e32 v0, v33
	v_mov_b32_e32 v1, v34
	;; [unrolled: 1-line block ×3, first 2 shown]
	v_exp_f32_e32 v5, v0
	v_exp_f32_e32 v0, v1
	s_waitcnt lgkmcnt(0)
	v_mfma_f32_16x16x16_bf16 a[4:7], v[50:51], v[36:37], a[8:11]
	v_exp_f32_e32 v1, v2
	v_exp_f32_e32 v4, v32
	v_pk_mul_f32 v[0:1], v[46:47], v[0:1] op_sel_hi:[0,1]
	v_mfma_f32_16x16x16_bf16 a[0:3], v[50:51], v[44:45], a[0:3]
	v_pk_mul_f32 v[4:5], v[46:47], v[4:5] op_sel_hi:[0,1]
	s_nop 1
	v_accvgpr_read_b32 v3, a7
	v_accvgpr_read_b32 v2, a6
	v_pk_fma_f32 v[24:25], v[8:9], v[0:1], v[2:3]
	v_accvgpr_read_b32 v11, a5
	v_accvgpr_read_b32 v10, a4
	v_pk_fma_f32 v[22:23], v[6:7], v[4:5], v[10:11]
	v_accvgpr_read_b32 v2, a0
	v_fma_f32 v30, v14, v4, v2
	v_accvgpr_read_b32 v2, a1
	v_fma_f32 v31, v15, v5, v2
	v_accvgpr_read_b32 v2, a2
	v_accvgpr_read_b32 v33, a3
	v_fma_f32 v32, v16, v0, v2
	v_fmac_f32_e32 v33, v17, v1
	v_mov_b64_e32 v[2:3], v[18:19]
	v_mov_b64_e32 v[4:5], v[20:21]
	;; [unrolled: 1-line block ×8, first 2 shown]
.LBB273_85:
	s_add_u32 s0, s24, s26
	s_addc_u32 s1, s25, s27
	v_lshl_add_u64 v[0:1], v[56:57], 1, s[0:1]
	v_mov_b32_e32 v55, 0
	s_mov_b32 s2, 0x7060302
	v_lshl_add_u64 v[0:1], v[0:1], 0, v[54:55]
	v_perm_b32 v5, v5, v4, s2
	v_perm_b32 v4, v3, v2, s2
	;; [unrolled: 1-line block ×4, first 2 shown]
	global_store_dwordx2 v[0:1], v[4:5], off
	global_store_dwordx2 v[0:1], v[2:3], off offset:128
	v_lshl_add_u64 v[0:1], v[58:59], 1, s[0:1]
	v_lshl_add_u64 v[0:1], v[0:1], 0, v[54:55]
	v_perm_b32 v3, v13, v12, s2
	v_perm_b32 v2, v11, v10, s2
	global_store_dwordx2 v[0:1], v[2:3], off
	v_perm_b32 v3, v17, v16, s2
	v_perm_b32 v2, v15, v14, s2
	global_store_dwordx2 v[0:1], v[2:3], off offset:128
	s_endpgm
	.section	.rodata,"a",@progbits
	.p2align	6, 0x0
	.amdhsa_kernel _ZN12_GLOBAL__N_139chunk_gated_delta_rule_fwd_h_hip_kernelILi32ELb1ELb1ELb1ELb1ELb1ELb1ELb0ELb1EEEvPK12hip_bfloat16S3_S3_PKfS5_PKvPS1_S8_PvPKiSB_iiiiilll
		.amdhsa_group_segment_fixed_size 49152
		.amdhsa_private_segment_fixed_size 0
		.amdhsa_kernarg_size 136
		.amdhsa_user_sgpr_count 2
		.amdhsa_user_sgpr_dispatch_ptr 0
		.amdhsa_user_sgpr_queue_ptr 0
		.amdhsa_user_sgpr_kernarg_segment_ptr 1
		.amdhsa_user_sgpr_dispatch_id 0
		.amdhsa_user_sgpr_kernarg_preload_length 0
		.amdhsa_user_sgpr_kernarg_preload_offset 0
		.amdhsa_user_sgpr_private_segment_size 0
		.amdhsa_uses_dynamic_stack 0
		.amdhsa_enable_private_segment 0
		.amdhsa_system_sgpr_workgroup_id_x 1
		.amdhsa_system_sgpr_workgroup_id_y 1
		.amdhsa_system_sgpr_workgroup_id_z 0
		.amdhsa_system_sgpr_workgroup_info 0
		.amdhsa_system_vgpr_workitem_id 0
		.amdhsa_next_free_vgpr 168
		.amdhsa_next_free_sgpr 70
		.amdhsa_accum_offset 148
		.amdhsa_reserve_vcc 1
		.amdhsa_float_round_mode_32 0
		.amdhsa_float_round_mode_16_64 0
		.amdhsa_float_denorm_mode_32 3
		.amdhsa_float_denorm_mode_16_64 3
		.amdhsa_dx10_clamp 1
		.amdhsa_ieee_mode 1
		.amdhsa_fp16_overflow 0
		.amdhsa_tg_split 0
		.amdhsa_exception_fp_ieee_invalid_op 0
		.amdhsa_exception_fp_denorm_src 0
		.amdhsa_exception_fp_ieee_div_zero 0
		.amdhsa_exception_fp_ieee_overflow 0
		.amdhsa_exception_fp_ieee_underflow 0
		.amdhsa_exception_fp_ieee_inexact 0
		.amdhsa_exception_int_div_zero 0
	.end_amdhsa_kernel
	.section	.text._ZN12_GLOBAL__N_139chunk_gated_delta_rule_fwd_h_hip_kernelILi32ELb1ELb1ELb1ELb1ELb1ELb1ELb0ELb1EEEvPK12hip_bfloat16S3_S3_PKfS5_PKvPS1_S8_PvPKiSB_iiiiilll,"axG",@progbits,_ZN12_GLOBAL__N_139chunk_gated_delta_rule_fwd_h_hip_kernelILi32ELb1ELb1ELb1ELb1ELb1ELb1ELb0ELb1EEEvPK12hip_bfloat16S3_S3_PKfS5_PKvPS1_S8_PvPKiSB_iiiiilll,comdat
.Lfunc_end273:
	.size	_ZN12_GLOBAL__N_139chunk_gated_delta_rule_fwd_h_hip_kernelILi32ELb1ELb1ELb1ELb1ELb1ELb1ELb0ELb1EEEvPK12hip_bfloat16S3_S3_PKfS5_PKvPS1_S8_PvPKiSB_iiiiilll, .Lfunc_end273-_ZN12_GLOBAL__N_139chunk_gated_delta_rule_fwd_h_hip_kernelILi32ELb1ELb1ELb1ELb1ELb1ELb1ELb0ELb1EEEvPK12hip_bfloat16S3_S3_PKfS5_PKvPS1_S8_PvPKiSB_iiiiilll
                                        ; -- End function
	.section	.AMDGPU.csdata,"",@progbits
; Kernel info:
; codeLenInByte = 9872
; NumSgprs: 76
; NumVgprs: 146
; NumAgprs: 20
; TotalNumVgprs: 168
; ScratchSize: 0
; MemoryBound: 0
; FloatMode: 240
; IeeeMode: 1
; LDSByteSize: 49152 bytes/workgroup (compile time only)
; SGPRBlocks: 9
; VGPRBlocks: 20
; NumSGPRsForWavesPerEU: 76
; NumVGPRsForWavesPerEU: 168
; AccumOffset: 148
; Occupancy: 1
; WaveLimiterHint : 1
; COMPUTE_PGM_RSRC2:SCRATCH_EN: 0
; COMPUTE_PGM_RSRC2:USER_SGPR: 2
; COMPUTE_PGM_RSRC2:TRAP_HANDLER: 0
; COMPUTE_PGM_RSRC2:TGID_X_EN: 1
; COMPUTE_PGM_RSRC2:TGID_Y_EN: 1
; COMPUTE_PGM_RSRC2:TGID_Z_EN: 0
; COMPUTE_PGM_RSRC2:TIDIG_COMP_CNT: 0
; COMPUTE_PGM_RSRC3_GFX90A:ACCUM_OFFSET: 36
; COMPUTE_PGM_RSRC3_GFX90A:TG_SPLIT: 0
	.section	.text._ZN12_GLOBAL__N_139chunk_gated_delta_rule_fwd_h_hip_kernelILi32ELb1ELb1ELb0ELb1ELb1ELb1ELb0ELb1EEEvPK12hip_bfloat16S3_S3_PKfS5_PKvPS1_S8_PvPKiSB_iiiiilll,"axG",@progbits,_ZN12_GLOBAL__N_139chunk_gated_delta_rule_fwd_h_hip_kernelILi32ELb1ELb1ELb0ELb1ELb1ELb1ELb0ELb1EEEvPK12hip_bfloat16S3_S3_PKfS5_PKvPS1_S8_PvPKiSB_iiiiilll,comdat
	.globl	_ZN12_GLOBAL__N_139chunk_gated_delta_rule_fwd_h_hip_kernelILi32ELb1ELb1ELb0ELb1ELb1ELb1ELb0ELb1EEEvPK12hip_bfloat16S3_S3_PKfS5_PKvPS1_S8_PvPKiSB_iiiiilll ; -- Begin function _ZN12_GLOBAL__N_139chunk_gated_delta_rule_fwd_h_hip_kernelILi32ELb1ELb1ELb0ELb1ELb1ELb1ELb0ELb1EEEvPK12hip_bfloat16S3_S3_PKfS5_PKvPS1_S8_PvPKiSB_iiiiilll
	.p2align	8
	.type	_ZN12_GLOBAL__N_139chunk_gated_delta_rule_fwd_h_hip_kernelILi32ELb1ELb1ELb0ELb1ELb1ELb1ELb0ELb1EEEvPK12hip_bfloat16S3_S3_PKfS5_PKvPS1_S8_PvPKiSB_iiiiilll,@function
_ZN12_GLOBAL__N_139chunk_gated_delta_rule_fwd_h_hip_kernelILi32ELb1ELb1ELb0ELb1ELb1ELb1ELb0ELb1EEEvPK12hip_bfloat16S3_S3_PKfS5_PKvPS1_S8_PvPKiSB_iiiiilll: ; @_ZN12_GLOBAL__N_139chunk_gated_delta_rule_fwd_h_hip_kernelILi32ELb1ELb1ELb0ELb1ELb1ELb1ELb0ELb1EEEvPK12hip_bfloat16S3_S3_PKfS5_PKvPS1_S8_PvPKiSB_iiiiilll
; %bb.0:
	s_load_dwordx4 s[16:19], s[0:1], 0x5c
	s_load_dwordx4 s[24:27], s[0:1], 0x70
	s_abs_i32 s7, s3
	s_ashr_i32 s6, s3, 31
	s_load_dwordx4 s[12:15], s[0:1], 0x40
	s_load_dwordx2 s[4:5], s[0:1], 0x50
	s_waitcnt lgkmcnt(0)
	s_abs_i32 s10, s17
	v_cvt_f32_u32_e32 v1, s10
	s_sub_i32 s8, 0, s10
	s_ashr_i32 s11, s17, 31
	s_xor_b32 s6, s6, s11
	v_rcp_iflag_f32_e32 v1, v1
	v_and_b32_e32 v69, 15, v0
	v_bfe_u32 v68, v0, 4, 2
	v_mov_b32_e32 v55, 0
	v_mul_f32_e32 v1, 0x4f7ffffe, v1
	v_cvt_u32_f32_e32 v1, v1
	v_lshlrev_b32_e32 v70, 3, v0
	v_readfirstlane_b32 s9, v1
	s_mul_i32 s8, s8, s9
	s_mul_hi_u32 s8, s9, s8
	s_add_i32 s9, s9, s8
	s_mul_hi_u32 s8, s7, s9
	s_mul_i32 s9, s8, s10
	s_sub_i32 s7, s7, s9
	s_add_i32 s20, s8, 1
	s_sub_i32 s9, s7, s10
	s_cmp_ge_u32 s7, s10
	s_cselect_b32 s8, s20, s8
	s_cselect_b32 s7, s9, s7
	s_add_i32 s9, s8, 1
	s_cmp_ge_u32 s7, s10
	s_cselect_b32 s7, s9, s8
	s_xor_b32 s7, s7, s6
	s_sub_i32 s28, s7, s6
	s_mul_i32 s36, s28, s17
	s_ashr_i32 s29, s28, 31
	s_sub_i32 s33, s3, s36
	s_lshl_b64 s[6:7], s[28:29], 2
	s_add_u32 s8, s14, s6
	s_addc_u32 s9, s15, s7
	s_add_u32 s30, s4, s6
	s_addc_u32 s31, s5, s7
	s_abs_i32 s3, s18
	v_cvt_f32_u32_e32 v1, s3
	s_load_dwordx2 s[34:35], s[8:9], 0x0
	s_sub_i32 s5, 0, s3
	s_lshl_b32 s2, s2, 5
	v_rcp_iflag_f32_e32 v1, v1
	s_load_dwordx4 s[20:23], s[0:1], 0x20
	s_load_dwordx2 s[40:41], s[0:1], 0x30
	s_waitcnt lgkmcnt(0)
	s_sub_i32 s54, s35, s34
	s_ashr_i32 s4, s54, 31
	v_mul_f32_e32 v1, 0x4f7ffffe, v1
	v_cvt_u32_f32_e32 v1, v1
	s_lshr_b32 s4, s4, 26
	s_add_i32 s4, s54, s4
	s_ashr_i32 s53, s4, 6
	v_readfirstlane_b32 s6, v1
	s_mul_i32 s5, s5, s6
	s_mul_hi_u32 s5, s6, s5
	s_add_i32 s6, s6, s5
	s_mul_hi_u32 s5, s10, s6
	s_mul_i32 s6, s5, s3
	s_ashr_i32 s4, s18, 31
	s_sub_i32 s6, s10, s6
	s_xor_b32 s4, s11, s4
	s_add_i32 s7, s5, 1
	s_sub_i32 s8, s6, s3
	s_cmp_ge_u32 s6, s3
	s_cselect_b32 s5, s7, s5
	s_cselect_b32 s6, s8, s6
	s_add_i32 s7, s5, 1
	s_cmp_ge_u32 s6, s3
	s_cselect_b32 s3, s7, s5
	s_xor_b32 s3, s3, s4
	s_sub_i32 s3, s3, s4
	s_abs_i32 s4, s3
	v_cvt_f32_u32_e32 v1, s4
	s_sub_i32 s6, 0, s4
	s_abs_i32 s5, s33
	s_xor_b32 s3, s33, s3
	v_rcp_iflag_f32_e32 v2, v1
	s_ashr_i32 s3, s3, 31
	v_lshrrev_b32_e32 v1, 6, v0
	v_or_b32_e32 v60, s2, v69
	v_mul_f32_e32 v2, 0x4f7ffffe, v2
	v_cvt_u32_f32_e32 v2, v2
	v_lshlrev_b32_e32 v53, 4, v1
	v_lshlrev_b32_e32 v56, 7, v60
	v_lshl_or_b32 v72, v68, 2, v53
	v_readfirstlane_b32 s7, v2
	s_mul_i32 s6, s6, s7
	s_mul_hi_u32 s6, s7, s6
	s_add_i32 s7, s7, s6
	s_mul_hi_u32 s6, s5, s7
	s_mul_i32 s7, s6, s4
	s_sub_i32 s5, s5, s7
	s_add_i32 s7, s6, 1
	s_sub_i32 s8, s5, s4
	s_cmp_ge_u32 s5, s4
	s_cselect_b32 s6, s7, s6
	s_cselect_b32 s5, s8, s5
	s_add_i32 s7, s6, 1
	s_cmp_ge_u32 s5, s4
	s_cselect_b32 s4, s7, s6
	s_xor_b32 s4, s4, s3
	s_sub_i32 s55, s4, s3
	s_ashr_i32 s46, s33, 31
	s_mul_hi_i32 s3, s28, s17
	s_add_u32 s4, s36, s33
	s_addc_u32 s5, s3, s46
	s_lshl_b64 s[14:15], s[4:5], 15
	s_add_u32 s4, s22, s14
	s_addc_u32 s5, s23, s15
	v_ashrrev_i32_e32 v57, 31, v56
	v_lshl_add_u64 v[2:3], v[56:57], 1, s[4:5]
	v_lshlrev_b32_e32 v54, 1, v72
	v_or_b32_e32 v58, 0x800, v56
	v_lshl_add_u64 v[2:3], v[2:3], 0, v[54:55]
	v_ashrrev_i32_e32 v59, 31, v58
	global_load_dwordx2 v[6:7], v[2:3], off
	global_load_dwordx2 v[10:11], v[2:3], off offset:128
	v_lshl_add_u64 v[2:3], v[58:59], 1, s[4:5]
	v_lshl_add_u64 v[2:3], v[2:3], 0, v[54:55]
	global_load_dwordx2 v[12:13], v[2:3], off
	global_load_dwordx2 v[14:15], v[2:3], off offset:128
	s_load_dwordx8 s[4:11], s[0:1], 0x0
	s_load_dwordx2 s[22:23], s[0:1], 0x80
	s_load_dword s58, s[30:31], 0x0
	v_and_b32_e32 v55, 63, v0
	v_lshrrev_b32_e32 v71, 3, v55
	v_or_b32_e32 v73, 64, v72
	s_mul_i32 s47, s28, s25
	s_mul_hi_u32 s48, s28, s24
	s_mul_i32 s36, s28, s24
	s_mul_i32 s49, s29, s24
	s_mul_hi_i32 s56, s33, s16
	s_mul_i32 s57, s33, s16
	s_mul_i32 s50, s33, s27
	s_mul_hi_u32 s51, s33, s26
	s_mul_i32 s52, s46, s26
	s_cmp_lt_i32 s54, 64
	s_mul_i32 s38, s33, s26
	s_waitcnt vmcnt(3)
	v_and_b32_e32 v3, 0xffff0000, v6
	v_lshlrev_b32_e32 v2, 16, v6
	v_and_b32_e32 v5, 0xffff0000, v7
	v_lshlrev_b32_e32 v4, 16, v7
	s_waitcnt vmcnt(2)
	v_and_b32_e32 v7, 0xffff0000, v10
	v_lshlrev_b32_e32 v6, 16, v10
	v_and_b32_e32 v9, 0xffff0000, v11
	v_lshlrev_b32_e32 v8, 16, v11
	;; [unrolled: 5-line block ×4, first 2 shown]
	s_cbranch_scc1 .LBB274_3
; %bb.1:
	s_ashr_i32 s1, s34, 31
	s_add_u32 s0, s57, s34
	s_addc_u32 s1, s56, s1
	s_lshl_b64 s[0:1], s[0:1], 8
	v_and_b32_e32 v81, 56, v70
	s_waitcnt lgkmcnt(0)
	s_add_u32 s24, s6, s0
	v_lshl_or_b32 v80, v1, 3, v71
	v_lshlrev_b32_e32 v10, 1, v81
	s_addc_u32 s0, s7, s1
	v_lshl_or_b32 v83, v80, 8, v10
	s_and_b32 s25, s0, 0xffff
	s_mov_b32 s27, 0x20000
	s_movk_i32 s26, 0x4000
	s_movk_i32 s0, 0x80
	v_or_b32_e32 v84, 0x2000, v83
	buffer_load_dwordx4 v[12:15], v83, s[24:27], 0 offen
	buffer_load_dwordx4 v[16:19], v83, s[24:27], s0 offen
	;; [unrolled: 1-line block ×4, first 2 shown]
	v_lshlrev_b32_e32 v11, 3, v80
	v_and_or_b32 v29, v0, 7, v11
	v_and_b32_e32 v11, 0x78, v11
	v_lshlrev_b32_e32 v29, 4, v29
	v_xor_b32_e32 v86, v29, v11
	v_mul_lo_u32 v28, v80, s19
	v_or_b32_e32 v87, 0x1000, v86
	v_xor_b32_e32 v11, 8, v86
	s_cmpk_eq_i32 s19, 0x80
	s_mov_b32 s59, s34
	v_xor_b32_e32 v29, 8, v87
	s_cselect_b64 s[0:1], -1, 0
	s_cmpk_lg_i32 s19, 0x80
	s_waitcnt vmcnt(3)
	ds_write_b64 v86, v[12:13] offset:24576
	ds_write_b64 v11, v[14:15] offset:24576
	s_waitcnt vmcnt(2)
	ds_write_b64 v86, v[16:17] offset:32768
	ds_write_b64 v11, v[18:19] offset:32768
	;; [unrolled: 3-line block ×4, first 2 shown]
	v_lshl_add_u32 v11, v28, 1, v81
	s_cbranch_scc0 .LBB274_4
; %bb.2:
	v_lshlrev_b32_e32 v13, 1, v11
	v_add_lshl_u32 v12, v11, s19, 1
	s_lshl_b32 s26, s19, 7
	v_lshl_or_b32 v10, v80, 9, v10
	s_cbranch_execz .LBB274_5
	s_branch .LBB274_6
.LBB274_3:
	v_mov_b32_e32 v17, v82
	v_mov_b32_e32 v16, v79
	;; [unrolled: 1-line block ×5, first 2 shown]
	s_branch .LBB274_20
.LBB274_4:
                                        ; implicit-def: $vgpr12
                                        ; implicit-def: $vgpr13
                                        ; implicit-def: $sgpr26
	v_lshl_or_b32 v10, v80, 9, v10
.LBB274_5:
	v_or_b32_e32 v12, 0x100, v10
	s_movk_i32 s26, 0x4000
	v_mov_b32_e32 v13, v10
.LBB274_6:
	s_mul_i32 s24, s34, s18
	s_ashr_i32 s60, s55, 31
	s_mul_hi_i32 s3, s34, s18
	s_add_u32 s24, s24, s55
	s_addc_u32 s25, s3, s60
	s_lshl_b64 s[24:25], s[24:25], 8
	s_add_u32 s24, s4, s24
	s_addc_u32 s3, s5, s25
	s_and_b32 s25, s3, 0xffff
	s_movk_i32 s61, 0x80
	buffer_load_dwordx4 v[14:17], v13, s[24:27], 0 offen
	buffer_load_dwordx4 v[18:21], v13, s[24:27], s61 offen
	;; [unrolled: 1-line block ×4, first 2 shown]
	v_and_b32_e32 v12, 6, v0
	v_lshlrev_b32_e32 v31, 6, v72
	v_or_b32_e32 v33, 16, v69
	v_xor_b32_e32 v34, v80, v12
	v_and_b32_e32 v13, 1, v0
	v_lshl_or_b32 v37, v69, 3, v31
	v_lshl_or_b32 v31, v33, 3, v31
	v_lshlrev_b32_e32 v34, 2, v34
	v_lshlrev_b32_e32 v30, 2, v69
	v_or_b32_e32 v90, 0xa000, v31
	v_or_b32_e32 v91, 0xb000, v31
	v_xor_b32_e32 v31, 0x440, v34
	v_cmp_eq_u32_e32 vcc, 0, v13
	s_add_i32 s3, s48, s47
	v_xor_b32_e32 v35, v72, v30
	v_xor_b32_e32 v36, v73, v30
	v_cndmask_b32_e32 v13, v31, v34, vcc
	s_add_i32 s24, s51, s50
	s_add_i32 s37, s3, s49
	s_mov_b32 s62, 0x1000504
	v_lshlrev_b32_e32 v32, 8, v69
	v_lshlrev_b32_e32 v33, 8, v33
	;; [unrolled: 1-line block ×4, first 2 shown]
	v_lshl_or_b32 v12, v12, 10, v13
	s_add_i32 s39, s24, s52
	s_lshl_b64 s[24:25], s[36:37], 2
	s_mov_b32 s63, 0x3020706
	v_or_b32_e32 v88, 0xa000, v37
	v_or_b32_e32 v89, 0xb000, v37
	;; [unrolled: 1-line block ×5, first 2 shown]
	v_xor_b32_e32 v13, 8, v12
	v_xor_b32_e32 v32, 24, v12
	;; [unrolled: 1-line block ×4, first 2 shown]
	s_add_u32 s3, s10, s24
	v_or_b32_e32 v94, v33, v35
	v_xor_b32_e32 v31, 16, v12
	v_xor_b32_e32 v33, 32, v12
	;; [unrolled: 1-line block ×3, first 2 shown]
	v_add_u32_e32 v13, 0x80, v13
	v_add_u32_e32 v32, 0x80, v32
	;; [unrolled: 1-line block ×4, first 2 shown]
	s_addc_u32 s26, s11, s25
	s_lshl_b64 s[24:25], s[38:39], 2
	s_add_u32 s42, s3, s24
	s_movk_i32 s3, 0xf8
	s_addc_u32 s43, s26, s25
	s_lshl_b32 s30, s19, 7
	s_movk_i32 s28, 0x100
	v_mov_b32_e32 v63, 0
	v_lshlrev_b32_e32 v62, 4, v69
	v_cmp_gt_u32_e32 vcc, s28, v0
	v_ashrrev_i32_e32 v61, 31, v60
	s_mov_b32 s64, 0
	s_movk_i32 s37, 0x1000
	s_movk_i32 s26, 0x4000
	v_lshl_add_u64 v[64:65], v[60:61], 1, s[8:9]
	s_waitcnt vmcnt(1)
	v_perm_b32 v37, v14, v22, s62
	s_waitcnt vmcnt(0)
	v_perm_b32 v38, v18, v26, s62
	v_perm_b32 v14, v14, v22, s63
	;; [unrolled: 1-line block ×15, first 2 shown]
	ds_write2st64_b32 v12, v37, v38 offset0:32 offset1:64
	ds_write2st64_b32 v13, v14, v18 offset0:32 offset1:64
	;; [unrolled: 1-line block ×8, first 2 shown]
	v_or_b32_e32 v12, v53, v69
	v_lshlrev_b32_e32 v12, 3, v12
	v_lshrrev_b32_e32 v15, 5, v55
	v_and_or_b32 v15, v12, s3, v15
	v_lshlrev_b32_e32 v15, 4, v15
	v_lshlrev_b32_e32 v17, 11, v1
	v_and_b32_e32 v12, 0x78, v12
	v_or_b32_e32 v20, 32, v15
	v_and_b32_e32 v14, 0x1000, v17
	v_lshrrev_b32_e32 v18, 1, v55
	v_xor_b32_e32 v20, v20, v12
	v_xor_b32_e32 v16, v15, v12
	v_and_b32_e32 v18, 8, v18
	v_or_b32_e32 v20, v20, v14
	v_or_b32_e32 v16, v16, v14
	v_lshlrev_b32_e32 v19, 7, v68
	v_xor_b32_e32 v98, v20, v18
	v_or_b32_e32 v20, 64, v15
	v_or_b32_e32 v15, 0x60, v15
	s_ashr_i32 s3, s2, 31
	v_xor_b32_e32 v96, v16, v18
	v_or_b32_e32 v16, v19, v30
	v_xor_b32_e32 v20, v20, v12
	v_xor_b32_e32 v12, v15, v12
	s_lshl_b64 s[24:25], s[2:3], 8
	v_lshlrev_b32_e32 v16, 1, v16
	v_or_b32_e32 v20, v20, v14
	v_or_b32_e32 v12, v12, v14
	s_add_u32 s24, s40, s24
	v_lshlrev_b32_e32 v14, 1, v69
	v_or_b32_e32 v97, 0xa000, v16
	v_or_b32_e32 v99, 0xa080, v16
	;; [unrolled: 1-line block ×4, first 2 shown]
	v_lshrrev_b32_e32 v16, 4, v0
	s_addc_u32 s25, s41, s25
	v_or_b32_e32 v15, 1, v14
	v_mov_b32_e32 v25, 0x4000
	v_mov_b32_e32 v26, 0x2000
	v_lshrrev_b32_e32 v27, 1, v0
	v_xor_b32_e32 v100, v20, v18
	v_xor_b32_e32 v101, v12, v18
	;; [unrolled: 1-line block ×4, first 2 shown]
	v_lshl_add_u64 v[14:15], s[24:25], 0, v[62:63]
	v_lshlrev_b32_e32 v62, 8, v16
	v_cndmask_b32_e32 v25, v25, v26, vcc
	v_lshlrev_b32_e32 v26, 3, v1
	v_and_b32_e32 v27, 24, v27
	v_lshl_or_b32 v104, v18, 3, v62
	v_and_b32_e32 v18, 8, v0
	v_xor_b32_e32 v28, v26, v27
	v_or_b32_e32 v29, 0x440, v28
	v_cmp_eq_u32_e32 vcc, 0, v18
	v_and_b32_e32 v16, 7, v0
	v_lshl_or_b32 v105, v22, 3, v62
	v_cndmask_b32_e32 v18, v29, v28, vcc
	v_lshlrev_b32_e32 v22, 3, v16
	v_lshlrev_b32_e32 v24, 2, v0
	v_or_b32_e32 v18, v18, v17
	v_xor_b32_e32 v28, v18, v22
	v_and_or_b32 v18, v24, 60, v19
	v_mov_b32_e32 v19, 0xb000
	v_lshl_or_b32 v106, v18, 1, v19
	v_or_b32_e32 v18, 32, v27
	v_xor_b32_e32 v18, v26, v18
	v_or_b32_e32 v19, 0x440, v18
	v_cndmask_b32_e32 v18, v19, v18, vcc
	v_or_b32_e32 v18, v18, v17
	v_xor_b32_e32 v19, v18, v22
	v_or_b32_e32 v18, 64, v27
	v_xor_b32_e32 v18, v26, v18
	v_xor_b32_e32 v30, 0x440, v18
	v_cndmask_b32_e32 v18, v30, v18, vcc
	v_or_b32_e32 v18, v18, v17
	v_xor_b32_e32 v30, v18, v22
	v_or_b32_e32 v18, 0x60, v27
	v_xor_b32_e32 v18, v26, v18
	v_xor_b32_e32 v26, 0x440, v18
	v_cndmask_b32_e32 v18, v26, v18, vcc
	v_lshrrev_b32_e32 v13, 2, v55
	v_or_b32_e32 v17, v18, v17
	v_and_b32_e32 v13, 12, v13
	v_xor_b32_e32 v17, v17, v22
	v_lshlrev_b32_e32 v12, 7, v72
	v_lshlrev_b32_e32 v20, 1, v11
	v_add_lshl_u32 v11, v11, s19, 1
	v_or_b32_e32 v21, 0x100, v10
	v_lshlrev_b32_e32 v23, 7, v16
	v_or_b32_e32 v16, v13, v53
	v_add_u32_e32 v29, v25, v28
	v_add_u32_e32 v24, v25, v19
	;; [unrolled: 1-line block ×4, first 2 shown]
	v_or3_b32 v18, v53, v13, 64
	v_add_u32_e32 v13, 0x4000, v28
	v_add_u32_e32 v19, 0x4000, v19
	;; [unrolled: 1-line block ×4, first 2 shown]
	v_cndmask_b32_e64 v107, v20, v10, s[0:1]
	v_cndmask_b32_e64 v108, v11, v21, s[0:1]
	v_lshl_add_u64 v[66:67], v[14:15], 0, v[62:63]
	s_mov_b32 s3, 0x7060302
	v_lshlrev_b32_e32 v62, 1, v12
	v_lshlrev_b32_e32 v61, 2, v16
	v_add_u32_e32 v109, v29, v23
	v_add_u32_e32 v110, v24, v23
	;; [unrolled: 1-line block ×4, first 2 shown]
	v_lshlrev_b32_e32 v113, 2, v18
	v_add_u32_e32 v114, v13, v23
	v_add_u32_e32 v115, v19, v23
	v_add_u32_e32 v116, v25, v23
	v_add_u32_e32 v117, v17, v23
	s_waitcnt lgkmcnt(0)
	s_barrier
.LBB274_7:                              ; =>This Inner Loop Header: Depth=1
	s_add_i32 s39, s64, 1
	s_cmp_lt_i32 s39, s53
	s_mov_b64 s[28:29], 0
	s_cselect_b64 s[44:45], -1, 0
	s_cmp_ge_i32 s39, s53
	s_mov_b64 s[24:25], 0
	s_cbranch_scc1 .LBB274_9
; %bb.8:                                ;   in Loop: Header=BB274_7 Depth=1
	s_add_i32 s0, s59, 64
	s_ashr_i32 s1, s0, 31
	s_add_u32 s0, s57, s0
	s_addc_u32 s1, s56, s1
	s_lshl_b64 s[0:1], s[0:1], 8
	s_add_u32 s24, s6, s0
	s_addc_u32 s25, s7, s1
.LBB274_9:                              ;   in Loop: Header=BB274_7 Depth=1
	v_cndmask_b32_e64 v10, 0, 1, s[44:45]
	v_cmp_ne_u32_e64 s[0:1], 1, v10
	s_andn2_b64 vcc, exec, s[44:45]
	s_cbranch_vccnz .LBB274_11
; %bb.10:                               ;   in Loop: Header=BB274_7 Depth=1
	s_add_i32 s28, s59, 64
	s_mul_hi_i32 s29, s28, s18
	s_mul_i32 s28, s28, s18
	s_add_u32 s28, s28, s55
	s_addc_u32 s29, s29, s60
	s_lshl_b64 s[28:29], s[28:29], 8
	s_add_u32 s28, s4, s28
	s_addc_u32 s29, s5, s29
.LBB274_11:                             ;   in Loop: Header=BB274_7 Depth=1
	v_perm_b32 v11, v5, v4, s3
	v_perm_b32 v10, v3, v2, s3
	;; [unrolled: 1-line block ×4, first 2 shown]
	ds_write_b64 v88, v[10:11]
	ds_write_b64 v89, v[12:13]
	;; [unrolled: 1-line block ×4, first 2 shown]
	v_perm_b32 v11, v85, v76, s3
	v_perm_b32 v10, v75, v74, s3
	;; [unrolled: 1-line block ×4, first 2 shown]
	ds_write_b64 v90, v[10:11]
	ds_write_b64 v91, v[12:13]
	;; [unrolled: 1-line block ×4, first 2 shown]
	s_waitcnt lgkmcnt(0)
	s_barrier
	ds_read_b64 v[14:15], v96 offset:24576
	ds_read2_b64 v[10:13], v97 offset1:16
	ds_read_b64 v[18:19], v99 offset:3072
	ds_read_b64 v[20:21], v97 offset:3072
	ds_read_b64 v[22:23], v98 offset:24576
	s_waitcnt lgkmcnt(3)
	v_mfma_f32_16x16x16_bf16 a[0:3], v[14:15], v[10:11], 0
	s_add_i32 s65, s59, 63
	s_ashr_i32 s31, s65, 31
	s_mul_i32 s44, s65, s23
	v_mfma_f32_16x16x16_bf16 a[4:7], v[14:15], v[12:13], 0
	ds_read2st64_b64 v[10:13], v97 offset0:2 offset1:4
	s_mul_hi_u32 s45, s65, s22
	s_add_i32 s44, s45, s44
	s_waitcnt lgkmcnt(0)
	v_mfma_f32_16x16x16_bf16 a[0:3], v[22:23], v[10:11], a[0:3]
	ds_read2st64_b64 v[14:17], v99 offset0:2 offset1:4
	ds_read_b64 v[10:11], v100 offset:24576
	s_mul_i32 s31, s31, s22
	s_add_i32 s45, s44, s31
	s_waitcnt lgkmcnt(1)
	v_mfma_f32_16x16x16_bf16 a[4:7], v[22:23], v[14:15], a[4:7]
	ds_read_b64 v[14:15], v101 offset:24576
	s_mul_i32 s44, s65, s22
	s_lshl_b64 s[44:45], s[44:45], 2
	s_waitcnt lgkmcnt(1)
	v_mfma_f32_16x16x16_bf16 a[0:3], v[10:11], v[12:13], a[0:3]
	s_add_u32 s44, s42, s44
	s_addc_u32 s45, s43, s45
	s_and_b64 vcc, exec, s[0:1]
	v_mfma_f32_16x16x16_bf16 a[4:7], v[10:11], v[16:17], a[4:7]
	v_mov_b32_e32 v120, 0
	v_mov_b32_e32 v119, 0
	;; [unrolled: 1-line block ×3, first 2 shown]
	s_waitcnt lgkmcnt(0)
	v_mfma_f32_16x16x16_bf16 a[0:3], v[14:15], v[20:21], a[0:3]
	v_mov_b32_e32 v10, 0
	v_mov_b32_e32 v11, 0
	v_mov_b32_e32 v12, 0
	v_mfma_f32_16x16x16_bf16 a[4:7], v[14:15], v[18:19], a[4:7]
	v_mov_b32_e32 v13, 0
	v_mov_b32_e32 v14, 0
	;; [unrolled: 1-line block ×13, first 2 shown]
	s_cbranch_vccnz .LBB274_13
; %bb.12:                               ;   in Loop: Header=BB274_7 Depth=1
	s_and_b32 s25, s25, 0xffff
	buffer_load_dwordx4 v[22:25], v83, s[24:27], 0 offen
	buffer_load_dwordx4 v[18:21], v83, s[24:27], s61 offen
	buffer_load_dwordx4 v[14:17], v84, s[24:27], 0 offen
	buffer_load_dwordx4 v[10:13], v84, s[24:27], s61 offen
	v_mov_b32_e32 v119, v86
	v_mov_b32_e32 v118, v87
.LBB274_13:                             ;   in Loop: Header=BB274_7 Depth=1
	ds_read_b64 v[30:31], v96 offset:32768
	ds_read2_b64 v[26:29], v102 offset1:16
	ds_read_b64 v[34:35], v98 offset:32768
	ds_read_b64 v[36:37], v100 offset:32768
	;; [unrolled: 1-line block ×3, first 2 shown]
	v_add_u32_e32 v42, s59, v72
	s_waitcnt lgkmcnt(3)
	v_mfma_f32_16x16x16_bf16 a[0:3], v[30:31], v[26:27], a[0:3]
	v_mov_b32_e32 v121, 0
	v_mfma_f32_16x16x16_bf16 a[4:7], v[30:31], v[28:29], a[4:7]
	ds_read2st64_b64 v[26:29], v102 offset0:2 offset1:4
	ds_read2st64_b64 v[30:33], v103 offset0:2 offset1:4
	s_waitcnt lgkmcnt(1)
	v_mfma_f32_16x16x16_bf16 a[0:3], v[34:35], v[26:27], a[0:3]
	ds_read_b64 v[26:27], v102 offset:3072
	ds_read_b64 v[40:41], v103 offset:3072
	s_waitcnt lgkmcnt(2)
	v_mfma_f32_16x16x16_bf16 a[4:7], v[34:35], v[30:31], a[4:7]
	v_ashrrev_i32_e32 v30, 31, v42
	v_mul_lo_u32 v31, v42, s23
	v_mul_lo_u32 v30, v30, s22
	v_mfma_f32_16x16x16_bf16 a[0:3], v[36:37], v[28:29], a[0:3]
	v_mad_u64_u32 v[28:29], s[24:25], v42, s22, 0
	v_add3_u32 v29, v29, v31, v30
	v_add_u32_e32 v30, 1, v42
	v_ashrrev_i32_e32 v31, 31, v30
	v_mfma_f32_16x16x16_bf16 a[4:7], v[36:37], v[32:33], a[4:7]
	v_mul_lo_u32 v31, v31, s22
	v_mul_lo_u32 v32, v30, s23
	v_lshl_add_u64 v[28:29], v[28:29], 2, s[42:43]
	s_waitcnt lgkmcnt(1)
	v_mfma_f32_16x16x16_bf16 a[0:3], v[38:39], v[26:27], a[0:3]
	v_mad_u64_u32 v[26:27], s[24:25], v30, s22, 0
	v_add_u32_e32 v30, 2, v42
	v_add3_u32 v27, v27, v32, v31
	v_ashrrev_i32_e32 v31, 31, v30
	v_mul_lo_u32 v32, v31, s22
	v_mul_lo_u32 v33, v30, s23
	v_mad_u64_u32 v[30:31], s[24:25], v30, s22, 0
	v_add3_u32 v31, v31, v33, v32
	v_add_u32_e32 v32, 3, v42
	v_ashrrev_i32_e32 v33, 31, v32
	v_mul_lo_u32 v34, v33, s22
	v_mul_lo_u32 v35, v32, s23
	v_mad_u64_u32 v[32:33], s[24:25], v32, s22, 0
	v_add3_u32 v33, v33, v35, v34
	v_lshl_add_u64 v[32:33], v[32:33], 2, s[42:43]
	s_ashr_i32 s25, s59, 31
	v_lshl_add_u64 v[26:27], v[26:27], 2, s[42:43]
	v_lshl_add_u64 v[30:31], v[30:31], 2, s[42:43]
	global_load_dword v34, v[28:29], off
	global_load_dword v35, v[26:27], off
	;; [unrolled: 1-line block ×3, first 2 shown]
	s_nop 0
	global_load_dword v33, v[32:33], off
	s_add_u32 s24, s57, s59
	s_addc_u32 s25, s56, s25
	s_lshl_b64 s[24:25], s[24:25], 8
	v_lshl_add_u64 v[26:27], v[64:65], 0, s[24:25]
	v_lshl_add_u64 v[26:27], v[26:27], 0, v[62:63]
	global_load_ushort v37, v[26:27], off
	global_load_ushort v42, v[26:27], off offset:256
	global_load_ushort v43, v[26:27], off offset:800
	;; [unrolled: 1-line block ×7, first 2 shown]
	s_load_dword s24, s[44:45], 0x0
	s_waitcnt lgkmcnt(0)
	v_mfma_f32_16x16x16_bf16 a[4:7], v[38:39], v[40:41], a[4:7]
	v_accvgpr_read_b32 v31, a1
	v_accvgpr_read_b32 v27, a3
	;; [unrolled: 1-line block ×4, first 2 shown]
	s_and_b64 vcc, exec, s[0:1]
	s_waitcnt vmcnt(11)
	v_sub_f32_e32 v32, s24, v34
	s_waitcnt vmcnt(10)
	v_sub_f32_e32 v40, s24, v35
	s_waitcnt vmcnt(9)
	v_sub_f32_e32 v41, s24, v36
	s_waitcnt vmcnt(8)
	v_sub_f32_e32 v49, s24, v33
	v_exp_f32_e32 v32, v32
	v_exp_f32_e32 v33, v40
	;; [unrolled: 1-line block ×4, first 2 shown]
	s_waitcnt vmcnt(6)
	v_lshlrev_b32_e32 v35, 16, v42
	v_lshlrev_b32_e32 v34, 16, v37
	s_waitcnt vmcnt(4)
	v_lshlrev_b32_e32 v37, 16, v44
	s_waitcnt vmcnt(2)
	v_lshlrev_b32_e32 v36, 16, v46
	v_pk_add_f32 v[30:31], v[34:35], v[30:31] neg_lo:[0,1] neg_hi:[0,1]
	v_pk_add_f32 v[26:27], v[36:37], v[26:27] neg_lo:[0,1] neg_hi:[0,1]
	v_pk_mul_f32 v[30:31], v[32:33], v[30:31]
	v_pk_mul_f32 v[26:27], v[40:41], v[26:27]
	s_waitcnt vmcnt(1)
	v_lshlrev_b32_e32 v39, 16, v47
	v_perm_b32 v27, v27, v26, s3
	v_perm_b32 v26, v31, v30, s3
	v_accvgpr_read_b32 v31, a5
	s_waitcnt vmcnt(0)
	v_lshlrev_b32_e32 v38, 16, v48
	v_accvgpr_read_b32 v30, a4
	v_pk_add_f32 v[30:31], v[38:39], v[30:31] neg_lo:[0,1] neg_hi:[0,1]
	v_accvgpr_read_b32 v29, a7
	v_accvgpr_read_b32 v28, a6
	v_pk_mul_f32 v[30:31], v[32:33], v[30:31]
	v_lshlrev_b32_e32 v33, 16, v43
	v_lshlrev_b32_e32 v32, 16, v45
	v_pk_add_f32 v[28:29], v[32:33], v[28:29] neg_lo:[0,1] neg_hi:[0,1]
	v_mov_b32_e32 v32, 0
	v_pk_mul_f32 v[28:29], v[40:41], v[28:29]
	v_mov_b32_e32 v33, 0
	v_perm_b32 v29, v29, v28, s3
	v_perm_b32 v28, v31, v30, s3
	ds_write2_b64 v89, v[26:27], v[28:29] offset1:16
	v_mov_b32_e32 v26, 0
	v_mov_b32_e32 v27, 0
	;; [unrolled: 1-line block ×14, first 2 shown]
	s_cbranch_vccnz .LBB274_15
; %bb.14:                               ;   in Loop: Header=BB274_7 Depth=1
	s_and_b32 s29, s29, 0xffff
	s_mov_b32 s31, s27
	buffer_load_dwordx4 v[38:41], v107, s[28:31], 0 offen
	buffer_load_dwordx4 v[30:33], v107, s[28:31], s61 offen
	buffer_load_dwordx4 v[34:37], v108, s[28:31], 0 offen
	buffer_load_dwordx4 v[26:29], v108, s[28:31], s61 offen
	v_mov_b32_e32 v120, v81
	v_mov_b32_e32 v121, v80
.LBB274_15:                             ;   in Loop: Header=BB274_7 Depth=1
	s_waitcnt lgkmcnt(0)
	s_barrier
	ds_read_b64 v[46:47], v109
	ds_read_b64 v[126:127], v106
	;; [unrolled: 1-line block ×5, first 2 shown]
	ds_read_b64 v[140:141], v103 offset:3072
	ds_read2_b64 v[42:45], v102 offset0:16 offset1:128
	s_waitcnt lgkmcnt(5)
	v_mfma_f32_16x16x16_bf16 a[0:3], v[46:47], v[126:127], 0
	s_add_i32 s25, s58, s64
	s_mul_hi_i32 s29, s25, s17
	s_mul_i32 s25, s25, s17
	s_waitcnt lgkmcnt(0)
	v_mfma_f32_16x16x16_bf16 a[4:7], v[46:47], v[42:43], 0
	ds_read_b64 v[46:47], v114
	ds_read2st64_b64 v[48:51], v103 offset0:2 offset1:4
	s_add_u32 s28, s25, s33
	s_addc_u32 s29, s29, s46
	s_lshl_b64 s[28:29], s[28:29], 15
	s_mul_i32 s31, s65, s17
	s_mul_hi_i32 s25, s65, s17
	s_add_u32 s44, s31, s33
	s_waitcnt lgkmcnt(1)
	v_mfma_f32_16x16x16_bf16 a[8:11], v[46:47], v[126:127], 0
	s_addc_u32 s45, s25, s46
	ds_read2st64_b64 v[122:125], v102 offset0:4 offset1:6
	s_lshl_b64 s[44:45], s[44:45], 9
	v_mfma_f32_16x16x16_bf16 a[0:3], v[128:129], v[44:45], a[0:3]
	s_add_u32 s44, s20, s44
	s_addc_u32 s45, s21, s45
	s_waitcnt lgkmcnt(1)
	v_mfma_f32_16x16x16_bf16 a[4:7], v[128:129], v[48:49], a[4:7]
	ds_read_b64 v[128:129], v115
	ds_read_b64 v[136:137], v116
	;; [unrolled: 1-line block ×3, first 2 shown]
	v_mfma_f32_16x16x16_bf16 a[12:15], v[46:47], v[42:43], 0
	s_waitcnt lgkmcnt(2)
	v_mfma_f32_16x16x16_bf16 a[8:11], v[128:129], v[44:45], a[8:11]
	global_load_dwordx4 v[42:45], v113, s[44:45]
	v_mfma_f32_16x16x16_bf16 a[12:15], v[128:129], v[48:49], a[12:15]
	global_load_dwordx4 v[46:49], v61, s[44:45]
	ds_read2st64_b64 v[126:129], v104 offset1:8
	s_waitcnt lgkmcnt(0)
	v_mov_b32_e32 v134, v126
	v_mfma_f32_16x16x16_bf16 a[0:3], v[130:131], v[122:123], a[0:3]
	v_mov_b32_e32 v135, v127
	v_mfma_f32_16x16x16_bf16 a[4:7], v[130:131], v[50:51], a[4:7]
	ds_read2st64_b64 v[130:133], v105 offset1:8
	v_mfma_f32_16x16x16_bf16 a[8:11], v[136:137], v[122:123], a[8:11]
	v_lshl_add_u64 v[122:123], v[66:67], 0, s[28:29]
	v_mfma_f32_16x16x16_bf16 a[16:19], v[136:137], v[50:51], a[12:15]
	v_add_co_u32_e32 v50, vcc, s37, v122
	s_waitcnt lgkmcnt(0)
	v_mov_b32_e32 v136, v130
	v_mfma_f32_16x16x16_bf16 a[0:3], v[138:139], v[124:125], a[0:3]
	v_mov_b32_e32 v137, v131
	v_mov_b32_e32 v130, v128
	;; [unrolled: 1-line block ×3, first 2 shown]
	v_mfma_f32_16x16x16_bf16 a[4:7], v[138:139], v[140:141], a[4:7]
	v_addc_co_u32_e32 v51, vcc, 0, v123, vcc
	global_store_dwordx4 v[50:51], v[130:133], off
	v_mfma_f32_16x16x16_bf16 a[12:15], v[142:143], v[124:125], a[8:11]
	s_and_b64 vcc, exec, s[0:1]
	global_store_dwordx4 v[122:123], v[134:137], off
	s_waitcnt vmcnt(3)
	v_mov_b32_e32 v52, v45
	v_mfma_f32_16x16x16_bf16 a[8:11], v[142:143], v[140:141], a[16:19]
	v_mov_b32_e32 v51, v44
	v_mov_b32_e32 v50, v43
	s_cbranch_vccnz .LBB274_17
; %bb.16:                               ;   in Loop: Header=BB274_7 Depth=1
	v_lshrrev_b32_e32 v43, 3, v120
	v_and_b32_e32 v43, 6, v43
	v_xor_b32_e32 v44, v43, v121
	v_lshlrev_b32_e32 v44, 2, v44
	v_and_b32_e32 v45, 8, v120
	v_xor_b32_e32 v120, 0x440, v44
	v_cmp_eq_u32_e32 vcc, 0, v45
	v_perm_b32 v45, v30, v26, s62
	s_nop 0
	v_cndmask_b32_e32 v44, v120, v44, vcc
	v_lshl_or_b32 v43, v43, 10, v44
	v_perm_b32 v44, v38, v34, s62
	s_barrier
	ds_write2st64_b32 v43, v44, v45 offset0:32 offset1:64
	v_xor_b32_e32 v44, 8, v43
	v_perm_b32 v34, v38, v34, s63
	v_perm_b32 v26, v30, v26, s63
	v_add_u32_e32 v30, 0x80, v44
	ds_write2st64_b32 v30, v34, v26 offset0:32 offset1:64
	v_xor_b32_e32 v26, 16, v43
	v_perm_b32 v30, v39, v35, s62
	v_perm_b32 v34, v31, v27, s62
	ds_write2st64_b32 v26, v30, v34 offset0:33 offset1:65
	v_xor_b32_e32 v26, 24, v43
	v_perm_b32 v30, v39, v35, s63
	v_perm_b32 v27, v31, v27, s63
	v_add_u32_e32 v26, 0x80, v26
	ds_write2st64_b32 v26, v30, v27 offset0:33 offset1:65
	v_xor_b32_e32 v26, 32, v43
	v_perm_b32 v27, v40, v36, s62
	v_perm_b32 v30, v32, v28, s62
	;; [unrolled: 9-line block ×3, first 2 shown]
	ds_write2st64_b32 v26, v27, v28 offset0:35 offset1:67
	v_xor_b32_e32 v26, 56, v43
	v_perm_b32 v27, v41, v37, s63
	v_perm_b32 v28, v33, v29, s63
	v_add_u32_e32 v26, 0x80, v26
	ds_write2st64_b32 v26, v27, v28 offset0:35 offset1:67
	ds_write_b64 v119, v[22:23] offset:24576
	v_xor_b32_e32 v22, 8, v119
	ds_write_b64 v22, v[24:25] offset:24576
	ds_write_b64 v119, v[18:19] offset:32768
	;; [unrolled: 1-line block ×4, first 2 shown]
	v_xor_b32_e32 v14, 8, v118
	ds_write_b64 v14, v[16:17] offset:24576
	ds_write_b64 v118, v[10:11] offset:32768
	;; [unrolled: 1-line block ×3, first 2 shown]
.LBB274_17:                             ;   in Loop: Header=BB274_7 Depth=1
	v_exp_f32_e32 v26, s24
	s_waitcnt vmcnt(2)
	v_exp_f32_e32 v28, v46
	v_exp_f32_e32 v29, v47
	;; [unrolled: 1-line block ×4, first 2 shown]
	v_accvgpr_read_b32 v21, a3
	v_accvgpr_read_b32 v19, a1
	;; [unrolled: 1-line block ×4, first 2 shown]
	v_pk_mul_f32 v[28:29], v[26:27], v[28:29] op_sel_hi:[0,1]
	v_accvgpr_read_b32 v20, a2
	v_accvgpr_read_b32 v11, a5
	;; [unrolled: 1-line block ×3, first 2 shown]
	v_pk_fma_f32 v[2:3], v[2:3], v[28:29], v[18:19]
	v_pk_mul_f32 v[18:19], v[26:27], v[30:31] op_sel_hi:[0,1]
	v_pk_fma_f32 v[4:5], v[4:5], v[18:19], v[20:21]
	v_fma_f32 v74, v74, v28, v10
	v_fma_f32 v75, v75, v29, v11
	v_exp_f32_e32 v10, v42
	v_exp_f32_e32 v11, v50
	v_exp_f32_e32 v20, v51
	v_exp_f32_e32 v21, v52
	v_accvgpr_read_b32 v12, a6
	v_accvgpr_read_b32 v25, a15
	;; [unrolled: 1-line block ×9, first 2 shown]
	v_fma_f32 v76, v76, v18, v12
	v_fmac_f32_e32 v13, v85, v19
	v_pk_mul_f32 v[10:11], v[26:27], v[10:11] op_sel_hi:[0,1]
	v_pk_mul_f32 v[18:19], v[26:27], v[20:21] op_sel_hi:[0,1]
	s_add_i32 s59, s59, 64
	v_pk_fma_f32 v[6:7], v[6:7], v[10:11], v[22:23]
	v_pk_fma_f32 v[8:9], v[8:9], v[18:19], v[24:25]
	v_fma_f32 v77, v77, v10, v14
	v_fma_f32 v78, v78, v11, v15
	;; [unrolled: 1-line block ×3, first 2 shown]
	s_cmp_eq_u32 s53, s39
	v_fmac_f32_e32 v17, v82, v19
	s_cbranch_scc1 .LBB274_19
; %bb.18:                               ;   in Loop: Header=BB274_7 Depth=1
	s_mov_b32 s64, s39
	v_mov_b32_e32 v85, v13
	v_mov_b32_e32 v82, v17
	s_branch .LBB274_7
.LBB274_19:
	v_mov_b32_e32 v16, v79
	v_mov_b32_e32 v15, v78
	;; [unrolled: 1-line block ×3, first 2 shown]
.LBB274_20:
	s_lshl_b32 s0, s53, 6
	s_sub_i32 s44, s54, s0
	v_mov_b32_e32 v12, v76
	v_mov_b32_e32 v11, v75
	;; [unrolled: 1-line block ×3, first 2 shown]
	s_cmp_gt_i32 s44, 0
	s_cbranch_scc0 .LBB274_85
; %bb.21:
	s_add_i32 s34, s0, s34
	s_ashr_i32 s3, s34, 31
	s_cmpk_lg_i32 s19, 0x80
	s_cselect_b64 s[30:31], -1, 0
	s_and_b64 vcc, exec, s[30:31]
	s_cbranch_vccz .LBB274_23
; %bb.22:
	s_mul_hi_i32 s0, s34, s18
	s_mul_i32 s1, s34, s18
	s_ashr_i32 s18, s55, 31
	s_add_u32 s42, s1, s55
	s_addc_u32 s43, s0, s18
	s_cbranch_execz .LBB274_24
	s_branch .LBB274_25
.LBB274_23:
                                        ; implicit-def: $sgpr42_sgpr43
.LBB274_24:
	s_mul_i32 s1, s55, s16
	s_mul_hi_i32 s0, s55, s16
	s_add_u32 s42, s1, s34
	s_addc_u32 s43, s0, s3
.LBB274_25:
	s_waitcnt lgkmcnt(0)
	s_add_i32 s16, s53, s58
	s_add_u32 s0, s57, s34
	v_lshlrev_b32_e32 v22, 5, v72
	v_lshlrev_b32_e32 v38, 2, v69
	s_addc_u32 s1, s56, s3
	s_mov_b32 s3, 0x7060302
	v_or_b32_e32 v25, v22, v38
	v_xor_b32_e32 v23, v72, v38
	v_perm_b32 v19, v5, v4, s3
	v_perm_b32 v18, v3, v2, s3
	;; [unrolled: 1-line block ×4, first 2 shown]
	v_lshlrev_b32_e32 v25, 1, v25
	v_xor_b32_e32 v24, v73, v38
	ds_write2st64_b64 v25, v[18:19], v[20:21] offset0:80 offset1:88
	v_lshlrev_b32_e32 v23, 1, v23
	v_lshlrev_b32_e32 v25, 8, v69
	s_lshl_b64 s[28:29], s[0:1], 8
	v_or_b32_e32 v26, v23, v25
	v_lshlrev_b32_e32 v24, 1, v24
	s_add_u32 s0, s6, s28
	ds_write_b64 v26, v[18:19]
	v_or_b32_e32 v18, v24, v25
	s_addc_u32 s1, s7, s29
	ds_write_b64 v18, v[20:21]
	v_perm_b32 v19, v13, v12, s3
	v_perm_b32 v18, v11, v10, s3
	;; [unrolled: 1-line block ×4, first 2 shown]
	v_or_b32_e32 v25, 16, v69
	s_mul_hi_i32 s3, s16, s17
	s_mul_i32 s16, s16, s17
	v_lshlrev_b32_e32 v35, 2, v25
	s_add_u32 s6, s16, s33
	v_or_b32_e32 v22, v22, v35
	s_addc_u32 s7, s3, s46
	v_lshlrev_b32_e32 v22, 1, v22
	s_ashr_i32 s3, s2, 31
	s_lshl_b64 s[6:7], s[6:7], 15
	ds_write2st64_b64 v22, v[18:19], v[20:21] offset0:80 offset1:88
	v_lshlrev_b32_e32 v22, 8, v25
	s_add_u32 s6, s40, s6
	v_or_b32_e32 v23, v23, v22
	s_addc_u32 s7, s41, s7
	s_lshl_b64 s[2:3], s[2:3], 8
	ds_write_b64 v23, v[18:19]
	v_or_b32_e32 v18, v24, v22
	s_add_u32 s2, s6, s2
	ds_write_b64 v18, v[20:21]
	v_lshrrev_b32_e32 v18, 4, v0
	s_addc_u32 s3, s7, s3
	v_lshlrev_b32_e32 v19, 1, v69
	v_lshlrev_b32_e32 v26, 4, v69
	v_mov_b32_e32 v27, 0
	v_or_b32_e32 v20, 1, v19
	v_xor_b32_e32 v19, v18, v19
	v_lshl_add_u64 v[28:29], s[2:3], 0, v[26:27]
	v_lshlrev_b32_e32 v26, 8, v18
	v_xor_b32_e32 v22, v20, v18
	v_lshl_or_b32 v18, v19, 3, v26
	s_waitcnt lgkmcnt(0)
	s_barrier
	ds_read2st64_b64 v[18:21], v18 offset1:8
	v_lshl_or_b32 v22, v22, 3, v26
	ds_read2st64_b64 v[22:25], v22 offset1:8
	v_lshl_add_u64 v[30:31], v[28:29], 0, v[26:27]
	s_movk_i32 s2, 0x1000
	s_waitcnt lgkmcnt(1)
	v_mov_b32_e32 v26, v18
	v_add_co_u32_e32 v18, vcc, s2, v30
	s_cmp_lg_u32 s44, 64
	v_mov_b32_e32 v27, v19
	v_addc_co_u32_e32 v19, vcc, 0, v31, vcc
	s_cselect_b64 s[6:7], -1, 0
	v_lshl_or_b32 v42, v1, 3, v71
	s_waitcnt lgkmcnt(0)
	v_mov_b32_e32 v28, v22
	v_mov_b32_e32 v29, v23
	;; [unrolled: 1-line block ×4, first 2 shown]
	s_mov_b32 s24, 0
	v_or_b32_e32 v36, 32, v42
	v_and_b32_e32 v34, 56, v70
	s_and_b64 vcc, exec, s[6:7]
	global_store_dwordx4 v[30:31], v[26:29], off
	global_store_dwordx4 v[18:19], v[22:25], off
	s_cbranch_vccz .LBB274_31
; %bb.26:
	s_mov_b32 s25, s24
	s_mov_b32 s26, s24
	;; [unrolled: 1-line block ×3, first 2 shown]
	v_mov_b64_e32 v[22:23], s[24:25]
	v_mov_b64_e32 v[24:25], s[26:27]
	v_mov_b64_e32 v[18:19], v[22:23]
	v_cmp_gt_i32_e32 vcc, s44, v42
	v_mov_b64_e32 v[20:21], v[24:25]
	s_and_saveexec_b64 s[2:3], vcc
	s_cbranch_execz .LBB274_28
; %bb.27:
	v_lshlrev_b32_e32 v18, 8, v42
	v_mov_b32_e32 v19, 0
	v_lshl_add_u64 v[20:21], s[0:1], 0, v[18:19]
	v_lshlrev_b32_e32 v18, 1, v34
	v_lshl_add_u64 v[26:27], v[20:21], 0, v[18:19]
	global_load_dwordx4 v[22:25], v[26:27], off
	global_load_dwordx4 v[18:21], v[26:27], off offset:128
.LBB274_28:
	s_or_b64 exec, exec, s[2:3]
	s_mov_b32 s26, s24
	s_mov_b32 s27, s24
	;; [unrolled: 1-line block ×3, first 2 shown]
	v_mov_b64_e32 v[32:33], s[26:27]
	v_mov_b64_e32 v[30:31], s[24:25]
	;; [unrolled: 1-line block ×3, first 2 shown]
	v_cmp_gt_i32_e32 vcc, s44, v36
	v_lshlrev_b32_e32 v37, 7, v36
	v_mov_b64_e32 v[28:29], v[32:33]
	s_and_saveexec_b64 s[2:3], vcc
	s_cbranch_execz .LBB274_30
; %bb.29:
	v_lshlrev_b32_e32 v26, 1, v37
	v_mov_b32_e32 v27, 0
	v_lshl_add_u64 v[28:29], s[0:1], 0, v[26:27]
	v_lshlrev_b32_e32 v26, 1, v34
	v_lshl_add_u64 v[40:41], v[28:29], 0, v[26:27]
	global_load_dwordx4 v[30:33], v[40:41], off
	global_load_dwordx4 v[26:29], v[40:41], off offset:128
.LBB274_30:
	s_or_b64 exec, exec, s[2:3]
	v_lshrrev_b32_e32 v39, 3, v34
	v_lshlrev_b32_e32 v40, 3, v42
	v_or_b32_e32 v39, v40, v39
	v_lshlrev_b32_e32 v39, 4, v39
	v_and_b32_e32 v40, 0x78, v40
	v_xor_b32_e32 v39, v39, v40
	s_branch .LBB274_33
.LBB274_31:
                                        ; implicit-def: $vgpr39
                                        ; implicit-def: $vgpr37
                                        ; implicit-def: $vgpr22_vgpr23_vgpr24_vgpr25
                                        ; implicit-def: $vgpr18_vgpr19_vgpr20_vgpr21
                                        ; implicit-def: $vgpr30_vgpr31_vgpr32_vgpr33
                                        ; implicit-def: $vgpr26_vgpr27_vgpr28_vgpr29
	s_cbranch_execz .LBB274_33
; %bb.32:
	s_waitcnt vmcnt(0)
	v_lshlrev_b32_e32 v18, 1, v34
	v_lshl_or_b32 v37, v42, 8, v18
	s_and_b32 s1, s1, 0xffff
	s_mov_b32 s3, 0x20000
	s_movk_i32 s2, 0x4000
	v_lshl_or_b32 v39, v36, 8, v18
	s_movk_i32 s16, 0x80
	buffer_load_dwordx4 v[22:25], v37, s[0:3], 0 offen
	buffer_load_dwordx4 v[18:21], v37, s[0:3], s16 offen
	buffer_load_dwordx4 v[30:33], v39, s[0:3], 0 offen
	buffer_load_dwordx4 v[26:29], v39, s[0:3], s16 offen
	v_lshrrev_b32_e32 v37, 3, v34
	v_lshlrev_b32_e32 v39, 3, v42
	v_or_b32_e32 v37, v39, v37
	v_lshlrev_b32_e32 v37, 4, v37
	v_and_b32_e32 v39, 0x78, v39
	v_xor_b32_e32 v39, v37, v39
	v_lshlrev_b32_e32 v37, 7, v36
.LBB274_33:
	s_lshl_b64 s[0:1], s[42:43], 8
	s_add_u32 s4, s4, s0
	s_movk_i32 s0, 0x1000
	v_and_or_b32 v36, v37, s0, v39
	s_waitcnt vmcnt(1)
	ds_write_b64 v39, v[22:23] offset:24576
	v_xor_b32_e32 v22, 8, v39
	ds_write_b64 v22, v[24:25] offset:24576
	s_waitcnt vmcnt(0)
	ds_write_b64 v39, v[18:19] offset:32768
	ds_write_b64 v22, v[20:21] offset:32768
	;; [unrolled: 1-line block ×3, first 2 shown]
	v_xor_b32_e32 v18, 8, v36
	ds_write_b64 v18, v[32:33] offset:24576
	ds_write_b64 v36, v[26:27] offset:32768
	;; [unrolled: 1-line block ×3, first 2 shown]
	v_or_b32_e32 v18, v53, v69
	v_lshlrev_b32_e32 v18, 3, v18
	v_lshrrev_b32_e32 v19, 5, v55
	s_movk_i32 s2, 0xf8
	v_and_or_b32 v19, v18, s2, v19
	v_lshlrev_b32_e32 v23, 4, v19
	v_lshlrev_b32_e32 v39, 11, v1
	v_and_b32_e32 v24, 0x78, v18
	v_or_b32_e32 v26, 32, v23
	v_and_b32_e32 v22, 0x1000, v39
	v_lshrrev_b32_e32 v19, 1, v55
	v_xor_b32_e32 v26, v26, v24
	v_xor_b32_e32 v18, v23, v24
	v_and_b32_e32 v25, 8, v19
	v_or_b32_e32 v26, v26, v22
	v_or_b32_e32 v18, v18, v22
	v_xor_b32_e32 v44, v26, v25
	v_or_b32_e32 v26, 64, v23
	v_xor_b32_e32 v43, v18, v25
	v_xor_b32_e32 v26, v26, v24
	s_waitcnt lgkmcnt(0)
	s_barrier
	v_or_b32_e32 v28, v26, v22
	ds_read_b64 v[26:27], v43 offset:24576
	v_lshl_or_b32 v36, v68, 7, v38
	v_lshlrev_b32_e32 v40, 1, v36
	v_add_u32_e32 v18, 0xa000, v40
	ds_read2_b64 v[18:21], v18 offset1:16
	v_or_b32_e32 v23, 0x60, v23
	v_xor_b32_e32 v23, v23, v24
	s_waitcnt lgkmcnt(0)
	v_mfma_f32_16x16x16_bf16 a[0:3], v[26:27], v[18:19], 0
	v_or_b32_e32 v18, 64, v36
	v_or_b32_e32 v22, v23, v22
	v_lshlrev_b32_e32 v41, 1, v18
	v_xor_b32_e32 v45, v28, v25
	v_xor_b32_e32 v46, v22, v25
	ds_read_b64 v[28:29], v44 offset:24576
	ds_read_b64 v[30:31], v45 offset:24576
	;; [unrolled: 1-line block ×3, first 2 shown]
	v_mfma_f32_16x16x16_bf16 a[4:7], v[26:27], v[20:21], 0
	ds_read2st64_b64 v[18:21], v41 offset0:82 offset1:84
	ds_read2st64_b64 v[22:25], v40 offset0:82 offset1:84
	s_addc_u32 s5, s5, s1
	s_add_i32 s0, s48, s47
	s_add_i32 s16, s35, -1
	s_add_i32 s37, s0, s49
	s_add_i32 s0, s51, s50
	;; [unrolled: 1-line block ×3, first 2 shown]
	s_ashr_i32 s0, s16, 31
	s_mul_i32 s1, s16, s23
	s_mul_hi_u32 s2, s16, s22
	s_add_i32 s1, s2, s1
	s_mul_i32 s0, s0, s22
	s_waitcnt lgkmcnt(1)
	v_mfma_f32_16x16x16_bf16 a[4:7], v[28:29], v[18:19], a[4:7]
	s_add_i32 s1, s1, s0
	s_lshl_b64 s[2:3], s[36:37], 2
	s_add_u32 s10, s10, s2
	s_waitcnt lgkmcnt(0)
	v_mfma_f32_16x16x16_bf16 a[0:3], v[28:29], v[22:23], a[0:3]
	s_addc_u32 s11, s11, s3
	s_lshl_b64 s[2:3], s[38:39], 2
	s_mul_i32 s0, s16, s22
	s_add_u32 s10, s10, s2
	ds_read_b64 v[18:19], v40 offset:44032
	v_mfma_f32_16x16x16_bf16 a[4:7], v[30:31], v[20:21], a[4:7]
	ds_read_b64 v[20:21], v41 offset:44032
	s_addc_u32 s11, s11, s3
	s_lshl_b64 s[0:1], s[0:1], 2
	v_mfma_f32_16x16x16_bf16 a[0:3], v[30:31], v[24:25], a[0:3]
	s_add_u32 s0, s10, s0
	s_addc_u32 s1, s11, s1
	s_load_dword s18, s[0:1], 0x0
	s_waitcnt lgkmcnt(0)
	v_mfma_f32_16x16x16_bf16 a[0:3], v[32:33], v[18:19], a[0:3]
	s_and_b64 vcc, exec, s[30:31]
	v_mfma_f32_16x16x16_bf16 a[4:7], v[32:33], v[20:21], a[4:7]
	s_cbranch_vccz .LBB274_44
; %bb.34:
	v_lshlrev_b32_e32 v36, 1, v42
	s_and_b64 vcc, exec, s[6:7]
	s_cbranch_vccz .LBB274_45
; %bb.35:
	v_cmp_gt_i32_e32 vcc, s44, v36
	v_mov_b32_e32 v22, 0
	v_mov_b32_e32 v18, 0
	;; [unrolled: 1-line block ×5, first 2 shown]
	s_and_saveexec_b64 s[0:1], vcc
	s_cbranch_execz .LBB274_37
; %bb.36:
	v_mad_i64_i32 v[18:19], s[2:3], s19, v36, 0
	v_lshl_add_u64 v[18:19], v[18:19], 1, s[4:5]
	v_lshlrev_b32_e32 v20, 1, v34
	v_mov_b32_e32 v21, 0
	v_lshl_add_u64 v[18:19], v[18:19], 0, v[20:21]
	global_load_dwordx4 v[18:21], v[18:19], off
.LBB274_37:
	s_or_b64 exec, exec, s[0:1]
	v_or_b32_e32 v37, 1, v36
	v_cmp_gt_i32_e64 s[0:1], s44, v37
	v_mov_b32_e32 v23, 0
	v_mov_b32_e32 v24, 0
	;; [unrolled: 1-line block ×3, first 2 shown]
	s_and_saveexec_b64 s[2:3], s[0:1]
	s_cbranch_execz .LBB274_39
; %bb.38:
	v_mad_i64_i32 v[22:23], s[24:25], s19, v37, 0
	v_lshl_add_u64 v[22:23], v[22:23], 1, s[4:5]
	v_lshlrev_b32_e32 v24, 1, v34
	v_mov_b32_e32 v25, 0
	v_lshl_add_u64 v[22:23], v[22:23], 0, v[24:25]
	global_load_dwordx4 v[22:25], v[22:23], off
.LBB274_39:
	s_or_b64 exec, exec, s[2:3]
	v_mov_b32_e32 v33, 0
	v_mov_b32_e32 v26, 0
	;; [unrolled: 1-line block ×5, first 2 shown]
	s_and_saveexec_b64 s[2:3], vcc
	s_cbranch_execz .LBB274_41
; %bb.40:
	v_mad_i64_i32 v[26:27], s[24:25], s19, v36, 0
	v_lshl_add_u64 v[26:27], v[26:27], 1, s[4:5]
	v_lshlrev_b32_e32 v28, 1, v34
	v_mov_b32_e32 v29, 0
	v_lshl_add_u64 v[26:27], v[26:27], 0, v[28:29]
	global_load_dwordx4 v[26:29], v[26:27], off offset:128
.LBB274_41:
	s_or_b64 exec, exec, s[2:3]
	v_mov_b32_e32 v32, 0
	v_mov_b32_e32 v31, 0
	;; [unrolled: 1-line block ×3, first 2 shown]
	s_and_saveexec_b64 s[2:3], s[0:1]
	s_cbranch_execz .LBB274_43
; %bb.42:
	v_mad_i64_i32 v[30:31], s[0:1], s19, v37, 0
	v_lshl_add_u64 v[30:31], v[30:31], 1, s[4:5]
	v_lshlrev_b32_e32 v32, 1, v34
	v_mov_b32_e32 v33, 0
	v_lshl_add_u64 v[30:31], v[30:31], 0, v[32:33]
	global_load_dwordx4 v[30:33], v[30:31], off offset:128
.LBB274_43:
	s_or_b64 exec, exec, s[2:3]
	s_branch .LBB274_47
.LBB274_44:
                                        ; implicit-def: $vgpr21
                                        ; implicit-def: $vgpr25
                                        ; implicit-def: $vgpr29
                                        ; implicit-def: $vgpr33
	v_lshrrev_b32_e32 v47, 2, v55
	s_branch .LBB274_48
.LBB274_45:
                                        ; implicit-def: $vgpr21
                                        ; implicit-def: $vgpr25
                                        ; implicit-def: $vgpr29
                                        ; implicit-def: $vgpr33
	s_cbranch_execz .LBB274_47
; %bb.46:
	s_waitcnt vmcnt(0)
	v_mad_u64_u32 v[18:19], s[0:1], v36, s19, v[34:35]
	v_lshlrev_b32_e32 v36, 1, v18
	s_lshl_b32 s2, s19, 7
	s_and_b32 s1, s5, 0xffff
	s_mov_b32 s3, 0x20000
	s_mov_b32 s0, s4
	v_add_lshl_u32 v37, v18, s19, 1
	s_movk_i32 s19, 0x80
	buffer_load_dwordx4 v[18:21], v36, s[0:3], 0 offen
	buffer_load_dwordx4 v[26:29], v36, s[0:3], s19 offen
	;; [unrolled: 1-line block ×4, first 2 shown]
.LBB274_47:
	v_lshrrev_b32_e32 v47, 2, v55
	s_cbranch_execnz .LBB274_60
.LBB274_48:
	s_and_b64 vcc, exec, s[6:7]
	s_cbranch_vccz .LBB274_58
; %bb.49:
	s_waitcnt vmcnt(0)
	v_lshlrev_b32_e32 v23, 1, v42
	v_cmp_gt_i32_e32 vcc, s44, v23
	v_mov_b32_e32 v22, 0
	v_lshlrev_b32_e32 v30, 9, v42
	v_mov_b32_e32 v18, 0
	v_mov_b32_e32 v19, 0
	;; [unrolled: 1-line block ×4, first 2 shown]
	s_and_saveexec_b64 s[0:1], vcc
	s_cbranch_execz .LBB274_51
; %bb.50:
	v_mov_b32_e32 v31, 0
	v_lshl_add_u64 v[18:19], s[4:5], 0, v[30:31]
	v_lshlrev_b32_e32 v20, 1, v34
	v_mov_b32_e32 v21, v31
	v_lshl_add_u64 v[18:19], v[18:19], 0, v[20:21]
	global_load_dwordx4 v[18:21], v[18:19], off
.LBB274_51:
	s_or_b64 exec, exec, s[0:1]
	v_or_b32_e32 v23, 1, v23
	v_cmp_gt_i32_e64 s[0:1], s44, v23
	v_lshlrev_b32_e32 v36, 8, v23
	v_mov_b32_e32 v23, 0
	v_mov_b32_e32 v24, 0
	;; [unrolled: 1-line block ×3, first 2 shown]
	s_and_saveexec_b64 s[2:3], s[0:1]
	s_cbranch_execz .LBB274_53
; %bb.52:
	v_mov_b32_e32 v37, 0
	v_lshl_add_u64 v[22:23], s[4:5], 0, v[36:37]
	v_lshlrev_b32_e32 v24, 1, v34
	v_mov_b32_e32 v25, v37
	v_lshl_add_u64 v[22:23], v[22:23], 0, v[24:25]
	global_load_dwordx4 v[22:25], v[22:23], off
.LBB274_53:
	s_or_b64 exec, exec, s[2:3]
	v_mov_b32_e32 v33, 0
	v_mov_b32_e32 v26, 0
	;; [unrolled: 1-line block ×5, first 2 shown]
	s_and_saveexec_b64 s[2:3], vcc
	s_cbranch_execz .LBB274_55
; %bb.54:
	v_mov_b32_e32 v31, 0
	v_lshl_add_u64 v[26:27], s[4:5], 0, v[30:31]
	v_lshlrev_b32_e32 v30, 1, v34
	v_lshl_add_u64 v[26:27], v[26:27], 0, v[30:31]
	global_load_dwordx4 v[26:29], v[26:27], off offset:128
.LBB274_55:
	s_or_b64 exec, exec, s[2:3]
	v_mov_b32_e32 v32, 0
	v_mov_b32_e32 v31, 0
	;; [unrolled: 1-line block ×3, first 2 shown]
	s_and_saveexec_b64 s[2:3], s[0:1]
	s_cbranch_execz .LBB274_57
; %bb.56:
	v_mov_b32_e32 v37, 0
	v_lshl_add_u64 v[30:31], s[4:5], 0, v[36:37]
	v_lshlrev_b32_e32 v36, 1, v34
	v_lshl_add_u64 v[30:31], v[30:31], 0, v[36:37]
	global_load_dwordx4 v[30:33], v[30:31], off offset:128
.LBB274_57:
	s_or_b64 exec, exec, s[2:3]
	s_branch .LBB274_60
.LBB274_58:
                                        ; implicit-def: $vgpr21
                                        ; implicit-def: $vgpr25
                                        ; implicit-def: $vgpr29
                                        ; implicit-def: $vgpr33
	s_cbranch_execz .LBB274_60
; %bb.59:
	s_waitcnt vmcnt(0)
	v_lshlrev_b32_e32 v18, 1, v34
	v_lshl_or_b32 v34, v42, 9, v18
	s_and_b32 s5, s5, 0xffff
	s_mov_b32 s7, 0x20000
	s_movk_i32 s6, 0x4000
	s_movk_i32 s0, 0x80
	buffer_load_dwordx4 v[18:21], v34, s[4:7], 0 offen
	buffer_load_dwordx4 v[22:25], v34, s[4:7], 0 offen offset:256
	buffer_load_dwordx4 v[26:29], v34, s[4:7], s0 offen
	buffer_load_dwordx4 v[30:33], v34, s[4:7], s0 offen offset:256
.LBB274_60:
	ds_read_b64 v[36:37], v43 offset:32768
	v_add_u32_e32 v34, 0xb000, v40
	ds_read2_b64 v[48:51], v34 offset1:16
	ds_read_b64 v[66:67], v44 offset:32768
	ds_read_b64 v[44:45], v45 offset:32768
	ds_read_b64 v[68:69], v46 offset:32768
	ds_read2st64_b64 v[62:65], v41 offset0:90 offset1:92
	v_and_b32_e32 v43, 6, v0
	v_and_b32_e32 v34, 12, v47
	v_xor_b32_e32 v42, v42, v43
	v_lshlrev_b32_e32 v42, 2, v42
	s_mov_b32 s0, 0x1000504
	s_waitcnt lgkmcnt(4)
	v_mfma_f32_16x16x16_bf16 a[0:3], v[36:37], v[48:49], a[0:3]
	s_mov_b32 s1, 0x3020706
	v_mfma_f32_16x16x16_bf16 a[4:7], v[36:37], v[50:51], a[4:7]
	ds_read2st64_b64 v[48:51], v40 offset0:90 offset1:92
	ds_read_b64 v[36:37], v40 offset:48128
	ds_read_b64 v[46:47], v41 offset:48128
	s_waitcnt lgkmcnt(2)
	v_mfma_f32_16x16x16_bf16 a[0:3], v[66:67], v[48:49], a[0:3]
	v_and_b32_e32 v48, 1, v0
	v_xor_b32_e32 v49, 0x440, v42
	v_cmp_eq_u32_e32 vcc, 0, v48
	v_mfma_f32_16x16x16_bf16 a[4:7], v[66:67], v[62:63], a[4:7]
	s_nop 0
	v_cndmask_b32_e32 v42, v49, v42, vcc
	v_lshl_or_b32 v42, v43, 10, v42
	v_mfma_f32_16x16x16_bf16 a[0:3], v[44:45], v[50:51], a[0:3]
	v_mfma_f32_16x16x16_bf16 a[8:11], v[44:45], v[64:65], a[4:7]
	s_waitcnt lgkmcnt(1)
	v_mfma_f32_16x16x16_bf16 a[4:7], v[68:69], v[36:37], a[0:3]
	s_waitcnt vmcnt(0)
	v_perm_b32 v36, v18, v22, s0
	v_perm_b32 v37, v26, v30, s0
	ds_write2st64_b32 v42, v36, v37 offset0:32 offset1:64
	v_xor_b32_e32 v36, 8, v42
	v_perm_b32 v18, v18, v22, s1
	v_perm_b32 v22, v26, v30, s1
	v_add_u32_e32 v26, 0x80, v36
	ds_write2st64_b32 v26, v18, v22 offset0:32 offset1:64
	v_xor_b32_e32 v18, 16, v42
	v_perm_b32 v22, v19, v23, s0
	v_perm_b32 v26, v27, v31, s0
	ds_write2st64_b32 v18, v22, v26 offset0:33 offset1:65
	v_xor_b32_e32 v18, 24, v42
	v_perm_b32 v19, v19, v23, s1
	v_perm_b32 v22, v27, v31, s1
	v_add_u32_e32 v18, 0x80, v18
	ds_write2st64_b32 v18, v19, v22 offset0:33 offset1:65
	v_xor_b32_e32 v18, 32, v42
	v_perm_b32 v19, v20, v24, s0
	v_perm_b32 v22, v28, v32, s0
	ds_write2st64_b32 v18, v19, v22 offset0:34 offset1:66
	v_xor_b32_e32 v18, 40, v42
	s_waitcnt lgkmcnt(5)
	v_mfma_f32_16x16x16_bf16 a[0:3], v[68:69], v[46:47], a[8:11]
	v_perm_b32 v19, v20, v24, s1
	v_perm_b32 v20, v28, v32, s1
	v_add_u32_e32 v18, 0x80, v18
	ds_write2st64_b32 v18, v19, v20 offset0:34 offset1:66
	v_xor_b32_e32 v18, 48, v42
	v_perm_b32 v19, v21, v25, s0
	v_perm_b32 v20, v29, v33, s0
	ds_write2st64_b32 v18, v19, v20 offset0:35 offset1:67
	v_xor_b32_e32 v18, 56, v42
	v_or_b32_e32 v32, v34, v53
	v_perm_b32 v19, v21, v25, s1
	v_perm_b32 v20, v29, v33, s1
	v_add_u32_e32 v18, 0x80, v18
	v_cmp_gt_i32_e32 vcc, s44, v32
	v_mov_b32_e32 v33, 0
	v_mov_b32_e32 v37, 0
	ds_write2st64_b32 v18, v19, v20 offset0:35 offset1:67
	s_and_saveexec_b64 s[0:1], vcc
	s_cbranch_execz .LBB274_62
; %bb.61:
	v_add_u32_e32 v18, s34, v32
	v_ashrrev_i32_e32 v19, 31, v18
	v_mul_lo_u32 v20, v19, s22
	v_mul_lo_u32 v21, v18, s23
	v_mad_u64_u32 v[18:19], s[2:3], v18, s22, 0
	v_add3_u32 v19, v19, v21, v20
	v_lshl_add_u64 v[18:19], v[18:19], 2, s[10:11]
	global_load_dword v18, v[18:19], off
	s_waitcnt vmcnt(0)
	v_sub_f32_e32 v18, s18, v18
	v_exp_f32_e32 v37, v18
.LBB274_62:
	s_or_b64 exec, exec, s[0:1]
	v_or_b32_e32 v26, 1, v32
	v_cmp_gt_i32_e64 s[0:1], s44, v26
	s_and_saveexec_b64 s[2:3], s[0:1]
	s_cbranch_execz .LBB274_64
; %bb.63:
	v_add_u32_e32 v18, s34, v26
	v_ashrrev_i32_e32 v19, 31, v18
	v_mul_lo_u32 v20, v19, s22
	v_mul_lo_u32 v21, v18, s23
	v_mad_u64_u32 v[18:19], s[4:5], v18, s22, 0
	v_add3_u32 v19, v19, v21, v20
	v_lshl_add_u64 v[18:19], v[18:19], 2, s[10:11]
	global_load_dword v18, v[18:19], off
	s_waitcnt vmcnt(0)
	v_sub_f32_e32 v18, s18, v18
	v_exp_f32_e32 v33, v18
.LBB274_64:
	s_or_b64 exec, exec, s[2:3]
	v_or_b32_e32 v27, 2, v32
	v_cmp_gt_i32_e64 s[2:3], s44, v27
	v_mov_b32_e32 v36, 0
	v_mov_b32_e32 v42, 0
	s_and_saveexec_b64 s[4:5], s[2:3]
	s_cbranch_execz .LBB274_66
; %bb.65:
	v_add_u32_e32 v18, s34, v27
	v_ashrrev_i32_e32 v19, 31, v18
	v_mul_lo_u32 v20, v19, s22
	v_mul_lo_u32 v21, v18, s23
	v_mad_u64_u32 v[18:19], s[6:7], v18, s22, 0
	v_add3_u32 v19, v19, v21, v20
	v_lshl_add_u64 v[18:19], v[18:19], 2, s[10:11]
	global_load_dword v18, v[18:19], off
	s_waitcnt vmcnt(0)
	v_sub_f32_e32 v18, s18, v18
	v_exp_f32_e32 v42, v18
.LBB274_66:
	s_or_b64 exec, exec, s[4:5]
	v_or_b32_e32 v43, 3, v32
	v_cmp_gt_i32_e64 s[4:5], s44, v43
	s_and_saveexec_b64 s[6:7], s[4:5]
	s_cbranch_execz .LBB274_68
; %bb.67:
	v_add_u32_e32 v18, s34, v43
	v_ashrrev_i32_e32 v19, 31, v18
	v_mul_lo_u32 v20, v19, s22
	v_mul_lo_u32 v21, v18, s23
	v_mad_u64_u32 v[18:19], s[22:23], v18, s22, 0
	v_add3_u32 v19, v19, v21, v20
	v_lshl_add_u64 v[18:19], v[18:19], 2, s[10:11]
	global_load_dword v18, v[18:19], off
	s_waitcnt vmcnt(0)
	v_sub_f32_e32 v18, s18, v18
	v_exp_f32_e32 v36, v18
.LBB274_68:
	s_or_b64 exec, exec, s[6:7]
	s_add_u32 s6, s8, s28
	v_accvgpr_read_b32 v21, a7
	s_addc_u32 s7, s9, s29
	v_ashrrev_i32_e32 v61, 31, v60
	v_accvgpr_read_b32 v20, a6
	v_accvgpr_read_b32 v19, a5
	;; [unrolled: 1-line block ×3, first 2 shown]
	v_lshl_add_u64 v[22:23], v[60:61], 1, s[6:7]
	v_mov_b32_e32 v29, 0
	v_lshlrev_b32_e32 v24, 8, v32
	v_mov_b32_e32 v25, 0
	s_and_saveexec_b64 s[6:7], vcc
	s_cbranch_execz .LBB274_70
; %bb.69:
	v_mov_b32_e32 v25, 0
	v_lshl_add_u64 v[30:31], v[22:23], 0, v[24:25]
	global_load_ushort v25, v[30:31], off
	s_waitcnt vmcnt(0)
	v_lshlrev_b32_e32 v25, 16, v25
	v_sub_f32_e32 v18, v25, v18
	v_mul_f32_e32 v18, v37, v18
	v_lshrrev_b32_e32 v25, 16, v18
.LBB274_70:
	s_or_b64 exec, exec, s[6:7]
	v_lshlrev_b32_e32 v28, 8, v26
	s_and_saveexec_b64 s[6:7], s[0:1]
	s_cbranch_execz .LBB274_72
; %bb.71:
	v_mov_b32_e32 v29, 0
	v_lshl_add_u64 v[30:31], v[22:23], 0, v[28:29]
	global_load_ushort v18, v[30:31], off
	s_waitcnt vmcnt(0)
	v_lshlrev_b32_e32 v18, 16, v18
	v_sub_f32_e32 v18, v18, v19
	v_mul_f32_e32 v18, v33, v18
	v_lshrrev_b32_e32 v29, 16, v18
.LBB274_72:
	s_or_b64 exec, exec, s[6:7]
	v_mov_b32_e32 v44, 0
	v_lshlrev_b32_e32 v30, 8, v27
	v_mov_b32_e32 v31, 0
	s_and_saveexec_b64 s[6:7], s[2:3]
	s_cbranch_execz .LBB274_74
; %bb.73:
	v_mov_b32_e32 v31, 0
	v_lshl_add_u64 v[18:19], v[22:23], 0, v[30:31]
	global_load_ushort v18, v[18:19], off
	s_waitcnt vmcnt(0)
	v_lshlrev_b32_e32 v18, 16, v18
	v_sub_f32_e32 v18, v18, v20
	v_mul_f32_e32 v18, v42, v18
	v_lshrrev_b32_e32 v31, 16, v18
.LBB274_74:
	s_or_b64 exec, exec, s[6:7]
	v_lshlrev_b32_e32 v26, 8, v43
	s_and_saveexec_b64 s[6:7], s[4:5]
	s_cbranch_execz .LBB274_76
; %bb.75:
	v_mov_b32_e32 v27, 0
	v_lshl_add_u64 v[18:19], v[22:23], 0, v[26:27]
	global_load_ushort v18, v[18:19], off
	s_waitcnt vmcnt(0)
	v_lshlrev_b32_e32 v18, 16, v18
	v_sub_f32_e32 v18, v18, v21
	v_mul_f32_e32 v18, v36, v18
	v_lshrrev_b32_e32 v44, 16, v18
.LBB274_76:
	s_or_b64 exec, exec, s[6:7]
	v_lshlrev_b32_e32 v43, 5, v32
	s_mov_b32 s6, 0x5040100
	v_perm_b32 v45, v44, v31, s6
	v_perm_b32 v44, v29, v25, s6
	v_or_b32_e32 v25, v43, v38
	v_accvgpr_read_b32 v21, a3
	v_lshlrev_b32_e32 v25, 1, v25
	v_accvgpr_read_b32 v20, a2
	v_accvgpr_read_b32 v19, a1
	;; [unrolled: 1-line block ×3, first 2 shown]
	ds_write_b64 v25, v[44:45] offset:45056
	v_mov_b32_e32 v29, 0
	v_mov_b32_e32 v25, 0
	s_and_saveexec_b64 s[6:7], vcc
	s_cbranch_execz .LBB274_78
; %bb.77:
	v_mov_b32_e32 v25, 0
	v_lshl_add_u64 v[24:25], v[22:23], 0, v[24:25]
	global_load_ushort v24, v[24:25], off offset:32
	s_waitcnt vmcnt(0)
	v_lshlrev_b32_e32 v24, 16, v24
	v_sub_f32_e32 v18, v24, v18
	v_mul_f32_e32 v18, v37, v18
	v_lshrrev_b32_e32 v25, 16, v18
.LBB274_78:
	s_or_b64 exec, exec, s[6:7]
	s_and_saveexec_b64 s[6:7], s[0:1]
	s_cbranch_execz .LBB274_80
; %bb.79:
	v_mov_b32_e32 v29, 0
	v_lshl_add_u64 v[28:29], v[22:23], 0, v[28:29]
	global_load_ushort v18, v[28:29], off offset:32
	s_waitcnt vmcnt(0)
	v_lshlrev_b32_e32 v18, 16, v18
	v_sub_f32_e32 v18, v18, v19
	v_mul_f32_e32 v18, v33, v18
	v_lshrrev_b32_e32 v29, 16, v18
.LBB274_80:
	s_or_b64 exec, exec, s[6:7]
	v_mov_b32_e32 v24, 0
	v_mov_b32_e32 v28, 0
	s_and_saveexec_b64 s[0:1], s[2:3]
	s_cbranch_execz .LBB274_82
; %bb.81:
	v_mov_b32_e32 v31, 0
	v_lshl_add_u64 v[18:19], v[22:23], 0, v[30:31]
	global_load_ushort v18, v[18:19], off offset:32
	s_waitcnt vmcnt(0)
	v_lshlrev_b32_e32 v18, 16, v18
	v_sub_f32_e32 v18, v18, v20
	v_mul_f32_e32 v18, v42, v18
	v_lshrrev_b32_e32 v28, 16, v18
.LBB274_82:
	s_or_b64 exec, exec, s[0:1]
	v_or_b32_e32 v19, 0xb000, v40
	v_or_b32_e32 v18, 0xb000, v41
	s_and_saveexec_b64 s[0:1], s[4:5]
	s_cbranch_execz .LBB274_84
; %bb.83:
	v_mov_b32_e32 v27, 0
	v_lshl_add_u64 v[22:23], v[22:23], 0, v[26:27]
	global_load_ushort v20, v[22:23], off offset:32
	s_waitcnt vmcnt(0)
	v_lshlrev_b32_e32 v20, 16, v20
	v_sub_f32_e32 v20, v20, v21
	v_mul_f32_e32 v20, v36, v20
	v_lshrrev_b32_e32 v24, 16, v20
.LBB274_84:
	s_or_b64 exec, exec, s[0:1]
	s_mov_b32 s0, 0x5040100
	v_or_b32_e32 v22, v43, v35
	v_perm_b32 v21, v24, v28, s0
	v_perm_b32 v20, v29, v25, s0
	v_lshlrev_b32_e32 v22, 1, v22
	s_movk_i32 s2, 0x100
	ds_write_b64 v22, v[20:21] offset:45056
	v_and_b32_e32 v20, 7, v0
	v_and_b32_e32 v21, 8, v0
	v_cmp_gt_u32_e32 vcc, s2, v0
	v_lshrrev_b32_e32 v0, 1, v0
	v_lshlrev_b32_e32 v26, 3, v20
	v_lshlrev_b32_e32 v47, 7, v20
	v_mov_b32_e32 v20, 0x4000
	v_mov_b32_e32 v22, 0x2000
	v_lshlrev_b32_e32 v24, 3, v1
	v_and_b32_e32 v0, 24, v0
	v_cndmask_b32_e32 v27, v20, v22, vcc
	v_xor_b32_e32 v20, v24, v0
	v_or_b32_e32 v22, 0x440, v20
	v_cmp_eq_u32_e32 vcc, 0, v21
	v_or_b32_e32 v28, 32, v0
	v_xor_b32_e32 v28, v24, v28
	v_cndmask_b32_e32 v20, v22, v20, vcc
	v_or_b32_e32 v20, v20, v39
	v_xor_b32_e32 v48, v20, v26
	v_or_b32_e32 v29, 0x440, v28
	v_add3_u32 v25, v27, v48, v47
	v_cndmask_b32_e32 v28, v29, v28, vcc
	v_or_b32_e32 v29, 64, v0
	v_or_b32_e32 v0, 0x60, v0
	s_waitcnt lgkmcnt(0)
	s_barrier
	v_xor_b32_e32 v29, v24, v29
	v_xor_b32_e32 v0, v24, v0
	ds_read_b64 v[24:25], v25
	v_xor_b32_e32 v30, 0x440, v29
	v_cndmask_b32_e32 v29, v30, v29, vcc
	v_xor_b32_e32 v30, 0x440, v0
	ds_read2_b64 v[20:23], v19 offset1:16
	v_cndmask_b32_e32 v0, v30, v0, vcc
	v_or_b32_e32 v28, v28, v39
	v_or_b32_e32 v29, v29, v39
	v_or_b32_e32 v0, v0, v39
	v_xor_b32_e32 v49, v28, v26
	v_xor_b32_e32 v50, v29, v26
	;; [unrolled: 1-line block ×3, first 2 shown]
	v_add3_u32 v28, v27, v49, v47
	v_add3_u32 v29, v27, v50, v47
	;; [unrolled: 1-line block ×3, first 2 shown]
	s_mul_i32 s0, s16, s17
	ds_read_b64 v[26:27], v28
	ds_read_b64 v[40:41], v29
	;; [unrolled: 1-line block ×3, first 2 shown]
	ds_read2st64_b64 v[28:31], v19 offset0:2 offset1:4
	s_mul_hi_i32 s1, s16, s17
	ds_read2st64_b64 v[36:39], v18 offset0:2 offset1:4
	s_add_u32 s0, s0, s33
	s_waitcnt lgkmcnt(5)
	v_mfma_f32_16x16x16_bf16 a[0:3], v[24:25], v[20:21], 0
	s_addc_u32 s1, s1, s46
	s_lshl_b64 s[0:1], s[0:1], 9
	s_add_u32 s0, s20, s0
	v_mfma_f32_16x16x16_bf16 a[4:7], v[24:25], v[22:23], 0
	s_addc_u32 s1, s21, s1
	v_lshlrev_b32_e32 v24, 2, v32
	v_lshlrev_b32_e32 v1, 6, v1
	s_waitcnt lgkmcnt(1)
	v_mfma_f32_16x16x16_bf16 a[0:3], v[26:27], v[28:29], a[0:3]
	v_add_u32_e32 v48, v48, v47
	v_exp_f32_e32 v46, s18
	v_add_u32_e32 v0, v0, v47
	s_waitcnt lgkmcnt(0)
	v_mfma_f32_16x16x16_bf16 a[4:7], v[26:27], v[36:37], a[4:7]
	global_load_dwordx4 v[24:27], v24, s[0:1]
	s_waitcnt vmcnt(0)
	v_exp_f32_e32 v26, v26
	v_mfma_f32_16x16x16_bf16 a[0:3], v[40:41], v[30:31], a[0:3]
	v_exp_f32_e32 v27, v27
	v_mfma_f32_16x16x16_bf16 a[4:7], v[40:41], v[38:39], a[4:7]
	ds_read_b64 v[40:41], v19 offset:3072
	ds_read_b64 v[44:45], v18 offset:3072
	v_lshlrev_b32_e32 v18, 2, v34
	v_or3_b32 v1, v1, v18, s2
	global_load_dwordx4 v[32:35], v1, s[0:1]
	v_exp_f32_e32 v18, v24
	v_exp_f32_e32 v19, v25
	ds_read_b64 v[24:25], v48 offset:16384
	s_waitcnt lgkmcnt(2)
	v_mfma_f32_16x16x16_bf16 a[0:3], v[42:43], v[40:41], a[0:3]
	v_add_u32_e32 v48, v50, v47
	v_pk_mul_f32 v[52:53], v[46:47], v[18:19] op_sel_hi:[0,1]
	s_waitcnt lgkmcnt(1)
	v_mfma_f32_16x16x16_bf16 a[4:7], v[42:43], v[44:45], a[4:7]
	v_add_u32_e32 v42, v49, v47
	ds_read_b64 v[42:43], v42 offset:16384
	ds_read_b64 v[48:49], v48 offset:16384
	;; [unrolled: 1-line block ×3, first 2 shown]
	v_accvgpr_read_b32 v19, a1
	s_waitcnt lgkmcnt(3)
	v_mfma_f32_16x16x16_bf16 a[8:11], v[24:25], v[20:21], 0
	v_accvgpr_read_b32 v1, a3
	v_accvgpr_read_b32 v0, a2
	;; [unrolled: 1-line block ×3, first 2 shown]
	v_mfma_f32_16x16x16_bf16 a[0:3], v[24:25], v[22:23], 0
	v_pk_fma_f32 v[18:19], v[2:3], v[52:53], v[18:19]
	v_pk_mul_f32 v[2:3], v[46:47], v[26:27] op_sel_hi:[0,1]
	v_pk_fma_f32 v[20:21], v[4:5], v[2:3], v[0:1]
	s_waitcnt lgkmcnt(2)
	v_mfma_f32_16x16x16_bf16 a[8:11], v[42:43], v[28:29], a[8:11]
	v_accvgpr_read_b32 v0, a4
	v_fma_f32 v26, v10, v52, v0
	v_accvgpr_read_b32 v0, a5
	v_mfma_f32_16x16x16_bf16 a[0:3], v[42:43], v[36:37], a[0:3]
	v_fma_f32 v27, v11, v53, v0
	v_accvgpr_read_b32 v0, a6
	v_fma_f32 v28, v12, v2, v0
	s_waitcnt lgkmcnt(1)
	v_mfma_f32_16x16x16_bf16 a[8:11], v[48:49], v[30:31], a[8:11]
	v_accvgpr_read_b32 v29, a7
	v_fmac_f32_e32 v29, v13, v3
	s_waitcnt vmcnt(0)
	v_mov_b32_e32 v0, v33
	v_mfma_f32_16x16x16_bf16 a[0:3], v[48:49], v[38:39], a[0:3]
	v_mov_b32_e32 v1, v34
	v_mov_b32_e32 v2, v35
	v_exp_f32_e32 v5, v0
	v_exp_f32_e32 v0, v1
	s_waitcnt lgkmcnt(0)
	v_mfma_f32_16x16x16_bf16 a[4:7], v[50:51], v[40:41], a[8:11]
	v_exp_f32_e32 v1, v2
	v_exp_f32_e32 v4, v32
	v_pk_mul_f32 v[0:1], v[46:47], v[0:1] op_sel_hi:[0,1]
	v_mfma_f32_16x16x16_bf16 a[0:3], v[50:51], v[44:45], a[0:3]
	v_pk_mul_f32 v[4:5], v[46:47], v[4:5] op_sel_hi:[0,1]
	s_nop 1
	v_accvgpr_read_b32 v3, a7
	v_accvgpr_read_b32 v2, a6
	v_pk_fma_f32 v[24:25], v[8:9], v[0:1], v[2:3]
	v_accvgpr_read_b32 v11, a5
	v_accvgpr_read_b32 v10, a4
	v_pk_fma_f32 v[22:23], v[6:7], v[4:5], v[10:11]
	v_accvgpr_read_b32 v2, a0
	v_fma_f32 v30, v14, v4, v2
	v_accvgpr_read_b32 v2, a1
	v_fma_f32 v31, v15, v5, v2
	v_accvgpr_read_b32 v2, a2
	v_accvgpr_read_b32 v33, a3
	v_fma_f32 v32, v16, v0, v2
	v_fmac_f32_e32 v33, v17, v1
	v_mov_b64_e32 v[2:3], v[18:19]
	v_mov_b64_e32 v[4:5], v[20:21]
	;; [unrolled: 1-line block ×8, first 2 shown]
.LBB274_85:
	s_add_u32 s0, s12, s14
	s_addc_u32 s1, s13, s15
	v_lshl_add_u64 v[0:1], v[56:57], 1, s[0:1]
	v_mov_b32_e32 v55, 0
	s_mov_b32 s2, 0x7060302
	v_lshl_add_u64 v[0:1], v[0:1], 0, v[54:55]
	v_perm_b32 v5, v5, v4, s2
	v_perm_b32 v4, v3, v2, s2
	;; [unrolled: 1-line block ×4, first 2 shown]
	global_store_dwordx2 v[0:1], v[4:5], off
	global_store_dwordx2 v[0:1], v[2:3], off offset:128
	v_lshl_add_u64 v[0:1], v[58:59], 1, s[0:1]
	v_lshl_add_u64 v[0:1], v[0:1], 0, v[54:55]
	v_perm_b32 v3, v13, v12, s2
	v_perm_b32 v2, v11, v10, s2
	global_store_dwordx2 v[0:1], v[2:3], off
	v_perm_b32 v3, v17, v16, s2
	v_perm_b32 v2, v15, v14, s2
	global_store_dwordx2 v[0:1], v[2:3], off offset:128
	s_endpgm
	.section	.rodata,"a",@progbits
	.p2align	6, 0x0
	.amdhsa_kernel _ZN12_GLOBAL__N_139chunk_gated_delta_rule_fwd_h_hip_kernelILi32ELb1ELb1ELb0ELb1ELb1ELb1ELb0ELb1EEEvPK12hip_bfloat16S3_S3_PKfS5_PKvPS1_S8_PvPKiSB_iiiiilll
		.amdhsa_group_segment_fixed_size 49152
		.amdhsa_private_segment_fixed_size 0
		.amdhsa_kernarg_size 136
		.amdhsa_user_sgpr_count 2
		.amdhsa_user_sgpr_dispatch_ptr 0
		.amdhsa_user_sgpr_queue_ptr 0
		.amdhsa_user_sgpr_kernarg_segment_ptr 1
		.amdhsa_user_sgpr_dispatch_id 0
		.amdhsa_user_sgpr_kernarg_preload_length 0
		.amdhsa_user_sgpr_kernarg_preload_offset 0
		.amdhsa_user_sgpr_private_segment_size 0
		.amdhsa_uses_dynamic_stack 0
		.amdhsa_enable_private_segment 0
		.amdhsa_system_sgpr_workgroup_id_x 1
		.amdhsa_system_sgpr_workgroup_id_y 1
		.amdhsa_system_sgpr_workgroup_id_z 0
		.amdhsa_system_sgpr_workgroup_info 0
		.amdhsa_system_vgpr_workitem_id 0
		.amdhsa_next_free_vgpr 164
		.amdhsa_next_free_sgpr 66
		.amdhsa_accum_offset 144
		.amdhsa_reserve_vcc 1
		.amdhsa_float_round_mode_32 0
		.amdhsa_float_round_mode_16_64 0
		.amdhsa_float_denorm_mode_32 3
		.amdhsa_float_denorm_mode_16_64 3
		.amdhsa_dx10_clamp 1
		.amdhsa_ieee_mode 1
		.amdhsa_fp16_overflow 0
		.amdhsa_tg_split 0
		.amdhsa_exception_fp_ieee_invalid_op 0
		.amdhsa_exception_fp_denorm_src 0
		.amdhsa_exception_fp_ieee_div_zero 0
		.amdhsa_exception_fp_ieee_overflow 0
		.amdhsa_exception_fp_ieee_underflow 0
		.amdhsa_exception_fp_ieee_inexact 0
		.amdhsa_exception_int_div_zero 0
	.end_amdhsa_kernel
	.section	.text._ZN12_GLOBAL__N_139chunk_gated_delta_rule_fwd_h_hip_kernelILi32ELb1ELb1ELb0ELb1ELb1ELb1ELb0ELb1EEEvPK12hip_bfloat16S3_S3_PKfS5_PKvPS1_S8_PvPKiSB_iiiiilll,"axG",@progbits,_ZN12_GLOBAL__N_139chunk_gated_delta_rule_fwd_h_hip_kernelILi32ELb1ELb1ELb0ELb1ELb1ELb1ELb0ELb1EEEvPK12hip_bfloat16S3_S3_PKfS5_PKvPS1_S8_PvPKiSB_iiiiilll,comdat
.Lfunc_end274:
	.size	_ZN12_GLOBAL__N_139chunk_gated_delta_rule_fwd_h_hip_kernelILi32ELb1ELb1ELb0ELb1ELb1ELb1ELb0ELb1EEEvPK12hip_bfloat16S3_S3_PKfS5_PKvPS1_S8_PvPKiSB_iiiiilll, .Lfunc_end274-_ZN12_GLOBAL__N_139chunk_gated_delta_rule_fwd_h_hip_kernelILi32ELb1ELb1ELb0ELb1ELb1ELb1ELb0ELb1EEEvPK12hip_bfloat16S3_S3_PKfS5_PKvPS1_S8_PvPKiSB_iiiiilll
                                        ; -- End function
	.section	.AMDGPU.csdata,"",@progbits
; Kernel info:
; codeLenInByte = 9644
; NumSgprs: 72
; NumVgprs: 144
; NumAgprs: 20
; TotalNumVgprs: 164
; ScratchSize: 0
; MemoryBound: 0
; FloatMode: 240
; IeeeMode: 1
; LDSByteSize: 49152 bytes/workgroup (compile time only)
; SGPRBlocks: 8
; VGPRBlocks: 20
; NumSGPRsForWavesPerEU: 72
; NumVGPRsForWavesPerEU: 164
; AccumOffset: 144
; Occupancy: 1
; WaveLimiterHint : 1
; COMPUTE_PGM_RSRC2:SCRATCH_EN: 0
; COMPUTE_PGM_RSRC2:USER_SGPR: 2
; COMPUTE_PGM_RSRC2:TRAP_HANDLER: 0
; COMPUTE_PGM_RSRC2:TGID_X_EN: 1
; COMPUTE_PGM_RSRC2:TGID_Y_EN: 1
; COMPUTE_PGM_RSRC2:TGID_Z_EN: 0
; COMPUTE_PGM_RSRC2:TIDIG_COMP_CNT: 0
; COMPUTE_PGM_RSRC3_GFX90A:ACCUM_OFFSET: 35
; COMPUTE_PGM_RSRC3_GFX90A:TG_SPLIT: 0
	.section	.text._ZN12_GLOBAL__N_139chunk_gated_delta_rule_fwd_h_hip_kernelILi32ELb1ELb0ELb1ELb1ELb1ELb1ELb0ELb1EEEvPK12hip_bfloat16S3_S3_PKfS5_PKvPS1_S8_PvPKiSB_iiiiilll,"axG",@progbits,_ZN12_GLOBAL__N_139chunk_gated_delta_rule_fwd_h_hip_kernelILi32ELb1ELb0ELb1ELb1ELb1ELb1ELb0ELb1EEEvPK12hip_bfloat16S3_S3_PKfS5_PKvPS1_S8_PvPKiSB_iiiiilll,comdat
	.globl	_ZN12_GLOBAL__N_139chunk_gated_delta_rule_fwd_h_hip_kernelILi32ELb1ELb0ELb1ELb1ELb1ELb1ELb0ELb1EEEvPK12hip_bfloat16S3_S3_PKfS5_PKvPS1_S8_PvPKiSB_iiiiilll ; -- Begin function _ZN12_GLOBAL__N_139chunk_gated_delta_rule_fwd_h_hip_kernelILi32ELb1ELb0ELb1ELb1ELb1ELb1ELb0ELb1EEEvPK12hip_bfloat16S3_S3_PKfS5_PKvPS1_S8_PvPKiSB_iiiiilll
	.p2align	8
	.type	_ZN12_GLOBAL__N_139chunk_gated_delta_rule_fwd_h_hip_kernelILi32ELb1ELb0ELb1ELb1ELb1ELb1ELb0ELb1EEEvPK12hip_bfloat16S3_S3_PKfS5_PKvPS1_S8_PvPKiSB_iiiiilll,@function
_ZN12_GLOBAL__N_139chunk_gated_delta_rule_fwd_h_hip_kernelILi32ELb1ELb0ELb1ELb1ELb1ELb1ELb0ELb1EEEvPK12hip_bfloat16S3_S3_PKfS5_PKvPS1_S8_PvPKiSB_iiiiilll: ; @_ZN12_GLOBAL__N_139chunk_gated_delta_rule_fwd_h_hip_kernelILi32ELb1ELb0ELb1ELb1ELb1ELb1ELb0ELb1EEEvPK12hip_bfloat16S3_S3_PKfS5_PKvPS1_S8_PvPKiSB_iiiiilll
; %bb.0:
	s_load_dwordx4 s[12:15], s[0:1], 0x5c
	s_load_dwordx4 s[4:7], s[0:1], 0x48
	s_abs_i32 s9, s3
	s_ashr_i32 s8, s3, 31
	v_and_b32_e32 v66, 15, v0
	s_waitcnt lgkmcnt(0)
	s_abs_i32 s10, s13
	v_cvt_f32_u32_e32 v1, s10
	s_sub_i32 s16, 0, s10
	s_ashr_i32 s11, s13, 31
	s_xor_b32 s8, s8, s11
	v_rcp_iflag_f32_e32 v1, v1
	v_lshrrev_b32_e32 v64, 6, v0
	v_bfe_u32 v65, v0, 4, 2
	v_mov_b32_e32 v7, 0
	v_mul_f32_e32 v1, 0x4f7ffffe, v1
	v_cvt_u32_f32_e32 v1, v1
	v_and_b32_e32 v45, 63, v0
	v_lshlrev_b32_e32 v67, 3, v0
	v_lshrrev_b32_e32 v68, 3, v45
	v_readfirstlane_b32 s17, v1
	s_mul_i32 s16, s16, s17
	s_mul_hi_u32 s16, s17, s16
	s_add_i32 s17, s17, s16
	s_mul_hi_u32 s16, s9, s17
	s_mul_i32 s17, s16, s10
	s_sub_i32 s9, s9, s17
	s_add_i32 s18, s16, 1
	s_sub_i32 s17, s9, s10
	s_cmp_ge_u32 s9, s10
	s_cselect_b32 s16, s18, s16
	s_cselect_b32 s9, s17, s9
	s_add_i32 s17, s16, 1
	s_cmp_ge_u32 s9, s10
	s_cselect_b32 s9, s17, s16
	s_xor_b32 s9, s9, s8
	s_sub_i32 s20, s9, s8
	s_mul_i32 s24, s20, s13
	s_ashr_i32 s21, s20, 31
	s_sub_i32 s49, s3, s24
	s_lshl_b64 s[8:9], s[20:21], 2
	s_add_u32 s4, s4, s8
	s_addc_u32 s5, s5, s9
	s_add_u32 s22, s6, s8
	s_addc_u32 s23, s7, s9
	s_abs_i32 s3, s14
	v_cvt_f32_u32_e32 v1, s3
	s_load_dwordx2 s[34:35], s[4:5], 0x0
	s_lshl_b32 s40, s2, 5
	s_ashr_i32 s2, s14, 31
	v_rcp_iflag_f32_e32 v1, v1
	s_xor_b32 s2, s11, s2
	s_waitcnt lgkmcnt(0)
	s_sub_i32 s52, s35, s34
	s_ashr_i32 s4, s52, 31
	v_mul_f32_e32 v1, 0x4f7ffffe, v1
	v_cvt_u32_f32_e32 v1, v1
	s_lshr_b32 s4, s4, 26
	s_add_i32 s4, s52, s4
	s_ashr_i32 s50, s4, 6
	s_sub_i32 s4, 0, s3
	v_readfirstlane_b32 s5, v1
	s_mul_i32 s4, s4, s5
	s_mul_hi_u32 s4, s5, s4
	s_add_i32 s5, s5, s4
	s_mul_hi_u32 s4, s10, s5
	s_mul_i32 s5, s4, s3
	s_sub_i32 s5, s10, s5
	s_add_i32 s6, s4, 1
	s_sub_i32 s7, s5, s3
	s_cmp_ge_u32 s5, s3
	s_cselect_b32 s4, s6, s4
	s_cselect_b32 s5, s7, s5
	s_add_i32 s6, s4, 1
	s_cmp_ge_u32 s5, s3
	s_cselect_b32 s3, s6, s4
	s_xor_b32 s3, s3, s2
	s_sub_i32 s2, s3, s2
	s_abs_i32 s3, s2
	v_cvt_f32_u32_e32 v1, s3
	s_sub_i32 s5, 0, s3
	s_abs_i32 s4, s49
	s_xor_b32 s2, s49, s2
	v_rcp_iflag_f32_e32 v1, v1
	s_ashr_i32 s2, s2, 31
	s_load_dwordx4 s[16:19], s[0:1], 0x28
	s_load_dwordx2 s[28:29], s[0:1], 0x38
	v_or_b32_e32 v46, s40, v66
	v_mul_f32_e32 v1, 0x4f7ffffe, v1
	v_cvt_u32_f32_e32 v1, v1
	v_lshlrev_b32_e32 v2, 7, v46
	v_ashrrev_i32_e32 v3, 31, v2
	s_mul_hi_i32 s54, s49, s12
	v_readfirstlane_b32 s6, v1
	s_mul_i32 s5, s5, s6
	s_mul_hi_u32 s5, s6, s5
	s_add_i32 s6, s6, s5
	s_mul_hi_u32 s5, s4, s6
	s_mul_i32 s6, s5, s3
	s_sub_i32 s4, s4, s6
	s_add_i32 s6, s5, 1
	s_sub_i32 s7, s4, s3
	s_cmp_ge_u32 s4, s3
	s_cselect_b32 s5, s6, s5
	s_cselect_b32 s4, s7, s4
	s_add_i32 s6, s5, 1
	s_cmp_ge_u32 s4, s3
	s_cselect_b32 s3, s6, s5
	s_xor_b32 s3, s3, s2
	s_sub_i32 s53, s3, s2
	s_ashr_i32 s51, s49, 31
	s_mul_hi_i32 s3, s20, s13
	s_add_u32 s2, s24, s49
	s_addc_u32 s3, s3, s51
	s_lshl_b64 s[2:3], s[2:3], 15
	s_waitcnt lgkmcnt(0)
	s_add_u32 s2, s16, s2
	s_addc_u32 s3, s17, s3
	v_lshlrev_b32_e32 v1, 4, v64
	v_lshl_add_u64 v[4:5], v[2:3], 1, s[2:3]
	v_or_b32_e32 v2, 0x800, v2
	v_lshl_or_b32 v69, v65, 2, v1
	v_ashrrev_i32_e32 v3, 31, v2
	v_lshlrev_b32_e32 v6, 1, v69
	v_lshl_add_u64 v[2:3], v[2:3], 1, s[2:3]
	v_lshl_add_u64 v[4:5], v[4:5], 0, v[6:7]
	;; [unrolled: 1-line block ×3, first 2 shown]
	global_load_dwordx2 v[8:9], v[4:5], off
	v_or_b32_e32 v70, 64, v69
	global_load_dwordx2 v[4:5], v[4:5], off offset:128
	s_nop 0
	global_load_dwordx2 v[6:7], v[2:3], off
	global_load_dwordx2 v[10:11], v[2:3], off offset:128
	s_load_dwordx8 s[4:11], s[0:1], 0x0
	s_load_dwordx2 s[30:31], s[0:1], 0x80
	s_load_dwordx4 s[24:27], s[0:1], 0x70
	s_load_dword s56, s[22:23], 0x0
	s_mul_i32 s55, s49, s12
	s_cmp_lt_i32 s52, 64
	s_waitcnt lgkmcnt(0)
	s_mul_i32 s33, s20, s25
	s_mul_hi_u32 s44, s20, s24
	s_mul_i32 s36, s20, s24
	s_mul_i32 s45, s21, s24
	;; [unrolled: 1-line block ×3, first 2 shown]
	s_mul_hi_u32 s47, s49, s26
	s_mul_i32 s48, s51, s26
	s_mul_i32 s38, s49, s26
	s_waitcnt vmcnt(3)
	v_and_b32_e32 v51, 0xffff0000, v8
	v_lshlrev_b32_e32 v50, 16, v8
	v_and_b32_e32 v55, 0xffff0000, v9
	v_lshlrev_b32_e32 v54, 16, v9
	s_waitcnt vmcnt(2)
	v_and_b32_e32 v49, 0xffff0000, v4
	v_lshlrev_b32_e32 v48, 16, v4
	v_and_b32_e32 v53, 0xffff0000, v5
	v_lshlrev_b32_e32 v52, 16, v5
	;; [unrolled: 5-line block ×4, first 2 shown]
	s_cbranch_scc1 .LBB275_3
; %bb.1:
	s_ashr_i32 s3, s34, 31
	s_add_u32 s2, s55, s34
	s_addc_u32 s3, s54, s3
	s_lshl_b64 s[2:3], s[2:3], 8
	v_and_b32_e32 v78, 56, v67
	s_add_u32 s20, s6, s2
	v_lshl_or_b32 v77, v64, 3, v68
	v_lshlrev_b32_e32 v2, 1, v78
	s_addc_u32 s2, s7, s3
	v_lshl_or_b32 v80, v77, 8, v2
	s_and_b32 s21, s2, 0xffff
	s_mov_b32 s23, 0x20000
	s_movk_i32 s22, 0x4000
	s_movk_i32 s2, 0x80
	v_or_b32_e32 v81, 0x2000, v80
	buffer_load_dwordx4 v[4:7], v80, s[20:23], 0 offen
	buffer_load_dwordx4 v[8:11], v80, s[20:23], s2 offen
	;; [unrolled: 1-line block ×4, first 2 shown]
	v_lshlrev_b32_e32 v3, 3, v77
	v_and_or_b32 v21, v0, 7, v3
	v_and_b32_e32 v3, 0x78, v3
	v_lshlrev_b32_e32 v21, 4, v21
	v_xor_b32_e32 v83, v21, v3
	v_mul_lo_u32 v20, v77, s15
	v_or_b32_e32 v84, 0x1000, v83
	v_xor_b32_e32 v3, 8, v83
	s_cmpk_eq_i32 s15, 0x80
	s_mov_b32 s57, s34
	v_xor_b32_e32 v21, 8, v84
	s_cselect_b64 s[2:3], -1, 0
	s_cmpk_lg_i32 s15, 0x80
	s_waitcnt vmcnt(3)
	ds_write_b64 v83, v[4:5] offset:24576
	ds_write_b64 v3, v[6:7] offset:24576
	s_waitcnt vmcnt(2)
	ds_write_b64 v83, v[8:9] offset:32768
	ds_write_b64 v3, v[10:11] offset:32768
	;; [unrolled: 3-line block ×4, first 2 shown]
	v_lshl_add_u32 v3, v20, 1, v78
	s_cbranch_scc0 .LBB275_29
; %bb.2:
	v_lshlrev_b32_e32 v5, 1, v3
	v_add_lshl_u32 v4, v3, s15, 1
	s_lshl_b32 s22, s15, 7
	s_load_dwordx2 s[16:17], s[0:1], 0x20
	v_lshl_or_b32 v2, v77, 9, v2
	s_cbranch_execz .LBB275_30
	s_branch .LBB275_31
.LBB275_3:
	v_mov_b32_e32 v5, v79
	v_mov_b32_e32 v9, v82
.LBB275_4:
	s_lshl_b32 s26, s50, 6
	s_sub_i32 s27, s52, s26
	s_cmp_gt_i32 s27, 0
	s_cbranch_scc0 .LBB275_84
; %bb.5:
	s_add_i32 s26, s26, s34
	s_ashr_i32 s2, s26, 31
	s_cmpk_lg_i32 s15, 0x80
	s_cselect_b64 s[22:23], -1, 0
	s_and_b64 vcc, exec, s[22:23]
	s_cbranch_vccz .LBB275_7
; %bb.6:
	s_mul_i32 s1, s26, s14
	s_ashr_i32 s3, s53, 31
	s_mul_hi_i32 s0, s26, s14
	s_add_u32 s24, s1, s53
	s_addc_u32 s25, s0, s3
	s_cbranch_execz .LBB275_8
	s_branch .LBB275_9
.LBB275_7:
                                        ; implicit-def: $sgpr24_sgpr25
.LBB275_8:
	s_mul_i32 s1, s53, s12
	s_mul_hi_i32 s0, s53, s12
	s_add_u32 s24, s1, s26
	s_addc_u32 s25, s0, s2
.LBB275_9:
	s_add_i32 s3, s50, s56
	s_add_u32 s0, s55, s26
	v_lshlrev_b32_e32 v8, 5, v69
	v_lshlrev_b32_e32 v22, 2, v66
	s_addc_u32 s1, s54, s2
	s_mov_b32 s2, 0x7060302
	v_or_b32_e32 v11, v8, v22
	v_xor_b32_e32 v4, v69, v22
	v_perm_b32 v3, v55, v54, s2
	v_perm_b32 v2, v51, v50, s2
	;; [unrolled: 1-line block ×4, first 2 shown]
	v_lshlrev_b32_e32 v11, 1, v11
	s_lshl_b64 s[20:21], s[0:1], 8
	v_xor_b32_e32 v10, v70, v22
	ds_write2st64_b64 v11, v[2:3], v[6:7] offset0:80 offset1:88
	v_lshlrev_b32_e32 v11, 1, v4
	v_lshlrev_b32_e32 v4, 8, v66
	s_add_u32 s0, s6, s20
	v_or_b32_e32 v12, v11, v4
	v_lshlrev_b32_e32 v10, 1, v10
	s_addc_u32 s1, s7, s21
	ds_write_b64 v12, v[2:3]
	v_or_b32_e32 v2, v10, v4
	s_mul_hi_i32 s6, s3, s13
	s_mul_i32 s3, s3, s13
	ds_write_b64 v2, v[6:7]
	v_perm_b32 v3, v9, v75, s2
	v_perm_b32 v2, v71, v73, s2
	;; [unrolled: 1-line block ×4, first 2 shown]
	v_or_b32_e32 v6, 16, v66
	s_add_u32 s2, s3, s49
	v_lshlrev_b32_e32 v19, 2, v6
	s_addc_u32 s3, s6, s51
	v_or_b32_e32 v7, v8, v19
	s_ashr_i32 s41, s40, 31
	s_lshl_b64 s[2:3], s[2:3], 15
	v_lshlrev_b32_e32 v7, 1, v7
	v_lshlrev_b32_e32 v6, 8, v6
	s_add_u32 s6, s18, s2
	ds_write2st64_b64 v7, v[2:3], v[4:5] offset0:80 offset1:88
	v_or_b32_e32 v7, v11, v6
	s_addc_u32 s7, s19, s3
	s_lshl_b64 s[2:3], s[40:41], 8
	ds_write_b64 v7, v[2:3]
	v_or_b32_e32 v2, v10, v6
	s_add_u32 s2, s6, s2
	ds_write_b64 v2, v[4:5]
	v_lshrrev_b32_e32 v2, 4, v0
	s_addc_u32 s3, s7, s3
	v_lshlrev_b32_e32 v3, 1, v66
	v_lshlrev_b32_e32 v10, 4, v66
	v_mov_b32_e32 v11, 0
	v_or_b32_e32 v4, 1, v3
	v_xor_b32_e32 v3, v2, v3
	v_lshl_add_u64 v[12:13], s[2:3], 0, v[10:11]
	v_lshlrev_b32_e32 v10, 8, v2
	v_xor_b32_e32 v6, v4, v2
	v_lshl_or_b32 v2, v3, 3, v10
	s_waitcnt lgkmcnt(0)
	s_barrier
	ds_read2st64_b64 v[2:5], v2 offset1:8
	v_lshl_or_b32 v6, v6, 3, v10
	ds_read2st64_b64 v[6:9], v6 offset1:8
	v_lshl_add_u64 v[14:15], v[12:13], 0, v[10:11]
	s_movk_i32 s2, 0x1000
	s_waitcnt lgkmcnt(1)
	v_mov_b32_e32 v10, v2
	v_add_co_u32_e32 v2, vcc, s2, v14
	s_cmp_lg_u32 s27, 64
	v_mov_b32_e32 v11, v3
	v_addc_co_u32_e32 v3, vcc, 0, v15, vcc
	s_cselect_b64 s[6:7], -1, 0
	v_lshl_or_b32 v23, v64, 3, v68
	s_waitcnt lgkmcnt(0)
	v_mov_b32_e32 v12, v6
	v_mov_b32_e32 v13, v7
	;; [unrolled: 1-line block ×4, first 2 shown]
	s_mov_b32 s16, 0
	v_or_b32_e32 v20, 32, v23
	v_and_b32_e32 v18, 56, v67
	s_and_b64 vcc, exec, s[6:7]
	global_store_dwordx4 v[14:15], v[10:13], off
	global_store_dwordx4 v[2:3], v[6:9], off
	s_cbranch_vccz .LBB275_15
; %bb.10:
	s_mov_b32 s17, s16
	s_mov_b32 s18, s16
	;; [unrolled: 1-line block ×3, first 2 shown]
	v_mov_b64_e32 v[6:7], s[16:17]
	v_mov_b64_e32 v[8:9], s[18:19]
	;; [unrolled: 1-line block ×3, first 2 shown]
	v_cmp_gt_i32_e32 vcc, s27, v23
	v_mov_b64_e32 v[4:5], v[8:9]
	s_and_saveexec_b64 s[2:3], vcc
	s_cbranch_execz .LBB275_12
; %bb.11:
	v_lshlrev_b32_e32 v2, 8, v23
	v_mov_b32_e32 v3, 0
	v_lshl_add_u64 v[4:5], s[0:1], 0, v[2:3]
	v_lshlrev_b32_e32 v2, 1, v18
	v_lshl_add_u64 v[10:11], v[4:5], 0, v[2:3]
	global_load_dwordx4 v[6:9], v[10:11], off
	global_load_dwordx4 v[2:5], v[10:11], off offset:128
.LBB275_12:
	s_or_b64 exec, exec, s[2:3]
	s_mov_b32 s17, s16
	s_mov_b32 s18, s16
	;; [unrolled: 1-line block ×3, first 2 shown]
	v_mov_b64_e32 v[14:15], s[16:17]
	v_mov_b64_e32 v[16:17], s[18:19]
	v_mov_b64_e32 v[10:11], v[14:15]
	v_cmp_gt_i32_e32 vcc, s27, v20
	v_lshlrev_b32_e32 v21, 7, v20
	v_mov_b64_e32 v[12:13], v[16:17]
	s_and_saveexec_b64 s[2:3], vcc
	s_cbranch_execz .LBB275_14
; %bb.13:
	v_lshlrev_b32_e32 v10, 1, v21
	v_mov_b32_e32 v11, 0
	v_lshl_add_u64 v[12:13], s[0:1], 0, v[10:11]
	v_lshlrev_b32_e32 v10, 1, v18
	v_lshl_add_u64 v[24:25], v[12:13], 0, v[10:11]
	global_load_dwordx4 v[14:17], v[24:25], off
	global_load_dwordx4 v[10:13], v[24:25], off offset:128
.LBB275_14:
	s_or_b64 exec, exec, s[2:3]
	v_lshrrev_b32_e32 v24, 3, v18
	v_lshlrev_b32_e32 v25, 3, v23
	v_or_b32_e32 v24, v25, v24
	v_lshlrev_b32_e32 v24, 4, v24
	v_and_b32_e32 v25, 0x78, v25
	v_xor_b32_e32 v24, v24, v25
	s_branch .LBB275_17
.LBB275_15:
                                        ; implicit-def: $vgpr24
                                        ; implicit-def: $vgpr21
                                        ; implicit-def: $vgpr6_vgpr7_vgpr8_vgpr9
                                        ; implicit-def: $vgpr2_vgpr3_vgpr4_vgpr5
                                        ; implicit-def: $vgpr14_vgpr15_vgpr16_vgpr17
                                        ; implicit-def: $vgpr10_vgpr11_vgpr12_vgpr13
	s_cbranch_execz .LBB275_17
; %bb.16:
	s_waitcnt vmcnt(0)
	v_lshlrev_b32_e32 v2, 1, v18
	v_lshl_or_b32 v21, v23, 8, v2
	s_and_b32 s1, s1, 0xffff
	s_mov_b32 s3, 0x20000
	s_movk_i32 s2, 0x4000
	v_lshl_or_b32 v24, v20, 8, v2
	s_movk_i32 s12, 0x80
	buffer_load_dwordx4 v[6:9], v21, s[0:3], 0 offen
	buffer_load_dwordx4 v[2:5], v21, s[0:3], s12 offen
	;; [unrolled: 1-line block ×4, first 2 shown]
	v_lshrrev_b32_e32 v21, 3, v18
	v_lshlrev_b32_e32 v24, 3, v23
	v_or_b32_e32 v21, v24, v21
	v_lshlrev_b32_e32 v21, 4, v21
	v_and_b32_e32 v24, 0x78, v24
	v_xor_b32_e32 v24, v21, v24
	v_lshlrev_b32_e32 v21, 7, v20
.LBB275_17:
	s_lshl_b64 s[0:1], s[24:25], 8
	s_add_u32 s4, s4, s0
	s_movk_i32 s0, 0x1000
	v_and_or_b32 v20, v21, s0, v24
	s_waitcnt vmcnt(1)
	ds_write_b64 v24, v[6:7] offset:24576
	v_xor_b32_e32 v6, 8, v24
	ds_write_b64 v6, v[8:9] offset:24576
	s_waitcnt vmcnt(0)
	ds_write_b64 v24, v[2:3] offset:32768
	ds_write_b64 v6, v[4:5] offset:32768
	;; [unrolled: 1-line block ×3, first 2 shown]
	v_xor_b32_e32 v2, 8, v20
	ds_write_b64 v2, v[16:17] offset:24576
	ds_write_b64 v20, v[10:11] offset:32768
	;; [unrolled: 1-line block ×3, first 2 shown]
	v_or_b32_e32 v2, v1, v66
	v_lshlrev_b32_e32 v3, 11, v64
	v_lshlrev_b32_e32 v2, 3, v2
	v_and_b32_e32 v6, 0x1000, v3
	v_lshrrev_b32_e32 v3, 5, v45
	s_movk_i32 s3, 0xf8
	v_and_or_b32 v3, v2, s3, v3
	v_lshlrev_b32_e32 v7, 4, v3
	v_and_b32_e32 v8, 0x78, v2
	v_or_b32_e32 v10, 32, v7
	v_lshrrev_b32_e32 v3, 1, v45
	v_xor_b32_e32 v10, v10, v8
	v_xor_b32_e32 v2, v7, v8
	v_and_b32_e32 v9, 8, v3
	v_or_b32_e32 v10, v10, v6
	v_or_b32_e32 v2, v2, v6
	v_xor_b32_e32 v26, v10, v9
	v_or_b32_e32 v10, 64, v7
	v_xor_b32_e32 v25, v2, v9
	v_xor_b32_e32 v10, v10, v8
	s_waitcnt lgkmcnt(0)
	s_barrier
	v_or_b32_e32 v12, v10, v6
	ds_read_b64 v[10:11], v25 offset:24576
	v_lshl_or_b32 v20, v65, 7, v22
	v_lshlrev_b32_e32 v24, 1, v20
	v_add_u32_e32 v2, 0xa000, v24
	ds_read2_b64 v[2:5], v2 offset1:16
	v_or_b32_e32 v7, 0x60, v7
	v_xor_b32_e32 v7, v7, v8
	s_waitcnt lgkmcnt(0)
	v_mfma_f32_16x16x16_bf16 a[0:3], v[10:11], v[2:3], 0
	v_or_b32_e32 v2, 64, v20
	v_or_b32_e32 v6, v7, v6
	v_lshlrev_b32_e32 v29, 1, v2
	v_xor_b32_e32 v27, v12, v9
	v_xor_b32_e32 v28, v6, v9
	ds_read_b64 v[12:13], v26 offset:24576
	ds_read_b64 v[14:15], v27 offset:24576
	ds_read_b64 v[16:17], v28 offset:24576
	v_mfma_f32_16x16x16_bf16 a[4:7], v[10:11], v[4:5], 0
	ds_read2st64_b64 v[2:5], v29 offset0:82 offset1:84
	ds_read2st64_b64 v[6:9], v24 offset0:82 offset1:84
	s_addc_u32 s5, s5, s1
	s_add_i32 s1, s44, s33
	s_add_i32 s0, s35, -1
	s_add_i32 s37, s1, s45
	s_add_i32 s1, s47, s46
	;; [unrolled: 1-line block ×3, first 2 shown]
	s_ashr_i32 s1, s0, 31
	s_mul_i32 s2, s0, s31
	s_mul_hi_u32 s3, s0, s30
	s_add_i32 s2, s3, s2
	s_mul_i32 s1, s1, s30
	s_waitcnt lgkmcnt(1)
	v_mfma_f32_16x16x16_bf16 a[4:7], v[12:13], v[2:3], a[4:7]
	s_add_i32 s1, s2, s1
	s_lshl_b64 s[2:3], s[36:37], 2
	s_add_u32 s10, s10, s2
	s_waitcnt lgkmcnt(0)
	v_mfma_f32_16x16x16_bf16 a[0:3], v[12:13], v[6:7], a[0:3]
	s_addc_u32 s11, s11, s3
	s_lshl_b64 s[2:3], s[38:39], 2
	s_mul_i32 s0, s0, s30
	s_add_u32 s10, s10, s2
	ds_read_b64 v[2:3], v24 offset:44032
	v_mfma_f32_16x16x16_bf16 a[4:7], v[14:15], v[4:5], a[4:7]
	ds_read_b64 v[4:5], v29 offset:44032
	s_addc_u32 s11, s11, s3
	s_lshl_b64 s[0:1], s[0:1], 2
	v_mfma_f32_16x16x16_bf16 a[0:3], v[14:15], v[8:9], a[0:3]
	s_add_u32 s0, s10, s0
	s_addc_u32 s1, s11, s1
	s_load_dword s12, s[0:1], 0x0
	s_waitcnt lgkmcnt(0)
	v_mfma_f32_16x16x16_bf16 a[0:3], v[16:17], v[2:3], a[0:3]
	s_and_b64 vcc, exec, s[22:23]
	v_mfma_f32_16x16x16_bf16 a[4:7], v[16:17], v[4:5], a[4:7]
	s_cbranch_vccz .LBB275_28
; %bb.18:
	v_lshlrev_b32_e32 v20, 1, v23
	s_and_b64 vcc, exec, s[6:7]
	s_cbranch_vccz .LBB275_44
; %bb.19:
	v_cmp_gt_i32_e32 vcc, s27, v20
	v_mov_b32_e32 v6, 0
	v_mov_b32_e32 v2, 0
	;; [unrolled: 1-line block ×5, first 2 shown]
	s_and_saveexec_b64 s[0:1], vcc
	s_cbranch_execz .LBB275_21
; %bb.20:
	v_mad_i64_i32 v[2:3], s[2:3], s15, v20, 0
	v_lshl_add_u64 v[2:3], v[2:3], 1, s[4:5]
	v_lshlrev_b32_e32 v4, 1, v18
	v_mov_b32_e32 v5, 0
	v_lshl_add_u64 v[2:3], v[2:3], 0, v[4:5]
	global_load_dwordx4 v[2:5], v[2:3], off
.LBB275_21:
	s_or_b64 exec, exec, s[0:1]
	v_or_b32_e32 v21, 1, v20
	v_cmp_gt_i32_e64 s[0:1], s27, v21
	v_mov_b32_e32 v7, 0
	v_mov_b32_e32 v8, 0
	;; [unrolled: 1-line block ×3, first 2 shown]
	s_and_saveexec_b64 s[2:3], s[0:1]
	s_cbranch_execz .LBB275_23
; %bb.22:
	v_mad_i64_i32 v[6:7], s[16:17], s15, v21, 0
	v_lshl_add_u64 v[6:7], v[6:7], 1, s[4:5]
	v_lshlrev_b32_e32 v8, 1, v18
	v_mov_b32_e32 v9, 0
	v_lshl_add_u64 v[6:7], v[6:7], 0, v[8:9]
	global_load_dwordx4 v[6:9], v[6:7], off
.LBB275_23:
	s_or_b64 exec, exec, s[2:3]
	v_mov_b32_e32 v17, 0
	v_mov_b32_e32 v10, 0
	;; [unrolled: 1-line block ×5, first 2 shown]
	s_and_saveexec_b64 s[2:3], vcc
	s_cbranch_execz .LBB275_25
; %bb.24:
	v_mad_i64_i32 v[10:11], s[16:17], s15, v20, 0
	v_lshl_add_u64 v[10:11], v[10:11], 1, s[4:5]
	v_lshlrev_b32_e32 v12, 1, v18
	v_mov_b32_e32 v13, 0
	v_lshl_add_u64 v[10:11], v[10:11], 0, v[12:13]
	global_load_dwordx4 v[10:13], v[10:11], off offset:128
.LBB275_25:
	s_or_b64 exec, exec, s[2:3]
	v_mov_b32_e32 v16, 0
	v_mov_b32_e32 v15, 0
	;; [unrolled: 1-line block ×3, first 2 shown]
	s_and_saveexec_b64 s[2:3], s[0:1]
	s_cbranch_execz .LBB275_27
; %bb.26:
	v_mad_i64_i32 v[14:15], s[0:1], s15, v21, 0
	v_lshl_add_u64 v[14:15], v[14:15], 1, s[4:5]
	v_lshlrev_b32_e32 v16, 1, v18
	v_mov_b32_e32 v17, 0
	v_lshl_add_u64 v[14:15], v[14:15], 0, v[16:17]
	global_load_dwordx4 v[14:17], v[14:15], off offset:128
.LBB275_27:
	s_or_b64 exec, exec, s[2:3]
	s_branch .LBB275_46
.LBB275_28:
                                        ; implicit-def: $vgpr5
                                        ; implicit-def: $vgpr9
                                        ; implicit-def: $vgpr13
                                        ; implicit-def: $vgpr17
	v_lshrrev_b32_e32 v30, 2, v45
	s_branch .LBB275_47
.LBB275_29:
                                        ; implicit-def: $vgpr4
                                        ; implicit-def: $vgpr5
                                        ; implicit-def: $sgpr22
	s_load_dwordx2 s[16:17], s[0:1], 0x20
	v_lshl_or_b32 v2, v77, 9, v2
.LBB275_30:
	v_or_b32_e32 v4, 0x100, v2
	s_movk_i32 s22, 0x4000
	v_mov_b32_e32 v5, v2
.LBB275_31:
	s_mul_i32 s0, s34, s14
	s_ashr_i32 s58, s53, 31
	s_mul_hi_i32 s1, s34, s14
	s_add_u32 s0, s0, s53
	s_addc_u32 s1, s1, s58
	s_lshl_b64 s[0:1], s[0:1], 8
	s_add_u32 s20, s4, s0
	s_addc_u32 s0, s5, s1
	s_and_b32 s21, s0, 0xffff
	s_movk_i32 s59, 0x80
	buffer_load_dwordx4 v[6:9], v5, s[20:23], 0 offen
	buffer_load_dwordx4 v[10:13], v5, s[20:23], s59 offen
	;; [unrolled: 1-line block ×4, first 2 shown]
	v_and_b32_e32 v4, 6, v0
	v_lshlrev_b32_e32 v23, 6, v69
	v_or_b32_e32 v25, 16, v66
	v_xor_b32_e32 v26, v77, v4
	v_and_b32_e32 v5, 1, v0
	v_lshl_or_b32 v29, v66, 3, v23
	v_lshl_or_b32 v23, v25, 3, v23
	v_lshlrev_b32_e32 v26, 2, v26
	v_lshlrev_b32_e32 v22, 2, v66
	v_or_b32_e32 v87, 0xa000, v23
	v_or_b32_e32 v88, 0xb000, v23
	v_xor_b32_e32 v23, 0x440, v26
	v_cmp_eq_u32_e32 vcc, 0, v5
	s_add_i32 s0, s44, s33
	v_xor_b32_e32 v27, v69, v22
	v_xor_b32_e32 v28, v70, v22
	v_cndmask_b32_e32 v5, v23, v26, vcc
	s_add_i32 s1, s47, s46
	s_add_i32 s37, s0, s45
	s_mov_b32 s60, 0x1000504
	v_lshlrev_b32_e32 v24, 8, v66
	v_lshlrev_b32_e32 v25, 8, v25
	;; [unrolled: 1-line block ×4, first 2 shown]
	v_lshl_or_b32 v4, v4, 10, v5
	s_add_i32 s39, s1, s48
	s_lshl_b64 s[0:1], s[36:37], 2
	s_mov_b32 s61, 0x3020706
	v_or_b32_e32 v85, 0xa000, v29
	v_or_b32_e32 v86, 0xb000, v29
	;; [unrolled: 1-line block ×5, first 2 shown]
	v_xor_b32_e32 v5, 8, v4
	v_xor_b32_e32 v24, 24, v4
	;; [unrolled: 1-line block ×4, first 2 shown]
	s_add_u32 s20, s10, s0
	v_or_b32_e32 v91, v25, v27
	v_xor_b32_e32 v23, 16, v4
	v_xor_b32_e32 v25, 32, v4
	v_xor_b32_e32 v27, 48, v4
	v_add_u32_e32 v5, 0x80, v5
	v_add_u32_e32 v24, 0x80, v24
	;; [unrolled: 1-line block ×4, first 2 shown]
	s_addc_u32 s21, s11, s1
	s_lshl_b64 s[0:1], s[38:39], 2
	s_add_u32 s42, s20, s0
	s_movk_i32 s0, 0xf8
	s_addc_u32 s43, s21, s1
	s_ashr_i32 s41, s40, 31
	s_lshl_b32 s26, s15, 7
	s_movk_i32 s20, 0x100
	v_mov_b32_e32 v57, 0
	v_lshlrev_b32_e32 v56, 4, v66
	v_cmp_gt_u32_e32 vcc, s20, v0
	v_ashrrev_i32_e32 v47, 31, v46
	s_mov_b32 s62, 0
	s_movk_i32 s37, 0x1000
	s_movk_i32 s22, 0x4000
	s_mov_b32 s39, 0x7060302
	s_waitcnt vmcnt(1)
	v_perm_b32 v29, v6, v14, s60
	s_waitcnt vmcnt(0)
	v_perm_b32 v30, v10, v18, s60
	v_perm_b32 v6, v6, v14, s61
	v_perm_b32 v10, v10, v18, s61
	v_perm_b32 v14, v7, v15, s60
	v_perm_b32 v18, v11, v19, s60
	v_perm_b32 v7, v7, v15, s61
	v_perm_b32 v11, v11, v19, s61
	v_perm_b32 v15, v8, v16, s60
	v_perm_b32 v19, v12, v20, s60
	v_perm_b32 v8, v8, v16, s61
	v_perm_b32 v12, v12, v20, s61
	v_perm_b32 v16, v9, v17, s60
	v_perm_b32 v20, v13, v21, s60
	v_perm_b32 v9, v9, v17, s61
	v_perm_b32 v13, v13, v21, s61
	ds_write2st64_b32 v4, v29, v30 offset0:32 offset1:64
	ds_write2st64_b32 v5, v6, v10 offset0:32 offset1:64
	;; [unrolled: 1-line block ×8, first 2 shown]
	v_or_b32_e32 v4, v1, v66
	v_lshlrev_b32_e32 v4, 3, v4
	v_lshrrev_b32_e32 v7, 5, v45
	v_and_or_b32 v7, v4, s0, v7
	v_lshlrev_b32_e32 v7, 4, v7
	v_lshlrev_b32_e32 v9, 11, v64
	v_and_b32_e32 v4, 0x78, v4
	v_or_b32_e32 v12, 32, v7
	v_and_b32_e32 v6, 0x1000, v9
	v_lshrrev_b32_e32 v10, 1, v45
	v_xor_b32_e32 v12, v12, v4
	v_xor_b32_e32 v8, v7, v4
	v_and_b32_e32 v10, 8, v10
	v_or_b32_e32 v12, v12, v6
	v_or_b32_e32 v8, v8, v6
	v_lshlrev_b32_e32 v11, 7, v65
	v_xor_b32_e32 v95, v12, v10
	v_or_b32_e32 v12, 64, v7
	v_or_b32_e32 v7, 0x60, v7
	v_xor_b32_e32 v93, v8, v10
	v_or_b32_e32 v8, v11, v22
	v_xor_b32_e32 v12, v12, v4
	v_xor_b32_e32 v4, v7, v4
	s_lshl_b64 s[0:1], s[40:41], 8
	v_lshlrev_b32_e32 v8, 1, v8
	v_or_b32_e32 v12, v12, v6
	v_or_b32_e32 v4, v4, v6
	s_add_u32 s0, s18, s0
	v_lshlrev_b32_e32 v6, 1, v66
	v_or_b32_e32 v94, 0xa000, v8
	v_or_b32_e32 v96, 0xa080, v8
	;; [unrolled: 1-line block ×4, first 2 shown]
	v_lshrrev_b32_e32 v8, 4, v0
	s_addc_u32 s1, s19, s1
	v_or_b32_e32 v7, 1, v6
	v_mov_b32_e32 v17, 0x4000
	v_mov_b32_e32 v18, 0x2000
	v_lshrrev_b32_e32 v19, 1, v0
	v_xor_b32_e32 v97, v12, v10
	v_xor_b32_e32 v98, v4, v10
	;; [unrolled: 1-line block ×4, first 2 shown]
	v_lshl_add_u64 v[6:7], s[0:1], 0, v[56:57]
	v_lshlrev_b32_e32 v56, 8, v8
	v_cndmask_b32_e32 v17, v17, v18, vcc
	v_lshlrev_b32_e32 v18, 3, v64
	v_and_b32_e32 v19, 24, v19
	v_lshl_or_b32 v101, v10, 3, v56
	v_and_b32_e32 v10, 8, v0
	v_xor_b32_e32 v20, v18, v19
	v_or_b32_e32 v21, 0x440, v20
	v_cmp_eq_u32_e32 vcc, 0, v10
	v_and_b32_e32 v8, 7, v0
	v_lshl_or_b32 v102, v14, 3, v56
	v_cndmask_b32_e32 v10, v21, v20, vcc
	v_lshlrev_b32_e32 v14, 3, v8
	v_lshlrev_b32_e32 v16, 2, v0
	v_or_b32_e32 v10, v10, v9
	v_xor_b32_e32 v20, v10, v14
	v_and_or_b32 v10, v16, 60, v11
	v_mov_b32_e32 v11, 0xb000
	v_lshl_or_b32 v103, v10, 1, v11
	v_or_b32_e32 v10, 32, v19
	v_xor_b32_e32 v10, v18, v10
	v_or_b32_e32 v11, 0x440, v10
	v_cndmask_b32_e32 v10, v11, v10, vcc
	v_or_b32_e32 v10, v10, v9
	v_xor_b32_e32 v11, v10, v14
	v_or_b32_e32 v10, 64, v19
	v_xor_b32_e32 v10, v18, v10
	v_xor_b32_e32 v22, 0x440, v10
	v_cndmask_b32_e32 v10, v22, v10, vcc
	v_or_b32_e32 v10, v10, v9
	v_xor_b32_e32 v22, v10, v14
	v_or_b32_e32 v10, 0x60, v19
	v_xor_b32_e32 v10, v18, v10
	v_xor_b32_e32 v18, 0x440, v10
	v_cndmask_b32_e32 v10, v18, v10, vcc
	v_lshrrev_b32_e32 v5, 2, v45
	v_or_b32_e32 v9, v10, v9
	v_and_b32_e32 v5, 12, v5
	v_lshlrev_b32_e32 v12, 1, v3
	v_add_lshl_u32 v3, v3, s15, 1
	v_or_b32_e32 v13, 0x100, v2
	v_xor_b32_e32 v9, v9, v14
	v_lshlrev_b32_e32 v4, 7, v69
	v_lshlrev_b32_e32 v15, 7, v8
	v_or_b32_e32 v8, v5, v1
	v_add_u32_e32 v21, v17, v20
	v_add_u32_e32 v16, v17, v11
	v_add_u32_e32 v23, v17, v22
	v_add_u32_e32 v14, v17, v9
	v_or3_b32 v10, v1, v5, 64
	v_add_u32_e32 v5, 0x4000, v20
	v_add_u32_e32 v11, 0x4000, v11
	;; [unrolled: 1-line block ×4, first 2 shown]
	v_cndmask_b32_e64 v104, v12, v2, s[2:3]
	v_cndmask_b32_e64 v105, v3, v13, s[2:3]
	v_lshlrev_b64 v[2:3], 1, v[46:47]
	v_lshl_add_u64 v[58:59], s[8:9], 0, v[2:3]
	v_lshl_add_u64 v[60:61], s[28:29], 0, v[2:3]
	;; [unrolled: 1-line block ×3, first 2 shown]
	v_lshlrev_b32_e32 v56, 1, v4
	v_lshlrev_b32_e32 v47, 2, v8
	v_add_u32_e32 v106, v21, v15
	v_add_u32_e32 v107, v16, v15
	;; [unrolled: 1-line block ×4, first 2 shown]
	v_lshlrev_b32_e32 v110, 2, v10
	v_add_u32_e32 v111, v5, v15
	v_add_u32_e32 v112, v11, v15
	;; [unrolled: 1-line block ×4, first 2 shown]
	s_waitcnt lgkmcnt(0)
	s_barrier
.LBB275_32:                             ; =>This Inner Loop Header: Depth=1
	s_add_i32 s41, s62, 1
	s_cmp_lt_i32 s41, s50
	s_mov_b64 s[24:25], 0
	s_cselect_b64 s[2:3], -1, 0
	s_cmp_ge_i32 s41, s50
	s_mov_b64 s[20:21], 0
	s_cbranch_scc1 .LBB275_34
; %bb.33:                               ;   in Loop: Header=BB275_32 Depth=1
	s_add_i32 s0, s57, 64
	s_ashr_i32 s1, s0, 31
	s_add_u32 s0, s55, s0
	s_addc_u32 s1, s54, s1
	s_lshl_b64 s[0:1], s[0:1], 8
	s_add_u32 s20, s6, s0
	s_addc_u32 s21, s7, s1
.LBB275_34:                             ;   in Loop: Header=BB275_32 Depth=1
	v_cndmask_b32_e64 v2, 0, 1, s[2:3]
	v_cmp_ne_u32_e64 s[0:1], 1, v2
	s_andn2_b64 vcc, exec, s[2:3]
	s_cbranch_vccnz .LBB275_36
; %bb.35:                               ;   in Loop: Header=BB275_32 Depth=1
	s_add_i32 s2, s57, 64
	s_mul_hi_i32 s3, s2, s14
	s_mul_i32 s2, s2, s14
	s_add_u32 s2, s2, s53
	s_addc_u32 s3, s3, s58
	s_lshl_b64 s[2:3], s[2:3], 8
	s_add_u32 s24, s4, s2
	s_addc_u32 s25, s5, s3
.LBB275_36:                             ;   in Loop: Header=BB275_32 Depth=1
	v_perm_b32 v3, v55, v54, s39
	v_perm_b32 v2, v51, v50, s39
	;; [unrolled: 1-line block ×4, first 2 shown]
	ds_write_b64 v85, v[2:3]
	ds_write_b64 v86, v[4:5]
	;; [unrolled: 1-line block ×4, first 2 shown]
	v_perm_b32 v3, v82, v75, s39
	v_perm_b32 v2, v71, v73, s39
	;; [unrolled: 1-line block ×4, first 2 shown]
	ds_write_b64 v87, v[2:3]
	ds_write_b64 v88, v[4:5]
	ds_write_b64 v91, v[2:3]
	ds_write_b64 v92, v[4:5]
	s_waitcnt lgkmcnt(0)
	s_barrier
	ds_read_b64 v[6:7], v93 offset:24576
	ds_read2_b64 v[2:5], v94 offset1:16
	ds_read_b64 v[10:11], v96 offset:3072
	ds_read_b64 v[12:13], v94 offset:3072
	;; [unrolled: 1-line block ×3, first 2 shown]
	s_waitcnt lgkmcnt(3)
	v_mfma_f32_16x16x16_bf16 a[0:3], v[6:7], v[2:3], 0
	s_add_i32 s63, s57, 63
	s_ashr_i32 s2, s63, 31
	s_mul_i32 s3, s63, s31
	v_mfma_f32_16x16x16_bf16 a[4:7], v[6:7], v[4:5], 0
	ds_read2st64_b64 v[2:5], v94 offset0:2 offset1:4
	s_mul_hi_u32 s27, s63, s30
	s_add_i32 s3, s27, s3
	s_waitcnt lgkmcnt(0)
	v_mfma_f32_16x16x16_bf16 a[0:3], v[14:15], v[2:3], a[0:3]
	ds_read2st64_b64 v[6:9], v96 offset0:2 offset1:4
	ds_read_b64 v[2:3], v97 offset:24576
	s_mul_i32 s2, s2, s30
	s_add_i32 s3, s3, s2
	s_waitcnt lgkmcnt(1)
	v_mfma_f32_16x16x16_bf16 a[4:7], v[14:15], v[6:7], a[4:7]
	ds_read_b64 v[6:7], v98 offset:24576
	s_mul_i32 s2, s63, s30
	s_lshl_b64 s[2:3], s[2:3], 2
	s_waitcnt lgkmcnt(1)
	v_mfma_f32_16x16x16_bf16 a[0:3], v[2:3], v[4:5], a[0:3]
	s_add_u32 s2, s42, s2
	s_addc_u32 s3, s43, s3
	s_and_b64 vcc, exec, s[0:1]
	v_mfma_f32_16x16x16_bf16 a[8:11], v[2:3], v[8:9], a[4:7]
	v_mov_b32_e32 v117, 0
	v_mov_b32_e32 v116, 0
	;; [unrolled: 1-line block ×3, first 2 shown]
	s_waitcnt lgkmcnt(0)
	v_mfma_f32_16x16x16_bf16 a[4:7], v[6:7], v[12:13], a[0:3]
	v_mov_b32_e32 v2, 0
	v_mov_b32_e32 v3, 0
	;; [unrolled: 1-line block ×3, first 2 shown]
	v_mfma_f32_16x16x16_bf16 a[0:3], v[6:7], v[10:11], a[8:11]
	v_mov_b32_e32 v5, 0
	v_mov_b32_e32 v6, 0
	v_mov_b32_e32 v7, 0
	v_mov_b32_e32 v8, 0
	v_mov_b32_e32 v9, 0
	v_mov_b32_e32 v10, 0
	v_mov_b32_e32 v11, 0
	v_mov_b32_e32 v12, 0
	v_mov_b32_e32 v13, 0
	v_mov_b32_e32 v14, 0
	v_mov_b32_e32 v15, 0
	v_mov_b32_e32 v16, 0
	v_mov_b32_e32 v17, 0
	s_cbranch_vccnz .LBB275_38
; %bb.37:                               ;   in Loop: Header=BB275_32 Depth=1
	s_and_b32 s21, s21, 0xffff
	buffer_load_dwordx4 v[14:17], v80, s[20:23], 0 offen
	buffer_load_dwordx4 v[10:13], v80, s[20:23], s59 offen
	;; [unrolled: 1-line block ×4, first 2 shown]
	v_mov_b32_e32 v116, v83
	v_mov_b32_e32 v115, v84
.LBB275_38:                             ;   in Loop: Header=BB275_32 Depth=1
	ds_read_b64 v[26:27], v93 offset:32768
	ds_read2_b64 v[18:21], v99 offset1:16
	ds_read_b64 v[28:29], v95 offset:32768
	ds_read_b64 v[30:31], v97 offset:32768
	;; [unrolled: 1-line block ×3, first 2 shown]
	ds_read2st64_b64 v[22:25], v99 offset0:2 offset1:4
	v_add_u32_e32 v34, s57, v69
	s_waitcnt lgkmcnt(4)
	v_mfma_f32_16x16x16_bf16 a[4:7], v[26:27], v[18:19], a[4:7]
	v_ashrrev_i32_e32 v18, 31, v34
	v_mov_b32_e32 v118, 0
	v_mfma_f32_16x16x16_bf16 a[0:3], v[26:27], v[20:21], a[0:3]
	v_mul_lo_u32 v20, v34, s31
	v_mul_lo_u32 v21, v18, s30
	v_mad_u64_u32 v[18:19], s[20:21], v34, s30, 0
	v_add3_u32 v19, v19, v20, v21
	v_add_u32_e32 v20, 1, v34
	v_ashrrev_i32_e32 v21, 31, v20
	s_waitcnt lgkmcnt(0)
	v_mfma_f32_16x16x16_bf16 a[4:7], v[28:29], v[22:23], a[4:7]
	v_mul_lo_u32 v22, v21, s30
	v_mul_lo_u32 v23, v20, s31
	v_mad_u64_u32 v[20:21], s[20:21], v20, s30, 0
	v_add3_u32 v21, v21, v23, v22
	v_add_u32_e32 v22, 2, v34
	v_ashrrev_i32_e32 v23, 31, v22
	v_mul_lo_u32 v26, v23, s30
	v_mul_lo_u32 v27, v22, s31
	v_mad_u64_u32 v[22:23], s[20:21], v22, s30, 0
	v_add3_u32 v23, v23, v27, v26
	v_add_u32_e32 v26, 3, v34
	v_ashrrev_i32_e32 v27, 31, v26
	v_mul_lo_u32 v34, v27, s30
	v_mul_lo_u32 v35, v26, s31
	v_mad_u64_u32 v[26:27], s[20:21], v26, s30, 0
	s_ashr_i32 s21, s57, 31
	v_add3_u32 v27, v27, v35, v34
	s_add_u32 s20, s55, s57
	v_lshl_add_u64 v[18:19], v[18:19], 2, s[42:43]
	v_lshl_add_u64 v[26:27], v[26:27], 2, s[42:43]
	s_addc_u32 s21, s54, s21
	v_lshl_add_u64 v[20:21], v[20:21], 2, s[42:43]
	v_lshl_add_u64 v[22:23], v[22:23], 2, s[42:43]
	global_load_dword v34, v[18:19], off
	global_load_dword v35, v[20:21], off
	;; [unrolled: 1-line block ×3, first 2 shown]
	s_nop 0
	global_load_dword v27, v[26:27], off
	s_lshl_b64 s[20:21], s[20:21], 8
	v_lshl_add_u64 v[18:19], v[58:59], 0, s[20:21]
	v_lshl_add_u64 v[22:23], v[18:19], 0, v[56:57]
	global_load_ushort v37, v[22:23], off offset:256
	global_load_ushort v38, v[22:23], off
	global_load_ushort v39, v[22:23], off offset:768
	global_load_ushort v40, v[22:23], off offset:512
	ds_read2st64_b64 v[18:21], v100 offset0:2 offset1:4
	global_load_ushort v41, v[22:23], off offset:800
	global_load_ushort v42, v[22:23], off offset:544
	;; [unrolled: 1-line block ×4, first 2 shown]
	s_waitcnt lgkmcnt(0)
	v_mfma_f32_16x16x16_bf16 a[0:3], v[28:29], v[18:19], a[0:3]
	s_and_b64 vcc, exec, s[0:1]
	s_waitcnt vmcnt(7)
	v_lshlrev_b32_e32 v29, 16, v37
	v_mfma_f32_16x16x16_bf16 a[4:7], v[30:31], v[24:25], a[4:7]
	s_waitcnt vmcnt(6)
	v_lshlrev_b32_e32 v28, 16, v38
	v_mfma_f32_16x16x16_bf16 a[0:3], v[30:31], v[20:21], a[0:3]
	ds_read_b64 v[18:19], v99 offset:3072
	ds_read_b64 v[20:21], v100 offset:3072
	s_load_dword s2, s[2:3], 0x0
	s_waitcnt vmcnt(5)
	v_lshlrev_b32_e32 v31, 16, v39
	s_waitcnt lgkmcnt(0)
	v_mfma_f32_16x16x16_bf16 a[4:7], v[32:33], v[18:19], a[4:7]
	v_lshl_add_u64 v[18:19], v[60:61], 0, s[20:21]
	v_sub_f32_e32 v26, s2, v34
	v_sub_f32_e32 v30, s2, v35
	v_mfma_f32_16x16x16_bf16 a[0:3], v[32:33], v[20:21], a[0:3]
	v_sub_f32_e32 v32, s2, v36
	v_sub_f32_e32 v33, s2, v27
	v_exp_f32_e32 v26, v26
	v_exp_f32_e32 v27, v30
	;; [unrolled: 1-line block ×4, first 2 shown]
	v_accvgpr_read_b32 v25, a5
	v_accvgpr_read_b32 v21, a7
	v_accvgpr_read_b32 v20, a6
	v_accvgpr_read_b32 v24, a4
	s_waitcnt vmcnt(4)
	v_lshlrev_b32_e32 v30, 16, v40
	v_lshl_add_u64 v[18:19], v[18:19], 0, v[56:57]
	v_pk_add_f32 v[24:25], v[28:29], v[24:25] neg_lo:[0,1] neg_hi:[0,1]
	v_pk_add_f32 v[20:21], v[30:31], v[20:21] neg_lo:[0,1] neg_hi:[0,1]
	global_store_short_d16_hi v[18:19], v24, off
	global_store_short_d16_hi v[18:19], v25, off offset:256
	global_store_short_d16_hi v[18:19], v20, off offset:512
	;; [unrolled: 1-line block ×3, first 2 shown]
	v_pk_mul_f32 v[24:25], v[26:27], v[24:25]
	v_pk_mul_f32 v[20:21], v[32:33], v[20:21]
	v_accvgpr_read_b32 v29, a1
	v_perm_b32 v24, v25, v24, s39
	v_perm_b32 v25, v21, v20, s39
	s_waitcnt vmcnt(5)
	v_lshlrev_b32_e32 v21, 16, v43
	s_waitcnt vmcnt(4)
	v_lshlrev_b32_e32 v20, 16, v44
	v_accvgpr_read_b32 v28, a0
	v_accvgpr_read_b32 v23, a3
	v_accvgpr_read_b32 v22, a2
	v_pk_add_f32 v[20:21], v[20:21], v[28:29] neg_lo:[0,1] neg_hi:[0,1]
	v_lshlrev_b32_e32 v29, 16, v41
	v_lshlrev_b32_e32 v28, 16, v42
	v_pk_add_f32 v[22:23], v[28:29], v[22:23] neg_lo:[0,1] neg_hi:[0,1]
	global_store_short_d16_hi v[18:19], v20, off offset:32
	global_store_short_d16_hi v[18:19], v21, off offset:288
	global_store_short_d16_hi v[18:19], v22, off offset:544
	global_store_short_d16_hi v[18:19], v23, off offset:800
	v_pk_mul_f32 v[18:19], v[26:27], v[20:21]
	v_pk_mul_f32 v[20:21], v[32:33], v[22:23]
	v_mov_b32_e32 v22, 0
	v_perm_b32 v21, v21, v20, s39
	v_perm_b32 v20, v19, v18, s39
	ds_write2_b64 v86, v[24:25], v[20:21] offset1:16
	v_mov_b32_e32 v18, 0
	v_mov_b32_e32 v19, 0
	;; [unrolled: 1-line block ×15, first 2 shown]
	s_cbranch_vccnz .LBB275_40
; %bb.39:                               ;   in Loop: Header=BB275_32 Depth=1
	s_and_b32 s25, s25, 0xffff
	s_mov_b32 s27, s23
	buffer_load_dwordx4 v[30:33], v104, s[24:27], 0 offen
	buffer_load_dwordx4 v[22:25], v104, s[24:27], s59 offen
	;; [unrolled: 1-line block ×4, first 2 shown]
	v_mov_b32_e32 v117, v78
	v_mov_b32_e32 v118, v77
.LBB275_40:                             ;   in Loop: Header=BB275_32 Depth=1
	s_waitcnt lgkmcnt(0)
	s_barrier
	ds_read_b64 v[38:39], v106
	ds_read_b64 v[124:125], v103
	;; [unrolled: 1-line block ×5, first 2 shown]
	ds_read_b64 v[138:139], v100 offset:3072
	ds_read2_b64 v[34:37], v99 offset0:16 offset1:128
	s_waitcnt lgkmcnt(5)
	v_mfma_f32_16x16x16_bf16 a[0:3], v[38:39], v[124:125], 0
	s_add_i32 s3, s56, s62
	s_mul_hi_i32 s21, s3, s13
	s_mul_i32 s3, s3, s13
	s_waitcnt lgkmcnt(0)
	v_mfma_f32_16x16x16_bf16 a[4:7], v[38:39], v[34:35], 0
	ds_read_b64 v[38:39], v111
	ds_read2st64_b64 v[40:43], v100 offset0:2 offset1:4
	s_add_u32 s20, s3, s49
	s_addc_u32 s21, s21, s51
	s_lshl_b64 s[20:21], s[20:21], 15
	s_mul_i32 s24, s63, s13
	s_mul_hi_i32 s3, s63, s13
	s_add_u32 s24, s24, s49
	s_waitcnt lgkmcnt(1)
	v_mfma_f32_16x16x16_bf16 a[8:11], v[38:39], v[124:125], 0
	s_addc_u32 s25, s3, s51
	ds_read2st64_b64 v[120:123], v99 offset0:4 offset1:6
	s_lshl_b64 s[24:25], s[24:25], 9
	v_mfma_f32_16x16x16_bf16 a[0:3], v[126:127], v[36:37], a[0:3]
	s_add_u32 s24, s16, s24
	s_addc_u32 s25, s17, s25
	s_waitcnt lgkmcnt(1)
	v_mfma_f32_16x16x16_bf16 a[4:7], v[126:127], v[40:41], a[4:7]
	ds_read_b64 v[126:127], v112
	ds_read_b64 v[134:135], v113
	;; [unrolled: 1-line block ×3, first 2 shown]
	v_mfma_f32_16x16x16_bf16 a[12:15], v[38:39], v[34:35], 0
	s_waitcnt lgkmcnt(2)
	v_mfma_f32_16x16x16_bf16 a[8:11], v[126:127], v[36:37], a[8:11]
	global_load_dwordx4 v[34:37], v110, s[24:25]
	v_mfma_f32_16x16x16_bf16 a[12:15], v[126:127], v[40:41], a[12:15]
	global_load_dwordx4 v[38:41], v47, s[24:25]
	ds_read2st64_b64 v[124:127], v101 offset1:8
	s_waitcnt lgkmcnt(0)
	v_mov_b32_e32 v132, v124
	v_mfma_f32_16x16x16_bf16 a[0:3], v[128:129], v[120:121], a[0:3]
	v_mov_b32_e32 v133, v125
	v_mfma_f32_16x16x16_bf16 a[4:7], v[128:129], v[42:43], a[4:7]
	ds_read2st64_b64 v[128:131], v102 offset1:8
	v_mfma_f32_16x16x16_bf16 a[8:11], v[134:135], v[120:121], a[8:11]
	v_lshl_add_u64 v[120:121], v[62:63], 0, s[20:21]
	v_mfma_f32_16x16x16_bf16 a[16:19], v[134:135], v[42:43], a[12:15]
	v_add_co_u32_e32 v42, vcc, s37, v120
	s_waitcnt lgkmcnt(0)
	v_mov_b32_e32 v134, v128
	v_mfma_f32_16x16x16_bf16 a[0:3], v[136:137], v[122:123], a[0:3]
	v_mov_b32_e32 v135, v129
	v_mov_b32_e32 v128, v126
	;; [unrolled: 1-line block ×3, first 2 shown]
	v_mfma_f32_16x16x16_bf16 a[4:7], v[136:137], v[138:139], a[4:7]
	v_addc_co_u32_e32 v43, vcc, 0, v121, vcc
	global_store_dwordx4 v[42:43], v[128:131], off
	v_mfma_f32_16x16x16_bf16 a[12:15], v[140:141], v[122:123], a[8:11]
	s_and_b64 vcc, exec, s[0:1]
	global_store_dwordx4 v[120:121], v[132:135], off
	s_waitcnt vmcnt(3)
	v_mov_b32_e32 v44, v37
	v_mfma_f32_16x16x16_bf16 a[8:11], v[140:141], v[138:139], a[16:19]
	v_mov_b32_e32 v43, v36
	v_mov_b32_e32 v42, v35
	s_cbranch_vccnz .LBB275_42
; %bb.41:                               ;   in Loop: Header=BB275_32 Depth=1
	v_lshrrev_b32_e32 v35, 3, v117
	v_and_b32_e32 v35, 6, v35
	v_xor_b32_e32 v36, v35, v118
	v_lshlrev_b32_e32 v36, 2, v36
	v_and_b32_e32 v37, 8, v117
	v_xor_b32_e32 v117, 0x440, v36
	v_cmp_eq_u32_e32 vcc, 0, v37
	v_perm_b32 v37, v22, v18, s60
	s_nop 0
	v_cndmask_b32_e32 v36, v117, v36, vcc
	v_lshl_or_b32 v35, v35, 10, v36
	v_perm_b32 v36, v30, v26, s60
	s_barrier
	ds_write2st64_b32 v35, v36, v37 offset0:32 offset1:64
	v_xor_b32_e32 v36, 8, v35
	v_perm_b32 v26, v30, v26, s61
	v_perm_b32 v18, v22, v18, s61
	v_add_u32_e32 v22, 0x80, v36
	ds_write2st64_b32 v22, v26, v18 offset0:32 offset1:64
	v_xor_b32_e32 v18, 16, v35
	v_perm_b32 v22, v31, v27, s60
	v_perm_b32 v26, v23, v19, s60
	ds_write2st64_b32 v18, v22, v26 offset0:33 offset1:65
	v_xor_b32_e32 v18, 24, v35
	v_perm_b32 v22, v31, v27, s61
	v_perm_b32 v19, v23, v19, s61
	v_add_u32_e32 v18, 0x80, v18
	ds_write2st64_b32 v18, v22, v19 offset0:33 offset1:65
	v_xor_b32_e32 v18, 32, v35
	v_perm_b32 v19, v32, v28, s60
	v_perm_b32 v22, v24, v20, s60
	;; [unrolled: 9-line block ×3, first 2 shown]
	ds_write2st64_b32 v18, v19, v20 offset0:35 offset1:67
	v_xor_b32_e32 v18, 56, v35
	v_perm_b32 v19, v33, v29, s61
	v_perm_b32 v20, v25, v21, s61
	v_add_u32_e32 v18, 0x80, v18
	ds_write2st64_b32 v18, v19, v20 offset0:35 offset1:67
	ds_write_b64 v116, v[14:15] offset:24576
	v_xor_b32_e32 v14, 8, v116
	ds_write_b64 v14, v[16:17] offset:24576
	ds_write_b64 v116, v[10:11] offset:32768
	;; [unrolled: 1-line block ×4, first 2 shown]
	v_xor_b32_e32 v6, 8, v115
	ds_write_b64 v6, v[8:9] offset:24576
	ds_write_b64 v115, v[2:3] offset:32768
	;; [unrolled: 1-line block ×3, first 2 shown]
.LBB275_42:                             ;   in Loop: Header=BB275_32 Depth=1
	v_exp_f32_e32 v18, s2
	s_waitcnt vmcnt(2)
	v_exp_f32_e32 v20, v38
	v_exp_f32_e32 v21, v39
	;; [unrolled: 1-line block ×4, first 2 shown]
	v_accvgpr_read_b32 v13, a3
	v_accvgpr_read_b32 v11, a1
	;; [unrolled: 1-line block ×4, first 2 shown]
	v_pk_mul_f32 v[20:21], v[18:19], v[20:21] op_sel_hi:[0,1]
	v_accvgpr_read_b32 v12, a2
	v_accvgpr_read_b32 v7, a5
	;; [unrolled: 1-line block ×3, first 2 shown]
	v_pk_fma_f32 v[50:51], v[50:51], v[20:21], v[10:11]
	v_pk_mul_f32 v[10:11], v[18:19], v[22:23] op_sel_hi:[0,1]
	v_pk_fma_f32 v[54:55], v[54:55], v[10:11], v[12:13]
	v_fma_f32 v73, v73, v20, v6
	v_fma_f32 v71, v71, v21, v7
	v_exp_f32_e32 v6, v34
	v_exp_f32_e32 v7, v42
	;; [unrolled: 1-line block ×4, first 2 shown]
	v_accvgpr_read_b32 v8, a6
	v_accvgpr_read_b32 v17, a15
	;; [unrolled: 1-line block ×9, first 2 shown]
	v_fma_f32 v75, v75, v10, v8
	v_fmac_f32_e32 v9, v82, v11
	v_pk_mul_f32 v[6:7], v[18:19], v[6:7] op_sel_hi:[0,1]
	v_pk_mul_f32 v[10:11], v[18:19], v[12:13] op_sel_hi:[0,1]
	s_add_i32 s57, s57, 64
	v_pk_fma_f32 v[48:49], v[48:49], v[6:7], v[14:15]
	v_pk_fma_f32 v[52:53], v[52:53], v[10:11], v[16:17]
	v_fma_f32 v74, v74, v6, v2
	v_fma_f32 v72, v72, v7, v3
	;; [unrolled: 1-line block ×3, first 2 shown]
	s_cmp_eq_u32 s50, s41
	v_fmac_f32_e32 v5, v79, v11
	s_cbranch_scc1 .LBB275_4
; %bb.43:                               ;   in Loop: Header=BB275_32 Depth=1
	s_mov_b32 s62, s41
	v_mov_b32_e32 v82, v9
	v_mov_b32_e32 v79, v5
	s_branch .LBB275_32
.LBB275_44:
                                        ; implicit-def: $vgpr5
                                        ; implicit-def: $vgpr9
                                        ; implicit-def: $vgpr13
                                        ; implicit-def: $vgpr17
	s_cbranch_execz .LBB275_46
; %bb.45:
	s_waitcnt vmcnt(0)
	v_mad_u64_u32 v[2:3], s[0:1], v20, s15, v[18:19]
	v_lshlrev_b32_e32 v20, 1, v2
	s_lshl_b32 s2, s15, 7
	s_and_b32 s1, s5, 0xffff
	s_mov_b32 s3, 0x20000
	s_mov_b32 s0, s4
	v_add_lshl_u32 v21, v2, s15, 1
	s_movk_i32 s13, 0x80
	buffer_load_dwordx4 v[2:5], v20, s[0:3], 0 offen
	buffer_load_dwordx4 v[10:13], v20, s[0:3], s13 offen
	;; [unrolled: 1-line block ×4, first 2 shown]
.LBB275_46:
	v_lshrrev_b32_e32 v30, 2, v45
	s_cbranch_execnz .LBB275_59
.LBB275_47:
	s_and_b64 vcc, exec, s[6:7]
	s_cbranch_vccz .LBB275_57
; %bb.48:
	s_waitcnt vmcnt(0)
	v_lshlrev_b32_e32 v7, 1, v23
	v_cmp_gt_i32_e32 vcc, s27, v7
	v_mov_b32_e32 v6, 0
	v_lshlrev_b32_e32 v14, 9, v23
	v_mov_b32_e32 v2, 0
	v_mov_b32_e32 v3, 0
	;; [unrolled: 1-line block ×4, first 2 shown]
	s_and_saveexec_b64 s[0:1], vcc
	s_cbranch_execz .LBB275_50
; %bb.49:
	v_mov_b32_e32 v15, 0
	v_lshl_add_u64 v[2:3], s[4:5], 0, v[14:15]
	v_lshlrev_b32_e32 v4, 1, v18
	v_mov_b32_e32 v5, v15
	v_lshl_add_u64 v[2:3], v[2:3], 0, v[4:5]
	global_load_dwordx4 v[2:5], v[2:3], off
.LBB275_50:
	s_or_b64 exec, exec, s[0:1]
	v_or_b32_e32 v7, 1, v7
	v_cmp_gt_i32_e64 s[0:1], s27, v7
	v_lshlrev_b32_e32 v20, 8, v7
	v_mov_b32_e32 v7, 0
	v_mov_b32_e32 v8, 0
	;; [unrolled: 1-line block ×3, first 2 shown]
	s_and_saveexec_b64 s[2:3], s[0:1]
	s_cbranch_execz .LBB275_52
; %bb.51:
	v_mov_b32_e32 v21, 0
	v_lshl_add_u64 v[6:7], s[4:5], 0, v[20:21]
	v_lshlrev_b32_e32 v8, 1, v18
	v_mov_b32_e32 v9, v21
	v_lshl_add_u64 v[6:7], v[6:7], 0, v[8:9]
	global_load_dwordx4 v[6:9], v[6:7], off
.LBB275_52:
	s_or_b64 exec, exec, s[2:3]
	v_mov_b32_e32 v17, 0
	v_mov_b32_e32 v10, 0
	;; [unrolled: 1-line block ×5, first 2 shown]
	s_and_saveexec_b64 s[2:3], vcc
	s_cbranch_execz .LBB275_54
; %bb.53:
	v_mov_b32_e32 v15, 0
	v_lshl_add_u64 v[10:11], s[4:5], 0, v[14:15]
	v_lshlrev_b32_e32 v14, 1, v18
	v_lshl_add_u64 v[10:11], v[10:11], 0, v[14:15]
	global_load_dwordx4 v[10:13], v[10:11], off offset:128
.LBB275_54:
	s_or_b64 exec, exec, s[2:3]
	v_mov_b32_e32 v16, 0
	v_mov_b32_e32 v15, 0
	;; [unrolled: 1-line block ×3, first 2 shown]
	s_and_saveexec_b64 s[2:3], s[0:1]
	s_cbranch_execz .LBB275_56
; %bb.55:
	v_mov_b32_e32 v21, 0
	v_lshl_add_u64 v[14:15], s[4:5], 0, v[20:21]
	v_lshlrev_b32_e32 v20, 1, v18
	v_lshl_add_u64 v[14:15], v[14:15], 0, v[20:21]
	global_load_dwordx4 v[14:17], v[14:15], off offset:128
.LBB275_56:
	s_or_b64 exec, exec, s[2:3]
	s_branch .LBB275_59
.LBB275_57:
                                        ; implicit-def: $vgpr5
                                        ; implicit-def: $vgpr9
                                        ; implicit-def: $vgpr13
                                        ; implicit-def: $vgpr17
	s_cbranch_execz .LBB275_59
; %bb.58:
	s_waitcnt vmcnt(0)
	v_lshlrev_b32_e32 v2, 1, v18
	v_lshl_or_b32 v18, v23, 9, v2
	s_and_b32 s5, s5, 0xffff
	s_mov_b32 s7, 0x20000
	s_movk_i32 s6, 0x4000
	s_movk_i32 s0, 0x80
	buffer_load_dwordx4 v[2:5], v18, s[4:7], 0 offen
	buffer_load_dwordx4 v[6:9], v18, s[4:7], 0 offen offset:256
	buffer_load_dwordx4 v[10:13], v18, s[4:7], s0 offen
	buffer_load_dwordx4 v[14:17], v18, s[4:7], s0 offen offset:256
.LBB275_59:
	ds_read_b64 v[20:21], v25 offset:32768
	v_add_u32_e32 v18, 0xb000, v24
	ds_read2_b64 v[32:35], v18 offset1:16
	ds_read_b64 v[40:41], v26 offset:32768
	ds_read_b64 v[26:27], v27 offset:32768
	;; [unrolled: 1-line block ×3, first 2 shown]
	v_and_b32_e32 v18, 6, v0
	v_xor_b32_e32 v23, v23, v18
	v_lshlrev_b32_e32 v23, 2, v23
	v_and_b32_e32 v0, 1, v0
	v_xor_b32_e32 v28, 0x440, v23
	v_cmp_eq_u32_e32 vcc, 0, v0
	s_waitcnt lgkmcnt(3)
	v_mfma_f32_16x16x16_bf16 a[0:3], v[20:21], v[32:33], a[0:3]
	s_mov_b32 s0, 0x1000504
	v_cndmask_b32_e32 v0, v28, v23, vcc
	v_lshl_or_b32 v0, v18, 10, v0
	v_mfma_f32_16x16x16_bf16 a[4:7], v[20:21], v[34:35], a[4:7]
	ds_read2st64_b64 v[32:35], v24 offset0:90 offset1:92
	ds_read2st64_b64 v[36:39], v29 offset0:90 offset1:92
	ds_read_b64 v[20:21], v24 offset:48128
	ds_read_b64 v[24:25], v29 offset:48128
	s_waitcnt vmcnt(0)
	v_perm_b32 v18, v2, v6, s0
	s_waitcnt lgkmcnt(3)
	v_mfma_f32_16x16x16_bf16 a[0:3], v[40:41], v[32:33], a[0:3]
	s_mov_b32 s1, 0x3020706
	v_perm_b32 v2, v2, v6, s1
	v_perm_b32 v6, v10, v14, s1
	s_waitcnt lgkmcnt(2)
	v_mfma_f32_16x16x16_bf16 a[4:7], v[40:41], v[36:37], a[4:7]
	v_mfma_f32_16x16x16_bf16 a[0:3], v[26:27], v[34:35], a[0:3]
	;; [unrolled: 1-line block ×3, first 2 shown]
	s_waitcnt lgkmcnt(1)
	v_mfma_f32_16x16x16_bf16 a[4:7], v[42:43], v[20:21], a[0:3]
	v_perm_b32 v20, v10, v14, s0
	ds_write2st64_b32 v0, v18, v20 offset0:32 offset1:64
	v_xor_b32_e32 v18, 8, v0
	v_add_u32_e32 v10, 0x80, v18
	ds_write2st64_b32 v10, v2, v6 offset0:32 offset1:64
	v_xor_b32_e32 v2, 16, v0
	v_perm_b32 v6, v3, v7, s0
	v_perm_b32 v10, v11, v15, s0
	ds_write2st64_b32 v2, v6, v10 offset0:33 offset1:65
	v_xor_b32_e32 v2, 24, v0
	v_perm_b32 v3, v3, v7, s1
	v_perm_b32 v6, v11, v15, s1
	v_add_u32_e32 v2, 0x80, v2
	ds_write2st64_b32 v2, v3, v6 offset0:33 offset1:65
	v_xor_b32_e32 v2, 32, v0
	v_perm_b32 v3, v4, v8, s0
	v_perm_b32 v6, v12, v16, s0
	s_waitcnt lgkmcnt(4)
	v_mfma_f32_16x16x16_bf16 a[0:3], v[42:43], v[24:25], a[8:11]
	ds_write2st64_b32 v2, v3, v6 offset0:34 offset1:66
	v_xor_b32_e32 v2, 40, v0
	v_perm_b32 v3, v4, v8, s1
	v_perm_b32 v4, v12, v16, s1
	v_add_u32_e32 v2, 0x80, v2
	ds_write2st64_b32 v2, v3, v4 offset0:34 offset1:66
	v_xor_b32_e32 v2, 48, v0
	v_perm_b32 v3, v5, v9, s0
	v_perm_b32 v4, v13, v17, s0
	v_xor_b32_e32 v0, 56, v0
	v_and_or_b32 v21, v30, 12, v1
	ds_write2st64_b32 v2, v3, v4 offset0:35 offset1:67
	v_perm_b32 v2, v5, v9, s1
	v_perm_b32 v3, v13, v17, s1
	v_add_u32_e32 v0, 0x80, v0
	v_cmp_gt_i32_e32 vcc, s27, v21
	v_mov_b32_e32 v16, 0
	v_mov_b32_e32 v18, 0
	ds_write2st64_b32 v0, v2, v3 offset0:35 offset1:67
	s_and_saveexec_b64 s[0:1], vcc
	s_cbranch_execz .LBB275_61
; %bb.60:
	v_add_u32_e32 v0, s26, v21
	v_ashrrev_i32_e32 v1, 31, v0
	v_mul_lo_u32 v2, v1, s30
	v_mul_lo_u32 v3, v0, s31
	v_mad_u64_u32 v[0:1], s[2:3], v0, s30, 0
	v_add3_u32 v1, v1, v3, v2
	v_lshl_add_u64 v[0:1], v[0:1], 2, s[10:11]
	global_load_dword v0, v[0:1], off
	s_waitcnt vmcnt(0)
	v_sub_f32_e32 v0, s12, v0
	v_exp_f32_e32 v18, v0
.LBB275_61:
	s_or_b64 exec, exec, s[0:1]
	v_or_b32_e32 v10, 1, v21
	v_cmp_gt_i32_e64 s[2:3], s27, v10
	s_and_saveexec_b64 s[0:1], s[2:3]
	s_cbranch_execz .LBB275_63
; %bb.62:
	v_add_u32_e32 v0, s26, v10
	v_ashrrev_i32_e32 v1, 31, v0
	v_mul_lo_u32 v2, v1, s30
	v_mul_lo_u32 v3, v0, s31
	v_mad_u64_u32 v[0:1], s[4:5], v0, s30, 0
	v_add3_u32 v1, v1, v3, v2
	v_lshl_add_u64 v[0:1], v[0:1], 2, s[10:11]
	global_load_dword v0, v[0:1], off
	s_waitcnt vmcnt(0)
	v_sub_f32_e32 v0, s12, v0
	v_exp_f32_e32 v16, v0
.LBB275_63:
	s_or_b64 exec, exec, s[0:1]
	v_or_b32_e32 v12, 2, v21
	v_cmp_gt_i32_e64 s[0:1], s27, v12
	v_mov_b32_e32 v17, 0
	v_mov_b32_e32 v20, 0
	s_and_saveexec_b64 s[4:5], s[0:1]
	s_cbranch_execz .LBB275_65
; %bb.64:
	v_add_u32_e32 v0, s26, v12
	v_ashrrev_i32_e32 v1, 31, v0
	v_mul_lo_u32 v2, v1, s30
	v_mul_lo_u32 v3, v0, s31
	v_mad_u64_u32 v[0:1], s[6:7], v0, s30, 0
	v_add3_u32 v1, v1, v3, v2
	v_lshl_add_u64 v[0:1], v[0:1], 2, s[10:11]
	global_load_dword v0, v[0:1], off
	s_waitcnt vmcnt(0)
	v_sub_f32_e32 v0, s12, v0
	v_exp_f32_e32 v20, v0
.LBB275_65:
	s_or_b64 exec, exec, s[4:5]
	v_or_b32_e32 v14, 3, v21
	v_cmp_gt_i32_e64 s[4:5], s27, v14
	s_and_saveexec_b64 s[6:7], s[4:5]
	s_cbranch_execz .LBB275_67
; %bb.66:
	v_add_u32_e32 v0, s26, v14
	v_ashrrev_i32_e32 v1, 31, v0
	v_mul_lo_u32 v2, v1, s30
	v_mul_lo_u32 v3, v0, s31
	v_mad_u64_u32 v[0:1], s[14:15], v0, s30, 0
	v_add3_u32 v1, v1, v3, v2
	v_lshl_add_u64 v[0:1], v[0:1], 2, s[10:11]
	global_load_dword v0, v[0:1], off
	s_waitcnt vmcnt(0)
	v_sub_f32_e32 v0, s12, v0
	v_exp_f32_e32 v17, v0
.LBB275_67:
	s_or_b64 exec, exec, s[6:7]
	s_add_u32 s6, s8, s20
	s_addc_u32 s7, s9, s21
	s_add_u32 s8, s28, s20
	v_ashrrev_i32_e32 v47, 31, v46
	v_accvgpr_read_b32 v0, a4
	s_addc_u32 s9, s29, s21
	v_lshlrev_b64 v[4:5], 1, v[46:47]
	v_accvgpr_read_b32 v1, a5
	v_accvgpr_read_b32 v2, a6
	;; [unrolled: 1-line block ×3, first 2 shown]
	v_lshl_add_u64 v[6:7], s[6:7], 0, v[4:5]
	v_lshl_add_u64 v[4:5], s[8:9], 0, v[4:5]
	v_mov_b32_e32 v11, 0
	v_lshlrev_b32_e32 v8, 8, v21
	v_mov_b32_e32 v9, 0
	s_and_saveexec_b64 s[6:7], vcc
	s_cbranch_execz .LBB275_69
; %bb.68:
	v_mov_b32_e32 v9, 0
	v_lshl_add_u64 v[24:25], v[6:7], 0, v[8:9]
	global_load_ushort v13, v[24:25], off
	v_lshl_add_u64 v[24:25], v[4:5], 0, v[8:9]
	s_waitcnt vmcnt(0)
	v_lshlrev_b32_e32 v9, 16, v13
	v_sub_f32_e32 v0, v9, v0
	global_store_short_d16_hi v[24:25], v0, off
	v_mul_f32_e32 v0, v18, v0
	v_lshrrev_b32_e32 v9, 16, v0
.LBB275_69:
	s_or_b64 exec, exec, s[6:7]
	v_lshlrev_b32_e32 v10, 8, v10
	s_and_saveexec_b64 s[6:7], s[2:3]
	s_cbranch_execz .LBB275_71
; %bb.70:
	v_mov_b32_e32 v11, 0
	v_lshl_add_u64 v[24:25], v[6:7], 0, v[10:11]
	global_load_ushort v0, v[24:25], off
	v_lshl_add_u64 v[24:25], v[4:5], 0, v[10:11]
	s_waitcnt vmcnt(0)
	v_lshlrev_b32_e32 v0, 16, v0
	v_sub_f32_e32 v0, v0, v1
	global_store_short_d16_hi v[24:25], v0, off
	v_mul_f32_e32 v0, v16, v0
	v_lshrrev_b32_e32 v11, 16, v0
.LBB275_71:
	s_or_b64 exec, exec, s[6:7]
	v_mov_b32_e32 v15, 0
	v_lshlrev_b32_e32 v12, 8, v12
	v_mov_b32_e32 v13, 0
	s_and_saveexec_b64 s[6:7], s[0:1]
	s_cbranch_execz .LBB275_73
; %bb.72:
	v_mov_b32_e32 v13, 0
	v_lshl_add_u64 v[0:1], v[6:7], 0, v[12:13]
	global_load_ushort v23, v[0:1], off
	v_lshl_add_u64 v[0:1], v[4:5], 0, v[12:13]
	s_waitcnt vmcnt(0)
	v_lshlrev_b32_e32 v13, 16, v23
	v_sub_f32_e32 v2, v13, v2
	global_store_short_d16_hi v[0:1], v2, off
	v_mul_f32_e32 v0, v20, v2
	v_lshrrev_b32_e32 v13, 16, v0
.LBB275_73:
	s_or_b64 exec, exec, s[6:7]
	v_lshlrev_b32_e32 v14, 8, v14
	s_and_saveexec_b64 s[6:7], s[4:5]
	s_cbranch_execz .LBB275_75
; %bb.74:
	v_mov_b32_e32 v15, 0
	v_lshl_add_u64 v[0:1], v[6:7], 0, v[14:15]
	global_load_ushort v2, v[0:1], off
	v_lshl_add_u64 v[0:1], v[4:5], 0, v[14:15]
	s_waitcnt vmcnt(0)
	v_lshlrev_b32_e32 v2, 16, v2
	v_sub_f32_e32 v2, v2, v3
	global_store_short_d16_hi v[0:1], v2, off
	v_mul_f32_e32 v0, v17, v2
	v_lshrrev_b32_e32 v15, 16, v0
.LBB275_75:
	s_or_b64 exec, exec, s[6:7]
	v_lshlrev_b32_e32 v21, 5, v21
	s_mov_b32 s6, 0x5040100
	v_perm_b32 v24, v11, v9, s6
	v_or_b32_e32 v9, v21, v22
	v_accvgpr_read_b32 v0, a0
	v_perm_b32 v25, v15, v13, s6
	v_lshlrev_b32_e32 v9, 1, v9
	v_accvgpr_read_b32 v1, a1
	v_accvgpr_read_b32 v2, a2
	v_accvgpr_read_b32 v3, a3
	ds_write_b64 v9, v[24:25] offset:45056
	v_mov_b32_e32 v11, 0
	v_mov_b32_e32 v9, 0
	s_and_saveexec_b64 s[6:7], vcc
	s_cbranch_execz .LBB275_77
; %bb.76:
	v_mov_b32_e32 v9, 0
	v_lshl_add_u64 v[22:23], v[6:7], 0, v[8:9]
	global_load_ushort v13, v[22:23], off offset:32
	v_lshl_add_u64 v[8:9], v[4:5], 0, v[8:9]
	s_waitcnt vmcnt(0)
	v_lshlrev_b32_e32 v13, 16, v13
	v_sub_f32_e32 v0, v13, v0
	global_store_short_d16_hi v[8:9], v0, off offset:32
	v_mul_f32_e32 v0, v18, v0
	v_lshrrev_b32_e32 v9, 16, v0
.LBB275_77:
	s_or_b64 exec, exec, s[6:7]
	s_and_saveexec_b64 s[6:7], s[2:3]
	s_cbranch_execz .LBB275_79
; %bb.78:
	v_mov_b32_e32 v11, 0
	v_lshl_add_u64 v[22:23], v[6:7], 0, v[10:11]
	global_load_ushort v0, v[22:23], off offset:32
	v_lshl_add_u64 v[10:11], v[4:5], 0, v[10:11]
	s_waitcnt vmcnt(0)
	v_lshlrev_b32_e32 v0, 16, v0
	v_sub_f32_e32 v0, v0, v1
	global_store_short_d16_hi v[10:11], v0, off offset:32
	v_mul_f32_e32 v0, v16, v0
	v_lshrrev_b32_e32 v11, 16, v0
.LBB275_79:
	s_or_b64 exec, exec, s[6:7]
	v_mov_b32_e32 v0, 0
	v_mov_b32_e32 v1, 0
	s_and_saveexec_b64 s[2:3], s[0:1]
	s_cbranch_execz .LBB275_81
; %bb.80:
	v_mov_b32_e32 v13, 0
	v_lshl_add_u64 v[22:23], v[6:7], 0, v[12:13]
	global_load_ushort v1, v[22:23], off offset:32
	v_lshl_add_u64 v[12:13], v[4:5], 0, v[12:13]
	s_waitcnt vmcnt(0)
	v_lshlrev_b32_e32 v1, 16, v1
	v_sub_f32_e32 v1, v1, v2
	global_store_short_d16_hi v[12:13], v1, off offset:32
	v_mul_f32_e32 v1, v20, v1
	v_lshrrev_b32_e32 v1, 16, v1
.LBB275_81:
	s_or_b64 exec, exec, s[2:3]
	s_and_saveexec_b64 s[0:1], s[4:5]
	s_cbranch_execz .LBB275_83
; %bb.82:
	v_mov_b32_e32 v15, 0
	v_lshl_add_u64 v[6:7], v[6:7], 0, v[14:15]
	global_load_ushort v0, v[6:7], off offset:32
	v_lshl_add_u64 v[4:5], v[4:5], 0, v[14:15]
	s_waitcnt vmcnt(0)
	v_lshlrev_b32_e32 v0, 16, v0
	v_sub_f32_e32 v0, v0, v3
	global_store_short_d16_hi v[4:5], v0, off offset:32
	v_mul_f32_e32 v0, v17, v0
	v_lshrrev_b32_e32 v0, 16, v0
.LBB275_83:
	s_or_b64 exec, exec, s[0:1]
	s_mov_b32 s0, 0x5040100
	v_or_b32_e32 v2, v21, v19
	v_perm_b32 v1, v0, v1, s0
	v_perm_b32 v0, v11, v9, s0
	v_lshlrev_b32_e32 v2, 1, v2
	ds_write_b64 v2, v[0:1] offset:45056
	s_waitcnt lgkmcnt(0)
	s_barrier
.LBB275_84:
	s_endpgm
	.section	.rodata,"a",@progbits
	.p2align	6, 0x0
	.amdhsa_kernel _ZN12_GLOBAL__N_139chunk_gated_delta_rule_fwd_h_hip_kernelILi32ELb1ELb0ELb1ELb1ELb1ELb1ELb0ELb1EEEvPK12hip_bfloat16S3_S3_PKfS5_PKvPS1_S8_PvPKiSB_iiiiilll
		.amdhsa_group_segment_fixed_size 49152
		.amdhsa_private_segment_fixed_size 0
		.amdhsa_kernarg_size 136
		.amdhsa_user_sgpr_count 2
		.amdhsa_user_sgpr_dispatch_ptr 0
		.amdhsa_user_sgpr_queue_ptr 0
		.amdhsa_user_sgpr_kernarg_segment_ptr 1
		.amdhsa_user_sgpr_dispatch_id 0
		.amdhsa_user_sgpr_kernarg_preload_length 0
		.amdhsa_user_sgpr_kernarg_preload_offset 0
		.amdhsa_user_sgpr_private_segment_size 0
		.amdhsa_uses_dynamic_stack 0
		.amdhsa_enable_private_segment 0
		.amdhsa_system_sgpr_workgroup_id_x 1
		.amdhsa_system_sgpr_workgroup_id_y 1
		.amdhsa_system_sgpr_workgroup_id_z 0
		.amdhsa_system_sgpr_workgroup_info 0
		.amdhsa_system_vgpr_workitem_id 0
		.amdhsa_next_free_vgpr 164
		.amdhsa_next_free_sgpr 64
		.amdhsa_accum_offset 144
		.amdhsa_reserve_vcc 1
		.amdhsa_float_round_mode_32 0
		.amdhsa_float_round_mode_16_64 0
		.amdhsa_float_denorm_mode_32 3
		.amdhsa_float_denorm_mode_16_64 3
		.amdhsa_dx10_clamp 1
		.amdhsa_ieee_mode 1
		.amdhsa_fp16_overflow 0
		.amdhsa_tg_split 0
		.amdhsa_exception_fp_ieee_invalid_op 0
		.amdhsa_exception_fp_denorm_src 0
		.amdhsa_exception_fp_ieee_div_zero 0
		.amdhsa_exception_fp_ieee_overflow 0
		.amdhsa_exception_fp_ieee_underflow 0
		.amdhsa_exception_fp_ieee_inexact 0
		.amdhsa_exception_int_div_zero 0
	.end_amdhsa_kernel
	.section	.text._ZN12_GLOBAL__N_139chunk_gated_delta_rule_fwd_h_hip_kernelILi32ELb1ELb0ELb1ELb1ELb1ELb1ELb0ELb1EEEvPK12hip_bfloat16S3_S3_PKfS5_PKvPS1_S8_PvPKiSB_iiiiilll,"axG",@progbits,_ZN12_GLOBAL__N_139chunk_gated_delta_rule_fwd_h_hip_kernelILi32ELb1ELb0ELb1ELb1ELb1ELb1ELb0ELb1EEEvPK12hip_bfloat16S3_S3_PKfS5_PKvPS1_S8_PvPKiSB_iiiiilll,comdat
.Lfunc_end275:
	.size	_ZN12_GLOBAL__N_139chunk_gated_delta_rule_fwd_h_hip_kernelILi32ELb1ELb0ELb1ELb1ELb1ELb1ELb0ELb1EEEvPK12hip_bfloat16S3_S3_PKfS5_PKvPS1_S8_PvPKiSB_iiiiilll, .Lfunc_end275-_ZN12_GLOBAL__N_139chunk_gated_delta_rule_fwd_h_hip_kernelILi32ELb1ELb0ELb1ELb1ELb1ELb1ELb0ELb1EEEvPK12hip_bfloat16S3_S3_PKfS5_PKvPS1_S8_PvPKiSB_iiiiilll
                                        ; -- End function
	.section	.AMDGPU.csdata,"",@progbits
; Kernel info:
; codeLenInByte = 8792
; NumSgprs: 70
; NumVgprs: 142
; NumAgprs: 20
; TotalNumVgprs: 164
; ScratchSize: 0
; MemoryBound: 0
; FloatMode: 240
; IeeeMode: 1
; LDSByteSize: 49152 bytes/workgroup (compile time only)
; SGPRBlocks: 8
; VGPRBlocks: 20
; NumSGPRsForWavesPerEU: 70
; NumVGPRsForWavesPerEU: 164
; AccumOffset: 144
; Occupancy: 1
; WaveLimiterHint : 1
; COMPUTE_PGM_RSRC2:SCRATCH_EN: 0
; COMPUTE_PGM_RSRC2:USER_SGPR: 2
; COMPUTE_PGM_RSRC2:TRAP_HANDLER: 0
; COMPUTE_PGM_RSRC2:TGID_X_EN: 1
; COMPUTE_PGM_RSRC2:TGID_Y_EN: 1
; COMPUTE_PGM_RSRC2:TGID_Z_EN: 0
; COMPUTE_PGM_RSRC2:TIDIG_COMP_CNT: 0
; COMPUTE_PGM_RSRC3_GFX90A:ACCUM_OFFSET: 35
; COMPUTE_PGM_RSRC3_GFX90A:TG_SPLIT: 0
	.section	.text._ZN12_GLOBAL__N_139chunk_gated_delta_rule_fwd_h_hip_kernelILi32ELb1ELb0ELb0ELb1ELb1ELb1ELb0ELb1EEEvPK12hip_bfloat16S3_S3_PKfS5_PKvPS1_S8_PvPKiSB_iiiiilll,"axG",@progbits,_ZN12_GLOBAL__N_139chunk_gated_delta_rule_fwd_h_hip_kernelILi32ELb1ELb0ELb0ELb1ELb1ELb1ELb0ELb1EEEvPK12hip_bfloat16S3_S3_PKfS5_PKvPS1_S8_PvPKiSB_iiiiilll,comdat
	.globl	_ZN12_GLOBAL__N_139chunk_gated_delta_rule_fwd_h_hip_kernelILi32ELb1ELb0ELb0ELb1ELb1ELb1ELb0ELb1EEEvPK12hip_bfloat16S3_S3_PKfS5_PKvPS1_S8_PvPKiSB_iiiiilll ; -- Begin function _ZN12_GLOBAL__N_139chunk_gated_delta_rule_fwd_h_hip_kernelILi32ELb1ELb0ELb0ELb1ELb1ELb1ELb0ELb1EEEvPK12hip_bfloat16S3_S3_PKfS5_PKvPS1_S8_PvPKiSB_iiiiilll
	.p2align	8
	.type	_ZN12_GLOBAL__N_139chunk_gated_delta_rule_fwd_h_hip_kernelILi32ELb1ELb0ELb0ELb1ELb1ELb1ELb0ELb1EEEvPK12hip_bfloat16S3_S3_PKfS5_PKvPS1_S8_PvPKiSB_iiiiilll,@function
_ZN12_GLOBAL__N_139chunk_gated_delta_rule_fwd_h_hip_kernelILi32ELb1ELb0ELb0ELb1ELb1ELb1ELb0ELb1EEEvPK12hip_bfloat16S3_S3_PKfS5_PKvPS1_S8_PvPKiSB_iiiiilll: ; @_ZN12_GLOBAL__N_139chunk_gated_delta_rule_fwd_h_hip_kernelILi32ELb1ELb0ELb0ELb1ELb1ELb1ELb0ELb1EEEvPK12hip_bfloat16S3_S3_PKfS5_PKvPS1_S8_PvPKiSB_iiiiilll
; %bb.0:
	s_load_dwordx4 s[12:15], s[0:1], 0x5c
	s_load_dwordx4 s[20:23], s[0:1], 0x70
	s_abs_i32 s9, s3
	s_ashr_i32 s8, s3, 31
	s_load_dwordx4 s[4:7], s[0:1], 0x48
	s_waitcnt lgkmcnt(0)
	s_abs_i32 s10, s13
	v_cvt_f32_u32_e32 v1, s10
	s_sub_i32 s16, 0, s10
	s_ashr_i32 s11, s13, 31
	s_xor_b32 s8, s8, s11
	v_rcp_iflag_f32_e32 v1, v1
	v_and_b32_e32 v64, 15, v0
	v_lshrrev_b32_e32 v62, 6, v0
	v_bfe_u32 v63, v0, 4, 2
	v_mul_f32_e32 v1, 0x4f7ffffe, v1
	v_cvt_u32_f32_e32 v1, v1
	v_mov_b32_e32 v7, 0
	v_and_b32_e32 v45, 63, v0
	v_lshlrev_b32_e32 v65, 3, v0
	v_readfirstlane_b32 s17, v1
	s_mul_i32 s16, s16, s17
	s_mul_hi_u32 s16, s17, s16
	s_add_i32 s17, s17, s16
	s_mul_hi_u32 s16, s9, s17
	s_mul_i32 s17, s16, s10
	s_sub_i32 s9, s9, s17
	s_add_i32 s18, s16, 1
	s_sub_i32 s17, s9, s10
	s_cmp_ge_u32 s9, s10
	s_cselect_b32 s16, s18, s16
	s_cselect_b32 s9, s17, s9
	s_add_i32 s17, s16, 1
	s_cmp_ge_u32 s9, s10
	s_cselect_b32 s9, s17, s16
	s_load_dwordx4 s[16:19], s[0:1], 0x28
	s_xor_b32 s9, s9, s8
	s_sub_i32 s24, s9, s8
	s_mul_i32 s28, s24, s13
	s_ashr_i32 s25, s24, 31
	s_sub_i32 s47, s3, s28
	s_lshl_b64 s[8:9], s[24:25], 2
	s_add_u32 s4, s4, s8
	s_addc_u32 s5, s5, s9
	s_add_u32 s26, s6, s8
	s_addc_u32 s27, s7, s9
	s_abs_i32 s3, s14
	v_cvt_f32_u32_e32 v1, s3
	s_load_dwordx2 s[30:31], s[4:5], 0x0
	s_lshl_b32 s38, s2, 5
	s_ashr_i32 s2, s14, 31
	v_rcp_iflag_f32_e32 v1, v1
	s_xor_b32 s2, s11, s2
	s_waitcnt lgkmcnt(0)
	s_sub_i32 s50, s31, s30
	s_ashr_i32 s4, s50, 31
	v_mul_f32_e32 v1, 0x4f7ffffe, v1
	v_cvt_u32_f32_e32 v1, v1
	s_lshr_b32 s4, s4, 26
	s_add_i32 s4, s50, s4
	s_ashr_i32 s48, s4, 6
	s_sub_i32 s4, 0, s3
	v_readfirstlane_b32 s5, v1
	s_mul_i32 s4, s4, s5
	s_mul_hi_u32 s4, s5, s4
	s_add_i32 s5, s5, s4
	s_mul_hi_u32 s4, s10, s5
	s_mul_i32 s5, s4, s3
	s_sub_i32 s5, s10, s5
	s_add_i32 s6, s4, 1
	s_sub_i32 s7, s5, s3
	s_cmp_ge_u32 s5, s3
	s_cselect_b32 s4, s6, s4
	s_cselect_b32 s5, s7, s5
	s_add_i32 s6, s4, 1
	s_cmp_ge_u32 s5, s3
	s_cselect_b32 s3, s6, s4
	s_xor_b32 s3, s3, s2
	s_sub_i32 s2, s3, s2
	s_abs_i32 s3, s2
	v_cvt_f32_u32_e32 v1, s3
	s_sub_i32 s5, 0, s3
	s_abs_i32 s4, s47
	s_xor_b32 s2, s47, s2
	v_rcp_iflag_f32_e32 v1, v1
	s_ashr_i32 s2, s2, 31
	v_or_b32_e32 v46, s38, v64
	v_lshlrev_b32_e32 v2, 7, v46
	v_mul_f32_e32 v1, 0x4f7ffffe, v1
	v_cvt_u32_f32_e32 v1, v1
	v_ashrrev_i32_e32 v3, 31, v2
	v_lshrrev_b32_e32 v66, 3, v45
	s_mul_i32 s33, s24, s21
	v_readfirstlane_b32 s6, v1
	s_mul_i32 s5, s5, s6
	s_mul_hi_u32 s5, s6, s5
	s_add_i32 s6, s6, s5
	s_mul_hi_u32 s5, s4, s6
	s_mul_i32 s6, s5, s3
	s_sub_i32 s4, s4, s6
	s_add_i32 s6, s5, 1
	s_sub_i32 s7, s4, s3
	s_cmp_ge_u32 s4, s3
	s_cselect_b32 s5, s6, s5
	s_cselect_b32 s4, s7, s4
	s_add_i32 s6, s5, 1
	s_cmp_ge_u32 s4, s3
	s_cselect_b32 s3, s6, s5
	s_xor_b32 s3, s3, s2
	s_sub_i32 s51, s3, s2
	s_ashr_i32 s49, s47, 31
	s_mul_hi_i32 s3, s24, s13
	s_add_u32 s2, s28, s47
	s_addc_u32 s3, s3, s49
	s_lshl_b64 s[2:3], s[2:3], 15
	s_add_u32 s2, s16, s2
	s_addc_u32 s3, s17, s3
	v_lshlrev_b32_e32 v1, 4, v62
	v_lshl_add_u64 v[4:5], v[2:3], 1, s[2:3]
	v_or_b32_e32 v2, 0x800, v2
	v_lshl_or_b32 v67, v63, 2, v1
	v_ashrrev_i32_e32 v3, 31, v2
	v_lshlrev_b32_e32 v6, 1, v67
	v_lshl_add_u64 v[2:3], v[2:3], 1, s[2:3]
	v_lshl_add_u64 v[4:5], v[4:5], 0, v[6:7]
	;; [unrolled: 1-line block ×3, first 2 shown]
	global_load_dwordx2 v[8:9], v[4:5], off
	v_or_b32_e32 v68, 64, v67
	global_load_dwordx2 v[4:5], v[4:5], off offset:128
	s_nop 0
	global_load_dwordx2 v[6:7], v[2:3], off
	global_load_dwordx2 v[10:11], v[2:3], off offset:128
	s_load_dwordx8 s[4:11], s[0:1], 0x0
	s_load_dwordx2 s[28:29], s[0:1], 0x80
	s_load_dword s54, s[26:27], 0x0
	s_mul_hi_u32 s42, s24, s20
	s_mul_i32 s34, s24, s20
	s_mul_i32 s43, s25, s20
	s_mul_hi_i32 s52, s47, s12
	s_mul_i32 s53, s47, s12
	s_mul_i32 s44, s47, s23
	s_mul_hi_u32 s45, s47, s22
	s_mul_i32 s46, s49, s22
	s_cmp_lt_i32 s50, 64
	s_mul_i32 s36, s47, s22
	s_waitcnt vmcnt(3)
	v_and_b32_e32 v51, 0xffff0000, v8
	v_lshlrev_b32_e32 v50, 16, v8
	v_and_b32_e32 v55, 0xffff0000, v9
	v_lshlrev_b32_e32 v54, 16, v9
	s_waitcnt vmcnt(2)
	v_and_b32_e32 v49, 0xffff0000, v4
	v_lshlrev_b32_e32 v48, 16, v4
	v_and_b32_e32 v53, 0xffff0000, v5
	v_lshlrev_b32_e32 v52, 16, v5
	;; [unrolled: 5-line block ×4, first 2 shown]
	s_cbranch_scc1 .LBB276_3
; %bb.1:
	s_ashr_i32 s3, s30, 31
	s_add_u32 s2, s53, s30
	s_addc_u32 s3, s52, s3
	s_lshl_b64 s[2:3], s[2:3], 8
	v_and_b32_e32 v76, 56, v65
	s_waitcnt lgkmcnt(0)
	s_add_u32 s20, s6, s2
	v_lshl_or_b32 v75, v62, 3, v66
	v_lshlrev_b32_e32 v2, 1, v76
	s_addc_u32 s2, s7, s3
	v_lshl_or_b32 v78, v75, 8, v2
	s_and_b32 s21, s2, 0xffff
	s_mov_b32 s23, 0x20000
	s_movk_i32 s22, 0x4000
	s_movk_i32 s2, 0x80
	v_or_b32_e32 v79, 0x2000, v78
	buffer_load_dwordx4 v[4:7], v78, s[20:23], 0 offen
	buffer_load_dwordx4 v[8:11], v78, s[20:23], s2 offen
	;; [unrolled: 1-line block ×4, first 2 shown]
	v_lshlrev_b32_e32 v3, 3, v75
	v_and_or_b32 v21, v0, 7, v3
	v_and_b32_e32 v3, 0x78, v3
	v_lshlrev_b32_e32 v21, 4, v21
	v_xor_b32_e32 v81, v21, v3
	v_mul_lo_u32 v20, v75, s15
	v_or_b32_e32 v82, 0x1000, v81
	v_xor_b32_e32 v3, 8, v81
	s_cmpk_eq_i32 s15, 0x80
	s_mov_b32 s55, s30
	v_xor_b32_e32 v21, 8, v82
	s_cselect_b64 s[2:3], -1, 0
	s_cmpk_lg_i32 s15, 0x80
	s_waitcnt vmcnt(3)
	ds_write_b64 v81, v[4:5] offset:24576
	ds_write_b64 v3, v[6:7] offset:24576
	s_waitcnt vmcnt(2)
	ds_write_b64 v81, v[8:9] offset:32768
	ds_write_b64 v3, v[10:11] offset:32768
	;; [unrolled: 3-line block ×4, first 2 shown]
	v_lshl_add_u32 v3, v20, 1, v76
	s_cbranch_scc0 .LBB276_29
; %bb.2:
	v_lshlrev_b32_e32 v5, 1, v3
	v_add_lshl_u32 v4, v3, s15, 1
	s_lshl_b32 s22, s15, 7
	s_load_dwordx2 s[16:17], s[0:1], 0x20
	v_lshl_or_b32 v2, v75, 9, v2
	s_cbranch_execz .LBB276_30
	s_branch .LBB276_31
.LBB276_3:
	v_mov_b32_e32 v5, v77
	v_mov_b32_e32 v9, v80
.LBB276_4:
	s_lshl_b32 s26, s48, 6
	s_sub_i32 s27, s50, s26
	s_cmp_gt_i32 s27, 0
	s_cbranch_scc0 .LBB276_84
; %bb.5:
	s_add_i32 s26, s26, s30
	s_ashr_i32 s2, s26, 31
	s_cmpk_lg_i32 s15, 0x80
	s_cselect_b64 s[22:23], -1, 0
	s_and_b64 vcc, exec, s[22:23]
	s_cbranch_vccz .LBB276_7
; %bb.6:
	s_mul_i32 s1, s26, s14
	s_ashr_i32 s3, s51, 31
	s_mul_hi_i32 s0, s26, s14
	s_add_u32 s24, s1, s51
	s_addc_u32 s25, s0, s3
	s_cbranch_execz .LBB276_8
	s_branch .LBB276_9
.LBB276_7:
                                        ; implicit-def: $sgpr24_sgpr25
.LBB276_8:
	s_mul_i32 s1, s51, s12
	s_mul_hi_i32 s0, s51, s12
	s_add_u32 s24, s1, s26
	s_addc_u32 s25, s0, s2
.LBB276_9:
	s_waitcnt lgkmcnt(0)
	s_add_i32 s3, s48, s54
	s_add_u32 s0, s53, s26
	v_lshlrev_b32_e32 v8, 5, v67
	v_lshlrev_b32_e32 v22, 2, v64
	s_addc_u32 s1, s52, s2
	s_mov_b32 s2, 0x7060302
	v_or_b32_e32 v11, v8, v22
	v_xor_b32_e32 v4, v67, v22
	v_perm_b32 v3, v55, v54, s2
	v_perm_b32 v2, v51, v50, s2
	;; [unrolled: 1-line block ×4, first 2 shown]
	v_lshlrev_b32_e32 v11, 1, v11
	s_lshl_b64 s[20:21], s[0:1], 8
	v_xor_b32_e32 v10, v68, v22
	ds_write2st64_b64 v11, v[2:3], v[6:7] offset0:80 offset1:88
	v_lshlrev_b32_e32 v11, 1, v4
	v_lshlrev_b32_e32 v4, 8, v64
	s_add_u32 s0, s6, s20
	v_or_b32_e32 v12, v11, v4
	v_lshlrev_b32_e32 v10, 1, v10
	s_addc_u32 s1, s7, s21
	ds_write_b64 v12, v[2:3]
	v_or_b32_e32 v2, v10, v4
	s_mul_hi_i32 s6, s3, s13
	s_mul_i32 s3, s3, s13
	ds_write_b64 v2, v[6:7]
	v_perm_b32 v3, v9, v73, s2
	v_perm_b32 v2, v69, v71, s2
	;; [unrolled: 1-line block ×4, first 2 shown]
	v_or_b32_e32 v6, 16, v64
	s_add_u32 s2, s3, s47
	v_lshlrev_b32_e32 v19, 2, v6
	s_addc_u32 s3, s6, s49
	v_or_b32_e32 v7, v8, v19
	s_ashr_i32 s39, s38, 31
	s_lshl_b64 s[2:3], s[2:3], 15
	v_lshlrev_b32_e32 v7, 1, v7
	v_lshlrev_b32_e32 v6, 8, v6
	s_add_u32 s6, s18, s2
	ds_write2st64_b64 v7, v[2:3], v[4:5] offset0:80 offset1:88
	v_or_b32_e32 v7, v11, v6
	s_addc_u32 s7, s19, s3
	s_lshl_b64 s[2:3], s[38:39], 8
	ds_write_b64 v7, v[2:3]
	v_or_b32_e32 v2, v10, v6
	s_add_u32 s2, s6, s2
	ds_write_b64 v2, v[4:5]
	v_lshrrev_b32_e32 v2, 4, v0
	s_addc_u32 s3, s7, s3
	v_lshlrev_b32_e32 v3, 1, v64
	v_lshlrev_b32_e32 v10, 4, v64
	v_mov_b32_e32 v11, 0
	v_or_b32_e32 v4, 1, v3
	v_xor_b32_e32 v3, v2, v3
	v_lshl_add_u64 v[12:13], s[2:3], 0, v[10:11]
	v_lshlrev_b32_e32 v10, 8, v2
	v_xor_b32_e32 v6, v4, v2
	v_lshl_or_b32 v2, v3, 3, v10
	s_waitcnt lgkmcnt(0)
	s_barrier
	ds_read2st64_b64 v[2:5], v2 offset1:8
	v_lshl_or_b32 v6, v6, 3, v10
	ds_read2st64_b64 v[6:9], v6 offset1:8
	v_lshl_add_u64 v[14:15], v[12:13], 0, v[10:11]
	s_movk_i32 s2, 0x1000
	s_waitcnt lgkmcnt(1)
	v_mov_b32_e32 v10, v2
	v_add_co_u32_e32 v2, vcc, s2, v14
	s_cmp_lg_u32 s27, 64
	v_mov_b32_e32 v11, v3
	v_addc_co_u32_e32 v3, vcc, 0, v15, vcc
	s_cselect_b64 s[6:7], -1, 0
	v_lshl_or_b32 v23, v62, 3, v66
	s_waitcnt lgkmcnt(0)
	v_mov_b32_e32 v12, v6
	v_mov_b32_e32 v13, v7
	;; [unrolled: 1-line block ×4, first 2 shown]
	s_mov_b32 s16, 0
	v_or_b32_e32 v20, 32, v23
	v_and_b32_e32 v18, 56, v65
	s_and_b64 vcc, exec, s[6:7]
	global_store_dwordx4 v[14:15], v[10:13], off
	global_store_dwordx4 v[2:3], v[6:9], off
	s_cbranch_vccz .LBB276_15
; %bb.10:
	s_mov_b32 s17, s16
	s_mov_b32 s18, s16
	;; [unrolled: 1-line block ×3, first 2 shown]
	v_mov_b64_e32 v[6:7], s[16:17]
	v_mov_b64_e32 v[8:9], s[18:19]
	;; [unrolled: 1-line block ×3, first 2 shown]
	v_cmp_gt_i32_e32 vcc, s27, v23
	v_mov_b64_e32 v[4:5], v[8:9]
	s_and_saveexec_b64 s[2:3], vcc
	s_cbranch_execz .LBB276_12
; %bb.11:
	v_lshlrev_b32_e32 v2, 8, v23
	v_mov_b32_e32 v3, 0
	v_lshl_add_u64 v[4:5], s[0:1], 0, v[2:3]
	v_lshlrev_b32_e32 v2, 1, v18
	v_lshl_add_u64 v[10:11], v[4:5], 0, v[2:3]
	global_load_dwordx4 v[6:9], v[10:11], off
	global_load_dwordx4 v[2:5], v[10:11], off offset:128
.LBB276_12:
	s_or_b64 exec, exec, s[2:3]
	s_mov_b32 s17, s16
	s_mov_b32 s18, s16
	;; [unrolled: 1-line block ×3, first 2 shown]
	v_mov_b64_e32 v[14:15], s[16:17]
	v_mov_b64_e32 v[16:17], s[18:19]
	;; [unrolled: 1-line block ×3, first 2 shown]
	v_cmp_gt_i32_e32 vcc, s27, v20
	v_lshlrev_b32_e32 v21, 7, v20
	v_mov_b64_e32 v[12:13], v[16:17]
	s_and_saveexec_b64 s[2:3], vcc
	s_cbranch_execz .LBB276_14
; %bb.13:
	v_lshlrev_b32_e32 v10, 1, v21
	v_mov_b32_e32 v11, 0
	v_lshl_add_u64 v[12:13], s[0:1], 0, v[10:11]
	v_lshlrev_b32_e32 v10, 1, v18
	v_lshl_add_u64 v[24:25], v[12:13], 0, v[10:11]
	global_load_dwordx4 v[14:17], v[24:25], off
	global_load_dwordx4 v[10:13], v[24:25], off offset:128
.LBB276_14:
	s_or_b64 exec, exec, s[2:3]
	v_lshrrev_b32_e32 v24, 3, v18
	v_lshlrev_b32_e32 v25, 3, v23
	v_or_b32_e32 v24, v25, v24
	v_lshlrev_b32_e32 v24, 4, v24
	v_and_b32_e32 v25, 0x78, v25
	v_xor_b32_e32 v24, v24, v25
	s_branch .LBB276_17
.LBB276_15:
                                        ; implicit-def: $vgpr24
                                        ; implicit-def: $vgpr21
                                        ; implicit-def: $vgpr6_vgpr7_vgpr8_vgpr9
                                        ; implicit-def: $vgpr2_vgpr3_vgpr4_vgpr5
                                        ; implicit-def: $vgpr14_vgpr15_vgpr16_vgpr17
                                        ; implicit-def: $vgpr10_vgpr11_vgpr12_vgpr13
	s_cbranch_execz .LBB276_17
; %bb.16:
	s_waitcnt vmcnt(0)
	v_lshlrev_b32_e32 v2, 1, v18
	v_lshl_or_b32 v21, v23, 8, v2
	s_and_b32 s1, s1, 0xffff
	s_mov_b32 s3, 0x20000
	s_movk_i32 s2, 0x4000
	v_lshl_or_b32 v24, v20, 8, v2
	s_movk_i32 s12, 0x80
	buffer_load_dwordx4 v[6:9], v21, s[0:3], 0 offen
	buffer_load_dwordx4 v[2:5], v21, s[0:3], s12 offen
	;; [unrolled: 1-line block ×4, first 2 shown]
	v_lshrrev_b32_e32 v21, 3, v18
	v_lshlrev_b32_e32 v24, 3, v23
	v_or_b32_e32 v21, v24, v21
	v_lshlrev_b32_e32 v21, 4, v21
	v_and_b32_e32 v24, 0x78, v24
	v_xor_b32_e32 v24, v21, v24
	v_lshlrev_b32_e32 v21, 7, v20
.LBB276_17:
	s_lshl_b64 s[0:1], s[24:25], 8
	s_add_u32 s4, s4, s0
	s_movk_i32 s0, 0x1000
	v_and_or_b32 v20, v21, s0, v24
	s_waitcnt vmcnt(1)
	ds_write_b64 v24, v[6:7] offset:24576
	v_xor_b32_e32 v6, 8, v24
	ds_write_b64 v6, v[8:9] offset:24576
	s_waitcnt vmcnt(0)
	ds_write_b64 v24, v[2:3] offset:32768
	ds_write_b64 v6, v[4:5] offset:32768
	;; [unrolled: 1-line block ×3, first 2 shown]
	v_xor_b32_e32 v2, 8, v20
	ds_write_b64 v2, v[16:17] offset:24576
	ds_write_b64 v20, v[10:11] offset:32768
	;; [unrolled: 1-line block ×3, first 2 shown]
	v_or_b32_e32 v2, v1, v64
	v_lshlrev_b32_e32 v3, 11, v62
	v_lshlrev_b32_e32 v2, 3, v2
	v_and_b32_e32 v6, 0x1000, v3
	v_lshrrev_b32_e32 v3, 5, v45
	s_movk_i32 s3, 0xf8
	v_and_or_b32 v3, v2, s3, v3
	v_lshlrev_b32_e32 v7, 4, v3
	v_and_b32_e32 v8, 0x78, v2
	v_or_b32_e32 v10, 32, v7
	v_lshrrev_b32_e32 v3, 1, v45
	v_xor_b32_e32 v10, v10, v8
	v_xor_b32_e32 v2, v7, v8
	v_and_b32_e32 v9, 8, v3
	v_or_b32_e32 v10, v10, v6
	v_or_b32_e32 v2, v2, v6
	v_xor_b32_e32 v26, v10, v9
	v_or_b32_e32 v10, 64, v7
	v_xor_b32_e32 v25, v2, v9
	v_xor_b32_e32 v10, v10, v8
	s_waitcnt lgkmcnt(0)
	s_barrier
	v_or_b32_e32 v12, v10, v6
	ds_read_b64 v[10:11], v25 offset:24576
	v_lshl_or_b32 v20, v63, 7, v22
	v_lshlrev_b32_e32 v24, 1, v20
	v_add_u32_e32 v2, 0xa000, v24
	ds_read2_b64 v[2:5], v2 offset1:16
	v_or_b32_e32 v7, 0x60, v7
	v_xor_b32_e32 v7, v7, v8
	s_waitcnt lgkmcnt(0)
	v_mfma_f32_16x16x16_bf16 a[0:3], v[10:11], v[2:3], 0
	v_or_b32_e32 v2, 64, v20
	v_or_b32_e32 v6, v7, v6
	v_lshlrev_b32_e32 v29, 1, v2
	v_xor_b32_e32 v27, v12, v9
	v_xor_b32_e32 v28, v6, v9
	ds_read_b64 v[12:13], v26 offset:24576
	ds_read_b64 v[14:15], v27 offset:24576
	;; [unrolled: 1-line block ×3, first 2 shown]
	v_mfma_f32_16x16x16_bf16 a[4:7], v[10:11], v[4:5], 0
	ds_read2st64_b64 v[2:5], v29 offset0:82 offset1:84
	ds_read2st64_b64 v[6:9], v24 offset0:82 offset1:84
	s_addc_u32 s5, s5, s1
	s_add_i32 s1, s42, s33
	s_add_i32 s0, s31, -1
	s_add_i32 s35, s1, s43
	s_add_i32 s1, s45, s44
	;; [unrolled: 1-line block ×3, first 2 shown]
	s_ashr_i32 s1, s0, 31
	s_mul_i32 s2, s0, s29
	s_mul_hi_u32 s3, s0, s28
	s_add_i32 s2, s3, s2
	s_mul_i32 s1, s1, s28
	s_waitcnt lgkmcnt(1)
	v_mfma_f32_16x16x16_bf16 a[4:7], v[12:13], v[2:3], a[4:7]
	s_add_i32 s1, s2, s1
	s_lshl_b64 s[2:3], s[34:35], 2
	s_add_u32 s10, s10, s2
	s_waitcnt lgkmcnt(0)
	v_mfma_f32_16x16x16_bf16 a[0:3], v[12:13], v[6:7], a[0:3]
	s_addc_u32 s11, s11, s3
	s_lshl_b64 s[2:3], s[36:37], 2
	s_mul_i32 s0, s0, s28
	s_add_u32 s10, s10, s2
	ds_read_b64 v[2:3], v24 offset:44032
	v_mfma_f32_16x16x16_bf16 a[4:7], v[14:15], v[4:5], a[4:7]
	ds_read_b64 v[4:5], v29 offset:44032
	s_addc_u32 s11, s11, s3
	s_lshl_b64 s[0:1], s[0:1], 2
	v_mfma_f32_16x16x16_bf16 a[0:3], v[14:15], v[8:9], a[0:3]
	s_add_u32 s0, s10, s0
	s_addc_u32 s1, s11, s1
	s_load_dword s12, s[0:1], 0x0
	s_waitcnt lgkmcnt(0)
	v_mfma_f32_16x16x16_bf16 a[0:3], v[16:17], v[2:3], a[0:3]
	s_and_b64 vcc, exec, s[22:23]
	v_mfma_f32_16x16x16_bf16 a[4:7], v[16:17], v[4:5], a[4:7]
	s_cbranch_vccz .LBB276_28
; %bb.18:
	v_lshlrev_b32_e32 v20, 1, v23
	s_and_b64 vcc, exec, s[6:7]
	s_cbranch_vccz .LBB276_44
; %bb.19:
	v_cmp_gt_i32_e32 vcc, s27, v20
	v_mov_b32_e32 v6, 0
	v_mov_b32_e32 v2, 0
	;; [unrolled: 1-line block ×5, first 2 shown]
	s_and_saveexec_b64 s[0:1], vcc
	s_cbranch_execz .LBB276_21
; %bb.20:
	v_mad_i64_i32 v[2:3], s[2:3], s15, v20, 0
	v_lshl_add_u64 v[2:3], v[2:3], 1, s[4:5]
	v_lshlrev_b32_e32 v4, 1, v18
	v_mov_b32_e32 v5, 0
	v_lshl_add_u64 v[2:3], v[2:3], 0, v[4:5]
	global_load_dwordx4 v[2:5], v[2:3], off
.LBB276_21:
	s_or_b64 exec, exec, s[0:1]
	v_or_b32_e32 v21, 1, v20
	v_cmp_gt_i32_e64 s[0:1], s27, v21
	v_mov_b32_e32 v7, 0
	v_mov_b32_e32 v8, 0
	;; [unrolled: 1-line block ×3, first 2 shown]
	s_and_saveexec_b64 s[2:3], s[0:1]
	s_cbranch_execz .LBB276_23
; %bb.22:
	v_mad_i64_i32 v[6:7], s[16:17], s15, v21, 0
	v_lshl_add_u64 v[6:7], v[6:7], 1, s[4:5]
	v_lshlrev_b32_e32 v8, 1, v18
	v_mov_b32_e32 v9, 0
	v_lshl_add_u64 v[6:7], v[6:7], 0, v[8:9]
	global_load_dwordx4 v[6:9], v[6:7], off
.LBB276_23:
	s_or_b64 exec, exec, s[2:3]
	v_mov_b32_e32 v17, 0
	v_mov_b32_e32 v10, 0
	;; [unrolled: 1-line block ×5, first 2 shown]
	s_and_saveexec_b64 s[2:3], vcc
	s_cbranch_execz .LBB276_25
; %bb.24:
	v_mad_i64_i32 v[10:11], s[16:17], s15, v20, 0
	v_lshl_add_u64 v[10:11], v[10:11], 1, s[4:5]
	v_lshlrev_b32_e32 v12, 1, v18
	v_mov_b32_e32 v13, 0
	v_lshl_add_u64 v[10:11], v[10:11], 0, v[12:13]
	global_load_dwordx4 v[10:13], v[10:11], off offset:128
.LBB276_25:
	s_or_b64 exec, exec, s[2:3]
	v_mov_b32_e32 v16, 0
	v_mov_b32_e32 v15, 0
	;; [unrolled: 1-line block ×3, first 2 shown]
	s_and_saveexec_b64 s[2:3], s[0:1]
	s_cbranch_execz .LBB276_27
; %bb.26:
	v_mad_i64_i32 v[14:15], s[0:1], s15, v21, 0
	v_lshl_add_u64 v[14:15], v[14:15], 1, s[4:5]
	v_lshlrev_b32_e32 v16, 1, v18
	v_mov_b32_e32 v17, 0
	v_lshl_add_u64 v[14:15], v[14:15], 0, v[16:17]
	global_load_dwordx4 v[14:17], v[14:15], off offset:128
.LBB276_27:
	s_or_b64 exec, exec, s[2:3]
	s_branch .LBB276_46
.LBB276_28:
                                        ; implicit-def: $vgpr5
                                        ; implicit-def: $vgpr9
                                        ; implicit-def: $vgpr13
                                        ; implicit-def: $vgpr17
	v_lshrrev_b32_e32 v30, 2, v45
	s_branch .LBB276_47
.LBB276_29:
                                        ; implicit-def: $vgpr4
                                        ; implicit-def: $vgpr5
                                        ; implicit-def: $sgpr22
	s_load_dwordx2 s[16:17], s[0:1], 0x20
	v_lshl_or_b32 v2, v75, 9, v2
.LBB276_30:
	v_or_b32_e32 v4, 0x100, v2
	s_movk_i32 s22, 0x4000
	v_mov_b32_e32 v5, v2
.LBB276_31:
	s_mul_i32 s0, s30, s14
	s_ashr_i32 s56, s51, 31
	s_mul_hi_i32 s1, s30, s14
	s_add_u32 s0, s0, s51
	s_addc_u32 s1, s1, s56
	s_lshl_b64 s[0:1], s[0:1], 8
	s_add_u32 s20, s4, s0
	s_addc_u32 s0, s5, s1
	s_and_b32 s21, s0, 0xffff
	s_movk_i32 s57, 0x80
	buffer_load_dwordx4 v[6:9], v5, s[20:23], 0 offen
	buffer_load_dwordx4 v[10:13], v5, s[20:23], s57 offen
	;; [unrolled: 1-line block ×4, first 2 shown]
	v_and_b32_e32 v4, 6, v0
	v_lshlrev_b32_e32 v23, 6, v67
	v_or_b32_e32 v25, 16, v64
	v_xor_b32_e32 v26, v75, v4
	v_and_b32_e32 v5, 1, v0
	v_lshl_or_b32 v29, v64, 3, v23
	v_lshl_or_b32 v23, v25, 3, v23
	v_lshlrev_b32_e32 v26, 2, v26
	v_lshlrev_b32_e32 v22, 2, v64
	v_or_b32_e32 v85, 0xa000, v23
	v_or_b32_e32 v86, 0xb000, v23
	v_xor_b32_e32 v23, 0x440, v26
	v_cmp_eq_u32_e32 vcc, 0, v5
	s_add_i32 s0, s42, s33
	v_xor_b32_e32 v27, v67, v22
	v_xor_b32_e32 v28, v68, v22
	v_cndmask_b32_e32 v5, v23, v26, vcc
	s_add_i32 s1, s45, s44
	s_add_i32 s35, s0, s43
	s_mov_b32 s58, 0x1000504
	v_lshlrev_b32_e32 v24, 8, v64
	v_lshlrev_b32_e32 v25, 8, v25
	;; [unrolled: 1-line block ×4, first 2 shown]
	v_lshl_or_b32 v4, v4, 10, v5
	s_add_i32 s37, s1, s46
	s_lshl_b64 s[0:1], s[34:35], 2
	s_mov_b32 s59, 0x3020706
	v_or_b32_e32 v83, 0xa000, v29
	v_or_b32_e32 v84, 0xb000, v29
	v_or_b32_e32 v87, v24, v27
	v_or_b32_e32 v88, v24, v28
	v_or_b32_e32 v90, v25, v28
	v_xor_b32_e32 v5, 8, v4
	v_xor_b32_e32 v24, 24, v4
	;; [unrolled: 1-line block ×4, first 2 shown]
	s_add_u32 s20, s10, s0
	v_or_b32_e32 v89, v25, v27
	v_xor_b32_e32 v23, 16, v4
	v_xor_b32_e32 v25, 32, v4
	;; [unrolled: 1-line block ×3, first 2 shown]
	v_add_u32_e32 v5, 0x80, v5
	v_add_u32_e32 v24, 0x80, v24
	;; [unrolled: 1-line block ×4, first 2 shown]
	s_addc_u32 s21, s11, s1
	s_lshl_b64 s[0:1], s[36:37], 2
	s_add_u32 s40, s20, s0
	s_movk_i32 s0, 0xf8
	s_addc_u32 s41, s21, s1
	s_ashr_i32 s39, s38, 31
	s_lshl_b32 s26, s15, 7
	s_movk_i32 s20, 0x100
	v_mov_b32_e32 v57, 0
	v_lshlrev_b32_e32 v56, 4, v64
	v_cmp_gt_u32_e32 vcc, s20, v0
	v_ashrrev_i32_e32 v47, 31, v46
	s_mov_b32 s60, 0
	s_movk_i32 s35, 0x1000
	s_movk_i32 s22, 0x4000
	v_lshl_add_u64 v[58:59], v[46:47], 1, s[8:9]
	s_mov_b32 s37, 0x7060302
	s_waitcnt vmcnt(1)
	v_perm_b32 v29, v6, v14, s58
	s_waitcnt vmcnt(0)
	v_perm_b32 v30, v10, v18, s58
	v_perm_b32 v6, v6, v14, s59
	;; [unrolled: 1-line block ×15, first 2 shown]
	ds_write2st64_b32 v4, v29, v30 offset0:32 offset1:64
	ds_write2st64_b32 v5, v6, v10 offset0:32 offset1:64
	;; [unrolled: 1-line block ×8, first 2 shown]
	v_or_b32_e32 v4, v1, v64
	v_lshlrev_b32_e32 v4, 3, v4
	v_lshrrev_b32_e32 v7, 5, v45
	v_and_or_b32 v7, v4, s0, v7
	v_lshlrev_b32_e32 v7, 4, v7
	v_lshlrev_b32_e32 v9, 11, v62
	v_and_b32_e32 v4, 0x78, v4
	v_or_b32_e32 v12, 32, v7
	v_and_b32_e32 v6, 0x1000, v9
	v_lshrrev_b32_e32 v10, 1, v45
	v_xor_b32_e32 v12, v12, v4
	v_xor_b32_e32 v8, v7, v4
	v_and_b32_e32 v10, 8, v10
	v_or_b32_e32 v12, v12, v6
	v_or_b32_e32 v8, v8, v6
	v_lshlrev_b32_e32 v11, 7, v63
	v_xor_b32_e32 v93, v12, v10
	v_or_b32_e32 v12, 64, v7
	v_or_b32_e32 v7, 0x60, v7
	v_xor_b32_e32 v91, v8, v10
	v_or_b32_e32 v8, v11, v22
	v_xor_b32_e32 v12, v12, v4
	v_xor_b32_e32 v4, v7, v4
	s_lshl_b64 s[0:1], s[38:39], 8
	v_lshlrev_b32_e32 v8, 1, v8
	v_or_b32_e32 v12, v12, v6
	v_or_b32_e32 v4, v4, v6
	s_add_u32 s0, s18, s0
	v_lshlrev_b32_e32 v6, 1, v64
	v_or_b32_e32 v92, 0xa000, v8
	v_or_b32_e32 v94, 0xa080, v8
	;; [unrolled: 1-line block ×4, first 2 shown]
	v_lshrrev_b32_e32 v8, 4, v0
	s_addc_u32 s1, s19, s1
	v_or_b32_e32 v7, 1, v6
	v_mov_b32_e32 v17, 0x4000
	v_mov_b32_e32 v18, 0x2000
	v_lshrrev_b32_e32 v19, 1, v0
	v_xor_b32_e32 v95, v12, v10
	v_xor_b32_e32 v96, v4, v10
	;; [unrolled: 1-line block ×4, first 2 shown]
	v_lshl_add_u64 v[6:7], s[0:1], 0, v[56:57]
	v_lshlrev_b32_e32 v56, 8, v8
	v_cndmask_b32_e32 v17, v17, v18, vcc
	v_lshlrev_b32_e32 v18, 3, v62
	v_and_b32_e32 v19, 24, v19
	v_lshl_or_b32 v99, v10, 3, v56
	v_and_b32_e32 v10, 8, v0
	v_xor_b32_e32 v20, v18, v19
	v_or_b32_e32 v21, 0x440, v20
	v_cmp_eq_u32_e32 vcc, 0, v10
	v_and_b32_e32 v8, 7, v0
	v_lshl_or_b32 v100, v14, 3, v56
	v_cndmask_b32_e32 v10, v21, v20, vcc
	v_lshlrev_b32_e32 v14, 3, v8
	v_lshlrev_b32_e32 v16, 2, v0
	v_or_b32_e32 v10, v10, v9
	v_xor_b32_e32 v20, v10, v14
	v_and_or_b32 v10, v16, 60, v11
	v_mov_b32_e32 v11, 0xb000
	v_lshl_or_b32 v101, v10, 1, v11
	v_or_b32_e32 v10, 32, v19
	v_xor_b32_e32 v10, v18, v10
	v_or_b32_e32 v11, 0x440, v10
	v_cndmask_b32_e32 v10, v11, v10, vcc
	v_or_b32_e32 v10, v10, v9
	v_xor_b32_e32 v11, v10, v14
	v_or_b32_e32 v10, 64, v19
	v_xor_b32_e32 v10, v18, v10
	v_xor_b32_e32 v22, 0x440, v10
	v_cndmask_b32_e32 v10, v22, v10, vcc
	v_or_b32_e32 v10, v10, v9
	v_xor_b32_e32 v22, v10, v14
	v_or_b32_e32 v10, 0x60, v19
	v_xor_b32_e32 v10, v18, v10
	v_xor_b32_e32 v18, 0x440, v10
	v_cndmask_b32_e32 v10, v18, v10, vcc
	v_lshrrev_b32_e32 v5, 2, v45
	v_or_b32_e32 v9, v10, v9
	v_and_b32_e32 v5, 12, v5
	v_xor_b32_e32 v9, v9, v14
	v_lshlrev_b32_e32 v4, 7, v67
	v_lshlrev_b32_e32 v12, 1, v3
	v_add_lshl_u32 v3, v3, s15, 1
	v_or_b32_e32 v13, 0x100, v2
	v_lshlrev_b32_e32 v15, 7, v8
	v_or_b32_e32 v8, v5, v1
	v_add_u32_e32 v21, v17, v20
	v_add_u32_e32 v16, v17, v11
	;; [unrolled: 1-line block ×4, first 2 shown]
	v_or3_b32 v10, v1, v5, 64
	v_add_u32_e32 v5, 0x4000, v20
	v_add_u32_e32 v11, 0x4000, v11
	;; [unrolled: 1-line block ×4, first 2 shown]
	v_cndmask_b32_e64 v102, v12, v2, s[2:3]
	v_cndmask_b32_e64 v103, v3, v13, s[2:3]
	v_lshl_add_u64 v[60:61], v[6:7], 0, v[56:57]
	v_lshlrev_b32_e32 v56, 1, v4
	v_lshlrev_b32_e32 v47, 2, v8
	v_add_u32_e32 v104, v21, v15
	v_add_u32_e32 v105, v16, v15
	;; [unrolled: 1-line block ×4, first 2 shown]
	v_lshlrev_b32_e32 v108, 2, v10
	v_add_u32_e32 v109, v5, v15
	v_add_u32_e32 v110, v11, v15
	v_add_u32_e32 v111, v17, v15
	v_add_u32_e32 v112, v9, v15
	s_waitcnt lgkmcnt(0)
	s_barrier
.LBB276_32:                             ; =>This Inner Loop Header: Depth=1
	s_add_i32 s39, s60, 1
	s_cmp_lt_i32 s39, s48
	s_mov_b64 s[24:25], 0
	s_cselect_b64 s[2:3], -1, 0
	s_cmp_ge_i32 s39, s48
	s_mov_b64 s[20:21], 0
	s_cbranch_scc1 .LBB276_34
; %bb.33:                               ;   in Loop: Header=BB276_32 Depth=1
	s_add_i32 s0, s55, 64
	s_ashr_i32 s1, s0, 31
	s_add_u32 s0, s53, s0
	s_addc_u32 s1, s52, s1
	s_lshl_b64 s[0:1], s[0:1], 8
	s_add_u32 s20, s6, s0
	s_addc_u32 s21, s7, s1
.LBB276_34:                             ;   in Loop: Header=BB276_32 Depth=1
	v_cndmask_b32_e64 v2, 0, 1, s[2:3]
	v_cmp_ne_u32_e64 s[0:1], 1, v2
	s_andn2_b64 vcc, exec, s[2:3]
	s_cbranch_vccnz .LBB276_36
; %bb.35:                               ;   in Loop: Header=BB276_32 Depth=1
	s_add_i32 s2, s55, 64
	s_mul_hi_i32 s3, s2, s14
	s_mul_i32 s2, s2, s14
	s_add_u32 s2, s2, s51
	s_addc_u32 s3, s3, s56
	s_lshl_b64 s[2:3], s[2:3], 8
	s_add_u32 s24, s4, s2
	s_addc_u32 s25, s5, s3
.LBB276_36:                             ;   in Loop: Header=BB276_32 Depth=1
	v_perm_b32 v3, v55, v54, s37
	v_perm_b32 v2, v51, v50, s37
	v_perm_b32 v5, v53, v52, s37
	v_perm_b32 v4, v49, v48, s37
	ds_write_b64 v83, v[2:3]
	ds_write_b64 v84, v[4:5]
	ds_write_b64 v87, v[2:3]
	ds_write_b64 v88, v[4:5]
	v_perm_b32 v3, v80, v73, s37
	v_perm_b32 v2, v69, v71, s37
	;; [unrolled: 1-line block ×4, first 2 shown]
	ds_write_b64 v85, v[2:3]
	ds_write_b64 v86, v[4:5]
	;; [unrolled: 1-line block ×4, first 2 shown]
	s_waitcnt lgkmcnt(0)
	s_barrier
	ds_read_b64 v[6:7], v91 offset:24576
	ds_read2_b64 v[2:5], v92 offset1:16
	ds_read_b64 v[10:11], v94 offset:3072
	ds_read_b64 v[12:13], v92 offset:3072
	ds_read_b64 v[14:15], v93 offset:24576
	s_waitcnt lgkmcnt(3)
	v_mfma_f32_16x16x16_bf16 a[0:3], v[6:7], v[2:3], 0
	s_add_i32 s61, s55, 63
	s_ashr_i32 s2, s61, 31
	s_mul_i32 s3, s61, s29
	v_mfma_f32_16x16x16_bf16 a[4:7], v[6:7], v[4:5], 0
	ds_read2st64_b64 v[2:5], v92 offset0:2 offset1:4
	s_mul_hi_u32 s27, s61, s28
	s_add_i32 s3, s27, s3
	s_waitcnt lgkmcnt(0)
	v_mfma_f32_16x16x16_bf16 a[0:3], v[14:15], v[2:3], a[0:3]
	ds_read2st64_b64 v[6:9], v94 offset0:2 offset1:4
	ds_read_b64 v[2:3], v95 offset:24576
	s_mul_i32 s2, s2, s28
	s_add_i32 s3, s3, s2
	s_waitcnt lgkmcnt(1)
	v_mfma_f32_16x16x16_bf16 a[4:7], v[14:15], v[6:7], a[4:7]
	ds_read_b64 v[6:7], v96 offset:24576
	s_mul_i32 s2, s61, s28
	s_lshl_b64 s[2:3], s[2:3], 2
	s_waitcnt lgkmcnt(1)
	v_mfma_f32_16x16x16_bf16 a[0:3], v[2:3], v[4:5], a[0:3]
	s_add_u32 s2, s40, s2
	s_addc_u32 s3, s41, s3
	s_and_b64 vcc, exec, s[0:1]
	v_mfma_f32_16x16x16_bf16 a[4:7], v[2:3], v[8:9], a[4:7]
	v_mov_b32_e32 v115, 0
	v_mov_b32_e32 v114, 0
	;; [unrolled: 1-line block ×3, first 2 shown]
	s_waitcnt lgkmcnt(0)
	v_mfma_f32_16x16x16_bf16 a[0:3], v[6:7], v[12:13], a[0:3]
	v_mov_b32_e32 v2, 0
	v_mov_b32_e32 v3, 0
	;; [unrolled: 1-line block ×3, first 2 shown]
	v_mfma_f32_16x16x16_bf16 a[4:7], v[6:7], v[10:11], a[4:7]
	v_mov_b32_e32 v5, 0
	v_mov_b32_e32 v6, 0
	v_mov_b32_e32 v7, 0
	v_mov_b32_e32 v8, 0
	v_mov_b32_e32 v9, 0
	v_mov_b32_e32 v10, 0
	v_mov_b32_e32 v11, 0
	v_mov_b32_e32 v12, 0
	v_mov_b32_e32 v13, 0
	v_mov_b32_e32 v14, 0
	v_mov_b32_e32 v15, 0
	v_mov_b32_e32 v16, 0
	v_mov_b32_e32 v17, 0
	s_cbranch_vccnz .LBB276_38
; %bb.37:                               ;   in Loop: Header=BB276_32 Depth=1
	s_and_b32 s21, s21, 0xffff
	buffer_load_dwordx4 v[14:17], v78, s[20:23], 0 offen
	buffer_load_dwordx4 v[10:13], v78, s[20:23], s57 offen
	;; [unrolled: 1-line block ×4, first 2 shown]
	v_mov_b32_e32 v114, v81
	v_mov_b32_e32 v113, v82
.LBB276_38:                             ;   in Loop: Header=BB276_32 Depth=1
	ds_read_b64 v[22:23], v91 offset:32768
	ds_read2_b64 v[18:21], v97 offset1:16
	ds_read_b64 v[26:27], v93 offset:32768
	ds_read_b64 v[28:29], v95 offset:32768
	;; [unrolled: 1-line block ×3, first 2 shown]
	v_add_u32_e32 v34, s55, v67
	s_waitcnt lgkmcnt(3)
	v_mfma_f32_16x16x16_bf16 a[0:3], v[22:23], v[18:19], a[0:3]
	v_mov_b32_e32 v116, 0
	v_mfma_f32_16x16x16_bf16 a[4:7], v[22:23], v[20:21], a[4:7]
	ds_read2st64_b64 v[18:21], v97 offset0:2 offset1:4
	ds_read2st64_b64 v[22:25], v98 offset0:2 offset1:4
	s_waitcnt lgkmcnt(1)
	v_mfma_f32_16x16x16_bf16 a[0:3], v[26:27], v[18:19], a[0:3]
	ds_read_b64 v[18:19], v97 offset:3072
	ds_read_b64 v[32:33], v98 offset:3072
	s_waitcnt lgkmcnt(2)
	v_mfma_f32_16x16x16_bf16 a[4:7], v[26:27], v[22:23], a[4:7]
	v_ashrrev_i32_e32 v22, 31, v34
	v_mul_lo_u32 v23, v34, s29
	v_mul_lo_u32 v22, v22, s28
	v_mfma_f32_16x16x16_bf16 a[0:3], v[28:29], v[20:21], a[0:3]
	v_mad_u64_u32 v[20:21], s[20:21], v34, s28, 0
	v_add3_u32 v21, v21, v23, v22
	v_add_u32_e32 v22, 1, v34
	v_ashrrev_i32_e32 v23, 31, v22
	v_mfma_f32_16x16x16_bf16 a[4:7], v[28:29], v[24:25], a[4:7]
	v_mul_lo_u32 v23, v23, s28
	v_mul_lo_u32 v24, v22, s29
	v_lshl_add_u64 v[20:21], v[20:21], 2, s[40:41]
	s_waitcnt lgkmcnt(1)
	v_mfma_f32_16x16x16_bf16 a[0:3], v[30:31], v[18:19], a[0:3]
	v_mad_u64_u32 v[18:19], s[20:21], v22, s28, 0
	v_add_u32_e32 v22, 2, v34
	v_add3_u32 v19, v19, v24, v23
	v_ashrrev_i32_e32 v23, 31, v22
	v_mul_lo_u32 v24, v23, s28
	v_mul_lo_u32 v25, v22, s29
	v_mad_u64_u32 v[22:23], s[20:21], v22, s28, 0
	v_add3_u32 v23, v23, v25, v24
	v_add_u32_e32 v24, 3, v34
	v_ashrrev_i32_e32 v25, 31, v24
	v_mul_lo_u32 v26, v25, s28
	v_mul_lo_u32 v27, v24, s29
	v_mad_u64_u32 v[24:25], s[20:21], v24, s28, 0
	v_add3_u32 v25, v25, v27, v26
	v_lshl_add_u64 v[24:25], v[24:25], 2, s[40:41]
	s_ashr_i32 s21, s55, 31
	v_lshl_add_u64 v[18:19], v[18:19], 2, s[40:41]
	v_lshl_add_u64 v[22:23], v[22:23], 2, s[40:41]
	global_load_dword v26, v[20:21], off
	global_load_dword v27, v[18:19], off
	;; [unrolled: 1-line block ×3, first 2 shown]
	s_nop 0
	global_load_dword v25, v[24:25], off
	s_add_u32 s20, s53, s55
	s_addc_u32 s21, s52, s21
	s_lshl_b64 s[20:21], s[20:21], 8
	v_lshl_add_u64 v[18:19], v[58:59], 0, s[20:21]
	v_lshl_add_u64 v[18:19], v[18:19], 0, v[56:57]
	global_load_ushort v29, v[18:19], off
	global_load_ushort v34, v[18:19], off offset:256
	global_load_ushort v35, v[18:19], off offset:800
	;; [unrolled: 1-line block ×7, first 2 shown]
	s_load_dword s2, s[2:3], 0x0
	s_waitcnt lgkmcnt(0)
	v_mfma_f32_16x16x16_bf16 a[4:7], v[30:31], v[32:33], a[4:7]
	v_accvgpr_read_b32 v23, a1
	v_accvgpr_read_b32 v19, a3
	v_accvgpr_read_b32 v18, a2
	v_accvgpr_read_b32 v22, a0
	s_and_b64 vcc, exec, s[0:1]
	s_waitcnt vmcnt(11)
	v_sub_f32_e32 v24, s2, v26
	s_waitcnt vmcnt(10)
	v_sub_f32_e32 v32, s2, v27
	;; [unrolled: 2-line block ×4, first 2 shown]
	v_exp_f32_e32 v24, v24
	v_exp_f32_e32 v25, v32
	;; [unrolled: 1-line block ×4, first 2 shown]
	s_waitcnt vmcnt(6)
	v_lshlrev_b32_e32 v27, 16, v34
	v_lshlrev_b32_e32 v26, 16, v29
	s_waitcnt vmcnt(4)
	v_lshlrev_b32_e32 v29, 16, v36
	s_waitcnt vmcnt(2)
	v_lshlrev_b32_e32 v28, 16, v38
	v_pk_add_f32 v[22:23], v[26:27], v[22:23] neg_lo:[0,1] neg_hi:[0,1]
	v_pk_add_f32 v[18:19], v[28:29], v[18:19] neg_lo:[0,1] neg_hi:[0,1]
	v_pk_mul_f32 v[22:23], v[24:25], v[22:23]
	v_pk_mul_f32 v[18:19], v[32:33], v[18:19]
	s_waitcnt vmcnt(1)
	v_lshlrev_b32_e32 v31, 16, v39
	v_perm_b32 v19, v19, v18, s37
	v_perm_b32 v18, v23, v22, s37
	v_accvgpr_read_b32 v23, a5
	s_waitcnt vmcnt(0)
	v_lshlrev_b32_e32 v30, 16, v40
	v_accvgpr_read_b32 v22, a4
	v_pk_add_f32 v[22:23], v[30:31], v[22:23] neg_lo:[0,1] neg_hi:[0,1]
	v_accvgpr_read_b32 v21, a7
	v_accvgpr_read_b32 v20, a6
	v_pk_mul_f32 v[22:23], v[24:25], v[22:23]
	v_lshlrev_b32_e32 v25, 16, v35
	v_lshlrev_b32_e32 v24, 16, v37
	v_pk_add_f32 v[20:21], v[24:25], v[20:21] neg_lo:[0,1] neg_hi:[0,1]
	v_mov_b32_e32 v24, 0
	v_pk_mul_f32 v[20:21], v[32:33], v[20:21]
	v_mov_b32_e32 v25, 0
	v_perm_b32 v21, v21, v20, s37
	v_perm_b32 v20, v23, v22, s37
	ds_write2_b64 v84, v[18:19], v[20:21] offset1:16
	v_mov_b32_e32 v18, 0
	v_mov_b32_e32 v19, 0
	;; [unrolled: 1-line block ×14, first 2 shown]
	s_cbranch_vccnz .LBB276_40
; %bb.39:                               ;   in Loop: Header=BB276_32 Depth=1
	s_and_b32 s25, s25, 0xffff
	s_mov_b32 s27, s23
	buffer_load_dwordx4 v[30:33], v102, s[24:27], 0 offen
	buffer_load_dwordx4 v[22:25], v102, s[24:27], s57 offen
	;; [unrolled: 1-line block ×4, first 2 shown]
	v_mov_b32_e32 v115, v76
	v_mov_b32_e32 v116, v75
.LBB276_40:                             ;   in Loop: Header=BB276_32 Depth=1
	s_waitcnt lgkmcnt(0)
	s_barrier
	ds_read_b64 v[38:39], v104
	ds_read_b64 v[122:123], v101
	;; [unrolled: 1-line block ×5, first 2 shown]
	ds_read_b64 v[136:137], v98 offset:3072
	ds_read2_b64 v[34:37], v97 offset0:16 offset1:128
	s_waitcnt lgkmcnt(5)
	v_mfma_f32_16x16x16_bf16 a[0:3], v[38:39], v[122:123], 0
	s_add_i32 s3, s54, s60
	s_mul_hi_i32 s21, s3, s13
	s_mul_i32 s3, s3, s13
	s_waitcnt lgkmcnt(0)
	v_mfma_f32_16x16x16_bf16 a[4:7], v[38:39], v[34:35], 0
	ds_read_b64 v[38:39], v109
	ds_read2st64_b64 v[40:43], v98 offset0:2 offset1:4
	s_add_u32 s20, s3, s47
	s_addc_u32 s21, s21, s49
	s_lshl_b64 s[20:21], s[20:21], 15
	s_mul_i32 s24, s61, s13
	s_mul_hi_i32 s3, s61, s13
	s_add_u32 s24, s24, s47
	s_waitcnt lgkmcnt(1)
	v_mfma_f32_16x16x16_bf16 a[8:11], v[38:39], v[122:123], 0
	s_addc_u32 s25, s3, s49
	ds_read2st64_b64 v[118:121], v97 offset0:4 offset1:6
	s_lshl_b64 s[24:25], s[24:25], 9
	v_mfma_f32_16x16x16_bf16 a[0:3], v[124:125], v[36:37], a[0:3]
	s_add_u32 s24, s16, s24
	s_addc_u32 s25, s17, s25
	s_waitcnt lgkmcnt(1)
	v_mfma_f32_16x16x16_bf16 a[4:7], v[124:125], v[40:41], a[4:7]
	ds_read_b64 v[124:125], v110
	ds_read_b64 v[132:133], v111
	;; [unrolled: 1-line block ×3, first 2 shown]
	v_mfma_f32_16x16x16_bf16 a[12:15], v[38:39], v[34:35], 0
	s_waitcnt lgkmcnt(2)
	v_mfma_f32_16x16x16_bf16 a[8:11], v[124:125], v[36:37], a[8:11]
	global_load_dwordx4 v[34:37], v108, s[24:25]
	v_mfma_f32_16x16x16_bf16 a[12:15], v[124:125], v[40:41], a[12:15]
	global_load_dwordx4 v[38:41], v47, s[24:25]
	ds_read2st64_b64 v[122:125], v99 offset1:8
	s_waitcnt lgkmcnt(0)
	v_mov_b32_e32 v130, v122
	v_mfma_f32_16x16x16_bf16 a[0:3], v[126:127], v[118:119], a[0:3]
	v_mov_b32_e32 v131, v123
	v_mfma_f32_16x16x16_bf16 a[4:7], v[126:127], v[42:43], a[4:7]
	ds_read2st64_b64 v[126:129], v100 offset1:8
	v_mfma_f32_16x16x16_bf16 a[8:11], v[132:133], v[118:119], a[8:11]
	v_lshl_add_u64 v[118:119], v[60:61], 0, s[20:21]
	v_mfma_f32_16x16x16_bf16 a[16:19], v[132:133], v[42:43], a[12:15]
	v_add_co_u32_e32 v42, vcc, s35, v118
	s_waitcnt lgkmcnt(0)
	v_mov_b32_e32 v132, v126
	v_mfma_f32_16x16x16_bf16 a[0:3], v[134:135], v[120:121], a[0:3]
	v_mov_b32_e32 v133, v127
	v_mov_b32_e32 v126, v124
	;; [unrolled: 1-line block ×3, first 2 shown]
	v_mfma_f32_16x16x16_bf16 a[4:7], v[134:135], v[136:137], a[4:7]
	v_addc_co_u32_e32 v43, vcc, 0, v119, vcc
	global_store_dwordx4 v[42:43], v[126:129], off
	v_mfma_f32_16x16x16_bf16 a[12:15], v[138:139], v[120:121], a[8:11]
	s_and_b64 vcc, exec, s[0:1]
	global_store_dwordx4 v[118:119], v[130:133], off
	s_waitcnt vmcnt(3)
	v_mov_b32_e32 v44, v37
	v_mfma_f32_16x16x16_bf16 a[8:11], v[138:139], v[136:137], a[16:19]
	v_mov_b32_e32 v43, v36
	v_mov_b32_e32 v42, v35
	s_cbranch_vccnz .LBB276_42
; %bb.41:                               ;   in Loop: Header=BB276_32 Depth=1
	v_lshrrev_b32_e32 v35, 3, v115
	v_and_b32_e32 v35, 6, v35
	v_xor_b32_e32 v36, v35, v116
	v_lshlrev_b32_e32 v36, 2, v36
	v_and_b32_e32 v37, 8, v115
	v_xor_b32_e32 v115, 0x440, v36
	v_cmp_eq_u32_e32 vcc, 0, v37
	v_perm_b32 v37, v22, v18, s58
	s_nop 0
	v_cndmask_b32_e32 v36, v115, v36, vcc
	v_lshl_or_b32 v35, v35, 10, v36
	v_perm_b32 v36, v30, v26, s58
	s_barrier
	ds_write2st64_b32 v35, v36, v37 offset0:32 offset1:64
	v_xor_b32_e32 v36, 8, v35
	v_perm_b32 v26, v30, v26, s59
	v_perm_b32 v18, v22, v18, s59
	v_add_u32_e32 v22, 0x80, v36
	ds_write2st64_b32 v22, v26, v18 offset0:32 offset1:64
	v_xor_b32_e32 v18, 16, v35
	v_perm_b32 v22, v31, v27, s58
	v_perm_b32 v26, v23, v19, s58
	ds_write2st64_b32 v18, v22, v26 offset0:33 offset1:65
	v_xor_b32_e32 v18, 24, v35
	v_perm_b32 v22, v31, v27, s59
	v_perm_b32 v19, v23, v19, s59
	v_add_u32_e32 v18, 0x80, v18
	ds_write2st64_b32 v18, v22, v19 offset0:33 offset1:65
	v_xor_b32_e32 v18, 32, v35
	v_perm_b32 v19, v32, v28, s58
	v_perm_b32 v22, v24, v20, s58
	ds_write2st64_b32 v18, v19, v22 offset0:34 offset1:66
	v_xor_b32_e32 v18, 40, v35
	v_perm_b32 v19, v32, v28, s59
	v_perm_b32 v20, v24, v20, s59
	v_add_u32_e32 v18, 0x80, v18
	ds_write2st64_b32 v18, v19, v20 offset0:34 offset1:66
	v_xor_b32_e32 v18, 48, v35
	v_perm_b32 v19, v33, v29, s58
	v_perm_b32 v20, v25, v21, s58
	ds_write2st64_b32 v18, v19, v20 offset0:35 offset1:67
	v_xor_b32_e32 v18, 56, v35
	v_perm_b32 v19, v33, v29, s59
	v_perm_b32 v20, v25, v21, s59
	v_add_u32_e32 v18, 0x80, v18
	ds_write2st64_b32 v18, v19, v20 offset0:35 offset1:67
	ds_write_b64 v114, v[14:15] offset:24576
	v_xor_b32_e32 v14, 8, v114
	ds_write_b64 v14, v[16:17] offset:24576
	ds_write_b64 v114, v[10:11] offset:32768
	;; [unrolled: 1-line block ×4, first 2 shown]
	v_xor_b32_e32 v6, 8, v113
	ds_write_b64 v6, v[8:9] offset:24576
	ds_write_b64 v113, v[2:3] offset:32768
	;; [unrolled: 1-line block ×3, first 2 shown]
.LBB276_42:                             ;   in Loop: Header=BB276_32 Depth=1
	v_exp_f32_e32 v18, s2
	s_waitcnt vmcnt(2)
	v_exp_f32_e32 v20, v38
	v_exp_f32_e32 v21, v39
	;; [unrolled: 1-line block ×4, first 2 shown]
	v_accvgpr_read_b32 v13, a3
	v_accvgpr_read_b32 v11, a1
	;; [unrolled: 1-line block ×4, first 2 shown]
	v_pk_mul_f32 v[20:21], v[18:19], v[20:21] op_sel_hi:[0,1]
	v_accvgpr_read_b32 v12, a2
	v_accvgpr_read_b32 v7, a5
	;; [unrolled: 1-line block ×3, first 2 shown]
	v_pk_fma_f32 v[50:51], v[50:51], v[20:21], v[10:11]
	v_pk_mul_f32 v[10:11], v[18:19], v[22:23] op_sel_hi:[0,1]
	v_pk_fma_f32 v[54:55], v[54:55], v[10:11], v[12:13]
	v_fma_f32 v71, v71, v20, v6
	v_fma_f32 v69, v69, v21, v7
	v_exp_f32_e32 v6, v34
	v_exp_f32_e32 v7, v42
	;; [unrolled: 1-line block ×4, first 2 shown]
	v_accvgpr_read_b32 v8, a6
	v_accvgpr_read_b32 v17, a15
	v_accvgpr_read_b32 v2, a8
	v_accvgpr_read_b32 v16, a14
	v_accvgpr_read_b32 v15, a13
	v_accvgpr_read_b32 v14, a12
	v_accvgpr_read_b32 v3, a9
	v_accvgpr_read_b32 v4, a10
	v_accvgpr_read_b32 v5, a11
	v_fma_f32 v73, v73, v10, v8
	v_fmac_f32_e32 v9, v80, v11
	v_pk_mul_f32 v[6:7], v[18:19], v[6:7] op_sel_hi:[0,1]
	v_pk_mul_f32 v[10:11], v[18:19], v[12:13] op_sel_hi:[0,1]
	s_add_i32 s55, s55, 64
	v_pk_fma_f32 v[48:49], v[48:49], v[6:7], v[14:15]
	v_pk_fma_f32 v[52:53], v[52:53], v[10:11], v[16:17]
	v_fma_f32 v72, v72, v6, v2
	v_fma_f32 v70, v70, v7, v3
	;; [unrolled: 1-line block ×3, first 2 shown]
	s_cmp_eq_u32 s48, s39
	v_fmac_f32_e32 v5, v77, v11
	s_cbranch_scc1 .LBB276_4
; %bb.43:                               ;   in Loop: Header=BB276_32 Depth=1
	s_mov_b32 s60, s39
	v_mov_b32_e32 v80, v9
	v_mov_b32_e32 v77, v5
	s_branch .LBB276_32
.LBB276_44:
                                        ; implicit-def: $vgpr5
                                        ; implicit-def: $vgpr9
                                        ; implicit-def: $vgpr13
                                        ; implicit-def: $vgpr17
	s_cbranch_execz .LBB276_46
; %bb.45:
	s_waitcnt vmcnt(0)
	v_mad_u64_u32 v[2:3], s[0:1], v20, s15, v[18:19]
	v_lshlrev_b32_e32 v20, 1, v2
	s_lshl_b32 s2, s15, 7
	s_and_b32 s1, s5, 0xffff
	s_mov_b32 s3, 0x20000
	s_mov_b32 s0, s4
	v_add_lshl_u32 v21, v2, s15, 1
	s_movk_i32 s13, 0x80
	buffer_load_dwordx4 v[2:5], v20, s[0:3], 0 offen
	buffer_load_dwordx4 v[10:13], v20, s[0:3], s13 offen
	;; [unrolled: 1-line block ×4, first 2 shown]
.LBB276_46:
	v_lshrrev_b32_e32 v30, 2, v45
	s_cbranch_execnz .LBB276_59
.LBB276_47:
	s_and_b64 vcc, exec, s[6:7]
	s_cbranch_vccz .LBB276_57
; %bb.48:
	s_waitcnt vmcnt(0)
	v_lshlrev_b32_e32 v7, 1, v23
	v_cmp_gt_i32_e32 vcc, s27, v7
	v_mov_b32_e32 v6, 0
	v_lshlrev_b32_e32 v14, 9, v23
	v_mov_b32_e32 v2, 0
	v_mov_b32_e32 v3, 0
	;; [unrolled: 1-line block ×4, first 2 shown]
	s_and_saveexec_b64 s[0:1], vcc
	s_cbranch_execz .LBB276_50
; %bb.49:
	v_mov_b32_e32 v15, 0
	v_lshl_add_u64 v[2:3], s[4:5], 0, v[14:15]
	v_lshlrev_b32_e32 v4, 1, v18
	v_mov_b32_e32 v5, v15
	v_lshl_add_u64 v[2:3], v[2:3], 0, v[4:5]
	global_load_dwordx4 v[2:5], v[2:3], off
.LBB276_50:
	s_or_b64 exec, exec, s[0:1]
	v_or_b32_e32 v7, 1, v7
	v_cmp_gt_i32_e64 s[0:1], s27, v7
	v_lshlrev_b32_e32 v20, 8, v7
	v_mov_b32_e32 v7, 0
	v_mov_b32_e32 v8, 0
	;; [unrolled: 1-line block ×3, first 2 shown]
	s_and_saveexec_b64 s[2:3], s[0:1]
	s_cbranch_execz .LBB276_52
; %bb.51:
	v_mov_b32_e32 v21, 0
	v_lshl_add_u64 v[6:7], s[4:5], 0, v[20:21]
	v_lshlrev_b32_e32 v8, 1, v18
	v_mov_b32_e32 v9, v21
	v_lshl_add_u64 v[6:7], v[6:7], 0, v[8:9]
	global_load_dwordx4 v[6:9], v[6:7], off
.LBB276_52:
	s_or_b64 exec, exec, s[2:3]
	v_mov_b32_e32 v17, 0
	v_mov_b32_e32 v10, 0
	;; [unrolled: 1-line block ×5, first 2 shown]
	s_and_saveexec_b64 s[2:3], vcc
	s_cbranch_execz .LBB276_54
; %bb.53:
	v_mov_b32_e32 v15, 0
	v_lshl_add_u64 v[10:11], s[4:5], 0, v[14:15]
	v_lshlrev_b32_e32 v14, 1, v18
	v_lshl_add_u64 v[10:11], v[10:11], 0, v[14:15]
	global_load_dwordx4 v[10:13], v[10:11], off offset:128
.LBB276_54:
	s_or_b64 exec, exec, s[2:3]
	v_mov_b32_e32 v16, 0
	v_mov_b32_e32 v15, 0
	;; [unrolled: 1-line block ×3, first 2 shown]
	s_and_saveexec_b64 s[2:3], s[0:1]
	s_cbranch_execz .LBB276_56
; %bb.55:
	v_mov_b32_e32 v21, 0
	v_lshl_add_u64 v[14:15], s[4:5], 0, v[20:21]
	v_lshlrev_b32_e32 v20, 1, v18
	v_lshl_add_u64 v[14:15], v[14:15], 0, v[20:21]
	global_load_dwordx4 v[14:17], v[14:15], off offset:128
.LBB276_56:
	s_or_b64 exec, exec, s[2:3]
	s_branch .LBB276_59
.LBB276_57:
                                        ; implicit-def: $vgpr5
                                        ; implicit-def: $vgpr9
                                        ; implicit-def: $vgpr13
                                        ; implicit-def: $vgpr17
	s_cbranch_execz .LBB276_59
; %bb.58:
	s_waitcnt vmcnt(0)
	v_lshlrev_b32_e32 v2, 1, v18
	v_lshl_or_b32 v18, v23, 9, v2
	s_and_b32 s5, s5, 0xffff
	s_mov_b32 s7, 0x20000
	s_movk_i32 s6, 0x4000
	s_movk_i32 s0, 0x80
	buffer_load_dwordx4 v[2:5], v18, s[4:7], 0 offen
	buffer_load_dwordx4 v[6:9], v18, s[4:7], 0 offen offset:256
	buffer_load_dwordx4 v[10:13], v18, s[4:7], s0 offen
	buffer_load_dwordx4 v[14:17], v18, s[4:7], s0 offen offset:256
.LBB276_59:
	ds_read_b64 v[20:21], v25 offset:32768
	v_add_u32_e32 v18, 0xb000, v24
	ds_read2_b64 v[32:35], v18 offset1:16
	ds_read_b64 v[40:41], v26 offset:32768
	ds_read_b64 v[26:27], v27 offset:32768
	;; [unrolled: 1-line block ×3, first 2 shown]
	v_and_b32_e32 v18, 6, v0
	v_xor_b32_e32 v23, v23, v18
	v_lshlrev_b32_e32 v23, 2, v23
	v_and_b32_e32 v0, 1, v0
	v_xor_b32_e32 v28, 0x440, v23
	v_cmp_eq_u32_e32 vcc, 0, v0
	s_waitcnt lgkmcnt(3)
	v_mfma_f32_16x16x16_bf16 a[0:3], v[20:21], v[32:33], a[0:3]
	s_mov_b32 s0, 0x1000504
	v_cndmask_b32_e32 v0, v28, v23, vcc
	v_lshl_or_b32 v0, v18, 10, v0
	v_mfma_f32_16x16x16_bf16 a[4:7], v[20:21], v[34:35], a[4:7]
	ds_read2st64_b64 v[32:35], v24 offset0:90 offset1:92
	ds_read2st64_b64 v[36:39], v29 offset0:90 offset1:92
	ds_read_b64 v[20:21], v24 offset:48128
	ds_read_b64 v[24:25], v29 offset:48128
	s_waitcnt vmcnt(0)
	v_perm_b32 v18, v2, v6, s0
	s_waitcnt lgkmcnt(3)
	v_mfma_f32_16x16x16_bf16 a[0:3], v[40:41], v[32:33], a[0:3]
	s_mov_b32 s1, 0x3020706
	v_perm_b32 v2, v2, v6, s1
	v_perm_b32 v6, v10, v14, s1
	s_waitcnt lgkmcnt(2)
	v_mfma_f32_16x16x16_bf16 a[4:7], v[40:41], v[36:37], a[4:7]
	v_mfma_f32_16x16x16_bf16 a[0:3], v[26:27], v[34:35], a[0:3]
	;; [unrolled: 1-line block ×3, first 2 shown]
	s_waitcnt lgkmcnt(1)
	v_mfma_f32_16x16x16_bf16 a[4:7], v[42:43], v[20:21], a[0:3]
	v_perm_b32 v20, v10, v14, s0
	ds_write2st64_b32 v0, v18, v20 offset0:32 offset1:64
	v_xor_b32_e32 v18, 8, v0
	v_add_u32_e32 v10, 0x80, v18
	ds_write2st64_b32 v10, v2, v6 offset0:32 offset1:64
	v_xor_b32_e32 v2, 16, v0
	v_perm_b32 v6, v3, v7, s0
	v_perm_b32 v10, v11, v15, s0
	ds_write2st64_b32 v2, v6, v10 offset0:33 offset1:65
	v_xor_b32_e32 v2, 24, v0
	v_perm_b32 v3, v3, v7, s1
	v_perm_b32 v6, v11, v15, s1
	v_add_u32_e32 v2, 0x80, v2
	ds_write2st64_b32 v2, v3, v6 offset0:33 offset1:65
	v_xor_b32_e32 v2, 32, v0
	v_perm_b32 v3, v4, v8, s0
	v_perm_b32 v6, v12, v16, s0
	s_waitcnt lgkmcnt(4)
	v_mfma_f32_16x16x16_bf16 a[0:3], v[42:43], v[24:25], a[8:11]
	ds_write2st64_b32 v2, v3, v6 offset0:34 offset1:66
	v_xor_b32_e32 v2, 40, v0
	v_perm_b32 v3, v4, v8, s1
	v_perm_b32 v4, v12, v16, s1
	v_add_u32_e32 v2, 0x80, v2
	ds_write2st64_b32 v2, v3, v4 offset0:34 offset1:66
	v_xor_b32_e32 v2, 48, v0
	v_perm_b32 v3, v5, v9, s0
	v_perm_b32 v4, v13, v17, s0
	v_xor_b32_e32 v0, 56, v0
	v_and_or_b32 v18, v30, 12, v1
	ds_write2st64_b32 v2, v3, v4 offset0:35 offset1:67
	v_perm_b32 v2, v5, v9, s1
	v_perm_b32 v3, v13, v17, s1
	v_add_u32_e32 v0, 0x80, v0
	v_cmp_gt_i32_e32 vcc, s27, v18
	v_mov_b32_e32 v14, 0
	v_mov_b32_e32 v16, 0
	ds_write2st64_b32 v0, v2, v3 offset0:35 offset1:67
	s_and_saveexec_b64 s[0:1], vcc
	s_cbranch_execz .LBB276_61
; %bb.60:
	v_add_u32_e32 v0, s26, v18
	v_ashrrev_i32_e32 v1, 31, v0
	v_mul_lo_u32 v2, v1, s28
	v_mul_lo_u32 v3, v0, s29
	v_mad_u64_u32 v[0:1], s[2:3], v0, s28, 0
	v_add3_u32 v1, v1, v3, v2
	v_lshl_add_u64 v[0:1], v[0:1], 2, s[10:11]
	global_load_dword v0, v[0:1], off
	s_waitcnt vmcnt(0)
	v_sub_f32_e32 v0, s12, v0
	v_exp_f32_e32 v16, v0
.LBB276_61:
	s_or_b64 exec, exec, s[0:1]
	v_or_b32_e32 v8, 1, v18
	v_cmp_gt_i32_e64 s[0:1], s27, v8
	s_and_saveexec_b64 s[2:3], s[0:1]
	s_cbranch_execz .LBB276_63
; %bb.62:
	v_add_u32_e32 v0, s26, v8
	v_ashrrev_i32_e32 v1, 31, v0
	v_mul_lo_u32 v2, v1, s28
	v_mul_lo_u32 v3, v0, s29
	v_mad_u64_u32 v[0:1], s[4:5], v0, s28, 0
	v_add3_u32 v1, v1, v3, v2
	v_lshl_add_u64 v[0:1], v[0:1], 2, s[10:11]
	global_load_dword v0, v[0:1], off
	s_waitcnt vmcnt(0)
	v_sub_f32_e32 v0, s12, v0
	v_exp_f32_e32 v14, v0
.LBB276_63:
	s_or_b64 exec, exec, s[2:3]
	v_or_b32_e32 v10, 2, v18
	v_cmp_gt_i32_e64 s[2:3], s27, v10
	v_mov_b32_e32 v15, 0
	v_mov_b32_e32 v17, 0
	s_and_saveexec_b64 s[4:5], s[2:3]
	s_cbranch_execz .LBB276_65
; %bb.64:
	v_add_u32_e32 v0, s26, v10
	v_ashrrev_i32_e32 v1, 31, v0
	v_mul_lo_u32 v2, v1, s28
	v_mul_lo_u32 v3, v0, s29
	v_mad_u64_u32 v[0:1], s[6:7], v0, s28, 0
	v_add3_u32 v1, v1, v3, v2
	v_lshl_add_u64 v[0:1], v[0:1], 2, s[10:11]
	global_load_dword v0, v[0:1], off
	s_waitcnt vmcnt(0)
	v_sub_f32_e32 v0, s12, v0
	v_exp_f32_e32 v17, v0
.LBB276_65:
	s_or_b64 exec, exec, s[4:5]
	v_or_b32_e32 v12, 3, v18
	v_cmp_gt_i32_e64 s[4:5], s27, v12
	s_and_saveexec_b64 s[6:7], s[4:5]
	s_cbranch_execz .LBB276_67
; %bb.66:
	v_add_u32_e32 v0, s26, v12
	v_ashrrev_i32_e32 v1, 31, v0
	v_mul_lo_u32 v2, v1, s28
	v_mul_lo_u32 v3, v0, s29
	v_mad_u64_u32 v[0:1], s[14:15], v0, s28, 0
	v_add3_u32 v1, v1, v3, v2
	v_lshl_add_u64 v[0:1], v[0:1], 2, s[10:11]
	global_load_dword v0, v[0:1], off
	s_waitcnt vmcnt(0)
	v_sub_f32_e32 v0, s12, v0
	v_exp_f32_e32 v15, v0
.LBB276_67:
	s_or_b64 exec, exec, s[6:7]
	s_add_u32 s6, s8, s20
	v_accvgpr_read_b32 v0, a4
	s_addc_u32 s7, s9, s21
	v_ashrrev_i32_e32 v47, 31, v46
	v_accvgpr_read_b32 v1, a5
	v_accvgpr_read_b32 v2, a6
	;; [unrolled: 1-line block ×3, first 2 shown]
	v_lshl_add_u64 v[4:5], v[46:47], 1, s[6:7]
	v_mov_b32_e32 v9, 0
	v_lshlrev_b32_e32 v6, 8, v18
	v_mov_b32_e32 v7, 0
	s_and_saveexec_b64 s[6:7], vcc
	s_cbranch_execz .LBB276_69
; %bb.68:
	v_mov_b32_e32 v7, 0
	v_lshl_add_u64 v[20:21], v[4:5], 0, v[6:7]
	global_load_ushort v7, v[20:21], off
	s_waitcnt vmcnt(0)
	v_lshlrev_b32_e32 v7, 16, v7
	v_sub_f32_e32 v0, v7, v0
	v_mul_f32_e32 v0, v16, v0
	v_lshrrev_b32_e32 v7, 16, v0
.LBB276_69:
	s_or_b64 exec, exec, s[6:7]
	v_lshlrev_b32_e32 v8, 8, v8
	s_and_saveexec_b64 s[6:7], s[0:1]
	s_cbranch_execz .LBB276_71
; %bb.70:
	v_mov_b32_e32 v9, 0
	v_lshl_add_u64 v[20:21], v[4:5], 0, v[8:9]
	global_load_ushort v0, v[20:21], off
	s_waitcnt vmcnt(0)
	v_lshlrev_b32_e32 v0, 16, v0
	v_sub_f32_e32 v0, v0, v1
	v_mul_f32_e32 v0, v14, v0
	v_lshrrev_b32_e32 v9, 16, v0
.LBB276_71:
	s_or_b64 exec, exec, s[6:7]
	v_mov_b32_e32 v13, 0
	v_lshlrev_b32_e32 v10, 8, v10
	v_mov_b32_e32 v11, 0
	s_and_saveexec_b64 s[6:7], s[2:3]
	s_cbranch_execz .LBB276_73
; %bb.72:
	v_mov_b32_e32 v11, 0
	v_lshl_add_u64 v[0:1], v[4:5], 0, v[10:11]
	global_load_ushort v0, v[0:1], off
	s_waitcnt vmcnt(0)
	v_lshlrev_b32_e32 v0, 16, v0
	v_sub_f32_e32 v0, v0, v2
	v_mul_f32_e32 v0, v17, v0
	v_lshrrev_b32_e32 v11, 16, v0
.LBB276_73:
	s_or_b64 exec, exec, s[6:7]
	v_lshlrev_b32_e32 v12, 8, v12
	s_and_saveexec_b64 s[6:7], s[4:5]
	s_cbranch_execz .LBB276_75
; %bb.74:
	v_mov_b32_e32 v13, 0
	v_lshl_add_u64 v[0:1], v[4:5], 0, v[12:13]
	global_load_ushort v0, v[0:1], off
	s_waitcnt vmcnt(0)
	v_lshlrev_b32_e32 v0, 16, v0
	v_sub_f32_e32 v0, v0, v3
	v_mul_f32_e32 v0, v15, v0
	v_lshrrev_b32_e32 v13, 16, v0
.LBB276_75:
	s_or_b64 exec, exec, s[6:7]
	v_lshlrev_b32_e32 v18, 5, v18
	s_mov_b32 s6, 0x5040100
	v_perm_b32 v20, v9, v7, s6
	v_or_b32_e32 v7, v18, v22
	v_accvgpr_read_b32 v0, a0
	v_perm_b32 v21, v13, v11, s6
	v_lshlrev_b32_e32 v7, 1, v7
	v_accvgpr_read_b32 v1, a1
	v_accvgpr_read_b32 v2, a2
	;; [unrolled: 1-line block ×3, first 2 shown]
	ds_write_b64 v7, v[20:21] offset:45056
	v_mov_b32_e32 v9, 0
	v_mov_b32_e32 v7, 0
	s_and_saveexec_b64 s[6:7], vcc
	s_cbranch_execz .LBB276_77
; %bb.76:
	v_mov_b32_e32 v7, 0
	v_lshl_add_u64 v[6:7], v[4:5], 0, v[6:7]
	global_load_ushort v6, v[6:7], off offset:32
	s_waitcnt vmcnt(0)
	v_lshlrev_b32_e32 v6, 16, v6
	v_sub_f32_e32 v0, v6, v0
	v_mul_f32_e32 v0, v16, v0
	v_lshrrev_b32_e32 v7, 16, v0
.LBB276_77:
	s_or_b64 exec, exec, s[6:7]
	s_and_saveexec_b64 s[6:7], s[0:1]
	s_cbranch_execz .LBB276_79
; %bb.78:
	v_mov_b32_e32 v9, 0
	v_lshl_add_u64 v[8:9], v[4:5], 0, v[8:9]
	global_load_ushort v0, v[8:9], off offset:32
	s_waitcnt vmcnt(0)
	v_lshlrev_b32_e32 v0, 16, v0
	v_sub_f32_e32 v0, v0, v1
	v_mul_f32_e32 v0, v14, v0
	v_lshrrev_b32_e32 v9, 16, v0
.LBB276_79:
	s_or_b64 exec, exec, s[6:7]
	v_mov_b32_e32 v0, 0
	v_mov_b32_e32 v1, 0
	s_and_saveexec_b64 s[0:1], s[2:3]
	s_cbranch_execz .LBB276_81
; %bb.80:
	v_mov_b32_e32 v11, 0
	v_lshl_add_u64 v[10:11], v[4:5], 0, v[10:11]
	global_load_ushort v1, v[10:11], off offset:32
	s_waitcnt vmcnt(0)
	v_lshlrev_b32_e32 v1, 16, v1
	v_sub_f32_e32 v1, v1, v2
	v_mul_f32_e32 v1, v17, v1
	v_lshrrev_b32_e32 v1, 16, v1
.LBB276_81:
	s_or_b64 exec, exec, s[0:1]
	s_and_saveexec_b64 s[0:1], s[4:5]
	s_cbranch_execz .LBB276_83
; %bb.82:
	v_mov_b32_e32 v13, 0
	v_lshl_add_u64 v[4:5], v[4:5], 0, v[12:13]
	global_load_ushort v0, v[4:5], off offset:32
	s_waitcnt vmcnt(0)
	v_lshlrev_b32_e32 v0, 16, v0
	v_sub_f32_e32 v0, v0, v3
	v_mul_f32_e32 v0, v15, v0
	v_lshrrev_b32_e32 v0, 16, v0
.LBB276_83:
	s_or_b64 exec, exec, s[0:1]
	s_mov_b32 s0, 0x5040100
	v_or_b32_e32 v2, v18, v19
	v_perm_b32 v1, v0, v1, s0
	v_perm_b32 v0, v9, v7, s0
	v_lshlrev_b32_e32 v2, 1, v2
	ds_write_b64 v2, v[0:1] offset:45056
	s_waitcnt lgkmcnt(0)
	s_barrier
.LBB276_84:
	s_endpgm
	.section	.rodata,"a",@progbits
	.p2align	6, 0x0
	.amdhsa_kernel _ZN12_GLOBAL__N_139chunk_gated_delta_rule_fwd_h_hip_kernelILi32ELb1ELb0ELb0ELb1ELb1ELb1ELb0ELb1EEEvPK12hip_bfloat16S3_S3_PKfS5_PKvPS1_S8_PvPKiSB_iiiiilll
		.amdhsa_group_segment_fixed_size 49152
		.amdhsa_private_segment_fixed_size 0
		.amdhsa_kernarg_size 136
		.amdhsa_user_sgpr_count 2
		.amdhsa_user_sgpr_dispatch_ptr 0
		.amdhsa_user_sgpr_queue_ptr 0
		.amdhsa_user_sgpr_kernarg_segment_ptr 1
		.amdhsa_user_sgpr_dispatch_id 0
		.amdhsa_user_sgpr_kernarg_preload_length 0
		.amdhsa_user_sgpr_kernarg_preload_offset 0
		.amdhsa_user_sgpr_private_segment_size 0
		.amdhsa_uses_dynamic_stack 0
		.amdhsa_enable_private_segment 0
		.amdhsa_system_sgpr_workgroup_id_x 1
		.amdhsa_system_sgpr_workgroup_id_y 1
		.amdhsa_system_sgpr_workgroup_id_z 0
		.amdhsa_system_sgpr_workgroup_info 0
		.amdhsa_system_vgpr_workitem_id 0
		.amdhsa_next_free_vgpr 160
		.amdhsa_next_free_sgpr 62
		.amdhsa_accum_offset 140
		.amdhsa_reserve_vcc 1
		.amdhsa_float_round_mode_32 0
		.amdhsa_float_round_mode_16_64 0
		.amdhsa_float_denorm_mode_32 3
		.amdhsa_float_denorm_mode_16_64 3
		.amdhsa_dx10_clamp 1
		.amdhsa_ieee_mode 1
		.amdhsa_fp16_overflow 0
		.amdhsa_tg_split 0
		.amdhsa_exception_fp_ieee_invalid_op 0
		.amdhsa_exception_fp_denorm_src 0
		.amdhsa_exception_fp_ieee_div_zero 0
		.amdhsa_exception_fp_ieee_overflow 0
		.amdhsa_exception_fp_ieee_underflow 0
		.amdhsa_exception_fp_ieee_inexact 0
		.amdhsa_exception_int_div_zero 0
	.end_amdhsa_kernel
	.section	.text._ZN12_GLOBAL__N_139chunk_gated_delta_rule_fwd_h_hip_kernelILi32ELb1ELb0ELb0ELb1ELb1ELb1ELb0ELb1EEEvPK12hip_bfloat16S3_S3_PKfS5_PKvPS1_S8_PvPKiSB_iiiiilll,"axG",@progbits,_ZN12_GLOBAL__N_139chunk_gated_delta_rule_fwd_h_hip_kernelILi32ELb1ELb0ELb0ELb1ELb1ELb1ELb0ELb1EEEvPK12hip_bfloat16S3_S3_PKfS5_PKvPS1_S8_PvPKiSB_iiiiilll,comdat
.Lfunc_end276:
	.size	_ZN12_GLOBAL__N_139chunk_gated_delta_rule_fwd_h_hip_kernelILi32ELb1ELb0ELb0ELb1ELb1ELb1ELb0ELb1EEEvPK12hip_bfloat16S3_S3_PKfS5_PKvPS1_S8_PvPKiSB_iiiiilll, .Lfunc_end276-_ZN12_GLOBAL__N_139chunk_gated_delta_rule_fwd_h_hip_kernelILi32ELb1ELb0ELb0ELb1ELb1ELb1ELb0ELb1EEEvPK12hip_bfloat16S3_S3_PKfS5_PKvPS1_S8_PvPKiSB_iiiiilll
                                        ; -- End function
	.section	.AMDGPU.csdata,"",@progbits
; Kernel info:
; codeLenInByte = 8552
; NumSgprs: 68
; NumVgprs: 140
; NumAgprs: 20
; TotalNumVgprs: 160
; ScratchSize: 0
; MemoryBound: 0
; FloatMode: 240
; IeeeMode: 1
; LDSByteSize: 49152 bytes/workgroup (compile time only)
; SGPRBlocks: 8
; VGPRBlocks: 19
; NumSGPRsForWavesPerEU: 68
; NumVGPRsForWavesPerEU: 160
; AccumOffset: 140
; Occupancy: 1
; WaveLimiterHint : 1
; COMPUTE_PGM_RSRC2:SCRATCH_EN: 0
; COMPUTE_PGM_RSRC2:USER_SGPR: 2
; COMPUTE_PGM_RSRC2:TRAP_HANDLER: 0
; COMPUTE_PGM_RSRC2:TGID_X_EN: 1
; COMPUTE_PGM_RSRC2:TGID_Y_EN: 1
; COMPUTE_PGM_RSRC2:TGID_Z_EN: 0
; COMPUTE_PGM_RSRC2:TIDIG_COMP_CNT: 0
; COMPUTE_PGM_RSRC3_GFX90A:ACCUM_OFFSET: 34
; COMPUTE_PGM_RSRC3_GFX90A:TG_SPLIT: 0
	.section	.text._ZN12_GLOBAL__N_139chunk_gated_delta_rule_fwd_h_hip_kernelILi32ELb0ELb1ELb1ELb1ELb1ELb1ELb0ELb1EEEvPK12hip_bfloat16S3_S3_PKfS5_PKvPS1_S8_PvPKiSB_iiiiilll,"axG",@progbits,_ZN12_GLOBAL__N_139chunk_gated_delta_rule_fwd_h_hip_kernelILi32ELb0ELb1ELb1ELb1ELb1ELb1ELb0ELb1EEEvPK12hip_bfloat16S3_S3_PKfS5_PKvPS1_S8_PvPKiSB_iiiiilll,comdat
	.globl	_ZN12_GLOBAL__N_139chunk_gated_delta_rule_fwd_h_hip_kernelILi32ELb0ELb1ELb1ELb1ELb1ELb1ELb0ELb1EEEvPK12hip_bfloat16S3_S3_PKfS5_PKvPS1_S8_PvPKiSB_iiiiilll ; -- Begin function _ZN12_GLOBAL__N_139chunk_gated_delta_rule_fwd_h_hip_kernelILi32ELb0ELb1ELb1ELb1ELb1ELb1ELb0ELb1EEEvPK12hip_bfloat16S3_S3_PKfS5_PKvPS1_S8_PvPKiSB_iiiiilll
	.p2align	8
	.type	_ZN12_GLOBAL__N_139chunk_gated_delta_rule_fwd_h_hip_kernelILi32ELb0ELb1ELb1ELb1ELb1ELb1ELb0ELb1EEEvPK12hip_bfloat16S3_S3_PKfS5_PKvPS1_S8_PvPKiSB_iiiiilll,@function
_ZN12_GLOBAL__N_139chunk_gated_delta_rule_fwd_h_hip_kernelILi32ELb0ELb1ELb1ELb1ELb1ELb1ELb0ELb1EEEvPK12hip_bfloat16S3_S3_PKfS5_PKvPS1_S8_PvPKiSB_iiiiilll: ; @_ZN12_GLOBAL__N_139chunk_gated_delta_rule_fwd_h_hip_kernelILi32ELb0ELb1ELb1ELb1ELb1ELb1ELb0ELb1EEEvPK12hip_bfloat16S3_S3_PKfS5_PKvPS1_S8_PvPKiSB_iiiiilll
; %bb.0:
	s_load_dwordx4 s[20:23], s[0:1], 0x5c
	s_load_dwordx2 s[40:41], s[0:1], 0x20
	s_abs_i32 s27, s3
	s_ashr_i32 s26, s3, 31
	s_load_dwordx2 s[24:25], s[0:1], 0x50
	s_load_dwordx8 s[4:11], s[0:1], 0x30
	s_load_dwordx8 s[12:19], s[0:1], 0x0
	s_waitcnt lgkmcnt(0)
	s_abs_i32 s30, s21
	v_cvt_f32_u32_e32 v1, s30
	s_sub_i32 s28, 0, s30
	s_ashr_i32 s33, s21, 31
	s_xor_b32 s26, s26, s33
	v_rcp_iflag_f32_e32 v1, v1
	v_lshrrev_b32_e32 v53, 6, v0
	v_bfe_u32 v64, v0, 4, 2
	v_lshlrev_b32_e32 v62, 4, v53
	v_mul_f32_e32 v1, 0x4f7ffffe, v1
	v_cvt_u32_f32_e32 v1, v1
	v_lshlrev_b32_e32 v18, 2, v64
	v_and_b32_e32 v63, 63, v0
	v_mov_b32_e32 v17, 0
	v_readfirstlane_b32 s29, v1
	s_mul_i32 s28, s28, s29
	s_mul_hi_u32 s28, s29, s28
	s_add_i32 s29, s29, s28
	s_mul_hi_u32 s28, s27, s29
	s_mul_i32 s29, s28, s30
	s_sub_i32 s27, s27, s29
	s_add_i32 s31, s28, 1
	s_sub_i32 s29, s27, s30
	s_cmp_ge_u32 s27, s30
	s_cselect_b32 s28, s31, s28
	s_cselect_b32 s27, s29, s27
	s_add_i32 s29, s28, 1
	s_cmp_ge_u32 s27, s30
	s_cselect_b32 s27, s29, s28
	s_xor_b32 s27, s27, s26
	s_sub_i32 s34, s27, s26
	s_mul_i32 s26, s34, s21
	s_ashr_i32 s35, s34, 31
	s_sub_i32 s48, s3, s26
	s_lshl_b64 s[26:27], s[34:35], 2
	s_add_u32 s10, s10, s26
	s_addc_u32 s11, s11, s27
	s_add_u32 s28, s24, s26
	s_addc_u32 s29, s25, s27
	s_abs_i32 s3, s22
	v_cvt_f32_u32_e32 v1, s3
	s_load_dwordx2 s[42:43], s[10:11], 0x0
	s_sub_i32 s11, 0, s3
	s_mov_b32 s49, s21
	v_rcp_iflag_f32_e32 v1, v1
	v_and_b32_e32 v65, 15, v0
	s_waitcnt lgkmcnt(0)
	s_sub_i32 s58, s43, s42
	s_ashr_i32 s10, s58, 31
	v_mul_f32_e32 v1, 0x4f7ffffe, v1
	v_cvt_u32_f32_e32 v1, v1
	s_lshr_b32 s10, s10, 26
	s_add_i32 s10, s58, s10
	s_ashr_i32 s53, s10, 6
	v_readfirstlane_b32 s24, v1
	s_mul_i32 s11, s11, s24
	s_mul_hi_u32 s11, s24, s11
	s_add_i32 s24, s24, s11
	s_mul_hi_u32 s11, s30, s24
	s_mul_i32 s24, s11, s3
	s_ashr_i32 s10, s22, 31
	s_sub_i32 s24, s30, s24
	s_xor_b32 s10, s33, s10
	s_add_i32 s25, s11, 1
	s_sub_i32 s26, s24, s3
	s_cmp_ge_u32 s24, s3
	s_cselect_b32 s11, s25, s11
	s_cselect_b32 s24, s26, s24
	s_add_i32 s25, s11, 1
	s_cmp_ge_u32 s24, s3
	s_cselect_b32 s3, s25, s11
	s_xor_b32 s3, s3, s10
	s_sub_i32 s3, s3, s10
	s_abs_i32 s30, s3
	v_cvt_f32_u32_e32 v1, s30
	s_load_dwordx2 s[10:11], s[0:1], 0x80
	s_load_dwordx4 s[24:27], s[0:1], 0x70
	s_load_dword s54, s[28:29], 0x0
	s_xor_b32 s0, s48, s3
	v_rcp_iflag_f32_e32 v1, v1
	s_sub_i32 s3, 0, s30
	s_abs_i32 s1, s48
	s_ashr_i32 s0, s0, 31
	v_mul_f32_e32 v1, 0x4f7ffffe, v1
	v_cvt_u32_f32_e32 v1, v1
	s_mul_hi_i32 s55, s48, s20
	s_mul_i32 s56, s48, s20
	v_lshrrev_b32_e32 v67, 3, v63
	v_readfirstlane_b32 s28, v1
	s_mul_i32 s3, s3, s28
	s_mul_hi_u32 s3, s28, s3
	s_add_i32 s28, s28, s3
	s_mul_hi_u32 s3, s1, s28
	s_mul_i32 s28, s3, s30
	s_sub_i32 s1, s1, s28
	s_add_i32 s28, s3, 1
	s_sub_i32 s29, s1, s30
	s_cmp_ge_u32 s1, s30
	s_cselect_b32 s3, s28, s3
	s_cselect_b32 s1, s29, s1
	s_add_i32 s28, s3, 1
	s_cmp_ge_u32 s1, s30
	s_cselect_b32 s1, s28, s3
	s_xor_b32 s1, s1, s0
	s_sub_i32 s57, s1, s0
	v_or_b32_e32 v1, v18, v62
	s_lshl_b32 s2, s2, 5
	v_or_b32_e32 v68, 64, v1
	s_cmp_lt_i32 s58, 64
	v_lshlrev_b32_e32 v66, 3, v0
	s_waitcnt lgkmcnt(0)
	s_mul_i32 s50, s34, s25
	s_mul_hi_u32 s51, s34, s24
	s_mul_i32 s52, s35, s24
	s_mul_i32 s24, s34, s24
	v_mov_b32_e32 v16, v17
	v_mov_b32_e32 v15, v17
	;; [unrolled: 1-line block ×15, first 2 shown]
	s_cbranch_scc1 .LBB277_19
; %bb.1:
	s_ashr_i32 s60, s48, 31
	s_ashr_i32 s1, s42, 31
	s_add_u32 s0, s56, s42
	s_addc_u32 s1, s55, s1
	s_lshl_b64 s[0:1], s[0:1], 8
	v_and_b32_e32 v70, 56, v66
	s_add_u32 s28, s14, s0
	v_lshl_or_b32 v69, v53, 3, v67
	v_lshlrev_b32_e32 v2, 1, v70
	s_addc_u32 s0, s15, s1
	v_lshl_or_b32 v71, v69, 8, v2
	s_and_b32 s29, s0, 0xffff
	s_mov_b32 s31, 0x20000
	s_movk_i32 s30, 0x4000
	s_movk_i32 s0, 0x80
	v_or_b32_e32 v72, 0x2000, v71
	buffer_load_dwordx4 v[4:7], v71, s[28:31], 0 offen
	buffer_load_dwordx4 v[8:11], v71, s[28:31], s0 offen
	;; [unrolled: 1-line block ×4, first 2 shown]
	v_lshlrev_b32_e32 v3, 3, v69
	v_and_or_b32 v17, v0, 7, v3
	v_and_b32_e32 v3, 0x78, v3
	v_lshlrev_b32_e32 v17, 4, v17
	v_xor_b32_e32 v73, v17, v3
	v_mul_lo_u32 v16, v69, s23
	v_or_b32_e32 v74, 0x1000, v73
	v_xor_b32_e32 v3, 8, v73
	s_cmpk_eq_i32 s23, 0x80
	s_mov_b32 s59, s42
	v_xor_b32_e32 v17, 8, v74
	s_cselect_b64 s[0:1], -1, 0
	s_cmpk_lg_i32 s23, 0x80
	s_waitcnt vmcnt(3)
	ds_write_b64 v73, v[4:5] offset:24576
	ds_write_b64 v3, v[6:7] offset:24576
	s_waitcnt vmcnt(2)
	ds_write_b64 v73, v[8:9] offset:32768
	ds_write_b64 v3, v[10:11] offset:32768
	;; [unrolled: 3-line block ×4, first 2 shown]
	v_lshl_add_u32 v3, v16, 1, v70
	s_cbranch_scc0 .LBB277_3
; %bb.2:
	v_lshlrev_b32_e32 v5, 1, v3
	v_add_lshl_u32 v4, v3, s23, 1
	s_lshl_b32 s30, s23, 7
	v_lshl_or_b32 v2, v69, 9, v2
	s_cbranch_execz .LBB277_4
	s_branch .LBB277_5
.LBB277_3:
                                        ; implicit-def: $vgpr4
                                        ; implicit-def: $vgpr5
                                        ; implicit-def: $sgpr30
	v_lshl_or_b32 v2, v69, 9, v2
.LBB277_4:
	v_or_b32_e32 v4, 0x100, v2
	s_movk_i32 s30, 0x4000
	v_mov_b32_e32 v5, v2
.LBB277_5:
	s_mul_i32 s25, s42, s22
	s_ashr_i32 s61, s57, 31
	s_mul_hi_i32 s3, s42, s22
	s_add_u32 s28, s25, s57
	s_addc_u32 s29, s3, s61
	s_lshl_b64 s[28:29], s[28:29], 8
	s_add_u32 s28, s12, s28
	s_addc_u32 s3, s13, s29
	s_and_b32 s29, s3, 0xffff
	s_movk_i32 s62, 0x80
	buffer_load_dwordx4 v[6:9], v5, s[28:31], 0 offen
	buffer_load_dwordx4 v[10:13], v5, s[28:31], s62 offen
	;; [unrolled: 1-line block ×4, first 2 shown]
	v_and_b32_e32 v4, 6, v0
	v_lshlrev_b32_e32 v24, 6, v1
	v_or_b32_e32 v26, 16, v65
	v_xor_b32_e32 v27, v69, v4
	v_and_b32_e32 v5, 1, v0
	v_lshl_or_b32 v30, v65, 3, v24
	v_lshl_or_b32 v24, v26, 3, v24
	v_lshlrev_b32_e32 v27, 2, v27
	v_lshlrev_b32_e32 v19, 2, v65
	s_mul_i32 s3, s48, s27
	s_mul_hi_u32 s25, s48, s26
	v_or_b32_e32 v77, 0xa000, v24
	v_or_b32_e32 v78, 0xb000, v24
	v_xor_b32_e32 v24, 0x440, v27
	v_cmp_eq_u32_e32 vcc, 0, v5
	s_add_i32 s29, s51, s50
	s_mul_i32 s28, s60, s26
	v_xor_b32_e32 v28, v1, v19
	v_xor_b32_e32 v29, v68, v19
	v_cndmask_b32_e32 v5, v24, v27, vcc
	s_add_i32 s3, s25, s3
	s_add_i32 s25, s29, s52
	s_mov_b32 s63, 0x1000504
	v_lshlrev_b32_e32 v25, 8, v65
	v_lshlrev_b32_e32 v26, 8, v26
	;; [unrolled: 1-line block ×4, first 2 shown]
	v_lshl_or_b32 v4, v4, 10, v5
	s_add_i32 s29, s3, s28
	s_lshl_b64 s[36:37], s[24:25], 2
	s_mov_b32 s64, 0x3020706
	v_or_b32_e32 v75, 0xa000, v30
	v_or_b32_e32 v76, 0xb000, v30
	;; [unrolled: 1-line block ×5, first 2 shown]
	v_xor_b32_e32 v5, 8, v4
	v_xor_b32_e32 v25, 24, v4
	;; [unrolled: 1-line block ×4, first 2 shown]
	s_mul_i32 s28, s48, s26
	s_add_u32 s3, s18, s36
	v_or_b32_e32 v81, v26, v28
	v_xor_b32_e32 v24, 16, v4
	v_xor_b32_e32 v26, 32, v4
	;; [unrolled: 1-line block ×3, first 2 shown]
	v_add_u32_e32 v5, 0x80, v5
	v_add_u32_e32 v25, 0x80, v25
	;; [unrolled: 1-line block ×4, first 2 shown]
	s_addc_u32 s25, s19, s37
	s_lshl_b64 s[28:29], s[28:29], 2
	s_add_u32 s44, s3, s28
	s_movk_i32 s3, 0xf8
	s_addc_u32 s45, s25, s29
	s_lshl_b32 s38, s23, 7
	s_movk_i32 s36, 0x100
	v_mov_b32_e32 v55, 0
	v_lshlrev_b32_e32 v54, 4, v65
	v_cmp_gt_u32_e32 vcc, s36, v0
	s_mov_b32 s65, 0
	s_movk_i32 s25, 0x1000
	s_movk_i32 s30, 0x4000
	v_add_u32_e32 v96, v62, v18
	v_mov_b32_e32 v107, v55
	v_mov_b32_e32 v108, v55
	;; [unrolled: 1-line block ×8, first 2 shown]
	s_waitcnt vmcnt(1)
	v_perm_b32 v30, v6, v14, s63
	s_waitcnt vmcnt(0)
	v_perm_b32 v31, v10, v20, s63
	v_perm_b32 v6, v6, v14, s64
	;; [unrolled: 1-line block ×15, first 2 shown]
	ds_write2st64_b32 v4, v30, v31 offset0:32 offset1:64
	ds_write2st64_b32 v5, v6, v10 offset0:32 offset1:64
	;; [unrolled: 1-line block ×8, first 2 shown]
	v_or_b32_e32 v4, v62, v65
	v_lshlrev_b32_e32 v4, 3, v4
	v_lshrrev_b32_e32 v6, 5, v63
	v_and_or_b32 v6, v4, s3, v6
	v_lshlrev_b32_e32 v6, 4, v6
	v_lshrrev_b32_e32 v5, 2, v63
	v_lshlrev_b32_e32 v11, 11, v53
	v_and_b32_e32 v4, 0x78, v4
	v_or_b32_e32 v10, 32, v6
	v_and_b32_e32 v7, 12, v5
	v_and_b32_e32 v5, 0x1000, v11
	v_xor_b32_e32 v8, v6, v4
	v_lshrrev_b32_e32 v9, 1, v63
	v_xor_b32_e32 v10, v10, v4
	v_or_b32_e32 v8, v8, v5
	v_and_b32_e32 v9, 8, v9
	v_lshlrev_b32_e32 v12, 7, v64
	v_or_b32_e32 v10, v10, v5
	v_xor_b32_e32 v83, v8, v9
	v_or_b32_e32 v8, v12, v19
	v_xor_b32_e32 v85, v10, v9
	v_or_b32_e32 v10, 64, v6
	v_or_b32_e32 v6, 0x60, v6
	s_ashr_i32 s3, s2, 31
	v_lshlrev_b32_e32 v8, 1, v8
	v_xor_b32_e32 v10, v10, v4
	v_xor_b32_e32 v4, v6, v4
	s_lshl_b64 s[28:29], s[2:3], 8
	v_or_b32_e32 v84, 0xa000, v8
	v_or_b32_e32 v86, 0xa080, v8
	;; [unrolled: 1-line block ×6, first 2 shown]
	s_add_u32 s28, s4, s28
	v_lshlrev_b32_e32 v8, 1, v65
	v_lshlrev_b32_e32 v19, 2, v0
	v_lshrrev_b32_e32 v22, 1, v0
	v_xor_b32_e32 v87, v10, v9
	v_xor_b32_e32 v88, v4, v9
	v_lshrrev_b32_e32 v10, 4, v0
	s_addc_u32 s29, s5, s29
	v_or_b32_e32 v9, 1, v8
	v_mov_b32_e32 v20, 0x4000
	v_mov_b32_e32 v21, 0x2000
	v_and_b32_e32 v22, 24, v22
	v_and_or_b32 v12, v19, 60, v12
	v_mov_b32_e32 v19, 0xb000
	v_xor_b32_e32 v15, v10, v8
	v_xor_b32_e32 v16, v9, v10
	v_lshl_add_u64 v[8:9], s[28:29], 0, v[54:55]
	v_lshlrev_b32_e32 v54, 8, v10
	v_cndmask_b32_e32 v20, v20, v21, vcc
	v_lshlrev_b32_e32 v21, 3, v53
	v_lshl_or_b32 v93, v12, 1, v19
	v_or_b32_e32 v12, 32, v22
	v_lshl_or_b32 v91, v15, 3, v54
	v_and_b32_e32 v15, 8, v0
	v_xor_b32_e32 v12, v21, v12
	v_cmp_eq_u32_e32 vcc, 0, v15
	v_or_b32_e32 v19, 0x440, v12
	v_and_b32_e32 v10, 7, v0
	v_cndmask_b32_e32 v12, v19, v12, vcc
	v_lshl_or_b32 v92, v16, 3, v54
	v_lshlrev_b32_e32 v16, 3, v10
	v_or_b32_e32 v12, v12, v11
	v_xor_b32_e32 v19, v12, v16
	v_or_b32_e32 v12, 64, v22
	v_xor_b32_e32 v12, v21, v12
	v_xor_b32_e32 v25, 0x440, v12
	v_cndmask_b32_e32 v12, v25, v12, vcc
	v_or_b32_e32 v12, v12, v11
	v_xor_b32_e32 v25, v12, v16
	v_or_b32_e32 v12, 0x60, v22
	v_xor_b32_e32 v23, v21, v22
	v_xor_b32_e32 v12, v21, v12
	v_or_b32_e32 v24, 0x440, v23
	v_xor_b32_e32 v21, 0x440, v12
	v_cndmask_b32_e32 v15, v24, v23, vcc
	v_cndmask_b32_e32 v12, v21, v12, vcc
	v_or_b32_e32 v4, s2, v65
	v_or_b32_e32 v15, v15, v11
	;; [unrolled: 1-line block ×3, first 2 shown]
	v_ashrrev_i32_e32 v5, 31, v4
	v_lshlrev_b32_e32 v13, 1, v3
	v_add_lshl_u32 v3, v3, s23, 1
	v_or_b32_e32 v14, 0x100, v2
	v_xor_b32_e32 v15, v15, v16
	v_xor_b32_e32 v11, v11, v16
	v_lshlrev_b32_e32 v6, 7, v1
	v_lshlrev_b32_e32 v17, 7, v10
	v_or_b32_e32 v10, v7, v62
	v_add_u32_e32 v23, v20, v15
	v_add_u32_e32 v24, v20, v19
	;; [unrolled: 1-line block ×4, first 2 shown]
	v_or3_b32 v12, v62, v7, 64
	v_add_u32_e32 v7, 0x4000, v15
	v_add_u32_e32 v15, 0x4000, v19
	;; [unrolled: 1-line block ×4, first 2 shown]
	v_cndmask_b32_e64 v94, v13, v2, s[0:1]
	v_cndmask_b32_e64 v95, v3, v14, s[0:1]
	v_lshlrev_b64 v[2:3], 1, v[4:5]
	v_lshl_add_u64 v[56:57], s[16:17], 0, v[2:3]
	v_lshl_add_u64 v[58:59], s[6:7], 0, v[2:3]
	;; [unrolled: 1-line block ×3, first 2 shown]
	s_mov_b32 s3, 0x7060302
	v_lshlrev_b32_e32 v54, 1, v6
	v_lshlrev_b32_e32 v97, 2, v10
	v_add_u32_e32 v98, v23, v17
	v_add_u32_e32 v99, v24, v17
	v_add_u32_e32 v100, v26, v17
	v_add_u32_e32 v101, v16, v17
	v_lshlrev_b32_e32 v102, 2, v12
	v_add_u32_e32 v103, v7, v17
	v_add_u32_e32 v104, v15, v17
	;; [unrolled: 1-line block ×4, first 2 shown]
	v_mov_b32_e32 v2, v55
	v_mov_b32_e32 v3, v55
	;; [unrolled: 1-line block ×8, first 2 shown]
	s_waitcnt lgkmcnt(0)
	s_barrier
.LBB277_6:                              ; =>This Inner Loop Header: Depth=1
	s_add_i32 s66, s65, 1
	s_cmp_lt_i32 s66, s53
	s_mov_b64 s[36:37], 0
	s_cselect_b64 s[46:47], -1, 0
	s_cmp_ge_i32 s66, s53
	s_mov_b64 s[28:29], 0
	s_cbranch_scc1 .LBB277_8
; %bb.7:                                ;   in Loop: Header=BB277_6 Depth=1
	s_add_i32 s0, s59, 64
	s_ashr_i32 s1, s0, 31
	s_add_u32 s0, s56, s0
	s_addc_u32 s1, s55, s1
	s_lshl_b64 s[0:1], s[0:1], 8
	s_add_u32 s28, s14, s0
	s_addc_u32 s29, s15, s1
.LBB277_8:                              ;   in Loop: Header=BB277_6 Depth=1
	v_cndmask_b32_e64 v10, 0, 1, s[46:47]
	v_cmp_ne_u32_e64 s[0:1], 1, v10
	s_andn2_b64 vcc, exec, s[46:47]
	s_cbranch_vccnz .LBB277_10
; %bb.9:                                ;   in Loop: Header=BB277_6 Depth=1
	s_add_i32 s36, s59, 64
	s_mul_hi_i32 s37, s36, s22
	s_mul_i32 s36, s36, s22
	s_add_u32 s36, s36, s57
	s_addc_u32 s37, s37, s61
	s_lshl_b64 s[36:37], s[36:37], 8
	s_add_u32 s36, s12, s36
	s_addc_u32 s37, s13, s37
.LBB277_10:                             ;   in Loop: Header=BB277_6 Depth=1
	v_perm_b32 v11, v5, v4, s3
	v_perm_b32 v10, v3, v2, s3
	;; [unrolled: 1-line block ×4, first 2 shown]
	ds_write_b64 v75, v[10:11]
	ds_write_b64 v76, v[12:13]
	;; [unrolled: 1-line block ×4, first 2 shown]
	v_perm_b32 v11, v114, v109, s3
	v_perm_b32 v10, v108, v107, s3
	;; [unrolled: 1-line block ×4, first 2 shown]
	ds_write_b64 v77, v[10:11]
	ds_write_b64 v78, v[12:13]
	;; [unrolled: 1-line block ×4, first 2 shown]
	s_waitcnt lgkmcnt(0)
	s_barrier
	ds_read_b64 v[14:15], v83 offset:24576
	ds_read2_b64 v[10:13], v84 offset1:16
	ds_read_b64 v[18:19], v86 offset:3072
	ds_read_b64 v[20:21], v84 offset:3072
	;; [unrolled: 1-line block ×3, first 2 shown]
	s_waitcnt lgkmcnt(3)
	v_mfma_f32_16x16x16_bf16 a[0:3], v[14:15], v[10:11], 0
	s_add_i32 s67, s59, 63
	s_ashr_i32 s39, s67, 31
	s_mul_i32 s46, s67, s11
	v_mfma_f32_16x16x16_bf16 a[4:7], v[14:15], v[12:13], 0
	ds_read2st64_b64 v[10:13], v84 offset0:2 offset1:4
	s_mul_hi_u32 s47, s67, s10
	s_add_i32 s46, s47, s46
	s_waitcnt lgkmcnt(0)
	v_mfma_f32_16x16x16_bf16 a[0:3], v[22:23], v[10:11], a[0:3]
	ds_read2st64_b64 v[14:17], v86 offset0:2 offset1:4
	ds_read_b64 v[10:11], v87 offset:24576
	s_mul_i32 s39, s39, s10
	s_add_i32 s47, s46, s39
	s_waitcnt lgkmcnt(1)
	v_mfma_f32_16x16x16_bf16 a[4:7], v[22:23], v[14:15], a[4:7]
	ds_read_b64 v[14:15], v88 offset:24576
	s_mul_i32 s46, s67, s10
	s_lshl_b64 s[46:47], s[46:47], 2
	s_waitcnt lgkmcnt(1)
	v_mfma_f32_16x16x16_bf16 a[0:3], v[10:11], v[12:13], a[0:3]
	s_add_u32 s46, s44, s46
	s_addc_u32 s47, s45, s47
	s_and_b64 vcc, exec, s[0:1]
	v_mfma_f32_16x16x16_bf16 a[8:11], v[10:11], v[16:17], a[4:7]
	v_mov_b32_e32 v117, 0
	v_mov_b32_e32 v116, 0
	;; [unrolled: 1-line block ×3, first 2 shown]
	s_waitcnt lgkmcnt(0)
	v_mfma_f32_16x16x16_bf16 a[4:7], v[14:15], v[20:21], a[0:3]
	v_mov_b32_e32 v10, 0
	v_mov_b32_e32 v11, 0
	v_mov_b32_e32 v12, 0
	v_mfma_f32_16x16x16_bf16 a[0:3], v[14:15], v[18:19], a[8:11]
	v_mov_b32_e32 v13, 0
	v_mov_b32_e32 v14, 0
	;; [unrolled: 1-line block ×13, first 2 shown]
	s_cbranch_vccnz .LBB277_12
; %bb.11:                               ;   in Loop: Header=BB277_6 Depth=1
	s_and_b32 s29, s29, 0xffff
	buffer_load_dwordx4 v[22:25], v71, s[28:31], 0 offen
	buffer_load_dwordx4 v[18:21], v71, s[28:31], s62 offen
	;; [unrolled: 1-line block ×4, first 2 shown]
	v_mov_b32_e32 v116, v73
	v_mov_b32_e32 v115, v74
.LBB277_12:                             ;   in Loop: Header=BB277_6 Depth=1
	ds_read_b64 v[34:35], v83 offset:32768
	ds_read2_b64 v[26:29], v89 offset1:16
	ds_read_b64 v[36:37], v85 offset:32768
	ds_read_b64 v[38:39], v87 offset:32768
	ds_read_b64 v[40:41], v88 offset:32768
	ds_read2st64_b64 v[30:33], v89 offset0:2 offset1:4
	v_add_u32_e32 v42, s59, v96
	s_waitcnt lgkmcnt(4)
	v_mfma_f32_16x16x16_bf16 a[4:7], v[34:35], v[26:27], a[4:7]
	v_ashrrev_i32_e32 v26, 31, v42
	v_mov_b32_e32 v118, 0
	v_mfma_f32_16x16x16_bf16 a[0:3], v[34:35], v[28:29], a[0:3]
	v_mul_lo_u32 v28, v42, s11
	v_mul_lo_u32 v29, v26, s10
	v_mad_u64_u32 v[26:27], s[28:29], v42, s10, 0
	v_add3_u32 v27, v27, v28, v29
	v_add_u32_e32 v28, 1, v42
	v_ashrrev_i32_e32 v29, 31, v28
	s_waitcnt lgkmcnt(0)
	v_mfma_f32_16x16x16_bf16 a[4:7], v[36:37], v[30:31], a[4:7]
	v_mul_lo_u32 v30, v29, s10
	v_mul_lo_u32 v31, v28, s11
	v_mad_u64_u32 v[28:29], s[28:29], v28, s10, 0
	v_add3_u32 v29, v29, v31, v30
	v_add_u32_e32 v30, 2, v42
	v_ashrrev_i32_e32 v31, 31, v30
	v_mul_lo_u32 v34, v31, s10
	v_mul_lo_u32 v35, v30, s11
	v_mad_u64_u32 v[30:31], s[28:29], v30, s10, 0
	v_add3_u32 v31, v31, v35, v34
	v_add_u32_e32 v34, 3, v42
	v_ashrrev_i32_e32 v35, 31, v34
	v_mul_lo_u32 v42, v35, s10
	v_mul_lo_u32 v43, v34, s11
	v_mad_u64_u32 v[34:35], s[28:29], v34, s10, 0
	s_ashr_i32 s29, s59, 31
	v_add3_u32 v35, v35, v43, v42
	s_add_u32 s28, s56, s59
	v_lshl_add_u64 v[26:27], v[26:27], 2, s[44:45]
	v_lshl_add_u64 v[34:35], v[34:35], 2, s[44:45]
	s_addc_u32 s29, s55, s29
	v_lshl_add_u64 v[28:29], v[28:29], 2, s[44:45]
	v_lshl_add_u64 v[30:31], v[30:31], 2, s[44:45]
	global_load_dword v42, v[26:27], off
	global_load_dword v43, v[28:29], off
	;; [unrolled: 1-line block ×3, first 2 shown]
	s_nop 0
	global_load_dword v35, v[34:35], off
	s_lshl_b64 s[68:69], s[28:29], 8
	v_lshl_add_u64 v[26:27], v[56:57], 0, s[68:69]
	v_lshl_add_u64 v[30:31], v[26:27], 0, v[54:55]
	global_load_ushort v45, v[30:31], off offset:256
	global_load_ushort v46, v[30:31], off
	global_load_ushort v47, v[30:31], off offset:768
	global_load_ushort v48, v[30:31], off offset:512
	ds_read2st64_b64 v[26:29], v90 offset0:2 offset1:4
	global_load_ushort v49, v[30:31], off offset:800
	global_load_ushort v50, v[30:31], off offset:544
	;; [unrolled: 1-line block ×4, first 2 shown]
	s_waitcnt lgkmcnt(0)
	v_mfma_f32_16x16x16_bf16 a[0:3], v[36:37], v[26:27], a[0:3]
	s_and_b64 vcc, exec, s[0:1]
	s_waitcnt vmcnt(7)
	v_lshlrev_b32_e32 v37, 16, v45
	v_mfma_f32_16x16x16_bf16 a[4:7], v[38:39], v[32:33], a[4:7]
	s_waitcnt vmcnt(6)
	v_lshlrev_b32_e32 v36, 16, v46
	v_mfma_f32_16x16x16_bf16 a[0:3], v[38:39], v[28:29], a[0:3]
	ds_read_b64 v[26:27], v89 offset:3072
	ds_read_b64 v[28:29], v90 offset:3072
	s_load_dword s28, s[46:47], 0x0
	s_waitcnt vmcnt(5)
	v_lshlrev_b32_e32 v39, 16, v47
	s_waitcnt lgkmcnt(0)
	v_mfma_f32_16x16x16_bf16 a[4:7], v[40:41], v[26:27], a[4:7]
	v_lshl_add_u64 v[26:27], v[58:59], 0, s[68:69]
	v_sub_f32_e32 v34, s28, v42
	v_sub_f32_e32 v38, s28, v43
	v_mfma_f32_16x16x16_bf16 a[0:3], v[40:41], v[28:29], a[0:3]
	v_sub_f32_e32 v40, s28, v44
	v_sub_f32_e32 v41, s28, v35
	v_exp_f32_e32 v34, v34
	v_exp_f32_e32 v35, v38
	;; [unrolled: 1-line block ×4, first 2 shown]
	v_accvgpr_read_b32 v33, a5
	v_accvgpr_read_b32 v29, a7
	;; [unrolled: 1-line block ×4, first 2 shown]
	s_waitcnt vmcnt(4)
	v_lshlrev_b32_e32 v38, 16, v48
	v_lshl_add_u64 v[26:27], v[26:27], 0, v[54:55]
	v_pk_add_f32 v[32:33], v[36:37], v[32:33] neg_lo:[0,1] neg_hi:[0,1]
	v_pk_add_f32 v[28:29], v[38:39], v[28:29] neg_lo:[0,1] neg_hi:[0,1]
	global_store_short_d16_hi v[26:27], v32, off
	global_store_short_d16_hi v[26:27], v33, off offset:256
	global_store_short_d16_hi v[26:27], v28, off offset:512
	;; [unrolled: 1-line block ×3, first 2 shown]
	v_pk_mul_f32 v[32:33], v[34:35], v[32:33]
	v_pk_mul_f32 v[28:29], v[40:41], v[28:29]
	v_accvgpr_read_b32 v37, a1
	v_perm_b32 v32, v33, v32, s3
	v_perm_b32 v33, v29, v28, s3
	s_waitcnt vmcnt(5)
	v_lshlrev_b32_e32 v29, 16, v51
	s_waitcnt vmcnt(4)
	v_lshlrev_b32_e32 v28, 16, v52
	v_accvgpr_read_b32 v36, a0
	v_accvgpr_read_b32 v31, a3
	;; [unrolled: 1-line block ×3, first 2 shown]
	v_pk_add_f32 v[28:29], v[28:29], v[36:37] neg_lo:[0,1] neg_hi:[0,1]
	v_lshlrev_b32_e32 v37, 16, v49
	v_lshlrev_b32_e32 v36, 16, v50
	v_pk_add_f32 v[30:31], v[36:37], v[30:31] neg_lo:[0,1] neg_hi:[0,1]
	global_store_short_d16_hi v[26:27], v28, off offset:32
	global_store_short_d16_hi v[26:27], v29, off offset:288
	;; [unrolled: 1-line block ×4, first 2 shown]
	v_pk_mul_f32 v[26:27], v[34:35], v[28:29]
	v_pk_mul_f32 v[28:29], v[40:41], v[30:31]
	v_mov_b32_e32 v30, 0
	v_perm_b32 v29, v29, v28, s3
	v_perm_b32 v28, v27, v26, s3
	ds_write2_b64 v76, v[32:33], v[28:29] offset1:16
	v_mov_b32_e32 v26, 0
	v_mov_b32_e32 v27, 0
	;; [unrolled: 1-line block ×15, first 2 shown]
	s_cbranch_vccnz .LBB277_14
; %bb.13:                               ;   in Loop: Header=BB277_6 Depth=1
	s_and_b32 s37, s37, 0xffff
	s_mov_b32 s39, s31
	buffer_load_dwordx4 v[38:41], v94, s[36:39], 0 offen
	buffer_load_dwordx4 v[30:33], v94, s[36:39], s62 offen
	;; [unrolled: 1-line block ×4, first 2 shown]
	v_mov_b32_e32 v117, v70
	v_mov_b32_e32 v118, v69
.LBB277_14:                             ;   in Loop: Header=BB277_6 Depth=1
	s_waitcnt lgkmcnt(0)
	s_barrier
	ds_read_b64 v[46:47], v98
	ds_read_b64 v[124:125], v93
	;; [unrolled: 1-line block ×5, first 2 shown]
	ds_read_b64 v[138:139], v90 offset:3072
	ds_read2_b64 v[42:45], v89 offset0:16 offset1:128
	s_waitcnt lgkmcnt(5)
	v_mfma_f32_16x16x16_bf16 a[0:3], v[46:47], v[124:125], 0
	s_add_i32 s29, s54, s65
	s_mul_hi_i32 s37, s29, s49
	s_mul_i32 s29, s29, s49
	s_waitcnt lgkmcnt(0)
	v_mfma_f32_16x16x16_bf16 a[4:7], v[46:47], v[42:43], 0
	ds_read_b64 v[46:47], v103
	ds_read2st64_b64 v[48:51], v90 offset0:2 offset1:4
	s_add_u32 s36, s29, s48
	s_addc_u32 s37, s37, s60
	s_lshl_b64 s[36:37], s[36:37], 15
	s_mul_i32 s39, s67, s49
	s_mul_hi_i32 s29, s67, s49
	s_add_u32 s46, s39, s48
	s_waitcnt lgkmcnt(1)
	v_mfma_f32_16x16x16_bf16 a[8:11], v[46:47], v[124:125], 0
	s_addc_u32 s47, s29, s60
	ds_read2st64_b64 v[120:123], v89 offset0:4 offset1:6
	s_lshl_b64 s[46:47], s[46:47], 9
	v_mfma_f32_16x16x16_bf16 a[0:3], v[126:127], v[44:45], a[0:3]
	s_add_u32 s46, s40, s46
	s_addc_u32 s47, s41, s47
	s_waitcnt lgkmcnt(1)
	v_mfma_f32_16x16x16_bf16 a[4:7], v[126:127], v[48:49], a[4:7]
	ds_read_b64 v[126:127], v104
	ds_read_b64 v[134:135], v105
	;; [unrolled: 1-line block ×3, first 2 shown]
	v_mfma_f32_16x16x16_bf16 a[12:15], v[46:47], v[42:43], 0
	s_waitcnt lgkmcnt(2)
	v_mfma_f32_16x16x16_bf16 a[8:11], v[126:127], v[44:45], a[8:11]
	global_load_dwordx4 v[42:45], v102, s[46:47]
	v_mfma_f32_16x16x16_bf16 a[12:15], v[126:127], v[48:49], a[12:15]
	global_load_dwordx4 v[46:49], v97, s[46:47]
	ds_read2st64_b64 v[124:127], v91 offset1:8
	s_waitcnt lgkmcnt(0)
	v_mov_b32_e32 v132, v124
	v_mfma_f32_16x16x16_bf16 a[0:3], v[128:129], v[120:121], a[0:3]
	v_mov_b32_e32 v133, v125
	v_mfma_f32_16x16x16_bf16 a[4:7], v[128:129], v[50:51], a[4:7]
	ds_read2st64_b64 v[128:131], v92 offset1:8
	v_mfma_f32_16x16x16_bf16 a[8:11], v[134:135], v[120:121], a[8:11]
	v_lshl_add_u64 v[120:121], v[60:61], 0, s[36:37]
	v_mfma_f32_16x16x16_bf16 a[16:19], v[134:135], v[50:51], a[12:15]
	v_add_co_u32_e32 v50, vcc, s25, v120
	s_waitcnt lgkmcnt(0)
	v_mov_b32_e32 v134, v128
	v_mfma_f32_16x16x16_bf16 a[0:3], v[136:137], v[122:123], a[0:3]
	v_mov_b32_e32 v135, v129
	v_mov_b32_e32 v128, v126
	;; [unrolled: 1-line block ×3, first 2 shown]
	v_mfma_f32_16x16x16_bf16 a[4:7], v[136:137], v[138:139], a[4:7]
	v_addc_co_u32_e32 v51, vcc, 0, v121, vcc
	global_store_dwordx4 v[50:51], v[128:131], off
	v_mfma_f32_16x16x16_bf16 a[12:15], v[140:141], v[122:123], a[8:11]
	s_and_b64 vcc, exec, s[0:1]
	global_store_dwordx4 v[120:121], v[132:135], off
	s_waitcnt vmcnt(3)
	v_mov_b32_e32 v52, v45
	v_mfma_f32_16x16x16_bf16 a[8:11], v[140:141], v[138:139], a[16:19]
	v_mov_b32_e32 v51, v44
	v_mov_b32_e32 v50, v43
	s_cbranch_vccnz .LBB277_16
; %bb.15:                               ;   in Loop: Header=BB277_6 Depth=1
	v_lshrrev_b32_e32 v43, 3, v117
	v_and_b32_e32 v43, 6, v43
	v_xor_b32_e32 v44, v43, v118
	v_lshlrev_b32_e32 v44, 2, v44
	v_and_b32_e32 v45, 8, v117
	v_xor_b32_e32 v117, 0x440, v44
	v_cmp_eq_u32_e32 vcc, 0, v45
	v_perm_b32 v45, v30, v26, s63
	s_nop 0
	v_cndmask_b32_e32 v44, v117, v44, vcc
	v_lshl_or_b32 v43, v43, 10, v44
	v_perm_b32 v44, v38, v34, s63
	s_barrier
	ds_write2st64_b32 v43, v44, v45 offset0:32 offset1:64
	v_xor_b32_e32 v44, 8, v43
	v_perm_b32 v34, v38, v34, s64
	v_perm_b32 v26, v30, v26, s64
	v_add_u32_e32 v30, 0x80, v44
	ds_write2st64_b32 v30, v34, v26 offset0:32 offset1:64
	v_xor_b32_e32 v26, 16, v43
	v_perm_b32 v30, v39, v35, s63
	v_perm_b32 v34, v31, v27, s63
	ds_write2st64_b32 v26, v30, v34 offset0:33 offset1:65
	v_xor_b32_e32 v26, 24, v43
	v_perm_b32 v30, v39, v35, s64
	v_perm_b32 v27, v31, v27, s64
	v_add_u32_e32 v26, 0x80, v26
	ds_write2st64_b32 v26, v30, v27 offset0:33 offset1:65
	v_xor_b32_e32 v26, 32, v43
	v_perm_b32 v27, v40, v36, s63
	v_perm_b32 v30, v32, v28, s63
	;; [unrolled: 9-line block ×3, first 2 shown]
	ds_write2st64_b32 v26, v27, v28 offset0:35 offset1:67
	v_xor_b32_e32 v26, 56, v43
	v_perm_b32 v27, v41, v37, s64
	v_perm_b32 v28, v33, v29, s64
	v_add_u32_e32 v26, 0x80, v26
	ds_write2st64_b32 v26, v27, v28 offset0:35 offset1:67
	ds_write_b64 v116, v[22:23] offset:24576
	v_xor_b32_e32 v22, 8, v116
	ds_write_b64 v22, v[24:25] offset:24576
	ds_write_b64 v116, v[18:19] offset:32768
	;; [unrolled: 1-line block ×4, first 2 shown]
	v_xor_b32_e32 v14, 8, v115
	ds_write_b64 v14, v[16:17] offset:24576
	ds_write_b64 v115, v[10:11] offset:32768
	;; [unrolled: 1-line block ×3, first 2 shown]
.LBB277_16:                             ;   in Loop: Header=BB277_6 Depth=1
	v_exp_f32_e32 v26, s28
	s_waitcnt vmcnt(2)
	v_exp_f32_e32 v28, v46
	v_exp_f32_e32 v29, v47
	;; [unrolled: 1-line block ×4, first 2 shown]
	v_accvgpr_read_b32 v21, a3
	v_accvgpr_read_b32 v19, a1
	;; [unrolled: 1-line block ×4, first 2 shown]
	v_pk_mul_f32 v[28:29], v[26:27], v[28:29] op_sel_hi:[0,1]
	v_accvgpr_read_b32 v20, a2
	v_accvgpr_read_b32 v11, a5
	;; [unrolled: 1-line block ×3, first 2 shown]
	v_pk_fma_f32 v[2:3], v[2:3], v[28:29], v[18:19]
	v_pk_mul_f32 v[18:19], v[26:27], v[30:31] op_sel_hi:[0,1]
	v_pk_fma_f32 v[4:5], v[4:5], v[18:19], v[20:21]
	v_fma_f32 v107, v107, v28, v10
	v_fma_f32 v108, v108, v29, v11
	v_exp_f32_e32 v10, v42
	v_exp_f32_e32 v11, v50
	;; [unrolled: 1-line block ×4, first 2 shown]
	v_accvgpr_read_b32 v12, a6
	v_accvgpr_read_b32 v25, a15
	;; [unrolled: 1-line block ×9, first 2 shown]
	v_fma_f32 v109, v109, v18, v12
	v_fmac_f32_e32 v13, v114, v19
	v_pk_mul_f32 v[10:11], v[26:27], v[10:11] op_sel_hi:[0,1]
	v_pk_mul_f32 v[18:19], v[26:27], v[20:21] op_sel_hi:[0,1]
	s_add_i32 s59, s59, 64
	v_pk_fma_f32 v[6:7], v[6:7], v[10:11], v[22:23]
	v_pk_fma_f32 v[8:9], v[8:9], v[18:19], v[24:25]
	v_fma_f32 v110, v110, v10, v14
	v_fma_f32 v111, v111, v11, v15
	;; [unrolled: 1-line block ×3, first 2 shown]
	s_cmp_eq_u32 s53, s66
	v_fmac_f32_e32 v17, v113, v19
	s_cbranch_scc1 .LBB277_18
; %bb.17:                               ;   in Loop: Header=BB277_6 Depth=1
	s_mov_b32 s65, s66
	v_mov_b32_e32 v114, v13
	v_mov_b32_e32 v113, v17
	s_branch .LBB277_6
.LBB277_18:
	v_mov_b32_e32 v16, v112
	v_mov_b32_e32 v15, v111
	;; [unrolled: 1-line block ×6, first 2 shown]
.LBB277_19:
	s_lshl_b32 s3, s53, 6
	s_sub_i32 s58, s58, s3
	s_cmp_gt_i32 s58, 0
	v_or_b32_e32 v34, s2, v65
	s_cbranch_scc1 .LBB277_21
; %bb.20:
	s_ashr_i32 s37, s48, 31
	v_or_b32_e32 v35, s2, v65
	s_cbranch_execz .LBB277_22
	s_branch .LBB277_86
.LBB277_21:
                                        ; implicit-def: $vgpr35
                                        ; implicit-def: $sgpr36_sgpr37
.LBB277_22:
	s_add_i32 s36, s3, s42
	s_ashr_i32 s3, s36, 31
	s_cmpk_lg_i32 s23, 0x80
	s_cselect_b64 s[44:45], -1, 0
	s_and_b64 vcc, exec, s[44:45]
	s_cbranch_vccz .LBB277_24
; %bb.23:
	s_mul_hi_i32 s0, s36, s22
	s_mul_i32 s1, s36, s22
	s_ashr_i32 s22, s57, 31
	s_add_u32 s46, s1, s57
	s_addc_u32 s47, s0, s22
	s_cbranch_execz .LBB277_25
	s_branch .LBB277_26
.LBB277_24:
                                        ; implicit-def: $sgpr46_sgpr47
.LBB277_25:
	s_mul_i32 s1, s57, s20
	s_mul_hi_i32 s0, s57, s20
	s_add_u32 s46, s1, s36
	s_addc_u32 s47, s0, s3
.LBB277_26:
	s_add_i32 s20, s53, s54
	s_ashr_i32 s37, s48, 31
	s_add_u32 s0, s56, s36
	v_lshlrev_b32_e32 v22, 5, v1
	v_lshlrev_b32_e32 v40, 2, v65
	s_addc_u32 s1, s55, s3
	s_mov_b32 s3, 0x7060302
	v_or_b32_e32 v25, v22, v40
	v_xor_b32_e32 v23, v1, v40
	v_perm_b32 v19, v5, v4, s3
	v_perm_b32 v18, v3, v2, s3
	;; [unrolled: 1-line block ×4, first 2 shown]
	v_lshlrev_b32_e32 v25, 1, v25
	v_xor_b32_e32 v24, v68, v40
	ds_write2st64_b64 v25, v[18:19], v[20:21] offset0:80 offset1:88
	v_lshlrev_b32_e32 v23, 1, v23
	v_lshlrev_b32_e32 v25, 8, v65
	s_lshl_b64 s[38:39], s[0:1], 8
	v_or_b32_e32 v26, v23, v25
	v_lshlrev_b32_e32 v24, 1, v24
	s_add_u32 s0, s14, s38
	ds_write_b64 v26, v[18:19]
	v_or_b32_e32 v18, v24, v25
	s_addc_u32 s1, s15, s39
	ds_write_b64 v18, v[20:21]
	v_perm_b32 v19, v13, v12, s3
	v_perm_b32 v18, v11, v10, s3
	;; [unrolled: 1-line block ×4, first 2 shown]
	v_or_b32_e32 v25, 16, v65
	s_mul_hi_i32 s3, s20, s21
	s_mul_i32 s20, s20, s21
	v_lshlrev_b32_e32 v37, 2, v25
	s_add_u32 s14, s20, s48
	v_or_b32_e32 v22, v22, v37
	s_addc_u32 s15, s3, s37
	v_lshlrev_b32_e32 v22, 1, v22
	s_ashr_i32 s3, s2, 31
	s_lshl_b64 s[14:15], s[14:15], 15
	ds_write2st64_b64 v22, v[18:19], v[20:21] offset0:80 offset1:88
	v_lshlrev_b32_e32 v22, 8, v25
	s_add_u32 s4, s4, s14
	v_or_b32_e32 v23, v23, v22
	s_addc_u32 s5, s5, s15
	s_lshl_b64 s[2:3], s[2:3], 8
	ds_write_b64 v23, v[18:19]
	v_or_b32_e32 v18, v24, v22
	s_add_u32 s2, s4, s2
	ds_write_b64 v18, v[20:21]
	v_lshrrev_b32_e32 v18, 4, v0
	s_addc_u32 s3, s5, s3
	v_lshlrev_b32_e32 v19, 1, v65
	v_lshlrev_b32_e32 v26, 4, v65
	v_mov_b32_e32 v27, 0
	v_or_b32_e32 v20, 1, v19
	v_xor_b32_e32 v19, v18, v19
	v_lshl_add_u64 v[28:29], s[2:3], 0, v[26:27]
	v_lshlrev_b32_e32 v26, 8, v18
	v_xor_b32_e32 v22, v20, v18
	v_lshl_or_b32 v18, v19, 3, v26
	s_waitcnt lgkmcnt(0)
	s_barrier
	ds_read2st64_b64 v[18:21], v18 offset1:8
	v_lshl_or_b32 v22, v22, 3, v26
	ds_read2st64_b64 v[22:25], v22 offset1:8
	v_lshl_add_u64 v[30:31], v[28:29], 0, v[26:27]
	s_movk_i32 s2, 0x1000
	s_waitcnt lgkmcnt(1)
	v_mov_b32_e32 v26, v18
	v_add_co_u32_e32 v18, vcc, s2, v30
	s_cmp_lg_u32 s58, 64
	v_mov_b32_e32 v27, v19
	v_addc_co_u32_e32 v19, vcc, 0, v31, vcc
	s_cselect_b64 s[4:5], -1, 0
	v_lshl_or_b32 v35, v53, 3, v67
	s_waitcnt lgkmcnt(0)
	v_mov_b32_e32 v28, v22
	v_mov_b32_e32 v29, v23
	;; [unrolled: 1-line block ×4, first 2 shown]
	s_mov_b32 s28, 0
	v_or_b32_e32 v38, 32, v35
	v_and_b32_e32 v36, 56, v66
	s_and_b64 vcc, exec, s[4:5]
	global_store_dwordx4 v[30:31], v[26:29], off
	global_store_dwordx4 v[18:19], v[22:25], off
	s_cbranch_vccz .LBB277_32
; %bb.27:
	s_mov_b32 s29, s28
	s_mov_b32 s30, s28
	;; [unrolled: 1-line block ×3, first 2 shown]
	v_mov_b64_e32 v[22:23], s[28:29]
	v_mov_b64_e32 v[24:25], s[30:31]
	;; [unrolled: 1-line block ×3, first 2 shown]
	v_cmp_gt_i32_e32 vcc, s58, v35
	v_mov_b64_e32 v[20:21], v[24:25]
	s_and_saveexec_b64 s[2:3], vcc
	s_cbranch_execz .LBB277_29
; %bb.28:
	v_lshlrev_b32_e32 v18, 8, v35
	v_mov_b32_e32 v19, 0
	v_lshl_add_u64 v[20:21], s[0:1], 0, v[18:19]
	v_lshlrev_b32_e32 v18, 1, v36
	v_lshl_add_u64 v[26:27], v[20:21], 0, v[18:19]
	global_load_dwordx4 v[22:25], v[26:27], off
	global_load_dwordx4 v[18:21], v[26:27], off offset:128
.LBB277_29:
	s_or_b64 exec, exec, s[2:3]
	s_mov_b32 s30, s28
	s_mov_b32 s31, s28
	;; [unrolled: 1-line block ×3, first 2 shown]
	v_mov_b64_e32 v[32:33], s[30:31]
	v_mov_b64_e32 v[30:31], s[28:29]
	;; [unrolled: 1-line block ×3, first 2 shown]
	v_cmp_gt_i32_e32 vcc, s58, v38
	v_lshlrev_b32_e32 v39, 7, v38
	v_mov_b64_e32 v[28:29], v[32:33]
	s_and_saveexec_b64 s[2:3], vcc
	s_cbranch_execz .LBB277_31
; %bb.30:
	v_lshlrev_b32_e32 v26, 1, v39
	v_mov_b32_e32 v27, 0
	v_lshl_add_u64 v[28:29], s[0:1], 0, v[26:27]
	v_lshlrev_b32_e32 v26, 1, v36
	v_lshl_add_u64 v[42:43], v[28:29], 0, v[26:27]
	global_load_dwordx4 v[30:33], v[42:43], off
	global_load_dwordx4 v[26:29], v[42:43], off offset:128
.LBB277_31:
	s_or_b64 exec, exec, s[2:3]
	v_lshrrev_b32_e32 v41, 3, v36
	v_lshlrev_b32_e32 v42, 3, v35
	v_or_b32_e32 v41, v42, v41
	v_lshlrev_b32_e32 v41, 4, v41
	v_and_b32_e32 v42, 0x78, v42
	v_xor_b32_e32 v41, v41, v42
	s_branch .LBB277_34
.LBB277_32:
                                        ; implicit-def: $vgpr41
                                        ; implicit-def: $vgpr39
                                        ; implicit-def: $vgpr22_vgpr23_vgpr24_vgpr25
                                        ; implicit-def: $vgpr18_vgpr19_vgpr20_vgpr21
                                        ; implicit-def: $vgpr30_vgpr31_vgpr32_vgpr33
                                        ; implicit-def: $vgpr26_vgpr27_vgpr28_vgpr29
	s_cbranch_execz .LBB277_34
; %bb.33:
	s_waitcnt vmcnt(0)
	v_lshlrev_b32_e32 v18, 1, v36
	v_lshl_or_b32 v39, v35, 8, v18
	s_and_b32 s1, s1, 0xffff
	s_mov_b32 s3, 0x20000
	s_movk_i32 s2, 0x4000
	v_lshl_or_b32 v41, v38, 8, v18
	s_movk_i32 s14, 0x80
	buffer_load_dwordx4 v[22:25], v39, s[0:3], 0 offen
	buffer_load_dwordx4 v[18:21], v39, s[0:3], s14 offen
	;; [unrolled: 1-line block ×4, first 2 shown]
	v_lshrrev_b32_e32 v39, 3, v36
	v_lshlrev_b32_e32 v41, 3, v35
	v_or_b32_e32 v39, v41, v39
	v_lshlrev_b32_e32 v39, 4, v39
	v_and_b32_e32 v41, 0x78, v41
	v_xor_b32_e32 v41, v39, v41
	v_lshlrev_b32_e32 v39, 7, v38
.LBB277_34:
	s_lshl_b64 s[0:1], s[46:47], 8
	s_add_u32 s12, s12, s0
	s_movk_i32 s0, 0x1000
	v_and_or_b32 v38, v39, s0, v41
	s_waitcnt vmcnt(1)
	ds_write_b64 v41, v[22:23] offset:24576
	v_xor_b32_e32 v22, 8, v41
	ds_write_b64 v22, v[24:25] offset:24576
	s_waitcnt vmcnt(0)
	ds_write_b64 v41, v[18:19] offset:32768
	ds_write_b64 v22, v[20:21] offset:32768
	;; [unrolled: 1-line block ×3, first 2 shown]
	v_xor_b32_e32 v18, 8, v38
	ds_write_b64 v18, v[32:33] offset:24576
	ds_write_b64 v38, v[26:27] offset:32768
	;; [unrolled: 1-line block ×3, first 2 shown]
	v_or_b32_e32 v18, v62, v65
	v_lshlrev_b32_e32 v18, 3, v18
	v_lshrrev_b32_e32 v19, 5, v63
	s_movk_i32 s14, 0xf8
	v_and_or_b32 v19, v18, s14, v19
	v_lshlrev_b32_e32 v23, 4, v19
	v_lshlrev_b32_e32 v41, 11, v53
	v_and_b32_e32 v24, 0x78, v18
	v_or_b32_e32 v26, 32, v23
	v_and_b32_e32 v22, 0x1000, v41
	v_lshrrev_b32_e32 v19, 1, v63
	v_xor_b32_e32 v26, v26, v24
	v_xor_b32_e32 v18, v23, v24
	v_and_b32_e32 v25, 8, v19
	v_or_b32_e32 v26, v26, v22
	v_or_b32_e32 v18, v18, v22
	v_xor_b32_e32 v45, v26, v25
	v_or_b32_e32 v26, 64, v23
	v_xor_b32_e32 v44, v18, v25
	v_xor_b32_e32 v26, v26, v24
	s_waitcnt lgkmcnt(0)
	s_barrier
	v_or_b32_e32 v28, v26, v22
	ds_read_b64 v[26:27], v44 offset:24576
	v_lshl_or_b32 v38, v64, 7, v40
	v_lshlrev_b32_e32 v42, 1, v38
	v_add_u32_e32 v18, 0xa000, v42
	ds_read2_b64 v[18:21], v18 offset1:16
	v_or_b32_e32 v23, 0x60, v23
	v_xor_b32_e32 v23, v23, v24
	s_waitcnt lgkmcnt(0)
	v_mfma_f32_16x16x16_bf16 a[0:3], v[26:27], v[18:19], 0
	v_or_b32_e32 v18, 64, v38
	v_or_b32_e32 v22, v23, v22
	v_lshlrev_b32_e32 v43, 1, v18
	v_xor_b32_e32 v46, v28, v25
	v_xor_b32_e32 v47, v22, v25
	ds_read_b64 v[28:29], v45 offset:24576
	ds_read_b64 v[30:31], v46 offset:24576
	ds_read_b64 v[32:33], v47 offset:24576
	v_mfma_f32_16x16x16_bf16 a[4:7], v[26:27], v[20:21], 0
	ds_read2st64_b64 v[18:21], v43 offset0:82 offset1:84
	ds_read2st64_b64 v[22:25], v42 offset0:82 offset1:84
	s_addc_u32 s13, s13, s1
	s_add_i32 s20, s43, -1
	s_add_i32 s0, s51, s50
	s_add_i32 s25, s0, s52
	s_mul_i32 s0, s48, s27
	s_mul_hi_u32 s1, s48, s26
	s_ashr_i32 s2, s20, 31
	s_mul_i32 s3, s20, s11
	s_mul_hi_u32 s14, s20, s10
	s_add_i32 s0, s1, s0
	s_mul_i32 s1, s37, s26
	s_add_i32 s3, s14, s3
	s_mul_i32 s2, s2, s10
	s_waitcnt lgkmcnt(1)
	v_mfma_f32_16x16x16_bf16 a[4:7], v[28:29], v[18:19], a[4:7]
	s_add_i32 s1, s0, s1
	s_add_i32 s3, s3, s2
	s_lshl_b64 s[14:15], s[24:25], 2
	s_waitcnt lgkmcnt(0)
	v_mfma_f32_16x16x16_bf16 a[0:3], v[28:29], v[22:23], a[0:3]
	s_mul_i32 s0, s48, s26
	s_add_u32 s14, s18, s14
	s_addc_u32 s15, s19, s15
	s_lshl_b64 s[0:1], s[0:1], 2
	s_mul_i32 s2, s20, s10
	s_add_u32 s18, s14, s0
	ds_read_b64 v[18:19], v42 offset:44032
	v_mfma_f32_16x16x16_bf16 a[4:7], v[30:31], v[20:21], a[4:7]
	ds_read_b64 v[20:21], v43 offset:44032
	s_addc_u32 s19, s15, s1
	s_lshl_b64 s[0:1], s[2:3], 2
	v_mfma_f32_16x16x16_bf16 a[0:3], v[30:31], v[24:25], a[0:3]
	s_add_u32 s0, s18, s0
	s_addc_u32 s1, s19, s1
	s_load_dword s22, s[0:1], 0x0
	s_waitcnt lgkmcnt(0)
	v_mfma_f32_16x16x16_bf16 a[0:3], v[32:33], v[18:19], a[0:3]
	s_and_b64 vcc, exec, s[44:45]
	v_mfma_f32_16x16x16_bf16 a[4:7], v[32:33], v[20:21], a[4:7]
	s_cbranch_vccz .LBB277_45
; %bb.35:
	v_lshlrev_b32_e32 v38, 1, v35
	s_and_b64 vcc, exec, s[4:5]
	s_cbranch_vccz .LBB277_46
; %bb.36:
	v_cmp_gt_i32_e32 vcc, s58, v38
	v_mov_b32_e32 v22, 0
	v_mov_b32_e32 v18, 0
	;; [unrolled: 1-line block ×5, first 2 shown]
	s_and_saveexec_b64 s[0:1], vcc
	s_cbranch_execz .LBB277_38
; %bb.37:
	v_mad_i64_i32 v[18:19], s[2:3], s23, v38, 0
	v_lshl_add_u64 v[18:19], v[18:19], 1, s[12:13]
	v_lshlrev_b32_e32 v20, 1, v36
	v_mov_b32_e32 v21, 0
	v_lshl_add_u64 v[18:19], v[18:19], 0, v[20:21]
	global_load_dwordx4 v[18:21], v[18:19], off
.LBB277_38:
	s_or_b64 exec, exec, s[0:1]
	v_or_b32_e32 v39, 1, v38
	v_cmp_gt_i32_e64 s[0:1], s58, v39
	v_mov_b32_e32 v23, 0
	v_mov_b32_e32 v24, 0
	;; [unrolled: 1-line block ×3, first 2 shown]
	s_and_saveexec_b64 s[2:3], s[0:1]
	s_cbranch_execz .LBB277_40
; %bb.39:
	v_mad_i64_i32 v[22:23], s[14:15], s23, v39, 0
	v_lshl_add_u64 v[22:23], v[22:23], 1, s[12:13]
	v_lshlrev_b32_e32 v24, 1, v36
	v_mov_b32_e32 v25, 0
	v_lshl_add_u64 v[22:23], v[22:23], 0, v[24:25]
	global_load_dwordx4 v[22:25], v[22:23], off
.LBB277_40:
	s_or_b64 exec, exec, s[2:3]
	v_mov_b32_e32 v33, 0
	v_mov_b32_e32 v26, 0
	v_mov_b32_e32 v27, 0
	v_mov_b32_e32 v28, 0
	v_mov_b32_e32 v29, 0
	s_and_saveexec_b64 s[2:3], vcc
	s_cbranch_execz .LBB277_42
; %bb.41:
	v_mad_i64_i32 v[26:27], s[14:15], s23, v38, 0
	v_lshl_add_u64 v[26:27], v[26:27], 1, s[12:13]
	v_lshlrev_b32_e32 v28, 1, v36
	v_mov_b32_e32 v29, 0
	v_lshl_add_u64 v[26:27], v[26:27], 0, v[28:29]
	global_load_dwordx4 v[26:29], v[26:27], off offset:128
.LBB277_42:
	s_or_b64 exec, exec, s[2:3]
	v_mov_b32_e32 v32, 0
	v_mov_b32_e32 v31, 0
	;; [unrolled: 1-line block ×3, first 2 shown]
	s_and_saveexec_b64 s[2:3], s[0:1]
	s_cbranch_execz .LBB277_44
; %bb.43:
	v_mad_i64_i32 v[30:31], s[0:1], s23, v39, 0
	v_lshl_add_u64 v[30:31], v[30:31], 1, s[12:13]
	v_lshlrev_b32_e32 v32, 1, v36
	v_mov_b32_e32 v33, 0
	v_lshl_add_u64 v[30:31], v[30:31], 0, v[32:33]
	global_load_dwordx4 v[30:33], v[30:31], off offset:128
.LBB277_44:
	s_or_b64 exec, exec, s[2:3]
	s_branch .LBB277_48
.LBB277_45:
                                        ; implicit-def: $vgpr21
                                        ; implicit-def: $vgpr25
                                        ; implicit-def: $vgpr29
                                        ; implicit-def: $vgpr33
	v_lshrrev_b32_e32 v48, 2, v63
	s_branch .LBB277_49
.LBB277_46:
                                        ; implicit-def: $vgpr21
                                        ; implicit-def: $vgpr25
                                        ; implicit-def: $vgpr29
                                        ; implicit-def: $vgpr33
	s_cbranch_execz .LBB277_48
; %bb.47:
	s_waitcnt vmcnt(0)
	v_mad_u64_u32 v[18:19], s[0:1], v38, s23, v[36:37]
	v_lshlrev_b32_e32 v38, 1, v18
	s_lshl_b32 s2, s23, 7
	s_and_b32 s1, s13, 0xffff
	s_mov_b32 s3, 0x20000
	s_mov_b32 s0, s12
	v_add_lshl_u32 v39, v18, s23, 1
	s_movk_i32 s14, 0x80
	buffer_load_dwordx4 v[18:21], v38, s[0:3], 0 offen
	buffer_load_dwordx4 v[26:29], v38, s[0:3], s14 offen
	;; [unrolled: 1-line block ×4, first 2 shown]
.LBB277_48:
	v_lshrrev_b32_e32 v48, 2, v63
	s_cbranch_execnz .LBB277_61
.LBB277_49:
	s_and_b64 vcc, exec, s[4:5]
	s_cbranch_vccz .LBB277_59
; %bb.50:
	s_waitcnt vmcnt(0)
	v_lshlrev_b32_e32 v23, 1, v35
	v_cmp_gt_i32_e32 vcc, s58, v23
	v_mov_b32_e32 v22, 0
	v_lshlrev_b32_e32 v30, 9, v35
	v_mov_b32_e32 v18, 0
	v_mov_b32_e32 v19, 0
	;; [unrolled: 1-line block ×4, first 2 shown]
	s_and_saveexec_b64 s[0:1], vcc
	s_cbranch_execz .LBB277_52
; %bb.51:
	v_mov_b32_e32 v31, 0
	v_lshl_add_u64 v[18:19], s[12:13], 0, v[30:31]
	v_lshlrev_b32_e32 v20, 1, v36
	v_mov_b32_e32 v21, v31
	v_lshl_add_u64 v[18:19], v[18:19], 0, v[20:21]
	global_load_dwordx4 v[18:21], v[18:19], off
.LBB277_52:
	s_or_b64 exec, exec, s[0:1]
	v_or_b32_e32 v23, 1, v23
	v_cmp_gt_i32_e64 s[0:1], s58, v23
	v_lshlrev_b32_e32 v38, 8, v23
	v_mov_b32_e32 v23, 0
	v_mov_b32_e32 v24, 0
	;; [unrolled: 1-line block ×3, first 2 shown]
	s_and_saveexec_b64 s[2:3], s[0:1]
	s_cbranch_execz .LBB277_54
; %bb.53:
	v_mov_b32_e32 v39, 0
	v_lshl_add_u64 v[22:23], s[12:13], 0, v[38:39]
	v_lshlrev_b32_e32 v24, 1, v36
	v_mov_b32_e32 v25, v39
	v_lshl_add_u64 v[22:23], v[22:23], 0, v[24:25]
	global_load_dwordx4 v[22:25], v[22:23], off
.LBB277_54:
	s_or_b64 exec, exec, s[2:3]
	v_mov_b32_e32 v33, 0
	v_mov_b32_e32 v26, 0
	;; [unrolled: 1-line block ×5, first 2 shown]
	s_and_saveexec_b64 s[2:3], vcc
	s_cbranch_execz .LBB277_56
; %bb.55:
	v_mov_b32_e32 v31, 0
	v_lshl_add_u64 v[26:27], s[12:13], 0, v[30:31]
	v_lshlrev_b32_e32 v30, 1, v36
	v_lshl_add_u64 v[26:27], v[26:27], 0, v[30:31]
	global_load_dwordx4 v[26:29], v[26:27], off offset:128
.LBB277_56:
	s_or_b64 exec, exec, s[2:3]
	v_mov_b32_e32 v32, 0
	v_mov_b32_e32 v31, 0
	;; [unrolled: 1-line block ×3, first 2 shown]
	s_and_saveexec_b64 s[2:3], s[0:1]
	s_cbranch_execz .LBB277_58
; %bb.57:
	v_mov_b32_e32 v39, 0
	v_lshl_add_u64 v[30:31], s[12:13], 0, v[38:39]
	v_lshlrev_b32_e32 v38, 1, v36
	v_lshl_add_u64 v[30:31], v[30:31], 0, v[38:39]
	global_load_dwordx4 v[30:33], v[30:31], off offset:128
.LBB277_58:
	s_or_b64 exec, exec, s[2:3]
	s_branch .LBB277_61
.LBB277_59:
                                        ; implicit-def: $vgpr21
                                        ; implicit-def: $vgpr25
                                        ; implicit-def: $vgpr29
                                        ; implicit-def: $vgpr33
	s_cbranch_execz .LBB277_61
; %bb.60:
	s_waitcnt vmcnt(0)
	v_lshlrev_b32_e32 v18, 1, v36
	v_lshl_or_b32 v36, v35, 9, v18
	s_and_b32 s13, s13, 0xffff
	s_mov_b32 s15, 0x20000
	s_movk_i32 s14, 0x4000
	s_movk_i32 s0, 0x80
	buffer_load_dwordx4 v[18:21], v36, s[12:15], 0 offen
	buffer_load_dwordx4 v[22:25], v36, s[12:15], 0 offen offset:256
	buffer_load_dwordx4 v[26:29], v36, s[12:15], s0 offen
	buffer_load_dwordx4 v[30:33], v36, s[12:15], s0 offen offset:256
.LBB277_61:
	ds_read_b64 v[38:39], v44 offset:32768
	v_add_u32_e32 v36, 0xb000, v42
	ds_read2_b64 v[54:57], v36 offset1:16
	ds_read_b64 v[50:51], v45 offset:32768
	ds_read_b64 v[58:59], v46 offset:32768
	;; [unrolled: 1-line block ×3, first 2 shown]
	ds_read2st64_b64 v[44:47], v42 offset0:90 offset1:92
	v_and_b32_e32 v36, 12, v48
	v_and_b32_e32 v48, 6, v0
	v_xor_b32_e32 v35, v35, v48
	v_lshlrev_b32_e32 v35, 2, v35
	s_mov_b32 s0, 0x1000504
	s_waitcnt lgkmcnt(4)
	v_mfma_f32_16x16x16_bf16 a[0:3], v[38:39], v[54:55], a[0:3]
	s_mov_b32 s1, 0x3020706
	v_mfma_f32_16x16x16_bf16 a[4:7], v[38:39], v[56:57], a[4:7]
	ds_read2st64_b64 v[54:57], v43 offset0:90 offset1:92
	s_waitcnt lgkmcnt(1)
	v_mfma_f32_16x16x16_bf16 a[0:3], v[50:51], v[44:45], a[0:3]
	ds_read_b64 v[38:39], v42 offset:48128
	ds_read_b64 v[44:45], v43 offset:48128
	s_waitcnt lgkmcnt(2)
	v_mfma_f32_16x16x16_bf16 a[4:7], v[50:51], v[54:55], a[4:7]
	v_mfma_f32_16x16x16_bf16 a[0:3], v[58:59], v[46:47], a[0:3]
	v_and_b32_e32 v46, 1, v0
	v_xor_b32_e32 v47, 0x440, v35
	v_cmp_eq_u32_e32 vcc, 0, v46
	v_mfma_f32_16x16x16_bf16 a[8:11], v[58:59], v[56:57], a[4:7]
	s_nop 0
	v_cndmask_b32_e32 v35, v47, v35, vcc
	v_lshl_or_b32 v35, v48, 10, v35
	s_waitcnt lgkmcnt(1)
	v_mfma_f32_16x16x16_bf16 a[4:7], v[60:61], v[38:39], a[0:3]
	s_waitcnt vmcnt(0)
	v_perm_b32 v38, v18, v22, s0
	v_perm_b32 v39, v26, v30, s0
	ds_write2st64_b32 v35, v38, v39 offset0:32 offset1:64
	v_xor_b32_e32 v38, 8, v35
	v_perm_b32 v18, v18, v22, s1
	v_perm_b32 v22, v26, v30, s1
	v_add_u32_e32 v26, 0x80, v38
	ds_write2st64_b32 v26, v18, v22 offset0:32 offset1:64
	v_xor_b32_e32 v18, 16, v35
	v_perm_b32 v22, v19, v23, s0
	v_perm_b32 v26, v27, v31, s0
	ds_write2st64_b32 v18, v22, v26 offset0:33 offset1:65
	v_xor_b32_e32 v18, 24, v35
	v_perm_b32 v19, v19, v23, s1
	v_perm_b32 v22, v27, v31, s1
	v_add_u32_e32 v18, 0x80, v18
	ds_write2st64_b32 v18, v19, v22 offset0:33 offset1:65
	v_xor_b32_e32 v18, 32, v35
	v_perm_b32 v19, v20, v24, s0
	v_perm_b32 v22, v28, v32, s0
	ds_write2st64_b32 v18, v19, v22 offset0:34 offset1:66
	v_xor_b32_e32 v18, 40, v35
	s_waitcnt lgkmcnt(5)
	v_mfma_f32_16x16x16_bf16 a[0:3], v[60:61], v[44:45], a[8:11]
	v_perm_b32 v19, v20, v24, s1
	v_perm_b32 v20, v28, v32, s1
	v_add_u32_e32 v18, 0x80, v18
	ds_write2st64_b32 v18, v19, v20 offset0:34 offset1:66
	v_xor_b32_e32 v18, 48, v35
	v_perm_b32 v19, v21, v25, s0
	v_perm_b32 v20, v29, v33, s0
	ds_write2st64_b32 v18, v19, v20 offset0:35 offset1:67
	v_xor_b32_e32 v18, 56, v35
	v_or_b32_e32 v38, v36, v62
	v_perm_b32 v19, v21, v25, s1
	v_perm_b32 v20, v29, v33, s1
	v_add_u32_e32 v18, 0x80, v18
	v_cmp_gt_i32_e64 s[0:1], s58, v38
	v_mov_b32_e32 v44, 0
	v_mov_b32_e32 v45, 0
	ds_write2st64_b32 v18, v19, v20 offset0:35 offset1:67
	s_and_saveexec_b64 s[2:3], s[0:1]
	s_cbranch_execz .LBB277_63
; %bb.62:
	v_add_u32_e32 v18, s36, v38
	v_ashrrev_i32_e32 v19, 31, v18
	v_mul_lo_u32 v20, v19, s10
	v_mul_lo_u32 v21, v18, s11
	v_mad_u64_u32 v[18:19], s[4:5], v18, s10, 0
	v_add3_u32 v19, v19, v21, v20
	v_lshl_add_u64 v[18:19], v[18:19], 2, s[18:19]
	global_load_dword v18, v[18:19], off
	s_waitcnt vmcnt(0)
	v_sub_f32_e32 v18, s22, v18
	v_exp_f32_e32 v45, v18
.LBB277_63:
	s_or_b64 exec, exec, s[2:3]
	v_or_b32_e32 v30, 1, v38
	v_cmp_gt_i32_e64 s[4:5], s58, v30
	s_and_saveexec_b64 s[2:3], s[4:5]
	s_cbranch_execz .LBB277_65
; %bb.64:
	v_add_u32_e32 v18, s36, v30
	v_ashrrev_i32_e32 v19, 31, v18
	v_mul_lo_u32 v20, v19, s10
	v_mul_lo_u32 v21, v18, s11
	v_mad_u64_u32 v[18:19], s[12:13], v18, s10, 0
	v_add3_u32 v19, v19, v21, v20
	v_lshl_add_u64 v[18:19], v[18:19], 2, s[18:19]
	global_load_dword v18, v[18:19], off
	s_waitcnt vmcnt(0)
	v_sub_f32_e32 v18, s22, v18
	v_exp_f32_e32 v44, v18
.LBB277_65:
	s_or_b64 exec, exec, s[2:3]
	v_or_b32_e32 v26, 2, v38
	v_cmp_gt_i32_e64 s[2:3], s58, v26
	v_mov_b32_e32 v39, 0
	v_mov_b32_e32 v46, 0
	s_and_saveexec_b64 s[12:13], s[2:3]
	s_cbranch_execz .LBB277_67
; %bb.66:
	v_add_u32_e32 v18, s36, v26
	v_ashrrev_i32_e32 v19, 31, v18
	v_mul_lo_u32 v20, v19, s10
	v_mul_lo_u32 v21, v18, s11
	v_mad_u64_u32 v[18:19], s[14:15], v18, s10, 0
	v_add3_u32 v19, v19, v21, v20
	v_lshl_add_u64 v[18:19], v[18:19], 2, s[18:19]
	global_load_dword v18, v[18:19], off
	s_waitcnt vmcnt(0)
	v_sub_f32_e32 v18, s22, v18
	v_exp_f32_e32 v46, v18
.LBB277_67:
	s_or_b64 exec, exec, s[12:13]
	v_or_b32_e32 v27, 3, v38
	v_cmp_gt_i32_e32 vcc, s58, v27
	s_and_saveexec_b64 s[12:13], vcc
	s_cbranch_execz .LBB277_69
; %bb.68:
	v_add_u32_e32 v18, s36, v27
	v_ashrrev_i32_e32 v19, 31, v18
	v_mul_lo_u32 v20, v19, s10
	v_mul_lo_u32 v21, v18, s11
	v_mad_u64_u32 v[18:19], s[10:11], v18, s10, 0
	v_add3_u32 v19, v19, v21, v20
	v_lshl_add_u64 v[18:19], v[18:19], 2, s[18:19]
	global_load_dword v18, v[18:19], off
	s_waitcnt vmcnt(0)
	v_sub_f32_e32 v18, s22, v18
	v_exp_f32_e32 v39, v18
.LBB277_69:
	s_or_b64 exec, exec, s[12:13]
	s_add_u32 s10, s16, s38
	s_addc_u32 s11, s17, s39
	s_add_u32 s6, s6, s38
	v_ashrrev_i32_e32 v35, 31, v34
	v_accvgpr_read_b32 v21, a7
	s_addc_u32 s7, s7, s39
	v_lshlrev_b64 v[22:23], 1, v[34:35]
	v_accvgpr_read_b32 v20, a6
	v_accvgpr_read_b32 v19, a5
	v_accvgpr_read_b32 v18, a4
	v_lshl_add_u64 v[24:25], s[10:11], 0, v[22:23]
	v_lshl_add_u64 v[22:23], s[6:7], 0, v[22:23]
	v_mov_b32_e32 v31, 0
	v_lshlrev_b32_e32 v28, 8, v38
	v_mov_b32_e32 v29, 0
	s_and_saveexec_b64 s[6:7], s[0:1]
	s_cbranch_execz .LBB277_71
; %bb.70:
	v_mov_b32_e32 v29, 0
	v_lshl_add_u64 v[32:33], v[24:25], 0, v[28:29]
	global_load_ushort v35, v[32:33], off
	v_lshl_add_u64 v[32:33], v[22:23], 0, v[28:29]
	s_waitcnt vmcnt(0)
	v_lshlrev_b32_e32 v29, 16, v35
	v_sub_f32_e32 v18, v29, v18
	global_store_short_d16_hi v[32:33], v18, off
	v_mul_f32_e32 v18, v45, v18
	v_lshrrev_b32_e32 v29, 16, v18
.LBB277_71:
	s_or_b64 exec, exec, s[6:7]
	v_lshlrev_b32_e32 v30, 8, v30
	s_and_saveexec_b64 s[6:7], s[4:5]
	s_cbranch_execz .LBB277_73
; %bb.72:
	v_mov_b32_e32 v31, 0
	v_lshl_add_u64 v[32:33], v[24:25], 0, v[30:31]
	global_load_ushort v18, v[32:33], off
	v_lshl_add_u64 v[32:33], v[22:23], 0, v[30:31]
	s_waitcnt vmcnt(0)
	v_lshlrev_b32_e32 v18, 16, v18
	v_sub_f32_e32 v18, v18, v19
	global_store_short_d16_hi v[32:33], v18, off
	v_mul_f32_e32 v18, v44, v18
	v_lshrrev_b32_e32 v31, 16, v18
.LBB277_73:
	s_or_b64 exec, exec, s[6:7]
	v_mov_b32_e32 v47, 0
	v_lshlrev_b32_e32 v32, 8, v26
	v_mov_b32_e32 v33, 0
	s_and_saveexec_b64 s[6:7], s[2:3]
	s_cbranch_execz .LBB277_75
; %bb.74:
	v_mov_b32_e32 v33, 0
	v_lshl_add_u64 v[18:19], v[24:25], 0, v[32:33]
	global_load_ushort v26, v[18:19], off
	v_lshl_add_u64 v[18:19], v[22:23], 0, v[32:33]
	s_waitcnt vmcnt(0)
	v_lshlrev_b32_e32 v26, 16, v26
	v_sub_f32_e32 v20, v26, v20
	global_store_short_d16_hi v[18:19], v20, off
	v_mul_f32_e32 v18, v46, v20
	v_lshrrev_b32_e32 v33, 16, v18
.LBB277_75:
	s_or_b64 exec, exec, s[6:7]
	v_lshlrev_b32_e32 v26, 8, v27
	s_and_saveexec_b64 s[6:7], vcc
	s_cbranch_execz .LBB277_77
; %bb.76:
	v_mov_b32_e32 v27, 0
	v_lshl_add_u64 v[18:19], v[24:25], 0, v[26:27]
	global_load_ushort v20, v[18:19], off
	v_lshl_add_u64 v[18:19], v[22:23], 0, v[26:27]
	s_waitcnt vmcnt(0)
	v_lshlrev_b32_e32 v20, 16, v20
	v_sub_f32_e32 v20, v20, v21
	global_store_short_d16_hi v[18:19], v20, off
	v_mul_f32_e32 v18, v39, v20
	v_lshrrev_b32_e32 v47, 16, v18
.LBB277_77:
	s_or_b64 exec, exec, s[6:7]
	v_lshlrev_b32_e32 v35, 5, v38
	v_accvgpr_read_b32 v21, a3
	s_mov_b32 s6, 0x5040100
	v_or_b32_e32 v27, v35, v40
	v_accvgpr_read_b32 v20, a2
	v_accvgpr_read_b32 v19, a1
	v_accvgpr_read_b32 v18, a0
	v_perm_b32 v49, v47, v33, s6
	v_perm_b32 v48, v31, v29, s6
	v_lshlrev_b32_e32 v27, 1, v27
	v_mov_b32_e32 v31, 0
	v_mov_b32_e32 v29, 0
	ds_write_b64 v27, v[48:49] offset:45056
	s_and_saveexec_b64 s[6:7], s[0:1]
	s_cbranch_execz .LBB277_79
; %bb.78:
	v_mov_b32_e32 v29, 0
	v_lshl_add_u64 v[48:49], v[24:25], 0, v[28:29]
	global_load_ushort v27, v[48:49], off offset:32
	v_lshl_add_u64 v[28:29], v[22:23], 0, v[28:29]
	s_waitcnt vmcnt(0)
	v_lshlrev_b32_e32 v27, 16, v27
	v_sub_f32_e32 v18, v27, v18
	global_store_short_d16_hi v[28:29], v18, off offset:32
	v_mul_f32_e32 v18, v45, v18
	v_lshrrev_b32_e32 v29, 16, v18
.LBB277_79:
	s_or_b64 exec, exec, s[6:7]
	s_and_saveexec_b64 s[0:1], s[4:5]
	s_cbranch_execz .LBB277_81
; %bb.80:
	v_mov_b32_e32 v31, 0
	v_lshl_add_u64 v[48:49], v[24:25], 0, v[30:31]
	global_load_ushort v18, v[48:49], off offset:32
	v_lshl_add_u64 v[30:31], v[22:23], 0, v[30:31]
	s_waitcnt vmcnt(0)
	v_lshlrev_b32_e32 v18, 16, v18
	v_sub_f32_e32 v18, v18, v19
	global_store_short_d16_hi v[30:31], v18, off offset:32
	v_mul_f32_e32 v18, v44, v18
	v_lshrrev_b32_e32 v31, 16, v18
.LBB277_81:
	s_or_b64 exec, exec, s[0:1]
	v_mov_b32_e32 v27, 0
	v_mov_b32_e32 v28, 0
	s_and_saveexec_b64 s[0:1], s[2:3]
	s_cbranch_execz .LBB277_83
; %bb.82:
	v_mov_b32_e32 v33, 0
	v_lshl_add_u64 v[18:19], v[24:25], 0, v[32:33]
	global_load_ushort v28, v[18:19], off offset:32
	v_lshl_add_u64 v[18:19], v[22:23], 0, v[32:33]
	s_waitcnt vmcnt(0)
	v_lshlrev_b32_e32 v28, 16, v28
	v_sub_f32_e32 v20, v28, v20
	global_store_short_d16_hi v[18:19], v20, off offset:32
	v_mul_f32_e32 v18, v46, v20
	v_lshrrev_b32_e32 v28, 16, v18
.LBB277_83:
	s_or_b64 exec, exec, s[0:1]
	v_or_b32_e32 v19, 0xb000, v42
	v_or_b32_e32 v18, 0xb000, v43
	s_and_saveexec_b64 s[0:1], vcc
	s_cbranch_execz .LBB277_85
; %bb.84:
	v_mov_b32_e32 v27, 0
	v_lshl_add_u64 v[24:25], v[24:25], 0, v[26:27]
	global_load_ushort v20, v[24:25], off offset:32
	v_lshl_add_u64 v[22:23], v[22:23], 0, v[26:27]
	s_waitcnt vmcnt(0)
	v_lshlrev_b32_e32 v20, 16, v20
	v_sub_f32_e32 v20, v20, v21
	global_store_short_d16_hi v[22:23], v20, off offset:32
	v_mul_f32_e32 v20, v39, v20
	v_lshrrev_b32_e32 v27, 16, v20
.LBB277_85:
	s_or_b64 exec, exec, s[0:1]
	s_mov_b32 s0, 0x5040100
	v_or_b32_e32 v22, v35, v37
	v_perm_b32 v21, v27, v28, s0
	v_perm_b32 v20, v31, v29, s0
	v_lshlrev_b32_e32 v22, 1, v22
	s_movk_i32 s2, 0x100
	ds_write_b64 v22, v[20:21] offset:45056
	v_and_b32_e32 v20, 7, v0
	v_and_b32_e32 v21, 8, v0
	v_cmp_gt_u32_e32 vcc, s2, v0
	v_lshrrev_b32_e32 v0, 1, v0
	v_lshlrev_b32_e32 v26, 3, v20
	v_lshlrev_b32_e32 v35, 7, v20
	v_mov_b32_e32 v20, 0x4000
	v_mov_b32_e32 v22, 0x2000
	v_lshlrev_b32_e32 v24, 3, v53
	v_and_b32_e32 v0, 24, v0
	v_cndmask_b32_e32 v27, v20, v22, vcc
	v_xor_b32_e32 v20, v24, v0
	v_or_b32_e32 v22, 0x440, v20
	v_cmp_eq_u32_e32 vcc, 0, v21
	v_or_b32_e32 v28, 32, v0
	v_xor_b32_e32 v28, v24, v28
	v_cndmask_b32_e32 v20, v22, v20, vcc
	v_or_b32_e32 v20, v20, v41
	v_xor_b32_e32 v48, v20, v26
	v_or_b32_e32 v29, 0x440, v28
	v_add3_u32 v25, v27, v48, v35
	v_cndmask_b32_e32 v28, v29, v28, vcc
	v_or_b32_e32 v29, 64, v0
	v_or_b32_e32 v0, 0x60, v0
	s_waitcnt lgkmcnt(0)
	s_barrier
	v_xor_b32_e32 v29, v24, v29
	v_xor_b32_e32 v0, v24, v0
	ds_read_b64 v[24:25], v25
	v_xor_b32_e32 v30, 0x440, v29
	ds_read2_b64 v[20:23], v19 offset1:16
	v_cndmask_b32_e32 v29, v30, v29, vcc
	v_xor_b32_e32 v30, 0x440, v0
	v_or_b32_e32 v28, v28, v41
	v_or_b32_e32 v29, v29, v41
	v_cndmask_b32_e32 v0, v30, v0, vcc
	v_xor_b32_e32 v49, v28, v26
	v_xor_b32_e32 v50, v29, v26
	v_or_b32_e32 v0, v0, v41
	v_add3_u32 v28, v27, v49, v35
	v_add3_u32 v29, v27, v50, v35
	v_xor_b32_e32 v51, v0, v26
	s_mul_i32 s0, s20, s21
	v_add3_u32 v0, v27, v51, v35
	ds_read_b64 v[26:27], v28
	ds_read_b64 v[32:33], v29
	;; [unrolled: 1-line block ×3, first 2 shown]
	ds_read2st64_b64 v[28:31], v19 offset0:2 offset1:4
	s_mul_hi_i32 s1, s20, s21
	ds_read2st64_b64 v[40:43], v18 offset0:2 offset1:4
	s_add_u32 s0, s0, s48
	s_waitcnt lgkmcnt(5)
	v_mfma_f32_16x16x16_bf16 a[0:3], v[24:25], v[20:21], 0
	s_addc_u32 s1, s1, s37
	s_lshl_b64 s[0:1], s[0:1], 9
	s_add_u32 s0, s40, s0
	v_mfma_f32_16x16x16_bf16 a[4:7], v[24:25], v[22:23], 0
	s_addc_u32 s1, s41, s1
	v_lshlrev_b32_e32 v0, 2, v38
	v_add_u32_e32 v48, v48, v35
	s_waitcnt lgkmcnt(1)
	v_mfma_f32_16x16x16_bf16 a[0:3], v[26:27], v[28:29], a[0:3]
	v_add_u32_e32 v50, v50, v35
	s_waitcnt lgkmcnt(0)
	v_mfma_f32_16x16x16_bf16 a[4:7], v[26:27], v[40:41], a[4:7]
	global_load_dwordx4 v[24:27], v0, s[0:1]
	v_lshlrev_b32_e32 v0, 6, v53
	s_waitcnt vmcnt(0)
	v_exp_f32_e32 v26, v26
	v_mfma_f32_16x16x16_bf16 a[0:3], v[32:33], v[30:31], a[0:3]
	v_exp_f32_e32 v27, v27
	v_mfma_f32_16x16x16_bf16 a[4:7], v[32:33], v[42:43], a[4:7]
	ds_read_b64 v[32:33], v19 offset:3072
	ds_read_b64 v[46:47], v18 offset:3072
	v_lshlrev_b32_e32 v18, 2, v36
	v_or3_b32 v0, v0, v18, s2
	global_load_dwordx4 v[36:39], v0, s[0:1]
	v_exp_f32_e32 v18, v24
	v_exp_f32_e32 v19, v25
	ds_read_b64 v[24:25], v48 offset:16384
	s_waitcnt lgkmcnt(2)
	v_mfma_f32_16x16x16_bf16 a[0:3], v[44:45], v[32:33], a[0:3]
	v_exp_f32_e32 v0, s22
	s_nop 0
	v_pk_mul_f32 v[54:55], v[0:1], v[18:19] op_sel_hi:[0,1]
	s_waitcnt lgkmcnt(1)
	v_mfma_f32_16x16x16_bf16 a[4:7], v[44:45], v[46:47], a[4:7]
	v_add_u32_e32 v44, v49, v35
	s_nop 0
	v_accvgpr_read_b32 v19, a1
	v_accvgpr_read_b32 v45, a3
	v_add_u32_e32 v35, v51, v35
	ds_read_b64 v[48:49], v44 offset:16384
	ds_read_b64 v[50:51], v50 offset:16384
	;; [unrolled: 1-line block ×3, first 2 shown]
	v_accvgpr_read_b32 v44, a2
	v_accvgpr_read_b32 v18, a0
	s_waitcnt lgkmcnt(3)
	v_mfma_f32_16x16x16_bf16 a[0:3], v[24:25], v[22:23], 0
	v_pk_fma_f32 v[18:19], v[2:3], v[54:55], v[18:19]
	v_pk_mul_f32 v[2:3], v[0:1], v[26:27] op_sel_hi:[0,1]
	v_mov_b32_e32 v35, v34
	v_mfma_f32_16x16x16_bf16 a[8:11], v[24:25], v[20:21], 0
	v_pk_fma_f32 v[20:21], v[4:5], v[2:3], v[44:45]
	v_accvgpr_read_b32 v4, a4
	v_fma_f32 v26, v10, v54, v4
	s_waitcnt lgkmcnt(2)
	v_mfma_f32_16x16x16_bf16 a[0:3], v[48:49], v[40:41], a[0:3]
	v_accvgpr_read_b32 v4, a5
	v_fma_f32 v27, v11, v55, v4
	v_accvgpr_read_b32 v4, a6
	v_mfma_f32_16x16x16_bf16 a[8:11], v[48:49], v[28:29], a[8:11]
	v_accvgpr_read_b32 v29, a7
	v_fma_f32 v28, v12, v2, v4
	v_fmac_f32_e32 v29, v13, v3
	s_waitcnt lgkmcnt(1)
	v_mfma_f32_16x16x16_bf16 a[0:3], v[50:51], v[42:43], a[0:3]
	s_waitcnt vmcnt(0)
	v_mov_b32_e32 v2, v37
	v_mfma_f32_16x16x16_bf16 a[8:11], v[50:51], v[30:31], a[8:11]
	v_mov_b32_e32 v3, v38
	v_mov_b32_e32 v4, v39
	v_exp_f32_e32 v10, v36
	v_exp_f32_e32 v11, v2
	;; [unrolled: 1-line block ×4, first 2 shown]
	s_waitcnt lgkmcnt(0)
	v_mfma_f32_16x16x16_bf16 a[0:3], v[52:53], v[46:47], a[0:3]
	v_pk_mul_f32 v[10:11], v[0:1], v[10:11] op_sel_hi:[0,1]
	v_pk_mul_f32 v[2:3], v[0:1], v[2:3] op_sel_hi:[0,1]
	v_mfma_f32_16x16x16_bf16 a[4:7], v[52:53], v[32:33], a[8:11]
	s_nop 3
	v_accvgpr_read_b32 v0, a0
	v_fma_f32 v30, v14, v10, v0
	v_accvgpr_read_b32 v0, a1
	v_fma_f32 v31, v15, v11, v0
	v_accvgpr_read_b32 v13, a5
	v_accvgpr_read_b32 v5, a7
	v_accvgpr_read_b32 v4, a6
	v_accvgpr_read_b32 v12, a4
	v_accvgpr_read_b32 v0, a2
	v_accvgpr_read_b32 v33, a3
	v_pk_fma_f32 v[22:23], v[6:7], v[10:11], v[12:13]
	v_pk_fma_f32 v[24:25], v[8:9], v[2:3], v[4:5]
	v_fma_f32 v32, v16, v2, v0
	v_fmac_f32_e32 v33, v17, v3
	v_mov_b64_e32 v[2:3], v[18:19]
	v_mov_b64_e32 v[4:5], v[20:21]
	;; [unrolled: 1-line block ×8, first 2 shown]
.LBB277_86:
	s_mul_i32 s0, s49, s35
	s_mul_hi_u32 s1, s49, s34
	s_add_i32 s0, s1, s0
	s_mul_i32 s1, s33, s34
	s_add_i32 s1, s0, s1
	s_mul_i32 s0, s49, s34
	s_add_u32 s0, s0, s48
	s_addc_u32 s1, s1, s37
	s_lshl_b64 s[0:1], s[0:1], 15
	s_add_u32 s0, s8, s0
	v_lshlrev_b32_e32 v18, 7, v35
	s_addc_u32 s1, s9, s1
	v_ashrrev_i32_e32 v19, 31, v18
	v_lshl_add_u64 v[20:21], v[18:19], 1, s[0:1]
	v_lshlrev_b32_e32 v0, 1, v1
	v_mov_b32_e32 v1, 0
	s_mov_b32 s2, 0x7060302
	v_lshl_add_u64 v[20:21], v[20:21], 0, v[0:1]
	v_perm_b32 v5, v5, v4, s2
	v_perm_b32 v4, v3, v2, s2
	;; [unrolled: 1-line block ×4, first 2 shown]
	global_store_dwordx2 v[20:21], v[2:3], off offset:128
	v_or_b32_e32 v2, 0x800, v18
	v_ashrrev_i32_e32 v3, 31, v2
	v_lshl_add_u64 v[2:3], v[2:3], 1, s[0:1]
	v_lshl_add_u64 v[0:1], v[2:3], 0, v[0:1]
	v_perm_b32 v3, v13, v12, s2
	v_perm_b32 v2, v11, v10, s2
	global_store_dwordx2 v[0:1], v[2:3], off
	v_perm_b32 v3, v17, v16, s2
	v_perm_b32 v2, v15, v14, s2
	global_store_dwordx2 v[20:21], v[4:5], off
	global_store_dwordx2 v[0:1], v[2:3], off offset:128
	s_endpgm
	.section	.rodata,"a",@progbits
	.p2align	6, 0x0
	.amdhsa_kernel _ZN12_GLOBAL__N_139chunk_gated_delta_rule_fwd_h_hip_kernelILi32ELb0ELb1ELb1ELb1ELb1ELb1ELb0ELb1EEEvPK12hip_bfloat16S3_S3_PKfS5_PKvPS1_S8_PvPKiSB_iiiiilll
		.amdhsa_group_segment_fixed_size 49152
		.amdhsa_private_segment_fixed_size 0
		.amdhsa_kernarg_size 136
		.amdhsa_user_sgpr_count 2
		.amdhsa_user_sgpr_dispatch_ptr 0
		.amdhsa_user_sgpr_queue_ptr 0
		.amdhsa_user_sgpr_kernarg_segment_ptr 1
		.amdhsa_user_sgpr_dispatch_id 0
		.amdhsa_user_sgpr_kernarg_preload_length 0
		.amdhsa_user_sgpr_kernarg_preload_offset 0
		.amdhsa_user_sgpr_private_segment_size 0
		.amdhsa_uses_dynamic_stack 0
		.amdhsa_enable_private_segment 0
		.amdhsa_system_sgpr_workgroup_id_x 1
		.amdhsa_system_sgpr_workgroup_id_y 1
		.amdhsa_system_sgpr_workgroup_id_z 0
		.amdhsa_system_sgpr_workgroup_info 0
		.amdhsa_system_vgpr_workitem_id 0
		.amdhsa_next_free_vgpr 164
		.amdhsa_next_free_sgpr 70
		.amdhsa_accum_offset 144
		.amdhsa_reserve_vcc 1
		.amdhsa_float_round_mode_32 0
		.amdhsa_float_round_mode_16_64 0
		.amdhsa_float_denorm_mode_32 3
		.amdhsa_float_denorm_mode_16_64 3
		.amdhsa_dx10_clamp 1
		.amdhsa_ieee_mode 1
		.amdhsa_fp16_overflow 0
		.amdhsa_tg_split 0
		.amdhsa_exception_fp_ieee_invalid_op 0
		.amdhsa_exception_fp_denorm_src 0
		.amdhsa_exception_fp_ieee_div_zero 0
		.amdhsa_exception_fp_ieee_overflow 0
		.amdhsa_exception_fp_ieee_underflow 0
		.amdhsa_exception_fp_ieee_inexact 0
		.amdhsa_exception_int_div_zero 0
	.end_amdhsa_kernel
	.section	.text._ZN12_GLOBAL__N_139chunk_gated_delta_rule_fwd_h_hip_kernelILi32ELb0ELb1ELb1ELb1ELb1ELb1ELb0ELb1EEEvPK12hip_bfloat16S3_S3_PKfS5_PKvPS1_S8_PvPKiSB_iiiiilll,"axG",@progbits,_ZN12_GLOBAL__N_139chunk_gated_delta_rule_fwd_h_hip_kernelILi32ELb0ELb1ELb1ELb1ELb1ELb1ELb0ELb1EEEvPK12hip_bfloat16S3_S3_PKfS5_PKvPS1_S8_PvPKiSB_iiiiilll,comdat
.Lfunc_end277:
	.size	_ZN12_GLOBAL__N_139chunk_gated_delta_rule_fwd_h_hip_kernelILi32ELb0ELb1ELb1ELb1ELb1ELb1ELb0ELb1EEEvPK12hip_bfloat16S3_S3_PKfS5_PKvPS1_S8_PvPKiSB_iiiiilll, .Lfunc_end277-_ZN12_GLOBAL__N_139chunk_gated_delta_rule_fwd_h_hip_kernelILi32ELb0ELb1ELb1ELb1ELb1ELb1ELb0ELb1EEEvPK12hip_bfloat16S3_S3_PKfS5_PKvPS1_S8_PvPKiSB_iiiiilll
                                        ; -- End function
	.section	.AMDGPU.csdata,"",@progbits
; Kernel info:
; codeLenInByte = 9864
; NumSgprs: 76
; NumVgprs: 142
; NumAgprs: 20
; TotalNumVgprs: 164
; ScratchSize: 0
; MemoryBound: 0
; FloatMode: 240
; IeeeMode: 1
; LDSByteSize: 49152 bytes/workgroup (compile time only)
; SGPRBlocks: 9
; VGPRBlocks: 20
; NumSGPRsForWavesPerEU: 76
; NumVGPRsForWavesPerEU: 164
; AccumOffset: 144
; Occupancy: 1
; WaveLimiterHint : 1
; COMPUTE_PGM_RSRC2:SCRATCH_EN: 0
; COMPUTE_PGM_RSRC2:USER_SGPR: 2
; COMPUTE_PGM_RSRC2:TRAP_HANDLER: 0
; COMPUTE_PGM_RSRC2:TGID_X_EN: 1
; COMPUTE_PGM_RSRC2:TGID_Y_EN: 1
; COMPUTE_PGM_RSRC2:TGID_Z_EN: 0
; COMPUTE_PGM_RSRC2:TIDIG_COMP_CNT: 0
; COMPUTE_PGM_RSRC3_GFX90A:ACCUM_OFFSET: 35
; COMPUTE_PGM_RSRC3_GFX90A:TG_SPLIT: 0
	.section	.text._ZN12_GLOBAL__N_139chunk_gated_delta_rule_fwd_h_hip_kernelILi32ELb0ELb1ELb0ELb1ELb1ELb1ELb0ELb1EEEvPK12hip_bfloat16S3_S3_PKfS5_PKvPS1_S8_PvPKiSB_iiiiilll,"axG",@progbits,_ZN12_GLOBAL__N_139chunk_gated_delta_rule_fwd_h_hip_kernelILi32ELb0ELb1ELb0ELb1ELb1ELb1ELb0ELb1EEEvPK12hip_bfloat16S3_S3_PKfS5_PKvPS1_S8_PvPKiSB_iiiiilll,comdat
	.globl	_ZN12_GLOBAL__N_139chunk_gated_delta_rule_fwd_h_hip_kernelILi32ELb0ELb1ELb0ELb1ELb1ELb1ELb0ELb1EEEvPK12hip_bfloat16S3_S3_PKfS5_PKvPS1_S8_PvPKiSB_iiiiilll ; -- Begin function _ZN12_GLOBAL__N_139chunk_gated_delta_rule_fwd_h_hip_kernelILi32ELb0ELb1ELb0ELb1ELb1ELb1ELb0ELb1EEEvPK12hip_bfloat16S3_S3_PKfS5_PKvPS1_S8_PvPKiSB_iiiiilll
	.p2align	8
	.type	_ZN12_GLOBAL__N_139chunk_gated_delta_rule_fwd_h_hip_kernelILi32ELb0ELb1ELb0ELb1ELb1ELb1ELb0ELb1EEEvPK12hip_bfloat16S3_S3_PKfS5_PKvPS1_S8_PvPKiSB_iiiiilll,@function
_ZN12_GLOBAL__N_139chunk_gated_delta_rule_fwd_h_hip_kernelILi32ELb0ELb1ELb0ELb1ELb1ELb1ELb0ELb1EEEvPK12hip_bfloat16S3_S3_PKfS5_PKvPS1_S8_PvPKiSB_iiiiilll: ; @_ZN12_GLOBAL__N_139chunk_gated_delta_rule_fwd_h_hip_kernelILi32ELb0ELb1ELb0ELb1ELb1ELb1ELb0ELb1EEEvPK12hip_bfloat16S3_S3_PKfS5_PKvPS1_S8_PvPKiSB_iiiiilll
; %bb.0:
	s_load_dwordx4 s[16:19], s[0:1], 0x5c
	s_load_dwordx4 s[20:23], s[0:1], 0x70
	s_abs_i32 s27, s3
	s_ashr_i32 s26, s3, 31
	s_load_dwordx8 s[4:11], s[0:1], 0x0
	s_load_dwordx2 s[36:37], s[0:1], 0x20
	s_load_dwordx2 s[40:41], s[0:1], 0x30
	s_waitcnt lgkmcnt(0)
	s_abs_i32 s28, s17
	v_cvt_f32_u32_e32 v1, s28
	s_sub_i32 s29, 0, s28
	s_ashr_i32 s33, s17, 31
	s_xor_b32 s26, s26, s33
	v_rcp_iflag_f32_e32 v1, v1
	s_load_dwordx4 s[12:15], s[0:1], 0x40
	s_load_dwordx2 s[24:25], s[0:1], 0x50
	v_lshrrev_b32_e32 v53, 6, v0
	v_bfe_u32 v62, v0, 4, 2
	v_mul_f32_e32 v1, 0x4f7ffffe, v1
	v_cvt_u32_f32_e32 v1, v1
	v_lshlrev_b32_e32 v60, 4, v53
	v_lshlrev_b32_e32 v18, 2, v62
	v_and_b32_e32 v61, 63, v0
	v_readfirstlane_b32 s30, v1
	s_mul_i32 s29, s29, s30
	s_mul_hi_u32 s29, s30, s29
	s_add_i32 s30, s30, s29
	s_mul_hi_u32 s29, s27, s30
	s_mul_i32 s30, s29, s28
	s_sub_i32 s27, s27, s30
	s_add_i32 s30, s29, 1
	s_sub_i32 s31, s27, s28
	s_cmp_ge_u32 s27, s28
	s_cselect_b32 s29, s30, s29
	s_cselect_b32 s27, s31, s27
	s_add_i32 s30, s29, 1
	s_cmp_ge_u32 s27, s28
	s_cselect_b32 s27, s30, s29
	s_xor_b32 s27, s27, s26
	s_sub_i32 s34, s27, s26
	s_mul_i32 s26, s34, s17
	s_ashr_i32 s35, s34, 31
	s_sub_i32 s46, s3, s26
	s_lshl_b64 s[26:27], s[34:35], 2
	s_waitcnt lgkmcnt(0)
	s_add_u32 s14, s14, s26
	s_addc_u32 s15, s15, s27
	s_add_u32 s24, s24, s26
	s_addc_u32 s25, s25, s27
	s_abs_i32 s3, s18
	v_cvt_f32_u32_e32 v1, s3
	s_load_dwordx2 s[38:39], s[14:15], 0x0
	s_sub_i32 s15, 0, s3
	s_load_dword s52, s[24:25], 0x0
	v_rcp_iflag_f32_e32 v1, v1
	v_mov_b32_e32 v17, 0
	s_waitcnt lgkmcnt(0)
	s_sub_i32 s56, s39, s38
	s_ashr_i32 s14, s56, 31
	v_mul_f32_e32 v1, 0x4f7ffffe, v1
	v_cvt_u32_f32_e32 v1, v1
	s_lshr_b32 s14, s14, 26
	s_add_i32 s14, s56, s14
	s_ashr_i32 s51, s14, 6
	v_readfirstlane_b32 s26, v1
	s_mul_i32 s15, s15, s26
	s_mul_hi_u32 s15, s26, s15
	s_add_i32 s26, s26, s15
	s_mul_hi_u32 s15, s28, s26
	s_mul_i32 s26, s15, s3
	s_ashr_i32 s14, s18, 31
	s_sub_i32 s26, s28, s26
	s_xor_b32 s14, s33, s14
	s_add_i32 s27, s15, 1
	s_sub_i32 s28, s26, s3
	s_cmp_ge_u32 s26, s3
	s_cselect_b32 s15, s27, s15
	s_cselect_b32 s26, s28, s26
	s_add_i32 s27, s15, 1
	s_cmp_ge_u32 s26, s3
	s_cselect_b32 s3, s27, s15
	s_xor_b32 s3, s3, s14
	s_sub_i32 s3, s3, s14
	s_abs_i32 s26, s3
	v_cvt_f32_u32_e32 v1, s26
	s_load_dwordx2 s[14:15], s[0:1], 0x80
	s_xor_b32 s0, s46, s3
	s_sub_i32 s3, 0, s26
	v_rcp_iflag_f32_e32 v1, v1
	s_abs_i32 s1, s46
	s_ashr_i32 s0, s0, 31
	s_mov_b32 s47, s17
	v_mul_f32_e32 v1, 0x4f7ffffe, v1
	v_cvt_u32_f32_e32 v1, v1
	v_and_b32_e32 v63, 15, v0
	s_mul_hi_i32 s53, s46, s16
	s_mul_i32 s54, s46, s16
	v_readfirstlane_b32 s24, v1
	s_mul_i32 s3, s3, s24
	s_mul_hi_u32 s3, s24, s3
	s_add_i32 s24, s24, s3
	s_mul_hi_u32 s3, s1, s24
	s_mul_i32 s24, s3, s26
	s_sub_i32 s1, s1, s24
	s_add_i32 s24, s3, 1
	s_sub_i32 s25, s1, s26
	s_cmp_ge_u32 s1, s26
	s_cselect_b32 s3, s24, s3
	s_cselect_b32 s1, s25, s1
	s_add_i32 s24, s3, 1
	s_cmp_ge_u32 s1, s26
	s_cselect_b32 s1, s24, s3
	s_xor_b32 s1, s1, s0
	s_sub_i32 s55, s1, s0
	v_or_b32_e32 v1, v18, v60
	s_lshl_b32 s2, s2, 5
	v_or_b32_e32 v66, 64, v1
	s_cmp_lt_i32 s56, 64
	v_lshrrev_b32_e32 v65, 3, v61
	v_lshlrev_b32_e32 v64, 3, v0
	s_mul_i32 s48, s34, s21
	s_mul_hi_u32 s49, s34, s20
	s_mul_i32 s50, s35, s20
	s_mul_i32 s20, s34, s20
	v_mov_b32_e32 v16, v17
	v_mov_b32_e32 v15, v17
	;; [unrolled: 1-line block ×15, first 2 shown]
	s_cbranch_scc1 .LBB278_19
; %bb.1:
	s_ashr_i32 s58, s46, 31
	s_ashr_i32 s1, s38, 31
	s_add_u32 s0, s54, s38
	s_addc_u32 s1, s53, s1
	s_lshl_b64 s[0:1], s[0:1], 8
	v_and_b32_e32 v68, 56, v64
	s_add_u32 s24, s6, s0
	v_lshl_or_b32 v67, v53, 3, v65
	v_lshlrev_b32_e32 v2, 1, v68
	s_addc_u32 s0, s7, s1
	v_lshl_or_b32 v69, v67, 8, v2
	s_and_b32 s25, s0, 0xffff
	s_mov_b32 s27, 0x20000
	s_movk_i32 s26, 0x4000
	s_movk_i32 s0, 0x80
	v_or_b32_e32 v70, 0x2000, v69
	buffer_load_dwordx4 v[4:7], v69, s[24:27], 0 offen
	buffer_load_dwordx4 v[8:11], v69, s[24:27], s0 offen
	;; [unrolled: 1-line block ×4, first 2 shown]
	v_lshlrev_b32_e32 v3, 3, v67
	v_and_or_b32 v17, v0, 7, v3
	v_and_b32_e32 v3, 0x78, v3
	v_lshlrev_b32_e32 v17, 4, v17
	v_xor_b32_e32 v71, v17, v3
	v_mul_lo_u32 v16, v67, s19
	v_or_b32_e32 v72, 0x1000, v71
	v_xor_b32_e32 v3, 8, v71
	s_cmpk_eq_i32 s19, 0x80
	s_mov_b32 s57, s38
	v_xor_b32_e32 v17, 8, v72
	s_cselect_b64 s[0:1], -1, 0
	s_cmpk_lg_i32 s19, 0x80
	s_waitcnt vmcnt(3)
	ds_write_b64 v71, v[4:5] offset:24576
	ds_write_b64 v3, v[6:7] offset:24576
	s_waitcnt vmcnt(2)
	ds_write_b64 v71, v[8:9] offset:32768
	ds_write_b64 v3, v[10:11] offset:32768
	;; [unrolled: 3-line block ×4, first 2 shown]
	v_lshl_add_u32 v3, v16, 1, v68
	s_cbranch_scc0 .LBB278_3
; %bb.2:
	v_lshlrev_b32_e32 v5, 1, v3
	v_add_lshl_u32 v4, v3, s19, 1
	s_lshl_b32 s26, s19, 7
	v_lshl_or_b32 v2, v67, 9, v2
	s_cbranch_execz .LBB278_4
	s_branch .LBB278_5
.LBB278_3:
                                        ; implicit-def: $vgpr4
                                        ; implicit-def: $vgpr5
                                        ; implicit-def: $sgpr26
	v_lshl_or_b32 v2, v67, 9, v2
.LBB278_4:
	v_or_b32_e32 v4, 0x100, v2
	s_movk_i32 s26, 0x4000
	v_mov_b32_e32 v5, v2
.LBB278_5:
	s_mul_i32 s21, s38, s18
	s_ashr_i32 s59, s55, 31
	s_mul_hi_i32 s3, s38, s18
	s_add_u32 s24, s21, s55
	s_addc_u32 s25, s3, s59
	s_lshl_b64 s[24:25], s[24:25], 8
	s_add_u32 s24, s4, s24
	s_addc_u32 s3, s5, s25
	s_and_b32 s25, s3, 0xffff
	s_movk_i32 s60, 0x80
	buffer_load_dwordx4 v[6:9], v5, s[24:27], 0 offen
	buffer_load_dwordx4 v[10:13], v5, s[24:27], s60 offen
	;; [unrolled: 1-line block ×4, first 2 shown]
	v_and_b32_e32 v4, 6, v0
	v_lshlrev_b32_e32 v24, 6, v1
	v_or_b32_e32 v26, 16, v63
	v_xor_b32_e32 v27, v67, v4
	v_and_b32_e32 v5, 1, v0
	v_lshl_or_b32 v30, v63, 3, v24
	v_lshl_or_b32 v24, v26, 3, v24
	v_lshlrev_b32_e32 v27, 2, v27
	v_lshlrev_b32_e32 v19, 2, v63
	s_mul_i32 s3, s46, s23
	s_mul_hi_u32 s21, s46, s22
	v_or_b32_e32 v75, 0xa000, v24
	v_or_b32_e32 v76, 0xb000, v24
	v_xor_b32_e32 v24, 0x440, v27
	v_cmp_eq_u32_e32 vcc, 0, v5
	s_add_i32 s25, s49, s48
	s_mul_i32 s24, s58, s22
	v_xor_b32_e32 v28, v1, v19
	v_xor_b32_e32 v29, v66, v19
	v_cndmask_b32_e32 v5, v24, v27, vcc
	s_add_i32 s3, s21, s3
	s_add_i32 s21, s25, s50
	s_mov_b32 s61, 0x1000504
	v_lshlrev_b32_e32 v25, 8, v63
	v_lshlrev_b32_e32 v26, 8, v26
	v_lshlrev_b32_e32 v28, 1, v28
	v_lshlrev_b32_e32 v29, 1, v29
	v_lshl_or_b32 v4, v4, 10, v5
	s_add_i32 s25, s3, s24
	s_lshl_b64 s[28:29], s[20:21], 2
	s_mov_b32 s62, 0x3020706
	v_or_b32_e32 v73, 0xa000, v30
	v_or_b32_e32 v74, 0xb000, v30
	;; [unrolled: 1-line block ×5, first 2 shown]
	v_xor_b32_e32 v5, 8, v4
	v_xor_b32_e32 v25, 24, v4
	;; [unrolled: 1-line block ×4, first 2 shown]
	s_mul_i32 s24, s46, s22
	s_add_u32 s3, s10, s28
	v_or_b32_e32 v79, v26, v28
	v_xor_b32_e32 v24, 16, v4
	v_xor_b32_e32 v26, 32, v4
	;; [unrolled: 1-line block ×3, first 2 shown]
	v_add_u32_e32 v5, 0x80, v5
	v_add_u32_e32 v25, 0x80, v25
	;; [unrolled: 1-line block ×4, first 2 shown]
	s_addc_u32 s21, s11, s29
	s_lshl_b64 s[24:25], s[24:25], 2
	s_add_u32 s42, s3, s24
	s_movk_i32 s3, 0xf8
	s_addc_u32 s43, s21, s25
	s_lshl_b32 s30, s19, 7
	s_movk_i32 s28, 0x100
	v_mov_b32_e32 v55, 0
	v_lshlrev_b32_e32 v54, 4, v63
	v_cmp_gt_u32_e32 vcc, s28, v0
	s_mov_b32 s63, 0
	s_movk_i32 s21, 0x1000
	s_movk_i32 s26, 0x4000
	v_add_u32_e32 v94, v60, v18
	v_mov_b32_e32 v105, v55
	v_mov_b32_e32 v106, v55
	;; [unrolled: 1-line block ×8, first 2 shown]
	s_waitcnt vmcnt(1)
	v_perm_b32 v30, v6, v14, s61
	s_waitcnt vmcnt(0)
	v_perm_b32 v31, v10, v20, s61
	v_perm_b32 v6, v6, v14, s62
	;; [unrolled: 1-line block ×15, first 2 shown]
	ds_write2st64_b32 v4, v30, v31 offset0:32 offset1:64
	ds_write2st64_b32 v5, v6, v10 offset0:32 offset1:64
	;; [unrolled: 1-line block ×8, first 2 shown]
	v_or_b32_e32 v4, v60, v63
	v_lshlrev_b32_e32 v4, 3, v4
	v_lshrrev_b32_e32 v6, 5, v61
	v_and_or_b32 v6, v4, s3, v6
	v_lshlrev_b32_e32 v6, 4, v6
	v_lshrrev_b32_e32 v5, 2, v61
	v_lshlrev_b32_e32 v11, 11, v53
	v_and_b32_e32 v4, 0x78, v4
	v_or_b32_e32 v10, 32, v6
	v_and_b32_e32 v7, 12, v5
	v_and_b32_e32 v5, 0x1000, v11
	v_xor_b32_e32 v8, v6, v4
	v_lshrrev_b32_e32 v9, 1, v61
	v_xor_b32_e32 v10, v10, v4
	v_or_b32_e32 v8, v8, v5
	v_and_b32_e32 v9, 8, v9
	v_lshlrev_b32_e32 v12, 7, v62
	v_or_b32_e32 v10, v10, v5
	v_xor_b32_e32 v81, v8, v9
	v_or_b32_e32 v8, v12, v19
	v_xor_b32_e32 v83, v10, v9
	v_or_b32_e32 v10, 64, v6
	v_or_b32_e32 v6, 0x60, v6
	s_ashr_i32 s3, s2, 31
	v_lshlrev_b32_e32 v8, 1, v8
	v_xor_b32_e32 v10, v10, v4
	v_xor_b32_e32 v4, v6, v4
	s_lshl_b64 s[24:25], s[2:3], 8
	v_or_b32_e32 v82, 0xa000, v8
	v_or_b32_e32 v84, 0xa080, v8
	;; [unrolled: 1-line block ×6, first 2 shown]
	s_add_u32 s24, s40, s24
	v_lshlrev_b32_e32 v8, 1, v63
	v_lshlrev_b32_e32 v19, 2, v0
	v_lshrrev_b32_e32 v22, 1, v0
	v_xor_b32_e32 v85, v10, v9
	v_xor_b32_e32 v86, v4, v9
	v_lshrrev_b32_e32 v10, 4, v0
	s_addc_u32 s25, s41, s25
	v_or_b32_e32 v9, 1, v8
	v_mov_b32_e32 v20, 0x4000
	v_mov_b32_e32 v21, 0x2000
	v_and_b32_e32 v22, 24, v22
	v_and_or_b32 v12, v19, 60, v12
	v_mov_b32_e32 v19, 0xb000
	v_xor_b32_e32 v15, v10, v8
	v_xor_b32_e32 v16, v9, v10
	v_lshl_add_u64 v[8:9], s[24:25], 0, v[54:55]
	v_lshlrev_b32_e32 v54, 8, v10
	v_cndmask_b32_e32 v20, v20, v21, vcc
	v_lshlrev_b32_e32 v21, 3, v53
	v_lshl_or_b32 v91, v12, 1, v19
	v_or_b32_e32 v12, 32, v22
	v_lshl_or_b32 v89, v15, 3, v54
	v_and_b32_e32 v15, 8, v0
	v_xor_b32_e32 v12, v21, v12
	v_cmp_eq_u32_e32 vcc, 0, v15
	v_or_b32_e32 v19, 0x440, v12
	v_and_b32_e32 v10, 7, v0
	v_cndmask_b32_e32 v12, v19, v12, vcc
	v_lshl_or_b32 v90, v16, 3, v54
	v_lshlrev_b32_e32 v16, 3, v10
	v_or_b32_e32 v12, v12, v11
	v_xor_b32_e32 v19, v12, v16
	v_or_b32_e32 v12, 64, v22
	v_xor_b32_e32 v12, v21, v12
	v_xor_b32_e32 v25, 0x440, v12
	v_cndmask_b32_e32 v12, v25, v12, vcc
	v_or_b32_e32 v12, v12, v11
	v_xor_b32_e32 v25, v12, v16
	v_or_b32_e32 v12, 0x60, v22
	v_xor_b32_e32 v23, v21, v22
	v_xor_b32_e32 v12, v21, v12
	v_or_b32_e32 v24, 0x440, v23
	v_xor_b32_e32 v21, 0x440, v12
	v_cndmask_b32_e32 v15, v24, v23, vcc
	v_cndmask_b32_e32 v12, v21, v12, vcc
	v_or_b32_e32 v15, v15, v11
	v_or_b32_e32 v11, v12, v11
	v_or_b32_e32 v4, s2, v63
	v_xor_b32_e32 v15, v15, v16
	v_xor_b32_e32 v11, v11, v16
	v_lshlrev_b32_e32 v6, 7, v1
	v_ashrrev_i32_e32 v5, 31, v4
	v_lshlrev_b32_e32 v13, 1, v3
	v_add_lshl_u32 v3, v3, s19, 1
	v_or_b32_e32 v14, 0x100, v2
	v_lshlrev_b32_e32 v17, 7, v10
	v_or_b32_e32 v10, v7, v60
	v_add_u32_e32 v23, v20, v15
	v_add_u32_e32 v24, v20, v19
	;; [unrolled: 1-line block ×4, first 2 shown]
	v_or3_b32 v12, v60, v7, 64
	v_add_u32_e32 v7, 0x4000, v15
	v_add_u32_e32 v15, 0x4000, v19
	;; [unrolled: 1-line block ×4, first 2 shown]
	v_cndmask_b32_e64 v92, v13, v2, s[0:1]
	v_cndmask_b32_e64 v93, v3, v14, s[0:1]
	v_lshl_add_u64 v[56:57], v[4:5], 1, s[8:9]
	v_lshl_add_u64 v[58:59], v[8:9], 0, v[54:55]
	s_mov_b32 s3, 0x7060302
	v_lshlrev_b32_e32 v54, 1, v6
	v_lshlrev_b32_e32 v95, 2, v10
	v_add_u32_e32 v96, v23, v17
	v_add_u32_e32 v97, v24, v17
	;; [unrolled: 1-line block ×4, first 2 shown]
	v_lshlrev_b32_e32 v100, 2, v12
	v_add_u32_e32 v101, v7, v17
	v_add_u32_e32 v102, v15, v17
	;; [unrolled: 1-line block ×4, first 2 shown]
	v_mov_b32_e32 v2, v55
	v_mov_b32_e32 v3, v55
	v_mov_b32_e32 v4, v55
	v_mov_b32_e32 v5, v55
	v_mov_b32_e32 v6, v55
	v_mov_b32_e32 v7, v55
	v_mov_b32_e32 v8, v55
	v_mov_b32_e32 v9, v55
	s_waitcnt lgkmcnt(0)
	s_barrier
.LBB278_6:                              ; =>This Inner Loop Header: Depth=1
	s_add_i32 s64, s63, 1
	s_cmp_lt_i32 s64, s51
	s_mov_b64 s[28:29], 0
	s_cselect_b64 s[44:45], -1, 0
	s_cmp_ge_i32 s64, s51
	s_mov_b64 s[24:25], 0
	s_cbranch_scc1 .LBB278_8
; %bb.7:                                ;   in Loop: Header=BB278_6 Depth=1
	s_add_i32 s0, s57, 64
	s_ashr_i32 s1, s0, 31
	s_add_u32 s0, s54, s0
	s_addc_u32 s1, s53, s1
	s_lshl_b64 s[0:1], s[0:1], 8
	s_add_u32 s24, s6, s0
	s_addc_u32 s25, s7, s1
.LBB278_8:                              ;   in Loop: Header=BB278_6 Depth=1
	v_cndmask_b32_e64 v10, 0, 1, s[44:45]
	v_cmp_ne_u32_e64 s[0:1], 1, v10
	s_andn2_b64 vcc, exec, s[44:45]
	s_cbranch_vccnz .LBB278_10
; %bb.9:                                ;   in Loop: Header=BB278_6 Depth=1
	s_add_i32 s28, s57, 64
	s_mul_hi_i32 s29, s28, s18
	s_mul_i32 s28, s28, s18
	s_add_u32 s28, s28, s55
	s_addc_u32 s29, s29, s59
	s_lshl_b64 s[28:29], s[28:29], 8
	s_add_u32 s28, s4, s28
	s_addc_u32 s29, s5, s29
.LBB278_10:                             ;   in Loop: Header=BB278_6 Depth=1
	v_perm_b32 v11, v5, v4, s3
	v_perm_b32 v10, v3, v2, s3
	v_perm_b32 v13, v9, v8, s3
	v_perm_b32 v12, v7, v6, s3
	ds_write_b64 v73, v[10:11]
	ds_write_b64 v74, v[12:13]
	;; [unrolled: 1-line block ×4, first 2 shown]
	v_perm_b32 v11, v112, v107, s3
	v_perm_b32 v10, v106, v105, s3
	v_perm_b32 v13, v111, v110, s3
	v_perm_b32 v12, v109, v108, s3
	ds_write_b64 v75, v[10:11]
	ds_write_b64 v76, v[12:13]
	;; [unrolled: 1-line block ×4, first 2 shown]
	s_waitcnt lgkmcnt(0)
	s_barrier
	ds_read_b64 v[14:15], v81 offset:24576
	ds_read2_b64 v[10:13], v82 offset1:16
	ds_read_b64 v[18:19], v84 offset:3072
	ds_read_b64 v[20:21], v82 offset:3072
	;; [unrolled: 1-line block ×3, first 2 shown]
	s_waitcnt lgkmcnt(3)
	v_mfma_f32_16x16x16_bf16 a[0:3], v[14:15], v[10:11], 0
	s_add_i32 s65, s57, 63
	s_ashr_i32 s31, s65, 31
	s_mul_i32 s44, s65, s15
	v_mfma_f32_16x16x16_bf16 a[4:7], v[14:15], v[12:13], 0
	ds_read2st64_b64 v[10:13], v82 offset0:2 offset1:4
	s_mul_hi_u32 s45, s65, s14
	s_add_i32 s44, s45, s44
	s_waitcnt lgkmcnt(0)
	v_mfma_f32_16x16x16_bf16 a[0:3], v[22:23], v[10:11], a[0:3]
	ds_read2st64_b64 v[14:17], v84 offset0:2 offset1:4
	ds_read_b64 v[10:11], v85 offset:24576
	s_mul_i32 s31, s31, s14
	s_add_i32 s45, s44, s31
	s_waitcnt lgkmcnt(1)
	v_mfma_f32_16x16x16_bf16 a[4:7], v[22:23], v[14:15], a[4:7]
	ds_read_b64 v[14:15], v86 offset:24576
	s_mul_i32 s44, s65, s14
	s_lshl_b64 s[44:45], s[44:45], 2
	s_waitcnt lgkmcnt(1)
	v_mfma_f32_16x16x16_bf16 a[0:3], v[10:11], v[12:13], a[0:3]
	s_add_u32 s44, s42, s44
	s_addc_u32 s45, s43, s45
	s_and_b64 vcc, exec, s[0:1]
	v_mfma_f32_16x16x16_bf16 a[4:7], v[10:11], v[16:17], a[4:7]
	v_mov_b32_e32 v115, 0
	v_mov_b32_e32 v114, 0
	;; [unrolled: 1-line block ×3, first 2 shown]
	s_waitcnt lgkmcnt(0)
	v_mfma_f32_16x16x16_bf16 a[0:3], v[14:15], v[20:21], a[0:3]
	v_mov_b32_e32 v10, 0
	v_mov_b32_e32 v11, 0
	;; [unrolled: 1-line block ×3, first 2 shown]
	v_mfma_f32_16x16x16_bf16 a[4:7], v[14:15], v[18:19], a[4:7]
	v_mov_b32_e32 v13, 0
	v_mov_b32_e32 v14, 0
	;; [unrolled: 1-line block ×13, first 2 shown]
	s_cbranch_vccnz .LBB278_12
; %bb.11:                               ;   in Loop: Header=BB278_6 Depth=1
	s_and_b32 s25, s25, 0xffff
	buffer_load_dwordx4 v[22:25], v69, s[24:27], 0 offen
	buffer_load_dwordx4 v[18:21], v69, s[24:27], s60 offen
	;; [unrolled: 1-line block ×4, first 2 shown]
	v_mov_b32_e32 v114, v71
	v_mov_b32_e32 v113, v72
.LBB278_12:                             ;   in Loop: Header=BB278_6 Depth=1
	ds_read_b64 v[30:31], v81 offset:32768
	ds_read2_b64 v[26:29], v87 offset1:16
	ds_read_b64 v[34:35], v83 offset:32768
	ds_read_b64 v[36:37], v85 offset:32768
	;; [unrolled: 1-line block ×3, first 2 shown]
	v_add_u32_e32 v42, s57, v94
	s_waitcnt lgkmcnt(3)
	v_mfma_f32_16x16x16_bf16 a[0:3], v[30:31], v[26:27], a[0:3]
	v_mov_b32_e32 v116, 0
	v_mfma_f32_16x16x16_bf16 a[4:7], v[30:31], v[28:29], a[4:7]
	ds_read2st64_b64 v[26:29], v87 offset0:2 offset1:4
	ds_read2st64_b64 v[30:33], v88 offset0:2 offset1:4
	s_waitcnt lgkmcnt(1)
	v_mfma_f32_16x16x16_bf16 a[0:3], v[34:35], v[26:27], a[0:3]
	ds_read_b64 v[26:27], v87 offset:3072
	ds_read_b64 v[40:41], v88 offset:3072
	s_waitcnt lgkmcnt(2)
	v_mfma_f32_16x16x16_bf16 a[4:7], v[34:35], v[30:31], a[4:7]
	v_ashrrev_i32_e32 v30, 31, v42
	v_mul_lo_u32 v31, v42, s15
	v_mul_lo_u32 v30, v30, s14
	v_mfma_f32_16x16x16_bf16 a[0:3], v[36:37], v[28:29], a[0:3]
	v_mad_u64_u32 v[28:29], s[24:25], v42, s14, 0
	v_add3_u32 v29, v29, v31, v30
	v_add_u32_e32 v30, 1, v42
	v_ashrrev_i32_e32 v31, 31, v30
	v_mfma_f32_16x16x16_bf16 a[4:7], v[36:37], v[32:33], a[4:7]
	v_mul_lo_u32 v31, v31, s14
	v_mul_lo_u32 v32, v30, s15
	v_lshl_add_u64 v[28:29], v[28:29], 2, s[42:43]
	s_waitcnt lgkmcnt(1)
	v_mfma_f32_16x16x16_bf16 a[0:3], v[38:39], v[26:27], a[0:3]
	v_mad_u64_u32 v[26:27], s[24:25], v30, s14, 0
	v_add_u32_e32 v30, 2, v42
	v_add3_u32 v27, v27, v32, v31
	v_ashrrev_i32_e32 v31, 31, v30
	v_mul_lo_u32 v32, v31, s14
	v_mul_lo_u32 v33, v30, s15
	v_mad_u64_u32 v[30:31], s[24:25], v30, s14, 0
	v_add3_u32 v31, v31, v33, v32
	v_add_u32_e32 v32, 3, v42
	v_ashrrev_i32_e32 v33, 31, v32
	v_mul_lo_u32 v34, v33, s14
	v_mul_lo_u32 v35, v32, s15
	v_mad_u64_u32 v[32:33], s[24:25], v32, s14, 0
	v_add3_u32 v33, v33, v35, v34
	v_lshl_add_u64 v[32:33], v[32:33], 2, s[42:43]
	s_ashr_i32 s25, s57, 31
	v_lshl_add_u64 v[26:27], v[26:27], 2, s[42:43]
	v_lshl_add_u64 v[30:31], v[30:31], 2, s[42:43]
	global_load_dword v34, v[28:29], off
	global_load_dword v35, v[26:27], off
	;; [unrolled: 1-line block ×3, first 2 shown]
	s_nop 0
	global_load_dword v33, v[32:33], off
	s_add_u32 s24, s54, s57
	s_addc_u32 s25, s53, s25
	s_lshl_b64 s[24:25], s[24:25], 8
	v_lshl_add_u64 v[26:27], v[56:57], 0, s[24:25]
	v_lshl_add_u64 v[26:27], v[26:27], 0, v[54:55]
	global_load_ushort v37, v[26:27], off
	global_load_ushort v42, v[26:27], off offset:256
	global_load_ushort v43, v[26:27], off offset:800
	;; [unrolled: 1-line block ×7, first 2 shown]
	s_load_dword s24, s[44:45], 0x0
	s_waitcnt lgkmcnt(0)
	v_mfma_f32_16x16x16_bf16 a[4:7], v[38:39], v[40:41], a[4:7]
	v_accvgpr_read_b32 v31, a1
	v_accvgpr_read_b32 v27, a3
	;; [unrolled: 1-line block ×4, first 2 shown]
	s_and_b64 vcc, exec, s[0:1]
	s_waitcnt vmcnt(11)
	v_sub_f32_e32 v32, s24, v34
	s_waitcnt vmcnt(10)
	v_sub_f32_e32 v40, s24, v35
	;; [unrolled: 2-line block ×4, first 2 shown]
	v_exp_f32_e32 v32, v32
	v_exp_f32_e32 v33, v40
	v_exp_f32_e32 v40, v41
	v_exp_f32_e32 v41, v49
	s_waitcnt vmcnt(6)
	v_lshlrev_b32_e32 v35, 16, v42
	v_lshlrev_b32_e32 v34, 16, v37
	s_waitcnt vmcnt(4)
	v_lshlrev_b32_e32 v37, 16, v44
	s_waitcnt vmcnt(2)
	v_lshlrev_b32_e32 v36, 16, v46
	v_pk_add_f32 v[30:31], v[34:35], v[30:31] neg_lo:[0,1] neg_hi:[0,1]
	v_pk_add_f32 v[26:27], v[36:37], v[26:27] neg_lo:[0,1] neg_hi:[0,1]
	v_pk_mul_f32 v[30:31], v[32:33], v[30:31]
	v_pk_mul_f32 v[26:27], v[40:41], v[26:27]
	s_waitcnt vmcnt(1)
	v_lshlrev_b32_e32 v39, 16, v47
	v_perm_b32 v27, v27, v26, s3
	v_perm_b32 v26, v31, v30, s3
	v_accvgpr_read_b32 v31, a5
	s_waitcnt vmcnt(0)
	v_lshlrev_b32_e32 v38, 16, v48
	v_accvgpr_read_b32 v30, a4
	v_pk_add_f32 v[30:31], v[38:39], v[30:31] neg_lo:[0,1] neg_hi:[0,1]
	v_accvgpr_read_b32 v29, a7
	v_accvgpr_read_b32 v28, a6
	v_pk_mul_f32 v[30:31], v[32:33], v[30:31]
	v_lshlrev_b32_e32 v33, 16, v43
	v_lshlrev_b32_e32 v32, 16, v45
	v_pk_add_f32 v[28:29], v[32:33], v[28:29] neg_lo:[0,1] neg_hi:[0,1]
	v_mov_b32_e32 v32, 0
	v_pk_mul_f32 v[28:29], v[40:41], v[28:29]
	v_mov_b32_e32 v33, 0
	v_perm_b32 v29, v29, v28, s3
	v_perm_b32 v28, v31, v30, s3
	ds_write2_b64 v74, v[26:27], v[28:29] offset1:16
	v_mov_b32_e32 v26, 0
	v_mov_b32_e32 v27, 0
	;; [unrolled: 1-line block ×14, first 2 shown]
	s_cbranch_vccnz .LBB278_14
; %bb.13:                               ;   in Loop: Header=BB278_6 Depth=1
	s_and_b32 s29, s29, 0xffff
	s_mov_b32 s31, s27
	buffer_load_dwordx4 v[38:41], v92, s[28:31], 0 offen
	buffer_load_dwordx4 v[30:33], v92, s[28:31], s60 offen
	;; [unrolled: 1-line block ×4, first 2 shown]
	v_mov_b32_e32 v115, v68
	v_mov_b32_e32 v116, v67
.LBB278_14:                             ;   in Loop: Header=BB278_6 Depth=1
	s_waitcnt lgkmcnt(0)
	s_barrier
	ds_read_b64 v[46:47], v96
	ds_read_b64 v[122:123], v91
	;; [unrolled: 1-line block ×5, first 2 shown]
	ds_read_b64 v[136:137], v88 offset:3072
	ds_read2_b64 v[42:45], v87 offset0:16 offset1:128
	s_waitcnt lgkmcnt(5)
	v_mfma_f32_16x16x16_bf16 a[0:3], v[46:47], v[122:123], 0
	s_add_i32 s25, s52, s63
	s_mul_hi_i32 s29, s25, s47
	s_mul_i32 s25, s25, s47
	s_waitcnt lgkmcnt(0)
	v_mfma_f32_16x16x16_bf16 a[4:7], v[46:47], v[42:43], 0
	ds_read_b64 v[46:47], v101
	ds_read2st64_b64 v[48:51], v88 offset0:2 offset1:4
	s_add_u32 s28, s25, s46
	s_addc_u32 s29, s29, s58
	s_lshl_b64 s[28:29], s[28:29], 15
	s_mul_i32 s31, s65, s47
	s_mul_hi_i32 s25, s65, s47
	s_add_u32 s44, s31, s46
	s_waitcnt lgkmcnt(1)
	v_mfma_f32_16x16x16_bf16 a[8:11], v[46:47], v[122:123], 0
	s_addc_u32 s45, s25, s58
	ds_read2st64_b64 v[118:121], v87 offset0:4 offset1:6
	s_lshl_b64 s[44:45], s[44:45], 9
	v_mfma_f32_16x16x16_bf16 a[0:3], v[124:125], v[44:45], a[0:3]
	s_add_u32 s44, s36, s44
	s_addc_u32 s45, s37, s45
	s_waitcnt lgkmcnt(1)
	v_mfma_f32_16x16x16_bf16 a[4:7], v[124:125], v[48:49], a[4:7]
	ds_read_b64 v[124:125], v102
	ds_read_b64 v[132:133], v103
	;; [unrolled: 1-line block ×3, first 2 shown]
	v_mfma_f32_16x16x16_bf16 a[12:15], v[46:47], v[42:43], 0
	s_waitcnt lgkmcnt(2)
	v_mfma_f32_16x16x16_bf16 a[8:11], v[124:125], v[44:45], a[8:11]
	global_load_dwordx4 v[42:45], v100, s[44:45]
	v_mfma_f32_16x16x16_bf16 a[12:15], v[124:125], v[48:49], a[12:15]
	global_load_dwordx4 v[46:49], v95, s[44:45]
	ds_read2st64_b64 v[122:125], v89 offset1:8
	s_waitcnt lgkmcnt(0)
	v_mov_b32_e32 v130, v122
	v_mfma_f32_16x16x16_bf16 a[0:3], v[126:127], v[118:119], a[0:3]
	v_mov_b32_e32 v131, v123
	v_mfma_f32_16x16x16_bf16 a[4:7], v[126:127], v[50:51], a[4:7]
	ds_read2st64_b64 v[126:129], v90 offset1:8
	v_mfma_f32_16x16x16_bf16 a[8:11], v[132:133], v[118:119], a[8:11]
	v_lshl_add_u64 v[118:119], v[58:59], 0, s[28:29]
	v_mfma_f32_16x16x16_bf16 a[16:19], v[132:133], v[50:51], a[12:15]
	v_add_co_u32_e32 v50, vcc, s21, v118
	s_waitcnt lgkmcnt(0)
	v_mov_b32_e32 v132, v126
	v_mfma_f32_16x16x16_bf16 a[0:3], v[134:135], v[120:121], a[0:3]
	v_mov_b32_e32 v133, v127
	v_mov_b32_e32 v126, v124
	;; [unrolled: 1-line block ×3, first 2 shown]
	v_mfma_f32_16x16x16_bf16 a[4:7], v[134:135], v[136:137], a[4:7]
	v_addc_co_u32_e32 v51, vcc, 0, v119, vcc
	global_store_dwordx4 v[50:51], v[126:129], off
	v_mfma_f32_16x16x16_bf16 a[12:15], v[138:139], v[120:121], a[8:11]
	s_and_b64 vcc, exec, s[0:1]
	global_store_dwordx4 v[118:119], v[130:133], off
	s_waitcnt vmcnt(3)
	v_mov_b32_e32 v52, v45
	v_mfma_f32_16x16x16_bf16 a[8:11], v[138:139], v[136:137], a[16:19]
	v_mov_b32_e32 v51, v44
	v_mov_b32_e32 v50, v43
	s_cbranch_vccnz .LBB278_16
; %bb.15:                               ;   in Loop: Header=BB278_6 Depth=1
	v_lshrrev_b32_e32 v43, 3, v115
	v_and_b32_e32 v43, 6, v43
	v_xor_b32_e32 v44, v43, v116
	v_lshlrev_b32_e32 v44, 2, v44
	v_and_b32_e32 v45, 8, v115
	v_xor_b32_e32 v115, 0x440, v44
	v_cmp_eq_u32_e32 vcc, 0, v45
	v_perm_b32 v45, v30, v26, s61
	s_nop 0
	v_cndmask_b32_e32 v44, v115, v44, vcc
	v_lshl_or_b32 v43, v43, 10, v44
	v_perm_b32 v44, v38, v34, s61
	s_barrier
	ds_write2st64_b32 v43, v44, v45 offset0:32 offset1:64
	v_xor_b32_e32 v44, 8, v43
	v_perm_b32 v34, v38, v34, s62
	v_perm_b32 v26, v30, v26, s62
	v_add_u32_e32 v30, 0x80, v44
	ds_write2st64_b32 v30, v34, v26 offset0:32 offset1:64
	v_xor_b32_e32 v26, 16, v43
	v_perm_b32 v30, v39, v35, s61
	v_perm_b32 v34, v31, v27, s61
	ds_write2st64_b32 v26, v30, v34 offset0:33 offset1:65
	v_xor_b32_e32 v26, 24, v43
	v_perm_b32 v30, v39, v35, s62
	v_perm_b32 v27, v31, v27, s62
	v_add_u32_e32 v26, 0x80, v26
	ds_write2st64_b32 v26, v30, v27 offset0:33 offset1:65
	v_xor_b32_e32 v26, 32, v43
	v_perm_b32 v27, v40, v36, s61
	v_perm_b32 v30, v32, v28, s61
	;; [unrolled: 9-line block ×3, first 2 shown]
	ds_write2st64_b32 v26, v27, v28 offset0:35 offset1:67
	v_xor_b32_e32 v26, 56, v43
	v_perm_b32 v27, v41, v37, s62
	v_perm_b32 v28, v33, v29, s62
	v_add_u32_e32 v26, 0x80, v26
	ds_write2st64_b32 v26, v27, v28 offset0:35 offset1:67
	ds_write_b64 v114, v[22:23] offset:24576
	v_xor_b32_e32 v22, 8, v114
	ds_write_b64 v22, v[24:25] offset:24576
	ds_write_b64 v114, v[18:19] offset:32768
	;; [unrolled: 1-line block ×4, first 2 shown]
	v_xor_b32_e32 v14, 8, v113
	ds_write_b64 v14, v[16:17] offset:24576
	ds_write_b64 v113, v[10:11] offset:32768
	;; [unrolled: 1-line block ×3, first 2 shown]
.LBB278_16:                             ;   in Loop: Header=BB278_6 Depth=1
	v_exp_f32_e32 v26, s24
	s_waitcnt vmcnt(2)
	v_exp_f32_e32 v28, v46
	v_exp_f32_e32 v29, v47
	;; [unrolled: 1-line block ×4, first 2 shown]
	v_accvgpr_read_b32 v21, a3
	v_accvgpr_read_b32 v19, a1
	;; [unrolled: 1-line block ×4, first 2 shown]
	v_pk_mul_f32 v[28:29], v[26:27], v[28:29] op_sel_hi:[0,1]
	v_accvgpr_read_b32 v20, a2
	v_accvgpr_read_b32 v11, a5
	;; [unrolled: 1-line block ×3, first 2 shown]
	v_pk_fma_f32 v[2:3], v[2:3], v[28:29], v[18:19]
	v_pk_mul_f32 v[18:19], v[26:27], v[30:31] op_sel_hi:[0,1]
	v_pk_fma_f32 v[4:5], v[4:5], v[18:19], v[20:21]
	v_fma_f32 v105, v105, v28, v10
	v_fma_f32 v106, v106, v29, v11
	v_exp_f32_e32 v10, v42
	v_exp_f32_e32 v11, v50
	;; [unrolled: 1-line block ×4, first 2 shown]
	v_accvgpr_read_b32 v12, a6
	v_accvgpr_read_b32 v25, a15
	;; [unrolled: 1-line block ×9, first 2 shown]
	v_fma_f32 v107, v107, v18, v12
	v_fmac_f32_e32 v13, v112, v19
	v_pk_mul_f32 v[10:11], v[26:27], v[10:11] op_sel_hi:[0,1]
	v_pk_mul_f32 v[18:19], v[26:27], v[20:21] op_sel_hi:[0,1]
	s_add_i32 s57, s57, 64
	v_pk_fma_f32 v[6:7], v[6:7], v[10:11], v[22:23]
	v_pk_fma_f32 v[8:9], v[8:9], v[18:19], v[24:25]
	v_fma_f32 v108, v108, v10, v14
	v_fma_f32 v109, v109, v11, v15
	;; [unrolled: 1-line block ×3, first 2 shown]
	s_cmp_eq_u32 s51, s64
	v_fmac_f32_e32 v17, v111, v19
	s_cbranch_scc1 .LBB278_18
; %bb.17:                               ;   in Loop: Header=BB278_6 Depth=1
	s_mov_b32 s63, s64
	v_mov_b32_e32 v112, v13
	v_mov_b32_e32 v111, v17
	s_branch .LBB278_6
.LBB278_18:
	v_mov_b32_e32 v16, v110
	v_mov_b32_e32 v15, v109
	v_mov_b32_e32 v14, v108
	v_mov_b32_e32 v12, v107
	v_mov_b32_e32 v11, v106
	v_mov_b32_e32 v10, v105
.LBB278_19:
	s_lshl_b32 s3, s51, 6
	s_sub_i32 s56, s56, s3
	s_cmp_gt_i32 s56, 0
	v_or_b32_e32 v34, s2, v63
	s_cbranch_scc1 .LBB278_21
; %bb.20:
	s_ashr_i32 s29, s46, 31
	v_or_b32_e32 v35, s2, v63
	s_cbranch_execz .LBB278_22
	s_branch .LBB278_86
.LBB278_21:
                                        ; implicit-def: $vgpr35
                                        ; implicit-def: $sgpr28_sgpr29
.LBB278_22:
	s_add_i32 s28, s3, s38
	s_ashr_i32 s3, s28, 31
	s_cmpk_lg_i32 s19, 0x80
	s_cselect_b64 s[42:43], -1, 0
	s_and_b64 vcc, exec, s[42:43]
	s_cbranch_vccz .LBB278_24
; %bb.23:
	s_mul_hi_i32 s0, s28, s18
	s_mul_i32 s1, s28, s18
	s_ashr_i32 s18, s55, 31
	s_add_u32 s44, s1, s55
	s_addc_u32 s45, s0, s18
	s_cbranch_execz .LBB278_25
	s_branch .LBB278_26
.LBB278_24:
                                        ; implicit-def: $sgpr44_sgpr45
.LBB278_25:
	s_mul_i32 s1, s55, s16
	s_mul_hi_i32 s0, s55, s16
	s_add_u32 s44, s1, s28
	s_addc_u32 s45, s0, s3
.LBB278_26:
	s_add_i32 s16, s51, s52
	s_ashr_i32 s29, s46, 31
	s_add_u32 s0, s54, s28
	v_lshlrev_b32_e32 v22, 5, v1
	v_lshlrev_b32_e32 v40, 2, v63
	s_addc_u32 s1, s53, s3
	s_mov_b32 s3, 0x7060302
	v_or_b32_e32 v25, v22, v40
	v_xor_b32_e32 v23, v1, v40
	v_perm_b32 v19, v5, v4, s3
	v_perm_b32 v18, v3, v2, s3
	;; [unrolled: 1-line block ×4, first 2 shown]
	v_lshlrev_b32_e32 v25, 1, v25
	v_xor_b32_e32 v24, v66, v40
	ds_write2st64_b64 v25, v[18:19], v[20:21] offset0:80 offset1:88
	v_lshlrev_b32_e32 v23, 1, v23
	v_lshlrev_b32_e32 v25, 8, v63
	s_lshl_b64 s[30:31], s[0:1], 8
	v_or_b32_e32 v26, v23, v25
	v_lshlrev_b32_e32 v24, 1, v24
	s_add_u32 s0, s6, s30
	ds_write_b64 v26, v[18:19]
	v_or_b32_e32 v18, v24, v25
	s_addc_u32 s1, s7, s31
	ds_write_b64 v18, v[20:21]
	v_perm_b32 v19, v13, v12, s3
	v_perm_b32 v18, v11, v10, s3
	;; [unrolled: 1-line block ×4, first 2 shown]
	v_or_b32_e32 v25, 16, v63
	s_mul_hi_i32 s3, s16, s17
	s_mul_i32 s16, s16, s17
	v_lshlrev_b32_e32 v37, 2, v25
	s_add_u32 s6, s16, s46
	v_or_b32_e32 v22, v22, v37
	s_addc_u32 s7, s3, s29
	v_lshlrev_b32_e32 v22, 1, v22
	s_ashr_i32 s3, s2, 31
	s_lshl_b64 s[6:7], s[6:7], 15
	ds_write2st64_b64 v22, v[18:19], v[20:21] offset0:80 offset1:88
	v_lshlrev_b32_e32 v22, 8, v25
	s_add_u32 s6, s40, s6
	v_or_b32_e32 v23, v23, v22
	s_addc_u32 s7, s41, s7
	s_lshl_b64 s[2:3], s[2:3], 8
	ds_write_b64 v23, v[18:19]
	v_or_b32_e32 v18, v24, v22
	s_add_u32 s2, s6, s2
	ds_write_b64 v18, v[20:21]
	v_lshrrev_b32_e32 v18, 4, v0
	s_addc_u32 s3, s7, s3
	v_lshlrev_b32_e32 v19, 1, v63
	v_lshlrev_b32_e32 v26, 4, v63
	v_mov_b32_e32 v27, 0
	v_or_b32_e32 v20, 1, v19
	v_xor_b32_e32 v19, v18, v19
	v_lshl_add_u64 v[28:29], s[2:3], 0, v[26:27]
	v_lshlrev_b32_e32 v26, 8, v18
	v_xor_b32_e32 v22, v20, v18
	v_lshl_or_b32 v18, v19, 3, v26
	s_waitcnt lgkmcnt(0)
	s_barrier
	ds_read2st64_b64 v[18:21], v18 offset1:8
	v_lshl_or_b32 v22, v22, 3, v26
	ds_read2st64_b64 v[22:25], v22 offset1:8
	v_lshl_add_u64 v[30:31], v[28:29], 0, v[26:27]
	s_movk_i32 s2, 0x1000
	s_waitcnt lgkmcnt(1)
	v_mov_b32_e32 v26, v18
	v_add_co_u32_e32 v18, vcc, s2, v30
	s_cmp_lg_u32 s56, 64
	v_mov_b32_e32 v27, v19
	v_addc_co_u32_e32 v19, vcc, 0, v31, vcc
	s_cselect_b64 s[6:7], -1, 0
	v_lshl_or_b32 v35, v53, 3, v65
	s_waitcnt lgkmcnt(0)
	v_mov_b32_e32 v28, v22
	v_mov_b32_e32 v29, v23
	;; [unrolled: 1-line block ×4, first 2 shown]
	s_mov_b32 s24, 0
	v_or_b32_e32 v38, 32, v35
	v_and_b32_e32 v36, 56, v64
	s_and_b64 vcc, exec, s[6:7]
	global_store_dwordx4 v[30:31], v[26:29], off
	global_store_dwordx4 v[18:19], v[22:25], off
	s_cbranch_vccz .LBB278_32
; %bb.27:
	s_mov_b32 s25, s24
	s_mov_b32 s26, s24
	;; [unrolled: 1-line block ×3, first 2 shown]
	v_mov_b64_e32 v[22:23], s[24:25]
	v_mov_b64_e32 v[24:25], s[26:27]
	;; [unrolled: 1-line block ×3, first 2 shown]
	v_cmp_gt_i32_e32 vcc, s56, v35
	v_mov_b64_e32 v[20:21], v[24:25]
	s_and_saveexec_b64 s[2:3], vcc
	s_cbranch_execz .LBB278_29
; %bb.28:
	v_lshlrev_b32_e32 v18, 8, v35
	v_mov_b32_e32 v19, 0
	v_lshl_add_u64 v[20:21], s[0:1], 0, v[18:19]
	v_lshlrev_b32_e32 v18, 1, v36
	v_lshl_add_u64 v[26:27], v[20:21], 0, v[18:19]
	global_load_dwordx4 v[22:25], v[26:27], off
	global_load_dwordx4 v[18:21], v[26:27], off offset:128
.LBB278_29:
	s_or_b64 exec, exec, s[2:3]
	s_mov_b32 s26, s24
	s_mov_b32 s27, s24
	;; [unrolled: 1-line block ×3, first 2 shown]
	v_mov_b64_e32 v[32:33], s[26:27]
	v_mov_b64_e32 v[30:31], s[24:25]
	;; [unrolled: 1-line block ×3, first 2 shown]
	v_cmp_gt_i32_e32 vcc, s56, v38
	v_lshlrev_b32_e32 v39, 7, v38
	v_mov_b64_e32 v[28:29], v[32:33]
	s_and_saveexec_b64 s[2:3], vcc
	s_cbranch_execz .LBB278_31
; %bb.30:
	v_lshlrev_b32_e32 v26, 1, v39
	v_mov_b32_e32 v27, 0
	v_lshl_add_u64 v[28:29], s[0:1], 0, v[26:27]
	v_lshlrev_b32_e32 v26, 1, v36
	v_lshl_add_u64 v[42:43], v[28:29], 0, v[26:27]
	global_load_dwordx4 v[30:33], v[42:43], off
	global_load_dwordx4 v[26:29], v[42:43], off offset:128
.LBB278_31:
	s_or_b64 exec, exec, s[2:3]
	v_lshrrev_b32_e32 v41, 3, v36
	v_lshlrev_b32_e32 v42, 3, v35
	v_or_b32_e32 v41, v42, v41
	v_lshlrev_b32_e32 v41, 4, v41
	v_and_b32_e32 v42, 0x78, v42
	v_xor_b32_e32 v41, v41, v42
	s_branch .LBB278_34
.LBB278_32:
                                        ; implicit-def: $vgpr41
                                        ; implicit-def: $vgpr39
                                        ; implicit-def: $vgpr22_vgpr23_vgpr24_vgpr25
                                        ; implicit-def: $vgpr18_vgpr19_vgpr20_vgpr21
                                        ; implicit-def: $vgpr30_vgpr31_vgpr32_vgpr33
                                        ; implicit-def: $vgpr26_vgpr27_vgpr28_vgpr29
	s_cbranch_execz .LBB278_34
; %bb.33:
	s_waitcnt vmcnt(0)
	v_lshlrev_b32_e32 v18, 1, v36
	v_lshl_or_b32 v39, v35, 8, v18
	s_and_b32 s1, s1, 0xffff
	s_mov_b32 s3, 0x20000
	s_movk_i32 s2, 0x4000
	v_lshl_or_b32 v41, v38, 8, v18
	s_movk_i32 s16, 0x80
	buffer_load_dwordx4 v[22:25], v39, s[0:3], 0 offen
	buffer_load_dwordx4 v[18:21], v39, s[0:3], s16 offen
	;; [unrolled: 1-line block ×4, first 2 shown]
	v_lshrrev_b32_e32 v39, 3, v36
	v_lshlrev_b32_e32 v41, 3, v35
	v_or_b32_e32 v39, v41, v39
	v_lshlrev_b32_e32 v39, 4, v39
	v_and_b32_e32 v41, 0x78, v41
	v_xor_b32_e32 v41, v39, v41
	v_lshlrev_b32_e32 v39, 7, v38
.LBB278_34:
	s_lshl_b64 s[0:1], s[44:45], 8
	s_add_u32 s4, s4, s0
	s_movk_i32 s0, 0x1000
	v_and_or_b32 v38, v39, s0, v41
	s_waitcnt vmcnt(1)
	ds_write_b64 v41, v[22:23] offset:24576
	v_xor_b32_e32 v22, 8, v41
	ds_write_b64 v22, v[24:25] offset:24576
	s_waitcnt vmcnt(0)
	ds_write_b64 v41, v[18:19] offset:32768
	ds_write_b64 v22, v[20:21] offset:32768
	;; [unrolled: 1-line block ×3, first 2 shown]
	v_xor_b32_e32 v18, 8, v38
	ds_write_b64 v18, v[32:33] offset:24576
	ds_write_b64 v38, v[26:27] offset:32768
	;; [unrolled: 1-line block ×3, first 2 shown]
	v_or_b32_e32 v18, v60, v63
	v_lshlrev_b32_e32 v18, 3, v18
	v_lshrrev_b32_e32 v19, 5, v61
	s_movk_i32 s18, 0xf8
	v_and_or_b32 v19, v18, s18, v19
	v_lshlrev_b32_e32 v23, 4, v19
	v_lshlrev_b32_e32 v41, 11, v53
	v_and_b32_e32 v24, 0x78, v18
	v_or_b32_e32 v26, 32, v23
	v_and_b32_e32 v22, 0x1000, v41
	v_lshrrev_b32_e32 v19, 1, v61
	v_xor_b32_e32 v26, v26, v24
	v_xor_b32_e32 v18, v23, v24
	v_and_b32_e32 v25, 8, v19
	v_or_b32_e32 v26, v26, v22
	v_or_b32_e32 v18, v18, v22
	v_xor_b32_e32 v45, v26, v25
	v_or_b32_e32 v26, 64, v23
	v_xor_b32_e32 v44, v18, v25
	v_xor_b32_e32 v26, v26, v24
	s_waitcnt lgkmcnt(0)
	s_barrier
	v_or_b32_e32 v28, v26, v22
	ds_read_b64 v[26:27], v44 offset:24576
	v_lshl_or_b32 v38, v62, 7, v40
	v_lshlrev_b32_e32 v42, 1, v38
	v_add_u32_e32 v18, 0xa000, v42
	ds_read2_b64 v[18:21], v18 offset1:16
	v_or_b32_e32 v23, 0x60, v23
	v_xor_b32_e32 v23, v23, v24
	s_waitcnt lgkmcnt(0)
	v_mfma_f32_16x16x16_bf16 a[0:3], v[26:27], v[18:19], 0
	v_or_b32_e32 v18, 64, v38
	v_or_b32_e32 v22, v23, v22
	v_lshlrev_b32_e32 v43, 1, v18
	v_xor_b32_e32 v46, v28, v25
	v_xor_b32_e32 v47, v22, v25
	ds_read_b64 v[28:29], v45 offset:24576
	ds_read_b64 v[30:31], v46 offset:24576
	;; [unrolled: 1-line block ×3, first 2 shown]
	v_mfma_f32_16x16x16_bf16 a[4:7], v[26:27], v[20:21], 0
	ds_read2st64_b64 v[18:21], v43 offset0:82 offset1:84
	ds_read2st64_b64 v[22:25], v42 offset0:82 offset1:84
	s_addc_u32 s5, s5, s1
	s_add_i32 s16, s39, -1
	s_add_i32 s0, s49, s48
	s_add_i32 s21, s0, s50
	s_mul_i32 s0, s46, s23
	s_mul_hi_u32 s1, s46, s22
	s_ashr_i32 s2, s16, 31
	s_mul_i32 s3, s16, s15
	s_mul_hi_u32 s18, s16, s14
	s_add_i32 s0, s1, s0
	s_mul_i32 s1, s29, s22
	s_add_i32 s3, s18, s3
	s_mul_i32 s2, s2, s14
	s_waitcnt lgkmcnt(1)
	v_mfma_f32_16x16x16_bf16 a[4:7], v[28:29], v[18:19], a[4:7]
	s_add_i32 s1, s0, s1
	s_add_i32 s3, s3, s2
	s_lshl_b64 s[20:21], s[20:21], 2
	s_waitcnt lgkmcnt(0)
	v_mfma_f32_16x16x16_bf16 a[0:3], v[28:29], v[22:23], a[0:3]
	s_mul_i32 s0, s46, s22
	s_add_u32 s10, s10, s20
	s_addc_u32 s11, s11, s21
	s_lshl_b64 s[0:1], s[0:1], 2
	s_mul_i32 s2, s16, s14
	s_add_u32 s10, s10, s0
	ds_read_b64 v[18:19], v42 offset:44032
	v_mfma_f32_16x16x16_bf16 a[4:7], v[30:31], v[20:21], a[4:7]
	ds_read_b64 v[20:21], v43 offset:44032
	s_addc_u32 s11, s11, s1
	s_lshl_b64 s[0:1], s[2:3], 2
	v_mfma_f32_16x16x16_bf16 a[0:3], v[30:31], v[24:25], a[0:3]
	s_add_u32 s0, s10, s0
	s_addc_u32 s1, s11, s1
	s_load_dword s18, s[0:1], 0x0
	s_waitcnt lgkmcnt(0)
	v_mfma_f32_16x16x16_bf16 a[0:3], v[32:33], v[18:19], a[0:3]
	s_and_b64 vcc, exec, s[42:43]
	v_mfma_f32_16x16x16_bf16 a[4:7], v[32:33], v[20:21], a[4:7]
	s_cbranch_vccz .LBB278_45
; %bb.35:
	v_lshlrev_b32_e32 v38, 1, v35
	s_and_b64 vcc, exec, s[6:7]
	s_cbranch_vccz .LBB278_46
; %bb.36:
	v_cmp_gt_i32_e32 vcc, s56, v38
	v_mov_b32_e32 v22, 0
	v_mov_b32_e32 v18, 0
	v_mov_b32_e32 v19, 0
	v_mov_b32_e32 v20, 0
	v_mov_b32_e32 v21, 0
	s_and_saveexec_b64 s[0:1], vcc
	s_cbranch_execz .LBB278_38
; %bb.37:
	v_mad_i64_i32 v[18:19], s[2:3], s19, v38, 0
	v_lshl_add_u64 v[18:19], v[18:19], 1, s[4:5]
	v_lshlrev_b32_e32 v20, 1, v36
	v_mov_b32_e32 v21, 0
	v_lshl_add_u64 v[18:19], v[18:19], 0, v[20:21]
	global_load_dwordx4 v[18:21], v[18:19], off
.LBB278_38:
	s_or_b64 exec, exec, s[0:1]
	v_or_b32_e32 v39, 1, v38
	v_cmp_gt_i32_e64 s[0:1], s56, v39
	v_mov_b32_e32 v23, 0
	v_mov_b32_e32 v24, 0
	;; [unrolled: 1-line block ×3, first 2 shown]
	s_and_saveexec_b64 s[2:3], s[0:1]
	s_cbranch_execz .LBB278_40
; %bb.39:
	v_mad_i64_i32 v[22:23], s[20:21], s19, v39, 0
	v_lshl_add_u64 v[22:23], v[22:23], 1, s[4:5]
	v_lshlrev_b32_e32 v24, 1, v36
	v_mov_b32_e32 v25, 0
	v_lshl_add_u64 v[22:23], v[22:23], 0, v[24:25]
	global_load_dwordx4 v[22:25], v[22:23], off
.LBB278_40:
	s_or_b64 exec, exec, s[2:3]
	v_mov_b32_e32 v33, 0
	v_mov_b32_e32 v26, 0
	;; [unrolled: 1-line block ×5, first 2 shown]
	s_and_saveexec_b64 s[2:3], vcc
	s_cbranch_execz .LBB278_42
; %bb.41:
	v_mad_i64_i32 v[26:27], s[20:21], s19, v38, 0
	v_lshl_add_u64 v[26:27], v[26:27], 1, s[4:5]
	v_lshlrev_b32_e32 v28, 1, v36
	v_mov_b32_e32 v29, 0
	v_lshl_add_u64 v[26:27], v[26:27], 0, v[28:29]
	global_load_dwordx4 v[26:29], v[26:27], off offset:128
.LBB278_42:
	s_or_b64 exec, exec, s[2:3]
	v_mov_b32_e32 v32, 0
	v_mov_b32_e32 v31, 0
	;; [unrolled: 1-line block ×3, first 2 shown]
	s_and_saveexec_b64 s[2:3], s[0:1]
	s_cbranch_execz .LBB278_44
; %bb.43:
	v_mad_i64_i32 v[30:31], s[0:1], s19, v39, 0
	v_lshl_add_u64 v[30:31], v[30:31], 1, s[4:5]
	v_lshlrev_b32_e32 v32, 1, v36
	v_mov_b32_e32 v33, 0
	v_lshl_add_u64 v[30:31], v[30:31], 0, v[32:33]
	global_load_dwordx4 v[30:33], v[30:31], off offset:128
.LBB278_44:
	s_or_b64 exec, exec, s[2:3]
	s_branch .LBB278_48
.LBB278_45:
                                        ; implicit-def: $vgpr21
                                        ; implicit-def: $vgpr25
                                        ; implicit-def: $vgpr29
                                        ; implicit-def: $vgpr33
	v_lshrrev_b32_e32 v48, 2, v61
	s_branch .LBB278_49
.LBB278_46:
                                        ; implicit-def: $vgpr21
                                        ; implicit-def: $vgpr25
                                        ; implicit-def: $vgpr29
                                        ; implicit-def: $vgpr33
	s_cbranch_execz .LBB278_48
; %bb.47:
	s_waitcnt vmcnt(0)
	v_mad_u64_u32 v[18:19], s[0:1], v38, s19, v[36:37]
	v_lshlrev_b32_e32 v38, 1, v18
	s_lshl_b32 s2, s19, 7
	s_and_b32 s1, s5, 0xffff
	s_mov_b32 s3, 0x20000
	s_mov_b32 s0, s4
	v_add_lshl_u32 v39, v18, s19, 1
	s_movk_i32 s19, 0x80
	buffer_load_dwordx4 v[18:21], v38, s[0:3], 0 offen
	buffer_load_dwordx4 v[26:29], v38, s[0:3], s19 offen
	;; [unrolled: 1-line block ×4, first 2 shown]
.LBB278_48:
	v_lshrrev_b32_e32 v48, 2, v61
	s_cbranch_execnz .LBB278_61
.LBB278_49:
	s_and_b64 vcc, exec, s[6:7]
	s_cbranch_vccz .LBB278_59
; %bb.50:
	s_waitcnt vmcnt(0)
	v_lshlrev_b32_e32 v23, 1, v35
	v_cmp_gt_i32_e32 vcc, s56, v23
	v_mov_b32_e32 v22, 0
	v_lshlrev_b32_e32 v30, 9, v35
	v_mov_b32_e32 v18, 0
	v_mov_b32_e32 v19, 0
	;; [unrolled: 1-line block ×4, first 2 shown]
	s_and_saveexec_b64 s[0:1], vcc
	s_cbranch_execz .LBB278_52
; %bb.51:
	v_mov_b32_e32 v31, 0
	v_lshl_add_u64 v[18:19], s[4:5], 0, v[30:31]
	v_lshlrev_b32_e32 v20, 1, v36
	v_mov_b32_e32 v21, v31
	v_lshl_add_u64 v[18:19], v[18:19], 0, v[20:21]
	global_load_dwordx4 v[18:21], v[18:19], off
.LBB278_52:
	s_or_b64 exec, exec, s[0:1]
	v_or_b32_e32 v23, 1, v23
	v_cmp_gt_i32_e64 s[0:1], s56, v23
	v_lshlrev_b32_e32 v38, 8, v23
	v_mov_b32_e32 v23, 0
	v_mov_b32_e32 v24, 0
	;; [unrolled: 1-line block ×3, first 2 shown]
	s_and_saveexec_b64 s[2:3], s[0:1]
	s_cbranch_execz .LBB278_54
; %bb.53:
	v_mov_b32_e32 v39, 0
	v_lshl_add_u64 v[22:23], s[4:5], 0, v[38:39]
	v_lshlrev_b32_e32 v24, 1, v36
	v_mov_b32_e32 v25, v39
	v_lshl_add_u64 v[22:23], v[22:23], 0, v[24:25]
	global_load_dwordx4 v[22:25], v[22:23], off
.LBB278_54:
	s_or_b64 exec, exec, s[2:3]
	v_mov_b32_e32 v33, 0
	v_mov_b32_e32 v26, 0
	;; [unrolled: 1-line block ×5, first 2 shown]
	s_and_saveexec_b64 s[2:3], vcc
	s_cbranch_execz .LBB278_56
; %bb.55:
	v_mov_b32_e32 v31, 0
	v_lshl_add_u64 v[26:27], s[4:5], 0, v[30:31]
	v_lshlrev_b32_e32 v30, 1, v36
	v_lshl_add_u64 v[26:27], v[26:27], 0, v[30:31]
	global_load_dwordx4 v[26:29], v[26:27], off offset:128
.LBB278_56:
	s_or_b64 exec, exec, s[2:3]
	v_mov_b32_e32 v32, 0
	v_mov_b32_e32 v31, 0
	;; [unrolled: 1-line block ×3, first 2 shown]
	s_and_saveexec_b64 s[2:3], s[0:1]
	s_cbranch_execz .LBB278_58
; %bb.57:
	v_mov_b32_e32 v39, 0
	v_lshl_add_u64 v[30:31], s[4:5], 0, v[38:39]
	v_lshlrev_b32_e32 v38, 1, v36
	v_lshl_add_u64 v[30:31], v[30:31], 0, v[38:39]
	global_load_dwordx4 v[30:33], v[30:31], off offset:128
.LBB278_58:
	s_or_b64 exec, exec, s[2:3]
	s_branch .LBB278_61
.LBB278_59:
                                        ; implicit-def: $vgpr21
                                        ; implicit-def: $vgpr25
                                        ; implicit-def: $vgpr29
                                        ; implicit-def: $vgpr33
	s_cbranch_execz .LBB278_61
; %bb.60:
	s_waitcnt vmcnt(0)
	v_lshlrev_b32_e32 v18, 1, v36
	v_lshl_or_b32 v36, v35, 9, v18
	s_and_b32 s5, s5, 0xffff
	s_mov_b32 s7, 0x20000
	s_movk_i32 s6, 0x4000
	s_movk_i32 s0, 0x80
	buffer_load_dwordx4 v[18:21], v36, s[4:7], 0 offen
	buffer_load_dwordx4 v[22:25], v36, s[4:7], 0 offen offset:256
	buffer_load_dwordx4 v[26:29], v36, s[4:7], s0 offen
	buffer_load_dwordx4 v[30:33], v36, s[4:7], s0 offen offset:256
.LBB278_61:
	ds_read_b64 v[38:39], v44 offset:32768
	v_add_u32_e32 v36, 0xb000, v42
	ds_read2_b64 v[54:57], v36 offset1:16
	ds_read_b64 v[50:51], v45 offset:32768
	ds_read_b64 v[58:59], v46 offset:32768
	;; [unrolled: 1-line block ×3, first 2 shown]
	ds_read2st64_b64 v[44:47], v42 offset0:90 offset1:92
	v_and_b32_e32 v36, 12, v48
	v_and_b32_e32 v48, 6, v0
	v_xor_b32_e32 v35, v35, v48
	v_lshlrev_b32_e32 v35, 2, v35
	s_mov_b32 s0, 0x1000504
	s_waitcnt lgkmcnt(4)
	v_mfma_f32_16x16x16_bf16 a[0:3], v[38:39], v[54:55], a[0:3]
	s_mov_b32 s1, 0x3020706
	v_mfma_f32_16x16x16_bf16 a[4:7], v[38:39], v[56:57], a[4:7]
	ds_read2st64_b64 v[54:57], v43 offset0:90 offset1:92
	s_waitcnt lgkmcnt(1)
	v_mfma_f32_16x16x16_bf16 a[0:3], v[50:51], v[44:45], a[0:3]
	ds_read_b64 v[38:39], v42 offset:48128
	ds_read_b64 v[44:45], v43 offset:48128
	s_waitcnt lgkmcnt(2)
	v_mfma_f32_16x16x16_bf16 a[4:7], v[50:51], v[54:55], a[4:7]
	v_mfma_f32_16x16x16_bf16 a[0:3], v[58:59], v[46:47], a[0:3]
	v_and_b32_e32 v46, 1, v0
	v_xor_b32_e32 v47, 0x440, v35
	v_cmp_eq_u32_e32 vcc, 0, v46
	v_mfma_f32_16x16x16_bf16 a[8:11], v[58:59], v[56:57], a[4:7]
	s_nop 0
	v_cndmask_b32_e32 v35, v47, v35, vcc
	v_lshl_or_b32 v35, v48, 10, v35
	s_waitcnt lgkmcnt(1)
	v_mfma_f32_16x16x16_bf16 a[4:7], v[62:63], v[38:39], a[0:3]
	s_waitcnt vmcnt(0)
	v_perm_b32 v38, v18, v22, s0
	v_perm_b32 v39, v26, v30, s0
	ds_write2st64_b32 v35, v38, v39 offset0:32 offset1:64
	v_xor_b32_e32 v38, 8, v35
	v_perm_b32 v18, v18, v22, s1
	v_perm_b32 v22, v26, v30, s1
	v_add_u32_e32 v26, 0x80, v38
	ds_write2st64_b32 v26, v18, v22 offset0:32 offset1:64
	v_xor_b32_e32 v18, 16, v35
	v_perm_b32 v22, v19, v23, s0
	v_perm_b32 v26, v27, v31, s0
	ds_write2st64_b32 v18, v22, v26 offset0:33 offset1:65
	v_xor_b32_e32 v18, 24, v35
	v_perm_b32 v19, v19, v23, s1
	v_perm_b32 v22, v27, v31, s1
	v_add_u32_e32 v18, 0x80, v18
	ds_write2st64_b32 v18, v19, v22 offset0:33 offset1:65
	v_xor_b32_e32 v18, 32, v35
	v_perm_b32 v19, v20, v24, s0
	v_perm_b32 v22, v28, v32, s0
	ds_write2st64_b32 v18, v19, v22 offset0:34 offset1:66
	v_xor_b32_e32 v18, 40, v35
	s_waitcnt lgkmcnt(5)
	v_mfma_f32_16x16x16_bf16 a[0:3], v[62:63], v[44:45], a[8:11]
	v_perm_b32 v19, v20, v24, s1
	v_perm_b32 v20, v28, v32, s1
	v_add_u32_e32 v18, 0x80, v18
	ds_write2st64_b32 v18, v19, v20 offset0:34 offset1:66
	v_xor_b32_e32 v18, 48, v35
	v_perm_b32 v19, v21, v25, s0
	v_perm_b32 v20, v29, v33, s0
	ds_write2st64_b32 v18, v19, v20 offset0:35 offset1:67
	v_xor_b32_e32 v18, 56, v35
	v_or_b32_e32 v32, v36, v60
	v_perm_b32 v19, v21, v25, s1
	v_perm_b32 v20, v29, v33, s1
	v_add_u32_e32 v18, 0x80, v18
	v_cmp_gt_i32_e32 vcc, s56, v32
	v_mov_b32_e32 v33, 0
	v_mov_b32_e32 v39, 0
	ds_write2st64_b32 v18, v19, v20 offset0:35 offset1:67
	s_and_saveexec_b64 s[0:1], vcc
	s_cbranch_execz .LBB278_63
; %bb.62:
	v_add_u32_e32 v18, s28, v32
	v_ashrrev_i32_e32 v19, 31, v18
	v_mul_lo_u32 v20, v19, s14
	v_mul_lo_u32 v21, v18, s15
	v_mad_u64_u32 v[18:19], s[2:3], v18, s14, 0
	v_add3_u32 v19, v19, v21, v20
	v_lshl_add_u64 v[18:19], v[18:19], 2, s[10:11]
	global_load_dword v18, v[18:19], off
	s_waitcnt vmcnt(0)
	v_sub_f32_e32 v18, s18, v18
	v_exp_f32_e32 v39, v18
.LBB278_63:
	s_or_b64 exec, exec, s[0:1]
	v_or_b32_e32 v24, 1, v32
	v_cmp_gt_i32_e64 s[0:1], s56, v24
	s_and_saveexec_b64 s[2:3], s[0:1]
	s_cbranch_execz .LBB278_65
; %bb.64:
	v_add_u32_e32 v18, s28, v24
	v_ashrrev_i32_e32 v19, 31, v18
	v_mul_lo_u32 v20, v19, s14
	v_mul_lo_u32 v21, v18, s15
	v_mad_u64_u32 v[18:19], s[4:5], v18, s14, 0
	v_add3_u32 v19, v19, v21, v20
	v_lshl_add_u64 v[18:19], v[18:19], 2, s[10:11]
	global_load_dword v18, v[18:19], off
	s_waitcnt vmcnt(0)
	v_sub_f32_e32 v18, s18, v18
	v_exp_f32_e32 v33, v18
.LBB278_65:
	s_or_b64 exec, exec, s[2:3]
	v_or_b32_e32 v25, 2, v32
	v_cmp_gt_i32_e64 s[2:3], s56, v25
	v_mov_b32_e32 v38, 0
	v_mov_b32_e32 v44, 0
	s_and_saveexec_b64 s[4:5], s[2:3]
	s_cbranch_execz .LBB278_67
; %bb.66:
	v_add_u32_e32 v18, s28, v25
	v_ashrrev_i32_e32 v19, 31, v18
	v_mul_lo_u32 v20, v19, s14
	v_mul_lo_u32 v21, v18, s15
	v_mad_u64_u32 v[18:19], s[6:7], v18, s14, 0
	v_add3_u32 v19, v19, v21, v20
	v_lshl_add_u64 v[18:19], v[18:19], 2, s[10:11]
	global_load_dword v18, v[18:19], off
	s_waitcnt vmcnt(0)
	v_sub_f32_e32 v18, s18, v18
	v_exp_f32_e32 v44, v18
.LBB278_67:
	s_or_b64 exec, exec, s[4:5]
	v_or_b32_e32 v45, 3, v32
	v_cmp_gt_i32_e64 s[4:5], s56, v45
	s_and_saveexec_b64 s[6:7], s[4:5]
	s_cbranch_execz .LBB278_69
; %bb.68:
	v_add_u32_e32 v18, s28, v45
	v_ashrrev_i32_e32 v19, 31, v18
	v_mul_lo_u32 v20, v19, s14
	v_mul_lo_u32 v21, v18, s15
	v_mad_u64_u32 v[18:19], s[14:15], v18, s14, 0
	v_add3_u32 v19, v19, v21, v20
	v_lshl_add_u64 v[18:19], v[18:19], 2, s[10:11]
	global_load_dword v18, v[18:19], off
	s_waitcnt vmcnt(0)
	v_sub_f32_e32 v18, s18, v18
	v_exp_f32_e32 v38, v18
.LBB278_69:
	s_or_b64 exec, exec, s[6:7]
	s_add_u32 s6, s8, s30
	v_accvgpr_read_b32 v21, a7
	s_addc_u32 s7, s9, s31
	v_ashrrev_i32_e32 v35, 31, v34
	v_accvgpr_read_b32 v20, a6
	v_accvgpr_read_b32 v19, a5
	;; [unrolled: 1-line block ×3, first 2 shown]
	v_lshl_add_u64 v[22:23], v[34:35], 1, s[6:7]
	v_mov_b32_e32 v29, 0
	v_lshlrev_b32_e32 v26, 8, v32
	v_mov_b32_e32 v27, 0
	s_and_saveexec_b64 s[6:7], vcc
	s_cbranch_execz .LBB278_71
; %bb.70:
	v_mov_b32_e32 v27, 0
	v_lshl_add_u64 v[30:31], v[22:23], 0, v[26:27]
	global_load_ushort v27, v[30:31], off
	s_waitcnt vmcnt(0)
	v_lshlrev_b32_e32 v27, 16, v27
	v_sub_f32_e32 v18, v27, v18
	v_mul_f32_e32 v18, v39, v18
	v_lshrrev_b32_e32 v27, 16, v18
.LBB278_71:
	s_or_b64 exec, exec, s[6:7]
	v_lshlrev_b32_e32 v28, 8, v24
	s_and_saveexec_b64 s[6:7], s[0:1]
	s_cbranch_execz .LBB278_73
; %bb.72:
	v_mov_b32_e32 v29, 0
	v_lshl_add_u64 v[30:31], v[22:23], 0, v[28:29]
	global_load_ushort v18, v[30:31], off
	s_waitcnt vmcnt(0)
	v_lshlrev_b32_e32 v18, 16, v18
	v_sub_f32_e32 v18, v18, v19
	v_mul_f32_e32 v18, v33, v18
	v_lshrrev_b32_e32 v29, 16, v18
.LBB278_73:
	s_or_b64 exec, exec, s[6:7]
	v_mov_b32_e32 v46, 0
	v_lshlrev_b32_e32 v30, 8, v25
	v_mov_b32_e32 v31, 0
	s_and_saveexec_b64 s[6:7], s[2:3]
	s_cbranch_execz .LBB278_75
; %bb.74:
	v_mov_b32_e32 v31, 0
	v_lshl_add_u64 v[18:19], v[22:23], 0, v[30:31]
	global_load_ushort v18, v[18:19], off
	s_waitcnt vmcnt(0)
	v_lshlrev_b32_e32 v18, 16, v18
	v_sub_f32_e32 v18, v18, v20
	v_mul_f32_e32 v18, v44, v18
	v_lshrrev_b32_e32 v31, 16, v18
.LBB278_75:
	s_or_b64 exec, exec, s[6:7]
	v_lshlrev_b32_e32 v24, 8, v45
	s_and_saveexec_b64 s[6:7], s[4:5]
	s_cbranch_execz .LBB278_77
; %bb.76:
	v_mov_b32_e32 v25, 0
	v_lshl_add_u64 v[18:19], v[22:23], 0, v[24:25]
	global_load_ushort v18, v[18:19], off
	s_waitcnt vmcnt(0)
	v_lshlrev_b32_e32 v18, 16, v18
	v_sub_f32_e32 v18, v18, v21
	v_mul_f32_e32 v18, v38, v18
	v_lshrrev_b32_e32 v46, 16, v18
.LBB278_77:
	s_or_b64 exec, exec, s[6:7]
	v_lshlrev_b32_e32 v35, 5, v32
	v_accvgpr_read_b32 v21, a3
	s_mov_b32 s6, 0x5040100
	v_or_b32_e32 v25, v35, v40
	v_accvgpr_read_b32 v20, a2
	v_accvgpr_read_b32 v19, a1
	;; [unrolled: 1-line block ×3, first 2 shown]
	v_perm_b32 v47, v46, v31, s6
	v_perm_b32 v46, v29, v27, s6
	v_lshlrev_b32_e32 v25, 1, v25
	v_mov_b32_e32 v29, 0
	v_mov_b32_e32 v27, 0
	ds_write_b64 v25, v[46:47] offset:45056
	s_and_saveexec_b64 s[6:7], vcc
	s_cbranch_execz .LBB278_79
; %bb.78:
	v_mov_b32_e32 v27, 0
	v_lshl_add_u64 v[26:27], v[22:23], 0, v[26:27]
	global_load_ushort v25, v[26:27], off offset:32
	s_waitcnt vmcnt(0)
	v_lshlrev_b32_e32 v25, 16, v25
	v_sub_f32_e32 v18, v25, v18
	v_mul_f32_e32 v18, v39, v18
	v_lshrrev_b32_e32 v27, 16, v18
.LBB278_79:
	s_or_b64 exec, exec, s[6:7]
	s_and_saveexec_b64 s[6:7], s[0:1]
	s_cbranch_execz .LBB278_81
; %bb.80:
	v_mov_b32_e32 v29, 0
	v_lshl_add_u64 v[28:29], v[22:23], 0, v[28:29]
	global_load_ushort v18, v[28:29], off offset:32
	s_waitcnt vmcnt(0)
	v_lshlrev_b32_e32 v18, 16, v18
	v_sub_f32_e32 v18, v18, v19
	v_mul_f32_e32 v18, v33, v18
	v_lshrrev_b32_e32 v29, 16, v18
.LBB278_81:
	s_or_b64 exec, exec, s[6:7]
	v_mov_b32_e32 v25, 0
	v_mov_b32_e32 v26, 0
	s_and_saveexec_b64 s[0:1], s[2:3]
	s_cbranch_execz .LBB278_83
; %bb.82:
	v_mov_b32_e32 v31, 0
	v_lshl_add_u64 v[18:19], v[22:23], 0, v[30:31]
	global_load_ushort v18, v[18:19], off offset:32
	s_waitcnt vmcnt(0)
	v_lshlrev_b32_e32 v18, 16, v18
	v_sub_f32_e32 v18, v18, v20
	v_mul_f32_e32 v18, v44, v18
	v_lshrrev_b32_e32 v26, 16, v18
.LBB278_83:
	s_or_b64 exec, exec, s[0:1]
	v_or_b32_e32 v19, 0xb000, v42
	v_or_b32_e32 v18, 0xb000, v43
	s_and_saveexec_b64 s[0:1], s[4:5]
	s_cbranch_execz .LBB278_85
; %bb.84:
	v_mov_b32_e32 v25, 0
	v_lshl_add_u64 v[22:23], v[22:23], 0, v[24:25]
	global_load_ushort v20, v[22:23], off offset:32
	s_waitcnt vmcnt(0)
	v_lshlrev_b32_e32 v20, 16, v20
	v_sub_f32_e32 v20, v20, v21
	v_mul_f32_e32 v20, v38, v20
	v_lshrrev_b32_e32 v25, 16, v20
.LBB278_85:
	s_or_b64 exec, exec, s[0:1]
	s_mov_b32 s0, 0x5040100
	v_or_b32_e32 v22, v35, v37
	v_perm_b32 v21, v25, v26, s0
	v_perm_b32 v20, v29, v27, s0
	v_lshlrev_b32_e32 v22, 1, v22
	s_movk_i32 s2, 0x100
	ds_write_b64 v22, v[20:21] offset:45056
	v_and_b32_e32 v20, 7, v0
	v_and_b32_e32 v21, 8, v0
	v_cmp_gt_u32_e32 vcc, s2, v0
	v_lshrrev_b32_e32 v0, 1, v0
	v_lshlrev_b32_e32 v26, 3, v20
	v_lshlrev_b32_e32 v35, 7, v20
	v_mov_b32_e32 v20, 0x4000
	v_mov_b32_e32 v22, 0x2000
	v_lshlrev_b32_e32 v24, 3, v53
	v_and_b32_e32 v0, 24, v0
	v_cndmask_b32_e32 v27, v20, v22, vcc
	v_xor_b32_e32 v20, v24, v0
	v_or_b32_e32 v22, 0x440, v20
	v_cmp_eq_u32_e32 vcc, 0, v21
	v_or_b32_e32 v28, 32, v0
	v_xor_b32_e32 v28, v24, v28
	v_cndmask_b32_e32 v20, v22, v20, vcc
	v_or_b32_e32 v20, v20, v41
	v_xor_b32_e32 v37, v20, v26
	v_or_b32_e32 v29, 0x440, v28
	v_add3_u32 v25, v27, v37, v35
	v_cndmask_b32_e32 v28, v29, v28, vcc
	v_or_b32_e32 v29, 64, v0
	v_or_b32_e32 v0, 0x60, v0
	s_waitcnt lgkmcnt(0)
	s_barrier
	v_xor_b32_e32 v29, v24, v29
	v_xor_b32_e32 v0, v24, v0
	ds_read_b64 v[24:25], v25
	v_xor_b32_e32 v30, 0x440, v29
	ds_read2_b64 v[20:23], v19 offset1:16
	v_cndmask_b32_e32 v29, v30, v29, vcc
	v_xor_b32_e32 v30, 0x440, v0
	v_or_b32_e32 v28, v28, v41
	v_or_b32_e32 v29, v29, v41
	v_cndmask_b32_e32 v0, v30, v0, vcc
	v_xor_b32_e32 v50, v28, v26
	v_xor_b32_e32 v51, v29, v26
	v_or_b32_e32 v0, v0, v41
	v_add3_u32 v28, v27, v50, v35
	v_add3_u32 v29, v27, v51, v35
	v_xor_b32_e32 v52, v0, v26
	s_mul_i32 s0, s16, s17
	v_add3_u32 v0, v27, v52, v35
	ds_read_b64 v[26:27], v28
	ds_read_b64 v[42:43], v29
	;; [unrolled: 1-line block ×3, first 2 shown]
	ds_read2st64_b64 v[28:31], v19 offset0:2 offset1:4
	s_mul_hi_i32 s1, s16, s17
	ds_read2st64_b64 v[38:41], v18 offset0:2 offset1:4
	s_add_u32 s0, s0, s46
	s_waitcnt lgkmcnt(5)
	v_mfma_f32_16x16x16_bf16 a[0:3], v[24:25], v[20:21], 0
	s_addc_u32 s1, s1, s29
	s_lshl_b64 s[0:1], s[0:1], 9
	s_add_u32 s0, s36, s0
	v_mfma_f32_16x16x16_bf16 a[4:7], v[24:25], v[22:23], 0
	s_addc_u32 s1, s37, s1
	v_lshlrev_b32_e32 v0, 2, v32
	s_waitcnt lgkmcnt(1)
	v_mfma_f32_16x16x16_bf16 a[0:3], v[26:27], v[28:29], a[0:3]
	s_waitcnt lgkmcnt(0)
	v_mfma_f32_16x16x16_bf16 a[4:7], v[26:27], v[38:39], a[4:7]
	global_load_dwordx4 v[24:27], v0, s[0:1]
	ds_read_b64 v[32:33], v19 offset:3072
	ds_read_b64 v[48:49], v18 offset:3072
	v_lshlrev_b32_e32 v0, 6, v53
	v_lshlrev_b32_e32 v18, 2, v36
	v_or3_b32 v0, v0, v18, s2
	v_mfma_f32_16x16x16_bf16 a[0:3], v[42:43], v[30:31], a[0:3]
	v_add_u32_e32 v36, v37, v35
	s_waitcnt vmcnt(0)
	v_exp_f32_e32 v18, v24
	v_mfma_f32_16x16x16_bf16 a[4:7], v[42:43], v[40:41], a[4:7]
	global_load_dwordx4 v[42:45], v0, s[0:1]
	v_exp_f32_e32 v19, v25
	ds_read_b64 v[24:25], v36 offset:16384
	s_waitcnt lgkmcnt(2)
	v_mfma_f32_16x16x16_bf16 a[0:3], v[46:47], v[32:33], a[0:3]
	v_exp_f32_e32 v0, s18
	v_add_u32_e32 v36, v50, v35
	v_add_u32_e32 v50, v51, v35
	s_waitcnt lgkmcnt(1)
	v_mfma_f32_16x16x16_bf16 a[4:7], v[46:47], v[48:49], a[4:7]
	v_pk_mul_f32 v[54:55], v[0:1], v[18:19] op_sel_hi:[0,1]
	v_add_u32_e32 v35, v52, v35
	ds_read_b64 v[46:47], v36 offset:16384
	ds_read_b64 v[50:51], v50 offset:16384
	ds_read_b64 v[52:53], v35 offset:16384
	v_accvgpr_read_b32 v19, a1
	v_accvgpr_read_b32 v37, a3
	;; [unrolled: 1-line block ×4, first 2 shown]
	s_waitcnt lgkmcnt(3)
	v_mfma_f32_16x16x16_bf16 a[0:3], v[24:25], v[22:23], 0
	v_exp_f32_e32 v26, v26
	v_exp_f32_e32 v27, v27
	v_pk_fma_f32 v[18:19], v[2:3], v[54:55], v[18:19]
	v_mfma_f32_16x16x16_bf16 a[8:11], v[24:25], v[20:21], 0
	v_mov_b32_e32 v35, v34
	v_pk_mul_f32 v[2:3], v[0:1], v[26:27] op_sel_hi:[0,1]
	v_pk_fma_f32 v[20:21], v[4:5], v[2:3], v[36:37]
	s_waitcnt lgkmcnt(2)
	v_mfma_f32_16x16x16_bf16 a[0:3], v[46:47], v[38:39], a[0:3]
	v_accvgpr_read_b32 v4, a4
	v_fma_f32 v26, v10, v54, v4
	v_accvgpr_read_b32 v4, a5
	v_mfma_f32_16x16x16_bf16 a[8:11], v[46:47], v[28:29], a[8:11]
	v_fma_f32 v27, v11, v55, v4
	v_accvgpr_read_b32 v4, a6
	v_accvgpr_read_b32 v29, a7
	s_waitcnt lgkmcnt(1)
	v_mfma_f32_16x16x16_bf16 a[0:3], v[50:51], v[40:41], a[0:3]
	v_fma_f32 v28, v12, v2, v4
	v_fmac_f32_e32 v29, v13, v3
	s_waitcnt vmcnt(0)
	v_mov_b32_e32 v2, v43
	v_mfma_f32_16x16x16_bf16 a[8:11], v[50:51], v[30:31], a[8:11]
	v_mov_b32_e32 v3, v44
	v_mov_b32_e32 v4, v45
	v_exp_f32_e32 v10, v42
	v_exp_f32_e32 v11, v2
	;; [unrolled: 1-line block ×4, first 2 shown]
	s_waitcnt lgkmcnt(0)
	v_mfma_f32_16x16x16_bf16 a[0:3], v[52:53], v[48:49], a[0:3]
	v_pk_mul_f32 v[10:11], v[0:1], v[10:11] op_sel_hi:[0,1]
	v_pk_mul_f32 v[2:3], v[0:1], v[2:3] op_sel_hi:[0,1]
	v_mfma_f32_16x16x16_bf16 a[4:7], v[52:53], v[32:33], a[8:11]
	s_nop 3
	v_accvgpr_read_b32 v0, a0
	v_fma_f32 v30, v14, v10, v0
	v_accvgpr_read_b32 v0, a1
	v_fma_f32 v31, v15, v11, v0
	v_accvgpr_read_b32 v13, a5
	v_accvgpr_read_b32 v5, a7
	v_accvgpr_read_b32 v4, a6
	v_accvgpr_read_b32 v12, a4
	v_accvgpr_read_b32 v0, a2
	v_accvgpr_read_b32 v33, a3
	v_pk_fma_f32 v[22:23], v[6:7], v[10:11], v[12:13]
	v_pk_fma_f32 v[24:25], v[8:9], v[2:3], v[4:5]
	v_fma_f32 v32, v16, v2, v0
	v_fmac_f32_e32 v33, v17, v3
	v_mov_b64_e32 v[2:3], v[18:19]
	v_mov_b64_e32 v[4:5], v[20:21]
	;; [unrolled: 1-line block ×8, first 2 shown]
.LBB278_86:
	s_mul_i32 s0, s47, s35
	s_mul_hi_u32 s1, s47, s34
	s_add_i32 s0, s1, s0
	s_mul_i32 s1, s33, s34
	s_add_i32 s1, s0, s1
	s_mul_i32 s0, s47, s34
	s_add_u32 s0, s0, s46
	s_addc_u32 s1, s1, s29
	s_lshl_b64 s[0:1], s[0:1], 15
	s_add_u32 s0, s12, s0
	v_lshlrev_b32_e32 v18, 7, v35
	s_addc_u32 s1, s13, s1
	v_ashrrev_i32_e32 v19, 31, v18
	v_lshl_add_u64 v[20:21], v[18:19], 1, s[0:1]
	v_lshlrev_b32_e32 v0, 1, v1
	v_mov_b32_e32 v1, 0
	s_mov_b32 s2, 0x7060302
	v_lshl_add_u64 v[20:21], v[20:21], 0, v[0:1]
	v_perm_b32 v5, v5, v4, s2
	v_perm_b32 v4, v3, v2, s2
	;; [unrolled: 1-line block ×4, first 2 shown]
	global_store_dwordx2 v[20:21], v[2:3], off offset:128
	v_or_b32_e32 v2, 0x800, v18
	v_ashrrev_i32_e32 v3, 31, v2
	v_lshl_add_u64 v[2:3], v[2:3], 1, s[0:1]
	v_lshl_add_u64 v[0:1], v[2:3], 0, v[0:1]
	v_perm_b32 v3, v13, v12, s2
	v_perm_b32 v2, v11, v10, s2
	global_store_dwordx2 v[0:1], v[2:3], off
	v_perm_b32 v3, v17, v16, s2
	v_perm_b32 v2, v15, v14, s2
	global_store_dwordx2 v[20:21], v[4:5], off
	global_store_dwordx2 v[0:1], v[2:3], off offset:128
	s_endpgm
	.section	.rodata,"a",@progbits
	.p2align	6, 0x0
	.amdhsa_kernel _ZN12_GLOBAL__N_139chunk_gated_delta_rule_fwd_h_hip_kernelILi32ELb0ELb1ELb0ELb1ELb1ELb1ELb0ELb1EEEvPK12hip_bfloat16S3_S3_PKfS5_PKvPS1_S8_PvPKiSB_iiiiilll
		.amdhsa_group_segment_fixed_size 49152
		.amdhsa_private_segment_fixed_size 0
		.amdhsa_kernarg_size 136
		.amdhsa_user_sgpr_count 2
		.amdhsa_user_sgpr_dispatch_ptr 0
		.amdhsa_user_sgpr_queue_ptr 0
		.amdhsa_user_sgpr_kernarg_segment_ptr 1
		.amdhsa_user_sgpr_dispatch_id 0
		.amdhsa_user_sgpr_kernarg_preload_length 0
		.amdhsa_user_sgpr_kernarg_preload_offset 0
		.amdhsa_user_sgpr_private_segment_size 0
		.amdhsa_uses_dynamic_stack 0
		.amdhsa_enable_private_segment 0
		.amdhsa_system_sgpr_workgroup_id_x 1
		.amdhsa_system_sgpr_workgroup_id_y 1
		.amdhsa_system_sgpr_workgroup_id_z 0
		.amdhsa_system_sgpr_workgroup_info 0
		.amdhsa_system_vgpr_workitem_id 0
		.amdhsa_next_free_vgpr 160
		.amdhsa_next_free_sgpr 66
		.amdhsa_accum_offset 140
		.amdhsa_reserve_vcc 1
		.amdhsa_float_round_mode_32 0
		.amdhsa_float_round_mode_16_64 0
		.amdhsa_float_denorm_mode_32 3
		.amdhsa_float_denorm_mode_16_64 3
		.amdhsa_dx10_clamp 1
		.amdhsa_ieee_mode 1
		.amdhsa_fp16_overflow 0
		.amdhsa_tg_split 0
		.amdhsa_exception_fp_ieee_invalid_op 0
		.amdhsa_exception_fp_denorm_src 0
		.amdhsa_exception_fp_ieee_div_zero 0
		.amdhsa_exception_fp_ieee_overflow 0
		.amdhsa_exception_fp_ieee_underflow 0
		.amdhsa_exception_fp_ieee_inexact 0
		.amdhsa_exception_int_div_zero 0
	.end_amdhsa_kernel
	.section	.text._ZN12_GLOBAL__N_139chunk_gated_delta_rule_fwd_h_hip_kernelILi32ELb0ELb1ELb0ELb1ELb1ELb1ELb0ELb1EEEvPK12hip_bfloat16S3_S3_PKfS5_PKvPS1_S8_PvPKiSB_iiiiilll,"axG",@progbits,_ZN12_GLOBAL__N_139chunk_gated_delta_rule_fwd_h_hip_kernelILi32ELb0ELb1ELb0ELb1ELb1ELb1ELb0ELb1EEEvPK12hip_bfloat16S3_S3_PKfS5_PKvPS1_S8_PvPKiSB_iiiiilll,comdat
.Lfunc_end278:
	.size	_ZN12_GLOBAL__N_139chunk_gated_delta_rule_fwd_h_hip_kernelILi32ELb0ELb1ELb0ELb1ELb1ELb1ELb0ELb1EEEvPK12hip_bfloat16S3_S3_PKfS5_PKvPS1_S8_PvPKiSB_iiiiilll, .Lfunc_end278-_ZN12_GLOBAL__N_139chunk_gated_delta_rule_fwd_h_hip_kernelILi32ELb0ELb1ELb0ELb1ELb1ELb1ELb0ELb1EEEvPK12hip_bfloat16S3_S3_PKfS5_PKvPS1_S8_PvPKiSB_iiiiilll
                                        ; -- End function
	.section	.AMDGPU.csdata,"",@progbits
; Kernel info:
; codeLenInByte = 9632
; NumSgprs: 72
; NumVgprs: 140
; NumAgprs: 20
; TotalNumVgprs: 160
; ScratchSize: 0
; MemoryBound: 0
; FloatMode: 240
; IeeeMode: 1
; LDSByteSize: 49152 bytes/workgroup (compile time only)
; SGPRBlocks: 8
; VGPRBlocks: 19
; NumSGPRsForWavesPerEU: 72
; NumVGPRsForWavesPerEU: 160
; AccumOffset: 140
; Occupancy: 1
; WaveLimiterHint : 1
; COMPUTE_PGM_RSRC2:SCRATCH_EN: 0
; COMPUTE_PGM_RSRC2:USER_SGPR: 2
; COMPUTE_PGM_RSRC2:TRAP_HANDLER: 0
; COMPUTE_PGM_RSRC2:TGID_X_EN: 1
; COMPUTE_PGM_RSRC2:TGID_Y_EN: 1
; COMPUTE_PGM_RSRC2:TGID_Z_EN: 0
; COMPUTE_PGM_RSRC2:TIDIG_COMP_CNT: 0
; COMPUTE_PGM_RSRC3_GFX90A:ACCUM_OFFSET: 34
; COMPUTE_PGM_RSRC3_GFX90A:TG_SPLIT: 0
	.section	.text._ZN12_GLOBAL__N_139chunk_gated_delta_rule_fwd_h_hip_kernelILi32ELb0ELb0ELb1ELb1ELb1ELb1ELb0ELb1EEEvPK12hip_bfloat16S3_S3_PKfS5_PKvPS1_S8_PvPKiSB_iiiiilll,"axG",@progbits,_ZN12_GLOBAL__N_139chunk_gated_delta_rule_fwd_h_hip_kernelILi32ELb0ELb0ELb1ELb1ELb1ELb1ELb0ELb1EEEvPK12hip_bfloat16S3_S3_PKfS5_PKvPS1_S8_PvPKiSB_iiiiilll,comdat
	.globl	_ZN12_GLOBAL__N_139chunk_gated_delta_rule_fwd_h_hip_kernelILi32ELb0ELb0ELb1ELb1ELb1ELb1ELb0ELb1EEEvPK12hip_bfloat16S3_S3_PKfS5_PKvPS1_S8_PvPKiSB_iiiiilll ; -- Begin function _ZN12_GLOBAL__N_139chunk_gated_delta_rule_fwd_h_hip_kernelILi32ELb0ELb0ELb1ELb1ELb1ELb1ELb0ELb1EEEvPK12hip_bfloat16S3_S3_PKfS5_PKvPS1_S8_PvPKiSB_iiiiilll
	.p2align	8
	.type	_ZN12_GLOBAL__N_139chunk_gated_delta_rule_fwd_h_hip_kernelILi32ELb0ELb0ELb1ELb1ELb1ELb1ELb0ELb1EEEvPK12hip_bfloat16S3_S3_PKfS5_PKvPS1_S8_PvPKiSB_iiiiilll,@function
_ZN12_GLOBAL__N_139chunk_gated_delta_rule_fwd_h_hip_kernelILi32ELb0ELb0ELb1ELb1ELb1ELb1ELb0ELb1EEEvPK12hip_bfloat16S3_S3_PKfS5_PKvPS1_S8_PvPKiSB_iiiiilll: ; @_ZN12_GLOBAL__N_139chunk_gated_delta_rule_fwd_h_hip_kernelILi32ELb0ELb0ELb1ELb1ELb1ELb1ELb0ELb1EEEvPK12hip_bfloat16S3_S3_PKfS5_PKvPS1_S8_PvPKiSB_iiiiilll
; %bb.0:
	s_load_dwordx4 s[16:19], s[0:1], 0x5c
	s_load_dwordx4 s[20:23], s[0:1], 0x70
	s_abs_i32 s25, s3
	s_ashr_i32 s24, s3, 31
	s_load_dwordx4 s[12:15], s[0:1], 0x30
	s_load_dwordx4 s[28:31], s[0:1], 0x48
	s_waitcnt lgkmcnt(0)
	s_abs_i32 s34, s17
	v_cvt_f32_u32_e32 v1, s34
	s_sub_i32 s26, 0, s34
	s_ashr_i32 s35, s17, 31
	s_xor_b32 s24, s24, s35
	v_rcp_iflag_f32_e32 v1, v1
	s_load_dwordx8 s[4:11], s[0:1], 0x0
	v_lshrrev_b32_e32 v63, 6, v0
	v_bfe_u32 v64, v0, 4, 2
	v_mul_f32_e32 v1, 0x4f7ffffe, v1
	v_cvt_u32_f32_e32 v1, v1
	v_lshlrev_b32_e32 v2, 2, v64
	v_and_b32_e32 v62, 63, v0
	v_mov_b32_e32 v5, 0
	v_readfirstlane_b32 s27, v1
	s_mul_i32 s26, s26, s27
	s_mul_hi_u32 s26, s27, s26
	s_add_i32 s27, s27, s26
	s_mul_hi_u32 s26, s25, s27
	s_mul_i32 s27, s26, s34
	s_sub_i32 s25, s25, s27
	s_add_i32 s33, s26, 1
	s_sub_i32 s27, s25, s34
	s_cmp_ge_u32 s25, s34
	s_cselect_b32 s26, s33, s26
	s_cselect_b32 s25, s27, s25
	s_add_i32 s27, s26, 1
	s_cmp_ge_u32 s25, s34
	s_cselect_b32 s25, s27, s26
	s_xor_b32 s25, s25, s24
	s_sub_i32 s24, s25, s24
	s_mul_i32 s25, s24, s17
	s_sub_i32 s33, s3, s25
	s_ashr_i32 s25, s24, 31
	s_lshl_b64 s[26:27], s[24:25], 2
	s_add_u32 s28, s28, s26
	s_addc_u32 s29, s29, s27
	s_add_u32 s26, s30, s26
	s_addc_u32 s27, s31, s27
	s_abs_i32 s3, s18
	v_cvt_f32_u32_e32 v1, s3
	s_load_dwordx2 s[38:39], s[28:29], 0x0
	s_sub_i32 s29, 0, s3
	s_load_dword s48, s[26:27], 0x0
	v_rcp_iflag_f32_e32 v1, v1
	v_and_b32_e32 v45, 15, v0
	s_waitcnt lgkmcnt(0)
	s_sub_i32 s49, s39, s38
	s_ashr_i32 s28, s49, 31
	v_mul_f32_e32 v1, 0x4f7ffffe, v1
	v_cvt_u32_f32_e32 v1, v1
	s_lshr_b32 s28, s28, 26
	s_add_i32 s28, s49, s28
	s_ashr_i32 s47, s28, 6
	v_readfirstlane_b32 s30, v1
	s_mul_i32 s29, s29, s30
	s_mul_hi_u32 s29, s30, s29
	s_add_i32 s30, s30, s29
	s_mul_hi_u32 s29, s34, s30
	s_mul_i32 s30, s29, s3
	s_ashr_i32 s28, s18, 31
	s_sub_i32 s30, s34, s30
	s_xor_b32 s28, s35, s28
	s_add_i32 s31, s29, 1
	s_sub_i32 s34, s30, s3
	s_cmp_ge_u32 s30, s3
	s_cselect_b32 s29, s31, s29
	s_cselect_b32 s30, s34, s30
	s_add_i32 s31, s29, 1
	s_cmp_ge_u32 s30, s3
	s_cselect_b32 s3, s31, s29
	s_xor_b32 s3, s3, s28
	s_sub_i32 s3, s3, s28
	s_abs_i32 s28, s3
	v_cvt_f32_u32_e32 v1, s28
	s_sub_i32 s27, 0, s28
	s_abs_i32 s26, s33
	s_xor_b32 s3, s33, s3
	v_rcp_iflag_f32_e32 v1, v1
	s_ashr_i32 s3, s3, 31
	s_load_dwordx2 s[34:35], s[0:1], 0x80
	s_mul_hi_i32 s50, s33, s16
	v_mul_f32_e32 v1, 0x4f7ffffe, v1
	v_cvt_u32_f32_e32 v1, v1
	s_mul_i32 s51, s33, s16
	v_lshrrev_b32_e32 v66, 3, v62
	v_lshlrev_b32_e32 v65, 3, v0
	v_readfirstlane_b32 s29, v1
	s_mul_i32 s27, s27, s29
	s_mul_hi_u32 s27, s29, s27
	s_add_i32 s29, s29, s27
	s_mul_hi_u32 s27, s26, s29
	s_mul_i32 s29, s27, s28
	s_sub_i32 s26, s26, s29
	s_add_i32 s29, s27, 1
	s_sub_i32 s30, s26, s28
	s_cmp_ge_u32 s26, s28
	s_cselect_b32 s27, s29, s27
	s_cselect_b32 s26, s30, s26
	s_add_i32 s29, s27, 1
	s_cmp_ge_u32 s26, s28
	s_cselect_b32 s26, s29, s27
	s_xor_b32 s26, s26, s3
	v_lshlrev_b32_e32 v1, 4, v63
	s_sub_i32 s52, s26, s3
	v_or_b32_e32 v67, v2, v1
	s_lshl_b32 s36, s2, 5
	v_or_b32_e32 v68, 64, v67
	s_cmp_lt_i32 s49, 64
	s_mul_i32 s44, s24, s21
	s_mul_hi_u32 s45, s24, s20
	s_mul_i32 s46, s25, s20
	s_mul_i32 s20, s24, s20
	v_mov_b32_e32 v86, 0
	v_mov_b32_e32 v84, 0
	;; [unrolled: 1-line block ×15, first 2 shown]
	s_cbranch_scc1 .LBB279_18
; %bb.1:
	s_ashr_i32 s55, s33, 31
	s_ashr_i32 s3, s38, 31
	s_add_u32 s2, s51, s38
	s_addc_u32 s3, s50, s3
	s_lshl_b64 s[2:3], s[2:3], 8
	v_and_b32_e32 v70, 56, v65
	s_add_u32 s24, s6, s2
	v_lshl_or_b32 v69, v63, 3, v66
	v_lshlrev_b32_e32 v3, 1, v70
	s_addc_u32 s2, s7, s3
	v_lshl_or_b32 v71, v69, 8, v3
	s_and_b32 s25, s2, 0xffff
	s_mov_b32 s27, 0x20000
	s_movk_i32 s26, 0x4000
	s_movk_i32 s2, 0x80
	v_or_b32_e32 v72, 0x2000, v71
	buffer_load_dwordx4 v[4:7], v71, s[24:27], 0 offen
	buffer_load_dwordx4 v[8:11], v71, s[24:27], s2 offen
	buffer_load_dwordx4 v[12:15], v72, s[24:27], 0 offen
	buffer_load_dwordx4 v[16:19], v72, s[24:27], s2 offen
	v_lshlrev_b32_e32 v20, 3, v69
	v_and_or_b32 v22, v0, 7, v20
	v_and_b32_e32 v20, 0x78, v20
	v_lshlrev_b32_e32 v22, 4, v22
	v_xor_b32_e32 v73, v22, v20
	v_mul_lo_u32 v21, v69, s19
	v_or_b32_e32 v74, 0x1000, v73
	s_cmpk_eq_i32 s19, 0x80
	s_mov_b32 s53, s17
	s_mov_b32 s54, s38
	v_xor_b32_e32 v20, 8, v73
	v_xor_b32_e32 v22, 8, v74
	s_cselect_b64 s[2:3], -1, 0
	s_cmpk_lg_i32 s19, 0x80
	s_waitcnt vmcnt(3)
	ds_write_b64 v73, v[4:5] offset:24576
	ds_write_b64 v20, v[6:7] offset:24576
	s_waitcnt vmcnt(2)
	ds_write_b64 v73, v[8:9] offset:32768
	ds_write_b64 v20, v[10:11] offset:32768
	;; [unrolled: 3-line block ×4, first 2 shown]
	v_lshl_add_u32 v4, v21, 1, v70
	s_cbranch_scc0 .LBB279_3
; %bb.2:
	v_lshlrev_b32_e32 v6, 1, v4
	v_add_lshl_u32 v5, v4, s19, 1
	s_lshl_b32 s26, s19, 7
	s_load_dwordx2 s[40:41], s[0:1], 0x20
	v_lshl_or_b32 v3, v69, 9, v3
	s_cbranch_execz .LBB279_4
	s_branch .LBB279_5
.LBB279_3:
                                        ; implicit-def: $vgpr5
                                        ; implicit-def: $vgpr6
                                        ; implicit-def: $sgpr26
	s_load_dwordx2 s[40:41], s[0:1], 0x20
	v_lshl_or_b32 v3, v69, 9, v3
.LBB279_4:
	v_or_b32_e32 v5, 0x100, v3
	s_movk_i32 s26, 0x4000
	v_mov_b32_e32 v6, v3
.LBB279_5:
	s_mul_i32 s0, s38, s18
	s_ashr_i32 s56, s52, 31
	s_mul_hi_i32 s1, s38, s18
	s_add_u32 s0, s0, s52
	s_addc_u32 s1, s1, s56
	s_lshl_b64 s[0:1], s[0:1], 8
	s_add_u32 s24, s4, s0
	s_addc_u32 s0, s5, s1
	s_and_b32 s25, s0, 0xffff
	s_movk_i32 s57, 0x80
	buffer_load_dwordx4 v[8:11], v6, s[24:27], 0 offen
	buffer_load_dwordx4 v[12:15], v6, s[24:27], s57 offen
	;; [unrolled: 1-line block ×4, first 2 shown]
	v_and_b32_e32 v5, 6, v0
	v_lshlrev_b32_e32 v24, 6, v67
	v_or_b32_e32 v26, 16, v45
	v_xor_b32_e32 v27, v69, v5
	v_and_b32_e32 v6, 1, v0
	v_lshl_or_b32 v30, v45, 3, v24
	v_lshl_or_b32 v24, v26, 3, v24
	v_lshlrev_b32_e32 v27, 2, v27
	v_lshlrev_b32_e32 v7, 2, v45
	s_mul_i32 s0, s33, s23
	s_mul_hi_u32 s1, s33, s22
	v_or_b32_e32 v77, 0xa000, v24
	v_or_b32_e32 v78, 0xb000, v24
	v_xor_b32_e32 v24, 0x440, v27
	v_cmp_eq_u32_e32 vcc, 0, v6
	s_add_i32 s21, s45, s44
	s_mul_i32 s24, s55, s22
	v_xor_b32_e32 v28, v67, v7
	v_xor_b32_e32 v29, v68, v7
	v_cndmask_b32_e32 v6, v24, v27, vcc
	s_add_i32 s0, s1, s0
	s_add_i32 s21, s21, s46
	s_mov_b32 s58, 0x1000504
	v_lshlrev_b32_e32 v25, 8, v45
	v_lshlrev_b32_e32 v26, 8, v26
	;; [unrolled: 1-line block ×4, first 2 shown]
	v_lshl_or_b32 v5, v5, 10, v6
	s_add_i32 s1, s0, s24
	s_lshl_b64 s[24:25], s[20:21], 2
	s_mov_b32 s59, 0x3020706
	v_or_b32_e32 v75, 0xa000, v30
	v_or_b32_e32 v76, 0xb000, v30
	;; [unrolled: 1-line block ×5, first 2 shown]
	v_xor_b32_e32 v6, 8, v5
	v_xor_b32_e32 v25, 24, v5
	;; [unrolled: 1-line block ×4, first 2 shown]
	s_mul_i32 s0, s33, s22
	s_add_u32 s21, s10, s24
	v_or_b32_e32 v81, v26, v28
	v_xor_b32_e32 v24, 16, v5
	v_xor_b32_e32 v26, 32, v5
	;; [unrolled: 1-line block ×3, first 2 shown]
	v_add_u32_e32 v6, 0x80, v6
	v_add_u32_e32 v25, 0x80, v25
	;; [unrolled: 1-line block ×4, first 2 shown]
	s_addc_u32 s24, s11, s25
	s_lshl_b64 s[0:1], s[0:1], 2
	s_add_u32 s42, s21, s0
	s_movk_i32 s0, 0xf8
	s_addc_u32 s43, s24, s1
	s_ashr_i32 s37, s36, 31
	s_lshl_b32 s30, s19, 7
	s_movk_i32 s24, 0x100
	v_mov_b32_e32 v51, 0
	v_lshlrev_b32_e32 v50, 4, v45
	v_cmp_gt_u32_e32 vcc, s24, v0
	s_mov_b32 s60, 0
	s_movk_i32 s21, 0x1000
	s_movk_i32 s26, 0x4000
	v_add_u32_e32 v102, v1, v2
	v_mov_b32_e32 v52, v51
	v_mov_b32_e32 v53, v51
	;; [unrolled: 1-line block ×13, first 2 shown]
	s_waitcnt vmcnt(1)
	v_perm_b32 v30, v8, v16, s58
	s_waitcnt vmcnt(0)
	v_perm_b32 v31, v12, v20, s58
	v_perm_b32 v8, v8, v16, s59
	;; [unrolled: 1-line block ×15, first 2 shown]
	ds_write2st64_b32 v5, v30, v31 offset0:32 offset1:64
	ds_write2st64_b32 v6, v8, v12 offset0:32 offset1:64
	;; [unrolled: 1-line block ×8, first 2 shown]
	v_or_b32_e32 v5, v1, v45
	v_lshlrev_b32_e32 v5, 3, v5
	v_lshrrev_b32_e32 v8, 5, v62
	v_and_or_b32 v8, v5, s0, v8
	v_lshrrev_b32_e32 v6, 2, v62
	v_lshlrev_b32_e32 v11, 11, v63
	v_lshlrev_b32_e32 v8, 4, v8
	v_and_b32_e32 v5, 0x78, v5
	v_and_b32_e32 v9, 12, v6
	;; [unrolled: 1-line block ×3, first 2 shown]
	v_xor_b32_e32 v10, v8, v5
	v_lshrrev_b32_e32 v12, 1, v62
	v_or_b32_e32 v10, v10, v6
	v_and_b32_e32 v12, 8, v12
	v_xor_b32_e32 v83, v10, v12
	v_or_b32_e32 v10, 32, v8
	v_xor_b32_e32 v10, v10, v5
	v_or_b32_e32 v10, v10, v6
	v_xor_b32_e32 v91, v10, v12
	v_or_b32_e32 v10, 64, v8
	v_or_b32_e32 v8, 0x60, v8
	v_xor_b32_e32 v10, v10, v5
	v_xor_b32_e32 v5, v8, v5
	s_lshl_b64 s[0:1], s[36:37], 8
	v_or_b32_e32 v10, v10, v6
	v_or_b32_e32 v5, v5, v6
	v_lshlrev_b32_e32 v14, 1, v4
	v_add_lshl_u32 v15, v4, s19, 1
	s_add_u32 s0, s12, s0
	v_lshlrev_b32_e32 v4, 1, v45
	v_xor_b32_e32 v93, v10, v12
	v_xor_b32_e32 v94, v5, v12
	v_lshrrev_b32_e32 v10, 4, v0
	s_addc_u32 s1, s13, s1
	v_or_b32_e32 v5, 1, v4
	v_mov_b32_e32 v20, 0x4000
	v_mov_b32_e32 v21, 0x2000
	v_lshrrev_b32_e32 v22, 1, v0
	v_xor_b32_e32 v12, v10, v4
	v_xor_b32_e32 v17, v5, v10
	v_lshl_add_u64 v[4:5], s[0:1], 0, v[50:51]
	v_lshlrev_b32_e32 v50, 8, v10
	v_cndmask_b32_e32 v20, v20, v21, vcc
	v_lshlrev_b32_e32 v21, 3, v63
	v_and_b32_e32 v22, 24, v22
	v_lshl_or_b32 v97, v12, 3, v50
	v_and_b32_e32 v12, 8, v0
	v_xor_b32_e32 v23, v21, v22
	v_or_b32_e32 v24, 0x440, v23
	v_cmp_eq_u32_e32 vcc, 0, v12
	v_and_b32_e32 v10, 7, v0
	v_lshlrev_b32_e32 v13, 7, v64
	v_cndmask_b32_e32 v12, v24, v23, vcc
	v_lshl_or_b32 v98, v17, 3, v50
	v_lshlrev_b32_e32 v17, 3, v10
	v_lshlrev_b32_e32 v19, 2, v0
	v_or_b32_e32 v12, v12, v11
	v_or_b32_e32 v7, v13, v7
	v_xor_b32_e32 v23, v12, v17
	v_and_or_b32 v12, v19, 60, v13
	v_mov_b32_e32 v13, 0xb000
	v_lshl_or_b32 v99, v12, 1, v13
	v_or_b32_e32 v12, 32, v22
	v_xor_b32_e32 v12, v21, v12
	v_or_b32_e32 v13, 0x440, v12
	v_cndmask_b32_e32 v12, v13, v12, vcc
	v_or_b32_e32 v12, v12, v11
	v_xor_b32_e32 v13, v12, v17
	v_or_b32_e32 v12, 64, v22
	v_xor_b32_e32 v12, v21, v12
	v_xor_b32_e32 v25, 0x440, v12
	v_cndmask_b32_e32 v12, v25, v12, vcc
	v_or_b32_e32 v12, v12, v11
	v_xor_b32_e32 v25, v12, v17
	v_or_b32_e32 v12, 0x60, v22
	v_xor_b32_e32 v12, v21, v12
	v_xor_b32_e32 v21, 0x440, v12
	v_cndmask_b32_e32 v12, v21, v12, vcc
	v_lshlrev_b32_e32 v7, 1, v7
	v_or_b32_e32 v6, s36, v45
	v_or_b32_e32 v11, v12, v11
	;; [unrolled: 1-line block ×6, first 2 shown]
	v_ashrrev_i32_e32 v7, 31, v6
	v_xor_b32_e32 v11, v11, v17
	v_lshlrev_b32_e32 v8, 7, v67
	v_or_b32_e32 v16, 0x100, v3
	v_lshlrev_b32_e32 v18, 7, v10
	v_or_b32_e32 v10, v9, v1
	v_add_u32_e32 v24, v20, v23
	v_add_u32_e32 v19, v20, v13
	v_add_u32_e32 v26, v20, v25
	v_add_u32_e32 v17, v20, v11
	v_or3_b32 v12, v1, v9, 64
	v_add_u32_e32 v9, 0x4000, v23
	v_add_u32_e32 v13, 0x4000, v13
	v_add_u32_e32 v20, 0x4000, v25
	v_add_u32_e32 v11, 0x4000, v11
	v_lshlrev_b64 v[6:7], 1, v[6:7]
	v_cndmask_b32_e64 v100, v14, v3, s[2:3]
	v_cndmask_b32_e64 v101, v15, v16, s[2:3]
	v_lshl_add_u64 v[56:57], s[8:9], 0, v[6:7]
	v_lshl_add_u64 v[58:59], s[14:15], 0, v[6:7]
	;; [unrolled: 1-line block ×3, first 2 shown]
	s_mov_b32 s37, 0x7060302
	v_lshlrev_b32_e32 v50, 1, v8
	v_lshlrev_b32_e32 v103, 2, v10
	v_add_u32_e32 v104, v24, v18
	v_add_u32_e32 v105, v19, v18
	v_add_u32_e32 v106, v26, v18
	v_add_u32_e32 v107, v17, v18
	v_lshlrev_b32_e32 v108, 2, v12
	v_add_u32_e32 v109, v9, v18
	v_add_u32_e32 v110, v13, v18
	;; [unrolled: 1-line block ×4, first 2 shown]
	v_mov_b32_e32 v84, v51
	v_mov_b32_e32 v86, v51
	;; [unrolled: 1-line block ×3, first 2 shown]
	s_waitcnt lgkmcnt(0)
	s_barrier
.LBB279_6:                              ; =>This Inner Loop Header: Depth=1
	s_add_i32 s61, s60, 1
	s_cmp_lt_i32 s61, s47
	s_mov_b64 s[28:29], 0
	s_cselect_b64 s[2:3], -1, 0
	s_cmp_ge_i32 s61, s47
	s_mov_b64 s[24:25], 0
	s_cbranch_scc1 .LBB279_8
; %bb.7:                                ;   in Loop: Header=BB279_6 Depth=1
	s_add_i32 s0, s54, 64
	s_ashr_i32 s1, s0, 31
	s_add_u32 s0, s51, s0
	s_addc_u32 s1, s50, s1
	s_lshl_b64 s[0:1], s[0:1], 8
	s_add_u32 s24, s6, s0
	s_addc_u32 s25, s7, s1
.LBB279_8:                              ;   in Loop: Header=BB279_6 Depth=1
	v_cndmask_b32_e64 v2, 0, 1, s[2:3]
	v_cmp_ne_u32_e64 s[0:1], 1, v2
	s_andn2_b64 vcc, exec, s[2:3]
	s_cbranch_vccnz .LBB279_10
; %bb.9:                                ;   in Loop: Header=BB279_6 Depth=1
	s_add_i32 s2, s54, 64
	s_mul_hi_i32 s3, s2, s18
	s_mul_i32 s2, s2, s18
	s_add_u32 s2, s2, s52
	s_addc_u32 s3, s3, s56
	s_lshl_b64 s[2:3], s[2:3], 8
	s_add_u32 s28, s4, s2
	s_addc_u32 s29, s5, s3
.LBB279_10:                             ;   in Loop: Header=BB279_6 Depth=1
	v_perm_b32 v3, v55, v54, s37
	v_perm_b32 v2, v53, v52, s37
	;; [unrolled: 1-line block ×4, first 2 shown]
	ds_write_b64 v75, v[2:3]
	ds_write_b64 v76, v[4:5]
	;; [unrolled: 1-line block ×4, first 2 shown]
	v_perm_b32 v3, v114, v90, s37
	v_perm_b32 v2, v88, v89, s37
	;; [unrolled: 1-line block ×4, first 2 shown]
	ds_write_b64 v77, v[2:3]
	ds_write_b64 v78, v[4:5]
	;; [unrolled: 1-line block ×4, first 2 shown]
	s_waitcnt lgkmcnt(0)
	s_barrier
	ds_read_b64 v[6:7], v83 offset:24576
	ds_read2_b64 v[2:5], v87 offset1:16
	ds_read_b64 v[10:11], v92 offset:3072
	ds_read_b64 v[12:13], v87 offset:3072
	;; [unrolled: 1-line block ×3, first 2 shown]
	s_waitcnt lgkmcnt(3)
	v_mfma_f32_16x16x16_bf16 a[0:3], v[6:7], v[2:3], 0
	s_add_i32 s62, s54, 63
	s_ashr_i32 s2, s62, 31
	s_mul_i32 s3, s62, s35
	v_mfma_f32_16x16x16_bf16 a[4:7], v[6:7], v[4:5], 0
	ds_read2st64_b64 v[2:5], v87 offset0:2 offset1:4
	s_mul_hi_u32 s31, s62, s34
	s_add_i32 s3, s31, s3
	s_waitcnt lgkmcnt(0)
	v_mfma_f32_16x16x16_bf16 a[0:3], v[14:15], v[2:3], a[0:3]
	ds_read2st64_b64 v[6:9], v92 offset0:2 offset1:4
	ds_read_b64 v[2:3], v93 offset:24576
	s_mul_i32 s2, s2, s34
	s_add_i32 s3, s3, s2
	s_waitcnt lgkmcnt(1)
	v_mfma_f32_16x16x16_bf16 a[4:7], v[14:15], v[6:7], a[4:7]
	ds_read_b64 v[6:7], v94 offset:24576
	s_mul_i32 s2, s62, s34
	s_lshl_b64 s[2:3], s[2:3], 2
	s_waitcnt lgkmcnt(1)
	v_mfma_f32_16x16x16_bf16 a[0:3], v[2:3], v[4:5], a[0:3]
	s_add_u32 s2, s42, s2
	s_addc_u32 s3, s43, s3
	s_and_b64 vcc, exec, s[0:1]
	v_mfma_f32_16x16x16_bf16 a[8:11], v[2:3], v[8:9], a[4:7]
	v_mov_b32_e32 v117, 0
	v_mov_b32_e32 v116, 0
	v_mov_b32_e32 v115, 0
	s_waitcnt lgkmcnt(0)
	v_mfma_f32_16x16x16_bf16 a[4:7], v[6:7], v[12:13], a[0:3]
	v_mov_b32_e32 v2, 0
	v_mov_b32_e32 v3, 0
	;; [unrolled: 1-line block ×3, first 2 shown]
	v_mfma_f32_16x16x16_bf16 a[0:3], v[6:7], v[10:11], a[8:11]
	v_mov_b32_e32 v5, 0
	v_mov_b32_e32 v6, 0
	;; [unrolled: 1-line block ×13, first 2 shown]
	s_cbranch_vccnz .LBB279_12
; %bb.11:                               ;   in Loop: Header=BB279_6 Depth=1
	s_and_b32 s25, s25, 0xffff
	buffer_load_dwordx4 v[14:17], v71, s[24:27], 0 offen
	buffer_load_dwordx4 v[10:13], v71, s[24:27], s57 offen
	;; [unrolled: 1-line block ×4, first 2 shown]
	v_mov_b32_e32 v116, v73
	v_mov_b32_e32 v115, v74
.LBB279_12:                             ;   in Loop: Header=BB279_6 Depth=1
	ds_read_b64 v[26:27], v83 offset:32768
	ds_read2_b64 v[18:21], v95 offset1:16
	ds_read_b64 v[28:29], v91 offset:32768
	ds_read_b64 v[30:31], v93 offset:32768
	;; [unrolled: 1-line block ×3, first 2 shown]
	ds_read2st64_b64 v[22:25], v95 offset0:2 offset1:4
	v_add_u32_e32 v34, s54, v102
	s_waitcnt lgkmcnt(4)
	v_mfma_f32_16x16x16_bf16 a[4:7], v[26:27], v[18:19], a[4:7]
	v_ashrrev_i32_e32 v18, 31, v34
	v_mov_b32_e32 v118, 0
	v_mfma_f32_16x16x16_bf16 a[0:3], v[26:27], v[20:21], a[0:3]
	v_mul_lo_u32 v20, v34, s35
	v_mul_lo_u32 v21, v18, s34
	v_mad_u64_u32 v[18:19], s[24:25], v34, s34, 0
	v_add3_u32 v19, v19, v20, v21
	v_add_u32_e32 v20, 1, v34
	v_ashrrev_i32_e32 v21, 31, v20
	s_waitcnt lgkmcnt(0)
	v_mfma_f32_16x16x16_bf16 a[4:7], v[28:29], v[22:23], a[4:7]
	v_mul_lo_u32 v22, v21, s34
	v_mul_lo_u32 v23, v20, s35
	v_mad_u64_u32 v[20:21], s[24:25], v20, s34, 0
	v_add3_u32 v21, v21, v23, v22
	v_add_u32_e32 v22, 2, v34
	v_ashrrev_i32_e32 v23, 31, v22
	v_mul_lo_u32 v26, v23, s34
	v_mul_lo_u32 v27, v22, s35
	v_mad_u64_u32 v[22:23], s[24:25], v22, s34, 0
	v_add3_u32 v23, v23, v27, v26
	v_add_u32_e32 v26, 3, v34
	v_ashrrev_i32_e32 v27, 31, v26
	v_mul_lo_u32 v34, v27, s34
	v_mul_lo_u32 v35, v26, s35
	v_mad_u64_u32 v[26:27], s[24:25], v26, s34, 0
	s_ashr_i32 s25, s54, 31
	v_add3_u32 v27, v27, v35, v34
	s_add_u32 s24, s51, s54
	v_lshl_add_u64 v[18:19], v[18:19], 2, s[42:43]
	v_lshl_add_u64 v[26:27], v[26:27], 2, s[42:43]
	s_addc_u32 s25, s50, s25
	v_lshl_add_u64 v[20:21], v[20:21], 2, s[42:43]
	v_lshl_add_u64 v[22:23], v[22:23], 2, s[42:43]
	global_load_dword v34, v[18:19], off
	global_load_dword v35, v[20:21], off
	;; [unrolled: 1-line block ×3, first 2 shown]
	s_nop 0
	global_load_dword v27, v[26:27], off
	s_lshl_b64 s[24:25], s[24:25], 8
	v_lshl_add_u64 v[18:19], v[56:57], 0, s[24:25]
	v_lshl_add_u64 v[22:23], v[18:19], 0, v[50:51]
	global_load_ushort v37, v[22:23], off offset:256
	global_load_ushort v38, v[22:23], off
	global_load_ushort v39, v[22:23], off offset:768
	global_load_ushort v40, v[22:23], off offset:512
	ds_read2st64_b64 v[18:21], v96 offset0:2 offset1:4
	global_load_ushort v41, v[22:23], off offset:800
	global_load_ushort v42, v[22:23], off offset:544
	;; [unrolled: 1-line block ×4, first 2 shown]
	s_waitcnt lgkmcnt(0)
	v_mfma_f32_16x16x16_bf16 a[0:3], v[28:29], v[18:19], a[0:3]
	s_and_b64 vcc, exec, s[0:1]
	s_waitcnt vmcnt(7)
	v_lshlrev_b32_e32 v29, 16, v37
	v_mfma_f32_16x16x16_bf16 a[4:7], v[30:31], v[24:25], a[4:7]
	s_waitcnt vmcnt(6)
	v_lshlrev_b32_e32 v28, 16, v38
	v_mfma_f32_16x16x16_bf16 a[0:3], v[30:31], v[20:21], a[0:3]
	ds_read_b64 v[18:19], v95 offset:3072
	ds_read_b64 v[20:21], v96 offset:3072
	s_load_dword s2, s[2:3], 0x0
	s_waitcnt vmcnt(5)
	v_lshlrev_b32_e32 v31, 16, v39
	s_waitcnt lgkmcnt(0)
	v_mfma_f32_16x16x16_bf16 a[4:7], v[32:33], v[18:19], a[4:7]
	v_lshl_add_u64 v[18:19], v[58:59], 0, s[24:25]
	v_sub_f32_e32 v26, s2, v34
	v_sub_f32_e32 v30, s2, v35
	v_mfma_f32_16x16x16_bf16 a[0:3], v[32:33], v[20:21], a[0:3]
	v_sub_f32_e32 v32, s2, v36
	v_sub_f32_e32 v33, s2, v27
	v_exp_f32_e32 v26, v26
	v_exp_f32_e32 v27, v30
	;; [unrolled: 1-line block ×4, first 2 shown]
	v_accvgpr_read_b32 v25, a5
	v_accvgpr_read_b32 v21, a7
	;; [unrolled: 1-line block ×4, first 2 shown]
	s_waitcnt vmcnt(4)
	v_lshlrev_b32_e32 v30, 16, v40
	v_lshl_add_u64 v[18:19], v[18:19], 0, v[50:51]
	v_pk_add_f32 v[24:25], v[28:29], v[24:25] neg_lo:[0,1] neg_hi:[0,1]
	v_pk_add_f32 v[20:21], v[30:31], v[20:21] neg_lo:[0,1] neg_hi:[0,1]
	global_store_short_d16_hi v[18:19], v24, off
	global_store_short_d16_hi v[18:19], v25, off offset:256
	global_store_short_d16_hi v[18:19], v20, off offset:512
	global_store_short_d16_hi v[18:19], v21, off offset:768
	v_pk_mul_f32 v[24:25], v[26:27], v[24:25]
	v_pk_mul_f32 v[20:21], v[32:33], v[20:21]
	v_accvgpr_read_b32 v29, a1
	v_perm_b32 v24, v25, v24, s37
	v_perm_b32 v25, v21, v20, s37
	s_waitcnt vmcnt(5)
	v_lshlrev_b32_e32 v21, 16, v43
	s_waitcnt vmcnt(4)
	v_lshlrev_b32_e32 v20, 16, v44
	v_accvgpr_read_b32 v28, a0
	v_accvgpr_read_b32 v23, a3
	;; [unrolled: 1-line block ×3, first 2 shown]
	v_pk_add_f32 v[20:21], v[20:21], v[28:29] neg_lo:[0,1] neg_hi:[0,1]
	v_lshlrev_b32_e32 v29, 16, v41
	v_lshlrev_b32_e32 v28, 16, v42
	v_pk_add_f32 v[22:23], v[28:29], v[22:23] neg_lo:[0,1] neg_hi:[0,1]
	global_store_short_d16_hi v[18:19], v20, off offset:32
	global_store_short_d16_hi v[18:19], v21, off offset:288
	;; [unrolled: 1-line block ×4, first 2 shown]
	v_pk_mul_f32 v[18:19], v[26:27], v[20:21]
	v_pk_mul_f32 v[20:21], v[32:33], v[22:23]
	v_mov_b32_e32 v22, 0
	v_perm_b32 v21, v21, v20, s37
	v_perm_b32 v20, v19, v18, s37
	ds_write2_b64 v76, v[24:25], v[20:21] offset1:16
	v_mov_b32_e32 v18, 0
	v_mov_b32_e32 v19, 0
	;; [unrolled: 1-line block ×15, first 2 shown]
	s_cbranch_vccnz .LBB279_14
; %bb.13:                               ;   in Loop: Header=BB279_6 Depth=1
	s_and_b32 s29, s29, 0xffff
	s_mov_b32 s31, s27
	buffer_load_dwordx4 v[30:33], v100, s[28:31], 0 offen
	buffer_load_dwordx4 v[22:25], v100, s[28:31], s57 offen
	;; [unrolled: 1-line block ×4, first 2 shown]
	v_mov_b32_e32 v117, v70
	v_mov_b32_e32 v118, v69
.LBB279_14:                             ;   in Loop: Header=BB279_6 Depth=1
	s_waitcnt lgkmcnt(0)
	s_barrier
	ds_read_b64 v[38:39], v104
	ds_read_b64 v[124:125], v99
	ds_read_b64 v[126:127], v105
	ds_read_b64 v[128:129], v106
	ds_read_b64 v[136:137], v107
	ds_read_b64 v[138:139], v96 offset:3072
	ds_read2_b64 v[34:37], v95 offset0:16 offset1:128
	s_waitcnt lgkmcnt(5)
	v_mfma_f32_16x16x16_bf16 a[0:3], v[38:39], v[124:125], 0
	s_add_i32 s3, s48, s60
	s_mul_hi_i32 s25, s3, s53
	s_mul_i32 s3, s3, s53
	s_waitcnt lgkmcnt(0)
	v_mfma_f32_16x16x16_bf16 a[4:7], v[38:39], v[34:35], 0
	ds_read_b64 v[38:39], v109
	ds_read2st64_b64 v[40:43], v96 offset0:2 offset1:4
	s_add_u32 s24, s3, s33
	s_addc_u32 s25, s25, s55
	s_lshl_b64 s[24:25], s[24:25], 15
	s_mul_i32 s28, s62, s53
	s_mul_hi_i32 s3, s62, s53
	s_add_u32 s28, s28, s33
	s_waitcnt lgkmcnt(1)
	v_mfma_f32_16x16x16_bf16 a[8:11], v[38:39], v[124:125], 0
	s_addc_u32 s29, s3, s55
	ds_read2st64_b64 v[120:123], v95 offset0:4 offset1:6
	s_lshl_b64 s[28:29], s[28:29], 9
	v_mfma_f32_16x16x16_bf16 a[0:3], v[126:127], v[36:37], a[0:3]
	s_add_u32 s28, s40, s28
	s_addc_u32 s29, s41, s29
	s_waitcnt lgkmcnt(1)
	v_mfma_f32_16x16x16_bf16 a[4:7], v[126:127], v[40:41], a[4:7]
	ds_read_b64 v[126:127], v110
	ds_read_b64 v[134:135], v111
	;; [unrolled: 1-line block ×3, first 2 shown]
	v_mfma_f32_16x16x16_bf16 a[12:15], v[38:39], v[34:35], 0
	s_waitcnt lgkmcnt(2)
	v_mfma_f32_16x16x16_bf16 a[8:11], v[126:127], v[36:37], a[8:11]
	global_load_dwordx4 v[34:37], v108, s[28:29]
	v_mfma_f32_16x16x16_bf16 a[12:15], v[126:127], v[40:41], a[12:15]
	global_load_dwordx4 v[38:41], v103, s[28:29]
	ds_read2st64_b64 v[124:127], v97 offset1:8
	s_waitcnt lgkmcnt(0)
	v_mov_b32_e32 v132, v124
	v_mfma_f32_16x16x16_bf16 a[0:3], v[128:129], v[120:121], a[0:3]
	v_mov_b32_e32 v133, v125
	v_mfma_f32_16x16x16_bf16 a[4:7], v[128:129], v[42:43], a[4:7]
	ds_read2st64_b64 v[128:131], v98 offset1:8
	v_mfma_f32_16x16x16_bf16 a[8:11], v[134:135], v[120:121], a[8:11]
	v_lshl_add_u64 v[120:121], v[60:61], 0, s[24:25]
	v_mfma_f32_16x16x16_bf16 a[16:19], v[134:135], v[42:43], a[12:15]
	v_add_co_u32_e32 v42, vcc, s21, v120
	s_waitcnt lgkmcnt(0)
	v_mov_b32_e32 v134, v128
	v_mfma_f32_16x16x16_bf16 a[0:3], v[136:137], v[122:123], a[0:3]
	v_mov_b32_e32 v135, v129
	v_mov_b32_e32 v128, v126
	;; [unrolled: 1-line block ×3, first 2 shown]
	v_mfma_f32_16x16x16_bf16 a[4:7], v[136:137], v[138:139], a[4:7]
	v_addc_co_u32_e32 v43, vcc, 0, v121, vcc
	global_store_dwordx4 v[42:43], v[128:131], off
	v_mfma_f32_16x16x16_bf16 a[12:15], v[140:141], v[122:123], a[8:11]
	s_and_b64 vcc, exec, s[0:1]
	global_store_dwordx4 v[120:121], v[132:135], off
	s_waitcnt vmcnt(3)
	v_mov_b32_e32 v44, v37
	v_mfma_f32_16x16x16_bf16 a[8:11], v[140:141], v[138:139], a[16:19]
	v_mov_b32_e32 v43, v36
	v_mov_b32_e32 v42, v35
	s_cbranch_vccnz .LBB279_16
; %bb.15:                               ;   in Loop: Header=BB279_6 Depth=1
	v_lshrrev_b32_e32 v35, 3, v117
	v_and_b32_e32 v35, 6, v35
	v_xor_b32_e32 v36, v35, v118
	v_lshlrev_b32_e32 v36, 2, v36
	v_and_b32_e32 v37, 8, v117
	v_xor_b32_e32 v117, 0x440, v36
	v_cmp_eq_u32_e32 vcc, 0, v37
	v_perm_b32 v37, v22, v18, s58
	s_nop 0
	v_cndmask_b32_e32 v36, v117, v36, vcc
	v_lshl_or_b32 v35, v35, 10, v36
	v_perm_b32 v36, v30, v26, s58
	s_barrier
	ds_write2st64_b32 v35, v36, v37 offset0:32 offset1:64
	v_xor_b32_e32 v36, 8, v35
	v_perm_b32 v26, v30, v26, s59
	v_perm_b32 v18, v22, v18, s59
	v_add_u32_e32 v22, 0x80, v36
	ds_write2st64_b32 v22, v26, v18 offset0:32 offset1:64
	v_xor_b32_e32 v18, 16, v35
	v_perm_b32 v22, v31, v27, s58
	v_perm_b32 v26, v23, v19, s58
	ds_write2st64_b32 v18, v22, v26 offset0:33 offset1:65
	v_xor_b32_e32 v18, 24, v35
	v_perm_b32 v22, v31, v27, s59
	v_perm_b32 v19, v23, v19, s59
	v_add_u32_e32 v18, 0x80, v18
	ds_write2st64_b32 v18, v22, v19 offset0:33 offset1:65
	v_xor_b32_e32 v18, 32, v35
	v_perm_b32 v19, v32, v28, s58
	v_perm_b32 v22, v24, v20, s58
	;; [unrolled: 9-line block ×3, first 2 shown]
	ds_write2st64_b32 v18, v19, v20 offset0:35 offset1:67
	v_xor_b32_e32 v18, 56, v35
	v_perm_b32 v19, v33, v29, s59
	v_perm_b32 v20, v25, v21, s59
	v_add_u32_e32 v18, 0x80, v18
	ds_write2st64_b32 v18, v19, v20 offset0:35 offset1:67
	ds_write_b64 v116, v[14:15] offset:24576
	v_xor_b32_e32 v14, 8, v116
	ds_write_b64 v14, v[16:17] offset:24576
	ds_write_b64 v116, v[10:11] offset:32768
	;; [unrolled: 1-line block ×4, first 2 shown]
	v_xor_b32_e32 v6, 8, v115
	ds_write_b64 v6, v[8:9] offset:24576
	ds_write_b64 v115, v[2:3] offset:32768
	;; [unrolled: 1-line block ×3, first 2 shown]
.LBB279_16:                             ;   in Loop: Header=BB279_6 Depth=1
	v_exp_f32_e32 v18, s2
	s_waitcnt vmcnt(2)
	v_exp_f32_e32 v20, v38
	v_exp_f32_e32 v21, v39
	v_exp_f32_e32 v22, v40
	v_exp_f32_e32 v23, v41
	v_accvgpr_read_b32 v13, a3
	v_accvgpr_read_b32 v11, a1
	;; [unrolled: 1-line block ×4, first 2 shown]
	v_pk_mul_f32 v[20:21], v[18:19], v[20:21] op_sel_hi:[0,1]
	v_accvgpr_read_b32 v12, a2
	v_accvgpr_read_b32 v7, a5
	;; [unrolled: 1-line block ×3, first 2 shown]
	v_pk_fma_f32 v[52:53], v[52:53], v[20:21], v[10:11]
	v_pk_mul_f32 v[10:11], v[18:19], v[22:23] op_sel_hi:[0,1]
	v_pk_fma_f32 v[54:55], v[54:55], v[10:11], v[12:13]
	v_fma_f32 v89, v89, v20, v6
	v_fma_f32 v88, v88, v21, v7
	v_exp_f32_e32 v6, v34
	v_exp_f32_e32 v7, v42
	;; [unrolled: 1-line block ×4, first 2 shown]
	v_accvgpr_read_b32 v8, a6
	v_accvgpr_read_b32 v17, a15
	;; [unrolled: 1-line block ×9, first 2 shown]
	v_fma_f32 v90, v90, v10, v8
	v_fmac_f32_e32 v9, v114, v11
	v_pk_mul_f32 v[6:7], v[18:19], v[6:7] op_sel_hi:[0,1]
	v_pk_mul_f32 v[10:11], v[18:19], v[12:13] op_sel_hi:[0,1]
	s_add_i32 s54, s54, 64
	v_pk_fma_f32 v[46:47], v[46:47], v[6:7], v[14:15]
	v_pk_fma_f32 v[48:49], v[48:49], v[10:11], v[16:17]
	v_fma_f32 v85, v85, v6, v2
	v_fma_f32 v84, v84, v7, v3
	;; [unrolled: 1-line block ×3, first 2 shown]
	s_cmp_eq_u32 s47, s61
	v_fmac_f32_e32 v5, v113, v11
	s_cbranch_scc1 .LBB279_18
; %bb.17:                               ;   in Loop: Header=BB279_6 Depth=1
	s_mov_b32 s60, s61
	v_mov_b32_e32 v114, v9
	v_mov_b32_e32 v113, v5
	s_branch .LBB279_6
.LBB279_18:
	s_lshl_b32 s0, s47, 6
	s_sub_i32 s42, s49, s0
	s_cmp_gt_i32 s42, 0
	s_cbranch_scc0 .LBB279_83
; %bb.19:
	s_add_i32 s38, s0, s38
	s_ashr_i32 s2, s38, 31
	s_cmpk_lg_i32 s19, 0x80
	s_cselect_b64 s[30:31], -1, 0
	s_and_b64 vcc, exec, s[30:31]
	s_cbranch_vccz .LBB279_21
; %bb.20:
	s_mul_i32 s1, s38, s18
	s_ashr_i32 s3, s52, 31
	s_mul_hi_i32 s0, s38, s18
	s_add_u32 s40, s1, s52
	s_addc_u32 s41, s0, s3
	s_cbranch_execz .LBB279_22
	s_branch .LBB279_23
.LBB279_21:
                                        ; implicit-def: $sgpr40_sgpr41
.LBB279_22:
	s_mul_i32 s1, s52, s16
	s_mul_hi_i32 s0, s52, s16
	s_add_u32 s40, s1, s38
	s_addc_u32 s41, s0, s2
.LBB279_23:
	s_add_i32 s3, s47, s48
	s_ashr_i32 s16, s33, 31
	s_add_u32 s0, s51, s38
	v_lshlrev_b32_e32 v8, 5, v67
	v_lshlrev_b32_e32 v22, 2, v45
	s_addc_u32 s1, s50, s2
	s_mov_b32 s2, 0x7060302
	v_or_b32_e32 v11, v8, v22
	v_xor_b32_e32 v4, v67, v22
	v_perm_b32 v3, v55, v54, s2
	v_perm_b32 v2, v53, v52, s2
	;; [unrolled: 1-line block ×4, first 2 shown]
	v_lshlrev_b32_e32 v11, 1, v11
	s_lshl_b64 s[28:29], s[0:1], 8
	v_xor_b32_e32 v10, v68, v22
	ds_write2st64_b64 v11, v[2:3], v[6:7] offset0:80 offset1:88
	v_lshlrev_b32_e32 v11, 1, v4
	v_lshlrev_b32_e32 v4, 8, v45
	s_add_u32 s0, s6, s28
	v_or_b32_e32 v12, v11, v4
	v_lshlrev_b32_e32 v10, 1, v10
	s_addc_u32 s1, s7, s29
	ds_write_b64 v12, v[2:3]
	v_or_b32_e32 v2, v10, v4
	s_mul_hi_i32 s6, s3, s17
	s_mul_i32 s3, s3, s17
	ds_write_b64 v2, v[6:7]
	v_perm_b32 v3, v9, v90, s2
	v_perm_b32 v2, v88, v89, s2
	;; [unrolled: 1-line block ×4, first 2 shown]
	v_or_b32_e32 v6, 16, v45
	s_add_u32 s2, s3, s33
	v_lshlrev_b32_e32 v19, 2, v6
	s_addc_u32 s3, s6, s16
	v_or_b32_e32 v7, v8, v19
	s_ashr_i32 s37, s36, 31
	s_lshl_b64 s[2:3], s[2:3], 15
	v_lshlrev_b32_e32 v7, 1, v7
	v_lshlrev_b32_e32 v6, 8, v6
	s_add_u32 s6, s12, s2
	ds_write2st64_b64 v7, v[2:3], v[4:5] offset0:80 offset1:88
	v_or_b32_e32 v7, v11, v6
	s_addc_u32 s7, s13, s3
	s_lshl_b64 s[2:3], s[36:37], 8
	ds_write_b64 v7, v[2:3]
	v_or_b32_e32 v2, v10, v6
	s_add_u32 s2, s6, s2
	ds_write_b64 v2, v[4:5]
	v_lshrrev_b32_e32 v2, 4, v0
	s_addc_u32 s3, s7, s3
	v_lshlrev_b32_e32 v3, 1, v45
	v_lshlrev_b32_e32 v10, 4, v45
	v_mov_b32_e32 v11, 0
	v_or_b32_e32 v4, 1, v3
	v_xor_b32_e32 v3, v2, v3
	v_lshl_add_u64 v[12:13], s[2:3], 0, v[10:11]
	v_lshlrev_b32_e32 v10, 8, v2
	v_xor_b32_e32 v6, v4, v2
	v_lshl_or_b32 v2, v3, 3, v10
	s_waitcnt lgkmcnt(0)
	s_barrier
	ds_read2st64_b64 v[2:5], v2 offset1:8
	v_lshl_or_b32 v6, v6, 3, v10
	ds_read2st64_b64 v[6:9], v6 offset1:8
	v_lshl_add_u64 v[14:15], v[12:13], 0, v[10:11]
	s_movk_i32 s2, 0x1000
	s_waitcnt lgkmcnt(1)
	v_mov_b32_e32 v10, v2
	v_add_co_u32_e32 v2, vcc, s2, v14
	s_cmp_lg_u32 s42, 64
	v_mov_b32_e32 v11, v3
	v_addc_co_u32_e32 v3, vcc, 0, v15, vcc
	s_cselect_b64 s[6:7], -1, 0
	v_lshl_or_b32 v23, v63, 3, v66
	s_waitcnt lgkmcnt(0)
	v_mov_b32_e32 v12, v6
	v_mov_b32_e32 v13, v7
	;; [unrolled: 1-line block ×4, first 2 shown]
	s_mov_b32 s24, 0
	v_or_b32_e32 v20, 32, v23
	v_and_b32_e32 v18, 56, v65
	s_and_b64 vcc, exec, s[6:7]
	global_store_dwordx4 v[14:15], v[10:13], off
	global_store_dwordx4 v[2:3], v[6:9], off
	s_cbranch_vccz .LBB279_29
; %bb.24:
	s_mov_b32 s25, s24
	s_mov_b32 s26, s24
	;; [unrolled: 1-line block ×3, first 2 shown]
	v_mov_b64_e32 v[6:7], s[24:25]
	v_mov_b64_e32 v[8:9], s[26:27]
	;; [unrolled: 1-line block ×3, first 2 shown]
	v_cmp_gt_i32_e32 vcc, s42, v23
	v_mov_b64_e32 v[4:5], v[8:9]
	s_and_saveexec_b64 s[2:3], vcc
	s_cbranch_execz .LBB279_26
; %bb.25:
	v_lshlrev_b32_e32 v2, 8, v23
	v_mov_b32_e32 v3, 0
	v_lshl_add_u64 v[4:5], s[0:1], 0, v[2:3]
	v_lshlrev_b32_e32 v2, 1, v18
	v_lshl_add_u64 v[10:11], v[4:5], 0, v[2:3]
	global_load_dwordx4 v[6:9], v[10:11], off
	global_load_dwordx4 v[2:5], v[10:11], off offset:128
.LBB279_26:
	s_or_b64 exec, exec, s[2:3]
	s_mov_b32 s25, s24
	s_mov_b32 s26, s24
	;; [unrolled: 1-line block ×3, first 2 shown]
	v_mov_b64_e32 v[14:15], s[24:25]
	v_mov_b64_e32 v[16:17], s[26:27]
	;; [unrolled: 1-line block ×3, first 2 shown]
	v_cmp_gt_i32_e32 vcc, s42, v20
	v_lshlrev_b32_e32 v21, 7, v20
	v_mov_b64_e32 v[12:13], v[16:17]
	s_and_saveexec_b64 s[2:3], vcc
	s_cbranch_execz .LBB279_28
; %bb.27:
	v_lshlrev_b32_e32 v10, 1, v21
	v_mov_b32_e32 v11, 0
	v_lshl_add_u64 v[12:13], s[0:1], 0, v[10:11]
	v_lshlrev_b32_e32 v10, 1, v18
	v_lshl_add_u64 v[24:25], v[12:13], 0, v[10:11]
	global_load_dwordx4 v[14:17], v[24:25], off
	global_load_dwordx4 v[10:13], v[24:25], off offset:128
.LBB279_28:
	s_or_b64 exec, exec, s[2:3]
	v_lshrrev_b32_e32 v24, 3, v18
	v_lshlrev_b32_e32 v25, 3, v23
	v_or_b32_e32 v24, v25, v24
	v_lshlrev_b32_e32 v24, 4, v24
	v_and_b32_e32 v25, 0x78, v25
	v_xor_b32_e32 v24, v24, v25
	s_branch .LBB279_31
.LBB279_29:
                                        ; implicit-def: $vgpr24
                                        ; implicit-def: $vgpr21
                                        ; implicit-def: $vgpr6_vgpr7_vgpr8_vgpr9
                                        ; implicit-def: $vgpr2_vgpr3_vgpr4_vgpr5
                                        ; implicit-def: $vgpr14_vgpr15_vgpr16_vgpr17
                                        ; implicit-def: $vgpr10_vgpr11_vgpr12_vgpr13
	s_cbranch_execz .LBB279_31
; %bb.30:
	s_waitcnt vmcnt(0)
	v_lshlrev_b32_e32 v2, 1, v18
	v_lshl_or_b32 v21, v23, 8, v2
	s_and_b32 s1, s1, 0xffff
	s_mov_b32 s3, 0x20000
	s_movk_i32 s2, 0x4000
	v_lshl_or_b32 v24, v20, 8, v2
	s_movk_i32 s12, 0x80
	buffer_load_dwordx4 v[6:9], v21, s[0:3], 0 offen
	buffer_load_dwordx4 v[2:5], v21, s[0:3], s12 offen
	;; [unrolled: 1-line block ×4, first 2 shown]
	v_lshrrev_b32_e32 v21, 3, v18
	v_lshlrev_b32_e32 v24, 3, v23
	v_or_b32_e32 v21, v24, v21
	v_lshlrev_b32_e32 v21, 4, v21
	v_and_b32_e32 v24, 0x78, v24
	v_xor_b32_e32 v24, v21, v24
	v_lshlrev_b32_e32 v21, 7, v20
.LBB279_31:
	s_lshl_b64 s[0:1], s[40:41], 8
	s_add_u32 s4, s4, s0
	s_movk_i32 s0, 0x1000
	v_and_or_b32 v20, v21, s0, v24
	s_waitcnt vmcnt(1)
	ds_write_b64 v24, v[6:7] offset:24576
	v_xor_b32_e32 v6, 8, v24
	ds_write_b64 v6, v[8:9] offset:24576
	s_waitcnt vmcnt(0)
	ds_write_b64 v24, v[2:3] offset:32768
	ds_write_b64 v6, v[4:5] offset:32768
	;; [unrolled: 1-line block ×3, first 2 shown]
	v_xor_b32_e32 v2, 8, v20
	ds_write_b64 v2, v[16:17] offset:24576
	ds_write_b64 v20, v[10:11] offset:32768
	;; [unrolled: 1-line block ×3, first 2 shown]
	v_or_b32_e32 v2, v1, v45
	v_lshlrev_b32_e32 v3, 11, v63
	v_lshlrev_b32_e32 v2, 3, v2
	v_and_b32_e32 v6, 0x1000, v3
	v_lshrrev_b32_e32 v3, 5, v62
	s_movk_i32 s13, 0xf8
	v_and_or_b32 v3, v2, s13, v3
	v_lshlrev_b32_e32 v7, 4, v3
	v_and_b32_e32 v8, 0x78, v2
	v_or_b32_e32 v10, 32, v7
	v_lshrrev_b32_e32 v3, 1, v62
	v_xor_b32_e32 v10, v10, v8
	v_xor_b32_e32 v2, v7, v8
	v_and_b32_e32 v9, 8, v3
	v_or_b32_e32 v10, v10, v6
	v_or_b32_e32 v2, v2, v6
	v_xor_b32_e32 v26, v10, v9
	v_or_b32_e32 v10, 64, v7
	v_xor_b32_e32 v25, v2, v9
	v_xor_b32_e32 v10, v10, v8
	s_waitcnt lgkmcnt(0)
	s_barrier
	v_or_b32_e32 v12, v10, v6
	ds_read_b64 v[10:11], v25 offset:24576
	v_lshl_or_b32 v20, v64, 7, v22
	v_lshlrev_b32_e32 v24, 1, v20
	v_add_u32_e32 v2, 0xa000, v24
	ds_read2_b64 v[2:5], v2 offset1:16
	v_or_b32_e32 v7, 0x60, v7
	v_xor_b32_e32 v7, v7, v8
	s_waitcnt lgkmcnt(0)
	v_mfma_f32_16x16x16_bf16 a[0:3], v[10:11], v[2:3], 0
	v_or_b32_e32 v2, 64, v20
	v_or_b32_e32 v6, v7, v6
	v_lshlrev_b32_e32 v29, 1, v2
	v_xor_b32_e32 v27, v12, v9
	v_xor_b32_e32 v28, v6, v9
	ds_read_b64 v[12:13], v26 offset:24576
	ds_read_b64 v[14:15], v27 offset:24576
	ds_read_b64 v[16:17], v28 offset:24576
	v_mfma_f32_16x16x16_bf16 a[4:7], v[10:11], v[4:5], 0
	ds_read2st64_b64 v[2:5], v29 offset0:82 offset1:84
	ds_read2st64_b64 v[6:9], v24 offset0:82 offset1:84
	s_addc_u32 s5, s5, s1
	s_add_i32 s2, s39, -1
	s_add_i32 s0, s45, s44
	s_add_i32 s21, s0, s46
	s_mul_i32 s0, s33, s23
	s_mul_hi_u32 s1, s33, s22
	s_ashr_i32 s3, s2, 31
	s_mul_i32 s12, s2, s35
	s_mul_hi_u32 s13, s2, s34
	s_add_i32 s0, s1, s0
	s_mul_i32 s1, s16, s22
	s_add_i32 s12, s13, s12
	s_mul_i32 s3, s3, s34
	s_waitcnt lgkmcnt(1)
	v_mfma_f32_16x16x16_bf16 a[4:7], v[12:13], v[2:3], a[4:7]
	s_add_i32 s1, s0, s1
	s_add_i32 s3, s12, s3
	s_lshl_b64 s[12:13], s[20:21], 2
	s_waitcnt lgkmcnt(0)
	v_mfma_f32_16x16x16_bf16 a[0:3], v[12:13], v[6:7], a[0:3]
	s_mul_i32 s0, s33, s22
	s_add_u32 s10, s10, s12
	s_addc_u32 s11, s11, s13
	s_lshl_b64 s[0:1], s[0:1], 2
	s_mul_i32 s2, s2, s34
	s_add_u32 s10, s10, s0
	ds_read_b64 v[2:3], v24 offset:44032
	v_mfma_f32_16x16x16_bf16 a[4:7], v[14:15], v[4:5], a[4:7]
	ds_read_b64 v[4:5], v29 offset:44032
	s_addc_u32 s11, s11, s1
	s_lshl_b64 s[0:1], s[2:3], 2
	v_mfma_f32_16x16x16_bf16 a[0:3], v[14:15], v[8:9], a[0:3]
	s_add_u32 s0, s10, s0
	s_addc_u32 s1, s11, s1
	s_load_dword s12, s[0:1], 0x0
	s_waitcnt lgkmcnt(0)
	v_mfma_f32_16x16x16_bf16 a[0:3], v[16:17], v[2:3], a[0:3]
	s_and_b64 vcc, exec, s[30:31]
	v_mfma_f32_16x16x16_bf16 a[4:7], v[16:17], v[4:5], a[4:7]
	s_cbranch_vccz .LBB279_42
; %bb.32:
	v_lshlrev_b32_e32 v20, 1, v23
	s_and_b64 vcc, exec, s[6:7]
	s_cbranch_vccz .LBB279_43
; %bb.33:
	v_cmp_gt_i32_e32 vcc, s42, v20
	v_mov_b32_e32 v6, 0
	v_mov_b32_e32 v2, 0
	;; [unrolled: 1-line block ×5, first 2 shown]
	s_and_saveexec_b64 s[0:1], vcc
	s_cbranch_execz .LBB279_35
; %bb.34:
	v_mad_i64_i32 v[2:3], s[2:3], s19, v20, 0
	v_lshl_add_u64 v[2:3], v[2:3], 1, s[4:5]
	v_lshlrev_b32_e32 v4, 1, v18
	v_mov_b32_e32 v5, 0
	v_lshl_add_u64 v[2:3], v[2:3], 0, v[4:5]
	global_load_dwordx4 v[2:5], v[2:3], off
.LBB279_35:
	s_or_b64 exec, exec, s[0:1]
	v_or_b32_e32 v21, 1, v20
	v_cmp_gt_i32_e64 s[0:1], s42, v21
	v_mov_b32_e32 v7, 0
	v_mov_b32_e32 v8, 0
	;; [unrolled: 1-line block ×3, first 2 shown]
	s_and_saveexec_b64 s[2:3], s[0:1]
	s_cbranch_execz .LBB279_37
; %bb.36:
	v_mad_i64_i32 v[6:7], s[16:17], s19, v21, 0
	v_lshl_add_u64 v[6:7], v[6:7], 1, s[4:5]
	v_lshlrev_b32_e32 v8, 1, v18
	v_mov_b32_e32 v9, 0
	v_lshl_add_u64 v[6:7], v[6:7], 0, v[8:9]
	global_load_dwordx4 v[6:9], v[6:7], off
.LBB279_37:
	s_or_b64 exec, exec, s[2:3]
	v_mov_b32_e32 v17, 0
	v_mov_b32_e32 v10, 0
	;; [unrolled: 1-line block ×5, first 2 shown]
	s_and_saveexec_b64 s[2:3], vcc
	s_cbranch_execz .LBB279_39
; %bb.38:
	v_mad_i64_i32 v[10:11], s[16:17], s19, v20, 0
	v_lshl_add_u64 v[10:11], v[10:11], 1, s[4:5]
	v_lshlrev_b32_e32 v12, 1, v18
	v_mov_b32_e32 v13, 0
	v_lshl_add_u64 v[10:11], v[10:11], 0, v[12:13]
	global_load_dwordx4 v[10:13], v[10:11], off offset:128
.LBB279_39:
	s_or_b64 exec, exec, s[2:3]
	v_mov_b32_e32 v16, 0
	v_mov_b32_e32 v15, 0
	;; [unrolled: 1-line block ×3, first 2 shown]
	s_and_saveexec_b64 s[2:3], s[0:1]
	s_cbranch_execz .LBB279_41
; %bb.40:
	v_mad_i64_i32 v[14:15], s[0:1], s19, v21, 0
	v_lshl_add_u64 v[14:15], v[14:15], 1, s[4:5]
	v_lshlrev_b32_e32 v16, 1, v18
	v_mov_b32_e32 v17, 0
	v_lshl_add_u64 v[14:15], v[14:15], 0, v[16:17]
	global_load_dwordx4 v[14:17], v[14:15], off offset:128
.LBB279_41:
	s_or_b64 exec, exec, s[2:3]
	s_branch .LBB279_45
.LBB279_42:
                                        ; implicit-def: $vgpr5
                                        ; implicit-def: $vgpr9
                                        ; implicit-def: $vgpr13
                                        ; implicit-def: $vgpr17
	v_lshrrev_b32_e32 v30, 2, v62
	s_branch .LBB279_46
.LBB279_43:
                                        ; implicit-def: $vgpr5
                                        ; implicit-def: $vgpr9
                                        ; implicit-def: $vgpr13
                                        ; implicit-def: $vgpr17
	s_cbranch_execz .LBB279_45
; %bb.44:
	s_waitcnt vmcnt(0)
	v_mad_u64_u32 v[2:3], s[0:1], v20, s19, v[18:19]
	v_lshlrev_b32_e32 v20, 1, v2
	s_lshl_b32 s2, s19, 7
	s_and_b32 s1, s5, 0xffff
	s_mov_b32 s3, 0x20000
	s_mov_b32 s0, s4
	v_add_lshl_u32 v21, v2, s19, 1
	s_movk_i32 s13, 0x80
	buffer_load_dwordx4 v[2:5], v20, s[0:3], 0 offen
	buffer_load_dwordx4 v[10:13], v20, s[0:3], s13 offen
	;; [unrolled: 1-line block ×4, first 2 shown]
.LBB279_45:
	v_lshrrev_b32_e32 v30, 2, v62
	s_cbranch_execnz .LBB279_58
.LBB279_46:
	s_and_b64 vcc, exec, s[6:7]
	s_cbranch_vccz .LBB279_56
; %bb.47:
	s_waitcnt vmcnt(0)
	v_lshlrev_b32_e32 v7, 1, v23
	v_cmp_gt_i32_e32 vcc, s42, v7
	v_mov_b32_e32 v6, 0
	v_lshlrev_b32_e32 v14, 9, v23
	v_mov_b32_e32 v2, 0
	v_mov_b32_e32 v3, 0
	;; [unrolled: 1-line block ×4, first 2 shown]
	s_and_saveexec_b64 s[0:1], vcc
	s_cbranch_execz .LBB279_49
; %bb.48:
	v_mov_b32_e32 v15, 0
	v_lshl_add_u64 v[2:3], s[4:5], 0, v[14:15]
	v_lshlrev_b32_e32 v4, 1, v18
	v_mov_b32_e32 v5, v15
	v_lshl_add_u64 v[2:3], v[2:3], 0, v[4:5]
	global_load_dwordx4 v[2:5], v[2:3], off
.LBB279_49:
	s_or_b64 exec, exec, s[0:1]
	v_or_b32_e32 v7, 1, v7
	v_cmp_gt_i32_e64 s[0:1], s42, v7
	v_lshlrev_b32_e32 v20, 8, v7
	v_mov_b32_e32 v7, 0
	v_mov_b32_e32 v8, 0
	;; [unrolled: 1-line block ×3, first 2 shown]
	s_and_saveexec_b64 s[2:3], s[0:1]
	s_cbranch_execz .LBB279_51
; %bb.50:
	v_mov_b32_e32 v21, 0
	v_lshl_add_u64 v[6:7], s[4:5], 0, v[20:21]
	v_lshlrev_b32_e32 v8, 1, v18
	v_mov_b32_e32 v9, v21
	v_lshl_add_u64 v[6:7], v[6:7], 0, v[8:9]
	global_load_dwordx4 v[6:9], v[6:7], off
.LBB279_51:
	s_or_b64 exec, exec, s[2:3]
	v_mov_b32_e32 v17, 0
	v_mov_b32_e32 v10, 0
	;; [unrolled: 1-line block ×5, first 2 shown]
	s_and_saveexec_b64 s[2:3], vcc
	s_cbranch_execz .LBB279_53
; %bb.52:
	v_mov_b32_e32 v15, 0
	v_lshl_add_u64 v[10:11], s[4:5], 0, v[14:15]
	v_lshlrev_b32_e32 v14, 1, v18
	v_lshl_add_u64 v[10:11], v[10:11], 0, v[14:15]
	global_load_dwordx4 v[10:13], v[10:11], off offset:128
.LBB279_53:
	s_or_b64 exec, exec, s[2:3]
	v_mov_b32_e32 v16, 0
	v_mov_b32_e32 v15, 0
	;; [unrolled: 1-line block ×3, first 2 shown]
	s_and_saveexec_b64 s[2:3], s[0:1]
	s_cbranch_execz .LBB279_55
; %bb.54:
	v_mov_b32_e32 v21, 0
	v_lshl_add_u64 v[14:15], s[4:5], 0, v[20:21]
	v_lshlrev_b32_e32 v20, 1, v18
	v_lshl_add_u64 v[14:15], v[14:15], 0, v[20:21]
	global_load_dwordx4 v[14:17], v[14:15], off offset:128
.LBB279_55:
	s_or_b64 exec, exec, s[2:3]
	s_branch .LBB279_58
.LBB279_56:
                                        ; implicit-def: $vgpr5
                                        ; implicit-def: $vgpr9
                                        ; implicit-def: $vgpr13
                                        ; implicit-def: $vgpr17
	s_cbranch_execz .LBB279_58
; %bb.57:
	s_waitcnt vmcnt(0)
	v_lshlrev_b32_e32 v2, 1, v18
	v_lshl_or_b32 v18, v23, 9, v2
	s_and_b32 s5, s5, 0xffff
	s_mov_b32 s7, 0x20000
	s_movk_i32 s6, 0x4000
	s_movk_i32 s0, 0x80
	buffer_load_dwordx4 v[2:5], v18, s[4:7], 0 offen
	buffer_load_dwordx4 v[6:9], v18, s[4:7], 0 offen offset:256
	buffer_load_dwordx4 v[10:13], v18, s[4:7], s0 offen
	buffer_load_dwordx4 v[14:17], v18, s[4:7], s0 offen offset:256
.LBB279_58:
	ds_read_b64 v[20:21], v25 offset:32768
	v_add_u32_e32 v18, 0xb000, v24
	ds_read2_b64 v[32:35], v18 offset1:16
	ds_read_b64 v[40:41], v26 offset:32768
	ds_read_b64 v[26:27], v27 offset:32768
	;; [unrolled: 1-line block ×3, first 2 shown]
	v_and_b32_e32 v18, 6, v0
	v_xor_b32_e32 v23, v23, v18
	v_lshlrev_b32_e32 v23, 2, v23
	v_and_b32_e32 v0, 1, v0
	v_xor_b32_e32 v28, 0x440, v23
	v_cmp_eq_u32_e32 vcc, 0, v0
	s_waitcnt lgkmcnt(3)
	v_mfma_f32_16x16x16_bf16 a[0:3], v[20:21], v[32:33], a[0:3]
	s_mov_b32 s0, 0x1000504
	v_cndmask_b32_e32 v0, v28, v23, vcc
	v_lshl_or_b32 v0, v18, 10, v0
	v_mfma_f32_16x16x16_bf16 a[4:7], v[20:21], v[34:35], a[4:7]
	ds_read2st64_b64 v[32:35], v24 offset0:90 offset1:92
	ds_read2st64_b64 v[36:39], v29 offset0:90 offset1:92
	ds_read_b64 v[20:21], v24 offset:48128
	ds_read_b64 v[24:25], v29 offset:48128
	s_waitcnt vmcnt(0)
	v_perm_b32 v18, v2, v6, s0
	s_waitcnt lgkmcnt(3)
	v_mfma_f32_16x16x16_bf16 a[0:3], v[40:41], v[32:33], a[0:3]
	s_mov_b32 s1, 0x3020706
	v_perm_b32 v2, v2, v6, s1
	v_perm_b32 v6, v10, v14, s1
	s_waitcnt lgkmcnt(2)
	v_mfma_f32_16x16x16_bf16 a[4:7], v[40:41], v[36:37], a[4:7]
	v_mfma_f32_16x16x16_bf16 a[0:3], v[26:27], v[34:35], a[0:3]
	;; [unrolled: 1-line block ×3, first 2 shown]
	s_waitcnt lgkmcnt(1)
	v_mfma_f32_16x16x16_bf16 a[4:7], v[42:43], v[20:21], a[0:3]
	v_perm_b32 v20, v10, v14, s0
	ds_write2st64_b32 v0, v18, v20 offset0:32 offset1:64
	v_xor_b32_e32 v18, 8, v0
	v_add_u32_e32 v10, 0x80, v18
	ds_write2st64_b32 v10, v2, v6 offset0:32 offset1:64
	v_xor_b32_e32 v2, 16, v0
	v_perm_b32 v6, v3, v7, s0
	v_perm_b32 v10, v11, v15, s0
	ds_write2st64_b32 v2, v6, v10 offset0:33 offset1:65
	v_xor_b32_e32 v2, 24, v0
	v_perm_b32 v3, v3, v7, s1
	v_perm_b32 v6, v11, v15, s1
	v_add_u32_e32 v2, 0x80, v2
	ds_write2st64_b32 v2, v3, v6 offset0:33 offset1:65
	v_xor_b32_e32 v2, 32, v0
	v_perm_b32 v3, v4, v8, s0
	v_perm_b32 v6, v12, v16, s0
	s_waitcnt lgkmcnt(4)
	v_mfma_f32_16x16x16_bf16 a[0:3], v[42:43], v[24:25], a[8:11]
	ds_write2st64_b32 v2, v3, v6 offset0:34 offset1:66
	v_xor_b32_e32 v2, 40, v0
	v_perm_b32 v3, v4, v8, s1
	v_perm_b32 v4, v12, v16, s1
	v_add_u32_e32 v2, 0x80, v2
	ds_write2st64_b32 v2, v3, v4 offset0:34 offset1:66
	v_xor_b32_e32 v2, 48, v0
	v_perm_b32 v3, v5, v9, s0
	v_perm_b32 v4, v13, v17, s0
	v_xor_b32_e32 v0, 56, v0
	v_and_or_b32 v21, v30, 12, v1
	ds_write2st64_b32 v2, v3, v4 offset0:35 offset1:67
	v_perm_b32 v2, v5, v9, s1
	v_perm_b32 v3, v13, v17, s1
	v_add_u32_e32 v0, 0x80, v0
	v_cmp_gt_i32_e32 vcc, s42, v21
	v_mov_b32_e32 v16, 0
	v_mov_b32_e32 v18, 0
	ds_write2st64_b32 v0, v2, v3 offset0:35 offset1:67
	s_and_saveexec_b64 s[0:1], vcc
	s_cbranch_execz .LBB279_60
; %bb.59:
	v_add_u32_e32 v0, s38, v21
	v_ashrrev_i32_e32 v1, 31, v0
	v_mul_lo_u32 v2, v1, s34
	v_mul_lo_u32 v3, v0, s35
	v_mad_u64_u32 v[0:1], s[2:3], v0, s34, 0
	v_add3_u32 v1, v1, v3, v2
	v_lshl_add_u64 v[0:1], v[0:1], 2, s[10:11]
	global_load_dword v0, v[0:1], off
	s_waitcnt vmcnt(0)
	v_sub_f32_e32 v0, s12, v0
	v_exp_f32_e32 v18, v0
.LBB279_60:
	s_or_b64 exec, exec, s[0:1]
	v_or_b32_e32 v10, 1, v21
	v_cmp_gt_i32_e64 s[2:3], s42, v10
	s_and_saveexec_b64 s[0:1], s[2:3]
	s_cbranch_execz .LBB279_62
; %bb.61:
	v_add_u32_e32 v0, s38, v10
	v_ashrrev_i32_e32 v1, 31, v0
	v_mul_lo_u32 v2, v1, s34
	v_mul_lo_u32 v3, v0, s35
	v_mad_u64_u32 v[0:1], s[4:5], v0, s34, 0
	v_add3_u32 v1, v1, v3, v2
	v_lshl_add_u64 v[0:1], v[0:1], 2, s[10:11]
	global_load_dword v0, v[0:1], off
	s_waitcnt vmcnt(0)
	v_sub_f32_e32 v0, s12, v0
	v_exp_f32_e32 v16, v0
.LBB279_62:
	s_or_b64 exec, exec, s[0:1]
	v_or_b32_e32 v12, 2, v21
	v_cmp_gt_i32_e64 s[0:1], s42, v12
	v_mov_b32_e32 v17, 0
	v_mov_b32_e32 v20, 0
	s_and_saveexec_b64 s[4:5], s[0:1]
	s_cbranch_execz .LBB279_64
; %bb.63:
	v_add_u32_e32 v0, s38, v12
	v_ashrrev_i32_e32 v1, 31, v0
	v_mul_lo_u32 v2, v1, s34
	v_mul_lo_u32 v3, v0, s35
	v_mad_u64_u32 v[0:1], s[6:7], v0, s34, 0
	v_add3_u32 v1, v1, v3, v2
	v_lshl_add_u64 v[0:1], v[0:1], 2, s[10:11]
	global_load_dword v0, v[0:1], off
	s_waitcnt vmcnt(0)
	v_sub_f32_e32 v0, s12, v0
	v_exp_f32_e32 v20, v0
.LBB279_64:
	s_or_b64 exec, exec, s[4:5]
	v_or_b32_e32 v14, 3, v21
	v_cmp_gt_i32_e64 s[4:5], s42, v14
	s_and_saveexec_b64 s[6:7], s[4:5]
	s_cbranch_execz .LBB279_66
; %bb.65:
	v_add_u32_e32 v0, s38, v14
	v_ashrrev_i32_e32 v1, 31, v0
	v_mul_lo_u32 v2, v1, s34
	v_mul_lo_u32 v3, v0, s35
	v_mad_u64_u32 v[0:1], s[16:17], v0, s34, 0
	v_add3_u32 v1, v1, v3, v2
	v_lshl_add_u64 v[0:1], v[0:1], 2, s[10:11]
	global_load_dword v0, v[0:1], off
	s_waitcnt vmcnt(0)
	v_sub_f32_e32 v0, s12, v0
	v_exp_f32_e32 v17, v0
.LBB279_66:
	s_or_b64 exec, exec, s[6:7]
	s_add_u32 s6, s8, s28
	v_or_b32_e32 v4, s36, v45
	s_addc_u32 s7, s9, s29
	s_add_u32 s8, s14, s28
	v_ashrrev_i32_e32 v5, 31, v4
	v_accvgpr_read_b32 v0, a4
	s_addc_u32 s9, s15, s29
	v_lshlrev_b64 v[4:5], 1, v[4:5]
	v_accvgpr_read_b32 v1, a5
	v_accvgpr_read_b32 v2, a6
	;; [unrolled: 1-line block ×3, first 2 shown]
	v_lshl_add_u64 v[6:7], s[6:7], 0, v[4:5]
	v_lshl_add_u64 v[4:5], s[8:9], 0, v[4:5]
	v_mov_b32_e32 v11, 0
	v_lshlrev_b32_e32 v8, 8, v21
	v_mov_b32_e32 v9, 0
	s_and_saveexec_b64 s[6:7], vcc
	s_cbranch_execz .LBB279_68
; %bb.67:
	v_mov_b32_e32 v9, 0
	v_lshl_add_u64 v[24:25], v[6:7], 0, v[8:9]
	global_load_ushort v13, v[24:25], off
	v_lshl_add_u64 v[24:25], v[4:5], 0, v[8:9]
	s_waitcnt vmcnt(0)
	v_lshlrev_b32_e32 v9, 16, v13
	v_sub_f32_e32 v0, v9, v0
	global_store_short_d16_hi v[24:25], v0, off
	v_mul_f32_e32 v0, v18, v0
	v_lshrrev_b32_e32 v9, 16, v0
.LBB279_68:
	s_or_b64 exec, exec, s[6:7]
	v_lshlrev_b32_e32 v10, 8, v10
	s_and_saveexec_b64 s[6:7], s[2:3]
	s_cbranch_execz .LBB279_70
; %bb.69:
	v_mov_b32_e32 v11, 0
	v_lshl_add_u64 v[24:25], v[6:7], 0, v[10:11]
	global_load_ushort v0, v[24:25], off
	v_lshl_add_u64 v[24:25], v[4:5], 0, v[10:11]
	s_waitcnt vmcnt(0)
	v_lshlrev_b32_e32 v0, 16, v0
	v_sub_f32_e32 v0, v0, v1
	global_store_short_d16_hi v[24:25], v0, off
	v_mul_f32_e32 v0, v16, v0
	v_lshrrev_b32_e32 v11, 16, v0
.LBB279_70:
	s_or_b64 exec, exec, s[6:7]
	v_mov_b32_e32 v15, 0
	v_lshlrev_b32_e32 v12, 8, v12
	v_mov_b32_e32 v13, 0
	s_and_saveexec_b64 s[6:7], s[0:1]
	s_cbranch_execz .LBB279_72
; %bb.71:
	v_mov_b32_e32 v13, 0
	v_lshl_add_u64 v[0:1], v[6:7], 0, v[12:13]
	global_load_ushort v23, v[0:1], off
	v_lshl_add_u64 v[0:1], v[4:5], 0, v[12:13]
	s_waitcnt vmcnt(0)
	v_lshlrev_b32_e32 v13, 16, v23
	v_sub_f32_e32 v2, v13, v2
	global_store_short_d16_hi v[0:1], v2, off
	v_mul_f32_e32 v0, v20, v2
	v_lshrrev_b32_e32 v13, 16, v0
.LBB279_72:
	s_or_b64 exec, exec, s[6:7]
	v_lshlrev_b32_e32 v14, 8, v14
	s_and_saveexec_b64 s[6:7], s[4:5]
	s_cbranch_execz .LBB279_74
; %bb.73:
	v_mov_b32_e32 v15, 0
	v_lshl_add_u64 v[0:1], v[6:7], 0, v[14:15]
	global_load_ushort v2, v[0:1], off
	v_lshl_add_u64 v[0:1], v[4:5], 0, v[14:15]
	s_waitcnt vmcnt(0)
	v_lshlrev_b32_e32 v2, 16, v2
	v_sub_f32_e32 v2, v2, v3
	global_store_short_d16_hi v[0:1], v2, off
	v_mul_f32_e32 v0, v17, v2
	v_lshrrev_b32_e32 v15, 16, v0
.LBB279_74:
	s_or_b64 exec, exec, s[6:7]
	v_lshlrev_b32_e32 v21, 5, v21
	s_mov_b32 s6, 0x5040100
	v_perm_b32 v24, v11, v9, s6
	v_or_b32_e32 v9, v21, v22
	v_accvgpr_read_b32 v0, a0
	v_perm_b32 v25, v15, v13, s6
	v_lshlrev_b32_e32 v9, 1, v9
	v_accvgpr_read_b32 v1, a1
	v_accvgpr_read_b32 v2, a2
	;; [unrolled: 1-line block ×3, first 2 shown]
	ds_write_b64 v9, v[24:25] offset:45056
	v_mov_b32_e32 v11, 0
	v_mov_b32_e32 v9, 0
	s_and_saveexec_b64 s[6:7], vcc
	s_cbranch_execz .LBB279_76
; %bb.75:
	v_mov_b32_e32 v9, 0
	v_lshl_add_u64 v[22:23], v[6:7], 0, v[8:9]
	global_load_ushort v13, v[22:23], off offset:32
	v_lshl_add_u64 v[8:9], v[4:5], 0, v[8:9]
	s_waitcnt vmcnt(0)
	v_lshlrev_b32_e32 v13, 16, v13
	v_sub_f32_e32 v0, v13, v0
	global_store_short_d16_hi v[8:9], v0, off offset:32
	v_mul_f32_e32 v0, v18, v0
	v_lshrrev_b32_e32 v9, 16, v0
.LBB279_76:
	s_or_b64 exec, exec, s[6:7]
	s_and_saveexec_b64 s[6:7], s[2:3]
	s_cbranch_execz .LBB279_78
; %bb.77:
	v_mov_b32_e32 v11, 0
	v_lshl_add_u64 v[22:23], v[6:7], 0, v[10:11]
	global_load_ushort v0, v[22:23], off offset:32
	v_lshl_add_u64 v[10:11], v[4:5], 0, v[10:11]
	s_waitcnt vmcnt(0)
	v_lshlrev_b32_e32 v0, 16, v0
	v_sub_f32_e32 v0, v0, v1
	global_store_short_d16_hi v[10:11], v0, off offset:32
	v_mul_f32_e32 v0, v16, v0
	v_lshrrev_b32_e32 v11, 16, v0
.LBB279_78:
	s_or_b64 exec, exec, s[6:7]
	v_mov_b32_e32 v0, 0
	v_mov_b32_e32 v1, 0
	s_and_saveexec_b64 s[2:3], s[0:1]
	s_cbranch_execz .LBB279_80
; %bb.79:
	v_mov_b32_e32 v13, 0
	v_lshl_add_u64 v[22:23], v[6:7], 0, v[12:13]
	global_load_ushort v1, v[22:23], off offset:32
	v_lshl_add_u64 v[12:13], v[4:5], 0, v[12:13]
	s_waitcnt vmcnt(0)
	v_lshlrev_b32_e32 v1, 16, v1
	v_sub_f32_e32 v1, v1, v2
	global_store_short_d16_hi v[12:13], v1, off offset:32
	v_mul_f32_e32 v1, v20, v1
	v_lshrrev_b32_e32 v1, 16, v1
.LBB279_80:
	s_or_b64 exec, exec, s[2:3]
	s_and_saveexec_b64 s[0:1], s[4:5]
	s_cbranch_execz .LBB279_82
; %bb.81:
	v_mov_b32_e32 v15, 0
	v_lshl_add_u64 v[6:7], v[6:7], 0, v[14:15]
	global_load_ushort v0, v[6:7], off offset:32
	v_lshl_add_u64 v[4:5], v[4:5], 0, v[14:15]
	s_waitcnt vmcnt(0)
	v_lshlrev_b32_e32 v0, 16, v0
	v_sub_f32_e32 v0, v0, v3
	global_store_short_d16_hi v[4:5], v0, off offset:32
	v_mul_f32_e32 v0, v17, v0
	v_lshrrev_b32_e32 v0, 16, v0
.LBB279_82:
	s_or_b64 exec, exec, s[0:1]
	s_mov_b32 s0, 0x5040100
	v_or_b32_e32 v2, v21, v19
	v_perm_b32 v1, v0, v1, s0
	v_perm_b32 v0, v11, v9, s0
	v_lshlrev_b32_e32 v2, 1, v2
	ds_write_b64 v2, v[0:1] offset:45056
	s_waitcnt lgkmcnt(0)
	s_barrier
.LBB279_83:
	s_endpgm
	.section	.rodata,"a",@progbits
	.p2align	6, 0x0
	.amdhsa_kernel _ZN12_GLOBAL__N_139chunk_gated_delta_rule_fwd_h_hip_kernelILi32ELb0ELb0ELb1ELb1ELb1ELb1ELb0ELb1EEEvPK12hip_bfloat16S3_S3_PKfS5_PKvPS1_S8_PvPKiSB_iiiiilll
		.amdhsa_group_segment_fixed_size 49152
		.amdhsa_private_segment_fixed_size 0
		.amdhsa_kernarg_size 136
		.amdhsa_user_sgpr_count 2
		.amdhsa_user_sgpr_dispatch_ptr 0
		.amdhsa_user_sgpr_queue_ptr 0
		.amdhsa_user_sgpr_kernarg_segment_ptr 1
		.amdhsa_user_sgpr_dispatch_id 0
		.amdhsa_user_sgpr_kernarg_preload_length 0
		.amdhsa_user_sgpr_kernarg_preload_offset 0
		.amdhsa_user_sgpr_private_segment_size 0
		.amdhsa_uses_dynamic_stack 0
		.amdhsa_enable_private_segment 0
		.amdhsa_system_sgpr_workgroup_id_x 1
		.amdhsa_system_sgpr_workgroup_id_y 1
		.amdhsa_system_sgpr_workgroup_id_z 0
		.amdhsa_system_sgpr_workgroup_info 0
		.amdhsa_system_vgpr_workitem_id 0
		.amdhsa_next_free_vgpr 164
		.amdhsa_next_free_sgpr 63
		.amdhsa_accum_offset 144
		.amdhsa_reserve_vcc 1
		.amdhsa_float_round_mode_32 0
		.amdhsa_float_round_mode_16_64 0
		.amdhsa_float_denorm_mode_32 3
		.amdhsa_float_denorm_mode_16_64 3
		.amdhsa_dx10_clamp 1
		.amdhsa_ieee_mode 1
		.amdhsa_fp16_overflow 0
		.amdhsa_tg_split 0
		.amdhsa_exception_fp_ieee_invalid_op 0
		.amdhsa_exception_fp_denorm_src 0
		.amdhsa_exception_fp_ieee_div_zero 0
		.amdhsa_exception_fp_ieee_overflow 0
		.amdhsa_exception_fp_ieee_underflow 0
		.amdhsa_exception_fp_ieee_inexact 0
		.amdhsa_exception_int_div_zero 0
	.end_amdhsa_kernel
	.section	.text._ZN12_GLOBAL__N_139chunk_gated_delta_rule_fwd_h_hip_kernelILi32ELb0ELb0ELb1ELb1ELb1ELb1ELb0ELb1EEEvPK12hip_bfloat16S3_S3_PKfS5_PKvPS1_S8_PvPKiSB_iiiiilll,"axG",@progbits,_ZN12_GLOBAL__N_139chunk_gated_delta_rule_fwd_h_hip_kernelILi32ELb0ELb0ELb1ELb1ELb1ELb1ELb0ELb1EEEvPK12hip_bfloat16S3_S3_PKfS5_PKvPS1_S8_PvPKiSB_iiiiilll,comdat
.Lfunc_end279:
	.size	_ZN12_GLOBAL__N_139chunk_gated_delta_rule_fwd_h_hip_kernelILi32ELb0ELb0ELb1ELb1ELb1ELb1ELb0ELb1EEEvPK12hip_bfloat16S3_S3_PKfS5_PKvPS1_S8_PvPKiSB_iiiiilll, .Lfunc_end279-_ZN12_GLOBAL__N_139chunk_gated_delta_rule_fwd_h_hip_kernelILi32ELb0ELb0ELb1ELb1ELb1ELb1ELb0ELb1EEEvPK12hip_bfloat16S3_S3_PKfS5_PKvPS1_S8_PvPKiSB_iiiiilll
                                        ; -- End function
	.section	.AMDGPU.csdata,"",@progbits
; Kernel info:
; codeLenInByte = 8696
; NumSgprs: 69
; NumVgprs: 142
; NumAgprs: 20
; TotalNumVgprs: 164
; ScratchSize: 0
; MemoryBound: 0
; FloatMode: 240
; IeeeMode: 1
; LDSByteSize: 49152 bytes/workgroup (compile time only)
; SGPRBlocks: 8
; VGPRBlocks: 20
; NumSGPRsForWavesPerEU: 69
; NumVGPRsForWavesPerEU: 164
; AccumOffset: 144
; Occupancy: 1
; WaveLimiterHint : 1
; COMPUTE_PGM_RSRC2:SCRATCH_EN: 0
; COMPUTE_PGM_RSRC2:USER_SGPR: 2
; COMPUTE_PGM_RSRC2:TRAP_HANDLER: 0
; COMPUTE_PGM_RSRC2:TGID_X_EN: 1
; COMPUTE_PGM_RSRC2:TGID_Y_EN: 1
; COMPUTE_PGM_RSRC2:TGID_Z_EN: 0
; COMPUTE_PGM_RSRC2:TIDIG_COMP_CNT: 0
; COMPUTE_PGM_RSRC3_GFX90A:ACCUM_OFFSET: 35
; COMPUTE_PGM_RSRC3_GFX90A:TG_SPLIT: 0
	.section	.text._ZN12_GLOBAL__N_139chunk_gated_delta_rule_fwd_h_hip_kernelILi32ELb0ELb0ELb0ELb1ELb1ELb1ELb0ELb1EEEvPK12hip_bfloat16S3_S3_PKfS5_PKvPS1_S8_PvPKiSB_iiiiilll,"axG",@progbits,_ZN12_GLOBAL__N_139chunk_gated_delta_rule_fwd_h_hip_kernelILi32ELb0ELb0ELb0ELb1ELb1ELb1ELb0ELb1EEEvPK12hip_bfloat16S3_S3_PKfS5_PKvPS1_S8_PvPKiSB_iiiiilll,comdat
	.globl	_ZN12_GLOBAL__N_139chunk_gated_delta_rule_fwd_h_hip_kernelILi32ELb0ELb0ELb0ELb1ELb1ELb1ELb0ELb1EEEvPK12hip_bfloat16S3_S3_PKfS5_PKvPS1_S8_PvPKiSB_iiiiilll ; -- Begin function _ZN12_GLOBAL__N_139chunk_gated_delta_rule_fwd_h_hip_kernelILi32ELb0ELb0ELb0ELb1ELb1ELb1ELb0ELb1EEEvPK12hip_bfloat16S3_S3_PKfS5_PKvPS1_S8_PvPKiSB_iiiiilll
	.p2align	8
	.type	_ZN12_GLOBAL__N_139chunk_gated_delta_rule_fwd_h_hip_kernelILi32ELb0ELb0ELb0ELb1ELb1ELb1ELb0ELb1EEEvPK12hip_bfloat16S3_S3_PKfS5_PKvPS1_S8_PvPKiSB_iiiiilll,@function
_ZN12_GLOBAL__N_139chunk_gated_delta_rule_fwd_h_hip_kernelILi32ELb0ELb0ELb0ELb1ELb1ELb1ELb0ELb1EEEvPK12hip_bfloat16S3_S3_PKfS5_PKvPS1_S8_PvPKiSB_iiiiilll: ; @_ZN12_GLOBAL__N_139chunk_gated_delta_rule_fwd_h_hip_kernelILi32ELb0ELb0ELb0ELb1ELb1ELb1ELb0ELb1EEEvPK12hip_bfloat16S3_S3_PKfS5_PKvPS1_S8_PvPKiSB_iiiiilll
; %bb.0:
	s_load_dwordx4 s[12:15], s[0:1], 0x5c
	s_load_dwordx4 s[16:19], s[0:1], 0x70
	s_abs_i32 s21, s3
	s_ashr_i32 s20, s3, 31
	s_load_dwordx2 s[36:37], s[0:1], 0x30
	s_load_dwordx4 s[24:27], s[0:1], 0x48
	s_waitcnt lgkmcnt(0)
	s_abs_i32 s28, s13
	v_cvt_f32_u32_e32 v1, s28
	s_sub_i32 s22, 0, s28
	s_ashr_i32 s29, s13, 31
	s_xor_b32 s20, s20, s29
	v_rcp_iflag_f32_e32 v1, v1
	s_load_dwordx8 s[4:11], s[0:1], 0x0
	v_lshrrev_b32_e32 v61, 6, v0
	v_bfe_u32 v62, v0, 4, 2
	v_mul_f32_e32 v1, 0x4f7ffffe, v1
	v_cvt_u32_f32_e32 v1, v1
	v_lshlrev_b32_e32 v2, 2, v62
	v_and_b32_e32 v60, 63, v0
	v_mov_b32_e32 v5, 0
	v_readfirstlane_b32 s23, v1
	s_mul_i32 s22, s22, s23
	s_mul_hi_u32 s22, s23, s22
	s_add_i32 s23, s23, s22
	s_mul_hi_u32 s22, s21, s23
	s_mul_i32 s23, s22, s28
	s_sub_i32 s21, s21, s23
	s_add_i32 s30, s22, 1
	s_sub_i32 s23, s21, s28
	s_cmp_ge_u32 s21, s28
	s_cselect_b32 s22, s30, s22
	s_cselect_b32 s21, s23, s21
	s_add_i32 s23, s22, 1
	s_cmp_ge_u32 s21, s28
	s_cselect_b32 s21, s23, s22
	s_xor_b32 s21, s21, s20
	s_sub_i32 s20, s21, s20
	s_mul_i32 s21, s20, s13
	s_sub_i32 s33, s3, s21
	s_ashr_i32 s21, s20, 31
	s_lshl_b64 s[22:23], s[20:21], 2
	s_add_u32 s24, s24, s22
	s_addc_u32 s25, s25, s23
	s_add_u32 s22, s26, s22
	s_addc_u32 s23, s27, s23
	s_abs_i32 s3, s14
	v_cvt_f32_u32_e32 v1, s3
	s_load_dwordx2 s[34:35], s[24:25], 0x0
	s_sub_i32 s25, 0, s3
	s_load_dword s46, s[22:23], 0x0
	v_rcp_iflag_f32_e32 v1, v1
	v_and_b32_e32 v45, 15, v0
	s_waitcnt lgkmcnt(0)
	s_sub_i32 s47, s35, s34
	s_ashr_i32 s24, s47, 31
	v_mul_f32_e32 v1, 0x4f7ffffe, v1
	v_cvt_u32_f32_e32 v1, v1
	s_lshr_b32 s24, s24, 26
	s_add_i32 s24, s47, s24
	s_ashr_i32 s45, s24, 6
	v_readfirstlane_b32 s26, v1
	s_mul_i32 s25, s25, s26
	s_mul_hi_u32 s25, s26, s25
	s_add_i32 s26, s26, s25
	s_mul_hi_u32 s25, s28, s26
	s_mul_i32 s26, s25, s3
	s_ashr_i32 s24, s14, 31
	s_sub_i32 s26, s28, s26
	s_xor_b32 s24, s29, s24
	s_add_i32 s27, s25, 1
	s_sub_i32 s28, s26, s3
	s_cmp_ge_u32 s26, s3
	s_cselect_b32 s25, s27, s25
	s_cselect_b32 s26, s28, s26
	s_add_i32 s27, s25, 1
	s_cmp_ge_u32 s26, s3
	s_cselect_b32 s3, s27, s25
	s_xor_b32 s3, s3, s24
	s_sub_i32 s3, s3, s24
	s_abs_i32 s24, s3
	v_cvt_f32_u32_e32 v1, s24
	s_sub_i32 s23, 0, s24
	s_abs_i32 s22, s33
	s_xor_b32 s3, s33, s3
	v_rcp_iflag_f32_e32 v1, v1
	s_ashr_i32 s3, s3, 31
	s_load_dwordx2 s[28:29], s[0:1], 0x80
	s_mul_hi_i32 s48, s33, s12
	v_mul_f32_e32 v1, 0x4f7ffffe, v1
	v_cvt_u32_f32_e32 v1, v1
	s_mul_i32 s49, s33, s12
	v_lshrrev_b32_e32 v64, 3, v60
	v_lshlrev_b32_e32 v63, 3, v0
	v_readfirstlane_b32 s25, v1
	s_mul_i32 s23, s23, s25
	s_mul_hi_u32 s23, s25, s23
	s_add_i32 s25, s25, s23
	s_mul_hi_u32 s23, s22, s25
	s_mul_i32 s25, s23, s24
	s_sub_i32 s22, s22, s25
	s_add_i32 s25, s23, 1
	s_sub_i32 s26, s22, s24
	s_cmp_ge_u32 s22, s24
	s_cselect_b32 s23, s25, s23
	s_cselect_b32 s22, s26, s22
	s_add_i32 s25, s23, 1
	s_cmp_ge_u32 s22, s24
	s_cselect_b32 s22, s25, s23
	s_xor_b32 s22, s22, s3
	v_lshlrev_b32_e32 v1, 4, v61
	s_sub_i32 s50, s22, s3
	v_or_b32_e32 v65, v2, v1
	s_lshl_b32 s30, s2, 5
	v_or_b32_e32 v66, 64, v65
	s_cmp_lt_i32 s47, 64
	s_mul_i32 s42, s20, s17
	s_mul_hi_u32 s43, s20, s16
	s_mul_i32 s44, s21, s16
	s_mul_i32 s16, s20, s16
	v_mov_b32_e32 v84, 0
	v_mov_b32_e32 v81, 0
	v_mov_b32_e32 v82, 0
	v_mov_b32_e32 v9, 0
	v_mov_b32_e32 v88, 0
	v_mov_b32_e32 v85, 0
	v_mov_b32_e32 v86, 0
	v_mov_b32_e32 v49, 0
	v_mov_b32_e32 v48, v5
	v_mov_b32_e32 v47, 0
	v_mov_b32_e32 v46, v5
	v_mov_b32_e32 v55, 0
	v_mov_b32_e32 v54, v5
	v_mov_b32_e32 v51, v5
	v_mov_b32_e32 v50, v5
	s_cbranch_scc1 .LBB280_18
; %bb.1:
	s_ashr_i32 s53, s33, 31
	s_ashr_i32 s3, s34, 31
	s_add_u32 s2, s49, s34
	s_addc_u32 s3, s48, s3
	s_lshl_b64 s[2:3], s[2:3], 8
	v_and_b32_e32 v68, 56, v63
	s_add_u32 s20, s6, s2
	v_lshl_or_b32 v67, v61, 3, v64
	v_lshlrev_b32_e32 v3, 1, v68
	s_addc_u32 s2, s7, s3
	v_lshl_or_b32 v69, v67, 8, v3
	s_and_b32 s21, s2, 0xffff
	s_mov_b32 s23, 0x20000
	s_movk_i32 s22, 0x4000
	s_movk_i32 s2, 0x80
	v_or_b32_e32 v70, 0x2000, v69
	buffer_load_dwordx4 v[4:7], v69, s[20:23], 0 offen
	buffer_load_dwordx4 v[8:11], v69, s[20:23], s2 offen
	;; [unrolled: 1-line block ×4, first 2 shown]
	v_lshlrev_b32_e32 v20, 3, v67
	v_and_or_b32 v22, v0, 7, v20
	v_and_b32_e32 v20, 0x78, v20
	v_lshlrev_b32_e32 v22, 4, v22
	v_xor_b32_e32 v71, v22, v20
	v_mul_lo_u32 v21, v67, s15
	v_or_b32_e32 v72, 0x1000, v71
	s_cmpk_eq_i32 s15, 0x80
	s_mov_b32 s51, s13
	s_mov_b32 s52, s34
	v_xor_b32_e32 v20, 8, v71
	v_xor_b32_e32 v22, 8, v72
	s_cselect_b64 s[2:3], -1, 0
	s_cmpk_lg_i32 s15, 0x80
	s_waitcnt vmcnt(3)
	ds_write_b64 v71, v[4:5] offset:24576
	ds_write_b64 v20, v[6:7] offset:24576
	s_waitcnt vmcnt(2)
	ds_write_b64 v71, v[8:9] offset:32768
	ds_write_b64 v20, v[10:11] offset:32768
	;; [unrolled: 3-line block ×4, first 2 shown]
	v_lshl_add_u32 v4, v21, 1, v68
	s_cbranch_scc0 .LBB280_3
; %bb.2:
	v_lshlrev_b32_e32 v6, 1, v4
	v_add_lshl_u32 v5, v4, s15, 1
	s_lshl_b32 s22, s15, 7
	s_load_dwordx2 s[38:39], s[0:1], 0x20
	v_lshl_or_b32 v3, v67, 9, v3
	s_cbranch_execz .LBB280_4
	s_branch .LBB280_5
.LBB280_3:
                                        ; implicit-def: $vgpr5
                                        ; implicit-def: $vgpr6
                                        ; implicit-def: $sgpr22
	s_load_dwordx2 s[38:39], s[0:1], 0x20
	v_lshl_or_b32 v3, v67, 9, v3
.LBB280_4:
	v_or_b32_e32 v5, 0x100, v3
	s_movk_i32 s22, 0x4000
	v_mov_b32_e32 v6, v3
.LBB280_5:
	s_mul_i32 s0, s34, s14
	s_ashr_i32 s54, s50, 31
	s_mul_hi_i32 s1, s34, s14
	s_add_u32 s0, s0, s50
	s_addc_u32 s1, s1, s54
	s_lshl_b64 s[0:1], s[0:1], 8
	s_add_u32 s20, s4, s0
	s_addc_u32 s0, s5, s1
	s_and_b32 s21, s0, 0xffff
	s_movk_i32 s55, 0x80
	buffer_load_dwordx4 v[8:11], v6, s[20:23], 0 offen
	buffer_load_dwordx4 v[12:15], v6, s[20:23], s55 offen
	;; [unrolled: 1-line block ×4, first 2 shown]
	v_and_b32_e32 v5, 6, v0
	v_lshlrev_b32_e32 v24, 6, v65
	v_or_b32_e32 v26, 16, v45
	v_xor_b32_e32 v27, v67, v5
	v_and_b32_e32 v6, 1, v0
	v_lshl_or_b32 v30, v45, 3, v24
	v_lshl_or_b32 v24, v26, 3, v24
	v_lshlrev_b32_e32 v27, 2, v27
	v_lshlrev_b32_e32 v7, 2, v45
	s_mul_i32 s0, s33, s19
	s_mul_hi_u32 s1, s33, s18
	v_or_b32_e32 v75, 0xa000, v24
	v_or_b32_e32 v76, 0xb000, v24
	v_xor_b32_e32 v24, 0x440, v27
	v_cmp_eq_u32_e32 vcc, 0, v6
	s_add_i32 s17, s43, s42
	s_mul_i32 s20, s53, s18
	v_xor_b32_e32 v28, v65, v7
	v_xor_b32_e32 v29, v66, v7
	v_cndmask_b32_e32 v6, v24, v27, vcc
	s_add_i32 s0, s1, s0
	s_add_i32 s17, s17, s44
	s_mov_b32 s56, 0x1000504
	v_lshlrev_b32_e32 v25, 8, v45
	v_lshlrev_b32_e32 v26, 8, v26
	;; [unrolled: 1-line block ×4, first 2 shown]
	v_lshl_or_b32 v5, v5, 10, v6
	s_add_i32 s1, s0, s20
	s_lshl_b64 s[20:21], s[16:17], 2
	s_mov_b32 s57, 0x3020706
	v_or_b32_e32 v73, 0xa000, v30
	v_or_b32_e32 v74, 0xb000, v30
	;; [unrolled: 1-line block ×5, first 2 shown]
	v_xor_b32_e32 v6, 8, v5
	v_xor_b32_e32 v25, 24, v5
	;; [unrolled: 1-line block ×4, first 2 shown]
	s_mul_i32 s0, s33, s18
	s_add_u32 s17, s10, s20
	v_or_b32_e32 v79, v26, v28
	v_xor_b32_e32 v24, 16, v5
	v_xor_b32_e32 v26, 32, v5
	;; [unrolled: 1-line block ×3, first 2 shown]
	v_add_u32_e32 v6, 0x80, v6
	v_add_u32_e32 v25, 0x80, v25
	;; [unrolled: 1-line block ×4, first 2 shown]
	s_addc_u32 s20, s11, s21
	s_lshl_b64 s[0:1], s[0:1], 2
	s_add_u32 s40, s17, s0
	s_movk_i32 s0, 0xf8
	s_addc_u32 s41, s20, s1
	s_ashr_i32 s31, s30, 31
	s_lshl_b32 s26, s15, 7
	s_movk_i32 s20, 0x100
	v_mov_b32_e32 v53, 0
	v_lshlrev_b32_e32 v52, 4, v45
	v_cmp_gt_u32_e32 vcc, s20, v0
	s_mov_b32 s58, 0
	s_movk_i32 s17, 0x1000
	s_movk_i32 s22, 0x4000
	v_add_u32_e32 v100, v1, v2
	v_mov_b32_e32 v50, v53
	v_mov_b32_e32 v51, v53
	;; [unrolled: 1-line block ×13, first 2 shown]
	s_waitcnt vmcnt(1)
	v_perm_b32 v30, v8, v16, s56
	s_waitcnt vmcnt(0)
	v_perm_b32 v31, v12, v20, s56
	v_perm_b32 v8, v8, v16, s57
	;; [unrolled: 1-line block ×15, first 2 shown]
	ds_write2st64_b32 v5, v30, v31 offset0:32 offset1:64
	ds_write2st64_b32 v6, v8, v12 offset0:32 offset1:64
	ds_write2st64_b32 v24, v16, v20 offset0:33 offset1:65
	ds_write2st64_b32 v25, v9, v13 offset0:33 offset1:65
	ds_write2st64_b32 v26, v17, v21 offset0:34 offset1:66
	ds_write2st64_b32 v27, v10, v14 offset0:34 offset1:66
	ds_write2st64_b32 v28, v18, v22 offset0:35 offset1:67
	ds_write2st64_b32 v29, v11, v15 offset0:35 offset1:67
	v_or_b32_e32 v5, v1, v45
	v_lshlrev_b32_e32 v5, 3, v5
	v_lshrrev_b32_e32 v8, 5, v60
	v_and_or_b32 v8, v5, s0, v8
	v_lshrrev_b32_e32 v6, 2, v60
	v_lshlrev_b32_e32 v11, 11, v61
	v_lshlrev_b32_e32 v8, 4, v8
	v_and_b32_e32 v5, 0x78, v5
	v_and_b32_e32 v9, 12, v6
	;; [unrolled: 1-line block ×3, first 2 shown]
	v_xor_b32_e32 v10, v8, v5
	v_lshrrev_b32_e32 v12, 1, v60
	v_or_b32_e32 v10, v10, v6
	v_and_b32_e32 v12, 8, v12
	v_xor_b32_e32 v83, v10, v12
	v_or_b32_e32 v10, 32, v8
	v_xor_b32_e32 v10, v10, v5
	v_or_b32_e32 v10, v10, v6
	;; [unrolled: 2-line block ×3, first 2 shown]
	v_or_b32_e32 v8, 0x60, v8
	v_xor_b32_e32 v10, v10, v5
	v_xor_b32_e32 v5, v8, v5
	s_lshl_b64 s[0:1], s[30:31], 8
	v_or_b32_e32 v10, v10, v6
	v_or_b32_e32 v5, v5, v6
	v_lshlrev_b32_e32 v14, 1, v4
	v_add_lshl_u32 v15, v4, s15, 1
	s_add_u32 s0, s36, s0
	v_lshlrev_b32_e32 v4, 1, v45
	v_xor_b32_e32 v91, v10, v12
	v_xor_b32_e32 v92, v5, v12
	v_lshrrev_b32_e32 v10, 4, v0
	s_addc_u32 s1, s37, s1
	v_or_b32_e32 v5, 1, v4
	v_mov_b32_e32 v20, 0x4000
	v_mov_b32_e32 v21, 0x2000
	v_lshrrev_b32_e32 v22, 1, v0
	v_xor_b32_e32 v12, v10, v4
	v_xor_b32_e32 v17, v5, v10
	v_lshl_add_u64 v[4:5], s[0:1], 0, v[52:53]
	v_lshlrev_b32_e32 v52, 8, v10
	v_cndmask_b32_e32 v20, v20, v21, vcc
	v_lshlrev_b32_e32 v21, 3, v61
	v_and_b32_e32 v22, 24, v22
	v_lshl_or_b32 v95, v12, 3, v52
	v_and_b32_e32 v12, 8, v0
	v_xor_b32_e32 v23, v21, v22
	v_or_b32_e32 v24, 0x440, v23
	v_cmp_eq_u32_e32 vcc, 0, v12
	v_and_b32_e32 v10, 7, v0
	v_lshlrev_b32_e32 v13, 7, v62
	v_cndmask_b32_e32 v12, v24, v23, vcc
	v_lshl_or_b32 v96, v17, 3, v52
	v_lshlrev_b32_e32 v17, 3, v10
	v_lshlrev_b32_e32 v19, 2, v0
	v_or_b32_e32 v12, v12, v11
	v_or_b32_e32 v7, v13, v7
	v_xor_b32_e32 v23, v12, v17
	v_and_or_b32 v12, v19, 60, v13
	v_mov_b32_e32 v13, 0xb000
	v_lshl_or_b32 v97, v12, 1, v13
	v_or_b32_e32 v12, 32, v22
	v_xor_b32_e32 v12, v21, v12
	v_or_b32_e32 v13, 0x440, v12
	v_cndmask_b32_e32 v12, v13, v12, vcc
	v_or_b32_e32 v12, v12, v11
	v_xor_b32_e32 v13, v12, v17
	v_or_b32_e32 v12, 64, v22
	v_xor_b32_e32 v12, v21, v12
	v_xor_b32_e32 v25, 0x440, v12
	v_cndmask_b32_e32 v12, v25, v12, vcc
	v_or_b32_e32 v12, v12, v11
	v_xor_b32_e32 v25, v12, v17
	v_or_b32_e32 v12, 0x60, v22
	v_xor_b32_e32 v12, v21, v12
	v_xor_b32_e32 v21, 0x440, v12
	v_cndmask_b32_e32 v12, v21, v12, vcc
	v_or_b32_e32 v11, v12, v11
	v_lshlrev_b32_e32 v7, 1, v7
	v_or_b32_e32 v6, s30, v45
	v_xor_b32_e32 v11, v11, v17
	v_or_b32_e32 v87, 0xa000, v7
	v_or_b32_e32 v90, 0xa080, v7
	;; [unrolled: 1-line block ×4, first 2 shown]
	v_lshlrev_b32_e32 v8, 7, v65
	v_ashrrev_i32_e32 v7, 31, v6
	v_or_b32_e32 v16, 0x100, v3
	v_lshlrev_b32_e32 v18, 7, v10
	v_or_b32_e32 v10, v9, v1
	v_add_u32_e32 v24, v20, v23
	v_add_u32_e32 v19, v20, v13
	;; [unrolled: 1-line block ×4, first 2 shown]
	v_or3_b32 v12, v1, v9, 64
	v_add_u32_e32 v9, 0x4000, v23
	v_add_u32_e32 v13, 0x4000, v13
	;; [unrolled: 1-line block ×4, first 2 shown]
	v_cndmask_b32_e64 v98, v14, v3, s[2:3]
	v_cndmask_b32_e64 v99, v15, v16, s[2:3]
	v_lshl_add_u64 v[56:57], v[6:7], 1, s[8:9]
	v_lshl_add_u64 v[58:59], v[4:5], 0, v[52:53]
	s_mov_b32 s31, 0x7060302
	v_lshlrev_b32_e32 v52, 1, v8
	v_lshlrev_b32_e32 v101, 2, v10
	v_add_u32_e32 v102, v24, v18
	v_add_u32_e32 v103, v19, v18
	;; [unrolled: 1-line block ×4, first 2 shown]
	v_lshlrev_b32_e32 v106, 2, v12
	v_add_u32_e32 v107, v9, v18
	v_add_u32_e32 v108, v13, v18
	;; [unrolled: 1-line block ×4, first 2 shown]
	v_mov_b32_e32 v81, v53
	v_mov_b32_e32 v84, v53
	;; [unrolled: 1-line block ×3, first 2 shown]
	s_waitcnt lgkmcnt(0)
	s_barrier
.LBB280_6:                              ; =>This Inner Loop Header: Depth=1
	s_add_i32 s59, s58, 1
	s_cmp_lt_i32 s59, s45
	s_mov_b64 s[24:25], 0
	s_cselect_b64 s[2:3], -1, 0
	s_cmp_ge_i32 s59, s45
	s_mov_b64 s[20:21], 0
	s_cbranch_scc1 .LBB280_8
; %bb.7:                                ;   in Loop: Header=BB280_6 Depth=1
	s_add_i32 s0, s52, 64
	s_ashr_i32 s1, s0, 31
	s_add_u32 s0, s49, s0
	s_addc_u32 s1, s48, s1
	s_lshl_b64 s[0:1], s[0:1], 8
	s_add_u32 s20, s6, s0
	s_addc_u32 s21, s7, s1
.LBB280_8:                              ;   in Loop: Header=BB280_6 Depth=1
	v_cndmask_b32_e64 v2, 0, 1, s[2:3]
	v_cmp_ne_u32_e64 s[0:1], 1, v2
	s_andn2_b64 vcc, exec, s[2:3]
	s_cbranch_vccnz .LBB280_10
; %bb.9:                                ;   in Loop: Header=BB280_6 Depth=1
	s_add_i32 s2, s52, 64
	s_mul_hi_i32 s3, s2, s14
	s_mul_i32 s2, s2, s14
	s_add_u32 s2, s2, s50
	s_addc_u32 s3, s3, s54
	s_lshl_b64 s[2:3], s[2:3], 8
	s_add_u32 s24, s4, s2
	s_addc_u32 s25, s5, s3
.LBB280_10:                             ;   in Loop: Header=BB280_6 Depth=1
	v_perm_b32 v3, v55, v54, s31
	v_perm_b32 v2, v51, v50, s31
	;; [unrolled: 1-line block ×4, first 2 shown]
	ds_write_b64 v73, v[2:3]
	ds_write_b64 v74, v[4:5]
	ds_write_b64 v77, v[2:3]
	ds_write_b64 v78, v[4:5]
	v_perm_b32 v3, v112, v88, s31
	v_perm_b32 v2, v85, v86, s31
	;; [unrolled: 1-line block ×4, first 2 shown]
	ds_write_b64 v75, v[2:3]
	ds_write_b64 v76, v[4:5]
	;; [unrolled: 1-line block ×4, first 2 shown]
	s_waitcnt lgkmcnt(0)
	s_barrier
	ds_read_b64 v[6:7], v83 offset:24576
	ds_read2_b64 v[2:5], v87 offset1:16
	ds_read_b64 v[10:11], v90 offset:3072
	ds_read_b64 v[12:13], v87 offset:3072
	;; [unrolled: 1-line block ×3, first 2 shown]
	s_waitcnt lgkmcnt(3)
	v_mfma_f32_16x16x16_bf16 a[0:3], v[6:7], v[2:3], 0
	s_add_i32 s60, s52, 63
	s_ashr_i32 s2, s60, 31
	s_mul_i32 s3, s60, s29
	v_mfma_f32_16x16x16_bf16 a[4:7], v[6:7], v[4:5], 0
	ds_read2st64_b64 v[2:5], v87 offset0:2 offset1:4
	s_mul_hi_u32 s27, s60, s28
	s_add_i32 s3, s27, s3
	s_waitcnt lgkmcnt(0)
	v_mfma_f32_16x16x16_bf16 a[0:3], v[14:15], v[2:3], a[0:3]
	ds_read2st64_b64 v[6:9], v90 offset0:2 offset1:4
	ds_read_b64 v[2:3], v91 offset:24576
	s_mul_i32 s2, s2, s28
	s_add_i32 s3, s3, s2
	s_waitcnt lgkmcnt(1)
	v_mfma_f32_16x16x16_bf16 a[4:7], v[14:15], v[6:7], a[4:7]
	ds_read_b64 v[6:7], v92 offset:24576
	s_mul_i32 s2, s60, s28
	s_lshl_b64 s[2:3], s[2:3], 2
	s_waitcnt lgkmcnt(1)
	v_mfma_f32_16x16x16_bf16 a[0:3], v[2:3], v[4:5], a[0:3]
	s_add_u32 s2, s40, s2
	s_addc_u32 s3, s41, s3
	s_and_b64 vcc, exec, s[0:1]
	v_mfma_f32_16x16x16_bf16 a[4:7], v[2:3], v[8:9], a[4:7]
	v_mov_b32_e32 v115, 0
	v_mov_b32_e32 v114, 0
	v_mov_b32_e32 v113, 0
	s_waitcnt lgkmcnt(0)
	v_mfma_f32_16x16x16_bf16 a[0:3], v[6:7], v[12:13], a[0:3]
	v_mov_b32_e32 v2, 0
	v_mov_b32_e32 v3, 0
	;; [unrolled: 1-line block ×3, first 2 shown]
	v_mfma_f32_16x16x16_bf16 a[4:7], v[6:7], v[10:11], a[4:7]
	v_mov_b32_e32 v5, 0
	v_mov_b32_e32 v6, 0
	;; [unrolled: 1-line block ×13, first 2 shown]
	s_cbranch_vccnz .LBB280_12
; %bb.11:                               ;   in Loop: Header=BB280_6 Depth=1
	s_and_b32 s21, s21, 0xffff
	buffer_load_dwordx4 v[14:17], v69, s[20:23], 0 offen
	buffer_load_dwordx4 v[10:13], v69, s[20:23], s55 offen
	;; [unrolled: 1-line block ×4, first 2 shown]
	v_mov_b32_e32 v114, v71
	v_mov_b32_e32 v113, v72
.LBB280_12:                             ;   in Loop: Header=BB280_6 Depth=1
	ds_read_b64 v[22:23], v83 offset:32768
	ds_read2_b64 v[18:21], v93 offset1:16
	ds_read_b64 v[26:27], v89 offset:32768
	ds_read_b64 v[28:29], v91 offset:32768
	;; [unrolled: 1-line block ×3, first 2 shown]
	v_add_u32_e32 v34, s52, v100
	s_waitcnt lgkmcnt(3)
	v_mfma_f32_16x16x16_bf16 a[0:3], v[22:23], v[18:19], a[0:3]
	v_mov_b32_e32 v116, 0
	v_mfma_f32_16x16x16_bf16 a[4:7], v[22:23], v[20:21], a[4:7]
	ds_read2st64_b64 v[18:21], v93 offset0:2 offset1:4
	ds_read2st64_b64 v[22:25], v94 offset0:2 offset1:4
	s_waitcnt lgkmcnt(1)
	v_mfma_f32_16x16x16_bf16 a[0:3], v[26:27], v[18:19], a[0:3]
	ds_read_b64 v[18:19], v93 offset:3072
	ds_read_b64 v[32:33], v94 offset:3072
	s_waitcnt lgkmcnt(2)
	v_mfma_f32_16x16x16_bf16 a[4:7], v[26:27], v[22:23], a[4:7]
	v_ashrrev_i32_e32 v22, 31, v34
	v_mul_lo_u32 v23, v34, s29
	v_mul_lo_u32 v22, v22, s28
	v_mfma_f32_16x16x16_bf16 a[0:3], v[28:29], v[20:21], a[0:3]
	v_mad_u64_u32 v[20:21], s[20:21], v34, s28, 0
	v_add3_u32 v21, v21, v23, v22
	v_add_u32_e32 v22, 1, v34
	v_ashrrev_i32_e32 v23, 31, v22
	v_mfma_f32_16x16x16_bf16 a[4:7], v[28:29], v[24:25], a[4:7]
	v_mul_lo_u32 v23, v23, s28
	v_mul_lo_u32 v24, v22, s29
	v_lshl_add_u64 v[20:21], v[20:21], 2, s[40:41]
	s_waitcnt lgkmcnt(1)
	v_mfma_f32_16x16x16_bf16 a[0:3], v[30:31], v[18:19], a[0:3]
	v_mad_u64_u32 v[18:19], s[20:21], v22, s28, 0
	v_add_u32_e32 v22, 2, v34
	v_add3_u32 v19, v19, v24, v23
	v_ashrrev_i32_e32 v23, 31, v22
	v_mul_lo_u32 v24, v23, s28
	v_mul_lo_u32 v25, v22, s29
	v_mad_u64_u32 v[22:23], s[20:21], v22, s28, 0
	v_add3_u32 v23, v23, v25, v24
	v_add_u32_e32 v24, 3, v34
	v_ashrrev_i32_e32 v25, 31, v24
	v_mul_lo_u32 v26, v25, s28
	v_mul_lo_u32 v27, v24, s29
	v_mad_u64_u32 v[24:25], s[20:21], v24, s28, 0
	v_add3_u32 v25, v25, v27, v26
	v_lshl_add_u64 v[24:25], v[24:25], 2, s[40:41]
	s_ashr_i32 s21, s52, 31
	v_lshl_add_u64 v[18:19], v[18:19], 2, s[40:41]
	v_lshl_add_u64 v[22:23], v[22:23], 2, s[40:41]
	global_load_dword v26, v[20:21], off
	global_load_dword v27, v[18:19], off
	global_load_dword v28, v[22:23], off
	s_nop 0
	global_load_dword v25, v[24:25], off
	s_add_u32 s20, s49, s52
	s_addc_u32 s21, s48, s21
	s_lshl_b64 s[20:21], s[20:21], 8
	v_lshl_add_u64 v[18:19], v[56:57], 0, s[20:21]
	v_lshl_add_u64 v[18:19], v[18:19], 0, v[52:53]
	global_load_ushort v29, v[18:19], off
	global_load_ushort v34, v[18:19], off offset:256
	global_load_ushort v35, v[18:19], off offset:800
	global_load_ushort v36, v[18:19], off offset:768
	global_load_ushort v37, v[18:19], off offset:544
	global_load_ushort v38, v[18:19], off offset:512
	global_load_ushort v39, v[18:19], off offset:288
	global_load_ushort v40, v[18:19], off offset:32
	s_load_dword s2, s[2:3], 0x0
	s_waitcnt lgkmcnt(0)
	v_mfma_f32_16x16x16_bf16 a[4:7], v[30:31], v[32:33], a[4:7]
	v_accvgpr_read_b32 v23, a1
	v_accvgpr_read_b32 v19, a3
	;; [unrolled: 1-line block ×4, first 2 shown]
	s_and_b64 vcc, exec, s[0:1]
	s_waitcnt vmcnt(11)
	v_sub_f32_e32 v24, s2, v26
	s_waitcnt vmcnt(10)
	v_sub_f32_e32 v32, s2, v27
	;; [unrolled: 2-line block ×4, first 2 shown]
	v_exp_f32_e32 v24, v24
	v_exp_f32_e32 v25, v32
	;; [unrolled: 1-line block ×4, first 2 shown]
	s_waitcnt vmcnt(6)
	v_lshlrev_b32_e32 v27, 16, v34
	v_lshlrev_b32_e32 v26, 16, v29
	s_waitcnt vmcnt(4)
	v_lshlrev_b32_e32 v29, 16, v36
	s_waitcnt vmcnt(2)
	v_lshlrev_b32_e32 v28, 16, v38
	v_pk_add_f32 v[22:23], v[26:27], v[22:23] neg_lo:[0,1] neg_hi:[0,1]
	v_pk_add_f32 v[18:19], v[28:29], v[18:19] neg_lo:[0,1] neg_hi:[0,1]
	v_pk_mul_f32 v[22:23], v[24:25], v[22:23]
	v_pk_mul_f32 v[18:19], v[32:33], v[18:19]
	s_waitcnt vmcnt(1)
	v_lshlrev_b32_e32 v31, 16, v39
	v_perm_b32 v19, v19, v18, s31
	v_perm_b32 v18, v23, v22, s31
	v_accvgpr_read_b32 v23, a5
	s_waitcnt vmcnt(0)
	v_lshlrev_b32_e32 v30, 16, v40
	v_accvgpr_read_b32 v22, a4
	v_pk_add_f32 v[22:23], v[30:31], v[22:23] neg_lo:[0,1] neg_hi:[0,1]
	v_accvgpr_read_b32 v21, a7
	v_accvgpr_read_b32 v20, a6
	v_pk_mul_f32 v[22:23], v[24:25], v[22:23]
	v_lshlrev_b32_e32 v25, 16, v35
	v_lshlrev_b32_e32 v24, 16, v37
	v_pk_add_f32 v[20:21], v[24:25], v[20:21] neg_lo:[0,1] neg_hi:[0,1]
	v_mov_b32_e32 v24, 0
	v_pk_mul_f32 v[20:21], v[32:33], v[20:21]
	v_mov_b32_e32 v25, 0
	v_perm_b32 v21, v21, v20, s31
	v_perm_b32 v20, v23, v22, s31
	ds_write2_b64 v74, v[18:19], v[20:21] offset1:16
	v_mov_b32_e32 v18, 0
	v_mov_b32_e32 v19, 0
	;; [unrolled: 1-line block ×14, first 2 shown]
	s_cbranch_vccnz .LBB280_14
; %bb.13:                               ;   in Loop: Header=BB280_6 Depth=1
	s_and_b32 s25, s25, 0xffff
	s_mov_b32 s27, s23
	buffer_load_dwordx4 v[30:33], v98, s[24:27], 0 offen
	buffer_load_dwordx4 v[22:25], v98, s[24:27], s55 offen
	;; [unrolled: 1-line block ×4, first 2 shown]
	v_mov_b32_e32 v115, v68
	v_mov_b32_e32 v116, v67
.LBB280_14:                             ;   in Loop: Header=BB280_6 Depth=1
	s_waitcnt lgkmcnt(0)
	s_barrier
	ds_read_b64 v[38:39], v102
	ds_read_b64 v[122:123], v97
	;; [unrolled: 1-line block ×5, first 2 shown]
	ds_read_b64 v[136:137], v94 offset:3072
	ds_read2_b64 v[34:37], v93 offset0:16 offset1:128
	s_waitcnt lgkmcnt(5)
	v_mfma_f32_16x16x16_bf16 a[0:3], v[38:39], v[122:123], 0
	s_add_i32 s3, s46, s58
	s_mul_hi_i32 s21, s3, s51
	s_mul_i32 s3, s3, s51
	s_waitcnt lgkmcnt(0)
	v_mfma_f32_16x16x16_bf16 a[4:7], v[38:39], v[34:35], 0
	ds_read_b64 v[38:39], v107
	ds_read2st64_b64 v[40:43], v94 offset0:2 offset1:4
	s_add_u32 s20, s3, s33
	s_addc_u32 s21, s21, s53
	s_lshl_b64 s[20:21], s[20:21], 15
	s_mul_i32 s24, s60, s51
	s_mul_hi_i32 s3, s60, s51
	s_add_u32 s24, s24, s33
	s_waitcnt lgkmcnt(1)
	v_mfma_f32_16x16x16_bf16 a[8:11], v[38:39], v[122:123], 0
	s_addc_u32 s25, s3, s53
	ds_read2st64_b64 v[118:121], v93 offset0:4 offset1:6
	s_lshl_b64 s[24:25], s[24:25], 9
	v_mfma_f32_16x16x16_bf16 a[0:3], v[124:125], v[36:37], a[0:3]
	s_add_u32 s24, s38, s24
	s_addc_u32 s25, s39, s25
	s_waitcnt lgkmcnt(1)
	v_mfma_f32_16x16x16_bf16 a[4:7], v[124:125], v[40:41], a[4:7]
	ds_read_b64 v[124:125], v108
	ds_read_b64 v[132:133], v109
	;; [unrolled: 1-line block ×3, first 2 shown]
	v_mfma_f32_16x16x16_bf16 a[12:15], v[38:39], v[34:35], 0
	s_waitcnt lgkmcnt(2)
	v_mfma_f32_16x16x16_bf16 a[8:11], v[124:125], v[36:37], a[8:11]
	global_load_dwordx4 v[34:37], v106, s[24:25]
	v_mfma_f32_16x16x16_bf16 a[12:15], v[124:125], v[40:41], a[12:15]
	global_load_dwordx4 v[38:41], v101, s[24:25]
	ds_read2st64_b64 v[122:125], v95 offset1:8
	s_waitcnt lgkmcnt(0)
	v_mov_b32_e32 v130, v122
	v_mfma_f32_16x16x16_bf16 a[0:3], v[126:127], v[118:119], a[0:3]
	v_mov_b32_e32 v131, v123
	v_mfma_f32_16x16x16_bf16 a[4:7], v[126:127], v[42:43], a[4:7]
	ds_read2st64_b64 v[126:129], v96 offset1:8
	v_mfma_f32_16x16x16_bf16 a[8:11], v[132:133], v[118:119], a[8:11]
	v_lshl_add_u64 v[118:119], v[58:59], 0, s[20:21]
	v_mfma_f32_16x16x16_bf16 a[16:19], v[132:133], v[42:43], a[12:15]
	v_add_co_u32_e32 v42, vcc, s17, v118
	s_waitcnt lgkmcnt(0)
	v_mov_b32_e32 v132, v126
	v_mfma_f32_16x16x16_bf16 a[0:3], v[134:135], v[120:121], a[0:3]
	v_mov_b32_e32 v133, v127
	v_mov_b32_e32 v126, v124
	;; [unrolled: 1-line block ×3, first 2 shown]
	v_mfma_f32_16x16x16_bf16 a[4:7], v[134:135], v[136:137], a[4:7]
	v_addc_co_u32_e32 v43, vcc, 0, v119, vcc
	global_store_dwordx4 v[42:43], v[126:129], off
	v_mfma_f32_16x16x16_bf16 a[12:15], v[138:139], v[120:121], a[8:11]
	s_and_b64 vcc, exec, s[0:1]
	global_store_dwordx4 v[118:119], v[130:133], off
	s_waitcnt vmcnt(3)
	v_mov_b32_e32 v44, v37
	v_mfma_f32_16x16x16_bf16 a[8:11], v[138:139], v[136:137], a[16:19]
	v_mov_b32_e32 v43, v36
	v_mov_b32_e32 v42, v35
	s_cbranch_vccnz .LBB280_16
; %bb.15:                               ;   in Loop: Header=BB280_6 Depth=1
	v_lshrrev_b32_e32 v35, 3, v115
	v_and_b32_e32 v35, 6, v35
	v_xor_b32_e32 v36, v35, v116
	v_lshlrev_b32_e32 v36, 2, v36
	v_and_b32_e32 v37, 8, v115
	v_xor_b32_e32 v115, 0x440, v36
	v_cmp_eq_u32_e32 vcc, 0, v37
	v_perm_b32 v37, v22, v18, s56
	s_nop 0
	v_cndmask_b32_e32 v36, v115, v36, vcc
	v_lshl_or_b32 v35, v35, 10, v36
	v_perm_b32 v36, v30, v26, s56
	s_barrier
	ds_write2st64_b32 v35, v36, v37 offset0:32 offset1:64
	v_xor_b32_e32 v36, 8, v35
	v_perm_b32 v26, v30, v26, s57
	v_perm_b32 v18, v22, v18, s57
	v_add_u32_e32 v22, 0x80, v36
	ds_write2st64_b32 v22, v26, v18 offset0:32 offset1:64
	v_xor_b32_e32 v18, 16, v35
	v_perm_b32 v22, v31, v27, s56
	v_perm_b32 v26, v23, v19, s56
	ds_write2st64_b32 v18, v22, v26 offset0:33 offset1:65
	v_xor_b32_e32 v18, 24, v35
	v_perm_b32 v22, v31, v27, s57
	v_perm_b32 v19, v23, v19, s57
	v_add_u32_e32 v18, 0x80, v18
	ds_write2st64_b32 v18, v22, v19 offset0:33 offset1:65
	v_xor_b32_e32 v18, 32, v35
	v_perm_b32 v19, v32, v28, s56
	v_perm_b32 v22, v24, v20, s56
	;; [unrolled: 9-line block ×3, first 2 shown]
	ds_write2st64_b32 v18, v19, v20 offset0:35 offset1:67
	v_xor_b32_e32 v18, 56, v35
	v_perm_b32 v19, v33, v29, s57
	v_perm_b32 v20, v25, v21, s57
	v_add_u32_e32 v18, 0x80, v18
	ds_write2st64_b32 v18, v19, v20 offset0:35 offset1:67
	ds_write_b64 v114, v[14:15] offset:24576
	v_xor_b32_e32 v14, 8, v114
	ds_write_b64 v14, v[16:17] offset:24576
	ds_write_b64 v114, v[10:11] offset:32768
	;; [unrolled: 1-line block ×4, first 2 shown]
	v_xor_b32_e32 v6, 8, v113
	ds_write_b64 v6, v[8:9] offset:24576
	ds_write_b64 v113, v[2:3] offset:32768
	;; [unrolled: 1-line block ×3, first 2 shown]
.LBB280_16:                             ;   in Loop: Header=BB280_6 Depth=1
	v_exp_f32_e32 v18, s2
	s_waitcnt vmcnt(2)
	v_exp_f32_e32 v20, v38
	v_exp_f32_e32 v21, v39
	;; [unrolled: 1-line block ×4, first 2 shown]
	v_accvgpr_read_b32 v13, a3
	v_accvgpr_read_b32 v11, a1
	;; [unrolled: 1-line block ×4, first 2 shown]
	v_pk_mul_f32 v[20:21], v[18:19], v[20:21] op_sel_hi:[0,1]
	v_accvgpr_read_b32 v12, a2
	v_accvgpr_read_b32 v7, a5
	;; [unrolled: 1-line block ×3, first 2 shown]
	v_pk_fma_f32 v[50:51], v[50:51], v[20:21], v[10:11]
	v_pk_mul_f32 v[10:11], v[18:19], v[22:23] op_sel_hi:[0,1]
	v_pk_fma_f32 v[54:55], v[54:55], v[10:11], v[12:13]
	v_fma_f32 v86, v86, v20, v6
	v_fma_f32 v85, v85, v21, v7
	v_exp_f32_e32 v6, v34
	v_exp_f32_e32 v7, v42
	;; [unrolled: 1-line block ×4, first 2 shown]
	v_accvgpr_read_b32 v8, a6
	v_accvgpr_read_b32 v17, a15
	;; [unrolled: 1-line block ×9, first 2 shown]
	v_fma_f32 v88, v88, v10, v8
	v_fmac_f32_e32 v9, v112, v11
	v_pk_mul_f32 v[6:7], v[18:19], v[6:7] op_sel_hi:[0,1]
	v_pk_mul_f32 v[10:11], v[18:19], v[12:13] op_sel_hi:[0,1]
	s_add_i32 s52, s52, 64
	v_pk_fma_f32 v[46:47], v[46:47], v[6:7], v[14:15]
	v_pk_fma_f32 v[48:49], v[48:49], v[10:11], v[16:17]
	v_fma_f32 v82, v82, v6, v2
	v_fma_f32 v81, v81, v7, v3
	;; [unrolled: 1-line block ×3, first 2 shown]
	s_cmp_eq_u32 s45, s59
	v_fmac_f32_e32 v5, v111, v11
	s_cbranch_scc1 .LBB280_18
; %bb.17:                               ;   in Loop: Header=BB280_6 Depth=1
	s_mov_b32 s58, s59
	v_mov_b32_e32 v112, v9
	v_mov_b32_e32 v111, v5
	s_branch .LBB280_6
.LBB280_18:
	s_lshl_b32 s0, s45, 6
	s_sub_i32 s40, s47, s0
	s_cmp_gt_i32 s40, 0
	s_cbranch_scc0 .LBB280_83
; %bb.19:
	s_add_i32 s34, s0, s34
	s_ashr_i32 s2, s34, 31
	s_cmpk_lg_i32 s15, 0x80
	s_cselect_b64 s[26:27], -1, 0
	s_and_b64 vcc, exec, s[26:27]
	s_cbranch_vccz .LBB280_21
; %bb.20:
	s_mul_i32 s1, s34, s14
	s_ashr_i32 s3, s50, 31
	s_mul_hi_i32 s0, s34, s14
	s_add_u32 s38, s1, s50
	s_addc_u32 s39, s0, s3
	s_cbranch_execz .LBB280_22
	s_branch .LBB280_23
.LBB280_21:
                                        ; implicit-def: $sgpr38_sgpr39
.LBB280_22:
	s_mul_i32 s1, s50, s12
	s_mul_hi_i32 s0, s50, s12
	s_add_u32 s38, s1, s34
	s_addc_u32 s39, s0, s2
.LBB280_23:
	s_add_i32 s3, s45, s46
	s_ashr_i32 s12, s33, 31
	s_add_u32 s0, s49, s34
	v_lshlrev_b32_e32 v8, 5, v65
	v_lshlrev_b32_e32 v22, 2, v45
	s_addc_u32 s1, s48, s2
	s_mov_b32 s2, 0x7060302
	v_or_b32_e32 v11, v8, v22
	v_xor_b32_e32 v4, v65, v22
	v_perm_b32 v3, v55, v54, s2
	v_perm_b32 v2, v51, v50, s2
	;; [unrolled: 1-line block ×4, first 2 shown]
	v_lshlrev_b32_e32 v11, 1, v11
	s_lshl_b64 s[24:25], s[0:1], 8
	v_xor_b32_e32 v10, v66, v22
	ds_write2st64_b64 v11, v[2:3], v[6:7] offset0:80 offset1:88
	v_lshlrev_b32_e32 v11, 1, v4
	v_lshlrev_b32_e32 v4, 8, v45
	s_add_u32 s0, s6, s24
	v_or_b32_e32 v12, v11, v4
	v_lshlrev_b32_e32 v10, 1, v10
	s_addc_u32 s1, s7, s25
	ds_write_b64 v12, v[2:3]
	v_or_b32_e32 v2, v10, v4
	s_mul_hi_i32 s6, s3, s13
	s_mul_i32 s3, s3, s13
	ds_write_b64 v2, v[6:7]
	v_perm_b32 v3, v9, v88, s2
	v_perm_b32 v2, v85, v86, s2
	v_perm_b32 v5, v5, v84, s2
	v_perm_b32 v4, v81, v82, s2
	v_or_b32_e32 v6, 16, v45
	s_add_u32 s2, s3, s33
	v_lshlrev_b32_e32 v19, 2, v6
	s_addc_u32 s3, s6, s12
	v_or_b32_e32 v7, v8, v19
	s_ashr_i32 s31, s30, 31
	s_lshl_b64 s[2:3], s[2:3], 15
	v_lshlrev_b32_e32 v7, 1, v7
	v_lshlrev_b32_e32 v6, 8, v6
	s_add_u32 s6, s36, s2
	ds_write2st64_b64 v7, v[2:3], v[4:5] offset0:80 offset1:88
	v_or_b32_e32 v7, v11, v6
	s_addc_u32 s7, s37, s3
	s_lshl_b64 s[2:3], s[30:31], 8
	ds_write_b64 v7, v[2:3]
	v_or_b32_e32 v2, v10, v6
	s_add_u32 s2, s6, s2
	ds_write_b64 v2, v[4:5]
	v_lshrrev_b32_e32 v2, 4, v0
	s_addc_u32 s3, s7, s3
	v_lshlrev_b32_e32 v3, 1, v45
	v_lshlrev_b32_e32 v10, 4, v45
	v_mov_b32_e32 v11, 0
	v_or_b32_e32 v4, 1, v3
	v_xor_b32_e32 v3, v2, v3
	v_lshl_add_u64 v[12:13], s[2:3], 0, v[10:11]
	v_lshlrev_b32_e32 v10, 8, v2
	v_xor_b32_e32 v6, v4, v2
	v_lshl_or_b32 v2, v3, 3, v10
	s_waitcnt lgkmcnt(0)
	s_barrier
	ds_read2st64_b64 v[2:5], v2 offset1:8
	v_lshl_or_b32 v6, v6, 3, v10
	ds_read2st64_b64 v[6:9], v6 offset1:8
	v_lshl_add_u64 v[14:15], v[12:13], 0, v[10:11]
	s_movk_i32 s2, 0x1000
	s_waitcnt lgkmcnt(1)
	v_mov_b32_e32 v10, v2
	v_add_co_u32_e32 v2, vcc, s2, v14
	s_cmp_lg_u32 s40, 64
	v_mov_b32_e32 v11, v3
	v_addc_co_u32_e32 v3, vcc, 0, v15, vcc
	s_cselect_b64 s[6:7], -1, 0
	v_lshl_or_b32 v23, v61, 3, v64
	s_waitcnt lgkmcnt(0)
	v_mov_b32_e32 v12, v6
	v_mov_b32_e32 v13, v7
	;; [unrolled: 1-line block ×4, first 2 shown]
	s_mov_b32 s20, 0
	v_or_b32_e32 v20, 32, v23
	v_and_b32_e32 v18, 56, v63
	s_and_b64 vcc, exec, s[6:7]
	global_store_dwordx4 v[14:15], v[10:13], off
	global_store_dwordx4 v[2:3], v[6:9], off
	s_cbranch_vccz .LBB280_29
; %bb.24:
	s_mov_b32 s21, s20
	s_mov_b32 s22, s20
	;; [unrolled: 1-line block ×3, first 2 shown]
	v_mov_b64_e32 v[6:7], s[20:21]
	v_mov_b64_e32 v[8:9], s[22:23]
	v_mov_b64_e32 v[2:3], v[6:7]
	v_cmp_gt_i32_e32 vcc, s40, v23
	v_mov_b64_e32 v[4:5], v[8:9]
	s_and_saveexec_b64 s[2:3], vcc
	s_cbranch_execz .LBB280_26
; %bb.25:
	v_lshlrev_b32_e32 v2, 8, v23
	v_mov_b32_e32 v3, 0
	v_lshl_add_u64 v[4:5], s[0:1], 0, v[2:3]
	v_lshlrev_b32_e32 v2, 1, v18
	v_lshl_add_u64 v[10:11], v[4:5], 0, v[2:3]
	global_load_dwordx4 v[6:9], v[10:11], off
	global_load_dwordx4 v[2:5], v[10:11], off offset:128
.LBB280_26:
	s_or_b64 exec, exec, s[2:3]
	s_mov_b32 s21, s20
	s_mov_b32 s22, s20
	;; [unrolled: 1-line block ×3, first 2 shown]
	v_mov_b64_e32 v[14:15], s[20:21]
	v_mov_b64_e32 v[16:17], s[22:23]
	;; [unrolled: 1-line block ×3, first 2 shown]
	v_cmp_gt_i32_e32 vcc, s40, v20
	v_lshlrev_b32_e32 v21, 7, v20
	v_mov_b64_e32 v[12:13], v[16:17]
	s_and_saveexec_b64 s[2:3], vcc
	s_cbranch_execz .LBB280_28
; %bb.27:
	v_lshlrev_b32_e32 v10, 1, v21
	v_mov_b32_e32 v11, 0
	v_lshl_add_u64 v[12:13], s[0:1], 0, v[10:11]
	v_lshlrev_b32_e32 v10, 1, v18
	v_lshl_add_u64 v[24:25], v[12:13], 0, v[10:11]
	global_load_dwordx4 v[14:17], v[24:25], off
	global_load_dwordx4 v[10:13], v[24:25], off offset:128
.LBB280_28:
	s_or_b64 exec, exec, s[2:3]
	v_lshrrev_b32_e32 v24, 3, v18
	v_lshlrev_b32_e32 v25, 3, v23
	v_or_b32_e32 v24, v25, v24
	v_lshlrev_b32_e32 v24, 4, v24
	v_and_b32_e32 v25, 0x78, v25
	v_xor_b32_e32 v24, v24, v25
	s_branch .LBB280_31
.LBB280_29:
                                        ; implicit-def: $vgpr24
                                        ; implicit-def: $vgpr21
                                        ; implicit-def: $vgpr6_vgpr7_vgpr8_vgpr9
                                        ; implicit-def: $vgpr2_vgpr3_vgpr4_vgpr5
                                        ; implicit-def: $vgpr14_vgpr15_vgpr16_vgpr17
                                        ; implicit-def: $vgpr10_vgpr11_vgpr12_vgpr13
	s_cbranch_execz .LBB280_31
; %bb.30:
	s_waitcnt vmcnt(0)
	v_lshlrev_b32_e32 v2, 1, v18
	v_lshl_or_b32 v21, v23, 8, v2
	s_and_b32 s1, s1, 0xffff
	s_mov_b32 s3, 0x20000
	s_movk_i32 s2, 0x4000
	v_lshl_or_b32 v24, v20, 8, v2
	s_movk_i32 s13, 0x80
	buffer_load_dwordx4 v[6:9], v21, s[0:3], 0 offen
	buffer_load_dwordx4 v[2:5], v21, s[0:3], s13 offen
	;; [unrolled: 1-line block ×4, first 2 shown]
	v_lshrrev_b32_e32 v21, 3, v18
	v_lshlrev_b32_e32 v24, 3, v23
	v_or_b32_e32 v21, v24, v21
	v_lshlrev_b32_e32 v21, 4, v21
	v_and_b32_e32 v24, 0x78, v24
	v_xor_b32_e32 v24, v21, v24
	v_lshlrev_b32_e32 v21, 7, v20
.LBB280_31:
	s_lshl_b64 s[0:1], s[38:39], 8
	s_add_u32 s4, s4, s0
	s_movk_i32 s0, 0x1000
	v_and_or_b32 v20, v21, s0, v24
	s_waitcnt vmcnt(1)
	ds_write_b64 v24, v[6:7] offset:24576
	v_xor_b32_e32 v6, 8, v24
	ds_write_b64 v6, v[8:9] offset:24576
	s_waitcnt vmcnt(0)
	ds_write_b64 v24, v[2:3] offset:32768
	ds_write_b64 v6, v[4:5] offset:32768
	;; [unrolled: 1-line block ×3, first 2 shown]
	v_xor_b32_e32 v2, 8, v20
	ds_write_b64 v2, v[16:17] offset:24576
	ds_write_b64 v20, v[10:11] offset:32768
	;; [unrolled: 1-line block ×3, first 2 shown]
	v_or_b32_e32 v2, v1, v45
	v_lshlrev_b32_e32 v3, 11, v61
	v_lshlrev_b32_e32 v2, 3, v2
	v_and_b32_e32 v6, 0x1000, v3
	v_lshrrev_b32_e32 v3, 5, v60
	s_movk_i32 s13, 0xf8
	v_and_or_b32 v3, v2, s13, v3
	v_lshlrev_b32_e32 v7, 4, v3
	v_and_b32_e32 v8, 0x78, v2
	v_or_b32_e32 v10, 32, v7
	v_lshrrev_b32_e32 v3, 1, v60
	v_xor_b32_e32 v10, v10, v8
	v_xor_b32_e32 v2, v7, v8
	v_and_b32_e32 v9, 8, v3
	v_or_b32_e32 v10, v10, v6
	v_or_b32_e32 v2, v2, v6
	v_xor_b32_e32 v26, v10, v9
	v_or_b32_e32 v10, 64, v7
	v_xor_b32_e32 v25, v2, v9
	v_xor_b32_e32 v10, v10, v8
	s_waitcnt lgkmcnt(0)
	s_barrier
	v_or_b32_e32 v12, v10, v6
	ds_read_b64 v[10:11], v25 offset:24576
	v_lshl_or_b32 v20, v62, 7, v22
	v_lshlrev_b32_e32 v24, 1, v20
	v_add_u32_e32 v2, 0xa000, v24
	ds_read2_b64 v[2:5], v2 offset1:16
	v_or_b32_e32 v7, 0x60, v7
	v_xor_b32_e32 v7, v7, v8
	s_waitcnt lgkmcnt(0)
	v_mfma_f32_16x16x16_bf16 a[0:3], v[10:11], v[2:3], 0
	v_or_b32_e32 v2, 64, v20
	v_or_b32_e32 v6, v7, v6
	v_lshlrev_b32_e32 v29, 1, v2
	v_xor_b32_e32 v27, v12, v9
	v_xor_b32_e32 v28, v6, v9
	ds_read_b64 v[12:13], v26 offset:24576
	ds_read_b64 v[14:15], v27 offset:24576
	;; [unrolled: 1-line block ×3, first 2 shown]
	v_mfma_f32_16x16x16_bf16 a[4:7], v[10:11], v[4:5], 0
	ds_read2st64_b64 v[2:5], v29 offset0:82 offset1:84
	ds_read2st64_b64 v[6:9], v24 offset0:82 offset1:84
	s_addc_u32 s5, s5, s1
	s_add_i32 s0, s43, s42
	s_add_i32 s2, s35, -1
	s_add_i32 s17, s0, s44
	s_mul_i32 s0, s33, s19
	s_mul_hi_u32 s1, s33, s18
	s_add_i32 s0, s1, s0
	s_mul_i32 s1, s12, s18
	s_ashr_i32 s3, s2, 31
	s_mul_i32 s12, s2, s29
	s_mul_hi_u32 s13, s2, s28
	s_add_i32 s12, s13, s12
	s_mul_i32 s3, s3, s28
	s_waitcnt lgkmcnt(1)
	v_mfma_f32_16x16x16_bf16 a[4:7], v[12:13], v[2:3], a[4:7]
	s_add_i32 s1, s0, s1
	s_add_i32 s3, s12, s3
	s_lshl_b64 s[12:13], s[16:17], 2
	s_waitcnt lgkmcnt(0)
	v_mfma_f32_16x16x16_bf16 a[0:3], v[12:13], v[6:7], a[0:3]
	s_mul_i32 s0, s33, s18
	s_add_u32 s10, s10, s12
	s_addc_u32 s11, s11, s13
	s_lshl_b64 s[0:1], s[0:1], 2
	s_mul_i32 s2, s2, s28
	s_add_u32 s10, s10, s0
	ds_read_b64 v[2:3], v24 offset:44032
	v_mfma_f32_16x16x16_bf16 a[4:7], v[14:15], v[4:5], a[4:7]
	ds_read_b64 v[4:5], v29 offset:44032
	s_addc_u32 s11, s11, s1
	s_lshl_b64 s[0:1], s[2:3], 2
	v_mfma_f32_16x16x16_bf16 a[0:3], v[14:15], v[8:9], a[0:3]
	s_add_u32 s0, s10, s0
	s_addc_u32 s1, s11, s1
	s_load_dword s12, s[0:1], 0x0
	s_waitcnt lgkmcnt(0)
	v_mfma_f32_16x16x16_bf16 a[0:3], v[16:17], v[2:3], a[0:3]
	s_and_b64 vcc, exec, s[26:27]
	v_mfma_f32_16x16x16_bf16 a[4:7], v[16:17], v[4:5], a[4:7]
	s_cbranch_vccz .LBB280_42
; %bb.32:
	v_lshlrev_b32_e32 v20, 1, v23
	s_and_b64 vcc, exec, s[6:7]
	s_cbranch_vccz .LBB280_43
; %bb.33:
	v_cmp_gt_i32_e32 vcc, s40, v20
	v_mov_b32_e32 v6, 0
	v_mov_b32_e32 v2, 0
	;; [unrolled: 1-line block ×5, first 2 shown]
	s_and_saveexec_b64 s[0:1], vcc
	s_cbranch_execz .LBB280_35
; %bb.34:
	v_mad_i64_i32 v[2:3], s[2:3], s15, v20, 0
	v_lshl_add_u64 v[2:3], v[2:3], 1, s[4:5]
	v_lshlrev_b32_e32 v4, 1, v18
	v_mov_b32_e32 v5, 0
	v_lshl_add_u64 v[2:3], v[2:3], 0, v[4:5]
	global_load_dwordx4 v[2:5], v[2:3], off
.LBB280_35:
	s_or_b64 exec, exec, s[0:1]
	v_or_b32_e32 v21, 1, v20
	v_cmp_gt_i32_e64 s[0:1], s40, v21
	v_mov_b32_e32 v7, 0
	v_mov_b32_e32 v8, 0
	;; [unrolled: 1-line block ×3, first 2 shown]
	s_and_saveexec_b64 s[2:3], s[0:1]
	s_cbranch_execz .LBB280_37
; %bb.36:
	v_mad_i64_i32 v[6:7], s[16:17], s15, v21, 0
	v_lshl_add_u64 v[6:7], v[6:7], 1, s[4:5]
	v_lshlrev_b32_e32 v8, 1, v18
	v_mov_b32_e32 v9, 0
	v_lshl_add_u64 v[6:7], v[6:7], 0, v[8:9]
	global_load_dwordx4 v[6:9], v[6:7], off
.LBB280_37:
	s_or_b64 exec, exec, s[2:3]
	v_mov_b32_e32 v17, 0
	v_mov_b32_e32 v10, 0
	;; [unrolled: 1-line block ×5, first 2 shown]
	s_and_saveexec_b64 s[2:3], vcc
	s_cbranch_execz .LBB280_39
; %bb.38:
	v_mad_i64_i32 v[10:11], s[16:17], s15, v20, 0
	v_lshl_add_u64 v[10:11], v[10:11], 1, s[4:5]
	v_lshlrev_b32_e32 v12, 1, v18
	v_mov_b32_e32 v13, 0
	v_lshl_add_u64 v[10:11], v[10:11], 0, v[12:13]
	global_load_dwordx4 v[10:13], v[10:11], off offset:128
.LBB280_39:
	s_or_b64 exec, exec, s[2:3]
	v_mov_b32_e32 v16, 0
	v_mov_b32_e32 v15, 0
	;; [unrolled: 1-line block ×3, first 2 shown]
	s_and_saveexec_b64 s[2:3], s[0:1]
	s_cbranch_execz .LBB280_41
; %bb.40:
	v_mad_i64_i32 v[14:15], s[0:1], s15, v21, 0
	v_lshl_add_u64 v[14:15], v[14:15], 1, s[4:5]
	v_lshlrev_b32_e32 v16, 1, v18
	v_mov_b32_e32 v17, 0
	v_lshl_add_u64 v[14:15], v[14:15], 0, v[16:17]
	global_load_dwordx4 v[14:17], v[14:15], off offset:128
.LBB280_41:
	s_or_b64 exec, exec, s[2:3]
	s_branch .LBB280_45
.LBB280_42:
                                        ; implicit-def: $vgpr5
                                        ; implicit-def: $vgpr9
                                        ; implicit-def: $vgpr13
                                        ; implicit-def: $vgpr17
	v_lshrrev_b32_e32 v30, 2, v60
	s_branch .LBB280_46
.LBB280_43:
                                        ; implicit-def: $vgpr5
                                        ; implicit-def: $vgpr9
                                        ; implicit-def: $vgpr13
                                        ; implicit-def: $vgpr17
	s_cbranch_execz .LBB280_45
; %bb.44:
	s_waitcnt vmcnt(0)
	v_mad_u64_u32 v[2:3], s[0:1], v20, s15, v[18:19]
	v_lshlrev_b32_e32 v20, 1, v2
	s_lshl_b32 s2, s15, 7
	s_and_b32 s1, s5, 0xffff
	s_mov_b32 s3, 0x20000
	s_mov_b32 s0, s4
	v_add_lshl_u32 v21, v2, s15, 1
	s_movk_i32 s13, 0x80
	buffer_load_dwordx4 v[2:5], v20, s[0:3], 0 offen
	buffer_load_dwordx4 v[10:13], v20, s[0:3], s13 offen
	;; [unrolled: 1-line block ×4, first 2 shown]
.LBB280_45:
	v_lshrrev_b32_e32 v30, 2, v60
	s_cbranch_execnz .LBB280_58
.LBB280_46:
	s_and_b64 vcc, exec, s[6:7]
	s_cbranch_vccz .LBB280_56
; %bb.47:
	s_waitcnt vmcnt(0)
	v_lshlrev_b32_e32 v7, 1, v23
	v_cmp_gt_i32_e32 vcc, s40, v7
	v_mov_b32_e32 v6, 0
	v_lshlrev_b32_e32 v14, 9, v23
	v_mov_b32_e32 v2, 0
	v_mov_b32_e32 v3, 0
	;; [unrolled: 1-line block ×4, first 2 shown]
	s_and_saveexec_b64 s[0:1], vcc
	s_cbranch_execz .LBB280_49
; %bb.48:
	v_mov_b32_e32 v15, 0
	v_lshl_add_u64 v[2:3], s[4:5], 0, v[14:15]
	v_lshlrev_b32_e32 v4, 1, v18
	v_mov_b32_e32 v5, v15
	v_lshl_add_u64 v[2:3], v[2:3], 0, v[4:5]
	global_load_dwordx4 v[2:5], v[2:3], off
.LBB280_49:
	s_or_b64 exec, exec, s[0:1]
	v_or_b32_e32 v7, 1, v7
	v_cmp_gt_i32_e64 s[0:1], s40, v7
	v_lshlrev_b32_e32 v20, 8, v7
	v_mov_b32_e32 v7, 0
	v_mov_b32_e32 v8, 0
	;; [unrolled: 1-line block ×3, first 2 shown]
	s_and_saveexec_b64 s[2:3], s[0:1]
	s_cbranch_execz .LBB280_51
; %bb.50:
	v_mov_b32_e32 v21, 0
	v_lshl_add_u64 v[6:7], s[4:5], 0, v[20:21]
	v_lshlrev_b32_e32 v8, 1, v18
	v_mov_b32_e32 v9, v21
	v_lshl_add_u64 v[6:7], v[6:7], 0, v[8:9]
	global_load_dwordx4 v[6:9], v[6:7], off
.LBB280_51:
	s_or_b64 exec, exec, s[2:3]
	v_mov_b32_e32 v17, 0
	v_mov_b32_e32 v10, 0
	v_mov_b32_e32 v11, 0
	v_mov_b32_e32 v12, 0
	v_mov_b32_e32 v13, 0
	s_and_saveexec_b64 s[2:3], vcc
	s_cbranch_execz .LBB280_53
; %bb.52:
	v_mov_b32_e32 v15, 0
	v_lshl_add_u64 v[10:11], s[4:5], 0, v[14:15]
	v_lshlrev_b32_e32 v14, 1, v18
	v_lshl_add_u64 v[10:11], v[10:11], 0, v[14:15]
	global_load_dwordx4 v[10:13], v[10:11], off offset:128
.LBB280_53:
	s_or_b64 exec, exec, s[2:3]
	v_mov_b32_e32 v16, 0
	v_mov_b32_e32 v15, 0
	;; [unrolled: 1-line block ×3, first 2 shown]
	s_and_saveexec_b64 s[2:3], s[0:1]
	s_cbranch_execz .LBB280_55
; %bb.54:
	v_mov_b32_e32 v21, 0
	v_lshl_add_u64 v[14:15], s[4:5], 0, v[20:21]
	v_lshlrev_b32_e32 v20, 1, v18
	v_lshl_add_u64 v[14:15], v[14:15], 0, v[20:21]
	global_load_dwordx4 v[14:17], v[14:15], off offset:128
.LBB280_55:
	s_or_b64 exec, exec, s[2:3]
	s_branch .LBB280_58
.LBB280_56:
                                        ; implicit-def: $vgpr5
                                        ; implicit-def: $vgpr9
                                        ; implicit-def: $vgpr13
                                        ; implicit-def: $vgpr17
	s_cbranch_execz .LBB280_58
; %bb.57:
	s_waitcnt vmcnt(0)
	v_lshlrev_b32_e32 v2, 1, v18
	v_lshl_or_b32 v18, v23, 9, v2
	s_and_b32 s5, s5, 0xffff
	s_mov_b32 s7, 0x20000
	s_movk_i32 s6, 0x4000
	s_movk_i32 s0, 0x80
	buffer_load_dwordx4 v[2:5], v18, s[4:7], 0 offen
	buffer_load_dwordx4 v[6:9], v18, s[4:7], 0 offen offset:256
	buffer_load_dwordx4 v[10:13], v18, s[4:7], s0 offen
	buffer_load_dwordx4 v[14:17], v18, s[4:7], s0 offen offset:256
.LBB280_58:
	ds_read_b64 v[20:21], v25 offset:32768
	v_add_u32_e32 v18, 0xb000, v24
	ds_read2_b64 v[32:35], v18 offset1:16
	ds_read_b64 v[40:41], v26 offset:32768
	ds_read_b64 v[26:27], v27 offset:32768
	;; [unrolled: 1-line block ×3, first 2 shown]
	v_and_b32_e32 v18, 6, v0
	v_xor_b32_e32 v23, v23, v18
	v_lshlrev_b32_e32 v23, 2, v23
	v_and_b32_e32 v0, 1, v0
	v_xor_b32_e32 v28, 0x440, v23
	v_cmp_eq_u32_e32 vcc, 0, v0
	s_waitcnt lgkmcnt(3)
	v_mfma_f32_16x16x16_bf16 a[0:3], v[20:21], v[32:33], a[0:3]
	s_mov_b32 s0, 0x1000504
	v_cndmask_b32_e32 v0, v28, v23, vcc
	v_lshl_or_b32 v0, v18, 10, v0
	v_mfma_f32_16x16x16_bf16 a[4:7], v[20:21], v[34:35], a[4:7]
	ds_read2st64_b64 v[32:35], v24 offset0:90 offset1:92
	ds_read2st64_b64 v[36:39], v29 offset0:90 offset1:92
	ds_read_b64 v[20:21], v24 offset:48128
	ds_read_b64 v[24:25], v29 offset:48128
	s_waitcnt vmcnt(0)
	v_perm_b32 v18, v2, v6, s0
	s_waitcnt lgkmcnt(3)
	v_mfma_f32_16x16x16_bf16 a[0:3], v[40:41], v[32:33], a[0:3]
	s_mov_b32 s1, 0x3020706
	v_perm_b32 v2, v2, v6, s1
	v_perm_b32 v6, v10, v14, s1
	s_waitcnt lgkmcnt(2)
	v_mfma_f32_16x16x16_bf16 a[4:7], v[40:41], v[36:37], a[4:7]
	v_mfma_f32_16x16x16_bf16 a[0:3], v[26:27], v[34:35], a[0:3]
	;; [unrolled: 1-line block ×3, first 2 shown]
	s_waitcnt lgkmcnt(1)
	v_mfma_f32_16x16x16_bf16 a[4:7], v[42:43], v[20:21], a[0:3]
	v_perm_b32 v20, v10, v14, s0
	ds_write2st64_b32 v0, v18, v20 offset0:32 offset1:64
	v_xor_b32_e32 v18, 8, v0
	v_add_u32_e32 v10, 0x80, v18
	ds_write2st64_b32 v10, v2, v6 offset0:32 offset1:64
	v_xor_b32_e32 v2, 16, v0
	v_perm_b32 v6, v3, v7, s0
	v_perm_b32 v10, v11, v15, s0
	ds_write2st64_b32 v2, v6, v10 offset0:33 offset1:65
	v_xor_b32_e32 v2, 24, v0
	v_perm_b32 v3, v3, v7, s1
	v_perm_b32 v6, v11, v15, s1
	v_add_u32_e32 v2, 0x80, v2
	ds_write2st64_b32 v2, v3, v6 offset0:33 offset1:65
	v_xor_b32_e32 v2, 32, v0
	v_perm_b32 v3, v4, v8, s0
	v_perm_b32 v6, v12, v16, s0
	s_waitcnt lgkmcnt(4)
	v_mfma_f32_16x16x16_bf16 a[0:3], v[42:43], v[24:25], a[8:11]
	ds_write2st64_b32 v2, v3, v6 offset0:34 offset1:66
	v_xor_b32_e32 v2, 40, v0
	v_perm_b32 v3, v4, v8, s1
	v_perm_b32 v4, v12, v16, s1
	v_add_u32_e32 v2, 0x80, v2
	ds_write2st64_b32 v2, v3, v4 offset0:34 offset1:66
	v_xor_b32_e32 v2, 48, v0
	v_perm_b32 v3, v5, v9, s0
	v_perm_b32 v4, v13, v17, s0
	v_xor_b32_e32 v0, 56, v0
	v_and_or_b32 v18, v30, 12, v1
	ds_write2st64_b32 v2, v3, v4 offset0:35 offset1:67
	v_perm_b32 v2, v5, v9, s1
	v_perm_b32 v3, v13, v17, s1
	v_add_u32_e32 v0, 0x80, v0
	v_cmp_gt_i32_e32 vcc, s40, v18
	v_mov_b32_e32 v14, 0
	v_mov_b32_e32 v16, 0
	ds_write2st64_b32 v0, v2, v3 offset0:35 offset1:67
	s_and_saveexec_b64 s[0:1], vcc
	s_cbranch_execz .LBB280_60
; %bb.59:
	v_add_u32_e32 v0, s34, v18
	v_ashrrev_i32_e32 v1, 31, v0
	v_mul_lo_u32 v2, v1, s28
	v_mul_lo_u32 v3, v0, s29
	v_mad_u64_u32 v[0:1], s[2:3], v0, s28, 0
	v_add3_u32 v1, v1, v3, v2
	v_lshl_add_u64 v[0:1], v[0:1], 2, s[10:11]
	global_load_dword v0, v[0:1], off
	s_waitcnt vmcnt(0)
	v_sub_f32_e32 v0, s12, v0
	v_exp_f32_e32 v16, v0
.LBB280_60:
	s_or_b64 exec, exec, s[0:1]
	v_or_b32_e32 v8, 1, v18
	v_cmp_gt_i32_e64 s[0:1], s40, v8
	s_and_saveexec_b64 s[2:3], s[0:1]
	s_cbranch_execz .LBB280_62
; %bb.61:
	v_add_u32_e32 v0, s34, v8
	v_ashrrev_i32_e32 v1, 31, v0
	v_mul_lo_u32 v2, v1, s28
	v_mul_lo_u32 v3, v0, s29
	v_mad_u64_u32 v[0:1], s[4:5], v0, s28, 0
	v_add3_u32 v1, v1, v3, v2
	v_lshl_add_u64 v[0:1], v[0:1], 2, s[10:11]
	global_load_dword v0, v[0:1], off
	s_waitcnt vmcnt(0)
	v_sub_f32_e32 v0, s12, v0
	v_exp_f32_e32 v14, v0
.LBB280_62:
	s_or_b64 exec, exec, s[2:3]
	v_or_b32_e32 v10, 2, v18
	v_cmp_gt_i32_e64 s[2:3], s40, v10
	v_mov_b32_e32 v15, 0
	v_mov_b32_e32 v17, 0
	s_and_saveexec_b64 s[4:5], s[2:3]
	s_cbranch_execz .LBB280_64
; %bb.63:
	v_add_u32_e32 v0, s34, v10
	v_ashrrev_i32_e32 v1, 31, v0
	v_mul_lo_u32 v2, v1, s28
	v_mul_lo_u32 v3, v0, s29
	v_mad_u64_u32 v[0:1], s[6:7], v0, s28, 0
	v_add3_u32 v1, v1, v3, v2
	v_lshl_add_u64 v[0:1], v[0:1], 2, s[10:11]
	global_load_dword v0, v[0:1], off
	s_waitcnt vmcnt(0)
	v_sub_f32_e32 v0, s12, v0
	v_exp_f32_e32 v17, v0
.LBB280_64:
	s_or_b64 exec, exec, s[4:5]
	v_or_b32_e32 v12, 3, v18
	v_cmp_gt_i32_e64 s[4:5], s40, v12
	s_and_saveexec_b64 s[6:7], s[4:5]
	s_cbranch_execz .LBB280_66
; %bb.65:
	v_add_u32_e32 v0, s34, v12
	v_ashrrev_i32_e32 v1, 31, v0
	v_mul_lo_u32 v2, v1, s28
	v_mul_lo_u32 v3, v0, s29
	v_mad_u64_u32 v[0:1], s[14:15], v0, s28, 0
	v_add3_u32 v1, v1, v3, v2
	v_lshl_add_u64 v[0:1], v[0:1], 2, s[10:11]
	global_load_dword v0, v[0:1], off
	s_waitcnt vmcnt(0)
	v_sub_f32_e32 v0, s12, v0
	v_exp_f32_e32 v15, v0
.LBB280_66:
	s_or_b64 exec, exec, s[6:7]
	v_or_b32_e32 v4, s30, v45
	s_add_u32 s6, s8, s24
	v_accvgpr_read_b32 v0, a4
	s_addc_u32 s7, s9, s25
	v_ashrrev_i32_e32 v5, 31, v4
	v_accvgpr_read_b32 v1, a5
	v_accvgpr_read_b32 v2, a6
	;; [unrolled: 1-line block ×3, first 2 shown]
	v_lshl_add_u64 v[4:5], v[4:5], 1, s[6:7]
	v_mov_b32_e32 v9, 0
	v_lshlrev_b32_e32 v6, 8, v18
	v_mov_b32_e32 v7, 0
	s_and_saveexec_b64 s[6:7], vcc
	s_cbranch_execz .LBB280_68
; %bb.67:
	v_mov_b32_e32 v7, 0
	v_lshl_add_u64 v[20:21], v[4:5], 0, v[6:7]
	global_load_ushort v7, v[20:21], off
	s_waitcnt vmcnt(0)
	v_lshlrev_b32_e32 v7, 16, v7
	v_sub_f32_e32 v0, v7, v0
	v_mul_f32_e32 v0, v16, v0
	v_lshrrev_b32_e32 v7, 16, v0
.LBB280_68:
	s_or_b64 exec, exec, s[6:7]
	v_lshlrev_b32_e32 v8, 8, v8
	s_and_saveexec_b64 s[6:7], s[0:1]
	s_cbranch_execz .LBB280_70
; %bb.69:
	v_mov_b32_e32 v9, 0
	v_lshl_add_u64 v[20:21], v[4:5], 0, v[8:9]
	global_load_ushort v0, v[20:21], off
	s_waitcnt vmcnt(0)
	v_lshlrev_b32_e32 v0, 16, v0
	v_sub_f32_e32 v0, v0, v1
	v_mul_f32_e32 v0, v14, v0
	v_lshrrev_b32_e32 v9, 16, v0
.LBB280_70:
	s_or_b64 exec, exec, s[6:7]
	v_mov_b32_e32 v13, 0
	v_lshlrev_b32_e32 v10, 8, v10
	v_mov_b32_e32 v11, 0
	s_and_saveexec_b64 s[6:7], s[2:3]
	s_cbranch_execz .LBB280_72
; %bb.71:
	v_mov_b32_e32 v11, 0
	v_lshl_add_u64 v[0:1], v[4:5], 0, v[10:11]
	global_load_ushort v0, v[0:1], off
	s_waitcnt vmcnt(0)
	v_lshlrev_b32_e32 v0, 16, v0
	v_sub_f32_e32 v0, v0, v2
	v_mul_f32_e32 v0, v17, v0
	v_lshrrev_b32_e32 v11, 16, v0
.LBB280_72:
	s_or_b64 exec, exec, s[6:7]
	v_lshlrev_b32_e32 v12, 8, v12
	s_and_saveexec_b64 s[6:7], s[4:5]
	s_cbranch_execz .LBB280_74
; %bb.73:
	v_mov_b32_e32 v13, 0
	v_lshl_add_u64 v[0:1], v[4:5], 0, v[12:13]
	global_load_ushort v0, v[0:1], off
	s_waitcnt vmcnt(0)
	v_lshlrev_b32_e32 v0, 16, v0
	v_sub_f32_e32 v0, v0, v3
	v_mul_f32_e32 v0, v15, v0
	v_lshrrev_b32_e32 v13, 16, v0
.LBB280_74:
	s_or_b64 exec, exec, s[6:7]
	v_lshlrev_b32_e32 v18, 5, v18
	s_mov_b32 s6, 0x5040100
	v_perm_b32 v20, v9, v7, s6
	v_or_b32_e32 v7, v18, v22
	v_accvgpr_read_b32 v0, a0
	v_perm_b32 v21, v13, v11, s6
	v_lshlrev_b32_e32 v7, 1, v7
	v_accvgpr_read_b32 v1, a1
	v_accvgpr_read_b32 v2, a2
	;; [unrolled: 1-line block ×3, first 2 shown]
	ds_write_b64 v7, v[20:21] offset:45056
	v_mov_b32_e32 v9, 0
	v_mov_b32_e32 v7, 0
	s_and_saveexec_b64 s[6:7], vcc
	s_cbranch_execz .LBB280_76
; %bb.75:
	v_mov_b32_e32 v7, 0
	v_lshl_add_u64 v[6:7], v[4:5], 0, v[6:7]
	global_load_ushort v6, v[6:7], off offset:32
	s_waitcnt vmcnt(0)
	v_lshlrev_b32_e32 v6, 16, v6
	v_sub_f32_e32 v0, v6, v0
	v_mul_f32_e32 v0, v16, v0
	v_lshrrev_b32_e32 v7, 16, v0
.LBB280_76:
	s_or_b64 exec, exec, s[6:7]
	s_and_saveexec_b64 s[6:7], s[0:1]
	s_cbranch_execz .LBB280_78
; %bb.77:
	v_mov_b32_e32 v9, 0
	v_lshl_add_u64 v[8:9], v[4:5], 0, v[8:9]
	global_load_ushort v0, v[8:9], off offset:32
	s_waitcnt vmcnt(0)
	v_lshlrev_b32_e32 v0, 16, v0
	v_sub_f32_e32 v0, v0, v1
	v_mul_f32_e32 v0, v14, v0
	v_lshrrev_b32_e32 v9, 16, v0
.LBB280_78:
	s_or_b64 exec, exec, s[6:7]
	v_mov_b32_e32 v0, 0
	v_mov_b32_e32 v1, 0
	s_and_saveexec_b64 s[0:1], s[2:3]
	s_cbranch_execz .LBB280_80
; %bb.79:
	v_mov_b32_e32 v11, 0
	v_lshl_add_u64 v[10:11], v[4:5], 0, v[10:11]
	global_load_ushort v1, v[10:11], off offset:32
	s_waitcnt vmcnt(0)
	v_lshlrev_b32_e32 v1, 16, v1
	v_sub_f32_e32 v1, v1, v2
	v_mul_f32_e32 v1, v17, v1
	v_lshrrev_b32_e32 v1, 16, v1
.LBB280_80:
	s_or_b64 exec, exec, s[0:1]
	s_and_saveexec_b64 s[0:1], s[4:5]
	s_cbranch_execz .LBB280_82
; %bb.81:
	v_mov_b32_e32 v13, 0
	v_lshl_add_u64 v[4:5], v[4:5], 0, v[12:13]
	global_load_ushort v0, v[4:5], off offset:32
	s_waitcnt vmcnt(0)
	v_lshlrev_b32_e32 v0, 16, v0
	v_sub_f32_e32 v0, v0, v3
	v_mul_f32_e32 v0, v15, v0
	v_lshrrev_b32_e32 v0, 16, v0
.LBB280_82:
	s_or_b64 exec, exec, s[0:1]
	s_mov_b32 s0, 0x5040100
	v_or_b32_e32 v2, v18, v19
	v_perm_b32 v1, v0, v1, s0
	v_perm_b32 v0, v9, v7, s0
	v_lshlrev_b32_e32 v2, 1, v2
	ds_write_b64 v2, v[0:1] offset:45056
	s_waitcnt lgkmcnt(0)
	s_barrier
.LBB280_83:
	s_endpgm
	.section	.rodata,"a",@progbits
	.p2align	6, 0x0
	.amdhsa_kernel _ZN12_GLOBAL__N_139chunk_gated_delta_rule_fwd_h_hip_kernelILi32ELb0ELb0ELb0ELb1ELb1ELb1ELb0ELb1EEEvPK12hip_bfloat16S3_S3_PKfS5_PKvPS1_S8_PvPKiSB_iiiiilll
		.amdhsa_group_segment_fixed_size 49152
		.amdhsa_private_segment_fixed_size 0
		.amdhsa_kernarg_size 136
		.amdhsa_user_sgpr_count 2
		.amdhsa_user_sgpr_dispatch_ptr 0
		.amdhsa_user_sgpr_queue_ptr 0
		.amdhsa_user_sgpr_kernarg_segment_ptr 1
		.amdhsa_user_sgpr_dispatch_id 0
		.amdhsa_user_sgpr_kernarg_preload_length 0
		.amdhsa_user_sgpr_kernarg_preload_offset 0
		.amdhsa_user_sgpr_private_segment_size 0
		.amdhsa_uses_dynamic_stack 0
		.amdhsa_enable_private_segment 0
		.amdhsa_system_sgpr_workgroup_id_x 1
		.amdhsa_system_sgpr_workgroup_id_y 1
		.amdhsa_system_sgpr_workgroup_id_z 0
		.amdhsa_system_sgpr_workgroup_info 0
		.amdhsa_system_vgpr_workitem_id 0
		.amdhsa_next_free_vgpr 160
		.amdhsa_next_free_sgpr 61
		.amdhsa_accum_offset 140
		.amdhsa_reserve_vcc 1
		.amdhsa_float_round_mode_32 0
		.amdhsa_float_round_mode_16_64 0
		.amdhsa_float_denorm_mode_32 3
		.amdhsa_float_denorm_mode_16_64 3
		.amdhsa_dx10_clamp 1
		.amdhsa_ieee_mode 1
		.amdhsa_fp16_overflow 0
		.amdhsa_tg_split 0
		.amdhsa_exception_fp_ieee_invalid_op 0
		.amdhsa_exception_fp_denorm_src 0
		.amdhsa_exception_fp_ieee_div_zero 0
		.amdhsa_exception_fp_ieee_overflow 0
		.amdhsa_exception_fp_ieee_underflow 0
		.amdhsa_exception_fp_ieee_inexact 0
		.amdhsa_exception_int_div_zero 0
	.end_amdhsa_kernel
	.section	.text._ZN12_GLOBAL__N_139chunk_gated_delta_rule_fwd_h_hip_kernelILi32ELb0ELb0ELb0ELb1ELb1ELb1ELb0ELb1EEEvPK12hip_bfloat16S3_S3_PKfS5_PKvPS1_S8_PvPKiSB_iiiiilll,"axG",@progbits,_ZN12_GLOBAL__N_139chunk_gated_delta_rule_fwd_h_hip_kernelILi32ELb0ELb0ELb0ELb1ELb1ELb1ELb0ELb1EEEvPK12hip_bfloat16S3_S3_PKfS5_PKvPS1_S8_PvPKiSB_iiiiilll,comdat
.Lfunc_end280:
	.size	_ZN12_GLOBAL__N_139chunk_gated_delta_rule_fwd_h_hip_kernelILi32ELb0ELb0ELb0ELb1ELb1ELb1ELb0ELb1EEEvPK12hip_bfloat16S3_S3_PKfS5_PKvPS1_S8_PvPKiSB_iiiiilll, .Lfunc_end280-_ZN12_GLOBAL__N_139chunk_gated_delta_rule_fwd_h_hip_kernelILi32ELb0ELb0ELb0ELb1ELb1ELb1ELb0ELb1EEEvPK12hip_bfloat16S3_S3_PKfS5_PKvPS1_S8_PvPKiSB_iiiiilll
                                        ; -- End function
	.section	.AMDGPU.csdata,"",@progbits
; Kernel info:
; codeLenInByte = 8464
; NumSgprs: 67
; NumVgprs: 140
; NumAgprs: 20
; TotalNumVgprs: 160
; ScratchSize: 0
; MemoryBound: 0
; FloatMode: 240
; IeeeMode: 1
; LDSByteSize: 49152 bytes/workgroup (compile time only)
; SGPRBlocks: 8
; VGPRBlocks: 19
; NumSGPRsForWavesPerEU: 67
; NumVGPRsForWavesPerEU: 160
; AccumOffset: 140
; Occupancy: 1
; WaveLimiterHint : 1
; COMPUTE_PGM_RSRC2:SCRATCH_EN: 0
; COMPUTE_PGM_RSRC2:USER_SGPR: 2
; COMPUTE_PGM_RSRC2:TRAP_HANDLER: 0
; COMPUTE_PGM_RSRC2:TGID_X_EN: 1
; COMPUTE_PGM_RSRC2:TGID_Y_EN: 1
; COMPUTE_PGM_RSRC2:TGID_Z_EN: 0
; COMPUTE_PGM_RSRC2:TIDIG_COMP_CNT: 0
; COMPUTE_PGM_RSRC3_GFX90A:ACCUM_OFFSET: 34
; COMPUTE_PGM_RSRC3_GFX90A:TG_SPLIT: 0
	.section	.text._ZN12_GLOBAL__N_139chunk_gated_delta_rule_fwd_h_hip_kernelILi32ELb1ELb1ELb1ELb0ELb1ELb1ELb0ELb1EEEvPK12hip_bfloat16S3_S3_PKfS5_PKvPS1_S8_PvPKiSB_iiiiilll,"axG",@progbits,_ZN12_GLOBAL__N_139chunk_gated_delta_rule_fwd_h_hip_kernelILi32ELb1ELb1ELb1ELb0ELb1ELb1ELb0ELb1EEEvPK12hip_bfloat16S3_S3_PKfS5_PKvPS1_S8_PvPKiSB_iiiiilll,comdat
	.globl	_ZN12_GLOBAL__N_139chunk_gated_delta_rule_fwd_h_hip_kernelILi32ELb1ELb1ELb1ELb0ELb1ELb1ELb0ELb1EEEvPK12hip_bfloat16S3_S3_PKfS5_PKvPS1_S8_PvPKiSB_iiiiilll ; -- Begin function _ZN12_GLOBAL__N_139chunk_gated_delta_rule_fwd_h_hip_kernelILi32ELb1ELb1ELb1ELb0ELb1ELb1ELb0ELb1EEEvPK12hip_bfloat16S3_S3_PKfS5_PKvPS1_S8_PvPKiSB_iiiiilll
	.p2align	8
	.type	_ZN12_GLOBAL__N_139chunk_gated_delta_rule_fwd_h_hip_kernelILi32ELb1ELb1ELb1ELb0ELb1ELb1ELb0ELb1EEEvPK12hip_bfloat16S3_S3_PKfS5_PKvPS1_S8_PvPKiSB_iiiiilll,@function
_ZN12_GLOBAL__N_139chunk_gated_delta_rule_fwd_h_hip_kernelILi32ELb1ELb1ELb1ELb0ELb1ELb1ELb0ELb1EEEvPK12hip_bfloat16S3_S3_PKfS5_PKvPS1_S8_PvPKiSB_iiiiilll: ; @_ZN12_GLOBAL__N_139chunk_gated_delta_rule_fwd_h_hip_kernelILi32ELb1ELb1ELb1ELb0ELb1ELb1ELb0ELb1EEEvPK12hip_bfloat16S3_S3_PKfS5_PKvPS1_S8_PvPKiSB_iiiiilll
; %bb.0:
	s_load_dwordx4 s[24:27], s[0:1], 0x5c
	s_abs_i32 s6, s3
	s_ashr_i32 s5, s3, 31
	v_and_b32_e32 v71, 15, v0
	v_bfe_u32 v70, v0, 4, 2
	s_waitcnt lgkmcnt(0)
	s_abs_i32 s4, s25
	v_cvt_f32_u32_e32 v1, s4
	s_sub_i32 s8, 0, s4
	s_ashr_i32 s7, s25, 31
	s_xor_b32 s5, s5, s7
	v_rcp_iflag_f32_e32 v1, v1
	v_mov_b32_e32 v55, 0
	v_lshlrev_b32_e32 v72, 3, v0
	v_mul_f32_e32 v1, 0x4f7ffffe, v1
	v_cvt_u32_f32_e32 v1, v1
	s_nop 0
	v_readfirstlane_b32 s9, v1
	s_mul_i32 s8, s8, s9
	s_mul_hi_u32 s8, s9, s8
	s_add_i32 s9, s9, s8
	s_mul_hi_u32 s8, s6, s9
	s_mul_i32 s9, s8, s4
	s_sub_i32 s6, s6, s9
	s_add_i32 s10, s8, 1
	s_sub_i32 s9, s6, s4
	s_cmp_ge_u32 s6, s4
	s_cselect_b32 s8, s10, s8
	s_cselect_b32 s6, s9, s6
	s_add_i32 s9, s8, 1
	s_cmp_ge_u32 s6, s4
	s_cselect_b32 s6, s9, s8
	s_xor_b32 s6, s6, s5
	s_sub_i32 s59, s6, s5
	s_mul_i32 s6, s59, s25
	s_sub_i32 s33, s3, s6
	s_abs_i32 s3, s26
	v_cvt_f32_u32_e32 v1, s3
	s_add_i32 s8, s24, 63
	s_ashr_i32 s9, s8, 31
	s_lshr_b32 s5, s9, 26
	v_rcp_iflag_f32_e32 v1, v1
	s_ashr_i32 s58, s24, 31
	s_add_i32 s8, s8, s5
	s_lshr_b32 s5, s58, 26
	v_mul_f32_e32 v1, 0x4f7ffffe, v1
	v_cvt_u32_f32_e32 v1, v1
	s_add_i32 s5, s24, s5
	s_ashr_i32 s61, s26, 31
	s_ashr_i32 s28, s8, 6
	s_ashr_i32 s60, s5, 6
	s_xor_b32 s5, s7, s61
	s_sub_i32 s7, 0, s3
	v_readfirstlane_b32 s8, v1
	s_mul_i32 s7, s7, s8
	s_mul_hi_u32 s7, s8, s7
	s_add_i32 s8, s8, s7
	s_mul_hi_u32 s7, s4, s8
	s_mul_i32 s8, s7, s3
	s_sub_i32 s4, s4, s8
	s_lshl_b32 s2, s2, 5
	s_add_i32 s8, s7, 1
	s_sub_i32 s9, s4, s3
	s_cmp_ge_u32 s4, s3
	s_cselect_b32 s7, s8, s7
	s_cselect_b32 s4, s9, s4
	s_add_i32 s8, s7, 1
	s_cmp_ge_u32 s4, s3
	s_cselect_b32 s3, s8, s7
	s_xor_b32 s3, s3, s5
	s_sub_i32 s3, s3, s5
	s_abs_i32 s4, s3
	v_cvt_f32_u32_e32 v1, s4
	s_sub_i32 s7, 0, s4
	s_abs_i32 s5, s33
	s_xor_b32 s3, s33, s3
	v_rcp_iflag_f32_e32 v2, v1
	s_ashr_i32 s3, s3, 31
	s_load_dwordx8 s[8:15], s[0:1], 0x20
	v_lshrrev_b32_e32 v1, 6, v0
	v_mul_f32_e32 v2, 0x4f7ffffe, v2
	v_cvt_u32_f32_e32 v2, v2
	v_or_b32_e32 v60, s2, v71
	v_lshlrev_b32_e32 v53, 4, v1
	v_lshlrev_b32_e32 v56, 7, v60
	v_readfirstlane_b32 s16, v2
	s_mul_i32 s7, s7, s16
	s_mul_hi_u32 s7, s16, s7
	s_add_i32 s16, s16, s7
	s_mul_hi_u32 s7, s5, s16
	s_mul_i32 s16, s7, s4
	s_sub_i32 s5, s5, s16
	s_add_i32 s16, s7, 1
	s_sub_i32 s17, s5, s4
	s_cmp_ge_u32 s5, s4
	s_cselect_b32 s7, s16, s7
	s_cselect_b32 s5, s17, s5
	s_add_i32 s16, s7, 1
	s_cmp_ge_u32 s5, s4
	s_cselect_b32 s4, s16, s7
	s_xor_b32 s4, s4, s3
	s_sub_i32 s62, s4, s3
	s_ashr_i32 s3, s59, 31
	s_ashr_i32 s50, s33, 31
	s_mul_hi_i32 s4, s59, s25
	s_add_u32 s42, s6, s33
	s_addc_u32 s43, s4, s50
	s_lshl_b64 s[34:35], s[42:43], 15
	s_waitcnt lgkmcnt(0)
	s_add_u32 s4, s10, s34
	v_lshl_or_b32 v74, v70, 2, v53
	s_addc_u32 s5, s11, s35
	v_ashrrev_i32_e32 v57, 31, v56
	v_lshl_add_u64 v[2:3], v[56:57], 1, s[4:5]
	v_lshlrev_b32_e32 v54, 1, v74
	v_or_b32_e32 v58, 0x800, v56
	v_lshl_add_u64 v[2:3], v[2:3], 0, v[54:55]
	v_ashrrev_i32_e32 v59, 31, v58
	global_load_dwordx2 v[6:7], v[2:3], off
	global_load_dwordx2 v[10:11], v[2:3], off offset:128
	v_lshl_add_u64 v[2:3], v[58:59], 1, s[4:5]
	v_lshl_add_u64 v[2:3], v[2:3], 0, v[54:55]
	global_load_dwordx2 v[12:13], v[2:3], off
	global_load_dwordx2 v[14:15], v[2:3], off offset:128
	s_load_dwordx2 s[10:11], s[0:1], 0x40
	s_load_dwordx8 s[16:23], s[0:1], 0x0
	s_load_dwordx2 s[36:37], s[0:1], 0x80
	s_load_dwordx4 s[4:7], s[0:1], 0x70
	v_and_b32_e32 v55, 63, v0
	v_lshrrev_b32_e32 v73, 3, v55
	v_or_b32_e32 v75, 64, v74
	s_mul_i32 s51, s59, s24
	s_waitcnt lgkmcnt(0)
	s_mul_i32 s52, s59, s5
	s_mul_hi_u32 s53, s59, s4
	s_mul_i32 s38, s59, s4
	s_mul_i32 s63, s59, s28
	s_mul_i32 s54, s33, s7
	s_mul_hi_u32 s55, s33, s6
	s_mul_i32 s57, s3, s4
	s_mul_i32 s56, s50, s6
	s_mul_hi_u32 s64, s42, s24
	s_mul_i32 s44, s42, s24
	s_mul_i32 s43, s43, s24
	s_cmp_lt_i32 s24, 64
	s_mul_i32 s40, s33, s6
	s_waitcnt vmcnt(3)
	v_and_b32_e32 v3, 0xffff0000, v6
	v_lshlrev_b32_e32 v2, 16, v6
	v_and_b32_e32 v5, 0xffff0000, v7
	v_lshlrev_b32_e32 v4, 16, v7
	s_waitcnt vmcnt(2)
	v_and_b32_e32 v7, 0xffff0000, v10
	v_lshlrev_b32_e32 v6, 16, v10
	v_and_b32_e32 v9, 0xffff0000, v11
	v_lshlrev_b32_e32 v8, 16, v11
	;; [unrolled: 5-line block ×4, first 2 shown]
	s_cbranch_scc1 .LBB281_3
; %bb.1:
	s_add_i32 s45, s64, s43
	s_lshl_b64 s[0:1], s[44:45], 8
	v_and_b32_e32 v83, 56, v72
	s_add_u32 s4, s18, s0
	v_lshl_or_b32 v82, v1, 3, v73
	v_lshlrev_b32_e32 v10, 1, v83
	s_addc_u32 s0, s19, s1
	v_lshl_or_b32 v84, v82, 8, v10
	s_and_b32 s5, s0, 0xffff
	s_mov_b32 s7, 0x20000
	s_movk_i32 s6, 0x4000
	s_movk_i32 s0, 0x80
	v_or_b32_e32 v86, 0x2000, v84
	buffer_load_dwordx4 v[12:15], v84, s[4:7], 0 offen
	buffer_load_dwordx4 v[16:19], v84, s[4:7], s0 offen
	;; [unrolled: 1-line block ×4, first 2 shown]
	v_lshlrev_b32_e32 v11, 3, v82
	v_and_or_b32 v29, v0, 7, v11
	v_and_b32_e32 v11, 0x78, v11
	v_lshlrev_b32_e32 v29, 4, v29
	v_xor_b32_e32 v88, v29, v11
	v_mul_lo_u32 v28, v82, s27
	v_or_b32_e32 v89, 0x1000, v88
	v_xor_b32_e32 v11, 8, v88
	s_cmpk_eq_i32 s27, 0x80
	s_mov_b32 s65, s26
	v_xor_b32_e32 v29, 8, v89
	s_cselect_b64 s[0:1], -1, 0
	s_cmpk_lg_i32 s27, 0x80
	s_waitcnt vmcnt(3)
	ds_write_b64 v88, v[12:13] offset:24576
	ds_write_b64 v11, v[14:15] offset:24576
	s_waitcnt vmcnt(2)
	ds_write_b64 v88, v[16:17] offset:32768
	ds_write_b64 v11, v[18:19] offset:32768
	;; [unrolled: 3-line block ×4, first 2 shown]
	v_lshl_add_u32 v11, v28, 1, v83
	s_cbranch_scc0 .LBB281_4
; %bb.2:
	v_lshlrev_b32_e32 v13, 1, v11
	v_add_lshl_u32 v12, v11, s27, 1
	s_lshl_b32 s6, s27, 7
	v_lshl_or_b32 v10, v82, 9, v10
	s_cbranch_execz .LBB281_5
	s_branch .LBB281_6
.LBB281_3:
	v_mov_b32_e32 v17, v85
	v_mov_b32_e32 v16, v81
	;; [unrolled: 1-line block ×5, first 2 shown]
	s_branch .LBB281_20
.LBB281_4:
                                        ; implicit-def: $vgpr12
                                        ; implicit-def: $vgpr13
                                        ; implicit-def: $sgpr6
	v_lshl_or_b32 v10, v82, 9, v10
.LBB281_5:
	v_or_b32_e32 v12, 0x100, v10
	s_movk_i32 s6, 0x4000
	v_mov_b32_e32 v13, v10
.LBB281_6:
	s_mul_hi_u32 s4, s26, s24
	s_mul_i32 s5, s61, s24
	s_add_i32 s4, s4, s5
	s_mul_i32 s5, s26, s24
	s_mul_i32 s7, s5, s3
	s_mul_hi_u32 s28, s5, s59
	s_add_i32 s7, s28, s7
	s_mul_i32 s4, s4, s59
	s_add_i32 s7, s7, s4
	s_mul_i32 s5, s5, s59
	s_ashr_i32 s66, s62, 31
	s_add_u32 s4, s5, s62
	s_addc_u32 s5, s7, s66
	s_lshl_b64 s[4:5], s[4:5], 8
	s_add_u32 s4, s16, s4
	s_addc_u32 s5, s17, s5
	s_and_b32 s5, s5, 0xffff
	s_mov_b32 s7, 0x20000
	s_movk_i32 s67, 0x80
	buffer_load_dwordx4 v[14:17], v13, s[4:7], 0 offen
	buffer_load_dwordx4 v[18:21], v13, s[4:7], s67 offen
	;; [unrolled: 1-line block ×4, first 2 shown]
	v_and_b32_e32 v12, 6, v0
	v_lshlrev_b32_e32 v31, 6, v74
	v_or_b32_e32 v33, 16, v71
	v_xor_b32_e32 v34, v82, v12
	v_and_b32_e32 v13, 1, v0
	s_mul_i32 s3, s3, s24
	s_mul_hi_u32 s4, s59, s24
	v_lshl_or_b32 v37, v71, 3, v31
	v_lshl_or_b32 v31, v33, 3, v31
	v_lshlrev_b32_e32 v34, 2, v34
	v_lshlrev_b32_e32 v30, 2, v71
	v_or_b32_e32 v92, 0xa000, v31
	v_or_b32_e32 v93, 0xb000, v31
	v_xor_b32_e32 v31, 0x440, v34
	v_cmp_eq_u32_e32 vcc, 0, v13
	s_add_i32 s71, s4, s3
	s_add_i32 s3, s53, s52
	v_xor_b32_e32 v35, v74, v30
	v_xor_b32_e32 v36, v75, v30
	v_cndmask_b32_e32 v13, v31, v34, vcc
	s_add_i32 s39, s3, s57
	s_add_i32 s3, s55, s54
	s_mov_b32 s69, 0x1000504
	v_lshlrev_b32_e32 v32, 8, v71
	v_lshlrev_b32_e32 v35, 1, v35
	;; [unrolled: 1-line block ×3, first 2 shown]
	v_lshl_or_b32 v12, v12, 10, v13
	s_add_i32 s41, s3, s56
	s_lshl_b64 s[4:5], s[38:39], 2
	s_mov_b32 s70, 0x3020706
	v_or_b32_e32 v90, 0xa000, v37
	v_or_b32_e32 v91, 0xb000, v37
	;; [unrolled: 1-line block ×4, first 2 shown]
	v_xor_b32_e32 v13, 8, v12
	v_xor_b32_e32 v32, 24, v12
	v_xor_b32_e32 v37, 40, v12
	v_xor_b32_e32 v39, 56, v12
	s_add_u32 s3, s22, s4
	v_xor_b32_e32 v31, 16, v12
	v_xor_b32_e32 v34, 32, v12
	;; [unrolled: 1-line block ×3, first 2 shown]
	v_add_u32_e32 v13, 0x80, v13
	v_add_u32_e32 v32, 0x80, v32
	;; [unrolled: 1-line block ×4, first 2 shown]
	s_addc_u32 s6, s23, s5
	s_lshl_b64 s[4:5], s[40:41], 2
	s_add_u32 s46, s3, s4
	s_movk_i32 s3, 0xf8
	s_addc_u32 s47, s6, s5
	s_lshl_b32 s30, s27, 7
	s_movk_i32 s28, 0x100
	v_mov_b32_e32 v63, 0
	v_lshlrev_b32_e32 v62, 4, v71
	v_cmp_gt_u32_e32 vcc, s28, v0
	v_ashrrev_i32_e32 v61, 31, v60
	v_lshlrev_b32_e32 v33, 8, v33
	s_mov_b32 s68, 0
	v_or_b32_e32 v96, v33, v35
	v_or_b32_e32 v97, v33, v36
	s_movk_i32 s39, 0x1000
	s_movk_i32 s6, 0x4000
	s_mov_b32 s41, 0x7060302
	s_mov_b32 s73, 0
	s_waitcnt vmcnt(1)
	v_perm_b32 v40, v14, v22, s69
	s_waitcnt vmcnt(0)
	v_perm_b32 v41, v18, v26, s69
	v_perm_b32 v14, v14, v22, s70
	;; [unrolled: 1-line block ×15, first 2 shown]
	ds_write2st64_b32 v12, v40, v41 offset0:32 offset1:64
	ds_write2st64_b32 v13, v14, v18 offset0:32 offset1:64
	;; [unrolled: 1-line block ×8, first 2 shown]
	v_or_b32_e32 v12, v53, v71
	v_lshlrev_b32_e32 v12, 3, v12
	v_lshrrev_b32_e32 v15, 5, v55
	v_and_or_b32 v15, v12, s3, v15
	v_lshlrev_b32_e32 v15, 4, v15
	v_lshlrev_b32_e32 v17, 11, v1
	v_and_b32_e32 v12, 0x78, v12
	v_or_b32_e32 v20, 32, v15
	v_and_b32_e32 v14, 0x1000, v17
	v_lshrrev_b32_e32 v18, 1, v55
	v_xor_b32_e32 v20, v20, v12
	v_xor_b32_e32 v16, v15, v12
	v_and_b32_e32 v18, 8, v18
	v_or_b32_e32 v20, v20, v14
	v_or_b32_e32 v16, v16, v14
	v_lshlrev_b32_e32 v19, 7, v70
	v_xor_b32_e32 v100, v20, v18
	v_or_b32_e32 v20, 64, v15
	v_or_b32_e32 v15, 0x60, v15
	s_ashr_i32 s3, s2, 31
	v_xor_b32_e32 v98, v16, v18
	v_or_b32_e32 v16, v19, v30
	v_xor_b32_e32 v20, v20, v12
	v_xor_b32_e32 v12, v15, v12
	s_lshl_b64 s[4:5], s[2:3], 8
	v_lshlrev_b32_e32 v16, 1, v16
	v_or_b32_e32 v20, v20, v14
	v_or_b32_e32 v12, v12, v14
	s_add_u32 s4, s12, s4
	v_lshlrev_b32_e32 v14, 1, v71
	v_or_b32_e32 v99, 0xa000, v16
	v_or_b32_e32 v101, 0xa080, v16
	;; [unrolled: 1-line block ×4, first 2 shown]
	v_lshrrev_b32_e32 v16, 4, v0
	s_addc_u32 s5, s13, s5
	v_or_b32_e32 v15, 1, v14
	v_mov_b32_e32 v25, 0x4000
	v_mov_b32_e32 v26, 0x2000
	v_lshrrev_b32_e32 v27, 1, v0
	v_xor_b32_e32 v102, v20, v18
	v_xor_b32_e32 v103, v12, v18
	;; [unrolled: 1-line block ×4, first 2 shown]
	v_lshl_add_u64 v[14:15], s[4:5], 0, v[62:63]
	v_lshlrev_b32_e32 v62, 8, v16
	v_cndmask_b32_e32 v25, v25, v26, vcc
	v_lshlrev_b32_e32 v26, 3, v1
	v_and_b32_e32 v27, 24, v27
	v_lshl_or_b32 v106, v18, 3, v62
	v_and_b32_e32 v18, 8, v0
	v_xor_b32_e32 v28, v26, v27
	v_or_b32_e32 v29, 0x440, v28
	v_cmp_eq_u32_e32 vcc, 0, v18
	v_and_b32_e32 v16, 7, v0
	v_lshl_or_b32 v107, v22, 3, v62
	v_cndmask_b32_e32 v18, v29, v28, vcc
	v_lshlrev_b32_e32 v22, 3, v16
	v_lshlrev_b32_e32 v24, 2, v0
	v_or_b32_e32 v18, v18, v17
	v_xor_b32_e32 v28, v18, v22
	v_and_or_b32 v18, v24, 60, v19
	v_mov_b32_e32 v19, 0xb000
	v_lshl_or_b32 v108, v18, 1, v19
	v_or_b32_e32 v18, 32, v27
	v_xor_b32_e32 v18, v26, v18
	v_or_b32_e32 v19, 0x440, v18
	v_cndmask_b32_e32 v18, v19, v18, vcc
	v_or_b32_e32 v18, v18, v17
	v_xor_b32_e32 v19, v18, v22
	v_or_b32_e32 v18, 64, v27
	v_xor_b32_e32 v18, v26, v18
	v_xor_b32_e32 v30, 0x440, v18
	v_cndmask_b32_e32 v18, v30, v18, vcc
	v_or_b32_e32 v18, v18, v17
	v_xor_b32_e32 v30, v18, v22
	v_or_b32_e32 v18, 0x60, v27
	v_xor_b32_e32 v18, v26, v18
	v_xor_b32_e32 v26, 0x440, v18
	v_cndmask_b32_e32 v18, v26, v18, vcc
	v_lshrrev_b32_e32 v13, 2, v55
	v_or_b32_e32 v17, v18, v17
	v_and_b32_e32 v13, 12, v13
	v_lshlrev_b32_e32 v20, 1, v11
	v_add_lshl_u32 v11, v11, s27, 1
	v_or_b32_e32 v21, 0x100, v10
	v_xor_b32_e32 v17, v17, v22
	v_lshlrev_b32_e32 v12, 7, v74
	v_lshlrev_b32_e32 v23, 7, v16
	v_or_b32_e32 v16, v13, v53
	v_add_u32_e32 v29, v25, v28
	v_add_u32_e32 v24, v25, v19
	;; [unrolled: 1-line block ×4, first 2 shown]
	v_or3_b32 v18, v53, v13, 64
	v_add_u32_e32 v13, 0x4000, v28
	v_add_u32_e32 v19, 0x4000, v19
	;; [unrolled: 1-line block ×4, first 2 shown]
	v_cndmask_b32_e64 v109, v20, v10, s[0:1]
	v_cndmask_b32_e64 v110, v11, v21, s[0:1]
	v_lshlrev_b64 v[10:11], 1, v[60:61]
	v_lshl_add_u64 v[64:65], s[20:21], 0, v[10:11]
	v_lshl_add_u64 v[66:67], s[14:15], 0, v[10:11]
	v_lshl_add_u64 v[68:69], v[14:15], 0, v[62:63]
	s_add_i32 s3, s51, 63
	v_lshlrev_b32_e32 v62, 1, v12
	v_lshlrev_b32_e32 v61, 2, v16
	v_add_u32_e32 v111, v29, v23
	v_add_u32_e32 v112, v24, v23
	v_add_u32_e32 v113, v31, v23
	v_add_u32_e32 v114, v22, v23
	v_lshlrev_b32_e32 v115, 2, v18
	v_add_u32_e32 v116, v13, v23
	v_add_u32_e32 v117, v19, v23
	;; [unrolled: 1-line block ×4, first 2 shown]
	s_waitcnt lgkmcnt(0)
	s_barrier
.LBB281_7:                              ; =>This Inner Loop Header: Depth=1
	s_add_i32 s72, s73, 1
	s_cmp_lt_i32 s72, s60
	s_mov_b64 s[28:29], 0
	s_cselect_b64 s[48:49], -1, 0
	s_cmp_ge_i32 s72, s60
	s_mov_b64 s[4:5], 0
	s_cbranch_scc1 .LBB281_9
; %bb.8:                                ;   in Loop: Header=BB281_7 Depth=1
	s_add_i32 s0, s68, 64
	s_add_u32 s0, s44, s0
	s_addc_u32 s1, s45, 0
	s_lshl_b64 s[0:1], s[0:1], 8
	s_add_u32 s4, s18, s0
	s_addc_u32 s5, s19, s1
.LBB281_9:                              ;   in Loop: Header=BB281_7 Depth=1
	v_cndmask_b32_e64 v10, 0, 1, s[48:49]
	v_cmp_ne_u32_e64 s[0:1], 1, v10
	s_andn2_b64 vcc, exec, s[48:49]
	s_cbranch_vccnz .LBB281_11
; %bb.10:                               ;   in Loop: Header=BB281_7 Depth=1
	s_add_i32 s28, s68, 64
	s_add_u32 s28, s51, s28
	s_addc_u32 s29, s71, 0
	s_mul_i32 s31, s28, s61
	s_mul_hi_u32 s48, s28, s65
	s_add_i32 s31, s48, s31
	s_mul_i32 s29, s29, s65
	s_add_i32 s31, s31, s29
	s_mul_i32 s28, s28, s65
	s_add_u32 s28, s28, s62
	s_addc_u32 s29, s31, s66
	s_lshl_b64 s[28:29], s[28:29], 8
	s_add_u32 s28, s16, s28
	s_addc_u32 s29, s17, s29
.LBB281_11:                             ;   in Loop: Header=BB281_7 Depth=1
	v_perm_b32 v11, v5, v4, s41
	v_perm_b32 v10, v3, v2, s41
	;; [unrolled: 1-line block ×4, first 2 shown]
	ds_write_b64 v90, v[10:11]
	ds_write_b64 v91, v[12:13]
	;; [unrolled: 1-line block ×4, first 2 shown]
	v_perm_b32 v11, v87, v78, s41
	v_perm_b32 v10, v77, v76, s41
	;; [unrolled: 1-line block ×4, first 2 shown]
	ds_write_b64 v92, v[10:11]
	ds_write_b64 v93, v[12:13]
	;; [unrolled: 1-line block ×4, first 2 shown]
	s_waitcnt lgkmcnt(0)
	s_barrier
	ds_read_b64 v[14:15], v98 offset:24576
	ds_read2_b64 v[10:13], v99 offset1:16
	ds_read_b64 v[18:19], v101 offset:3072
	ds_read_b64 v[20:21], v99 offset:3072
	;; [unrolled: 1-line block ×3, first 2 shown]
	s_waitcnt lgkmcnt(3)
	v_mfma_f32_16x16x16_bf16 a[0:3], v[14:15], v[10:11], 0
	s_add_i32 s31, s68, 63
	s_mul_i32 s48, s31, s37
	s_mul_hi_u32 s49, s31, s36
	v_mfma_f32_16x16x16_bf16 a[4:7], v[14:15], v[12:13], 0
	ds_read2st64_b64 v[10:13], v99 offset0:2 offset1:4
	ds_read2st64_b64 v[14:17], v101 offset0:2 offset1:4
	s_add_i32 s49, s49, s48
	s_waitcnt lgkmcnt(1)
	v_mfma_f32_16x16x16_bf16 a[0:3], v[22:23], v[10:11], a[0:3]
	s_mul_i32 s48, s31, s36
	s_lshl_b64 s[48:49], s[48:49], 2
	s_add_u32 s48, s46, s48
	s_waitcnt lgkmcnt(0)
	v_mfma_f32_16x16x16_bf16 a[4:7], v[22:23], v[14:15], a[4:7]
	ds_read_b64 v[10:11], v102 offset:24576
	ds_read_b64 v[14:15], v103 offset:24576
	s_addc_u32 s49, s47, s49
	s_and_b64 vcc, exec, s[0:1]
	s_waitcnt lgkmcnt(1)
	v_mfma_f32_16x16x16_bf16 a[0:3], v[10:11], v[12:13], a[0:3]
	v_mov_b32_e32 v122, 0
	v_mov_b32_e32 v121, 0
	v_mov_b32_e32 v120, 0
	v_mfma_f32_16x16x16_bf16 a[8:11], v[10:11], v[16:17], a[4:7]
	v_mov_b32_e32 v10, 0
	v_mov_b32_e32 v11, 0
	;; [unrolled: 1-line block ×3, first 2 shown]
	s_waitcnt lgkmcnt(0)
	v_mfma_f32_16x16x16_bf16 a[4:7], v[14:15], v[20:21], a[0:3]
	v_mov_b32_e32 v13, 0
	v_mov_b32_e32 v16, 0
	;; [unrolled: 1-line block ×3, first 2 shown]
	v_mfma_f32_16x16x16_bf16 a[0:3], v[14:15], v[18:19], a[8:11]
	v_mov_b32_e32 v14, 0
	v_mov_b32_e32 v15, 0
	;; [unrolled: 1-line block ×10, first 2 shown]
	s_cbranch_vccnz .LBB281_13
; %bb.12:                               ;   in Loop: Header=BB281_7 Depth=1
	s_and_b32 s5, s5, 0xffff
	buffer_load_dwordx4 v[22:25], v84, s[4:7], 0 offen
	buffer_load_dwordx4 v[18:21], v84, s[4:7], s67 offen
	;; [unrolled: 1-line block ×4, first 2 shown]
	v_mov_b32_e32 v121, v88
	v_mov_b32_e32 v120, v89
.LBB281_13:                             ;   in Loop: Header=BB281_7 Depth=1
	ds_read_b64 v[34:35], v98 offset:32768
	ds_read2_b64 v[26:29], v104 offset1:16
	ds_read_b64 v[36:37], v100 offset:32768
	ds_read_b64 v[38:39], v102 offset:32768
	;; [unrolled: 1-line block ×3, first 2 shown]
	ds_read2st64_b64 v[30:33], v104 offset0:2 offset1:4
	v_add_u32_e32 v42, s68, v74
	s_waitcnt lgkmcnt(4)
	v_mfma_f32_16x16x16_bf16 a[4:7], v[34:35], v[26:27], a[4:7]
	v_ashrrev_i32_e32 v26, 31, v42
	v_mfma_f32_16x16x16_bf16 a[0:3], v[34:35], v[28:29], a[0:3]
	v_mul_lo_u32 v28, v42, s37
	v_mul_lo_u32 v29, v26, s36
	v_mad_u64_u32 v[26:27], s[4:5], v42, s36, 0
	v_add3_u32 v27, v27, v28, v29
	v_add_u32_e32 v28, 1, v42
	v_ashrrev_i32_e32 v29, 31, v28
	s_waitcnt lgkmcnt(0)
	v_mfma_f32_16x16x16_bf16 a[4:7], v[36:37], v[30:31], a[4:7]
	v_mul_lo_u32 v30, v29, s36
	v_mul_lo_u32 v31, v28, s37
	v_mad_u64_u32 v[28:29], s[4:5], v28, s36, 0
	v_add3_u32 v29, v29, v31, v30
	v_add_u32_e32 v30, 2, v42
	v_ashrrev_i32_e32 v31, 31, v30
	v_mul_lo_u32 v34, v31, s36
	v_mul_lo_u32 v35, v30, s37
	v_mad_u64_u32 v[30:31], s[4:5], v30, s36, 0
	v_add3_u32 v31, v31, v35, v34
	v_add_u32_e32 v34, 3, v42
	v_ashrrev_i32_e32 v35, 31, v34
	v_mul_lo_u32 v42, v35, s36
	v_mul_lo_u32 v43, v34, s37
	v_mad_u64_u32 v[34:35], s[4:5], v34, s36, 0
	s_add_u32 s4, s44, s68
	s_addc_u32 s5, s45, 0
	s_lshl_b64 s[74:75], s[4:5], 8
	v_lshl_add_u64 v[26:27], v[26:27], 2, s[46:47]
	v_add3_u32 v35, v35, v43, v42
	v_lshl_add_u64 v[42:43], v[64:65], 0, s[74:75]
	v_lshl_add_u64 v[28:29], v[28:29], 2, s[46:47]
	;; [unrolled: 1-line block ×3, first 2 shown]
	global_load_dword v44, v[26:27], off
	global_load_ushort v45, v[42:43], off offset:256
	global_load_ushort v46, v[42:43], off
	global_load_ushort v47, v[42:43], off offset:768
	v_lshl_add_u64 v[26:27], v[34:35], 2, s[46:47]
	v_lshl_add_u64 v[30:31], v[30:31], 2, s[46:47]
	global_load_dword v48, v[28:29], off
	global_load_dword v49, v[30:31], off
	;; [unrolled: 1-line block ×3, first 2 shown]
	ds_read2st64_b64 v[26:29], v105 offset0:2 offset1:4
	s_waitcnt lgkmcnt(0)
	v_mfma_f32_16x16x16_bf16 a[0:3], v[36:37], v[26:27], a[0:3]
	global_load_ushort v36, v[42:43], off offset:512
	global_load_ushort v51, v[42:43], off offset:800
	;; [unrolled: 1-line block ×4, first 2 shown]
	s_nop 0
	global_load_ushort v42, v[42:43], off offset:32
	s_and_b64 vcc, exec, s[0:1]
	v_mfma_f32_16x16x16_bf16 a[4:7], v[38:39], v[32:33], a[4:7]
	s_waitcnt vmcnt(10)
	v_lshlrev_b32_e32 v35, 16, v45
	v_mfma_f32_16x16x16_bf16 a[0:3], v[38:39], v[28:29], a[0:3]
	ds_read_b64 v[26:27], v104 offset:3072
	ds_read_b64 v[28:29], v105 offset:3072
	s_load_dword s4, s[48:49], 0x0
	s_waitcnt vmcnt(9)
	v_lshlrev_b32_e32 v34, 16, v46
	s_waitcnt lgkmcnt(0)
	v_mfma_f32_16x16x16_bf16 a[4:7], v[40:41], v[26:27], a[4:7]
	v_lshl_add_u64 v[26:27], v[66:67], 0, s[74:75]
	v_sub_f32_e32 v38, s4, v44
	s_waitcnt vmcnt(7)
	v_sub_f32_e32 v39, s4, v48
	v_mfma_f32_16x16x16_bf16 a[0:3], v[40:41], v[28:29], a[0:3]
	s_waitcnt vmcnt(6)
	v_sub_f32_e32 v40, s4, v49
	s_waitcnt vmcnt(5)
	v_sub_f32_e32 v41, s4, v50
	v_accvgpr_read_b32 v33, a5
	v_accvgpr_read_b32 v32, a4
	v_exp_f32_e32 v38, v38
	v_pk_add_f32 v[32:33], v[34:35], v[32:33] neg_lo:[0,1] neg_hi:[0,1]
	v_exp_f32_e32 v39, v39
	v_exp_f32_e32 v34, v40
	;; [unrolled: 1-line block ×3, first 2 shown]
	v_accvgpr_read_b32 v29, a7
	v_accvgpr_read_b32 v28, a6
	v_lshlrev_b32_e32 v37, 16, v47
	s_waitcnt vmcnt(4)
	v_lshlrev_b32_e32 v36, 16, v36
	v_lshl_add_u64 v[26:27], v[26:27], 0, v[62:63]
	v_pk_add_f32 v[28:29], v[36:37], v[28:29] neg_lo:[0,1] neg_hi:[0,1]
	global_store_short_d16_hi v[26:27], v32, off
	global_store_short_d16_hi v[26:27], v33, off offset:256
	global_store_short_d16_hi v[26:27], v28, off offset:512
	;; [unrolled: 1-line block ×3, first 2 shown]
	v_pk_mul_f32 v[32:33], v[38:39], v[32:33]
	v_pk_mul_f32 v[28:29], v[34:35], v[28:29]
	v_accvgpr_read_b32 v37, a1
	v_perm_b32 v32, v33, v32, s41
	v_perm_b32 v33, v29, v28, s41
	s_waitcnt vmcnt(5)
	v_lshlrev_b32_e32 v29, 16, v123
	s_waitcnt vmcnt(4)
	v_lshlrev_b32_e32 v28, 16, v42
	v_accvgpr_read_b32 v36, a0
	v_accvgpr_read_b32 v31, a3
	;; [unrolled: 1-line block ×3, first 2 shown]
	v_pk_add_f32 v[28:29], v[28:29], v[36:37] neg_lo:[0,1] neg_hi:[0,1]
	v_lshlrev_b32_e32 v37, 16, v51
	v_lshlrev_b32_e32 v36, 16, v52
	v_pk_add_f32 v[30:31], v[36:37], v[30:31] neg_lo:[0,1] neg_hi:[0,1]
	global_store_short_d16_hi v[26:27], v28, off offset:32
	global_store_short_d16_hi v[26:27], v29, off offset:288
	;; [unrolled: 1-line block ×4, first 2 shown]
	v_pk_mul_f32 v[26:27], v[38:39], v[28:29]
	v_pk_mul_f32 v[28:29], v[34:35], v[30:31]
	v_mov_b32_e32 v123, 0
	v_perm_b32 v29, v29, v28, s41
	v_perm_b32 v28, v27, v26, s41
	ds_write2_b64 v91, v[32:33], v[28:29] offset1:16
	v_mov_b32_e32 v26, 0
	v_mov_b32_e32 v27, 0
	;; [unrolled: 1-line block ×16, first 2 shown]
	s_cbranch_vccnz .LBB281_15
; %bb.14:                               ;   in Loop: Header=BB281_7 Depth=1
	s_and_b32 s29, s29, 0xffff
	s_mov_b32 s31, s7
	buffer_load_dwordx4 v[38:41], v109, s[28:31], 0 offen
	buffer_load_dwordx4 v[30:33], v109, s[28:31], s67 offen
	;; [unrolled: 1-line block ×4, first 2 shown]
	v_mov_b32_e32 v122, v83
	v_mov_b32_e32 v123, v82
.LBB281_15:                             ;   in Loop: Header=BB281_7 Depth=1
	s_waitcnt lgkmcnt(0)
	s_barrier
	ds_read_b64 v[46:47], v111
	ds_read_b64 v[128:129], v108
	;; [unrolled: 1-line block ×5, first 2 shown]
	ds_read_b64 v[142:143], v105 offset:3072
	ds_read2_b64 v[42:45], v104 offset0:16 offset1:128
	s_waitcnt lgkmcnt(5)
	v_mfma_f32_16x16x16_bf16 a[0:3], v[46:47], v[128:129], 0
	s_add_i32 s5, s63, s73
	s_mul_hi_i32 s29, s5, s25
	s_mul_i32 s5, s5, s25
	s_waitcnt lgkmcnt(0)
	v_mfma_f32_16x16x16_bf16 a[4:7], v[46:47], v[42:43], 0
	ds_read_b64 v[46:47], v116
	ds_read2st64_b64 v[48:51], v105 offset0:2 offset1:4
	s_add_u32 s28, s5, s33
	s_addc_u32 s29, s29, s50
	s_add_i32 s5, s3, s68
	s_lshl_b64 s[28:29], s[28:29], 15
	s_mul_hi_i32 s31, s5, s25
	s_mul_i32 s5, s5, s25
	s_add_u32 s48, s5, s33
	s_waitcnt lgkmcnt(1)
	v_mfma_f32_16x16x16_bf16 a[8:11], v[46:47], v[128:129], 0
	s_addc_u32 s49, s31, s50
	ds_read2st64_b64 v[124:127], v104 offset0:4 offset1:6
	s_lshl_b64 s[48:49], s[48:49], 9
	v_mfma_f32_16x16x16_bf16 a[0:3], v[130:131], v[44:45], a[0:3]
	s_add_u32 s48, s8, s48
	s_addc_u32 s49, s9, s49
	s_waitcnt lgkmcnt(1)
	v_mfma_f32_16x16x16_bf16 a[4:7], v[130:131], v[48:49], a[4:7]
	ds_read_b64 v[130:131], v117
	ds_read_b64 v[138:139], v118
	;; [unrolled: 1-line block ×3, first 2 shown]
	v_mfma_f32_16x16x16_bf16 a[12:15], v[46:47], v[42:43], 0
	s_waitcnt lgkmcnt(2)
	v_mfma_f32_16x16x16_bf16 a[8:11], v[130:131], v[44:45], a[8:11]
	global_load_dwordx4 v[42:45], v115, s[48:49]
	v_mfma_f32_16x16x16_bf16 a[12:15], v[130:131], v[48:49], a[12:15]
	global_load_dwordx4 v[46:49], v61, s[48:49]
	ds_read2st64_b64 v[128:131], v106 offset1:8
	s_waitcnt lgkmcnt(0)
	v_mov_b32_e32 v136, v128
	v_mfma_f32_16x16x16_bf16 a[0:3], v[132:133], v[124:125], a[0:3]
	v_mov_b32_e32 v137, v129
	v_mfma_f32_16x16x16_bf16 a[4:7], v[132:133], v[50:51], a[4:7]
	ds_read2st64_b64 v[132:135], v107 offset1:8
	v_mfma_f32_16x16x16_bf16 a[8:11], v[138:139], v[124:125], a[8:11]
	v_lshl_add_u64 v[124:125], v[68:69], 0, s[28:29]
	v_mfma_f32_16x16x16_bf16 a[16:19], v[138:139], v[50:51], a[12:15]
	v_add_co_u32_e32 v50, vcc, s39, v124
	s_waitcnt lgkmcnt(0)
	v_mov_b32_e32 v138, v132
	v_mfma_f32_16x16x16_bf16 a[0:3], v[140:141], v[126:127], a[0:3]
	v_mov_b32_e32 v139, v133
	v_mov_b32_e32 v132, v130
	;; [unrolled: 1-line block ×3, first 2 shown]
	v_mfma_f32_16x16x16_bf16 a[4:7], v[140:141], v[142:143], a[4:7]
	v_addc_co_u32_e32 v51, vcc, 0, v125, vcc
	global_store_dwordx4 v[50:51], v[132:135], off
	v_mfma_f32_16x16x16_bf16 a[12:15], v[144:145], v[126:127], a[8:11]
	s_and_b64 vcc, exec, s[0:1]
	global_store_dwordx4 v[124:125], v[136:139], off
	s_waitcnt vmcnt(3)
	v_mov_b32_e32 v52, v45
	v_mfma_f32_16x16x16_bf16 a[8:11], v[144:145], v[142:143], a[16:19]
	v_mov_b32_e32 v51, v44
	v_mov_b32_e32 v50, v43
	s_cbranch_vccnz .LBB281_17
; %bb.16:                               ;   in Loop: Header=BB281_7 Depth=1
	v_lshrrev_b32_e32 v43, 3, v122
	v_and_b32_e32 v43, 6, v43
	v_xor_b32_e32 v44, v43, v123
	v_lshlrev_b32_e32 v44, 2, v44
	v_and_b32_e32 v45, 8, v122
	v_xor_b32_e32 v122, 0x440, v44
	v_cmp_eq_u32_e32 vcc, 0, v45
	v_perm_b32 v45, v30, v26, s69
	s_nop 0
	v_cndmask_b32_e32 v44, v122, v44, vcc
	v_lshl_or_b32 v43, v43, 10, v44
	v_perm_b32 v44, v38, v34, s69
	s_barrier
	ds_write2st64_b32 v43, v44, v45 offset0:32 offset1:64
	v_xor_b32_e32 v44, 8, v43
	v_perm_b32 v34, v38, v34, s70
	v_perm_b32 v26, v30, v26, s70
	v_add_u32_e32 v30, 0x80, v44
	ds_write2st64_b32 v30, v34, v26 offset0:32 offset1:64
	v_xor_b32_e32 v26, 16, v43
	v_perm_b32 v30, v39, v35, s69
	v_perm_b32 v34, v31, v27, s69
	ds_write2st64_b32 v26, v30, v34 offset0:33 offset1:65
	v_xor_b32_e32 v26, 24, v43
	v_perm_b32 v30, v39, v35, s70
	v_perm_b32 v27, v31, v27, s70
	v_add_u32_e32 v26, 0x80, v26
	ds_write2st64_b32 v26, v30, v27 offset0:33 offset1:65
	v_xor_b32_e32 v26, 32, v43
	v_perm_b32 v27, v40, v36, s69
	v_perm_b32 v30, v32, v28, s69
	;; [unrolled: 9-line block ×3, first 2 shown]
	ds_write2st64_b32 v26, v27, v28 offset0:35 offset1:67
	v_xor_b32_e32 v26, 56, v43
	v_perm_b32 v27, v41, v37, s70
	v_perm_b32 v28, v33, v29, s70
	v_add_u32_e32 v26, 0x80, v26
	ds_write2st64_b32 v26, v27, v28 offset0:35 offset1:67
	ds_write_b64 v121, v[22:23] offset:24576
	v_xor_b32_e32 v22, 8, v121
	ds_write_b64 v22, v[24:25] offset:24576
	ds_write_b64 v121, v[18:19] offset:32768
	;; [unrolled: 1-line block ×4, first 2 shown]
	v_xor_b32_e32 v14, 8, v120
	ds_write_b64 v14, v[16:17] offset:24576
	ds_write_b64 v120, v[10:11] offset:32768
	;; [unrolled: 1-line block ×3, first 2 shown]
.LBB281_17:                             ;   in Loop: Header=BB281_7 Depth=1
	v_exp_f32_e32 v26, s4
	s_waitcnt vmcnt(2)
	v_exp_f32_e32 v28, v46
	v_exp_f32_e32 v29, v47
	;; [unrolled: 1-line block ×4, first 2 shown]
	v_accvgpr_read_b32 v21, a3
	v_accvgpr_read_b32 v19, a1
	;; [unrolled: 1-line block ×4, first 2 shown]
	v_pk_mul_f32 v[28:29], v[26:27], v[28:29] op_sel_hi:[0,1]
	v_accvgpr_read_b32 v20, a2
	v_accvgpr_read_b32 v11, a5
	;; [unrolled: 1-line block ×3, first 2 shown]
	v_pk_fma_f32 v[2:3], v[2:3], v[28:29], v[18:19]
	v_pk_mul_f32 v[18:19], v[26:27], v[30:31] op_sel_hi:[0,1]
	v_pk_fma_f32 v[4:5], v[4:5], v[18:19], v[20:21]
	v_fma_f32 v76, v76, v28, v10
	v_fma_f32 v77, v77, v29, v11
	v_exp_f32_e32 v10, v42
	v_exp_f32_e32 v11, v50
	;; [unrolled: 1-line block ×4, first 2 shown]
	v_accvgpr_read_b32 v12, a6
	v_accvgpr_read_b32 v25, a15
	;; [unrolled: 1-line block ×9, first 2 shown]
	v_fma_f32 v78, v78, v18, v12
	v_fmac_f32_e32 v13, v87, v19
	v_pk_mul_f32 v[10:11], v[26:27], v[10:11] op_sel_hi:[0,1]
	v_pk_mul_f32 v[18:19], v[26:27], v[20:21] op_sel_hi:[0,1]
	s_add_i32 s68, s68, 64
	v_pk_fma_f32 v[6:7], v[6:7], v[10:11], v[22:23]
	v_pk_fma_f32 v[8:9], v[8:9], v[18:19], v[24:25]
	v_fma_f32 v79, v79, v10, v14
	v_fma_f32 v80, v80, v11, v15
	;; [unrolled: 1-line block ×3, first 2 shown]
	s_cmp_eq_u32 s60, s72
	v_fmac_f32_e32 v17, v85, v19
	s_cbranch_scc1 .LBB281_19
; %bb.18:                               ;   in Loop: Header=BB281_7 Depth=1
	s_mov_b32 s73, s72
	v_mov_b32_e32 v87, v13
	v_mov_b32_e32 v85, v17
	s_branch .LBB281_7
.LBB281_19:
	v_mov_b32_e32 v16, v81
	v_mov_b32_e32 v15, v80
	;; [unrolled: 1-line block ×3, first 2 shown]
.LBB281_20:
	s_lshl_b32 s45, s60, 6
	s_sub_i32 s48, s24, s45
	v_mov_b32_e32 v12, v78
	v_mov_b32_e32 v11, v77
	;; [unrolled: 1-line block ×3, first 2 shown]
	s_cmp_gt_i32 s48, 0
	s_cbranch_scc0 .LBB281_85
; %bb.21:
	s_ashr_i32 s3, s45, 31
	s_cmpk_lg_i32 s27, 0x80
	s_cselect_b64 s[30:31], -1, 0
	s_and_b64 vcc, exec, s[30:31]
	s_cbranch_vccz .LBB281_23
; %bb.22:
	s_mul_hi_i32 s0, s59, s24
	s_add_u32 s1, s51, s45
	s_addc_u32 s0, s0, s3
	s_mul_i32 s4, s1, s61
	s_mul_hi_u32 s5, s1, s26
	s_add_i32 s4, s5, s4
	s_mul_i32 s0, s0, s26
	s_add_i32 s4, s4, s0
	s_mul_i32 s1, s1, s26
	s_ashr_i32 s0, s62, 31
	s_add_u32 s46, s1, s62
	s_addc_u32 s47, s4, s0
	s_cbranch_execz .LBB281_24
	s_branch .LBB281_25
.LBB281_23:
                                        ; implicit-def: $sgpr46_sgpr47
.LBB281_24:
	s_mul_hi_i32 s0, s59, s26
	s_mul_i32 s59, s59, s26
	s_ashr_i32 s1, s62, 31
	s_add_u32 s4, s59, s62
	s_addc_u32 s0, s0, s1
	s_mul_i32 s1, s4, s58
	s_mul_hi_u32 s5, s4, s24
	s_add_i32 s1, s5, s1
	s_mul_i32 s0, s0, s24
	s_add_i32 s1, s1, s0
	s_mul_i32 s4, s4, s24
	s_add_u32 s46, s4, s45
	s_addc_u32 s47, s1, s3
.LBB281_25:
	s_mul_i32 s0, s42, s58
	s_add_i32 s0, s64, s0
	s_add_i32 s4, s63, s60
	;; [unrolled: 1-line block ×3, first 2 shown]
	s_add_u32 s0, s44, s45
	v_lshlrev_b32_e32 v22, 5, v74
	v_lshlrev_b32_e32 v38, 2, v71
	s_addc_u32 s1, s1, s3
	s_mov_b32 s3, 0x7060302
	v_or_b32_e32 v25, v22, v38
	v_xor_b32_e32 v23, v74, v38
	v_perm_b32 v19, v5, v4, s3
	v_perm_b32 v18, v3, v2, s3
	;; [unrolled: 1-line block ×4, first 2 shown]
	v_lshlrev_b32_e32 v25, 1, v25
	v_xor_b32_e32 v24, v75, v38
	ds_write2st64_b64 v25, v[18:19], v[20:21] offset0:80 offset1:88
	v_lshlrev_b32_e32 v23, 1, v23
	v_lshlrev_b32_e32 v25, 8, v71
	s_lshl_b64 s[28:29], s[0:1], 8
	v_or_b32_e32 v26, v23, v25
	v_lshlrev_b32_e32 v24, 1, v24
	s_add_u32 s0, s18, s28
	ds_write_b64 v26, v[18:19]
	v_or_b32_e32 v18, v24, v25
	s_addc_u32 s1, s19, s29
	ds_write_b64 v18, v[20:21]
	v_perm_b32 v19, v13, v12, s3
	v_perm_b32 v18, v11, v10, s3
	;; [unrolled: 1-line block ×4, first 2 shown]
	v_or_b32_e32 v25, 16, v71
	s_mul_hi_i32 s3, s4, s25
	s_mul_i32 s4, s4, s25
	v_lshlrev_b32_e32 v35, 2, v25
	s_add_u32 s4, s4, s33
	v_or_b32_e32 v22, v22, v35
	s_addc_u32 s5, s3, s50
	v_lshlrev_b32_e32 v22, 1, v22
	s_ashr_i32 s3, s2, 31
	s_lshl_b64 s[4:5], s[4:5], 15
	ds_write2st64_b64 v22, v[18:19], v[20:21] offset0:80 offset1:88
	v_lshlrev_b32_e32 v22, 8, v25
	s_add_u32 s4, s12, s4
	v_or_b32_e32 v23, v23, v22
	s_addc_u32 s5, s13, s5
	s_lshl_b64 s[2:3], s[2:3], 8
	ds_write_b64 v23, v[18:19]
	v_or_b32_e32 v18, v24, v22
	s_add_u32 s2, s4, s2
	ds_write_b64 v18, v[20:21]
	v_lshrrev_b32_e32 v18, 4, v0
	s_addc_u32 s3, s5, s3
	v_lshlrev_b32_e32 v19, 1, v71
	v_lshlrev_b32_e32 v26, 4, v71
	v_mov_b32_e32 v27, 0
	v_or_b32_e32 v20, 1, v19
	v_xor_b32_e32 v19, v18, v19
	v_lshl_add_u64 v[28:29], s[2:3], 0, v[26:27]
	v_lshlrev_b32_e32 v26, 8, v18
	v_xor_b32_e32 v22, v20, v18
	v_lshl_or_b32 v18, v19, 3, v26
	s_waitcnt lgkmcnt(0)
	s_barrier
	ds_read2st64_b64 v[18:21], v18 offset1:8
	v_lshl_or_b32 v22, v22, 3, v26
	ds_read2st64_b64 v[22:25], v22 offset1:8
	v_lshl_add_u64 v[30:31], v[28:29], 0, v[26:27]
	s_movk_i32 s2, 0x1000
	s_waitcnt lgkmcnt(1)
	v_mov_b32_e32 v26, v18
	v_add_co_u32_e32 v18, vcc, s2, v30
	s_cmp_lg_u32 s48, 64
	v_mov_b32_e32 v27, v19
	v_addc_co_u32_e32 v19, vcc, 0, v31, vcc
	s_cselect_b64 s[18:19], -1, 0
	v_lshl_or_b32 v42, v1, 3, v73
	s_waitcnt lgkmcnt(0)
	v_mov_b32_e32 v28, v22
	v_mov_b32_e32 v29, v23
	;; [unrolled: 1-line block ×4, first 2 shown]
	s_mov_b32 s4, 0
	v_or_b32_e32 v36, 32, v42
	v_and_b32_e32 v34, 56, v72
	s_and_b64 vcc, exec, s[18:19]
	global_store_dwordx4 v[30:31], v[26:29], off
	global_store_dwordx4 v[18:19], v[22:25], off
	s_cbranch_vccz .LBB281_31
; %bb.26:
	s_mov_b32 s6, s4
	s_mov_b32 s7, s4
	;; [unrolled: 1-line block ×3, first 2 shown]
	v_mov_b64_e32 v[24:25], s[6:7]
	v_mov_b64_e32 v[22:23], s[4:5]
	;; [unrolled: 1-line block ×3, first 2 shown]
	v_cmp_gt_i32_e32 vcc, s48, v42
	v_mov_b64_e32 v[20:21], v[24:25]
	s_and_saveexec_b64 s[2:3], vcc
	s_cbranch_execz .LBB281_28
; %bb.27:
	v_lshlrev_b32_e32 v18, 8, v42
	v_mov_b32_e32 v19, 0
	v_lshl_add_u64 v[20:21], s[0:1], 0, v[18:19]
	v_lshlrev_b32_e32 v18, 1, v34
	v_lshl_add_u64 v[26:27], v[20:21], 0, v[18:19]
	global_load_dwordx4 v[22:25], v[26:27], off
	global_load_dwordx4 v[18:21], v[26:27], off offset:128
.LBB281_28:
	s_or_b64 exec, exec, s[2:3]
	s_mov_b32 s6, s4
	s_mov_b32 s7, s4
	;; [unrolled: 1-line block ×3, first 2 shown]
	v_mov_b64_e32 v[32:33], s[6:7]
	v_mov_b64_e32 v[30:31], s[4:5]
	;; [unrolled: 1-line block ×3, first 2 shown]
	v_cmp_gt_i32_e32 vcc, s48, v36
	v_lshlrev_b32_e32 v37, 7, v36
	v_mov_b64_e32 v[28:29], v[32:33]
	s_and_saveexec_b64 s[2:3], vcc
	s_cbranch_execz .LBB281_30
; %bb.29:
	v_lshlrev_b32_e32 v26, 1, v37
	v_mov_b32_e32 v27, 0
	v_lshl_add_u64 v[28:29], s[0:1], 0, v[26:27]
	v_lshlrev_b32_e32 v26, 1, v34
	v_lshl_add_u64 v[40:41], v[28:29], 0, v[26:27]
	global_load_dwordx4 v[30:33], v[40:41], off
	global_load_dwordx4 v[26:29], v[40:41], off offset:128
.LBB281_30:
	s_or_b64 exec, exec, s[2:3]
	v_lshrrev_b32_e32 v39, 3, v34
	v_lshlrev_b32_e32 v40, 3, v42
	v_or_b32_e32 v39, v40, v39
	v_lshlrev_b32_e32 v39, 4, v39
	v_and_b32_e32 v40, 0x78, v40
	v_xor_b32_e32 v39, v39, v40
	s_branch .LBB281_33
.LBB281_31:
                                        ; implicit-def: $vgpr39
                                        ; implicit-def: $vgpr37
                                        ; implicit-def: $vgpr22_vgpr23_vgpr24_vgpr25
                                        ; implicit-def: $vgpr18_vgpr19_vgpr20_vgpr21
                                        ; implicit-def: $vgpr30_vgpr31_vgpr32_vgpr33
                                        ; implicit-def: $vgpr26_vgpr27_vgpr28_vgpr29
	s_cbranch_execz .LBB281_33
; %bb.32:
	s_waitcnt vmcnt(0)
	v_lshlrev_b32_e32 v18, 1, v34
	v_lshl_or_b32 v37, v42, 8, v18
	s_and_b32 s1, s1, 0xffff
	s_mov_b32 s3, 0x20000
	s_movk_i32 s2, 0x4000
	v_lshl_or_b32 v39, v36, 8, v18
	s_movk_i32 s4, 0x80
	buffer_load_dwordx4 v[22:25], v37, s[0:3], 0 offen
	buffer_load_dwordx4 v[18:21], v37, s[0:3], s4 offen
	;; [unrolled: 1-line block ×4, first 2 shown]
	v_lshrrev_b32_e32 v37, 3, v34
	v_lshlrev_b32_e32 v39, 3, v42
	v_or_b32_e32 v37, v39, v37
	v_lshlrev_b32_e32 v37, 4, v37
	v_and_b32_e32 v39, 0x78, v39
	v_xor_b32_e32 v39, v37, v39
	v_lshlrev_b32_e32 v37, 7, v36
.LBB281_33:
	s_lshl_b64 s[0:1], s[46:47], 8
	s_add_u32 s4, s16, s0
	s_movk_i32 s0, 0x1000
	v_and_or_b32 v36, v37, s0, v39
	s_waitcnt vmcnt(1)
	ds_write_b64 v39, v[22:23] offset:24576
	v_xor_b32_e32 v22, 8, v39
	ds_write_b64 v22, v[24:25] offset:24576
	s_waitcnt vmcnt(0)
	ds_write_b64 v39, v[18:19] offset:32768
	ds_write_b64 v22, v[20:21] offset:32768
	;; [unrolled: 1-line block ×3, first 2 shown]
	v_xor_b32_e32 v18, 8, v36
	ds_write_b64 v18, v[32:33] offset:24576
	ds_write_b64 v36, v[26:27] offset:32768
	;; [unrolled: 1-line block ×3, first 2 shown]
	v_or_b32_e32 v18, v53, v71
	v_lshlrev_b32_e32 v18, 3, v18
	v_lshrrev_b32_e32 v19, 5, v55
	s_movk_i32 s2, 0xf8
	v_and_or_b32 v19, v18, s2, v19
	v_lshlrev_b32_e32 v23, 4, v19
	v_lshlrev_b32_e32 v39, 11, v1
	v_and_b32_e32 v24, 0x78, v18
	v_or_b32_e32 v26, 32, v23
	v_and_b32_e32 v22, 0x1000, v39
	v_lshrrev_b32_e32 v19, 1, v55
	v_xor_b32_e32 v26, v26, v24
	v_xor_b32_e32 v18, v23, v24
	v_and_b32_e32 v25, 8, v19
	v_or_b32_e32 v26, v26, v22
	v_or_b32_e32 v18, v18, v22
	v_xor_b32_e32 v44, v26, v25
	v_or_b32_e32 v26, 64, v23
	v_xor_b32_e32 v43, v18, v25
	v_xor_b32_e32 v26, v26, v24
	s_waitcnt lgkmcnt(0)
	s_barrier
	v_or_b32_e32 v28, v26, v22
	ds_read_b64 v[26:27], v43 offset:24576
	v_lshl_or_b32 v36, v70, 7, v38
	v_lshlrev_b32_e32 v40, 1, v36
	v_add_u32_e32 v18, 0xa000, v40
	ds_read2_b64 v[18:21], v18 offset1:16
	v_or_b32_e32 v23, 0x60, v23
	v_xor_b32_e32 v23, v23, v24
	s_waitcnt lgkmcnt(0)
	v_mfma_f32_16x16x16_bf16 a[0:3], v[26:27], v[18:19], 0
	v_or_b32_e32 v18, 64, v36
	v_or_b32_e32 v22, v23, v22
	v_lshlrev_b32_e32 v41, 1, v18
	v_xor_b32_e32 v45, v28, v25
	v_xor_b32_e32 v46, v22, v25
	ds_read_b64 v[28:29], v44 offset:24576
	ds_read_b64 v[30:31], v45 offset:24576
	;; [unrolled: 1-line block ×3, first 2 shown]
	v_mfma_f32_16x16x16_bf16 a[4:7], v[26:27], v[20:21], 0
	ds_read2st64_b64 v[18:21], v41 offset0:82 offset1:84
	ds_read2st64_b64 v[22:25], v40 offset0:82 offset1:84
	s_addc_u32 s5, s17, s1
	s_add_i32 s0, s53, s52
	s_add_i32 s16, s24, -1
	s_add_i32 s39, s0, s57
	s_add_i32 s0, s55, s54
	;; [unrolled: 1-line block ×3, first 2 shown]
	s_ashr_i32 s0, s16, 31
	s_mul_i32 s1, s16, s37
	s_mul_hi_u32 s2, s16, s36
	s_add_i32 s1, s2, s1
	s_mul_i32 s0, s0, s36
	s_waitcnt lgkmcnt(1)
	v_mfma_f32_16x16x16_bf16 a[4:7], v[28:29], v[18:19], a[4:7]
	s_add_i32 s1, s1, s0
	s_lshl_b64 s[2:3], s[38:39], 2
	s_add_u32 s6, s22, s2
	s_waitcnt lgkmcnt(0)
	v_mfma_f32_16x16x16_bf16 a[0:3], v[28:29], v[22:23], a[0:3]
	s_addc_u32 s7, s23, s3
	s_lshl_b64 s[2:3], s[40:41], 2
	s_mul_i32 s0, s16, s36
	s_add_u32 s12, s6, s2
	ds_read_b64 v[18:19], v40 offset:44032
	v_mfma_f32_16x16x16_bf16 a[4:7], v[30:31], v[20:21], a[4:7]
	ds_read_b64 v[20:21], v41 offset:44032
	s_addc_u32 s13, s7, s3
	s_lshl_b64 s[0:1], s[0:1], 2
	v_mfma_f32_16x16x16_bf16 a[0:3], v[30:31], v[24:25], a[0:3]
	s_add_u32 s0, s12, s0
	s_addc_u32 s1, s13, s1
	s_load_dword s17, s[0:1], 0x0
	s_waitcnt lgkmcnt(0)
	v_mfma_f32_16x16x16_bf16 a[0:3], v[32:33], v[18:19], a[0:3]
	s_and_b64 vcc, exec, s[30:31]
	v_mfma_f32_16x16x16_bf16 a[4:7], v[32:33], v[20:21], a[4:7]
	s_cbranch_vccz .LBB281_44
; %bb.34:
	v_lshlrev_b32_e32 v36, 1, v42
	s_and_b64 vcc, exec, s[18:19]
	s_cbranch_vccz .LBB281_45
; %bb.35:
	v_cmp_gt_i32_e32 vcc, s48, v36
	v_mov_b32_e32 v22, 0
	v_mov_b32_e32 v18, 0
	;; [unrolled: 1-line block ×5, first 2 shown]
	s_and_saveexec_b64 s[0:1], vcc
	s_cbranch_execz .LBB281_37
; %bb.36:
	v_mad_i64_i32 v[18:19], s[2:3], s27, v36, 0
	v_lshl_add_u64 v[18:19], v[18:19], 1, s[4:5]
	v_lshlrev_b32_e32 v20, 1, v34
	v_mov_b32_e32 v21, 0
	v_lshl_add_u64 v[18:19], v[18:19], 0, v[20:21]
	global_load_dwordx4 v[18:21], v[18:19], off
.LBB281_37:
	s_or_b64 exec, exec, s[0:1]
	v_or_b32_e32 v37, 1, v36
	v_cmp_gt_i32_e64 s[0:1], s48, v37
	v_mov_b32_e32 v23, 0
	v_mov_b32_e32 v24, 0
	;; [unrolled: 1-line block ×3, first 2 shown]
	s_and_saveexec_b64 s[2:3], s[0:1]
	s_cbranch_execz .LBB281_39
; %bb.38:
	v_mad_i64_i32 v[22:23], s[6:7], s27, v37, 0
	v_lshl_add_u64 v[22:23], v[22:23], 1, s[4:5]
	v_lshlrev_b32_e32 v24, 1, v34
	v_mov_b32_e32 v25, 0
	v_lshl_add_u64 v[22:23], v[22:23], 0, v[24:25]
	global_load_dwordx4 v[22:25], v[22:23], off
.LBB281_39:
	s_or_b64 exec, exec, s[2:3]
	v_mov_b32_e32 v33, 0
	v_mov_b32_e32 v26, 0
	;; [unrolled: 1-line block ×5, first 2 shown]
	s_and_saveexec_b64 s[2:3], vcc
	s_cbranch_execz .LBB281_41
; %bb.40:
	v_mad_i64_i32 v[26:27], s[6:7], s27, v36, 0
	v_lshl_add_u64 v[26:27], v[26:27], 1, s[4:5]
	v_lshlrev_b32_e32 v28, 1, v34
	v_mov_b32_e32 v29, 0
	v_lshl_add_u64 v[26:27], v[26:27], 0, v[28:29]
	global_load_dwordx4 v[26:29], v[26:27], off offset:128
.LBB281_41:
	s_or_b64 exec, exec, s[2:3]
	v_mov_b32_e32 v32, 0
	v_mov_b32_e32 v31, 0
	;; [unrolled: 1-line block ×3, first 2 shown]
	s_and_saveexec_b64 s[2:3], s[0:1]
	s_cbranch_execz .LBB281_43
; %bb.42:
	v_mad_i64_i32 v[30:31], s[0:1], s27, v37, 0
	v_lshl_add_u64 v[30:31], v[30:31], 1, s[4:5]
	v_lshlrev_b32_e32 v32, 1, v34
	v_mov_b32_e32 v33, 0
	v_lshl_add_u64 v[30:31], v[30:31], 0, v[32:33]
	global_load_dwordx4 v[30:33], v[30:31], off offset:128
.LBB281_43:
	s_or_b64 exec, exec, s[2:3]
	s_branch .LBB281_47
.LBB281_44:
                                        ; implicit-def: $vgpr21
                                        ; implicit-def: $vgpr25
                                        ; implicit-def: $vgpr29
                                        ; implicit-def: $vgpr33
	v_lshrrev_b32_e32 v47, 2, v55
	s_branch .LBB281_48
.LBB281_45:
                                        ; implicit-def: $vgpr21
                                        ; implicit-def: $vgpr25
                                        ; implicit-def: $vgpr29
                                        ; implicit-def: $vgpr33
	s_cbranch_execz .LBB281_47
; %bb.46:
	s_waitcnt vmcnt(0)
	v_mad_u64_u32 v[18:19], s[0:1], v36, s27, v[34:35]
	v_lshlrev_b32_e32 v36, 1, v18
	s_lshl_b32 s2, s27, 7
	s_and_b32 s1, s5, 0xffff
	s_mov_b32 s3, 0x20000
	s_mov_b32 s0, s4
	v_add_lshl_u32 v37, v18, s27, 1
	s_movk_i32 s6, 0x80
	buffer_load_dwordx4 v[18:21], v36, s[0:3], 0 offen
	buffer_load_dwordx4 v[26:29], v36, s[0:3], s6 offen
	;; [unrolled: 1-line block ×4, first 2 shown]
.LBB281_47:
	v_lshrrev_b32_e32 v47, 2, v55
	s_cbranch_execnz .LBB281_60
.LBB281_48:
	s_and_b64 vcc, exec, s[18:19]
	s_cbranch_vccz .LBB281_58
; %bb.49:
	s_waitcnt vmcnt(0)
	v_lshlrev_b32_e32 v23, 1, v42
	v_cmp_gt_i32_e32 vcc, s48, v23
	v_mov_b32_e32 v22, 0
	v_lshlrev_b32_e32 v30, 9, v42
	v_mov_b32_e32 v18, 0
	v_mov_b32_e32 v19, 0
	;; [unrolled: 1-line block ×4, first 2 shown]
	s_and_saveexec_b64 s[0:1], vcc
	s_cbranch_execz .LBB281_51
; %bb.50:
	v_mov_b32_e32 v31, 0
	v_lshl_add_u64 v[18:19], s[4:5], 0, v[30:31]
	v_lshlrev_b32_e32 v20, 1, v34
	v_mov_b32_e32 v21, v31
	v_lshl_add_u64 v[18:19], v[18:19], 0, v[20:21]
	global_load_dwordx4 v[18:21], v[18:19], off
.LBB281_51:
	s_or_b64 exec, exec, s[0:1]
	v_or_b32_e32 v23, 1, v23
	v_cmp_gt_i32_e64 s[0:1], s48, v23
	v_lshlrev_b32_e32 v36, 8, v23
	v_mov_b32_e32 v23, 0
	v_mov_b32_e32 v24, 0
	;; [unrolled: 1-line block ×3, first 2 shown]
	s_and_saveexec_b64 s[2:3], s[0:1]
	s_cbranch_execz .LBB281_53
; %bb.52:
	v_mov_b32_e32 v37, 0
	v_lshl_add_u64 v[22:23], s[4:5], 0, v[36:37]
	v_lshlrev_b32_e32 v24, 1, v34
	v_mov_b32_e32 v25, v37
	v_lshl_add_u64 v[22:23], v[22:23], 0, v[24:25]
	global_load_dwordx4 v[22:25], v[22:23], off
.LBB281_53:
	s_or_b64 exec, exec, s[2:3]
	v_mov_b32_e32 v33, 0
	v_mov_b32_e32 v26, 0
	v_mov_b32_e32 v27, 0
	v_mov_b32_e32 v28, 0
	v_mov_b32_e32 v29, 0
	s_and_saveexec_b64 s[2:3], vcc
	s_cbranch_execz .LBB281_55
; %bb.54:
	v_mov_b32_e32 v31, 0
	v_lshl_add_u64 v[26:27], s[4:5], 0, v[30:31]
	v_lshlrev_b32_e32 v30, 1, v34
	v_lshl_add_u64 v[26:27], v[26:27], 0, v[30:31]
	global_load_dwordx4 v[26:29], v[26:27], off offset:128
.LBB281_55:
	s_or_b64 exec, exec, s[2:3]
	v_mov_b32_e32 v32, 0
	v_mov_b32_e32 v31, 0
	;; [unrolled: 1-line block ×3, first 2 shown]
	s_and_saveexec_b64 s[2:3], s[0:1]
	s_cbranch_execz .LBB281_57
; %bb.56:
	v_mov_b32_e32 v37, 0
	v_lshl_add_u64 v[30:31], s[4:5], 0, v[36:37]
	v_lshlrev_b32_e32 v36, 1, v34
	v_lshl_add_u64 v[30:31], v[30:31], 0, v[36:37]
	global_load_dwordx4 v[30:33], v[30:31], off offset:128
.LBB281_57:
	s_or_b64 exec, exec, s[2:3]
	s_branch .LBB281_60
.LBB281_58:
                                        ; implicit-def: $vgpr21
                                        ; implicit-def: $vgpr25
                                        ; implicit-def: $vgpr29
                                        ; implicit-def: $vgpr33
	s_cbranch_execz .LBB281_60
; %bb.59:
	s_waitcnt vmcnt(0)
	v_lshlrev_b32_e32 v18, 1, v34
	v_lshl_or_b32 v34, v42, 9, v18
	s_and_b32 s5, s5, 0xffff
	s_mov_b32 s7, 0x20000
	s_movk_i32 s6, 0x4000
	s_movk_i32 s0, 0x80
	buffer_load_dwordx4 v[18:21], v34, s[4:7], 0 offen
	buffer_load_dwordx4 v[22:25], v34, s[4:7], 0 offen offset:256
	buffer_load_dwordx4 v[26:29], v34, s[4:7], s0 offen
	buffer_load_dwordx4 v[30:33], v34, s[4:7], s0 offen offset:256
.LBB281_60:
	ds_read_b64 v[36:37], v43 offset:32768
	v_add_u32_e32 v34, 0xb000, v40
	ds_read2_b64 v[48:51], v34 offset1:16
	ds_read_b64 v[66:67], v44 offset:32768
	ds_read_b64 v[44:45], v45 offset:32768
	;; [unrolled: 1-line block ×3, first 2 shown]
	ds_read2st64_b64 v[62:65], v41 offset0:90 offset1:92
	v_and_b32_e32 v43, 6, v0
	v_and_b32_e32 v34, 12, v47
	v_xor_b32_e32 v42, v42, v43
	v_lshlrev_b32_e32 v42, 2, v42
	s_mov_b32 s0, 0x1000504
	s_waitcnt lgkmcnt(4)
	v_mfma_f32_16x16x16_bf16 a[0:3], v[36:37], v[48:49], a[0:3]
	s_mov_b32 s1, 0x3020706
	v_mfma_f32_16x16x16_bf16 a[4:7], v[36:37], v[50:51], a[4:7]
	ds_read2st64_b64 v[48:51], v40 offset0:90 offset1:92
	ds_read_b64 v[36:37], v40 offset:48128
	ds_read_b64 v[46:47], v41 offset:48128
	s_waitcnt lgkmcnt(2)
	v_mfma_f32_16x16x16_bf16 a[0:3], v[66:67], v[48:49], a[0:3]
	v_and_b32_e32 v48, 1, v0
	v_xor_b32_e32 v49, 0x440, v42
	v_cmp_eq_u32_e32 vcc, 0, v48
	v_mfma_f32_16x16x16_bf16 a[4:7], v[66:67], v[62:63], a[4:7]
	s_nop 0
	v_cndmask_b32_e32 v42, v49, v42, vcc
	v_lshl_or_b32 v42, v43, 10, v42
	v_mfma_f32_16x16x16_bf16 a[0:3], v[44:45], v[50:51], a[0:3]
	v_mov_b32_e32 v43, 0
	v_mfma_f32_16x16x16_bf16 a[8:11], v[44:45], v[64:65], a[4:7]
	s_waitcnt lgkmcnt(1)
	v_mfma_f32_16x16x16_bf16 a[4:7], v[68:69], v[36:37], a[0:3]
	s_waitcnt vmcnt(0)
	v_perm_b32 v36, v18, v22, s0
	v_perm_b32 v37, v26, v30, s0
	ds_write2st64_b32 v42, v36, v37 offset0:32 offset1:64
	v_xor_b32_e32 v36, 8, v42
	v_perm_b32 v18, v18, v22, s1
	v_perm_b32 v22, v26, v30, s1
	v_add_u32_e32 v26, 0x80, v36
	ds_write2st64_b32 v26, v18, v22 offset0:32 offset1:64
	v_xor_b32_e32 v18, 16, v42
	v_perm_b32 v22, v19, v23, s0
	v_perm_b32 v26, v27, v31, s0
	ds_write2st64_b32 v18, v22, v26 offset0:33 offset1:65
	v_xor_b32_e32 v18, 24, v42
	v_perm_b32 v19, v19, v23, s1
	v_perm_b32 v22, v27, v31, s1
	v_add_u32_e32 v18, 0x80, v18
	ds_write2st64_b32 v18, v19, v22 offset0:33 offset1:65
	v_xor_b32_e32 v18, 32, v42
	v_perm_b32 v19, v20, v24, s0
	v_perm_b32 v22, v28, v32, s0
	ds_write2st64_b32 v18, v19, v22 offset0:34 offset1:66
	v_xor_b32_e32 v18, 40, v42
	s_waitcnt lgkmcnt(5)
	v_mfma_f32_16x16x16_bf16 a[0:3], v[68:69], v[46:47], a[8:11]
	v_perm_b32 v19, v20, v24, s1
	v_perm_b32 v20, v28, v32, s1
	v_add_u32_e32 v18, 0x80, v18
	ds_write2st64_b32 v18, v19, v20 offset0:34 offset1:66
	v_xor_b32_e32 v18, 48, v42
	v_perm_b32 v19, v21, v25, s0
	v_perm_b32 v20, v29, v33, s0
	ds_write2st64_b32 v18, v19, v20 offset0:35 offset1:67
	v_xor_b32_e32 v18, 56, v42
	v_or_b32_e32 v36, v34, v53
	v_perm_b32 v19, v21, v25, s1
	v_perm_b32 v20, v29, v33, s1
	v_add_u32_e32 v18, 0x80, v18
	v_cmp_gt_i32_e64 s[0:1], s48, v36
	v_mov_b32_e32 v42, 0
	ds_write2st64_b32 v18, v19, v20 offset0:35 offset1:67
	s_and_saveexec_b64 s[2:3], s[0:1]
	s_cbranch_execz .LBB281_62
; %bb.61:
	v_add_u32_e32 v18, s45, v36
	v_ashrrev_i32_e32 v19, 31, v18
	v_mul_lo_u32 v20, v19, s36
	v_mul_lo_u32 v21, v18, s37
	v_mad_u64_u32 v[18:19], s[4:5], v18, s36, 0
	v_add3_u32 v19, v19, v21, v20
	v_lshl_add_u64 v[18:19], v[18:19], 2, s[12:13]
	global_load_dword v18, v[18:19], off
	s_waitcnt vmcnt(0)
	v_sub_f32_e32 v18, s17, v18
	v_exp_f32_e32 v43, v18
.LBB281_62:
	s_or_b64 exec, exec, s[2:3]
	v_or_b32_e32 v30, 1, v36
	v_cmp_gt_i32_e64 s[4:5], s48, v30
	s_and_saveexec_b64 s[2:3], s[4:5]
	s_cbranch_execz .LBB281_64
; %bb.63:
	v_add_u32_e32 v18, s45, v30
	v_ashrrev_i32_e32 v19, 31, v18
	v_mul_lo_u32 v20, v19, s36
	v_mul_lo_u32 v21, v18, s37
	v_mad_u64_u32 v[18:19], s[6:7], v18, s36, 0
	v_add3_u32 v19, v19, v21, v20
	v_lshl_add_u64 v[18:19], v[18:19], 2, s[12:13]
	global_load_dword v18, v[18:19], off
	s_waitcnt vmcnt(0)
	v_sub_f32_e32 v18, s17, v18
	v_exp_f32_e32 v42, v18
.LBB281_64:
	s_or_b64 exec, exec, s[2:3]
	v_or_b32_e32 v28, 2, v36
	v_cmp_gt_i32_e64 s[2:3], s48, v28
	v_mov_b32_e32 v37, 0
	v_mov_b32_e32 v44, 0
	s_and_saveexec_b64 s[6:7], s[2:3]
	s_cbranch_execz .LBB281_66
; %bb.65:
	v_add_u32_e32 v18, s45, v28
	v_ashrrev_i32_e32 v19, 31, v18
	v_mul_lo_u32 v20, v19, s36
	v_mul_lo_u32 v21, v18, s37
	v_mad_u64_u32 v[18:19], s[18:19], v18, s36, 0
	v_add3_u32 v19, v19, v21, v20
	v_lshl_add_u64 v[18:19], v[18:19], 2, s[12:13]
	global_load_dword v18, v[18:19], off
	s_waitcnt vmcnt(0)
	v_sub_f32_e32 v18, s17, v18
	v_exp_f32_e32 v44, v18
.LBB281_66:
	s_or_b64 exec, exec, s[6:7]
	v_or_b32_e32 v29, 3, v36
	v_cmp_gt_i32_e32 vcc, s48, v29
	s_and_saveexec_b64 s[6:7], vcc
	s_cbranch_execz .LBB281_68
; %bb.67:
	v_add_u32_e32 v18, s45, v29
	v_ashrrev_i32_e32 v19, 31, v18
	v_mul_lo_u32 v20, v19, s36
	v_mul_lo_u32 v21, v18, s37
	v_mad_u64_u32 v[18:19], s[18:19], v18, s36, 0
	v_add3_u32 v19, v19, v21, v20
	v_lshl_add_u64 v[18:19], v[18:19], 2, s[12:13]
	global_load_dword v18, v[18:19], off
	s_waitcnt vmcnt(0)
	v_sub_f32_e32 v18, s17, v18
	v_exp_f32_e32 v37, v18
.LBB281_68:
	s_or_b64 exec, exec, s[6:7]
	s_add_u32 s6, s20, s28
	s_addc_u32 s7, s21, s29
	s_add_u32 s12, s14, s28
	v_ashrrev_i32_e32 v61, 31, v60
	v_accvgpr_read_b32 v21, a7
	s_addc_u32 s13, s15, s29
	v_lshlrev_b64 v[22:23], 1, v[60:61]
	v_accvgpr_read_b32 v20, a6
	v_accvgpr_read_b32 v19, a5
	;; [unrolled: 1-line block ×3, first 2 shown]
	v_lshl_add_u64 v[24:25], s[6:7], 0, v[22:23]
	v_lshl_add_u64 v[22:23], s[12:13], 0, v[22:23]
	v_mov_b32_e32 v31, 0
	v_lshlrev_b32_e32 v26, 8, v36
	v_mov_b32_e32 v27, 0
	s_and_saveexec_b64 s[6:7], s[0:1]
	s_cbranch_execz .LBB281_70
; %bb.69:
	v_mov_b32_e32 v27, 0
	v_lshl_add_u64 v[32:33], v[24:25], 0, v[26:27]
	global_load_ushort v45, v[32:33], off
	v_lshl_add_u64 v[32:33], v[22:23], 0, v[26:27]
	s_waitcnt vmcnt(0)
	v_lshlrev_b32_e32 v27, 16, v45
	v_sub_f32_e32 v18, v27, v18
	global_store_short_d16_hi v[32:33], v18, off
	v_mul_f32_e32 v18, v43, v18
	v_lshrrev_b32_e32 v27, 16, v18
.LBB281_70:
	s_or_b64 exec, exec, s[6:7]
	v_lshlrev_b32_e32 v30, 8, v30
	s_and_saveexec_b64 s[6:7], s[4:5]
	s_cbranch_execz .LBB281_72
; %bb.71:
	v_mov_b32_e32 v31, 0
	v_lshl_add_u64 v[32:33], v[24:25], 0, v[30:31]
	global_load_ushort v18, v[32:33], off
	v_lshl_add_u64 v[32:33], v[22:23], 0, v[30:31]
	s_waitcnt vmcnt(0)
	v_lshlrev_b32_e32 v18, 16, v18
	v_sub_f32_e32 v18, v18, v19
	global_store_short_d16_hi v[32:33], v18, off
	v_mul_f32_e32 v18, v42, v18
	v_lshrrev_b32_e32 v31, 16, v18
.LBB281_72:
	s_or_b64 exec, exec, s[6:7]
	v_mov_b32_e32 v46, 0
	v_lshlrev_b32_e32 v32, 8, v28
	v_mov_b32_e32 v33, 0
	s_and_saveexec_b64 s[6:7], s[2:3]
	s_cbranch_execz .LBB281_74
; %bb.73:
	v_mov_b32_e32 v33, 0
	v_lshl_add_u64 v[18:19], v[24:25], 0, v[32:33]
	global_load_ushort v28, v[18:19], off
	v_lshl_add_u64 v[18:19], v[22:23], 0, v[32:33]
	s_waitcnt vmcnt(0)
	v_lshlrev_b32_e32 v28, 16, v28
	v_sub_f32_e32 v20, v28, v20
	global_store_short_d16_hi v[18:19], v20, off
	v_mul_f32_e32 v18, v44, v20
	v_lshrrev_b32_e32 v33, 16, v18
.LBB281_74:
	s_or_b64 exec, exec, s[6:7]
	v_lshlrev_b32_e32 v28, 8, v29
	s_and_saveexec_b64 s[6:7], vcc
	s_cbranch_execz .LBB281_76
; %bb.75:
	v_mov_b32_e32 v29, 0
	v_lshl_add_u64 v[18:19], v[24:25], 0, v[28:29]
	global_load_ushort v20, v[18:19], off
	v_lshl_add_u64 v[18:19], v[22:23], 0, v[28:29]
	s_waitcnt vmcnt(0)
	v_lshlrev_b32_e32 v20, 16, v20
	v_sub_f32_e32 v20, v20, v21
	global_store_short_d16_hi v[18:19], v20, off
	v_mul_f32_e32 v18, v37, v20
	v_lshrrev_b32_e32 v46, 16, v18
.LBB281_76:
	s_or_b64 exec, exec, s[6:7]
	v_lshlrev_b32_e32 v45, 5, v36
	s_mov_b32 s6, 0x5040100
	v_perm_b32 v47, v46, v33, s6
	v_perm_b32 v46, v31, v27, s6
	v_or_b32_e32 v27, v45, v38
	v_accvgpr_read_b32 v21, a3
	v_lshlrev_b32_e32 v27, 1, v27
	v_accvgpr_read_b32 v20, a2
	v_accvgpr_read_b32 v19, a1
	;; [unrolled: 1-line block ×3, first 2 shown]
	ds_write_b64 v27, v[46:47] offset:45056
	v_mov_b32_e32 v31, 0
	v_mov_b32_e32 v27, 0
	s_and_saveexec_b64 s[6:7], s[0:1]
	s_cbranch_execz .LBB281_78
; %bb.77:
	v_mov_b32_e32 v27, 0
	v_lshl_add_u64 v[46:47], v[24:25], 0, v[26:27]
	global_load_ushort v29, v[46:47], off offset:32
	v_lshl_add_u64 v[26:27], v[22:23], 0, v[26:27]
	s_waitcnt vmcnt(0)
	v_lshlrev_b32_e32 v29, 16, v29
	v_sub_f32_e32 v18, v29, v18
	global_store_short_d16_hi v[26:27], v18, off offset:32
	v_mul_f32_e32 v18, v43, v18
	v_lshrrev_b32_e32 v27, 16, v18
.LBB281_78:
	s_or_b64 exec, exec, s[6:7]
	s_and_saveexec_b64 s[0:1], s[4:5]
	s_cbranch_execz .LBB281_80
; %bb.79:
	v_mov_b32_e32 v31, 0
	v_lshl_add_u64 v[46:47], v[24:25], 0, v[30:31]
	global_load_ushort v18, v[46:47], off offset:32
	v_lshl_add_u64 v[30:31], v[22:23], 0, v[30:31]
	s_waitcnt vmcnt(0)
	v_lshlrev_b32_e32 v18, 16, v18
	v_sub_f32_e32 v18, v18, v19
	global_store_short_d16_hi v[30:31], v18, off offset:32
	v_mul_f32_e32 v18, v42, v18
	v_lshrrev_b32_e32 v31, 16, v18
.LBB281_80:
	s_or_b64 exec, exec, s[0:1]
	v_mov_b32_e32 v26, 0
	v_mov_b32_e32 v30, 0
	s_and_saveexec_b64 s[0:1], s[2:3]
	s_cbranch_execz .LBB281_82
; %bb.81:
	v_mov_b32_e32 v33, 0
	v_lshl_add_u64 v[18:19], v[24:25], 0, v[32:33]
	global_load_ushort v29, v[18:19], off offset:32
	v_lshl_add_u64 v[18:19], v[22:23], 0, v[32:33]
	s_waitcnt vmcnt(0)
	v_lshlrev_b32_e32 v29, 16, v29
	v_sub_f32_e32 v20, v29, v20
	global_store_short_d16_hi v[18:19], v20, off offset:32
	v_mul_f32_e32 v18, v44, v20
	v_lshrrev_b32_e32 v30, 16, v18
.LBB281_82:
	s_or_b64 exec, exec, s[0:1]
	v_or_b32_e32 v19, 0xb000, v40
	v_or_b32_e32 v18, 0xb000, v41
	s_and_saveexec_b64 s[0:1], vcc
	s_cbranch_execz .LBB281_84
; %bb.83:
	v_mov_b32_e32 v29, 0
	v_lshl_add_u64 v[24:25], v[24:25], 0, v[28:29]
	global_load_ushort v20, v[24:25], off offset:32
	v_lshl_add_u64 v[22:23], v[22:23], 0, v[28:29]
	s_waitcnt vmcnt(0)
	v_lshlrev_b32_e32 v20, 16, v20
	v_sub_f32_e32 v20, v20, v21
	global_store_short_d16_hi v[22:23], v20, off offset:32
	v_mul_f32_e32 v20, v37, v20
	v_lshrrev_b32_e32 v26, 16, v20
.LBB281_84:
	s_or_b64 exec, exec, s[0:1]
	s_mov_b32 s0, 0x5040100
	v_or_b32_e32 v22, v45, v35
	v_perm_b32 v21, v26, v30, s0
	v_perm_b32 v20, v31, v27, s0
	v_lshlrev_b32_e32 v22, 1, v22
	s_movk_i32 s2, 0x100
	ds_write_b64 v22, v[20:21] offset:45056
	v_and_b32_e32 v20, 7, v0
	v_and_b32_e32 v21, 8, v0
	v_cmp_gt_u32_e32 vcc, s2, v0
	v_lshrrev_b32_e32 v0, 1, v0
	v_lshlrev_b32_e32 v26, 3, v20
	v_lshlrev_b32_e32 v47, 7, v20
	v_mov_b32_e32 v20, 0x4000
	v_mov_b32_e32 v22, 0x2000
	v_lshlrev_b32_e32 v24, 3, v1
	v_and_b32_e32 v0, 24, v0
	v_cndmask_b32_e32 v27, v20, v22, vcc
	v_xor_b32_e32 v20, v24, v0
	v_or_b32_e32 v22, 0x440, v20
	v_cmp_eq_u32_e32 vcc, 0, v21
	v_or_b32_e32 v28, 32, v0
	v_xor_b32_e32 v28, v24, v28
	v_cndmask_b32_e32 v20, v22, v20, vcc
	v_or_b32_e32 v20, v20, v39
	v_xor_b32_e32 v48, v20, v26
	v_or_b32_e32 v29, 0x440, v28
	v_add3_u32 v25, v27, v48, v47
	v_cndmask_b32_e32 v28, v29, v28, vcc
	v_or_b32_e32 v29, 64, v0
	v_or_b32_e32 v0, 0x60, v0
	s_waitcnt lgkmcnt(0)
	s_barrier
	v_xor_b32_e32 v29, v24, v29
	v_xor_b32_e32 v0, v24, v0
	ds_read_b64 v[24:25], v25
	v_xor_b32_e32 v30, 0x440, v29
	v_cndmask_b32_e32 v29, v30, v29, vcc
	v_xor_b32_e32 v30, 0x440, v0
	ds_read2_b64 v[20:23], v19 offset1:16
	v_cndmask_b32_e32 v0, v30, v0, vcc
	v_or_b32_e32 v28, v28, v39
	v_or_b32_e32 v29, v29, v39
	;; [unrolled: 1-line block ×3, first 2 shown]
	v_xor_b32_e32 v49, v28, v26
	v_xor_b32_e32 v50, v29, v26
	;; [unrolled: 1-line block ×3, first 2 shown]
	s_add_i32 s0, s16, s51
	v_add3_u32 v28, v27, v49, v47
	v_add3_u32 v29, v27, v50, v47
	;; [unrolled: 1-line block ×3, first 2 shown]
	s_mul_hi_i32 s1, s0, s25
	s_mul_i32 s0, s0, s25
	ds_read_b64 v[26:27], v28
	ds_read_b64 v[32:33], v29
	;; [unrolled: 1-line block ×3, first 2 shown]
	ds_read2st64_b64 v[28:31], v19 offset0:2 offset1:4
	ds_read2st64_b64 v[38:41], v18 offset0:2 offset1:4
	s_add_u32 s0, s0, s33
	s_waitcnt lgkmcnt(5)
	v_mfma_f32_16x16x16_bf16 a[0:3], v[24:25], v[20:21], 0
	s_addc_u32 s1, s1, s50
	s_lshl_b64 s[0:1], s[0:1], 9
	s_add_u32 s0, s8, s0
	v_mfma_f32_16x16x16_bf16 a[4:7], v[24:25], v[22:23], 0
	s_addc_u32 s1, s9, s1
	v_lshlrev_b32_e32 v24, 2, v36
	v_lshlrev_b32_e32 v1, 6, v1
	s_waitcnt lgkmcnt(1)
	v_mfma_f32_16x16x16_bf16 a[0:3], v[26:27], v[28:29], a[0:3]
	v_add_u32_e32 v48, v48, v47
	v_exp_f32_e32 v46, s17
	v_add_u32_e32 v0, v0, v47
	s_waitcnt lgkmcnt(0)
	v_mfma_f32_16x16x16_bf16 a[4:7], v[26:27], v[38:39], a[4:7]
	global_load_dwordx4 v[24:27], v24, s[0:1]
	ds_read_b64 v[36:37], v19 offset:3072
	ds_read_b64 v[44:45], v18 offset:3072
	v_lshlrev_b32_e32 v18, 2, v34
	v_or3_b32 v1, v1, v18, s2
	v_mfma_f32_16x16x16_bf16 a[0:3], v[32:33], v[30:31], a[0:3]
	s_waitcnt vmcnt(0)
	v_exp_f32_e32 v18, v24
	v_mfma_f32_16x16x16_bf16 a[4:7], v[32:33], v[40:41], a[4:7]
	global_load_dwordx4 v[32:35], v1, s[0:1]
	v_exp_f32_e32 v19, v25
	ds_read_b64 v[24:25], v48 offset:16384
	s_waitcnt lgkmcnt(2)
	v_mfma_f32_16x16x16_bf16 a[0:3], v[42:43], v[36:37], a[0:3]
	v_add_u32_e32 v48, v50, v47
	v_pk_mul_f32 v[52:53], v[46:47], v[18:19] op_sel_hi:[0,1]
	v_exp_f32_e32 v26, v26
	s_waitcnt lgkmcnt(1)
	v_mfma_f32_16x16x16_bf16 a[4:7], v[42:43], v[44:45], a[4:7]
	v_add_u32_e32 v42, v49, v47
	ds_read_b64 v[42:43], v42 offset:16384
	ds_read_b64 v[48:49], v48 offset:16384
	;; [unrolled: 1-line block ×3, first 2 shown]
	v_accvgpr_read_b32 v19, a1
	s_waitcnt lgkmcnt(3)
	v_mfma_f32_16x16x16_bf16 a[8:11], v[24:25], v[20:21], 0
	v_accvgpr_read_b32 v1, a3
	v_accvgpr_read_b32 v0, a2
	;; [unrolled: 1-line block ×3, first 2 shown]
	v_mfma_f32_16x16x16_bf16 a[0:3], v[24:25], v[22:23], 0
	v_exp_f32_e32 v27, v27
	v_pk_fma_f32 v[18:19], v[2:3], v[52:53], v[18:19]
	v_pk_mul_f32 v[2:3], v[46:47], v[26:27] op_sel_hi:[0,1]
	s_waitcnt lgkmcnt(2)
	v_mfma_f32_16x16x16_bf16 a[8:11], v[42:43], v[28:29], a[8:11]
	v_pk_fma_f32 v[20:21], v[4:5], v[2:3], v[0:1]
	v_accvgpr_read_b32 v0, a4
	v_fma_f32 v26, v10, v52, v0
	v_mfma_f32_16x16x16_bf16 a[0:3], v[42:43], v[38:39], a[0:3]
	v_accvgpr_read_b32 v0, a5
	v_fma_f32 v27, v11, v53, v0
	v_accvgpr_read_b32 v0, a6
	s_waitcnt lgkmcnt(1)
	v_mfma_f32_16x16x16_bf16 a[8:11], v[48:49], v[30:31], a[8:11]
	v_fma_f32 v28, v12, v2, v0
	v_accvgpr_read_b32 v29, a7
	v_fmac_f32_e32 v29, v13, v3
	v_mfma_f32_16x16x16_bf16 a[0:3], v[48:49], v[40:41], a[0:3]
	s_waitcnt vmcnt(0)
	v_mov_b32_e32 v0, v33
	v_mov_b32_e32 v1, v34
	;; [unrolled: 1-line block ×3, first 2 shown]
	v_exp_f32_e32 v5, v0
	v_exp_f32_e32 v0, v1
	s_waitcnt lgkmcnt(0)
	v_mfma_f32_16x16x16_bf16 a[4:7], v[50:51], v[36:37], a[8:11]
	v_exp_f32_e32 v1, v2
	v_exp_f32_e32 v4, v32
	v_pk_mul_f32 v[0:1], v[46:47], v[0:1] op_sel_hi:[0,1]
	v_mfma_f32_16x16x16_bf16 a[0:3], v[50:51], v[44:45], a[0:3]
	v_pk_mul_f32 v[4:5], v[46:47], v[4:5] op_sel_hi:[0,1]
	s_nop 1
	v_accvgpr_read_b32 v3, a7
	v_accvgpr_read_b32 v2, a6
	v_pk_fma_f32 v[24:25], v[8:9], v[0:1], v[2:3]
	v_accvgpr_read_b32 v11, a5
	v_accvgpr_read_b32 v10, a4
	v_pk_fma_f32 v[22:23], v[6:7], v[4:5], v[10:11]
	v_accvgpr_read_b32 v2, a0
	v_fma_f32 v30, v14, v4, v2
	v_accvgpr_read_b32 v2, a1
	v_fma_f32 v31, v15, v5, v2
	v_accvgpr_read_b32 v2, a2
	v_accvgpr_read_b32 v33, a3
	v_fma_f32 v32, v16, v0, v2
	v_fmac_f32_e32 v33, v17, v1
	v_mov_b64_e32 v[2:3], v[18:19]
	v_mov_b64_e32 v[4:5], v[20:21]
	;; [unrolled: 1-line block ×8, first 2 shown]
.LBB281_85:
	s_add_u32 s0, s10, s34
	s_addc_u32 s1, s11, s35
	v_lshl_add_u64 v[0:1], v[56:57], 1, s[0:1]
	v_mov_b32_e32 v55, 0
	s_mov_b32 s2, 0x7060302
	v_lshl_add_u64 v[0:1], v[0:1], 0, v[54:55]
	v_perm_b32 v5, v5, v4, s2
	v_perm_b32 v4, v3, v2, s2
	;; [unrolled: 1-line block ×4, first 2 shown]
	global_store_dwordx2 v[0:1], v[4:5], off
	global_store_dwordx2 v[0:1], v[2:3], off offset:128
	v_lshl_add_u64 v[0:1], v[58:59], 1, s[0:1]
	v_lshl_add_u64 v[0:1], v[0:1], 0, v[54:55]
	v_perm_b32 v3, v13, v12, s2
	v_perm_b32 v2, v11, v10, s2
	global_store_dwordx2 v[0:1], v[2:3], off
	v_perm_b32 v3, v17, v16, s2
	v_perm_b32 v2, v15, v14, s2
	global_store_dwordx2 v[0:1], v[2:3], off offset:128
	s_endpgm
	.section	.rodata,"a",@progbits
	.p2align	6, 0x0
	.amdhsa_kernel _ZN12_GLOBAL__N_139chunk_gated_delta_rule_fwd_h_hip_kernelILi32ELb1ELb1ELb1ELb0ELb1ELb1ELb0ELb1EEEvPK12hip_bfloat16S3_S3_PKfS5_PKvPS1_S8_PvPKiSB_iiiiilll
		.amdhsa_group_segment_fixed_size 49152
		.amdhsa_private_segment_fixed_size 0
		.amdhsa_kernarg_size 136
		.amdhsa_user_sgpr_count 2
		.amdhsa_user_sgpr_dispatch_ptr 0
		.amdhsa_user_sgpr_queue_ptr 0
		.amdhsa_user_sgpr_kernarg_segment_ptr 1
		.amdhsa_user_sgpr_dispatch_id 0
		.amdhsa_user_sgpr_kernarg_preload_length 0
		.amdhsa_user_sgpr_kernarg_preload_offset 0
		.amdhsa_user_sgpr_private_segment_size 0
		.amdhsa_uses_dynamic_stack 0
		.amdhsa_enable_private_segment 0
		.amdhsa_system_sgpr_workgroup_id_x 1
		.amdhsa_system_sgpr_workgroup_id_y 1
		.amdhsa_system_sgpr_workgroup_id_z 0
		.amdhsa_system_sgpr_workgroup_info 0
		.amdhsa_system_vgpr_workitem_id 0
		.amdhsa_next_free_vgpr 168
		.amdhsa_next_free_sgpr 76
		.amdhsa_accum_offset 148
		.amdhsa_reserve_vcc 1
		.amdhsa_float_round_mode_32 0
		.amdhsa_float_round_mode_16_64 0
		.amdhsa_float_denorm_mode_32 3
		.amdhsa_float_denorm_mode_16_64 3
		.amdhsa_dx10_clamp 1
		.amdhsa_ieee_mode 1
		.amdhsa_fp16_overflow 0
		.amdhsa_tg_split 0
		.amdhsa_exception_fp_ieee_invalid_op 0
		.amdhsa_exception_fp_denorm_src 0
		.amdhsa_exception_fp_ieee_div_zero 0
		.amdhsa_exception_fp_ieee_overflow 0
		.amdhsa_exception_fp_ieee_underflow 0
		.amdhsa_exception_fp_ieee_inexact 0
		.amdhsa_exception_int_div_zero 0
	.end_amdhsa_kernel
	.section	.text._ZN12_GLOBAL__N_139chunk_gated_delta_rule_fwd_h_hip_kernelILi32ELb1ELb1ELb1ELb0ELb1ELb1ELb0ELb1EEEvPK12hip_bfloat16S3_S3_PKfS5_PKvPS1_S8_PvPKiSB_iiiiilll,"axG",@progbits,_ZN12_GLOBAL__N_139chunk_gated_delta_rule_fwd_h_hip_kernelILi32ELb1ELb1ELb1ELb0ELb1ELb1ELb0ELb1EEEvPK12hip_bfloat16S3_S3_PKfS5_PKvPS1_S8_PvPKiSB_iiiiilll,comdat
.Lfunc_end281:
	.size	_ZN12_GLOBAL__N_139chunk_gated_delta_rule_fwd_h_hip_kernelILi32ELb1ELb1ELb1ELb0ELb1ELb1ELb0ELb1EEEvPK12hip_bfloat16S3_S3_PKfS5_PKvPS1_S8_PvPKiSB_iiiiilll, .Lfunc_end281-_ZN12_GLOBAL__N_139chunk_gated_delta_rule_fwd_h_hip_kernelILi32ELb1ELb1ELb1ELb0ELb1ELb1ELb0ELb1EEEvPK12hip_bfloat16S3_S3_PKfS5_PKvPS1_S8_PvPKiSB_iiiiilll
                                        ; -- End function
	.section	.AMDGPU.csdata,"",@progbits
; Kernel info:
; codeLenInByte = 9996
; NumSgprs: 82
; NumVgprs: 146
; NumAgprs: 20
; TotalNumVgprs: 168
; ScratchSize: 0
; MemoryBound: 0
; FloatMode: 240
; IeeeMode: 1
; LDSByteSize: 49152 bytes/workgroup (compile time only)
; SGPRBlocks: 10
; VGPRBlocks: 20
; NumSGPRsForWavesPerEU: 82
; NumVGPRsForWavesPerEU: 168
; AccumOffset: 148
; Occupancy: 1
; WaveLimiterHint : 1
; COMPUTE_PGM_RSRC2:SCRATCH_EN: 0
; COMPUTE_PGM_RSRC2:USER_SGPR: 2
; COMPUTE_PGM_RSRC2:TRAP_HANDLER: 0
; COMPUTE_PGM_RSRC2:TGID_X_EN: 1
; COMPUTE_PGM_RSRC2:TGID_Y_EN: 1
; COMPUTE_PGM_RSRC2:TGID_Z_EN: 0
; COMPUTE_PGM_RSRC2:TIDIG_COMP_CNT: 0
; COMPUTE_PGM_RSRC3_GFX90A:ACCUM_OFFSET: 36
; COMPUTE_PGM_RSRC3_GFX90A:TG_SPLIT: 0
	.section	.text._ZN12_GLOBAL__N_139chunk_gated_delta_rule_fwd_h_hip_kernelILi32ELb1ELb1ELb0ELb0ELb1ELb1ELb0ELb1EEEvPK12hip_bfloat16S3_S3_PKfS5_PKvPS1_S8_PvPKiSB_iiiiilll,"axG",@progbits,_ZN12_GLOBAL__N_139chunk_gated_delta_rule_fwd_h_hip_kernelILi32ELb1ELb1ELb0ELb0ELb1ELb1ELb0ELb1EEEvPK12hip_bfloat16S3_S3_PKfS5_PKvPS1_S8_PvPKiSB_iiiiilll,comdat
	.globl	_ZN12_GLOBAL__N_139chunk_gated_delta_rule_fwd_h_hip_kernelILi32ELb1ELb1ELb0ELb0ELb1ELb1ELb0ELb1EEEvPK12hip_bfloat16S3_S3_PKfS5_PKvPS1_S8_PvPKiSB_iiiiilll ; -- Begin function _ZN12_GLOBAL__N_139chunk_gated_delta_rule_fwd_h_hip_kernelILi32ELb1ELb1ELb0ELb0ELb1ELb1ELb0ELb1EEEvPK12hip_bfloat16S3_S3_PKfS5_PKvPS1_S8_PvPKiSB_iiiiilll
	.p2align	8
	.type	_ZN12_GLOBAL__N_139chunk_gated_delta_rule_fwd_h_hip_kernelILi32ELb1ELb1ELb0ELb0ELb1ELb1ELb0ELb1EEEvPK12hip_bfloat16S3_S3_PKfS5_PKvPS1_S8_PvPKiSB_iiiiilll,@function
_ZN12_GLOBAL__N_139chunk_gated_delta_rule_fwd_h_hip_kernelILi32ELb1ELb1ELb0ELb0ELb1ELb1ELb0ELb1EEEvPK12hip_bfloat16S3_S3_PKfS5_PKvPS1_S8_PvPKiSB_iiiiilll: ; @_ZN12_GLOBAL__N_139chunk_gated_delta_rule_fwd_h_hip_kernelILi32ELb1ELb1ELb0ELb0ELb1ELb1ELb0ELb1EEEvPK12hip_bfloat16S3_S3_PKfS5_PKvPS1_S8_PvPKiSB_iiiiilll
; %bb.0:
	s_load_dwordx4 s[12:15], s[0:1], 0x5c
	s_abs_i32 s6, s3
	s_ashr_i32 s5, s3, 31
	s_load_dwordx4 s[16:19], s[0:1], 0x20
	s_load_dwordx2 s[38:39], s[0:1], 0x30
	v_and_b32_e32 v69, 15, v0
	s_waitcnt lgkmcnt(0)
	s_abs_i32 s4, s13
	v_cvt_f32_u32_e32 v1, s4
	s_sub_i32 s8, 0, s4
	s_ashr_i32 s7, s13, 31
	s_xor_b32 s5, s5, s7
	v_rcp_iflag_f32_e32 v1, v1
	v_bfe_u32 v68, v0, 4, 2
	v_mov_b32_e32 v55, 0
	v_lshlrev_b32_e32 v70, 3, v0
	v_mul_f32_e32 v1, 0x4f7ffffe, v1
	v_cvt_u32_f32_e32 v1, v1
	s_nop 0
	v_readfirstlane_b32 s9, v1
	s_mul_i32 s8, s8, s9
	s_mul_hi_u32 s8, s9, s8
	s_add_i32 s9, s9, s8
	s_mul_hi_u32 s8, s6, s9
	s_mul_i32 s9, s8, s4
	s_sub_i32 s6, s6, s9
	s_add_i32 s10, s8, 1
	s_sub_i32 s9, s6, s4
	s_cmp_ge_u32 s6, s4
	s_cselect_b32 s8, s10, s8
	s_cselect_b32 s6, s9, s6
	s_add_i32 s9, s8, 1
	s_cmp_ge_u32 s6, s4
	s_cselect_b32 s6, s9, s8
	s_xor_b32 s6, s6, s5
	s_sub_i32 s57, s6, s5
	s_mul_i32 s6, s57, s13
	s_sub_i32 s33, s3, s6
	s_abs_i32 s3, s14
	v_cvt_f32_u32_e32 v1, s3
	s_add_i32 s8, s12, 63
	s_ashr_i32 s9, s8, 31
	s_lshr_b32 s5, s9, 26
	v_rcp_iflag_f32_e32 v1, v1
	s_ashr_i32 s56, s12, 31
	s_add_i32 s8, s8, s5
	s_lshr_b32 s5, s56, 26
	v_mul_f32_e32 v1, 0x4f7ffffe, v1
	v_cvt_u32_f32_e32 v1, v1
	s_add_i32 s5, s12, s5
	s_ashr_i32 s59, s14, 31
	s_ashr_i32 s24, s8, 6
	;; [unrolled: 1-line block ×3, first 2 shown]
	s_xor_b32 s5, s7, s59
	s_sub_i32 s7, 0, s3
	v_readfirstlane_b32 s8, v1
	s_mul_i32 s7, s7, s8
	s_mul_hi_u32 s7, s8, s7
	s_add_i32 s8, s8, s7
	s_mul_hi_u32 s7, s4, s8
	s_mul_i32 s8, s7, s3
	s_sub_i32 s4, s4, s8
	s_lshl_b32 s2, s2, 5
	s_add_i32 s8, s7, 1
	s_sub_i32 s9, s4, s3
	s_cmp_ge_u32 s4, s3
	s_cselect_b32 s7, s8, s7
	s_cselect_b32 s4, s9, s4
	s_add_i32 s8, s7, 1
	s_cmp_ge_u32 s4, s3
	s_cselect_b32 s3, s8, s7
	s_xor_b32 s3, s3, s5
	s_sub_i32 s3, s3, s5
	s_abs_i32 s4, s3
	v_cvt_f32_u32_e32 v1, s4
	s_sub_i32 s7, 0, s4
	s_abs_i32 s5, s33
	s_xor_b32 s3, s33, s3
	v_rcp_iflag_f32_e32 v2, v1
	s_ashr_i32 s3, s3, 31
	v_lshrrev_b32_e32 v1, 6, v0
	v_or_b32_e32 v60, s2, v69
	v_mul_f32_e32 v2, 0x4f7ffffe, v2
	v_cvt_u32_f32_e32 v2, v2
	v_lshlrev_b32_e32 v53, 4, v1
	v_lshlrev_b32_e32 v56, 7, v60
	v_lshl_or_b32 v72, v68, 2, v53
	v_readfirstlane_b32 s8, v2
	s_mul_i32 s7, s7, s8
	s_mul_hi_u32 s7, s8, s7
	s_add_i32 s8, s8, s7
	s_mul_hi_u32 s7, s5, s8
	s_mul_i32 s8, s7, s4
	s_sub_i32 s5, s5, s8
	s_add_i32 s8, s7, 1
	s_sub_i32 s9, s5, s4
	s_cmp_ge_u32 s5, s4
	s_cselect_b32 s7, s8, s7
	s_cselect_b32 s5, s9, s5
	s_add_i32 s8, s7, 1
	s_cmp_ge_u32 s5, s4
	s_cselect_b32 s4, s8, s7
	s_xor_b32 s4, s4, s3
	s_sub_i32 s60, s4, s3
	s_ashr_i32 s3, s57, 31
	s_ashr_i32 s48, s33, 31
	s_mul_hi_i32 s4, s57, s13
	s_add_u32 s40, s6, s33
	s_addc_u32 s41, s4, s48
	s_lshl_b64 s[28:29], s[40:41], 15
	s_add_u32 s4, s18, s28
	s_addc_u32 s5, s19, s29
	v_ashrrev_i32_e32 v57, 31, v56
	v_lshl_add_u64 v[2:3], v[56:57], 1, s[4:5]
	v_lshlrev_b32_e32 v54, 1, v72
	v_or_b32_e32 v58, 0x800, v56
	v_lshl_add_u64 v[2:3], v[2:3], 0, v[54:55]
	v_ashrrev_i32_e32 v59, 31, v58
	global_load_dwordx2 v[6:7], v[2:3], off
	global_load_dwordx2 v[10:11], v[2:3], off offset:128
	v_lshl_add_u64 v[2:3], v[58:59], 1, s[4:5]
	v_lshl_add_u64 v[2:3], v[2:3], 0, v[54:55]
	global_load_dwordx2 v[12:13], v[2:3], off
	global_load_dwordx2 v[14:15], v[2:3], off offset:128
	s_load_dwordx2 s[18:19], s[0:1], 0x40
	s_load_dwordx8 s[4:11], s[0:1], 0x0
	s_load_dwordx2 s[30:31], s[0:1], 0x80
	s_load_dwordx4 s[20:23], s[0:1], 0x70
	v_and_b32_e32 v55, 63, v0
	v_lshrrev_b32_e32 v71, 3, v55
	v_or_b32_e32 v73, 64, v72
	s_mul_i32 s49, s57, s12
	s_waitcnt lgkmcnt(0)
	s_mul_i32 s50, s57, s21
	s_mul_hi_u32 s51, s57, s20
	s_mul_i32 s34, s57, s20
	s_mul_i32 s61, s57, s24
	;; [unrolled: 1-line block ×3, first 2 shown]
	s_mul_hi_u32 s53, s33, s22
	s_mul_i32 s55, s3, s20
	s_mul_i32 s54, s48, s22
	s_mul_hi_u32 s62, s40, s12
	s_mul_i32 s42, s40, s12
	s_mul_i32 s41, s41, s12
	s_cmp_lt_i32 s12, 64
	s_mul_i32 s36, s33, s22
	s_waitcnt vmcnt(3)
	v_and_b32_e32 v3, 0xffff0000, v6
	v_lshlrev_b32_e32 v2, 16, v6
	v_and_b32_e32 v5, 0xffff0000, v7
	v_lshlrev_b32_e32 v4, 16, v7
	s_waitcnt vmcnt(2)
	v_and_b32_e32 v7, 0xffff0000, v10
	v_lshlrev_b32_e32 v6, 16, v10
	v_and_b32_e32 v9, 0xffff0000, v11
	v_lshlrev_b32_e32 v8, 16, v11
	;; [unrolled: 5-line block ×4, first 2 shown]
	s_cbranch_scc1 .LBB282_3
; %bb.1:
	s_add_i32 s43, s62, s41
	s_lshl_b64 s[0:1], s[42:43], 8
	v_and_b32_e32 v81, 56, v70
	s_add_u32 s20, s6, s0
	v_lshl_or_b32 v80, v1, 3, v71
	v_lshlrev_b32_e32 v10, 1, v81
	s_addc_u32 s0, s7, s1
	v_lshl_or_b32 v82, v80, 8, v10
	s_and_b32 s21, s0, 0xffff
	s_mov_b32 s23, 0x20000
	s_movk_i32 s22, 0x4000
	s_movk_i32 s0, 0x80
	v_or_b32_e32 v84, 0x2000, v82
	buffer_load_dwordx4 v[12:15], v82, s[20:23], 0 offen
	buffer_load_dwordx4 v[16:19], v82, s[20:23], s0 offen
	;; [unrolled: 1-line block ×4, first 2 shown]
	v_lshlrev_b32_e32 v11, 3, v80
	v_and_or_b32 v29, v0, 7, v11
	v_and_b32_e32 v11, 0x78, v11
	v_lshlrev_b32_e32 v29, 4, v29
	v_xor_b32_e32 v86, v29, v11
	v_mul_lo_u32 v28, v80, s15
	v_or_b32_e32 v87, 0x1000, v86
	v_xor_b32_e32 v11, 8, v86
	s_cmpk_eq_i32 s15, 0x80
	s_mov_b32 s63, s14
	v_xor_b32_e32 v29, 8, v87
	s_cselect_b64 s[0:1], -1, 0
	s_cmpk_lg_i32 s15, 0x80
	s_waitcnt vmcnt(3)
	ds_write_b64 v86, v[12:13] offset:24576
	ds_write_b64 v11, v[14:15] offset:24576
	s_waitcnt vmcnt(2)
	ds_write_b64 v86, v[16:17] offset:32768
	ds_write_b64 v11, v[18:19] offset:32768
	;; [unrolled: 3-line block ×4, first 2 shown]
	v_lshl_add_u32 v11, v28, 1, v81
	s_cbranch_scc0 .LBB282_4
; %bb.2:
	v_lshlrev_b32_e32 v13, 1, v11
	v_add_lshl_u32 v12, v11, s15, 1
	s_lshl_b32 s22, s15, 7
	v_lshl_or_b32 v10, v80, 9, v10
	s_cbranch_execz .LBB282_5
	s_branch .LBB282_6
.LBB282_3:
	v_mov_b32_e32 v17, v83
	v_mov_b32_e32 v16, v79
	;; [unrolled: 1-line block ×5, first 2 shown]
	s_branch .LBB282_20
.LBB282_4:
                                        ; implicit-def: $vgpr12
                                        ; implicit-def: $vgpr13
                                        ; implicit-def: $sgpr22
	v_lshl_or_b32 v10, v80, 9, v10
.LBB282_5:
	v_or_b32_e32 v12, 0x100, v10
	s_movk_i32 s22, 0x4000
	v_mov_b32_e32 v13, v10
.LBB282_6:
	s_mul_hi_u32 s20, s14, s12
	s_mul_i32 s21, s59, s12
	s_add_i32 s20, s20, s21
	s_mul_i32 s21, s14, s12
	s_mul_i32 s23, s21, s3
	s_mul_hi_u32 s24, s21, s57
	s_add_i32 s23, s24, s23
	s_mul_i32 s20, s20, s57
	s_add_i32 s23, s23, s20
	s_mul_i32 s21, s21, s57
	s_ashr_i32 s64, s60, 31
	s_add_u32 s20, s21, s60
	s_addc_u32 s21, s23, s64
	s_lshl_b64 s[20:21], s[20:21], 8
	s_add_u32 s20, s4, s20
	s_addc_u32 s21, s5, s21
	s_and_b32 s21, s21, 0xffff
	s_mov_b32 s23, 0x20000
	s_movk_i32 s65, 0x80
	buffer_load_dwordx4 v[14:17], v13, s[20:23], 0 offen
	buffer_load_dwordx4 v[18:21], v13, s[20:23], s65 offen
	buffer_load_dwordx4 v[22:25], v12, s[20:23], 0 offen
	buffer_load_dwordx4 v[26:29], v12, s[20:23], s65 offen
	v_and_b32_e32 v12, 6, v0
	v_lshlrev_b32_e32 v31, 6, v72
	v_or_b32_e32 v33, 16, v69
	v_xor_b32_e32 v34, v80, v12
	v_and_b32_e32 v13, 1, v0
	s_mul_i32 s3, s3, s12
	s_mul_hi_u32 s20, s57, s12
	v_lshl_or_b32 v37, v69, 3, v31
	v_lshl_or_b32 v31, v33, 3, v31
	v_lshlrev_b32_e32 v34, 2, v34
	v_lshlrev_b32_e32 v30, 2, v69
	v_or_b32_e32 v90, 0xa000, v31
	v_or_b32_e32 v91, 0xb000, v31
	v_xor_b32_e32 v31, 0x440, v34
	v_cmp_eq_u32_e32 vcc, 0, v13
	s_add_i32 s69, s20, s3
	s_add_i32 s3, s51, s50
	v_xor_b32_e32 v35, v72, v30
	v_xor_b32_e32 v36, v73, v30
	v_cndmask_b32_e32 v13, v31, v34, vcc
	s_add_i32 s35, s3, s55
	s_add_i32 s3, s53, s52
	s_mov_b32 s67, 0x1000504
	v_lshlrev_b32_e32 v32, 8, v69
	v_lshlrev_b32_e32 v35, 1, v35
	;; [unrolled: 1-line block ×3, first 2 shown]
	v_lshl_or_b32 v12, v12, 10, v13
	s_add_i32 s37, s3, s54
	s_lshl_b64 s[20:21], s[34:35], 2
	s_mov_b32 s68, 0x3020706
	v_or_b32_e32 v88, 0xa000, v37
	v_or_b32_e32 v89, 0xb000, v37
	;; [unrolled: 1-line block ×4, first 2 shown]
	v_xor_b32_e32 v13, 8, v12
	v_xor_b32_e32 v32, 24, v12
	;; [unrolled: 1-line block ×4, first 2 shown]
	s_add_u32 s3, s10, s20
	v_xor_b32_e32 v31, 16, v12
	v_xor_b32_e32 v34, 32, v12
	;; [unrolled: 1-line block ×3, first 2 shown]
	v_add_u32_e32 v13, 0x80, v13
	v_add_u32_e32 v32, 0x80, v32
	;; [unrolled: 1-line block ×4, first 2 shown]
	s_addc_u32 s22, s11, s21
	s_lshl_b64 s[20:21], s[36:37], 2
	s_add_u32 s44, s3, s20
	s_movk_i32 s3, 0xf8
	s_addc_u32 s45, s22, s21
	s_lshl_b32 s26, s15, 7
	s_movk_i32 s24, 0x100
	v_mov_b32_e32 v63, 0
	v_lshlrev_b32_e32 v62, 4, v69
	v_cmp_gt_u32_e32 vcc, s24, v0
	v_lshlrev_b32_e32 v33, 8, v33
	v_ashrrev_i32_e32 v61, 31, v60
	s_mov_b32 s66, 0
	v_or_b32_e32 v94, v33, v35
	v_or_b32_e32 v95, v33, v36
	s_movk_i32 s35, 0x1000
	s_movk_i32 s22, 0x4000
	v_lshl_add_u64 v[64:65], v[60:61], 1, s[8:9]
	s_mov_b32 s37, 0x7060302
	s_mov_b32 s71, 0
	s_waitcnt vmcnt(1)
	v_perm_b32 v40, v14, v22, s67
	s_waitcnt vmcnt(0)
	v_perm_b32 v41, v18, v26, s67
	v_perm_b32 v14, v14, v22, s68
	;; [unrolled: 1-line block ×15, first 2 shown]
	ds_write2st64_b32 v12, v40, v41 offset0:32 offset1:64
	ds_write2st64_b32 v13, v14, v18 offset0:32 offset1:64
	;; [unrolled: 1-line block ×8, first 2 shown]
	v_or_b32_e32 v12, v53, v69
	v_lshlrev_b32_e32 v12, 3, v12
	v_lshrrev_b32_e32 v15, 5, v55
	v_and_or_b32 v15, v12, s3, v15
	v_lshlrev_b32_e32 v15, 4, v15
	v_lshlrev_b32_e32 v17, 11, v1
	v_and_b32_e32 v12, 0x78, v12
	v_or_b32_e32 v20, 32, v15
	v_and_b32_e32 v14, 0x1000, v17
	v_lshrrev_b32_e32 v18, 1, v55
	v_xor_b32_e32 v20, v20, v12
	v_xor_b32_e32 v16, v15, v12
	v_and_b32_e32 v18, 8, v18
	v_or_b32_e32 v20, v20, v14
	v_or_b32_e32 v16, v16, v14
	v_lshlrev_b32_e32 v19, 7, v68
	v_xor_b32_e32 v98, v20, v18
	v_or_b32_e32 v20, 64, v15
	v_or_b32_e32 v15, 0x60, v15
	s_ashr_i32 s3, s2, 31
	v_xor_b32_e32 v96, v16, v18
	v_or_b32_e32 v16, v19, v30
	v_xor_b32_e32 v20, v20, v12
	v_xor_b32_e32 v12, v15, v12
	s_lshl_b64 s[20:21], s[2:3], 8
	v_lshlrev_b32_e32 v16, 1, v16
	v_or_b32_e32 v20, v20, v14
	v_or_b32_e32 v12, v12, v14
	s_add_u32 s20, s38, s20
	v_lshlrev_b32_e32 v14, 1, v69
	v_or_b32_e32 v97, 0xa000, v16
	v_or_b32_e32 v99, 0xa080, v16
	v_or_b32_e32 v102, 0xb000, v16
	v_or_b32_e32 v103, 0xb080, v16
	v_lshrrev_b32_e32 v16, 4, v0
	s_addc_u32 s21, s39, s21
	v_or_b32_e32 v15, 1, v14
	v_mov_b32_e32 v25, 0x4000
	v_mov_b32_e32 v26, 0x2000
	v_lshrrev_b32_e32 v27, 1, v0
	v_xor_b32_e32 v100, v20, v18
	v_xor_b32_e32 v101, v12, v18
	;; [unrolled: 1-line block ×4, first 2 shown]
	v_lshl_add_u64 v[14:15], s[20:21], 0, v[62:63]
	v_lshlrev_b32_e32 v62, 8, v16
	v_cndmask_b32_e32 v25, v25, v26, vcc
	v_lshlrev_b32_e32 v26, 3, v1
	v_and_b32_e32 v27, 24, v27
	v_lshl_or_b32 v104, v18, 3, v62
	v_and_b32_e32 v18, 8, v0
	v_xor_b32_e32 v28, v26, v27
	v_or_b32_e32 v29, 0x440, v28
	v_cmp_eq_u32_e32 vcc, 0, v18
	v_and_b32_e32 v16, 7, v0
	v_lshl_or_b32 v105, v22, 3, v62
	v_cndmask_b32_e32 v18, v29, v28, vcc
	v_lshlrev_b32_e32 v22, 3, v16
	v_lshlrev_b32_e32 v24, 2, v0
	v_or_b32_e32 v18, v18, v17
	v_xor_b32_e32 v28, v18, v22
	v_and_or_b32 v18, v24, 60, v19
	v_mov_b32_e32 v19, 0xb000
	v_lshl_or_b32 v106, v18, 1, v19
	v_or_b32_e32 v18, 32, v27
	v_xor_b32_e32 v18, v26, v18
	v_or_b32_e32 v19, 0x440, v18
	v_cndmask_b32_e32 v18, v19, v18, vcc
	v_or_b32_e32 v18, v18, v17
	v_xor_b32_e32 v19, v18, v22
	v_or_b32_e32 v18, 64, v27
	v_xor_b32_e32 v18, v26, v18
	v_xor_b32_e32 v30, 0x440, v18
	v_cndmask_b32_e32 v18, v30, v18, vcc
	v_or_b32_e32 v18, v18, v17
	v_xor_b32_e32 v30, v18, v22
	v_or_b32_e32 v18, 0x60, v27
	v_xor_b32_e32 v18, v26, v18
	v_xor_b32_e32 v26, 0x440, v18
	v_cndmask_b32_e32 v18, v26, v18, vcc
	v_lshrrev_b32_e32 v13, 2, v55
	v_or_b32_e32 v17, v18, v17
	v_and_b32_e32 v13, 12, v13
	v_xor_b32_e32 v17, v17, v22
	v_lshlrev_b32_e32 v12, 7, v72
	v_lshlrev_b32_e32 v20, 1, v11
	v_add_lshl_u32 v11, v11, s15, 1
	v_or_b32_e32 v21, 0x100, v10
	v_lshlrev_b32_e32 v23, 7, v16
	v_or_b32_e32 v16, v13, v53
	v_add_u32_e32 v29, v25, v28
	v_add_u32_e32 v24, v25, v19
	;; [unrolled: 1-line block ×4, first 2 shown]
	v_or3_b32 v18, v53, v13, 64
	v_add_u32_e32 v13, 0x4000, v28
	v_add_u32_e32 v19, 0x4000, v19
	;; [unrolled: 1-line block ×4, first 2 shown]
	v_cndmask_b32_e64 v107, v20, v10, s[0:1]
	v_cndmask_b32_e64 v108, v11, v21, s[0:1]
	v_lshl_add_u64 v[66:67], v[14:15], 0, v[62:63]
	s_add_i32 s3, s49, 63
	v_lshlrev_b32_e32 v62, 1, v12
	v_lshlrev_b32_e32 v61, 2, v16
	v_add_u32_e32 v109, v29, v23
	v_add_u32_e32 v110, v24, v23
	;; [unrolled: 1-line block ×4, first 2 shown]
	v_lshlrev_b32_e32 v113, 2, v18
	v_add_u32_e32 v114, v13, v23
	v_add_u32_e32 v115, v19, v23
	;; [unrolled: 1-line block ×4, first 2 shown]
	s_waitcnt lgkmcnt(0)
	s_barrier
.LBB282_7:                              ; =>This Inner Loop Header: Depth=1
	s_add_i32 s70, s71, 1
	s_cmp_lt_i32 s70, s58
	s_mov_b64 s[24:25], 0
	s_cselect_b64 s[46:47], -1, 0
	s_cmp_ge_i32 s70, s58
	s_mov_b64 s[20:21], 0
	s_cbranch_scc1 .LBB282_9
; %bb.8:                                ;   in Loop: Header=BB282_7 Depth=1
	s_add_i32 s0, s66, 64
	s_add_u32 s0, s42, s0
	s_addc_u32 s1, s43, 0
	s_lshl_b64 s[0:1], s[0:1], 8
	s_add_u32 s20, s6, s0
	s_addc_u32 s21, s7, s1
.LBB282_9:                              ;   in Loop: Header=BB282_7 Depth=1
	v_cndmask_b32_e64 v10, 0, 1, s[46:47]
	v_cmp_ne_u32_e64 s[0:1], 1, v10
	s_andn2_b64 vcc, exec, s[46:47]
	s_cbranch_vccnz .LBB282_11
; %bb.10:                               ;   in Loop: Header=BB282_7 Depth=1
	s_add_i32 s24, s66, 64
	s_add_u32 s24, s49, s24
	s_addc_u32 s25, s69, 0
	s_mul_i32 s27, s24, s59
	s_mul_hi_u32 s46, s24, s63
	s_add_i32 s27, s46, s27
	s_mul_i32 s25, s25, s63
	s_add_i32 s27, s27, s25
	s_mul_i32 s24, s24, s63
	s_add_u32 s24, s24, s60
	s_addc_u32 s25, s27, s64
	s_lshl_b64 s[24:25], s[24:25], 8
	s_add_u32 s24, s4, s24
	s_addc_u32 s25, s5, s25
.LBB282_11:                             ;   in Loop: Header=BB282_7 Depth=1
	v_perm_b32 v11, v5, v4, s37
	v_perm_b32 v10, v3, v2, s37
	;; [unrolled: 1-line block ×4, first 2 shown]
	ds_write_b64 v88, v[10:11]
	ds_write_b64 v89, v[12:13]
	;; [unrolled: 1-line block ×4, first 2 shown]
	v_perm_b32 v11, v85, v76, s37
	v_perm_b32 v10, v75, v74, s37
	v_perm_b32 v13, v83, v79, s37
	v_perm_b32 v12, v78, v77, s37
	ds_write_b64 v90, v[10:11]
	ds_write_b64 v91, v[12:13]
	;; [unrolled: 1-line block ×4, first 2 shown]
	s_waitcnt lgkmcnt(0)
	s_barrier
	ds_read_b64 v[14:15], v96 offset:24576
	ds_read2_b64 v[10:13], v97 offset1:16
	ds_read_b64 v[18:19], v99 offset:3072
	ds_read_b64 v[20:21], v97 offset:3072
	;; [unrolled: 1-line block ×3, first 2 shown]
	s_waitcnt lgkmcnt(3)
	v_mfma_f32_16x16x16_bf16 a[0:3], v[14:15], v[10:11], 0
	s_add_i32 s27, s66, 63
	s_mul_i32 s46, s27, s31
	s_mul_hi_u32 s47, s27, s30
	v_mfma_f32_16x16x16_bf16 a[4:7], v[14:15], v[12:13], 0
	ds_read2st64_b64 v[10:13], v97 offset0:2 offset1:4
	ds_read2st64_b64 v[14:17], v99 offset0:2 offset1:4
	s_add_i32 s47, s47, s46
	s_waitcnt lgkmcnt(1)
	v_mfma_f32_16x16x16_bf16 a[0:3], v[22:23], v[10:11], a[0:3]
	s_mul_i32 s46, s27, s30
	s_lshl_b64 s[46:47], s[46:47], 2
	s_add_u32 s46, s44, s46
	s_waitcnt lgkmcnt(0)
	v_mfma_f32_16x16x16_bf16 a[4:7], v[22:23], v[14:15], a[4:7]
	ds_read_b64 v[10:11], v100 offset:24576
	ds_read_b64 v[14:15], v101 offset:24576
	s_addc_u32 s47, s45, s47
	s_and_b64 vcc, exec, s[0:1]
	s_waitcnt lgkmcnt(1)
	v_mfma_f32_16x16x16_bf16 a[0:3], v[10:11], v[12:13], a[0:3]
	v_mov_b32_e32 v120, 0
	v_mov_b32_e32 v119, 0
	;; [unrolled: 1-line block ×3, first 2 shown]
	v_mfma_f32_16x16x16_bf16 a[4:7], v[10:11], v[16:17], a[4:7]
	v_mov_b32_e32 v10, 0
	v_mov_b32_e32 v11, 0
	;; [unrolled: 1-line block ×3, first 2 shown]
	s_waitcnt lgkmcnt(0)
	v_mfma_f32_16x16x16_bf16 a[0:3], v[14:15], v[20:21], a[0:3]
	v_mov_b32_e32 v13, 0
	v_mov_b32_e32 v16, 0
	;; [unrolled: 1-line block ×3, first 2 shown]
	v_mfma_f32_16x16x16_bf16 a[4:7], v[14:15], v[18:19], a[4:7]
	v_mov_b32_e32 v14, 0
	v_mov_b32_e32 v15, 0
	;; [unrolled: 1-line block ×10, first 2 shown]
	s_cbranch_vccnz .LBB282_13
; %bb.12:                               ;   in Loop: Header=BB282_7 Depth=1
	s_and_b32 s21, s21, 0xffff
	buffer_load_dwordx4 v[22:25], v82, s[20:23], 0 offen
	buffer_load_dwordx4 v[18:21], v82, s[20:23], s65 offen
	;; [unrolled: 1-line block ×4, first 2 shown]
	v_mov_b32_e32 v119, v86
	v_mov_b32_e32 v118, v87
.LBB282_13:                             ;   in Loop: Header=BB282_7 Depth=1
	ds_read_b64 v[30:31], v96 offset:32768
	ds_read2_b64 v[26:29], v102 offset1:16
	ds_read_b64 v[34:35], v98 offset:32768
	ds_read_b64 v[36:37], v100 offset:32768
	;; [unrolled: 1-line block ×3, first 2 shown]
	v_add_u32_e32 v42, s66, v72
	s_waitcnt lgkmcnt(3)
	v_mfma_f32_16x16x16_bf16 a[0:3], v[30:31], v[26:27], a[0:3]
	v_mov_b32_e32 v121, 0
	v_mfma_f32_16x16x16_bf16 a[4:7], v[30:31], v[28:29], a[4:7]
	ds_read2st64_b64 v[26:29], v102 offset0:2 offset1:4
	ds_read2st64_b64 v[30:33], v103 offset0:2 offset1:4
	s_waitcnt lgkmcnt(1)
	v_mfma_f32_16x16x16_bf16 a[0:3], v[34:35], v[26:27], a[0:3]
	ds_read_b64 v[26:27], v102 offset:3072
	ds_read_b64 v[40:41], v103 offset:3072
	s_waitcnt lgkmcnt(2)
	v_mfma_f32_16x16x16_bf16 a[4:7], v[34:35], v[30:31], a[4:7]
	v_ashrrev_i32_e32 v30, 31, v42
	v_mul_lo_u32 v31, v42, s31
	v_mul_lo_u32 v30, v30, s30
	v_mfma_f32_16x16x16_bf16 a[0:3], v[36:37], v[28:29], a[0:3]
	v_mad_u64_u32 v[28:29], s[20:21], v42, s30, 0
	v_add3_u32 v29, v29, v31, v30
	v_lshl_add_u64 v[28:29], v[28:29], 2, s[44:45]
	global_load_dword v34, v[28:29], off
	v_add_u32_e32 v28, 1, v42
	v_ashrrev_i32_e32 v29, 31, v28
	s_waitcnt lgkmcnt(1)
	v_mfma_f32_16x16x16_bf16 a[0:3], v[38:39], v[26:27], a[0:3]
	v_mul_lo_u32 v29, v29, s30
	v_mul_lo_u32 v30, v28, s31
	v_mad_u64_u32 v[26:27], s[20:21], v28, s30, 0
	v_add_u32_e32 v28, 2, v42
	v_add3_u32 v27, v27, v30, v29
	v_ashrrev_i32_e32 v29, 31, v28
	v_mul_lo_u32 v30, v29, s30
	v_mul_lo_u32 v31, v28, s31
	v_mad_u64_u32 v[28:29], s[20:21], v28, s30, 0
	v_add3_u32 v29, v29, v31, v30
	v_add_u32_e32 v30, 3, v42
	v_ashrrev_i32_e32 v31, 31, v30
	v_mfma_f32_16x16x16_bf16 a[4:7], v[36:37], v[32:33], a[4:7]
	v_mul_lo_u32 v32, v31, s30
	v_mul_lo_u32 v33, v30, s31
	v_mad_u64_u32 v[30:31], s[20:21], v30, s30, 0
	s_add_u32 s20, s42, s66
	s_addc_u32 s21, s43, 0
	s_lshl_b64 s[20:21], s[20:21], 8
	v_add3_u32 v31, v31, v33, v32
	v_lshl_add_u64 v[32:33], v[64:65], 0, s[20:21]
	v_lshl_add_u64 v[26:27], v[26:27], 2, s[44:45]
	;; [unrolled: 1-line block ×4, first 2 shown]
	global_load_ushort v36, v[32:33], off
	global_load_ushort v35, v[32:33], off offset:256
	global_load_ushort v44, v[32:33], off offset:800
	;; [unrolled: 1-line block ×7, first 2 shown]
	v_lshl_add_u64 v[30:31], v[30:31], 2, s[44:45]
	global_load_dword v47, v[26:27], off
	global_load_dword v48, v[28:29], off
	;; [unrolled: 1-line block ×3, first 2 shown]
	s_load_dword s20, s[46:47], 0x0
	s_waitcnt lgkmcnt(0)
	v_mfma_f32_16x16x16_bf16 a[4:7], v[38:39], v[40:41], a[4:7]
	v_accvgpr_read_b32 v31, a1
	v_accvgpr_read_b32 v27, a3
	;; [unrolled: 1-line block ×4, first 2 shown]
	s_and_b64 vcc, exec, s[0:1]
	s_waitcnt vmcnt(11)
	v_sub_f32_e32 v40, s20, v34
	v_exp_f32_e32 v40, v40
	v_accvgpr_read_b32 v33, a5
	v_accvgpr_read_b32 v32, a4
	;; [unrolled: 1-line block ×4, first 2 shown]
	s_waitcnt vmcnt(10)
	v_lshlrev_b32_e32 v34, 16, v36
	s_waitcnt vmcnt(9)
	v_lshlrev_b32_e32 v35, 16, v35
	v_pk_add_f32 v[30:31], v[34:35], v[30:31] neg_lo:[0,1] neg_hi:[0,1]
	s_waitcnt vmcnt(7)
	v_lshlrev_b32_e32 v37, 16, v37
	v_mov_b32_e32 v34, 0
	s_waitcnt vmcnt(5)
	v_lshlrev_b32_e32 v36, 16, v42
	s_waitcnt vmcnt(4)
	v_lshlrev_b32_e32 v39, 16, v43
	s_waitcnt vmcnt(2)
	v_sub_f32_e32 v41, s20, v47
	s_waitcnt vmcnt(1)
	v_sub_f32_e32 v42, s20, v48
	;; [unrolled: 2-line block ×3, first 2 shown]
	v_exp_f32_e32 v41, v41
	v_exp_f32_e32 v42, v42
	;; [unrolled: 1-line block ×3, first 2 shown]
	v_pk_add_f32 v[26:27], v[36:37], v[26:27] neg_lo:[0,1] neg_hi:[0,1]
	v_lshlrev_b32_e32 v38, 16, v46
	v_pk_mul_f32 v[30:31], v[40:41], v[30:31]
	v_pk_mul_f32 v[26:27], v[42:43], v[26:27]
	v_mov_b32_e32 v35, 0
	v_perm_b32 v27, v27, v26, s37
	v_perm_b32 v26, v31, v30, s37
	v_pk_add_f32 v[30:31], v[38:39], v[32:33] neg_lo:[0,1] neg_hi:[0,1]
	v_lshlrev_b32_e32 v33, 16, v44
	v_lshlrev_b32_e32 v32, 16, v45
	v_pk_add_f32 v[28:29], v[32:33], v[28:29] neg_lo:[0,1] neg_hi:[0,1]
	v_pk_mul_f32 v[30:31], v[40:41], v[30:31]
	v_pk_mul_f32 v[28:29], v[42:43], v[28:29]
	v_mov_b32_e32 v32, 0
	v_perm_b32 v29, v29, v28, s37
	v_perm_b32 v28, v31, v30, s37
	ds_write2_b64 v89, v[26:27], v[28:29] offset1:16
	v_mov_b32_e32 v26, 0
	v_mov_b32_e32 v27, 0
	;; [unrolled: 1-line block ×13, first 2 shown]
	s_cbranch_vccnz .LBB282_15
; %bb.14:                               ;   in Loop: Header=BB282_7 Depth=1
	s_and_b32 s25, s25, 0xffff
	s_mov_b32 s27, s23
	buffer_load_dwordx4 v[38:41], v107, s[24:27], 0 offen
	buffer_load_dwordx4 v[30:33], v107, s[24:27], s65 offen
	;; [unrolled: 1-line block ×4, first 2 shown]
	v_mov_b32_e32 v120, v81
	v_mov_b32_e32 v121, v80
.LBB282_15:                             ;   in Loop: Header=BB282_7 Depth=1
	s_waitcnt lgkmcnt(0)
	s_barrier
	ds_read_b64 v[46:47], v109
	ds_read_b64 v[126:127], v106
	;; [unrolled: 1-line block ×5, first 2 shown]
	ds_read_b64 v[140:141], v103 offset:3072
	ds_read2_b64 v[42:45], v102 offset0:16 offset1:128
	s_waitcnt lgkmcnt(5)
	v_mfma_f32_16x16x16_bf16 a[0:3], v[46:47], v[126:127], 0
	s_add_i32 s21, s61, s71
	s_mul_hi_i32 s25, s21, s13
	s_mul_i32 s21, s21, s13
	s_waitcnt lgkmcnt(0)
	v_mfma_f32_16x16x16_bf16 a[4:7], v[46:47], v[42:43], 0
	ds_read_b64 v[46:47], v114
	ds_read2st64_b64 v[48:51], v103 offset0:2 offset1:4
	s_add_u32 s24, s21, s33
	s_addc_u32 s25, s25, s48
	s_add_i32 s21, s3, s66
	s_lshl_b64 s[24:25], s[24:25], 15
	s_mul_hi_i32 s27, s21, s13
	s_mul_i32 s21, s21, s13
	s_add_u32 s46, s21, s33
	s_waitcnt lgkmcnt(1)
	v_mfma_f32_16x16x16_bf16 a[8:11], v[46:47], v[126:127], 0
	s_addc_u32 s47, s27, s48
	ds_read2st64_b64 v[122:125], v102 offset0:4 offset1:6
	s_lshl_b64 s[46:47], s[46:47], 9
	v_mfma_f32_16x16x16_bf16 a[0:3], v[128:129], v[44:45], a[0:3]
	s_add_u32 s46, s16, s46
	s_addc_u32 s47, s17, s47
	s_waitcnt lgkmcnt(1)
	v_mfma_f32_16x16x16_bf16 a[4:7], v[128:129], v[48:49], a[4:7]
	ds_read_b64 v[128:129], v115
	ds_read_b64 v[136:137], v116
	;; [unrolled: 1-line block ×3, first 2 shown]
	v_mfma_f32_16x16x16_bf16 a[12:15], v[46:47], v[42:43], 0
	s_waitcnt lgkmcnt(2)
	v_mfma_f32_16x16x16_bf16 a[8:11], v[128:129], v[44:45], a[8:11]
	global_load_dwordx4 v[42:45], v113, s[46:47]
	v_mfma_f32_16x16x16_bf16 a[12:15], v[128:129], v[48:49], a[12:15]
	global_load_dwordx4 v[46:49], v61, s[46:47]
	ds_read2st64_b64 v[126:129], v104 offset1:8
	s_waitcnt lgkmcnt(0)
	v_mov_b32_e32 v134, v126
	v_mfma_f32_16x16x16_bf16 a[0:3], v[130:131], v[122:123], a[0:3]
	v_mov_b32_e32 v135, v127
	v_mfma_f32_16x16x16_bf16 a[4:7], v[130:131], v[50:51], a[4:7]
	ds_read2st64_b64 v[130:133], v105 offset1:8
	v_mfma_f32_16x16x16_bf16 a[8:11], v[136:137], v[122:123], a[8:11]
	v_lshl_add_u64 v[122:123], v[66:67], 0, s[24:25]
	v_mfma_f32_16x16x16_bf16 a[16:19], v[136:137], v[50:51], a[12:15]
	v_add_co_u32_e32 v50, vcc, s35, v122
	s_waitcnt lgkmcnt(0)
	v_mov_b32_e32 v136, v130
	v_mfma_f32_16x16x16_bf16 a[0:3], v[138:139], v[124:125], a[0:3]
	v_mov_b32_e32 v137, v131
	v_mov_b32_e32 v130, v128
	;; [unrolled: 1-line block ×3, first 2 shown]
	v_mfma_f32_16x16x16_bf16 a[4:7], v[138:139], v[140:141], a[4:7]
	v_addc_co_u32_e32 v51, vcc, 0, v123, vcc
	global_store_dwordx4 v[50:51], v[130:133], off
	v_mfma_f32_16x16x16_bf16 a[12:15], v[142:143], v[124:125], a[8:11]
	s_and_b64 vcc, exec, s[0:1]
	global_store_dwordx4 v[122:123], v[134:137], off
	s_waitcnt vmcnt(3)
	v_mov_b32_e32 v52, v45
	v_mfma_f32_16x16x16_bf16 a[8:11], v[142:143], v[140:141], a[16:19]
	v_mov_b32_e32 v51, v44
	v_mov_b32_e32 v50, v43
	s_cbranch_vccnz .LBB282_17
; %bb.16:                               ;   in Loop: Header=BB282_7 Depth=1
	v_lshrrev_b32_e32 v43, 3, v120
	v_and_b32_e32 v43, 6, v43
	v_xor_b32_e32 v44, v43, v121
	v_lshlrev_b32_e32 v44, 2, v44
	v_and_b32_e32 v45, 8, v120
	v_xor_b32_e32 v120, 0x440, v44
	v_cmp_eq_u32_e32 vcc, 0, v45
	v_perm_b32 v45, v30, v26, s67
	s_nop 0
	v_cndmask_b32_e32 v44, v120, v44, vcc
	v_lshl_or_b32 v43, v43, 10, v44
	v_perm_b32 v44, v38, v34, s67
	s_barrier
	ds_write2st64_b32 v43, v44, v45 offset0:32 offset1:64
	v_xor_b32_e32 v44, 8, v43
	v_perm_b32 v34, v38, v34, s68
	v_perm_b32 v26, v30, v26, s68
	v_add_u32_e32 v30, 0x80, v44
	ds_write2st64_b32 v30, v34, v26 offset0:32 offset1:64
	v_xor_b32_e32 v26, 16, v43
	v_perm_b32 v30, v39, v35, s67
	v_perm_b32 v34, v31, v27, s67
	ds_write2st64_b32 v26, v30, v34 offset0:33 offset1:65
	v_xor_b32_e32 v26, 24, v43
	v_perm_b32 v30, v39, v35, s68
	v_perm_b32 v27, v31, v27, s68
	v_add_u32_e32 v26, 0x80, v26
	ds_write2st64_b32 v26, v30, v27 offset0:33 offset1:65
	v_xor_b32_e32 v26, 32, v43
	v_perm_b32 v27, v40, v36, s67
	v_perm_b32 v30, v32, v28, s67
	;; [unrolled: 9-line block ×3, first 2 shown]
	ds_write2st64_b32 v26, v27, v28 offset0:35 offset1:67
	v_xor_b32_e32 v26, 56, v43
	v_perm_b32 v27, v41, v37, s68
	v_perm_b32 v28, v33, v29, s68
	v_add_u32_e32 v26, 0x80, v26
	ds_write2st64_b32 v26, v27, v28 offset0:35 offset1:67
	ds_write_b64 v119, v[22:23] offset:24576
	v_xor_b32_e32 v22, 8, v119
	ds_write_b64 v22, v[24:25] offset:24576
	ds_write_b64 v119, v[18:19] offset:32768
	;; [unrolled: 1-line block ×4, first 2 shown]
	v_xor_b32_e32 v14, 8, v118
	ds_write_b64 v14, v[16:17] offset:24576
	ds_write_b64 v118, v[10:11] offset:32768
	;; [unrolled: 1-line block ×3, first 2 shown]
.LBB282_17:                             ;   in Loop: Header=BB282_7 Depth=1
	v_exp_f32_e32 v26, s20
	s_waitcnt vmcnt(2)
	v_exp_f32_e32 v28, v46
	v_exp_f32_e32 v29, v47
	;; [unrolled: 1-line block ×4, first 2 shown]
	v_accvgpr_read_b32 v21, a3
	v_accvgpr_read_b32 v19, a1
	;; [unrolled: 1-line block ×4, first 2 shown]
	v_pk_mul_f32 v[28:29], v[26:27], v[28:29] op_sel_hi:[0,1]
	v_accvgpr_read_b32 v20, a2
	v_accvgpr_read_b32 v11, a5
	;; [unrolled: 1-line block ×3, first 2 shown]
	v_pk_fma_f32 v[2:3], v[2:3], v[28:29], v[18:19]
	v_pk_mul_f32 v[18:19], v[26:27], v[30:31] op_sel_hi:[0,1]
	v_pk_fma_f32 v[4:5], v[4:5], v[18:19], v[20:21]
	v_fma_f32 v74, v74, v28, v10
	v_fma_f32 v75, v75, v29, v11
	v_exp_f32_e32 v10, v42
	v_exp_f32_e32 v11, v50
	;; [unrolled: 1-line block ×4, first 2 shown]
	v_accvgpr_read_b32 v12, a6
	v_accvgpr_read_b32 v25, a15
	;; [unrolled: 1-line block ×9, first 2 shown]
	v_fma_f32 v76, v76, v18, v12
	v_fmac_f32_e32 v13, v85, v19
	v_pk_mul_f32 v[10:11], v[26:27], v[10:11] op_sel_hi:[0,1]
	v_pk_mul_f32 v[18:19], v[26:27], v[20:21] op_sel_hi:[0,1]
	s_add_i32 s66, s66, 64
	v_pk_fma_f32 v[6:7], v[6:7], v[10:11], v[22:23]
	v_pk_fma_f32 v[8:9], v[8:9], v[18:19], v[24:25]
	v_fma_f32 v77, v77, v10, v14
	v_fma_f32 v78, v78, v11, v15
	;; [unrolled: 1-line block ×3, first 2 shown]
	s_cmp_eq_u32 s58, s70
	v_fmac_f32_e32 v17, v83, v19
	s_cbranch_scc1 .LBB282_19
; %bb.18:                               ;   in Loop: Header=BB282_7 Depth=1
	s_mov_b32 s71, s70
	v_mov_b32_e32 v85, v13
	v_mov_b32_e32 v83, v17
	s_branch .LBB282_7
.LBB282_19:
	v_mov_b32_e32 v16, v79
	v_mov_b32_e32 v15, v78
	;; [unrolled: 1-line block ×3, first 2 shown]
.LBB282_20:
	s_lshl_b32 s43, s58, 6
	s_sub_i32 s46, s12, s43
	v_mov_b32_e32 v12, v76
	v_mov_b32_e32 v11, v75
	;; [unrolled: 1-line block ×3, first 2 shown]
	s_cmp_gt_i32 s46, 0
	s_cbranch_scc0 .LBB282_85
; %bb.21:
	s_ashr_i32 s3, s43, 31
	s_cmpk_lg_i32 s15, 0x80
	s_cselect_b64 s[26:27], -1, 0
	s_and_b64 vcc, exec, s[26:27]
	s_cbranch_vccz .LBB282_23
; %bb.22:
	s_mul_hi_i32 s0, s57, s12
	s_add_u32 s1, s49, s43
	s_addc_u32 s0, s0, s3
	s_mul_i32 s20, s1, s59
	s_mul_hi_u32 s21, s1, s14
	s_add_i32 s20, s21, s20
	s_mul_i32 s0, s0, s14
	s_add_i32 s20, s20, s0
	s_mul_i32 s1, s1, s14
	s_ashr_i32 s0, s60, 31
	s_add_u32 s44, s1, s60
	s_addc_u32 s45, s20, s0
	s_cbranch_execz .LBB282_24
	s_branch .LBB282_25
.LBB282_23:
                                        ; implicit-def: $sgpr44_sgpr45
.LBB282_24:
	s_mul_hi_i32 s0, s57, s14
	s_mul_i32 s57, s57, s14
	s_ashr_i32 s1, s60, 31
	s_add_u32 s14, s57, s60
	s_addc_u32 s0, s0, s1
	s_mul_i32 s1, s14, s56
	s_mul_hi_u32 s20, s14, s12
	s_add_i32 s1, s20, s1
	s_mul_i32 s0, s0, s12
	s_add_i32 s1, s1, s0
	s_mul_i32 s14, s14, s12
	s_add_u32 s44, s14, s43
	s_addc_u32 s45, s1, s3
.LBB282_25:
	s_mul_i32 s0, s40, s56
	s_add_i32 s0, s62, s0
	s_add_i32 s14, s61, s58
	;; [unrolled: 1-line block ×3, first 2 shown]
	s_add_u32 s0, s42, s43
	v_lshlrev_b32_e32 v22, 5, v72
	v_lshlrev_b32_e32 v38, 2, v69
	s_addc_u32 s1, s1, s3
	s_mov_b32 s3, 0x7060302
	v_or_b32_e32 v25, v22, v38
	v_xor_b32_e32 v23, v72, v38
	v_perm_b32 v19, v5, v4, s3
	v_perm_b32 v18, v3, v2, s3
	;; [unrolled: 1-line block ×4, first 2 shown]
	v_lshlrev_b32_e32 v25, 1, v25
	v_xor_b32_e32 v24, v73, v38
	ds_write2st64_b64 v25, v[18:19], v[20:21] offset0:80 offset1:88
	v_lshlrev_b32_e32 v23, 1, v23
	v_lshlrev_b32_e32 v25, 8, v69
	s_lshl_b64 s[24:25], s[0:1], 8
	v_or_b32_e32 v26, v23, v25
	v_lshlrev_b32_e32 v24, 1, v24
	s_add_u32 s0, s6, s24
	ds_write_b64 v26, v[18:19]
	v_or_b32_e32 v18, v24, v25
	s_addc_u32 s1, s7, s25
	ds_write_b64 v18, v[20:21]
	v_perm_b32 v19, v13, v12, s3
	v_perm_b32 v18, v11, v10, s3
	;; [unrolled: 1-line block ×4, first 2 shown]
	v_or_b32_e32 v25, 16, v69
	s_mul_hi_i32 s3, s14, s13
	s_mul_i32 s14, s14, s13
	v_lshlrev_b32_e32 v35, 2, v25
	s_add_u32 s6, s14, s33
	v_or_b32_e32 v22, v22, v35
	s_addc_u32 s7, s3, s48
	v_lshlrev_b32_e32 v22, 1, v22
	s_ashr_i32 s3, s2, 31
	s_lshl_b64 s[6:7], s[6:7], 15
	ds_write2st64_b64 v22, v[18:19], v[20:21] offset0:80 offset1:88
	v_lshlrev_b32_e32 v22, 8, v25
	s_add_u32 s6, s38, s6
	v_or_b32_e32 v23, v23, v22
	s_addc_u32 s7, s39, s7
	s_lshl_b64 s[2:3], s[2:3], 8
	ds_write_b64 v23, v[18:19]
	v_or_b32_e32 v18, v24, v22
	s_add_u32 s2, s6, s2
	ds_write_b64 v18, v[20:21]
	v_lshrrev_b32_e32 v18, 4, v0
	s_addc_u32 s3, s7, s3
	v_lshlrev_b32_e32 v19, 1, v69
	v_lshlrev_b32_e32 v26, 4, v69
	v_mov_b32_e32 v27, 0
	v_or_b32_e32 v20, 1, v19
	v_xor_b32_e32 v19, v18, v19
	v_lshl_add_u64 v[28:29], s[2:3], 0, v[26:27]
	v_lshlrev_b32_e32 v26, 8, v18
	v_xor_b32_e32 v22, v20, v18
	v_lshl_or_b32 v18, v19, 3, v26
	s_waitcnt lgkmcnt(0)
	s_barrier
	ds_read2st64_b64 v[18:21], v18 offset1:8
	v_lshl_or_b32 v22, v22, 3, v26
	ds_read2st64_b64 v[22:25], v22 offset1:8
	v_lshl_add_u64 v[30:31], v[28:29], 0, v[26:27]
	s_movk_i32 s2, 0x1000
	s_waitcnt lgkmcnt(1)
	v_mov_b32_e32 v26, v18
	v_add_co_u32_e32 v18, vcc, s2, v30
	s_cmp_lg_u32 s46, 64
	v_mov_b32_e32 v27, v19
	v_addc_co_u32_e32 v19, vcc, 0, v31, vcc
	s_cselect_b64 s[6:7], -1, 0
	v_lshl_or_b32 v42, v1, 3, v71
	s_waitcnt lgkmcnt(0)
	v_mov_b32_e32 v28, v22
	v_mov_b32_e32 v29, v23
	v_mov_b32_e32 v22, v20
	v_mov_b32_e32 v23, v21
	s_mov_b32 s20, 0
	v_or_b32_e32 v36, 32, v42
	v_and_b32_e32 v34, 56, v70
	s_and_b64 vcc, exec, s[6:7]
	global_store_dwordx4 v[30:31], v[26:29], off
	global_store_dwordx4 v[18:19], v[22:25], off
	s_cbranch_vccz .LBB282_31
; %bb.26:
	s_mov_b32 s22, s20
	s_mov_b32 s23, s20
	;; [unrolled: 1-line block ×3, first 2 shown]
	v_mov_b64_e32 v[24:25], s[22:23]
	v_mov_b64_e32 v[22:23], s[20:21]
	v_mov_b64_e32 v[18:19], v[22:23]
	v_cmp_gt_i32_e32 vcc, s46, v42
	v_mov_b64_e32 v[20:21], v[24:25]
	s_and_saveexec_b64 s[2:3], vcc
	s_cbranch_execz .LBB282_28
; %bb.27:
	v_lshlrev_b32_e32 v18, 8, v42
	v_mov_b32_e32 v19, 0
	v_lshl_add_u64 v[20:21], s[0:1], 0, v[18:19]
	v_lshlrev_b32_e32 v18, 1, v34
	v_lshl_add_u64 v[26:27], v[20:21], 0, v[18:19]
	global_load_dwordx4 v[22:25], v[26:27], off
	global_load_dwordx4 v[18:21], v[26:27], off offset:128
.LBB282_28:
	s_or_b64 exec, exec, s[2:3]
	s_mov_b32 s22, s20
	s_mov_b32 s23, s20
	;; [unrolled: 1-line block ×3, first 2 shown]
	v_mov_b64_e32 v[32:33], s[22:23]
	v_mov_b64_e32 v[30:31], s[20:21]
	;; [unrolled: 1-line block ×3, first 2 shown]
	v_cmp_gt_i32_e32 vcc, s46, v36
	v_lshlrev_b32_e32 v37, 7, v36
	v_mov_b64_e32 v[28:29], v[32:33]
	s_and_saveexec_b64 s[2:3], vcc
	s_cbranch_execz .LBB282_30
; %bb.29:
	v_lshlrev_b32_e32 v26, 1, v37
	v_mov_b32_e32 v27, 0
	v_lshl_add_u64 v[28:29], s[0:1], 0, v[26:27]
	v_lshlrev_b32_e32 v26, 1, v34
	v_lshl_add_u64 v[40:41], v[28:29], 0, v[26:27]
	global_load_dwordx4 v[30:33], v[40:41], off
	global_load_dwordx4 v[26:29], v[40:41], off offset:128
.LBB282_30:
	s_or_b64 exec, exec, s[2:3]
	v_lshrrev_b32_e32 v39, 3, v34
	v_lshlrev_b32_e32 v40, 3, v42
	v_or_b32_e32 v39, v40, v39
	v_lshlrev_b32_e32 v39, 4, v39
	v_and_b32_e32 v40, 0x78, v40
	v_xor_b32_e32 v39, v39, v40
	s_branch .LBB282_33
.LBB282_31:
                                        ; implicit-def: $vgpr39
                                        ; implicit-def: $vgpr37
                                        ; implicit-def: $vgpr22_vgpr23_vgpr24_vgpr25
                                        ; implicit-def: $vgpr18_vgpr19_vgpr20_vgpr21
                                        ; implicit-def: $vgpr30_vgpr31_vgpr32_vgpr33
                                        ; implicit-def: $vgpr26_vgpr27_vgpr28_vgpr29
	s_cbranch_execz .LBB282_33
; %bb.32:
	s_waitcnt vmcnt(0)
	v_lshlrev_b32_e32 v18, 1, v34
	v_lshl_or_b32 v37, v42, 8, v18
	s_and_b32 s1, s1, 0xffff
	s_mov_b32 s3, 0x20000
	s_movk_i32 s2, 0x4000
	v_lshl_or_b32 v39, v36, 8, v18
	s_movk_i32 s14, 0x80
	buffer_load_dwordx4 v[22:25], v37, s[0:3], 0 offen
	buffer_load_dwordx4 v[18:21], v37, s[0:3], s14 offen
	;; [unrolled: 1-line block ×4, first 2 shown]
	v_lshrrev_b32_e32 v37, 3, v34
	v_lshlrev_b32_e32 v39, 3, v42
	v_or_b32_e32 v37, v39, v37
	v_lshlrev_b32_e32 v37, 4, v37
	v_and_b32_e32 v39, 0x78, v39
	v_xor_b32_e32 v39, v37, v39
	v_lshlrev_b32_e32 v37, 7, v36
.LBB282_33:
	s_lshl_b64 s[0:1], s[44:45], 8
	s_add_u32 s4, s4, s0
	s_movk_i32 s0, 0x1000
	v_and_or_b32 v36, v37, s0, v39
	s_waitcnt vmcnt(1)
	ds_write_b64 v39, v[22:23] offset:24576
	v_xor_b32_e32 v22, 8, v39
	ds_write_b64 v22, v[24:25] offset:24576
	s_waitcnt vmcnt(0)
	ds_write_b64 v39, v[18:19] offset:32768
	ds_write_b64 v22, v[20:21] offset:32768
	;; [unrolled: 1-line block ×3, first 2 shown]
	v_xor_b32_e32 v18, 8, v36
	ds_write_b64 v18, v[32:33] offset:24576
	ds_write_b64 v36, v[26:27] offset:32768
	;; [unrolled: 1-line block ×3, first 2 shown]
	v_or_b32_e32 v18, v53, v69
	v_lshlrev_b32_e32 v18, 3, v18
	v_lshrrev_b32_e32 v19, 5, v55
	s_movk_i32 s2, 0xf8
	v_and_or_b32 v19, v18, s2, v19
	v_lshlrev_b32_e32 v23, 4, v19
	v_lshlrev_b32_e32 v39, 11, v1
	v_and_b32_e32 v24, 0x78, v18
	v_or_b32_e32 v26, 32, v23
	v_and_b32_e32 v22, 0x1000, v39
	v_lshrrev_b32_e32 v19, 1, v55
	v_xor_b32_e32 v26, v26, v24
	v_xor_b32_e32 v18, v23, v24
	v_and_b32_e32 v25, 8, v19
	v_or_b32_e32 v26, v26, v22
	v_or_b32_e32 v18, v18, v22
	v_xor_b32_e32 v44, v26, v25
	v_or_b32_e32 v26, 64, v23
	v_xor_b32_e32 v43, v18, v25
	v_xor_b32_e32 v26, v26, v24
	s_waitcnt lgkmcnt(0)
	s_barrier
	v_or_b32_e32 v28, v26, v22
	ds_read_b64 v[26:27], v43 offset:24576
	v_lshl_or_b32 v36, v68, 7, v38
	v_lshlrev_b32_e32 v40, 1, v36
	v_add_u32_e32 v18, 0xa000, v40
	ds_read2_b64 v[18:21], v18 offset1:16
	v_or_b32_e32 v23, 0x60, v23
	v_xor_b32_e32 v23, v23, v24
	s_waitcnt lgkmcnt(0)
	v_mfma_f32_16x16x16_bf16 a[0:3], v[26:27], v[18:19], 0
	v_or_b32_e32 v18, 64, v36
	v_or_b32_e32 v22, v23, v22
	v_lshlrev_b32_e32 v41, 1, v18
	v_xor_b32_e32 v45, v28, v25
	v_xor_b32_e32 v46, v22, v25
	ds_read_b64 v[28:29], v44 offset:24576
	ds_read_b64 v[30:31], v45 offset:24576
	;; [unrolled: 1-line block ×3, first 2 shown]
	v_mfma_f32_16x16x16_bf16 a[4:7], v[26:27], v[20:21], 0
	ds_read2st64_b64 v[18:21], v41 offset0:82 offset1:84
	ds_read2st64_b64 v[22:25], v40 offset0:82 offset1:84
	s_addc_u32 s5, s5, s1
	s_add_i32 s0, s51, s50
	s_add_i32 s12, s12, -1
	s_add_i32 s35, s0, s55
	s_add_i32 s0, s53, s52
	;; [unrolled: 1-line block ×3, first 2 shown]
	s_ashr_i32 s0, s12, 31
	s_mul_i32 s1, s12, s31
	s_mul_hi_u32 s2, s12, s30
	s_add_i32 s1, s2, s1
	s_mul_i32 s0, s0, s30
	s_waitcnt lgkmcnt(1)
	v_mfma_f32_16x16x16_bf16 a[4:7], v[28:29], v[18:19], a[4:7]
	s_add_i32 s1, s1, s0
	s_lshl_b64 s[2:3], s[34:35], 2
	s_add_u32 s10, s10, s2
	s_waitcnt lgkmcnt(0)
	v_mfma_f32_16x16x16_bf16 a[0:3], v[28:29], v[22:23], a[0:3]
	s_addc_u32 s11, s11, s3
	s_lshl_b64 s[2:3], s[36:37], 2
	s_mul_i32 s0, s12, s30
	s_add_u32 s10, s10, s2
	ds_read_b64 v[18:19], v40 offset:44032
	v_mfma_f32_16x16x16_bf16 a[4:7], v[30:31], v[20:21], a[4:7]
	ds_read_b64 v[20:21], v41 offset:44032
	s_addc_u32 s11, s11, s3
	s_lshl_b64 s[0:1], s[0:1], 2
	v_mfma_f32_16x16x16_bf16 a[0:3], v[30:31], v[24:25], a[0:3]
	s_add_u32 s0, s10, s0
	s_addc_u32 s1, s11, s1
	s_load_dword s14, s[0:1], 0x0
	s_waitcnt lgkmcnt(0)
	v_mfma_f32_16x16x16_bf16 a[0:3], v[32:33], v[18:19], a[0:3]
	s_and_b64 vcc, exec, s[26:27]
	v_mfma_f32_16x16x16_bf16 a[4:7], v[32:33], v[20:21], a[4:7]
	s_cbranch_vccz .LBB282_44
; %bb.34:
	v_lshlrev_b32_e32 v36, 1, v42
	s_and_b64 vcc, exec, s[6:7]
	s_cbranch_vccz .LBB282_45
; %bb.35:
	v_cmp_gt_i32_e32 vcc, s46, v36
	v_mov_b32_e32 v22, 0
	v_mov_b32_e32 v18, 0
	;; [unrolled: 1-line block ×5, first 2 shown]
	s_and_saveexec_b64 s[0:1], vcc
	s_cbranch_execz .LBB282_37
; %bb.36:
	v_mad_i64_i32 v[18:19], s[2:3], s15, v36, 0
	v_lshl_add_u64 v[18:19], v[18:19], 1, s[4:5]
	v_lshlrev_b32_e32 v20, 1, v34
	v_mov_b32_e32 v21, 0
	v_lshl_add_u64 v[18:19], v[18:19], 0, v[20:21]
	global_load_dwordx4 v[18:21], v[18:19], off
.LBB282_37:
	s_or_b64 exec, exec, s[0:1]
	v_or_b32_e32 v37, 1, v36
	v_cmp_gt_i32_e64 s[0:1], s46, v37
	v_mov_b32_e32 v23, 0
	v_mov_b32_e32 v24, 0
	;; [unrolled: 1-line block ×3, first 2 shown]
	s_and_saveexec_b64 s[2:3], s[0:1]
	s_cbranch_execz .LBB282_39
; %bb.38:
	v_mad_i64_i32 v[22:23], s[20:21], s15, v37, 0
	v_lshl_add_u64 v[22:23], v[22:23], 1, s[4:5]
	v_lshlrev_b32_e32 v24, 1, v34
	v_mov_b32_e32 v25, 0
	v_lshl_add_u64 v[22:23], v[22:23], 0, v[24:25]
	global_load_dwordx4 v[22:25], v[22:23], off
.LBB282_39:
	s_or_b64 exec, exec, s[2:3]
	v_mov_b32_e32 v33, 0
	v_mov_b32_e32 v26, 0
	;; [unrolled: 1-line block ×5, first 2 shown]
	s_and_saveexec_b64 s[2:3], vcc
	s_cbranch_execz .LBB282_41
; %bb.40:
	v_mad_i64_i32 v[26:27], s[20:21], s15, v36, 0
	v_lshl_add_u64 v[26:27], v[26:27], 1, s[4:5]
	v_lshlrev_b32_e32 v28, 1, v34
	v_mov_b32_e32 v29, 0
	v_lshl_add_u64 v[26:27], v[26:27], 0, v[28:29]
	global_load_dwordx4 v[26:29], v[26:27], off offset:128
.LBB282_41:
	s_or_b64 exec, exec, s[2:3]
	v_mov_b32_e32 v32, 0
	v_mov_b32_e32 v31, 0
	;; [unrolled: 1-line block ×3, first 2 shown]
	s_and_saveexec_b64 s[2:3], s[0:1]
	s_cbranch_execz .LBB282_43
; %bb.42:
	v_mad_i64_i32 v[30:31], s[0:1], s15, v37, 0
	v_lshl_add_u64 v[30:31], v[30:31], 1, s[4:5]
	v_lshlrev_b32_e32 v32, 1, v34
	v_mov_b32_e32 v33, 0
	v_lshl_add_u64 v[30:31], v[30:31], 0, v[32:33]
	global_load_dwordx4 v[30:33], v[30:31], off offset:128
.LBB282_43:
	s_or_b64 exec, exec, s[2:3]
	s_branch .LBB282_47
.LBB282_44:
                                        ; implicit-def: $vgpr21
                                        ; implicit-def: $vgpr25
                                        ; implicit-def: $vgpr29
                                        ; implicit-def: $vgpr33
	v_lshrrev_b32_e32 v47, 2, v55
	s_branch .LBB282_48
.LBB282_45:
                                        ; implicit-def: $vgpr21
                                        ; implicit-def: $vgpr25
                                        ; implicit-def: $vgpr29
                                        ; implicit-def: $vgpr33
	s_cbranch_execz .LBB282_47
; %bb.46:
	s_waitcnt vmcnt(0)
	v_mad_u64_u32 v[18:19], s[0:1], v36, s15, v[34:35]
	v_lshlrev_b32_e32 v36, 1, v18
	s_lshl_b32 s2, s15, 7
	s_and_b32 s1, s5, 0xffff
	s_mov_b32 s3, 0x20000
	s_mov_b32 s0, s4
	v_add_lshl_u32 v37, v18, s15, 1
	s_movk_i32 s15, 0x80
	buffer_load_dwordx4 v[18:21], v36, s[0:3], 0 offen
	buffer_load_dwordx4 v[26:29], v36, s[0:3], s15 offen
	;; [unrolled: 1-line block ×4, first 2 shown]
.LBB282_47:
	v_lshrrev_b32_e32 v47, 2, v55
	s_cbranch_execnz .LBB282_60
.LBB282_48:
	s_and_b64 vcc, exec, s[6:7]
	s_cbranch_vccz .LBB282_58
; %bb.49:
	s_waitcnt vmcnt(0)
	v_lshlrev_b32_e32 v23, 1, v42
	v_cmp_gt_i32_e32 vcc, s46, v23
	v_mov_b32_e32 v22, 0
	v_lshlrev_b32_e32 v30, 9, v42
	v_mov_b32_e32 v18, 0
	v_mov_b32_e32 v19, 0
	;; [unrolled: 1-line block ×4, first 2 shown]
	s_and_saveexec_b64 s[0:1], vcc
	s_cbranch_execz .LBB282_51
; %bb.50:
	v_mov_b32_e32 v31, 0
	v_lshl_add_u64 v[18:19], s[4:5], 0, v[30:31]
	v_lshlrev_b32_e32 v20, 1, v34
	v_mov_b32_e32 v21, v31
	v_lshl_add_u64 v[18:19], v[18:19], 0, v[20:21]
	global_load_dwordx4 v[18:21], v[18:19], off
.LBB282_51:
	s_or_b64 exec, exec, s[0:1]
	v_or_b32_e32 v23, 1, v23
	v_cmp_gt_i32_e64 s[0:1], s46, v23
	v_lshlrev_b32_e32 v36, 8, v23
	v_mov_b32_e32 v23, 0
	v_mov_b32_e32 v24, 0
	;; [unrolled: 1-line block ×3, first 2 shown]
	s_and_saveexec_b64 s[2:3], s[0:1]
	s_cbranch_execz .LBB282_53
; %bb.52:
	v_mov_b32_e32 v37, 0
	v_lshl_add_u64 v[22:23], s[4:5], 0, v[36:37]
	v_lshlrev_b32_e32 v24, 1, v34
	v_mov_b32_e32 v25, v37
	v_lshl_add_u64 v[22:23], v[22:23], 0, v[24:25]
	global_load_dwordx4 v[22:25], v[22:23], off
.LBB282_53:
	s_or_b64 exec, exec, s[2:3]
	v_mov_b32_e32 v33, 0
	v_mov_b32_e32 v26, 0
	;; [unrolled: 1-line block ×5, first 2 shown]
	s_and_saveexec_b64 s[2:3], vcc
	s_cbranch_execz .LBB282_55
; %bb.54:
	v_mov_b32_e32 v31, 0
	v_lshl_add_u64 v[26:27], s[4:5], 0, v[30:31]
	v_lshlrev_b32_e32 v30, 1, v34
	v_lshl_add_u64 v[26:27], v[26:27], 0, v[30:31]
	global_load_dwordx4 v[26:29], v[26:27], off offset:128
.LBB282_55:
	s_or_b64 exec, exec, s[2:3]
	v_mov_b32_e32 v32, 0
	v_mov_b32_e32 v31, 0
	;; [unrolled: 1-line block ×3, first 2 shown]
	s_and_saveexec_b64 s[2:3], s[0:1]
	s_cbranch_execz .LBB282_57
; %bb.56:
	v_mov_b32_e32 v37, 0
	v_lshl_add_u64 v[30:31], s[4:5], 0, v[36:37]
	v_lshlrev_b32_e32 v36, 1, v34
	v_lshl_add_u64 v[30:31], v[30:31], 0, v[36:37]
	global_load_dwordx4 v[30:33], v[30:31], off offset:128
.LBB282_57:
	s_or_b64 exec, exec, s[2:3]
	s_branch .LBB282_60
.LBB282_58:
                                        ; implicit-def: $vgpr21
                                        ; implicit-def: $vgpr25
                                        ; implicit-def: $vgpr29
                                        ; implicit-def: $vgpr33
	s_cbranch_execz .LBB282_60
; %bb.59:
	s_waitcnt vmcnt(0)
	v_lshlrev_b32_e32 v18, 1, v34
	v_lshl_or_b32 v34, v42, 9, v18
	s_and_b32 s5, s5, 0xffff
	s_mov_b32 s7, 0x20000
	s_movk_i32 s6, 0x4000
	s_movk_i32 s0, 0x80
	buffer_load_dwordx4 v[18:21], v34, s[4:7], 0 offen
	buffer_load_dwordx4 v[22:25], v34, s[4:7], 0 offen offset:256
	buffer_load_dwordx4 v[26:29], v34, s[4:7], s0 offen
	buffer_load_dwordx4 v[30:33], v34, s[4:7], s0 offen offset:256
.LBB282_60:
	ds_read_b64 v[36:37], v43 offset:32768
	v_add_u32_e32 v34, 0xb000, v40
	ds_read2_b64 v[48:51], v34 offset1:16
	ds_read_b64 v[66:67], v44 offset:32768
	ds_read_b64 v[44:45], v45 offset:32768
	;; [unrolled: 1-line block ×3, first 2 shown]
	ds_read2st64_b64 v[62:65], v41 offset0:90 offset1:92
	v_and_b32_e32 v43, 6, v0
	v_and_b32_e32 v34, 12, v47
	v_xor_b32_e32 v42, v42, v43
	v_lshlrev_b32_e32 v42, 2, v42
	s_mov_b32 s0, 0x1000504
	s_waitcnt lgkmcnt(4)
	v_mfma_f32_16x16x16_bf16 a[0:3], v[36:37], v[48:49], a[0:3]
	s_mov_b32 s1, 0x3020706
	v_mfma_f32_16x16x16_bf16 a[4:7], v[36:37], v[50:51], a[4:7]
	ds_read2st64_b64 v[48:51], v40 offset0:90 offset1:92
	ds_read_b64 v[36:37], v40 offset:48128
	ds_read_b64 v[46:47], v41 offset:48128
	s_waitcnt lgkmcnt(2)
	v_mfma_f32_16x16x16_bf16 a[0:3], v[66:67], v[48:49], a[0:3]
	v_and_b32_e32 v48, 1, v0
	v_xor_b32_e32 v49, 0x440, v42
	v_cmp_eq_u32_e32 vcc, 0, v48
	v_mfma_f32_16x16x16_bf16 a[4:7], v[66:67], v[62:63], a[4:7]
	s_nop 0
	v_cndmask_b32_e32 v42, v49, v42, vcc
	v_lshl_or_b32 v42, v43, 10, v42
	v_mfma_f32_16x16x16_bf16 a[0:3], v[44:45], v[50:51], a[0:3]
	v_mfma_f32_16x16x16_bf16 a[8:11], v[44:45], v[64:65], a[4:7]
	s_waitcnt lgkmcnt(1)
	v_mfma_f32_16x16x16_bf16 a[4:7], v[68:69], v[36:37], a[0:3]
	s_waitcnt vmcnt(0)
	v_perm_b32 v36, v18, v22, s0
	v_perm_b32 v37, v26, v30, s0
	ds_write2st64_b32 v42, v36, v37 offset0:32 offset1:64
	v_xor_b32_e32 v36, 8, v42
	v_perm_b32 v18, v18, v22, s1
	v_perm_b32 v22, v26, v30, s1
	v_add_u32_e32 v26, 0x80, v36
	ds_write2st64_b32 v26, v18, v22 offset0:32 offset1:64
	v_xor_b32_e32 v18, 16, v42
	v_perm_b32 v22, v19, v23, s0
	v_perm_b32 v26, v27, v31, s0
	ds_write2st64_b32 v18, v22, v26 offset0:33 offset1:65
	v_xor_b32_e32 v18, 24, v42
	v_perm_b32 v19, v19, v23, s1
	v_perm_b32 v22, v27, v31, s1
	v_add_u32_e32 v18, 0x80, v18
	ds_write2st64_b32 v18, v19, v22 offset0:33 offset1:65
	v_xor_b32_e32 v18, 32, v42
	v_perm_b32 v19, v20, v24, s0
	v_perm_b32 v22, v28, v32, s0
	ds_write2st64_b32 v18, v19, v22 offset0:34 offset1:66
	v_xor_b32_e32 v18, 40, v42
	s_waitcnt lgkmcnt(5)
	v_mfma_f32_16x16x16_bf16 a[0:3], v[68:69], v[46:47], a[8:11]
	v_perm_b32 v19, v20, v24, s1
	v_perm_b32 v20, v28, v32, s1
	v_add_u32_e32 v18, 0x80, v18
	ds_write2st64_b32 v18, v19, v20 offset0:34 offset1:66
	v_xor_b32_e32 v18, 48, v42
	v_perm_b32 v19, v21, v25, s0
	v_perm_b32 v20, v29, v33, s0
	ds_write2st64_b32 v18, v19, v20 offset0:35 offset1:67
	v_xor_b32_e32 v18, 56, v42
	v_or_b32_e32 v32, v34, v53
	v_perm_b32 v19, v21, v25, s1
	v_perm_b32 v20, v29, v33, s1
	v_add_u32_e32 v18, 0x80, v18
	v_cmp_gt_i32_e32 vcc, s46, v32
	v_mov_b32_e32 v33, 0
	v_mov_b32_e32 v37, 0
	ds_write2st64_b32 v18, v19, v20 offset0:35 offset1:67
	s_and_saveexec_b64 s[0:1], vcc
	s_cbranch_execz .LBB282_62
; %bb.61:
	v_add_u32_e32 v18, s43, v32
	v_ashrrev_i32_e32 v19, 31, v18
	v_mul_lo_u32 v20, v19, s30
	v_mul_lo_u32 v21, v18, s31
	v_mad_u64_u32 v[18:19], s[2:3], v18, s30, 0
	v_add3_u32 v19, v19, v21, v20
	v_lshl_add_u64 v[18:19], v[18:19], 2, s[10:11]
	global_load_dword v18, v[18:19], off
	s_waitcnt vmcnt(0)
	v_sub_f32_e32 v18, s14, v18
	v_exp_f32_e32 v37, v18
.LBB282_62:
	s_or_b64 exec, exec, s[0:1]
	v_or_b32_e32 v26, 1, v32
	v_cmp_gt_i32_e64 s[0:1], s46, v26
	s_and_saveexec_b64 s[2:3], s[0:1]
	s_cbranch_execz .LBB282_64
; %bb.63:
	v_add_u32_e32 v18, s43, v26
	v_ashrrev_i32_e32 v19, 31, v18
	v_mul_lo_u32 v20, v19, s30
	v_mul_lo_u32 v21, v18, s31
	v_mad_u64_u32 v[18:19], s[4:5], v18, s30, 0
	v_add3_u32 v19, v19, v21, v20
	v_lshl_add_u64 v[18:19], v[18:19], 2, s[10:11]
	global_load_dword v18, v[18:19], off
	s_waitcnt vmcnt(0)
	v_sub_f32_e32 v18, s14, v18
	v_exp_f32_e32 v33, v18
.LBB282_64:
	s_or_b64 exec, exec, s[2:3]
	v_or_b32_e32 v27, 2, v32
	v_cmp_gt_i32_e64 s[2:3], s46, v27
	v_mov_b32_e32 v36, 0
	v_mov_b32_e32 v42, 0
	s_and_saveexec_b64 s[4:5], s[2:3]
	s_cbranch_execz .LBB282_66
; %bb.65:
	v_add_u32_e32 v18, s43, v27
	v_ashrrev_i32_e32 v19, 31, v18
	v_mul_lo_u32 v20, v19, s30
	v_mul_lo_u32 v21, v18, s31
	v_mad_u64_u32 v[18:19], s[6:7], v18, s30, 0
	v_add3_u32 v19, v19, v21, v20
	v_lshl_add_u64 v[18:19], v[18:19], 2, s[10:11]
	global_load_dword v18, v[18:19], off
	s_waitcnt vmcnt(0)
	v_sub_f32_e32 v18, s14, v18
	v_exp_f32_e32 v42, v18
.LBB282_66:
	s_or_b64 exec, exec, s[4:5]
	v_or_b32_e32 v43, 3, v32
	v_cmp_gt_i32_e64 s[4:5], s46, v43
	s_and_saveexec_b64 s[6:7], s[4:5]
	s_cbranch_execz .LBB282_68
; %bb.67:
	v_add_u32_e32 v18, s43, v43
	v_ashrrev_i32_e32 v19, 31, v18
	v_mul_lo_u32 v20, v19, s30
	v_mul_lo_u32 v21, v18, s31
	v_mad_u64_u32 v[18:19], s[20:21], v18, s30, 0
	v_add3_u32 v19, v19, v21, v20
	v_lshl_add_u64 v[18:19], v[18:19], 2, s[10:11]
	global_load_dword v18, v[18:19], off
	s_waitcnt vmcnt(0)
	v_sub_f32_e32 v18, s14, v18
	v_exp_f32_e32 v36, v18
.LBB282_68:
	s_or_b64 exec, exec, s[6:7]
	s_add_u32 s6, s8, s24
	v_accvgpr_read_b32 v21, a7
	s_addc_u32 s7, s9, s25
	v_ashrrev_i32_e32 v61, 31, v60
	v_accvgpr_read_b32 v20, a6
	v_accvgpr_read_b32 v19, a5
	;; [unrolled: 1-line block ×3, first 2 shown]
	v_lshl_add_u64 v[22:23], v[60:61], 1, s[6:7]
	v_mov_b32_e32 v29, 0
	v_lshlrev_b32_e32 v24, 8, v32
	v_mov_b32_e32 v25, 0
	s_and_saveexec_b64 s[6:7], vcc
	s_cbranch_execz .LBB282_70
; %bb.69:
	v_mov_b32_e32 v25, 0
	v_lshl_add_u64 v[30:31], v[22:23], 0, v[24:25]
	global_load_ushort v25, v[30:31], off
	s_waitcnt vmcnt(0)
	v_lshlrev_b32_e32 v25, 16, v25
	v_sub_f32_e32 v18, v25, v18
	v_mul_f32_e32 v18, v37, v18
	v_lshrrev_b32_e32 v25, 16, v18
.LBB282_70:
	s_or_b64 exec, exec, s[6:7]
	v_lshlrev_b32_e32 v28, 8, v26
	s_and_saveexec_b64 s[6:7], s[0:1]
	s_cbranch_execz .LBB282_72
; %bb.71:
	v_mov_b32_e32 v29, 0
	v_lshl_add_u64 v[30:31], v[22:23], 0, v[28:29]
	global_load_ushort v18, v[30:31], off
	s_waitcnt vmcnt(0)
	v_lshlrev_b32_e32 v18, 16, v18
	v_sub_f32_e32 v18, v18, v19
	v_mul_f32_e32 v18, v33, v18
	v_lshrrev_b32_e32 v29, 16, v18
.LBB282_72:
	s_or_b64 exec, exec, s[6:7]
	v_mov_b32_e32 v44, 0
	v_lshlrev_b32_e32 v30, 8, v27
	v_mov_b32_e32 v31, 0
	s_and_saveexec_b64 s[6:7], s[2:3]
	s_cbranch_execz .LBB282_74
; %bb.73:
	v_mov_b32_e32 v31, 0
	v_lshl_add_u64 v[18:19], v[22:23], 0, v[30:31]
	global_load_ushort v18, v[18:19], off
	s_waitcnt vmcnt(0)
	v_lshlrev_b32_e32 v18, 16, v18
	v_sub_f32_e32 v18, v18, v20
	v_mul_f32_e32 v18, v42, v18
	v_lshrrev_b32_e32 v31, 16, v18
.LBB282_74:
	s_or_b64 exec, exec, s[6:7]
	v_lshlrev_b32_e32 v26, 8, v43
	s_and_saveexec_b64 s[6:7], s[4:5]
	s_cbranch_execz .LBB282_76
; %bb.75:
	v_mov_b32_e32 v27, 0
	v_lshl_add_u64 v[18:19], v[22:23], 0, v[26:27]
	global_load_ushort v18, v[18:19], off
	s_waitcnt vmcnt(0)
	v_lshlrev_b32_e32 v18, 16, v18
	v_sub_f32_e32 v18, v18, v21
	v_mul_f32_e32 v18, v36, v18
	v_lshrrev_b32_e32 v44, 16, v18
.LBB282_76:
	s_or_b64 exec, exec, s[6:7]
	v_lshlrev_b32_e32 v43, 5, v32
	s_mov_b32 s6, 0x5040100
	v_perm_b32 v45, v44, v31, s6
	v_perm_b32 v44, v29, v25, s6
	v_or_b32_e32 v25, v43, v38
	v_accvgpr_read_b32 v21, a3
	v_lshlrev_b32_e32 v25, 1, v25
	v_accvgpr_read_b32 v20, a2
	v_accvgpr_read_b32 v19, a1
	v_accvgpr_read_b32 v18, a0
	ds_write_b64 v25, v[44:45] offset:45056
	v_mov_b32_e32 v29, 0
	v_mov_b32_e32 v25, 0
	s_and_saveexec_b64 s[6:7], vcc
	s_cbranch_execz .LBB282_78
; %bb.77:
	v_mov_b32_e32 v25, 0
	v_lshl_add_u64 v[24:25], v[22:23], 0, v[24:25]
	global_load_ushort v24, v[24:25], off offset:32
	s_waitcnt vmcnt(0)
	v_lshlrev_b32_e32 v24, 16, v24
	v_sub_f32_e32 v18, v24, v18
	v_mul_f32_e32 v18, v37, v18
	v_lshrrev_b32_e32 v25, 16, v18
.LBB282_78:
	s_or_b64 exec, exec, s[6:7]
	s_and_saveexec_b64 s[6:7], s[0:1]
	s_cbranch_execz .LBB282_80
; %bb.79:
	v_mov_b32_e32 v29, 0
	v_lshl_add_u64 v[28:29], v[22:23], 0, v[28:29]
	global_load_ushort v18, v[28:29], off offset:32
	s_waitcnt vmcnt(0)
	v_lshlrev_b32_e32 v18, 16, v18
	v_sub_f32_e32 v18, v18, v19
	v_mul_f32_e32 v18, v33, v18
	v_lshrrev_b32_e32 v29, 16, v18
.LBB282_80:
	s_or_b64 exec, exec, s[6:7]
	v_mov_b32_e32 v24, 0
	v_mov_b32_e32 v28, 0
	s_and_saveexec_b64 s[0:1], s[2:3]
	s_cbranch_execz .LBB282_82
; %bb.81:
	v_mov_b32_e32 v31, 0
	v_lshl_add_u64 v[18:19], v[22:23], 0, v[30:31]
	global_load_ushort v18, v[18:19], off offset:32
	s_waitcnt vmcnt(0)
	v_lshlrev_b32_e32 v18, 16, v18
	v_sub_f32_e32 v18, v18, v20
	v_mul_f32_e32 v18, v42, v18
	v_lshrrev_b32_e32 v28, 16, v18
.LBB282_82:
	s_or_b64 exec, exec, s[0:1]
	v_or_b32_e32 v19, 0xb000, v40
	v_or_b32_e32 v18, 0xb000, v41
	s_and_saveexec_b64 s[0:1], s[4:5]
	s_cbranch_execz .LBB282_84
; %bb.83:
	v_mov_b32_e32 v27, 0
	v_lshl_add_u64 v[22:23], v[22:23], 0, v[26:27]
	global_load_ushort v20, v[22:23], off offset:32
	s_waitcnt vmcnt(0)
	v_lshlrev_b32_e32 v20, 16, v20
	v_sub_f32_e32 v20, v20, v21
	v_mul_f32_e32 v20, v36, v20
	v_lshrrev_b32_e32 v24, 16, v20
.LBB282_84:
	s_or_b64 exec, exec, s[0:1]
	s_mov_b32 s0, 0x5040100
	v_or_b32_e32 v22, v43, v35
	v_perm_b32 v21, v24, v28, s0
	v_perm_b32 v20, v29, v25, s0
	v_lshlrev_b32_e32 v22, 1, v22
	s_movk_i32 s2, 0x100
	ds_write_b64 v22, v[20:21] offset:45056
	v_and_b32_e32 v20, 7, v0
	v_and_b32_e32 v21, 8, v0
	v_cmp_gt_u32_e32 vcc, s2, v0
	v_lshrrev_b32_e32 v0, 1, v0
	v_lshlrev_b32_e32 v26, 3, v20
	v_lshlrev_b32_e32 v47, 7, v20
	v_mov_b32_e32 v20, 0x4000
	v_mov_b32_e32 v22, 0x2000
	v_lshlrev_b32_e32 v24, 3, v1
	v_and_b32_e32 v0, 24, v0
	v_cndmask_b32_e32 v27, v20, v22, vcc
	v_xor_b32_e32 v20, v24, v0
	v_or_b32_e32 v22, 0x440, v20
	v_cmp_eq_u32_e32 vcc, 0, v21
	v_or_b32_e32 v28, 32, v0
	v_xor_b32_e32 v28, v24, v28
	v_cndmask_b32_e32 v20, v22, v20, vcc
	v_or_b32_e32 v20, v20, v39
	v_xor_b32_e32 v48, v20, v26
	v_or_b32_e32 v29, 0x440, v28
	v_add3_u32 v25, v27, v48, v47
	v_cndmask_b32_e32 v28, v29, v28, vcc
	v_or_b32_e32 v29, 64, v0
	v_or_b32_e32 v0, 0x60, v0
	s_waitcnt lgkmcnt(0)
	s_barrier
	v_xor_b32_e32 v29, v24, v29
	v_xor_b32_e32 v0, v24, v0
	ds_read_b64 v[24:25], v25
	v_xor_b32_e32 v30, 0x440, v29
	v_cndmask_b32_e32 v29, v30, v29, vcc
	v_xor_b32_e32 v30, 0x440, v0
	ds_read2_b64 v[20:23], v19 offset1:16
	v_cndmask_b32_e32 v0, v30, v0, vcc
	v_or_b32_e32 v28, v28, v39
	v_or_b32_e32 v29, v29, v39
	;; [unrolled: 1-line block ×3, first 2 shown]
	v_xor_b32_e32 v49, v28, v26
	v_xor_b32_e32 v50, v29, v26
	;; [unrolled: 1-line block ×3, first 2 shown]
	s_add_i32 s0, s12, s49
	v_add3_u32 v28, v27, v49, v47
	v_add3_u32 v29, v27, v50, v47
	;; [unrolled: 1-line block ×3, first 2 shown]
	s_mul_hi_i32 s1, s0, s13
	s_mul_i32 s0, s0, s13
	ds_read_b64 v[26:27], v28
	ds_read_b64 v[40:41], v29
	;; [unrolled: 1-line block ×3, first 2 shown]
	ds_read2st64_b64 v[28:31], v19 offset0:2 offset1:4
	ds_read2st64_b64 v[36:39], v18 offset0:2 offset1:4
	s_add_u32 s0, s0, s33
	s_waitcnt lgkmcnt(5)
	v_mfma_f32_16x16x16_bf16 a[0:3], v[24:25], v[20:21], 0
	s_addc_u32 s1, s1, s48
	s_lshl_b64 s[0:1], s[0:1], 9
	s_add_u32 s0, s16, s0
	v_mfma_f32_16x16x16_bf16 a[4:7], v[24:25], v[22:23], 0
	s_addc_u32 s1, s17, s1
	v_lshlrev_b32_e32 v24, 2, v32
	v_lshlrev_b32_e32 v1, 6, v1
	s_waitcnt lgkmcnt(1)
	v_mfma_f32_16x16x16_bf16 a[0:3], v[26:27], v[28:29], a[0:3]
	v_add_u32_e32 v48, v48, v47
	v_exp_f32_e32 v46, s14
	v_add_u32_e32 v0, v0, v47
	s_waitcnt lgkmcnt(0)
	v_mfma_f32_16x16x16_bf16 a[4:7], v[26:27], v[36:37], a[4:7]
	global_load_dwordx4 v[24:27], v24, s[0:1]
	s_waitcnt vmcnt(0)
	v_exp_f32_e32 v26, v26
	v_mfma_f32_16x16x16_bf16 a[0:3], v[40:41], v[30:31], a[0:3]
	v_exp_f32_e32 v27, v27
	v_mfma_f32_16x16x16_bf16 a[4:7], v[40:41], v[38:39], a[4:7]
	ds_read_b64 v[40:41], v19 offset:3072
	ds_read_b64 v[44:45], v18 offset:3072
	v_lshlrev_b32_e32 v18, 2, v34
	v_or3_b32 v1, v1, v18, s2
	global_load_dwordx4 v[32:35], v1, s[0:1]
	v_exp_f32_e32 v18, v24
	v_exp_f32_e32 v19, v25
	ds_read_b64 v[24:25], v48 offset:16384
	s_waitcnt lgkmcnt(2)
	v_mfma_f32_16x16x16_bf16 a[0:3], v[42:43], v[40:41], a[0:3]
	v_add_u32_e32 v48, v50, v47
	v_pk_mul_f32 v[52:53], v[46:47], v[18:19] op_sel_hi:[0,1]
	s_waitcnt lgkmcnt(1)
	v_mfma_f32_16x16x16_bf16 a[4:7], v[42:43], v[44:45], a[4:7]
	v_add_u32_e32 v42, v49, v47
	ds_read_b64 v[42:43], v42 offset:16384
	ds_read_b64 v[48:49], v48 offset:16384
	;; [unrolled: 1-line block ×3, first 2 shown]
	v_accvgpr_read_b32 v19, a1
	s_waitcnt lgkmcnt(3)
	v_mfma_f32_16x16x16_bf16 a[8:11], v[24:25], v[20:21], 0
	v_accvgpr_read_b32 v1, a3
	v_accvgpr_read_b32 v0, a2
	;; [unrolled: 1-line block ×3, first 2 shown]
	v_mfma_f32_16x16x16_bf16 a[0:3], v[24:25], v[22:23], 0
	v_pk_fma_f32 v[18:19], v[2:3], v[52:53], v[18:19]
	v_pk_mul_f32 v[2:3], v[46:47], v[26:27] op_sel_hi:[0,1]
	v_pk_fma_f32 v[20:21], v[4:5], v[2:3], v[0:1]
	s_waitcnt lgkmcnt(2)
	v_mfma_f32_16x16x16_bf16 a[8:11], v[42:43], v[28:29], a[8:11]
	v_accvgpr_read_b32 v0, a4
	v_fma_f32 v26, v10, v52, v0
	v_accvgpr_read_b32 v0, a5
	v_mfma_f32_16x16x16_bf16 a[0:3], v[42:43], v[36:37], a[0:3]
	v_fma_f32 v27, v11, v53, v0
	v_accvgpr_read_b32 v0, a6
	v_fma_f32 v28, v12, v2, v0
	s_waitcnt lgkmcnt(1)
	v_mfma_f32_16x16x16_bf16 a[8:11], v[48:49], v[30:31], a[8:11]
	v_accvgpr_read_b32 v29, a7
	v_fmac_f32_e32 v29, v13, v3
	s_waitcnt vmcnt(0)
	v_mov_b32_e32 v0, v33
	v_mfma_f32_16x16x16_bf16 a[0:3], v[48:49], v[38:39], a[0:3]
	v_mov_b32_e32 v1, v34
	v_mov_b32_e32 v2, v35
	v_exp_f32_e32 v5, v0
	v_exp_f32_e32 v0, v1
	s_waitcnt lgkmcnt(0)
	v_mfma_f32_16x16x16_bf16 a[4:7], v[50:51], v[40:41], a[8:11]
	v_exp_f32_e32 v1, v2
	v_exp_f32_e32 v4, v32
	v_pk_mul_f32 v[0:1], v[46:47], v[0:1] op_sel_hi:[0,1]
	v_mfma_f32_16x16x16_bf16 a[0:3], v[50:51], v[44:45], a[0:3]
	v_pk_mul_f32 v[4:5], v[46:47], v[4:5] op_sel_hi:[0,1]
	s_nop 1
	v_accvgpr_read_b32 v3, a7
	v_accvgpr_read_b32 v2, a6
	v_pk_fma_f32 v[24:25], v[8:9], v[0:1], v[2:3]
	v_accvgpr_read_b32 v11, a5
	v_accvgpr_read_b32 v10, a4
	v_pk_fma_f32 v[22:23], v[6:7], v[4:5], v[10:11]
	v_accvgpr_read_b32 v2, a0
	v_fma_f32 v30, v14, v4, v2
	v_accvgpr_read_b32 v2, a1
	v_fma_f32 v31, v15, v5, v2
	v_accvgpr_read_b32 v2, a2
	v_accvgpr_read_b32 v33, a3
	v_fma_f32 v32, v16, v0, v2
	v_fmac_f32_e32 v33, v17, v1
	v_mov_b64_e32 v[2:3], v[18:19]
	v_mov_b64_e32 v[4:5], v[20:21]
	;; [unrolled: 1-line block ×8, first 2 shown]
.LBB282_85:
	s_add_u32 s0, s18, s28
	s_addc_u32 s1, s19, s29
	v_lshl_add_u64 v[0:1], v[56:57], 1, s[0:1]
	v_mov_b32_e32 v55, 0
	s_mov_b32 s2, 0x7060302
	v_lshl_add_u64 v[0:1], v[0:1], 0, v[54:55]
	v_perm_b32 v5, v5, v4, s2
	v_perm_b32 v4, v3, v2, s2
	;; [unrolled: 1-line block ×4, first 2 shown]
	global_store_dwordx2 v[0:1], v[4:5], off
	global_store_dwordx2 v[0:1], v[2:3], off offset:128
	v_lshl_add_u64 v[0:1], v[58:59], 1, s[0:1]
	v_lshl_add_u64 v[0:1], v[0:1], 0, v[54:55]
	v_perm_b32 v3, v13, v12, s2
	v_perm_b32 v2, v11, v10, s2
	global_store_dwordx2 v[0:1], v[2:3], off
	v_perm_b32 v3, v17, v16, s2
	v_perm_b32 v2, v15, v14, s2
	global_store_dwordx2 v[0:1], v[2:3], off offset:128
	s_endpgm
	.section	.rodata,"a",@progbits
	.p2align	6, 0x0
	.amdhsa_kernel _ZN12_GLOBAL__N_139chunk_gated_delta_rule_fwd_h_hip_kernelILi32ELb1ELb1ELb0ELb0ELb1ELb1ELb0ELb1EEEvPK12hip_bfloat16S3_S3_PKfS5_PKvPS1_S8_PvPKiSB_iiiiilll
		.amdhsa_group_segment_fixed_size 49152
		.amdhsa_private_segment_fixed_size 0
		.amdhsa_kernarg_size 136
		.amdhsa_user_sgpr_count 2
		.amdhsa_user_sgpr_dispatch_ptr 0
		.amdhsa_user_sgpr_queue_ptr 0
		.amdhsa_user_sgpr_kernarg_segment_ptr 1
		.amdhsa_user_sgpr_dispatch_id 0
		.amdhsa_user_sgpr_kernarg_preload_length 0
		.amdhsa_user_sgpr_kernarg_preload_offset 0
		.amdhsa_user_sgpr_private_segment_size 0
		.amdhsa_uses_dynamic_stack 0
		.amdhsa_enable_private_segment 0
		.amdhsa_system_sgpr_workgroup_id_x 1
		.amdhsa_system_sgpr_workgroup_id_y 1
		.amdhsa_system_sgpr_workgroup_id_z 0
		.amdhsa_system_sgpr_workgroup_info 0
		.amdhsa_system_vgpr_workitem_id 0
		.amdhsa_next_free_vgpr 164
		.amdhsa_next_free_sgpr 72
		.amdhsa_accum_offset 144
		.amdhsa_reserve_vcc 1
		.amdhsa_float_round_mode_32 0
		.amdhsa_float_round_mode_16_64 0
		.amdhsa_float_denorm_mode_32 3
		.amdhsa_float_denorm_mode_16_64 3
		.amdhsa_dx10_clamp 1
		.amdhsa_ieee_mode 1
		.amdhsa_fp16_overflow 0
		.amdhsa_tg_split 0
		.amdhsa_exception_fp_ieee_invalid_op 0
		.amdhsa_exception_fp_denorm_src 0
		.amdhsa_exception_fp_ieee_div_zero 0
		.amdhsa_exception_fp_ieee_overflow 0
		.amdhsa_exception_fp_ieee_underflow 0
		.amdhsa_exception_fp_ieee_inexact 0
		.amdhsa_exception_int_div_zero 0
	.end_amdhsa_kernel
	.section	.text._ZN12_GLOBAL__N_139chunk_gated_delta_rule_fwd_h_hip_kernelILi32ELb1ELb1ELb0ELb0ELb1ELb1ELb0ELb1EEEvPK12hip_bfloat16S3_S3_PKfS5_PKvPS1_S8_PvPKiSB_iiiiilll,"axG",@progbits,_ZN12_GLOBAL__N_139chunk_gated_delta_rule_fwd_h_hip_kernelILi32ELb1ELb1ELb0ELb0ELb1ELb1ELb0ELb1EEEvPK12hip_bfloat16S3_S3_PKfS5_PKvPS1_S8_PvPKiSB_iiiiilll,comdat
.Lfunc_end282:
	.size	_ZN12_GLOBAL__N_139chunk_gated_delta_rule_fwd_h_hip_kernelILi32ELb1ELb1ELb0ELb0ELb1ELb1ELb0ELb1EEEvPK12hip_bfloat16S3_S3_PKfS5_PKvPS1_S8_PvPKiSB_iiiiilll, .Lfunc_end282-_ZN12_GLOBAL__N_139chunk_gated_delta_rule_fwd_h_hip_kernelILi32ELb1ELb1ELb0ELb0ELb1ELb1ELb0ELb1EEEvPK12hip_bfloat16S3_S3_PKfS5_PKvPS1_S8_PvPKiSB_iiiiilll
                                        ; -- End function
	.section	.AMDGPU.csdata,"",@progbits
; Kernel info:
; codeLenInByte = 9756
; NumSgprs: 78
; NumVgprs: 144
; NumAgprs: 20
; TotalNumVgprs: 164
; ScratchSize: 0
; MemoryBound: 0
; FloatMode: 240
; IeeeMode: 1
; LDSByteSize: 49152 bytes/workgroup (compile time only)
; SGPRBlocks: 9
; VGPRBlocks: 20
; NumSGPRsForWavesPerEU: 78
; NumVGPRsForWavesPerEU: 164
; AccumOffset: 144
; Occupancy: 1
; WaveLimiterHint : 1
; COMPUTE_PGM_RSRC2:SCRATCH_EN: 0
; COMPUTE_PGM_RSRC2:USER_SGPR: 2
; COMPUTE_PGM_RSRC2:TRAP_HANDLER: 0
; COMPUTE_PGM_RSRC2:TGID_X_EN: 1
; COMPUTE_PGM_RSRC2:TGID_Y_EN: 1
; COMPUTE_PGM_RSRC2:TGID_Z_EN: 0
; COMPUTE_PGM_RSRC2:TIDIG_COMP_CNT: 0
; COMPUTE_PGM_RSRC3_GFX90A:ACCUM_OFFSET: 35
; COMPUTE_PGM_RSRC3_GFX90A:TG_SPLIT: 0
	.section	.text._ZN12_GLOBAL__N_139chunk_gated_delta_rule_fwd_h_hip_kernelILi32ELb1ELb0ELb1ELb0ELb1ELb1ELb0ELb1EEEvPK12hip_bfloat16S3_S3_PKfS5_PKvPS1_S8_PvPKiSB_iiiiilll,"axG",@progbits,_ZN12_GLOBAL__N_139chunk_gated_delta_rule_fwd_h_hip_kernelILi32ELb1ELb0ELb1ELb0ELb1ELb1ELb0ELb1EEEvPK12hip_bfloat16S3_S3_PKfS5_PKvPS1_S8_PvPKiSB_iiiiilll,comdat
	.globl	_ZN12_GLOBAL__N_139chunk_gated_delta_rule_fwd_h_hip_kernelILi32ELb1ELb0ELb1ELb0ELb1ELb1ELb0ELb1EEEvPK12hip_bfloat16S3_S3_PKfS5_PKvPS1_S8_PvPKiSB_iiiiilll ; -- Begin function _ZN12_GLOBAL__N_139chunk_gated_delta_rule_fwd_h_hip_kernelILi32ELb1ELb0ELb1ELb0ELb1ELb1ELb0ELb1EEEvPK12hip_bfloat16S3_S3_PKfS5_PKvPS1_S8_PvPKiSB_iiiiilll
	.p2align	8
	.type	_ZN12_GLOBAL__N_139chunk_gated_delta_rule_fwd_h_hip_kernelILi32ELb1ELb0ELb1ELb0ELb1ELb1ELb0ELb1EEEvPK12hip_bfloat16S3_S3_PKfS5_PKvPS1_S8_PvPKiSB_iiiiilll,@function
_ZN12_GLOBAL__N_139chunk_gated_delta_rule_fwd_h_hip_kernelILi32ELb1ELb0ELb1ELb0ELb1ELb1ELb0ELb1EEEvPK12hip_bfloat16S3_S3_PKfS5_PKvPS1_S8_PvPKiSB_iiiiilll: ; @_ZN12_GLOBAL__N_139chunk_gated_delta_rule_fwd_h_hip_kernelILi32ELb1ELb0ELb1ELb0ELb1ELb1ELb0ELb1EEEvPK12hip_bfloat16S3_S3_PKfS5_PKvPS1_S8_PvPKiSB_iiiiilll
; %bb.0:
	s_load_dwordx4 s[12:15], s[0:1], 0x5c
	s_load_dwordx4 s[20:23], s[0:1], 0x70
	s_abs_i32 s6, s3
	s_ashr_i32 s5, s3, 31
	s_load_dwordx4 s[16:19], s[0:1], 0x28
	s_load_dwordx2 s[28:29], s[0:1], 0x38
	s_waitcnt lgkmcnt(0)
	s_abs_i32 s4, s13
	v_cvt_f32_u32_e32 v1, s4
	s_sub_i32 s8, 0, s4
	s_ashr_i32 s7, s13, 31
	s_xor_b32 s5, s5, s7
	v_rcp_iflag_f32_e32 v1, v1
	v_and_b32_e32 v66, 15, v0
	v_lshrrev_b32_e32 v64, 6, v0
	v_bfe_u32 v65, v0, 4, 2
	v_mul_f32_e32 v1, 0x4f7ffffe, v1
	v_cvt_u32_f32_e32 v1, v1
	v_mov_b32_e32 v7, 0
	v_and_b32_e32 v45, 63, v0
	v_lshlrev_b32_e32 v67, 3, v0
	v_readfirstlane_b32 s9, v1
	s_mul_i32 s8, s8, s9
	s_mul_hi_u32 s8, s9, s8
	s_add_i32 s9, s9, s8
	s_mul_hi_u32 s8, s6, s9
	s_mul_i32 s9, s8, s4
	s_sub_i32 s6, s6, s9
	s_add_i32 s10, s8, 1
	s_sub_i32 s9, s6, s4
	s_cmp_ge_u32 s6, s4
	s_cselect_b32 s8, s10, s8
	s_cselect_b32 s6, s9, s6
	s_add_i32 s9, s8, 1
	s_cmp_ge_u32 s6, s4
	s_cselect_b32 s6, s9, s8
	s_xor_b32 s6, s6, s5
	s_add_i32 s8, s12, 63
	s_sub_i32 s53, s6, s5
	s_ashr_i32 s9, s8, 31
	s_mul_i32 s5, s53, s13
	s_sub_i32 s51, s3, s5
	s_lshr_b32 s3, s9, 26
	s_add_i32 s8, s8, s3
	s_abs_i32 s3, s14
	v_cvt_f32_u32_e32 v1, s3
	s_ashr_i32 s52, s12, 31
	s_lshr_b32 s6, s52, 26
	s_add_i32 s6, s12, s6
	v_rcp_iflag_f32_e32 v1, v1
	s_ashr_i32 s56, s14, 31
	s_ashr_i32 s54, s6, 6
	s_lshl_b32 s38, s2, 5
	v_mul_f32_e32 v1, 0x4f7ffffe, v1
	v_cvt_u32_f32_e32 v1, v1
	s_xor_b32 s2, s7, s56
	s_sub_i32 s6, 0, s3
	s_ashr_i32 s25, s8, 6
	v_readfirstlane_b32 s7, v1
	s_mul_i32 s6, s6, s7
	s_mul_hi_u32 s6, s7, s6
	s_add_i32 s7, s7, s6
	s_mul_hi_u32 s6, s4, s7
	s_mul_i32 s7, s6, s3
	s_sub_i32 s4, s4, s7
	s_add_i32 s7, s6, 1
	s_sub_i32 s8, s4, s3
	s_cmp_ge_u32 s4, s3
	s_cselect_b32 s6, s7, s6
	s_cselect_b32 s4, s8, s4
	s_add_i32 s7, s6, 1
	s_cmp_ge_u32 s4, s3
	s_cselect_b32 s3, s7, s6
	s_xor_b32 s3, s3, s2
	s_sub_i32 s2, s3, s2
	s_abs_i32 s3, s2
	v_cvt_f32_u32_e32 v1, s3
	s_sub_i32 s6, 0, s3
	s_abs_i32 s4, s51
	s_xor_b32 s2, s51, s2
	v_rcp_iflag_f32_e32 v1, v1
	s_ashr_i32 s2, s2, 31
	v_or_b32_e32 v46, s38, v66
	v_lshlrev_b32_e32 v2, 7, v46
	v_mul_f32_e32 v1, 0x4f7ffffe, v1
	v_cvt_u32_f32_e32 v1, v1
	v_ashrrev_i32_e32 v3, 31, v2
	v_lshrrev_b32_e32 v68, 3, v45
	s_mul_i32 s33, s53, s21
	v_readfirstlane_b32 s7, v1
	s_mul_i32 s6, s6, s7
	s_mul_hi_u32 s6, s7, s6
	s_add_i32 s7, s7, s6
	s_mul_hi_u32 s6, s4, s7
	s_mul_i32 s7, s6, s3
	s_sub_i32 s4, s4, s7
	s_add_i32 s7, s6, 1
	s_sub_i32 s8, s4, s3
	s_cmp_ge_u32 s4, s3
	s_cselect_b32 s6, s7, s6
	s_cselect_b32 s4, s8, s4
	s_add_i32 s7, s6, 1
	s_cmp_ge_u32 s4, s3
	s_cselect_b32 s3, s7, s6
	s_xor_b32 s3, s3, s2
	s_sub_i32 s57, s3, s2
	s_ashr_i32 s24, s53, 31
	s_ashr_i32 s55, s51, 31
	s_mul_hi_i32 s2, s53, s13
	s_add_u32 s40, s5, s51
	s_addc_u32 s41, s2, s55
	s_lshl_b64 s[2:3], s[40:41], 15
	s_add_u32 s2, s16, s2
	s_addc_u32 s3, s17, s3
	v_lshlrev_b32_e32 v1, 4, v64
	v_lshl_add_u64 v[4:5], v[2:3], 1, s[2:3]
	v_or_b32_e32 v2, 0x800, v2
	v_lshl_or_b32 v69, v65, 2, v1
	v_ashrrev_i32_e32 v3, 31, v2
	v_lshlrev_b32_e32 v6, 1, v69
	v_lshl_add_u64 v[2:3], v[2:3], 1, s[2:3]
	v_lshl_add_u64 v[4:5], v[4:5], 0, v[6:7]
	;; [unrolled: 1-line block ×3, first 2 shown]
	global_load_dwordx2 v[8:9], v[4:5], off
	v_or_b32_e32 v70, 64, v69
	global_load_dwordx2 v[4:5], v[4:5], off offset:128
	s_nop 0
	global_load_dwordx2 v[6:7], v[2:3], off
	global_load_dwordx2 v[10:11], v[2:3], off offset:128
	s_load_dwordx8 s[4:11], s[0:1], 0x0
	s_load_dwordx2 s[30:31], s[0:1], 0x80
	s_mul_hi_u32 s46, s53, s20
	s_mul_i32 s34, s53, s20
	s_mul_i32 s58, s53, s25
	;; [unrolled: 1-line block ×3, first 2 shown]
	s_mul_hi_u32 s48, s51, s22
	s_mul_i32 s50, s24, s20
	s_mul_i32 s49, s55, s22
	s_mul_hi_u32 s59, s40, s12
	s_mul_i32 s16, s40, s12
	s_mul_i32 s41, s41, s12
	s_cmp_lt_i32 s12, 64
	s_mul_i32 s36, s51, s22
	s_waitcnt vmcnt(3)
	v_and_b32_e32 v51, 0xffff0000, v8
	v_lshlrev_b32_e32 v50, 16, v8
	v_and_b32_e32 v55, 0xffff0000, v9
	v_lshlrev_b32_e32 v54, 16, v9
	s_waitcnt vmcnt(2)
	v_and_b32_e32 v49, 0xffff0000, v4
	v_lshlrev_b32_e32 v48, 16, v4
	v_and_b32_e32 v53, 0xffff0000, v5
	v_lshlrev_b32_e32 v52, 16, v5
	;; [unrolled: 5-line block ×4, first 2 shown]
	s_cbranch_scc1 .LBB283_3
; %bb.1:
	s_add_i32 s17, s59, s41
	s_lshl_b64 s[2:3], s[16:17], 8
	v_and_b32_e32 v78, 56, v67
	s_waitcnt lgkmcnt(0)
	s_add_u32 s20, s6, s2
	v_lshl_or_b32 v77, v64, 3, v68
	v_lshlrev_b32_e32 v2, 1, v78
	s_addc_u32 s2, s7, s3
	v_lshl_or_b32 v79, v77, 8, v2
	s_and_b32 s21, s2, 0xffff
	s_mov_b32 s23, 0x20000
	s_movk_i32 s22, 0x4000
	s_movk_i32 s2, 0x80
	v_or_b32_e32 v81, 0x2000, v79
	buffer_load_dwordx4 v[4:7], v79, s[20:23], 0 offen
	buffer_load_dwordx4 v[8:11], v79, s[20:23], s2 offen
	buffer_load_dwordx4 v[12:15], v81, s[20:23], 0 offen
	buffer_load_dwordx4 v[16:19], v81, s[20:23], s2 offen
	v_lshlrev_b32_e32 v3, 3, v77
	v_and_or_b32 v21, v0, 7, v3
	v_and_b32_e32 v3, 0x78, v3
	v_lshlrev_b32_e32 v21, 4, v21
	v_xor_b32_e32 v83, v21, v3
	v_mul_lo_u32 v20, v77, s15
	v_or_b32_e32 v84, 0x1000, v83
	v_xor_b32_e32 v3, 8, v83
	s_cmpk_eq_i32 s15, 0x80
	s_mov_b32 s60, s14
	v_xor_b32_e32 v21, 8, v84
	s_cselect_b64 s[2:3], -1, 0
	s_cmpk_lg_i32 s15, 0x80
	s_waitcnt vmcnt(3)
	ds_write_b64 v83, v[4:5] offset:24576
	ds_write_b64 v3, v[6:7] offset:24576
	s_waitcnt vmcnt(2)
	ds_write_b64 v83, v[8:9] offset:32768
	ds_write_b64 v3, v[10:11] offset:32768
	;; [unrolled: 3-line block ×4, first 2 shown]
	v_lshl_add_u32 v3, v20, 1, v78
	s_cbranch_scc0 .LBB283_29
; %bb.2:
	v_lshlrev_b32_e32 v5, 1, v3
	v_add_lshl_u32 v4, v3, s15, 1
	s_lshl_b32 s22, s15, 7
	s_load_dwordx2 s[42:43], s[0:1], 0x20
	v_lshl_or_b32 v2, v77, 9, v2
	s_cbranch_execz .LBB283_30
	s_branch .LBB283_31
.LBB283_3:
	v_mov_b32_e32 v5, v80
	v_mov_b32_e32 v9, v82
.LBB283_4:
	s_lshl_b32 s26, s54, 6
	s_sub_i32 s27, s12, s26
	s_cmp_gt_i32 s27, 0
	s_cbranch_scc0 .LBB283_84
; %bb.5:
	s_ashr_i32 s2, s26, 31
	s_cmpk_lg_i32 s15, 0x80
	s_cselect_b64 s[22:23], -1, 0
	s_and_b64 vcc, exec, s[22:23]
	s_cbranch_vccz .LBB283_7
; %bb.6:
	s_mul_i32 s1, s53, s12
	s_mul_hi_i32 s0, s53, s12
	s_add_u32 s1, s1, s26
	s_addc_u32 s0, s0, s2
	s_mul_i32 s3, s1, s56
	s_mul_hi_u32 s17, s1, s14
	s_add_i32 s3, s17, s3
	s_mul_i32 s0, s0, s14
	s_add_i32 s3, s3, s0
	s_mul_i32 s1, s1, s14
	s_ashr_i32 s0, s57, 31
	s_add_u32 s24, s1, s57
	s_addc_u32 s25, s3, s0
	s_cbranch_execz .LBB283_8
	s_branch .LBB283_9
.LBB283_7:
                                        ; implicit-def: $sgpr24_sgpr25
.LBB283_8:
	s_mul_hi_i32 s0, s53, s14
	s_mul_i32 s53, s53, s14
	s_ashr_i32 s1, s57, 31
	s_add_u32 s3, s53, s57
	s_addc_u32 s0, s0, s1
	s_mul_i32 s1, s3, s52
	s_mul_hi_u32 s14, s3, s12
	s_add_i32 s1, s14, s1
	s_mul_i32 s0, s0, s12
	s_add_i32 s1, s1, s0
	s_mul_i32 s3, s3, s12
	s_add_u32 s24, s3, s26
	s_addc_u32 s25, s1, s2
.LBB283_9:
	s_mul_i32 s0, s40, s52
	s_add_i32 s0, s59, s0
	s_add_i32 s3, s58, s54
	;; [unrolled: 1-line block ×3, first 2 shown]
	s_add_u32 s0, s16, s26
	v_lshlrev_b32_e32 v8, 5, v69
	v_lshlrev_b32_e32 v22, 2, v66
	s_addc_u32 s1, s1, s2
	s_mov_b32 s2, 0x7060302
	v_or_b32_e32 v11, v8, v22
	v_xor_b32_e32 v4, v69, v22
	v_perm_b32 v3, v55, v54, s2
	v_perm_b32 v2, v51, v50, s2
	;; [unrolled: 1-line block ×4, first 2 shown]
	v_lshlrev_b32_e32 v11, 1, v11
	s_lshl_b64 s[20:21], s[0:1], 8
	v_xor_b32_e32 v10, v70, v22
	ds_write2st64_b64 v11, v[2:3], v[6:7] offset0:80 offset1:88
	v_lshlrev_b32_e32 v11, 1, v4
	v_lshlrev_b32_e32 v4, 8, v66
	s_waitcnt lgkmcnt(0)
	s_add_u32 s0, s6, s20
	v_or_b32_e32 v12, v11, v4
	v_lshlrev_b32_e32 v10, 1, v10
	s_addc_u32 s1, s7, s21
	ds_write_b64 v12, v[2:3]
	v_or_b32_e32 v2, v10, v4
	s_mul_hi_i32 s6, s3, s13
	s_mul_i32 s3, s3, s13
	ds_write_b64 v2, v[6:7]
	v_perm_b32 v3, v9, v75, s2
	v_perm_b32 v2, v71, v73, s2
	;; [unrolled: 1-line block ×4, first 2 shown]
	v_or_b32_e32 v6, 16, v66
	s_add_u32 s2, s3, s51
	v_lshlrev_b32_e32 v19, 2, v6
	s_addc_u32 s3, s6, s55
	v_or_b32_e32 v7, v8, v19
	s_ashr_i32 s39, s38, 31
	s_lshl_b64 s[2:3], s[2:3], 15
	v_lshlrev_b32_e32 v7, 1, v7
	v_lshlrev_b32_e32 v6, 8, v6
	s_add_u32 s6, s18, s2
	ds_write2st64_b64 v7, v[2:3], v[4:5] offset0:80 offset1:88
	v_or_b32_e32 v7, v11, v6
	s_addc_u32 s7, s19, s3
	s_lshl_b64 s[2:3], s[38:39], 8
	ds_write_b64 v7, v[2:3]
	v_or_b32_e32 v2, v10, v6
	s_add_u32 s2, s6, s2
	ds_write_b64 v2, v[4:5]
	v_lshrrev_b32_e32 v2, 4, v0
	s_addc_u32 s3, s7, s3
	v_lshlrev_b32_e32 v3, 1, v66
	v_lshlrev_b32_e32 v10, 4, v66
	v_mov_b32_e32 v11, 0
	v_or_b32_e32 v4, 1, v3
	v_xor_b32_e32 v3, v2, v3
	v_lshl_add_u64 v[12:13], s[2:3], 0, v[10:11]
	v_lshlrev_b32_e32 v10, 8, v2
	v_xor_b32_e32 v6, v4, v2
	v_lshl_or_b32 v2, v3, 3, v10
	s_waitcnt lgkmcnt(0)
	s_barrier
	ds_read2st64_b64 v[2:5], v2 offset1:8
	v_lshl_or_b32 v6, v6, 3, v10
	ds_read2st64_b64 v[6:9], v6 offset1:8
	v_lshl_add_u64 v[14:15], v[12:13], 0, v[10:11]
	s_movk_i32 s2, 0x1000
	s_waitcnt lgkmcnt(1)
	v_mov_b32_e32 v10, v2
	v_add_co_u32_e32 v2, vcc, s2, v14
	s_cmp_lg_u32 s27, 64
	v_mov_b32_e32 v11, v3
	v_addc_co_u32_e32 v3, vcc, 0, v15, vcc
	s_cselect_b64 s[6:7], -1, 0
	v_lshl_or_b32 v23, v64, 3, v68
	s_waitcnt lgkmcnt(0)
	v_mov_b32_e32 v12, v6
	v_mov_b32_e32 v13, v7
	;; [unrolled: 1-line block ×4, first 2 shown]
	s_mov_b32 s16, 0
	v_or_b32_e32 v20, 32, v23
	v_and_b32_e32 v18, 56, v67
	s_and_b64 vcc, exec, s[6:7]
	global_store_dwordx4 v[14:15], v[10:13], off
	global_store_dwordx4 v[2:3], v[6:9], off
	s_cbranch_vccz .LBB283_15
; %bb.10:
	s_mov_b32 s17, s16
	s_mov_b32 s18, s16
	;; [unrolled: 1-line block ×3, first 2 shown]
	v_mov_b64_e32 v[6:7], s[16:17]
	v_mov_b64_e32 v[8:9], s[18:19]
	;; [unrolled: 1-line block ×3, first 2 shown]
	v_cmp_gt_i32_e32 vcc, s27, v23
	v_mov_b64_e32 v[4:5], v[8:9]
	s_and_saveexec_b64 s[2:3], vcc
	s_cbranch_execz .LBB283_12
; %bb.11:
	v_lshlrev_b32_e32 v2, 8, v23
	v_mov_b32_e32 v3, 0
	v_lshl_add_u64 v[4:5], s[0:1], 0, v[2:3]
	v_lshlrev_b32_e32 v2, 1, v18
	v_lshl_add_u64 v[10:11], v[4:5], 0, v[2:3]
	global_load_dwordx4 v[6:9], v[10:11], off
	global_load_dwordx4 v[2:5], v[10:11], off offset:128
.LBB283_12:
	s_or_b64 exec, exec, s[2:3]
	s_mov_b32 s17, s16
	s_mov_b32 s18, s16
	;; [unrolled: 1-line block ×3, first 2 shown]
	v_mov_b64_e32 v[14:15], s[16:17]
	v_mov_b64_e32 v[16:17], s[18:19]
	v_mov_b64_e32 v[10:11], v[14:15]
	v_cmp_gt_i32_e32 vcc, s27, v20
	v_lshlrev_b32_e32 v21, 7, v20
	v_mov_b64_e32 v[12:13], v[16:17]
	s_and_saveexec_b64 s[2:3], vcc
	s_cbranch_execz .LBB283_14
; %bb.13:
	v_lshlrev_b32_e32 v10, 1, v21
	v_mov_b32_e32 v11, 0
	v_lshl_add_u64 v[12:13], s[0:1], 0, v[10:11]
	v_lshlrev_b32_e32 v10, 1, v18
	v_lshl_add_u64 v[24:25], v[12:13], 0, v[10:11]
	global_load_dwordx4 v[14:17], v[24:25], off
	global_load_dwordx4 v[10:13], v[24:25], off offset:128
.LBB283_14:
	s_or_b64 exec, exec, s[2:3]
	v_lshrrev_b32_e32 v24, 3, v18
	v_lshlrev_b32_e32 v25, 3, v23
	v_or_b32_e32 v24, v25, v24
	v_lshlrev_b32_e32 v24, 4, v24
	v_and_b32_e32 v25, 0x78, v25
	v_xor_b32_e32 v24, v24, v25
	s_branch .LBB283_17
.LBB283_15:
                                        ; implicit-def: $vgpr24
                                        ; implicit-def: $vgpr21
                                        ; implicit-def: $vgpr6_vgpr7_vgpr8_vgpr9
                                        ; implicit-def: $vgpr2_vgpr3_vgpr4_vgpr5
                                        ; implicit-def: $vgpr14_vgpr15_vgpr16_vgpr17
                                        ; implicit-def: $vgpr10_vgpr11_vgpr12_vgpr13
	s_cbranch_execz .LBB283_17
; %bb.16:
	s_waitcnt vmcnt(0)
	v_lshlrev_b32_e32 v2, 1, v18
	v_lshl_or_b32 v21, v23, 8, v2
	s_and_b32 s1, s1, 0xffff
	s_mov_b32 s3, 0x20000
	s_movk_i32 s2, 0x4000
	v_lshl_or_b32 v24, v20, 8, v2
	s_movk_i32 s13, 0x80
	buffer_load_dwordx4 v[6:9], v21, s[0:3], 0 offen
	buffer_load_dwordx4 v[2:5], v21, s[0:3], s13 offen
	;; [unrolled: 1-line block ×4, first 2 shown]
	v_lshrrev_b32_e32 v21, 3, v18
	v_lshlrev_b32_e32 v24, 3, v23
	v_or_b32_e32 v21, v24, v21
	v_lshlrev_b32_e32 v21, 4, v21
	v_and_b32_e32 v24, 0x78, v24
	v_xor_b32_e32 v24, v21, v24
	v_lshlrev_b32_e32 v21, 7, v20
.LBB283_17:
	s_lshl_b64 s[0:1], s[24:25], 8
	s_add_u32 s4, s4, s0
	s_movk_i32 s0, 0x1000
	v_and_or_b32 v20, v21, s0, v24
	s_waitcnt vmcnt(1)
	ds_write_b64 v24, v[6:7] offset:24576
	v_xor_b32_e32 v6, 8, v24
	ds_write_b64 v6, v[8:9] offset:24576
	s_waitcnt vmcnt(0)
	ds_write_b64 v24, v[2:3] offset:32768
	ds_write_b64 v6, v[4:5] offset:32768
	;; [unrolled: 1-line block ×3, first 2 shown]
	v_xor_b32_e32 v2, 8, v20
	ds_write_b64 v2, v[16:17] offset:24576
	ds_write_b64 v20, v[10:11] offset:32768
	ds_write_b64 v2, v[12:13] offset:32768
	v_or_b32_e32 v2, v1, v66
	v_lshlrev_b32_e32 v3, 11, v64
	v_lshlrev_b32_e32 v2, 3, v2
	v_and_b32_e32 v6, 0x1000, v3
	v_lshrrev_b32_e32 v3, 5, v45
	s_movk_i32 s3, 0xf8
	v_and_or_b32 v3, v2, s3, v3
	v_lshlrev_b32_e32 v7, 4, v3
	v_and_b32_e32 v8, 0x78, v2
	v_or_b32_e32 v10, 32, v7
	v_lshrrev_b32_e32 v3, 1, v45
	v_xor_b32_e32 v10, v10, v8
	v_xor_b32_e32 v2, v7, v8
	v_and_b32_e32 v9, 8, v3
	v_or_b32_e32 v10, v10, v6
	v_or_b32_e32 v2, v2, v6
	v_xor_b32_e32 v26, v10, v9
	v_or_b32_e32 v10, 64, v7
	v_xor_b32_e32 v25, v2, v9
	v_xor_b32_e32 v10, v10, v8
	s_waitcnt lgkmcnt(0)
	s_barrier
	v_or_b32_e32 v12, v10, v6
	ds_read_b64 v[10:11], v25 offset:24576
	v_lshl_or_b32 v20, v65, 7, v22
	v_lshlrev_b32_e32 v24, 1, v20
	v_add_u32_e32 v2, 0xa000, v24
	ds_read2_b64 v[2:5], v2 offset1:16
	v_or_b32_e32 v7, 0x60, v7
	v_xor_b32_e32 v7, v7, v8
	s_waitcnt lgkmcnt(0)
	v_mfma_f32_16x16x16_bf16 a[0:3], v[10:11], v[2:3], 0
	v_or_b32_e32 v2, 64, v20
	v_or_b32_e32 v6, v7, v6
	v_lshlrev_b32_e32 v29, 1, v2
	v_xor_b32_e32 v27, v12, v9
	v_xor_b32_e32 v28, v6, v9
	ds_read_b64 v[12:13], v26 offset:24576
	ds_read_b64 v[14:15], v27 offset:24576
	;; [unrolled: 1-line block ×3, first 2 shown]
	v_mfma_f32_16x16x16_bf16 a[4:7], v[10:11], v[4:5], 0
	ds_read2st64_b64 v[2:5], v29 offset0:82 offset1:84
	ds_read2st64_b64 v[6:9], v24 offset0:82 offset1:84
	s_addc_u32 s5, s5, s1
	s_add_i32 s1, s46, s33
	s_add_i32 s0, s12, -1
	s_add_i32 s35, s1, s50
	s_add_i32 s1, s48, s47
	;; [unrolled: 1-line block ×3, first 2 shown]
	s_ashr_i32 s1, s0, 31
	s_mul_i32 s2, s0, s31
	s_mul_hi_u32 s3, s0, s30
	s_add_i32 s2, s3, s2
	s_mul_i32 s1, s1, s30
	s_waitcnt lgkmcnt(1)
	v_mfma_f32_16x16x16_bf16 a[4:7], v[12:13], v[2:3], a[4:7]
	s_add_i32 s1, s2, s1
	s_lshl_b64 s[2:3], s[34:35], 2
	s_add_u32 s10, s10, s2
	s_waitcnt lgkmcnt(0)
	v_mfma_f32_16x16x16_bf16 a[0:3], v[12:13], v[6:7], a[0:3]
	s_addc_u32 s11, s11, s3
	s_lshl_b64 s[2:3], s[36:37], 2
	s_mul_i32 s0, s0, s30
	s_add_u32 s10, s10, s2
	ds_read_b64 v[2:3], v24 offset:44032
	v_mfma_f32_16x16x16_bf16 a[4:7], v[14:15], v[4:5], a[4:7]
	ds_read_b64 v[4:5], v29 offset:44032
	s_addc_u32 s11, s11, s3
	s_lshl_b64 s[0:1], s[0:1], 2
	v_mfma_f32_16x16x16_bf16 a[0:3], v[14:15], v[8:9], a[0:3]
	s_add_u32 s0, s10, s0
	s_addc_u32 s1, s11, s1
	s_load_dword s12, s[0:1], 0x0
	s_waitcnt lgkmcnt(0)
	v_mfma_f32_16x16x16_bf16 a[0:3], v[16:17], v[2:3], a[0:3]
	s_and_b64 vcc, exec, s[22:23]
	v_mfma_f32_16x16x16_bf16 a[4:7], v[16:17], v[4:5], a[4:7]
	s_cbranch_vccz .LBB283_28
; %bb.18:
	v_lshlrev_b32_e32 v20, 1, v23
	s_and_b64 vcc, exec, s[6:7]
	s_cbranch_vccz .LBB283_44
; %bb.19:
	v_cmp_gt_i32_e32 vcc, s27, v20
	v_mov_b32_e32 v6, 0
	v_mov_b32_e32 v2, 0
	;; [unrolled: 1-line block ×5, first 2 shown]
	s_and_saveexec_b64 s[0:1], vcc
	s_cbranch_execz .LBB283_21
; %bb.20:
	v_mad_i64_i32 v[2:3], s[2:3], s15, v20, 0
	v_lshl_add_u64 v[2:3], v[2:3], 1, s[4:5]
	v_lshlrev_b32_e32 v4, 1, v18
	v_mov_b32_e32 v5, 0
	v_lshl_add_u64 v[2:3], v[2:3], 0, v[4:5]
	global_load_dwordx4 v[2:5], v[2:3], off
.LBB283_21:
	s_or_b64 exec, exec, s[0:1]
	v_or_b32_e32 v21, 1, v20
	v_cmp_gt_i32_e64 s[0:1], s27, v21
	v_mov_b32_e32 v7, 0
	v_mov_b32_e32 v8, 0
	;; [unrolled: 1-line block ×3, first 2 shown]
	s_and_saveexec_b64 s[2:3], s[0:1]
	s_cbranch_execz .LBB283_23
; %bb.22:
	v_mad_i64_i32 v[6:7], s[16:17], s15, v21, 0
	v_lshl_add_u64 v[6:7], v[6:7], 1, s[4:5]
	v_lshlrev_b32_e32 v8, 1, v18
	v_mov_b32_e32 v9, 0
	v_lshl_add_u64 v[6:7], v[6:7], 0, v[8:9]
	global_load_dwordx4 v[6:9], v[6:7], off
.LBB283_23:
	s_or_b64 exec, exec, s[2:3]
	v_mov_b32_e32 v17, 0
	v_mov_b32_e32 v10, 0
	;; [unrolled: 1-line block ×5, first 2 shown]
	s_and_saveexec_b64 s[2:3], vcc
	s_cbranch_execz .LBB283_25
; %bb.24:
	v_mad_i64_i32 v[10:11], s[16:17], s15, v20, 0
	v_lshl_add_u64 v[10:11], v[10:11], 1, s[4:5]
	v_lshlrev_b32_e32 v12, 1, v18
	v_mov_b32_e32 v13, 0
	v_lshl_add_u64 v[10:11], v[10:11], 0, v[12:13]
	global_load_dwordx4 v[10:13], v[10:11], off offset:128
.LBB283_25:
	s_or_b64 exec, exec, s[2:3]
	v_mov_b32_e32 v16, 0
	v_mov_b32_e32 v15, 0
	;; [unrolled: 1-line block ×3, first 2 shown]
	s_and_saveexec_b64 s[2:3], s[0:1]
	s_cbranch_execz .LBB283_27
; %bb.26:
	v_mad_i64_i32 v[14:15], s[0:1], s15, v21, 0
	v_lshl_add_u64 v[14:15], v[14:15], 1, s[4:5]
	v_lshlrev_b32_e32 v16, 1, v18
	v_mov_b32_e32 v17, 0
	v_lshl_add_u64 v[14:15], v[14:15], 0, v[16:17]
	global_load_dwordx4 v[14:17], v[14:15], off offset:128
.LBB283_27:
	s_or_b64 exec, exec, s[2:3]
	s_branch .LBB283_46
.LBB283_28:
                                        ; implicit-def: $vgpr5
                                        ; implicit-def: $vgpr9
                                        ; implicit-def: $vgpr13
                                        ; implicit-def: $vgpr17
	v_lshrrev_b32_e32 v30, 2, v45
	s_branch .LBB283_47
.LBB283_29:
                                        ; implicit-def: $vgpr4
                                        ; implicit-def: $vgpr5
                                        ; implicit-def: $sgpr22
	s_load_dwordx2 s[42:43], s[0:1], 0x20
	v_lshl_or_b32 v2, v77, 9, v2
.LBB283_30:
	v_or_b32_e32 v4, 0x100, v2
	s_movk_i32 s22, 0x4000
	v_mov_b32_e32 v5, v2
.LBB283_31:
	s_mul_hi_u32 s0, s14, s12
	s_mul_i32 s1, s56, s12
	s_add_i32 s0, s0, s1
	s_mul_i32 s1, s14, s12
	s_mul_i32 s20, s1, s24
	s_mul_hi_u32 s21, s1, s53
	s_add_i32 s20, s21, s20
	s_mul_i32 s0, s0, s53
	s_add_i32 s20, s20, s0
	s_mul_i32 s1, s1, s53
	s_ashr_i32 s61, s57, 31
	s_add_u32 s0, s1, s57
	s_addc_u32 s1, s20, s61
	s_lshl_b64 s[0:1], s[0:1], 8
	s_add_u32 s20, s4, s0
	s_addc_u32 s0, s5, s1
	s_and_b32 s21, s0, 0xffff
	s_movk_i32 s62, 0x80
	buffer_load_dwordx4 v[6:9], v5, s[20:23], 0 offen
	buffer_load_dwordx4 v[10:13], v5, s[20:23], s62 offen
	;; [unrolled: 1-line block ×4, first 2 shown]
	v_and_b32_e32 v4, 6, v0
	v_lshlrev_b32_e32 v23, 6, v69
	v_or_b32_e32 v25, 16, v66
	v_xor_b32_e32 v26, v77, v4
	v_and_b32_e32 v5, 1, v0
	v_lshl_or_b32 v29, v66, 3, v23
	v_lshl_or_b32 v23, v25, 3, v23
	v_lshlrev_b32_e32 v26, 2, v26
	s_mul_i32 s24, s24, s12
	s_mul_hi_u32 s0, s53, s12
	v_lshlrev_b32_e32 v22, 2, v66
	v_or_b32_e32 v87, 0xa000, v23
	v_or_b32_e32 v88, 0xb000, v23
	v_xor_b32_e32 v23, 0x440, v26
	v_cmp_eq_u32_e32 vcc, 0, v5
	v_xor_b32_e32 v27, v69, v22
	v_xor_b32_e32 v28, v70, v22
	v_cndmask_b32_e32 v5, v23, v26, vcc
	s_add_i32 s67, s0, s24
	s_add_i32 s0, s46, s33
	s_mov_b32 s65, 0x1000504
	v_lshlrev_b32_e32 v24, 8, v66
	v_lshlrev_b32_e32 v27, 1, v27
	;; [unrolled: 1-line block ×3, first 2 shown]
	v_lshl_or_b32 v4, v4, 10, v5
	s_add_i32 s35, s0, s50
	s_add_i32 s0, s48, s47
	s_mov_b32 s66, 0x3020706
	v_or_b32_e32 v85, 0xa000, v29
	v_or_b32_e32 v86, 0xb000, v29
	;; [unrolled: 1-line block ×4, first 2 shown]
	v_xor_b32_e32 v5, 8, v4
	v_xor_b32_e32 v24, 24, v4
	;; [unrolled: 1-line block ×4, first 2 shown]
	s_add_i32 s37, s0, s49
	s_lshl_b64 s[0:1], s[34:35], 2
	v_xor_b32_e32 v23, 16, v4
	v_xor_b32_e32 v26, 32, v4
	;; [unrolled: 1-line block ×3, first 2 shown]
	v_add_u32_e32 v5, 0x80, v5
	v_add_u32_e32 v24, 0x80, v24
	;; [unrolled: 1-line block ×4, first 2 shown]
	s_add_u32 s20, s10, s0
	s_addc_u32 s21, s11, s1
	s_lshl_b64 s[0:1], s[36:37], 2
	s_add_u32 s44, s20, s0
	s_movk_i32 s0, 0xf8
	s_addc_u32 s45, s21, s1
	s_ashr_i32 s39, s38, 31
	s_lshl_b32 s26, s15, 7
	s_movk_i32 s20, 0x100
	v_mov_b32_e32 v57, 0
	v_lshlrev_b32_e32 v56, 4, v66
	v_cmp_gt_u32_e32 vcc, s20, v0
	v_ashrrev_i32_e32 v47, 31, v46
	s_mul_i32 s63, s53, s12
	s_mov_b32 s64, 0
	s_movk_i32 s35, 0x1000
	s_movk_i32 s22, 0x4000
	s_mov_b32 s69, 0
	s_waitcnt vmcnt(1)
	v_perm_b32 v32, v6, v14, s65
	s_waitcnt vmcnt(0)
	v_perm_b32 v33, v10, v18, s65
	v_perm_b32 v6, v6, v14, s66
	;; [unrolled: 1-line block ×15, first 2 shown]
	ds_write2st64_b32 v4, v32, v33 offset0:32 offset1:64
	ds_write2st64_b32 v5, v6, v10 offset0:32 offset1:64
	;; [unrolled: 1-line block ×8, first 2 shown]
	v_lshlrev_b32_e32 v4, 8, v25
	v_or_b32_e32 v91, v4, v27
	v_or_b32_e32 v92, v4, v28
	;; [unrolled: 1-line block ×3, first 2 shown]
	v_lshlrev_b32_e32 v4, 3, v4
	v_lshrrev_b32_e32 v7, 5, v45
	v_and_or_b32 v7, v4, s0, v7
	v_lshlrev_b32_e32 v7, 4, v7
	v_lshlrev_b32_e32 v9, 11, v64
	v_and_b32_e32 v4, 0x78, v4
	v_or_b32_e32 v12, 32, v7
	v_and_b32_e32 v6, 0x1000, v9
	v_lshrrev_b32_e32 v10, 1, v45
	v_xor_b32_e32 v12, v12, v4
	v_xor_b32_e32 v8, v7, v4
	v_and_b32_e32 v10, 8, v10
	v_or_b32_e32 v12, v12, v6
	v_or_b32_e32 v8, v8, v6
	v_lshlrev_b32_e32 v11, 7, v65
	v_xor_b32_e32 v95, v12, v10
	v_or_b32_e32 v12, 64, v7
	v_or_b32_e32 v7, 0x60, v7
	v_xor_b32_e32 v93, v8, v10
	v_or_b32_e32 v8, v11, v22
	v_xor_b32_e32 v12, v12, v4
	v_xor_b32_e32 v4, v7, v4
	s_lshl_b64 s[0:1], s[38:39], 8
	v_lshlrev_b32_e32 v8, 1, v8
	v_or_b32_e32 v12, v12, v6
	v_or_b32_e32 v4, v4, v6
	s_add_u32 s0, s18, s0
	v_lshlrev_b32_e32 v6, 1, v66
	v_or_b32_e32 v94, 0xa000, v8
	v_or_b32_e32 v96, 0xa080, v8
	;; [unrolled: 1-line block ×4, first 2 shown]
	v_lshrrev_b32_e32 v8, 4, v0
	s_addc_u32 s1, s19, s1
	v_or_b32_e32 v7, 1, v6
	v_mov_b32_e32 v17, 0x4000
	v_mov_b32_e32 v18, 0x2000
	v_lshrrev_b32_e32 v19, 1, v0
	v_xor_b32_e32 v97, v12, v10
	v_xor_b32_e32 v98, v4, v10
	;; [unrolled: 1-line block ×4, first 2 shown]
	v_lshl_add_u64 v[6:7], s[0:1], 0, v[56:57]
	v_lshlrev_b32_e32 v56, 8, v8
	v_cndmask_b32_e32 v17, v17, v18, vcc
	v_lshlrev_b32_e32 v18, 3, v64
	v_and_b32_e32 v19, 24, v19
	v_lshl_or_b32 v101, v10, 3, v56
	v_and_b32_e32 v10, 8, v0
	v_xor_b32_e32 v20, v18, v19
	v_or_b32_e32 v21, 0x440, v20
	v_cmp_eq_u32_e32 vcc, 0, v10
	v_and_b32_e32 v8, 7, v0
	v_lshl_or_b32 v102, v14, 3, v56
	v_cndmask_b32_e32 v10, v21, v20, vcc
	v_lshlrev_b32_e32 v14, 3, v8
	v_lshlrev_b32_e32 v16, 2, v0
	v_or_b32_e32 v10, v10, v9
	v_xor_b32_e32 v20, v10, v14
	v_and_or_b32 v10, v16, 60, v11
	v_mov_b32_e32 v11, 0xb000
	v_lshl_or_b32 v103, v10, 1, v11
	v_or_b32_e32 v10, 32, v19
	v_xor_b32_e32 v10, v18, v10
	v_or_b32_e32 v11, 0x440, v10
	v_cndmask_b32_e32 v10, v11, v10, vcc
	v_or_b32_e32 v10, v10, v9
	v_xor_b32_e32 v11, v10, v14
	v_or_b32_e32 v10, 64, v19
	v_xor_b32_e32 v10, v18, v10
	v_xor_b32_e32 v22, 0x440, v10
	v_cndmask_b32_e32 v10, v22, v10, vcc
	v_or_b32_e32 v10, v10, v9
	v_xor_b32_e32 v22, v10, v14
	v_or_b32_e32 v10, 0x60, v19
	v_xor_b32_e32 v10, v18, v10
	v_xor_b32_e32 v18, 0x440, v10
	v_cndmask_b32_e32 v10, v18, v10, vcc
	v_lshrrev_b32_e32 v5, 2, v45
	v_or_b32_e32 v9, v10, v9
	v_and_b32_e32 v5, 12, v5
	v_lshlrev_b32_e32 v12, 1, v3
	v_add_lshl_u32 v3, v3, s15, 1
	v_or_b32_e32 v13, 0x100, v2
	v_xor_b32_e32 v9, v9, v14
	v_lshlrev_b32_e32 v4, 7, v69
	v_lshlrev_b32_e32 v15, 7, v8
	v_or_b32_e32 v8, v5, v1
	v_add_u32_e32 v21, v17, v20
	v_add_u32_e32 v16, v17, v11
	;; [unrolled: 1-line block ×4, first 2 shown]
	v_or3_b32 v10, v1, v5, 64
	v_add_u32_e32 v5, 0x4000, v20
	v_add_u32_e32 v11, 0x4000, v11
	;; [unrolled: 1-line block ×4, first 2 shown]
	v_cndmask_b32_e64 v104, v12, v2, s[2:3]
	v_cndmask_b32_e64 v105, v3, v13, s[2:3]
	v_lshlrev_b64 v[2:3], 1, v[46:47]
	v_lshl_add_u64 v[58:59], s[8:9], 0, v[2:3]
	v_lshl_add_u64 v[60:61], s[28:29], 0, v[2:3]
	;; [unrolled: 1-line block ×3, first 2 shown]
	s_add_i32 s37, s63, 63
	s_mov_b32 s39, 0x7060302
	v_lshlrev_b32_e32 v56, 1, v4
	v_lshlrev_b32_e32 v47, 2, v8
	v_add_u32_e32 v106, v21, v15
	v_add_u32_e32 v107, v16, v15
	;; [unrolled: 1-line block ×4, first 2 shown]
	v_lshlrev_b32_e32 v110, 2, v10
	v_add_u32_e32 v111, v5, v15
	v_add_u32_e32 v112, v11, v15
	v_add_u32_e32 v113, v17, v15
	v_add_u32_e32 v114, v9, v15
	s_waitcnt lgkmcnt(0)
	s_barrier
.LBB283_32:                             ; =>This Inner Loop Header: Depth=1
	s_add_i32 s68, s69, 1
	s_cmp_lt_i32 s68, s54
	s_mov_b64 s[24:25], 0
	s_cselect_b64 s[2:3], -1, 0
	s_cmp_ge_i32 s68, s54
	s_mov_b64 s[20:21], 0
	s_cbranch_scc1 .LBB283_34
; %bb.33:                               ;   in Loop: Header=BB283_32 Depth=1
	s_add_i32 s0, s64, 64
	s_add_u32 s0, s16, s0
	s_addc_u32 s1, s17, 0
	s_lshl_b64 s[0:1], s[0:1], 8
	s_add_u32 s20, s6, s0
	s_addc_u32 s21, s7, s1
.LBB283_34:                             ;   in Loop: Header=BB283_32 Depth=1
	v_cndmask_b32_e64 v2, 0, 1, s[2:3]
	v_cmp_ne_u32_e64 s[0:1], 1, v2
	s_andn2_b64 vcc, exec, s[2:3]
	s_cbranch_vccnz .LBB283_36
; %bb.35:                               ;   in Loop: Header=BB283_32 Depth=1
	s_add_i32 s2, s64, 64
	s_add_u32 s2, s63, s2
	s_addc_u32 s3, s67, 0
	s_mul_i32 s24, s2, s56
	s_mul_hi_u32 s25, s2, s60
	s_add_i32 s24, s25, s24
	s_mul_i32 s3, s3, s60
	s_add_i32 s24, s24, s3
	s_mul_i32 s2, s2, s60
	s_add_u32 s2, s2, s57
	s_addc_u32 s3, s24, s61
	s_lshl_b64 s[2:3], s[2:3], 8
	s_add_u32 s24, s4, s2
	s_addc_u32 s25, s5, s3
.LBB283_36:                             ;   in Loop: Header=BB283_32 Depth=1
	v_perm_b32 v3, v55, v54, s39
	v_perm_b32 v2, v51, v50, s39
	;; [unrolled: 1-line block ×4, first 2 shown]
	ds_write_b64 v85, v[2:3]
	ds_write_b64 v86, v[4:5]
	;; [unrolled: 1-line block ×4, first 2 shown]
	v_perm_b32 v3, v82, v75, s39
	v_perm_b32 v2, v71, v73, s39
	;; [unrolled: 1-line block ×4, first 2 shown]
	ds_write_b64 v87, v[2:3]
	ds_write_b64 v88, v[4:5]
	;; [unrolled: 1-line block ×4, first 2 shown]
	s_waitcnt lgkmcnt(0)
	s_barrier
	ds_read_b64 v[6:7], v93 offset:24576
	ds_read2_b64 v[2:5], v94 offset1:16
	ds_read_b64 v[10:11], v96 offset:3072
	ds_read_b64 v[12:13], v94 offset:3072
	;; [unrolled: 1-line block ×3, first 2 shown]
	s_waitcnt lgkmcnt(3)
	v_mfma_f32_16x16x16_bf16 a[0:3], v[6:7], v[2:3], 0
	s_add_i32 s2, s64, 63
	s_mul_i32 s3, s2, s31
	s_mul_hi_u32 s27, s2, s30
	v_mfma_f32_16x16x16_bf16 a[4:7], v[6:7], v[4:5], 0
	ds_read2st64_b64 v[2:5], v94 offset0:2 offset1:4
	ds_read2st64_b64 v[6:9], v96 offset0:2 offset1:4
	s_add_i32 s3, s27, s3
	s_waitcnt lgkmcnt(1)
	v_mfma_f32_16x16x16_bf16 a[0:3], v[14:15], v[2:3], a[0:3]
	s_mul_i32 s2, s2, s30
	s_lshl_b64 s[2:3], s[2:3], 2
	s_add_u32 s2, s44, s2
	s_waitcnt lgkmcnt(0)
	v_mfma_f32_16x16x16_bf16 a[4:7], v[14:15], v[6:7], a[4:7]
	ds_read_b64 v[2:3], v97 offset:24576
	ds_read_b64 v[6:7], v98 offset:24576
	s_addc_u32 s3, s45, s3
	s_and_b64 vcc, exec, s[0:1]
	s_waitcnt lgkmcnt(1)
	v_mfma_f32_16x16x16_bf16 a[0:3], v[2:3], v[4:5], a[0:3]
	v_mov_b32_e32 v117, 0
	v_mov_b32_e32 v116, 0
	;; [unrolled: 1-line block ×3, first 2 shown]
	v_mfma_f32_16x16x16_bf16 a[8:11], v[2:3], v[8:9], a[4:7]
	v_mov_b32_e32 v2, 0
	v_mov_b32_e32 v3, 0
	;; [unrolled: 1-line block ×3, first 2 shown]
	s_waitcnt lgkmcnt(0)
	v_mfma_f32_16x16x16_bf16 a[4:7], v[6:7], v[12:13], a[0:3]
	v_mov_b32_e32 v5, 0
	v_mov_b32_e32 v8, 0
	;; [unrolled: 1-line block ×3, first 2 shown]
	v_mfma_f32_16x16x16_bf16 a[0:3], v[6:7], v[10:11], a[8:11]
	v_mov_b32_e32 v6, 0
	v_mov_b32_e32 v7, 0
	;; [unrolled: 1-line block ×10, first 2 shown]
	s_cbranch_vccnz .LBB283_38
; %bb.37:                               ;   in Loop: Header=BB283_32 Depth=1
	s_and_b32 s21, s21, 0xffff
	buffer_load_dwordx4 v[14:17], v79, s[20:23], 0 offen
	buffer_load_dwordx4 v[10:13], v79, s[20:23], s62 offen
	;; [unrolled: 1-line block ×4, first 2 shown]
	v_mov_b32_e32 v116, v83
	v_mov_b32_e32 v115, v84
.LBB283_38:                             ;   in Loop: Header=BB283_32 Depth=1
	ds_read_b64 v[26:27], v93 offset:32768
	ds_read2_b64 v[18:21], v99 offset1:16
	ds_read_b64 v[28:29], v95 offset:32768
	ds_read_b64 v[30:31], v97 offset:32768
	;; [unrolled: 1-line block ×3, first 2 shown]
	ds_read2st64_b64 v[22:25], v99 offset0:2 offset1:4
	v_add_u32_e32 v34, s64, v69
	s_waitcnt lgkmcnt(4)
	v_mfma_f32_16x16x16_bf16 a[4:7], v[26:27], v[18:19], a[4:7]
	v_ashrrev_i32_e32 v18, 31, v34
	v_mfma_f32_16x16x16_bf16 a[0:3], v[26:27], v[20:21], a[0:3]
	v_mul_lo_u32 v20, v34, s31
	v_mul_lo_u32 v21, v18, s30
	v_mad_u64_u32 v[18:19], s[20:21], v34, s30, 0
	v_add3_u32 v19, v19, v20, v21
	v_add_u32_e32 v20, 1, v34
	v_ashrrev_i32_e32 v21, 31, v20
	s_waitcnt lgkmcnt(0)
	v_mfma_f32_16x16x16_bf16 a[4:7], v[28:29], v[22:23], a[4:7]
	v_mul_lo_u32 v22, v21, s30
	v_mul_lo_u32 v23, v20, s31
	v_mad_u64_u32 v[20:21], s[20:21], v20, s30, 0
	v_add3_u32 v21, v21, v23, v22
	v_add_u32_e32 v22, 2, v34
	v_ashrrev_i32_e32 v23, 31, v22
	v_mul_lo_u32 v26, v23, s30
	v_mul_lo_u32 v27, v22, s31
	v_mad_u64_u32 v[22:23], s[20:21], v22, s30, 0
	v_add3_u32 v23, v23, v27, v26
	v_add_u32_e32 v26, 3, v34
	v_ashrrev_i32_e32 v27, 31, v26
	v_mul_lo_u32 v34, v27, s30
	v_mul_lo_u32 v35, v26, s31
	v_mad_u64_u32 v[26:27], s[20:21], v26, s30, 0
	s_add_u32 s20, s16, s64
	s_addc_u32 s21, s17, 0
	s_lshl_b64 s[20:21], s[20:21], 8
	v_lshl_add_u64 v[18:19], v[18:19], 2, s[44:45]
	v_add3_u32 v27, v27, v35, v34
	v_lshl_add_u64 v[34:35], v[58:59], 0, s[20:21]
	v_lshl_add_u64 v[20:21], v[20:21], 2, s[44:45]
	;; [unrolled: 1-line block ×3, first 2 shown]
	global_load_dword v36, v[18:19], off
	global_load_ushort v37, v[34:35], off offset:256
	global_load_ushort v38, v[34:35], off
	global_load_ushort v39, v[34:35], off offset:768
	v_lshl_add_u64 v[18:19], v[26:27], 2, s[44:45]
	v_lshl_add_u64 v[22:23], v[22:23], 2, s[44:45]
	global_load_dword v40, v[20:21], off
	global_load_dword v41, v[22:23], off
	;; [unrolled: 1-line block ×3, first 2 shown]
	ds_read2st64_b64 v[18:21], v100 offset0:2 offset1:4
	s_waitcnt lgkmcnt(0)
	v_mfma_f32_16x16x16_bf16 a[0:3], v[28:29], v[18:19], a[0:3]
	global_load_ushort v28, v[34:35], off offset:512
	global_load_ushort v43, v[34:35], off offset:800
	;; [unrolled: 1-line block ×4, first 2 shown]
	s_nop 0
	global_load_ushort v34, v[34:35], off offset:32
	s_and_b64 vcc, exec, s[0:1]
	v_mfma_f32_16x16x16_bf16 a[4:7], v[30:31], v[24:25], a[4:7]
	s_waitcnt vmcnt(10)
	v_lshlrev_b32_e32 v27, 16, v37
	v_mfma_f32_16x16x16_bf16 a[0:3], v[30:31], v[20:21], a[0:3]
	ds_read_b64 v[18:19], v99 offset:3072
	ds_read_b64 v[20:21], v100 offset:3072
	s_load_dword s2, s[2:3], 0x0
	s_waitcnt vmcnt(9)
	v_lshlrev_b32_e32 v26, 16, v38
	s_waitcnt lgkmcnt(0)
	v_mfma_f32_16x16x16_bf16 a[4:7], v[32:33], v[18:19], a[4:7]
	v_lshl_add_u64 v[18:19], v[60:61], 0, s[20:21]
	v_sub_f32_e32 v30, s2, v36
	s_waitcnt vmcnt(7)
	v_sub_f32_e32 v31, s2, v40
	v_mfma_f32_16x16x16_bf16 a[0:3], v[32:33], v[20:21], a[0:3]
	s_waitcnt vmcnt(6)
	v_sub_f32_e32 v32, s2, v41
	s_waitcnt vmcnt(5)
	v_sub_f32_e32 v33, s2, v42
	v_accvgpr_read_b32 v25, a5
	v_accvgpr_read_b32 v24, a4
	v_exp_f32_e32 v30, v30
	v_pk_add_f32 v[24:25], v[26:27], v[24:25] neg_lo:[0,1] neg_hi:[0,1]
	v_exp_f32_e32 v31, v31
	v_exp_f32_e32 v26, v32
	;; [unrolled: 1-line block ×3, first 2 shown]
	v_accvgpr_read_b32 v21, a7
	v_accvgpr_read_b32 v20, a6
	v_lshlrev_b32_e32 v29, 16, v39
	s_waitcnt vmcnt(4)
	v_lshlrev_b32_e32 v28, 16, v28
	v_lshl_add_u64 v[18:19], v[18:19], 0, v[56:57]
	v_pk_add_f32 v[20:21], v[28:29], v[20:21] neg_lo:[0,1] neg_hi:[0,1]
	global_store_short_d16_hi v[18:19], v24, off
	global_store_short_d16_hi v[18:19], v25, off offset:256
	global_store_short_d16_hi v[18:19], v20, off offset:512
	;; [unrolled: 1-line block ×3, first 2 shown]
	v_pk_mul_f32 v[24:25], v[30:31], v[24:25]
	v_pk_mul_f32 v[20:21], v[26:27], v[20:21]
	v_accvgpr_read_b32 v29, a1
	v_perm_b32 v24, v25, v24, s39
	v_perm_b32 v25, v21, v20, s39
	s_waitcnt vmcnt(5)
	v_lshlrev_b32_e32 v21, 16, v118
	s_waitcnt vmcnt(4)
	v_lshlrev_b32_e32 v20, 16, v34
	v_accvgpr_read_b32 v28, a0
	v_accvgpr_read_b32 v23, a3
	;; [unrolled: 1-line block ×3, first 2 shown]
	v_pk_add_f32 v[20:21], v[20:21], v[28:29] neg_lo:[0,1] neg_hi:[0,1]
	v_lshlrev_b32_e32 v29, 16, v43
	v_lshlrev_b32_e32 v28, 16, v44
	v_pk_add_f32 v[22:23], v[28:29], v[22:23] neg_lo:[0,1] neg_hi:[0,1]
	global_store_short_d16_hi v[18:19], v20, off offset:32
	global_store_short_d16_hi v[18:19], v21, off offset:288
	;; [unrolled: 1-line block ×4, first 2 shown]
	v_pk_mul_f32 v[18:19], v[30:31], v[20:21]
	v_pk_mul_f32 v[20:21], v[26:27], v[22:23]
	v_mov_b32_e32 v118, 0
	v_perm_b32 v21, v21, v20, s39
	v_perm_b32 v20, v19, v18, s39
	ds_write2_b64 v86, v[24:25], v[20:21] offset1:16
	v_mov_b32_e32 v18, 0
	v_mov_b32_e32 v19, 0
	;; [unrolled: 1-line block ×16, first 2 shown]
	s_cbranch_vccnz .LBB283_40
; %bb.39:                               ;   in Loop: Header=BB283_32 Depth=1
	s_and_b32 s25, s25, 0xffff
	s_mov_b32 s27, s23
	buffer_load_dwordx4 v[30:33], v104, s[24:27], 0 offen
	buffer_load_dwordx4 v[22:25], v104, s[24:27], s62 offen
	;; [unrolled: 1-line block ×4, first 2 shown]
	v_mov_b32_e32 v117, v78
	v_mov_b32_e32 v118, v77
.LBB283_40:                             ;   in Loop: Header=BB283_32 Depth=1
	s_waitcnt lgkmcnt(0)
	s_barrier
	ds_read_b64 v[38:39], v106
	ds_read_b64 v[124:125], v103
	;; [unrolled: 1-line block ×5, first 2 shown]
	ds_read_b64 v[138:139], v100 offset:3072
	ds_read2_b64 v[34:37], v99 offset0:16 offset1:128
	s_waitcnt lgkmcnt(5)
	v_mfma_f32_16x16x16_bf16 a[0:3], v[38:39], v[124:125], 0
	s_add_i32 s3, s58, s69
	s_mul_hi_i32 s21, s3, s13
	s_mul_i32 s3, s3, s13
	s_waitcnt lgkmcnt(0)
	v_mfma_f32_16x16x16_bf16 a[4:7], v[38:39], v[34:35], 0
	ds_read_b64 v[38:39], v111
	ds_read2st64_b64 v[40:43], v100 offset0:2 offset1:4
	s_add_u32 s20, s3, s51
	s_addc_u32 s21, s21, s55
	s_add_i32 s3, s37, s64
	s_lshl_b64 s[20:21], s[20:21], 15
	s_mul_hi_i32 s25, s3, s13
	s_mul_i32 s3, s3, s13
	s_add_u32 s24, s3, s51
	s_waitcnt lgkmcnt(1)
	v_mfma_f32_16x16x16_bf16 a[8:11], v[38:39], v[124:125], 0
	s_addc_u32 s25, s25, s55
	ds_read2st64_b64 v[120:123], v99 offset0:4 offset1:6
	s_lshl_b64 s[24:25], s[24:25], 9
	v_mfma_f32_16x16x16_bf16 a[0:3], v[126:127], v[36:37], a[0:3]
	s_add_u32 s24, s42, s24
	s_addc_u32 s25, s43, s25
	s_waitcnt lgkmcnt(1)
	v_mfma_f32_16x16x16_bf16 a[4:7], v[126:127], v[40:41], a[4:7]
	ds_read_b64 v[126:127], v112
	ds_read_b64 v[134:135], v113
	;; [unrolled: 1-line block ×3, first 2 shown]
	v_mfma_f32_16x16x16_bf16 a[12:15], v[38:39], v[34:35], 0
	s_waitcnt lgkmcnt(2)
	v_mfma_f32_16x16x16_bf16 a[8:11], v[126:127], v[36:37], a[8:11]
	global_load_dwordx4 v[34:37], v110, s[24:25]
	v_mfma_f32_16x16x16_bf16 a[12:15], v[126:127], v[40:41], a[12:15]
	global_load_dwordx4 v[38:41], v47, s[24:25]
	ds_read2st64_b64 v[124:127], v101 offset1:8
	s_waitcnt lgkmcnt(0)
	v_mov_b32_e32 v132, v124
	v_mfma_f32_16x16x16_bf16 a[0:3], v[128:129], v[120:121], a[0:3]
	v_mov_b32_e32 v133, v125
	v_mfma_f32_16x16x16_bf16 a[4:7], v[128:129], v[42:43], a[4:7]
	ds_read2st64_b64 v[128:131], v102 offset1:8
	v_mfma_f32_16x16x16_bf16 a[8:11], v[134:135], v[120:121], a[8:11]
	v_lshl_add_u64 v[120:121], v[62:63], 0, s[20:21]
	v_mfma_f32_16x16x16_bf16 a[16:19], v[134:135], v[42:43], a[12:15]
	v_add_co_u32_e32 v42, vcc, s35, v120
	s_waitcnt lgkmcnt(0)
	v_mov_b32_e32 v134, v128
	v_mfma_f32_16x16x16_bf16 a[0:3], v[136:137], v[122:123], a[0:3]
	v_mov_b32_e32 v135, v129
	v_mov_b32_e32 v128, v126
	;; [unrolled: 1-line block ×3, first 2 shown]
	v_mfma_f32_16x16x16_bf16 a[4:7], v[136:137], v[138:139], a[4:7]
	v_addc_co_u32_e32 v43, vcc, 0, v121, vcc
	global_store_dwordx4 v[42:43], v[128:131], off
	v_mfma_f32_16x16x16_bf16 a[12:15], v[140:141], v[122:123], a[8:11]
	s_and_b64 vcc, exec, s[0:1]
	global_store_dwordx4 v[120:121], v[132:135], off
	s_waitcnt vmcnt(3)
	v_mov_b32_e32 v44, v37
	v_mfma_f32_16x16x16_bf16 a[8:11], v[140:141], v[138:139], a[16:19]
	v_mov_b32_e32 v43, v36
	v_mov_b32_e32 v42, v35
	s_cbranch_vccnz .LBB283_42
; %bb.41:                               ;   in Loop: Header=BB283_32 Depth=1
	v_lshrrev_b32_e32 v35, 3, v117
	v_and_b32_e32 v35, 6, v35
	v_xor_b32_e32 v36, v35, v118
	v_lshlrev_b32_e32 v36, 2, v36
	v_and_b32_e32 v37, 8, v117
	v_xor_b32_e32 v117, 0x440, v36
	v_cmp_eq_u32_e32 vcc, 0, v37
	v_perm_b32 v37, v22, v18, s65
	s_nop 0
	v_cndmask_b32_e32 v36, v117, v36, vcc
	v_lshl_or_b32 v35, v35, 10, v36
	v_perm_b32 v36, v30, v26, s65
	s_barrier
	ds_write2st64_b32 v35, v36, v37 offset0:32 offset1:64
	v_xor_b32_e32 v36, 8, v35
	v_perm_b32 v26, v30, v26, s66
	v_perm_b32 v18, v22, v18, s66
	v_add_u32_e32 v22, 0x80, v36
	ds_write2st64_b32 v22, v26, v18 offset0:32 offset1:64
	v_xor_b32_e32 v18, 16, v35
	v_perm_b32 v22, v31, v27, s65
	v_perm_b32 v26, v23, v19, s65
	ds_write2st64_b32 v18, v22, v26 offset0:33 offset1:65
	v_xor_b32_e32 v18, 24, v35
	v_perm_b32 v22, v31, v27, s66
	v_perm_b32 v19, v23, v19, s66
	v_add_u32_e32 v18, 0x80, v18
	ds_write2st64_b32 v18, v22, v19 offset0:33 offset1:65
	v_xor_b32_e32 v18, 32, v35
	v_perm_b32 v19, v32, v28, s65
	v_perm_b32 v22, v24, v20, s65
	;; [unrolled: 9-line block ×3, first 2 shown]
	ds_write2st64_b32 v18, v19, v20 offset0:35 offset1:67
	v_xor_b32_e32 v18, 56, v35
	v_perm_b32 v19, v33, v29, s66
	v_perm_b32 v20, v25, v21, s66
	v_add_u32_e32 v18, 0x80, v18
	ds_write2st64_b32 v18, v19, v20 offset0:35 offset1:67
	ds_write_b64 v116, v[14:15] offset:24576
	v_xor_b32_e32 v14, 8, v116
	ds_write_b64 v14, v[16:17] offset:24576
	ds_write_b64 v116, v[10:11] offset:32768
	;; [unrolled: 1-line block ×4, first 2 shown]
	v_xor_b32_e32 v6, 8, v115
	ds_write_b64 v6, v[8:9] offset:24576
	ds_write_b64 v115, v[2:3] offset:32768
	;; [unrolled: 1-line block ×3, first 2 shown]
.LBB283_42:                             ;   in Loop: Header=BB283_32 Depth=1
	v_exp_f32_e32 v18, s2
	s_waitcnt vmcnt(2)
	v_exp_f32_e32 v20, v38
	v_exp_f32_e32 v21, v39
	;; [unrolled: 1-line block ×4, first 2 shown]
	v_accvgpr_read_b32 v13, a3
	v_accvgpr_read_b32 v11, a1
	;; [unrolled: 1-line block ×4, first 2 shown]
	v_pk_mul_f32 v[20:21], v[18:19], v[20:21] op_sel_hi:[0,1]
	v_accvgpr_read_b32 v12, a2
	v_accvgpr_read_b32 v7, a5
	;; [unrolled: 1-line block ×3, first 2 shown]
	v_pk_fma_f32 v[50:51], v[50:51], v[20:21], v[10:11]
	v_pk_mul_f32 v[10:11], v[18:19], v[22:23] op_sel_hi:[0,1]
	v_pk_fma_f32 v[54:55], v[54:55], v[10:11], v[12:13]
	v_fma_f32 v73, v73, v20, v6
	v_fma_f32 v71, v71, v21, v7
	v_exp_f32_e32 v6, v34
	v_exp_f32_e32 v7, v42
	v_exp_f32_e32 v12, v43
	v_exp_f32_e32 v13, v44
	v_accvgpr_read_b32 v8, a6
	v_accvgpr_read_b32 v17, a15
	;; [unrolled: 1-line block ×9, first 2 shown]
	v_fma_f32 v75, v75, v10, v8
	v_fmac_f32_e32 v9, v82, v11
	v_pk_mul_f32 v[6:7], v[18:19], v[6:7] op_sel_hi:[0,1]
	v_pk_mul_f32 v[10:11], v[18:19], v[12:13] op_sel_hi:[0,1]
	s_add_i32 s64, s64, 64
	v_pk_fma_f32 v[48:49], v[48:49], v[6:7], v[14:15]
	v_pk_fma_f32 v[52:53], v[52:53], v[10:11], v[16:17]
	v_fma_f32 v74, v74, v6, v2
	v_fma_f32 v72, v72, v7, v3
	;; [unrolled: 1-line block ×3, first 2 shown]
	s_cmp_eq_u32 s54, s68
	v_fmac_f32_e32 v5, v80, v11
	s_cbranch_scc1 .LBB283_4
; %bb.43:                               ;   in Loop: Header=BB283_32 Depth=1
	s_mov_b32 s69, s68
	v_mov_b32_e32 v82, v9
	v_mov_b32_e32 v80, v5
	s_branch .LBB283_32
.LBB283_44:
                                        ; implicit-def: $vgpr5
                                        ; implicit-def: $vgpr9
                                        ; implicit-def: $vgpr13
                                        ; implicit-def: $vgpr17
	s_cbranch_execz .LBB283_46
; %bb.45:
	s_waitcnt vmcnt(0)
	v_mad_u64_u32 v[2:3], s[0:1], v20, s15, v[18:19]
	v_lshlrev_b32_e32 v20, 1, v2
	s_lshl_b32 s2, s15, 7
	s_and_b32 s1, s5, 0xffff
	s_mov_b32 s3, 0x20000
	s_mov_b32 s0, s4
	v_add_lshl_u32 v21, v2, s15, 1
	s_movk_i32 s13, 0x80
	buffer_load_dwordx4 v[2:5], v20, s[0:3], 0 offen
	buffer_load_dwordx4 v[10:13], v20, s[0:3], s13 offen
	buffer_load_dwordx4 v[6:9], v21, s[0:3], 0 offen
	buffer_load_dwordx4 v[14:17], v21, s[0:3], s13 offen
.LBB283_46:
	v_lshrrev_b32_e32 v30, 2, v45
	s_cbranch_execnz .LBB283_59
.LBB283_47:
	s_and_b64 vcc, exec, s[6:7]
	s_cbranch_vccz .LBB283_57
; %bb.48:
	s_waitcnt vmcnt(0)
	v_lshlrev_b32_e32 v7, 1, v23
	v_cmp_gt_i32_e32 vcc, s27, v7
	v_mov_b32_e32 v6, 0
	v_lshlrev_b32_e32 v14, 9, v23
	v_mov_b32_e32 v2, 0
	v_mov_b32_e32 v3, 0
	;; [unrolled: 1-line block ×4, first 2 shown]
	s_and_saveexec_b64 s[0:1], vcc
	s_cbranch_execz .LBB283_50
; %bb.49:
	v_mov_b32_e32 v15, 0
	v_lshl_add_u64 v[2:3], s[4:5], 0, v[14:15]
	v_lshlrev_b32_e32 v4, 1, v18
	v_mov_b32_e32 v5, v15
	v_lshl_add_u64 v[2:3], v[2:3], 0, v[4:5]
	global_load_dwordx4 v[2:5], v[2:3], off
.LBB283_50:
	s_or_b64 exec, exec, s[0:1]
	v_or_b32_e32 v7, 1, v7
	v_cmp_gt_i32_e64 s[0:1], s27, v7
	v_lshlrev_b32_e32 v20, 8, v7
	v_mov_b32_e32 v7, 0
	v_mov_b32_e32 v8, 0
	v_mov_b32_e32 v9, 0
	s_and_saveexec_b64 s[2:3], s[0:1]
	s_cbranch_execz .LBB283_52
; %bb.51:
	v_mov_b32_e32 v21, 0
	v_lshl_add_u64 v[6:7], s[4:5], 0, v[20:21]
	v_lshlrev_b32_e32 v8, 1, v18
	v_mov_b32_e32 v9, v21
	v_lshl_add_u64 v[6:7], v[6:7], 0, v[8:9]
	global_load_dwordx4 v[6:9], v[6:7], off
.LBB283_52:
	s_or_b64 exec, exec, s[2:3]
	v_mov_b32_e32 v17, 0
	v_mov_b32_e32 v10, 0
	v_mov_b32_e32 v11, 0
	v_mov_b32_e32 v12, 0
	v_mov_b32_e32 v13, 0
	s_and_saveexec_b64 s[2:3], vcc
	s_cbranch_execz .LBB283_54
; %bb.53:
	v_mov_b32_e32 v15, 0
	v_lshl_add_u64 v[10:11], s[4:5], 0, v[14:15]
	v_lshlrev_b32_e32 v14, 1, v18
	v_lshl_add_u64 v[10:11], v[10:11], 0, v[14:15]
	global_load_dwordx4 v[10:13], v[10:11], off offset:128
.LBB283_54:
	s_or_b64 exec, exec, s[2:3]
	v_mov_b32_e32 v16, 0
	v_mov_b32_e32 v15, 0
	;; [unrolled: 1-line block ×3, first 2 shown]
	s_and_saveexec_b64 s[2:3], s[0:1]
	s_cbranch_execz .LBB283_56
; %bb.55:
	v_mov_b32_e32 v21, 0
	v_lshl_add_u64 v[14:15], s[4:5], 0, v[20:21]
	v_lshlrev_b32_e32 v20, 1, v18
	v_lshl_add_u64 v[14:15], v[14:15], 0, v[20:21]
	global_load_dwordx4 v[14:17], v[14:15], off offset:128
.LBB283_56:
	s_or_b64 exec, exec, s[2:3]
	s_branch .LBB283_59
.LBB283_57:
                                        ; implicit-def: $vgpr5
                                        ; implicit-def: $vgpr9
                                        ; implicit-def: $vgpr13
                                        ; implicit-def: $vgpr17
	s_cbranch_execz .LBB283_59
; %bb.58:
	s_waitcnt vmcnt(0)
	v_lshlrev_b32_e32 v2, 1, v18
	v_lshl_or_b32 v18, v23, 9, v2
	s_and_b32 s5, s5, 0xffff
	s_mov_b32 s7, 0x20000
	s_movk_i32 s6, 0x4000
	s_movk_i32 s0, 0x80
	buffer_load_dwordx4 v[2:5], v18, s[4:7], 0 offen
	buffer_load_dwordx4 v[6:9], v18, s[4:7], 0 offen offset:256
	buffer_load_dwordx4 v[10:13], v18, s[4:7], s0 offen
	buffer_load_dwordx4 v[14:17], v18, s[4:7], s0 offen offset:256
.LBB283_59:
	ds_read_b64 v[20:21], v25 offset:32768
	v_add_u32_e32 v18, 0xb000, v24
	ds_read2_b64 v[32:35], v18 offset1:16
	ds_read_b64 v[40:41], v26 offset:32768
	ds_read_b64 v[26:27], v27 offset:32768
	;; [unrolled: 1-line block ×3, first 2 shown]
	v_and_b32_e32 v18, 6, v0
	v_xor_b32_e32 v23, v23, v18
	v_lshlrev_b32_e32 v23, 2, v23
	v_and_b32_e32 v0, 1, v0
	v_xor_b32_e32 v28, 0x440, v23
	v_cmp_eq_u32_e32 vcc, 0, v0
	s_waitcnt lgkmcnt(3)
	v_mfma_f32_16x16x16_bf16 a[0:3], v[20:21], v[32:33], a[0:3]
	s_mov_b32 s0, 0x1000504
	v_cndmask_b32_e32 v0, v28, v23, vcc
	v_lshl_or_b32 v0, v18, 10, v0
	v_mfma_f32_16x16x16_bf16 a[4:7], v[20:21], v[34:35], a[4:7]
	ds_read2st64_b64 v[32:35], v24 offset0:90 offset1:92
	ds_read2st64_b64 v[36:39], v29 offset0:90 offset1:92
	ds_read_b64 v[20:21], v24 offset:48128
	ds_read_b64 v[24:25], v29 offset:48128
	s_waitcnt vmcnt(0)
	v_perm_b32 v18, v2, v6, s0
	s_waitcnt lgkmcnt(3)
	v_mfma_f32_16x16x16_bf16 a[0:3], v[40:41], v[32:33], a[0:3]
	s_mov_b32 s1, 0x3020706
	v_perm_b32 v2, v2, v6, s1
	v_perm_b32 v6, v10, v14, s1
	s_waitcnt lgkmcnt(2)
	v_mfma_f32_16x16x16_bf16 a[4:7], v[40:41], v[36:37], a[4:7]
	v_mfma_f32_16x16x16_bf16 a[0:3], v[26:27], v[34:35], a[0:3]
	;; [unrolled: 1-line block ×3, first 2 shown]
	s_waitcnt lgkmcnt(1)
	v_mfma_f32_16x16x16_bf16 a[4:7], v[42:43], v[20:21], a[0:3]
	v_perm_b32 v20, v10, v14, s0
	ds_write2st64_b32 v0, v18, v20 offset0:32 offset1:64
	v_xor_b32_e32 v18, 8, v0
	v_add_u32_e32 v10, 0x80, v18
	ds_write2st64_b32 v10, v2, v6 offset0:32 offset1:64
	v_xor_b32_e32 v2, 16, v0
	v_perm_b32 v6, v3, v7, s0
	v_perm_b32 v10, v11, v15, s0
	ds_write2st64_b32 v2, v6, v10 offset0:33 offset1:65
	v_xor_b32_e32 v2, 24, v0
	v_perm_b32 v3, v3, v7, s1
	v_perm_b32 v6, v11, v15, s1
	v_add_u32_e32 v2, 0x80, v2
	ds_write2st64_b32 v2, v3, v6 offset0:33 offset1:65
	v_xor_b32_e32 v2, 32, v0
	v_perm_b32 v3, v4, v8, s0
	v_perm_b32 v6, v12, v16, s0
	s_waitcnt lgkmcnt(4)
	v_mfma_f32_16x16x16_bf16 a[0:3], v[42:43], v[24:25], a[8:11]
	ds_write2st64_b32 v2, v3, v6 offset0:34 offset1:66
	v_xor_b32_e32 v2, 40, v0
	v_perm_b32 v3, v4, v8, s1
	v_perm_b32 v4, v12, v16, s1
	v_add_u32_e32 v2, 0x80, v2
	ds_write2st64_b32 v2, v3, v4 offset0:34 offset1:66
	v_xor_b32_e32 v2, 48, v0
	v_perm_b32 v3, v5, v9, s0
	v_perm_b32 v4, v13, v17, s0
	v_xor_b32_e32 v0, 56, v0
	v_and_or_b32 v21, v30, 12, v1
	ds_write2st64_b32 v2, v3, v4 offset0:35 offset1:67
	v_perm_b32 v2, v5, v9, s1
	v_perm_b32 v3, v13, v17, s1
	v_add_u32_e32 v0, 0x80, v0
	v_cmp_gt_i32_e32 vcc, s27, v21
	v_mov_b32_e32 v16, 0
	v_mov_b32_e32 v18, 0
	ds_write2st64_b32 v0, v2, v3 offset0:35 offset1:67
	s_and_saveexec_b64 s[0:1], vcc
	s_cbranch_execz .LBB283_61
; %bb.60:
	v_add_u32_e32 v0, s26, v21
	v_ashrrev_i32_e32 v1, 31, v0
	v_mul_lo_u32 v2, v1, s30
	v_mul_lo_u32 v3, v0, s31
	v_mad_u64_u32 v[0:1], s[2:3], v0, s30, 0
	v_add3_u32 v1, v1, v3, v2
	v_lshl_add_u64 v[0:1], v[0:1], 2, s[10:11]
	global_load_dword v0, v[0:1], off
	s_waitcnt vmcnt(0)
	v_sub_f32_e32 v0, s12, v0
	v_exp_f32_e32 v18, v0
.LBB283_61:
	s_or_b64 exec, exec, s[0:1]
	v_or_b32_e32 v10, 1, v21
	v_cmp_gt_i32_e64 s[2:3], s27, v10
	s_and_saveexec_b64 s[0:1], s[2:3]
	s_cbranch_execz .LBB283_63
; %bb.62:
	v_add_u32_e32 v0, s26, v10
	v_ashrrev_i32_e32 v1, 31, v0
	v_mul_lo_u32 v2, v1, s30
	v_mul_lo_u32 v3, v0, s31
	v_mad_u64_u32 v[0:1], s[4:5], v0, s30, 0
	v_add3_u32 v1, v1, v3, v2
	v_lshl_add_u64 v[0:1], v[0:1], 2, s[10:11]
	global_load_dword v0, v[0:1], off
	s_waitcnt vmcnt(0)
	v_sub_f32_e32 v0, s12, v0
	v_exp_f32_e32 v16, v0
.LBB283_63:
	s_or_b64 exec, exec, s[0:1]
	v_or_b32_e32 v12, 2, v21
	v_cmp_gt_i32_e64 s[0:1], s27, v12
	v_mov_b32_e32 v17, 0
	v_mov_b32_e32 v20, 0
	s_and_saveexec_b64 s[4:5], s[0:1]
	s_cbranch_execz .LBB283_65
; %bb.64:
	v_add_u32_e32 v0, s26, v12
	v_ashrrev_i32_e32 v1, 31, v0
	v_mul_lo_u32 v2, v1, s30
	v_mul_lo_u32 v3, v0, s31
	v_mad_u64_u32 v[0:1], s[6:7], v0, s30, 0
	v_add3_u32 v1, v1, v3, v2
	v_lshl_add_u64 v[0:1], v[0:1], 2, s[10:11]
	global_load_dword v0, v[0:1], off
	s_waitcnt vmcnt(0)
	v_sub_f32_e32 v0, s12, v0
	v_exp_f32_e32 v20, v0
.LBB283_65:
	s_or_b64 exec, exec, s[4:5]
	v_or_b32_e32 v14, 3, v21
	v_cmp_gt_i32_e64 s[4:5], s27, v14
	s_and_saveexec_b64 s[6:7], s[4:5]
	s_cbranch_execz .LBB283_67
; %bb.66:
	v_add_u32_e32 v0, s26, v14
	v_ashrrev_i32_e32 v1, 31, v0
	v_mul_lo_u32 v2, v1, s30
	v_mul_lo_u32 v3, v0, s31
	v_mad_u64_u32 v[0:1], s[14:15], v0, s30, 0
	v_add3_u32 v1, v1, v3, v2
	v_lshl_add_u64 v[0:1], v[0:1], 2, s[10:11]
	global_load_dword v0, v[0:1], off
	s_waitcnt vmcnt(0)
	v_sub_f32_e32 v0, s12, v0
	v_exp_f32_e32 v17, v0
.LBB283_67:
	s_or_b64 exec, exec, s[6:7]
	s_add_u32 s6, s8, s20
	s_addc_u32 s7, s9, s21
	s_add_u32 s8, s28, s20
	v_ashrrev_i32_e32 v47, 31, v46
	v_accvgpr_read_b32 v0, a4
	s_addc_u32 s9, s29, s21
	v_lshlrev_b64 v[4:5], 1, v[46:47]
	v_accvgpr_read_b32 v1, a5
	v_accvgpr_read_b32 v2, a6
	;; [unrolled: 1-line block ×3, first 2 shown]
	v_lshl_add_u64 v[6:7], s[6:7], 0, v[4:5]
	v_lshl_add_u64 v[4:5], s[8:9], 0, v[4:5]
	v_mov_b32_e32 v11, 0
	v_lshlrev_b32_e32 v8, 8, v21
	v_mov_b32_e32 v9, 0
	s_and_saveexec_b64 s[6:7], vcc
	s_cbranch_execz .LBB283_69
; %bb.68:
	v_mov_b32_e32 v9, 0
	v_lshl_add_u64 v[24:25], v[6:7], 0, v[8:9]
	global_load_ushort v13, v[24:25], off
	v_lshl_add_u64 v[24:25], v[4:5], 0, v[8:9]
	s_waitcnt vmcnt(0)
	v_lshlrev_b32_e32 v9, 16, v13
	v_sub_f32_e32 v0, v9, v0
	global_store_short_d16_hi v[24:25], v0, off
	v_mul_f32_e32 v0, v18, v0
	v_lshrrev_b32_e32 v9, 16, v0
.LBB283_69:
	s_or_b64 exec, exec, s[6:7]
	v_lshlrev_b32_e32 v10, 8, v10
	s_and_saveexec_b64 s[6:7], s[2:3]
	s_cbranch_execz .LBB283_71
; %bb.70:
	v_mov_b32_e32 v11, 0
	v_lshl_add_u64 v[24:25], v[6:7], 0, v[10:11]
	global_load_ushort v0, v[24:25], off
	v_lshl_add_u64 v[24:25], v[4:5], 0, v[10:11]
	s_waitcnt vmcnt(0)
	v_lshlrev_b32_e32 v0, 16, v0
	v_sub_f32_e32 v0, v0, v1
	global_store_short_d16_hi v[24:25], v0, off
	v_mul_f32_e32 v0, v16, v0
	v_lshrrev_b32_e32 v11, 16, v0
.LBB283_71:
	s_or_b64 exec, exec, s[6:7]
	v_mov_b32_e32 v15, 0
	v_lshlrev_b32_e32 v12, 8, v12
	v_mov_b32_e32 v13, 0
	s_and_saveexec_b64 s[6:7], s[0:1]
	s_cbranch_execz .LBB283_73
; %bb.72:
	v_mov_b32_e32 v13, 0
	v_lshl_add_u64 v[0:1], v[6:7], 0, v[12:13]
	global_load_ushort v23, v[0:1], off
	v_lshl_add_u64 v[0:1], v[4:5], 0, v[12:13]
	s_waitcnt vmcnt(0)
	v_lshlrev_b32_e32 v13, 16, v23
	v_sub_f32_e32 v2, v13, v2
	global_store_short_d16_hi v[0:1], v2, off
	v_mul_f32_e32 v0, v20, v2
	v_lshrrev_b32_e32 v13, 16, v0
.LBB283_73:
	s_or_b64 exec, exec, s[6:7]
	v_lshlrev_b32_e32 v14, 8, v14
	s_and_saveexec_b64 s[6:7], s[4:5]
	s_cbranch_execz .LBB283_75
; %bb.74:
	v_mov_b32_e32 v15, 0
	v_lshl_add_u64 v[0:1], v[6:7], 0, v[14:15]
	global_load_ushort v2, v[0:1], off
	v_lshl_add_u64 v[0:1], v[4:5], 0, v[14:15]
	s_waitcnt vmcnt(0)
	v_lshlrev_b32_e32 v2, 16, v2
	v_sub_f32_e32 v2, v2, v3
	global_store_short_d16_hi v[0:1], v2, off
	v_mul_f32_e32 v0, v17, v2
	v_lshrrev_b32_e32 v15, 16, v0
.LBB283_75:
	s_or_b64 exec, exec, s[6:7]
	v_lshlrev_b32_e32 v21, 5, v21
	s_mov_b32 s6, 0x5040100
	v_perm_b32 v24, v11, v9, s6
	v_or_b32_e32 v9, v21, v22
	v_accvgpr_read_b32 v0, a0
	v_perm_b32 v25, v15, v13, s6
	v_lshlrev_b32_e32 v9, 1, v9
	v_accvgpr_read_b32 v1, a1
	v_accvgpr_read_b32 v2, a2
	v_accvgpr_read_b32 v3, a3
	ds_write_b64 v9, v[24:25] offset:45056
	v_mov_b32_e32 v11, 0
	v_mov_b32_e32 v9, 0
	s_and_saveexec_b64 s[6:7], vcc
	s_cbranch_execz .LBB283_77
; %bb.76:
	v_mov_b32_e32 v9, 0
	v_lshl_add_u64 v[22:23], v[6:7], 0, v[8:9]
	global_load_ushort v13, v[22:23], off offset:32
	v_lshl_add_u64 v[8:9], v[4:5], 0, v[8:9]
	s_waitcnt vmcnt(0)
	v_lshlrev_b32_e32 v13, 16, v13
	v_sub_f32_e32 v0, v13, v0
	global_store_short_d16_hi v[8:9], v0, off offset:32
	v_mul_f32_e32 v0, v18, v0
	v_lshrrev_b32_e32 v9, 16, v0
.LBB283_77:
	s_or_b64 exec, exec, s[6:7]
	s_and_saveexec_b64 s[6:7], s[2:3]
	s_cbranch_execz .LBB283_79
; %bb.78:
	v_mov_b32_e32 v11, 0
	v_lshl_add_u64 v[22:23], v[6:7], 0, v[10:11]
	global_load_ushort v0, v[22:23], off offset:32
	v_lshl_add_u64 v[10:11], v[4:5], 0, v[10:11]
	s_waitcnt vmcnt(0)
	v_lshlrev_b32_e32 v0, 16, v0
	v_sub_f32_e32 v0, v0, v1
	global_store_short_d16_hi v[10:11], v0, off offset:32
	v_mul_f32_e32 v0, v16, v0
	v_lshrrev_b32_e32 v11, 16, v0
.LBB283_79:
	s_or_b64 exec, exec, s[6:7]
	v_mov_b32_e32 v0, 0
	v_mov_b32_e32 v1, 0
	s_and_saveexec_b64 s[2:3], s[0:1]
	s_cbranch_execz .LBB283_81
; %bb.80:
	v_mov_b32_e32 v13, 0
	v_lshl_add_u64 v[22:23], v[6:7], 0, v[12:13]
	global_load_ushort v1, v[22:23], off offset:32
	v_lshl_add_u64 v[12:13], v[4:5], 0, v[12:13]
	s_waitcnt vmcnt(0)
	v_lshlrev_b32_e32 v1, 16, v1
	v_sub_f32_e32 v1, v1, v2
	global_store_short_d16_hi v[12:13], v1, off offset:32
	v_mul_f32_e32 v1, v20, v1
	v_lshrrev_b32_e32 v1, 16, v1
.LBB283_81:
	s_or_b64 exec, exec, s[2:3]
	s_and_saveexec_b64 s[0:1], s[4:5]
	s_cbranch_execz .LBB283_83
; %bb.82:
	v_mov_b32_e32 v15, 0
	v_lshl_add_u64 v[6:7], v[6:7], 0, v[14:15]
	global_load_ushort v0, v[6:7], off offset:32
	v_lshl_add_u64 v[4:5], v[4:5], 0, v[14:15]
	s_waitcnt vmcnt(0)
	v_lshlrev_b32_e32 v0, 16, v0
	v_sub_f32_e32 v0, v0, v3
	global_store_short_d16_hi v[4:5], v0, off offset:32
	v_mul_f32_e32 v0, v17, v0
	v_lshrrev_b32_e32 v0, 16, v0
.LBB283_83:
	s_or_b64 exec, exec, s[0:1]
	s_mov_b32 s0, 0x5040100
	v_or_b32_e32 v2, v21, v19
	v_perm_b32 v1, v0, v1, s0
	v_perm_b32 v0, v11, v9, s0
	v_lshlrev_b32_e32 v2, 1, v2
	ds_write_b64 v2, v[0:1] offset:45056
	s_waitcnt lgkmcnt(0)
	s_barrier
.LBB283_84:
	s_endpgm
	.section	.rodata,"a",@progbits
	.p2align	6, 0x0
	.amdhsa_kernel _ZN12_GLOBAL__N_139chunk_gated_delta_rule_fwd_h_hip_kernelILi32ELb1ELb0ELb1ELb0ELb1ELb1ELb0ELb1EEEvPK12hip_bfloat16S3_S3_PKfS5_PKvPS1_S8_PvPKiSB_iiiiilll
		.amdhsa_group_segment_fixed_size 49152
		.amdhsa_private_segment_fixed_size 0
		.amdhsa_kernarg_size 136
		.amdhsa_user_sgpr_count 2
		.amdhsa_user_sgpr_dispatch_ptr 0
		.amdhsa_user_sgpr_queue_ptr 0
		.amdhsa_user_sgpr_kernarg_segment_ptr 1
		.amdhsa_user_sgpr_dispatch_id 0
		.amdhsa_user_sgpr_kernarg_preload_length 0
		.amdhsa_user_sgpr_kernarg_preload_offset 0
		.amdhsa_user_sgpr_private_segment_size 0
		.amdhsa_uses_dynamic_stack 0
		.amdhsa_enable_private_segment 0
		.amdhsa_system_sgpr_workgroup_id_x 1
		.amdhsa_system_sgpr_workgroup_id_y 1
		.amdhsa_system_sgpr_workgroup_id_z 0
		.amdhsa_system_sgpr_workgroup_info 0
		.amdhsa_system_vgpr_workitem_id 0
		.amdhsa_next_free_vgpr 164
		.amdhsa_next_free_sgpr 70
		.amdhsa_accum_offset 144
		.amdhsa_reserve_vcc 1
		.amdhsa_float_round_mode_32 0
		.amdhsa_float_round_mode_16_64 0
		.amdhsa_float_denorm_mode_32 3
		.amdhsa_float_denorm_mode_16_64 3
		.amdhsa_dx10_clamp 1
		.amdhsa_ieee_mode 1
		.amdhsa_fp16_overflow 0
		.amdhsa_tg_split 0
		.amdhsa_exception_fp_ieee_invalid_op 0
		.amdhsa_exception_fp_denorm_src 0
		.amdhsa_exception_fp_ieee_div_zero 0
		.amdhsa_exception_fp_ieee_overflow 0
		.amdhsa_exception_fp_ieee_underflow 0
		.amdhsa_exception_fp_ieee_inexact 0
		.amdhsa_exception_int_div_zero 0
	.end_amdhsa_kernel
	.section	.text._ZN12_GLOBAL__N_139chunk_gated_delta_rule_fwd_h_hip_kernelILi32ELb1ELb0ELb1ELb0ELb1ELb1ELb0ELb1EEEvPK12hip_bfloat16S3_S3_PKfS5_PKvPS1_S8_PvPKiSB_iiiiilll,"axG",@progbits,_ZN12_GLOBAL__N_139chunk_gated_delta_rule_fwd_h_hip_kernelILi32ELb1ELb0ELb1ELb0ELb1ELb1ELb0ELb1EEEvPK12hip_bfloat16S3_S3_PKfS5_PKvPS1_S8_PvPKiSB_iiiiilll,comdat
.Lfunc_end283:
	.size	_ZN12_GLOBAL__N_139chunk_gated_delta_rule_fwd_h_hip_kernelILi32ELb1ELb0ELb1ELb0ELb1ELb1ELb0ELb1EEEvPK12hip_bfloat16S3_S3_PKfS5_PKvPS1_S8_PvPKiSB_iiiiilll, .Lfunc_end283-_ZN12_GLOBAL__N_139chunk_gated_delta_rule_fwd_h_hip_kernelILi32ELb1ELb0ELb1ELb0ELb1ELb1ELb0ELb1EEEvPK12hip_bfloat16S3_S3_PKfS5_PKvPS1_S8_PvPKiSB_iiiiilll
                                        ; -- End function
	.section	.AMDGPU.csdata,"",@progbits
; Kernel info:
; codeLenInByte = 8908
; NumSgprs: 76
; NumVgprs: 142
; NumAgprs: 20
; TotalNumVgprs: 164
; ScratchSize: 0
; MemoryBound: 0
; FloatMode: 240
; IeeeMode: 1
; LDSByteSize: 49152 bytes/workgroup (compile time only)
; SGPRBlocks: 9
; VGPRBlocks: 20
; NumSGPRsForWavesPerEU: 76
; NumVGPRsForWavesPerEU: 164
; AccumOffset: 144
; Occupancy: 1
; WaveLimiterHint : 1
; COMPUTE_PGM_RSRC2:SCRATCH_EN: 0
; COMPUTE_PGM_RSRC2:USER_SGPR: 2
; COMPUTE_PGM_RSRC2:TRAP_HANDLER: 0
; COMPUTE_PGM_RSRC2:TGID_X_EN: 1
; COMPUTE_PGM_RSRC2:TGID_Y_EN: 1
; COMPUTE_PGM_RSRC2:TGID_Z_EN: 0
; COMPUTE_PGM_RSRC2:TIDIG_COMP_CNT: 0
; COMPUTE_PGM_RSRC3_GFX90A:ACCUM_OFFSET: 35
; COMPUTE_PGM_RSRC3_GFX90A:TG_SPLIT: 0
	.section	.text._ZN12_GLOBAL__N_139chunk_gated_delta_rule_fwd_h_hip_kernelILi32ELb1ELb0ELb0ELb0ELb1ELb1ELb0ELb1EEEvPK12hip_bfloat16S3_S3_PKfS5_PKvPS1_S8_PvPKiSB_iiiiilll,"axG",@progbits,_ZN12_GLOBAL__N_139chunk_gated_delta_rule_fwd_h_hip_kernelILi32ELb1ELb0ELb0ELb0ELb1ELb1ELb0ELb1EEEvPK12hip_bfloat16S3_S3_PKfS5_PKvPS1_S8_PvPKiSB_iiiiilll,comdat
	.globl	_ZN12_GLOBAL__N_139chunk_gated_delta_rule_fwd_h_hip_kernelILi32ELb1ELb0ELb0ELb0ELb1ELb1ELb0ELb1EEEvPK12hip_bfloat16S3_S3_PKfS5_PKvPS1_S8_PvPKiSB_iiiiilll ; -- Begin function _ZN12_GLOBAL__N_139chunk_gated_delta_rule_fwd_h_hip_kernelILi32ELb1ELb0ELb0ELb0ELb1ELb1ELb0ELb1EEEvPK12hip_bfloat16S3_S3_PKfS5_PKvPS1_S8_PvPKiSB_iiiiilll
	.p2align	8
	.type	_ZN12_GLOBAL__N_139chunk_gated_delta_rule_fwd_h_hip_kernelILi32ELb1ELb0ELb0ELb0ELb1ELb1ELb0ELb1EEEvPK12hip_bfloat16S3_S3_PKfS5_PKvPS1_S8_PvPKiSB_iiiiilll,@function
_ZN12_GLOBAL__N_139chunk_gated_delta_rule_fwd_h_hip_kernelILi32ELb1ELb0ELb0ELb0ELb1ELb1ELb0ELb1EEEvPK12hip_bfloat16S3_S3_PKfS5_PKvPS1_S8_PvPKiSB_iiiiilll: ; @_ZN12_GLOBAL__N_139chunk_gated_delta_rule_fwd_h_hip_kernelILi32ELb1ELb0ELb0ELb0ELb1ELb1ELb0ELb1EEEvPK12hip_bfloat16S3_S3_PKfS5_PKvPS1_S8_PvPKiSB_iiiiilll
; %bb.0:
	s_load_dwordx4 s[12:15], s[0:1], 0x5c
	s_load_dwordx4 s[16:19], s[0:1], 0x28
	s_abs_i32 s6, s3
	s_ashr_i32 s5, s3, 31
	v_and_b32_e32 v64, 15, v0
	s_waitcnt lgkmcnt(0)
	s_abs_i32 s4, s13
	v_cvt_f32_u32_e32 v1, s4
	s_sub_i32 s8, 0, s4
	s_ashr_i32 s7, s13, 31
	s_xor_b32 s5, s5, s7
	v_rcp_iflag_f32_e32 v1, v1
	v_lshrrev_b32_e32 v62, 6, v0
	v_bfe_u32 v63, v0, 4, 2
	v_mov_b32_e32 v7, 0
	v_mul_f32_e32 v1, 0x4f7ffffe, v1
	v_cvt_u32_f32_e32 v1, v1
	v_and_b32_e32 v45, 63, v0
	v_lshlrev_b32_e32 v65, 3, v0
	v_lshrrev_b32_e32 v66, 3, v45
	v_readfirstlane_b32 s9, v1
	s_mul_i32 s8, s8, s9
	s_mul_hi_u32 s8, s9, s8
	s_add_i32 s9, s9, s8
	s_mul_hi_u32 s8, s6, s9
	s_mul_i32 s9, s8, s4
	s_sub_i32 s6, s6, s9
	s_add_i32 s10, s8, 1
	s_sub_i32 s9, s6, s4
	s_cmp_ge_u32 s6, s4
	s_cselect_b32 s8, s10, s8
	s_cselect_b32 s6, s9, s6
	s_add_i32 s9, s8, 1
	s_cmp_ge_u32 s6, s4
	s_cselect_b32 s6, s9, s8
	s_xor_b32 s6, s6, s5
	s_sub_i32 s51, s6, s5
	s_mul_i32 s6, s51, s13
	s_sub_i32 s49, s3, s6
	s_abs_i32 s3, s14
	v_cvt_f32_u32_e32 v1, s3
	s_add_i32 s8, s12, 63
	s_ashr_i32 s9, s8, 31
	s_lshr_b32 s5, s9, 26
	v_rcp_iflag_f32_e32 v1, v1
	s_ashr_i32 s50, s12, 31
	s_add_i32 s8, s8, s5
	s_lshr_b32 s5, s50, 26
	v_mul_f32_e32 v1, 0x4f7ffffe, v1
	v_cvt_u32_f32_e32 v1, v1
	s_add_i32 s5, s12, s5
	s_ashr_i32 s54, s14, 31
	s_ashr_i32 s52, s5, 6
	s_lshl_b32 s36, s2, 5
	s_xor_b32 s2, s7, s54
	s_sub_i32 s5, 0, s3
	v_readfirstlane_b32 s7, v1
	s_mul_i32 s5, s5, s7
	s_mul_hi_u32 s5, s7, s5
	s_add_i32 s7, s7, s5
	s_mul_hi_u32 s5, s4, s7
	s_mul_i32 s7, s5, s3
	s_sub_i32 s4, s4, s7
	s_ashr_i32 s25, s8, 6
	s_add_i32 s7, s5, 1
	s_sub_i32 s8, s4, s3
	s_cmp_ge_u32 s4, s3
	s_cselect_b32 s5, s7, s5
	s_cselect_b32 s4, s8, s4
	s_add_i32 s7, s5, 1
	s_cmp_ge_u32 s4, s3
	s_cselect_b32 s3, s7, s5
	s_xor_b32 s3, s3, s2
	s_sub_i32 s2, s3, s2
	s_abs_i32 s3, s2
	v_cvt_f32_u32_e32 v1, s3
	s_sub_i32 s5, 0, s3
	s_abs_i32 s4, s49
	s_xor_b32 s2, s49, s2
	v_rcp_iflag_f32_e32 v1, v1
	s_ashr_i32 s2, s2, 31
	v_or_b32_e32 v46, s36, v64
	v_lshlrev_b32_e32 v2, 7, v46
	v_mul_f32_e32 v1, 0x4f7ffffe, v1
	v_cvt_u32_f32_e32 v1, v1
	v_ashrrev_i32_e32 v3, 31, v2
	s_mul_i32 s56, s51, s25
	v_readfirstlane_b32 s7, v1
	s_mul_i32 s5, s5, s7
	s_mul_hi_u32 s5, s7, s5
	s_add_i32 s7, s7, s5
	s_mul_hi_u32 s5, s4, s7
	s_mul_i32 s7, s5, s3
	s_sub_i32 s4, s4, s7
	s_add_i32 s7, s5, 1
	s_sub_i32 s8, s4, s3
	s_cmp_ge_u32 s4, s3
	s_cselect_b32 s5, s7, s5
	s_cselect_b32 s4, s8, s4
	s_add_i32 s7, s5, 1
	s_cmp_ge_u32 s4, s3
	s_cselect_b32 s3, s7, s5
	s_xor_b32 s3, s3, s2
	s_sub_i32 s55, s3, s2
	s_ashr_i32 s24, s51, 31
	s_ashr_i32 s53, s49, 31
	s_mul_hi_i32 s2, s51, s13
	s_add_u32 s38, s6, s49
	s_addc_u32 s39, s2, s53
	s_lshl_b64 s[2:3], s[38:39], 15
	s_add_u32 s2, s16, s2
	s_addc_u32 s3, s17, s3
	v_lshlrev_b32_e32 v1, 4, v62
	v_lshl_add_u64 v[4:5], v[2:3], 1, s[2:3]
	v_or_b32_e32 v2, 0x800, v2
	v_lshl_or_b32 v67, v63, 2, v1
	v_ashrrev_i32_e32 v3, 31, v2
	v_lshlrev_b32_e32 v6, 1, v67
	v_lshl_add_u64 v[2:3], v[2:3], 1, s[2:3]
	v_lshl_add_u64 v[4:5], v[4:5], 0, v[6:7]
	;; [unrolled: 1-line block ×3, first 2 shown]
	global_load_dwordx2 v[8:9], v[4:5], off
	v_or_b32_e32 v68, 64, v67
	global_load_dwordx2 v[4:5], v[4:5], off offset:128
	s_nop 0
	global_load_dwordx2 v[6:7], v[2:3], off
	global_load_dwordx2 v[10:11], v[2:3], off offset:128
	s_load_dwordx8 s[4:11], s[0:1], 0x0
	s_load_dwordx2 s[28:29], s[0:1], 0x80
	s_load_dwordx4 s[20:23], s[0:1], 0x70
	s_mul_hi_u32 s57, s38, s12
	s_mul_i32 s16, s38, s12
	s_mul_i32 s39, s39, s12
	s_cmp_lt_i32 s12, 64
	s_waitcnt lgkmcnt(0)
	s_mul_i32 s33, s51, s21
	s_mul_hi_u32 s44, s51, s20
	s_mul_i32 s30, s51, s20
	s_mul_i32 s45, s49, s23
	s_mul_hi_u32 s46, s49, s22
	s_mul_i32 s48, s24, s20
	s_mul_i32 s47, s53, s22
	s_mul_i32 s34, s49, s22
	s_waitcnt vmcnt(3)
	v_and_b32_e32 v51, 0xffff0000, v8
	v_lshlrev_b32_e32 v50, 16, v8
	v_and_b32_e32 v55, 0xffff0000, v9
	v_lshlrev_b32_e32 v54, 16, v9
	s_waitcnt vmcnt(2)
	v_and_b32_e32 v49, 0xffff0000, v4
	v_lshlrev_b32_e32 v48, 16, v4
	v_and_b32_e32 v53, 0xffff0000, v5
	v_lshlrev_b32_e32 v52, 16, v5
	;; [unrolled: 5-line block ×4, first 2 shown]
	s_cbranch_scc1 .LBB284_3
; %bb.1:
	s_add_i32 s17, s57, s39
	s_lshl_b64 s[2:3], s[16:17], 8
	v_and_b32_e32 v76, 56, v65
	s_add_u32 s20, s6, s2
	v_lshl_or_b32 v75, v62, 3, v66
	v_lshlrev_b32_e32 v2, 1, v76
	s_addc_u32 s2, s7, s3
	v_lshl_or_b32 v77, v75, 8, v2
	s_and_b32 s21, s2, 0xffff
	s_mov_b32 s23, 0x20000
	s_movk_i32 s22, 0x4000
	s_movk_i32 s2, 0x80
	v_or_b32_e32 v79, 0x2000, v77
	buffer_load_dwordx4 v[4:7], v77, s[20:23], 0 offen
	buffer_load_dwordx4 v[8:11], v77, s[20:23], s2 offen
	;; [unrolled: 1-line block ×4, first 2 shown]
	v_lshlrev_b32_e32 v3, 3, v75
	v_and_or_b32 v21, v0, 7, v3
	v_and_b32_e32 v3, 0x78, v3
	v_lshlrev_b32_e32 v21, 4, v21
	v_xor_b32_e32 v81, v21, v3
	v_mul_lo_u32 v20, v75, s15
	v_or_b32_e32 v82, 0x1000, v81
	v_xor_b32_e32 v3, 8, v81
	s_cmpk_eq_i32 s15, 0x80
	s_mov_b32 s58, s14
	v_xor_b32_e32 v21, 8, v82
	s_cselect_b64 s[2:3], -1, 0
	s_cmpk_lg_i32 s15, 0x80
	s_waitcnt vmcnt(3)
	ds_write_b64 v81, v[4:5] offset:24576
	ds_write_b64 v3, v[6:7] offset:24576
	s_waitcnt vmcnt(2)
	ds_write_b64 v81, v[8:9] offset:32768
	ds_write_b64 v3, v[10:11] offset:32768
	;; [unrolled: 3-line block ×4, first 2 shown]
	v_lshl_add_u32 v3, v20, 1, v76
	s_cbranch_scc0 .LBB284_29
; %bb.2:
	v_lshlrev_b32_e32 v5, 1, v3
	v_add_lshl_u32 v4, v3, s15, 1
	s_lshl_b32 s22, s15, 7
	s_load_dwordx2 s[40:41], s[0:1], 0x20
	v_lshl_or_b32 v2, v75, 9, v2
	s_cbranch_execz .LBB284_30
	s_branch .LBB284_31
.LBB284_3:
	v_mov_b32_e32 v5, v78
	v_mov_b32_e32 v9, v80
.LBB284_4:
	s_lshl_b32 s26, s52, 6
	s_sub_i32 s27, s12, s26
	s_cmp_gt_i32 s27, 0
	s_cbranch_scc0 .LBB284_84
; %bb.5:
	s_ashr_i32 s2, s26, 31
	s_cmpk_lg_i32 s15, 0x80
	s_cselect_b64 s[22:23], -1, 0
	s_and_b64 vcc, exec, s[22:23]
	s_cbranch_vccz .LBB284_7
; %bb.6:
	s_mul_i32 s1, s51, s12
	s_mul_hi_i32 s0, s51, s12
	s_add_u32 s1, s1, s26
	s_addc_u32 s0, s0, s2
	s_mul_i32 s3, s1, s54
	s_mul_hi_u32 s17, s1, s14
	s_add_i32 s3, s17, s3
	s_mul_i32 s0, s0, s14
	s_add_i32 s3, s3, s0
	s_mul_i32 s1, s1, s14
	s_ashr_i32 s0, s55, 31
	s_add_u32 s24, s1, s55
	s_addc_u32 s25, s3, s0
	s_cbranch_execz .LBB284_8
	s_branch .LBB284_9
.LBB284_7:
                                        ; implicit-def: $sgpr24_sgpr25
.LBB284_8:
	s_mul_hi_i32 s0, s51, s14
	s_mul_i32 s51, s51, s14
	s_ashr_i32 s1, s55, 31
	s_add_u32 s3, s51, s55
	s_addc_u32 s0, s0, s1
	s_mul_i32 s1, s3, s50
	s_mul_hi_u32 s14, s3, s12
	s_add_i32 s1, s14, s1
	s_mul_i32 s0, s0, s12
	s_add_i32 s1, s1, s0
	s_mul_i32 s3, s3, s12
	s_add_u32 s24, s3, s26
	s_addc_u32 s25, s1, s2
.LBB284_9:
	s_mul_i32 s0, s38, s50
	s_add_i32 s0, s57, s0
	s_add_i32 s3, s56, s52
	;; [unrolled: 1-line block ×3, first 2 shown]
	s_add_u32 s0, s16, s26
	v_lshlrev_b32_e32 v8, 5, v67
	v_lshlrev_b32_e32 v22, 2, v64
	s_addc_u32 s1, s1, s2
	s_mov_b32 s2, 0x7060302
	v_or_b32_e32 v11, v8, v22
	v_xor_b32_e32 v4, v67, v22
	v_perm_b32 v3, v55, v54, s2
	v_perm_b32 v2, v51, v50, s2
	;; [unrolled: 1-line block ×4, first 2 shown]
	v_lshlrev_b32_e32 v11, 1, v11
	s_lshl_b64 s[20:21], s[0:1], 8
	v_xor_b32_e32 v10, v68, v22
	ds_write2st64_b64 v11, v[2:3], v[6:7] offset0:80 offset1:88
	v_lshlrev_b32_e32 v11, 1, v4
	v_lshlrev_b32_e32 v4, 8, v64
	s_add_u32 s0, s6, s20
	v_or_b32_e32 v12, v11, v4
	v_lshlrev_b32_e32 v10, 1, v10
	s_addc_u32 s1, s7, s21
	ds_write_b64 v12, v[2:3]
	v_or_b32_e32 v2, v10, v4
	s_mul_hi_i32 s6, s3, s13
	s_mul_i32 s3, s3, s13
	ds_write_b64 v2, v[6:7]
	v_perm_b32 v3, v9, v73, s2
	v_perm_b32 v2, v69, v71, s2
	;; [unrolled: 1-line block ×4, first 2 shown]
	v_or_b32_e32 v6, 16, v64
	s_add_u32 s2, s3, s49
	v_lshlrev_b32_e32 v19, 2, v6
	s_addc_u32 s3, s6, s53
	v_or_b32_e32 v7, v8, v19
	s_ashr_i32 s37, s36, 31
	s_lshl_b64 s[2:3], s[2:3], 15
	v_lshlrev_b32_e32 v7, 1, v7
	v_lshlrev_b32_e32 v6, 8, v6
	s_add_u32 s6, s18, s2
	ds_write2st64_b64 v7, v[2:3], v[4:5] offset0:80 offset1:88
	v_or_b32_e32 v7, v11, v6
	s_addc_u32 s7, s19, s3
	s_lshl_b64 s[2:3], s[36:37], 8
	ds_write_b64 v7, v[2:3]
	v_or_b32_e32 v2, v10, v6
	s_add_u32 s2, s6, s2
	ds_write_b64 v2, v[4:5]
	v_lshrrev_b32_e32 v2, 4, v0
	s_addc_u32 s3, s7, s3
	v_lshlrev_b32_e32 v3, 1, v64
	v_lshlrev_b32_e32 v10, 4, v64
	v_mov_b32_e32 v11, 0
	v_or_b32_e32 v4, 1, v3
	v_xor_b32_e32 v3, v2, v3
	v_lshl_add_u64 v[12:13], s[2:3], 0, v[10:11]
	v_lshlrev_b32_e32 v10, 8, v2
	v_xor_b32_e32 v6, v4, v2
	v_lshl_or_b32 v2, v3, 3, v10
	s_waitcnt lgkmcnt(0)
	s_barrier
	ds_read2st64_b64 v[2:5], v2 offset1:8
	v_lshl_or_b32 v6, v6, 3, v10
	ds_read2st64_b64 v[6:9], v6 offset1:8
	v_lshl_add_u64 v[14:15], v[12:13], 0, v[10:11]
	s_movk_i32 s2, 0x1000
	s_waitcnt lgkmcnt(1)
	v_mov_b32_e32 v10, v2
	v_add_co_u32_e32 v2, vcc, s2, v14
	s_cmp_lg_u32 s27, 64
	v_mov_b32_e32 v11, v3
	v_addc_co_u32_e32 v3, vcc, 0, v15, vcc
	s_cselect_b64 s[6:7], -1, 0
	v_lshl_or_b32 v23, v62, 3, v66
	s_waitcnt lgkmcnt(0)
	v_mov_b32_e32 v12, v6
	v_mov_b32_e32 v13, v7
	;; [unrolled: 1-line block ×4, first 2 shown]
	s_mov_b32 s16, 0
	v_or_b32_e32 v20, 32, v23
	v_and_b32_e32 v18, 56, v65
	s_and_b64 vcc, exec, s[6:7]
	global_store_dwordx4 v[14:15], v[10:13], off
	global_store_dwordx4 v[2:3], v[6:9], off
	s_cbranch_vccz .LBB284_15
; %bb.10:
	s_mov_b32 s17, s16
	s_mov_b32 s18, s16
	;; [unrolled: 1-line block ×3, first 2 shown]
	v_mov_b64_e32 v[6:7], s[16:17]
	v_mov_b64_e32 v[8:9], s[18:19]
	;; [unrolled: 1-line block ×3, first 2 shown]
	v_cmp_gt_i32_e32 vcc, s27, v23
	v_mov_b64_e32 v[4:5], v[8:9]
	s_and_saveexec_b64 s[2:3], vcc
	s_cbranch_execz .LBB284_12
; %bb.11:
	v_lshlrev_b32_e32 v2, 8, v23
	v_mov_b32_e32 v3, 0
	v_lshl_add_u64 v[4:5], s[0:1], 0, v[2:3]
	v_lshlrev_b32_e32 v2, 1, v18
	v_lshl_add_u64 v[10:11], v[4:5], 0, v[2:3]
	global_load_dwordx4 v[6:9], v[10:11], off
	global_load_dwordx4 v[2:5], v[10:11], off offset:128
.LBB284_12:
	s_or_b64 exec, exec, s[2:3]
	s_mov_b32 s17, s16
	s_mov_b32 s18, s16
	;; [unrolled: 1-line block ×3, first 2 shown]
	v_mov_b64_e32 v[14:15], s[16:17]
	v_mov_b64_e32 v[16:17], s[18:19]
	;; [unrolled: 1-line block ×3, first 2 shown]
	v_cmp_gt_i32_e32 vcc, s27, v20
	v_lshlrev_b32_e32 v21, 7, v20
	v_mov_b64_e32 v[12:13], v[16:17]
	s_and_saveexec_b64 s[2:3], vcc
	s_cbranch_execz .LBB284_14
; %bb.13:
	v_lshlrev_b32_e32 v10, 1, v21
	v_mov_b32_e32 v11, 0
	v_lshl_add_u64 v[12:13], s[0:1], 0, v[10:11]
	v_lshlrev_b32_e32 v10, 1, v18
	v_lshl_add_u64 v[24:25], v[12:13], 0, v[10:11]
	global_load_dwordx4 v[14:17], v[24:25], off
	global_load_dwordx4 v[10:13], v[24:25], off offset:128
.LBB284_14:
	s_or_b64 exec, exec, s[2:3]
	v_lshrrev_b32_e32 v24, 3, v18
	v_lshlrev_b32_e32 v25, 3, v23
	v_or_b32_e32 v24, v25, v24
	v_lshlrev_b32_e32 v24, 4, v24
	v_and_b32_e32 v25, 0x78, v25
	v_xor_b32_e32 v24, v24, v25
	s_branch .LBB284_17
.LBB284_15:
                                        ; implicit-def: $vgpr24
                                        ; implicit-def: $vgpr21
                                        ; implicit-def: $vgpr6_vgpr7_vgpr8_vgpr9
                                        ; implicit-def: $vgpr2_vgpr3_vgpr4_vgpr5
                                        ; implicit-def: $vgpr14_vgpr15_vgpr16_vgpr17
                                        ; implicit-def: $vgpr10_vgpr11_vgpr12_vgpr13
	s_cbranch_execz .LBB284_17
; %bb.16:
	s_waitcnt vmcnt(0)
	v_lshlrev_b32_e32 v2, 1, v18
	v_lshl_or_b32 v21, v23, 8, v2
	s_and_b32 s1, s1, 0xffff
	s_mov_b32 s3, 0x20000
	s_movk_i32 s2, 0x4000
	v_lshl_or_b32 v24, v20, 8, v2
	s_movk_i32 s13, 0x80
	buffer_load_dwordx4 v[6:9], v21, s[0:3], 0 offen
	buffer_load_dwordx4 v[2:5], v21, s[0:3], s13 offen
	;; [unrolled: 1-line block ×4, first 2 shown]
	v_lshrrev_b32_e32 v21, 3, v18
	v_lshlrev_b32_e32 v24, 3, v23
	v_or_b32_e32 v21, v24, v21
	v_lshlrev_b32_e32 v21, 4, v21
	v_and_b32_e32 v24, 0x78, v24
	v_xor_b32_e32 v24, v21, v24
	v_lshlrev_b32_e32 v21, 7, v20
.LBB284_17:
	s_lshl_b64 s[0:1], s[24:25], 8
	s_add_u32 s4, s4, s0
	s_movk_i32 s0, 0x1000
	v_and_or_b32 v20, v21, s0, v24
	s_waitcnt vmcnt(1)
	ds_write_b64 v24, v[6:7] offset:24576
	v_xor_b32_e32 v6, 8, v24
	ds_write_b64 v6, v[8:9] offset:24576
	s_waitcnt vmcnt(0)
	ds_write_b64 v24, v[2:3] offset:32768
	ds_write_b64 v6, v[4:5] offset:32768
	;; [unrolled: 1-line block ×3, first 2 shown]
	v_xor_b32_e32 v2, 8, v20
	ds_write_b64 v2, v[16:17] offset:24576
	ds_write_b64 v20, v[10:11] offset:32768
	ds_write_b64 v2, v[12:13] offset:32768
	v_or_b32_e32 v2, v1, v64
	v_lshlrev_b32_e32 v3, 11, v62
	v_lshlrev_b32_e32 v2, 3, v2
	v_and_b32_e32 v6, 0x1000, v3
	v_lshrrev_b32_e32 v3, 5, v45
	s_movk_i32 s3, 0xf8
	v_and_or_b32 v3, v2, s3, v3
	v_lshlrev_b32_e32 v7, 4, v3
	v_and_b32_e32 v8, 0x78, v2
	v_or_b32_e32 v10, 32, v7
	v_lshrrev_b32_e32 v3, 1, v45
	v_xor_b32_e32 v10, v10, v8
	v_xor_b32_e32 v2, v7, v8
	v_and_b32_e32 v9, 8, v3
	v_or_b32_e32 v10, v10, v6
	v_or_b32_e32 v2, v2, v6
	v_xor_b32_e32 v26, v10, v9
	v_or_b32_e32 v10, 64, v7
	v_xor_b32_e32 v25, v2, v9
	v_xor_b32_e32 v10, v10, v8
	s_waitcnt lgkmcnt(0)
	s_barrier
	v_or_b32_e32 v12, v10, v6
	ds_read_b64 v[10:11], v25 offset:24576
	v_lshl_or_b32 v20, v63, 7, v22
	v_lshlrev_b32_e32 v24, 1, v20
	v_add_u32_e32 v2, 0xa000, v24
	ds_read2_b64 v[2:5], v2 offset1:16
	v_or_b32_e32 v7, 0x60, v7
	v_xor_b32_e32 v7, v7, v8
	s_waitcnt lgkmcnt(0)
	v_mfma_f32_16x16x16_bf16 a[0:3], v[10:11], v[2:3], 0
	v_or_b32_e32 v2, 64, v20
	v_or_b32_e32 v6, v7, v6
	v_lshlrev_b32_e32 v29, 1, v2
	v_xor_b32_e32 v27, v12, v9
	v_xor_b32_e32 v28, v6, v9
	ds_read_b64 v[12:13], v26 offset:24576
	ds_read_b64 v[14:15], v27 offset:24576
	ds_read_b64 v[16:17], v28 offset:24576
	v_mfma_f32_16x16x16_bf16 a[4:7], v[10:11], v[4:5], 0
	ds_read2st64_b64 v[2:5], v29 offset0:82 offset1:84
	ds_read2st64_b64 v[6:9], v24 offset0:82 offset1:84
	s_addc_u32 s5, s5, s1
	s_add_i32 s1, s44, s33
	s_add_i32 s0, s12, -1
	s_add_i32 s31, s1, s48
	s_add_i32 s1, s46, s45
	;; [unrolled: 1-line block ×3, first 2 shown]
	s_ashr_i32 s1, s0, 31
	s_mul_i32 s2, s0, s29
	s_mul_hi_u32 s3, s0, s28
	s_add_i32 s2, s3, s2
	s_mul_i32 s1, s1, s28
	s_waitcnt lgkmcnt(1)
	v_mfma_f32_16x16x16_bf16 a[4:7], v[12:13], v[2:3], a[4:7]
	s_add_i32 s1, s2, s1
	s_lshl_b64 s[2:3], s[30:31], 2
	s_add_u32 s10, s10, s2
	s_waitcnt lgkmcnt(0)
	v_mfma_f32_16x16x16_bf16 a[0:3], v[12:13], v[6:7], a[0:3]
	s_addc_u32 s11, s11, s3
	s_lshl_b64 s[2:3], s[34:35], 2
	s_mul_i32 s0, s0, s28
	s_add_u32 s10, s10, s2
	ds_read_b64 v[2:3], v24 offset:44032
	v_mfma_f32_16x16x16_bf16 a[4:7], v[14:15], v[4:5], a[4:7]
	ds_read_b64 v[4:5], v29 offset:44032
	s_addc_u32 s11, s11, s3
	s_lshl_b64 s[0:1], s[0:1], 2
	v_mfma_f32_16x16x16_bf16 a[0:3], v[14:15], v[8:9], a[0:3]
	s_add_u32 s0, s10, s0
	s_addc_u32 s1, s11, s1
	s_load_dword s12, s[0:1], 0x0
	s_waitcnt lgkmcnt(0)
	v_mfma_f32_16x16x16_bf16 a[0:3], v[16:17], v[2:3], a[0:3]
	s_and_b64 vcc, exec, s[22:23]
	v_mfma_f32_16x16x16_bf16 a[4:7], v[16:17], v[4:5], a[4:7]
	s_cbranch_vccz .LBB284_28
; %bb.18:
	v_lshlrev_b32_e32 v20, 1, v23
	s_and_b64 vcc, exec, s[6:7]
	s_cbranch_vccz .LBB284_44
; %bb.19:
	v_cmp_gt_i32_e32 vcc, s27, v20
	v_mov_b32_e32 v6, 0
	v_mov_b32_e32 v2, 0
	;; [unrolled: 1-line block ×5, first 2 shown]
	s_and_saveexec_b64 s[0:1], vcc
	s_cbranch_execz .LBB284_21
; %bb.20:
	v_mad_i64_i32 v[2:3], s[2:3], s15, v20, 0
	v_lshl_add_u64 v[2:3], v[2:3], 1, s[4:5]
	v_lshlrev_b32_e32 v4, 1, v18
	v_mov_b32_e32 v5, 0
	v_lshl_add_u64 v[2:3], v[2:3], 0, v[4:5]
	global_load_dwordx4 v[2:5], v[2:3], off
.LBB284_21:
	s_or_b64 exec, exec, s[0:1]
	v_or_b32_e32 v21, 1, v20
	v_cmp_gt_i32_e64 s[0:1], s27, v21
	v_mov_b32_e32 v7, 0
	v_mov_b32_e32 v8, 0
	;; [unrolled: 1-line block ×3, first 2 shown]
	s_and_saveexec_b64 s[2:3], s[0:1]
	s_cbranch_execz .LBB284_23
; %bb.22:
	v_mad_i64_i32 v[6:7], s[16:17], s15, v21, 0
	v_lshl_add_u64 v[6:7], v[6:7], 1, s[4:5]
	v_lshlrev_b32_e32 v8, 1, v18
	v_mov_b32_e32 v9, 0
	v_lshl_add_u64 v[6:7], v[6:7], 0, v[8:9]
	global_load_dwordx4 v[6:9], v[6:7], off
.LBB284_23:
	s_or_b64 exec, exec, s[2:3]
	v_mov_b32_e32 v17, 0
	v_mov_b32_e32 v10, 0
	;; [unrolled: 1-line block ×5, first 2 shown]
	s_and_saveexec_b64 s[2:3], vcc
	s_cbranch_execz .LBB284_25
; %bb.24:
	v_mad_i64_i32 v[10:11], s[16:17], s15, v20, 0
	v_lshl_add_u64 v[10:11], v[10:11], 1, s[4:5]
	v_lshlrev_b32_e32 v12, 1, v18
	v_mov_b32_e32 v13, 0
	v_lshl_add_u64 v[10:11], v[10:11], 0, v[12:13]
	global_load_dwordx4 v[10:13], v[10:11], off offset:128
.LBB284_25:
	s_or_b64 exec, exec, s[2:3]
	v_mov_b32_e32 v16, 0
	v_mov_b32_e32 v15, 0
	;; [unrolled: 1-line block ×3, first 2 shown]
	s_and_saveexec_b64 s[2:3], s[0:1]
	s_cbranch_execz .LBB284_27
; %bb.26:
	v_mad_i64_i32 v[14:15], s[0:1], s15, v21, 0
	v_lshl_add_u64 v[14:15], v[14:15], 1, s[4:5]
	v_lshlrev_b32_e32 v16, 1, v18
	v_mov_b32_e32 v17, 0
	v_lshl_add_u64 v[14:15], v[14:15], 0, v[16:17]
	global_load_dwordx4 v[14:17], v[14:15], off offset:128
.LBB284_27:
	s_or_b64 exec, exec, s[2:3]
	s_branch .LBB284_46
.LBB284_28:
                                        ; implicit-def: $vgpr5
                                        ; implicit-def: $vgpr9
                                        ; implicit-def: $vgpr13
                                        ; implicit-def: $vgpr17
	v_lshrrev_b32_e32 v30, 2, v45
	s_branch .LBB284_47
.LBB284_29:
                                        ; implicit-def: $vgpr4
                                        ; implicit-def: $vgpr5
                                        ; implicit-def: $sgpr22
	s_load_dwordx2 s[40:41], s[0:1], 0x20
	v_lshl_or_b32 v2, v75, 9, v2
.LBB284_30:
	v_or_b32_e32 v4, 0x100, v2
	s_movk_i32 s22, 0x4000
	v_mov_b32_e32 v5, v2
.LBB284_31:
	s_mul_hi_u32 s0, s14, s12
	s_mul_i32 s1, s54, s12
	s_add_i32 s0, s0, s1
	s_mul_i32 s1, s14, s12
	s_mul_i32 s20, s1, s24
	s_mul_hi_u32 s21, s1, s51
	s_add_i32 s20, s21, s20
	s_mul_i32 s0, s0, s51
	s_add_i32 s20, s20, s0
	s_mul_i32 s1, s1, s51
	s_ashr_i32 s59, s55, 31
	s_add_u32 s0, s1, s55
	s_addc_u32 s1, s20, s59
	s_lshl_b64 s[0:1], s[0:1], 8
	s_add_u32 s20, s4, s0
	s_addc_u32 s0, s5, s1
	s_and_b32 s21, s0, 0xffff
	s_movk_i32 s60, 0x80
	buffer_load_dwordx4 v[6:9], v5, s[20:23], 0 offen
	buffer_load_dwordx4 v[10:13], v5, s[20:23], s60 offen
	;; [unrolled: 1-line block ×4, first 2 shown]
	v_and_b32_e32 v4, 6, v0
	v_lshlrev_b32_e32 v23, 6, v67
	v_or_b32_e32 v25, 16, v64
	v_xor_b32_e32 v26, v75, v4
	v_and_b32_e32 v5, 1, v0
	v_lshl_or_b32 v29, v64, 3, v23
	v_lshl_or_b32 v23, v25, 3, v23
	v_lshlrev_b32_e32 v26, 2, v26
	s_mul_i32 s24, s24, s12
	s_mul_hi_u32 s0, s51, s12
	v_lshlrev_b32_e32 v22, 2, v64
	v_or_b32_e32 v85, 0xa000, v23
	v_or_b32_e32 v86, 0xb000, v23
	v_xor_b32_e32 v23, 0x440, v26
	v_cmp_eq_u32_e32 vcc, 0, v5
	v_xor_b32_e32 v27, v67, v22
	v_xor_b32_e32 v28, v68, v22
	v_cndmask_b32_e32 v5, v23, v26, vcc
	s_add_i32 s65, s0, s24
	s_add_i32 s0, s44, s33
	s_mov_b32 s63, 0x1000504
	v_lshlrev_b32_e32 v24, 8, v64
	v_lshlrev_b32_e32 v27, 1, v27
	v_lshlrev_b32_e32 v28, 1, v28
	v_lshl_or_b32 v4, v4, 10, v5
	s_add_i32 s31, s0, s48
	s_add_i32 s0, s46, s45
	s_mov_b32 s64, 0x3020706
	v_or_b32_e32 v83, 0xa000, v29
	v_or_b32_e32 v84, 0xb000, v29
	;; [unrolled: 1-line block ×4, first 2 shown]
	v_xor_b32_e32 v5, 8, v4
	v_xor_b32_e32 v24, 24, v4
	v_xor_b32_e32 v29, 40, v4
	v_xor_b32_e32 v31, 56, v4
	s_add_i32 s35, s0, s47
	s_lshl_b64 s[0:1], s[30:31], 2
	v_xor_b32_e32 v23, 16, v4
	v_xor_b32_e32 v26, 32, v4
	;; [unrolled: 1-line block ×3, first 2 shown]
	v_add_u32_e32 v5, 0x80, v5
	v_add_u32_e32 v24, 0x80, v24
	v_add_u32_e32 v29, 0x80, v29
	v_add_u32_e32 v31, 0x80, v31
	s_add_u32 s20, s10, s0
	s_addc_u32 s21, s11, s1
	s_lshl_b64 s[0:1], s[34:35], 2
	s_add_u32 s42, s20, s0
	s_movk_i32 s0, 0xf8
	s_addc_u32 s43, s21, s1
	s_ashr_i32 s37, s36, 31
	s_lshl_b32 s26, s15, 7
	s_movk_i32 s20, 0x100
	v_mov_b32_e32 v57, 0
	v_lshlrev_b32_e32 v56, 4, v64
	v_cmp_gt_u32_e32 vcc, s20, v0
	s_mul_i32 s61, s51, s12
	v_ashrrev_i32_e32 v47, 31, v46
	s_mov_b32 s62, 0
	s_movk_i32 s31, 0x1000
	s_movk_i32 s22, 0x4000
	v_lshl_add_u64 v[58:59], v[46:47], 1, s[8:9]
	s_mov_b32 s67, 0
	s_waitcnt vmcnt(1)
	v_perm_b32 v32, v6, v14, s63
	s_waitcnt vmcnt(0)
	v_perm_b32 v33, v10, v18, s63
	v_perm_b32 v6, v6, v14, s64
	v_perm_b32 v10, v10, v18, s64
	v_perm_b32 v14, v7, v15, s63
	v_perm_b32 v18, v11, v19, s63
	v_perm_b32 v7, v7, v15, s64
	v_perm_b32 v11, v11, v19, s64
	v_perm_b32 v15, v8, v16, s63
	v_perm_b32 v19, v12, v20, s63
	v_perm_b32 v8, v8, v16, s64
	v_perm_b32 v12, v12, v20, s64
	v_perm_b32 v16, v9, v17, s63
	v_perm_b32 v20, v13, v21, s63
	v_perm_b32 v9, v9, v17, s64
	v_perm_b32 v13, v13, v21, s64
	ds_write2st64_b32 v4, v32, v33 offset0:32 offset1:64
	ds_write2st64_b32 v5, v6, v10 offset0:32 offset1:64
	;; [unrolled: 1-line block ×8, first 2 shown]
	v_lshlrev_b32_e32 v4, 8, v25
	v_or_b32_e32 v89, v4, v27
	v_or_b32_e32 v90, v4, v28
	;; [unrolled: 1-line block ×3, first 2 shown]
	v_lshlrev_b32_e32 v4, 3, v4
	v_lshrrev_b32_e32 v7, 5, v45
	v_and_or_b32 v7, v4, s0, v7
	v_lshlrev_b32_e32 v7, 4, v7
	v_lshlrev_b32_e32 v9, 11, v62
	v_and_b32_e32 v4, 0x78, v4
	v_or_b32_e32 v12, 32, v7
	v_and_b32_e32 v6, 0x1000, v9
	v_lshrrev_b32_e32 v10, 1, v45
	v_xor_b32_e32 v12, v12, v4
	v_xor_b32_e32 v8, v7, v4
	v_and_b32_e32 v10, 8, v10
	v_or_b32_e32 v12, v12, v6
	v_or_b32_e32 v8, v8, v6
	v_lshlrev_b32_e32 v11, 7, v63
	v_xor_b32_e32 v93, v12, v10
	v_or_b32_e32 v12, 64, v7
	v_or_b32_e32 v7, 0x60, v7
	v_xor_b32_e32 v91, v8, v10
	v_or_b32_e32 v8, v11, v22
	v_xor_b32_e32 v12, v12, v4
	v_xor_b32_e32 v4, v7, v4
	s_lshl_b64 s[0:1], s[36:37], 8
	v_lshlrev_b32_e32 v8, 1, v8
	v_or_b32_e32 v12, v12, v6
	v_or_b32_e32 v4, v4, v6
	s_add_u32 s0, s18, s0
	v_lshlrev_b32_e32 v6, 1, v64
	v_or_b32_e32 v92, 0xa000, v8
	v_or_b32_e32 v94, 0xa080, v8
	;; [unrolled: 1-line block ×4, first 2 shown]
	v_lshrrev_b32_e32 v8, 4, v0
	s_addc_u32 s1, s19, s1
	v_or_b32_e32 v7, 1, v6
	v_mov_b32_e32 v17, 0x4000
	v_mov_b32_e32 v18, 0x2000
	v_lshrrev_b32_e32 v19, 1, v0
	v_xor_b32_e32 v95, v12, v10
	v_xor_b32_e32 v96, v4, v10
	;; [unrolled: 1-line block ×4, first 2 shown]
	v_lshl_add_u64 v[6:7], s[0:1], 0, v[56:57]
	v_lshlrev_b32_e32 v56, 8, v8
	v_cndmask_b32_e32 v17, v17, v18, vcc
	v_lshlrev_b32_e32 v18, 3, v62
	v_and_b32_e32 v19, 24, v19
	v_lshl_or_b32 v99, v10, 3, v56
	v_and_b32_e32 v10, 8, v0
	v_xor_b32_e32 v20, v18, v19
	v_or_b32_e32 v21, 0x440, v20
	v_cmp_eq_u32_e32 vcc, 0, v10
	v_and_b32_e32 v8, 7, v0
	v_lshl_or_b32 v100, v14, 3, v56
	v_cndmask_b32_e32 v10, v21, v20, vcc
	v_lshlrev_b32_e32 v14, 3, v8
	v_lshlrev_b32_e32 v16, 2, v0
	v_or_b32_e32 v10, v10, v9
	v_xor_b32_e32 v20, v10, v14
	v_and_or_b32 v10, v16, 60, v11
	v_mov_b32_e32 v11, 0xb000
	v_lshl_or_b32 v101, v10, 1, v11
	v_or_b32_e32 v10, 32, v19
	v_xor_b32_e32 v10, v18, v10
	v_or_b32_e32 v11, 0x440, v10
	v_cndmask_b32_e32 v10, v11, v10, vcc
	v_or_b32_e32 v10, v10, v9
	v_xor_b32_e32 v11, v10, v14
	v_or_b32_e32 v10, 64, v19
	v_xor_b32_e32 v10, v18, v10
	v_xor_b32_e32 v22, 0x440, v10
	v_cndmask_b32_e32 v10, v22, v10, vcc
	v_or_b32_e32 v10, v10, v9
	v_xor_b32_e32 v22, v10, v14
	v_or_b32_e32 v10, 0x60, v19
	v_xor_b32_e32 v10, v18, v10
	v_xor_b32_e32 v18, 0x440, v10
	v_cndmask_b32_e32 v10, v18, v10, vcc
	v_lshrrev_b32_e32 v5, 2, v45
	v_or_b32_e32 v9, v10, v9
	v_and_b32_e32 v5, 12, v5
	v_xor_b32_e32 v9, v9, v14
	v_lshlrev_b32_e32 v4, 7, v67
	v_lshlrev_b32_e32 v12, 1, v3
	v_add_lshl_u32 v3, v3, s15, 1
	v_or_b32_e32 v13, 0x100, v2
	v_lshlrev_b32_e32 v15, 7, v8
	v_or_b32_e32 v8, v5, v1
	v_add_u32_e32 v21, v17, v20
	v_add_u32_e32 v16, v17, v11
	;; [unrolled: 1-line block ×4, first 2 shown]
	v_or3_b32 v10, v1, v5, 64
	v_add_u32_e32 v5, 0x4000, v20
	v_add_u32_e32 v11, 0x4000, v11
	;; [unrolled: 1-line block ×4, first 2 shown]
	v_cndmask_b32_e64 v102, v12, v2, s[2:3]
	v_cndmask_b32_e64 v103, v3, v13, s[2:3]
	v_lshl_add_u64 v[60:61], v[6:7], 0, v[56:57]
	s_add_i32 s35, s61, 63
	s_mov_b32 s37, 0x7060302
	v_lshlrev_b32_e32 v56, 1, v4
	v_lshlrev_b32_e32 v47, 2, v8
	v_add_u32_e32 v104, v21, v15
	v_add_u32_e32 v105, v16, v15
	;; [unrolled: 1-line block ×4, first 2 shown]
	v_lshlrev_b32_e32 v108, 2, v10
	v_add_u32_e32 v109, v5, v15
	v_add_u32_e32 v110, v11, v15
	;; [unrolled: 1-line block ×4, first 2 shown]
	s_waitcnt lgkmcnt(0)
	s_barrier
.LBB284_32:                             ; =>This Inner Loop Header: Depth=1
	s_add_i32 s66, s67, 1
	s_cmp_lt_i32 s66, s52
	s_mov_b64 s[24:25], 0
	s_cselect_b64 s[2:3], -1, 0
	s_cmp_ge_i32 s66, s52
	s_mov_b64 s[20:21], 0
	s_cbranch_scc1 .LBB284_34
; %bb.33:                               ;   in Loop: Header=BB284_32 Depth=1
	s_add_i32 s0, s62, 64
	s_add_u32 s0, s16, s0
	s_addc_u32 s1, s17, 0
	s_lshl_b64 s[0:1], s[0:1], 8
	s_add_u32 s20, s6, s0
	s_addc_u32 s21, s7, s1
.LBB284_34:                             ;   in Loop: Header=BB284_32 Depth=1
	v_cndmask_b32_e64 v2, 0, 1, s[2:3]
	v_cmp_ne_u32_e64 s[0:1], 1, v2
	s_andn2_b64 vcc, exec, s[2:3]
	s_cbranch_vccnz .LBB284_36
; %bb.35:                               ;   in Loop: Header=BB284_32 Depth=1
	s_add_i32 s2, s62, 64
	s_add_u32 s2, s61, s2
	s_addc_u32 s3, s65, 0
	s_mul_i32 s24, s2, s54
	s_mul_hi_u32 s25, s2, s58
	s_add_i32 s24, s25, s24
	s_mul_i32 s3, s3, s58
	s_add_i32 s24, s24, s3
	s_mul_i32 s2, s2, s58
	s_add_u32 s2, s2, s55
	s_addc_u32 s3, s24, s59
	s_lshl_b64 s[2:3], s[2:3], 8
	s_add_u32 s24, s4, s2
	s_addc_u32 s25, s5, s3
.LBB284_36:                             ;   in Loop: Header=BB284_32 Depth=1
	v_perm_b32 v3, v55, v54, s37
	v_perm_b32 v2, v51, v50, s37
	;; [unrolled: 1-line block ×4, first 2 shown]
	ds_write_b64 v83, v[2:3]
	ds_write_b64 v84, v[4:5]
	;; [unrolled: 1-line block ×4, first 2 shown]
	v_perm_b32 v3, v80, v73, s37
	v_perm_b32 v2, v69, v71, s37
	;; [unrolled: 1-line block ×4, first 2 shown]
	ds_write_b64 v85, v[2:3]
	ds_write_b64 v86, v[4:5]
	;; [unrolled: 1-line block ×4, first 2 shown]
	s_waitcnt lgkmcnt(0)
	s_barrier
	ds_read_b64 v[6:7], v91 offset:24576
	ds_read2_b64 v[2:5], v92 offset1:16
	ds_read_b64 v[10:11], v94 offset:3072
	ds_read_b64 v[12:13], v92 offset:3072
	;; [unrolled: 1-line block ×3, first 2 shown]
	s_waitcnt lgkmcnt(3)
	v_mfma_f32_16x16x16_bf16 a[0:3], v[6:7], v[2:3], 0
	s_add_i32 s2, s62, 63
	s_mul_i32 s3, s2, s29
	s_mul_hi_u32 s27, s2, s28
	v_mfma_f32_16x16x16_bf16 a[4:7], v[6:7], v[4:5], 0
	ds_read2st64_b64 v[2:5], v92 offset0:2 offset1:4
	ds_read2st64_b64 v[6:9], v94 offset0:2 offset1:4
	s_add_i32 s3, s27, s3
	s_waitcnt lgkmcnt(1)
	v_mfma_f32_16x16x16_bf16 a[0:3], v[14:15], v[2:3], a[0:3]
	s_mul_i32 s2, s2, s28
	s_lshl_b64 s[2:3], s[2:3], 2
	s_add_u32 s2, s42, s2
	s_waitcnt lgkmcnt(0)
	v_mfma_f32_16x16x16_bf16 a[4:7], v[14:15], v[6:7], a[4:7]
	ds_read_b64 v[2:3], v95 offset:24576
	ds_read_b64 v[6:7], v96 offset:24576
	s_addc_u32 s3, s43, s3
	s_and_b64 vcc, exec, s[0:1]
	s_waitcnt lgkmcnt(1)
	v_mfma_f32_16x16x16_bf16 a[0:3], v[2:3], v[4:5], a[0:3]
	v_mov_b32_e32 v115, 0
	v_mov_b32_e32 v114, 0
	;; [unrolled: 1-line block ×3, first 2 shown]
	v_mfma_f32_16x16x16_bf16 a[4:7], v[2:3], v[8:9], a[4:7]
	v_mov_b32_e32 v2, 0
	v_mov_b32_e32 v3, 0
	;; [unrolled: 1-line block ×3, first 2 shown]
	s_waitcnt lgkmcnt(0)
	v_mfma_f32_16x16x16_bf16 a[0:3], v[6:7], v[12:13], a[0:3]
	v_mov_b32_e32 v5, 0
	v_mov_b32_e32 v8, 0
	v_mov_b32_e32 v9, 0
	v_mfma_f32_16x16x16_bf16 a[4:7], v[6:7], v[10:11], a[4:7]
	v_mov_b32_e32 v6, 0
	v_mov_b32_e32 v7, 0
	;; [unrolled: 1-line block ×10, first 2 shown]
	s_cbranch_vccnz .LBB284_38
; %bb.37:                               ;   in Loop: Header=BB284_32 Depth=1
	s_and_b32 s21, s21, 0xffff
	buffer_load_dwordx4 v[14:17], v77, s[20:23], 0 offen
	buffer_load_dwordx4 v[10:13], v77, s[20:23], s60 offen
	;; [unrolled: 1-line block ×4, first 2 shown]
	v_mov_b32_e32 v114, v81
	v_mov_b32_e32 v113, v82
.LBB284_38:                             ;   in Loop: Header=BB284_32 Depth=1
	ds_read_b64 v[22:23], v91 offset:32768
	ds_read2_b64 v[18:21], v97 offset1:16
	ds_read_b64 v[26:27], v93 offset:32768
	ds_read_b64 v[28:29], v95 offset:32768
	;; [unrolled: 1-line block ×3, first 2 shown]
	v_add_u32_e32 v34, s62, v67
	s_waitcnt lgkmcnt(3)
	v_mfma_f32_16x16x16_bf16 a[0:3], v[22:23], v[18:19], a[0:3]
	v_mov_b32_e32 v116, 0
	v_mfma_f32_16x16x16_bf16 a[4:7], v[22:23], v[20:21], a[4:7]
	ds_read2st64_b64 v[18:21], v97 offset0:2 offset1:4
	ds_read2st64_b64 v[22:25], v98 offset0:2 offset1:4
	s_waitcnt lgkmcnt(1)
	v_mfma_f32_16x16x16_bf16 a[0:3], v[26:27], v[18:19], a[0:3]
	ds_read_b64 v[18:19], v97 offset:3072
	ds_read_b64 v[32:33], v98 offset:3072
	s_waitcnt lgkmcnt(2)
	v_mfma_f32_16x16x16_bf16 a[4:7], v[26:27], v[22:23], a[4:7]
	v_ashrrev_i32_e32 v22, 31, v34
	v_mul_lo_u32 v23, v34, s29
	v_mul_lo_u32 v22, v22, s28
	v_mfma_f32_16x16x16_bf16 a[0:3], v[28:29], v[20:21], a[0:3]
	v_mad_u64_u32 v[20:21], s[20:21], v34, s28, 0
	v_add3_u32 v21, v21, v23, v22
	v_lshl_add_u64 v[20:21], v[20:21], 2, s[42:43]
	global_load_dword v26, v[20:21], off
	v_add_u32_e32 v20, 1, v34
	v_ashrrev_i32_e32 v21, 31, v20
	s_waitcnt lgkmcnt(1)
	v_mfma_f32_16x16x16_bf16 a[0:3], v[30:31], v[18:19], a[0:3]
	v_mul_lo_u32 v21, v21, s28
	v_mul_lo_u32 v22, v20, s29
	v_mad_u64_u32 v[18:19], s[20:21], v20, s28, 0
	v_add_u32_e32 v20, 2, v34
	v_add3_u32 v19, v19, v22, v21
	v_ashrrev_i32_e32 v21, 31, v20
	v_mul_lo_u32 v22, v21, s28
	v_mul_lo_u32 v23, v20, s29
	v_mad_u64_u32 v[20:21], s[20:21], v20, s28, 0
	v_add3_u32 v21, v21, v23, v22
	v_add_u32_e32 v22, 3, v34
	v_ashrrev_i32_e32 v23, 31, v22
	v_mfma_f32_16x16x16_bf16 a[4:7], v[28:29], v[24:25], a[4:7]
	v_mul_lo_u32 v24, v23, s28
	v_mul_lo_u32 v25, v22, s29
	v_mad_u64_u32 v[22:23], s[20:21], v22, s28, 0
	s_add_u32 s20, s16, s62
	s_addc_u32 s21, s17, 0
	s_lshl_b64 s[20:21], s[20:21], 8
	v_add3_u32 v23, v23, v25, v24
	v_lshl_add_u64 v[24:25], v[58:59], 0, s[20:21]
	v_lshl_add_u64 v[18:19], v[18:19], 2, s[42:43]
	;; [unrolled: 1-line block ×4, first 2 shown]
	global_load_ushort v28, v[24:25], off
	global_load_ushort v27, v[24:25], off offset:256
	global_load_ushort v36, v[24:25], off offset:800
	;; [unrolled: 1-line block ×7, first 2 shown]
	v_lshl_add_u64 v[22:23], v[22:23], 2, s[42:43]
	global_load_dword v39, v[18:19], off
	global_load_dword v40, v[20:21], off
	;; [unrolled: 1-line block ×3, first 2 shown]
	s_load_dword s2, s[2:3], 0x0
	s_waitcnt lgkmcnt(0)
	v_mfma_f32_16x16x16_bf16 a[4:7], v[30:31], v[32:33], a[4:7]
	v_accvgpr_read_b32 v23, a1
	v_accvgpr_read_b32 v19, a3
	;; [unrolled: 1-line block ×4, first 2 shown]
	s_and_b64 vcc, exec, s[0:1]
	s_waitcnt vmcnt(11)
	v_sub_f32_e32 v32, s2, v26
	v_exp_f32_e32 v32, v32
	v_accvgpr_read_b32 v25, a5
	v_accvgpr_read_b32 v24, a4
	;; [unrolled: 1-line block ×4, first 2 shown]
	s_waitcnt vmcnt(10)
	v_lshlrev_b32_e32 v26, 16, v28
	s_waitcnt vmcnt(9)
	v_lshlrev_b32_e32 v27, 16, v27
	v_pk_add_f32 v[22:23], v[26:27], v[22:23] neg_lo:[0,1] neg_hi:[0,1]
	s_waitcnt vmcnt(7)
	v_lshlrev_b32_e32 v29, 16, v29
	v_mov_b32_e32 v26, 0
	s_waitcnt vmcnt(5)
	v_lshlrev_b32_e32 v28, 16, v34
	s_waitcnt vmcnt(4)
	v_lshlrev_b32_e32 v31, 16, v35
	s_waitcnt vmcnt(2)
	v_sub_f32_e32 v33, s2, v39
	s_waitcnt vmcnt(1)
	v_sub_f32_e32 v34, s2, v40
	;; [unrolled: 2-line block ×3, first 2 shown]
	v_exp_f32_e32 v33, v33
	v_exp_f32_e32 v34, v34
	;; [unrolled: 1-line block ×3, first 2 shown]
	v_pk_add_f32 v[18:19], v[28:29], v[18:19] neg_lo:[0,1] neg_hi:[0,1]
	v_lshlrev_b32_e32 v30, 16, v38
	v_pk_mul_f32 v[22:23], v[32:33], v[22:23]
	v_pk_mul_f32 v[18:19], v[34:35], v[18:19]
	v_mov_b32_e32 v27, 0
	v_perm_b32 v19, v19, v18, s37
	v_perm_b32 v18, v23, v22, s37
	v_pk_add_f32 v[22:23], v[30:31], v[24:25] neg_lo:[0,1] neg_hi:[0,1]
	v_lshlrev_b32_e32 v25, 16, v36
	v_lshlrev_b32_e32 v24, 16, v37
	v_pk_add_f32 v[20:21], v[24:25], v[20:21] neg_lo:[0,1] neg_hi:[0,1]
	v_pk_mul_f32 v[22:23], v[32:33], v[22:23]
	v_pk_mul_f32 v[20:21], v[34:35], v[20:21]
	v_mov_b32_e32 v24, 0
	v_perm_b32 v21, v21, v20, s37
	v_perm_b32 v20, v23, v22, s37
	ds_write2_b64 v84, v[18:19], v[20:21] offset1:16
	v_mov_b32_e32 v18, 0
	v_mov_b32_e32 v19, 0
	;; [unrolled: 1-line block ×13, first 2 shown]
	s_cbranch_vccnz .LBB284_40
; %bb.39:                               ;   in Loop: Header=BB284_32 Depth=1
	s_and_b32 s25, s25, 0xffff
	s_mov_b32 s27, s23
	buffer_load_dwordx4 v[30:33], v102, s[24:27], 0 offen
	buffer_load_dwordx4 v[22:25], v102, s[24:27], s60 offen
	;; [unrolled: 1-line block ×4, first 2 shown]
	v_mov_b32_e32 v115, v76
	v_mov_b32_e32 v116, v75
.LBB284_40:                             ;   in Loop: Header=BB284_32 Depth=1
	s_waitcnt lgkmcnt(0)
	s_barrier
	ds_read_b64 v[38:39], v104
	ds_read_b64 v[122:123], v101
	;; [unrolled: 1-line block ×5, first 2 shown]
	ds_read_b64 v[136:137], v98 offset:3072
	ds_read2_b64 v[34:37], v97 offset0:16 offset1:128
	s_waitcnt lgkmcnt(5)
	v_mfma_f32_16x16x16_bf16 a[0:3], v[38:39], v[122:123], 0
	s_add_i32 s3, s56, s67
	s_mul_hi_i32 s21, s3, s13
	s_mul_i32 s3, s3, s13
	s_waitcnt lgkmcnt(0)
	v_mfma_f32_16x16x16_bf16 a[4:7], v[38:39], v[34:35], 0
	ds_read_b64 v[38:39], v109
	ds_read2st64_b64 v[40:43], v98 offset0:2 offset1:4
	s_add_u32 s20, s3, s49
	s_addc_u32 s21, s21, s53
	s_add_i32 s3, s35, s62
	s_lshl_b64 s[20:21], s[20:21], 15
	s_mul_hi_i32 s25, s3, s13
	s_mul_i32 s3, s3, s13
	s_add_u32 s24, s3, s49
	s_waitcnt lgkmcnt(1)
	v_mfma_f32_16x16x16_bf16 a[8:11], v[38:39], v[122:123], 0
	s_addc_u32 s25, s25, s53
	ds_read2st64_b64 v[118:121], v97 offset0:4 offset1:6
	s_lshl_b64 s[24:25], s[24:25], 9
	v_mfma_f32_16x16x16_bf16 a[0:3], v[124:125], v[36:37], a[0:3]
	s_add_u32 s24, s40, s24
	s_addc_u32 s25, s41, s25
	s_waitcnt lgkmcnt(1)
	v_mfma_f32_16x16x16_bf16 a[4:7], v[124:125], v[40:41], a[4:7]
	ds_read_b64 v[124:125], v110
	ds_read_b64 v[132:133], v111
	;; [unrolled: 1-line block ×3, first 2 shown]
	v_mfma_f32_16x16x16_bf16 a[12:15], v[38:39], v[34:35], 0
	s_waitcnt lgkmcnt(2)
	v_mfma_f32_16x16x16_bf16 a[8:11], v[124:125], v[36:37], a[8:11]
	global_load_dwordx4 v[34:37], v108, s[24:25]
	v_mfma_f32_16x16x16_bf16 a[12:15], v[124:125], v[40:41], a[12:15]
	global_load_dwordx4 v[38:41], v47, s[24:25]
	ds_read2st64_b64 v[122:125], v99 offset1:8
	s_waitcnt lgkmcnt(0)
	v_mov_b32_e32 v130, v122
	v_mfma_f32_16x16x16_bf16 a[0:3], v[126:127], v[118:119], a[0:3]
	v_mov_b32_e32 v131, v123
	v_mfma_f32_16x16x16_bf16 a[4:7], v[126:127], v[42:43], a[4:7]
	ds_read2st64_b64 v[126:129], v100 offset1:8
	v_mfma_f32_16x16x16_bf16 a[8:11], v[132:133], v[118:119], a[8:11]
	v_lshl_add_u64 v[118:119], v[60:61], 0, s[20:21]
	v_mfma_f32_16x16x16_bf16 a[16:19], v[132:133], v[42:43], a[12:15]
	v_add_co_u32_e32 v42, vcc, s31, v118
	s_waitcnt lgkmcnt(0)
	v_mov_b32_e32 v132, v126
	v_mfma_f32_16x16x16_bf16 a[0:3], v[134:135], v[120:121], a[0:3]
	v_mov_b32_e32 v133, v127
	v_mov_b32_e32 v126, v124
	;; [unrolled: 1-line block ×3, first 2 shown]
	v_mfma_f32_16x16x16_bf16 a[4:7], v[134:135], v[136:137], a[4:7]
	v_addc_co_u32_e32 v43, vcc, 0, v119, vcc
	global_store_dwordx4 v[42:43], v[126:129], off
	v_mfma_f32_16x16x16_bf16 a[12:15], v[138:139], v[120:121], a[8:11]
	s_and_b64 vcc, exec, s[0:1]
	global_store_dwordx4 v[118:119], v[130:133], off
	s_waitcnt vmcnt(3)
	v_mov_b32_e32 v44, v37
	v_mfma_f32_16x16x16_bf16 a[8:11], v[138:139], v[136:137], a[16:19]
	v_mov_b32_e32 v43, v36
	v_mov_b32_e32 v42, v35
	s_cbranch_vccnz .LBB284_42
; %bb.41:                               ;   in Loop: Header=BB284_32 Depth=1
	v_lshrrev_b32_e32 v35, 3, v115
	v_and_b32_e32 v35, 6, v35
	v_xor_b32_e32 v36, v35, v116
	v_lshlrev_b32_e32 v36, 2, v36
	v_and_b32_e32 v37, 8, v115
	v_xor_b32_e32 v115, 0x440, v36
	v_cmp_eq_u32_e32 vcc, 0, v37
	v_perm_b32 v37, v22, v18, s63
	s_nop 0
	v_cndmask_b32_e32 v36, v115, v36, vcc
	v_lshl_or_b32 v35, v35, 10, v36
	v_perm_b32 v36, v30, v26, s63
	s_barrier
	ds_write2st64_b32 v35, v36, v37 offset0:32 offset1:64
	v_xor_b32_e32 v36, 8, v35
	v_perm_b32 v26, v30, v26, s64
	v_perm_b32 v18, v22, v18, s64
	v_add_u32_e32 v22, 0x80, v36
	ds_write2st64_b32 v22, v26, v18 offset0:32 offset1:64
	v_xor_b32_e32 v18, 16, v35
	v_perm_b32 v22, v31, v27, s63
	v_perm_b32 v26, v23, v19, s63
	ds_write2st64_b32 v18, v22, v26 offset0:33 offset1:65
	v_xor_b32_e32 v18, 24, v35
	v_perm_b32 v22, v31, v27, s64
	v_perm_b32 v19, v23, v19, s64
	v_add_u32_e32 v18, 0x80, v18
	ds_write2st64_b32 v18, v22, v19 offset0:33 offset1:65
	v_xor_b32_e32 v18, 32, v35
	v_perm_b32 v19, v32, v28, s63
	v_perm_b32 v22, v24, v20, s63
	;; [unrolled: 9-line block ×3, first 2 shown]
	ds_write2st64_b32 v18, v19, v20 offset0:35 offset1:67
	v_xor_b32_e32 v18, 56, v35
	v_perm_b32 v19, v33, v29, s64
	v_perm_b32 v20, v25, v21, s64
	v_add_u32_e32 v18, 0x80, v18
	ds_write2st64_b32 v18, v19, v20 offset0:35 offset1:67
	ds_write_b64 v114, v[14:15] offset:24576
	v_xor_b32_e32 v14, 8, v114
	ds_write_b64 v14, v[16:17] offset:24576
	ds_write_b64 v114, v[10:11] offset:32768
	;; [unrolled: 1-line block ×4, first 2 shown]
	v_xor_b32_e32 v6, 8, v113
	ds_write_b64 v6, v[8:9] offset:24576
	ds_write_b64 v113, v[2:3] offset:32768
	ds_write_b64 v6, v[4:5] offset:32768
.LBB284_42:                             ;   in Loop: Header=BB284_32 Depth=1
	v_exp_f32_e32 v18, s2
	s_waitcnt vmcnt(2)
	v_exp_f32_e32 v20, v38
	v_exp_f32_e32 v21, v39
	;; [unrolled: 1-line block ×4, first 2 shown]
	v_accvgpr_read_b32 v13, a3
	v_accvgpr_read_b32 v11, a1
	;; [unrolled: 1-line block ×4, first 2 shown]
	v_pk_mul_f32 v[20:21], v[18:19], v[20:21] op_sel_hi:[0,1]
	v_accvgpr_read_b32 v12, a2
	v_accvgpr_read_b32 v7, a5
	;; [unrolled: 1-line block ×3, first 2 shown]
	v_pk_fma_f32 v[50:51], v[50:51], v[20:21], v[10:11]
	v_pk_mul_f32 v[10:11], v[18:19], v[22:23] op_sel_hi:[0,1]
	v_pk_fma_f32 v[54:55], v[54:55], v[10:11], v[12:13]
	v_fma_f32 v71, v71, v20, v6
	v_fma_f32 v69, v69, v21, v7
	v_exp_f32_e32 v6, v34
	v_exp_f32_e32 v7, v42
	;; [unrolled: 1-line block ×4, first 2 shown]
	v_accvgpr_read_b32 v8, a6
	v_accvgpr_read_b32 v17, a15
	;; [unrolled: 1-line block ×9, first 2 shown]
	v_fma_f32 v73, v73, v10, v8
	v_fmac_f32_e32 v9, v80, v11
	v_pk_mul_f32 v[6:7], v[18:19], v[6:7] op_sel_hi:[0,1]
	v_pk_mul_f32 v[10:11], v[18:19], v[12:13] op_sel_hi:[0,1]
	s_add_i32 s62, s62, 64
	v_pk_fma_f32 v[48:49], v[48:49], v[6:7], v[14:15]
	v_pk_fma_f32 v[52:53], v[52:53], v[10:11], v[16:17]
	v_fma_f32 v72, v72, v6, v2
	v_fma_f32 v70, v70, v7, v3
	;; [unrolled: 1-line block ×3, first 2 shown]
	s_cmp_eq_u32 s52, s66
	v_fmac_f32_e32 v5, v78, v11
	s_cbranch_scc1 .LBB284_4
; %bb.43:                               ;   in Loop: Header=BB284_32 Depth=1
	s_mov_b32 s67, s66
	v_mov_b32_e32 v80, v9
	v_mov_b32_e32 v78, v5
	s_branch .LBB284_32
.LBB284_44:
                                        ; implicit-def: $vgpr5
                                        ; implicit-def: $vgpr9
                                        ; implicit-def: $vgpr13
                                        ; implicit-def: $vgpr17
	s_cbranch_execz .LBB284_46
; %bb.45:
	s_waitcnt vmcnt(0)
	v_mad_u64_u32 v[2:3], s[0:1], v20, s15, v[18:19]
	v_lshlrev_b32_e32 v20, 1, v2
	s_lshl_b32 s2, s15, 7
	s_and_b32 s1, s5, 0xffff
	s_mov_b32 s3, 0x20000
	s_mov_b32 s0, s4
	v_add_lshl_u32 v21, v2, s15, 1
	s_movk_i32 s13, 0x80
	buffer_load_dwordx4 v[2:5], v20, s[0:3], 0 offen
	buffer_load_dwordx4 v[10:13], v20, s[0:3], s13 offen
	;; [unrolled: 1-line block ×4, first 2 shown]
.LBB284_46:
	v_lshrrev_b32_e32 v30, 2, v45
	s_cbranch_execnz .LBB284_59
.LBB284_47:
	s_and_b64 vcc, exec, s[6:7]
	s_cbranch_vccz .LBB284_57
; %bb.48:
	s_waitcnt vmcnt(0)
	v_lshlrev_b32_e32 v7, 1, v23
	v_cmp_gt_i32_e32 vcc, s27, v7
	v_mov_b32_e32 v6, 0
	v_lshlrev_b32_e32 v14, 9, v23
	v_mov_b32_e32 v2, 0
	v_mov_b32_e32 v3, 0
	;; [unrolled: 1-line block ×4, first 2 shown]
	s_and_saveexec_b64 s[0:1], vcc
	s_cbranch_execz .LBB284_50
; %bb.49:
	v_mov_b32_e32 v15, 0
	v_lshl_add_u64 v[2:3], s[4:5], 0, v[14:15]
	v_lshlrev_b32_e32 v4, 1, v18
	v_mov_b32_e32 v5, v15
	v_lshl_add_u64 v[2:3], v[2:3], 0, v[4:5]
	global_load_dwordx4 v[2:5], v[2:3], off
.LBB284_50:
	s_or_b64 exec, exec, s[0:1]
	v_or_b32_e32 v7, 1, v7
	v_cmp_gt_i32_e64 s[0:1], s27, v7
	v_lshlrev_b32_e32 v20, 8, v7
	v_mov_b32_e32 v7, 0
	v_mov_b32_e32 v8, 0
	;; [unrolled: 1-line block ×3, first 2 shown]
	s_and_saveexec_b64 s[2:3], s[0:1]
	s_cbranch_execz .LBB284_52
; %bb.51:
	v_mov_b32_e32 v21, 0
	v_lshl_add_u64 v[6:7], s[4:5], 0, v[20:21]
	v_lshlrev_b32_e32 v8, 1, v18
	v_mov_b32_e32 v9, v21
	v_lshl_add_u64 v[6:7], v[6:7], 0, v[8:9]
	global_load_dwordx4 v[6:9], v[6:7], off
.LBB284_52:
	s_or_b64 exec, exec, s[2:3]
	v_mov_b32_e32 v17, 0
	v_mov_b32_e32 v10, 0
	;; [unrolled: 1-line block ×5, first 2 shown]
	s_and_saveexec_b64 s[2:3], vcc
	s_cbranch_execz .LBB284_54
; %bb.53:
	v_mov_b32_e32 v15, 0
	v_lshl_add_u64 v[10:11], s[4:5], 0, v[14:15]
	v_lshlrev_b32_e32 v14, 1, v18
	v_lshl_add_u64 v[10:11], v[10:11], 0, v[14:15]
	global_load_dwordx4 v[10:13], v[10:11], off offset:128
.LBB284_54:
	s_or_b64 exec, exec, s[2:3]
	v_mov_b32_e32 v16, 0
	v_mov_b32_e32 v15, 0
	;; [unrolled: 1-line block ×3, first 2 shown]
	s_and_saveexec_b64 s[2:3], s[0:1]
	s_cbranch_execz .LBB284_56
; %bb.55:
	v_mov_b32_e32 v21, 0
	v_lshl_add_u64 v[14:15], s[4:5], 0, v[20:21]
	v_lshlrev_b32_e32 v20, 1, v18
	v_lshl_add_u64 v[14:15], v[14:15], 0, v[20:21]
	global_load_dwordx4 v[14:17], v[14:15], off offset:128
.LBB284_56:
	s_or_b64 exec, exec, s[2:3]
	s_branch .LBB284_59
.LBB284_57:
                                        ; implicit-def: $vgpr5
                                        ; implicit-def: $vgpr9
                                        ; implicit-def: $vgpr13
                                        ; implicit-def: $vgpr17
	s_cbranch_execz .LBB284_59
; %bb.58:
	s_waitcnt vmcnt(0)
	v_lshlrev_b32_e32 v2, 1, v18
	v_lshl_or_b32 v18, v23, 9, v2
	s_and_b32 s5, s5, 0xffff
	s_mov_b32 s7, 0x20000
	s_movk_i32 s6, 0x4000
	s_movk_i32 s0, 0x80
	buffer_load_dwordx4 v[2:5], v18, s[4:7], 0 offen
	buffer_load_dwordx4 v[6:9], v18, s[4:7], 0 offen offset:256
	buffer_load_dwordx4 v[10:13], v18, s[4:7], s0 offen
	buffer_load_dwordx4 v[14:17], v18, s[4:7], s0 offen offset:256
.LBB284_59:
	ds_read_b64 v[20:21], v25 offset:32768
	v_add_u32_e32 v18, 0xb000, v24
	ds_read2_b64 v[32:35], v18 offset1:16
	ds_read_b64 v[40:41], v26 offset:32768
	ds_read_b64 v[26:27], v27 offset:32768
	ds_read_b64 v[42:43], v28 offset:32768
	v_and_b32_e32 v18, 6, v0
	v_xor_b32_e32 v23, v23, v18
	v_lshlrev_b32_e32 v23, 2, v23
	v_and_b32_e32 v0, 1, v0
	v_xor_b32_e32 v28, 0x440, v23
	v_cmp_eq_u32_e32 vcc, 0, v0
	s_waitcnt lgkmcnt(3)
	v_mfma_f32_16x16x16_bf16 a[0:3], v[20:21], v[32:33], a[0:3]
	s_mov_b32 s0, 0x1000504
	v_cndmask_b32_e32 v0, v28, v23, vcc
	v_lshl_or_b32 v0, v18, 10, v0
	v_mfma_f32_16x16x16_bf16 a[4:7], v[20:21], v[34:35], a[4:7]
	ds_read2st64_b64 v[32:35], v24 offset0:90 offset1:92
	ds_read2st64_b64 v[36:39], v29 offset0:90 offset1:92
	ds_read_b64 v[20:21], v24 offset:48128
	ds_read_b64 v[24:25], v29 offset:48128
	s_waitcnt vmcnt(0)
	v_perm_b32 v18, v2, v6, s0
	s_waitcnt lgkmcnt(3)
	v_mfma_f32_16x16x16_bf16 a[0:3], v[40:41], v[32:33], a[0:3]
	s_mov_b32 s1, 0x3020706
	v_perm_b32 v2, v2, v6, s1
	v_perm_b32 v6, v10, v14, s1
	s_waitcnt lgkmcnt(2)
	v_mfma_f32_16x16x16_bf16 a[4:7], v[40:41], v[36:37], a[4:7]
	v_mfma_f32_16x16x16_bf16 a[0:3], v[26:27], v[34:35], a[0:3]
	;; [unrolled: 1-line block ×3, first 2 shown]
	s_waitcnt lgkmcnt(1)
	v_mfma_f32_16x16x16_bf16 a[4:7], v[42:43], v[20:21], a[0:3]
	v_perm_b32 v20, v10, v14, s0
	ds_write2st64_b32 v0, v18, v20 offset0:32 offset1:64
	v_xor_b32_e32 v18, 8, v0
	v_add_u32_e32 v10, 0x80, v18
	ds_write2st64_b32 v10, v2, v6 offset0:32 offset1:64
	v_xor_b32_e32 v2, 16, v0
	v_perm_b32 v6, v3, v7, s0
	v_perm_b32 v10, v11, v15, s0
	ds_write2st64_b32 v2, v6, v10 offset0:33 offset1:65
	v_xor_b32_e32 v2, 24, v0
	v_perm_b32 v3, v3, v7, s1
	v_perm_b32 v6, v11, v15, s1
	v_add_u32_e32 v2, 0x80, v2
	ds_write2st64_b32 v2, v3, v6 offset0:33 offset1:65
	v_xor_b32_e32 v2, 32, v0
	v_perm_b32 v3, v4, v8, s0
	v_perm_b32 v6, v12, v16, s0
	s_waitcnt lgkmcnt(4)
	v_mfma_f32_16x16x16_bf16 a[0:3], v[42:43], v[24:25], a[8:11]
	ds_write2st64_b32 v2, v3, v6 offset0:34 offset1:66
	v_xor_b32_e32 v2, 40, v0
	v_perm_b32 v3, v4, v8, s1
	v_perm_b32 v4, v12, v16, s1
	v_add_u32_e32 v2, 0x80, v2
	ds_write2st64_b32 v2, v3, v4 offset0:34 offset1:66
	v_xor_b32_e32 v2, 48, v0
	v_perm_b32 v3, v5, v9, s0
	v_perm_b32 v4, v13, v17, s0
	v_xor_b32_e32 v0, 56, v0
	v_and_or_b32 v18, v30, 12, v1
	ds_write2st64_b32 v2, v3, v4 offset0:35 offset1:67
	v_perm_b32 v2, v5, v9, s1
	v_perm_b32 v3, v13, v17, s1
	v_add_u32_e32 v0, 0x80, v0
	v_cmp_gt_i32_e32 vcc, s27, v18
	v_mov_b32_e32 v14, 0
	v_mov_b32_e32 v16, 0
	ds_write2st64_b32 v0, v2, v3 offset0:35 offset1:67
	s_and_saveexec_b64 s[0:1], vcc
	s_cbranch_execz .LBB284_61
; %bb.60:
	v_add_u32_e32 v0, s26, v18
	v_ashrrev_i32_e32 v1, 31, v0
	v_mul_lo_u32 v2, v1, s28
	v_mul_lo_u32 v3, v0, s29
	v_mad_u64_u32 v[0:1], s[2:3], v0, s28, 0
	v_add3_u32 v1, v1, v3, v2
	v_lshl_add_u64 v[0:1], v[0:1], 2, s[10:11]
	global_load_dword v0, v[0:1], off
	s_waitcnt vmcnt(0)
	v_sub_f32_e32 v0, s12, v0
	v_exp_f32_e32 v16, v0
.LBB284_61:
	s_or_b64 exec, exec, s[0:1]
	v_or_b32_e32 v8, 1, v18
	v_cmp_gt_i32_e64 s[0:1], s27, v8
	s_and_saveexec_b64 s[2:3], s[0:1]
	s_cbranch_execz .LBB284_63
; %bb.62:
	v_add_u32_e32 v0, s26, v8
	v_ashrrev_i32_e32 v1, 31, v0
	v_mul_lo_u32 v2, v1, s28
	v_mul_lo_u32 v3, v0, s29
	v_mad_u64_u32 v[0:1], s[4:5], v0, s28, 0
	v_add3_u32 v1, v1, v3, v2
	v_lshl_add_u64 v[0:1], v[0:1], 2, s[10:11]
	global_load_dword v0, v[0:1], off
	s_waitcnt vmcnt(0)
	v_sub_f32_e32 v0, s12, v0
	v_exp_f32_e32 v14, v0
.LBB284_63:
	s_or_b64 exec, exec, s[2:3]
	v_or_b32_e32 v10, 2, v18
	v_cmp_gt_i32_e64 s[2:3], s27, v10
	v_mov_b32_e32 v15, 0
	v_mov_b32_e32 v17, 0
	s_and_saveexec_b64 s[4:5], s[2:3]
	s_cbranch_execz .LBB284_65
; %bb.64:
	v_add_u32_e32 v0, s26, v10
	v_ashrrev_i32_e32 v1, 31, v0
	v_mul_lo_u32 v2, v1, s28
	v_mul_lo_u32 v3, v0, s29
	v_mad_u64_u32 v[0:1], s[6:7], v0, s28, 0
	v_add3_u32 v1, v1, v3, v2
	v_lshl_add_u64 v[0:1], v[0:1], 2, s[10:11]
	global_load_dword v0, v[0:1], off
	s_waitcnt vmcnt(0)
	v_sub_f32_e32 v0, s12, v0
	v_exp_f32_e32 v17, v0
.LBB284_65:
	s_or_b64 exec, exec, s[4:5]
	v_or_b32_e32 v12, 3, v18
	v_cmp_gt_i32_e64 s[4:5], s27, v12
	s_and_saveexec_b64 s[6:7], s[4:5]
	s_cbranch_execz .LBB284_67
; %bb.66:
	v_add_u32_e32 v0, s26, v12
	v_ashrrev_i32_e32 v1, 31, v0
	v_mul_lo_u32 v2, v1, s28
	v_mul_lo_u32 v3, v0, s29
	v_mad_u64_u32 v[0:1], s[14:15], v0, s28, 0
	v_add3_u32 v1, v1, v3, v2
	v_lshl_add_u64 v[0:1], v[0:1], 2, s[10:11]
	global_load_dword v0, v[0:1], off
	s_waitcnt vmcnt(0)
	v_sub_f32_e32 v0, s12, v0
	v_exp_f32_e32 v15, v0
.LBB284_67:
	s_or_b64 exec, exec, s[6:7]
	s_add_u32 s6, s8, s20
	v_accvgpr_read_b32 v0, a4
	s_addc_u32 s7, s9, s21
	v_ashrrev_i32_e32 v47, 31, v46
	v_accvgpr_read_b32 v1, a5
	v_accvgpr_read_b32 v2, a6
	;; [unrolled: 1-line block ×3, first 2 shown]
	v_lshl_add_u64 v[4:5], v[46:47], 1, s[6:7]
	v_mov_b32_e32 v9, 0
	v_lshlrev_b32_e32 v6, 8, v18
	v_mov_b32_e32 v7, 0
	s_and_saveexec_b64 s[6:7], vcc
	s_cbranch_execz .LBB284_69
; %bb.68:
	v_mov_b32_e32 v7, 0
	v_lshl_add_u64 v[20:21], v[4:5], 0, v[6:7]
	global_load_ushort v7, v[20:21], off
	s_waitcnt vmcnt(0)
	v_lshlrev_b32_e32 v7, 16, v7
	v_sub_f32_e32 v0, v7, v0
	v_mul_f32_e32 v0, v16, v0
	v_lshrrev_b32_e32 v7, 16, v0
.LBB284_69:
	s_or_b64 exec, exec, s[6:7]
	v_lshlrev_b32_e32 v8, 8, v8
	s_and_saveexec_b64 s[6:7], s[0:1]
	s_cbranch_execz .LBB284_71
; %bb.70:
	v_mov_b32_e32 v9, 0
	v_lshl_add_u64 v[20:21], v[4:5], 0, v[8:9]
	global_load_ushort v0, v[20:21], off
	s_waitcnt vmcnt(0)
	v_lshlrev_b32_e32 v0, 16, v0
	v_sub_f32_e32 v0, v0, v1
	v_mul_f32_e32 v0, v14, v0
	v_lshrrev_b32_e32 v9, 16, v0
.LBB284_71:
	s_or_b64 exec, exec, s[6:7]
	v_mov_b32_e32 v13, 0
	v_lshlrev_b32_e32 v10, 8, v10
	v_mov_b32_e32 v11, 0
	s_and_saveexec_b64 s[6:7], s[2:3]
	s_cbranch_execz .LBB284_73
; %bb.72:
	v_mov_b32_e32 v11, 0
	v_lshl_add_u64 v[0:1], v[4:5], 0, v[10:11]
	global_load_ushort v0, v[0:1], off
	s_waitcnt vmcnt(0)
	v_lshlrev_b32_e32 v0, 16, v0
	v_sub_f32_e32 v0, v0, v2
	v_mul_f32_e32 v0, v17, v0
	v_lshrrev_b32_e32 v11, 16, v0
.LBB284_73:
	s_or_b64 exec, exec, s[6:7]
	v_lshlrev_b32_e32 v12, 8, v12
	s_and_saveexec_b64 s[6:7], s[4:5]
	s_cbranch_execz .LBB284_75
; %bb.74:
	v_mov_b32_e32 v13, 0
	v_lshl_add_u64 v[0:1], v[4:5], 0, v[12:13]
	global_load_ushort v0, v[0:1], off
	s_waitcnt vmcnt(0)
	v_lshlrev_b32_e32 v0, 16, v0
	v_sub_f32_e32 v0, v0, v3
	v_mul_f32_e32 v0, v15, v0
	v_lshrrev_b32_e32 v13, 16, v0
.LBB284_75:
	s_or_b64 exec, exec, s[6:7]
	v_lshlrev_b32_e32 v18, 5, v18
	s_mov_b32 s6, 0x5040100
	v_perm_b32 v20, v9, v7, s6
	v_or_b32_e32 v7, v18, v22
	v_accvgpr_read_b32 v0, a0
	v_perm_b32 v21, v13, v11, s6
	v_lshlrev_b32_e32 v7, 1, v7
	v_accvgpr_read_b32 v1, a1
	v_accvgpr_read_b32 v2, a2
	;; [unrolled: 1-line block ×3, first 2 shown]
	ds_write_b64 v7, v[20:21] offset:45056
	v_mov_b32_e32 v9, 0
	v_mov_b32_e32 v7, 0
	s_and_saveexec_b64 s[6:7], vcc
	s_cbranch_execz .LBB284_77
; %bb.76:
	v_mov_b32_e32 v7, 0
	v_lshl_add_u64 v[6:7], v[4:5], 0, v[6:7]
	global_load_ushort v6, v[6:7], off offset:32
	s_waitcnt vmcnt(0)
	v_lshlrev_b32_e32 v6, 16, v6
	v_sub_f32_e32 v0, v6, v0
	v_mul_f32_e32 v0, v16, v0
	v_lshrrev_b32_e32 v7, 16, v0
.LBB284_77:
	s_or_b64 exec, exec, s[6:7]
	s_and_saveexec_b64 s[6:7], s[0:1]
	s_cbranch_execz .LBB284_79
; %bb.78:
	v_mov_b32_e32 v9, 0
	v_lshl_add_u64 v[8:9], v[4:5], 0, v[8:9]
	global_load_ushort v0, v[8:9], off offset:32
	s_waitcnt vmcnt(0)
	v_lshlrev_b32_e32 v0, 16, v0
	v_sub_f32_e32 v0, v0, v1
	v_mul_f32_e32 v0, v14, v0
	v_lshrrev_b32_e32 v9, 16, v0
.LBB284_79:
	s_or_b64 exec, exec, s[6:7]
	v_mov_b32_e32 v0, 0
	v_mov_b32_e32 v1, 0
	s_and_saveexec_b64 s[0:1], s[2:3]
	s_cbranch_execz .LBB284_81
; %bb.80:
	v_mov_b32_e32 v11, 0
	v_lshl_add_u64 v[10:11], v[4:5], 0, v[10:11]
	global_load_ushort v1, v[10:11], off offset:32
	s_waitcnt vmcnt(0)
	v_lshlrev_b32_e32 v1, 16, v1
	v_sub_f32_e32 v1, v1, v2
	v_mul_f32_e32 v1, v17, v1
	v_lshrrev_b32_e32 v1, 16, v1
.LBB284_81:
	s_or_b64 exec, exec, s[0:1]
	s_and_saveexec_b64 s[0:1], s[4:5]
	s_cbranch_execz .LBB284_83
; %bb.82:
	v_mov_b32_e32 v13, 0
	v_lshl_add_u64 v[4:5], v[4:5], 0, v[12:13]
	global_load_ushort v0, v[4:5], off offset:32
	s_waitcnt vmcnt(0)
	v_lshlrev_b32_e32 v0, 16, v0
	v_sub_f32_e32 v0, v0, v3
	v_mul_f32_e32 v0, v15, v0
	v_lshrrev_b32_e32 v0, 16, v0
.LBB284_83:
	s_or_b64 exec, exec, s[0:1]
	s_mov_b32 s0, 0x5040100
	v_or_b32_e32 v2, v18, v19
	v_perm_b32 v1, v0, v1, s0
	v_perm_b32 v0, v9, v7, s0
	v_lshlrev_b32_e32 v2, 1, v2
	ds_write_b64 v2, v[0:1] offset:45056
	s_waitcnt lgkmcnt(0)
	s_barrier
.LBB284_84:
	s_endpgm
	.section	.rodata,"a",@progbits
	.p2align	6, 0x0
	.amdhsa_kernel _ZN12_GLOBAL__N_139chunk_gated_delta_rule_fwd_h_hip_kernelILi32ELb1ELb0ELb0ELb0ELb1ELb1ELb0ELb1EEEvPK12hip_bfloat16S3_S3_PKfS5_PKvPS1_S8_PvPKiSB_iiiiilll
		.amdhsa_group_segment_fixed_size 49152
		.amdhsa_private_segment_fixed_size 0
		.amdhsa_kernarg_size 136
		.amdhsa_user_sgpr_count 2
		.amdhsa_user_sgpr_dispatch_ptr 0
		.amdhsa_user_sgpr_queue_ptr 0
		.amdhsa_user_sgpr_kernarg_segment_ptr 1
		.amdhsa_user_sgpr_dispatch_id 0
		.amdhsa_user_sgpr_kernarg_preload_length 0
		.amdhsa_user_sgpr_kernarg_preload_offset 0
		.amdhsa_user_sgpr_private_segment_size 0
		.amdhsa_uses_dynamic_stack 0
		.amdhsa_enable_private_segment 0
		.amdhsa_system_sgpr_workgroup_id_x 1
		.amdhsa_system_sgpr_workgroup_id_y 1
		.amdhsa_system_sgpr_workgroup_id_z 0
		.amdhsa_system_sgpr_workgroup_info 0
		.amdhsa_system_vgpr_workitem_id 0
		.amdhsa_next_free_vgpr 160
		.amdhsa_next_free_sgpr 68
		.amdhsa_accum_offset 140
		.amdhsa_reserve_vcc 1
		.amdhsa_float_round_mode_32 0
		.amdhsa_float_round_mode_16_64 0
		.amdhsa_float_denorm_mode_32 3
		.amdhsa_float_denorm_mode_16_64 3
		.amdhsa_dx10_clamp 1
		.amdhsa_ieee_mode 1
		.amdhsa_fp16_overflow 0
		.amdhsa_tg_split 0
		.amdhsa_exception_fp_ieee_invalid_op 0
		.amdhsa_exception_fp_denorm_src 0
		.amdhsa_exception_fp_ieee_div_zero 0
		.amdhsa_exception_fp_ieee_overflow 0
		.amdhsa_exception_fp_ieee_underflow 0
		.amdhsa_exception_fp_ieee_inexact 0
		.amdhsa_exception_int_div_zero 0
	.end_amdhsa_kernel
	.section	.text._ZN12_GLOBAL__N_139chunk_gated_delta_rule_fwd_h_hip_kernelILi32ELb1ELb0ELb0ELb0ELb1ELb1ELb0ELb1EEEvPK12hip_bfloat16S3_S3_PKfS5_PKvPS1_S8_PvPKiSB_iiiiilll,"axG",@progbits,_ZN12_GLOBAL__N_139chunk_gated_delta_rule_fwd_h_hip_kernelILi32ELb1ELb0ELb0ELb0ELb1ELb1ELb0ELb1EEEvPK12hip_bfloat16S3_S3_PKfS5_PKvPS1_S8_PvPKiSB_iiiiilll,comdat
.Lfunc_end284:
	.size	_ZN12_GLOBAL__N_139chunk_gated_delta_rule_fwd_h_hip_kernelILi32ELb1ELb0ELb0ELb0ELb1ELb1ELb0ELb1EEEvPK12hip_bfloat16S3_S3_PKfS5_PKvPS1_S8_PvPKiSB_iiiiilll, .Lfunc_end284-_ZN12_GLOBAL__N_139chunk_gated_delta_rule_fwd_h_hip_kernelILi32ELb1ELb0ELb0ELb0ELb1ELb1ELb0ELb1EEEvPK12hip_bfloat16S3_S3_PKfS5_PKvPS1_S8_PvPKiSB_iiiiilll
                                        ; -- End function
	.section	.AMDGPU.csdata,"",@progbits
; Kernel info:
; codeLenInByte = 8652
; NumSgprs: 74
; NumVgprs: 140
; NumAgprs: 20
; TotalNumVgprs: 160
; ScratchSize: 0
; MemoryBound: 0
; FloatMode: 240
; IeeeMode: 1
; LDSByteSize: 49152 bytes/workgroup (compile time only)
; SGPRBlocks: 9
; VGPRBlocks: 19
; NumSGPRsForWavesPerEU: 74
; NumVGPRsForWavesPerEU: 160
; AccumOffset: 140
; Occupancy: 1
; WaveLimiterHint : 1
; COMPUTE_PGM_RSRC2:SCRATCH_EN: 0
; COMPUTE_PGM_RSRC2:USER_SGPR: 2
; COMPUTE_PGM_RSRC2:TRAP_HANDLER: 0
; COMPUTE_PGM_RSRC2:TGID_X_EN: 1
; COMPUTE_PGM_RSRC2:TGID_Y_EN: 1
; COMPUTE_PGM_RSRC2:TGID_Z_EN: 0
; COMPUTE_PGM_RSRC2:TIDIG_COMP_CNT: 0
; COMPUTE_PGM_RSRC3_GFX90A:ACCUM_OFFSET: 34
; COMPUTE_PGM_RSRC3_GFX90A:TG_SPLIT: 0
	.section	.text._ZN12_GLOBAL__N_139chunk_gated_delta_rule_fwd_h_hip_kernelILi32ELb0ELb1ELb1ELb0ELb1ELb1ELb0ELb1EEEvPK12hip_bfloat16S3_S3_PKfS5_PKvPS1_S8_PvPKiSB_iiiiilll,"axG",@progbits,_ZN12_GLOBAL__N_139chunk_gated_delta_rule_fwd_h_hip_kernelILi32ELb0ELb1ELb1ELb0ELb1ELb1ELb0ELb1EEEvPK12hip_bfloat16S3_S3_PKfS5_PKvPS1_S8_PvPKiSB_iiiiilll,comdat
	.globl	_ZN12_GLOBAL__N_139chunk_gated_delta_rule_fwd_h_hip_kernelILi32ELb0ELb1ELb1ELb0ELb1ELb1ELb0ELb1EEEvPK12hip_bfloat16S3_S3_PKfS5_PKvPS1_S8_PvPKiSB_iiiiilll ; -- Begin function _ZN12_GLOBAL__N_139chunk_gated_delta_rule_fwd_h_hip_kernelILi32ELb0ELb1ELb1ELb0ELb1ELb1ELb0ELb1EEEvPK12hip_bfloat16S3_S3_PKfS5_PKvPS1_S8_PvPKiSB_iiiiilll
	.p2align	8
	.type	_ZN12_GLOBAL__N_139chunk_gated_delta_rule_fwd_h_hip_kernelILi32ELb0ELb1ELb1ELb0ELb1ELb1ELb0ELb1EEEvPK12hip_bfloat16S3_S3_PKfS5_PKvPS1_S8_PvPKiSB_iiiiilll,@function
_ZN12_GLOBAL__N_139chunk_gated_delta_rule_fwd_h_hip_kernelILi32ELb0ELb1ELb1ELb0ELb1ELb1ELb0ELb1EEEvPK12hip_bfloat16S3_S3_PKfS5_PKvPS1_S8_PvPKiSB_iiiiilll: ; @_ZN12_GLOBAL__N_139chunk_gated_delta_rule_fwd_h_hip_kernelILi32ELb0ELb1ELb1ELb0ELb1ELb1ELb0ELb1EEEvPK12hip_bfloat16S3_S3_PKfS5_PKvPS1_S8_PvPKiSB_iiiiilll
; %bb.0:
	s_load_dwordx4 s[12:15], s[0:1], 0x5c
	s_load_dwordx2 s[34:35], s[0:1], 0x40
	s_abs_i32 s22, s3
	s_ashr_i32 s21, s3, 31
	s_load_dwordx8 s[4:11], s[0:1], 0x0
	s_load_dwordx2 s[36:37], s[0:1], 0x20
	s_load_dwordx4 s[16:19], s[0:1], 0x30
	s_waitcnt lgkmcnt(0)
	s_abs_i32 s20, s13
	v_cvt_f32_u32_e32 v1, s20
	s_sub_i32 s24, 0, s20
	s_ashr_i32 s23, s13, 31
	s_xor_b32 s21, s21, s23
	v_rcp_iflag_f32_e32 v1, v1
	v_lshrrev_b32_e32 v53, 6, v0
	v_bfe_u32 v64, v0, 4, 2
	v_lshlrev_b32_e32 v62, 4, v53
	v_mul_f32_e32 v1, 0x4f7ffffe, v1
	v_cvt_u32_f32_e32 v1, v1
	v_lshlrev_b32_e32 v18, 2, v64
	v_and_b32_e32 v63, 63, v0
	v_mov_b32_e32 v17, 0
	v_readfirstlane_b32 s25, v1
	s_mul_i32 s24, s24, s25
	s_mul_hi_u32 s24, s25, s24
	s_add_i32 s25, s25, s24
	s_mul_hi_u32 s24, s22, s25
	s_mul_i32 s25, s24, s20
	s_sub_i32 s22, s22, s25
	s_add_i32 s25, s24, 1
	s_sub_i32 s26, s22, s20
	s_cmp_ge_u32 s22, s20
	s_cselect_b32 s24, s25, s24
	s_cselect_b32 s22, s26, s22
	s_add_i32 s25, s24, 1
	s_cmp_ge_u32 s22, s20
	s_cselect_b32 s22, s25, s24
	s_xor_b32 s22, s22, s21
	s_sub_i32 s52, s22, s21
	s_abs_i32 s21, s14
	v_cvt_f32_u32_e32 v1, s21
	s_ashr_i32 s51, s12, 31
	s_lshr_b32 s22, s51, 26
	s_add_i32 s22, s12, s22
	v_rcp_iflag_f32_e32 v1, v1
	s_ashr_i32 s54, s14, 31
	s_ashr_i32 s53, s22, 6
	s_xor_b32 s22, s23, s54
	v_mul_f32_e32 v1, 0x4f7ffffe, v1
	v_cvt_u32_f32_e32 v1, v1
	s_sub_i32 s23, 0, s21
	s_mul_i32 s50, s52, s13
	s_sub_i32 s33, s3, s50
	v_readfirstlane_b32 s24, v1
	s_mul_i32 s23, s23, s24
	s_mul_hi_u32 s23, s24, s23
	s_add_i32 s24, s24, s23
	s_mul_hi_u32 s23, s20, s24
	s_mul_i32 s24, s23, s21
	s_sub_i32 s20, s20, s24
	s_add_i32 s3, s12, 63
	s_add_i32 s24, s23, 1
	s_sub_i32 s25, s20, s21
	s_cmp_ge_u32 s20, s21
	s_cselect_b32 s23, s24, s23
	s_cselect_b32 s20, s25, s20
	s_add_i32 s24, s23, 1
	s_cmp_ge_u32 s20, s21
	s_cselect_b32 s20, s24, s23
	s_xor_b32 s20, s20, s22
	s_sub_i32 s24, s20, s22
	s_abs_i32 s25, s24
	v_cvt_f32_u32_e32 v1, s25
	s_load_dwordx2 s[38:39], s[0:1], 0x80
	s_load_dwordx4 s[20:23], s[0:1], 0x70
	s_xor_b32 s0, s33, s24
	s_sub_i32 s24, 0, s25
	v_rcp_iflag_f32_e32 v1, v1
	s_abs_i32 s1, s33
	s_ashr_i32 s0, s0, 31
	s_mul_i32 s48, s52, s12
	v_mul_f32_e32 v1, 0x4f7ffffe, v1
	v_cvt_u32_f32_e32 v1, v1
	v_and_b32_e32 v65, 15, v0
	s_mul_hi_i32 s56, s52, s13
	v_lshrrev_b32_e32 v67, 3, v63
	v_readfirstlane_b32 s26, v1
	s_mul_i32 s24, s24, s26
	s_mul_hi_u32 s24, s26, s24
	s_add_i32 s26, s26, s24
	s_mul_hi_u32 s24, s1, s26
	s_mul_i32 s26, s24, s25
	s_sub_i32 s1, s1, s26
	s_add_i32 s26, s24, 1
	s_sub_i32 s27, s1, s25
	s_cmp_ge_u32 s1, s25
	s_cselect_b32 s24, s26, s24
	s_cselect_b32 s1, s27, s1
	s_add_i32 s26, s24, 1
	s_cmp_ge_u32 s1, s25
	s_cselect_b32 s1, s26, s24
	s_xor_b32 s1, s1, s0
	s_sub_i32 s57, s1, s0
	s_ashr_i32 s0, s3, 31
	s_lshr_b32 s0, s0, 26
	s_add_i32 s3, s3, s0
	v_or_b32_e32 v1, v18, v62
	s_ashr_i32 s0, s3, 6
	s_lshl_b32 s2, s2, 5
	s_mul_i32 s55, s52, s0
	v_or_b32_e32 v68, 64, v1
	s_cmp_lt_i32 s12, 64
	v_lshlrev_b32_e32 v66, 3, v0
	s_waitcnt lgkmcnt(0)
	s_mul_i32 s21, s52, s21
	s_mul_hi_u32 s49, s52, s20
	s_mul_i32 s40, s52, s20
	v_mov_b32_e32 v16, v17
	v_mov_b32_e32 v15, v17
	;; [unrolled: 1-line block ×15, first 2 shown]
	s_cbranch_scc1 .LBB285_19
; %bb.1:
	s_ashr_i32 s3, s52, 31
	s_ashr_i32 s59, s33, 31
	s_add_u32 s0, s50, s33
	s_addc_u32 s1, s56, s59
	s_mul_i32 s1, s12, s1
	s_mul_hi_u32 s24, s12, s0
	s_add_i32 s43, s24, s1
	s_mul_i32 s42, s12, s0
	s_lshl_b64 s[0:1], s[42:43], 8
	v_and_b32_e32 v70, 56, v66
	s_add_u32 s24, s6, s0
	v_lshl_or_b32 v69, v53, 3, v67
	v_lshlrev_b32_e32 v2, 1, v70
	s_addc_u32 s0, s7, s1
	v_lshl_or_b32 v71, v69, 8, v2
	s_and_b32 s25, s0, 0xffff
	s_mov_b32 s27, 0x20000
	s_movk_i32 s26, 0x4000
	s_movk_i32 s0, 0x80
	v_or_b32_e32 v72, 0x2000, v71
	buffer_load_dwordx4 v[4:7], v71, s[24:27], 0 offen
	buffer_load_dwordx4 v[8:11], v71, s[24:27], s0 offen
	;; [unrolled: 1-line block ×4, first 2 shown]
	v_lshlrev_b32_e32 v3, 3, v69
	v_and_or_b32 v17, v0, 7, v3
	v_and_b32_e32 v3, 0x78, v3
	v_lshlrev_b32_e32 v17, 4, v17
	v_xor_b32_e32 v73, v17, v3
	v_mul_lo_u32 v16, v69, s15
	v_or_b32_e32 v74, 0x1000, v73
	v_xor_b32_e32 v3, 8, v73
	s_cmpk_eq_i32 s15, 0x80
	s_mov_b32 s58, s14
	v_xor_b32_e32 v17, 8, v74
	s_cselect_b64 s[0:1], -1, 0
	s_cmpk_lg_i32 s15, 0x80
	s_waitcnt vmcnt(3)
	ds_write_b64 v73, v[4:5] offset:24576
	ds_write_b64 v3, v[6:7] offset:24576
	s_waitcnt vmcnt(2)
	ds_write_b64 v73, v[8:9] offset:32768
	ds_write_b64 v3, v[10:11] offset:32768
	;; [unrolled: 3-line block ×4, first 2 shown]
	v_lshl_add_u32 v3, v16, 1, v70
	s_cbranch_scc0 .LBB285_3
; %bb.2:
	v_lshlrev_b32_e32 v5, 1, v3
	v_add_lshl_u32 v4, v3, s15, 1
	s_lshl_b32 s26, s15, 7
	v_lshl_or_b32 v2, v69, 9, v2
	s_cbranch_execz .LBB285_4
	s_branch .LBB285_5
.LBB285_3:
                                        ; implicit-def: $vgpr4
                                        ; implicit-def: $vgpr5
                                        ; implicit-def: $sgpr26
	v_lshl_or_b32 v2, v69, 9, v2
.LBB285_4:
	v_or_b32_e32 v4, 0x100, v2
	s_movk_i32 s26, 0x4000
	v_mov_b32_e32 v5, v2
.LBB285_5:
	s_mul_hi_u32 s24, s14, s12
	s_mul_i32 s25, s54, s12
	s_add_i32 s24, s24, s25
	s_mul_i32 s25, s14, s12
	s_mul_i32 s27, s25, s3
	s_mul_hi_u32 s28, s25, s52
	s_add_i32 s27, s28, s27
	s_mul_i32 s24, s24, s52
	s_add_i32 s27, s27, s24
	s_mul_i32 s25, s25, s52
	s_ashr_i32 s60, s57, 31
	s_add_u32 s24, s25, s57
	s_addc_u32 s25, s27, s60
	s_lshl_b64 s[24:25], s[24:25], 8
	s_add_u32 s24, s4, s24
	s_addc_u32 s25, s5, s25
	s_and_b32 s25, s25, 0xffff
	s_mov_b32 s27, 0x20000
	s_movk_i32 s61, 0x80
	buffer_load_dwordx4 v[6:9], v5, s[24:27], 0 offen
	buffer_load_dwordx4 v[10:13], v5, s[24:27], s61 offen
	;; [unrolled: 1-line block ×4, first 2 shown]
	v_and_b32_e32 v4, 6, v0
	s_mul_i32 s24, s3, s12
	s_mul_hi_u32 s25, s52, s12
	v_lshlrev_b32_e32 v24, 6, v1
	v_or_b32_e32 v26, 16, v65
	v_xor_b32_e32 v27, v69, v4
	v_and_b32_e32 v5, 1, v0
	v_lshl_or_b32 v30, v65, 3, v24
	v_lshl_or_b32 v24, v26, 3, v24
	v_lshlrev_b32_e32 v27, 2, v27
	s_add_i32 s65, s25, s24
	s_add_i32 s24, s49, s21
	s_mul_i32 s3, s3, s20
	v_lshlrev_b32_e32 v19, 2, v65
	v_or_b32_e32 v77, 0xa000, v24
	v_or_b32_e32 v78, 0xb000, v24
	v_xor_b32_e32 v24, 0x440, v27
	v_cmp_eq_u32_e32 vcc, 0, v5
	s_add_i32 s41, s24, s3
	s_mul_i32 s3, s33, s23
	s_mul_hi_u32 s24, s33, s22
	v_xor_b32_e32 v28, v1, v19
	v_xor_b32_e32 v29, v68, v19
	v_cndmask_b32_e32 v5, v24, v27, vcc
	s_add_i32 s3, s24, s3
	s_mul_i32 s24, s59, s22
	s_mov_b32 s63, 0x1000504
	v_lshlrev_b32_e32 v25, 8, v65
	v_lshlrev_b32_e32 v28, 1, v28
	;; [unrolled: 1-line block ×3, first 2 shown]
	v_lshl_or_b32 v4, v4, 10, v5
	s_add_i32 s25, s3, s24
	s_lshl_b64 s[28:29], s[40:41], 2
	s_mov_b32 s64, 0x3020706
	v_or_b32_e32 v75, 0xa000, v30
	v_or_b32_e32 v76, 0xb000, v30
	;; [unrolled: 1-line block ×4, first 2 shown]
	v_xor_b32_e32 v5, 8, v4
	v_xor_b32_e32 v25, 24, v4
	v_xor_b32_e32 v30, 40, v4
	v_xor_b32_e32 v32, 56, v4
	s_mul_i32 s24, s33, s22
	s_add_u32 s3, s10, s28
	v_xor_b32_e32 v24, 16, v4
	v_xor_b32_e32 v27, 32, v4
	;; [unrolled: 1-line block ×3, first 2 shown]
	v_add_u32_e32 v5, 0x80, v5
	v_add_u32_e32 v25, 0x80, v25
	;; [unrolled: 1-line block ×4, first 2 shown]
	s_addc_u32 s26, s11, s29
	s_lshl_b64 s[24:25], s[24:25], 2
	s_add_u32 s44, s3, s24
	s_movk_i32 s3, 0xf8
	s_addc_u32 s45, s26, s25
	s_lshl_b32 s30, s15, 7
	s_movk_i32 s28, 0x100
	v_mov_b32_e32 v55, 0
	v_lshlrev_b32_e32 v54, 4, v65
	v_cmp_gt_u32_e32 vcc, s28, v0
	v_lshlrev_b32_e32 v26, 8, v26
	v_or_b32_e32 v81, v26, v28
	v_or_b32_e32 v82, v26, v29
	s_mov_b32 s62, 0
	s_movk_i32 s41, 0x1000
	s_movk_i32 s26, 0x4000
	v_add_u32_e32 v96, v62, v18
	s_mov_b32 s66, 0x7060302
	s_mov_b32 s68, 0
	v_mov_b32_e32 v107, v55
	v_mov_b32_e32 v108, v55
	;; [unrolled: 1-line block ×8, first 2 shown]
	s_waitcnt vmcnt(1)
	v_perm_b32 v33, v6, v14, s63
	s_waitcnt vmcnt(0)
	v_perm_b32 v34, v10, v20, s63
	v_perm_b32 v6, v6, v14, s64
	;; [unrolled: 1-line block ×15, first 2 shown]
	ds_write2st64_b32 v4, v33, v34 offset0:32 offset1:64
	ds_write2st64_b32 v5, v6, v10 offset0:32 offset1:64
	;; [unrolled: 1-line block ×8, first 2 shown]
	v_or_b32_e32 v4, v62, v65
	v_lshlrev_b32_e32 v4, 3, v4
	v_lshrrev_b32_e32 v6, 5, v63
	v_and_or_b32 v6, v4, s3, v6
	v_lshlrev_b32_e32 v6, 4, v6
	v_lshrrev_b32_e32 v5, 2, v63
	v_lshlrev_b32_e32 v11, 11, v53
	v_and_b32_e32 v4, 0x78, v4
	v_or_b32_e32 v10, 32, v6
	v_and_b32_e32 v7, 12, v5
	v_and_b32_e32 v5, 0x1000, v11
	v_xor_b32_e32 v8, v6, v4
	v_lshrrev_b32_e32 v9, 1, v63
	v_xor_b32_e32 v10, v10, v4
	v_or_b32_e32 v8, v8, v5
	v_and_b32_e32 v9, 8, v9
	v_lshlrev_b32_e32 v12, 7, v64
	v_or_b32_e32 v10, v10, v5
	v_xor_b32_e32 v83, v8, v9
	v_or_b32_e32 v8, v12, v19
	v_xor_b32_e32 v85, v10, v9
	v_or_b32_e32 v10, 64, v6
	v_or_b32_e32 v6, 0x60, v6
	s_ashr_i32 s3, s2, 31
	v_lshlrev_b32_e32 v8, 1, v8
	v_xor_b32_e32 v10, v10, v4
	v_xor_b32_e32 v4, v6, v4
	s_lshl_b64 s[24:25], s[2:3], 8
	v_or_b32_e32 v84, 0xa000, v8
	v_or_b32_e32 v86, 0xa080, v8
	;; [unrolled: 1-line block ×6, first 2 shown]
	s_add_u32 s24, s16, s24
	v_lshlrev_b32_e32 v8, 1, v65
	v_lshlrev_b32_e32 v19, 2, v0
	v_lshrrev_b32_e32 v22, 1, v0
	v_xor_b32_e32 v87, v10, v9
	v_xor_b32_e32 v88, v4, v9
	v_lshrrev_b32_e32 v10, 4, v0
	s_addc_u32 s25, s17, s25
	v_or_b32_e32 v9, 1, v8
	v_mov_b32_e32 v20, 0x4000
	v_mov_b32_e32 v21, 0x2000
	v_and_b32_e32 v22, 24, v22
	v_and_or_b32 v12, v19, 60, v12
	v_mov_b32_e32 v19, 0xb000
	v_xor_b32_e32 v15, v10, v8
	v_xor_b32_e32 v16, v9, v10
	v_lshl_add_u64 v[8:9], s[24:25], 0, v[54:55]
	v_lshlrev_b32_e32 v54, 8, v10
	v_cndmask_b32_e32 v20, v20, v21, vcc
	v_lshlrev_b32_e32 v21, 3, v53
	v_lshl_or_b32 v93, v12, 1, v19
	v_or_b32_e32 v12, 32, v22
	v_lshl_or_b32 v91, v15, 3, v54
	v_and_b32_e32 v15, 8, v0
	v_xor_b32_e32 v12, v21, v12
	v_cmp_eq_u32_e32 vcc, 0, v15
	v_or_b32_e32 v19, 0x440, v12
	v_and_b32_e32 v10, 7, v0
	v_cndmask_b32_e32 v12, v19, v12, vcc
	v_lshl_or_b32 v92, v16, 3, v54
	v_lshlrev_b32_e32 v16, 3, v10
	v_or_b32_e32 v12, v12, v11
	v_xor_b32_e32 v19, v12, v16
	v_or_b32_e32 v12, 64, v22
	v_xor_b32_e32 v12, v21, v12
	v_xor_b32_e32 v25, 0x440, v12
	v_cndmask_b32_e32 v12, v25, v12, vcc
	v_or_b32_e32 v12, v12, v11
	v_xor_b32_e32 v25, v12, v16
	v_or_b32_e32 v12, 0x60, v22
	v_xor_b32_e32 v23, v21, v22
	v_xor_b32_e32 v12, v21, v12
	v_or_b32_e32 v24, 0x440, v23
	v_xor_b32_e32 v21, 0x440, v12
	v_cndmask_b32_e32 v15, v24, v23, vcc
	v_cndmask_b32_e32 v12, v21, v12, vcc
	v_or_b32_e32 v4, s2, v65
	v_or_b32_e32 v15, v15, v11
	;; [unrolled: 1-line block ×3, first 2 shown]
	v_ashrrev_i32_e32 v5, 31, v4
	v_lshlrev_b32_e32 v13, 1, v3
	v_add_lshl_u32 v3, v3, s15, 1
	v_or_b32_e32 v14, 0x100, v2
	v_xor_b32_e32 v15, v15, v16
	v_xor_b32_e32 v11, v11, v16
	v_lshlrev_b32_e32 v6, 7, v1
	v_lshlrev_b32_e32 v17, 7, v10
	v_or_b32_e32 v10, v7, v62
	v_add_u32_e32 v23, v20, v15
	v_add_u32_e32 v24, v20, v19
	;; [unrolled: 1-line block ×4, first 2 shown]
	v_or3_b32 v12, v62, v7, 64
	v_add_u32_e32 v7, 0x4000, v15
	v_add_u32_e32 v15, 0x4000, v19
	;; [unrolled: 1-line block ×4, first 2 shown]
	v_cndmask_b32_e64 v94, v13, v2, s[0:1]
	v_cndmask_b32_e64 v95, v3, v14, s[0:1]
	v_lshlrev_b64 v[2:3], 1, v[4:5]
	v_lshl_add_u64 v[56:57], s[8:9], 0, v[2:3]
	v_lshl_add_u64 v[58:59], s[18:19], 0, v[2:3]
	;; [unrolled: 1-line block ×3, first 2 shown]
	s_add_i32 s3, s48, 63
	v_lshlrev_b32_e32 v54, 1, v6
	v_lshlrev_b32_e32 v97, 2, v10
	v_add_u32_e32 v98, v23, v17
	v_add_u32_e32 v99, v24, v17
	;; [unrolled: 1-line block ×4, first 2 shown]
	v_lshlrev_b32_e32 v102, 2, v12
	v_add_u32_e32 v103, v7, v17
	v_add_u32_e32 v104, v15, v17
	;; [unrolled: 1-line block ×4, first 2 shown]
	v_mov_b32_e32 v2, v55
	v_mov_b32_e32 v3, v55
	v_mov_b32_e32 v4, v55
	v_mov_b32_e32 v5, v55
	v_mov_b32_e32 v6, v55
	v_mov_b32_e32 v7, v55
	v_mov_b32_e32 v8, v55
	v_mov_b32_e32 v9, v55
	s_waitcnt lgkmcnt(0)
	s_barrier
.LBB285_6:                              ; =>This Inner Loop Header: Depth=1
	s_add_i32 s67, s68, 1
	s_cmp_lt_i32 s67, s53
	s_mov_b64 s[28:29], 0
	s_cselect_b64 s[46:47], -1, 0
	s_cmp_ge_i32 s67, s53
	s_mov_b64 s[24:25], 0
	s_cbranch_scc1 .LBB285_8
; %bb.7:                                ;   in Loop: Header=BB285_6 Depth=1
	s_add_i32 s0, s62, 64
	s_add_u32 s0, s42, s0
	s_addc_u32 s1, s43, 0
	s_lshl_b64 s[0:1], s[0:1], 8
	s_add_u32 s24, s6, s0
	s_addc_u32 s25, s7, s1
.LBB285_8:                              ;   in Loop: Header=BB285_6 Depth=1
	v_cndmask_b32_e64 v10, 0, 1, s[46:47]
	v_cmp_ne_u32_e64 s[0:1], 1, v10
	s_andn2_b64 vcc, exec, s[46:47]
	s_cbranch_vccnz .LBB285_10
; %bb.9:                                ;   in Loop: Header=BB285_6 Depth=1
	s_add_i32 s28, s62, 64
	s_add_u32 s28, s48, s28
	s_addc_u32 s29, s65, 0
	s_mul_i32 s31, s28, s54
	s_mul_hi_u32 s46, s28, s58
	s_add_i32 s31, s46, s31
	s_mul_i32 s29, s29, s58
	s_add_i32 s31, s31, s29
	s_mul_i32 s28, s28, s58
	s_add_u32 s28, s28, s57
	s_addc_u32 s29, s31, s60
	s_lshl_b64 s[28:29], s[28:29], 8
	s_add_u32 s28, s4, s28
	s_addc_u32 s29, s5, s29
.LBB285_10:                             ;   in Loop: Header=BB285_6 Depth=1
	v_perm_b32 v11, v5, v4, s66
	v_perm_b32 v10, v3, v2, s66
	;; [unrolled: 1-line block ×4, first 2 shown]
	ds_write_b64 v75, v[10:11]
	ds_write_b64 v76, v[12:13]
	;; [unrolled: 1-line block ×4, first 2 shown]
	v_perm_b32 v11, v114, v109, s66
	v_perm_b32 v10, v108, v107, s66
	;; [unrolled: 1-line block ×4, first 2 shown]
	ds_write_b64 v77, v[10:11]
	ds_write_b64 v78, v[12:13]
	;; [unrolled: 1-line block ×4, first 2 shown]
	s_waitcnt lgkmcnt(0)
	s_barrier
	ds_read_b64 v[14:15], v83 offset:24576
	ds_read2_b64 v[10:13], v84 offset1:16
	ds_read_b64 v[18:19], v86 offset:3072
	ds_read_b64 v[20:21], v84 offset:3072
	;; [unrolled: 1-line block ×3, first 2 shown]
	s_waitcnt lgkmcnt(3)
	v_mfma_f32_16x16x16_bf16 a[0:3], v[14:15], v[10:11], 0
	s_add_i32 s31, s62, 63
	s_mul_i32 s46, s31, s39
	s_mul_hi_u32 s47, s31, s38
	v_mfma_f32_16x16x16_bf16 a[4:7], v[14:15], v[12:13], 0
	ds_read2st64_b64 v[10:13], v84 offset0:2 offset1:4
	ds_read2st64_b64 v[14:17], v86 offset0:2 offset1:4
	s_add_i32 s47, s47, s46
	s_waitcnt lgkmcnt(1)
	v_mfma_f32_16x16x16_bf16 a[0:3], v[22:23], v[10:11], a[0:3]
	s_mul_i32 s46, s31, s38
	s_lshl_b64 s[46:47], s[46:47], 2
	s_add_u32 s46, s44, s46
	s_waitcnt lgkmcnt(0)
	v_mfma_f32_16x16x16_bf16 a[4:7], v[22:23], v[14:15], a[4:7]
	ds_read_b64 v[10:11], v87 offset:24576
	ds_read_b64 v[14:15], v88 offset:24576
	s_addc_u32 s47, s45, s47
	s_and_b64 vcc, exec, s[0:1]
	s_waitcnt lgkmcnt(1)
	v_mfma_f32_16x16x16_bf16 a[0:3], v[10:11], v[12:13], a[0:3]
	v_mov_b32_e32 v117, 0
	v_mov_b32_e32 v116, 0
	;; [unrolled: 1-line block ×3, first 2 shown]
	v_mfma_f32_16x16x16_bf16 a[8:11], v[10:11], v[16:17], a[4:7]
	v_mov_b32_e32 v10, 0
	v_mov_b32_e32 v11, 0
	v_mov_b32_e32 v12, 0
	s_waitcnt lgkmcnt(0)
	v_mfma_f32_16x16x16_bf16 a[4:7], v[14:15], v[20:21], a[0:3]
	v_mov_b32_e32 v13, 0
	v_mov_b32_e32 v16, 0
	;; [unrolled: 1-line block ×3, first 2 shown]
	v_mfma_f32_16x16x16_bf16 a[0:3], v[14:15], v[18:19], a[8:11]
	v_mov_b32_e32 v14, 0
	v_mov_b32_e32 v15, 0
	;; [unrolled: 1-line block ×10, first 2 shown]
	s_cbranch_vccnz .LBB285_12
; %bb.11:                               ;   in Loop: Header=BB285_6 Depth=1
	s_and_b32 s25, s25, 0xffff
	buffer_load_dwordx4 v[22:25], v71, s[24:27], 0 offen
	buffer_load_dwordx4 v[18:21], v71, s[24:27], s61 offen
	;; [unrolled: 1-line block ×4, first 2 shown]
	v_mov_b32_e32 v116, v73
	v_mov_b32_e32 v115, v74
.LBB285_12:                             ;   in Loop: Header=BB285_6 Depth=1
	ds_read_b64 v[34:35], v83 offset:32768
	ds_read2_b64 v[26:29], v89 offset1:16
	ds_read_b64 v[36:37], v85 offset:32768
	ds_read_b64 v[38:39], v87 offset:32768
	;; [unrolled: 1-line block ×3, first 2 shown]
	ds_read2st64_b64 v[30:33], v89 offset0:2 offset1:4
	v_add_u32_e32 v42, s62, v96
	s_waitcnt lgkmcnt(4)
	v_mfma_f32_16x16x16_bf16 a[4:7], v[34:35], v[26:27], a[4:7]
	v_ashrrev_i32_e32 v26, 31, v42
	v_mfma_f32_16x16x16_bf16 a[0:3], v[34:35], v[28:29], a[0:3]
	v_mul_lo_u32 v28, v42, s39
	v_mul_lo_u32 v29, v26, s38
	v_mad_u64_u32 v[26:27], s[24:25], v42, s38, 0
	v_add3_u32 v27, v27, v28, v29
	v_add_u32_e32 v28, 1, v42
	v_ashrrev_i32_e32 v29, 31, v28
	s_waitcnt lgkmcnt(0)
	v_mfma_f32_16x16x16_bf16 a[4:7], v[36:37], v[30:31], a[4:7]
	v_mul_lo_u32 v30, v29, s38
	v_mul_lo_u32 v31, v28, s39
	v_mad_u64_u32 v[28:29], s[24:25], v28, s38, 0
	v_add3_u32 v29, v29, v31, v30
	v_add_u32_e32 v30, 2, v42
	v_ashrrev_i32_e32 v31, 31, v30
	v_mul_lo_u32 v34, v31, s38
	v_mul_lo_u32 v35, v30, s39
	v_mad_u64_u32 v[30:31], s[24:25], v30, s38, 0
	v_add3_u32 v31, v31, v35, v34
	v_add_u32_e32 v34, 3, v42
	v_ashrrev_i32_e32 v35, 31, v34
	v_mul_lo_u32 v42, v35, s38
	v_mul_lo_u32 v43, v34, s39
	v_mad_u64_u32 v[34:35], s[24:25], v34, s38, 0
	s_add_u32 s24, s42, s62
	s_addc_u32 s25, s43, 0
	s_lshl_b64 s[70:71], s[24:25], 8
	v_lshl_add_u64 v[26:27], v[26:27], 2, s[44:45]
	v_add3_u32 v35, v35, v43, v42
	v_lshl_add_u64 v[42:43], v[56:57], 0, s[70:71]
	v_lshl_add_u64 v[28:29], v[28:29], 2, s[44:45]
	;; [unrolled: 1-line block ×3, first 2 shown]
	global_load_dword v44, v[26:27], off
	global_load_ushort v45, v[42:43], off offset:256
	global_load_ushort v46, v[42:43], off
	global_load_ushort v47, v[42:43], off offset:768
	v_lshl_add_u64 v[26:27], v[34:35], 2, s[44:45]
	v_lshl_add_u64 v[30:31], v[30:31], 2, s[44:45]
	global_load_dword v48, v[28:29], off
	global_load_dword v49, v[30:31], off
	global_load_dword v50, v[26:27], off
	ds_read2st64_b64 v[26:29], v90 offset0:2 offset1:4
	s_waitcnt lgkmcnt(0)
	v_mfma_f32_16x16x16_bf16 a[0:3], v[36:37], v[26:27], a[0:3]
	global_load_ushort v36, v[42:43], off offset:512
	global_load_ushort v51, v[42:43], off offset:800
	global_load_ushort v52, v[42:43], off offset:544
	global_load_ushort v118, v[42:43], off offset:288
	s_nop 0
	global_load_ushort v42, v[42:43], off offset:32
	s_and_b64 vcc, exec, s[0:1]
	v_mfma_f32_16x16x16_bf16 a[4:7], v[38:39], v[32:33], a[4:7]
	s_waitcnt vmcnt(10)
	v_lshlrev_b32_e32 v35, 16, v45
	v_mfma_f32_16x16x16_bf16 a[0:3], v[38:39], v[28:29], a[0:3]
	ds_read_b64 v[26:27], v89 offset:3072
	ds_read_b64 v[28:29], v90 offset:3072
	s_load_dword s24, s[46:47], 0x0
	s_waitcnt vmcnt(9)
	v_lshlrev_b32_e32 v34, 16, v46
	s_waitcnt lgkmcnt(0)
	v_mfma_f32_16x16x16_bf16 a[4:7], v[40:41], v[26:27], a[4:7]
	v_lshl_add_u64 v[26:27], v[58:59], 0, s[70:71]
	v_sub_f32_e32 v38, s24, v44
	s_waitcnt vmcnt(7)
	v_sub_f32_e32 v39, s24, v48
	v_mfma_f32_16x16x16_bf16 a[0:3], v[40:41], v[28:29], a[0:3]
	s_waitcnt vmcnt(6)
	v_sub_f32_e32 v40, s24, v49
	s_waitcnt vmcnt(5)
	v_sub_f32_e32 v41, s24, v50
	v_accvgpr_read_b32 v33, a5
	v_accvgpr_read_b32 v32, a4
	v_exp_f32_e32 v38, v38
	v_pk_add_f32 v[32:33], v[34:35], v[32:33] neg_lo:[0,1] neg_hi:[0,1]
	v_exp_f32_e32 v39, v39
	v_exp_f32_e32 v34, v40
	;; [unrolled: 1-line block ×3, first 2 shown]
	v_accvgpr_read_b32 v29, a7
	v_accvgpr_read_b32 v28, a6
	v_lshlrev_b32_e32 v37, 16, v47
	s_waitcnt vmcnt(4)
	v_lshlrev_b32_e32 v36, 16, v36
	v_lshl_add_u64 v[26:27], v[26:27], 0, v[54:55]
	v_pk_add_f32 v[28:29], v[36:37], v[28:29] neg_lo:[0,1] neg_hi:[0,1]
	global_store_short_d16_hi v[26:27], v32, off
	global_store_short_d16_hi v[26:27], v33, off offset:256
	global_store_short_d16_hi v[26:27], v28, off offset:512
	;; [unrolled: 1-line block ×3, first 2 shown]
	v_pk_mul_f32 v[32:33], v[38:39], v[32:33]
	v_pk_mul_f32 v[28:29], v[34:35], v[28:29]
	v_accvgpr_read_b32 v37, a1
	v_perm_b32 v32, v33, v32, s66
	v_perm_b32 v33, v29, v28, s66
	s_waitcnt vmcnt(5)
	v_lshlrev_b32_e32 v29, 16, v118
	s_waitcnt vmcnt(4)
	v_lshlrev_b32_e32 v28, 16, v42
	v_accvgpr_read_b32 v36, a0
	v_accvgpr_read_b32 v31, a3
	;; [unrolled: 1-line block ×3, first 2 shown]
	v_pk_add_f32 v[28:29], v[28:29], v[36:37] neg_lo:[0,1] neg_hi:[0,1]
	v_lshlrev_b32_e32 v37, 16, v51
	v_lshlrev_b32_e32 v36, 16, v52
	v_pk_add_f32 v[30:31], v[36:37], v[30:31] neg_lo:[0,1] neg_hi:[0,1]
	global_store_short_d16_hi v[26:27], v28, off offset:32
	global_store_short_d16_hi v[26:27], v29, off offset:288
	;; [unrolled: 1-line block ×4, first 2 shown]
	v_pk_mul_f32 v[26:27], v[38:39], v[28:29]
	v_pk_mul_f32 v[28:29], v[34:35], v[30:31]
	v_mov_b32_e32 v118, 0
	v_perm_b32 v29, v29, v28, s66
	v_perm_b32 v28, v27, v26, s66
	ds_write2_b64 v76, v[32:33], v[28:29] offset1:16
	v_mov_b32_e32 v26, 0
	v_mov_b32_e32 v27, 0
	;; [unrolled: 1-line block ×16, first 2 shown]
	s_cbranch_vccnz .LBB285_14
; %bb.13:                               ;   in Loop: Header=BB285_6 Depth=1
	s_and_b32 s29, s29, 0xffff
	s_mov_b32 s31, s27
	buffer_load_dwordx4 v[38:41], v94, s[28:31], 0 offen
	buffer_load_dwordx4 v[30:33], v94, s[28:31], s61 offen
	;; [unrolled: 1-line block ×4, first 2 shown]
	v_mov_b32_e32 v117, v70
	v_mov_b32_e32 v118, v69
.LBB285_14:                             ;   in Loop: Header=BB285_6 Depth=1
	s_waitcnt lgkmcnt(0)
	s_barrier
	ds_read_b64 v[46:47], v98
	ds_read_b64 v[124:125], v93
	;; [unrolled: 1-line block ×5, first 2 shown]
	ds_read_b64 v[138:139], v90 offset:3072
	ds_read2_b64 v[42:45], v89 offset0:16 offset1:128
	s_waitcnt lgkmcnt(5)
	v_mfma_f32_16x16x16_bf16 a[0:3], v[46:47], v[124:125], 0
	s_add_i32 s25, s55, s68
	s_mul_hi_i32 s29, s25, s13
	s_mul_i32 s25, s25, s13
	s_waitcnt lgkmcnt(0)
	v_mfma_f32_16x16x16_bf16 a[4:7], v[46:47], v[42:43], 0
	ds_read_b64 v[46:47], v103
	ds_read2st64_b64 v[48:51], v90 offset0:2 offset1:4
	s_add_u32 s28, s25, s33
	s_addc_u32 s29, s29, s59
	s_add_i32 s25, s3, s62
	s_lshl_b64 s[28:29], s[28:29], 15
	s_mul_hi_i32 s31, s25, s13
	s_mul_i32 s25, s25, s13
	s_add_u32 s46, s25, s33
	s_waitcnt lgkmcnt(1)
	v_mfma_f32_16x16x16_bf16 a[8:11], v[46:47], v[124:125], 0
	s_addc_u32 s47, s31, s59
	ds_read2st64_b64 v[120:123], v89 offset0:4 offset1:6
	s_lshl_b64 s[46:47], s[46:47], 9
	v_mfma_f32_16x16x16_bf16 a[0:3], v[126:127], v[44:45], a[0:3]
	s_add_u32 s46, s36, s46
	s_addc_u32 s47, s37, s47
	s_waitcnt lgkmcnt(1)
	v_mfma_f32_16x16x16_bf16 a[4:7], v[126:127], v[48:49], a[4:7]
	ds_read_b64 v[126:127], v104
	ds_read_b64 v[134:135], v105
	;; [unrolled: 1-line block ×3, first 2 shown]
	v_mfma_f32_16x16x16_bf16 a[12:15], v[46:47], v[42:43], 0
	s_waitcnt lgkmcnt(2)
	v_mfma_f32_16x16x16_bf16 a[8:11], v[126:127], v[44:45], a[8:11]
	global_load_dwordx4 v[42:45], v102, s[46:47]
	v_mfma_f32_16x16x16_bf16 a[12:15], v[126:127], v[48:49], a[12:15]
	global_load_dwordx4 v[46:49], v97, s[46:47]
	ds_read2st64_b64 v[124:127], v91 offset1:8
	s_waitcnt lgkmcnt(0)
	v_mov_b32_e32 v132, v124
	v_mfma_f32_16x16x16_bf16 a[0:3], v[128:129], v[120:121], a[0:3]
	v_mov_b32_e32 v133, v125
	v_mfma_f32_16x16x16_bf16 a[4:7], v[128:129], v[50:51], a[4:7]
	ds_read2st64_b64 v[128:131], v92 offset1:8
	v_mfma_f32_16x16x16_bf16 a[8:11], v[134:135], v[120:121], a[8:11]
	v_lshl_add_u64 v[120:121], v[60:61], 0, s[28:29]
	v_mfma_f32_16x16x16_bf16 a[16:19], v[134:135], v[50:51], a[12:15]
	v_add_co_u32_e32 v50, vcc, s41, v120
	s_waitcnt lgkmcnt(0)
	v_mov_b32_e32 v134, v128
	v_mfma_f32_16x16x16_bf16 a[0:3], v[136:137], v[122:123], a[0:3]
	v_mov_b32_e32 v135, v129
	v_mov_b32_e32 v128, v126
	v_mov_b32_e32 v129, v127
	v_mfma_f32_16x16x16_bf16 a[4:7], v[136:137], v[138:139], a[4:7]
	v_addc_co_u32_e32 v51, vcc, 0, v121, vcc
	global_store_dwordx4 v[50:51], v[128:131], off
	v_mfma_f32_16x16x16_bf16 a[12:15], v[140:141], v[122:123], a[8:11]
	s_and_b64 vcc, exec, s[0:1]
	global_store_dwordx4 v[120:121], v[132:135], off
	s_waitcnt vmcnt(3)
	v_mov_b32_e32 v52, v45
	v_mfma_f32_16x16x16_bf16 a[8:11], v[140:141], v[138:139], a[16:19]
	v_mov_b32_e32 v51, v44
	v_mov_b32_e32 v50, v43
	s_cbranch_vccnz .LBB285_16
; %bb.15:                               ;   in Loop: Header=BB285_6 Depth=1
	v_lshrrev_b32_e32 v43, 3, v117
	v_and_b32_e32 v43, 6, v43
	v_xor_b32_e32 v44, v43, v118
	v_lshlrev_b32_e32 v44, 2, v44
	v_and_b32_e32 v45, 8, v117
	v_xor_b32_e32 v117, 0x440, v44
	v_cmp_eq_u32_e32 vcc, 0, v45
	v_perm_b32 v45, v30, v26, s63
	s_nop 0
	v_cndmask_b32_e32 v44, v117, v44, vcc
	v_lshl_or_b32 v43, v43, 10, v44
	v_perm_b32 v44, v38, v34, s63
	s_barrier
	ds_write2st64_b32 v43, v44, v45 offset0:32 offset1:64
	v_xor_b32_e32 v44, 8, v43
	v_perm_b32 v34, v38, v34, s64
	v_perm_b32 v26, v30, v26, s64
	v_add_u32_e32 v30, 0x80, v44
	ds_write2st64_b32 v30, v34, v26 offset0:32 offset1:64
	v_xor_b32_e32 v26, 16, v43
	v_perm_b32 v30, v39, v35, s63
	v_perm_b32 v34, v31, v27, s63
	ds_write2st64_b32 v26, v30, v34 offset0:33 offset1:65
	v_xor_b32_e32 v26, 24, v43
	v_perm_b32 v30, v39, v35, s64
	v_perm_b32 v27, v31, v27, s64
	v_add_u32_e32 v26, 0x80, v26
	ds_write2st64_b32 v26, v30, v27 offset0:33 offset1:65
	v_xor_b32_e32 v26, 32, v43
	v_perm_b32 v27, v40, v36, s63
	v_perm_b32 v30, v32, v28, s63
	;; [unrolled: 9-line block ×3, first 2 shown]
	ds_write2st64_b32 v26, v27, v28 offset0:35 offset1:67
	v_xor_b32_e32 v26, 56, v43
	v_perm_b32 v27, v41, v37, s64
	v_perm_b32 v28, v33, v29, s64
	v_add_u32_e32 v26, 0x80, v26
	ds_write2st64_b32 v26, v27, v28 offset0:35 offset1:67
	ds_write_b64 v116, v[22:23] offset:24576
	v_xor_b32_e32 v22, 8, v116
	ds_write_b64 v22, v[24:25] offset:24576
	ds_write_b64 v116, v[18:19] offset:32768
	;; [unrolled: 1-line block ×4, first 2 shown]
	v_xor_b32_e32 v14, 8, v115
	ds_write_b64 v14, v[16:17] offset:24576
	ds_write_b64 v115, v[10:11] offset:32768
	;; [unrolled: 1-line block ×3, first 2 shown]
.LBB285_16:                             ;   in Loop: Header=BB285_6 Depth=1
	v_exp_f32_e32 v26, s24
	s_waitcnt vmcnt(2)
	v_exp_f32_e32 v28, v46
	v_exp_f32_e32 v29, v47
	;; [unrolled: 1-line block ×4, first 2 shown]
	v_accvgpr_read_b32 v21, a3
	v_accvgpr_read_b32 v19, a1
	;; [unrolled: 1-line block ×4, first 2 shown]
	v_pk_mul_f32 v[28:29], v[26:27], v[28:29] op_sel_hi:[0,1]
	v_accvgpr_read_b32 v20, a2
	v_accvgpr_read_b32 v11, a5
	;; [unrolled: 1-line block ×3, first 2 shown]
	v_pk_fma_f32 v[2:3], v[2:3], v[28:29], v[18:19]
	v_pk_mul_f32 v[18:19], v[26:27], v[30:31] op_sel_hi:[0,1]
	v_pk_fma_f32 v[4:5], v[4:5], v[18:19], v[20:21]
	v_fma_f32 v107, v107, v28, v10
	v_fma_f32 v108, v108, v29, v11
	v_exp_f32_e32 v10, v42
	v_exp_f32_e32 v11, v50
	;; [unrolled: 1-line block ×4, first 2 shown]
	v_accvgpr_read_b32 v12, a6
	v_accvgpr_read_b32 v25, a15
	;; [unrolled: 1-line block ×9, first 2 shown]
	v_fma_f32 v109, v109, v18, v12
	v_fmac_f32_e32 v13, v114, v19
	v_pk_mul_f32 v[10:11], v[26:27], v[10:11] op_sel_hi:[0,1]
	v_pk_mul_f32 v[18:19], v[26:27], v[20:21] op_sel_hi:[0,1]
	s_add_i32 s62, s62, 64
	v_pk_fma_f32 v[6:7], v[6:7], v[10:11], v[22:23]
	v_pk_fma_f32 v[8:9], v[8:9], v[18:19], v[24:25]
	v_fma_f32 v110, v110, v10, v14
	v_fma_f32 v111, v111, v11, v15
	;; [unrolled: 1-line block ×3, first 2 shown]
	s_cmp_eq_u32 s53, s67
	v_fmac_f32_e32 v17, v113, v19
	s_cbranch_scc1 .LBB285_18
; %bb.17:                               ;   in Loop: Header=BB285_6 Depth=1
	s_mov_b32 s68, s67
	v_mov_b32_e32 v114, v13
	v_mov_b32_e32 v113, v17
	s_branch .LBB285_6
.LBB285_18:
	v_mov_b32_e32 v16, v112
	v_mov_b32_e32 v15, v111
	;; [unrolled: 1-line block ×6, first 2 shown]
.LBB285_19:
	s_lshl_b32 s46, s53, 6
	s_sub_i32 s47, s12, s46
	s_cmp_gt_i32 s47, 0
	v_or_b32_e32 v34, s2, v65
	s_cbranch_scc1 .LBB285_21
; %bb.20:
	s_ashr_i32 s0, s33, 31
	s_add_u32 s28, s50, s33
	s_addc_u32 s29, s56, s0
	v_or_b32_e32 v35, s2, v65
	s_cbranch_execz .LBB285_22
	s_branch .LBB285_86
.LBB285_21:
                                        ; implicit-def: $sgpr28_sgpr29
                                        ; implicit-def: $vgpr35
.LBB285_22:
	s_ashr_i32 s41, s52, 31
	s_ashr_i32 s3, s46, 31
	s_cmpk_lg_i32 s15, 0x80
	s_cselect_b64 s[42:43], -1, 0
	s_and_b64 vcc, exec, s[42:43]
	s_cbranch_vccz .LBB285_24
; %bb.23:
	s_mul_hi_i32 s0, s52, s12
	s_add_u32 s1, s48, s46
	s_addc_u32 s0, s0, s3
	s_mul_i32 s24, s1, s54
	s_mul_hi_u32 s25, s1, s14
	s_add_i32 s24, s25, s24
	s_mul_i32 s0, s0, s14
	s_add_i32 s24, s24, s0
	s_mul_i32 s1, s1, s14
	s_ashr_i32 s0, s57, 31
	s_add_u32 s44, s1, s57
	s_addc_u32 s45, s24, s0
	s_cbranch_execz .LBB285_25
	s_branch .LBB285_26
.LBB285_24:
                                        ; implicit-def: $sgpr44_sgpr45
.LBB285_25:
	s_mul_hi_i32 s0, s52, s14
	s_mul_i32 s52, s52, s14
	s_ashr_i32 s1, s57, 31
	s_add_u32 s14, s52, s57
	s_addc_u32 s0, s0, s1
	s_mul_i32 s1, s14, s51
	s_mul_hi_u32 s24, s14, s12
	s_add_i32 s1, s24, s1
	s_mul_i32 s0, s0, s12
	s_add_i32 s1, s1, s0
	s_mul_i32 s14, s14, s12
	s_add_u32 s44, s14, s46
	s_addc_u32 s45, s1, s3
.LBB285_26:
	s_add_i32 s24, s55, s53
	s_ashr_i32 s14, s33, 31
	s_add_u32 s28, s50, s33
	s_addc_u32 s29, s56, s14
	s_mul_i32 s0, s28, s51
	s_mul_hi_u32 s1, s28, s12
	s_add_i32 s0, s1, s0
	s_mul_i32 s1, s29, s12
	s_add_i32 s1, s0, s1
	s_mul_i32 s0, s28, s12
	s_add_u32 s0, s0, s46
	v_lshlrev_b32_e32 v22, 5, v1
	v_lshlrev_b32_e32 v40, 2, v65
	s_addc_u32 s1, s1, s3
	s_mov_b32 s3, 0x7060302
	v_or_b32_e32 v25, v22, v40
	v_xor_b32_e32 v23, v1, v40
	v_perm_b32 v19, v5, v4, s3
	v_perm_b32 v18, v3, v2, s3
	;; [unrolled: 1-line block ×4, first 2 shown]
	v_lshlrev_b32_e32 v25, 1, v25
	v_xor_b32_e32 v24, v68, v40
	ds_write2st64_b64 v25, v[18:19], v[20:21] offset0:80 offset1:88
	v_lshlrev_b32_e32 v23, 1, v23
	v_lshlrev_b32_e32 v25, 8, v65
	s_lshl_b64 s[30:31], s[0:1], 8
	v_or_b32_e32 v26, v23, v25
	v_lshlrev_b32_e32 v24, 1, v24
	s_add_u32 s0, s6, s30
	ds_write_b64 v26, v[18:19]
	v_or_b32_e32 v18, v24, v25
	s_addc_u32 s1, s7, s31
	ds_write_b64 v18, v[20:21]
	v_perm_b32 v19, v13, v12, s3
	v_perm_b32 v18, v11, v10, s3
	;; [unrolled: 1-line block ×4, first 2 shown]
	v_or_b32_e32 v25, 16, v65
	s_mul_hi_i32 s3, s24, s13
	s_mul_i32 s24, s24, s13
	v_lshlrev_b32_e32 v37, 2, v25
	s_add_u32 s6, s24, s33
	v_or_b32_e32 v22, v22, v37
	s_addc_u32 s7, s3, s14
	v_lshlrev_b32_e32 v22, 1, v22
	s_ashr_i32 s3, s2, 31
	s_lshl_b64 s[6:7], s[6:7], 15
	ds_write2st64_b64 v22, v[18:19], v[20:21] offset0:80 offset1:88
	v_lshlrev_b32_e32 v22, 8, v25
	s_add_u32 s6, s16, s6
	v_or_b32_e32 v23, v23, v22
	s_addc_u32 s7, s17, s7
	s_lshl_b64 s[2:3], s[2:3], 8
	ds_write_b64 v23, v[18:19]
	v_or_b32_e32 v18, v24, v22
	s_add_u32 s2, s6, s2
	ds_write_b64 v18, v[20:21]
	v_lshrrev_b32_e32 v18, 4, v0
	s_addc_u32 s3, s7, s3
	v_lshlrev_b32_e32 v19, 1, v65
	v_lshlrev_b32_e32 v26, 4, v65
	v_mov_b32_e32 v27, 0
	v_or_b32_e32 v20, 1, v19
	v_xor_b32_e32 v19, v18, v19
	v_lshl_add_u64 v[28:29], s[2:3], 0, v[26:27]
	v_lshlrev_b32_e32 v26, 8, v18
	v_xor_b32_e32 v22, v20, v18
	v_lshl_or_b32 v18, v19, 3, v26
	s_waitcnt lgkmcnt(0)
	s_barrier
	ds_read2st64_b64 v[18:21], v18 offset1:8
	v_lshl_or_b32 v22, v22, 3, v26
	ds_read2st64_b64 v[22:25], v22 offset1:8
	v_lshl_add_u64 v[30:31], v[28:29], 0, v[26:27]
	s_movk_i32 s2, 0x1000
	s_waitcnt lgkmcnt(1)
	v_mov_b32_e32 v26, v18
	v_add_co_u32_e32 v18, vcc, s2, v30
	s_cmp_lg_u32 s47, 64
	v_mov_b32_e32 v27, v19
	v_addc_co_u32_e32 v19, vcc, 0, v31, vcc
	s_cselect_b64 s[6:7], -1, 0
	v_lshl_or_b32 v35, v53, 3, v67
	s_waitcnt lgkmcnt(0)
	v_mov_b32_e32 v28, v22
	v_mov_b32_e32 v29, v23
	;; [unrolled: 1-line block ×4, first 2 shown]
	s_mov_b32 s24, 0
	v_or_b32_e32 v38, 32, v35
	v_and_b32_e32 v36, 56, v66
	s_and_b64 vcc, exec, s[6:7]
	global_store_dwordx4 v[30:31], v[26:29], off
	global_store_dwordx4 v[18:19], v[22:25], off
	s_cbranch_vccz .LBB285_32
; %bb.27:
	s_mov_b32 s25, s24
	s_mov_b32 s26, s24
	;; [unrolled: 1-line block ×3, first 2 shown]
	v_mov_b64_e32 v[22:23], s[24:25]
	v_mov_b64_e32 v[24:25], s[26:27]
	;; [unrolled: 1-line block ×3, first 2 shown]
	v_cmp_gt_i32_e32 vcc, s47, v35
	v_mov_b64_e32 v[20:21], v[24:25]
	s_and_saveexec_b64 s[2:3], vcc
	s_cbranch_execz .LBB285_29
; %bb.28:
	v_lshlrev_b32_e32 v18, 8, v35
	v_mov_b32_e32 v19, 0
	v_lshl_add_u64 v[20:21], s[0:1], 0, v[18:19]
	v_lshlrev_b32_e32 v18, 1, v36
	v_lshl_add_u64 v[26:27], v[20:21], 0, v[18:19]
	global_load_dwordx4 v[22:25], v[26:27], off
	global_load_dwordx4 v[18:21], v[26:27], off offset:128
.LBB285_29:
	s_or_b64 exec, exec, s[2:3]
	s_mov_b32 s26, s24
	s_mov_b32 s27, s24
	;; [unrolled: 1-line block ×3, first 2 shown]
	v_mov_b64_e32 v[32:33], s[26:27]
	v_mov_b64_e32 v[30:31], s[24:25]
	;; [unrolled: 1-line block ×3, first 2 shown]
	v_cmp_gt_i32_e32 vcc, s47, v38
	v_lshlrev_b32_e32 v39, 7, v38
	v_mov_b64_e32 v[28:29], v[32:33]
	s_and_saveexec_b64 s[2:3], vcc
	s_cbranch_execz .LBB285_31
; %bb.30:
	v_lshlrev_b32_e32 v26, 1, v39
	v_mov_b32_e32 v27, 0
	v_lshl_add_u64 v[28:29], s[0:1], 0, v[26:27]
	v_lshlrev_b32_e32 v26, 1, v36
	v_lshl_add_u64 v[42:43], v[28:29], 0, v[26:27]
	global_load_dwordx4 v[30:33], v[42:43], off
	global_load_dwordx4 v[26:29], v[42:43], off offset:128
.LBB285_31:
	s_or_b64 exec, exec, s[2:3]
	v_lshrrev_b32_e32 v41, 3, v36
	v_lshlrev_b32_e32 v42, 3, v35
	v_or_b32_e32 v41, v42, v41
	v_lshlrev_b32_e32 v41, 4, v41
	v_and_b32_e32 v42, 0x78, v42
	v_xor_b32_e32 v41, v41, v42
	s_branch .LBB285_34
.LBB285_32:
                                        ; implicit-def: $vgpr41
                                        ; implicit-def: $vgpr39
                                        ; implicit-def: $vgpr22_vgpr23_vgpr24_vgpr25
                                        ; implicit-def: $vgpr18_vgpr19_vgpr20_vgpr21
                                        ; implicit-def: $vgpr30_vgpr31_vgpr32_vgpr33
                                        ; implicit-def: $vgpr26_vgpr27_vgpr28_vgpr29
	s_cbranch_execz .LBB285_34
; %bb.33:
	s_waitcnt vmcnt(0)
	v_lshlrev_b32_e32 v18, 1, v36
	v_lshl_or_b32 v39, v35, 8, v18
	s_and_b32 s1, s1, 0xffff
	s_mov_b32 s3, 0x20000
	s_movk_i32 s2, 0x4000
	v_lshl_or_b32 v41, v38, 8, v18
	s_movk_i32 s16, 0x80
	buffer_load_dwordx4 v[22:25], v39, s[0:3], 0 offen
	buffer_load_dwordx4 v[18:21], v39, s[0:3], s16 offen
	buffer_load_dwordx4 v[30:33], v41, s[0:3], 0 offen
	buffer_load_dwordx4 v[26:29], v41, s[0:3], s16 offen
	v_lshrrev_b32_e32 v39, 3, v36
	v_lshlrev_b32_e32 v41, 3, v35
	v_or_b32_e32 v39, v41, v39
	v_lshlrev_b32_e32 v39, 4, v39
	v_and_b32_e32 v41, 0x78, v41
	v_xor_b32_e32 v41, v39, v41
	v_lshlrev_b32_e32 v39, 7, v38
.LBB285_34:
	s_lshl_b64 s[0:1], s[44:45], 8
	s_add_u32 s4, s4, s0
	s_movk_i32 s0, 0x1000
	v_and_or_b32 v38, v39, s0, v41
	s_waitcnt vmcnt(1)
	ds_write_b64 v41, v[22:23] offset:24576
	v_xor_b32_e32 v22, 8, v41
	ds_write_b64 v22, v[24:25] offset:24576
	s_waitcnt vmcnt(0)
	ds_write_b64 v41, v[18:19] offset:32768
	ds_write_b64 v22, v[20:21] offset:32768
	;; [unrolled: 1-line block ×3, first 2 shown]
	v_xor_b32_e32 v18, 8, v38
	ds_write_b64 v18, v[32:33] offset:24576
	ds_write_b64 v38, v[26:27] offset:32768
	;; [unrolled: 1-line block ×3, first 2 shown]
	v_or_b32_e32 v18, v62, v65
	v_lshlrev_b32_e32 v18, 3, v18
	v_lshrrev_b32_e32 v19, 5, v63
	s_movk_i32 s16, 0xf8
	v_and_or_b32 v19, v18, s16, v19
	v_lshlrev_b32_e32 v23, 4, v19
	v_lshlrev_b32_e32 v41, 11, v53
	v_and_b32_e32 v24, 0x78, v18
	v_or_b32_e32 v26, 32, v23
	v_and_b32_e32 v22, 0x1000, v41
	v_lshrrev_b32_e32 v19, 1, v63
	v_xor_b32_e32 v26, v26, v24
	v_xor_b32_e32 v18, v23, v24
	v_and_b32_e32 v25, 8, v19
	v_or_b32_e32 v26, v26, v22
	v_or_b32_e32 v18, v18, v22
	v_xor_b32_e32 v45, v26, v25
	v_or_b32_e32 v26, 64, v23
	v_xor_b32_e32 v44, v18, v25
	v_xor_b32_e32 v26, v26, v24
	s_waitcnt lgkmcnt(0)
	s_barrier
	v_or_b32_e32 v28, v26, v22
	ds_read_b64 v[26:27], v44 offset:24576
	v_lshl_or_b32 v38, v64, 7, v40
	v_lshlrev_b32_e32 v42, 1, v38
	v_add_u32_e32 v18, 0xa000, v42
	ds_read2_b64 v[18:21], v18 offset1:16
	v_or_b32_e32 v23, 0x60, v23
	v_xor_b32_e32 v23, v23, v24
	s_waitcnt lgkmcnt(0)
	v_mfma_f32_16x16x16_bf16 a[0:3], v[26:27], v[18:19], 0
	v_or_b32_e32 v18, 64, v38
	v_or_b32_e32 v22, v23, v22
	v_lshlrev_b32_e32 v43, 1, v18
	v_xor_b32_e32 v46, v28, v25
	v_xor_b32_e32 v47, v22, v25
	ds_read_b64 v[28:29], v45 offset:24576
	ds_read_b64 v[30:31], v46 offset:24576
	;; [unrolled: 1-line block ×3, first 2 shown]
	v_mfma_f32_16x16x16_bf16 a[4:7], v[26:27], v[20:21], 0
	ds_read2st64_b64 v[18:21], v43 offset0:82 offset1:84
	ds_read2st64_b64 v[22:25], v42 offset0:82 offset1:84
	s_addc_u32 s5, s5, s1
	s_add_i32 s12, s12, -1
	s_add_i32 s0, s49, s21
	s_mul_i32 s41, s41, s20
	s_add_i32 s41, s0, s41
	s_mul_i32 s0, s33, s23
	s_mul_hi_u32 s1, s33, s22
	s_ashr_i32 s2, s12, 31
	s_mul_i32 s3, s12, s39
	s_mul_hi_u32 s16, s12, s38
	s_add_i32 s0, s1, s0
	s_mul_i32 s1, s14, s22
	s_add_i32 s3, s16, s3
	s_mul_i32 s2, s2, s38
	s_waitcnt lgkmcnt(1)
	v_mfma_f32_16x16x16_bf16 a[4:7], v[28:29], v[18:19], a[4:7]
	s_add_i32 s1, s0, s1
	s_add_i32 s3, s3, s2
	s_lshl_b64 s[16:17], s[40:41], 2
	s_waitcnt lgkmcnt(0)
	v_mfma_f32_16x16x16_bf16 a[0:3], v[28:29], v[22:23], a[0:3]
	s_mul_i32 s0, s33, s22
	s_add_u32 s10, s10, s16
	s_addc_u32 s11, s11, s17
	s_lshl_b64 s[0:1], s[0:1], 2
	s_mul_i32 s2, s12, s38
	s_add_u32 s10, s10, s0
	ds_read_b64 v[18:19], v42 offset:44032
	v_mfma_f32_16x16x16_bf16 a[4:7], v[30:31], v[20:21], a[4:7]
	ds_read_b64 v[20:21], v43 offset:44032
	s_addc_u32 s11, s11, s1
	s_lshl_b64 s[0:1], s[2:3], 2
	v_mfma_f32_16x16x16_bf16 a[0:3], v[30:31], v[24:25], a[0:3]
	s_add_u32 s0, s10, s0
	s_addc_u32 s1, s11, s1
	s_load_dword s16, s[0:1], 0x0
	s_waitcnt lgkmcnt(0)
	v_mfma_f32_16x16x16_bf16 a[0:3], v[32:33], v[18:19], a[0:3]
	s_and_b64 vcc, exec, s[42:43]
	v_mfma_f32_16x16x16_bf16 a[4:7], v[32:33], v[20:21], a[4:7]
	s_cbranch_vccz .LBB285_45
; %bb.35:
	v_lshlrev_b32_e32 v38, 1, v35
	s_and_b64 vcc, exec, s[6:7]
	s_cbranch_vccz .LBB285_46
; %bb.36:
	v_cmp_gt_i32_e32 vcc, s47, v38
	v_mov_b32_e32 v22, 0
	v_mov_b32_e32 v18, 0
	;; [unrolled: 1-line block ×5, first 2 shown]
	s_and_saveexec_b64 s[0:1], vcc
	s_cbranch_execz .LBB285_38
; %bb.37:
	v_mad_i64_i32 v[18:19], s[2:3], s15, v38, 0
	v_lshl_add_u64 v[18:19], v[18:19], 1, s[4:5]
	v_lshlrev_b32_e32 v20, 1, v36
	v_mov_b32_e32 v21, 0
	v_lshl_add_u64 v[18:19], v[18:19], 0, v[20:21]
	global_load_dwordx4 v[18:21], v[18:19], off
.LBB285_38:
	s_or_b64 exec, exec, s[0:1]
	v_or_b32_e32 v39, 1, v38
	v_cmp_gt_i32_e64 s[0:1], s47, v39
	v_mov_b32_e32 v23, 0
	v_mov_b32_e32 v24, 0
	;; [unrolled: 1-line block ×3, first 2 shown]
	s_and_saveexec_b64 s[2:3], s[0:1]
	s_cbranch_execz .LBB285_40
; %bb.39:
	v_mad_i64_i32 v[22:23], s[20:21], s15, v39, 0
	v_lshl_add_u64 v[22:23], v[22:23], 1, s[4:5]
	v_lshlrev_b32_e32 v24, 1, v36
	v_mov_b32_e32 v25, 0
	v_lshl_add_u64 v[22:23], v[22:23], 0, v[24:25]
	global_load_dwordx4 v[22:25], v[22:23], off
.LBB285_40:
	s_or_b64 exec, exec, s[2:3]
	v_mov_b32_e32 v33, 0
	v_mov_b32_e32 v26, 0
	;; [unrolled: 1-line block ×5, first 2 shown]
	s_and_saveexec_b64 s[2:3], vcc
	s_cbranch_execz .LBB285_42
; %bb.41:
	v_mad_i64_i32 v[26:27], s[20:21], s15, v38, 0
	v_lshl_add_u64 v[26:27], v[26:27], 1, s[4:5]
	v_lshlrev_b32_e32 v28, 1, v36
	v_mov_b32_e32 v29, 0
	v_lshl_add_u64 v[26:27], v[26:27], 0, v[28:29]
	global_load_dwordx4 v[26:29], v[26:27], off offset:128
.LBB285_42:
	s_or_b64 exec, exec, s[2:3]
	v_mov_b32_e32 v32, 0
	v_mov_b32_e32 v31, 0
	;; [unrolled: 1-line block ×3, first 2 shown]
	s_and_saveexec_b64 s[2:3], s[0:1]
	s_cbranch_execz .LBB285_44
; %bb.43:
	v_mad_i64_i32 v[30:31], s[0:1], s15, v39, 0
	v_lshl_add_u64 v[30:31], v[30:31], 1, s[4:5]
	v_lshlrev_b32_e32 v32, 1, v36
	v_mov_b32_e32 v33, 0
	v_lshl_add_u64 v[30:31], v[30:31], 0, v[32:33]
	global_load_dwordx4 v[30:33], v[30:31], off offset:128
.LBB285_44:
	s_or_b64 exec, exec, s[2:3]
	s_branch .LBB285_48
.LBB285_45:
                                        ; implicit-def: $vgpr21
                                        ; implicit-def: $vgpr25
                                        ; implicit-def: $vgpr29
                                        ; implicit-def: $vgpr33
	v_lshrrev_b32_e32 v48, 2, v63
	s_branch .LBB285_49
.LBB285_46:
                                        ; implicit-def: $vgpr21
                                        ; implicit-def: $vgpr25
                                        ; implicit-def: $vgpr29
                                        ; implicit-def: $vgpr33
	s_cbranch_execz .LBB285_48
; %bb.47:
	s_waitcnt vmcnt(0)
	v_mad_u64_u32 v[18:19], s[0:1], v38, s15, v[36:37]
	v_lshlrev_b32_e32 v38, 1, v18
	s_lshl_b32 s2, s15, 7
	s_and_b32 s1, s5, 0xffff
	s_mov_b32 s3, 0x20000
	s_mov_b32 s0, s4
	v_add_lshl_u32 v39, v18, s15, 1
	s_movk_i32 s15, 0x80
	buffer_load_dwordx4 v[18:21], v38, s[0:3], 0 offen
	buffer_load_dwordx4 v[26:29], v38, s[0:3], s15 offen
	;; [unrolled: 1-line block ×4, first 2 shown]
.LBB285_48:
	v_lshrrev_b32_e32 v48, 2, v63
	s_cbranch_execnz .LBB285_61
.LBB285_49:
	s_and_b64 vcc, exec, s[6:7]
	s_cbranch_vccz .LBB285_59
; %bb.50:
	s_waitcnt vmcnt(0)
	v_lshlrev_b32_e32 v23, 1, v35
	v_cmp_gt_i32_e32 vcc, s47, v23
	v_mov_b32_e32 v22, 0
	v_lshlrev_b32_e32 v30, 9, v35
	v_mov_b32_e32 v18, 0
	v_mov_b32_e32 v19, 0
	;; [unrolled: 1-line block ×4, first 2 shown]
	s_and_saveexec_b64 s[0:1], vcc
	s_cbranch_execz .LBB285_52
; %bb.51:
	v_mov_b32_e32 v31, 0
	v_lshl_add_u64 v[18:19], s[4:5], 0, v[30:31]
	v_lshlrev_b32_e32 v20, 1, v36
	v_mov_b32_e32 v21, v31
	v_lshl_add_u64 v[18:19], v[18:19], 0, v[20:21]
	global_load_dwordx4 v[18:21], v[18:19], off
.LBB285_52:
	s_or_b64 exec, exec, s[0:1]
	v_or_b32_e32 v23, 1, v23
	v_cmp_gt_i32_e64 s[0:1], s47, v23
	v_lshlrev_b32_e32 v38, 8, v23
	v_mov_b32_e32 v23, 0
	v_mov_b32_e32 v24, 0
	;; [unrolled: 1-line block ×3, first 2 shown]
	s_and_saveexec_b64 s[2:3], s[0:1]
	s_cbranch_execz .LBB285_54
; %bb.53:
	v_mov_b32_e32 v39, 0
	v_lshl_add_u64 v[22:23], s[4:5], 0, v[38:39]
	v_lshlrev_b32_e32 v24, 1, v36
	v_mov_b32_e32 v25, v39
	v_lshl_add_u64 v[22:23], v[22:23], 0, v[24:25]
	global_load_dwordx4 v[22:25], v[22:23], off
.LBB285_54:
	s_or_b64 exec, exec, s[2:3]
	v_mov_b32_e32 v33, 0
	v_mov_b32_e32 v26, 0
	;; [unrolled: 1-line block ×5, first 2 shown]
	s_and_saveexec_b64 s[2:3], vcc
	s_cbranch_execz .LBB285_56
; %bb.55:
	v_mov_b32_e32 v31, 0
	v_lshl_add_u64 v[26:27], s[4:5], 0, v[30:31]
	v_lshlrev_b32_e32 v30, 1, v36
	v_lshl_add_u64 v[26:27], v[26:27], 0, v[30:31]
	global_load_dwordx4 v[26:29], v[26:27], off offset:128
.LBB285_56:
	s_or_b64 exec, exec, s[2:3]
	v_mov_b32_e32 v32, 0
	v_mov_b32_e32 v31, 0
	;; [unrolled: 1-line block ×3, first 2 shown]
	s_and_saveexec_b64 s[2:3], s[0:1]
	s_cbranch_execz .LBB285_58
; %bb.57:
	v_mov_b32_e32 v39, 0
	v_lshl_add_u64 v[30:31], s[4:5], 0, v[38:39]
	v_lshlrev_b32_e32 v38, 1, v36
	v_lshl_add_u64 v[30:31], v[30:31], 0, v[38:39]
	global_load_dwordx4 v[30:33], v[30:31], off offset:128
.LBB285_58:
	s_or_b64 exec, exec, s[2:3]
	s_branch .LBB285_61
.LBB285_59:
                                        ; implicit-def: $vgpr21
                                        ; implicit-def: $vgpr25
                                        ; implicit-def: $vgpr29
                                        ; implicit-def: $vgpr33
	s_cbranch_execz .LBB285_61
; %bb.60:
	s_waitcnt vmcnt(0)
	v_lshlrev_b32_e32 v18, 1, v36
	v_lshl_or_b32 v36, v35, 9, v18
	s_and_b32 s5, s5, 0xffff
	s_mov_b32 s7, 0x20000
	s_movk_i32 s6, 0x4000
	s_movk_i32 s0, 0x80
	buffer_load_dwordx4 v[18:21], v36, s[4:7], 0 offen
	buffer_load_dwordx4 v[22:25], v36, s[4:7], 0 offen offset:256
	buffer_load_dwordx4 v[26:29], v36, s[4:7], s0 offen
	buffer_load_dwordx4 v[30:33], v36, s[4:7], s0 offen offset:256
.LBB285_61:
	ds_read_b64 v[38:39], v44 offset:32768
	v_add_u32_e32 v36, 0xb000, v42
	ds_read2_b64 v[54:57], v36 offset1:16
	ds_read_b64 v[50:51], v45 offset:32768
	ds_read_b64 v[58:59], v46 offset:32768
	;; [unrolled: 1-line block ×3, first 2 shown]
	ds_read2st64_b64 v[44:47], v42 offset0:90 offset1:92
	v_and_b32_e32 v36, 12, v48
	v_and_b32_e32 v48, 6, v0
	v_xor_b32_e32 v35, v35, v48
	v_lshlrev_b32_e32 v35, 2, v35
	s_mov_b32 s0, 0x1000504
	s_waitcnt lgkmcnt(4)
	v_mfma_f32_16x16x16_bf16 a[0:3], v[38:39], v[54:55], a[0:3]
	s_mov_b32 s1, 0x3020706
	v_mfma_f32_16x16x16_bf16 a[4:7], v[38:39], v[56:57], a[4:7]
	ds_read2st64_b64 v[54:57], v43 offset0:90 offset1:92
	s_waitcnt lgkmcnt(1)
	v_mfma_f32_16x16x16_bf16 a[0:3], v[50:51], v[44:45], a[0:3]
	ds_read_b64 v[38:39], v42 offset:48128
	ds_read_b64 v[44:45], v43 offset:48128
	s_waitcnt lgkmcnt(2)
	v_mfma_f32_16x16x16_bf16 a[4:7], v[50:51], v[54:55], a[4:7]
	v_mfma_f32_16x16x16_bf16 a[0:3], v[58:59], v[46:47], a[0:3]
	v_and_b32_e32 v46, 1, v0
	v_xor_b32_e32 v47, 0x440, v35
	v_cmp_eq_u32_e32 vcc, 0, v46
	v_mfma_f32_16x16x16_bf16 a[8:11], v[58:59], v[56:57], a[4:7]
	s_nop 0
	v_cndmask_b32_e32 v35, v47, v35, vcc
	v_lshl_or_b32 v35, v48, 10, v35
	s_waitcnt lgkmcnt(1)
	v_mfma_f32_16x16x16_bf16 a[4:7], v[60:61], v[38:39], a[0:3]
	s_waitcnt vmcnt(0)
	v_perm_b32 v38, v18, v22, s0
	v_perm_b32 v39, v26, v30, s0
	ds_write2st64_b32 v35, v38, v39 offset0:32 offset1:64
	v_xor_b32_e32 v38, 8, v35
	v_perm_b32 v18, v18, v22, s1
	v_perm_b32 v22, v26, v30, s1
	v_add_u32_e32 v26, 0x80, v38
	ds_write2st64_b32 v26, v18, v22 offset0:32 offset1:64
	v_xor_b32_e32 v18, 16, v35
	v_perm_b32 v22, v19, v23, s0
	v_perm_b32 v26, v27, v31, s0
	ds_write2st64_b32 v18, v22, v26 offset0:33 offset1:65
	v_xor_b32_e32 v18, 24, v35
	v_perm_b32 v19, v19, v23, s1
	v_perm_b32 v22, v27, v31, s1
	v_add_u32_e32 v18, 0x80, v18
	ds_write2st64_b32 v18, v19, v22 offset0:33 offset1:65
	v_xor_b32_e32 v18, 32, v35
	v_perm_b32 v19, v20, v24, s0
	v_perm_b32 v22, v28, v32, s0
	ds_write2st64_b32 v18, v19, v22 offset0:34 offset1:66
	v_xor_b32_e32 v18, 40, v35
	s_waitcnt lgkmcnt(5)
	v_mfma_f32_16x16x16_bf16 a[0:3], v[60:61], v[44:45], a[8:11]
	v_perm_b32 v19, v20, v24, s1
	v_perm_b32 v20, v28, v32, s1
	v_add_u32_e32 v18, 0x80, v18
	ds_write2st64_b32 v18, v19, v20 offset0:34 offset1:66
	v_xor_b32_e32 v18, 48, v35
	v_perm_b32 v19, v21, v25, s0
	v_perm_b32 v20, v29, v33, s0
	ds_write2st64_b32 v18, v19, v20 offset0:35 offset1:67
	v_xor_b32_e32 v18, 56, v35
	v_or_b32_e32 v38, v36, v62
	v_perm_b32 v19, v21, v25, s1
	v_perm_b32 v20, v29, v33, s1
	v_add_u32_e32 v18, 0x80, v18
	v_cmp_gt_i32_e64 s[0:1], s47, v38
	v_mov_b32_e32 v44, 0
	v_mov_b32_e32 v45, 0
	ds_write2st64_b32 v18, v19, v20 offset0:35 offset1:67
	s_and_saveexec_b64 s[2:3], s[0:1]
	s_cbranch_execz .LBB285_63
; %bb.62:
	v_add_u32_e32 v18, s46, v38
	v_ashrrev_i32_e32 v19, 31, v18
	v_mul_lo_u32 v20, v19, s38
	v_mul_lo_u32 v21, v18, s39
	v_mad_u64_u32 v[18:19], s[4:5], v18, s38, 0
	v_add3_u32 v19, v19, v21, v20
	v_lshl_add_u64 v[18:19], v[18:19], 2, s[10:11]
	global_load_dword v18, v[18:19], off
	s_waitcnt vmcnt(0)
	v_sub_f32_e32 v18, s16, v18
	v_exp_f32_e32 v45, v18
.LBB285_63:
	s_or_b64 exec, exec, s[2:3]
	v_or_b32_e32 v30, 1, v38
	v_cmp_gt_i32_e64 s[4:5], s47, v30
	s_and_saveexec_b64 s[2:3], s[4:5]
	s_cbranch_execz .LBB285_65
; %bb.64:
	v_add_u32_e32 v18, s46, v30
	v_ashrrev_i32_e32 v19, 31, v18
	v_mul_lo_u32 v20, v19, s38
	v_mul_lo_u32 v21, v18, s39
	v_mad_u64_u32 v[18:19], s[6:7], v18, s38, 0
	v_add3_u32 v19, v19, v21, v20
	v_lshl_add_u64 v[18:19], v[18:19], 2, s[10:11]
	global_load_dword v18, v[18:19], off
	s_waitcnt vmcnt(0)
	v_sub_f32_e32 v18, s16, v18
	v_exp_f32_e32 v44, v18
.LBB285_65:
	s_or_b64 exec, exec, s[2:3]
	v_or_b32_e32 v28, 2, v38
	v_cmp_gt_i32_e64 s[2:3], s47, v28
	v_mov_b32_e32 v39, 0
	v_mov_b32_e32 v46, 0
	s_and_saveexec_b64 s[6:7], s[2:3]
	s_cbranch_execz .LBB285_67
; %bb.66:
	v_add_u32_e32 v18, s46, v28
	v_ashrrev_i32_e32 v19, 31, v18
	v_mul_lo_u32 v20, v19, s38
	v_mul_lo_u32 v21, v18, s39
	v_mad_u64_u32 v[18:19], s[20:21], v18, s38, 0
	v_add3_u32 v19, v19, v21, v20
	v_lshl_add_u64 v[18:19], v[18:19], 2, s[10:11]
	global_load_dword v18, v[18:19], off
	s_waitcnt vmcnt(0)
	v_sub_f32_e32 v18, s16, v18
	v_exp_f32_e32 v46, v18
.LBB285_67:
	s_or_b64 exec, exec, s[6:7]
	v_or_b32_e32 v29, 3, v38
	v_cmp_gt_i32_e32 vcc, s47, v29
	s_and_saveexec_b64 s[6:7], vcc
	s_cbranch_execz .LBB285_69
; %bb.68:
	v_add_u32_e32 v18, s46, v29
	v_ashrrev_i32_e32 v19, 31, v18
	v_mul_lo_u32 v20, v19, s38
	v_mul_lo_u32 v21, v18, s39
	v_mad_u64_u32 v[18:19], s[20:21], v18, s38, 0
	v_add3_u32 v19, v19, v21, v20
	v_lshl_add_u64 v[18:19], v[18:19], 2, s[10:11]
	global_load_dword v18, v[18:19], off
	s_waitcnt vmcnt(0)
	v_sub_f32_e32 v18, s16, v18
	v_exp_f32_e32 v39, v18
.LBB285_69:
	s_or_b64 exec, exec, s[6:7]
	s_add_u32 s6, s8, s30
	s_addc_u32 s7, s9, s31
	s_add_u32 s8, s18, s30
	v_ashrrev_i32_e32 v35, 31, v34
	v_accvgpr_read_b32 v21, a7
	s_addc_u32 s9, s19, s31
	v_lshlrev_b64 v[22:23], 1, v[34:35]
	v_accvgpr_read_b32 v20, a6
	v_accvgpr_read_b32 v19, a5
	;; [unrolled: 1-line block ×3, first 2 shown]
	v_lshl_add_u64 v[24:25], s[6:7], 0, v[22:23]
	v_lshl_add_u64 v[22:23], s[8:9], 0, v[22:23]
	v_mov_b32_e32 v31, 0
	v_lshlrev_b32_e32 v26, 8, v38
	v_mov_b32_e32 v27, 0
	s_and_saveexec_b64 s[6:7], s[0:1]
	s_cbranch_execz .LBB285_71
; %bb.70:
	v_mov_b32_e32 v27, 0
	v_lshl_add_u64 v[32:33], v[24:25], 0, v[26:27]
	global_load_ushort v35, v[32:33], off
	v_lshl_add_u64 v[32:33], v[22:23], 0, v[26:27]
	s_waitcnt vmcnt(0)
	v_lshlrev_b32_e32 v27, 16, v35
	v_sub_f32_e32 v18, v27, v18
	global_store_short_d16_hi v[32:33], v18, off
	v_mul_f32_e32 v18, v45, v18
	v_lshrrev_b32_e32 v27, 16, v18
.LBB285_71:
	s_or_b64 exec, exec, s[6:7]
	v_lshlrev_b32_e32 v30, 8, v30
	s_and_saveexec_b64 s[6:7], s[4:5]
	s_cbranch_execz .LBB285_73
; %bb.72:
	v_mov_b32_e32 v31, 0
	v_lshl_add_u64 v[32:33], v[24:25], 0, v[30:31]
	global_load_ushort v18, v[32:33], off
	v_lshl_add_u64 v[32:33], v[22:23], 0, v[30:31]
	s_waitcnt vmcnt(0)
	v_lshlrev_b32_e32 v18, 16, v18
	v_sub_f32_e32 v18, v18, v19
	global_store_short_d16_hi v[32:33], v18, off
	v_mul_f32_e32 v18, v44, v18
	v_lshrrev_b32_e32 v31, 16, v18
.LBB285_73:
	s_or_b64 exec, exec, s[6:7]
	v_mov_b32_e32 v47, 0
	v_lshlrev_b32_e32 v32, 8, v28
	v_mov_b32_e32 v33, 0
	s_and_saveexec_b64 s[6:7], s[2:3]
	s_cbranch_execz .LBB285_75
; %bb.74:
	v_mov_b32_e32 v33, 0
	v_lshl_add_u64 v[18:19], v[24:25], 0, v[32:33]
	global_load_ushort v28, v[18:19], off
	v_lshl_add_u64 v[18:19], v[22:23], 0, v[32:33]
	s_waitcnt vmcnt(0)
	v_lshlrev_b32_e32 v28, 16, v28
	v_sub_f32_e32 v20, v28, v20
	global_store_short_d16_hi v[18:19], v20, off
	v_mul_f32_e32 v18, v46, v20
	v_lshrrev_b32_e32 v33, 16, v18
.LBB285_75:
	s_or_b64 exec, exec, s[6:7]
	v_lshlrev_b32_e32 v28, 8, v29
	s_and_saveexec_b64 s[6:7], vcc
	s_cbranch_execz .LBB285_77
; %bb.76:
	v_mov_b32_e32 v29, 0
	v_lshl_add_u64 v[18:19], v[24:25], 0, v[28:29]
	global_load_ushort v20, v[18:19], off
	v_lshl_add_u64 v[18:19], v[22:23], 0, v[28:29]
	s_waitcnt vmcnt(0)
	v_lshlrev_b32_e32 v20, 16, v20
	v_sub_f32_e32 v20, v20, v21
	global_store_short_d16_hi v[18:19], v20, off
	v_mul_f32_e32 v18, v39, v20
	v_lshrrev_b32_e32 v47, 16, v18
.LBB285_77:
	s_or_b64 exec, exec, s[6:7]
	v_lshlrev_b32_e32 v35, 5, v38
	s_mov_b32 s6, 0x5040100
	v_perm_b32 v48, v31, v27, s6
	v_or_b32_e32 v27, v35, v40
	v_accvgpr_read_b32 v21, a3
	v_perm_b32 v49, v47, v33, s6
	v_lshlrev_b32_e32 v27, 1, v27
	v_accvgpr_read_b32 v20, a2
	v_accvgpr_read_b32 v19, a1
	;; [unrolled: 1-line block ×3, first 2 shown]
	ds_write_b64 v27, v[48:49] offset:45056
	v_mov_b32_e32 v31, 0
	v_mov_b32_e32 v27, 0
	s_and_saveexec_b64 s[6:7], s[0:1]
	s_cbranch_execz .LBB285_79
; %bb.78:
	v_mov_b32_e32 v27, 0
	v_lshl_add_u64 v[48:49], v[24:25], 0, v[26:27]
	global_load_ushort v29, v[48:49], off offset:32
	v_lshl_add_u64 v[26:27], v[22:23], 0, v[26:27]
	s_waitcnt vmcnt(0)
	v_lshlrev_b32_e32 v29, 16, v29
	v_sub_f32_e32 v18, v29, v18
	global_store_short_d16_hi v[26:27], v18, off offset:32
	v_mul_f32_e32 v18, v45, v18
	v_lshrrev_b32_e32 v27, 16, v18
.LBB285_79:
	s_or_b64 exec, exec, s[6:7]
	s_and_saveexec_b64 s[0:1], s[4:5]
	s_cbranch_execz .LBB285_81
; %bb.80:
	v_mov_b32_e32 v31, 0
	v_lshl_add_u64 v[48:49], v[24:25], 0, v[30:31]
	global_load_ushort v18, v[48:49], off offset:32
	v_lshl_add_u64 v[30:31], v[22:23], 0, v[30:31]
	s_waitcnt vmcnt(0)
	v_lshlrev_b32_e32 v18, 16, v18
	v_sub_f32_e32 v18, v18, v19
	global_store_short_d16_hi v[30:31], v18, off offset:32
	v_mul_f32_e32 v18, v44, v18
	v_lshrrev_b32_e32 v31, 16, v18
.LBB285_81:
	s_or_b64 exec, exec, s[0:1]
	v_mov_b32_e32 v26, 0
	v_mov_b32_e32 v30, 0
	s_and_saveexec_b64 s[0:1], s[2:3]
	s_cbranch_execz .LBB285_83
; %bb.82:
	v_mov_b32_e32 v33, 0
	v_lshl_add_u64 v[18:19], v[24:25], 0, v[32:33]
	global_load_ushort v29, v[18:19], off offset:32
	v_lshl_add_u64 v[18:19], v[22:23], 0, v[32:33]
	s_waitcnt vmcnt(0)
	v_lshlrev_b32_e32 v29, 16, v29
	v_sub_f32_e32 v20, v29, v20
	global_store_short_d16_hi v[18:19], v20, off offset:32
	v_mul_f32_e32 v18, v46, v20
	v_lshrrev_b32_e32 v30, 16, v18
.LBB285_83:
	s_or_b64 exec, exec, s[0:1]
	v_or_b32_e32 v19, 0xb000, v42
	v_or_b32_e32 v18, 0xb000, v43
	s_and_saveexec_b64 s[0:1], vcc
	s_cbranch_execz .LBB285_85
; %bb.84:
	v_mov_b32_e32 v29, 0
	v_lshl_add_u64 v[24:25], v[24:25], 0, v[28:29]
	global_load_ushort v20, v[24:25], off offset:32
	v_lshl_add_u64 v[22:23], v[22:23], 0, v[28:29]
	s_waitcnt vmcnt(0)
	v_lshlrev_b32_e32 v20, 16, v20
	v_sub_f32_e32 v20, v20, v21
	global_store_short_d16_hi v[22:23], v20, off offset:32
	v_mul_f32_e32 v20, v39, v20
	v_lshrrev_b32_e32 v26, 16, v20
.LBB285_85:
	s_or_b64 exec, exec, s[0:1]
	s_mov_b32 s0, 0x5040100
	v_or_b32_e32 v22, v35, v37
	v_perm_b32 v21, v26, v30, s0
	v_perm_b32 v20, v31, v27, s0
	v_lshlrev_b32_e32 v22, 1, v22
	s_movk_i32 s2, 0x100
	ds_write_b64 v22, v[20:21] offset:45056
	v_and_b32_e32 v20, 7, v0
	v_and_b32_e32 v21, 8, v0
	v_cmp_gt_u32_e32 vcc, s2, v0
	v_lshrrev_b32_e32 v0, 1, v0
	v_lshlrev_b32_e32 v26, 3, v20
	v_lshlrev_b32_e32 v35, 7, v20
	v_mov_b32_e32 v20, 0x4000
	v_mov_b32_e32 v22, 0x2000
	v_lshlrev_b32_e32 v24, 3, v53
	v_and_b32_e32 v0, 24, v0
	v_cndmask_b32_e32 v27, v20, v22, vcc
	v_xor_b32_e32 v20, v24, v0
	v_or_b32_e32 v22, 0x440, v20
	v_cmp_eq_u32_e32 vcc, 0, v21
	v_or_b32_e32 v28, 32, v0
	v_xor_b32_e32 v28, v24, v28
	v_cndmask_b32_e32 v20, v22, v20, vcc
	v_or_b32_e32 v20, v20, v41
	v_xor_b32_e32 v48, v20, v26
	v_or_b32_e32 v29, 0x440, v28
	v_add3_u32 v25, v27, v48, v35
	v_cndmask_b32_e32 v28, v29, v28, vcc
	v_or_b32_e32 v29, 64, v0
	v_or_b32_e32 v0, 0x60, v0
	s_waitcnt lgkmcnt(0)
	s_barrier
	v_xor_b32_e32 v29, v24, v29
	v_xor_b32_e32 v0, v24, v0
	ds_read_b64 v[24:25], v25
	v_xor_b32_e32 v30, 0x440, v29
	ds_read2_b64 v[20:23], v19 offset1:16
	v_cndmask_b32_e32 v29, v30, v29, vcc
	v_xor_b32_e32 v30, 0x440, v0
	v_or_b32_e32 v28, v28, v41
	v_or_b32_e32 v29, v29, v41
	v_cndmask_b32_e32 v0, v30, v0, vcc
	v_xor_b32_e32 v49, v28, v26
	v_xor_b32_e32 v50, v29, v26
	v_or_b32_e32 v0, v0, v41
	s_add_i32 s0, s12, s48
	v_add3_u32 v28, v27, v49, v35
	v_add3_u32 v29, v27, v50, v35
	v_xor_b32_e32 v51, v0, v26
	s_mul_hi_i32 s1, s0, s13
	s_mul_i32 s0, s0, s13
	v_add3_u32 v0, v27, v51, v35
	ds_read_b64 v[26:27], v28
	ds_read_b64 v[32:33], v29
	;; [unrolled: 1-line block ×3, first 2 shown]
	ds_read2st64_b64 v[28:31], v19 offset0:2 offset1:4
	ds_read2st64_b64 v[40:43], v18 offset0:2 offset1:4
	s_add_u32 s0, s0, s33
	s_waitcnt lgkmcnt(5)
	v_mfma_f32_16x16x16_bf16 a[0:3], v[24:25], v[20:21], 0
	s_addc_u32 s1, s1, s14
	s_lshl_b64 s[0:1], s[0:1], 9
	s_add_u32 s0, s36, s0
	v_mfma_f32_16x16x16_bf16 a[4:7], v[24:25], v[22:23], 0
	s_addc_u32 s1, s37, s1
	v_lshlrev_b32_e32 v0, 2, v38
	v_add_u32_e32 v48, v48, v35
	s_waitcnt lgkmcnt(1)
	v_mfma_f32_16x16x16_bf16 a[0:3], v[26:27], v[28:29], a[0:3]
	v_add_u32_e32 v50, v50, v35
	s_waitcnt lgkmcnt(0)
	v_mfma_f32_16x16x16_bf16 a[4:7], v[26:27], v[40:41], a[4:7]
	global_load_dwordx4 v[24:27], v0, s[0:1]
	v_lshlrev_b32_e32 v0, 6, v53
	s_waitcnt vmcnt(0)
	v_exp_f32_e32 v26, v26
	v_mfma_f32_16x16x16_bf16 a[0:3], v[32:33], v[30:31], a[0:3]
	v_exp_f32_e32 v27, v27
	v_mfma_f32_16x16x16_bf16 a[4:7], v[32:33], v[42:43], a[4:7]
	ds_read_b64 v[32:33], v19 offset:3072
	ds_read_b64 v[46:47], v18 offset:3072
	v_lshlrev_b32_e32 v18, 2, v36
	v_or3_b32 v0, v0, v18, s2
	global_load_dwordx4 v[36:39], v0, s[0:1]
	v_exp_f32_e32 v18, v24
	v_exp_f32_e32 v19, v25
	ds_read_b64 v[24:25], v48 offset:16384
	s_waitcnt lgkmcnt(2)
	v_mfma_f32_16x16x16_bf16 a[0:3], v[44:45], v[32:33], a[0:3]
	v_exp_f32_e32 v0, s16
	s_nop 0
	v_pk_mul_f32 v[54:55], v[0:1], v[18:19] op_sel_hi:[0,1]
	s_waitcnt lgkmcnt(1)
	v_mfma_f32_16x16x16_bf16 a[4:7], v[44:45], v[46:47], a[4:7]
	v_add_u32_e32 v44, v49, v35
	s_nop 0
	v_accvgpr_read_b32 v19, a1
	v_accvgpr_read_b32 v45, a3
	v_add_u32_e32 v35, v51, v35
	ds_read_b64 v[48:49], v44 offset:16384
	ds_read_b64 v[50:51], v50 offset:16384
	;; [unrolled: 1-line block ×3, first 2 shown]
	v_accvgpr_read_b32 v44, a2
	v_accvgpr_read_b32 v18, a0
	s_waitcnt lgkmcnt(3)
	v_mfma_f32_16x16x16_bf16 a[0:3], v[24:25], v[22:23], 0
	v_pk_fma_f32 v[18:19], v[2:3], v[54:55], v[18:19]
	v_pk_mul_f32 v[2:3], v[0:1], v[26:27] op_sel_hi:[0,1]
	v_mov_b32_e32 v35, v34
	v_mfma_f32_16x16x16_bf16 a[8:11], v[24:25], v[20:21], 0
	v_pk_fma_f32 v[20:21], v[4:5], v[2:3], v[44:45]
	v_accvgpr_read_b32 v4, a4
	v_fma_f32 v26, v10, v54, v4
	s_waitcnt lgkmcnt(2)
	v_mfma_f32_16x16x16_bf16 a[0:3], v[48:49], v[40:41], a[0:3]
	v_accvgpr_read_b32 v4, a5
	v_fma_f32 v27, v11, v55, v4
	v_accvgpr_read_b32 v4, a6
	v_mfma_f32_16x16x16_bf16 a[8:11], v[48:49], v[28:29], a[8:11]
	v_accvgpr_read_b32 v29, a7
	v_fma_f32 v28, v12, v2, v4
	v_fmac_f32_e32 v29, v13, v3
	s_waitcnt lgkmcnt(1)
	v_mfma_f32_16x16x16_bf16 a[0:3], v[50:51], v[42:43], a[0:3]
	s_waitcnt vmcnt(0)
	v_mov_b32_e32 v2, v37
	v_mfma_f32_16x16x16_bf16 a[8:11], v[50:51], v[30:31], a[8:11]
	v_mov_b32_e32 v3, v38
	v_mov_b32_e32 v4, v39
	v_exp_f32_e32 v10, v36
	v_exp_f32_e32 v11, v2
	;; [unrolled: 1-line block ×4, first 2 shown]
	s_waitcnt lgkmcnt(0)
	v_mfma_f32_16x16x16_bf16 a[0:3], v[52:53], v[46:47], a[0:3]
	v_pk_mul_f32 v[10:11], v[0:1], v[10:11] op_sel_hi:[0,1]
	v_pk_mul_f32 v[2:3], v[0:1], v[2:3] op_sel_hi:[0,1]
	v_mfma_f32_16x16x16_bf16 a[4:7], v[52:53], v[32:33], a[8:11]
	s_nop 3
	v_accvgpr_read_b32 v0, a0
	v_fma_f32 v30, v14, v10, v0
	v_accvgpr_read_b32 v0, a1
	v_fma_f32 v31, v15, v11, v0
	v_accvgpr_read_b32 v13, a5
	v_accvgpr_read_b32 v5, a7
	;; [unrolled: 1-line block ×6, first 2 shown]
	v_pk_fma_f32 v[22:23], v[6:7], v[10:11], v[12:13]
	v_pk_fma_f32 v[24:25], v[8:9], v[2:3], v[4:5]
	v_fma_f32 v32, v16, v2, v0
	v_fmac_f32_e32 v33, v17, v3
	v_mov_b64_e32 v[2:3], v[18:19]
	v_mov_b64_e32 v[4:5], v[20:21]
	;; [unrolled: 1-line block ×8, first 2 shown]
.LBB285_86:
	s_lshl_b64 s[0:1], s[28:29], 15
	s_add_u32 s0, s34, s0
	v_lshlrev_b32_e32 v18, 7, v35
	s_addc_u32 s1, s35, s1
	v_ashrrev_i32_e32 v19, 31, v18
	v_lshl_add_u64 v[20:21], v[18:19], 1, s[0:1]
	v_lshlrev_b32_e32 v0, 1, v1
	v_mov_b32_e32 v1, 0
	s_mov_b32 s2, 0x7060302
	v_lshl_add_u64 v[20:21], v[20:21], 0, v[0:1]
	v_perm_b32 v5, v5, v4, s2
	v_perm_b32 v4, v3, v2, s2
	;; [unrolled: 1-line block ×4, first 2 shown]
	global_store_dwordx2 v[20:21], v[2:3], off offset:128
	v_or_b32_e32 v2, 0x800, v18
	v_ashrrev_i32_e32 v3, 31, v2
	v_lshl_add_u64 v[2:3], v[2:3], 1, s[0:1]
	v_lshl_add_u64 v[0:1], v[2:3], 0, v[0:1]
	v_perm_b32 v3, v13, v12, s2
	v_perm_b32 v2, v11, v10, s2
	global_store_dwordx2 v[0:1], v[2:3], off
	v_perm_b32 v3, v17, v16, s2
	v_perm_b32 v2, v15, v14, s2
	global_store_dwordx2 v[20:21], v[4:5], off
	global_store_dwordx2 v[0:1], v[2:3], off offset:128
	s_endpgm
	.section	.rodata,"a",@progbits
	.p2align	6, 0x0
	.amdhsa_kernel _ZN12_GLOBAL__N_139chunk_gated_delta_rule_fwd_h_hip_kernelILi32ELb0ELb1ELb1ELb0ELb1ELb1ELb0ELb1EEEvPK12hip_bfloat16S3_S3_PKfS5_PKvPS1_S8_PvPKiSB_iiiiilll
		.amdhsa_group_segment_fixed_size 49152
		.amdhsa_private_segment_fixed_size 0
		.amdhsa_kernarg_size 136
		.amdhsa_user_sgpr_count 2
		.amdhsa_user_sgpr_dispatch_ptr 0
		.amdhsa_user_sgpr_queue_ptr 0
		.amdhsa_user_sgpr_kernarg_segment_ptr 1
		.amdhsa_user_sgpr_dispatch_id 0
		.amdhsa_user_sgpr_kernarg_preload_length 0
		.amdhsa_user_sgpr_kernarg_preload_offset 0
		.amdhsa_user_sgpr_private_segment_size 0
		.amdhsa_uses_dynamic_stack 0
		.amdhsa_enable_private_segment 0
		.amdhsa_system_sgpr_workgroup_id_x 1
		.amdhsa_system_sgpr_workgroup_id_y 1
		.amdhsa_system_sgpr_workgroup_id_z 0
		.amdhsa_system_sgpr_workgroup_info 0
		.amdhsa_system_vgpr_workitem_id 0
		.amdhsa_next_free_vgpr 164
		.amdhsa_next_free_sgpr 72
		.amdhsa_accum_offset 144
		.amdhsa_reserve_vcc 1
		.amdhsa_float_round_mode_32 0
		.amdhsa_float_round_mode_16_64 0
		.amdhsa_float_denorm_mode_32 3
		.amdhsa_float_denorm_mode_16_64 3
		.amdhsa_dx10_clamp 1
		.amdhsa_ieee_mode 1
		.amdhsa_fp16_overflow 0
		.amdhsa_tg_split 0
		.amdhsa_exception_fp_ieee_invalid_op 0
		.amdhsa_exception_fp_denorm_src 0
		.amdhsa_exception_fp_ieee_div_zero 0
		.amdhsa_exception_fp_ieee_overflow 0
		.amdhsa_exception_fp_ieee_underflow 0
		.amdhsa_exception_fp_ieee_inexact 0
		.amdhsa_exception_int_div_zero 0
	.end_amdhsa_kernel
	.section	.text._ZN12_GLOBAL__N_139chunk_gated_delta_rule_fwd_h_hip_kernelILi32ELb0ELb1ELb1ELb0ELb1ELb1ELb0ELb1EEEvPK12hip_bfloat16S3_S3_PKfS5_PKvPS1_S8_PvPKiSB_iiiiilll,"axG",@progbits,_ZN12_GLOBAL__N_139chunk_gated_delta_rule_fwd_h_hip_kernelILi32ELb0ELb1ELb1ELb0ELb1ELb1ELb0ELb1EEEvPK12hip_bfloat16S3_S3_PKfS5_PKvPS1_S8_PvPKiSB_iiiiilll,comdat
.Lfunc_end285:
	.size	_ZN12_GLOBAL__N_139chunk_gated_delta_rule_fwd_h_hip_kernelILi32ELb0ELb1ELb1ELb0ELb1ELb1ELb0ELb1EEEvPK12hip_bfloat16S3_S3_PKfS5_PKvPS1_S8_PvPKiSB_iiiiilll, .Lfunc_end285-_ZN12_GLOBAL__N_139chunk_gated_delta_rule_fwd_h_hip_kernelILi32ELb0ELb1ELb1ELb0ELb1ELb1ELb0ELb1EEEvPK12hip_bfloat16S3_S3_PKfS5_PKvPS1_S8_PvPKiSB_iiiiilll
                                        ; -- End function
	.section	.AMDGPU.csdata,"",@progbits
; Kernel info:
; codeLenInByte = 10008
; NumSgprs: 78
; NumVgprs: 142
; NumAgprs: 20
; TotalNumVgprs: 164
; ScratchSize: 0
; MemoryBound: 0
; FloatMode: 240
; IeeeMode: 1
; LDSByteSize: 49152 bytes/workgroup (compile time only)
; SGPRBlocks: 9
; VGPRBlocks: 20
; NumSGPRsForWavesPerEU: 78
; NumVGPRsForWavesPerEU: 164
; AccumOffset: 144
; Occupancy: 1
; WaveLimiterHint : 1
; COMPUTE_PGM_RSRC2:SCRATCH_EN: 0
; COMPUTE_PGM_RSRC2:USER_SGPR: 2
; COMPUTE_PGM_RSRC2:TRAP_HANDLER: 0
; COMPUTE_PGM_RSRC2:TGID_X_EN: 1
; COMPUTE_PGM_RSRC2:TGID_Y_EN: 1
; COMPUTE_PGM_RSRC2:TGID_Z_EN: 0
; COMPUTE_PGM_RSRC2:TIDIG_COMP_CNT: 0
; COMPUTE_PGM_RSRC3_GFX90A:ACCUM_OFFSET: 35
; COMPUTE_PGM_RSRC3_GFX90A:TG_SPLIT: 0
	.section	.text._ZN12_GLOBAL__N_139chunk_gated_delta_rule_fwd_h_hip_kernelILi32ELb0ELb1ELb0ELb0ELb1ELb1ELb0ELb1EEEvPK12hip_bfloat16S3_S3_PKfS5_PKvPS1_S8_PvPKiSB_iiiiilll,"axG",@progbits,_ZN12_GLOBAL__N_139chunk_gated_delta_rule_fwd_h_hip_kernelILi32ELb0ELb1ELb0ELb0ELb1ELb1ELb0ELb1EEEvPK12hip_bfloat16S3_S3_PKfS5_PKvPS1_S8_PvPKiSB_iiiiilll,comdat
	.globl	_ZN12_GLOBAL__N_139chunk_gated_delta_rule_fwd_h_hip_kernelILi32ELb0ELb1ELb0ELb0ELb1ELb1ELb0ELb1EEEvPK12hip_bfloat16S3_S3_PKfS5_PKvPS1_S8_PvPKiSB_iiiiilll ; -- Begin function _ZN12_GLOBAL__N_139chunk_gated_delta_rule_fwd_h_hip_kernelILi32ELb0ELb1ELb0ELb0ELb1ELb1ELb0ELb1EEEvPK12hip_bfloat16S3_S3_PKfS5_PKvPS1_S8_PvPKiSB_iiiiilll
	.p2align	8
	.type	_ZN12_GLOBAL__N_139chunk_gated_delta_rule_fwd_h_hip_kernelILi32ELb0ELb1ELb0ELb0ELb1ELb1ELb0ELb1EEEvPK12hip_bfloat16S3_S3_PKfS5_PKvPS1_S8_PvPKiSB_iiiiilll,@function
_ZN12_GLOBAL__N_139chunk_gated_delta_rule_fwd_h_hip_kernelILi32ELb0ELb1ELb0ELb0ELb1ELb1ELb0ELb1EEEvPK12hip_bfloat16S3_S3_PKfS5_PKvPS1_S8_PvPKiSB_iiiiilll: ; @_ZN12_GLOBAL__N_139chunk_gated_delta_rule_fwd_h_hip_kernelILi32ELb0ELb1ELb0ELb0ELb1ELb1ELb0ELb1EEEvPK12hip_bfloat16S3_S3_PKfS5_PKvPS1_S8_PvPKiSB_iiiiilll
; %bb.0:
	s_load_dwordx4 s[12:15], s[0:1], 0x5c
	s_load_dwordx4 s[16:19], s[0:1], 0x70
	s_abs_i32 s22, s3
	s_ashr_i32 s21, s3, 31
	s_load_dwordx8 s[4:11], s[0:1], 0x0
	s_load_dwordx2 s[30:31], s[0:1], 0x20
	s_waitcnt lgkmcnt(0)
	s_abs_i32 s20, s13
	v_cvt_f32_u32_e32 v1, s20
	s_sub_i32 s24, 0, s20
	s_ashr_i32 s23, s13, 31
	s_xor_b32 s21, s21, s23
	v_rcp_iflag_f32_e32 v1, v1
	s_load_dwordx2 s[28:29], s[0:1], 0x40
	s_load_dwordx2 s[38:39], s[0:1], 0x30
	;; [unrolled: 1-line block ×3, first 2 shown]
	v_lshrrev_b32_e32 v53, 6, v0
	v_mul_f32_e32 v1, 0x4f7ffffe, v1
	v_cvt_u32_f32_e32 v1, v1
	v_bfe_u32 v62, v0, 4, 2
	v_lshlrev_b32_e32 v60, 4, v53
	v_lshlrev_b32_e32 v18, 2, v62
	v_readfirstlane_b32 s25, v1
	s_mul_i32 s24, s24, s25
	s_mul_hi_u32 s24, s25, s24
	s_add_i32 s25, s25, s24
	s_mul_hi_u32 s24, s22, s25
	s_mul_i32 s25, s24, s20
	s_sub_i32 s22, s22, s25
	s_add_i32 s25, s24, 1
	s_sub_i32 s26, s22, s20
	s_cmp_ge_u32 s22, s20
	s_cselect_b32 s24, s25, s24
	s_cselect_b32 s22, s26, s22
	s_add_i32 s25, s24, 1
	s_cmp_ge_u32 s22, s20
	s_cselect_b32 s22, s25, s24
	s_xor_b32 s22, s22, s21
	s_sub_i32 s50, s22, s21
	s_abs_i32 s21, s14
	v_cvt_f32_u32_e32 v1, s21
	s_ashr_i32 s49, s12, 31
	s_lshr_b32 s22, s49, 26
	s_add_i32 s22, s12, s22
	v_rcp_iflag_f32_e32 v1, v1
	s_ashr_i32 s52, s14, 31
	s_ashr_i32 s51, s22, 6
	s_xor_b32 s22, s23, s52
	v_mul_f32_e32 v1, 0x4f7ffffe, v1
	v_cvt_u32_f32_e32 v1, v1
	s_sub_i32 s23, 0, s21
	s_mul_i32 s48, s50, s13
	s_sub_i32 s33, s3, s48
	v_readfirstlane_b32 s24, v1
	s_mul_i32 s23, s23, s24
	s_mul_hi_u32 s23, s24, s23
	s_add_i32 s24, s24, s23
	s_mul_hi_u32 s23, s20, s24
	s_mul_i32 s24, s23, s21
	s_sub_i32 s20, s20, s24
	s_add_i32 s3, s12, 63
	s_add_i32 s24, s23, 1
	s_sub_i32 s25, s20, s21
	s_cmp_ge_u32 s20, s21
	s_cselect_b32 s23, s24, s23
	s_cselect_b32 s20, s25, s20
	s_add_i32 s24, s23, 1
	s_cmp_ge_u32 s20, s21
	s_cselect_b32 s20, s24, s23
	s_xor_b32 s20, s20, s22
	s_sub_i32 s20, s20, s22
	s_abs_i32 s21, s20
	v_cvt_f32_u32_e32 v1, s21
	s_xor_b32 s0, s33, s20
	s_sub_i32 s20, 0, s21
	s_abs_i32 s1, s33
	v_rcp_iflag_f32_e32 v1, v1
	s_ashr_i32 s0, s0, 31
	v_and_b32_e32 v61, 63, v0
	v_mov_b32_e32 v17, 0
	v_mul_f32_e32 v1, 0x4f7ffffe, v1
	v_cvt_u32_f32_e32 v1, v1
	s_mul_i32 s46, s50, s12
	v_and_b32_e32 v63, 15, v0
	s_mul_hi_i32 s54, s50, s13
	v_readfirstlane_b32 s22, v1
	s_mul_i32 s20, s20, s22
	s_mul_hi_u32 s20, s22, s20
	s_add_i32 s22, s22, s20
	s_mul_hi_u32 s20, s1, s22
	s_mul_i32 s22, s20, s21
	s_sub_i32 s1, s1, s22
	s_add_i32 s22, s20, 1
	s_sub_i32 s23, s1, s21
	s_cmp_ge_u32 s1, s21
	s_cselect_b32 s20, s22, s20
	s_cselect_b32 s1, s23, s1
	s_add_i32 s22, s20, 1
	s_cmp_ge_u32 s1, s21
	s_cselect_b32 s1, s22, s20
	s_xor_b32 s1, s1, s0
	s_sub_i32 s55, s1, s0
	s_ashr_i32 s0, s3, 31
	s_lshr_b32 s0, s0, 26
	s_add_i32 s3, s3, s0
	v_or_b32_e32 v1, v18, v60
	s_ashr_i32 s0, s3, 6
	s_lshl_b32 s2, s2, 5
	s_mul_i32 s53, s50, s0
	v_or_b32_e32 v66, 64, v1
	s_cmp_lt_i32 s12, 64
	v_lshrrev_b32_e32 v65, 3, v61
	v_lshlrev_b32_e32 v64, 3, v0
	s_mul_i32 s17, s50, s17
	s_mul_hi_u32 s47, s50, s16
	s_mul_i32 s36, s50, s16
	v_mov_b32_e32 v16, v17
	v_mov_b32_e32 v15, v17
	;; [unrolled: 1-line block ×15, first 2 shown]
	s_cbranch_scc1 .LBB286_19
; %bb.1:
	s_ashr_i32 s3, s50, 31
	s_ashr_i32 s57, s33, 31
	s_add_u32 s0, s48, s33
	s_addc_u32 s1, s54, s57
	s_mul_i32 s1, s12, s1
	s_mul_hi_u32 s20, s12, s0
	s_add_i32 s41, s20, s1
	s_mul_i32 s40, s12, s0
	s_lshl_b64 s[0:1], s[40:41], 8
	v_and_b32_e32 v68, 56, v64
	s_add_u32 s20, s6, s0
	v_lshl_or_b32 v67, v53, 3, v65
	v_lshlrev_b32_e32 v2, 1, v68
	s_addc_u32 s0, s7, s1
	v_lshl_or_b32 v69, v67, 8, v2
	s_and_b32 s21, s0, 0xffff
	s_mov_b32 s23, 0x20000
	s_movk_i32 s22, 0x4000
	s_movk_i32 s0, 0x80
	v_or_b32_e32 v70, 0x2000, v69
	buffer_load_dwordx4 v[4:7], v69, s[20:23], 0 offen
	buffer_load_dwordx4 v[8:11], v69, s[20:23], s0 offen
	;; [unrolled: 1-line block ×4, first 2 shown]
	v_lshlrev_b32_e32 v3, 3, v67
	v_and_or_b32 v17, v0, 7, v3
	v_and_b32_e32 v3, 0x78, v3
	v_lshlrev_b32_e32 v17, 4, v17
	v_xor_b32_e32 v71, v17, v3
	v_mul_lo_u32 v16, v67, s15
	v_or_b32_e32 v72, 0x1000, v71
	v_xor_b32_e32 v3, 8, v71
	s_cmpk_eq_i32 s15, 0x80
	s_mov_b32 s56, s14
	v_xor_b32_e32 v17, 8, v72
	s_cselect_b64 s[0:1], -1, 0
	s_cmpk_lg_i32 s15, 0x80
	s_waitcnt vmcnt(3)
	ds_write_b64 v71, v[4:5] offset:24576
	ds_write_b64 v3, v[6:7] offset:24576
	s_waitcnt vmcnt(2)
	ds_write_b64 v71, v[8:9] offset:32768
	ds_write_b64 v3, v[10:11] offset:32768
	;; [unrolled: 3-line block ×4, first 2 shown]
	v_lshl_add_u32 v3, v16, 1, v68
	s_cbranch_scc0 .LBB286_3
; %bb.2:
	v_lshlrev_b32_e32 v5, 1, v3
	v_add_lshl_u32 v4, v3, s15, 1
	s_lshl_b32 s22, s15, 7
	v_lshl_or_b32 v2, v67, 9, v2
	s_cbranch_execz .LBB286_4
	s_branch .LBB286_5
.LBB286_3:
                                        ; implicit-def: $vgpr4
                                        ; implicit-def: $vgpr5
                                        ; implicit-def: $sgpr22
	v_lshl_or_b32 v2, v67, 9, v2
.LBB286_4:
	v_or_b32_e32 v4, 0x100, v2
	s_movk_i32 s22, 0x4000
	v_mov_b32_e32 v5, v2
.LBB286_5:
	s_mul_hi_u32 s20, s14, s12
	s_mul_i32 s21, s52, s12
	s_add_i32 s20, s20, s21
	s_mul_i32 s21, s14, s12
	s_mul_i32 s23, s21, s3
	s_mul_hi_u32 s24, s21, s50
	s_add_i32 s23, s24, s23
	s_mul_i32 s20, s20, s50
	s_add_i32 s23, s23, s20
	s_mul_i32 s21, s21, s50
	s_ashr_i32 s58, s55, 31
	s_add_u32 s20, s21, s55
	s_addc_u32 s21, s23, s58
	s_lshl_b64 s[20:21], s[20:21], 8
	s_add_u32 s20, s4, s20
	s_addc_u32 s21, s5, s21
	s_and_b32 s21, s21, 0xffff
	s_mov_b32 s23, 0x20000
	s_movk_i32 s59, 0x80
	buffer_load_dwordx4 v[6:9], v5, s[20:23], 0 offen
	buffer_load_dwordx4 v[10:13], v5, s[20:23], s59 offen
	;; [unrolled: 1-line block ×4, first 2 shown]
	v_and_b32_e32 v4, 6, v0
	s_mul_i32 s20, s3, s12
	s_mul_hi_u32 s21, s50, s12
	v_lshlrev_b32_e32 v24, 6, v1
	v_or_b32_e32 v26, 16, v63
	v_xor_b32_e32 v27, v67, v4
	v_and_b32_e32 v5, 1, v0
	v_lshl_or_b32 v30, v63, 3, v24
	v_lshl_or_b32 v24, v26, 3, v24
	v_lshlrev_b32_e32 v27, 2, v27
	s_add_i32 s63, s21, s20
	s_add_i32 s20, s47, s17
	s_mul_i32 s3, s3, s16
	v_lshlrev_b32_e32 v19, 2, v63
	v_or_b32_e32 v75, 0xa000, v24
	v_or_b32_e32 v76, 0xb000, v24
	v_xor_b32_e32 v24, 0x440, v27
	v_cmp_eq_u32_e32 vcc, 0, v5
	s_add_i32 s37, s20, s3
	s_mul_i32 s3, s33, s19
	s_mul_hi_u32 s20, s33, s18
	v_xor_b32_e32 v28, v1, v19
	v_xor_b32_e32 v29, v66, v19
	v_cndmask_b32_e32 v5, v24, v27, vcc
	s_add_i32 s3, s20, s3
	s_mul_i32 s20, s57, s18
	s_mov_b32 s61, 0x1000504
	v_lshlrev_b32_e32 v25, 8, v63
	v_lshlrev_b32_e32 v28, 1, v28
	;; [unrolled: 1-line block ×3, first 2 shown]
	v_lshl_or_b32 v4, v4, 10, v5
	s_add_i32 s21, s3, s20
	s_lshl_b64 s[24:25], s[36:37], 2
	s_mov_b32 s62, 0x3020706
	v_or_b32_e32 v73, 0xa000, v30
	v_or_b32_e32 v74, 0xb000, v30
	;; [unrolled: 1-line block ×4, first 2 shown]
	v_xor_b32_e32 v5, 8, v4
	v_xor_b32_e32 v25, 24, v4
	;; [unrolled: 1-line block ×4, first 2 shown]
	s_mul_i32 s20, s33, s18
	s_add_u32 s3, s10, s24
	v_xor_b32_e32 v24, 16, v4
	v_xor_b32_e32 v27, 32, v4
	v_xor_b32_e32 v31, 48, v4
	v_add_u32_e32 v5, 0x80, v5
	v_add_u32_e32 v25, 0x80, v25
	;; [unrolled: 1-line block ×4, first 2 shown]
	s_addc_u32 s22, s11, s25
	s_lshl_b64 s[20:21], s[20:21], 2
	s_add_u32 s42, s3, s20
	s_movk_i32 s3, 0xf8
	s_addc_u32 s43, s22, s21
	s_lshl_b32 s26, s15, 7
	s_movk_i32 s24, 0x100
	v_mov_b32_e32 v55, 0
	v_lshlrev_b32_e32 v54, 4, v63
	v_cmp_gt_u32_e32 vcc, s24, v0
	v_lshlrev_b32_e32 v26, 8, v26
	v_or_b32_e32 v79, v26, v28
	v_or_b32_e32 v80, v26, v29
	s_mov_b32 s60, 0
	s_movk_i32 s37, 0x1000
	s_movk_i32 s22, 0x4000
	v_add_u32_e32 v94, v60, v18
	s_mov_b32 s64, 0x7060302
	s_mov_b32 s66, 0
	v_mov_b32_e32 v105, v55
	v_mov_b32_e32 v106, v55
	;; [unrolled: 1-line block ×8, first 2 shown]
	s_waitcnt vmcnt(1)
	v_perm_b32 v33, v6, v14, s61
	s_waitcnt vmcnt(0)
	v_perm_b32 v34, v10, v20, s61
	v_perm_b32 v6, v6, v14, s62
	;; [unrolled: 1-line block ×15, first 2 shown]
	ds_write2st64_b32 v4, v33, v34 offset0:32 offset1:64
	ds_write2st64_b32 v5, v6, v10 offset0:32 offset1:64
	;; [unrolled: 1-line block ×8, first 2 shown]
	v_or_b32_e32 v4, v60, v63
	v_lshlrev_b32_e32 v4, 3, v4
	v_lshrrev_b32_e32 v6, 5, v61
	v_and_or_b32 v6, v4, s3, v6
	v_lshlrev_b32_e32 v6, 4, v6
	v_lshrrev_b32_e32 v5, 2, v61
	v_lshlrev_b32_e32 v11, 11, v53
	v_and_b32_e32 v4, 0x78, v4
	v_or_b32_e32 v10, 32, v6
	v_and_b32_e32 v7, 12, v5
	v_and_b32_e32 v5, 0x1000, v11
	v_xor_b32_e32 v8, v6, v4
	v_lshrrev_b32_e32 v9, 1, v61
	v_xor_b32_e32 v10, v10, v4
	v_or_b32_e32 v8, v8, v5
	v_and_b32_e32 v9, 8, v9
	v_lshlrev_b32_e32 v12, 7, v62
	v_or_b32_e32 v10, v10, v5
	v_xor_b32_e32 v81, v8, v9
	v_or_b32_e32 v8, v12, v19
	v_xor_b32_e32 v83, v10, v9
	v_or_b32_e32 v10, 64, v6
	v_or_b32_e32 v6, 0x60, v6
	s_ashr_i32 s3, s2, 31
	v_lshlrev_b32_e32 v8, 1, v8
	v_xor_b32_e32 v10, v10, v4
	v_xor_b32_e32 v4, v6, v4
	s_lshl_b64 s[20:21], s[2:3], 8
	v_or_b32_e32 v82, 0xa000, v8
	v_or_b32_e32 v84, 0xa080, v8
	;; [unrolled: 1-line block ×6, first 2 shown]
	s_waitcnt lgkmcnt(0)
	s_add_u32 s20, s38, s20
	v_lshlrev_b32_e32 v8, 1, v63
	v_lshlrev_b32_e32 v19, 2, v0
	v_lshrrev_b32_e32 v22, 1, v0
	v_xor_b32_e32 v85, v10, v9
	v_xor_b32_e32 v86, v4, v9
	v_lshrrev_b32_e32 v10, 4, v0
	s_addc_u32 s21, s39, s21
	v_or_b32_e32 v9, 1, v8
	v_mov_b32_e32 v20, 0x4000
	v_mov_b32_e32 v21, 0x2000
	v_and_b32_e32 v22, 24, v22
	v_and_or_b32 v12, v19, 60, v12
	v_mov_b32_e32 v19, 0xb000
	v_xor_b32_e32 v15, v10, v8
	v_xor_b32_e32 v16, v9, v10
	v_lshl_add_u64 v[8:9], s[20:21], 0, v[54:55]
	v_lshlrev_b32_e32 v54, 8, v10
	v_cndmask_b32_e32 v20, v20, v21, vcc
	v_lshlrev_b32_e32 v21, 3, v53
	v_lshl_or_b32 v91, v12, 1, v19
	v_or_b32_e32 v12, 32, v22
	v_lshl_or_b32 v89, v15, 3, v54
	v_and_b32_e32 v15, 8, v0
	v_xor_b32_e32 v12, v21, v12
	v_cmp_eq_u32_e32 vcc, 0, v15
	v_or_b32_e32 v19, 0x440, v12
	v_and_b32_e32 v10, 7, v0
	v_cndmask_b32_e32 v12, v19, v12, vcc
	v_lshl_or_b32 v90, v16, 3, v54
	v_lshlrev_b32_e32 v16, 3, v10
	v_or_b32_e32 v12, v12, v11
	v_xor_b32_e32 v19, v12, v16
	v_or_b32_e32 v12, 64, v22
	v_xor_b32_e32 v12, v21, v12
	v_xor_b32_e32 v25, 0x440, v12
	v_cndmask_b32_e32 v12, v25, v12, vcc
	v_or_b32_e32 v12, v12, v11
	v_xor_b32_e32 v25, v12, v16
	v_or_b32_e32 v12, 0x60, v22
	v_xor_b32_e32 v23, v21, v22
	v_xor_b32_e32 v12, v21, v12
	v_or_b32_e32 v24, 0x440, v23
	v_xor_b32_e32 v21, 0x440, v12
	v_cndmask_b32_e32 v15, v24, v23, vcc
	v_cndmask_b32_e32 v12, v21, v12, vcc
	v_or_b32_e32 v15, v15, v11
	v_or_b32_e32 v11, v12, v11
	;; [unrolled: 1-line block ×3, first 2 shown]
	v_xor_b32_e32 v15, v15, v16
	v_xor_b32_e32 v11, v11, v16
	v_lshlrev_b32_e32 v6, 7, v1
	v_ashrrev_i32_e32 v5, 31, v4
	v_lshlrev_b32_e32 v13, 1, v3
	v_add_lshl_u32 v3, v3, s15, 1
	v_or_b32_e32 v14, 0x100, v2
	v_lshlrev_b32_e32 v17, 7, v10
	v_or_b32_e32 v10, v7, v60
	v_add_u32_e32 v23, v20, v15
	v_add_u32_e32 v24, v20, v19
	;; [unrolled: 1-line block ×4, first 2 shown]
	v_or3_b32 v12, v60, v7, 64
	v_add_u32_e32 v7, 0x4000, v15
	v_add_u32_e32 v15, 0x4000, v19
	;; [unrolled: 1-line block ×4, first 2 shown]
	v_cndmask_b32_e64 v92, v13, v2, s[0:1]
	v_cndmask_b32_e64 v93, v3, v14, s[0:1]
	v_lshl_add_u64 v[56:57], v[4:5], 1, s[8:9]
	v_lshl_add_u64 v[58:59], v[8:9], 0, v[54:55]
	s_add_i32 s3, s46, 63
	v_lshlrev_b32_e32 v54, 1, v6
	v_lshlrev_b32_e32 v95, 2, v10
	v_add_u32_e32 v96, v23, v17
	v_add_u32_e32 v97, v24, v17
	;; [unrolled: 1-line block ×4, first 2 shown]
	v_lshlrev_b32_e32 v100, 2, v12
	v_add_u32_e32 v101, v7, v17
	v_add_u32_e32 v102, v15, v17
	;; [unrolled: 1-line block ×4, first 2 shown]
	v_mov_b32_e32 v2, v55
	v_mov_b32_e32 v3, v55
	;; [unrolled: 1-line block ×8, first 2 shown]
	s_barrier
.LBB286_6:                              ; =>This Inner Loop Header: Depth=1
	s_add_i32 s65, s66, 1
	s_cmp_lt_i32 s65, s51
	s_mov_b64 s[24:25], 0
	s_cselect_b64 s[44:45], -1, 0
	s_cmp_ge_i32 s65, s51
	s_mov_b64 s[20:21], 0
	s_cbranch_scc1 .LBB286_8
; %bb.7:                                ;   in Loop: Header=BB286_6 Depth=1
	s_add_i32 s0, s60, 64
	s_add_u32 s0, s40, s0
	s_addc_u32 s1, s41, 0
	s_lshl_b64 s[0:1], s[0:1], 8
	s_add_u32 s20, s6, s0
	s_addc_u32 s21, s7, s1
.LBB286_8:                              ;   in Loop: Header=BB286_6 Depth=1
	v_cndmask_b32_e64 v10, 0, 1, s[44:45]
	v_cmp_ne_u32_e64 s[0:1], 1, v10
	s_andn2_b64 vcc, exec, s[44:45]
	s_cbranch_vccnz .LBB286_10
; %bb.9:                                ;   in Loop: Header=BB286_6 Depth=1
	s_add_i32 s24, s60, 64
	s_add_u32 s24, s46, s24
	s_addc_u32 s25, s63, 0
	s_mul_i32 s27, s24, s52
	s_mul_hi_u32 s44, s24, s56
	s_add_i32 s27, s44, s27
	s_mul_i32 s25, s25, s56
	s_add_i32 s27, s27, s25
	s_mul_i32 s24, s24, s56
	s_add_u32 s24, s24, s55
	s_addc_u32 s25, s27, s58
	s_lshl_b64 s[24:25], s[24:25], 8
	s_add_u32 s24, s4, s24
	s_addc_u32 s25, s5, s25
.LBB286_10:                             ;   in Loop: Header=BB286_6 Depth=1
	v_perm_b32 v11, v5, v4, s64
	v_perm_b32 v10, v3, v2, s64
	;; [unrolled: 1-line block ×4, first 2 shown]
	ds_write_b64 v73, v[10:11]
	ds_write_b64 v74, v[12:13]
	ds_write_b64 v77, v[10:11]
	ds_write_b64 v78, v[12:13]
	v_perm_b32 v11, v112, v107, s64
	v_perm_b32 v10, v106, v105, s64
	;; [unrolled: 1-line block ×4, first 2 shown]
	ds_write_b64 v75, v[10:11]
	ds_write_b64 v76, v[12:13]
	;; [unrolled: 1-line block ×4, first 2 shown]
	s_waitcnt lgkmcnt(0)
	s_barrier
	ds_read_b64 v[14:15], v81 offset:24576
	ds_read2_b64 v[10:13], v82 offset1:16
	ds_read_b64 v[18:19], v84 offset:3072
	ds_read_b64 v[20:21], v82 offset:3072
	;; [unrolled: 1-line block ×3, first 2 shown]
	s_waitcnt lgkmcnt(3)
	v_mfma_f32_16x16x16_bf16 a[0:3], v[14:15], v[10:11], 0
	s_add_i32 s27, s60, 63
	s_mul_i32 s44, s27, s35
	s_mul_hi_u32 s45, s27, s34
	v_mfma_f32_16x16x16_bf16 a[4:7], v[14:15], v[12:13], 0
	ds_read2st64_b64 v[10:13], v82 offset0:2 offset1:4
	ds_read2st64_b64 v[14:17], v84 offset0:2 offset1:4
	s_add_i32 s45, s45, s44
	s_waitcnt lgkmcnt(1)
	v_mfma_f32_16x16x16_bf16 a[0:3], v[22:23], v[10:11], a[0:3]
	s_mul_i32 s44, s27, s34
	s_lshl_b64 s[44:45], s[44:45], 2
	s_add_u32 s44, s42, s44
	s_waitcnt lgkmcnt(0)
	v_mfma_f32_16x16x16_bf16 a[4:7], v[22:23], v[14:15], a[4:7]
	ds_read_b64 v[10:11], v85 offset:24576
	ds_read_b64 v[14:15], v86 offset:24576
	s_addc_u32 s45, s43, s45
	s_and_b64 vcc, exec, s[0:1]
	s_waitcnt lgkmcnt(1)
	v_mfma_f32_16x16x16_bf16 a[0:3], v[10:11], v[12:13], a[0:3]
	v_mov_b32_e32 v115, 0
	v_mov_b32_e32 v114, 0
	;; [unrolled: 1-line block ×3, first 2 shown]
	v_mfma_f32_16x16x16_bf16 a[4:7], v[10:11], v[16:17], a[4:7]
	v_mov_b32_e32 v10, 0
	v_mov_b32_e32 v11, 0
	;; [unrolled: 1-line block ×3, first 2 shown]
	s_waitcnt lgkmcnt(0)
	v_mfma_f32_16x16x16_bf16 a[0:3], v[14:15], v[20:21], a[0:3]
	v_mov_b32_e32 v13, 0
	v_mov_b32_e32 v16, 0
	;; [unrolled: 1-line block ×3, first 2 shown]
	v_mfma_f32_16x16x16_bf16 a[4:7], v[14:15], v[18:19], a[4:7]
	v_mov_b32_e32 v14, 0
	v_mov_b32_e32 v15, 0
	;; [unrolled: 1-line block ×10, first 2 shown]
	s_cbranch_vccnz .LBB286_12
; %bb.11:                               ;   in Loop: Header=BB286_6 Depth=1
	s_and_b32 s21, s21, 0xffff
	buffer_load_dwordx4 v[22:25], v69, s[20:23], 0 offen
	buffer_load_dwordx4 v[18:21], v69, s[20:23], s59 offen
	;; [unrolled: 1-line block ×4, first 2 shown]
	v_mov_b32_e32 v114, v71
	v_mov_b32_e32 v113, v72
.LBB286_12:                             ;   in Loop: Header=BB286_6 Depth=1
	ds_read_b64 v[30:31], v81 offset:32768
	ds_read2_b64 v[26:29], v87 offset1:16
	ds_read_b64 v[34:35], v83 offset:32768
	ds_read_b64 v[36:37], v85 offset:32768
	;; [unrolled: 1-line block ×3, first 2 shown]
	v_add_u32_e32 v42, s60, v94
	s_waitcnt lgkmcnt(3)
	v_mfma_f32_16x16x16_bf16 a[0:3], v[30:31], v[26:27], a[0:3]
	v_mov_b32_e32 v116, 0
	v_mfma_f32_16x16x16_bf16 a[4:7], v[30:31], v[28:29], a[4:7]
	ds_read2st64_b64 v[26:29], v87 offset0:2 offset1:4
	ds_read2st64_b64 v[30:33], v88 offset0:2 offset1:4
	s_waitcnt lgkmcnt(1)
	v_mfma_f32_16x16x16_bf16 a[0:3], v[34:35], v[26:27], a[0:3]
	ds_read_b64 v[26:27], v87 offset:3072
	ds_read_b64 v[40:41], v88 offset:3072
	s_waitcnt lgkmcnt(2)
	v_mfma_f32_16x16x16_bf16 a[4:7], v[34:35], v[30:31], a[4:7]
	v_ashrrev_i32_e32 v30, 31, v42
	v_mul_lo_u32 v31, v42, s35
	v_mul_lo_u32 v30, v30, s34
	v_mfma_f32_16x16x16_bf16 a[0:3], v[36:37], v[28:29], a[0:3]
	v_mad_u64_u32 v[28:29], s[20:21], v42, s34, 0
	v_add3_u32 v29, v29, v31, v30
	v_lshl_add_u64 v[28:29], v[28:29], 2, s[42:43]
	global_load_dword v34, v[28:29], off
	v_add_u32_e32 v28, 1, v42
	v_ashrrev_i32_e32 v29, 31, v28
	s_waitcnt lgkmcnt(1)
	v_mfma_f32_16x16x16_bf16 a[0:3], v[38:39], v[26:27], a[0:3]
	v_mul_lo_u32 v29, v29, s34
	v_mul_lo_u32 v30, v28, s35
	v_mad_u64_u32 v[26:27], s[20:21], v28, s34, 0
	v_add_u32_e32 v28, 2, v42
	v_add3_u32 v27, v27, v30, v29
	v_ashrrev_i32_e32 v29, 31, v28
	v_mul_lo_u32 v30, v29, s34
	v_mul_lo_u32 v31, v28, s35
	v_mad_u64_u32 v[28:29], s[20:21], v28, s34, 0
	v_add3_u32 v29, v29, v31, v30
	v_add_u32_e32 v30, 3, v42
	v_ashrrev_i32_e32 v31, 31, v30
	v_mfma_f32_16x16x16_bf16 a[4:7], v[36:37], v[32:33], a[4:7]
	v_mul_lo_u32 v32, v31, s34
	v_mul_lo_u32 v33, v30, s35
	v_mad_u64_u32 v[30:31], s[20:21], v30, s34, 0
	s_add_u32 s20, s40, s60
	s_addc_u32 s21, s41, 0
	s_lshl_b64 s[20:21], s[20:21], 8
	v_add3_u32 v31, v31, v33, v32
	v_lshl_add_u64 v[32:33], v[56:57], 0, s[20:21]
	v_lshl_add_u64 v[26:27], v[26:27], 2, s[42:43]
	;; [unrolled: 1-line block ×4, first 2 shown]
	global_load_ushort v36, v[32:33], off
	global_load_ushort v35, v[32:33], off offset:256
	global_load_ushort v44, v[32:33], off offset:800
	global_load_ushort v37, v[32:33], off offset:768
	global_load_ushort v45, v[32:33], off offset:544
	global_load_ushort v42, v[32:33], off offset:512
	global_load_ushort v43, v[32:33], off offset:288
	global_load_ushort v46, v[32:33], off offset:32
	v_lshl_add_u64 v[30:31], v[30:31], 2, s[42:43]
	global_load_dword v47, v[26:27], off
	global_load_dword v48, v[28:29], off
	global_load_dword v49, v[30:31], off
	s_load_dword s20, s[44:45], 0x0
	s_waitcnt lgkmcnt(0)
	v_mfma_f32_16x16x16_bf16 a[4:7], v[38:39], v[40:41], a[4:7]
	v_accvgpr_read_b32 v31, a1
	v_accvgpr_read_b32 v27, a3
	v_accvgpr_read_b32 v26, a2
	v_accvgpr_read_b32 v30, a0
	s_and_b64 vcc, exec, s[0:1]
	s_waitcnt vmcnt(11)
	v_sub_f32_e32 v40, s20, v34
	v_exp_f32_e32 v40, v40
	v_accvgpr_read_b32 v33, a5
	v_accvgpr_read_b32 v32, a4
	;; [unrolled: 1-line block ×4, first 2 shown]
	s_waitcnt vmcnt(10)
	v_lshlrev_b32_e32 v34, 16, v36
	s_waitcnt vmcnt(9)
	v_lshlrev_b32_e32 v35, 16, v35
	v_pk_add_f32 v[30:31], v[34:35], v[30:31] neg_lo:[0,1] neg_hi:[0,1]
	s_waitcnt vmcnt(7)
	v_lshlrev_b32_e32 v37, 16, v37
	v_mov_b32_e32 v34, 0
	s_waitcnt vmcnt(5)
	v_lshlrev_b32_e32 v36, 16, v42
	s_waitcnt vmcnt(4)
	v_lshlrev_b32_e32 v39, 16, v43
	s_waitcnt vmcnt(2)
	v_sub_f32_e32 v41, s20, v47
	s_waitcnt vmcnt(1)
	v_sub_f32_e32 v42, s20, v48
	;; [unrolled: 2-line block ×3, first 2 shown]
	v_exp_f32_e32 v41, v41
	v_exp_f32_e32 v42, v42
	;; [unrolled: 1-line block ×3, first 2 shown]
	v_pk_add_f32 v[26:27], v[36:37], v[26:27] neg_lo:[0,1] neg_hi:[0,1]
	v_lshlrev_b32_e32 v38, 16, v46
	v_pk_mul_f32 v[30:31], v[40:41], v[30:31]
	v_pk_mul_f32 v[26:27], v[42:43], v[26:27]
	v_mov_b32_e32 v35, 0
	v_perm_b32 v27, v27, v26, s64
	v_perm_b32 v26, v31, v30, s64
	v_pk_add_f32 v[30:31], v[38:39], v[32:33] neg_lo:[0,1] neg_hi:[0,1]
	v_lshlrev_b32_e32 v33, 16, v44
	v_lshlrev_b32_e32 v32, 16, v45
	v_pk_add_f32 v[28:29], v[32:33], v[28:29] neg_lo:[0,1] neg_hi:[0,1]
	v_pk_mul_f32 v[30:31], v[40:41], v[30:31]
	v_pk_mul_f32 v[28:29], v[42:43], v[28:29]
	v_mov_b32_e32 v32, 0
	v_perm_b32 v29, v29, v28, s64
	v_perm_b32 v28, v31, v30, s64
	ds_write2_b64 v74, v[26:27], v[28:29] offset1:16
	v_mov_b32_e32 v26, 0
	v_mov_b32_e32 v27, 0
	;; [unrolled: 1-line block ×13, first 2 shown]
	s_cbranch_vccnz .LBB286_14
; %bb.13:                               ;   in Loop: Header=BB286_6 Depth=1
	s_and_b32 s25, s25, 0xffff
	s_mov_b32 s27, s23
	buffer_load_dwordx4 v[38:41], v92, s[24:27], 0 offen
	buffer_load_dwordx4 v[30:33], v92, s[24:27], s59 offen
	;; [unrolled: 1-line block ×4, first 2 shown]
	v_mov_b32_e32 v115, v68
	v_mov_b32_e32 v116, v67
.LBB286_14:                             ;   in Loop: Header=BB286_6 Depth=1
	s_waitcnt lgkmcnt(0)
	s_barrier
	ds_read_b64 v[46:47], v96
	ds_read_b64 v[122:123], v91
	;; [unrolled: 1-line block ×5, first 2 shown]
	ds_read_b64 v[136:137], v88 offset:3072
	ds_read2_b64 v[42:45], v87 offset0:16 offset1:128
	s_waitcnt lgkmcnt(5)
	v_mfma_f32_16x16x16_bf16 a[0:3], v[46:47], v[122:123], 0
	s_add_i32 s21, s53, s66
	s_mul_hi_i32 s25, s21, s13
	s_mul_i32 s21, s21, s13
	s_waitcnt lgkmcnt(0)
	v_mfma_f32_16x16x16_bf16 a[4:7], v[46:47], v[42:43], 0
	ds_read_b64 v[46:47], v101
	ds_read2st64_b64 v[48:51], v88 offset0:2 offset1:4
	s_add_u32 s24, s21, s33
	s_addc_u32 s25, s25, s57
	s_add_i32 s21, s3, s60
	s_lshl_b64 s[24:25], s[24:25], 15
	s_mul_hi_i32 s27, s21, s13
	s_mul_i32 s21, s21, s13
	s_add_u32 s44, s21, s33
	s_waitcnt lgkmcnt(1)
	v_mfma_f32_16x16x16_bf16 a[8:11], v[46:47], v[122:123], 0
	s_addc_u32 s45, s27, s57
	ds_read2st64_b64 v[118:121], v87 offset0:4 offset1:6
	s_lshl_b64 s[44:45], s[44:45], 9
	v_mfma_f32_16x16x16_bf16 a[0:3], v[124:125], v[44:45], a[0:3]
	s_add_u32 s44, s30, s44
	s_addc_u32 s45, s31, s45
	s_waitcnt lgkmcnt(1)
	v_mfma_f32_16x16x16_bf16 a[4:7], v[124:125], v[48:49], a[4:7]
	ds_read_b64 v[124:125], v102
	ds_read_b64 v[132:133], v103
	;; [unrolled: 1-line block ×3, first 2 shown]
	v_mfma_f32_16x16x16_bf16 a[12:15], v[46:47], v[42:43], 0
	s_waitcnt lgkmcnt(2)
	v_mfma_f32_16x16x16_bf16 a[8:11], v[124:125], v[44:45], a[8:11]
	global_load_dwordx4 v[42:45], v100, s[44:45]
	v_mfma_f32_16x16x16_bf16 a[12:15], v[124:125], v[48:49], a[12:15]
	global_load_dwordx4 v[46:49], v95, s[44:45]
	ds_read2st64_b64 v[122:125], v89 offset1:8
	s_waitcnt lgkmcnt(0)
	v_mov_b32_e32 v130, v122
	v_mfma_f32_16x16x16_bf16 a[0:3], v[126:127], v[118:119], a[0:3]
	v_mov_b32_e32 v131, v123
	v_mfma_f32_16x16x16_bf16 a[4:7], v[126:127], v[50:51], a[4:7]
	ds_read2st64_b64 v[126:129], v90 offset1:8
	v_mfma_f32_16x16x16_bf16 a[8:11], v[132:133], v[118:119], a[8:11]
	v_lshl_add_u64 v[118:119], v[58:59], 0, s[24:25]
	v_mfma_f32_16x16x16_bf16 a[16:19], v[132:133], v[50:51], a[12:15]
	v_add_co_u32_e32 v50, vcc, s37, v118
	s_waitcnt lgkmcnt(0)
	v_mov_b32_e32 v132, v126
	v_mfma_f32_16x16x16_bf16 a[0:3], v[134:135], v[120:121], a[0:3]
	v_mov_b32_e32 v133, v127
	v_mov_b32_e32 v126, v124
	;; [unrolled: 1-line block ×3, first 2 shown]
	v_mfma_f32_16x16x16_bf16 a[4:7], v[134:135], v[136:137], a[4:7]
	v_addc_co_u32_e32 v51, vcc, 0, v119, vcc
	global_store_dwordx4 v[50:51], v[126:129], off
	v_mfma_f32_16x16x16_bf16 a[12:15], v[138:139], v[120:121], a[8:11]
	s_and_b64 vcc, exec, s[0:1]
	global_store_dwordx4 v[118:119], v[130:133], off
	s_waitcnt vmcnt(3)
	v_mov_b32_e32 v52, v45
	v_mfma_f32_16x16x16_bf16 a[8:11], v[138:139], v[136:137], a[16:19]
	v_mov_b32_e32 v51, v44
	v_mov_b32_e32 v50, v43
	s_cbranch_vccnz .LBB286_16
; %bb.15:                               ;   in Loop: Header=BB286_6 Depth=1
	v_lshrrev_b32_e32 v43, 3, v115
	v_and_b32_e32 v43, 6, v43
	v_xor_b32_e32 v44, v43, v116
	v_lshlrev_b32_e32 v44, 2, v44
	v_and_b32_e32 v45, 8, v115
	v_xor_b32_e32 v115, 0x440, v44
	v_cmp_eq_u32_e32 vcc, 0, v45
	v_perm_b32 v45, v30, v26, s61
	s_nop 0
	v_cndmask_b32_e32 v44, v115, v44, vcc
	v_lshl_or_b32 v43, v43, 10, v44
	v_perm_b32 v44, v38, v34, s61
	s_barrier
	ds_write2st64_b32 v43, v44, v45 offset0:32 offset1:64
	v_xor_b32_e32 v44, 8, v43
	v_perm_b32 v34, v38, v34, s62
	v_perm_b32 v26, v30, v26, s62
	v_add_u32_e32 v30, 0x80, v44
	ds_write2st64_b32 v30, v34, v26 offset0:32 offset1:64
	v_xor_b32_e32 v26, 16, v43
	v_perm_b32 v30, v39, v35, s61
	v_perm_b32 v34, v31, v27, s61
	ds_write2st64_b32 v26, v30, v34 offset0:33 offset1:65
	v_xor_b32_e32 v26, 24, v43
	v_perm_b32 v30, v39, v35, s62
	v_perm_b32 v27, v31, v27, s62
	v_add_u32_e32 v26, 0x80, v26
	ds_write2st64_b32 v26, v30, v27 offset0:33 offset1:65
	v_xor_b32_e32 v26, 32, v43
	v_perm_b32 v27, v40, v36, s61
	v_perm_b32 v30, v32, v28, s61
	;; [unrolled: 9-line block ×3, first 2 shown]
	ds_write2st64_b32 v26, v27, v28 offset0:35 offset1:67
	v_xor_b32_e32 v26, 56, v43
	v_perm_b32 v27, v41, v37, s62
	v_perm_b32 v28, v33, v29, s62
	v_add_u32_e32 v26, 0x80, v26
	ds_write2st64_b32 v26, v27, v28 offset0:35 offset1:67
	ds_write_b64 v114, v[22:23] offset:24576
	v_xor_b32_e32 v22, 8, v114
	ds_write_b64 v22, v[24:25] offset:24576
	ds_write_b64 v114, v[18:19] offset:32768
	;; [unrolled: 1-line block ×4, first 2 shown]
	v_xor_b32_e32 v14, 8, v113
	ds_write_b64 v14, v[16:17] offset:24576
	ds_write_b64 v113, v[10:11] offset:32768
	;; [unrolled: 1-line block ×3, first 2 shown]
.LBB286_16:                             ;   in Loop: Header=BB286_6 Depth=1
	v_exp_f32_e32 v26, s20
	s_waitcnt vmcnt(2)
	v_exp_f32_e32 v28, v46
	v_exp_f32_e32 v29, v47
	;; [unrolled: 1-line block ×4, first 2 shown]
	v_accvgpr_read_b32 v21, a3
	v_accvgpr_read_b32 v19, a1
	;; [unrolled: 1-line block ×4, first 2 shown]
	v_pk_mul_f32 v[28:29], v[26:27], v[28:29] op_sel_hi:[0,1]
	v_accvgpr_read_b32 v20, a2
	v_accvgpr_read_b32 v11, a5
	;; [unrolled: 1-line block ×3, first 2 shown]
	v_pk_fma_f32 v[2:3], v[2:3], v[28:29], v[18:19]
	v_pk_mul_f32 v[18:19], v[26:27], v[30:31] op_sel_hi:[0,1]
	v_pk_fma_f32 v[4:5], v[4:5], v[18:19], v[20:21]
	v_fma_f32 v105, v105, v28, v10
	v_fma_f32 v106, v106, v29, v11
	v_exp_f32_e32 v10, v42
	v_exp_f32_e32 v11, v50
	;; [unrolled: 1-line block ×4, first 2 shown]
	v_accvgpr_read_b32 v12, a6
	v_accvgpr_read_b32 v25, a15
	;; [unrolled: 1-line block ×9, first 2 shown]
	v_fma_f32 v107, v107, v18, v12
	v_fmac_f32_e32 v13, v112, v19
	v_pk_mul_f32 v[10:11], v[26:27], v[10:11] op_sel_hi:[0,1]
	v_pk_mul_f32 v[18:19], v[26:27], v[20:21] op_sel_hi:[0,1]
	s_add_i32 s60, s60, 64
	v_pk_fma_f32 v[6:7], v[6:7], v[10:11], v[22:23]
	v_pk_fma_f32 v[8:9], v[8:9], v[18:19], v[24:25]
	v_fma_f32 v108, v108, v10, v14
	v_fma_f32 v109, v109, v11, v15
	;; [unrolled: 1-line block ×3, first 2 shown]
	s_cmp_eq_u32 s51, s65
	v_fmac_f32_e32 v17, v111, v19
	s_cbranch_scc1 .LBB286_18
; %bb.17:                               ;   in Loop: Header=BB286_6 Depth=1
	s_mov_b32 s66, s65
	v_mov_b32_e32 v112, v13
	v_mov_b32_e32 v111, v17
	s_branch .LBB286_6
.LBB286_18:
	v_mov_b32_e32 v16, v110
	v_mov_b32_e32 v15, v109
	;; [unrolled: 1-line block ×6, first 2 shown]
.LBB286_19:
	s_lshl_b32 s44, s51, 6
	s_sub_i32 s45, s12, s44
	s_cmp_gt_i32 s45, 0
	v_or_b32_e32 v34, s2, v63
	s_cbranch_scc1 .LBB286_21
; %bb.20:
	s_ashr_i32 s0, s33, 31
	s_add_u32 s24, s48, s33
	s_addc_u32 s25, s54, s0
	v_or_b32_e32 v35, s2, v63
	s_cbranch_execz .LBB286_22
	s_branch .LBB286_86
.LBB286_21:
                                        ; implicit-def: $sgpr24_sgpr25
                                        ; implicit-def: $vgpr35
.LBB286_22:
	s_ashr_i32 s37, s50, 31
	s_ashr_i32 s3, s44, 31
	s_cmpk_lg_i32 s15, 0x80
	s_cselect_b64 s[40:41], -1, 0
	s_and_b64 vcc, exec, s[40:41]
	s_cbranch_vccz .LBB286_24
; %bb.23:
	s_mul_hi_i32 s0, s50, s12
	s_add_u32 s1, s46, s44
	s_addc_u32 s0, s0, s3
	s_mul_i32 s20, s1, s52
	s_mul_hi_u32 s21, s1, s14
	s_add_i32 s20, s21, s20
	s_mul_i32 s0, s0, s14
	s_add_i32 s20, s20, s0
	s_mul_i32 s1, s1, s14
	s_ashr_i32 s0, s55, 31
	s_add_u32 s42, s1, s55
	s_addc_u32 s43, s20, s0
	s_cbranch_execz .LBB286_25
	s_branch .LBB286_26
.LBB286_24:
                                        ; implicit-def: $sgpr42_sgpr43
.LBB286_25:
	s_mul_hi_i32 s0, s50, s14
	s_mul_i32 s50, s50, s14
	s_ashr_i32 s1, s55, 31
	s_add_u32 s14, s50, s55
	s_addc_u32 s0, s0, s1
	s_mul_i32 s1, s14, s49
	s_mul_hi_u32 s20, s14, s12
	s_add_i32 s1, s20, s1
	s_mul_i32 s0, s0, s12
	s_add_i32 s1, s1, s0
	s_mul_i32 s14, s14, s12
	s_add_u32 s42, s14, s44
	s_addc_u32 s43, s1, s3
.LBB286_26:
	s_add_i32 s20, s53, s51
	s_ashr_i32 s14, s33, 31
	s_add_u32 s24, s48, s33
	s_addc_u32 s25, s54, s14
	s_mul_i32 s0, s24, s49
	s_mul_hi_u32 s1, s24, s12
	s_add_i32 s0, s1, s0
	s_mul_i32 s1, s25, s12
	s_add_i32 s1, s0, s1
	s_mul_i32 s0, s24, s12
	s_add_u32 s0, s0, s44
	v_lshlrev_b32_e32 v22, 5, v1
	v_lshlrev_b32_e32 v40, 2, v63
	s_addc_u32 s1, s1, s3
	s_mov_b32 s3, 0x7060302
	v_or_b32_e32 v25, v22, v40
	v_xor_b32_e32 v23, v1, v40
	v_perm_b32 v19, v5, v4, s3
	v_perm_b32 v18, v3, v2, s3
	;; [unrolled: 1-line block ×4, first 2 shown]
	v_lshlrev_b32_e32 v25, 1, v25
	v_xor_b32_e32 v24, v66, v40
	ds_write2st64_b64 v25, v[18:19], v[20:21] offset0:80 offset1:88
	v_lshlrev_b32_e32 v23, 1, v23
	v_lshlrev_b32_e32 v25, 8, v63
	s_lshl_b64 s[26:27], s[0:1], 8
	v_or_b32_e32 v26, v23, v25
	v_lshlrev_b32_e32 v24, 1, v24
	s_add_u32 s0, s6, s26
	ds_write_b64 v26, v[18:19]
	v_or_b32_e32 v18, v24, v25
	s_addc_u32 s1, s7, s27
	ds_write_b64 v18, v[20:21]
	v_perm_b32 v19, v13, v12, s3
	v_perm_b32 v18, v11, v10, s3
	v_perm_b32 v21, v17, v16, s3
	v_perm_b32 v20, v15, v14, s3
	v_or_b32_e32 v25, 16, v63
	s_mul_hi_i32 s3, s20, s13
	s_mul_i32 s20, s20, s13
	v_lshlrev_b32_e32 v37, 2, v25
	s_add_u32 s6, s20, s33
	v_or_b32_e32 v22, v22, v37
	s_addc_u32 s7, s3, s14
	v_lshlrev_b32_e32 v22, 1, v22
	s_ashr_i32 s3, s2, 31
	s_lshl_b64 s[6:7], s[6:7], 15
	ds_write2st64_b64 v22, v[18:19], v[20:21] offset0:80 offset1:88
	v_lshlrev_b32_e32 v22, 8, v25
	s_waitcnt lgkmcnt(0)
	s_add_u32 s6, s38, s6
	v_or_b32_e32 v23, v23, v22
	s_addc_u32 s7, s39, s7
	s_lshl_b64 s[2:3], s[2:3], 8
	ds_write_b64 v23, v[18:19]
	v_or_b32_e32 v18, v24, v22
	s_add_u32 s2, s6, s2
	ds_write_b64 v18, v[20:21]
	v_lshrrev_b32_e32 v18, 4, v0
	s_addc_u32 s3, s7, s3
	v_lshlrev_b32_e32 v19, 1, v63
	v_lshlrev_b32_e32 v26, 4, v63
	v_mov_b32_e32 v27, 0
	v_or_b32_e32 v20, 1, v19
	v_xor_b32_e32 v19, v18, v19
	v_lshl_add_u64 v[28:29], s[2:3], 0, v[26:27]
	v_lshlrev_b32_e32 v26, 8, v18
	v_xor_b32_e32 v22, v20, v18
	v_lshl_or_b32 v18, v19, 3, v26
	s_waitcnt lgkmcnt(0)
	s_barrier
	ds_read2st64_b64 v[18:21], v18 offset1:8
	v_lshl_or_b32 v22, v22, 3, v26
	ds_read2st64_b64 v[22:25], v22 offset1:8
	v_lshl_add_u64 v[30:31], v[28:29], 0, v[26:27]
	s_movk_i32 s2, 0x1000
	s_waitcnt lgkmcnt(1)
	v_mov_b32_e32 v26, v18
	v_add_co_u32_e32 v18, vcc, s2, v30
	s_cmp_lg_u32 s45, 64
	v_mov_b32_e32 v27, v19
	v_addc_co_u32_e32 v19, vcc, 0, v31, vcc
	s_cselect_b64 s[6:7], -1, 0
	v_lshl_or_b32 v35, v53, 3, v65
	s_waitcnt lgkmcnt(0)
	v_mov_b32_e32 v28, v22
	v_mov_b32_e32 v29, v23
	;; [unrolled: 1-line block ×4, first 2 shown]
	s_mov_b32 s20, 0
	v_or_b32_e32 v38, 32, v35
	v_and_b32_e32 v36, 56, v64
	s_and_b64 vcc, exec, s[6:7]
	global_store_dwordx4 v[30:31], v[26:29], off
	global_store_dwordx4 v[18:19], v[22:25], off
	s_cbranch_vccz .LBB286_32
; %bb.27:
	s_mov_b32 s22, s20
	s_mov_b32 s23, s20
	;; [unrolled: 1-line block ×3, first 2 shown]
	v_mov_b64_e32 v[24:25], s[22:23]
	v_mov_b64_e32 v[22:23], s[20:21]
	;; [unrolled: 1-line block ×3, first 2 shown]
	v_cmp_gt_i32_e32 vcc, s45, v35
	v_mov_b64_e32 v[20:21], v[24:25]
	s_and_saveexec_b64 s[2:3], vcc
	s_cbranch_execz .LBB286_29
; %bb.28:
	v_lshlrev_b32_e32 v18, 8, v35
	v_mov_b32_e32 v19, 0
	v_lshl_add_u64 v[20:21], s[0:1], 0, v[18:19]
	v_lshlrev_b32_e32 v18, 1, v36
	v_lshl_add_u64 v[26:27], v[20:21], 0, v[18:19]
	global_load_dwordx4 v[22:25], v[26:27], off
	global_load_dwordx4 v[18:21], v[26:27], off offset:128
.LBB286_29:
	s_or_b64 exec, exec, s[2:3]
	s_mov_b32 s22, s20
	s_mov_b32 s23, s20
	;; [unrolled: 1-line block ×3, first 2 shown]
	v_mov_b64_e32 v[32:33], s[22:23]
	v_mov_b64_e32 v[30:31], s[20:21]
	v_mov_b64_e32 v[26:27], v[30:31]
	v_cmp_gt_i32_e32 vcc, s45, v38
	v_lshlrev_b32_e32 v39, 7, v38
	v_mov_b64_e32 v[28:29], v[32:33]
	s_and_saveexec_b64 s[2:3], vcc
	s_cbranch_execz .LBB286_31
; %bb.30:
	v_lshlrev_b32_e32 v26, 1, v39
	v_mov_b32_e32 v27, 0
	v_lshl_add_u64 v[28:29], s[0:1], 0, v[26:27]
	v_lshlrev_b32_e32 v26, 1, v36
	v_lshl_add_u64 v[42:43], v[28:29], 0, v[26:27]
	global_load_dwordx4 v[30:33], v[42:43], off
	global_load_dwordx4 v[26:29], v[42:43], off offset:128
.LBB286_31:
	s_or_b64 exec, exec, s[2:3]
	v_lshrrev_b32_e32 v41, 3, v36
	v_lshlrev_b32_e32 v42, 3, v35
	v_or_b32_e32 v41, v42, v41
	v_lshlrev_b32_e32 v41, 4, v41
	v_and_b32_e32 v42, 0x78, v42
	v_xor_b32_e32 v41, v41, v42
	s_branch .LBB286_34
.LBB286_32:
                                        ; implicit-def: $vgpr41
                                        ; implicit-def: $vgpr39
                                        ; implicit-def: $vgpr22_vgpr23_vgpr24_vgpr25
                                        ; implicit-def: $vgpr18_vgpr19_vgpr20_vgpr21
                                        ; implicit-def: $vgpr30_vgpr31_vgpr32_vgpr33
                                        ; implicit-def: $vgpr26_vgpr27_vgpr28_vgpr29
	s_cbranch_execz .LBB286_34
; %bb.33:
	s_waitcnt vmcnt(0)
	v_lshlrev_b32_e32 v18, 1, v36
	v_lshl_or_b32 v39, v35, 8, v18
	s_and_b32 s1, s1, 0xffff
	s_mov_b32 s3, 0x20000
	s_movk_i32 s2, 0x4000
	v_lshl_or_b32 v41, v38, 8, v18
	s_movk_i32 s20, 0x80
	buffer_load_dwordx4 v[22:25], v39, s[0:3], 0 offen
	buffer_load_dwordx4 v[18:21], v39, s[0:3], s20 offen
	buffer_load_dwordx4 v[30:33], v41, s[0:3], 0 offen
	buffer_load_dwordx4 v[26:29], v41, s[0:3], s20 offen
	v_lshrrev_b32_e32 v39, 3, v36
	v_lshlrev_b32_e32 v41, 3, v35
	v_or_b32_e32 v39, v41, v39
	v_lshlrev_b32_e32 v39, 4, v39
	v_and_b32_e32 v41, 0x78, v41
	v_xor_b32_e32 v41, v39, v41
	v_lshlrev_b32_e32 v39, 7, v38
.LBB286_34:
	s_lshl_b64 s[0:1], s[42:43], 8
	s_add_u32 s4, s4, s0
	s_movk_i32 s0, 0x1000
	v_and_or_b32 v38, v39, s0, v41
	s_waitcnt vmcnt(1)
	ds_write_b64 v41, v[22:23] offset:24576
	v_xor_b32_e32 v22, 8, v41
	ds_write_b64 v22, v[24:25] offset:24576
	s_waitcnt vmcnt(0)
	ds_write_b64 v41, v[18:19] offset:32768
	ds_write_b64 v22, v[20:21] offset:32768
	;; [unrolled: 1-line block ×3, first 2 shown]
	v_xor_b32_e32 v18, 8, v38
	ds_write_b64 v18, v[32:33] offset:24576
	ds_write_b64 v38, v[26:27] offset:32768
	;; [unrolled: 1-line block ×3, first 2 shown]
	v_or_b32_e32 v18, v60, v63
	s_mul_i32 s37, s37, s16
	v_lshlrev_b32_e32 v18, 3, v18
	v_lshrrev_b32_e32 v19, 5, v61
	s_movk_i32 s16, 0xf8
	v_and_or_b32 v19, v18, s16, v19
	v_lshlrev_b32_e32 v23, 4, v19
	v_lshlrev_b32_e32 v41, 11, v53
	v_and_b32_e32 v24, 0x78, v18
	v_or_b32_e32 v26, 32, v23
	v_and_b32_e32 v22, 0x1000, v41
	v_lshrrev_b32_e32 v19, 1, v61
	v_xor_b32_e32 v26, v26, v24
	v_xor_b32_e32 v18, v23, v24
	v_and_b32_e32 v25, 8, v19
	v_or_b32_e32 v26, v26, v22
	v_or_b32_e32 v18, v18, v22
	v_xor_b32_e32 v45, v26, v25
	v_or_b32_e32 v26, 64, v23
	v_xor_b32_e32 v44, v18, v25
	v_xor_b32_e32 v26, v26, v24
	s_waitcnt lgkmcnt(0)
	s_barrier
	v_or_b32_e32 v28, v26, v22
	ds_read_b64 v[26:27], v44 offset:24576
	v_lshl_or_b32 v38, v62, 7, v40
	v_lshlrev_b32_e32 v42, 1, v38
	v_add_u32_e32 v18, 0xa000, v42
	ds_read2_b64 v[18:21], v18 offset1:16
	v_or_b32_e32 v23, 0x60, v23
	v_xor_b32_e32 v23, v23, v24
	s_waitcnt lgkmcnt(0)
	v_mfma_f32_16x16x16_bf16 a[0:3], v[26:27], v[18:19], 0
	v_or_b32_e32 v18, 64, v38
	v_or_b32_e32 v22, v23, v22
	v_lshlrev_b32_e32 v43, 1, v18
	v_xor_b32_e32 v46, v28, v25
	v_xor_b32_e32 v47, v22, v25
	ds_read_b64 v[28:29], v45 offset:24576
	ds_read_b64 v[30:31], v46 offset:24576
	;; [unrolled: 1-line block ×3, first 2 shown]
	v_mfma_f32_16x16x16_bf16 a[4:7], v[26:27], v[20:21], 0
	ds_read2st64_b64 v[18:21], v43 offset0:82 offset1:84
	ds_read2st64_b64 v[22:25], v42 offset0:82 offset1:84
	s_addc_u32 s5, s5, s1
	s_add_i32 s12, s12, -1
	s_add_i32 s0, s47, s17
	s_add_i32 s37, s0, s37
	s_mul_i32 s0, s33, s19
	s_mul_hi_u32 s1, s33, s18
	s_ashr_i32 s2, s12, 31
	s_mul_i32 s3, s12, s35
	s_mul_hi_u32 s16, s12, s34
	s_add_i32 s0, s1, s0
	s_mul_i32 s1, s14, s18
	s_add_i32 s3, s16, s3
	s_mul_i32 s2, s2, s34
	s_waitcnt lgkmcnt(1)
	v_mfma_f32_16x16x16_bf16 a[4:7], v[28:29], v[18:19], a[4:7]
	s_add_i32 s1, s0, s1
	s_add_i32 s3, s3, s2
	s_lshl_b64 s[16:17], s[36:37], 2
	s_waitcnt lgkmcnt(0)
	v_mfma_f32_16x16x16_bf16 a[0:3], v[28:29], v[22:23], a[0:3]
	s_mul_i32 s0, s33, s18
	s_add_u32 s10, s10, s16
	s_addc_u32 s11, s11, s17
	s_lshl_b64 s[0:1], s[0:1], 2
	s_mul_i32 s2, s12, s34
	s_add_u32 s10, s10, s0
	ds_read_b64 v[18:19], v42 offset:44032
	v_mfma_f32_16x16x16_bf16 a[4:7], v[30:31], v[20:21], a[4:7]
	ds_read_b64 v[20:21], v43 offset:44032
	s_addc_u32 s11, s11, s1
	s_lshl_b64 s[0:1], s[2:3], 2
	v_mfma_f32_16x16x16_bf16 a[0:3], v[30:31], v[24:25], a[0:3]
	s_add_u32 s0, s10, s0
	s_addc_u32 s1, s11, s1
	s_load_dword s16, s[0:1], 0x0
	s_waitcnt lgkmcnt(0)
	v_mfma_f32_16x16x16_bf16 a[0:3], v[32:33], v[18:19], a[0:3]
	s_and_b64 vcc, exec, s[40:41]
	v_mfma_f32_16x16x16_bf16 a[4:7], v[32:33], v[20:21], a[4:7]
	s_cbranch_vccz .LBB286_45
; %bb.35:
	v_lshlrev_b32_e32 v38, 1, v35
	s_and_b64 vcc, exec, s[6:7]
	s_cbranch_vccz .LBB286_46
; %bb.36:
	v_cmp_gt_i32_e32 vcc, s45, v38
	v_mov_b32_e32 v22, 0
	v_mov_b32_e32 v18, 0
	;; [unrolled: 1-line block ×5, first 2 shown]
	s_and_saveexec_b64 s[0:1], vcc
	s_cbranch_execz .LBB286_38
; %bb.37:
	v_mad_i64_i32 v[18:19], s[2:3], s15, v38, 0
	v_lshl_add_u64 v[18:19], v[18:19], 1, s[4:5]
	v_lshlrev_b32_e32 v20, 1, v36
	v_mov_b32_e32 v21, 0
	v_lshl_add_u64 v[18:19], v[18:19], 0, v[20:21]
	global_load_dwordx4 v[18:21], v[18:19], off
.LBB286_38:
	s_or_b64 exec, exec, s[0:1]
	v_or_b32_e32 v39, 1, v38
	v_cmp_gt_i32_e64 s[0:1], s45, v39
	v_mov_b32_e32 v23, 0
	v_mov_b32_e32 v24, 0
	;; [unrolled: 1-line block ×3, first 2 shown]
	s_and_saveexec_b64 s[2:3], s[0:1]
	s_cbranch_execz .LBB286_40
; %bb.39:
	v_mad_i64_i32 v[22:23], s[18:19], s15, v39, 0
	v_lshl_add_u64 v[22:23], v[22:23], 1, s[4:5]
	v_lshlrev_b32_e32 v24, 1, v36
	v_mov_b32_e32 v25, 0
	v_lshl_add_u64 v[22:23], v[22:23], 0, v[24:25]
	global_load_dwordx4 v[22:25], v[22:23], off
.LBB286_40:
	s_or_b64 exec, exec, s[2:3]
	v_mov_b32_e32 v33, 0
	v_mov_b32_e32 v26, 0
	v_mov_b32_e32 v27, 0
	v_mov_b32_e32 v28, 0
	v_mov_b32_e32 v29, 0
	s_and_saveexec_b64 s[2:3], vcc
	s_cbranch_execz .LBB286_42
; %bb.41:
	v_mad_i64_i32 v[26:27], s[18:19], s15, v38, 0
	v_lshl_add_u64 v[26:27], v[26:27], 1, s[4:5]
	v_lshlrev_b32_e32 v28, 1, v36
	v_mov_b32_e32 v29, 0
	v_lshl_add_u64 v[26:27], v[26:27], 0, v[28:29]
	global_load_dwordx4 v[26:29], v[26:27], off offset:128
.LBB286_42:
	s_or_b64 exec, exec, s[2:3]
	v_mov_b32_e32 v32, 0
	v_mov_b32_e32 v31, 0
	;; [unrolled: 1-line block ×3, first 2 shown]
	s_and_saveexec_b64 s[2:3], s[0:1]
	s_cbranch_execz .LBB286_44
; %bb.43:
	v_mad_i64_i32 v[30:31], s[0:1], s15, v39, 0
	v_lshl_add_u64 v[30:31], v[30:31], 1, s[4:5]
	v_lshlrev_b32_e32 v32, 1, v36
	v_mov_b32_e32 v33, 0
	v_lshl_add_u64 v[30:31], v[30:31], 0, v[32:33]
	global_load_dwordx4 v[30:33], v[30:31], off offset:128
.LBB286_44:
	s_or_b64 exec, exec, s[2:3]
	s_branch .LBB286_48
.LBB286_45:
                                        ; implicit-def: $vgpr21
                                        ; implicit-def: $vgpr25
                                        ; implicit-def: $vgpr29
                                        ; implicit-def: $vgpr33
	v_lshrrev_b32_e32 v48, 2, v61
	s_branch .LBB286_49
.LBB286_46:
                                        ; implicit-def: $vgpr21
                                        ; implicit-def: $vgpr25
                                        ; implicit-def: $vgpr29
                                        ; implicit-def: $vgpr33
	s_cbranch_execz .LBB286_48
; %bb.47:
	s_waitcnt vmcnt(0)
	v_mad_u64_u32 v[18:19], s[0:1], v38, s15, v[36:37]
	v_lshlrev_b32_e32 v38, 1, v18
	s_lshl_b32 s2, s15, 7
	s_and_b32 s1, s5, 0xffff
	s_mov_b32 s3, 0x20000
	s_mov_b32 s0, s4
	v_add_lshl_u32 v39, v18, s15, 1
	s_movk_i32 s15, 0x80
	buffer_load_dwordx4 v[18:21], v38, s[0:3], 0 offen
	buffer_load_dwordx4 v[26:29], v38, s[0:3], s15 offen
	;; [unrolled: 1-line block ×4, first 2 shown]
.LBB286_48:
	v_lshrrev_b32_e32 v48, 2, v61
	s_cbranch_execnz .LBB286_61
.LBB286_49:
	s_and_b64 vcc, exec, s[6:7]
	s_cbranch_vccz .LBB286_59
; %bb.50:
	s_waitcnt vmcnt(0)
	v_lshlrev_b32_e32 v23, 1, v35
	v_cmp_gt_i32_e32 vcc, s45, v23
	v_mov_b32_e32 v22, 0
	v_lshlrev_b32_e32 v30, 9, v35
	v_mov_b32_e32 v18, 0
	v_mov_b32_e32 v19, 0
	;; [unrolled: 1-line block ×4, first 2 shown]
	s_and_saveexec_b64 s[0:1], vcc
	s_cbranch_execz .LBB286_52
; %bb.51:
	v_mov_b32_e32 v31, 0
	v_lshl_add_u64 v[18:19], s[4:5], 0, v[30:31]
	v_lshlrev_b32_e32 v20, 1, v36
	v_mov_b32_e32 v21, v31
	v_lshl_add_u64 v[18:19], v[18:19], 0, v[20:21]
	global_load_dwordx4 v[18:21], v[18:19], off
.LBB286_52:
	s_or_b64 exec, exec, s[0:1]
	v_or_b32_e32 v23, 1, v23
	v_cmp_gt_i32_e64 s[0:1], s45, v23
	v_lshlrev_b32_e32 v38, 8, v23
	v_mov_b32_e32 v23, 0
	v_mov_b32_e32 v24, 0
	;; [unrolled: 1-line block ×3, first 2 shown]
	s_and_saveexec_b64 s[2:3], s[0:1]
	s_cbranch_execz .LBB286_54
; %bb.53:
	v_mov_b32_e32 v39, 0
	v_lshl_add_u64 v[22:23], s[4:5], 0, v[38:39]
	v_lshlrev_b32_e32 v24, 1, v36
	v_mov_b32_e32 v25, v39
	v_lshl_add_u64 v[22:23], v[22:23], 0, v[24:25]
	global_load_dwordx4 v[22:25], v[22:23], off
.LBB286_54:
	s_or_b64 exec, exec, s[2:3]
	v_mov_b32_e32 v33, 0
	v_mov_b32_e32 v26, 0
	;; [unrolled: 1-line block ×5, first 2 shown]
	s_and_saveexec_b64 s[2:3], vcc
	s_cbranch_execz .LBB286_56
; %bb.55:
	v_mov_b32_e32 v31, 0
	v_lshl_add_u64 v[26:27], s[4:5], 0, v[30:31]
	v_lshlrev_b32_e32 v30, 1, v36
	v_lshl_add_u64 v[26:27], v[26:27], 0, v[30:31]
	global_load_dwordx4 v[26:29], v[26:27], off offset:128
.LBB286_56:
	s_or_b64 exec, exec, s[2:3]
	v_mov_b32_e32 v32, 0
	v_mov_b32_e32 v31, 0
	;; [unrolled: 1-line block ×3, first 2 shown]
	s_and_saveexec_b64 s[2:3], s[0:1]
	s_cbranch_execz .LBB286_58
; %bb.57:
	v_mov_b32_e32 v39, 0
	v_lshl_add_u64 v[30:31], s[4:5], 0, v[38:39]
	v_lshlrev_b32_e32 v38, 1, v36
	v_lshl_add_u64 v[30:31], v[30:31], 0, v[38:39]
	global_load_dwordx4 v[30:33], v[30:31], off offset:128
.LBB286_58:
	s_or_b64 exec, exec, s[2:3]
	s_branch .LBB286_61
.LBB286_59:
                                        ; implicit-def: $vgpr21
                                        ; implicit-def: $vgpr25
                                        ; implicit-def: $vgpr29
                                        ; implicit-def: $vgpr33
	s_cbranch_execz .LBB286_61
; %bb.60:
	s_waitcnt vmcnt(0)
	v_lshlrev_b32_e32 v18, 1, v36
	v_lshl_or_b32 v36, v35, 9, v18
	s_and_b32 s5, s5, 0xffff
	s_mov_b32 s7, 0x20000
	s_movk_i32 s6, 0x4000
	s_movk_i32 s0, 0x80
	buffer_load_dwordx4 v[18:21], v36, s[4:7], 0 offen
	buffer_load_dwordx4 v[22:25], v36, s[4:7], 0 offen offset:256
	buffer_load_dwordx4 v[26:29], v36, s[4:7], s0 offen
	buffer_load_dwordx4 v[30:33], v36, s[4:7], s0 offen offset:256
.LBB286_61:
	ds_read_b64 v[38:39], v44 offset:32768
	v_add_u32_e32 v36, 0xb000, v42
	ds_read2_b64 v[54:57], v36 offset1:16
	ds_read_b64 v[50:51], v45 offset:32768
	ds_read_b64 v[58:59], v46 offset:32768
	;; [unrolled: 1-line block ×3, first 2 shown]
	ds_read2st64_b64 v[44:47], v42 offset0:90 offset1:92
	v_and_b32_e32 v36, 12, v48
	v_and_b32_e32 v48, 6, v0
	v_xor_b32_e32 v35, v35, v48
	v_lshlrev_b32_e32 v35, 2, v35
	s_mov_b32 s0, 0x1000504
	s_waitcnt lgkmcnt(4)
	v_mfma_f32_16x16x16_bf16 a[0:3], v[38:39], v[54:55], a[0:3]
	s_mov_b32 s1, 0x3020706
	v_mfma_f32_16x16x16_bf16 a[4:7], v[38:39], v[56:57], a[4:7]
	ds_read2st64_b64 v[54:57], v43 offset0:90 offset1:92
	s_waitcnt lgkmcnt(1)
	v_mfma_f32_16x16x16_bf16 a[0:3], v[50:51], v[44:45], a[0:3]
	ds_read_b64 v[38:39], v42 offset:48128
	ds_read_b64 v[44:45], v43 offset:48128
	s_waitcnt lgkmcnt(2)
	v_mfma_f32_16x16x16_bf16 a[4:7], v[50:51], v[54:55], a[4:7]
	v_mfma_f32_16x16x16_bf16 a[0:3], v[58:59], v[46:47], a[0:3]
	v_and_b32_e32 v46, 1, v0
	v_xor_b32_e32 v47, 0x440, v35
	v_cmp_eq_u32_e32 vcc, 0, v46
	v_mfma_f32_16x16x16_bf16 a[8:11], v[58:59], v[56:57], a[4:7]
	s_nop 0
	v_cndmask_b32_e32 v35, v47, v35, vcc
	v_lshl_or_b32 v35, v48, 10, v35
	s_waitcnt lgkmcnt(1)
	v_mfma_f32_16x16x16_bf16 a[4:7], v[62:63], v[38:39], a[0:3]
	s_waitcnt vmcnt(0)
	v_perm_b32 v38, v18, v22, s0
	v_perm_b32 v39, v26, v30, s0
	ds_write2st64_b32 v35, v38, v39 offset0:32 offset1:64
	v_xor_b32_e32 v38, 8, v35
	v_perm_b32 v18, v18, v22, s1
	v_perm_b32 v22, v26, v30, s1
	v_add_u32_e32 v26, 0x80, v38
	ds_write2st64_b32 v26, v18, v22 offset0:32 offset1:64
	v_xor_b32_e32 v18, 16, v35
	v_perm_b32 v22, v19, v23, s0
	v_perm_b32 v26, v27, v31, s0
	ds_write2st64_b32 v18, v22, v26 offset0:33 offset1:65
	v_xor_b32_e32 v18, 24, v35
	v_perm_b32 v19, v19, v23, s1
	v_perm_b32 v22, v27, v31, s1
	v_add_u32_e32 v18, 0x80, v18
	ds_write2st64_b32 v18, v19, v22 offset0:33 offset1:65
	v_xor_b32_e32 v18, 32, v35
	v_perm_b32 v19, v20, v24, s0
	v_perm_b32 v22, v28, v32, s0
	ds_write2st64_b32 v18, v19, v22 offset0:34 offset1:66
	v_xor_b32_e32 v18, 40, v35
	s_waitcnt lgkmcnt(5)
	v_mfma_f32_16x16x16_bf16 a[0:3], v[62:63], v[44:45], a[8:11]
	v_perm_b32 v19, v20, v24, s1
	v_perm_b32 v20, v28, v32, s1
	v_add_u32_e32 v18, 0x80, v18
	ds_write2st64_b32 v18, v19, v20 offset0:34 offset1:66
	v_xor_b32_e32 v18, 48, v35
	v_perm_b32 v19, v21, v25, s0
	v_perm_b32 v20, v29, v33, s0
	ds_write2st64_b32 v18, v19, v20 offset0:35 offset1:67
	v_xor_b32_e32 v18, 56, v35
	v_or_b32_e32 v32, v36, v60
	v_perm_b32 v19, v21, v25, s1
	v_perm_b32 v20, v29, v33, s1
	v_add_u32_e32 v18, 0x80, v18
	v_cmp_gt_i32_e32 vcc, s45, v32
	v_mov_b32_e32 v33, 0
	v_mov_b32_e32 v39, 0
	ds_write2st64_b32 v18, v19, v20 offset0:35 offset1:67
	s_and_saveexec_b64 s[0:1], vcc
	s_cbranch_execz .LBB286_63
; %bb.62:
	v_add_u32_e32 v18, s44, v32
	v_ashrrev_i32_e32 v19, 31, v18
	v_mul_lo_u32 v20, v19, s34
	v_mul_lo_u32 v21, v18, s35
	v_mad_u64_u32 v[18:19], s[2:3], v18, s34, 0
	v_add3_u32 v19, v19, v21, v20
	v_lshl_add_u64 v[18:19], v[18:19], 2, s[10:11]
	global_load_dword v18, v[18:19], off
	s_waitcnt vmcnt(0)
	v_sub_f32_e32 v18, s16, v18
	v_exp_f32_e32 v39, v18
.LBB286_63:
	s_or_b64 exec, exec, s[0:1]
	v_or_b32_e32 v26, 1, v32
	v_cmp_gt_i32_e64 s[0:1], s45, v26
	s_and_saveexec_b64 s[2:3], s[0:1]
	s_cbranch_execz .LBB286_65
; %bb.64:
	v_add_u32_e32 v18, s44, v26
	v_ashrrev_i32_e32 v19, 31, v18
	v_mul_lo_u32 v20, v19, s34
	v_mul_lo_u32 v21, v18, s35
	v_mad_u64_u32 v[18:19], s[4:5], v18, s34, 0
	v_add3_u32 v19, v19, v21, v20
	v_lshl_add_u64 v[18:19], v[18:19], 2, s[10:11]
	global_load_dword v18, v[18:19], off
	s_waitcnt vmcnt(0)
	v_sub_f32_e32 v18, s16, v18
	v_exp_f32_e32 v33, v18
.LBB286_65:
	s_or_b64 exec, exec, s[2:3]
	v_or_b32_e32 v27, 2, v32
	v_cmp_gt_i32_e64 s[2:3], s45, v27
	v_mov_b32_e32 v38, 0
	v_mov_b32_e32 v44, 0
	s_and_saveexec_b64 s[4:5], s[2:3]
	s_cbranch_execz .LBB286_67
; %bb.66:
	v_add_u32_e32 v18, s44, v27
	v_ashrrev_i32_e32 v19, 31, v18
	v_mul_lo_u32 v20, v19, s34
	v_mul_lo_u32 v21, v18, s35
	v_mad_u64_u32 v[18:19], s[6:7], v18, s34, 0
	v_add3_u32 v19, v19, v21, v20
	v_lshl_add_u64 v[18:19], v[18:19], 2, s[10:11]
	global_load_dword v18, v[18:19], off
	s_waitcnt vmcnt(0)
	v_sub_f32_e32 v18, s16, v18
	v_exp_f32_e32 v44, v18
.LBB286_67:
	s_or_b64 exec, exec, s[4:5]
	v_or_b32_e32 v45, 3, v32
	v_cmp_gt_i32_e64 s[4:5], s45, v45
	s_and_saveexec_b64 s[6:7], s[4:5]
	s_cbranch_execz .LBB286_69
; %bb.68:
	v_add_u32_e32 v18, s44, v45
	v_ashrrev_i32_e32 v19, 31, v18
	v_mul_lo_u32 v20, v19, s34
	v_mul_lo_u32 v21, v18, s35
	v_mad_u64_u32 v[18:19], s[18:19], v18, s34, 0
	v_add3_u32 v19, v19, v21, v20
	v_lshl_add_u64 v[18:19], v[18:19], 2, s[10:11]
	global_load_dword v18, v[18:19], off
	s_waitcnt vmcnt(0)
	v_sub_f32_e32 v18, s16, v18
	v_exp_f32_e32 v38, v18
.LBB286_69:
	s_or_b64 exec, exec, s[6:7]
	s_add_u32 s6, s8, s26
	v_accvgpr_read_b32 v21, a7
	s_addc_u32 s7, s9, s27
	v_ashrrev_i32_e32 v35, 31, v34
	v_accvgpr_read_b32 v20, a6
	v_accvgpr_read_b32 v19, a5
	;; [unrolled: 1-line block ×3, first 2 shown]
	v_lshl_add_u64 v[22:23], v[34:35], 1, s[6:7]
	v_mov_b32_e32 v29, 0
	v_lshlrev_b32_e32 v24, 8, v32
	v_mov_b32_e32 v25, 0
	s_and_saveexec_b64 s[6:7], vcc
	s_cbranch_execz .LBB286_71
; %bb.70:
	v_mov_b32_e32 v25, 0
	v_lshl_add_u64 v[30:31], v[22:23], 0, v[24:25]
	global_load_ushort v25, v[30:31], off
	s_waitcnt vmcnt(0)
	v_lshlrev_b32_e32 v25, 16, v25
	v_sub_f32_e32 v18, v25, v18
	v_mul_f32_e32 v18, v39, v18
	v_lshrrev_b32_e32 v25, 16, v18
.LBB286_71:
	s_or_b64 exec, exec, s[6:7]
	v_lshlrev_b32_e32 v28, 8, v26
	s_and_saveexec_b64 s[6:7], s[0:1]
	s_cbranch_execz .LBB286_73
; %bb.72:
	v_mov_b32_e32 v29, 0
	v_lshl_add_u64 v[30:31], v[22:23], 0, v[28:29]
	global_load_ushort v18, v[30:31], off
	s_waitcnt vmcnt(0)
	v_lshlrev_b32_e32 v18, 16, v18
	v_sub_f32_e32 v18, v18, v19
	v_mul_f32_e32 v18, v33, v18
	v_lshrrev_b32_e32 v29, 16, v18
.LBB286_73:
	s_or_b64 exec, exec, s[6:7]
	v_mov_b32_e32 v46, 0
	v_lshlrev_b32_e32 v30, 8, v27
	v_mov_b32_e32 v31, 0
	s_and_saveexec_b64 s[6:7], s[2:3]
	s_cbranch_execz .LBB286_75
; %bb.74:
	v_mov_b32_e32 v31, 0
	v_lshl_add_u64 v[18:19], v[22:23], 0, v[30:31]
	global_load_ushort v18, v[18:19], off
	s_waitcnt vmcnt(0)
	v_lshlrev_b32_e32 v18, 16, v18
	v_sub_f32_e32 v18, v18, v20
	v_mul_f32_e32 v18, v44, v18
	v_lshrrev_b32_e32 v31, 16, v18
.LBB286_75:
	s_or_b64 exec, exec, s[6:7]
	v_lshlrev_b32_e32 v26, 8, v45
	s_and_saveexec_b64 s[6:7], s[4:5]
	s_cbranch_execz .LBB286_77
; %bb.76:
	v_mov_b32_e32 v27, 0
	v_lshl_add_u64 v[18:19], v[22:23], 0, v[26:27]
	global_load_ushort v18, v[18:19], off
	s_waitcnt vmcnt(0)
	v_lshlrev_b32_e32 v18, 16, v18
	v_sub_f32_e32 v18, v18, v21
	v_mul_f32_e32 v18, v38, v18
	v_lshrrev_b32_e32 v46, 16, v18
.LBB286_77:
	s_or_b64 exec, exec, s[6:7]
	v_lshlrev_b32_e32 v35, 5, v32
	s_mov_b32 s6, 0x5040100
	v_perm_b32 v47, v46, v31, s6
	v_perm_b32 v46, v29, v25, s6
	v_or_b32_e32 v25, v35, v40
	v_accvgpr_read_b32 v21, a3
	v_lshlrev_b32_e32 v25, 1, v25
	v_accvgpr_read_b32 v20, a2
	v_accvgpr_read_b32 v19, a1
	;; [unrolled: 1-line block ×3, first 2 shown]
	ds_write_b64 v25, v[46:47] offset:45056
	v_mov_b32_e32 v29, 0
	v_mov_b32_e32 v25, 0
	s_and_saveexec_b64 s[6:7], vcc
	s_cbranch_execz .LBB286_79
; %bb.78:
	v_mov_b32_e32 v25, 0
	v_lshl_add_u64 v[24:25], v[22:23], 0, v[24:25]
	global_load_ushort v24, v[24:25], off offset:32
	s_waitcnt vmcnt(0)
	v_lshlrev_b32_e32 v24, 16, v24
	v_sub_f32_e32 v18, v24, v18
	v_mul_f32_e32 v18, v39, v18
	v_lshrrev_b32_e32 v25, 16, v18
.LBB286_79:
	s_or_b64 exec, exec, s[6:7]
	s_and_saveexec_b64 s[6:7], s[0:1]
	s_cbranch_execz .LBB286_81
; %bb.80:
	v_mov_b32_e32 v29, 0
	v_lshl_add_u64 v[28:29], v[22:23], 0, v[28:29]
	global_load_ushort v18, v[28:29], off offset:32
	s_waitcnt vmcnt(0)
	v_lshlrev_b32_e32 v18, 16, v18
	v_sub_f32_e32 v18, v18, v19
	v_mul_f32_e32 v18, v33, v18
	v_lshrrev_b32_e32 v29, 16, v18
.LBB286_81:
	s_or_b64 exec, exec, s[6:7]
	v_mov_b32_e32 v24, 0
	v_mov_b32_e32 v28, 0
	s_and_saveexec_b64 s[0:1], s[2:3]
	s_cbranch_execz .LBB286_83
; %bb.82:
	v_mov_b32_e32 v31, 0
	v_lshl_add_u64 v[18:19], v[22:23], 0, v[30:31]
	global_load_ushort v18, v[18:19], off offset:32
	s_waitcnt vmcnt(0)
	v_lshlrev_b32_e32 v18, 16, v18
	v_sub_f32_e32 v18, v18, v20
	v_mul_f32_e32 v18, v44, v18
	v_lshrrev_b32_e32 v28, 16, v18
.LBB286_83:
	s_or_b64 exec, exec, s[0:1]
	v_or_b32_e32 v19, 0xb000, v42
	v_or_b32_e32 v18, 0xb000, v43
	s_and_saveexec_b64 s[0:1], s[4:5]
	s_cbranch_execz .LBB286_85
; %bb.84:
	v_mov_b32_e32 v27, 0
	v_lshl_add_u64 v[22:23], v[22:23], 0, v[26:27]
	global_load_ushort v20, v[22:23], off offset:32
	s_waitcnt vmcnt(0)
	v_lshlrev_b32_e32 v20, 16, v20
	v_sub_f32_e32 v20, v20, v21
	v_mul_f32_e32 v20, v38, v20
	v_lshrrev_b32_e32 v24, 16, v20
.LBB286_85:
	s_or_b64 exec, exec, s[0:1]
	s_mov_b32 s0, 0x5040100
	v_or_b32_e32 v22, v35, v37
	v_perm_b32 v21, v24, v28, s0
	v_perm_b32 v20, v29, v25, s0
	v_lshlrev_b32_e32 v22, 1, v22
	s_movk_i32 s2, 0x100
	ds_write_b64 v22, v[20:21] offset:45056
	v_and_b32_e32 v20, 7, v0
	v_and_b32_e32 v21, 8, v0
	v_cmp_gt_u32_e32 vcc, s2, v0
	v_lshrrev_b32_e32 v0, 1, v0
	v_lshlrev_b32_e32 v26, 3, v20
	v_lshlrev_b32_e32 v35, 7, v20
	v_mov_b32_e32 v20, 0x4000
	v_mov_b32_e32 v22, 0x2000
	v_lshlrev_b32_e32 v24, 3, v53
	v_and_b32_e32 v0, 24, v0
	v_cndmask_b32_e32 v27, v20, v22, vcc
	v_xor_b32_e32 v20, v24, v0
	v_or_b32_e32 v22, 0x440, v20
	v_cmp_eq_u32_e32 vcc, 0, v21
	v_or_b32_e32 v28, 32, v0
	v_xor_b32_e32 v28, v24, v28
	v_cndmask_b32_e32 v20, v22, v20, vcc
	v_or_b32_e32 v20, v20, v41
	v_xor_b32_e32 v37, v20, v26
	v_or_b32_e32 v29, 0x440, v28
	v_add3_u32 v25, v27, v37, v35
	v_cndmask_b32_e32 v28, v29, v28, vcc
	v_or_b32_e32 v29, 64, v0
	v_or_b32_e32 v0, 0x60, v0
	s_waitcnt lgkmcnt(0)
	s_barrier
	v_xor_b32_e32 v29, v24, v29
	v_xor_b32_e32 v0, v24, v0
	ds_read_b64 v[24:25], v25
	v_xor_b32_e32 v30, 0x440, v29
	ds_read2_b64 v[20:23], v19 offset1:16
	v_cndmask_b32_e32 v29, v30, v29, vcc
	v_xor_b32_e32 v30, 0x440, v0
	v_or_b32_e32 v28, v28, v41
	v_or_b32_e32 v29, v29, v41
	v_cndmask_b32_e32 v0, v30, v0, vcc
	v_xor_b32_e32 v50, v28, v26
	v_xor_b32_e32 v51, v29, v26
	v_or_b32_e32 v0, v0, v41
	s_add_i32 s0, s12, s46
	v_add3_u32 v28, v27, v50, v35
	v_add3_u32 v29, v27, v51, v35
	v_xor_b32_e32 v52, v0, v26
	s_mul_hi_i32 s1, s0, s13
	s_mul_i32 s0, s0, s13
	v_add3_u32 v0, v27, v52, v35
	ds_read_b64 v[26:27], v28
	ds_read_b64 v[42:43], v29
	;; [unrolled: 1-line block ×3, first 2 shown]
	ds_read2st64_b64 v[28:31], v19 offset0:2 offset1:4
	ds_read2st64_b64 v[38:41], v18 offset0:2 offset1:4
	s_add_u32 s0, s0, s33
	s_waitcnt lgkmcnt(5)
	v_mfma_f32_16x16x16_bf16 a[0:3], v[24:25], v[20:21], 0
	s_addc_u32 s1, s1, s14
	s_lshl_b64 s[0:1], s[0:1], 9
	s_add_u32 s0, s30, s0
	v_mfma_f32_16x16x16_bf16 a[4:7], v[24:25], v[22:23], 0
	s_addc_u32 s1, s31, s1
	v_lshlrev_b32_e32 v0, 2, v32
	s_waitcnt lgkmcnt(1)
	v_mfma_f32_16x16x16_bf16 a[0:3], v[26:27], v[28:29], a[0:3]
	s_waitcnt lgkmcnt(0)
	v_mfma_f32_16x16x16_bf16 a[4:7], v[26:27], v[38:39], a[4:7]
	global_load_dwordx4 v[24:27], v0, s[0:1]
	ds_read_b64 v[32:33], v19 offset:3072
	ds_read_b64 v[48:49], v18 offset:3072
	v_lshlrev_b32_e32 v0, 6, v53
	v_lshlrev_b32_e32 v18, 2, v36
	v_or3_b32 v0, v0, v18, s2
	v_mfma_f32_16x16x16_bf16 a[0:3], v[42:43], v[30:31], a[0:3]
	v_add_u32_e32 v36, v37, v35
	s_waitcnt vmcnt(0)
	v_exp_f32_e32 v18, v24
	v_mfma_f32_16x16x16_bf16 a[4:7], v[42:43], v[40:41], a[4:7]
	global_load_dwordx4 v[42:45], v0, s[0:1]
	v_exp_f32_e32 v19, v25
	ds_read_b64 v[24:25], v36 offset:16384
	s_waitcnt lgkmcnt(2)
	v_mfma_f32_16x16x16_bf16 a[0:3], v[46:47], v[32:33], a[0:3]
	v_exp_f32_e32 v0, s16
	v_add_u32_e32 v36, v50, v35
	v_add_u32_e32 v50, v51, v35
	s_waitcnt lgkmcnt(1)
	v_mfma_f32_16x16x16_bf16 a[4:7], v[46:47], v[48:49], a[4:7]
	v_pk_mul_f32 v[54:55], v[0:1], v[18:19] op_sel_hi:[0,1]
	v_add_u32_e32 v35, v52, v35
	ds_read_b64 v[46:47], v36 offset:16384
	ds_read_b64 v[50:51], v50 offset:16384
	;; [unrolled: 1-line block ×3, first 2 shown]
	v_accvgpr_read_b32 v19, a1
	v_accvgpr_read_b32 v37, a3
	v_accvgpr_read_b32 v36, a2
	v_accvgpr_read_b32 v18, a0
	s_waitcnt lgkmcnt(3)
	v_mfma_f32_16x16x16_bf16 a[0:3], v[24:25], v[22:23], 0
	v_exp_f32_e32 v26, v26
	v_exp_f32_e32 v27, v27
	v_pk_fma_f32 v[18:19], v[2:3], v[54:55], v[18:19]
	v_mfma_f32_16x16x16_bf16 a[8:11], v[24:25], v[20:21], 0
	v_mov_b32_e32 v35, v34
	v_pk_mul_f32 v[2:3], v[0:1], v[26:27] op_sel_hi:[0,1]
	v_pk_fma_f32 v[20:21], v[4:5], v[2:3], v[36:37]
	s_waitcnt lgkmcnt(2)
	v_mfma_f32_16x16x16_bf16 a[0:3], v[46:47], v[38:39], a[0:3]
	v_accvgpr_read_b32 v4, a4
	v_fma_f32 v26, v10, v54, v4
	v_accvgpr_read_b32 v4, a5
	v_mfma_f32_16x16x16_bf16 a[8:11], v[46:47], v[28:29], a[8:11]
	v_fma_f32 v27, v11, v55, v4
	v_accvgpr_read_b32 v4, a6
	v_accvgpr_read_b32 v29, a7
	s_waitcnt lgkmcnt(1)
	v_mfma_f32_16x16x16_bf16 a[0:3], v[50:51], v[40:41], a[0:3]
	v_fma_f32 v28, v12, v2, v4
	v_fmac_f32_e32 v29, v13, v3
	s_waitcnt vmcnt(0)
	v_mov_b32_e32 v2, v43
	v_mfma_f32_16x16x16_bf16 a[8:11], v[50:51], v[30:31], a[8:11]
	v_mov_b32_e32 v3, v44
	v_mov_b32_e32 v4, v45
	v_exp_f32_e32 v10, v42
	v_exp_f32_e32 v11, v2
	v_exp_f32_e32 v2, v3
	v_exp_f32_e32 v3, v4
	s_waitcnt lgkmcnt(0)
	v_mfma_f32_16x16x16_bf16 a[0:3], v[52:53], v[48:49], a[0:3]
	v_pk_mul_f32 v[10:11], v[0:1], v[10:11] op_sel_hi:[0,1]
	v_pk_mul_f32 v[2:3], v[0:1], v[2:3] op_sel_hi:[0,1]
	v_mfma_f32_16x16x16_bf16 a[4:7], v[52:53], v[32:33], a[8:11]
	s_nop 3
	v_accvgpr_read_b32 v0, a0
	v_fma_f32 v30, v14, v10, v0
	v_accvgpr_read_b32 v0, a1
	v_fma_f32 v31, v15, v11, v0
	v_accvgpr_read_b32 v13, a5
	v_accvgpr_read_b32 v5, a7
	;; [unrolled: 1-line block ×6, first 2 shown]
	v_pk_fma_f32 v[22:23], v[6:7], v[10:11], v[12:13]
	v_pk_fma_f32 v[24:25], v[8:9], v[2:3], v[4:5]
	v_fma_f32 v32, v16, v2, v0
	v_fmac_f32_e32 v33, v17, v3
	v_mov_b64_e32 v[2:3], v[18:19]
	v_mov_b64_e32 v[4:5], v[20:21]
	;; [unrolled: 1-line block ×8, first 2 shown]
.LBB286_86:
	s_lshl_b64 s[0:1], s[24:25], 15
	s_waitcnt lgkmcnt(0)
	s_add_u32 s0, s28, s0
	v_lshlrev_b32_e32 v18, 7, v35
	s_addc_u32 s1, s29, s1
	v_ashrrev_i32_e32 v19, 31, v18
	v_lshl_add_u64 v[20:21], v[18:19], 1, s[0:1]
	v_lshlrev_b32_e32 v0, 1, v1
	v_mov_b32_e32 v1, 0
	s_mov_b32 s2, 0x7060302
	v_lshl_add_u64 v[20:21], v[20:21], 0, v[0:1]
	v_perm_b32 v5, v5, v4, s2
	v_perm_b32 v4, v3, v2, s2
	v_perm_b32 v3, v9, v8, s2
	v_perm_b32 v2, v7, v6, s2
	global_store_dwordx2 v[20:21], v[2:3], off offset:128
	v_or_b32_e32 v2, 0x800, v18
	v_ashrrev_i32_e32 v3, 31, v2
	v_lshl_add_u64 v[2:3], v[2:3], 1, s[0:1]
	v_lshl_add_u64 v[0:1], v[2:3], 0, v[0:1]
	v_perm_b32 v3, v13, v12, s2
	v_perm_b32 v2, v11, v10, s2
	global_store_dwordx2 v[0:1], v[2:3], off
	v_perm_b32 v3, v17, v16, s2
	v_perm_b32 v2, v15, v14, s2
	global_store_dwordx2 v[20:21], v[4:5], off
	global_store_dwordx2 v[0:1], v[2:3], off offset:128
	s_endpgm
	.section	.rodata,"a",@progbits
	.p2align	6, 0x0
	.amdhsa_kernel _ZN12_GLOBAL__N_139chunk_gated_delta_rule_fwd_h_hip_kernelILi32ELb0ELb1ELb0ELb0ELb1ELb1ELb0ELb1EEEvPK12hip_bfloat16S3_S3_PKfS5_PKvPS1_S8_PvPKiSB_iiiiilll
		.amdhsa_group_segment_fixed_size 49152
		.amdhsa_private_segment_fixed_size 0
		.amdhsa_kernarg_size 136
		.amdhsa_user_sgpr_count 2
		.amdhsa_user_sgpr_dispatch_ptr 0
		.amdhsa_user_sgpr_queue_ptr 0
		.amdhsa_user_sgpr_kernarg_segment_ptr 1
		.amdhsa_user_sgpr_dispatch_id 0
		.amdhsa_user_sgpr_kernarg_preload_length 0
		.amdhsa_user_sgpr_kernarg_preload_offset 0
		.amdhsa_user_sgpr_private_segment_size 0
		.amdhsa_uses_dynamic_stack 0
		.amdhsa_enable_private_segment 0
		.amdhsa_system_sgpr_workgroup_id_x 1
		.amdhsa_system_sgpr_workgroup_id_y 1
		.amdhsa_system_sgpr_workgroup_id_z 0
		.amdhsa_system_sgpr_workgroup_info 0
		.amdhsa_system_vgpr_workitem_id 0
		.amdhsa_next_free_vgpr 160
		.amdhsa_next_free_sgpr 67
		.amdhsa_accum_offset 140
		.amdhsa_reserve_vcc 1
		.amdhsa_float_round_mode_32 0
		.amdhsa_float_round_mode_16_64 0
		.amdhsa_float_denorm_mode_32 3
		.amdhsa_float_denorm_mode_16_64 3
		.amdhsa_dx10_clamp 1
		.amdhsa_ieee_mode 1
		.amdhsa_fp16_overflow 0
		.amdhsa_tg_split 0
		.amdhsa_exception_fp_ieee_invalid_op 0
		.amdhsa_exception_fp_denorm_src 0
		.amdhsa_exception_fp_ieee_div_zero 0
		.amdhsa_exception_fp_ieee_overflow 0
		.amdhsa_exception_fp_ieee_underflow 0
		.amdhsa_exception_fp_ieee_inexact 0
		.amdhsa_exception_int_div_zero 0
	.end_amdhsa_kernel
	.section	.text._ZN12_GLOBAL__N_139chunk_gated_delta_rule_fwd_h_hip_kernelILi32ELb0ELb1ELb0ELb0ELb1ELb1ELb0ELb1EEEvPK12hip_bfloat16S3_S3_PKfS5_PKvPS1_S8_PvPKiSB_iiiiilll,"axG",@progbits,_ZN12_GLOBAL__N_139chunk_gated_delta_rule_fwd_h_hip_kernelILi32ELb0ELb1ELb0ELb0ELb1ELb1ELb0ELb1EEEvPK12hip_bfloat16S3_S3_PKfS5_PKvPS1_S8_PvPKiSB_iiiiilll,comdat
.Lfunc_end286:
	.size	_ZN12_GLOBAL__N_139chunk_gated_delta_rule_fwd_h_hip_kernelILi32ELb0ELb1ELb0ELb0ELb1ELb1ELb0ELb1EEEvPK12hip_bfloat16S3_S3_PKfS5_PKvPS1_S8_PvPKiSB_iiiiilll, .Lfunc_end286-_ZN12_GLOBAL__N_139chunk_gated_delta_rule_fwd_h_hip_kernelILi32ELb0ELb1ELb0ELb0ELb1ELb1ELb0ELb1EEEvPK12hip_bfloat16S3_S3_PKfS5_PKvPS1_S8_PvPKiSB_iiiiilll
                                        ; -- End function
	.section	.AMDGPU.csdata,"",@progbits
; Kernel info:
; codeLenInByte = 9760
; NumSgprs: 73
; NumVgprs: 140
; NumAgprs: 20
; TotalNumVgprs: 160
; ScratchSize: 0
; MemoryBound: 0
; FloatMode: 240
; IeeeMode: 1
; LDSByteSize: 49152 bytes/workgroup (compile time only)
; SGPRBlocks: 9
; VGPRBlocks: 19
; NumSGPRsForWavesPerEU: 73
; NumVGPRsForWavesPerEU: 160
; AccumOffset: 140
; Occupancy: 1
; WaveLimiterHint : 1
; COMPUTE_PGM_RSRC2:SCRATCH_EN: 0
; COMPUTE_PGM_RSRC2:USER_SGPR: 2
; COMPUTE_PGM_RSRC2:TRAP_HANDLER: 0
; COMPUTE_PGM_RSRC2:TGID_X_EN: 1
; COMPUTE_PGM_RSRC2:TGID_Y_EN: 1
; COMPUTE_PGM_RSRC2:TGID_Z_EN: 0
; COMPUTE_PGM_RSRC2:TIDIG_COMP_CNT: 0
; COMPUTE_PGM_RSRC3_GFX90A:ACCUM_OFFSET: 34
; COMPUTE_PGM_RSRC3_GFX90A:TG_SPLIT: 0
	.section	.text._ZN12_GLOBAL__N_139chunk_gated_delta_rule_fwd_h_hip_kernelILi32ELb0ELb0ELb1ELb0ELb1ELb1ELb0ELb1EEEvPK12hip_bfloat16S3_S3_PKfS5_PKvPS1_S8_PvPKiSB_iiiiilll,"axG",@progbits,_ZN12_GLOBAL__N_139chunk_gated_delta_rule_fwd_h_hip_kernelILi32ELb0ELb0ELb1ELb0ELb1ELb1ELb0ELb1EEEvPK12hip_bfloat16S3_S3_PKfS5_PKvPS1_S8_PvPKiSB_iiiiilll,comdat
	.globl	_ZN12_GLOBAL__N_139chunk_gated_delta_rule_fwd_h_hip_kernelILi32ELb0ELb0ELb1ELb0ELb1ELb1ELb0ELb1EEEvPK12hip_bfloat16S3_S3_PKfS5_PKvPS1_S8_PvPKiSB_iiiiilll ; -- Begin function _ZN12_GLOBAL__N_139chunk_gated_delta_rule_fwd_h_hip_kernelILi32ELb0ELb0ELb1ELb0ELb1ELb1ELb0ELb1EEEvPK12hip_bfloat16S3_S3_PKfS5_PKvPS1_S8_PvPKiSB_iiiiilll
	.p2align	8
	.type	_ZN12_GLOBAL__N_139chunk_gated_delta_rule_fwd_h_hip_kernelILi32ELb0ELb0ELb1ELb0ELb1ELb1ELb0ELb1EEEvPK12hip_bfloat16S3_S3_PKfS5_PKvPS1_S8_PvPKiSB_iiiiilll,@function
_ZN12_GLOBAL__N_139chunk_gated_delta_rule_fwd_h_hip_kernelILi32ELb0ELb0ELb1ELb0ELb1ELb1ELb0ELb1EEEvPK12hip_bfloat16S3_S3_PKfS5_PKvPS1_S8_PvPKiSB_iiiiilll: ; @_ZN12_GLOBAL__N_139chunk_gated_delta_rule_fwd_h_hip_kernelILi32ELb0ELb0ELb1ELb0ELb1ELb1ELb0ELb1EEEvPK12hip_bfloat16S3_S3_PKfS5_PKvPS1_S8_PvPKiSB_iiiiilll
; %bb.0:
	s_load_dwordx4 s[16:19], s[0:1], 0x5c
	s_load_dwordx4 s[12:15], s[0:1], 0x30
	s_abs_i32 s22, s3
	s_ashr_i32 s21, s3, 31
	s_load_dwordx8 s[4:11], s[0:1], 0x0
	s_waitcnt lgkmcnt(0)
	s_abs_i32 s20, s17
	v_cvt_f32_u32_e32 v1, s20
	s_sub_i32 s24, 0, s20
	s_ashr_i32 s23, s17, 31
	s_xor_b32 s21, s21, s23
	v_rcp_iflag_f32_e32 v1, v1
	v_lshrrev_b32_e32 v63, 6, v0
	v_bfe_u32 v64, v0, 4, 2
	v_lshlrev_b32_e32 v2, 2, v64
	v_mul_f32_e32 v1, 0x4f7ffffe, v1
	v_cvt_u32_f32_e32 v1, v1
	v_and_b32_e32 v62, 63, v0
	v_mov_b32_e32 v5, 0
	v_and_b32_e32 v45, 15, v0
	v_readfirstlane_b32 s25, v1
	s_mul_i32 s24, s24, s25
	s_mul_hi_u32 s24, s25, s24
	s_add_i32 s25, s25, s24
	s_mul_hi_u32 s24, s22, s25
	s_mul_i32 s25, s24, s20
	s_sub_i32 s22, s22, s25
	s_add_i32 s26, s24, 1
	s_sub_i32 s25, s22, s20
	s_cmp_ge_u32 s22, s20
	s_cselect_b32 s24, s26, s24
	s_cselect_b32 s22, s25, s22
	s_add_i32 s25, s24, 1
	s_cmp_ge_u32 s22, s20
	s_cselect_b32 s22, s25, s24
	s_abs_i32 s24, s18
	v_cvt_f32_u32_e32 v1, s24
	s_xor_b32 s22, s22, s21
	s_ashr_i32 s48, s16, 31
	s_sub_i32 s50, s22, s21
	v_rcp_iflag_f32_e32 v1, v1
	s_lshr_b32 s21, s48, 26
	s_add_i32 s21, s16, s21
	s_ashr_i32 s51, s18, 31
	v_mul_f32_e32 v1, 0x4f7ffffe, v1
	v_cvt_u32_f32_e32 v1, v1
	s_ashr_i32 s49, s21, 6
	s_xor_b32 s21, s23, s51
	s_sub_i32 s22, 0, s24
	v_readfirstlane_b32 s23, v1
	s_mul_i32 s22, s22, s23
	s_mul_hi_u32 s22, s23, s22
	s_add_i32 s23, s23, s22
	s_mul_hi_u32 s22, s20, s23
	s_mul_i32 s23, s22, s24
	s_mul_i32 s47, s50, s17
	s_sub_i32 s20, s20, s23
	s_sub_i32 s33, s3, s47
	s_add_i32 s3, s16, 63
	s_add_i32 s23, s22, 1
	s_sub_i32 s25, s20, s24
	s_cmp_ge_u32 s20, s24
	s_cselect_b32 s22, s23, s22
	s_cselect_b32 s20, s25, s20
	s_add_i32 s23, s22, 1
	s_cmp_ge_u32 s20, s24
	s_cselect_b32 s20, s23, s22
	s_xor_b32 s20, s20, s21
	s_sub_i32 s24, s20, s21
	s_abs_i32 s25, s24
	v_cvt_f32_u32_e32 v1, s25
	s_sub_i32 s27, 0, s25
	s_abs_i32 s26, s33
	s_xor_b32 s24, s33, s24
	v_rcp_iflag_f32_e32 v1, v1
	s_ashr_i32 s24, s24, 31
	s_load_dwordx2 s[34:35], s[0:1], 0x80
	s_load_dwordx4 s[20:23], s[0:1], 0x70
	s_mul_hi_i32 s53, s50, s17
	v_mul_f32_e32 v1, 0x4f7ffffe, v1
	v_cvt_u32_f32_e32 v1, v1
	v_lshrrev_b32_e32 v66, 3, v62
	v_lshlrev_b32_e32 v65, 3, v0
	s_waitcnt lgkmcnt(0)
	s_mul_i32 s21, s50, s21
	v_readfirstlane_b32 s28, v1
	s_mul_i32 s27, s27, s28
	s_mul_hi_u32 s27, s28, s27
	s_add_i32 s28, s28, s27
	s_mul_hi_u32 s27, s26, s28
	s_mul_i32 s28, s27, s25
	s_sub_i32 s26, s26, s28
	s_add_i32 s28, s27, 1
	s_sub_i32 s29, s26, s25
	s_cmp_ge_u32 s26, s25
	s_cselect_b32 s27, s28, s27
	s_cselect_b32 s26, s29, s26
	s_add_i32 s28, s27, 1
	s_cmp_ge_u32 s26, s25
	s_cselect_b32 s25, s28, s27
	s_xor_b32 s25, s25, s24
	s_sub_i32 s54, s25, s24
	s_ashr_i32 s24, s3, 31
	s_lshr_b32 s24, s24, 26
	v_lshlrev_b32_e32 v1, 4, v63
	s_add_i32 s3, s3, s24
	v_or_b32_e32 v67, v2, v1
	s_ashr_i32 s3, s3, 6
	s_lshl_b32 s36, s2, 5
	s_mul_i32 s52, s50, s3
	v_or_b32_e32 v68, 64, v67
	s_cmp_lt_i32 s16, 64
	s_mul_hi_u32 s46, s50, s20
	s_mul_i32 s38, s50, s20
	v_mov_b32_e32 v85, 0
	v_mov_b32_e32 v83, 0
	;; [unrolled: 1-line block ×15, first 2 shown]
	s_cbranch_scc1 .LBB287_18
; %bb.1:
	s_ashr_i32 s28, s50, 31
	s_ashr_i32 s56, s33, 31
	s_add_u32 s2, s47, s33
	s_addc_u32 s3, s53, s56
	s_mul_i32 s3, s16, s3
	s_mul_hi_u32 s24, s16, s2
	s_add_i32 s41, s24, s3
	s_mul_i32 s40, s16, s2
	s_lshl_b64 s[2:3], s[40:41], 8
	v_and_b32_e32 v70, 56, v65
	s_add_u32 s24, s6, s2
	v_lshl_or_b32 v69, v63, 3, v66
	v_lshlrev_b32_e32 v3, 1, v70
	s_addc_u32 s2, s7, s3
	v_lshl_or_b32 v71, v69, 8, v3
	s_and_b32 s25, s2, 0xffff
	s_mov_b32 s27, 0x20000
	s_movk_i32 s26, 0x4000
	s_movk_i32 s2, 0x80
	v_or_b32_e32 v72, 0x2000, v71
	buffer_load_dwordx4 v[4:7], v71, s[24:27], 0 offen
	buffer_load_dwordx4 v[8:11], v71, s[24:27], s2 offen
	;; [unrolled: 1-line block ×4, first 2 shown]
	v_lshlrev_b32_e32 v20, 3, v69
	v_and_or_b32 v22, v0, 7, v20
	v_and_b32_e32 v20, 0x78, v20
	v_lshlrev_b32_e32 v22, 4, v22
	v_xor_b32_e32 v73, v22, v20
	v_mul_lo_u32 v21, v69, s19
	v_or_b32_e32 v74, 0x1000, v73
	s_cmpk_eq_i32 s19, 0x80
	s_mov_b32 s55, s18
	v_xor_b32_e32 v20, 8, v73
	v_xor_b32_e32 v22, 8, v74
	s_cselect_b64 s[2:3], -1, 0
	s_cmpk_lg_i32 s19, 0x80
	s_waitcnt vmcnt(3)
	ds_write_b64 v73, v[4:5] offset:24576
	ds_write_b64 v20, v[6:7] offset:24576
	s_waitcnt vmcnt(2)
	ds_write_b64 v73, v[8:9] offset:32768
	ds_write_b64 v20, v[10:11] offset:32768
	;; [unrolled: 3-line block ×4, first 2 shown]
	v_lshl_add_u32 v4, v21, 1, v70
	s_cbranch_scc0 .LBB287_3
; %bb.2:
	v_lshlrev_b32_e32 v6, 1, v4
	v_add_lshl_u32 v5, v4, s19, 1
	s_lshl_b32 s26, s19, 7
	s_load_dwordx2 s[42:43], s[0:1], 0x20
	v_lshl_or_b32 v3, v69, 9, v3
	s_cbranch_execz .LBB287_4
	s_branch .LBB287_5
.LBB287_3:
                                        ; implicit-def: $vgpr5
                                        ; implicit-def: $vgpr6
                                        ; implicit-def: $sgpr26
	s_load_dwordx2 s[42:43], s[0:1], 0x20
	v_lshl_or_b32 v3, v69, 9, v3
.LBB287_4:
	v_or_b32_e32 v5, 0x100, v3
	s_movk_i32 s26, 0x4000
	v_mov_b32_e32 v6, v3
.LBB287_5:
	s_mul_hi_u32 s0, s18, s16
	s_mul_i32 s1, s51, s16
	s_add_i32 s0, s0, s1
	s_mul_i32 s1, s18, s16
	s_mul_i32 s24, s1, s28
	s_mul_hi_u32 s25, s1, s50
	s_add_i32 s24, s25, s24
	s_mul_i32 s0, s0, s50
	s_add_i32 s24, s24, s0
	s_mul_i32 s1, s1, s50
	s_ashr_i32 s57, s54, 31
	s_add_u32 s0, s1, s54
	s_addc_u32 s1, s24, s57
	s_lshl_b64 s[0:1], s[0:1], 8
	s_add_u32 s24, s4, s0
	s_addc_u32 s0, s5, s1
	s_and_b32 s25, s0, 0xffff
	s_movk_i32 s58, 0x80
	buffer_load_dwordx4 v[8:11], v6, s[24:27], 0 offen
	buffer_load_dwordx4 v[12:15], v6, s[24:27], s58 offen
	;; [unrolled: 1-line block ×4, first 2 shown]
	v_and_b32_e32 v5, 6, v0
	v_lshlrev_b32_e32 v24, 6, v67
	v_or_b32_e32 v26, 16, v45
	v_xor_b32_e32 v27, v69, v5
	v_and_b32_e32 v6, 1, v0
	s_mul_i32 s0, s28, s16
	s_mul_hi_u32 s1, s50, s16
	v_lshl_or_b32 v30, v45, 3, v24
	v_lshl_or_b32 v24, v26, 3, v24
	v_lshlrev_b32_e32 v27, 2, v27
	v_lshlrev_b32_e32 v7, 2, v45
	v_or_b32_e32 v77, 0xa000, v24
	v_or_b32_e32 v78, 0xb000, v24
	v_xor_b32_e32 v24, 0x440, v27
	v_cmp_eq_u32_e32 vcc, 0, v6
	s_add_i32 s63, s1, s0
	s_add_i32 s0, s46, s21
	s_mul_i32 s28, s28, s20
	v_xor_b32_e32 v28, v67, v7
	v_xor_b32_e32 v29, v68, v7
	v_cndmask_b32_e32 v6, v24, v27, vcc
	s_add_i32 s39, s0, s28
	s_mul_i32 s0, s33, s23
	s_mul_hi_u32 s1, s33, s22
	s_mov_b32 s61, 0x1000504
	v_lshlrev_b32_e32 v25, 8, v45
	v_lshlrev_b32_e32 v28, 1, v28
	v_lshlrev_b32_e32 v29, 1, v29
	v_lshl_or_b32 v5, v5, 10, v6
	s_add_i32 s0, s1, s0
	s_mul_i32 s1, s56, s22
	s_mov_b32 s62, 0x3020706
	v_or_b32_e32 v75, 0xa000, v30
	v_or_b32_e32 v76, 0xb000, v30
	;; [unrolled: 1-line block ×4, first 2 shown]
	v_xor_b32_e32 v6, 8, v5
	v_xor_b32_e32 v25, 24, v5
	;; [unrolled: 1-line block ×4, first 2 shown]
	s_add_i32 s1, s0, s1
	s_lshl_b64 s[24:25], s[38:39], 2
	v_xor_b32_e32 v24, 16, v5
	v_xor_b32_e32 v27, 32, v5
	v_xor_b32_e32 v31, 48, v5
	v_add_u32_e32 v6, 0x80, v6
	v_add_u32_e32 v25, 0x80, v25
	;; [unrolled: 1-line block ×4, first 2 shown]
	s_mul_i32 s0, s33, s22
	s_add_u32 s24, s10, s24
	s_addc_u32 s25, s11, s25
	s_lshl_b64 s[0:1], s[0:1], 2
	s_add_u32 s44, s24, s0
	s_movk_i32 s0, 0xf8
	s_addc_u32 s45, s25, s1
	s_ashr_i32 s37, s36, 31
	s_lshl_b32 s30, s19, 7
	s_movk_i32 s24, 0x100
	v_mov_b32_e32 v55, 0
	v_lshlrev_b32_e32 v54, 4, v45
	v_cmp_gt_u32_e32 vcc, s24, v0
	s_mul_i32 s59, s50, s16
	s_mov_b32 s60, 0
	s_movk_i32 s39, 0x1000
	s_movk_i32 s26, 0x4000
	v_add_u32_e32 v102, v1, v2
	s_mov_b32 s64, 0x7060302
	s_mov_b32 s66, 0
	v_mov_b32_e32 v50, v55
	v_mov_b32_e32 v51, v55
	;; [unrolled: 1-line block ×9, first 2 shown]
	s_waitcnt vmcnt(1)
	v_perm_b32 v33, v8, v16, s61
	s_waitcnt vmcnt(0)
	v_perm_b32 v34, v12, v20, s61
	v_perm_b32 v8, v8, v16, s62
	;; [unrolled: 1-line block ×15, first 2 shown]
	ds_write2st64_b32 v5, v33, v34 offset0:32 offset1:64
	ds_write2st64_b32 v6, v8, v12 offset0:32 offset1:64
	;; [unrolled: 1-line block ×8, first 2 shown]
	v_lshlrev_b32_e32 v5, 8, v26
	v_or_b32_e32 v81, v5, v28
	v_or_b32_e32 v82, v5, v29
	;; [unrolled: 1-line block ×3, first 2 shown]
	v_lshlrev_b32_e32 v5, 3, v5
	v_lshrrev_b32_e32 v8, 5, v62
	v_and_or_b32 v8, v5, s0, v8
	v_lshrrev_b32_e32 v6, 2, v62
	v_lshlrev_b32_e32 v11, 11, v63
	v_lshlrev_b32_e32 v8, 4, v8
	v_and_b32_e32 v5, 0x78, v5
	v_and_b32_e32 v9, 12, v6
	v_and_b32_e32 v6, 0x1000, v11
	v_xor_b32_e32 v10, v8, v5
	v_lshrrev_b32_e32 v12, 1, v62
	v_or_b32_e32 v10, v10, v6
	v_and_b32_e32 v12, 8, v12
	v_xor_b32_e32 v89, v10, v12
	v_or_b32_e32 v10, 32, v8
	v_xor_b32_e32 v10, v10, v5
	v_or_b32_e32 v10, v10, v6
	;; [unrolled: 2-line block ×3, first 2 shown]
	v_or_b32_e32 v8, 0x60, v8
	v_xor_b32_e32 v10, v10, v5
	v_xor_b32_e32 v5, v8, v5
	s_lshl_b64 s[0:1], s[36:37], 8
	v_or_b32_e32 v10, v10, v6
	v_or_b32_e32 v5, v5, v6
	v_lshlrev_b32_e32 v14, 1, v4
	v_add_lshl_u32 v15, v4, s19, 1
	s_add_u32 s0, s12, s0
	v_lshlrev_b32_e32 v4, 1, v45
	v_xor_b32_e32 v93, v10, v12
	v_xor_b32_e32 v94, v5, v12
	v_lshrrev_b32_e32 v10, 4, v0
	s_addc_u32 s1, s13, s1
	v_or_b32_e32 v5, 1, v4
	v_mov_b32_e32 v20, 0x4000
	v_mov_b32_e32 v21, 0x2000
	v_lshrrev_b32_e32 v22, 1, v0
	v_xor_b32_e32 v12, v10, v4
	v_xor_b32_e32 v17, v5, v10
	v_lshl_add_u64 v[4:5], s[0:1], 0, v[54:55]
	v_lshlrev_b32_e32 v54, 8, v10
	v_cndmask_b32_e32 v20, v20, v21, vcc
	v_lshlrev_b32_e32 v21, 3, v63
	v_and_b32_e32 v22, 24, v22
	v_lshl_or_b32 v97, v12, 3, v54
	v_and_b32_e32 v12, 8, v0
	v_xor_b32_e32 v23, v21, v22
	v_or_b32_e32 v24, 0x440, v23
	v_cmp_eq_u32_e32 vcc, 0, v12
	v_and_b32_e32 v10, 7, v0
	v_lshlrev_b32_e32 v13, 7, v64
	v_cndmask_b32_e32 v12, v24, v23, vcc
	v_lshl_or_b32 v98, v17, 3, v54
	v_lshlrev_b32_e32 v17, 3, v10
	v_lshlrev_b32_e32 v19, 2, v0
	v_or_b32_e32 v12, v12, v11
	v_or_b32_e32 v7, v13, v7
	v_xor_b32_e32 v23, v12, v17
	v_and_or_b32 v12, v19, 60, v13
	v_mov_b32_e32 v13, 0xb000
	v_lshl_or_b32 v99, v12, 1, v13
	v_or_b32_e32 v12, 32, v22
	v_xor_b32_e32 v12, v21, v12
	v_or_b32_e32 v13, 0x440, v12
	v_cndmask_b32_e32 v12, v13, v12, vcc
	v_or_b32_e32 v12, v12, v11
	v_xor_b32_e32 v13, v12, v17
	v_or_b32_e32 v12, 64, v22
	v_xor_b32_e32 v12, v21, v12
	v_xor_b32_e32 v25, 0x440, v12
	v_cndmask_b32_e32 v12, v25, v12, vcc
	v_or_b32_e32 v12, v12, v11
	v_xor_b32_e32 v25, v12, v17
	v_or_b32_e32 v12, 0x60, v22
	v_xor_b32_e32 v12, v21, v12
	v_xor_b32_e32 v21, 0x440, v12
	v_cndmask_b32_e32 v12, v21, v12, vcc
	v_lshlrev_b32_e32 v7, 1, v7
	v_or_b32_e32 v6, s36, v45
	v_or_b32_e32 v11, v12, v11
	;; [unrolled: 1-line block ×6, first 2 shown]
	v_ashrrev_i32_e32 v7, 31, v6
	v_xor_b32_e32 v11, v11, v17
	v_lshlrev_b32_e32 v8, 7, v67
	v_or_b32_e32 v16, 0x100, v3
	v_lshlrev_b32_e32 v18, 7, v10
	v_or_b32_e32 v10, v9, v1
	v_add_u32_e32 v24, v20, v23
	v_add_u32_e32 v19, v20, v13
	;; [unrolled: 1-line block ×4, first 2 shown]
	v_or3_b32 v12, v1, v9, 64
	v_add_u32_e32 v9, 0x4000, v23
	v_add_u32_e32 v13, 0x4000, v13
	;; [unrolled: 1-line block ×4, first 2 shown]
	v_lshlrev_b64 v[6:7], 1, v[6:7]
	v_cndmask_b32_e64 v100, v14, v3, s[2:3]
	v_cndmask_b32_e64 v101, v15, v16, s[2:3]
	v_lshl_add_u64 v[56:57], s[8:9], 0, v[6:7]
	v_lshl_add_u64 v[58:59], s[14:15], 0, v[6:7]
	;; [unrolled: 1-line block ×3, first 2 shown]
	s_add_i32 s37, s59, 63
	v_lshlrev_b32_e32 v54, 1, v8
	v_lshlrev_b32_e32 v103, 2, v10
	v_add_u32_e32 v104, v24, v18
	v_add_u32_e32 v105, v19, v18
	;; [unrolled: 1-line block ×4, first 2 shown]
	v_lshlrev_b32_e32 v108, 2, v12
	v_add_u32_e32 v109, v9, v18
	v_add_u32_e32 v110, v13, v18
	;; [unrolled: 1-line block ×4, first 2 shown]
	v_mov_b32_e32 v86, v55
	v_mov_b32_e32 v88, v55
	;; [unrolled: 1-line block ×7, first 2 shown]
	s_waitcnt lgkmcnt(0)
	s_barrier
.LBB287_6:                              ; =>This Inner Loop Header: Depth=1
	s_add_i32 s65, s66, 1
	s_cmp_lt_i32 s65, s49
	s_mov_b64 s[28:29], 0
	s_cselect_b64 s[2:3], -1, 0
	s_cmp_ge_i32 s65, s49
	s_mov_b64 s[24:25], 0
	s_cbranch_scc1 .LBB287_8
; %bb.7:                                ;   in Loop: Header=BB287_6 Depth=1
	s_add_i32 s0, s60, 64
	s_add_u32 s0, s40, s0
	s_addc_u32 s1, s41, 0
	s_lshl_b64 s[0:1], s[0:1], 8
	s_add_u32 s24, s6, s0
	s_addc_u32 s25, s7, s1
.LBB287_8:                              ;   in Loop: Header=BB287_6 Depth=1
	v_cndmask_b32_e64 v2, 0, 1, s[2:3]
	v_cmp_ne_u32_e64 s[0:1], 1, v2
	s_andn2_b64 vcc, exec, s[2:3]
	s_cbranch_vccnz .LBB287_10
; %bb.9:                                ;   in Loop: Header=BB287_6 Depth=1
	s_add_i32 s2, s60, 64
	s_add_u32 s2, s59, s2
	s_addc_u32 s3, s63, 0
	s_mul_i32 s28, s2, s51
	s_mul_hi_u32 s29, s2, s55
	s_add_i32 s28, s29, s28
	s_mul_i32 s3, s3, s55
	s_add_i32 s28, s28, s3
	s_mul_i32 s2, s2, s55
	s_add_u32 s2, s2, s54
	s_addc_u32 s3, s28, s57
	s_lshl_b64 s[2:3], s[2:3], 8
	s_add_u32 s28, s4, s2
	s_addc_u32 s29, s5, s3
.LBB287_10:                             ;   in Loop: Header=BB287_6 Depth=1
	v_perm_b32 v3, v53, v52, s64
	v_perm_b32 v2, v51, v50, s64
	;; [unrolled: 1-line block ×4, first 2 shown]
	ds_write_b64 v75, v[2:3]
	ds_write_b64 v76, v[4:5]
	;; [unrolled: 1-line block ×4, first 2 shown]
	v_perm_b32 v3, v114, v88, s64
	v_perm_b32 v2, v86, v87, s64
	v_perm_b32 v5, v113, v85, s64
	v_perm_b32 v4, v83, v84, s64
	ds_write_b64 v77, v[2:3]
	ds_write_b64 v78, v[4:5]
	;; [unrolled: 1-line block ×4, first 2 shown]
	s_waitcnt lgkmcnt(0)
	s_barrier
	ds_read_b64 v[6:7], v89 offset:24576
	ds_read2_b64 v[2:5], v90 offset1:16
	ds_read_b64 v[10:11], v92 offset:3072
	ds_read_b64 v[12:13], v90 offset:3072
	;; [unrolled: 1-line block ×3, first 2 shown]
	s_waitcnt lgkmcnt(3)
	v_mfma_f32_16x16x16_bf16 a[0:3], v[6:7], v[2:3], 0
	s_add_i32 s2, s60, 63
	s_mul_i32 s3, s2, s35
	s_mul_hi_u32 s31, s2, s34
	v_mfma_f32_16x16x16_bf16 a[4:7], v[6:7], v[4:5], 0
	ds_read2st64_b64 v[2:5], v90 offset0:2 offset1:4
	ds_read2st64_b64 v[6:9], v92 offset0:2 offset1:4
	s_add_i32 s3, s31, s3
	s_waitcnt lgkmcnt(1)
	v_mfma_f32_16x16x16_bf16 a[0:3], v[14:15], v[2:3], a[0:3]
	s_mul_i32 s2, s2, s34
	s_lshl_b64 s[2:3], s[2:3], 2
	s_add_u32 s2, s44, s2
	s_waitcnt lgkmcnt(0)
	v_mfma_f32_16x16x16_bf16 a[4:7], v[14:15], v[6:7], a[4:7]
	ds_read_b64 v[2:3], v93 offset:24576
	ds_read_b64 v[6:7], v94 offset:24576
	s_addc_u32 s3, s45, s3
	s_and_b64 vcc, exec, s[0:1]
	s_waitcnt lgkmcnt(1)
	v_mfma_f32_16x16x16_bf16 a[0:3], v[2:3], v[4:5], a[0:3]
	v_mov_b32_e32 v117, 0
	v_mov_b32_e32 v116, 0
	;; [unrolled: 1-line block ×3, first 2 shown]
	v_mfma_f32_16x16x16_bf16 a[8:11], v[2:3], v[8:9], a[4:7]
	v_mov_b32_e32 v2, 0
	v_mov_b32_e32 v3, 0
	;; [unrolled: 1-line block ×3, first 2 shown]
	s_waitcnt lgkmcnt(0)
	v_mfma_f32_16x16x16_bf16 a[4:7], v[6:7], v[12:13], a[0:3]
	v_mov_b32_e32 v5, 0
	v_mov_b32_e32 v8, 0
	;; [unrolled: 1-line block ×3, first 2 shown]
	v_mfma_f32_16x16x16_bf16 a[0:3], v[6:7], v[10:11], a[8:11]
	v_mov_b32_e32 v6, 0
	v_mov_b32_e32 v7, 0
	;; [unrolled: 1-line block ×10, first 2 shown]
	s_cbranch_vccnz .LBB287_12
; %bb.11:                               ;   in Loop: Header=BB287_6 Depth=1
	s_and_b32 s25, s25, 0xffff
	buffer_load_dwordx4 v[14:17], v71, s[24:27], 0 offen
	buffer_load_dwordx4 v[10:13], v71, s[24:27], s58 offen
	;; [unrolled: 1-line block ×4, first 2 shown]
	v_mov_b32_e32 v116, v73
	v_mov_b32_e32 v115, v74
.LBB287_12:                             ;   in Loop: Header=BB287_6 Depth=1
	ds_read_b64 v[26:27], v89 offset:32768
	ds_read2_b64 v[18:21], v95 offset1:16
	ds_read_b64 v[28:29], v91 offset:32768
	ds_read_b64 v[30:31], v93 offset:32768
	;; [unrolled: 1-line block ×3, first 2 shown]
	ds_read2st64_b64 v[22:25], v95 offset0:2 offset1:4
	v_add_u32_e32 v34, s60, v102
	s_waitcnt lgkmcnt(4)
	v_mfma_f32_16x16x16_bf16 a[4:7], v[26:27], v[18:19], a[4:7]
	v_ashrrev_i32_e32 v18, 31, v34
	v_mfma_f32_16x16x16_bf16 a[0:3], v[26:27], v[20:21], a[0:3]
	v_mul_lo_u32 v20, v34, s35
	v_mul_lo_u32 v21, v18, s34
	v_mad_u64_u32 v[18:19], s[24:25], v34, s34, 0
	v_add3_u32 v19, v19, v20, v21
	v_add_u32_e32 v20, 1, v34
	v_ashrrev_i32_e32 v21, 31, v20
	s_waitcnt lgkmcnt(0)
	v_mfma_f32_16x16x16_bf16 a[4:7], v[28:29], v[22:23], a[4:7]
	v_mul_lo_u32 v22, v21, s34
	v_mul_lo_u32 v23, v20, s35
	v_mad_u64_u32 v[20:21], s[24:25], v20, s34, 0
	v_add3_u32 v21, v21, v23, v22
	v_add_u32_e32 v22, 2, v34
	v_ashrrev_i32_e32 v23, 31, v22
	v_mul_lo_u32 v26, v23, s34
	v_mul_lo_u32 v27, v22, s35
	v_mad_u64_u32 v[22:23], s[24:25], v22, s34, 0
	v_add3_u32 v23, v23, v27, v26
	v_add_u32_e32 v26, 3, v34
	v_ashrrev_i32_e32 v27, 31, v26
	v_mul_lo_u32 v34, v27, s34
	v_mul_lo_u32 v35, v26, s35
	v_mad_u64_u32 v[26:27], s[24:25], v26, s34, 0
	s_add_u32 s24, s40, s60
	s_addc_u32 s25, s41, 0
	s_lshl_b64 s[24:25], s[24:25], 8
	v_lshl_add_u64 v[18:19], v[18:19], 2, s[44:45]
	v_add3_u32 v27, v27, v35, v34
	v_lshl_add_u64 v[34:35], v[56:57], 0, s[24:25]
	v_lshl_add_u64 v[20:21], v[20:21], 2, s[44:45]
	;; [unrolled: 1-line block ×3, first 2 shown]
	global_load_dword v36, v[18:19], off
	global_load_ushort v37, v[34:35], off offset:256
	global_load_ushort v38, v[34:35], off
	global_load_ushort v39, v[34:35], off offset:768
	v_lshl_add_u64 v[18:19], v[26:27], 2, s[44:45]
	v_lshl_add_u64 v[22:23], v[22:23], 2, s[44:45]
	global_load_dword v40, v[20:21], off
	global_load_dword v41, v[22:23], off
	;; [unrolled: 1-line block ×3, first 2 shown]
	ds_read2st64_b64 v[18:21], v96 offset0:2 offset1:4
	s_waitcnt lgkmcnt(0)
	v_mfma_f32_16x16x16_bf16 a[0:3], v[28:29], v[18:19], a[0:3]
	global_load_ushort v28, v[34:35], off offset:512
	global_load_ushort v43, v[34:35], off offset:800
	global_load_ushort v44, v[34:35], off offset:544
	global_load_ushort v118, v[34:35], off offset:288
	s_nop 0
	global_load_ushort v34, v[34:35], off offset:32
	s_and_b64 vcc, exec, s[0:1]
	v_mfma_f32_16x16x16_bf16 a[4:7], v[30:31], v[24:25], a[4:7]
	s_waitcnt vmcnt(10)
	v_lshlrev_b32_e32 v27, 16, v37
	v_mfma_f32_16x16x16_bf16 a[0:3], v[30:31], v[20:21], a[0:3]
	ds_read_b64 v[18:19], v95 offset:3072
	ds_read_b64 v[20:21], v96 offset:3072
	s_load_dword s2, s[2:3], 0x0
	s_waitcnt vmcnt(9)
	v_lshlrev_b32_e32 v26, 16, v38
	s_waitcnt lgkmcnt(0)
	v_mfma_f32_16x16x16_bf16 a[4:7], v[32:33], v[18:19], a[4:7]
	v_lshl_add_u64 v[18:19], v[58:59], 0, s[24:25]
	v_sub_f32_e32 v30, s2, v36
	s_waitcnt vmcnt(7)
	v_sub_f32_e32 v31, s2, v40
	v_mfma_f32_16x16x16_bf16 a[0:3], v[32:33], v[20:21], a[0:3]
	s_waitcnt vmcnt(6)
	v_sub_f32_e32 v32, s2, v41
	s_waitcnt vmcnt(5)
	v_sub_f32_e32 v33, s2, v42
	v_accvgpr_read_b32 v25, a5
	v_accvgpr_read_b32 v24, a4
	v_exp_f32_e32 v30, v30
	v_pk_add_f32 v[24:25], v[26:27], v[24:25] neg_lo:[0,1] neg_hi:[0,1]
	v_exp_f32_e32 v31, v31
	v_exp_f32_e32 v26, v32
	;; [unrolled: 1-line block ×3, first 2 shown]
	v_accvgpr_read_b32 v21, a7
	v_accvgpr_read_b32 v20, a6
	v_lshlrev_b32_e32 v29, 16, v39
	s_waitcnt vmcnt(4)
	v_lshlrev_b32_e32 v28, 16, v28
	v_lshl_add_u64 v[18:19], v[18:19], 0, v[54:55]
	v_pk_add_f32 v[20:21], v[28:29], v[20:21] neg_lo:[0,1] neg_hi:[0,1]
	global_store_short_d16_hi v[18:19], v24, off
	global_store_short_d16_hi v[18:19], v25, off offset:256
	global_store_short_d16_hi v[18:19], v20, off offset:512
	;; [unrolled: 1-line block ×3, first 2 shown]
	v_pk_mul_f32 v[24:25], v[30:31], v[24:25]
	v_pk_mul_f32 v[20:21], v[26:27], v[20:21]
	v_accvgpr_read_b32 v29, a1
	v_perm_b32 v24, v25, v24, s64
	v_perm_b32 v25, v21, v20, s64
	s_waitcnt vmcnt(5)
	v_lshlrev_b32_e32 v21, 16, v118
	s_waitcnt vmcnt(4)
	v_lshlrev_b32_e32 v20, 16, v34
	v_accvgpr_read_b32 v28, a0
	v_accvgpr_read_b32 v23, a3
	;; [unrolled: 1-line block ×3, first 2 shown]
	v_pk_add_f32 v[20:21], v[20:21], v[28:29] neg_lo:[0,1] neg_hi:[0,1]
	v_lshlrev_b32_e32 v29, 16, v43
	v_lshlrev_b32_e32 v28, 16, v44
	v_pk_add_f32 v[22:23], v[28:29], v[22:23] neg_lo:[0,1] neg_hi:[0,1]
	global_store_short_d16_hi v[18:19], v20, off offset:32
	global_store_short_d16_hi v[18:19], v21, off offset:288
	;; [unrolled: 1-line block ×4, first 2 shown]
	v_pk_mul_f32 v[18:19], v[30:31], v[20:21]
	v_pk_mul_f32 v[20:21], v[26:27], v[22:23]
	v_mov_b32_e32 v118, 0
	v_perm_b32 v21, v21, v20, s64
	v_perm_b32 v20, v19, v18, s64
	ds_write2_b64 v76, v[24:25], v[20:21] offset1:16
	v_mov_b32_e32 v18, 0
	v_mov_b32_e32 v19, 0
	;; [unrolled: 1-line block ×16, first 2 shown]
	s_cbranch_vccnz .LBB287_14
; %bb.13:                               ;   in Loop: Header=BB287_6 Depth=1
	s_and_b32 s29, s29, 0xffff
	s_mov_b32 s31, s27
	buffer_load_dwordx4 v[30:33], v100, s[28:31], 0 offen
	buffer_load_dwordx4 v[22:25], v100, s[28:31], s58 offen
	;; [unrolled: 1-line block ×4, first 2 shown]
	v_mov_b32_e32 v117, v70
	v_mov_b32_e32 v118, v69
.LBB287_14:                             ;   in Loop: Header=BB287_6 Depth=1
	s_waitcnt lgkmcnt(0)
	s_barrier
	ds_read_b64 v[38:39], v104
	ds_read_b64 v[124:125], v99
	;; [unrolled: 1-line block ×5, first 2 shown]
	ds_read_b64 v[138:139], v96 offset:3072
	ds_read2_b64 v[34:37], v95 offset0:16 offset1:128
	s_waitcnt lgkmcnt(5)
	v_mfma_f32_16x16x16_bf16 a[0:3], v[38:39], v[124:125], 0
	s_add_i32 s3, s52, s66
	s_mul_hi_i32 s25, s3, s17
	s_mul_i32 s3, s3, s17
	s_waitcnt lgkmcnt(0)
	v_mfma_f32_16x16x16_bf16 a[4:7], v[38:39], v[34:35], 0
	ds_read_b64 v[38:39], v109
	ds_read2st64_b64 v[40:43], v96 offset0:2 offset1:4
	s_add_u32 s24, s3, s33
	s_addc_u32 s25, s25, s56
	s_add_i32 s3, s37, s60
	s_lshl_b64 s[24:25], s[24:25], 15
	s_mul_hi_i32 s29, s3, s17
	s_mul_i32 s3, s3, s17
	s_add_u32 s28, s3, s33
	s_waitcnt lgkmcnt(1)
	v_mfma_f32_16x16x16_bf16 a[8:11], v[38:39], v[124:125], 0
	s_addc_u32 s29, s29, s56
	ds_read2st64_b64 v[120:123], v95 offset0:4 offset1:6
	s_lshl_b64 s[28:29], s[28:29], 9
	v_mfma_f32_16x16x16_bf16 a[0:3], v[126:127], v[36:37], a[0:3]
	s_add_u32 s28, s42, s28
	s_addc_u32 s29, s43, s29
	s_waitcnt lgkmcnt(1)
	v_mfma_f32_16x16x16_bf16 a[4:7], v[126:127], v[40:41], a[4:7]
	ds_read_b64 v[126:127], v110
	ds_read_b64 v[134:135], v111
	;; [unrolled: 1-line block ×3, first 2 shown]
	v_mfma_f32_16x16x16_bf16 a[12:15], v[38:39], v[34:35], 0
	s_waitcnt lgkmcnt(2)
	v_mfma_f32_16x16x16_bf16 a[8:11], v[126:127], v[36:37], a[8:11]
	global_load_dwordx4 v[34:37], v108, s[28:29]
	v_mfma_f32_16x16x16_bf16 a[12:15], v[126:127], v[40:41], a[12:15]
	global_load_dwordx4 v[38:41], v103, s[28:29]
	ds_read2st64_b64 v[124:127], v97 offset1:8
	s_waitcnt lgkmcnt(0)
	v_mov_b32_e32 v132, v124
	v_mfma_f32_16x16x16_bf16 a[0:3], v[128:129], v[120:121], a[0:3]
	v_mov_b32_e32 v133, v125
	v_mfma_f32_16x16x16_bf16 a[4:7], v[128:129], v[42:43], a[4:7]
	ds_read2st64_b64 v[128:131], v98 offset1:8
	v_mfma_f32_16x16x16_bf16 a[8:11], v[134:135], v[120:121], a[8:11]
	v_lshl_add_u64 v[120:121], v[60:61], 0, s[24:25]
	v_mfma_f32_16x16x16_bf16 a[16:19], v[134:135], v[42:43], a[12:15]
	v_add_co_u32_e32 v42, vcc, s39, v120
	s_waitcnt lgkmcnt(0)
	v_mov_b32_e32 v134, v128
	v_mfma_f32_16x16x16_bf16 a[0:3], v[136:137], v[122:123], a[0:3]
	v_mov_b32_e32 v135, v129
	v_mov_b32_e32 v128, v126
	;; [unrolled: 1-line block ×3, first 2 shown]
	v_mfma_f32_16x16x16_bf16 a[4:7], v[136:137], v[138:139], a[4:7]
	v_addc_co_u32_e32 v43, vcc, 0, v121, vcc
	global_store_dwordx4 v[42:43], v[128:131], off
	v_mfma_f32_16x16x16_bf16 a[12:15], v[140:141], v[122:123], a[8:11]
	s_and_b64 vcc, exec, s[0:1]
	global_store_dwordx4 v[120:121], v[132:135], off
	s_waitcnt vmcnt(3)
	v_mov_b32_e32 v44, v37
	v_mfma_f32_16x16x16_bf16 a[8:11], v[140:141], v[138:139], a[16:19]
	v_mov_b32_e32 v43, v36
	v_mov_b32_e32 v42, v35
	s_cbranch_vccnz .LBB287_16
; %bb.15:                               ;   in Loop: Header=BB287_6 Depth=1
	v_lshrrev_b32_e32 v35, 3, v117
	v_and_b32_e32 v35, 6, v35
	v_xor_b32_e32 v36, v35, v118
	v_lshlrev_b32_e32 v36, 2, v36
	v_and_b32_e32 v37, 8, v117
	v_xor_b32_e32 v117, 0x440, v36
	v_cmp_eq_u32_e32 vcc, 0, v37
	v_perm_b32 v37, v22, v18, s61
	s_nop 0
	v_cndmask_b32_e32 v36, v117, v36, vcc
	v_lshl_or_b32 v35, v35, 10, v36
	v_perm_b32 v36, v30, v26, s61
	s_barrier
	ds_write2st64_b32 v35, v36, v37 offset0:32 offset1:64
	v_xor_b32_e32 v36, 8, v35
	v_perm_b32 v26, v30, v26, s62
	v_perm_b32 v18, v22, v18, s62
	v_add_u32_e32 v22, 0x80, v36
	ds_write2st64_b32 v22, v26, v18 offset0:32 offset1:64
	v_xor_b32_e32 v18, 16, v35
	v_perm_b32 v22, v31, v27, s61
	v_perm_b32 v26, v23, v19, s61
	ds_write2st64_b32 v18, v22, v26 offset0:33 offset1:65
	v_xor_b32_e32 v18, 24, v35
	v_perm_b32 v22, v31, v27, s62
	v_perm_b32 v19, v23, v19, s62
	v_add_u32_e32 v18, 0x80, v18
	ds_write2st64_b32 v18, v22, v19 offset0:33 offset1:65
	v_xor_b32_e32 v18, 32, v35
	v_perm_b32 v19, v32, v28, s61
	v_perm_b32 v22, v24, v20, s61
	ds_write2st64_b32 v18, v19, v22 offset0:34 offset1:66
	v_xor_b32_e32 v18, 40, v35
	v_perm_b32 v19, v32, v28, s62
	v_perm_b32 v20, v24, v20, s62
	v_add_u32_e32 v18, 0x80, v18
	ds_write2st64_b32 v18, v19, v20 offset0:34 offset1:66
	v_xor_b32_e32 v18, 48, v35
	v_perm_b32 v19, v33, v29, s61
	v_perm_b32 v20, v25, v21, s61
	ds_write2st64_b32 v18, v19, v20 offset0:35 offset1:67
	v_xor_b32_e32 v18, 56, v35
	v_perm_b32 v19, v33, v29, s62
	v_perm_b32 v20, v25, v21, s62
	v_add_u32_e32 v18, 0x80, v18
	ds_write2st64_b32 v18, v19, v20 offset0:35 offset1:67
	ds_write_b64 v116, v[14:15] offset:24576
	v_xor_b32_e32 v14, 8, v116
	ds_write_b64 v14, v[16:17] offset:24576
	ds_write_b64 v116, v[10:11] offset:32768
	;; [unrolled: 1-line block ×4, first 2 shown]
	v_xor_b32_e32 v6, 8, v115
	ds_write_b64 v6, v[8:9] offset:24576
	ds_write_b64 v115, v[2:3] offset:32768
	;; [unrolled: 1-line block ×3, first 2 shown]
.LBB287_16:                             ;   in Loop: Header=BB287_6 Depth=1
	v_exp_f32_e32 v18, s2
	s_waitcnt vmcnt(2)
	v_exp_f32_e32 v20, v38
	v_exp_f32_e32 v21, v39
	;; [unrolled: 1-line block ×4, first 2 shown]
	v_accvgpr_read_b32 v13, a3
	v_accvgpr_read_b32 v11, a1
	;; [unrolled: 1-line block ×4, first 2 shown]
	v_pk_mul_f32 v[20:21], v[18:19], v[20:21] op_sel_hi:[0,1]
	v_accvgpr_read_b32 v12, a2
	v_accvgpr_read_b32 v7, a5
	;; [unrolled: 1-line block ×3, first 2 shown]
	v_pk_fma_f32 v[50:51], v[50:51], v[20:21], v[10:11]
	v_pk_mul_f32 v[10:11], v[18:19], v[22:23] op_sel_hi:[0,1]
	v_pk_fma_f32 v[52:53], v[52:53], v[10:11], v[12:13]
	v_fma_f32 v87, v87, v20, v6
	v_fma_f32 v86, v86, v21, v7
	v_exp_f32_e32 v6, v34
	v_exp_f32_e32 v7, v42
	;; [unrolled: 1-line block ×4, first 2 shown]
	v_accvgpr_read_b32 v8, a6
	v_accvgpr_read_b32 v17, a15
	;; [unrolled: 1-line block ×9, first 2 shown]
	v_fma_f32 v88, v88, v10, v8
	v_fmac_f32_e32 v9, v114, v11
	v_pk_mul_f32 v[6:7], v[18:19], v[6:7] op_sel_hi:[0,1]
	v_pk_mul_f32 v[10:11], v[18:19], v[12:13] op_sel_hi:[0,1]
	s_add_i32 s60, s60, 64
	v_pk_fma_f32 v[46:47], v[46:47], v[6:7], v[14:15]
	v_pk_fma_f32 v[48:49], v[48:49], v[10:11], v[16:17]
	v_fma_f32 v84, v84, v6, v2
	v_fma_f32 v83, v83, v7, v3
	;; [unrolled: 1-line block ×3, first 2 shown]
	s_cmp_eq_u32 s49, s65
	v_fmac_f32_e32 v5, v113, v11
	s_cbranch_scc1 .LBB287_18
; %bb.17:                               ;   in Loop: Header=BB287_6 Depth=1
	s_mov_b32 s66, s65
	v_mov_b32_e32 v114, v9
	v_mov_b32_e32 v113, v5
	s_branch .LBB287_6
.LBB287_18:
	s_lshl_b32 s42, s49, 6
	s_sub_i32 s43, s16, s42
	s_cmp_gt_i32 s43, 0
	s_cbranch_scc0 .LBB287_83
; %bb.19:
	s_ashr_i32 s39, s50, 31
	s_ashr_i32 s2, s42, 31
	s_cmpk_lg_i32 s19, 0x80
	s_cselect_b64 s[30:31], -1, 0
	s_and_b64 vcc, exec, s[30:31]
	s_cbranch_vccz .LBB287_21
; %bb.20:
	s_mul_i32 s1, s50, s16
	s_mul_hi_i32 s0, s50, s16
	s_add_u32 s1, s1, s42
	s_addc_u32 s0, s0, s2
	s_mul_i32 s3, s1, s51
	s_mul_hi_u32 s24, s1, s18
	s_add_i32 s3, s24, s3
	s_mul_i32 s0, s0, s18
	s_add_i32 s3, s3, s0
	s_mul_i32 s1, s1, s18
	s_ashr_i32 s0, s54, 31
	s_add_u32 s40, s1, s54
	s_addc_u32 s41, s3, s0
	s_cbranch_execz .LBB287_22
	s_branch .LBB287_23
.LBB287_21:
                                        ; implicit-def: $sgpr40_sgpr41
.LBB287_22:
	s_mul_hi_i32 s0, s50, s18
	s_mul_i32 s50, s50, s18
	s_ashr_i32 s1, s54, 31
	s_add_u32 s3, s50, s54
	s_addc_u32 s0, s0, s1
	s_mul_i32 s1, s3, s48
	s_mul_hi_u32 s18, s3, s16
	s_add_i32 s1, s18, s1
	s_mul_i32 s0, s0, s16
	s_add_i32 s1, s1, s0
	s_mul_i32 s3, s3, s16
	s_add_u32 s40, s3, s42
	s_addc_u32 s41, s1, s2
.LBB287_23:
	s_add_i32 s3, s52, s49
	s_ashr_i32 s18, s33, 31
	s_add_u32 s0, s47, s33
	s_addc_u32 s1, s53, s18
	s_mul_i32 s24, s0, s48
	s_mul_hi_u32 s25, s0, s16
	s_add_i32 s24, s25, s24
	s_mul_i32 s1, s1, s16
	s_add_i32 s24, s24, s1
	s_mul_i32 s0, s0, s16
	s_add_u32 s0, s0, s42
	v_lshlrev_b32_e32 v8, 5, v67
	v_lshlrev_b32_e32 v22, 2, v45
	s_addc_u32 s1, s24, s2
	s_mov_b32 s2, 0x7060302
	v_or_b32_e32 v11, v8, v22
	v_xor_b32_e32 v4, v67, v22
	v_perm_b32 v3, v53, v52, s2
	v_perm_b32 v2, v51, v50, s2
	;; [unrolled: 1-line block ×4, first 2 shown]
	v_lshlrev_b32_e32 v11, 1, v11
	s_lshl_b64 s[28:29], s[0:1], 8
	v_xor_b32_e32 v10, v68, v22
	ds_write2st64_b64 v11, v[2:3], v[6:7] offset0:80 offset1:88
	v_lshlrev_b32_e32 v11, 1, v4
	v_lshlrev_b32_e32 v4, 8, v45
	s_add_u32 s0, s6, s28
	v_or_b32_e32 v12, v11, v4
	v_lshlrev_b32_e32 v10, 1, v10
	s_addc_u32 s1, s7, s29
	ds_write_b64 v12, v[2:3]
	v_or_b32_e32 v2, v10, v4
	s_mul_hi_i32 s6, s3, s17
	s_mul_i32 s3, s3, s17
	ds_write_b64 v2, v[6:7]
	v_perm_b32 v3, v9, v88, s2
	v_perm_b32 v2, v86, v87, s2
	;; [unrolled: 1-line block ×4, first 2 shown]
	v_or_b32_e32 v6, 16, v45
	s_add_u32 s2, s3, s33
	v_lshlrev_b32_e32 v19, 2, v6
	s_addc_u32 s3, s6, s18
	v_or_b32_e32 v7, v8, v19
	s_ashr_i32 s37, s36, 31
	s_lshl_b64 s[2:3], s[2:3], 15
	v_lshlrev_b32_e32 v7, 1, v7
	v_lshlrev_b32_e32 v6, 8, v6
	s_add_u32 s6, s12, s2
	ds_write2st64_b64 v7, v[2:3], v[4:5] offset0:80 offset1:88
	v_or_b32_e32 v7, v11, v6
	s_addc_u32 s7, s13, s3
	s_lshl_b64 s[2:3], s[36:37], 8
	ds_write_b64 v7, v[2:3]
	v_or_b32_e32 v2, v10, v6
	s_add_u32 s2, s6, s2
	ds_write_b64 v2, v[4:5]
	v_lshrrev_b32_e32 v2, 4, v0
	s_addc_u32 s3, s7, s3
	v_lshlrev_b32_e32 v3, 1, v45
	v_lshlrev_b32_e32 v10, 4, v45
	v_mov_b32_e32 v11, 0
	v_or_b32_e32 v4, 1, v3
	v_xor_b32_e32 v3, v2, v3
	v_lshl_add_u64 v[12:13], s[2:3], 0, v[10:11]
	v_lshlrev_b32_e32 v10, 8, v2
	v_xor_b32_e32 v6, v4, v2
	v_lshl_or_b32 v2, v3, 3, v10
	s_waitcnt lgkmcnt(0)
	s_barrier
	ds_read2st64_b64 v[2:5], v2 offset1:8
	v_lshl_or_b32 v6, v6, 3, v10
	ds_read2st64_b64 v[6:9], v6 offset1:8
	v_lshl_add_u64 v[14:15], v[12:13], 0, v[10:11]
	s_movk_i32 s2, 0x1000
	s_waitcnt lgkmcnt(1)
	v_mov_b32_e32 v10, v2
	v_add_co_u32_e32 v2, vcc, s2, v14
	s_cmp_lg_u32 s43, 64
	v_mov_b32_e32 v11, v3
	v_addc_co_u32_e32 v3, vcc, 0, v15, vcc
	s_cselect_b64 s[6:7], -1, 0
	v_lshl_or_b32 v23, v63, 3, v66
	s_waitcnt lgkmcnt(0)
	v_mov_b32_e32 v12, v6
	v_mov_b32_e32 v13, v7
	v_mov_b32_e32 v6, v4
	v_mov_b32_e32 v7, v5
	s_mov_b32 s24, 0
	v_or_b32_e32 v20, 32, v23
	v_and_b32_e32 v18, 56, v65
	s_and_b64 vcc, exec, s[6:7]
	global_store_dwordx4 v[14:15], v[10:13], off
	global_store_dwordx4 v[2:3], v[6:9], off
	s_cbranch_vccz .LBB287_29
; %bb.24:
	s_mov_b32 s25, s24
	s_mov_b32 s26, s24
	;; [unrolled: 1-line block ×3, first 2 shown]
	v_mov_b64_e32 v[6:7], s[24:25]
	v_mov_b64_e32 v[8:9], s[26:27]
	;; [unrolled: 1-line block ×3, first 2 shown]
	v_cmp_gt_i32_e32 vcc, s43, v23
	v_mov_b64_e32 v[4:5], v[8:9]
	s_and_saveexec_b64 s[2:3], vcc
	s_cbranch_execz .LBB287_26
; %bb.25:
	v_lshlrev_b32_e32 v2, 8, v23
	v_mov_b32_e32 v3, 0
	v_lshl_add_u64 v[4:5], s[0:1], 0, v[2:3]
	v_lshlrev_b32_e32 v2, 1, v18
	v_lshl_add_u64 v[10:11], v[4:5], 0, v[2:3]
	global_load_dwordx4 v[6:9], v[10:11], off
	global_load_dwordx4 v[2:5], v[10:11], off offset:128
.LBB287_26:
	s_or_b64 exec, exec, s[2:3]
	s_mov_b32 s25, s24
	s_mov_b32 s26, s24
	;; [unrolled: 1-line block ×3, first 2 shown]
	v_mov_b64_e32 v[14:15], s[24:25]
	v_mov_b64_e32 v[16:17], s[26:27]
	;; [unrolled: 1-line block ×3, first 2 shown]
	v_cmp_gt_i32_e32 vcc, s43, v20
	v_lshlrev_b32_e32 v21, 7, v20
	v_mov_b64_e32 v[12:13], v[16:17]
	s_and_saveexec_b64 s[2:3], vcc
	s_cbranch_execz .LBB287_28
; %bb.27:
	v_lshlrev_b32_e32 v10, 1, v21
	v_mov_b32_e32 v11, 0
	v_lshl_add_u64 v[12:13], s[0:1], 0, v[10:11]
	v_lshlrev_b32_e32 v10, 1, v18
	v_lshl_add_u64 v[24:25], v[12:13], 0, v[10:11]
	global_load_dwordx4 v[14:17], v[24:25], off
	global_load_dwordx4 v[10:13], v[24:25], off offset:128
.LBB287_28:
	s_or_b64 exec, exec, s[2:3]
	v_lshrrev_b32_e32 v24, 3, v18
	v_lshlrev_b32_e32 v25, 3, v23
	v_or_b32_e32 v24, v25, v24
	v_lshlrev_b32_e32 v24, 4, v24
	v_and_b32_e32 v25, 0x78, v25
	v_xor_b32_e32 v24, v24, v25
	s_branch .LBB287_31
.LBB287_29:
                                        ; implicit-def: $vgpr24
                                        ; implicit-def: $vgpr21
                                        ; implicit-def: $vgpr6_vgpr7_vgpr8_vgpr9
                                        ; implicit-def: $vgpr2_vgpr3_vgpr4_vgpr5
                                        ; implicit-def: $vgpr14_vgpr15_vgpr16_vgpr17
                                        ; implicit-def: $vgpr10_vgpr11_vgpr12_vgpr13
	s_cbranch_execz .LBB287_31
; %bb.30:
	s_waitcnt vmcnt(0)
	v_lshlrev_b32_e32 v2, 1, v18
	v_lshl_or_b32 v21, v23, 8, v2
	s_and_b32 s1, s1, 0xffff
	s_mov_b32 s3, 0x20000
	s_movk_i32 s2, 0x4000
	v_lshl_or_b32 v24, v20, 8, v2
	s_movk_i32 s12, 0x80
	buffer_load_dwordx4 v[6:9], v21, s[0:3], 0 offen
	buffer_load_dwordx4 v[2:5], v21, s[0:3], s12 offen
	;; [unrolled: 1-line block ×4, first 2 shown]
	v_lshrrev_b32_e32 v21, 3, v18
	v_lshlrev_b32_e32 v24, 3, v23
	v_or_b32_e32 v21, v24, v21
	v_lshlrev_b32_e32 v21, 4, v21
	v_and_b32_e32 v24, 0x78, v24
	v_xor_b32_e32 v24, v21, v24
	v_lshlrev_b32_e32 v21, 7, v20
.LBB287_31:
	s_lshl_b64 s[0:1], s[40:41], 8
	s_add_u32 s4, s4, s0
	s_movk_i32 s0, 0x1000
	v_and_or_b32 v20, v21, s0, v24
	s_waitcnt vmcnt(1)
	ds_write_b64 v24, v[6:7] offset:24576
	v_xor_b32_e32 v6, 8, v24
	ds_write_b64 v6, v[8:9] offset:24576
	s_waitcnt vmcnt(0)
	ds_write_b64 v24, v[2:3] offset:32768
	ds_write_b64 v6, v[4:5] offset:32768
	;; [unrolled: 1-line block ×3, first 2 shown]
	v_xor_b32_e32 v2, 8, v20
	ds_write_b64 v2, v[16:17] offset:24576
	ds_write_b64 v20, v[10:11] offset:32768
	;; [unrolled: 1-line block ×3, first 2 shown]
	v_or_b32_e32 v2, v1, v45
	v_lshlrev_b32_e32 v3, 11, v63
	v_lshlrev_b32_e32 v2, 3, v2
	v_and_b32_e32 v6, 0x1000, v3
	v_lshrrev_b32_e32 v3, 5, v62
	s_movk_i32 s13, 0xf8
	v_and_or_b32 v3, v2, s13, v3
	v_lshlrev_b32_e32 v7, 4, v3
	v_and_b32_e32 v8, 0x78, v2
	v_or_b32_e32 v10, 32, v7
	v_lshrrev_b32_e32 v3, 1, v62
	v_xor_b32_e32 v10, v10, v8
	v_xor_b32_e32 v2, v7, v8
	v_and_b32_e32 v9, 8, v3
	v_or_b32_e32 v10, v10, v6
	v_or_b32_e32 v2, v2, v6
	v_xor_b32_e32 v26, v10, v9
	v_or_b32_e32 v10, 64, v7
	v_xor_b32_e32 v25, v2, v9
	v_xor_b32_e32 v10, v10, v8
	s_waitcnt lgkmcnt(0)
	s_barrier
	v_or_b32_e32 v12, v10, v6
	ds_read_b64 v[10:11], v25 offset:24576
	v_lshl_or_b32 v20, v64, 7, v22
	v_lshlrev_b32_e32 v24, 1, v20
	v_add_u32_e32 v2, 0xa000, v24
	ds_read2_b64 v[2:5], v2 offset1:16
	v_or_b32_e32 v7, 0x60, v7
	v_xor_b32_e32 v7, v7, v8
	s_waitcnt lgkmcnt(0)
	v_mfma_f32_16x16x16_bf16 a[0:3], v[10:11], v[2:3], 0
	v_or_b32_e32 v2, 64, v20
	v_or_b32_e32 v6, v7, v6
	v_lshlrev_b32_e32 v29, 1, v2
	v_xor_b32_e32 v27, v12, v9
	v_xor_b32_e32 v28, v6, v9
	ds_read_b64 v[12:13], v26 offset:24576
	ds_read_b64 v[14:15], v27 offset:24576
	;; [unrolled: 1-line block ×3, first 2 shown]
	v_mfma_f32_16x16x16_bf16 a[4:7], v[10:11], v[4:5], 0
	ds_read2st64_b64 v[2:5], v29 offset0:82 offset1:84
	ds_read2st64_b64 v[6:9], v24 offset0:82 offset1:84
	s_addc_u32 s5, s5, s1
	s_add_i32 s2, s16, -1
	s_add_i32 s0, s46, s21
	s_mul_i32 s39, s39, s20
	s_add_i32 s39, s0, s39
	s_mul_i32 s0, s33, s23
	s_mul_hi_u32 s1, s33, s22
	s_ashr_i32 s3, s2, 31
	s_mul_i32 s12, s2, s35
	s_mul_hi_u32 s13, s2, s34
	s_add_i32 s0, s1, s0
	s_mul_i32 s1, s18, s22
	s_add_i32 s12, s13, s12
	s_mul_i32 s3, s3, s34
	s_waitcnt lgkmcnt(1)
	v_mfma_f32_16x16x16_bf16 a[4:7], v[12:13], v[2:3], a[4:7]
	s_add_i32 s1, s0, s1
	s_add_i32 s3, s12, s3
	s_lshl_b64 s[12:13], s[38:39], 2
	s_waitcnt lgkmcnt(0)
	v_mfma_f32_16x16x16_bf16 a[0:3], v[12:13], v[6:7], a[0:3]
	s_mul_i32 s0, s33, s22
	s_add_u32 s10, s10, s12
	s_addc_u32 s11, s11, s13
	s_lshl_b64 s[0:1], s[0:1], 2
	s_mul_i32 s2, s2, s34
	s_add_u32 s10, s10, s0
	ds_read_b64 v[2:3], v24 offset:44032
	v_mfma_f32_16x16x16_bf16 a[4:7], v[14:15], v[4:5], a[4:7]
	ds_read_b64 v[4:5], v29 offset:44032
	s_addc_u32 s11, s11, s1
	s_lshl_b64 s[0:1], s[2:3], 2
	v_mfma_f32_16x16x16_bf16 a[0:3], v[14:15], v[8:9], a[0:3]
	s_add_u32 s0, s10, s0
	s_addc_u32 s1, s11, s1
	s_load_dword s12, s[0:1], 0x0
	s_waitcnt lgkmcnt(0)
	v_mfma_f32_16x16x16_bf16 a[0:3], v[16:17], v[2:3], a[0:3]
	s_and_b64 vcc, exec, s[30:31]
	v_mfma_f32_16x16x16_bf16 a[4:7], v[16:17], v[4:5], a[4:7]
	s_cbranch_vccz .LBB287_42
; %bb.32:
	v_lshlrev_b32_e32 v20, 1, v23
	s_and_b64 vcc, exec, s[6:7]
	s_cbranch_vccz .LBB287_43
; %bb.33:
	v_cmp_gt_i32_e32 vcc, s43, v20
	v_mov_b32_e32 v6, 0
	v_mov_b32_e32 v2, 0
	v_mov_b32_e32 v3, 0
	v_mov_b32_e32 v4, 0
	v_mov_b32_e32 v5, 0
	s_and_saveexec_b64 s[0:1], vcc
	s_cbranch_execz .LBB287_35
; %bb.34:
	v_mad_i64_i32 v[2:3], s[2:3], s19, v20, 0
	v_lshl_add_u64 v[2:3], v[2:3], 1, s[4:5]
	v_lshlrev_b32_e32 v4, 1, v18
	v_mov_b32_e32 v5, 0
	v_lshl_add_u64 v[2:3], v[2:3], 0, v[4:5]
	global_load_dwordx4 v[2:5], v[2:3], off
.LBB287_35:
	s_or_b64 exec, exec, s[0:1]
	v_or_b32_e32 v21, 1, v20
	v_cmp_gt_i32_e64 s[0:1], s43, v21
	v_mov_b32_e32 v7, 0
	v_mov_b32_e32 v8, 0
	;; [unrolled: 1-line block ×3, first 2 shown]
	s_and_saveexec_b64 s[2:3], s[0:1]
	s_cbranch_execz .LBB287_37
; %bb.36:
	v_mad_i64_i32 v[6:7], s[16:17], s19, v21, 0
	v_lshl_add_u64 v[6:7], v[6:7], 1, s[4:5]
	v_lshlrev_b32_e32 v8, 1, v18
	v_mov_b32_e32 v9, 0
	v_lshl_add_u64 v[6:7], v[6:7], 0, v[8:9]
	global_load_dwordx4 v[6:9], v[6:7], off
.LBB287_37:
	s_or_b64 exec, exec, s[2:3]
	v_mov_b32_e32 v17, 0
	v_mov_b32_e32 v10, 0
	v_mov_b32_e32 v11, 0
	v_mov_b32_e32 v12, 0
	v_mov_b32_e32 v13, 0
	s_and_saveexec_b64 s[2:3], vcc
	s_cbranch_execz .LBB287_39
; %bb.38:
	v_mad_i64_i32 v[10:11], s[16:17], s19, v20, 0
	v_lshl_add_u64 v[10:11], v[10:11], 1, s[4:5]
	v_lshlrev_b32_e32 v12, 1, v18
	v_mov_b32_e32 v13, 0
	v_lshl_add_u64 v[10:11], v[10:11], 0, v[12:13]
	global_load_dwordx4 v[10:13], v[10:11], off offset:128
.LBB287_39:
	s_or_b64 exec, exec, s[2:3]
	v_mov_b32_e32 v16, 0
	v_mov_b32_e32 v15, 0
	;; [unrolled: 1-line block ×3, first 2 shown]
	s_and_saveexec_b64 s[2:3], s[0:1]
	s_cbranch_execz .LBB287_41
; %bb.40:
	v_mad_i64_i32 v[14:15], s[0:1], s19, v21, 0
	v_lshl_add_u64 v[14:15], v[14:15], 1, s[4:5]
	v_lshlrev_b32_e32 v16, 1, v18
	v_mov_b32_e32 v17, 0
	v_lshl_add_u64 v[14:15], v[14:15], 0, v[16:17]
	global_load_dwordx4 v[14:17], v[14:15], off offset:128
.LBB287_41:
	s_or_b64 exec, exec, s[2:3]
	s_branch .LBB287_45
.LBB287_42:
                                        ; implicit-def: $vgpr5
                                        ; implicit-def: $vgpr9
                                        ; implicit-def: $vgpr13
                                        ; implicit-def: $vgpr17
	v_lshrrev_b32_e32 v30, 2, v62
	s_branch .LBB287_46
.LBB287_43:
                                        ; implicit-def: $vgpr5
                                        ; implicit-def: $vgpr9
                                        ; implicit-def: $vgpr13
                                        ; implicit-def: $vgpr17
	s_cbranch_execz .LBB287_45
; %bb.44:
	s_waitcnt vmcnt(0)
	v_mad_u64_u32 v[2:3], s[0:1], v20, s19, v[18:19]
	v_lshlrev_b32_e32 v20, 1, v2
	s_lshl_b32 s2, s19, 7
	s_and_b32 s1, s5, 0xffff
	s_mov_b32 s3, 0x20000
	s_mov_b32 s0, s4
	v_add_lshl_u32 v21, v2, s19, 1
	s_movk_i32 s13, 0x80
	buffer_load_dwordx4 v[2:5], v20, s[0:3], 0 offen
	buffer_load_dwordx4 v[10:13], v20, s[0:3], s13 offen
	;; [unrolled: 1-line block ×4, first 2 shown]
.LBB287_45:
	v_lshrrev_b32_e32 v30, 2, v62
	s_cbranch_execnz .LBB287_58
.LBB287_46:
	s_and_b64 vcc, exec, s[6:7]
	s_cbranch_vccz .LBB287_56
; %bb.47:
	s_waitcnt vmcnt(0)
	v_lshlrev_b32_e32 v7, 1, v23
	v_cmp_gt_i32_e32 vcc, s43, v7
	v_mov_b32_e32 v6, 0
	v_lshlrev_b32_e32 v14, 9, v23
	v_mov_b32_e32 v2, 0
	v_mov_b32_e32 v3, 0
	;; [unrolled: 1-line block ×4, first 2 shown]
	s_and_saveexec_b64 s[0:1], vcc
	s_cbranch_execz .LBB287_49
; %bb.48:
	v_mov_b32_e32 v15, 0
	v_lshl_add_u64 v[2:3], s[4:5], 0, v[14:15]
	v_lshlrev_b32_e32 v4, 1, v18
	v_mov_b32_e32 v5, v15
	v_lshl_add_u64 v[2:3], v[2:3], 0, v[4:5]
	global_load_dwordx4 v[2:5], v[2:3], off
.LBB287_49:
	s_or_b64 exec, exec, s[0:1]
	v_or_b32_e32 v7, 1, v7
	v_cmp_gt_i32_e64 s[0:1], s43, v7
	v_lshlrev_b32_e32 v20, 8, v7
	v_mov_b32_e32 v7, 0
	v_mov_b32_e32 v8, 0
	;; [unrolled: 1-line block ×3, first 2 shown]
	s_and_saveexec_b64 s[2:3], s[0:1]
	s_cbranch_execz .LBB287_51
; %bb.50:
	v_mov_b32_e32 v21, 0
	v_lshl_add_u64 v[6:7], s[4:5], 0, v[20:21]
	v_lshlrev_b32_e32 v8, 1, v18
	v_mov_b32_e32 v9, v21
	v_lshl_add_u64 v[6:7], v[6:7], 0, v[8:9]
	global_load_dwordx4 v[6:9], v[6:7], off
.LBB287_51:
	s_or_b64 exec, exec, s[2:3]
	v_mov_b32_e32 v17, 0
	v_mov_b32_e32 v10, 0
	;; [unrolled: 1-line block ×5, first 2 shown]
	s_and_saveexec_b64 s[2:3], vcc
	s_cbranch_execz .LBB287_53
; %bb.52:
	v_mov_b32_e32 v15, 0
	v_lshl_add_u64 v[10:11], s[4:5], 0, v[14:15]
	v_lshlrev_b32_e32 v14, 1, v18
	v_lshl_add_u64 v[10:11], v[10:11], 0, v[14:15]
	global_load_dwordx4 v[10:13], v[10:11], off offset:128
.LBB287_53:
	s_or_b64 exec, exec, s[2:3]
	v_mov_b32_e32 v16, 0
	v_mov_b32_e32 v15, 0
	;; [unrolled: 1-line block ×3, first 2 shown]
	s_and_saveexec_b64 s[2:3], s[0:1]
	s_cbranch_execz .LBB287_55
; %bb.54:
	v_mov_b32_e32 v21, 0
	v_lshl_add_u64 v[14:15], s[4:5], 0, v[20:21]
	v_lshlrev_b32_e32 v20, 1, v18
	v_lshl_add_u64 v[14:15], v[14:15], 0, v[20:21]
	global_load_dwordx4 v[14:17], v[14:15], off offset:128
.LBB287_55:
	s_or_b64 exec, exec, s[2:3]
	s_branch .LBB287_58
.LBB287_56:
                                        ; implicit-def: $vgpr5
                                        ; implicit-def: $vgpr9
                                        ; implicit-def: $vgpr13
                                        ; implicit-def: $vgpr17
	s_cbranch_execz .LBB287_58
; %bb.57:
	s_waitcnt vmcnt(0)
	v_lshlrev_b32_e32 v2, 1, v18
	v_lshl_or_b32 v18, v23, 9, v2
	s_and_b32 s5, s5, 0xffff
	s_mov_b32 s7, 0x20000
	s_movk_i32 s6, 0x4000
	s_movk_i32 s0, 0x80
	buffer_load_dwordx4 v[2:5], v18, s[4:7], 0 offen
	buffer_load_dwordx4 v[6:9], v18, s[4:7], 0 offen offset:256
	buffer_load_dwordx4 v[10:13], v18, s[4:7], s0 offen
	buffer_load_dwordx4 v[14:17], v18, s[4:7], s0 offen offset:256
.LBB287_58:
	ds_read_b64 v[20:21], v25 offset:32768
	v_add_u32_e32 v18, 0xb000, v24
	ds_read2_b64 v[32:35], v18 offset1:16
	ds_read_b64 v[40:41], v26 offset:32768
	ds_read_b64 v[26:27], v27 offset:32768
	;; [unrolled: 1-line block ×3, first 2 shown]
	v_and_b32_e32 v18, 6, v0
	v_xor_b32_e32 v23, v23, v18
	v_lshlrev_b32_e32 v23, 2, v23
	v_and_b32_e32 v0, 1, v0
	v_xor_b32_e32 v28, 0x440, v23
	v_cmp_eq_u32_e32 vcc, 0, v0
	s_waitcnt lgkmcnt(3)
	v_mfma_f32_16x16x16_bf16 a[0:3], v[20:21], v[32:33], a[0:3]
	s_mov_b32 s0, 0x1000504
	v_cndmask_b32_e32 v0, v28, v23, vcc
	v_lshl_or_b32 v0, v18, 10, v0
	v_mfma_f32_16x16x16_bf16 a[4:7], v[20:21], v[34:35], a[4:7]
	ds_read2st64_b64 v[32:35], v24 offset0:90 offset1:92
	ds_read2st64_b64 v[36:39], v29 offset0:90 offset1:92
	ds_read_b64 v[20:21], v24 offset:48128
	ds_read_b64 v[24:25], v29 offset:48128
	s_waitcnt vmcnt(0)
	v_perm_b32 v18, v2, v6, s0
	s_waitcnt lgkmcnt(3)
	v_mfma_f32_16x16x16_bf16 a[0:3], v[40:41], v[32:33], a[0:3]
	s_mov_b32 s1, 0x3020706
	v_perm_b32 v2, v2, v6, s1
	v_perm_b32 v6, v10, v14, s1
	s_waitcnt lgkmcnt(2)
	v_mfma_f32_16x16x16_bf16 a[4:7], v[40:41], v[36:37], a[4:7]
	v_mfma_f32_16x16x16_bf16 a[0:3], v[26:27], v[34:35], a[0:3]
	;; [unrolled: 1-line block ×3, first 2 shown]
	s_waitcnt lgkmcnt(1)
	v_mfma_f32_16x16x16_bf16 a[4:7], v[42:43], v[20:21], a[0:3]
	v_perm_b32 v20, v10, v14, s0
	ds_write2st64_b32 v0, v18, v20 offset0:32 offset1:64
	v_xor_b32_e32 v18, 8, v0
	v_add_u32_e32 v10, 0x80, v18
	ds_write2st64_b32 v10, v2, v6 offset0:32 offset1:64
	v_xor_b32_e32 v2, 16, v0
	v_perm_b32 v6, v3, v7, s0
	v_perm_b32 v10, v11, v15, s0
	ds_write2st64_b32 v2, v6, v10 offset0:33 offset1:65
	v_xor_b32_e32 v2, 24, v0
	v_perm_b32 v3, v3, v7, s1
	v_perm_b32 v6, v11, v15, s1
	v_add_u32_e32 v2, 0x80, v2
	ds_write2st64_b32 v2, v3, v6 offset0:33 offset1:65
	v_xor_b32_e32 v2, 32, v0
	v_perm_b32 v3, v4, v8, s0
	v_perm_b32 v6, v12, v16, s0
	s_waitcnt lgkmcnt(4)
	v_mfma_f32_16x16x16_bf16 a[0:3], v[42:43], v[24:25], a[8:11]
	ds_write2st64_b32 v2, v3, v6 offset0:34 offset1:66
	v_xor_b32_e32 v2, 40, v0
	v_perm_b32 v3, v4, v8, s1
	v_perm_b32 v4, v12, v16, s1
	v_add_u32_e32 v2, 0x80, v2
	ds_write2st64_b32 v2, v3, v4 offset0:34 offset1:66
	v_xor_b32_e32 v2, 48, v0
	v_perm_b32 v3, v5, v9, s0
	v_perm_b32 v4, v13, v17, s0
	v_xor_b32_e32 v0, 56, v0
	v_and_or_b32 v21, v30, 12, v1
	ds_write2st64_b32 v2, v3, v4 offset0:35 offset1:67
	v_perm_b32 v2, v5, v9, s1
	v_perm_b32 v3, v13, v17, s1
	v_add_u32_e32 v0, 0x80, v0
	v_cmp_gt_i32_e32 vcc, s43, v21
	v_mov_b32_e32 v16, 0
	v_mov_b32_e32 v18, 0
	ds_write2st64_b32 v0, v2, v3 offset0:35 offset1:67
	s_and_saveexec_b64 s[0:1], vcc
	s_cbranch_execz .LBB287_60
; %bb.59:
	v_add_u32_e32 v0, s42, v21
	v_ashrrev_i32_e32 v1, 31, v0
	v_mul_lo_u32 v2, v1, s34
	v_mul_lo_u32 v3, v0, s35
	v_mad_u64_u32 v[0:1], s[2:3], v0, s34, 0
	v_add3_u32 v1, v1, v3, v2
	v_lshl_add_u64 v[0:1], v[0:1], 2, s[10:11]
	global_load_dword v0, v[0:1], off
	s_waitcnt vmcnt(0)
	v_sub_f32_e32 v0, s12, v0
	v_exp_f32_e32 v18, v0
.LBB287_60:
	s_or_b64 exec, exec, s[0:1]
	v_or_b32_e32 v10, 1, v21
	v_cmp_gt_i32_e64 s[2:3], s43, v10
	s_and_saveexec_b64 s[0:1], s[2:3]
	s_cbranch_execz .LBB287_62
; %bb.61:
	v_add_u32_e32 v0, s42, v10
	v_ashrrev_i32_e32 v1, 31, v0
	v_mul_lo_u32 v2, v1, s34
	v_mul_lo_u32 v3, v0, s35
	v_mad_u64_u32 v[0:1], s[4:5], v0, s34, 0
	v_add3_u32 v1, v1, v3, v2
	v_lshl_add_u64 v[0:1], v[0:1], 2, s[10:11]
	global_load_dword v0, v[0:1], off
	s_waitcnt vmcnt(0)
	v_sub_f32_e32 v0, s12, v0
	v_exp_f32_e32 v16, v0
.LBB287_62:
	s_or_b64 exec, exec, s[0:1]
	v_or_b32_e32 v12, 2, v21
	v_cmp_gt_i32_e64 s[0:1], s43, v12
	v_mov_b32_e32 v17, 0
	v_mov_b32_e32 v20, 0
	s_and_saveexec_b64 s[4:5], s[0:1]
	s_cbranch_execz .LBB287_64
; %bb.63:
	v_add_u32_e32 v0, s42, v12
	v_ashrrev_i32_e32 v1, 31, v0
	v_mul_lo_u32 v2, v1, s34
	v_mul_lo_u32 v3, v0, s35
	v_mad_u64_u32 v[0:1], s[6:7], v0, s34, 0
	v_add3_u32 v1, v1, v3, v2
	v_lshl_add_u64 v[0:1], v[0:1], 2, s[10:11]
	global_load_dword v0, v[0:1], off
	s_waitcnt vmcnt(0)
	v_sub_f32_e32 v0, s12, v0
	v_exp_f32_e32 v20, v0
.LBB287_64:
	s_or_b64 exec, exec, s[4:5]
	v_or_b32_e32 v14, 3, v21
	v_cmp_gt_i32_e64 s[4:5], s43, v14
	s_and_saveexec_b64 s[6:7], s[4:5]
	s_cbranch_execz .LBB287_66
; %bb.65:
	v_add_u32_e32 v0, s42, v14
	v_ashrrev_i32_e32 v1, 31, v0
	v_mul_lo_u32 v2, v1, s34
	v_mul_lo_u32 v3, v0, s35
	v_mad_u64_u32 v[0:1], s[16:17], v0, s34, 0
	v_add3_u32 v1, v1, v3, v2
	v_lshl_add_u64 v[0:1], v[0:1], 2, s[10:11]
	global_load_dword v0, v[0:1], off
	s_waitcnt vmcnt(0)
	v_sub_f32_e32 v0, s12, v0
	v_exp_f32_e32 v17, v0
.LBB287_66:
	s_or_b64 exec, exec, s[6:7]
	s_add_u32 s6, s8, s28
	v_or_b32_e32 v4, s36, v45
	s_addc_u32 s7, s9, s29
	s_add_u32 s8, s14, s28
	v_ashrrev_i32_e32 v5, 31, v4
	v_accvgpr_read_b32 v0, a4
	s_addc_u32 s9, s15, s29
	v_lshlrev_b64 v[4:5], 1, v[4:5]
	v_accvgpr_read_b32 v1, a5
	v_accvgpr_read_b32 v2, a6
	;; [unrolled: 1-line block ×3, first 2 shown]
	v_lshl_add_u64 v[6:7], s[6:7], 0, v[4:5]
	v_lshl_add_u64 v[4:5], s[8:9], 0, v[4:5]
	v_mov_b32_e32 v11, 0
	v_lshlrev_b32_e32 v8, 8, v21
	v_mov_b32_e32 v9, 0
	s_and_saveexec_b64 s[6:7], vcc
	s_cbranch_execz .LBB287_68
; %bb.67:
	v_mov_b32_e32 v9, 0
	v_lshl_add_u64 v[24:25], v[6:7], 0, v[8:9]
	global_load_ushort v13, v[24:25], off
	v_lshl_add_u64 v[24:25], v[4:5], 0, v[8:9]
	s_waitcnt vmcnt(0)
	v_lshlrev_b32_e32 v9, 16, v13
	v_sub_f32_e32 v0, v9, v0
	global_store_short_d16_hi v[24:25], v0, off
	v_mul_f32_e32 v0, v18, v0
	v_lshrrev_b32_e32 v9, 16, v0
.LBB287_68:
	s_or_b64 exec, exec, s[6:7]
	v_lshlrev_b32_e32 v10, 8, v10
	s_and_saveexec_b64 s[6:7], s[2:3]
	s_cbranch_execz .LBB287_70
; %bb.69:
	v_mov_b32_e32 v11, 0
	v_lshl_add_u64 v[24:25], v[6:7], 0, v[10:11]
	global_load_ushort v0, v[24:25], off
	v_lshl_add_u64 v[24:25], v[4:5], 0, v[10:11]
	s_waitcnt vmcnt(0)
	v_lshlrev_b32_e32 v0, 16, v0
	v_sub_f32_e32 v0, v0, v1
	global_store_short_d16_hi v[24:25], v0, off
	v_mul_f32_e32 v0, v16, v0
	v_lshrrev_b32_e32 v11, 16, v0
.LBB287_70:
	s_or_b64 exec, exec, s[6:7]
	v_mov_b32_e32 v15, 0
	v_lshlrev_b32_e32 v12, 8, v12
	v_mov_b32_e32 v13, 0
	s_and_saveexec_b64 s[6:7], s[0:1]
	s_cbranch_execz .LBB287_72
; %bb.71:
	v_mov_b32_e32 v13, 0
	v_lshl_add_u64 v[0:1], v[6:7], 0, v[12:13]
	global_load_ushort v23, v[0:1], off
	v_lshl_add_u64 v[0:1], v[4:5], 0, v[12:13]
	s_waitcnt vmcnt(0)
	v_lshlrev_b32_e32 v13, 16, v23
	v_sub_f32_e32 v2, v13, v2
	global_store_short_d16_hi v[0:1], v2, off
	v_mul_f32_e32 v0, v20, v2
	v_lshrrev_b32_e32 v13, 16, v0
.LBB287_72:
	s_or_b64 exec, exec, s[6:7]
	v_lshlrev_b32_e32 v14, 8, v14
	s_and_saveexec_b64 s[6:7], s[4:5]
	s_cbranch_execz .LBB287_74
; %bb.73:
	v_mov_b32_e32 v15, 0
	v_lshl_add_u64 v[0:1], v[6:7], 0, v[14:15]
	global_load_ushort v2, v[0:1], off
	v_lshl_add_u64 v[0:1], v[4:5], 0, v[14:15]
	s_waitcnt vmcnt(0)
	v_lshlrev_b32_e32 v2, 16, v2
	v_sub_f32_e32 v2, v2, v3
	global_store_short_d16_hi v[0:1], v2, off
	v_mul_f32_e32 v0, v17, v2
	v_lshrrev_b32_e32 v15, 16, v0
.LBB287_74:
	s_or_b64 exec, exec, s[6:7]
	v_lshlrev_b32_e32 v21, 5, v21
	s_mov_b32 s6, 0x5040100
	v_perm_b32 v24, v11, v9, s6
	v_or_b32_e32 v9, v21, v22
	v_accvgpr_read_b32 v0, a0
	v_perm_b32 v25, v15, v13, s6
	v_lshlrev_b32_e32 v9, 1, v9
	v_accvgpr_read_b32 v1, a1
	v_accvgpr_read_b32 v2, a2
	;; [unrolled: 1-line block ×3, first 2 shown]
	ds_write_b64 v9, v[24:25] offset:45056
	v_mov_b32_e32 v11, 0
	v_mov_b32_e32 v9, 0
	s_and_saveexec_b64 s[6:7], vcc
	s_cbranch_execz .LBB287_76
; %bb.75:
	v_mov_b32_e32 v9, 0
	v_lshl_add_u64 v[22:23], v[6:7], 0, v[8:9]
	global_load_ushort v13, v[22:23], off offset:32
	v_lshl_add_u64 v[8:9], v[4:5], 0, v[8:9]
	s_waitcnt vmcnt(0)
	v_lshlrev_b32_e32 v13, 16, v13
	v_sub_f32_e32 v0, v13, v0
	global_store_short_d16_hi v[8:9], v0, off offset:32
	v_mul_f32_e32 v0, v18, v0
	v_lshrrev_b32_e32 v9, 16, v0
.LBB287_76:
	s_or_b64 exec, exec, s[6:7]
	s_and_saveexec_b64 s[6:7], s[2:3]
	s_cbranch_execz .LBB287_78
; %bb.77:
	v_mov_b32_e32 v11, 0
	v_lshl_add_u64 v[22:23], v[6:7], 0, v[10:11]
	global_load_ushort v0, v[22:23], off offset:32
	v_lshl_add_u64 v[10:11], v[4:5], 0, v[10:11]
	s_waitcnt vmcnt(0)
	v_lshlrev_b32_e32 v0, 16, v0
	v_sub_f32_e32 v0, v0, v1
	global_store_short_d16_hi v[10:11], v0, off offset:32
	v_mul_f32_e32 v0, v16, v0
	v_lshrrev_b32_e32 v11, 16, v0
.LBB287_78:
	s_or_b64 exec, exec, s[6:7]
	v_mov_b32_e32 v0, 0
	v_mov_b32_e32 v1, 0
	s_and_saveexec_b64 s[2:3], s[0:1]
	s_cbranch_execz .LBB287_80
; %bb.79:
	v_mov_b32_e32 v13, 0
	v_lshl_add_u64 v[22:23], v[6:7], 0, v[12:13]
	global_load_ushort v1, v[22:23], off offset:32
	v_lshl_add_u64 v[12:13], v[4:5], 0, v[12:13]
	s_waitcnt vmcnt(0)
	v_lshlrev_b32_e32 v1, 16, v1
	v_sub_f32_e32 v1, v1, v2
	global_store_short_d16_hi v[12:13], v1, off offset:32
	v_mul_f32_e32 v1, v20, v1
	v_lshrrev_b32_e32 v1, 16, v1
.LBB287_80:
	s_or_b64 exec, exec, s[2:3]
	s_and_saveexec_b64 s[0:1], s[4:5]
	s_cbranch_execz .LBB287_82
; %bb.81:
	v_mov_b32_e32 v15, 0
	v_lshl_add_u64 v[6:7], v[6:7], 0, v[14:15]
	global_load_ushort v0, v[6:7], off offset:32
	v_lshl_add_u64 v[4:5], v[4:5], 0, v[14:15]
	s_waitcnt vmcnt(0)
	v_lshlrev_b32_e32 v0, 16, v0
	v_sub_f32_e32 v0, v0, v3
	global_store_short_d16_hi v[4:5], v0, off offset:32
	v_mul_f32_e32 v0, v17, v0
	v_lshrrev_b32_e32 v0, 16, v0
.LBB287_82:
	s_or_b64 exec, exec, s[0:1]
	s_mov_b32 s0, 0x5040100
	v_or_b32_e32 v2, v21, v19
	v_perm_b32 v1, v0, v1, s0
	v_perm_b32 v0, v11, v9, s0
	v_lshlrev_b32_e32 v2, 1, v2
	ds_write_b64 v2, v[0:1] offset:45056
	s_waitcnt lgkmcnt(0)
	s_barrier
.LBB287_83:
	s_endpgm
	.section	.rodata,"a",@progbits
	.p2align	6, 0x0
	.amdhsa_kernel _ZN12_GLOBAL__N_139chunk_gated_delta_rule_fwd_h_hip_kernelILi32ELb0ELb0ELb1ELb0ELb1ELb1ELb0ELb1EEEvPK12hip_bfloat16S3_S3_PKfS5_PKvPS1_S8_PvPKiSB_iiiiilll
		.amdhsa_group_segment_fixed_size 49152
		.amdhsa_private_segment_fixed_size 0
		.amdhsa_kernarg_size 136
		.amdhsa_user_sgpr_count 2
		.amdhsa_user_sgpr_dispatch_ptr 0
		.amdhsa_user_sgpr_queue_ptr 0
		.amdhsa_user_sgpr_kernarg_segment_ptr 1
		.amdhsa_user_sgpr_dispatch_id 0
		.amdhsa_user_sgpr_kernarg_preload_length 0
		.amdhsa_user_sgpr_kernarg_preload_offset 0
		.amdhsa_user_sgpr_private_segment_size 0
		.amdhsa_uses_dynamic_stack 0
		.amdhsa_enable_private_segment 0
		.amdhsa_system_sgpr_workgroup_id_x 1
		.amdhsa_system_sgpr_workgroup_id_y 1
		.amdhsa_system_sgpr_workgroup_id_z 0
		.amdhsa_system_sgpr_workgroup_info 0
		.amdhsa_system_vgpr_workitem_id 0
		.amdhsa_next_free_vgpr 164
		.amdhsa_next_free_sgpr 67
		.amdhsa_accum_offset 144
		.amdhsa_reserve_vcc 1
		.amdhsa_float_round_mode_32 0
		.amdhsa_float_round_mode_16_64 0
		.amdhsa_float_denorm_mode_32 3
		.amdhsa_float_denorm_mode_16_64 3
		.amdhsa_dx10_clamp 1
		.amdhsa_ieee_mode 1
		.amdhsa_fp16_overflow 0
		.amdhsa_tg_split 0
		.amdhsa_exception_fp_ieee_invalid_op 0
		.amdhsa_exception_fp_denorm_src 0
		.amdhsa_exception_fp_ieee_div_zero 0
		.amdhsa_exception_fp_ieee_overflow 0
		.amdhsa_exception_fp_ieee_underflow 0
		.amdhsa_exception_fp_ieee_inexact 0
		.amdhsa_exception_int_div_zero 0
	.end_amdhsa_kernel
	.section	.text._ZN12_GLOBAL__N_139chunk_gated_delta_rule_fwd_h_hip_kernelILi32ELb0ELb0ELb1ELb0ELb1ELb1ELb0ELb1EEEvPK12hip_bfloat16S3_S3_PKfS5_PKvPS1_S8_PvPKiSB_iiiiilll,"axG",@progbits,_ZN12_GLOBAL__N_139chunk_gated_delta_rule_fwd_h_hip_kernelILi32ELb0ELb0ELb1ELb0ELb1ELb1ELb0ELb1EEEvPK12hip_bfloat16S3_S3_PKfS5_PKvPS1_S8_PvPKiSB_iiiiilll,comdat
.Lfunc_end287:
	.size	_ZN12_GLOBAL__N_139chunk_gated_delta_rule_fwd_h_hip_kernelILi32ELb0ELb0ELb1ELb0ELb1ELb1ELb0ELb1EEEvPK12hip_bfloat16S3_S3_PKfS5_PKvPS1_S8_PvPKiSB_iiiiilll, .Lfunc_end287-_ZN12_GLOBAL__N_139chunk_gated_delta_rule_fwd_h_hip_kernelILi32ELb0ELb0ELb1ELb0ELb1ELb1ELb0ELb1EEEvPK12hip_bfloat16S3_S3_PKfS5_PKvPS1_S8_PvPKiSB_iiiiilll
                                        ; -- End function
	.section	.AMDGPU.csdata,"",@progbits
; Kernel info:
; codeLenInByte = 8852
; NumSgprs: 73
; NumVgprs: 142
; NumAgprs: 20
; TotalNumVgprs: 164
; ScratchSize: 0
; MemoryBound: 0
; FloatMode: 240
; IeeeMode: 1
; LDSByteSize: 49152 bytes/workgroup (compile time only)
; SGPRBlocks: 9
; VGPRBlocks: 20
; NumSGPRsForWavesPerEU: 73
; NumVGPRsForWavesPerEU: 164
; AccumOffset: 144
; Occupancy: 1
; WaveLimiterHint : 1
; COMPUTE_PGM_RSRC2:SCRATCH_EN: 0
; COMPUTE_PGM_RSRC2:USER_SGPR: 2
; COMPUTE_PGM_RSRC2:TRAP_HANDLER: 0
; COMPUTE_PGM_RSRC2:TGID_X_EN: 1
; COMPUTE_PGM_RSRC2:TGID_Y_EN: 1
; COMPUTE_PGM_RSRC2:TGID_Z_EN: 0
; COMPUTE_PGM_RSRC2:TIDIG_COMP_CNT: 0
; COMPUTE_PGM_RSRC3_GFX90A:ACCUM_OFFSET: 35
; COMPUTE_PGM_RSRC3_GFX90A:TG_SPLIT: 0
	.section	.text._ZN12_GLOBAL__N_139chunk_gated_delta_rule_fwd_h_hip_kernelILi32ELb0ELb0ELb0ELb0ELb1ELb1ELb0ELb1EEEvPK12hip_bfloat16S3_S3_PKfS5_PKvPS1_S8_PvPKiSB_iiiiilll,"axG",@progbits,_ZN12_GLOBAL__N_139chunk_gated_delta_rule_fwd_h_hip_kernelILi32ELb0ELb0ELb0ELb0ELb1ELb1ELb0ELb1EEEvPK12hip_bfloat16S3_S3_PKfS5_PKvPS1_S8_PvPKiSB_iiiiilll,comdat
	.globl	_ZN12_GLOBAL__N_139chunk_gated_delta_rule_fwd_h_hip_kernelILi32ELb0ELb0ELb0ELb0ELb1ELb1ELb0ELb1EEEvPK12hip_bfloat16S3_S3_PKfS5_PKvPS1_S8_PvPKiSB_iiiiilll ; -- Begin function _ZN12_GLOBAL__N_139chunk_gated_delta_rule_fwd_h_hip_kernelILi32ELb0ELb0ELb0ELb0ELb1ELb1ELb0ELb1EEEvPK12hip_bfloat16S3_S3_PKfS5_PKvPS1_S8_PvPKiSB_iiiiilll
	.p2align	8
	.type	_ZN12_GLOBAL__N_139chunk_gated_delta_rule_fwd_h_hip_kernelILi32ELb0ELb0ELb0ELb0ELb1ELb1ELb0ELb1EEEvPK12hip_bfloat16S3_S3_PKfS5_PKvPS1_S8_PvPKiSB_iiiiilll,@function
_ZN12_GLOBAL__N_139chunk_gated_delta_rule_fwd_h_hip_kernelILi32ELb0ELb0ELb0ELb0ELb1ELb1ELb0ELb1EEEvPK12hip_bfloat16S3_S3_PKfS5_PKvPS1_S8_PvPKiSB_iiiiilll: ; @_ZN12_GLOBAL__N_139chunk_gated_delta_rule_fwd_h_hip_kernelILi32ELb0ELb0ELb0ELb0ELb1ELb1ELb0ELb1EEEvPK12hip_bfloat16S3_S3_PKfS5_PKvPS1_S8_PvPKiSB_iiiiilll
; %bb.0:
	s_load_dwordx4 s[12:15], s[0:1], 0x5c
	s_load_dwordx2 s[36:37], s[0:1], 0x30
	s_abs_i32 s18, s3
	s_ashr_i32 s17, s3, 31
	s_load_dwordx8 s[4:11], s[0:1], 0x0
	s_waitcnt lgkmcnt(0)
	s_abs_i32 s16, s13
	v_cvt_f32_u32_e32 v1, s16
	s_sub_i32 s20, 0, s16
	s_ashr_i32 s19, s13, 31
	s_xor_b32 s17, s17, s19
	v_rcp_iflag_f32_e32 v1, v1
	v_lshrrev_b32_e32 v61, 6, v0
	v_bfe_u32 v62, v0, 4, 2
	v_lshlrev_b32_e32 v2, 2, v62
	v_mul_f32_e32 v1, 0x4f7ffffe, v1
	v_cvt_u32_f32_e32 v1, v1
	v_and_b32_e32 v60, 63, v0
	v_mov_b32_e32 v5, 0
	v_and_b32_e32 v45, 15, v0
	v_readfirstlane_b32 s21, v1
	s_mul_i32 s20, s20, s21
	s_mul_hi_u32 s20, s21, s20
	s_add_i32 s21, s21, s20
	s_mul_hi_u32 s20, s18, s21
	s_mul_i32 s21, s20, s16
	s_sub_i32 s18, s18, s21
	s_add_i32 s22, s20, 1
	s_sub_i32 s21, s18, s16
	s_cmp_ge_u32 s18, s16
	s_cselect_b32 s20, s22, s20
	s_cselect_b32 s18, s21, s18
	s_add_i32 s21, s20, 1
	s_cmp_ge_u32 s18, s16
	s_cselect_b32 s18, s21, s20
	s_abs_i32 s20, s14
	v_cvt_f32_u32_e32 v1, s20
	s_xor_b32 s18, s18, s17
	s_ashr_i32 s46, s12, 31
	s_sub_i32 s48, s18, s17
	v_rcp_iflag_f32_e32 v1, v1
	s_lshr_b32 s17, s46, 26
	s_add_i32 s17, s12, s17
	s_ashr_i32 s49, s14, 31
	v_mul_f32_e32 v1, 0x4f7ffffe, v1
	v_cvt_u32_f32_e32 v1, v1
	s_ashr_i32 s47, s17, 6
	s_xor_b32 s17, s19, s49
	s_sub_i32 s18, 0, s20
	v_readfirstlane_b32 s19, v1
	s_mul_i32 s18, s18, s19
	s_mul_hi_u32 s18, s19, s18
	s_add_i32 s19, s19, s18
	s_mul_hi_u32 s18, s16, s19
	s_mul_i32 s19, s18, s20
	s_mul_i32 s45, s48, s13
	s_sub_i32 s16, s16, s19
	s_sub_i32 s33, s3, s45
	s_add_i32 s3, s12, 63
	s_add_i32 s19, s18, 1
	s_sub_i32 s21, s16, s20
	s_cmp_ge_u32 s16, s20
	s_cselect_b32 s18, s19, s18
	s_cselect_b32 s16, s21, s16
	s_add_i32 s19, s18, 1
	s_cmp_ge_u32 s16, s20
	s_cselect_b32 s16, s19, s18
	s_xor_b32 s16, s16, s17
	s_sub_i32 s20, s16, s17
	s_abs_i32 s21, s20
	v_cvt_f32_u32_e32 v1, s21
	s_sub_i32 s23, 0, s21
	s_abs_i32 s22, s33
	s_xor_b32 s20, s33, s20
	v_rcp_iflag_f32_e32 v1, v1
	s_ashr_i32 s20, s20, 31
	s_load_dwordx2 s[28:29], s[0:1], 0x80
	s_load_dwordx4 s[16:19], s[0:1], 0x70
	s_mul_hi_i32 s51, s48, s13
	v_mul_f32_e32 v1, 0x4f7ffffe, v1
	v_cvt_u32_f32_e32 v1, v1
	v_lshrrev_b32_e32 v64, 3, v60
	v_lshlrev_b32_e32 v63, 3, v0
	s_waitcnt lgkmcnt(0)
	s_mul_i32 s17, s48, s17
	v_readfirstlane_b32 s24, v1
	s_mul_i32 s23, s23, s24
	s_mul_hi_u32 s23, s24, s23
	s_add_i32 s24, s24, s23
	s_mul_hi_u32 s23, s22, s24
	s_mul_i32 s24, s23, s21
	s_sub_i32 s22, s22, s24
	s_add_i32 s24, s23, 1
	s_sub_i32 s25, s22, s21
	s_cmp_ge_u32 s22, s21
	s_cselect_b32 s23, s24, s23
	s_cselect_b32 s22, s25, s22
	s_add_i32 s24, s23, 1
	s_cmp_ge_u32 s22, s21
	s_cselect_b32 s21, s24, s23
	s_xor_b32 s21, s21, s20
	s_sub_i32 s52, s21, s20
	s_ashr_i32 s20, s3, 31
	s_lshr_b32 s20, s20, 26
	v_lshlrev_b32_e32 v1, 4, v61
	s_add_i32 s3, s3, s20
	v_or_b32_e32 v65, v2, v1
	s_ashr_i32 s3, s3, 6
	s_lshl_b32 s30, s2, 5
	s_mul_i32 s50, s48, s3
	v_or_b32_e32 v66, 64, v65
	s_cmp_lt_i32 s12, 64
	s_mul_hi_u32 s44, s48, s16
	s_mul_i32 s34, s48, s16
	v_mov_b32_e32 v83, 0
	v_mov_b32_e32 v81, 0
	;; [unrolled: 1-line block ×15, first 2 shown]
	s_cbranch_scc1 .LBB288_18
; %bb.1:
	s_ashr_i32 s24, s48, 31
	s_ashr_i32 s54, s33, 31
	s_add_u32 s2, s45, s33
	s_addc_u32 s3, s51, s54
	s_mul_i32 s3, s12, s3
	s_mul_hi_u32 s20, s12, s2
	s_add_i32 s39, s20, s3
	s_mul_i32 s38, s12, s2
	s_lshl_b64 s[2:3], s[38:39], 8
	v_and_b32_e32 v68, 56, v63
	s_add_u32 s20, s6, s2
	v_lshl_or_b32 v67, v61, 3, v64
	v_lshlrev_b32_e32 v3, 1, v68
	s_addc_u32 s2, s7, s3
	v_lshl_or_b32 v69, v67, 8, v3
	s_and_b32 s21, s2, 0xffff
	s_mov_b32 s23, 0x20000
	s_movk_i32 s22, 0x4000
	s_movk_i32 s2, 0x80
	v_or_b32_e32 v70, 0x2000, v69
	buffer_load_dwordx4 v[4:7], v69, s[20:23], 0 offen
	buffer_load_dwordx4 v[8:11], v69, s[20:23], s2 offen
	;; [unrolled: 1-line block ×4, first 2 shown]
	v_lshlrev_b32_e32 v20, 3, v67
	v_and_or_b32 v22, v0, 7, v20
	v_and_b32_e32 v20, 0x78, v20
	v_lshlrev_b32_e32 v22, 4, v22
	v_xor_b32_e32 v71, v22, v20
	v_mul_lo_u32 v21, v67, s15
	v_or_b32_e32 v72, 0x1000, v71
	s_cmpk_eq_i32 s15, 0x80
	s_mov_b32 s53, s14
	v_xor_b32_e32 v20, 8, v71
	v_xor_b32_e32 v22, 8, v72
	s_cselect_b64 s[2:3], -1, 0
	s_cmpk_lg_i32 s15, 0x80
	s_waitcnt vmcnt(3)
	ds_write_b64 v71, v[4:5] offset:24576
	ds_write_b64 v20, v[6:7] offset:24576
	s_waitcnt vmcnt(2)
	ds_write_b64 v71, v[8:9] offset:32768
	ds_write_b64 v20, v[10:11] offset:32768
	;; [unrolled: 3-line block ×4, first 2 shown]
	v_lshl_add_u32 v4, v21, 1, v68
	s_cbranch_scc0 .LBB288_3
; %bb.2:
	v_lshlrev_b32_e32 v6, 1, v4
	v_add_lshl_u32 v5, v4, s15, 1
	s_lshl_b32 s22, s15, 7
	s_load_dwordx2 s[40:41], s[0:1], 0x20
	v_lshl_or_b32 v3, v67, 9, v3
	s_cbranch_execz .LBB288_4
	s_branch .LBB288_5
.LBB288_3:
                                        ; implicit-def: $vgpr5
                                        ; implicit-def: $vgpr6
                                        ; implicit-def: $sgpr22
	s_load_dwordx2 s[40:41], s[0:1], 0x20
	v_lshl_or_b32 v3, v67, 9, v3
.LBB288_4:
	v_or_b32_e32 v5, 0x100, v3
	s_movk_i32 s22, 0x4000
	v_mov_b32_e32 v6, v3
.LBB288_5:
	s_mul_hi_u32 s0, s14, s12
	s_mul_i32 s1, s49, s12
	s_add_i32 s0, s0, s1
	s_mul_i32 s1, s14, s12
	s_mul_i32 s20, s1, s24
	s_mul_hi_u32 s21, s1, s48
	s_add_i32 s20, s21, s20
	s_mul_i32 s0, s0, s48
	s_add_i32 s20, s20, s0
	s_mul_i32 s1, s1, s48
	s_ashr_i32 s55, s52, 31
	s_add_u32 s0, s1, s52
	s_addc_u32 s1, s20, s55
	s_lshl_b64 s[0:1], s[0:1], 8
	s_add_u32 s20, s4, s0
	s_addc_u32 s0, s5, s1
	s_and_b32 s21, s0, 0xffff
	s_movk_i32 s56, 0x80
	buffer_load_dwordx4 v[8:11], v6, s[20:23], 0 offen
	buffer_load_dwordx4 v[12:15], v6, s[20:23], s56 offen
	;; [unrolled: 1-line block ×4, first 2 shown]
	v_and_b32_e32 v5, 6, v0
	v_lshlrev_b32_e32 v24, 6, v65
	v_or_b32_e32 v26, 16, v45
	v_xor_b32_e32 v27, v67, v5
	v_and_b32_e32 v6, 1, v0
	s_mul_i32 s0, s24, s12
	s_mul_hi_u32 s1, s48, s12
	v_lshl_or_b32 v30, v45, 3, v24
	v_lshl_or_b32 v24, v26, 3, v24
	v_lshlrev_b32_e32 v27, 2, v27
	v_lshlrev_b32_e32 v7, 2, v45
	v_or_b32_e32 v75, 0xa000, v24
	v_or_b32_e32 v76, 0xb000, v24
	v_xor_b32_e32 v24, 0x440, v27
	v_cmp_eq_u32_e32 vcc, 0, v6
	s_add_i32 s61, s1, s0
	s_add_i32 s0, s44, s17
	s_mul_i32 s24, s24, s16
	v_xor_b32_e32 v28, v65, v7
	v_xor_b32_e32 v29, v66, v7
	v_cndmask_b32_e32 v6, v24, v27, vcc
	s_add_i32 s35, s0, s24
	s_mul_i32 s0, s33, s19
	s_mul_hi_u32 s1, s33, s18
	s_mov_b32 s59, 0x1000504
	v_lshlrev_b32_e32 v25, 8, v45
	v_lshlrev_b32_e32 v28, 1, v28
	;; [unrolled: 1-line block ×3, first 2 shown]
	v_lshl_or_b32 v5, v5, 10, v6
	s_add_i32 s0, s1, s0
	s_mul_i32 s1, s54, s18
	s_mov_b32 s60, 0x3020706
	v_or_b32_e32 v73, 0xa000, v30
	v_or_b32_e32 v74, 0xb000, v30
	;; [unrolled: 1-line block ×4, first 2 shown]
	v_xor_b32_e32 v6, 8, v5
	v_xor_b32_e32 v25, 24, v5
	;; [unrolled: 1-line block ×4, first 2 shown]
	s_add_i32 s1, s0, s1
	s_lshl_b64 s[20:21], s[34:35], 2
	v_xor_b32_e32 v24, 16, v5
	v_xor_b32_e32 v27, 32, v5
	;; [unrolled: 1-line block ×3, first 2 shown]
	v_add_u32_e32 v6, 0x80, v6
	v_add_u32_e32 v25, 0x80, v25
	;; [unrolled: 1-line block ×4, first 2 shown]
	s_mul_i32 s0, s33, s18
	s_add_u32 s20, s10, s20
	s_addc_u32 s21, s11, s21
	s_lshl_b64 s[0:1], s[0:1], 2
	s_add_u32 s42, s20, s0
	s_movk_i32 s0, 0xf8
	s_addc_u32 s43, s21, s1
	s_ashr_i32 s31, s30, 31
	s_lshl_b32 s26, s15, 7
	s_movk_i32 s20, 0x100
	v_mov_b32_e32 v55, 0
	v_lshlrev_b32_e32 v54, 4, v45
	v_cmp_gt_u32_e32 vcc, s20, v0
	s_mul_i32 s57, s48, s12
	s_mov_b32 s58, 0
	s_movk_i32 s35, 0x1000
	s_movk_i32 s22, 0x4000
	v_add_u32_e32 v100, v1, v2
	s_mov_b32 s62, 0x7060302
	s_mov_b32 s64, 0
	v_mov_b32_e32 v50, v55
	v_mov_b32_e32 v51, v55
	v_mov_b32_e32 v52, v55
	v_mov_b32_e32 v53, v55
	v_mov_b32_e32 v46, v55
	v_mov_b32_e32 v47, v55
	v_mov_b32_e32 v48, v55
	v_mov_b32_e32 v49, v55
	v_mov_b32_e32 v85, v55
	s_waitcnt vmcnt(1)
	v_perm_b32 v33, v8, v16, s59
	s_waitcnt vmcnt(0)
	v_perm_b32 v34, v12, v20, s59
	v_perm_b32 v8, v8, v16, s60
	;; [unrolled: 1-line block ×15, first 2 shown]
	ds_write2st64_b32 v5, v33, v34 offset0:32 offset1:64
	ds_write2st64_b32 v6, v8, v12 offset0:32 offset1:64
	;; [unrolled: 1-line block ×8, first 2 shown]
	v_lshlrev_b32_e32 v5, 8, v26
	v_or_b32_e32 v79, v5, v28
	v_or_b32_e32 v80, v5, v29
	;; [unrolled: 1-line block ×3, first 2 shown]
	v_lshlrev_b32_e32 v5, 3, v5
	v_lshrrev_b32_e32 v8, 5, v60
	v_and_or_b32 v8, v5, s0, v8
	v_lshrrev_b32_e32 v6, 2, v60
	v_lshlrev_b32_e32 v11, 11, v61
	v_lshlrev_b32_e32 v8, 4, v8
	v_and_b32_e32 v5, 0x78, v5
	v_and_b32_e32 v9, 12, v6
	;; [unrolled: 1-line block ×3, first 2 shown]
	v_xor_b32_e32 v10, v8, v5
	v_lshrrev_b32_e32 v12, 1, v60
	v_or_b32_e32 v10, v10, v6
	v_and_b32_e32 v12, 8, v12
	v_xor_b32_e32 v87, v10, v12
	v_or_b32_e32 v10, 32, v8
	v_xor_b32_e32 v10, v10, v5
	v_or_b32_e32 v10, v10, v6
	;; [unrolled: 2-line block ×3, first 2 shown]
	v_or_b32_e32 v8, 0x60, v8
	v_xor_b32_e32 v10, v10, v5
	v_xor_b32_e32 v5, v8, v5
	s_lshl_b64 s[0:1], s[30:31], 8
	v_or_b32_e32 v10, v10, v6
	v_or_b32_e32 v5, v5, v6
	v_lshlrev_b32_e32 v14, 1, v4
	v_add_lshl_u32 v15, v4, s15, 1
	s_add_u32 s0, s36, s0
	v_lshlrev_b32_e32 v4, 1, v45
	v_xor_b32_e32 v91, v10, v12
	v_xor_b32_e32 v92, v5, v12
	v_lshrrev_b32_e32 v10, 4, v0
	s_addc_u32 s1, s37, s1
	v_or_b32_e32 v5, 1, v4
	v_mov_b32_e32 v20, 0x4000
	v_mov_b32_e32 v21, 0x2000
	v_lshrrev_b32_e32 v22, 1, v0
	v_xor_b32_e32 v12, v10, v4
	v_xor_b32_e32 v17, v5, v10
	v_lshl_add_u64 v[4:5], s[0:1], 0, v[54:55]
	v_lshlrev_b32_e32 v54, 8, v10
	v_cndmask_b32_e32 v20, v20, v21, vcc
	v_lshlrev_b32_e32 v21, 3, v61
	v_and_b32_e32 v22, 24, v22
	v_lshl_or_b32 v95, v12, 3, v54
	v_and_b32_e32 v12, 8, v0
	v_xor_b32_e32 v23, v21, v22
	v_or_b32_e32 v24, 0x440, v23
	v_cmp_eq_u32_e32 vcc, 0, v12
	v_and_b32_e32 v10, 7, v0
	v_lshlrev_b32_e32 v13, 7, v62
	v_cndmask_b32_e32 v12, v24, v23, vcc
	v_lshl_or_b32 v96, v17, 3, v54
	v_lshlrev_b32_e32 v17, 3, v10
	v_lshlrev_b32_e32 v19, 2, v0
	v_or_b32_e32 v12, v12, v11
	v_or_b32_e32 v7, v13, v7
	v_xor_b32_e32 v23, v12, v17
	v_and_or_b32 v12, v19, 60, v13
	v_mov_b32_e32 v13, 0xb000
	v_lshl_or_b32 v97, v12, 1, v13
	v_or_b32_e32 v12, 32, v22
	v_xor_b32_e32 v12, v21, v12
	v_or_b32_e32 v13, 0x440, v12
	v_cndmask_b32_e32 v12, v13, v12, vcc
	v_or_b32_e32 v12, v12, v11
	v_xor_b32_e32 v13, v12, v17
	v_or_b32_e32 v12, 64, v22
	v_xor_b32_e32 v12, v21, v12
	v_xor_b32_e32 v25, 0x440, v12
	v_cndmask_b32_e32 v12, v25, v12, vcc
	v_or_b32_e32 v12, v12, v11
	v_xor_b32_e32 v25, v12, v17
	v_or_b32_e32 v12, 0x60, v22
	v_xor_b32_e32 v12, v21, v12
	v_xor_b32_e32 v21, 0x440, v12
	v_cndmask_b32_e32 v12, v21, v12, vcc
	v_or_b32_e32 v11, v12, v11
	v_lshlrev_b32_e32 v7, 1, v7
	v_or_b32_e32 v6, s30, v45
	v_xor_b32_e32 v11, v11, v17
	v_or_b32_e32 v88, 0xa000, v7
	v_or_b32_e32 v90, 0xa080, v7
	;; [unrolled: 1-line block ×4, first 2 shown]
	v_lshlrev_b32_e32 v8, 7, v65
	v_ashrrev_i32_e32 v7, 31, v6
	v_or_b32_e32 v16, 0x100, v3
	v_lshlrev_b32_e32 v18, 7, v10
	v_or_b32_e32 v10, v9, v1
	v_add_u32_e32 v24, v20, v23
	v_add_u32_e32 v19, v20, v13
	;; [unrolled: 1-line block ×4, first 2 shown]
	v_or3_b32 v12, v1, v9, 64
	v_add_u32_e32 v9, 0x4000, v23
	v_add_u32_e32 v13, 0x4000, v13
	;; [unrolled: 1-line block ×4, first 2 shown]
	v_cndmask_b32_e64 v98, v14, v3, s[2:3]
	v_cndmask_b32_e64 v99, v15, v16, s[2:3]
	v_lshl_add_u64 v[56:57], v[6:7], 1, s[8:9]
	v_lshl_add_u64 v[58:59], v[4:5], 0, v[54:55]
	s_add_i32 s31, s57, 63
	v_lshlrev_b32_e32 v54, 1, v8
	v_lshlrev_b32_e32 v101, 2, v10
	v_add_u32_e32 v102, v24, v18
	v_add_u32_e32 v103, v19, v18
	v_add_u32_e32 v104, v26, v18
	v_add_u32_e32 v105, v17, v18
	v_lshlrev_b32_e32 v106, 2, v12
	v_add_u32_e32 v107, v9, v18
	v_add_u32_e32 v108, v13, v18
	;; [unrolled: 1-line block ×4, first 2 shown]
	v_mov_b32_e32 v84, v55
	v_mov_b32_e32 v86, v55
	;; [unrolled: 1-line block ×7, first 2 shown]
	s_waitcnt lgkmcnt(0)
	s_barrier
.LBB288_6:                              ; =>This Inner Loop Header: Depth=1
	s_add_i32 s63, s64, 1
	s_cmp_lt_i32 s63, s47
	s_mov_b64 s[24:25], 0
	s_cselect_b64 s[2:3], -1, 0
	s_cmp_ge_i32 s63, s47
	s_mov_b64 s[20:21], 0
	s_cbranch_scc1 .LBB288_8
; %bb.7:                                ;   in Loop: Header=BB288_6 Depth=1
	s_add_i32 s0, s58, 64
	s_add_u32 s0, s38, s0
	s_addc_u32 s1, s39, 0
	s_lshl_b64 s[0:1], s[0:1], 8
	s_add_u32 s20, s6, s0
	s_addc_u32 s21, s7, s1
.LBB288_8:                              ;   in Loop: Header=BB288_6 Depth=1
	v_cndmask_b32_e64 v2, 0, 1, s[2:3]
	v_cmp_ne_u32_e64 s[0:1], 1, v2
	s_andn2_b64 vcc, exec, s[2:3]
	s_cbranch_vccnz .LBB288_10
; %bb.9:                                ;   in Loop: Header=BB288_6 Depth=1
	s_add_i32 s2, s58, 64
	s_add_u32 s2, s57, s2
	s_addc_u32 s3, s61, 0
	s_mul_i32 s24, s2, s49
	s_mul_hi_u32 s25, s2, s53
	s_add_i32 s24, s25, s24
	s_mul_i32 s3, s3, s53
	s_add_i32 s24, s24, s3
	s_mul_i32 s2, s2, s53
	s_add_u32 s2, s2, s52
	s_addc_u32 s3, s24, s55
	s_lshl_b64 s[2:3], s[2:3], 8
	s_add_u32 s24, s4, s2
	s_addc_u32 s25, s5, s3
.LBB288_10:                             ;   in Loop: Header=BB288_6 Depth=1
	v_perm_b32 v3, v53, v52, s62
	v_perm_b32 v2, v51, v50, s62
	;; [unrolled: 1-line block ×4, first 2 shown]
	ds_write_b64 v73, v[2:3]
	ds_write_b64 v74, v[4:5]
	;; [unrolled: 1-line block ×4, first 2 shown]
	v_perm_b32 v3, v112, v86, s62
	v_perm_b32 v2, v84, v85, s62
	v_perm_b32 v5, v111, v83, s62
	v_perm_b32 v4, v81, v82, s62
	ds_write_b64 v75, v[2:3]
	ds_write_b64 v76, v[4:5]
	;; [unrolled: 1-line block ×4, first 2 shown]
	s_waitcnt lgkmcnt(0)
	s_barrier
	ds_read_b64 v[6:7], v87 offset:24576
	ds_read2_b64 v[2:5], v88 offset1:16
	ds_read_b64 v[10:11], v90 offset:3072
	ds_read_b64 v[12:13], v88 offset:3072
	;; [unrolled: 1-line block ×3, first 2 shown]
	s_waitcnt lgkmcnt(3)
	v_mfma_f32_16x16x16_bf16 a[0:3], v[6:7], v[2:3], 0
	s_add_i32 s2, s58, 63
	s_mul_i32 s3, s2, s29
	s_mul_hi_u32 s27, s2, s28
	v_mfma_f32_16x16x16_bf16 a[4:7], v[6:7], v[4:5], 0
	ds_read2st64_b64 v[2:5], v88 offset0:2 offset1:4
	ds_read2st64_b64 v[6:9], v90 offset0:2 offset1:4
	s_add_i32 s3, s27, s3
	s_waitcnt lgkmcnt(1)
	v_mfma_f32_16x16x16_bf16 a[0:3], v[14:15], v[2:3], a[0:3]
	s_mul_i32 s2, s2, s28
	s_lshl_b64 s[2:3], s[2:3], 2
	s_add_u32 s2, s42, s2
	s_waitcnt lgkmcnt(0)
	v_mfma_f32_16x16x16_bf16 a[4:7], v[14:15], v[6:7], a[4:7]
	ds_read_b64 v[2:3], v91 offset:24576
	ds_read_b64 v[6:7], v92 offset:24576
	s_addc_u32 s3, s43, s3
	s_and_b64 vcc, exec, s[0:1]
	s_waitcnt lgkmcnt(1)
	v_mfma_f32_16x16x16_bf16 a[0:3], v[2:3], v[4:5], a[0:3]
	v_mov_b32_e32 v115, 0
	v_mov_b32_e32 v114, 0
	v_mov_b32_e32 v113, 0
	v_mfma_f32_16x16x16_bf16 a[4:7], v[2:3], v[8:9], a[4:7]
	v_mov_b32_e32 v2, 0
	v_mov_b32_e32 v3, 0
	v_mov_b32_e32 v4, 0
	s_waitcnt lgkmcnt(0)
	v_mfma_f32_16x16x16_bf16 a[0:3], v[6:7], v[12:13], a[0:3]
	v_mov_b32_e32 v5, 0
	v_mov_b32_e32 v8, 0
	;; [unrolled: 1-line block ×3, first 2 shown]
	v_mfma_f32_16x16x16_bf16 a[4:7], v[6:7], v[10:11], a[4:7]
	v_mov_b32_e32 v6, 0
	v_mov_b32_e32 v7, 0
	;; [unrolled: 1-line block ×10, first 2 shown]
	s_cbranch_vccnz .LBB288_12
; %bb.11:                               ;   in Loop: Header=BB288_6 Depth=1
	s_and_b32 s21, s21, 0xffff
	buffer_load_dwordx4 v[14:17], v69, s[20:23], 0 offen
	buffer_load_dwordx4 v[10:13], v69, s[20:23], s56 offen
	buffer_load_dwordx4 v[6:9], v70, s[20:23], 0 offen
	buffer_load_dwordx4 v[2:5], v70, s[20:23], s56 offen
	v_mov_b32_e32 v114, v71
	v_mov_b32_e32 v113, v72
.LBB288_12:                             ;   in Loop: Header=BB288_6 Depth=1
	ds_read_b64 v[22:23], v87 offset:32768
	ds_read2_b64 v[18:21], v93 offset1:16
	ds_read_b64 v[26:27], v89 offset:32768
	ds_read_b64 v[28:29], v91 offset:32768
	;; [unrolled: 1-line block ×3, first 2 shown]
	v_add_u32_e32 v34, s58, v100
	s_waitcnt lgkmcnt(3)
	v_mfma_f32_16x16x16_bf16 a[0:3], v[22:23], v[18:19], a[0:3]
	v_mov_b32_e32 v116, 0
	v_mfma_f32_16x16x16_bf16 a[4:7], v[22:23], v[20:21], a[4:7]
	ds_read2st64_b64 v[18:21], v93 offset0:2 offset1:4
	ds_read2st64_b64 v[22:25], v94 offset0:2 offset1:4
	s_waitcnt lgkmcnt(1)
	v_mfma_f32_16x16x16_bf16 a[0:3], v[26:27], v[18:19], a[0:3]
	ds_read_b64 v[18:19], v93 offset:3072
	ds_read_b64 v[32:33], v94 offset:3072
	s_waitcnt lgkmcnt(2)
	v_mfma_f32_16x16x16_bf16 a[4:7], v[26:27], v[22:23], a[4:7]
	v_ashrrev_i32_e32 v22, 31, v34
	v_mul_lo_u32 v23, v34, s29
	v_mul_lo_u32 v22, v22, s28
	v_mfma_f32_16x16x16_bf16 a[0:3], v[28:29], v[20:21], a[0:3]
	v_mad_u64_u32 v[20:21], s[20:21], v34, s28, 0
	v_add3_u32 v21, v21, v23, v22
	v_lshl_add_u64 v[20:21], v[20:21], 2, s[42:43]
	global_load_dword v26, v[20:21], off
	v_add_u32_e32 v20, 1, v34
	v_ashrrev_i32_e32 v21, 31, v20
	s_waitcnt lgkmcnt(1)
	v_mfma_f32_16x16x16_bf16 a[0:3], v[30:31], v[18:19], a[0:3]
	v_mul_lo_u32 v21, v21, s28
	v_mul_lo_u32 v22, v20, s29
	v_mad_u64_u32 v[18:19], s[20:21], v20, s28, 0
	v_add_u32_e32 v20, 2, v34
	v_add3_u32 v19, v19, v22, v21
	v_ashrrev_i32_e32 v21, 31, v20
	v_mul_lo_u32 v22, v21, s28
	v_mul_lo_u32 v23, v20, s29
	v_mad_u64_u32 v[20:21], s[20:21], v20, s28, 0
	v_add3_u32 v21, v21, v23, v22
	v_add_u32_e32 v22, 3, v34
	v_ashrrev_i32_e32 v23, 31, v22
	v_mfma_f32_16x16x16_bf16 a[4:7], v[28:29], v[24:25], a[4:7]
	v_mul_lo_u32 v24, v23, s28
	v_mul_lo_u32 v25, v22, s29
	v_mad_u64_u32 v[22:23], s[20:21], v22, s28, 0
	s_add_u32 s20, s38, s58
	s_addc_u32 s21, s39, 0
	s_lshl_b64 s[20:21], s[20:21], 8
	v_add3_u32 v23, v23, v25, v24
	v_lshl_add_u64 v[24:25], v[56:57], 0, s[20:21]
	v_lshl_add_u64 v[18:19], v[18:19], 2, s[42:43]
	v_lshl_add_u64 v[24:25], v[24:25], 0, v[54:55]
	v_lshl_add_u64 v[20:21], v[20:21], 2, s[42:43]
	global_load_ushort v28, v[24:25], off
	global_load_ushort v27, v[24:25], off offset:256
	global_load_ushort v36, v[24:25], off offset:800
	;; [unrolled: 1-line block ×7, first 2 shown]
	v_lshl_add_u64 v[22:23], v[22:23], 2, s[42:43]
	global_load_dword v39, v[18:19], off
	global_load_dword v40, v[20:21], off
	;; [unrolled: 1-line block ×3, first 2 shown]
	s_load_dword s2, s[2:3], 0x0
	s_waitcnt lgkmcnt(0)
	v_mfma_f32_16x16x16_bf16 a[4:7], v[30:31], v[32:33], a[4:7]
	v_accvgpr_read_b32 v23, a1
	v_accvgpr_read_b32 v19, a3
	v_accvgpr_read_b32 v18, a2
	v_accvgpr_read_b32 v22, a0
	s_and_b64 vcc, exec, s[0:1]
	s_waitcnt vmcnt(11)
	v_sub_f32_e32 v32, s2, v26
	v_exp_f32_e32 v32, v32
	v_accvgpr_read_b32 v25, a5
	v_accvgpr_read_b32 v24, a4
	;; [unrolled: 1-line block ×4, first 2 shown]
	s_waitcnt vmcnt(10)
	v_lshlrev_b32_e32 v26, 16, v28
	s_waitcnt vmcnt(9)
	v_lshlrev_b32_e32 v27, 16, v27
	v_pk_add_f32 v[22:23], v[26:27], v[22:23] neg_lo:[0,1] neg_hi:[0,1]
	s_waitcnt vmcnt(7)
	v_lshlrev_b32_e32 v29, 16, v29
	v_mov_b32_e32 v26, 0
	s_waitcnt vmcnt(5)
	v_lshlrev_b32_e32 v28, 16, v34
	s_waitcnt vmcnt(4)
	v_lshlrev_b32_e32 v31, 16, v35
	s_waitcnt vmcnt(2)
	v_sub_f32_e32 v33, s2, v39
	s_waitcnt vmcnt(1)
	v_sub_f32_e32 v34, s2, v40
	;; [unrolled: 2-line block ×3, first 2 shown]
	v_exp_f32_e32 v33, v33
	v_exp_f32_e32 v34, v34
	;; [unrolled: 1-line block ×3, first 2 shown]
	v_pk_add_f32 v[18:19], v[28:29], v[18:19] neg_lo:[0,1] neg_hi:[0,1]
	v_lshlrev_b32_e32 v30, 16, v38
	v_pk_mul_f32 v[22:23], v[32:33], v[22:23]
	v_pk_mul_f32 v[18:19], v[34:35], v[18:19]
	v_mov_b32_e32 v27, 0
	v_perm_b32 v19, v19, v18, s62
	v_perm_b32 v18, v23, v22, s62
	v_pk_add_f32 v[22:23], v[30:31], v[24:25] neg_lo:[0,1] neg_hi:[0,1]
	v_lshlrev_b32_e32 v25, 16, v36
	v_lshlrev_b32_e32 v24, 16, v37
	v_pk_add_f32 v[20:21], v[24:25], v[20:21] neg_lo:[0,1] neg_hi:[0,1]
	v_pk_mul_f32 v[22:23], v[32:33], v[22:23]
	v_pk_mul_f32 v[20:21], v[34:35], v[20:21]
	v_mov_b32_e32 v24, 0
	v_perm_b32 v21, v21, v20, s62
	v_perm_b32 v20, v23, v22, s62
	ds_write2_b64 v74, v[18:19], v[20:21] offset1:16
	v_mov_b32_e32 v18, 0
	v_mov_b32_e32 v19, 0
	;; [unrolled: 1-line block ×13, first 2 shown]
	s_cbranch_vccnz .LBB288_14
; %bb.13:                               ;   in Loop: Header=BB288_6 Depth=1
	s_and_b32 s25, s25, 0xffff
	s_mov_b32 s27, s23
	buffer_load_dwordx4 v[30:33], v98, s[24:27], 0 offen
	buffer_load_dwordx4 v[22:25], v98, s[24:27], s56 offen
	;; [unrolled: 1-line block ×4, first 2 shown]
	v_mov_b32_e32 v115, v68
	v_mov_b32_e32 v116, v67
.LBB288_14:                             ;   in Loop: Header=BB288_6 Depth=1
	s_waitcnt lgkmcnt(0)
	s_barrier
	ds_read_b64 v[38:39], v102
	ds_read_b64 v[122:123], v97
	;; [unrolled: 1-line block ×5, first 2 shown]
	ds_read_b64 v[136:137], v94 offset:3072
	ds_read2_b64 v[34:37], v93 offset0:16 offset1:128
	s_waitcnt lgkmcnt(5)
	v_mfma_f32_16x16x16_bf16 a[0:3], v[38:39], v[122:123], 0
	s_add_i32 s3, s50, s64
	s_mul_hi_i32 s21, s3, s13
	s_mul_i32 s3, s3, s13
	s_waitcnt lgkmcnt(0)
	v_mfma_f32_16x16x16_bf16 a[4:7], v[38:39], v[34:35], 0
	ds_read_b64 v[38:39], v107
	ds_read2st64_b64 v[40:43], v94 offset0:2 offset1:4
	s_add_u32 s20, s3, s33
	s_addc_u32 s21, s21, s54
	s_add_i32 s3, s31, s58
	s_lshl_b64 s[20:21], s[20:21], 15
	s_mul_hi_i32 s25, s3, s13
	s_mul_i32 s3, s3, s13
	s_add_u32 s24, s3, s33
	s_waitcnt lgkmcnt(1)
	v_mfma_f32_16x16x16_bf16 a[8:11], v[38:39], v[122:123], 0
	s_addc_u32 s25, s25, s54
	ds_read2st64_b64 v[118:121], v93 offset0:4 offset1:6
	s_lshl_b64 s[24:25], s[24:25], 9
	v_mfma_f32_16x16x16_bf16 a[0:3], v[124:125], v[36:37], a[0:3]
	s_add_u32 s24, s40, s24
	s_addc_u32 s25, s41, s25
	s_waitcnt lgkmcnt(1)
	v_mfma_f32_16x16x16_bf16 a[4:7], v[124:125], v[40:41], a[4:7]
	ds_read_b64 v[124:125], v108
	ds_read_b64 v[132:133], v109
	;; [unrolled: 1-line block ×3, first 2 shown]
	v_mfma_f32_16x16x16_bf16 a[12:15], v[38:39], v[34:35], 0
	s_waitcnt lgkmcnt(2)
	v_mfma_f32_16x16x16_bf16 a[8:11], v[124:125], v[36:37], a[8:11]
	global_load_dwordx4 v[34:37], v106, s[24:25]
	v_mfma_f32_16x16x16_bf16 a[12:15], v[124:125], v[40:41], a[12:15]
	global_load_dwordx4 v[38:41], v101, s[24:25]
	ds_read2st64_b64 v[122:125], v95 offset1:8
	s_waitcnt lgkmcnt(0)
	v_mov_b32_e32 v130, v122
	v_mfma_f32_16x16x16_bf16 a[0:3], v[126:127], v[118:119], a[0:3]
	v_mov_b32_e32 v131, v123
	v_mfma_f32_16x16x16_bf16 a[4:7], v[126:127], v[42:43], a[4:7]
	ds_read2st64_b64 v[126:129], v96 offset1:8
	v_mfma_f32_16x16x16_bf16 a[8:11], v[132:133], v[118:119], a[8:11]
	v_lshl_add_u64 v[118:119], v[58:59], 0, s[20:21]
	v_mfma_f32_16x16x16_bf16 a[16:19], v[132:133], v[42:43], a[12:15]
	v_add_co_u32_e32 v42, vcc, s35, v118
	s_waitcnt lgkmcnt(0)
	v_mov_b32_e32 v132, v126
	v_mfma_f32_16x16x16_bf16 a[0:3], v[134:135], v[120:121], a[0:3]
	v_mov_b32_e32 v133, v127
	v_mov_b32_e32 v126, v124
	v_mov_b32_e32 v127, v125
	v_mfma_f32_16x16x16_bf16 a[4:7], v[134:135], v[136:137], a[4:7]
	v_addc_co_u32_e32 v43, vcc, 0, v119, vcc
	global_store_dwordx4 v[42:43], v[126:129], off
	v_mfma_f32_16x16x16_bf16 a[12:15], v[138:139], v[120:121], a[8:11]
	s_and_b64 vcc, exec, s[0:1]
	global_store_dwordx4 v[118:119], v[130:133], off
	s_waitcnt vmcnt(3)
	v_mov_b32_e32 v44, v37
	v_mfma_f32_16x16x16_bf16 a[8:11], v[138:139], v[136:137], a[16:19]
	v_mov_b32_e32 v43, v36
	v_mov_b32_e32 v42, v35
	s_cbranch_vccnz .LBB288_16
; %bb.15:                               ;   in Loop: Header=BB288_6 Depth=1
	v_lshrrev_b32_e32 v35, 3, v115
	v_and_b32_e32 v35, 6, v35
	v_xor_b32_e32 v36, v35, v116
	v_lshlrev_b32_e32 v36, 2, v36
	v_and_b32_e32 v37, 8, v115
	v_xor_b32_e32 v115, 0x440, v36
	v_cmp_eq_u32_e32 vcc, 0, v37
	v_perm_b32 v37, v22, v18, s59
	s_nop 0
	v_cndmask_b32_e32 v36, v115, v36, vcc
	v_lshl_or_b32 v35, v35, 10, v36
	v_perm_b32 v36, v30, v26, s59
	s_barrier
	ds_write2st64_b32 v35, v36, v37 offset0:32 offset1:64
	v_xor_b32_e32 v36, 8, v35
	v_perm_b32 v26, v30, v26, s60
	v_perm_b32 v18, v22, v18, s60
	v_add_u32_e32 v22, 0x80, v36
	ds_write2st64_b32 v22, v26, v18 offset0:32 offset1:64
	v_xor_b32_e32 v18, 16, v35
	v_perm_b32 v22, v31, v27, s59
	v_perm_b32 v26, v23, v19, s59
	ds_write2st64_b32 v18, v22, v26 offset0:33 offset1:65
	v_xor_b32_e32 v18, 24, v35
	v_perm_b32 v22, v31, v27, s60
	v_perm_b32 v19, v23, v19, s60
	v_add_u32_e32 v18, 0x80, v18
	ds_write2st64_b32 v18, v22, v19 offset0:33 offset1:65
	v_xor_b32_e32 v18, 32, v35
	v_perm_b32 v19, v32, v28, s59
	v_perm_b32 v22, v24, v20, s59
	;; [unrolled: 9-line block ×3, first 2 shown]
	ds_write2st64_b32 v18, v19, v20 offset0:35 offset1:67
	v_xor_b32_e32 v18, 56, v35
	v_perm_b32 v19, v33, v29, s60
	v_perm_b32 v20, v25, v21, s60
	v_add_u32_e32 v18, 0x80, v18
	ds_write2st64_b32 v18, v19, v20 offset0:35 offset1:67
	ds_write_b64 v114, v[14:15] offset:24576
	v_xor_b32_e32 v14, 8, v114
	ds_write_b64 v14, v[16:17] offset:24576
	ds_write_b64 v114, v[10:11] offset:32768
	;; [unrolled: 1-line block ×4, first 2 shown]
	v_xor_b32_e32 v6, 8, v113
	ds_write_b64 v6, v[8:9] offset:24576
	ds_write_b64 v113, v[2:3] offset:32768
	;; [unrolled: 1-line block ×3, first 2 shown]
.LBB288_16:                             ;   in Loop: Header=BB288_6 Depth=1
	v_exp_f32_e32 v18, s2
	s_waitcnt vmcnt(2)
	v_exp_f32_e32 v20, v38
	v_exp_f32_e32 v21, v39
	;; [unrolled: 1-line block ×4, first 2 shown]
	v_accvgpr_read_b32 v13, a3
	v_accvgpr_read_b32 v11, a1
	;; [unrolled: 1-line block ×4, first 2 shown]
	v_pk_mul_f32 v[20:21], v[18:19], v[20:21] op_sel_hi:[0,1]
	v_accvgpr_read_b32 v12, a2
	v_accvgpr_read_b32 v7, a5
	;; [unrolled: 1-line block ×3, first 2 shown]
	v_pk_fma_f32 v[50:51], v[50:51], v[20:21], v[10:11]
	v_pk_mul_f32 v[10:11], v[18:19], v[22:23] op_sel_hi:[0,1]
	v_pk_fma_f32 v[52:53], v[52:53], v[10:11], v[12:13]
	v_fma_f32 v85, v85, v20, v6
	v_fma_f32 v84, v84, v21, v7
	v_exp_f32_e32 v6, v34
	v_exp_f32_e32 v7, v42
	;; [unrolled: 1-line block ×4, first 2 shown]
	v_accvgpr_read_b32 v8, a6
	v_accvgpr_read_b32 v17, a15
	v_accvgpr_read_b32 v2, a8
	v_accvgpr_read_b32 v16, a14
	v_accvgpr_read_b32 v15, a13
	v_accvgpr_read_b32 v14, a12
	v_accvgpr_read_b32 v3, a9
	v_accvgpr_read_b32 v4, a10
	v_accvgpr_read_b32 v5, a11
	v_fma_f32 v86, v86, v10, v8
	v_fmac_f32_e32 v9, v112, v11
	v_pk_mul_f32 v[6:7], v[18:19], v[6:7] op_sel_hi:[0,1]
	v_pk_mul_f32 v[10:11], v[18:19], v[12:13] op_sel_hi:[0,1]
	s_add_i32 s58, s58, 64
	v_pk_fma_f32 v[46:47], v[46:47], v[6:7], v[14:15]
	v_pk_fma_f32 v[48:49], v[48:49], v[10:11], v[16:17]
	v_fma_f32 v82, v82, v6, v2
	v_fma_f32 v81, v81, v7, v3
	;; [unrolled: 1-line block ×3, first 2 shown]
	s_cmp_eq_u32 s47, s63
	v_fmac_f32_e32 v5, v111, v11
	s_cbranch_scc1 .LBB288_18
; %bb.17:                               ;   in Loop: Header=BB288_6 Depth=1
	s_mov_b32 s64, s63
	v_mov_b32_e32 v112, v9
	v_mov_b32_e32 v111, v5
	s_branch .LBB288_6
.LBB288_18:
	s_lshl_b32 s40, s47, 6
	s_sub_i32 s41, s12, s40
	s_cmp_gt_i32 s41, 0
	s_cbranch_scc0 .LBB288_83
; %bb.19:
	s_ashr_i32 s35, s48, 31
	s_ashr_i32 s2, s40, 31
	s_cmpk_lg_i32 s15, 0x80
	s_cselect_b64 s[26:27], -1, 0
	s_and_b64 vcc, exec, s[26:27]
	s_cbranch_vccz .LBB288_21
; %bb.20:
	s_mul_i32 s1, s48, s12
	s_mul_hi_i32 s0, s48, s12
	s_add_u32 s1, s1, s40
	s_addc_u32 s0, s0, s2
	s_mul_i32 s3, s1, s49
	s_mul_hi_u32 s20, s1, s14
	s_add_i32 s3, s20, s3
	s_mul_i32 s0, s0, s14
	s_add_i32 s3, s3, s0
	s_mul_i32 s1, s1, s14
	s_ashr_i32 s0, s52, 31
	s_add_u32 s38, s1, s52
	s_addc_u32 s39, s3, s0
	s_cbranch_execz .LBB288_22
	s_branch .LBB288_23
.LBB288_21:
                                        ; implicit-def: $sgpr38_sgpr39
.LBB288_22:
	s_mul_hi_i32 s0, s48, s14
	s_mul_i32 s48, s48, s14
	s_ashr_i32 s1, s52, 31
	s_add_u32 s3, s48, s52
	s_addc_u32 s0, s0, s1
	s_mul_i32 s1, s3, s46
	s_mul_hi_u32 s14, s3, s12
	s_add_i32 s1, s14, s1
	s_mul_i32 s0, s0, s12
	s_add_i32 s1, s1, s0
	s_mul_i32 s3, s3, s12
	s_add_u32 s38, s3, s40
	s_addc_u32 s39, s1, s2
.LBB288_23:
	s_add_i32 s3, s50, s47
	s_ashr_i32 s14, s33, 31
	s_add_u32 s0, s45, s33
	s_addc_u32 s1, s51, s14
	s_mul_i32 s20, s0, s46
	s_mul_hi_u32 s21, s0, s12
	s_add_i32 s20, s21, s20
	s_mul_i32 s1, s1, s12
	s_add_i32 s20, s20, s1
	s_mul_i32 s0, s0, s12
	s_add_u32 s0, s0, s40
	v_lshlrev_b32_e32 v8, 5, v65
	v_lshlrev_b32_e32 v22, 2, v45
	s_addc_u32 s1, s20, s2
	s_mov_b32 s2, 0x7060302
	v_or_b32_e32 v11, v8, v22
	v_xor_b32_e32 v4, v65, v22
	v_perm_b32 v3, v53, v52, s2
	v_perm_b32 v2, v51, v50, s2
	;; [unrolled: 1-line block ×4, first 2 shown]
	v_lshlrev_b32_e32 v11, 1, v11
	s_lshl_b64 s[24:25], s[0:1], 8
	v_xor_b32_e32 v10, v66, v22
	ds_write2st64_b64 v11, v[2:3], v[6:7] offset0:80 offset1:88
	v_lshlrev_b32_e32 v11, 1, v4
	v_lshlrev_b32_e32 v4, 8, v45
	s_add_u32 s0, s6, s24
	v_or_b32_e32 v12, v11, v4
	v_lshlrev_b32_e32 v10, 1, v10
	s_addc_u32 s1, s7, s25
	ds_write_b64 v12, v[2:3]
	v_or_b32_e32 v2, v10, v4
	s_mul_hi_i32 s6, s3, s13
	s_mul_i32 s3, s3, s13
	ds_write_b64 v2, v[6:7]
	v_perm_b32 v3, v9, v86, s2
	v_perm_b32 v2, v84, v85, s2
	;; [unrolled: 1-line block ×4, first 2 shown]
	v_or_b32_e32 v6, 16, v45
	s_add_u32 s2, s3, s33
	v_lshlrev_b32_e32 v19, 2, v6
	s_addc_u32 s3, s6, s14
	v_or_b32_e32 v7, v8, v19
	s_ashr_i32 s31, s30, 31
	s_lshl_b64 s[2:3], s[2:3], 15
	v_lshlrev_b32_e32 v7, 1, v7
	v_lshlrev_b32_e32 v6, 8, v6
	s_add_u32 s6, s36, s2
	ds_write2st64_b64 v7, v[2:3], v[4:5] offset0:80 offset1:88
	v_or_b32_e32 v7, v11, v6
	s_addc_u32 s7, s37, s3
	s_lshl_b64 s[2:3], s[30:31], 8
	ds_write_b64 v7, v[2:3]
	v_or_b32_e32 v2, v10, v6
	s_add_u32 s2, s6, s2
	ds_write_b64 v2, v[4:5]
	v_lshrrev_b32_e32 v2, 4, v0
	s_addc_u32 s3, s7, s3
	v_lshlrev_b32_e32 v3, 1, v45
	v_lshlrev_b32_e32 v10, 4, v45
	v_mov_b32_e32 v11, 0
	v_or_b32_e32 v4, 1, v3
	v_xor_b32_e32 v3, v2, v3
	v_lshl_add_u64 v[12:13], s[2:3], 0, v[10:11]
	v_lshlrev_b32_e32 v10, 8, v2
	v_xor_b32_e32 v6, v4, v2
	v_lshl_or_b32 v2, v3, 3, v10
	s_waitcnt lgkmcnt(0)
	s_barrier
	ds_read2st64_b64 v[2:5], v2 offset1:8
	v_lshl_or_b32 v6, v6, 3, v10
	ds_read2st64_b64 v[6:9], v6 offset1:8
	v_lshl_add_u64 v[14:15], v[12:13], 0, v[10:11]
	s_movk_i32 s2, 0x1000
	s_waitcnt lgkmcnt(1)
	v_mov_b32_e32 v10, v2
	v_add_co_u32_e32 v2, vcc, s2, v14
	s_cmp_lg_u32 s41, 64
	v_mov_b32_e32 v11, v3
	v_addc_co_u32_e32 v3, vcc, 0, v15, vcc
	s_cselect_b64 s[6:7], -1, 0
	v_lshl_or_b32 v23, v61, 3, v64
	s_waitcnt lgkmcnt(0)
	v_mov_b32_e32 v12, v6
	v_mov_b32_e32 v13, v7
	;; [unrolled: 1-line block ×4, first 2 shown]
	s_mov_b32 s20, 0
	v_or_b32_e32 v20, 32, v23
	v_and_b32_e32 v18, 56, v63
	s_and_b64 vcc, exec, s[6:7]
	global_store_dwordx4 v[14:15], v[10:13], off
	global_store_dwordx4 v[2:3], v[6:9], off
	s_cbranch_vccz .LBB288_29
; %bb.24:
	s_mov_b32 s21, s20
	s_mov_b32 s22, s20
	;; [unrolled: 1-line block ×3, first 2 shown]
	v_mov_b64_e32 v[6:7], s[20:21]
	v_mov_b64_e32 v[8:9], s[22:23]
	;; [unrolled: 1-line block ×3, first 2 shown]
	v_cmp_gt_i32_e32 vcc, s41, v23
	v_mov_b64_e32 v[4:5], v[8:9]
	s_and_saveexec_b64 s[2:3], vcc
	s_cbranch_execz .LBB288_26
; %bb.25:
	v_lshlrev_b32_e32 v2, 8, v23
	v_mov_b32_e32 v3, 0
	v_lshl_add_u64 v[4:5], s[0:1], 0, v[2:3]
	v_lshlrev_b32_e32 v2, 1, v18
	v_lshl_add_u64 v[10:11], v[4:5], 0, v[2:3]
	global_load_dwordx4 v[6:9], v[10:11], off
	global_load_dwordx4 v[2:5], v[10:11], off offset:128
.LBB288_26:
	s_or_b64 exec, exec, s[2:3]
	s_mov_b32 s21, s20
	s_mov_b32 s22, s20
	;; [unrolled: 1-line block ×3, first 2 shown]
	v_mov_b64_e32 v[14:15], s[20:21]
	v_mov_b64_e32 v[16:17], s[22:23]
	;; [unrolled: 1-line block ×3, first 2 shown]
	v_cmp_gt_i32_e32 vcc, s41, v20
	v_lshlrev_b32_e32 v21, 7, v20
	v_mov_b64_e32 v[12:13], v[16:17]
	s_and_saveexec_b64 s[2:3], vcc
	s_cbranch_execz .LBB288_28
; %bb.27:
	v_lshlrev_b32_e32 v10, 1, v21
	v_mov_b32_e32 v11, 0
	v_lshl_add_u64 v[12:13], s[0:1], 0, v[10:11]
	v_lshlrev_b32_e32 v10, 1, v18
	v_lshl_add_u64 v[24:25], v[12:13], 0, v[10:11]
	global_load_dwordx4 v[14:17], v[24:25], off
	global_load_dwordx4 v[10:13], v[24:25], off offset:128
.LBB288_28:
	s_or_b64 exec, exec, s[2:3]
	v_lshrrev_b32_e32 v24, 3, v18
	v_lshlrev_b32_e32 v25, 3, v23
	v_or_b32_e32 v24, v25, v24
	v_lshlrev_b32_e32 v24, 4, v24
	v_and_b32_e32 v25, 0x78, v25
	v_xor_b32_e32 v24, v24, v25
	s_branch .LBB288_31
.LBB288_29:
                                        ; implicit-def: $vgpr24
                                        ; implicit-def: $vgpr21
                                        ; implicit-def: $vgpr6_vgpr7_vgpr8_vgpr9
                                        ; implicit-def: $vgpr2_vgpr3_vgpr4_vgpr5
                                        ; implicit-def: $vgpr14_vgpr15_vgpr16_vgpr17
                                        ; implicit-def: $vgpr10_vgpr11_vgpr12_vgpr13
	s_cbranch_execz .LBB288_31
; %bb.30:
	s_waitcnt vmcnt(0)
	v_lshlrev_b32_e32 v2, 1, v18
	v_lshl_or_b32 v21, v23, 8, v2
	s_and_b32 s1, s1, 0xffff
	s_mov_b32 s3, 0x20000
	s_movk_i32 s2, 0x4000
	v_lshl_or_b32 v24, v20, 8, v2
	s_movk_i32 s13, 0x80
	buffer_load_dwordx4 v[6:9], v21, s[0:3], 0 offen
	buffer_load_dwordx4 v[2:5], v21, s[0:3], s13 offen
	;; [unrolled: 1-line block ×4, first 2 shown]
	v_lshrrev_b32_e32 v21, 3, v18
	v_lshlrev_b32_e32 v24, 3, v23
	v_or_b32_e32 v21, v24, v21
	v_lshlrev_b32_e32 v21, 4, v21
	v_and_b32_e32 v24, 0x78, v24
	v_xor_b32_e32 v24, v21, v24
	v_lshlrev_b32_e32 v21, 7, v20
.LBB288_31:
	s_lshl_b64 s[0:1], s[38:39], 8
	s_add_u32 s4, s4, s0
	s_movk_i32 s0, 0x1000
	v_and_or_b32 v20, v21, s0, v24
	s_waitcnt vmcnt(1)
	ds_write_b64 v24, v[6:7] offset:24576
	v_xor_b32_e32 v6, 8, v24
	ds_write_b64 v6, v[8:9] offset:24576
	s_waitcnt vmcnt(0)
	ds_write_b64 v24, v[2:3] offset:32768
	ds_write_b64 v6, v[4:5] offset:32768
	;; [unrolled: 1-line block ×3, first 2 shown]
	v_xor_b32_e32 v2, 8, v20
	ds_write_b64 v2, v[16:17] offset:24576
	ds_write_b64 v20, v[10:11] offset:32768
	;; [unrolled: 1-line block ×3, first 2 shown]
	v_or_b32_e32 v2, v1, v45
	v_lshlrev_b32_e32 v3, 11, v61
	v_lshlrev_b32_e32 v2, 3, v2
	v_and_b32_e32 v6, 0x1000, v3
	v_lshrrev_b32_e32 v3, 5, v60
	s_movk_i32 s13, 0xf8
	v_and_or_b32 v3, v2, s13, v3
	v_lshlrev_b32_e32 v7, 4, v3
	v_and_b32_e32 v8, 0x78, v2
	v_or_b32_e32 v10, 32, v7
	v_lshrrev_b32_e32 v3, 1, v60
	v_xor_b32_e32 v10, v10, v8
	v_xor_b32_e32 v2, v7, v8
	v_and_b32_e32 v9, 8, v3
	v_or_b32_e32 v10, v10, v6
	v_or_b32_e32 v2, v2, v6
	v_xor_b32_e32 v26, v10, v9
	v_or_b32_e32 v10, 64, v7
	v_xor_b32_e32 v25, v2, v9
	v_xor_b32_e32 v10, v10, v8
	s_waitcnt lgkmcnt(0)
	s_barrier
	v_or_b32_e32 v12, v10, v6
	ds_read_b64 v[10:11], v25 offset:24576
	v_lshl_or_b32 v20, v62, 7, v22
	v_lshlrev_b32_e32 v24, 1, v20
	v_add_u32_e32 v2, 0xa000, v24
	ds_read2_b64 v[2:5], v2 offset1:16
	v_or_b32_e32 v7, 0x60, v7
	v_xor_b32_e32 v7, v7, v8
	s_waitcnt lgkmcnt(0)
	v_mfma_f32_16x16x16_bf16 a[0:3], v[10:11], v[2:3], 0
	v_or_b32_e32 v2, 64, v20
	v_or_b32_e32 v6, v7, v6
	v_lshlrev_b32_e32 v29, 1, v2
	v_xor_b32_e32 v27, v12, v9
	v_xor_b32_e32 v28, v6, v9
	ds_read_b64 v[12:13], v26 offset:24576
	ds_read_b64 v[14:15], v27 offset:24576
	;; [unrolled: 1-line block ×3, first 2 shown]
	v_mfma_f32_16x16x16_bf16 a[4:7], v[10:11], v[4:5], 0
	ds_read2st64_b64 v[2:5], v29 offset0:82 offset1:84
	ds_read2st64_b64 v[6:9], v24 offset0:82 offset1:84
	s_addc_u32 s5, s5, s1
	s_add_i32 s2, s12, -1
	s_add_i32 s0, s44, s17
	s_mul_i32 s35, s35, s16
	s_add_i32 s35, s0, s35
	s_mul_i32 s0, s33, s19
	s_mul_hi_u32 s1, s33, s18
	s_ashr_i32 s3, s2, 31
	s_mul_i32 s12, s2, s29
	s_mul_hi_u32 s13, s2, s28
	s_add_i32 s0, s1, s0
	s_mul_i32 s1, s14, s18
	s_add_i32 s12, s13, s12
	s_mul_i32 s3, s3, s28
	s_waitcnt lgkmcnt(1)
	v_mfma_f32_16x16x16_bf16 a[4:7], v[12:13], v[2:3], a[4:7]
	s_add_i32 s1, s0, s1
	s_add_i32 s3, s12, s3
	s_lshl_b64 s[12:13], s[34:35], 2
	s_waitcnt lgkmcnt(0)
	v_mfma_f32_16x16x16_bf16 a[0:3], v[12:13], v[6:7], a[0:3]
	s_mul_i32 s0, s33, s18
	s_add_u32 s10, s10, s12
	s_addc_u32 s11, s11, s13
	s_lshl_b64 s[0:1], s[0:1], 2
	s_mul_i32 s2, s2, s28
	s_add_u32 s10, s10, s0
	ds_read_b64 v[2:3], v24 offset:44032
	v_mfma_f32_16x16x16_bf16 a[4:7], v[14:15], v[4:5], a[4:7]
	ds_read_b64 v[4:5], v29 offset:44032
	s_addc_u32 s11, s11, s1
	s_lshl_b64 s[0:1], s[2:3], 2
	v_mfma_f32_16x16x16_bf16 a[0:3], v[14:15], v[8:9], a[0:3]
	s_add_u32 s0, s10, s0
	s_addc_u32 s1, s11, s1
	s_load_dword s12, s[0:1], 0x0
	s_waitcnt lgkmcnt(0)
	v_mfma_f32_16x16x16_bf16 a[0:3], v[16:17], v[2:3], a[0:3]
	s_and_b64 vcc, exec, s[26:27]
	v_mfma_f32_16x16x16_bf16 a[4:7], v[16:17], v[4:5], a[4:7]
	s_cbranch_vccz .LBB288_42
; %bb.32:
	v_lshlrev_b32_e32 v20, 1, v23
	s_and_b64 vcc, exec, s[6:7]
	s_cbranch_vccz .LBB288_43
; %bb.33:
	v_cmp_gt_i32_e32 vcc, s41, v20
	v_mov_b32_e32 v6, 0
	v_mov_b32_e32 v2, 0
	;; [unrolled: 1-line block ×5, first 2 shown]
	s_and_saveexec_b64 s[0:1], vcc
	s_cbranch_execz .LBB288_35
; %bb.34:
	v_mad_i64_i32 v[2:3], s[2:3], s15, v20, 0
	v_lshl_add_u64 v[2:3], v[2:3], 1, s[4:5]
	v_lshlrev_b32_e32 v4, 1, v18
	v_mov_b32_e32 v5, 0
	v_lshl_add_u64 v[2:3], v[2:3], 0, v[4:5]
	global_load_dwordx4 v[2:5], v[2:3], off
.LBB288_35:
	s_or_b64 exec, exec, s[0:1]
	v_or_b32_e32 v21, 1, v20
	v_cmp_gt_i32_e64 s[0:1], s41, v21
	v_mov_b32_e32 v7, 0
	v_mov_b32_e32 v8, 0
	;; [unrolled: 1-line block ×3, first 2 shown]
	s_and_saveexec_b64 s[2:3], s[0:1]
	s_cbranch_execz .LBB288_37
; %bb.36:
	v_mad_i64_i32 v[6:7], s[16:17], s15, v21, 0
	v_lshl_add_u64 v[6:7], v[6:7], 1, s[4:5]
	v_lshlrev_b32_e32 v8, 1, v18
	v_mov_b32_e32 v9, 0
	v_lshl_add_u64 v[6:7], v[6:7], 0, v[8:9]
	global_load_dwordx4 v[6:9], v[6:7], off
.LBB288_37:
	s_or_b64 exec, exec, s[2:3]
	v_mov_b32_e32 v17, 0
	v_mov_b32_e32 v10, 0
	;; [unrolled: 1-line block ×5, first 2 shown]
	s_and_saveexec_b64 s[2:3], vcc
	s_cbranch_execz .LBB288_39
; %bb.38:
	v_mad_i64_i32 v[10:11], s[16:17], s15, v20, 0
	v_lshl_add_u64 v[10:11], v[10:11], 1, s[4:5]
	v_lshlrev_b32_e32 v12, 1, v18
	v_mov_b32_e32 v13, 0
	v_lshl_add_u64 v[10:11], v[10:11], 0, v[12:13]
	global_load_dwordx4 v[10:13], v[10:11], off offset:128
.LBB288_39:
	s_or_b64 exec, exec, s[2:3]
	v_mov_b32_e32 v16, 0
	v_mov_b32_e32 v15, 0
	;; [unrolled: 1-line block ×3, first 2 shown]
	s_and_saveexec_b64 s[2:3], s[0:1]
	s_cbranch_execz .LBB288_41
; %bb.40:
	v_mad_i64_i32 v[14:15], s[0:1], s15, v21, 0
	v_lshl_add_u64 v[14:15], v[14:15], 1, s[4:5]
	v_lshlrev_b32_e32 v16, 1, v18
	v_mov_b32_e32 v17, 0
	v_lshl_add_u64 v[14:15], v[14:15], 0, v[16:17]
	global_load_dwordx4 v[14:17], v[14:15], off offset:128
.LBB288_41:
	s_or_b64 exec, exec, s[2:3]
	s_branch .LBB288_45
.LBB288_42:
                                        ; implicit-def: $vgpr5
                                        ; implicit-def: $vgpr9
                                        ; implicit-def: $vgpr13
                                        ; implicit-def: $vgpr17
	v_lshrrev_b32_e32 v30, 2, v60
	s_branch .LBB288_46
.LBB288_43:
                                        ; implicit-def: $vgpr5
                                        ; implicit-def: $vgpr9
                                        ; implicit-def: $vgpr13
                                        ; implicit-def: $vgpr17
	s_cbranch_execz .LBB288_45
; %bb.44:
	s_waitcnt vmcnt(0)
	v_mad_u64_u32 v[2:3], s[0:1], v20, s15, v[18:19]
	v_lshlrev_b32_e32 v20, 1, v2
	s_lshl_b32 s2, s15, 7
	s_and_b32 s1, s5, 0xffff
	s_mov_b32 s3, 0x20000
	s_mov_b32 s0, s4
	v_add_lshl_u32 v21, v2, s15, 1
	s_movk_i32 s13, 0x80
	buffer_load_dwordx4 v[2:5], v20, s[0:3], 0 offen
	buffer_load_dwordx4 v[10:13], v20, s[0:3], s13 offen
	;; [unrolled: 1-line block ×4, first 2 shown]
.LBB288_45:
	v_lshrrev_b32_e32 v30, 2, v60
	s_cbranch_execnz .LBB288_58
.LBB288_46:
	s_and_b64 vcc, exec, s[6:7]
	s_cbranch_vccz .LBB288_56
; %bb.47:
	s_waitcnt vmcnt(0)
	v_lshlrev_b32_e32 v7, 1, v23
	v_cmp_gt_i32_e32 vcc, s41, v7
	v_mov_b32_e32 v6, 0
	v_lshlrev_b32_e32 v14, 9, v23
	v_mov_b32_e32 v2, 0
	v_mov_b32_e32 v3, 0
	;; [unrolled: 1-line block ×4, first 2 shown]
	s_and_saveexec_b64 s[0:1], vcc
	s_cbranch_execz .LBB288_49
; %bb.48:
	v_mov_b32_e32 v15, 0
	v_lshl_add_u64 v[2:3], s[4:5], 0, v[14:15]
	v_lshlrev_b32_e32 v4, 1, v18
	v_mov_b32_e32 v5, v15
	v_lshl_add_u64 v[2:3], v[2:3], 0, v[4:5]
	global_load_dwordx4 v[2:5], v[2:3], off
.LBB288_49:
	s_or_b64 exec, exec, s[0:1]
	v_or_b32_e32 v7, 1, v7
	v_cmp_gt_i32_e64 s[0:1], s41, v7
	v_lshlrev_b32_e32 v20, 8, v7
	v_mov_b32_e32 v7, 0
	v_mov_b32_e32 v8, 0
	;; [unrolled: 1-line block ×3, first 2 shown]
	s_and_saveexec_b64 s[2:3], s[0:1]
	s_cbranch_execz .LBB288_51
; %bb.50:
	v_mov_b32_e32 v21, 0
	v_lshl_add_u64 v[6:7], s[4:5], 0, v[20:21]
	v_lshlrev_b32_e32 v8, 1, v18
	v_mov_b32_e32 v9, v21
	v_lshl_add_u64 v[6:7], v[6:7], 0, v[8:9]
	global_load_dwordx4 v[6:9], v[6:7], off
.LBB288_51:
	s_or_b64 exec, exec, s[2:3]
	v_mov_b32_e32 v17, 0
	v_mov_b32_e32 v10, 0
	;; [unrolled: 1-line block ×5, first 2 shown]
	s_and_saveexec_b64 s[2:3], vcc
	s_cbranch_execz .LBB288_53
; %bb.52:
	v_mov_b32_e32 v15, 0
	v_lshl_add_u64 v[10:11], s[4:5], 0, v[14:15]
	v_lshlrev_b32_e32 v14, 1, v18
	v_lshl_add_u64 v[10:11], v[10:11], 0, v[14:15]
	global_load_dwordx4 v[10:13], v[10:11], off offset:128
.LBB288_53:
	s_or_b64 exec, exec, s[2:3]
	v_mov_b32_e32 v16, 0
	v_mov_b32_e32 v15, 0
	;; [unrolled: 1-line block ×3, first 2 shown]
	s_and_saveexec_b64 s[2:3], s[0:1]
	s_cbranch_execz .LBB288_55
; %bb.54:
	v_mov_b32_e32 v21, 0
	v_lshl_add_u64 v[14:15], s[4:5], 0, v[20:21]
	v_lshlrev_b32_e32 v20, 1, v18
	v_lshl_add_u64 v[14:15], v[14:15], 0, v[20:21]
	global_load_dwordx4 v[14:17], v[14:15], off offset:128
.LBB288_55:
	s_or_b64 exec, exec, s[2:3]
	s_branch .LBB288_58
.LBB288_56:
                                        ; implicit-def: $vgpr5
                                        ; implicit-def: $vgpr9
                                        ; implicit-def: $vgpr13
                                        ; implicit-def: $vgpr17
	s_cbranch_execz .LBB288_58
; %bb.57:
	s_waitcnt vmcnt(0)
	v_lshlrev_b32_e32 v2, 1, v18
	v_lshl_or_b32 v18, v23, 9, v2
	s_and_b32 s5, s5, 0xffff
	s_mov_b32 s7, 0x20000
	s_movk_i32 s6, 0x4000
	s_movk_i32 s0, 0x80
	buffer_load_dwordx4 v[2:5], v18, s[4:7], 0 offen
	buffer_load_dwordx4 v[6:9], v18, s[4:7], 0 offen offset:256
	buffer_load_dwordx4 v[10:13], v18, s[4:7], s0 offen
	buffer_load_dwordx4 v[14:17], v18, s[4:7], s0 offen offset:256
.LBB288_58:
	ds_read_b64 v[20:21], v25 offset:32768
	v_add_u32_e32 v18, 0xb000, v24
	ds_read2_b64 v[32:35], v18 offset1:16
	ds_read_b64 v[40:41], v26 offset:32768
	ds_read_b64 v[26:27], v27 offset:32768
	;; [unrolled: 1-line block ×3, first 2 shown]
	v_and_b32_e32 v18, 6, v0
	v_xor_b32_e32 v23, v23, v18
	v_lshlrev_b32_e32 v23, 2, v23
	v_and_b32_e32 v0, 1, v0
	v_xor_b32_e32 v28, 0x440, v23
	v_cmp_eq_u32_e32 vcc, 0, v0
	s_waitcnt lgkmcnt(3)
	v_mfma_f32_16x16x16_bf16 a[0:3], v[20:21], v[32:33], a[0:3]
	s_mov_b32 s0, 0x1000504
	v_cndmask_b32_e32 v0, v28, v23, vcc
	v_lshl_or_b32 v0, v18, 10, v0
	v_mfma_f32_16x16x16_bf16 a[4:7], v[20:21], v[34:35], a[4:7]
	ds_read2st64_b64 v[32:35], v24 offset0:90 offset1:92
	ds_read2st64_b64 v[36:39], v29 offset0:90 offset1:92
	ds_read_b64 v[20:21], v24 offset:48128
	ds_read_b64 v[24:25], v29 offset:48128
	s_waitcnt vmcnt(0)
	v_perm_b32 v18, v2, v6, s0
	s_waitcnt lgkmcnt(3)
	v_mfma_f32_16x16x16_bf16 a[0:3], v[40:41], v[32:33], a[0:3]
	s_mov_b32 s1, 0x3020706
	v_perm_b32 v2, v2, v6, s1
	v_perm_b32 v6, v10, v14, s1
	s_waitcnt lgkmcnt(2)
	v_mfma_f32_16x16x16_bf16 a[4:7], v[40:41], v[36:37], a[4:7]
	v_mfma_f32_16x16x16_bf16 a[0:3], v[26:27], v[34:35], a[0:3]
	;; [unrolled: 1-line block ×3, first 2 shown]
	s_waitcnt lgkmcnt(1)
	v_mfma_f32_16x16x16_bf16 a[4:7], v[42:43], v[20:21], a[0:3]
	v_perm_b32 v20, v10, v14, s0
	ds_write2st64_b32 v0, v18, v20 offset0:32 offset1:64
	v_xor_b32_e32 v18, 8, v0
	v_add_u32_e32 v10, 0x80, v18
	ds_write2st64_b32 v10, v2, v6 offset0:32 offset1:64
	v_xor_b32_e32 v2, 16, v0
	v_perm_b32 v6, v3, v7, s0
	v_perm_b32 v10, v11, v15, s0
	ds_write2st64_b32 v2, v6, v10 offset0:33 offset1:65
	v_xor_b32_e32 v2, 24, v0
	v_perm_b32 v3, v3, v7, s1
	v_perm_b32 v6, v11, v15, s1
	v_add_u32_e32 v2, 0x80, v2
	ds_write2st64_b32 v2, v3, v6 offset0:33 offset1:65
	v_xor_b32_e32 v2, 32, v0
	v_perm_b32 v3, v4, v8, s0
	v_perm_b32 v6, v12, v16, s0
	s_waitcnt lgkmcnt(4)
	v_mfma_f32_16x16x16_bf16 a[0:3], v[42:43], v[24:25], a[8:11]
	ds_write2st64_b32 v2, v3, v6 offset0:34 offset1:66
	v_xor_b32_e32 v2, 40, v0
	v_perm_b32 v3, v4, v8, s1
	v_perm_b32 v4, v12, v16, s1
	v_add_u32_e32 v2, 0x80, v2
	ds_write2st64_b32 v2, v3, v4 offset0:34 offset1:66
	v_xor_b32_e32 v2, 48, v0
	v_perm_b32 v3, v5, v9, s0
	v_perm_b32 v4, v13, v17, s0
	v_xor_b32_e32 v0, 56, v0
	v_and_or_b32 v18, v30, 12, v1
	ds_write2st64_b32 v2, v3, v4 offset0:35 offset1:67
	v_perm_b32 v2, v5, v9, s1
	v_perm_b32 v3, v13, v17, s1
	v_add_u32_e32 v0, 0x80, v0
	v_cmp_gt_i32_e32 vcc, s41, v18
	v_mov_b32_e32 v14, 0
	v_mov_b32_e32 v16, 0
	ds_write2st64_b32 v0, v2, v3 offset0:35 offset1:67
	s_and_saveexec_b64 s[0:1], vcc
	s_cbranch_execz .LBB288_60
; %bb.59:
	v_add_u32_e32 v0, s40, v18
	v_ashrrev_i32_e32 v1, 31, v0
	v_mul_lo_u32 v2, v1, s28
	v_mul_lo_u32 v3, v0, s29
	v_mad_u64_u32 v[0:1], s[2:3], v0, s28, 0
	v_add3_u32 v1, v1, v3, v2
	v_lshl_add_u64 v[0:1], v[0:1], 2, s[10:11]
	global_load_dword v0, v[0:1], off
	s_waitcnt vmcnt(0)
	v_sub_f32_e32 v0, s12, v0
	v_exp_f32_e32 v16, v0
.LBB288_60:
	s_or_b64 exec, exec, s[0:1]
	v_or_b32_e32 v8, 1, v18
	v_cmp_gt_i32_e64 s[0:1], s41, v8
	s_and_saveexec_b64 s[2:3], s[0:1]
	s_cbranch_execz .LBB288_62
; %bb.61:
	v_add_u32_e32 v0, s40, v8
	v_ashrrev_i32_e32 v1, 31, v0
	v_mul_lo_u32 v2, v1, s28
	v_mul_lo_u32 v3, v0, s29
	v_mad_u64_u32 v[0:1], s[4:5], v0, s28, 0
	v_add3_u32 v1, v1, v3, v2
	v_lshl_add_u64 v[0:1], v[0:1], 2, s[10:11]
	global_load_dword v0, v[0:1], off
	s_waitcnt vmcnt(0)
	v_sub_f32_e32 v0, s12, v0
	v_exp_f32_e32 v14, v0
.LBB288_62:
	s_or_b64 exec, exec, s[2:3]
	v_or_b32_e32 v10, 2, v18
	v_cmp_gt_i32_e64 s[2:3], s41, v10
	v_mov_b32_e32 v15, 0
	v_mov_b32_e32 v17, 0
	s_and_saveexec_b64 s[4:5], s[2:3]
	s_cbranch_execz .LBB288_64
; %bb.63:
	v_add_u32_e32 v0, s40, v10
	v_ashrrev_i32_e32 v1, 31, v0
	v_mul_lo_u32 v2, v1, s28
	v_mul_lo_u32 v3, v0, s29
	v_mad_u64_u32 v[0:1], s[6:7], v0, s28, 0
	v_add3_u32 v1, v1, v3, v2
	v_lshl_add_u64 v[0:1], v[0:1], 2, s[10:11]
	global_load_dword v0, v[0:1], off
	s_waitcnt vmcnt(0)
	v_sub_f32_e32 v0, s12, v0
	v_exp_f32_e32 v17, v0
.LBB288_64:
	s_or_b64 exec, exec, s[4:5]
	v_or_b32_e32 v12, 3, v18
	v_cmp_gt_i32_e64 s[4:5], s41, v12
	s_and_saveexec_b64 s[6:7], s[4:5]
	s_cbranch_execz .LBB288_66
; %bb.65:
	v_add_u32_e32 v0, s40, v12
	v_ashrrev_i32_e32 v1, 31, v0
	v_mul_lo_u32 v2, v1, s28
	v_mul_lo_u32 v3, v0, s29
	v_mad_u64_u32 v[0:1], s[14:15], v0, s28, 0
	v_add3_u32 v1, v1, v3, v2
	v_lshl_add_u64 v[0:1], v[0:1], 2, s[10:11]
	global_load_dword v0, v[0:1], off
	s_waitcnt vmcnt(0)
	v_sub_f32_e32 v0, s12, v0
	v_exp_f32_e32 v15, v0
.LBB288_66:
	s_or_b64 exec, exec, s[6:7]
	v_or_b32_e32 v4, s30, v45
	s_add_u32 s6, s8, s24
	v_accvgpr_read_b32 v0, a4
	s_addc_u32 s7, s9, s25
	v_ashrrev_i32_e32 v5, 31, v4
	v_accvgpr_read_b32 v1, a5
	v_accvgpr_read_b32 v2, a6
	;; [unrolled: 1-line block ×3, first 2 shown]
	v_lshl_add_u64 v[4:5], v[4:5], 1, s[6:7]
	v_mov_b32_e32 v9, 0
	v_lshlrev_b32_e32 v6, 8, v18
	v_mov_b32_e32 v7, 0
	s_and_saveexec_b64 s[6:7], vcc
	s_cbranch_execz .LBB288_68
; %bb.67:
	v_mov_b32_e32 v7, 0
	v_lshl_add_u64 v[20:21], v[4:5], 0, v[6:7]
	global_load_ushort v7, v[20:21], off
	s_waitcnt vmcnt(0)
	v_lshlrev_b32_e32 v7, 16, v7
	v_sub_f32_e32 v0, v7, v0
	v_mul_f32_e32 v0, v16, v0
	v_lshrrev_b32_e32 v7, 16, v0
.LBB288_68:
	s_or_b64 exec, exec, s[6:7]
	v_lshlrev_b32_e32 v8, 8, v8
	s_and_saveexec_b64 s[6:7], s[0:1]
	s_cbranch_execz .LBB288_70
; %bb.69:
	v_mov_b32_e32 v9, 0
	v_lshl_add_u64 v[20:21], v[4:5], 0, v[8:9]
	global_load_ushort v0, v[20:21], off
	s_waitcnt vmcnt(0)
	v_lshlrev_b32_e32 v0, 16, v0
	v_sub_f32_e32 v0, v0, v1
	v_mul_f32_e32 v0, v14, v0
	v_lshrrev_b32_e32 v9, 16, v0
.LBB288_70:
	s_or_b64 exec, exec, s[6:7]
	v_mov_b32_e32 v13, 0
	v_lshlrev_b32_e32 v10, 8, v10
	v_mov_b32_e32 v11, 0
	s_and_saveexec_b64 s[6:7], s[2:3]
	s_cbranch_execz .LBB288_72
; %bb.71:
	v_mov_b32_e32 v11, 0
	v_lshl_add_u64 v[0:1], v[4:5], 0, v[10:11]
	global_load_ushort v0, v[0:1], off
	s_waitcnt vmcnt(0)
	v_lshlrev_b32_e32 v0, 16, v0
	v_sub_f32_e32 v0, v0, v2
	v_mul_f32_e32 v0, v17, v0
	v_lshrrev_b32_e32 v11, 16, v0
.LBB288_72:
	s_or_b64 exec, exec, s[6:7]
	v_lshlrev_b32_e32 v12, 8, v12
	s_and_saveexec_b64 s[6:7], s[4:5]
	s_cbranch_execz .LBB288_74
; %bb.73:
	v_mov_b32_e32 v13, 0
	v_lshl_add_u64 v[0:1], v[4:5], 0, v[12:13]
	global_load_ushort v0, v[0:1], off
	s_waitcnt vmcnt(0)
	v_lshlrev_b32_e32 v0, 16, v0
	v_sub_f32_e32 v0, v0, v3
	v_mul_f32_e32 v0, v15, v0
	v_lshrrev_b32_e32 v13, 16, v0
.LBB288_74:
	s_or_b64 exec, exec, s[6:7]
	v_lshlrev_b32_e32 v18, 5, v18
	s_mov_b32 s6, 0x5040100
	v_perm_b32 v20, v9, v7, s6
	v_or_b32_e32 v7, v18, v22
	v_accvgpr_read_b32 v0, a0
	v_perm_b32 v21, v13, v11, s6
	v_lshlrev_b32_e32 v7, 1, v7
	v_accvgpr_read_b32 v1, a1
	v_accvgpr_read_b32 v2, a2
	;; [unrolled: 1-line block ×3, first 2 shown]
	ds_write_b64 v7, v[20:21] offset:45056
	v_mov_b32_e32 v9, 0
	v_mov_b32_e32 v7, 0
	s_and_saveexec_b64 s[6:7], vcc
	s_cbranch_execz .LBB288_76
; %bb.75:
	v_mov_b32_e32 v7, 0
	v_lshl_add_u64 v[6:7], v[4:5], 0, v[6:7]
	global_load_ushort v6, v[6:7], off offset:32
	s_waitcnt vmcnt(0)
	v_lshlrev_b32_e32 v6, 16, v6
	v_sub_f32_e32 v0, v6, v0
	v_mul_f32_e32 v0, v16, v0
	v_lshrrev_b32_e32 v7, 16, v0
.LBB288_76:
	s_or_b64 exec, exec, s[6:7]
	s_and_saveexec_b64 s[6:7], s[0:1]
	s_cbranch_execz .LBB288_78
; %bb.77:
	v_mov_b32_e32 v9, 0
	v_lshl_add_u64 v[8:9], v[4:5], 0, v[8:9]
	global_load_ushort v0, v[8:9], off offset:32
	s_waitcnt vmcnt(0)
	v_lshlrev_b32_e32 v0, 16, v0
	v_sub_f32_e32 v0, v0, v1
	v_mul_f32_e32 v0, v14, v0
	v_lshrrev_b32_e32 v9, 16, v0
.LBB288_78:
	s_or_b64 exec, exec, s[6:7]
	v_mov_b32_e32 v0, 0
	v_mov_b32_e32 v1, 0
	s_and_saveexec_b64 s[0:1], s[2:3]
	s_cbranch_execz .LBB288_80
; %bb.79:
	v_mov_b32_e32 v11, 0
	v_lshl_add_u64 v[10:11], v[4:5], 0, v[10:11]
	global_load_ushort v1, v[10:11], off offset:32
	s_waitcnt vmcnt(0)
	v_lshlrev_b32_e32 v1, 16, v1
	v_sub_f32_e32 v1, v1, v2
	v_mul_f32_e32 v1, v17, v1
	v_lshrrev_b32_e32 v1, 16, v1
.LBB288_80:
	s_or_b64 exec, exec, s[0:1]
	s_and_saveexec_b64 s[0:1], s[4:5]
	s_cbranch_execz .LBB288_82
; %bb.81:
	v_mov_b32_e32 v13, 0
	v_lshl_add_u64 v[4:5], v[4:5], 0, v[12:13]
	global_load_ushort v0, v[4:5], off offset:32
	s_waitcnt vmcnt(0)
	v_lshlrev_b32_e32 v0, 16, v0
	v_sub_f32_e32 v0, v0, v3
	v_mul_f32_e32 v0, v15, v0
	v_lshrrev_b32_e32 v0, 16, v0
.LBB288_82:
	s_or_b64 exec, exec, s[0:1]
	s_mov_b32 s0, 0x5040100
	v_or_b32_e32 v2, v18, v19
	v_perm_b32 v1, v0, v1, s0
	v_perm_b32 v0, v9, v7, s0
	v_lshlrev_b32_e32 v2, 1, v2
	ds_write_b64 v2, v[0:1] offset:45056
	s_waitcnt lgkmcnt(0)
	s_barrier
.LBB288_83:
	s_endpgm
	.section	.rodata,"a",@progbits
	.p2align	6, 0x0
	.amdhsa_kernel _ZN12_GLOBAL__N_139chunk_gated_delta_rule_fwd_h_hip_kernelILi32ELb0ELb0ELb0ELb0ELb1ELb1ELb0ELb1EEEvPK12hip_bfloat16S3_S3_PKfS5_PKvPS1_S8_PvPKiSB_iiiiilll
		.amdhsa_group_segment_fixed_size 49152
		.amdhsa_private_segment_fixed_size 0
		.amdhsa_kernarg_size 136
		.amdhsa_user_sgpr_count 2
		.amdhsa_user_sgpr_dispatch_ptr 0
		.amdhsa_user_sgpr_queue_ptr 0
		.amdhsa_user_sgpr_kernarg_segment_ptr 1
		.amdhsa_user_sgpr_dispatch_id 0
		.amdhsa_user_sgpr_kernarg_preload_length 0
		.amdhsa_user_sgpr_kernarg_preload_offset 0
		.amdhsa_user_sgpr_private_segment_size 0
		.amdhsa_uses_dynamic_stack 0
		.amdhsa_enable_private_segment 0
		.amdhsa_system_sgpr_workgroup_id_x 1
		.amdhsa_system_sgpr_workgroup_id_y 1
		.amdhsa_system_sgpr_workgroup_id_z 0
		.amdhsa_system_sgpr_workgroup_info 0
		.amdhsa_system_vgpr_workitem_id 0
		.amdhsa_next_free_vgpr 160
		.amdhsa_next_free_sgpr 65
		.amdhsa_accum_offset 140
		.amdhsa_reserve_vcc 1
		.amdhsa_float_round_mode_32 0
		.amdhsa_float_round_mode_16_64 0
		.amdhsa_float_denorm_mode_32 3
		.amdhsa_float_denorm_mode_16_64 3
		.amdhsa_dx10_clamp 1
		.amdhsa_ieee_mode 1
		.amdhsa_fp16_overflow 0
		.amdhsa_tg_split 0
		.amdhsa_exception_fp_ieee_invalid_op 0
		.amdhsa_exception_fp_denorm_src 0
		.amdhsa_exception_fp_ieee_div_zero 0
		.amdhsa_exception_fp_ieee_overflow 0
		.amdhsa_exception_fp_ieee_underflow 0
		.amdhsa_exception_fp_ieee_inexact 0
		.amdhsa_exception_int_div_zero 0
	.end_amdhsa_kernel
	.section	.text._ZN12_GLOBAL__N_139chunk_gated_delta_rule_fwd_h_hip_kernelILi32ELb0ELb0ELb0ELb0ELb1ELb1ELb0ELb1EEEvPK12hip_bfloat16S3_S3_PKfS5_PKvPS1_S8_PvPKiSB_iiiiilll,"axG",@progbits,_ZN12_GLOBAL__N_139chunk_gated_delta_rule_fwd_h_hip_kernelILi32ELb0ELb0ELb0ELb0ELb1ELb1ELb0ELb1EEEvPK12hip_bfloat16S3_S3_PKfS5_PKvPS1_S8_PvPKiSB_iiiiilll,comdat
.Lfunc_end288:
	.size	_ZN12_GLOBAL__N_139chunk_gated_delta_rule_fwd_h_hip_kernelILi32ELb0ELb0ELb0ELb0ELb1ELb1ELb0ELb1EEEvPK12hip_bfloat16S3_S3_PKfS5_PKvPS1_S8_PvPKiSB_iiiiilll, .Lfunc_end288-_ZN12_GLOBAL__N_139chunk_gated_delta_rule_fwd_h_hip_kernelILi32ELb0ELb0ELb0ELb0ELb1ELb1ELb0ELb1EEEvPK12hip_bfloat16S3_S3_PKfS5_PKvPS1_S8_PvPKiSB_iiiiilll
                                        ; -- End function
	.section	.AMDGPU.csdata,"",@progbits
; Kernel info:
; codeLenInByte = 8608
; NumSgprs: 71
; NumVgprs: 140
; NumAgprs: 20
; TotalNumVgprs: 160
; ScratchSize: 0
; MemoryBound: 0
; FloatMode: 240
; IeeeMode: 1
; LDSByteSize: 49152 bytes/workgroup (compile time only)
; SGPRBlocks: 8
; VGPRBlocks: 19
; NumSGPRsForWavesPerEU: 71
; NumVGPRsForWavesPerEU: 160
; AccumOffset: 140
; Occupancy: 1
; WaveLimiterHint : 1
; COMPUTE_PGM_RSRC2:SCRATCH_EN: 0
; COMPUTE_PGM_RSRC2:USER_SGPR: 2
; COMPUTE_PGM_RSRC2:TRAP_HANDLER: 0
; COMPUTE_PGM_RSRC2:TGID_X_EN: 1
; COMPUTE_PGM_RSRC2:TGID_Y_EN: 1
; COMPUTE_PGM_RSRC2:TGID_Z_EN: 0
; COMPUTE_PGM_RSRC2:TIDIG_COMP_CNT: 0
; COMPUTE_PGM_RSRC3_GFX90A:ACCUM_OFFSET: 34
; COMPUTE_PGM_RSRC3_GFX90A:TG_SPLIT: 0
	.section	.text._ZN12_GLOBAL__N_139chunk_gated_delta_rule_fwd_h_hip_kernelILi32ELb1ELb1ELb1ELb1ELb1ELb0ELb1ELb1EEEvPK12hip_bfloat16S3_S3_PKfS5_PKvPS1_S8_PvPKiSB_iiiiilll,"axG",@progbits,_ZN12_GLOBAL__N_139chunk_gated_delta_rule_fwd_h_hip_kernelILi32ELb1ELb1ELb1ELb1ELb1ELb0ELb1ELb1EEEvPK12hip_bfloat16S3_S3_PKfS5_PKvPS1_S8_PvPKiSB_iiiiilll,comdat
	.globl	_ZN12_GLOBAL__N_139chunk_gated_delta_rule_fwd_h_hip_kernelILi32ELb1ELb1ELb1ELb1ELb1ELb0ELb1ELb1EEEvPK12hip_bfloat16S3_S3_PKfS5_PKvPS1_S8_PvPKiSB_iiiiilll ; -- Begin function _ZN12_GLOBAL__N_139chunk_gated_delta_rule_fwd_h_hip_kernelILi32ELb1ELb1ELb1ELb1ELb1ELb0ELb1ELb1EEEvPK12hip_bfloat16S3_S3_PKfS5_PKvPS1_S8_PvPKiSB_iiiiilll
	.p2align	8
	.type	_ZN12_GLOBAL__N_139chunk_gated_delta_rule_fwd_h_hip_kernelILi32ELb1ELb1ELb1ELb1ELb1ELb0ELb1ELb1EEEvPK12hip_bfloat16S3_S3_PKfS5_PKvPS1_S8_PvPKiSB_iiiiilll,@function
_ZN12_GLOBAL__N_139chunk_gated_delta_rule_fwd_h_hip_kernelILi32ELb1ELb1ELb1ELb1ELb1ELb0ELb1ELb1EEEvPK12hip_bfloat16S3_S3_PKfS5_PKvPS1_S8_PvPKiSB_iiiiilll: ; @_ZN12_GLOBAL__N_139chunk_gated_delta_rule_fwd_h_hip_kernelILi32ELb1ELb1ELb1ELb1ELb1ELb0ELb1ELb1EEEvPK12hip_bfloat16S3_S3_PKfS5_PKvPS1_S8_PvPKiSB_iiiiilll
; %bb.0:
	s_load_dwordx4 s[20:23], s[0:1], 0x5c
	s_load_dwordx4 s[4:7], s[0:1], 0x48
	s_abs_i32 s9, s3
	s_ashr_i32 s8, s3, 31
	v_and_b32_e32 v68, 15, v0
	s_waitcnt lgkmcnt(0)
	s_abs_i32 s10, s21
	v_cvt_f32_u32_e32 v1, s10
	s_sub_i32 s12, 0, s10
	s_ashr_i32 s11, s21, 31
	s_xor_b32 s8, s8, s11
	v_rcp_iflag_f32_e32 v1, v1
	v_bfe_u32 v67, v0, 4, 2
	v_mov_b32_e32 v51, 0
	v_lshlrev_b32_e32 v69, 3, v0
	v_mul_f32_e32 v1, 0x4f7ffffe, v1
	v_cvt_u32_f32_e32 v1, v1
	s_nop 0
	v_readfirstlane_b32 s13, v1
	s_mul_i32 s12, s12, s13
	s_mul_hi_u32 s12, s13, s12
	s_add_i32 s13, s13, s12
	s_mul_hi_u32 s12, s9, s13
	s_mul_i32 s13, s12, s10
	s_sub_i32 s9, s9, s13
	s_add_i32 s14, s12, 1
	s_sub_i32 s13, s9, s10
	s_cmp_ge_u32 s9, s10
	s_cselect_b32 s12, s14, s12
	s_cselect_b32 s9, s13, s9
	s_add_i32 s13, s12, 1
	s_cmp_ge_u32 s9, s10
	s_cselect_b32 s9, s13, s12
	s_xor_b32 s9, s9, s8
	s_sub_i32 s28, s9, s8
	s_mul_i32 s12, s28, s21
	s_ashr_i32 s29, s28, 31
	s_sub_i32 s51, s3, s12
	s_lshl_b64 s[8:9], s[28:29], 2
	s_add_u32 s4, s4, s8
	s_addc_u32 s5, s5, s9
	s_add_u32 s30, s6, s8
	s_addc_u32 s31, s7, s9
	s_abs_i32 s3, s22
	v_cvt_f32_u32_e32 v1, s3
	s_load_dwordx2 s[38:39], s[4:5], 0x0
	s_sub_i32 s5, 0, s3
	s_lshl_b32 s2, s2, 5
	v_rcp_iflag_f32_e32 v1, v1
	v_or_b32_e32 v56, s2, v68
	s_waitcnt lgkmcnt(0)
	s_sub_i32 s54, s39, s38
	s_ashr_i32 s4, s54, 31
	v_mul_f32_e32 v1, 0x4f7ffffe, v1
	v_cvt_u32_f32_e32 v1, v1
	s_lshr_b32 s4, s4, 26
	s_add_i32 s4, s54, s4
	s_ashr_i32 s52, s4, 6
	v_readfirstlane_b32 s6, v1
	s_mul_i32 s5, s5, s6
	s_mul_hi_u32 s5, s6, s5
	s_add_i32 s6, s6, s5
	s_mul_hi_u32 s5, s10, s6
	s_mul_i32 s6, s5, s3
	s_ashr_i32 s4, s22, 31
	s_sub_i32 s6, s10, s6
	s_xor_b32 s4, s11, s4
	s_add_i32 s7, s5, 1
	s_sub_i32 s8, s6, s3
	s_cmp_ge_u32 s6, s3
	s_cselect_b32 s5, s7, s5
	s_cselect_b32 s6, s8, s6
	s_add_i32 s7, s5, 1
	s_cmp_ge_u32 s6, s3
	s_cselect_b32 s3, s7, s5
	s_xor_b32 s3, s3, s4
	s_sub_i32 s3, s3, s4
	s_abs_i32 s13, s3
	v_cvt_f32_u32_e32 v1, s13
	s_sub_i32 s15, 0, s13
	s_abs_i32 s14, s51
	s_xor_b32 s3, s51, s3
	v_rcp_iflag_f32_e32 v2, v1
	s_ashr_i32 s3, s3, 31
	s_load_dwordx8 s[4:11], s[0:1], 0x28
	v_lshrrev_b32_e32 v1, 6, v0
	v_mul_f32_e32 v2, 0x4f7ffffe, v2
	v_cvt_u32_f32_e32 v2, v2
	v_lshlrev_b32_e32 v52, 7, v56
	v_lshlrev_b32_e32 v66, 4, v1
	v_or_b32_e32 v54, 0x800, v52
	v_readfirstlane_b32 s16, v2
	s_mul_i32 s15, s15, s16
	s_mul_hi_u32 s15, s16, s15
	s_add_i32 s16, s16, s15
	s_mul_hi_u32 s15, s14, s16
	s_mul_i32 s16, s15, s13
	s_sub_i32 s14, s14, s16
	s_add_i32 s16, s15, 1
	s_sub_i32 s17, s14, s13
	s_cmp_ge_u32 s14, s13
	s_cselect_b32 s15, s16, s15
	s_cselect_b32 s14, s17, s14
	s_add_i32 s16, s15, 1
	s_cmp_ge_u32 s14, s13
	s_cselect_b32 s13, s16, s15
	s_xor_b32 s13, s13, s3
	s_sub_i32 s55, s13, s3
	s_ashr_i32 s53, s51, 31
	s_mul_hi_i32 s3, s28, s21
	s_add_u32 s12, s12, s51
	s_addc_u32 s13, s3, s53
	s_lshl_b64 s[34:35], s[12:13], 15
	s_waitcnt lgkmcnt(0)
	s_add_u32 s4, s4, s34
	v_lshl_or_b32 v71, v67, 2, v66
	s_addc_u32 s5, s5, s35
	v_ashrrev_i32_e32 v53, 31, v52
	v_ashrrev_i32_e32 v55, 31, v54
	v_lshl_add_u64 v[2:3], v[52:53], 1, s[4:5]
	v_lshlrev_b32_e32 v50, 1, v71
	v_lshl_add_u64 v[6:7], v[54:55], 1, s[4:5]
	v_lshl_add_u64 v[2:3], v[2:3], 0, v[50:51]
	v_lshl_add_u64 v[6:7], v[6:7], 0, v[50:51]
	global_load_dwordx2 v[4:5], v[2:3], off
	v_and_b32_e32 v51, 63, v0
	global_load_dwordx2 v[2:3], v[2:3], off offset:128
	s_nop 0
	global_load_dwordx2 v[8:9], v[6:7], off
	global_load_dwordx2 v[10:11], v[6:7], off offset:128
	s_load_dwordx8 s[12:19], s[0:1], 0x0
	s_load_dwordx2 s[36:37], s[0:1], 0x80
	s_load_dwordx4 s[24:27], s[0:1], 0x70
	s_load_dword s58, s[30:31], 0x0
	v_lshrrev_b32_e32 v70, 3, v51
	v_or_b32_e32 v72, 64, v71
	s_mul_hi_i32 s56, s51, s20
	s_waitcnt lgkmcnt(0)
	s_mul_i32 s33, s28, s25
	s_mul_hi_u32 s46, s28, s24
	s_mul_i32 s40, s28, s24
	s_mul_i32 s47, s29, s24
	s_mul_i32 s57, s51, s20
	s_mul_i32 s48, s51, s27
	s_mul_hi_u32 s49, s51, s26
	s_mul_i32 s50, s53, s26
	s_cmp_lt_i32 s54, 64
	s_mul_i32 s42, s51, s26
	s_waitcnt vmcnt(3)
	v_and_b32_e32 v19, 0xffff0000, v4
	v_lshlrev_b32_e32 v18, 16, v4
	v_and_b32_e32 v21, 0xffff0000, v5
	v_lshlrev_b32_e32 v20, 16, v5
	s_waitcnt vmcnt(2)
	v_and_b32_e32 v23, 0xffff0000, v2
	v_lshlrev_b32_e32 v22, 16, v2
	v_and_b32_e32 v25, 0xffff0000, v3
	v_lshlrev_b32_e32 v24, 16, v3
	;; [unrolled: 5-line block ×4, first 2 shown]
	s_cbranch_scc1 .LBB289_3
; %bb.1:
	s_ashr_i32 s1, s38, 31
	s_add_u32 s0, s57, s38
	s_addc_u32 s1, s56, s1
	s_lshl_b64 s[0:1], s[0:1], 8
	v_and_b32_e32 v74, 56, v69
	s_add_u32 s24, s14, s0
	v_lshl_or_b32 v73, v1, 3, v70
	v_lshlrev_b32_e32 v2, 1, v74
	s_addc_u32 s0, s15, s1
	v_lshl_or_b32 v75, v73, 8, v2
	s_and_b32 s25, s0, 0xffff
	s_mov_b32 s27, 0x20000
	s_movk_i32 s26, 0x4000
	s_movk_i32 s0, 0x80
	v_or_b32_e32 v76, 0x2000, v75
	buffer_load_dwordx4 v[4:7], v75, s[24:27], 0 offen
	buffer_load_dwordx4 v[8:11], v75, s[24:27], s0 offen
	;; [unrolled: 1-line block ×4, first 2 shown]
	v_lshlrev_b32_e32 v3, 3, v73
	v_and_or_b32 v17, v0, 7, v3
	v_and_b32_e32 v3, 0x78, v3
	v_lshlrev_b32_e32 v17, 4, v17
	v_xor_b32_e32 v77, v17, v3
	v_mul_lo_u32 v16, v73, s23
	v_or_b32_e32 v78, 0x1000, v77
	v_xor_b32_e32 v3, 8, v77
	s_cmpk_eq_i32 s23, 0x80
	s_mov_b32 s59, s38
	v_xor_b32_e32 v17, 8, v78
	s_cselect_b64 s[0:1], -1, 0
	s_cmpk_lg_i32 s23, 0x80
	s_waitcnt vmcnt(3)
	ds_write_b64 v77, v[4:5] offset:24576
	ds_write_b64 v3, v[6:7] offset:24576
	s_waitcnt vmcnt(2)
	ds_write_b64 v77, v[8:9] offset:32768
	ds_write_b64 v3, v[10:11] offset:32768
	;; [unrolled: 3-line block ×4, first 2 shown]
	v_lshl_add_u32 v3, v16, 1, v74
	s_cbranch_scc0 .LBB289_29
; %bb.2:
	v_lshlrev_b32_e32 v5, 1, v3
	v_add_lshl_u32 v4, v3, s23, 1
	s_lshl_b32 s26, s23, 7
	v_lshl_or_b32 v2, v73, 9, v2
	s_cbranch_execz .LBB289_30
	s_branch .LBB289_31
.LBB289_3:
	v_mov_b64_e32 v[2:3], v[18:19]
	v_mov_b64_e32 v[4:5], v[20:21]
	;; [unrolled: 1-line block ×8, first 2 shown]
.LBB289_4:
	s_lshl_b32 s30, s52, 6
	s_sub_i32 s31, s54, s30
	s_cmp_gt_i32 s31, 0
	s_cbranch_scc0 .LBB289_83
; %bb.5:
	s_add_i32 s30, s30, s38
	s_ashr_i32 s3, s30, 31
	s_cmpk_lg_i32 s23, 0x80
	s_cselect_b64 s[26:27], -1, 0
	s_and_b64 vcc, exec, s[26:27]
	s_cbranch_vccz .LBB289_7
; %bb.6:
	s_mul_i32 s1, s30, s22
	s_ashr_i32 s4, s55, 31
	s_mul_hi_i32 s0, s30, s22
	s_add_u32 s28, s1, s55
	s_addc_u32 s29, s0, s4
	s_cbranch_execz .LBB289_8
	s_branch .LBB289_9
.LBB289_7:
                                        ; implicit-def: $sgpr28_sgpr29
.LBB289_8:
	s_mul_i32 s1, s55, s20
	s_mul_hi_i32 s0, s55, s20
	s_add_u32 s28, s1, s30
	s_addc_u32 s29, s0, s3
.LBB289_9:
	s_add_i32 s4, s52, s58
	s_add_u32 s0, s57, s30
	v_lshlrev_b32_e32 v22, 5, v71
	v_lshlrev_b32_e32 v38, 2, v68
	s_addc_u32 s1, s56, s3
	s_mov_b32 s3, 0x7060302
	v_or_b32_e32 v25, v22, v38
	v_xor_b32_e32 v23, v71, v38
	v_perm_b32 v19, v5, v4, s3
	v_perm_b32 v18, v3, v2, s3
	;; [unrolled: 1-line block ×4, first 2 shown]
	v_lshlrev_b32_e32 v25, 1, v25
	v_xor_b32_e32 v24, v72, v38
	ds_write2st64_b64 v25, v[18:19], v[20:21] offset0:80 offset1:88
	v_lshlrev_b32_e32 v23, 1, v23
	v_lshlrev_b32_e32 v25, 8, v68
	s_lshl_b64 s[24:25], s[0:1], 8
	v_or_b32_e32 v26, v23, v25
	v_lshlrev_b32_e32 v24, 1, v24
	s_add_u32 s0, s14, s24
	ds_write_b64 v26, v[18:19]
	v_or_b32_e32 v18, v24, v25
	s_addc_u32 s1, s15, s25
	ds_write_b64 v18, v[20:21]
	v_perm_b32 v19, v13, v12, s3
	v_perm_b32 v18, v11, v10, s3
	;; [unrolled: 1-line block ×4, first 2 shown]
	v_or_b32_e32 v25, 16, v68
	s_mul_hi_i32 s3, s4, s21
	s_mul_i32 s4, s4, s21
	v_lshlrev_b32_e32 v35, 2, v25
	s_add_u32 s4, s4, s51
	v_or_b32_e32 v22, v22, v35
	s_addc_u32 s5, s3, s53
	v_lshlrev_b32_e32 v22, 1, v22
	s_ashr_i32 s3, s2, 31
	s_lshl_b64 s[4:5], s[4:5], 15
	ds_write2st64_b64 v22, v[18:19], v[20:21] offset0:80 offset1:88
	v_lshlrev_b32_e32 v22, 8, v25
	s_add_u32 s4, s6, s4
	v_or_b32_e32 v23, v23, v22
	s_addc_u32 s5, s7, s5
	s_lshl_b64 s[2:3], s[2:3], 8
	ds_write_b64 v23, v[18:19]
	v_or_b32_e32 v18, v24, v22
	s_add_u32 s2, s4, s2
	ds_write_b64 v18, v[20:21]
	v_lshrrev_b32_e32 v18, 4, v0
	s_addc_u32 s3, s5, s3
	v_lshlrev_b32_e32 v19, 1, v68
	v_lshlrev_b32_e32 v26, 4, v68
	v_mov_b32_e32 v27, 0
	v_or_b32_e32 v20, 1, v19
	v_xor_b32_e32 v19, v18, v19
	v_lshl_add_u64 v[28:29], s[2:3], 0, v[26:27]
	v_lshlrev_b32_e32 v26, 8, v18
	v_xor_b32_e32 v22, v20, v18
	v_lshl_or_b32 v18, v19, 3, v26
	s_waitcnt lgkmcnt(0)
	s_barrier
	ds_read2st64_b64 v[18:21], v18 offset1:8
	v_lshl_or_b32 v22, v22, 3, v26
	ds_read2st64_b64 v[22:25], v22 offset1:8
	v_lshl_add_u64 v[30:31], v[28:29], 0, v[26:27]
	s_movk_i32 s2, 0x1000
	s_waitcnt lgkmcnt(1)
	v_mov_b32_e32 v26, v18
	v_add_co_u32_e32 v18, vcc, s2, v30
	s_cmp_lg_u32 s31, 64
	v_mov_b32_e32 v27, v19
	v_addc_co_u32_e32 v19, vcc, 0, v31, vcc
	s_cselect_b64 s[14:15], -1, 0
	v_lshl_or_b32 v42, v1, 3, v70
	s_waitcnt lgkmcnt(0)
	v_mov_b32_e32 v28, v22
	v_mov_b32_e32 v29, v23
	;; [unrolled: 1-line block ×4, first 2 shown]
	s_mov_b32 s4, 0
	v_or_b32_e32 v36, 32, v42
	v_and_b32_e32 v34, 56, v69
	s_and_b64 vcc, exec, s[14:15]
	global_store_dwordx4 v[30:31], v[26:29], off
	global_store_dwordx4 v[18:19], v[22:25], off
	s_cbranch_vccz .LBB289_15
; %bb.10:
	s_mov_b32 s6, s4
	s_mov_b32 s7, s4
	;; [unrolled: 1-line block ×3, first 2 shown]
	v_mov_b64_e32 v[24:25], s[6:7]
	v_mov_b64_e32 v[22:23], s[4:5]
	;; [unrolled: 1-line block ×3, first 2 shown]
	v_cmp_gt_i32_e32 vcc, s31, v42
	v_mov_b64_e32 v[20:21], v[24:25]
	s_and_saveexec_b64 s[2:3], vcc
	s_cbranch_execz .LBB289_12
; %bb.11:
	v_lshlrev_b32_e32 v18, 8, v42
	v_mov_b32_e32 v19, 0
	v_lshl_add_u64 v[20:21], s[0:1], 0, v[18:19]
	v_lshlrev_b32_e32 v18, 1, v34
	v_lshl_add_u64 v[26:27], v[20:21], 0, v[18:19]
	global_load_dwordx4 v[22:25], v[26:27], off
	global_load_dwordx4 v[18:21], v[26:27], off offset:128
.LBB289_12:
	s_or_b64 exec, exec, s[2:3]
	s_mov_b32 s6, s4
	s_mov_b32 s7, s4
	;; [unrolled: 1-line block ×3, first 2 shown]
	v_mov_b64_e32 v[32:33], s[6:7]
	v_mov_b64_e32 v[30:31], s[4:5]
	v_mov_b64_e32 v[26:27], v[30:31]
	v_cmp_gt_i32_e32 vcc, s31, v36
	v_lshlrev_b32_e32 v37, 7, v36
	v_mov_b64_e32 v[28:29], v[32:33]
	s_and_saveexec_b64 s[2:3], vcc
	s_cbranch_execz .LBB289_14
; %bb.13:
	v_lshlrev_b32_e32 v26, 1, v37
	v_mov_b32_e32 v27, 0
	v_lshl_add_u64 v[28:29], s[0:1], 0, v[26:27]
	v_lshlrev_b32_e32 v26, 1, v34
	v_lshl_add_u64 v[40:41], v[28:29], 0, v[26:27]
	global_load_dwordx4 v[30:33], v[40:41], off
	global_load_dwordx4 v[26:29], v[40:41], off offset:128
.LBB289_14:
	s_or_b64 exec, exec, s[2:3]
	v_lshrrev_b32_e32 v39, 3, v34
	v_lshlrev_b32_e32 v40, 3, v42
	v_or_b32_e32 v39, v40, v39
	v_lshlrev_b32_e32 v39, 4, v39
	v_and_b32_e32 v40, 0x78, v40
	v_xor_b32_e32 v39, v39, v40
	s_branch .LBB289_17
.LBB289_15:
                                        ; implicit-def: $vgpr39
                                        ; implicit-def: $vgpr37
                                        ; implicit-def: $vgpr22_vgpr23_vgpr24_vgpr25
                                        ; implicit-def: $vgpr18_vgpr19_vgpr20_vgpr21
                                        ; implicit-def: $vgpr30_vgpr31_vgpr32_vgpr33
                                        ; implicit-def: $vgpr26_vgpr27_vgpr28_vgpr29
	s_cbranch_execz .LBB289_17
; %bb.16:
	s_waitcnt vmcnt(0)
	v_lshlrev_b32_e32 v18, 1, v34
	v_lshl_or_b32 v37, v42, 8, v18
	s_and_b32 s1, s1, 0xffff
	s_mov_b32 s3, 0x20000
	s_movk_i32 s2, 0x4000
	v_lshl_or_b32 v39, v36, 8, v18
	s_movk_i32 s4, 0x80
	buffer_load_dwordx4 v[22:25], v37, s[0:3], 0 offen
	buffer_load_dwordx4 v[18:21], v37, s[0:3], s4 offen
	;; [unrolled: 1-line block ×4, first 2 shown]
	v_lshrrev_b32_e32 v37, 3, v34
	v_lshlrev_b32_e32 v39, 3, v42
	v_or_b32_e32 v37, v39, v37
	v_lshlrev_b32_e32 v37, 4, v37
	v_and_b32_e32 v39, 0x78, v39
	v_xor_b32_e32 v39, v37, v39
	v_lshlrev_b32_e32 v37, 7, v36
.LBB289_17:
	s_lshl_b64 s[0:1], s[28:29], 8
	s_add_u32 s4, s12, s0
	s_movk_i32 s0, 0x1000
	v_and_or_b32 v36, v37, s0, v39
	s_waitcnt vmcnt(1)
	ds_write_b64 v39, v[22:23] offset:24576
	v_xor_b32_e32 v22, 8, v39
	ds_write_b64 v22, v[24:25] offset:24576
	s_waitcnt vmcnt(0)
	ds_write_b64 v39, v[18:19] offset:32768
	ds_write_b64 v22, v[20:21] offset:32768
	;; [unrolled: 1-line block ×3, first 2 shown]
	v_xor_b32_e32 v18, 8, v36
	ds_write_b64 v18, v[32:33] offset:24576
	ds_write_b64 v36, v[26:27] offset:32768
	;; [unrolled: 1-line block ×3, first 2 shown]
	v_or_b32_e32 v18, v66, v68
	v_lshlrev_b32_e32 v18, 3, v18
	v_lshrrev_b32_e32 v19, 5, v51
	s_movk_i32 s3, 0xf8
	v_and_or_b32 v19, v18, s3, v19
	v_lshlrev_b32_e32 v23, 4, v19
	v_lshlrev_b32_e32 v39, 11, v1
	v_and_b32_e32 v24, 0x78, v18
	v_or_b32_e32 v26, 32, v23
	v_and_b32_e32 v22, 0x1000, v39
	v_lshrrev_b32_e32 v19, 1, v51
	v_xor_b32_e32 v26, v26, v24
	v_xor_b32_e32 v18, v23, v24
	v_and_b32_e32 v25, 8, v19
	v_or_b32_e32 v26, v26, v22
	v_or_b32_e32 v18, v18, v22
	v_xor_b32_e32 v44, v26, v25
	v_or_b32_e32 v26, 64, v23
	v_xor_b32_e32 v43, v18, v25
	v_xor_b32_e32 v26, v26, v24
	s_waitcnt lgkmcnt(0)
	s_barrier
	v_or_b32_e32 v28, v26, v22
	ds_read_b64 v[26:27], v43 offset:24576
	v_lshl_or_b32 v36, v67, 7, v38
	v_lshlrev_b32_e32 v40, 1, v36
	v_add_u32_e32 v18, 0xa000, v40
	ds_read2_b64 v[18:21], v18 offset1:16
	v_or_b32_e32 v23, 0x60, v23
	v_xor_b32_e32 v23, v23, v24
	s_waitcnt lgkmcnt(0)
	v_mfma_f32_16x16x16_bf16 a[0:3], v[26:27], v[18:19], 0
	v_or_b32_e32 v18, 64, v36
	v_or_b32_e32 v22, v23, v22
	v_lshlrev_b32_e32 v41, 1, v18
	v_xor_b32_e32 v45, v28, v25
	v_xor_b32_e32 v46, v22, v25
	ds_read_b64 v[28:29], v44 offset:24576
	ds_read_b64 v[30:31], v45 offset:24576
	;; [unrolled: 1-line block ×3, first 2 shown]
	v_mfma_f32_16x16x16_bf16 a[4:7], v[26:27], v[20:21], 0
	ds_read2st64_b64 v[18:21], v41 offset0:82 offset1:84
	ds_read2st64_b64 v[22:25], v40 offset0:82 offset1:84
	s_addc_u32 s5, s13, s1
	s_add_i32 s1, s46, s33
	s_add_i32 s0, s39, -1
	s_add_i32 s41, s1, s47
	s_add_i32 s1, s49, s48
	;; [unrolled: 1-line block ×3, first 2 shown]
	s_ashr_i32 s1, s0, 31
	s_mul_i32 s2, s0, s37
	s_mul_hi_u32 s3, s0, s36
	s_add_i32 s2, s3, s2
	s_mul_i32 s1, s1, s36
	s_waitcnt lgkmcnt(1)
	v_mfma_f32_16x16x16_bf16 a[4:7], v[28:29], v[18:19], a[4:7]
	s_add_i32 s1, s2, s1
	s_lshl_b64 s[2:3], s[40:41], 2
	s_add_u32 s6, s18, s2
	s_waitcnt lgkmcnt(0)
	v_mfma_f32_16x16x16_bf16 a[0:3], v[28:29], v[22:23], a[0:3]
	s_addc_u32 s7, s19, s3
	s_lshl_b64 s[2:3], s[42:43], 2
	s_mul_i32 s0, s0, s36
	s_add_u32 s12, s6, s2
	ds_read_b64 v[18:19], v40 offset:44032
	v_mfma_f32_16x16x16_bf16 a[4:7], v[30:31], v[20:21], a[4:7]
	ds_read_b64 v[20:21], v41 offset:44032
	s_addc_u32 s13, s7, s3
	s_lshl_b64 s[0:1], s[0:1], 2
	v_mfma_f32_16x16x16_bf16 a[0:3], v[30:31], v[24:25], a[0:3]
	s_add_u32 s0, s12, s0
	s_addc_u32 s1, s13, s1
	s_load_dword s18, s[0:1], 0x0
	s_waitcnt lgkmcnt(0)
	v_mfma_f32_16x16x16_bf16 a[0:3], v[32:33], v[18:19], a[0:3]
	s_and_b64 vcc, exec, s[26:27]
	v_mfma_f32_16x16x16_bf16 a[4:7], v[32:33], v[20:21], a[4:7]
	s_cbranch_vccz .LBB289_28
; %bb.18:
	v_lshlrev_b32_e32 v36, 1, v42
	s_and_b64 vcc, exec, s[14:15]
	s_cbranch_vccz .LBB289_43
; %bb.19:
	v_cmp_gt_i32_e32 vcc, s31, v36
	v_mov_b32_e32 v22, 0
	v_mov_b32_e32 v18, 0
	;; [unrolled: 1-line block ×5, first 2 shown]
	s_and_saveexec_b64 s[0:1], vcc
	s_cbranch_execz .LBB289_21
; %bb.20:
	v_mad_i64_i32 v[18:19], s[2:3], s23, v36, 0
	v_lshl_add_u64 v[18:19], v[18:19], 1, s[4:5]
	v_lshlrev_b32_e32 v20, 1, v34
	v_mov_b32_e32 v21, 0
	v_lshl_add_u64 v[18:19], v[18:19], 0, v[20:21]
	global_load_dwordx4 v[18:21], v[18:19], off
.LBB289_21:
	s_or_b64 exec, exec, s[0:1]
	v_or_b32_e32 v37, 1, v36
	v_cmp_gt_i32_e64 s[0:1], s31, v37
	v_mov_b32_e32 v23, 0
	v_mov_b32_e32 v24, 0
	;; [unrolled: 1-line block ×3, first 2 shown]
	s_and_saveexec_b64 s[2:3], s[0:1]
	s_cbranch_execz .LBB289_23
; %bb.22:
	v_mad_i64_i32 v[22:23], s[6:7], s23, v37, 0
	v_lshl_add_u64 v[22:23], v[22:23], 1, s[4:5]
	v_lshlrev_b32_e32 v24, 1, v34
	v_mov_b32_e32 v25, 0
	v_lshl_add_u64 v[22:23], v[22:23], 0, v[24:25]
	global_load_dwordx4 v[22:25], v[22:23], off
.LBB289_23:
	s_or_b64 exec, exec, s[2:3]
	v_mov_b32_e32 v33, 0
	v_mov_b32_e32 v26, 0
	;; [unrolled: 1-line block ×5, first 2 shown]
	s_and_saveexec_b64 s[2:3], vcc
	s_cbranch_execz .LBB289_25
; %bb.24:
	v_mad_i64_i32 v[26:27], s[6:7], s23, v36, 0
	v_lshl_add_u64 v[26:27], v[26:27], 1, s[4:5]
	v_lshlrev_b32_e32 v28, 1, v34
	v_mov_b32_e32 v29, 0
	v_lshl_add_u64 v[26:27], v[26:27], 0, v[28:29]
	global_load_dwordx4 v[26:29], v[26:27], off offset:128
.LBB289_25:
	s_or_b64 exec, exec, s[2:3]
	v_mov_b32_e32 v32, 0
	v_mov_b32_e32 v31, 0
	;; [unrolled: 1-line block ×3, first 2 shown]
	s_and_saveexec_b64 s[2:3], s[0:1]
	s_cbranch_execz .LBB289_27
; %bb.26:
	v_mad_i64_i32 v[30:31], s[0:1], s23, v37, 0
	v_lshl_add_u64 v[30:31], v[30:31], 1, s[4:5]
	v_lshlrev_b32_e32 v32, 1, v34
	v_mov_b32_e32 v33, 0
	v_lshl_add_u64 v[30:31], v[30:31], 0, v[32:33]
	global_load_dwordx4 v[30:33], v[30:31], off offset:128
.LBB289_27:
	s_or_b64 exec, exec, s[2:3]
	s_branch .LBB289_45
.LBB289_28:
                                        ; implicit-def: $vgpr21
                                        ; implicit-def: $vgpr25
                                        ; implicit-def: $vgpr29
                                        ; implicit-def: $vgpr33
	v_lshrrev_b32_e32 v47, 2, v51
	s_branch .LBB289_46
.LBB289_29:
                                        ; implicit-def: $vgpr4
                                        ; implicit-def: $vgpr5
                                        ; implicit-def: $sgpr26
	v_lshl_or_b32 v2, v73, 9, v2
.LBB289_30:
	v_or_b32_e32 v4, 0x100, v2
	s_movk_i32 s26, 0x4000
	v_mov_b32_e32 v5, v2
.LBB289_31:
	s_mul_i32 s4, s38, s22
	s_ashr_i32 s60, s55, 31
	s_mul_hi_i32 s3, s38, s22
	s_add_u32 s4, s4, s55
	s_addc_u32 s5, s3, s60
	s_lshl_b64 s[4:5], s[4:5], 8
	s_add_u32 s24, s12, s4
	s_addc_u32 s3, s13, s5
	s_and_b32 s25, s3, 0xffff
	s_movk_i32 s61, 0x80
	buffer_load_dwordx4 v[6:9], v5, s[24:27], 0 offen
	buffer_load_dwordx4 v[10:13], v5, s[24:27], s61 offen
	buffer_load_dwordx4 v[14:17], v4, s[24:27], 0 offen
	buffer_load_dwordx4 v[34:37], v4, s[24:27], s61 offen
	v_and_b32_e32 v4, 6, v0
	v_lshlrev_b32_e32 v39, 6, v71
	v_or_b32_e32 v41, 16, v68
	v_xor_b32_e32 v42, v73, v4
	v_and_b32_e32 v5, 1, v0
	v_lshl_or_b32 v45, v68, 3, v39
	v_lshl_or_b32 v39, v41, 3, v39
	v_lshlrev_b32_e32 v42, 2, v42
	v_lshlrev_b32_e32 v38, 2, v68
	v_or_b32_e32 v81, 0xa000, v39
	v_or_b32_e32 v82, 0xb000, v39
	v_xor_b32_e32 v39, 0x440, v42
	v_cmp_eq_u32_e32 vcc, 0, v5
	s_add_i32 s3, s46, s33
	v_xor_b32_e32 v43, v71, v38
	v_xor_b32_e32 v44, v72, v38
	v_cndmask_b32_e32 v5, v39, v42, vcc
	s_add_i32 s4, s49, s48
	s_add_i32 s41, s3, s47
	s_mov_b32 s62, 0x1000504
	v_lshlrev_b32_e32 v40, 8, v68
	v_lshlrev_b32_e32 v41, 8, v41
	;; [unrolled: 1-line block ×4, first 2 shown]
	v_lshl_or_b32 v4, v4, 10, v5
	s_add_i32 s43, s4, s50
	s_lshl_b64 s[4:5], s[40:41], 2
	s_mov_b32 s63, 0x3020706
	v_or_b32_e32 v79, 0xa000, v45
	v_or_b32_e32 v80, 0xb000, v45
	;; [unrolled: 1-line block ×5, first 2 shown]
	v_xor_b32_e32 v5, 8, v4
	v_xor_b32_e32 v40, 24, v4
	;; [unrolled: 1-line block ×4, first 2 shown]
	s_add_u32 s3, s18, s4
	v_or_b32_e32 v85, v41, v43
	v_xor_b32_e32 v39, 16, v4
	v_xor_b32_e32 v41, 32, v4
	;; [unrolled: 1-line block ×3, first 2 shown]
	v_add_u32_e32 v5, 0x80, v5
	v_add_u32_e32 v40, 0x80, v40
	v_add_u32_e32 v42, 0x80, v42
	v_add_u32_e32 v44, 0x80, v44
	s_addc_u32 s24, s19, s5
	s_lshl_b64 s[4:5], s[42:43], 2
	s_add_u32 s4, s3, s4
	s_movk_i32 s3, 0xf8
	s_addc_u32 s5, s24, s5
	s_lshl_b32 s30, s23, 7
	s_movk_i32 s28, 0x100
	v_mov_b32_e32 v59, 0
	v_lshlrev_b32_e32 v58, 4, v68
	v_cmp_gt_u32_e32 vcc, s28, v0
	v_ashrrev_i32_e32 v57, 31, v56
	s_mov_b32 s64, 0
	s_movk_i32 s41, 0x1000
	s_movk_i32 s26, 0x4000
	s_waitcnt vmcnt(1)
	v_perm_b32 v45, v6, v14, s62
	s_waitcnt vmcnt(0)
	v_perm_b32 v46, v10, v34, s62
	v_perm_b32 v6, v6, v14, s63
	;; [unrolled: 1-line block ×15, first 2 shown]
	ds_write2st64_b32 v4, v45, v46 offset0:32 offset1:64
	ds_write2st64_b32 v5, v6, v10 offset0:32 offset1:64
	;; [unrolled: 1-line block ×8, first 2 shown]
	v_or_b32_e32 v4, v66, v68
	v_lshlrev_b32_e32 v4, 3, v4
	v_lshrrev_b32_e32 v7, 5, v51
	v_and_or_b32 v7, v4, s3, v7
	v_lshlrev_b32_e32 v7, 4, v7
	v_lshlrev_b32_e32 v5, 11, v1
	v_and_b32_e32 v4, 0x78, v4
	v_or_b32_e32 v12, 32, v7
	v_and_b32_e32 v6, 0x1000, v5
	v_lshrrev_b32_e32 v9, 1, v0
	v_xor_b32_e32 v12, v12, v4
	v_and_b32_e32 v10, 8, v9
	v_or_b32_e32 v12, v12, v6
	v_xor_b32_e32 v8, v7, v4
	v_xor_b32_e32 v89, v12, v10
	v_or_b32_e32 v12, 64, v7
	v_or_b32_e32 v7, 0x60, v7
	s_ashr_i32 s3, s2, 31
	v_xor_b32_e32 v12, v12, v4
	v_xor_b32_e32 v4, v7, v4
	s_lshl_b64 s[24:25], s[2:3], 8
	v_or_b32_e32 v8, v8, v6
	v_or_b32_e32 v12, v12, v6
	;; [unrolled: 1-line block ×3, first 2 shown]
	s_add_u32 s24, s6, s24
	v_lshlrev_b32_e32 v6, 1, v68
	v_xor_b32_e32 v91, v12, v10
	v_lshrrev_b32_e32 v12, 4, v0
	s_addc_u32 s25, s7, s25
	v_or_b32_e32 v7, 1, v6
	v_mov_b32_e32 v16, 0x4000
	v_mov_b32_e32 v17, 0x2000
	v_xor_b32_e32 v13, v12, v6
	v_xor_b32_e32 v14, v7, v12
	v_lshl_add_u64 v[6:7], s[24:25], 0, v[58:59]
	v_lshlrev_b32_e32 v58, 8, v12
	v_cndmask_b32_e32 v16, v16, v17, vcc
	v_lshlrev_b32_e32 v17, 3, v1
	v_and_b32_e32 v9, 24, v9
	v_lshl_or_b32 v95, v13, 3, v58
	v_and_b32_e32 v13, 8, v0
	v_xor_b32_e32 v34, v17, v9
	v_or_b32_e32 v35, 0x440, v34
	v_cmp_eq_u32_e32 vcc, 0, v13
	v_and_b32_e32 v12, 7, v0
	v_xor_b32_e32 v87, v8, v10
	v_cndmask_b32_e32 v13, v35, v34, vcc
	v_lshlrev_b32_e32 v8, 7, v67
	v_lshl_or_b32 v96, v14, 3, v58
	v_lshlrev_b32_e32 v14, 3, v12
	v_lshlrev_b32_e32 v12, 7, v12
	;; [unrolled: 1-line block ×3, first 2 shown]
	v_or_b32_e32 v13, v13, v5
	v_or_b32_e32 v11, v8, v38
	v_xad_u32 v97, v13, v14, v12
	v_and_or_b32 v8, v15, 60, v8
	v_mov_b32_e32 v13, 0xb000
	v_lshl_or_b32 v98, v8, 1, v13
	v_or_b32_e32 v8, 32, v9
	v_xor_b32_e32 v8, v17, v8
	v_or_b32_e32 v13, 0x440, v8
	v_cndmask_b32_e32 v8, v13, v8, vcc
	v_or_b32_e32 v8, v8, v5
	v_xad_u32 v99, v8, v14, v12
	v_or_b32_e32 v8, 64, v9
	v_xor_b32_e32 v8, v17, v8
	v_xor_b32_e32 v13, 0x440, v8
	v_cndmask_b32_e32 v8, v13, v8, vcc
	v_or_b32_e32 v8, v8, v5
	v_xad_u32 v100, v8, v14, v12
	v_or_b32_e32 v8, 0x60, v9
	v_xor_b32_e32 v8, v17, v8
	v_xor_b32_e32 v9, 0x440, v8
	v_lshlrev_b32_e32 v11, 1, v11
	v_cndmask_b32_e32 v8, v9, v8, vcc
	v_or_b32_e32 v88, 0xa000, v11
	v_or_b32_e32 v90, 0xa080, v11
	v_xor_b32_e32 v92, v4, v10
	v_or_b32_e32 v93, 0xb000, v11
	v_or_b32_e32 v94, 0xb080, v11
	v_lshlrev_b32_e32 v10, 1, v3
	v_add_lshl_u32 v3, v3, s23, 1
	v_or_b32_e32 v11, 0x100, v2
	v_or_b32_e32 v5, v8, v5
	v_lshlrev_b32_e32 v4, 7, v71
	v_xad_u32 v101, v5, v14, v12
	v_cndmask_b32_e64 v102, v10, v2, s[0:1]
	v_cndmask_b32_e64 v103, v3, v11, s[0:1]
	v_lshlrev_b64 v[2:3], 1, v[56:57]
	v_lshl_add_u64 v[60:61], s[16:17], 0, v[2:3]
	v_lshl_add_u64 v[62:63], s[8:9], 0, v[2:3]
	;; [unrolled: 1-line block ×3, first 2 shown]
	s_mov_b32 s3, 0x7060302
	v_lshlrev_b32_e32 v58, 1, v4
	v_add_u32_e32 v57, v16, v97
	v_add_u32_e32 v104, v16, v99
	;; [unrolled: 1-line block ×4, first 2 shown]
	s_waitcnt lgkmcnt(0)
	s_barrier
	s_branch .LBB289_33
.LBB289_32:                             ;   in Loop: Header=BB289_33 Depth=1
	s_waitcnt vmcnt(2)
	v_exp_f32_e32 v34, s24
	s_nop 2
	v_accvgpr_read_b32 v17, a15
	v_accvgpr_read_b32 v2, a4
	;; [unrolled: 1-line block ×16, first 2 shown]
	v_fma_f32 v16, v32, v34, v16
	v_fmac_f32_e32 v17, v33, v34
	v_fma_f32 v2, v18, v34, v2
	v_fma_f32 v3, v19, v34, v3
	v_fma_f32 v4, v20, v34, v4
	v_fmac_f32_e32 v5, v21, v34
	v_fma_f32 v10, v26, v34, v10
	v_fma_f32 v11, v27, v34, v11
	;; [unrolled: 4-line block ×4, first 2 shown]
	s_add_i32 s59, s59, 64
	v_mov_b64_e32 v[32:33], v[16:17]
	s_cmp_eq_u32 s52, s43
	s_mov_b32 s64, s43
	v_mov_b64_e32 v[30:31], v[14:15]
	v_mov_b64_e32 v[28:29], v[12:13]
	;; [unrolled: 1-line block ×7, first 2 shown]
	s_cbranch_scc1 .LBB289_4
.LBB289_33:                             ; =>This Inner Loop Header: Depth=1
	s_add_i32 s43, s64, 1
	s_cmp_lt_i32 s43, s52
	s_mov_b64 s[28:29], 0
	s_cselect_b64 s[44:45], -1, 0
	s_cmp_ge_i32 s43, s52
	s_mov_b64 s[24:25], 0
	s_cbranch_scc1 .LBB289_35
; %bb.34:                               ;   in Loop: Header=BB289_33 Depth=1
	s_add_i32 s0, s59, 64
	s_ashr_i32 s1, s0, 31
	s_add_u32 s0, s57, s0
	s_addc_u32 s1, s56, s1
	s_lshl_b64 s[0:1], s[0:1], 8
	s_add_u32 s24, s14, s0
	s_addc_u32 s25, s15, s1
.LBB289_35:                             ;   in Loop: Header=BB289_33 Depth=1
	v_cndmask_b32_e64 v2, 0, 1, s[44:45]
	v_cmp_ne_u32_e64 s[0:1], 1, v2
	s_andn2_b64 vcc, exec, s[44:45]
	s_cbranch_vccnz .LBB289_37
; %bb.36:                               ;   in Loop: Header=BB289_33 Depth=1
	s_add_i32 s28, s59, 64
	s_mul_hi_i32 s29, s28, s22
	s_mul_i32 s28, s28, s22
	s_add_u32 s28, s28, s55
	s_addc_u32 s29, s29, s60
	s_lshl_b64 s[28:29], s[28:29], 8
	s_add_u32 s28, s12, s28
	s_addc_u32 s29, s13, s29
.LBB289_37:                             ;   in Loop: Header=BB289_33 Depth=1
	v_perm_b32 v3, v21, v20, s3
	v_perm_b32 v2, v19, v18, s3
	;; [unrolled: 1-line block ×4, first 2 shown]
	ds_write_b64 v79, v[2:3]
	ds_write_b64 v80, v[4:5]
	;; [unrolled: 1-line block ×4, first 2 shown]
	v_perm_b32 v3, v29, v28, s3
	v_perm_b32 v2, v27, v26, s3
	;; [unrolled: 1-line block ×4, first 2 shown]
	ds_write_b64 v81, v[2:3]
	ds_write_b64 v82, v[4:5]
	;; [unrolled: 1-line block ×4, first 2 shown]
	s_waitcnt lgkmcnt(0)
	s_barrier
	ds_read_b64 v[6:7], v87 offset:24576
	ds_read2_b64 v[2:5], v88 offset1:16
	ds_read_b64 v[10:11], v90 offset:3072
	ds_read_b64 v[12:13], v88 offset:3072
	ds_read_b64 v[14:15], v89 offset:24576
	s_waitcnt lgkmcnt(3)
	v_mfma_f32_16x16x16_bf16 a[0:3], v[6:7], v[2:3], 0
	s_add_i32 s31, s59, 63
	s_ashr_i32 s44, s31, 31
	s_mul_i32 s45, s31, s37
	v_mfma_f32_16x16x16_bf16 a[4:7], v[6:7], v[4:5], 0
	ds_read2st64_b64 v[2:5], v88 offset0:2 offset1:4
	s_mul_hi_u32 s65, s31, s36
	s_add_i32 s45, s65, s45
	s_waitcnt lgkmcnt(0)
	v_mfma_f32_16x16x16_bf16 a[0:3], v[14:15], v[2:3], a[0:3]
	ds_read2st64_b64 v[6:9], v90 offset0:2 offset1:4
	ds_read_b64 v[2:3], v91 offset:24576
	s_mul_i32 s44, s44, s36
	s_add_i32 s45, s45, s44
	s_waitcnt lgkmcnt(1)
	v_mfma_f32_16x16x16_bf16 a[4:7], v[14:15], v[6:7], a[4:7]
	ds_read_b64 v[6:7], v92 offset:24576
	s_mul_i32 s44, s31, s36
	s_lshl_b64 s[44:45], s[44:45], 2
	s_waitcnt lgkmcnt(1)
	v_mfma_f32_16x16x16_bf16 a[0:3], v[2:3], v[4:5], a[0:3]
	s_add_u32 s44, s4, s44
	s_addc_u32 s45, s5, s45
	s_and_b64 vcc, exec, s[0:1]
	v_mfma_f32_16x16x16_bf16 a[8:11], v[2:3], v[8:9], a[4:7]
	v_mov_b32_e32 v109, 0
	v_mov_b32_e32 v108, 0
	;; [unrolled: 1-line block ×3, first 2 shown]
	s_waitcnt lgkmcnt(0)
	v_mfma_f32_16x16x16_bf16 a[4:7], v[6:7], v[12:13], a[0:3]
	v_mov_b32_e32 v2, 0
	v_mov_b32_e32 v3, 0
	;; [unrolled: 1-line block ×3, first 2 shown]
	v_mfma_f32_16x16x16_bf16 a[0:3], v[6:7], v[10:11], a[8:11]
	v_mov_b32_e32 v5, 0
	v_mov_b32_e32 v6, 0
	;; [unrolled: 1-line block ×13, first 2 shown]
	s_cbranch_vccnz .LBB289_39
; %bb.38:                               ;   in Loop: Header=BB289_33 Depth=1
	s_and_b32 s25, s25, 0xffff
	buffer_load_dwordx4 v[14:17], v75, s[24:27], 0 offen
	buffer_load_dwordx4 v[10:13], v75, s[24:27], s61 offen
	;; [unrolled: 1-line block ×4, first 2 shown]
	v_mov_b32_e32 v108, v77
	v_mov_b32_e32 v107, v78
.LBB289_39:                             ;   in Loop: Header=BB289_33 Depth=1
	ds_read_b64 v[42:43], v87 offset:32768
	ds_read2_b64 v[34:37], v93 offset1:16
	ds_read_b64 v[44:45], v89 offset:32768
	ds_read_b64 v[46:47], v91 offset:32768
	;; [unrolled: 1-line block ×3, first 2 shown]
	ds_read2st64_b64 v[38:41], v93 offset0:2 offset1:4
	v_add_u32_e32 v110, s59, v71
	s_waitcnt lgkmcnt(4)
	v_mfma_f32_16x16x16_bf16 a[4:7], v[42:43], v[34:35], a[4:7]
	v_ashrrev_i32_e32 v34, 31, v110
	v_mfma_f32_16x16x16_bf16 a[0:3], v[42:43], v[36:37], a[0:3]
	v_mul_lo_u32 v36, v110, s37
	v_mul_lo_u32 v37, v34, s36
	v_mad_u64_u32 v[34:35], s[24:25], v110, s36, 0
	v_add3_u32 v35, v35, v36, v37
	v_add_u32_e32 v36, 1, v110
	v_ashrrev_i32_e32 v37, 31, v36
	s_waitcnt lgkmcnt(0)
	v_mfma_f32_16x16x16_bf16 a[4:7], v[44:45], v[38:39], a[4:7]
	v_mul_lo_u32 v38, v37, s36
	v_mul_lo_u32 v39, v36, s37
	v_mad_u64_u32 v[36:37], s[24:25], v36, s36, 0
	v_add3_u32 v37, v37, v39, v38
	v_add_u32_e32 v38, 2, v110
	v_ashrrev_i32_e32 v39, 31, v38
	v_mul_lo_u32 v42, v39, s36
	v_mul_lo_u32 v43, v38, s37
	v_mad_u64_u32 v[38:39], s[24:25], v38, s36, 0
	v_add3_u32 v39, v39, v43, v42
	v_add_u32_e32 v42, 3, v110
	v_ashrrev_i32_e32 v43, 31, v42
	v_mul_lo_u32 v110, v43, s36
	v_mul_lo_u32 v111, v42, s37
	v_mad_u64_u32 v[42:43], s[24:25], v42, s36, 0
	s_ashr_i32 s25, s59, 31
	v_add3_u32 v43, v43, v111, v110
	s_add_u32 s24, s57, s59
	v_lshl_add_u64 v[34:35], v[34:35], 2, s[4:5]
	v_lshl_add_u64 v[42:43], v[42:43], 2, s[4:5]
	s_addc_u32 s25, s56, s25
	v_lshl_add_u64 v[36:37], v[36:37], 2, s[4:5]
	v_lshl_add_u64 v[38:39], v[38:39], 2, s[4:5]
	global_load_dword v110, v[34:35], off
	global_load_dword v111, v[36:37], off
	global_load_dword v112, v[38:39], off
	s_nop 0
	global_load_dword v43, v[42:43], off
	s_lshl_b64 s[66:67], s[24:25], 8
	v_lshl_add_u64 v[34:35], v[60:61], 0, s[66:67]
	v_lshl_add_u64 v[38:39], v[34:35], 0, v[58:59]
	global_load_ushort v113, v[38:39], off offset:256
	global_load_ushort v114, v[38:39], off
	global_load_ushort v115, v[38:39], off offset:768
	global_load_ushort v116, v[38:39], off offset:512
	ds_read2st64_b64 v[34:37], v94 offset0:2 offset1:4
	global_load_ushort v117, v[38:39], off offset:800
	global_load_ushort v118, v[38:39], off offset:544
	;; [unrolled: 1-line block ×4, first 2 shown]
	s_waitcnt lgkmcnt(0)
	v_mfma_f32_16x16x16_bf16 a[0:3], v[44:45], v[34:35], a[0:3]
	s_and_b64 vcc, exec, s[0:1]
	s_waitcnt vmcnt(7)
	v_lshlrev_b32_e32 v45, 16, v113
	v_mfma_f32_16x16x16_bf16 a[4:7], v[46:47], v[40:41], a[4:7]
	s_waitcnt vmcnt(6)
	v_lshlrev_b32_e32 v44, 16, v114
	v_mfma_f32_16x16x16_bf16 a[0:3], v[46:47], v[36:37], a[0:3]
	ds_read_b64 v[34:35], v93 offset:3072
	ds_read_b64 v[36:37], v94 offset:3072
	s_load_dword s24, s[44:45], 0x0
	s_waitcnt vmcnt(5)
	v_lshlrev_b32_e32 v47, 16, v115
	s_waitcnt lgkmcnt(0)
	v_mfma_f32_16x16x16_bf16 a[4:7], v[48:49], v[34:35], a[4:7]
	v_lshl_add_u64 v[34:35], v[62:63], 0, s[66:67]
	v_sub_f32_e32 v42, s24, v110
	v_sub_f32_e32 v46, s24, v111
	v_mfma_f32_16x16x16_bf16 a[0:3], v[48:49], v[36:37], a[0:3]
	v_sub_f32_e32 v48, s24, v112
	v_sub_f32_e32 v49, s24, v43
	v_exp_f32_e32 v42, v42
	v_exp_f32_e32 v43, v46
	;; [unrolled: 1-line block ×4, first 2 shown]
	v_accvgpr_read_b32 v41, a5
	v_accvgpr_read_b32 v37, a7
	;; [unrolled: 1-line block ×4, first 2 shown]
	s_waitcnt vmcnt(4)
	v_lshlrev_b32_e32 v46, 16, v116
	v_lshl_add_u64 v[34:35], v[34:35], 0, v[58:59]
	v_pk_add_f32 v[40:41], v[44:45], v[40:41] neg_lo:[0,1] neg_hi:[0,1]
	v_pk_add_f32 v[36:37], v[46:47], v[36:37] neg_lo:[0,1] neg_hi:[0,1]
	global_store_short_d16_hi v[34:35], v40, off
	global_store_short_d16_hi v[34:35], v41, off offset:256
	global_store_short_d16_hi v[34:35], v36, off offset:512
	;; [unrolled: 1-line block ×3, first 2 shown]
	v_pk_mul_f32 v[40:41], v[42:43], v[40:41]
	v_pk_mul_f32 v[36:37], v[48:49], v[36:37]
	v_accvgpr_read_b32 v45, a1
	v_perm_b32 v40, v41, v40, s3
	v_perm_b32 v41, v37, v36, s3
	s_waitcnt vmcnt(5)
	v_lshlrev_b32_e32 v37, 16, v119
	s_waitcnt vmcnt(4)
	v_lshlrev_b32_e32 v36, 16, v120
	v_accvgpr_read_b32 v44, a0
	v_accvgpr_read_b32 v39, a3
	;; [unrolled: 1-line block ×3, first 2 shown]
	v_pk_add_f32 v[36:37], v[36:37], v[44:45] neg_lo:[0,1] neg_hi:[0,1]
	v_lshlrev_b32_e32 v45, 16, v117
	v_lshlrev_b32_e32 v44, 16, v118
	v_pk_add_f32 v[38:39], v[44:45], v[38:39] neg_lo:[0,1] neg_hi:[0,1]
	global_store_short_d16_hi v[34:35], v36, off offset:32
	global_store_short_d16_hi v[34:35], v37, off offset:288
	;; [unrolled: 1-line block ×4, first 2 shown]
	v_pk_mul_f32 v[34:35], v[42:43], v[36:37]
	v_pk_mul_f32 v[36:37], v[48:49], v[38:39]
	v_mov_b32_e32 v110, 0
	v_perm_b32 v37, v37, v36, s3
	v_perm_b32 v36, v35, v34, s3
	ds_write2_b64 v80, v[40:41], v[36:37] offset1:16
	v_mov_b32_e32 v34, 0
	v_mov_b32_e32 v35, 0
	;; [unrolled: 1-line block ×16, first 2 shown]
	s_cbranch_vccnz .LBB289_41
; %bb.40:                               ;   in Loop: Header=BB289_33 Depth=1
	s_and_b32 s29, s29, 0xffff
	s_mov_b32 s31, s27
	buffer_load_dwordx4 v[46:49], v102, s[28:31], 0 offen
	buffer_load_dwordx4 v[38:41], v102, s[28:31], s61 offen
	;; [unrolled: 1-line block ×4, first 2 shown]
	v_mov_b32_e32 v109, v74
	v_mov_b32_e32 v110, v73
.LBB289_41:                             ;   in Loop: Header=BB289_33 Depth=1
	s_waitcnt lgkmcnt(0)
	s_barrier
	ds_read_b64 v[116:117], v57
	ds_read_b64 v[124:125], v98
	;; [unrolled: 1-line block ×5, first 2 shown]
	ds_read_b64 v[130:131], v99 offset:16384
	ds_read_b64 v[132:133], v97 offset:16384
	ds_read2_b64 v[112:115], v93 offset0:16 offset1:128
	s_waitcnt lgkmcnt(6)
	v_mfma_f32_16x16x16_bf16 a[0:3], v[116:117], v[124:125], 0
	ds_read_b64 v[134:135], v94 offset:3072
	ds_read_b64 v[136:137], v101 offset:16384
	s_add_i32 s25, s58, s64
	s_waitcnt lgkmcnt(2)
	v_mfma_f32_16x16x16_bf16 a[4:7], v[116:117], v[112:113], 0
	ds_read2st64_b64 v[116:119], v94 offset0:2 offset1:4
	s_mul_hi_i32 s29, s25, s21
	s_mul_i32 s25, s25, s21
	v_mfma_f32_16x16x16_bf16 a[0:3], v[120:121], v[114:115], a[0:3]
	s_add_u32 s28, s25, s51
	s_addc_u32 s29, s29, s53
	s_lshl_b64 s[28:29], s[28:29], 15
	s_waitcnt lgkmcnt(0)
	v_mfma_f32_16x16x16_bf16 a[4:7], v[120:121], v[116:117], a[4:7]
	ds_read2st64_b64 v[120:123], v93 offset0:4 offset1:6
	s_waitcnt lgkmcnt(0)
	v_mfma_f32_16x16x16_bf16 a[0:3], v[126:127], v[120:121], a[0:3]
	v_mfma_f32_16x16x16_bf16 a[8:11], v[126:127], v[118:119], a[4:7]
	;; [unrolled: 1-line block ×5, first 2 shown]
	ds_read2st64_b64 v[124:127], v96 offset1:8
	v_mfma_f32_16x16x16_bf16 a[12:15], v[132:133], v[112:113], 0
	ds_read_b64 v[132:133], v100 offset:16384
	v_mfma_f32_16x16x16_bf16 a[8:11], v[130:131], v[114:115], a[8:11]
	ds_read2st64_b64 v[112:115], v95 offset1:8
	s_waitcnt lgkmcnt(0)
	v_mov_b32_e32 v128, v112
	v_mfma_f32_16x16x16_bf16 a[12:15], v[130:131], v[116:117], a[12:15]
	v_lshl_add_u64 v[116:117], v[64:65], 0, s[28:29]
	v_add_co_u32_e32 v112, vcc, s41, v116
	v_mfma_f32_16x16x16_bf16 a[8:11], v[132:133], v[120:121], a[8:11]
	v_mov_b32_e32 v129, v113
	v_addc_co_u32_e32 v113, vcc, 0, v117, vcc
	v_mfma_f32_16x16x16_bf16 a[12:15], v[132:133], v[118:119], a[12:15]
	v_mov_b32_e32 v130, v124
	v_mov_b32_e32 v131, v125
	;; [unrolled: 1-line block ×3, first 2 shown]
	v_mfma_f32_16x16x16_bf16 a[8:11], v[136:137], v[122:123], a[8:11]
	v_mov_b32_e32 v125, v115
	s_and_b64 vcc, exec, s[0:1]
	global_store_dwordx4 v[116:117], v[128:131], off
	v_mfma_f32_16x16x16_bf16 a[12:15], v[136:137], v[134:135], a[12:15]
	global_store_dwordx4 v[112:113], v[124:127], off
	s_cbranch_vccnz .LBB289_32
; %bb.42:                               ;   in Loop: Header=BB289_33 Depth=1
	v_lshrrev_b32_e32 v111, 3, v109
	v_and_b32_e32 v111, 6, v111
	v_xor_b32_e32 v110, v111, v110
	v_lshlrev_b32_e32 v110, 2, v110
	v_and_b32_e32 v109, 8, v109
	v_xor_b32_e32 v112, 0x440, v110
	v_cmp_eq_u32_e32 vcc, 0, v109
	s_barrier
	s_nop 0
	v_cndmask_b32_e32 v109, v112, v110, vcc
	v_lshl_or_b32 v109, v111, 10, v109
	s_waitcnt vmcnt(3)
	v_perm_b32 v110, v46, v42, s62
	s_waitcnt vmcnt(2)
	v_perm_b32 v111, v38, v34, s62
	ds_write2st64_b32 v109, v110, v111 offset0:32 offset1:64
	v_xor_b32_e32 v110, 8, v109
	v_perm_b32 v42, v46, v42, s63
	v_perm_b32 v34, v38, v34, s63
	v_add_u32_e32 v38, 0x80, v110
	ds_write2st64_b32 v38, v42, v34 offset0:32 offset1:64
	v_xor_b32_e32 v34, 16, v109
	v_perm_b32 v38, v47, v43, s62
	v_perm_b32 v42, v39, v35, s62
	ds_write2st64_b32 v34, v38, v42 offset0:33 offset1:65
	v_xor_b32_e32 v34, 24, v109
	v_perm_b32 v38, v47, v43, s63
	v_perm_b32 v35, v39, v35, s63
	v_add_u32_e32 v34, 0x80, v34
	ds_write2st64_b32 v34, v38, v35 offset0:33 offset1:65
	v_xor_b32_e32 v34, 32, v109
	v_perm_b32 v35, v48, v44, s62
	v_perm_b32 v38, v40, v36, s62
	ds_write2st64_b32 v34, v35, v38 offset0:34 offset1:66
	v_xor_b32_e32 v34, 40, v109
	v_perm_b32 v35, v48, v44, s63
	v_perm_b32 v36, v40, v36, s63
	v_add_u32_e32 v34, 0x80, v34
	ds_write2st64_b32 v34, v35, v36 offset0:34 offset1:66
	v_xor_b32_e32 v34, 48, v109
	v_perm_b32 v35, v49, v45, s62
	v_perm_b32 v36, v41, v37, s62
	ds_write2st64_b32 v34, v35, v36 offset0:35 offset1:67
	v_xor_b32_e32 v34, 56, v109
	v_perm_b32 v35, v49, v45, s63
	v_perm_b32 v36, v41, v37, s63
	v_add_u32_e32 v34, 0x80, v34
	ds_write2st64_b32 v34, v35, v36 offset0:35 offset1:67
	ds_write_b64 v108, v[14:15] offset:24576
	v_xor_b32_e32 v14, 8, v108
	ds_write_b64 v14, v[16:17] offset:24576
	ds_write_b64 v108, v[10:11] offset:32768
	;; [unrolled: 1-line block ×4, first 2 shown]
	v_xor_b32_e32 v6, 8, v107
	ds_write_b64 v6, v[8:9] offset:24576
	ds_write_b64 v107, v[2:3] offset:32768
	;; [unrolled: 1-line block ×3, first 2 shown]
	s_branch .LBB289_32
.LBB289_43:
                                        ; implicit-def: $vgpr21
                                        ; implicit-def: $vgpr25
                                        ; implicit-def: $vgpr29
                                        ; implicit-def: $vgpr33
	s_cbranch_execz .LBB289_45
; %bb.44:
	s_waitcnt vmcnt(0)
	v_mad_u64_u32 v[18:19], s[0:1], v36, s23, v[34:35]
	v_lshlrev_b32_e32 v36, 1, v18
	s_lshl_b32 s2, s23, 7
	s_and_b32 s1, s5, 0xffff
	s_mov_b32 s3, 0x20000
	s_mov_b32 s0, s4
	v_add_lshl_u32 v37, v18, s23, 1
	s_movk_i32 s6, 0x80
	buffer_load_dwordx4 v[18:21], v36, s[0:3], 0 offen
	buffer_load_dwordx4 v[26:29], v36, s[0:3], s6 offen
	;; [unrolled: 1-line block ×4, first 2 shown]
.LBB289_45:
	v_lshrrev_b32_e32 v47, 2, v51
	s_cbranch_execnz .LBB289_58
.LBB289_46:
	s_and_b64 vcc, exec, s[14:15]
	s_cbranch_vccz .LBB289_56
; %bb.47:
	s_waitcnt vmcnt(0)
	v_lshlrev_b32_e32 v23, 1, v42
	v_cmp_gt_i32_e32 vcc, s31, v23
	v_mov_b32_e32 v22, 0
	v_lshlrev_b32_e32 v30, 9, v42
	v_mov_b32_e32 v18, 0
	v_mov_b32_e32 v19, 0
	;; [unrolled: 1-line block ×4, first 2 shown]
	s_and_saveexec_b64 s[0:1], vcc
	s_cbranch_execz .LBB289_49
; %bb.48:
	v_mov_b32_e32 v31, 0
	v_lshl_add_u64 v[18:19], s[4:5], 0, v[30:31]
	v_lshlrev_b32_e32 v20, 1, v34
	v_mov_b32_e32 v21, v31
	v_lshl_add_u64 v[18:19], v[18:19], 0, v[20:21]
	global_load_dwordx4 v[18:21], v[18:19], off
.LBB289_49:
	s_or_b64 exec, exec, s[0:1]
	v_or_b32_e32 v23, 1, v23
	v_cmp_gt_i32_e64 s[0:1], s31, v23
	v_lshlrev_b32_e32 v36, 8, v23
	v_mov_b32_e32 v23, 0
	v_mov_b32_e32 v24, 0
	;; [unrolled: 1-line block ×3, first 2 shown]
	s_and_saveexec_b64 s[2:3], s[0:1]
	s_cbranch_execz .LBB289_51
; %bb.50:
	v_mov_b32_e32 v37, 0
	v_lshl_add_u64 v[22:23], s[4:5], 0, v[36:37]
	v_lshlrev_b32_e32 v24, 1, v34
	v_mov_b32_e32 v25, v37
	v_lshl_add_u64 v[22:23], v[22:23], 0, v[24:25]
	global_load_dwordx4 v[22:25], v[22:23], off
.LBB289_51:
	s_or_b64 exec, exec, s[2:3]
	v_mov_b32_e32 v33, 0
	v_mov_b32_e32 v26, 0
	;; [unrolled: 1-line block ×5, first 2 shown]
	s_and_saveexec_b64 s[2:3], vcc
	s_cbranch_execz .LBB289_53
; %bb.52:
	v_mov_b32_e32 v31, 0
	v_lshl_add_u64 v[26:27], s[4:5], 0, v[30:31]
	v_lshlrev_b32_e32 v30, 1, v34
	v_lshl_add_u64 v[26:27], v[26:27], 0, v[30:31]
	global_load_dwordx4 v[26:29], v[26:27], off offset:128
.LBB289_53:
	s_or_b64 exec, exec, s[2:3]
	v_mov_b32_e32 v32, 0
	v_mov_b32_e32 v31, 0
	;; [unrolled: 1-line block ×3, first 2 shown]
	s_and_saveexec_b64 s[2:3], s[0:1]
	s_cbranch_execz .LBB289_55
; %bb.54:
	v_mov_b32_e32 v37, 0
	v_lshl_add_u64 v[30:31], s[4:5], 0, v[36:37]
	v_lshlrev_b32_e32 v36, 1, v34
	v_lshl_add_u64 v[30:31], v[30:31], 0, v[36:37]
	global_load_dwordx4 v[30:33], v[30:31], off offset:128
.LBB289_55:
	s_or_b64 exec, exec, s[2:3]
	s_branch .LBB289_58
.LBB289_56:
                                        ; implicit-def: $vgpr21
                                        ; implicit-def: $vgpr25
                                        ; implicit-def: $vgpr29
                                        ; implicit-def: $vgpr33
	s_cbranch_execz .LBB289_58
; %bb.57:
	s_waitcnt vmcnt(0)
	v_lshlrev_b32_e32 v18, 1, v34
	v_lshl_or_b32 v34, v42, 9, v18
	s_and_b32 s5, s5, 0xffff
	s_mov_b32 s7, 0x20000
	s_movk_i32 s6, 0x4000
	s_movk_i32 s0, 0x80
	buffer_load_dwordx4 v[18:21], v34, s[4:7], 0 offen
	buffer_load_dwordx4 v[22:25], v34, s[4:7], 0 offen offset:256
	buffer_load_dwordx4 v[26:29], v34, s[4:7], s0 offen
	buffer_load_dwordx4 v[30:33], v34, s[4:7], s0 offen offset:256
.LBB289_58:
	ds_read_b64 v[36:37], v43 offset:32768
	v_add_u32_e32 v34, 0xb000, v40
	ds_read2_b64 v[58:61], v34 offset1:16
	ds_read_b64 v[48:49], v44 offset:32768
	ds_read_b64 v[44:45], v45 offset:32768
	;; [unrolled: 1-line block ×3, first 2 shown]
	v_and_b32_e32 v34, 6, v0
	v_xor_b32_e32 v42, v42, v34
	v_lshlrev_b32_e32 v42, 2, v42
	v_and_b32_e32 v43, 1, v0
	v_xor_b32_e32 v46, 0x440, v42
	v_cmp_eq_u32_e32 vcc, 0, v43
	s_waitcnt lgkmcnt(3)
	v_mfma_f32_16x16x16_bf16 a[0:3], v[36:37], v[58:59], a[0:3]
	s_mov_b32 s0, 0x1000504
	v_cndmask_b32_e32 v42, v46, v42, vcc
	v_lshl_or_b32 v34, v34, 10, v42
	v_mfma_f32_16x16x16_bf16 a[4:7], v[36:37], v[60:61], a[4:7]
	ds_read2st64_b64 v[58:61], v40 offset0:90 offset1:92
	ds_read2st64_b64 v[62:65], v41 offset0:90 offset1:92
	s_waitcnt vmcnt(0)
	v_perm_b32 v42, v18, v22, s0
	s_mov_b32 s1, 0x3020706
	s_waitcnt lgkmcnt(1)
	v_mfma_f32_16x16x16_bf16 a[0:3], v[48:49], v[58:59], a[0:3]
	ds_read_b64 v[36:37], v40 offset:48128
	ds_read_b64 v[58:59], v41 offset:48128
	v_perm_b32 v18, v18, v22, s1
	v_perm_b32 v22, v26, v30, s1
	s_waitcnt lgkmcnt(2)
	v_mfma_f32_16x16x16_bf16 a[4:7], v[48:49], v[62:63], a[4:7]
	v_and_or_b32 v43, v47, 12, v66
	v_mfma_f32_16x16x16_bf16 a[0:3], v[44:45], v[60:61], a[0:3]
	v_mfma_f32_16x16x16_bf16 a[8:11], v[44:45], v[64:65], a[4:7]
	s_waitcnt lgkmcnt(1)
	v_mfma_f32_16x16x16_bf16 a[4:7], v[68:69], v[36:37], a[0:3]
	v_perm_b32 v36, v26, v30, s0
	ds_write2st64_b32 v34, v42, v36 offset0:32 offset1:64
	v_xor_b32_e32 v36, 8, v34
	v_add_u32_e32 v26, 0x80, v36
	ds_write2st64_b32 v26, v18, v22 offset0:32 offset1:64
	v_xor_b32_e32 v18, 16, v34
	v_perm_b32 v22, v19, v23, s0
	v_perm_b32 v26, v27, v31, s0
	ds_write2st64_b32 v18, v22, v26 offset0:33 offset1:65
	v_xor_b32_e32 v18, 24, v34
	v_perm_b32 v19, v19, v23, s1
	v_perm_b32 v22, v27, v31, s1
	v_add_u32_e32 v18, 0x80, v18
	ds_write2st64_b32 v18, v19, v22 offset0:33 offset1:65
	v_xor_b32_e32 v18, 32, v34
	v_perm_b32 v19, v20, v24, s0
	v_perm_b32 v22, v28, v32, s0
	ds_write2st64_b32 v18, v19, v22 offset0:34 offset1:66
	v_xor_b32_e32 v18, 40, v34
	s_waitcnt lgkmcnt(5)
	v_mfma_f32_16x16x16_bf16 a[0:3], v[68:69], v[58:59], a[8:11]
	v_perm_b32 v19, v20, v24, s1
	v_perm_b32 v20, v28, v32, s1
	v_add_u32_e32 v18, 0x80, v18
	ds_write2st64_b32 v18, v19, v20 offset0:34 offset1:66
	v_xor_b32_e32 v18, 48, v34
	v_perm_b32 v19, v21, v25, s0
	v_perm_b32 v20, v29, v33, s0
	ds_write2st64_b32 v18, v19, v20 offset0:35 offset1:67
	v_xor_b32_e32 v18, 56, v34
	v_perm_b32 v19, v21, v25, s1
	v_perm_b32 v20, v29, v33, s1
	v_add_u32_e32 v18, 0x80, v18
	v_cmp_gt_i32_e64 s[0:1], s31, v43
	v_mov_b32_e32 v36, 0
	v_mov_b32_e32 v37, 0
	ds_write2st64_b32 v18, v19, v20 offset0:35 offset1:67
	s_and_saveexec_b64 s[2:3], s[0:1]
	s_cbranch_execz .LBB289_60
; %bb.59:
	v_add_u32_e32 v18, s30, v43
	v_ashrrev_i32_e32 v19, 31, v18
	v_mul_lo_u32 v20, v19, s36
	v_mul_lo_u32 v21, v18, s37
	v_mad_u64_u32 v[18:19], s[4:5], v18, s36, 0
	v_add3_u32 v19, v19, v21, v20
	v_lshl_add_u64 v[18:19], v[18:19], 2, s[12:13]
	global_load_dword v18, v[18:19], off
	s_waitcnt vmcnt(0)
	v_sub_f32_e32 v18, s18, v18
	v_exp_f32_e32 v37, v18
.LBB289_60:
	s_or_b64 exec, exec, s[2:3]
	v_or_b32_e32 v30, 1, v43
	v_cmp_gt_i32_e64 s[4:5], s31, v30
	s_and_saveexec_b64 s[2:3], s[4:5]
	s_cbranch_execz .LBB289_62
; %bb.61:
	v_add_u32_e32 v18, s30, v30
	v_ashrrev_i32_e32 v19, 31, v18
	v_mul_lo_u32 v20, v19, s36
	v_mul_lo_u32 v21, v18, s37
	v_mad_u64_u32 v[18:19], s[6:7], v18, s36, 0
	v_add3_u32 v19, v19, v21, v20
	v_lshl_add_u64 v[18:19], v[18:19], 2, s[12:13]
	global_load_dword v18, v[18:19], off
	s_waitcnt vmcnt(0)
	v_sub_f32_e32 v18, s18, v18
	v_exp_f32_e32 v36, v18
.LBB289_62:
	s_or_b64 exec, exec, s[2:3]
	v_or_b32_e32 v28, 2, v43
	v_cmp_gt_i32_e64 s[2:3], s31, v28
	v_mov_b32_e32 v34, 0
	v_mov_b32_e32 v42, 0
	s_and_saveexec_b64 s[6:7], s[2:3]
	s_cbranch_execz .LBB289_64
; %bb.63:
	v_add_u32_e32 v18, s30, v28
	v_ashrrev_i32_e32 v19, 31, v18
	v_mul_lo_u32 v20, v19, s36
	v_mul_lo_u32 v21, v18, s37
	v_mad_u64_u32 v[18:19], s[14:15], v18, s36, 0
	v_add3_u32 v19, v19, v21, v20
	v_lshl_add_u64 v[18:19], v[18:19], 2, s[12:13]
	global_load_dword v18, v[18:19], off
	s_waitcnt vmcnt(0)
	v_sub_f32_e32 v18, s18, v18
	v_exp_f32_e32 v42, v18
.LBB289_64:
	s_or_b64 exec, exec, s[6:7]
	v_or_b32_e32 v29, 3, v43
	v_cmp_gt_i32_e32 vcc, s31, v29
	s_and_saveexec_b64 s[6:7], vcc
	s_cbranch_execz .LBB289_66
; %bb.65:
	v_add_u32_e32 v18, s30, v29
	v_ashrrev_i32_e32 v19, 31, v18
	v_mul_lo_u32 v20, v19, s36
	v_mul_lo_u32 v21, v18, s37
	v_mad_u64_u32 v[18:19], s[14:15], v18, s36, 0
	v_add3_u32 v19, v19, v21, v20
	v_lshl_add_u64 v[18:19], v[18:19], 2, s[12:13]
	global_load_dword v18, v[18:19], off
	s_waitcnt vmcnt(0)
	v_sub_f32_e32 v18, s18, v18
	v_exp_f32_e32 v34, v18
.LBB289_66:
	s_or_b64 exec, exec, s[6:7]
	s_add_u32 s6, s16, s24
	s_addc_u32 s7, s17, s25
	s_add_u32 s8, s8, s24
	v_ashrrev_i32_e32 v57, 31, v56
	v_accvgpr_read_b32 v21, a7
	s_addc_u32 s9, s9, s25
	v_lshlrev_b64 v[22:23], 1, v[56:57]
	v_accvgpr_read_b32 v20, a6
	v_accvgpr_read_b32 v19, a5
	;; [unrolled: 1-line block ×3, first 2 shown]
	v_lshl_add_u64 v[24:25], s[6:7], 0, v[22:23]
	v_lshl_add_u64 v[22:23], s[8:9], 0, v[22:23]
	v_mov_b32_e32 v31, 0
	v_lshlrev_b32_e32 v26, 8, v43
	v_mov_b32_e32 v27, 0
	s_and_saveexec_b64 s[6:7], s[0:1]
	s_cbranch_execz .LBB289_68
; %bb.67:
	v_mov_b32_e32 v27, 0
	v_lshl_add_u64 v[32:33], v[24:25], 0, v[26:27]
	global_load_ushort v44, v[32:33], off
	v_lshl_add_u64 v[32:33], v[22:23], 0, v[26:27]
	s_waitcnt vmcnt(0)
	v_lshlrev_b32_e32 v27, 16, v44
	v_sub_f32_e32 v18, v27, v18
	global_store_short_d16_hi v[32:33], v18, off
	v_mul_f32_e32 v18, v37, v18
	v_lshrrev_b32_e32 v27, 16, v18
.LBB289_68:
	s_or_b64 exec, exec, s[6:7]
	v_lshlrev_b32_e32 v30, 8, v30
	s_and_saveexec_b64 s[6:7], s[4:5]
	s_cbranch_execz .LBB289_70
; %bb.69:
	v_mov_b32_e32 v31, 0
	v_lshl_add_u64 v[32:33], v[24:25], 0, v[30:31]
	global_load_ushort v18, v[32:33], off
	v_lshl_add_u64 v[32:33], v[22:23], 0, v[30:31]
	s_waitcnt vmcnt(0)
	v_lshlrev_b32_e32 v18, 16, v18
	v_sub_f32_e32 v18, v18, v19
	global_store_short_d16_hi v[32:33], v18, off
	v_mul_f32_e32 v18, v36, v18
	v_lshrrev_b32_e32 v31, 16, v18
.LBB289_70:
	s_or_b64 exec, exec, s[6:7]
	v_mov_b32_e32 v44, 0
	v_lshlrev_b32_e32 v32, 8, v28
	v_mov_b32_e32 v33, 0
	s_and_saveexec_b64 s[6:7], s[2:3]
	s_cbranch_execz .LBB289_72
; %bb.71:
	v_mov_b32_e32 v33, 0
	v_lshl_add_u64 v[18:19], v[24:25], 0, v[32:33]
	global_load_ushort v28, v[18:19], off
	v_lshl_add_u64 v[18:19], v[22:23], 0, v[32:33]
	s_waitcnt vmcnt(0)
	v_lshlrev_b32_e32 v28, 16, v28
	v_sub_f32_e32 v20, v28, v20
	global_store_short_d16_hi v[18:19], v20, off
	v_mul_f32_e32 v18, v42, v20
	v_lshrrev_b32_e32 v33, 16, v18
.LBB289_72:
	s_or_b64 exec, exec, s[6:7]
	v_lshlrev_b32_e32 v28, 8, v29
	s_and_saveexec_b64 s[6:7], vcc
	s_cbranch_execz .LBB289_74
; %bb.73:
	v_mov_b32_e32 v29, 0
	v_lshl_add_u64 v[18:19], v[24:25], 0, v[28:29]
	global_load_ushort v20, v[18:19], off
	v_lshl_add_u64 v[18:19], v[22:23], 0, v[28:29]
	s_waitcnt vmcnt(0)
	v_lshlrev_b32_e32 v20, 16, v20
	v_sub_f32_e32 v20, v20, v21
	global_store_short_d16_hi v[18:19], v20, off
	v_mul_f32_e32 v18, v34, v20
	v_lshrrev_b32_e32 v44, 16, v18
.LBB289_74:
	s_or_b64 exec, exec, s[6:7]
	v_lshlrev_b32_e32 v43, 5, v43
	s_mov_b32 s6, 0x5040100
	v_perm_b32 v45, v44, v33, s6
	v_perm_b32 v44, v31, v27, s6
	v_or_b32_e32 v27, v43, v38
	v_accvgpr_read_b32 v21, a3
	v_lshlrev_b32_e32 v27, 1, v27
	v_accvgpr_read_b32 v20, a2
	v_accvgpr_read_b32 v19, a1
	;; [unrolled: 1-line block ×3, first 2 shown]
	ds_write_b64 v27, v[44:45] offset:45056
	v_mov_b32_e32 v31, 0
	v_mov_b32_e32 v27, 0
	s_and_saveexec_b64 s[6:7], s[0:1]
	s_cbranch_execz .LBB289_76
; %bb.75:
	v_mov_b32_e32 v27, 0
	v_lshl_add_u64 v[44:45], v[24:25], 0, v[26:27]
	global_load_ushort v29, v[44:45], off offset:32
	v_lshl_add_u64 v[26:27], v[22:23], 0, v[26:27]
	s_waitcnt vmcnt(0)
	v_lshlrev_b32_e32 v29, 16, v29
	v_sub_f32_e32 v18, v29, v18
	global_store_short_d16_hi v[26:27], v18, off offset:32
	v_mul_f32_e32 v18, v37, v18
	v_lshrrev_b32_e32 v27, 16, v18
.LBB289_76:
	s_or_b64 exec, exec, s[6:7]
	s_and_saveexec_b64 s[0:1], s[4:5]
	s_cbranch_execz .LBB289_78
; %bb.77:
	v_mov_b32_e32 v31, 0
	v_lshl_add_u64 v[44:45], v[24:25], 0, v[30:31]
	global_load_ushort v18, v[44:45], off offset:32
	v_lshl_add_u64 v[30:31], v[22:23], 0, v[30:31]
	s_waitcnt vmcnt(0)
	v_lshlrev_b32_e32 v18, 16, v18
	v_sub_f32_e32 v18, v18, v19
	global_store_short_d16_hi v[30:31], v18, off offset:32
	v_mul_f32_e32 v18, v36, v18
	v_lshrrev_b32_e32 v31, 16, v18
.LBB289_78:
	s_or_b64 exec, exec, s[0:1]
	v_mov_b32_e32 v26, 0
	v_mov_b32_e32 v30, 0
	s_and_saveexec_b64 s[0:1], s[2:3]
	s_cbranch_execz .LBB289_80
; %bb.79:
	v_mov_b32_e32 v33, 0
	v_lshl_add_u64 v[18:19], v[24:25], 0, v[32:33]
	global_load_ushort v29, v[18:19], off offset:32
	v_lshl_add_u64 v[18:19], v[22:23], 0, v[32:33]
	s_waitcnt vmcnt(0)
	v_lshlrev_b32_e32 v29, 16, v29
	v_sub_f32_e32 v20, v29, v20
	global_store_short_d16_hi v[18:19], v20, off offset:32
	v_mul_f32_e32 v18, v42, v20
	v_lshrrev_b32_e32 v30, 16, v18
.LBB289_80:
	s_or_b64 exec, exec, s[0:1]
	v_or_b32_e32 v19, 0xb000, v40
	v_or_b32_e32 v18, 0xb000, v41
	s_and_saveexec_b64 s[0:1], vcc
	s_cbranch_execz .LBB289_82
; %bb.81:
	v_mov_b32_e32 v29, 0
	v_lshl_add_u64 v[24:25], v[24:25], 0, v[28:29]
	global_load_ushort v20, v[24:25], off offset:32
	v_lshl_add_u64 v[22:23], v[22:23], 0, v[28:29]
	s_waitcnt vmcnt(0)
	v_lshlrev_b32_e32 v20, 16, v20
	v_sub_f32_e32 v20, v20, v21
	global_store_short_d16_hi v[22:23], v20, off offset:32
	v_mul_f32_e32 v20, v34, v20
	v_lshrrev_b32_e32 v26, 16, v20
.LBB289_82:
	s_or_b64 exec, exec, s[0:1]
	s_mov_b32 s0, 0x5040100
	v_or_b32_e32 v22, v43, v35
	v_perm_b32 v21, v26, v30, s0
	v_perm_b32 v20, v31, v27, s0
	v_lshlrev_b32_e32 v22, 1, v22
	s_movk_i32 s0, 0x100
	ds_write_b64 v22, v[20:21] offset:45056
	v_and_b32_e32 v20, 7, v0
	v_and_b32_e32 v21, 8, v0
	v_cmp_gt_u32_e32 vcc, s0, v0
	v_lshrrev_b32_e32 v0, 1, v0
	v_lshlrev_b32_e32 v37, 3, v1
	v_and_b32_e32 v38, 24, v0
	v_lshlrev_b32_e32 v34, 3, v20
	v_lshlrev_b32_e32 v35, 7, v20
	v_mov_b32_e32 v20, 0x4000
	v_mov_b32_e32 v22, 0x2000
	v_xor_b32_e32 v0, v37, v38
	v_cndmask_b32_e32 v36, v20, v22, vcc
	v_or_b32_e32 v1, 0x440, v0
	v_cmp_eq_u32_e32 vcc, 0, v21
	s_waitcnt lgkmcnt(0)
	s_barrier
	v_cndmask_b32_e32 v0, v1, v0, vcc
	v_or_b32_e32 v0, v0, v39
	v_xad_u32 v40, v0, v34, v35
	v_add_u32_e32 v0, v36, v40
	ds_read_b64 v[0:1], v0
	ds_read2_b64 v[20:23], v19 offset1:16
	v_or_b32_e32 v24, 32, v38
	v_xor_b32_e32 v24, v37, v24
	v_or_b32_e32 v25, 0x440, v24
	v_cndmask_b32_e32 v24, v25, v24, vcc
	s_waitcnt lgkmcnt(0)
	v_mfma_f32_16x16x16_bf16 a[0:3], v[0:1], v[20:21], 0
	v_or_b32_e32 v24, v24, v39
	v_xad_u32 v41, v24, v34, v35
	v_add_u32_e32 v24, v36, v41
	v_mfma_f32_16x16x16_bf16 a[4:7], v[0:1], v[22:23], 0
	v_or_b32_e32 v0, 64, v38
	v_xor_b32_e32 v0, v37, v0
	v_xor_b32_e32 v1, 0x440, v0
	ds_read_b64 v[32:33], v24
	v_cndmask_b32_e32 v0, v1, v0, vcc
	v_or_b32_e32 v0, v0, v39
	v_xad_u32 v42, v0, v34, v35
	v_add_u32_e32 v0, v36, v42
	ds_read_b64 v[0:1], v0
	ds_read2st64_b64 v[24:27], v19 offset0:2 offset1:4
	ds_read2st64_b64 v[28:31], v18 offset0:2 offset1:4
	s_waitcnt lgkmcnt(1)
	v_mfma_f32_16x16x16_bf16 a[0:3], v[32:33], v[24:25], a[0:3]
	s_waitcnt lgkmcnt(0)
	v_mfma_f32_16x16x16_bf16 a[4:7], v[32:33], v[28:29], a[4:7]
	v_or_b32_e32 v32, 0x60, v38
	v_xor_b32_e32 v32, v37, v32
	v_xor_b32_e32 v33, 0x440, v32
	v_cndmask_b32_e32 v32, v33, v32, vcc
	v_or_b32_e32 v32, v32, v39
	v_xad_u32 v37, v32, v34, v35
	v_add_u32_e32 v32, v36, v37
	ds_read_b64 v[32:33], v32
	v_mfma_f32_16x16x16_bf16 a[0:3], v[0:1], v[26:27], a[0:3]
	v_exp_f32_e32 v36, s18
	v_mfma_f32_16x16x16_bf16 a[4:7], v[0:1], v[30:31], a[4:7]
	ds_read_b64 v[0:1], v19 offset:3072
	ds_read_b64 v[34:35], v18 offset:3072
	;; [unrolled: 1-line block ×3, first 2 shown]
	s_waitcnt lgkmcnt(0)
	v_mfma_f32_16x16x16_bf16 a[8:11], v[18:19], v[20:21], 0
	ds_read_b64 v[20:21], v41 offset:16384
	v_mfma_f32_16x16x16_bf16 a[0:3], v[32:33], v[0:1], a[0:3]
	v_mfma_f32_16x16x16_bf16 a[12:15], v[18:19], v[22:23], 0
	ds_read_b64 v[22:23], v42 offset:16384
	s_nop 4
	v_accvgpr_read_b32 v18, a0
	v_fma_f32 v18, v2, v36, v18
	v_accvgpr_read_b32 v2, a1
	v_fma_f32 v19, v3, v36, v2
	v_accvgpr_read_b32 v2, a2
	s_waitcnt lgkmcnt(1)
	v_mfma_f32_16x16x16_bf16 a[8:11], v[20:21], v[24:25], a[8:11]
	v_mfma_f32_16x16x16_bf16 a[12:15], v[20:21], v[28:29], a[12:15]
	v_fma_f32 v20, v4, v36, v2
	ds_read_b64 v[2:3], v37 offset:16384
	v_accvgpr_read_b32 v21, a3
	s_waitcnt lgkmcnt(1)
	v_mfma_f32_16x16x16_bf16 a[0:3], v[22:23], v[26:27], a[8:11]
	v_fmac_f32_e32 v21, v5, v36
	v_mfma_f32_16x16x16_bf16 a[4:7], v[32:33], v[34:35], a[4:7]
	v_mfma_f32_16x16x16_bf16 a[8:11], v[22:23], v[30:31], a[12:15]
	s_waitcnt lgkmcnt(0)
	v_mfma_f32_16x16x16_bf16 a[0:3], v[2:3], v[0:1], a[0:3]
	s_nop 3
	v_accvgpr_read_b32 v4, a4
	v_fma_f32 v26, v10, v36, v4
	v_accvgpr_read_b32 v4, a5
	v_fma_f32 v27, v11, v36, v4
	v_accvgpr_read_b32 v4, a6
	v_accvgpr_read_b32 v29, a7
	v_mfma_f32_16x16x16_bf16 a[4:7], v[2:3], v[34:35], a[8:11]
	v_accvgpr_read_b32 v0, a0
	v_fma_f32 v22, v6, v36, v0
	v_accvgpr_read_b32 v0, a1
	v_fma_f32 v23, v7, v36, v0
	;; [unrolled: 2-line block ×3, first 2 shown]
	v_accvgpr_read_b32 v25, a3
	v_accvgpr_read_b32 v0, a4
	v_fma_f32 v30, v14, v36, v0
	v_accvgpr_read_b32 v0, a5
	v_fma_f32 v31, v15, v36, v0
	v_accvgpr_read_b32 v0, a6
	v_accvgpr_read_b32 v33, a7
	v_fma_f32 v28, v12, v36, v4
	v_fmac_f32_e32 v29, v13, v36
	v_fmac_f32_e32 v25, v9, v36
	v_fma_f32 v32, v16, v36, v0
	v_fmac_f32_e32 v33, v17, v36
	v_mov_b64_e32 v[2:3], v[18:19]
	v_mov_b64_e32 v[4:5], v[20:21]
	;; [unrolled: 1-line block ×8, first 2 shown]
.LBB289_83:
	s_add_u32 s0, s10, s34
	s_addc_u32 s1, s11, s35
	v_lshl_add_u64 v[0:1], v[52:53], 1, s[0:1]
	v_mov_b32_e32 v51, 0
	s_mov_b32 s2, 0x7060302
	v_lshl_add_u64 v[0:1], v[0:1], 0, v[50:51]
	v_perm_b32 v5, v5, v4, s2
	v_perm_b32 v4, v3, v2, s2
	;; [unrolled: 1-line block ×4, first 2 shown]
	global_store_dwordx2 v[0:1], v[4:5], off
	global_store_dwordx2 v[0:1], v[2:3], off offset:128
	v_lshl_add_u64 v[0:1], v[54:55], 1, s[0:1]
	v_lshl_add_u64 v[0:1], v[0:1], 0, v[50:51]
	v_perm_b32 v3, v13, v12, s2
	v_perm_b32 v2, v11, v10, s2
	global_store_dwordx2 v[0:1], v[2:3], off
	v_perm_b32 v3, v17, v16, s2
	v_perm_b32 v2, v15, v14, s2
	global_store_dwordx2 v[0:1], v[2:3], off offset:128
	s_endpgm
	.section	.rodata,"a",@progbits
	.p2align	6, 0x0
	.amdhsa_kernel _ZN12_GLOBAL__N_139chunk_gated_delta_rule_fwd_h_hip_kernelILi32ELb1ELb1ELb1ELb1ELb1ELb0ELb1ELb1EEEvPK12hip_bfloat16S3_S3_PKfS5_PKvPS1_S8_PvPKiSB_iiiiilll
		.amdhsa_group_segment_fixed_size 49152
		.amdhsa_private_segment_fixed_size 0
		.amdhsa_kernarg_size 136
		.amdhsa_user_sgpr_count 2
		.amdhsa_user_sgpr_dispatch_ptr 0
		.amdhsa_user_sgpr_queue_ptr 0
		.amdhsa_user_sgpr_kernarg_segment_ptr 1
		.amdhsa_user_sgpr_dispatch_id 0
		.amdhsa_user_sgpr_kernarg_preload_length 0
		.amdhsa_user_sgpr_kernarg_preload_offset 0
		.amdhsa_user_sgpr_private_segment_size 0
		.amdhsa_uses_dynamic_stack 0
		.amdhsa_enable_private_segment 0
		.amdhsa_system_sgpr_workgroup_id_x 1
		.amdhsa_system_sgpr_workgroup_id_y 1
		.amdhsa_system_sgpr_workgroup_id_z 0
		.amdhsa_system_sgpr_workgroup_info 0
		.amdhsa_system_vgpr_workitem_id 0
		.amdhsa_next_free_vgpr 156
		.amdhsa_next_free_sgpr 68
		.amdhsa_accum_offset 140
		.amdhsa_reserve_vcc 1
		.amdhsa_float_round_mode_32 0
		.amdhsa_float_round_mode_16_64 0
		.amdhsa_float_denorm_mode_32 3
		.amdhsa_float_denorm_mode_16_64 3
		.amdhsa_dx10_clamp 1
		.amdhsa_ieee_mode 1
		.amdhsa_fp16_overflow 0
		.amdhsa_tg_split 0
		.amdhsa_exception_fp_ieee_invalid_op 0
		.amdhsa_exception_fp_denorm_src 0
		.amdhsa_exception_fp_ieee_div_zero 0
		.amdhsa_exception_fp_ieee_overflow 0
		.amdhsa_exception_fp_ieee_underflow 0
		.amdhsa_exception_fp_ieee_inexact 0
		.amdhsa_exception_int_div_zero 0
	.end_amdhsa_kernel
	.section	.text._ZN12_GLOBAL__N_139chunk_gated_delta_rule_fwd_h_hip_kernelILi32ELb1ELb1ELb1ELb1ELb1ELb0ELb1ELb1EEEvPK12hip_bfloat16S3_S3_PKfS5_PKvPS1_S8_PvPKiSB_iiiiilll,"axG",@progbits,_ZN12_GLOBAL__N_139chunk_gated_delta_rule_fwd_h_hip_kernelILi32ELb1ELb1ELb1ELb1ELb1ELb0ELb1ELb1EEEvPK12hip_bfloat16S3_S3_PKfS5_PKvPS1_S8_PvPKiSB_iiiiilll,comdat
.Lfunc_end289:
	.size	_ZN12_GLOBAL__N_139chunk_gated_delta_rule_fwd_h_hip_kernelILi32ELb1ELb1ELb1ELb1ELb1ELb0ELb1ELb1EEEvPK12hip_bfloat16S3_S3_PKfS5_PKvPS1_S8_PvPKiSB_iiiiilll, .Lfunc_end289-_ZN12_GLOBAL__N_139chunk_gated_delta_rule_fwd_h_hip_kernelILi32ELb1ELb1ELb1ELb1ELb1ELb0ELb1ELb1EEEvPK12hip_bfloat16S3_S3_PKfS5_PKvPS1_S8_PvPKiSB_iiiiilll
                                        ; -- End function
	.section	.AMDGPU.csdata,"",@progbits
; Kernel info:
; codeLenInByte = 9560
; NumSgprs: 74
; NumVgprs: 138
; NumAgprs: 16
; TotalNumVgprs: 156
; ScratchSize: 0
; MemoryBound: 0
; FloatMode: 240
; IeeeMode: 1
; LDSByteSize: 49152 bytes/workgroup (compile time only)
; SGPRBlocks: 9
; VGPRBlocks: 19
; NumSGPRsForWavesPerEU: 74
; NumVGPRsForWavesPerEU: 156
; AccumOffset: 140
; Occupancy: 1
; WaveLimiterHint : 1
; COMPUTE_PGM_RSRC2:SCRATCH_EN: 0
; COMPUTE_PGM_RSRC2:USER_SGPR: 2
; COMPUTE_PGM_RSRC2:TRAP_HANDLER: 0
; COMPUTE_PGM_RSRC2:TGID_X_EN: 1
; COMPUTE_PGM_RSRC2:TGID_Y_EN: 1
; COMPUTE_PGM_RSRC2:TGID_Z_EN: 0
; COMPUTE_PGM_RSRC2:TIDIG_COMP_CNT: 0
; COMPUTE_PGM_RSRC3_GFX90A:ACCUM_OFFSET: 34
; COMPUTE_PGM_RSRC3_GFX90A:TG_SPLIT: 0
	.section	.text._ZN12_GLOBAL__N_139chunk_gated_delta_rule_fwd_h_hip_kernelILi32ELb1ELb1ELb0ELb1ELb1ELb0ELb1ELb1EEEvPK12hip_bfloat16S3_S3_PKfS5_PKvPS1_S8_PvPKiSB_iiiiilll,"axG",@progbits,_ZN12_GLOBAL__N_139chunk_gated_delta_rule_fwd_h_hip_kernelILi32ELb1ELb1ELb0ELb1ELb1ELb0ELb1ELb1EEEvPK12hip_bfloat16S3_S3_PKfS5_PKvPS1_S8_PvPKiSB_iiiiilll,comdat
	.globl	_ZN12_GLOBAL__N_139chunk_gated_delta_rule_fwd_h_hip_kernelILi32ELb1ELb1ELb0ELb1ELb1ELb0ELb1ELb1EEEvPK12hip_bfloat16S3_S3_PKfS5_PKvPS1_S8_PvPKiSB_iiiiilll ; -- Begin function _ZN12_GLOBAL__N_139chunk_gated_delta_rule_fwd_h_hip_kernelILi32ELb1ELb1ELb0ELb1ELb1ELb0ELb1ELb1EEEvPK12hip_bfloat16S3_S3_PKfS5_PKvPS1_S8_PvPKiSB_iiiiilll
	.p2align	8
	.type	_ZN12_GLOBAL__N_139chunk_gated_delta_rule_fwd_h_hip_kernelILi32ELb1ELb1ELb0ELb1ELb1ELb0ELb1ELb1EEEvPK12hip_bfloat16S3_S3_PKfS5_PKvPS1_S8_PvPKiSB_iiiiilll,@function
_ZN12_GLOBAL__N_139chunk_gated_delta_rule_fwd_h_hip_kernelILi32ELb1ELb1ELb0ELb1ELb1ELb0ELb1ELb1EEEvPK12hip_bfloat16S3_S3_PKfS5_PKvPS1_S8_PvPKiSB_iiiiilll: ; @_ZN12_GLOBAL__N_139chunk_gated_delta_rule_fwd_h_hip_kernelILi32ELb1ELb1ELb0ELb1ELb1ELb0ELb1ELb1EEEvPK12hip_bfloat16S3_S3_PKfS5_PKvPS1_S8_PvPKiSB_iiiiilll
; %bb.0:
	s_load_dwordx4 s[16:19], s[0:1], 0x5c
	s_load_dwordx2 s[4:5], s[0:1], 0x50
	s_abs_i32 s7, s3
	s_ashr_i32 s6, s3, 31
	s_load_dwordx4 s[12:15], s[0:1], 0x40
	s_load_dwordx4 s[20:23], s[0:1], 0x28
	s_waitcnt lgkmcnt(0)
	s_abs_i32 s10, s17
	v_cvt_f32_u32_e32 v1, s10
	s_sub_i32 s8, 0, s10
	s_ashr_i32 s11, s17, 31
	s_xor_b32 s6, s6, s11
	v_rcp_iflag_f32_e32 v1, v1
	v_and_b32_e32 v66, 15, v0
	v_bfe_u32 v65, v0, 4, 2
	v_mov_b32_e32 v51, 0
	v_mul_f32_e32 v1, 0x4f7ffffe, v1
	v_cvt_u32_f32_e32 v1, v1
	v_lshlrev_b32_e32 v67, 3, v0
	v_readfirstlane_b32 s9, v1
	s_mul_i32 s8, s8, s9
	s_mul_hi_u32 s8, s9, s8
	s_add_i32 s9, s9, s8
	s_mul_hi_u32 s8, s7, s9
	s_mul_i32 s9, s8, s10
	s_sub_i32 s7, s7, s9
	s_add_i32 s24, s8, 1
	s_sub_i32 s9, s7, s10
	s_cmp_ge_u32 s7, s10
	s_cselect_b32 s8, s24, s8
	s_cselect_b32 s7, s9, s7
	s_add_i32 s9, s8, 1
	s_cmp_ge_u32 s7, s10
	s_cselect_b32 s7, s9, s8
	s_xor_b32 s7, s7, s6
	s_sub_i32 s28, s7, s6
	s_mul_i32 s24, s28, s17
	s_ashr_i32 s29, s28, 31
	s_sub_i32 s49, s3, s24
	s_lshl_b64 s[6:7], s[28:29], 2
	s_add_u32 s8, s14, s6
	s_addc_u32 s9, s15, s7
	s_add_u32 s30, s4, s6
	s_addc_u32 s31, s5, s7
	s_abs_i32 s3, s18
	v_cvt_f32_u32_e32 v1, s3
	s_load_dwordx2 s[36:37], s[8:9], 0x0
	s_sub_i32 s5, 0, s3
	s_lshl_b32 s2, s2, 5
	v_rcp_iflag_f32_e32 v1, v1
	v_or_b32_e32 v56, s2, v66
	s_waitcnt lgkmcnt(0)
	s_sub_i32 s52, s37, s36
	s_ashr_i32 s4, s52, 31
	v_mul_f32_e32 v1, 0x4f7ffffe, v1
	v_cvt_u32_f32_e32 v1, v1
	s_lshr_b32 s4, s4, 26
	s_add_i32 s4, s52, s4
	s_ashr_i32 s50, s4, 6
	v_readfirstlane_b32 s6, v1
	s_mul_i32 s5, s5, s6
	s_mul_hi_u32 s5, s6, s5
	s_add_i32 s6, s6, s5
	s_mul_hi_u32 s5, s10, s6
	s_mul_i32 s6, s5, s3
	s_ashr_i32 s4, s18, 31
	s_sub_i32 s6, s10, s6
	s_xor_b32 s4, s11, s4
	s_add_i32 s7, s5, 1
	s_sub_i32 s8, s6, s3
	s_cmp_ge_u32 s6, s3
	s_cselect_b32 s5, s7, s5
	s_cselect_b32 s6, s8, s6
	s_add_i32 s7, s5, 1
	s_cmp_ge_u32 s6, s3
	s_cselect_b32 s3, s7, s5
	s_xor_b32 s3, s3, s4
	s_sub_i32 s3, s3, s4
	s_abs_i32 s4, s3
	v_cvt_f32_u32_e32 v1, s4
	s_sub_i32 s6, 0, s4
	s_abs_i32 s5, s49
	s_xor_b32 s3, s49, s3
	v_rcp_iflag_f32_e32 v2, v1
	s_ashr_i32 s3, s3, 31
	v_lshrrev_b32_e32 v1, 6, v0
	v_lshlrev_b32_e32 v52, 7, v56
	v_mul_f32_e32 v2, 0x4f7ffffe, v2
	v_cvt_u32_f32_e32 v2, v2
	v_lshlrev_b32_e32 v64, 4, v1
	v_or_b32_e32 v54, 0x800, v52
	v_lshl_or_b32 v69, v65, 2, v64
	v_readfirstlane_b32 s7, v2
	s_mul_i32 s6, s6, s7
	s_mul_hi_u32 s6, s7, s6
	s_add_i32 s7, s7, s6
	s_mul_hi_u32 s6, s5, s7
	s_mul_i32 s7, s6, s4
	s_sub_i32 s5, s5, s7
	s_add_i32 s7, s6, 1
	s_sub_i32 s8, s5, s4
	s_cmp_ge_u32 s5, s4
	s_cselect_b32 s6, s7, s6
	s_cselect_b32 s5, s8, s5
	s_add_i32 s7, s6, 1
	s_cmp_ge_u32 s5, s4
	s_cselect_b32 s4, s7, s6
	s_xor_b32 s4, s4, s3
	s_sub_i32 s53, s4, s3
	s_ashr_i32 s51, s49, 31
	s_mul_hi_i32 s3, s28, s17
	s_add_u32 s4, s24, s49
	s_addc_u32 s5, s3, s51
	s_lshl_b64 s[14:15], s[4:5], 15
	s_add_u32 s4, s20, s14
	s_addc_u32 s5, s21, s15
	v_ashrrev_i32_e32 v53, 31, v52
	v_ashrrev_i32_e32 v55, 31, v54
	v_lshl_add_u64 v[2:3], v[52:53], 1, s[4:5]
	v_lshlrev_b32_e32 v50, 1, v69
	v_lshl_add_u64 v[6:7], v[54:55], 1, s[4:5]
	v_lshl_add_u64 v[2:3], v[2:3], 0, v[50:51]
	;; [unrolled: 1-line block ×3, first 2 shown]
	global_load_dwordx2 v[4:5], v[2:3], off
	v_and_b32_e32 v51, 63, v0
	global_load_dwordx2 v[2:3], v[2:3], off offset:128
	s_nop 0
	global_load_dwordx2 v[8:9], v[6:7], off
	global_load_dwordx2 v[10:11], v[6:7], off offset:128
	s_load_dwordx8 s[4:11], s[0:1], 0x0
	s_load_dwordx2 s[34:35], s[0:1], 0x80
	s_load_dwordx4 s[24:27], s[0:1], 0x70
	s_load_dword s56, s[30:31], 0x0
	v_lshrrev_b32_e32 v68, 3, v51
	v_or_b32_e32 v70, 64, v69
	s_mul_hi_i32 s54, s49, s16
	s_waitcnt lgkmcnt(0)
	s_mul_i32 s33, s28, s25
	s_mul_hi_u32 s44, s28, s24
	s_mul_i32 s38, s28, s24
	s_mul_i32 s45, s29, s24
	;; [unrolled: 1-line block ×4, first 2 shown]
	s_mul_hi_u32 s47, s49, s26
	s_mul_i32 s48, s51, s26
	s_cmp_lt_i32 s52, 64
	s_mul_i32 s40, s49, s26
	s_waitcnt vmcnt(3)
	v_and_b32_e32 v19, 0xffff0000, v4
	v_lshlrev_b32_e32 v18, 16, v4
	v_and_b32_e32 v21, 0xffff0000, v5
	v_lshlrev_b32_e32 v20, 16, v5
	s_waitcnt vmcnt(2)
	v_and_b32_e32 v23, 0xffff0000, v2
	v_lshlrev_b32_e32 v22, 16, v2
	v_and_b32_e32 v25, 0xffff0000, v3
	v_lshlrev_b32_e32 v24, 16, v3
	;; [unrolled: 5-line block ×4, first 2 shown]
	s_cbranch_scc1 .LBB290_3
; %bb.1:
	s_ashr_i32 s1, s36, 31
	s_add_u32 s0, s55, s36
	s_addc_u32 s1, s54, s1
	s_lshl_b64 s[0:1], s[0:1], 8
	v_and_b32_e32 v72, 56, v67
	s_add_u32 s24, s6, s0
	v_lshl_or_b32 v71, v1, 3, v68
	v_lshlrev_b32_e32 v2, 1, v72
	s_addc_u32 s0, s7, s1
	v_lshl_or_b32 v73, v71, 8, v2
	s_and_b32 s25, s0, 0xffff
	s_mov_b32 s27, 0x20000
	s_movk_i32 s26, 0x4000
	s_movk_i32 s0, 0x80
	v_or_b32_e32 v74, 0x2000, v73
	buffer_load_dwordx4 v[4:7], v73, s[24:27], 0 offen
	buffer_load_dwordx4 v[8:11], v73, s[24:27], s0 offen
	buffer_load_dwordx4 v[12:15], v74, s[24:27], 0 offen
	buffer_load_dwordx4 v[34:37], v74, s[24:27], s0 offen
	v_lshlrev_b32_e32 v3, 3, v71
	v_and_or_b32 v17, v0, 7, v3
	v_and_b32_e32 v3, 0x78, v3
	v_lshlrev_b32_e32 v17, 4, v17
	v_xor_b32_e32 v75, v17, v3
	v_mul_lo_u32 v16, v71, s19
	v_or_b32_e32 v76, 0x1000, v75
	v_xor_b32_e32 v3, 8, v75
	s_cmpk_eq_i32 s19, 0x80
	s_mov_b32 s57, s36
	v_xor_b32_e32 v17, 8, v76
	s_cselect_b64 s[0:1], -1, 0
	s_cmpk_lg_i32 s19, 0x80
	s_waitcnt vmcnt(3)
	ds_write_b64 v75, v[4:5] offset:24576
	ds_write_b64 v3, v[6:7] offset:24576
	s_waitcnt vmcnt(2)
	ds_write_b64 v75, v[8:9] offset:32768
	ds_write_b64 v3, v[10:11] offset:32768
	;; [unrolled: 3-line block ×4, first 2 shown]
	v_lshl_add_u32 v3, v16, 1, v72
	s_cbranch_scc0 .LBB290_29
; %bb.2:
	v_lshlrev_b32_e32 v5, 1, v3
	v_add_lshl_u32 v4, v3, s19, 1
	s_lshl_b32 s26, s19, 7
	v_lshl_or_b32 v2, v71, 9, v2
	s_cbranch_execz .LBB290_30
	s_branch .LBB290_31
.LBB290_3:
	v_mov_b64_e32 v[2:3], v[18:19]
	v_mov_b64_e32 v[4:5], v[20:21]
	;; [unrolled: 1-line block ×8, first 2 shown]
.LBB290_4:
	s_lshl_b32 s30, s50, 6
	s_sub_i32 s31, s52, s30
	s_cmp_gt_i32 s31, 0
	s_cbranch_scc0 .LBB290_83
; %bb.5:
	s_add_i32 s30, s30, s36
	s_ashr_i32 s3, s30, 31
	s_cmpk_lg_i32 s19, 0x80
	s_cselect_b64 s[26:27], -1, 0
	s_and_b64 vcc, exec, s[26:27]
	s_cbranch_vccz .LBB290_7
; %bb.6:
	s_mul_hi_i32 s0, s30, s18
	s_mul_i32 s1, s30, s18
	s_ashr_i32 s18, s53, 31
	s_add_u32 s28, s1, s53
	s_addc_u32 s29, s0, s18
	s_cbranch_execz .LBB290_8
	s_branch .LBB290_9
.LBB290_7:
                                        ; implicit-def: $sgpr28_sgpr29
.LBB290_8:
	s_mul_i32 s1, s53, s16
	s_mul_hi_i32 s0, s53, s16
	s_add_u32 s28, s1, s30
	s_addc_u32 s29, s0, s3
.LBB290_9:
	s_add_i32 s16, s50, s56
	s_add_u32 s0, s55, s30
	v_lshlrev_b32_e32 v22, 5, v69
	v_lshlrev_b32_e32 v38, 2, v66
	s_addc_u32 s1, s54, s3
	s_mov_b32 s3, 0x7060302
	v_or_b32_e32 v25, v22, v38
	v_xor_b32_e32 v23, v69, v38
	v_perm_b32 v19, v5, v4, s3
	v_perm_b32 v18, v3, v2, s3
	;; [unrolled: 1-line block ×4, first 2 shown]
	v_lshlrev_b32_e32 v25, 1, v25
	v_xor_b32_e32 v24, v70, v38
	ds_write2st64_b64 v25, v[18:19], v[20:21] offset0:80 offset1:88
	v_lshlrev_b32_e32 v23, 1, v23
	v_lshlrev_b32_e32 v25, 8, v66
	s_lshl_b64 s[24:25], s[0:1], 8
	v_or_b32_e32 v26, v23, v25
	v_lshlrev_b32_e32 v24, 1, v24
	s_add_u32 s0, s6, s24
	ds_write_b64 v26, v[18:19]
	v_or_b32_e32 v18, v24, v25
	s_addc_u32 s1, s7, s25
	ds_write_b64 v18, v[20:21]
	v_perm_b32 v19, v13, v12, s3
	v_perm_b32 v18, v11, v10, s3
	v_perm_b32 v21, v17, v16, s3
	v_perm_b32 v20, v15, v14, s3
	v_or_b32_e32 v25, 16, v66
	s_mul_hi_i32 s3, s16, s17
	s_mul_i32 s16, s16, s17
	v_lshlrev_b32_e32 v35, 2, v25
	s_add_u32 s6, s16, s49
	v_or_b32_e32 v22, v22, v35
	s_addc_u32 s7, s3, s51
	v_lshlrev_b32_e32 v22, 1, v22
	s_ashr_i32 s3, s2, 31
	s_lshl_b64 s[6:7], s[6:7], 15
	ds_write2st64_b64 v22, v[18:19], v[20:21] offset0:80 offset1:88
	v_lshlrev_b32_e32 v22, 8, v25
	s_add_u32 s6, s22, s6
	v_or_b32_e32 v23, v23, v22
	s_addc_u32 s7, s23, s7
	s_lshl_b64 s[2:3], s[2:3], 8
	ds_write_b64 v23, v[18:19]
	v_or_b32_e32 v18, v24, v22
	s_add_u32 s2, s6, s2
	ds_write_b64 v18, v[20:21]
	v_lshrrev_b32_e32 v18, 4, v0
	s_addc_u32 s3, s7, s3
	v_lshlrev_b32_e32 v19, 1, v66
	v_lshlrev_b32_e32 v26, 4, v66
	v_mov_b32_e32 v27, 0
	v_or_b32_e32 v20, 1, v19
	v_xor_b32_e32 v19, v18, v19
	v_lshl_add_u64 v[28:29], s[2:3], 0, v[26:27]
	v_lshlrev_b32_e32 v26, 8, v18
	v_xor_b32_e32 v22, v20, v18
	v_lshl_or_b32 v18, v19, 3, v26
	s_waitcnt lgkmcnt(0)
	s_barrier
	ds_read2st64_b64 v[18:21], v18 offset1:8
	v_lshl_or_b32 v22, v22, 3, v26
	ds_read2st64_b64 v[22:25], v22 offset1:8
	v_lshl_add_u64 v[30:31], v[28:29], 0, v[26:27]
	s_movk_i32 s2, 0x1000
	s_waitcnt lgkmcnt(1)
	v_mov_b32_e32 v26, v18
	v_add_co_u32_e32 v18, vcc, s2, v30
	s_cmp_lg_u32 s31, 64
	v_mov_b32_e32 v27, v19
	v_addc_co_u32_e32 v19, vcc, 0, v31, vcc
	s_cselect_b64 s[6:7], -1, 0
	v_lshl_or_b32 v42, v1, 3, v68
	s_waitcnt lgkmcnt(0)
	v_mov_b32_e32 v28, v22
	v_mov_b32_e32 v29, v23
	v_mov_b32_e32 v22, v20
	v_mov_b32_e32 v23, v21
	s_mov_b32 s20, 0
	v_or_b32_e32 v36, 32, v42
	v_and_b32_e32 v34, 56, v67
	s_and_b64 vcc, exec, s[6:7]
	global_store_dwordx4 v[30:31], v[26:29], off
	global_store_dwordx4 v[18:19], v[22:25], off
	s_cbranch_vccz .LBB290_15
; %bb.10:
	s_mov_b32 s22, s20
	s_mov_b32 s23, s20
	s_mov_b32 s21, s20
	v_mov_b64_e32 v[24:25], s[22:23]
	v_mov_b64_e32 v[22:23], s[20:21]
	;; [unrolled: 1-line block ×3, first 2 shown]
	v_cmp_gt_i32_e32 vcc, s31, v42
	v_mov_b64_e32 v[20:21], v[24:25]
	s_and_saveexec_b64 s[2:3], vcc
	s_cbranch_execz .LBB290_12
; %bb.11:
	v_lshlrev_b32_e32 v18, 8, v42
	v_mov_b32_e32 v19, 0
	v_lshl_add_u64 v[20:21], s[0:1], 0, v[18:19]
	v_lshlrev_b32_e32 v18, 1, v34
	v_lshl_add_u64 v[26:27], v[20:21], 0, v[18:19]
	global_load_dwordx4 v[22:25], v[26:27], off
	global_load_dwordx4 v[18:21], v[26:27], off offset:128
.LBB290_12:
	s_or_b64 exec, exec, s[2:3]
	s_mov_b32 s22, s20
	s_mov_b32 s23, s20
	;; [unrolled: 1-line block ×3, first 2 shown]
	v_mov_b64_e32 v[32:33], s[22:23]
	v_mov_b64_e32 v[30:31], s[20:21]
	;; [unrolled: 1-line block ×3, first 2 shown]
	v_cmp_gt_i32_e32 vcc, s31, v36
	v_lshlrev_b32_e32 v37, 7, v36
	v_mov_b64_e32 v[28:29], v[32:33]
	s_and_saveexec_b64 s[2:3], vcc
	s_cbranch_execz .LBB290_14
; %bb.13:
	v_lshlrev_b32_e32 v26, 1, v37
	v_mov_b32_e32 v27, 0
	v_lshl_add_u64 v[28:29], s[0:1], 0, v[26:27]
	v_lshlrev_b32_e32 v26, 1, v34
	v_lshl_add_u64 v[40:41], v[28:29], 0, v[26:27]
	global_load_dwordx4 v[30:33], v[40:41], off
	global_load_dwordx4 v[26:29], v[40:41], off offset:128
.LBB290_14:
	s_or_b64 exec, exec, s[2:3]
	v_lshrrev_b32_e32 v39, 3, v34
	v_lshlrev_b32_e32 v40, 3, v42
	v_or_b32_e32 v39, v40, v39
	v_lshlrev_b32_e32 v39, 4, v39
	v_and_b32_e32 v40, 0x78, v40
	v_xor_b32_e32 v39, v39, v40
	s_branch .LBB290_17
.LBB290_15:
                                        ; implicit-def: $vgpr39
                                        ; implicit-def: $vgpr37
                                        ; implicit-def: $vgpr22_vgpr23_vgpr24_vgpr25
                                        ; implicit-def: $vgpr18_vgpr19_vgpr20_vgpr21
                                        ; implicit-def: $vgpr30_vgpr31_vgpr32_vgpr33
                                        ; implicit-def: $vgpr26_vgpr27_vgpr28_vgpr29
	s_cbranch_execz .LBB290_17
; %bb.16:
	s_waitcnt vmcnt(0)
	v_lshlrev_b32_e32 v18, 1, v34
	v_lshl_or_b32 v37, v42, 8, v18
	s_and_b32 s1, s1, 0xffff
	s_mov_b32 s3, 0x20000
	s_movk_i32 s2, 0x4000
	v_lshl_or_b32 v39, v36, 8, v18
	s_movk_i32 s16, 0x80
	buffer_load_dwordx4 v[22:25], v37, s[0:3], 0 offen
	buffer_load_dwordx4 v[18:21], v37, s[0:3], s16 offen
	;; [unrolled: 1-line block ×4, first 2 shown]
	v_lshrrev_b32_e32 v37, 3, v34
	v_lshlrev_b32_e32 v39, 3, v42
	v_or_b32_e32 v37, v39, v37
	v_lshlrev_b32_e32 v37, 4, v37
	v_and_b32_e32 v39, 0x78, v39
	v_xor_b32_e32 v39, v37, v39
	v_lshlrev_b32_e32 v37, 7, v36
.LBB290_17:
	s_lshl_b64 s[0:1], s[28:29], 8
	s_add_u32 s4, s4, s0
	s_movk_i32 s0, 0x1000
	v_and_or_b32 v36, v37, s0, v39
	s_waitcnt vmcnt(1)
	ds_write_b64 v39, v[22:23] offset:24576
	v_xor_b32_e32 v22, 8, v39
	ds_write_b64 v22, v[24:25] offset:24576
	s_waitcnt vmcnt(0)
	ds_write_b64 v39, v[18:19] offset:32768
	ds_write_b64 v22, v[20:21] offset:32768
	;; [unrolled: 1-line block ×3, first 2 shown]
	v_xor_b32_e32 v18, 8, v36
	ds_write_b64 v18, v[32:33] offset:24576
	ds_write_b64 v36, v[26:27] offset:32768
	;; [unrolled: 1-line block ×3, first 2 shown]
	v_or_b32_e32 v18, v64, v66
	v_lshlrev_b32_e32 v18, 3, v18
	v_lshrrev_b32_e32 v19, 5, v51
	s_movk_i32 s3, 0xf8
	v_and_or_b32 v19, v18, s3, v19
	v_lshlrev_b32_e32 v23, 4, v19
	v_lshlrev_b32_e32 v39, 11, v1
	v_and_b32_e32 v24, 0x78, v18
	v_or_b32_e32 v26, 32, v23
	v_and_b32_e32 v22, 0x1000, v39
	v_lshrrev_b32_e32 v19, 1, v51
	v_xor_b32_e32 v26, v26, v24
	v_xor_b32_e32 v18, v23, v24
	v_and_b32_e32 v25, 8, v19
	v_or_b32_e32 v26, v26, v22
	v_or_b32_e32 v18, v18, v22
	v_xor_b32_e32 v44, v26, v25
	v_or_b32_e32 v26, 64, v23
	v_xor_b32_e32 v43, v18, v25
	v_xor_b32_e32 v26, v26, v24
	s_waitcnt lgkmcnt(0)
	s_barrier
	v_or_b32_e32 v28, v26, v22
	ds_read_b64 v[26:27], v43 offset:24576
	v_lshl_or_b32 v36, v65, 7, v38
	v_lshlrev_b32_e32 v40, 1, v36
	v_add_u32_e32 v18, 0xa000, v40
	ds_read2_b64 v[18:21], v18 offset1:16
	v_or_b32_e32 v23, 0x60, v23
	v_xor_b32_e32 v23, v23, v24
	s_waitcnt lgkmcnt(0)
	v_mfma_f32_16x16x16_bf16 a[0:3], v[26:27], v[18:19], 0
	v_or_b32_e32 v18, 64, v36
	v_or_b32_e32 v22, v23, v22
	v_lshlrev_b32_e32 v41, 1, v18
	v_xor_b32_e32 v45, v28, v25
	v_xor_b32_e32 v46, v22, v25
	ds_read_b64 v[28:29], v44 offset:24576
	ds_read_b64 v[30:31], v45 offset:24576
	;; [unrolled: 1-line block ×3, first 2 shown]
	v_mfma_f32_16x16x16_bf16 a[4:7], v[26:27], v[20:21], 0
	ds_read2st64_b64 v[18:21], v41 offset0:82 offset1:84
	ds_read2st64_b64 v[22:25], v40 offset0:82 offset1:84
	s_addc_u32 s5, s5, s1
	s_add_i32 s1, s44, s33
	s_add_i32 s0, s37, -1
	s_add_i32 s39, s1, s45
	s_add_i32 s1, s47, s46
	;; [unrolled: 1-line block ×3, first 2 shown]
	s_ashr_i32 s1, s0, 31
	s_mul_i32 s2, s0, s35
	s_mul_hi_u32 s3, s0, s34
	s_add_i32 s2, s3, s2
	s_mul_i32 s1, s1, s34
	s_waitcnt lgkmcnt(1)
	v_mfma_f32_16x16x16_bf16 a[4:7], v[28:29], v[18:19], a[4:7]
	s_add_i32 s1, s2, s1
	s_lshl_b64 s[2:3], s[38:39], 2
	s_add_u32 s10, s10, s2
	s_waitcnt lgkmcnt(0)
	v_mfma_f32_16x16x16_bf16 a[0:3], v[28:29], v[22:23], a[0:3]
	s_addc_u32 s11, s11, s3
	s_lshl_b64 s[2:3], s[40:41], 2
	s_mul_i32 s0, s0, s34
	s_add_u32 s10, s10, s2
	ds_read_b64 v[18:19], v40 offset:44032
	v_mfma_f32_16x16x16_bf16 a[4:7], v[30:31], v[20:21], a[4:7]
	ds_read_b64 v[20:21], v41 offset:44032
	s_addc_u32 s11, s11, s3
	s_lshl_b64 s[0:1], s[0:1], 2
	v_mfma_f32_16x16x16_bf16 a[0:3], v[30:31], v[24:25], a[0:3]
	s_add_u32 s0, s10, s0
	s_addc_u32 s1, s11, s1
	s_load_dword s16, s[0:1], 0x0
	s_waitcnt lgkmcnt(0)
	v_mfma_f32_16x16x16_bf16 a[0:3], v[32:33], v[18:19], a[0:3]
	s_and_b64 vcc, exec, s[26:27]
	v_mfma_f32_16x16x16_bf16 a[4:7], v[32:33], v[20:21], a[4:7]
	s_cbranch_vccz .LBB290_28
; %bb.18:
	v_lshlrev_b32_e32 v36, 1, v42
	s_and_b64 vcc, exec, s[6:7]
	s_cbranch_vccz .LBB290_43
; %bb.19:
	v_cmp_gt_i32_e32 vcc, s31, v36
	v_mov_b32_e32 v22, 0
	v_mov_b32_e32 v18, 0
	v_mov_b32_e32 v19, 0
	v_mov_b32_e32 v20, 0
	v_mov_b32_e32 v21, 0
	s_and_saveexec_b64 s[0:1], vcc
	s_cbranch_execz .LBB290_21
; %bb.20:
	v_mad_i64_i32 v[18:19], s[2:3], s19, v36, 0
	v_lshl_add_u64 v[18:19], v[18:19], 1, s[4:5]
	v_lshlrev_b32_e32 v20, 1, v34
	v_mov_b32_e32 v21, 0
	v_lshl_add_u64 v[18:19], v[18:19], 0, v[20:21]
	global_load_dwordx4 v[18:21], v[18:19], off
.LBB290_21:
	s_or_b64 exec, exec, s[0:1]
	v_or_b32_e32 v37, 1, v36
	v_cmp_gt_i32_e64 s[0:1], s31, v37
	v_mov_b32_e32 v23, 0
	v_mov_b32_e32 v24, 0
	;; [unrolled: 1-line block ×3, first 2 shown]
	s_and_saveexec_b64 s[2:3], s[0:1]
	s_cbranch_execz .LBB290_23
; %bb.22:
	v_mad_i64_i32 v[22:23], s[20:21], s19, v37, 0
	v_lshl_add_u64 v[22:23], v[22:23], 1, s[4:5]
	v_lshlrev_b32_e32 v24, 1, v34
	v_mov_b32_e32 v25, 0
	v_lshl_add_u64 v[22:23], v[22:23], 0, v[24:25]
	global_load_dwordx4 v[22:25], v[22:23], off
.LBB290_23:
	s_or_b64 exec, exec, s[2:3]
	v_mov_b32_e32 v33, 0
	v_mov_b32_e32 v26, 0
	;; [unrolled: 1-line block ×5, first 2 shown]
	s_and_saveexec_b64 s[2:3], vcc
	s_cbranch_execz .LBB290_25
; %bb.24:
	v_mad_i64_i32 v[26:27], s[20:21], s19, v36, 0
	v_lshl_add_u64 v[26:27], v[26:27], 1, s[4:5]
	v_lshlrev_b32_e32 v28, 1, v34
	v_mov_b32_e32 v29, 0
	v_lshl_add_u64 v[26:27], v[26:27], 0, v[28:29]
	global_load_dwordx4 v[26:29], v[26:27], off offset:128
.LBB290_25:
	s_or_b64 exec, exec, s[2:3]
	v_mov_b32_e32 v32, 0
	v_mov_b32_e32 v31, 0
	;; [unrolled: 1-line block ×3, first 2 shown]
	s_and_saveexec_b64 s[2:3], s[0:1]
	s_cbranch_execz .LBB290_27
; %bb.26:
	v_mad_i64_i32 v[30:31], s[0:1], s19, v37, 0
	v_lshl_add_u64 v[30:31], v[30:31], 1, s[4:5]
	v_lshlrev_b32_e32 v32, 1, v34
	v_mov_b32_e32 v33, 0
	v_lshl_add_u64 v[30:31], v[30:31], 0, v[32:33]
	global_load_dwordx4 v[30:33], v[30:31], off offset:128
.LBB290_27:
	s_or_b64 exec, exec, s[2:3]
	s_branch .LBB290_45
.LBB290_28:
                                        ; implicit-def: $vgpr21
                                        ; implicit-def: $vgpr25
                                        ; implicit-def: $vgpr29
                                        ; implicit-def: $vgpr33
	v_lshrrev_b32_e32 v47, 2, v51
	s_branch .LBB290_46
.LBB290_29:
                                        ; implicit-def: $vgpr4
                                        ; implicit-def: $vgpr5
                                        ; implicit-def: $sgpr26
	v_lshl_or_b32 v2, v71, 9, v2
.LBB290_30:
	v_or_b32_e32 v4, 0x100, v2
	s_movk_i32 s26, 0x4000
	v_mov_b32_e32 v5, v2
.LBB290_31:
	s_mul_i32 s20, s36, s18
	s_ashr_i32 s58, s53, 31
	s_mul_hi_i32 s3, s36, s18
	s_add_u32 s20, s20, s53
	s_addc_u32 s21, s3, s58
	s_lshl_b64 s[20:21], s[20:21], 8
	s_add_u32 s24, s4, s20
	s_addc_u32 s3, s5, s21
	s_and_b32 s25, s3, 0xffff
	s_movk_i32 s59, 0x80
	buffer_load_dwordx4 v[6:9], v5, s[24:27], 0 offen
	buffer_load_dwordx4 v[10:13], v5, s[24:27], s59 offen
	;; [unrolled: 1-line block ×4, first 2 shown]
	v_and_b32_e32 v4, 6, v0
	v_lshlrev_b32_e32 v39, 6, v69
	v_or_b32_e32 v41, 16, v66
	v_xor_b32_e32 v42, v71, v4
	v_and_b32_e32 v5, 1, v0
	v_lshl_or_b32 v45, v66, 3, v39
	v_lshl_or_b32 v39, v41, 3, v39
	v_lshlrev_b32_e32 v42, 2, v42
	v_lshlrev_b32_e32 v38, 2, v66
	v_or_b32_e32 v79, 0xa000, v39
	v_or_b32_e32 v80, 0xb000, v39
	v_xor_b32_e32 v39, 0x440, v42
	v_cmp_eq_u32_e32 vcc, 0, v5
	s_add_i32 s3, s44, s33
	v_xor_b32_e32 v43, v69, v38
	v_xor_b32_e32 v44, v70, v38
	v_cndmask_b32_e32 v5, v39, v42, vcc
	s_add_i32 s20, s47, s46
	s_add_i32 s39, s3, s45
	s_mov_b32 s60, 0x1000504
	v_lshlrev_b32_e32 v40, 8, v66
	v_lshlrev_b32_e32 v41, 8, v41
	;; [unrolled: 1-line block ×4, first 2 shown]
	v_lshl_or_b32 v4, v4, 10, v5
	s_add_i32 s41, s20, s48
	s_lshl_b64 s[20:21], s[38:39], 2
	s_mov_b32 s61, 0x3020706
	v_or_b32_e32 v77, 0xa000, v45
	v_or_b32_e32 v78, 0xb000, v45
	;; [unrolled: 1-line block ×5, first 2 shown]
	v_xor_b32_e32 v5, 8, v4
	v_xor_b32_e32 v40, 24, v4
	;; [unrolled: 1-line block ×4, first 2 shown]
	s_add_u32 s3, s10, s20
	v_or_b32_e32 v83, v41, v43
	v_xor_b32_e32 v39, 16, v4
	v_xor_b32_e32 v41, 32, v4
	;; [unrolled: 1-line block ×3, first 2 shown]
	v_add_u32_e32 v5, 0x80, v5
	v_add_u32_e32 v40, 0x80, v40
	v_add_u32_e32 v42, 0x80, v42
	v_add_u32_e32 v44, 0x80, v44
	s_addc_u32 s24, s11, s21
	s_lshl_b64 s[20:21], s[40:41], 2
	s_add_u32 s20, s3, s20
	s_movk_i32 s3, 0xf8
	s_addc_u32 s21, s24, s21
	s_lshl_b32 s30, s19, 7
	s_movk_i32 s28, 0x100
	v_mov_b32_e32 v59, 0
	v_lshlrev_b32_e32 v58, 4, v66
	v_cmp_gt_u32_e32 vcc, s28, v0
	v_ashrrev_i32_e32 v57, 31, v56
	s_mov_b32 s62, 0
	s_movk_i32 s39, 0x1000
	s_movk_i32 s26, 0x4000
	v_lshl_add_u64 v[60:61], v[56:57], 1, s[8:9]
	s_waitcnt vmcnt(1)
	v_perm_b32 v45, v6, v14, s60
	s_waitcnt vmcnt(0)
	v_perm_b32 v46, v10, v34, s60
	v_perm_b32 v6, v6, v14, s61
	;; [unrolled: 1-line block ×15, first 2 shown]
	ds_write2st64_b32 v4, v45, v46 offset0:32 offset1:64
	ds_write2st64_b32 v5, v6, v10 offset0:32 offset1:64
	;; [unrolled: 1-line block ×8, first 2 shown]
	v_or_b32_e32 v4, v64, v66
	v_lshlrev_b32_e32 v4, 3, v4
	v_lshrrev_b32_e32 v7, 5, v51
	v_and_or_b32 v7, v4, s3, v7
	v_lshlrev_b32_e32 v7, 4, v7
	v_lshlrev_b32_e32 v5, 11, v1
	v_and_b32_e32 v4, 0x78, v4
	v_or_b32_e32 v12, 32, v7
	v_and_b32_e32 v6, 0x1000, v5
	v_lshrrev_b32_e32 v9, 1, v0
	v_xor_b32_e32 v12, v12, v4
	v_and_b32_e32 v10, 8, v9
	v_or_b32_e32 v12, v12, v6
	v_xor_b32_e32 v8, v7, v4
	v_xor_b32_e32 v87, v12, v10
	v_or_b32_e32 v12, 64, v7
	v_or_b32_e32 v7, 0x60, v7
	s_ashr_i32 s3, s2, 31
	v_xor_b32_e32 v12, v12, v4
	v_xor_b32_e32 v4, v7, v4
	s_lshl_b64 s[24:25], s[2:3], 8
	v_or_b32_e32 v8, v8, v6
	v_or_b32_e32 v12, v12, v6
	v_or_b32_e32 v4, v4, v6
	s_add_u32 s24, s22, s24
	v_lshlrev_b32_e32 v6, 1, v66
	v_xor_b32_e32 v89, v12, v10
	v_lshrrev_b32_e32 v12, 4, v0
	s_addc_u32 s25, s23, s25
	v_or_b32_e32 v7, 1, v6
	v_mov_b32_e32 v16, 0x4000
	v_mov_b32_e32 v17, 0x2000
	v_xor_b32_e32 v13, v12, v6
	v_xor_b32_e32 v14, v7, v12
	v_lshl_add_u64 v[6:7], s[24:25], 0, v[58:59]
	v_lshlrev_b32_e32 v58, 8, v12
	v_cndmask_b32_e32 v16, v16, v17, vcc
	v_lshlrev_b32_e32 v17, 3, v1
	v_and_b32_e32 v9, 24, v9
	v_lshl_or_b32 v93, v13, 3, v58
	v_and_b32_e32 v13, 8, v0
	v_xor_b32_e32 v34, v17, v9
	v_or_b32_e32 v35, 0x440, v34
	v_cmp_eq_u32_e32 vcc, 0, v13
	v_and_b32_e32 v12, 7, v0
	v_xor_b32_e32 v85, v8, v10
	v_cndmask_b32_e32 v13, v35, v34, vcc
	v_lshlrev_b32_e32 v8, 7, v65
	v_lshl_or_b32 v94, v14, 3, v58
	v_lshlrev_b32_e32 v14, 3, v12
	v_lshlrev_b32_e32 v12, 7, v12
	;; [unrolled: 1-line block ×3, first 2 shown]
	v_or_b32_e32 v13, v13, v5
	v_or_b32_e32 v11, v8, v38
	v_xad_u32 v95, v13, v14, v12
	v_and_or_b32 v8, v15, 60, v8
	v_mov_b32_e32 v13, 0xb000
	v_lshl_or_b32 v96, v8, 1, v13
	v_or_b32_e32 v8, 32, v9
	v_xor_b32_e32 v8, v17, v8
	v_or_b32_e32 v13, 0x440, v8
	v_cndmask_b32_e32 v8, v13, v8, vcc
	v_or_b32_e32 v8, v8, v5
	v_xad_u32 v97, v8, v14, v12
	v_or_b32_e32 v8, 64, v9
	v_xor_b32_e32 v8, v17, v8
	v_xor_b32_e32 v13, 0x440, v8
	v_cndmask_b32_e32 v8, v13, v8, vcc
	v_or_b32_e32 v8, v8, v5
	v_xad_u32 v98, v8, v14, v12
	v_or_b32_e32 v8, 0x60, v9
	v_xor_b32_e32 v8, v17, v8
	v_xor_b32_e32 v9, 0x440, v8
	v_cndmask_b32_e32 v8, v9, v8, vcc
	v_lshlrev_b32_e32 v11, 1, v11
	v_or_b32_e32 v5, v8, v5
	v_or_b32_e32 v86, 0xa000, v11
	;; [unrolled: 1-line block ×3, first 2 shown]
	v_xor_b32_e32 v90, v4, v10
	v_or_b32_e32 v91, 0xb000, v11
	v_or_b32_e32 v92, 0xb080, v11
	v_lshlrev_b32_e32 v4, 7, v69
	v_lshlrev_b32_e32 v10, 1, v3
	v_add_lshl_u32 v3, v3, s19, 1
	v_or_b32_e32 v11, 0x100, v2
	v_xad_u32 v99, v5, v14, v12
	v_cndmask_b32_e64 v100, v10, v2, s[0:1]
	v_cndmask_b32_e64 v101, v3, v11, s[0:1]
	v_lshl_add_u64 v[62:63], v[6:7], 0, v[58:59]
	s_mov_b32 s3, 0x7060302
	v_lshlrev_b32_e32 v58, 1, v4
	v_add_u32_e32 v57, v16, v95
	v_add_u32_e32 v102, v16, v97
	;; [unrolled: 1-line block ×4, first 2 shown]
	s_waitcnt lgkmcnt(0)
	s_barrier
	s_branch .LBB290_33
.LBB290_32:                             ;   in Loop: Header=BB290_33 Depth=1
	s_waitcnt vmcnt(2)
	v_exp_f32_e32 v34, s24
	s_nop 2
	v_accvgpr_read_b32 v17, a15
	v_accvgpr_read_b32 v2, a4
	;; [unrolled: 1-line block ×16, first 2 shown]
	v_fma_f32 v16, v32, v34, v16
	v_fmac_f32_e32 v17, v33, v34
	v_fma_f32 v2, v18, v34, v2
	v_fma_f32 v3, v19, v34, v3
	v_fma_f32 v4, v20, v34, v4
	v_fmac_f32_e32 v5, v21, v34
	v_fma_f32 v10, v26, v34, v10
	v_fma_f32 v11, v27, v34, v11
	;; [unrolled: 4-line block ×4, first 2 shown]
	s_add_i32 s57, s57, 64
	v_mov_b64_e32 v[32:33], v[16:17]
	s_cmp_eq_u32 s50, s41
	s_mov_b32 s62, s41
	v_mov_b64_e32 v[30:31], v[14:15]
	v_mov_b64_e32 v[28:29], v[12:13]
	;; [unrolled: 1-line block ×7, first 2 shown]
	s_cbranch_scc1 .LBB290_4
.LBB290_33:                             ; =>This Inner Loop Header: Depth=1
	s_add_i32 s41, s62, 1
	s_cmp_lt_i32 s41, s50
	s_mov_b64 s[28:29], 0
	s_cselect_b64 s[42:43], -1, 0
	s_cmp_ge_i32 s41, s50
	s_mov_b64 s[24:25], 0
	s_cbranch_scc1 .LBB290_35
; %bb.34:                               ;   in Loop: Header=BB290_33 Depth=1
	s_add_i32 s0, s57, 64
	s_ashr_i32 s1, s0, 31
	s_add_u32 s0, s55, s0
	s_addc_u32 s1, s54, s1
	s_lshl_b64 s[0:1], s[0:1], 8
	s_add_u32 s24, s6, s0
	s_addc_u32 s25, s7, s1
.LBB290_35:                             ;   in Loop: Header=BB290_33 Depth=1
	v_cndmask_b32_e64 v2, 0, 1, s[42:43]
	v_cmp_ne_u32_e64 s[0:1], 1, v2
	s_andn2_b64 vcc, exec, s[42:43]
	s_cbranch_vccnz .LBB290_37
; %bb.36:                               ;   in Loop: Header=BB290_33 Depth=1
	s_add_i32 s28, s57, 64
	s_mul_hi_i32 s29, s28, s18
	s_mul_i32 s28, s28, s18
	s_add_u32 s28, s28, s53
	s_addc_u32 s29, s29, s58
	s_lshl_b64 s[28:29], s[28:29], 8
	s_add_u32 s28, s4, s28
	s_addc_u32 s29, s5, s29
.LBB290_37:                             ;   in Loop: Header=BB290_33 Depth=1
	v_perm_b32 v3, v21, v20, s3
	v_perm_b32 v2, v19, v18, s3
	;; [unrolled: 1-line block ×4, first 2 shown]
	ds_write_b64 v77, v[2:3]
	ds_write_b64 v78, v[4:5]
	;; [unrolled: 1-line block ×4, first 2 shown]
	v_perm_b32 v3, v29, v28, s3
	v_perm_b32 v2, v27, v26, s3
	;; [unrolled: 1-line block ×4, first 2 shown]
	ds_write_b64 v79, v[2:3]
	ds_write_b64 v80, v[4:5]
	;; [unrolled: 1-line block ×4, first 2 shown]
	s_waitcnt lgkmcnt(0)
	s_barrier
	ds_read_b64 v[6:7], v85 offset:24576
	ds_read2_b64 v[2:5], v86 offset1:16
	ds_read_b64 v[10:11], v88 offset:3072
	ds_read_b64 v[12:13], v86 offset:3072
	;; [unrolled: 1-line block ×3, first 2 shown]
	s_waitcnt lgkmcnt(3)
	v_mfma_f32_16x16x16_bf16 a[0:3], v[6:7], v[2:3], 0
	s_add_i32 s31, s57, 63
	s_ashr_i32 s42, s31, 31
	s_mul_i32 s43, s31, s35
	v_mfma_f32_16x16x16_bf16 a[4:7], v[6:7], v[4:5], 0
	ds_read2st64_b64 v[2:5], v86 offset0:2 offset1:4
	s_mul_hi_u32 s63, s31, s34
	s_add_i32 s43, s63, s43
	s_waitcnt lgkmcnt(0)
	v_mfma_f32_16x16x16_bf16 a[0:3], v[14:15], v[2:3], a[0:3]
	ds_read2st64_b64 v[6:9], v88 offset0:2 offset1:4
	ds_read_b64 v[2:3], v89 offset:24576
	s_mul_i32 s42, s42, s34
	s_add_i32 s43, s43, s42
	s_waitcnt lgkmcnt(1)
	v_mfma_f32_16x16x16_bf16 a[4:7], v[14:15], v[6:7], a[4:7]
	ds_read_b64 v[6:7], v90 offset:24576
	s_mul_i32 s42, s31, s34
	s_lshl_b64 s[42:43], s[42:43], 2
	s_waitcnt lgkmcnt(1)
	v_mfma_f32_16x16x16_bf16 a[0:3], v[2:3], v[4:5], a[0:3]
	s_add_u32 s42, s20, s42
	s_addc_u32 s43, s21, s43
	s_and_b64 vcc, exec, s[0:1]
	v_mfma_f32_16x16x16_bf16 a[4:7], v[2:3], v[8:9], a[4:7]
	v_mov_b32_e32 v107, 0
	v_mov_b32_e32 v106, 0
	;; [unrolled: 1-line block ×3, first 2 shown]
	s_waitcnt lgkmcnt(0)
	v_mfma_f32_16x16x16_bf16 a[0:3], v[6:7], v[12:13], a[0:3]
	v_mov_b32_e32 v2, 0
	v_mov_b32_e32 v3, 0
	;; [unrolled: 1-line block ×3, first 2 shown]
	v_mfma_f32_16x16x16_bf16 a[4:7], v[6:7], v[10:11], a[4:7]
	v_mov_b32_e32 v5, 0
	v_mov_b32_e32 v6, 0
	;; [unrolled: 1-line block ×13, first 2 shown]
	s_cbranch_vccnz .LBB290_39
; %bb.38:                               ;   in Loop: Header=BB290_33 Depth=1
	s_and_b32 s25, s25, 0xffff
	buffer_load_dwordx4 v[14:17], v73, s[24:27], 0 offen
	buffer_load_dwordx4 v[10:13], v73, s[24:27], s59 offen
	buffer_load_dwordx4 v[6:9], v74, s[24:27], 0 offen
	buffer_load_dwordx4 v[2:5], v74, s[24:27], s59 offen
	v_mov_b32_e32 v106, v75
	v_mov_b32_e32 v105, v76
.LBB290_39:                             ;   in Loop: Header=BB290_33 Depth=1
	ds_read_b64 v[38:39], v85 offset:32768
	ds_read2_b64 v[34:37], v91 offset1:16
	ds_read_b64 v[42:43], v87 offset:32768
	ds_read_b64 v[44:45], v89 offset:32768
	;; [unrolled: 1-line block ×3, first 2 shown]
	v_add_u32_e32 v108, s57, v69
	s_waitcnt lgkmcnt(3)
	v_mfma_f32_16x16x16_bf16 a[0:3], v[38:39], v[34:35], a[0:3]
	v_mfma_f32_16x16x16_bf16 a[4:7], v[38:39], v[36:37], a[4:7]
	ds_read2st64_b64 v[34:37], v91 offset0:2 offset1:4
	ds_read2st64_b64 v[38:41], v92 offset0:2 offset1:4
	s_waitcnt lgkmcnt(1)
	v_mfma_f32_16x16x16_bf16 a[0:3], v[42:43], v[34:35], a[0:3]
	ds_read_b64 v[34:35], v91 offset:3072
	ds_read_b64 v[48:49], v92 offset:3072
	s_waitcnt lgkmcnt(2)
	v_mfma_f32_16x16x16_bf16 a[4:7], v[42:43], v[38:39], a[4:7]
	v_ashrrev_i32_e32 v38, 31, v108
	v_mul_lo_u32 v39, v108, s35
	v_mul_lo_u32 v38, v38, s34
	v_mfma_f32_16x16x16_bf16 a[0:3], v[44:45], v[36:37], a[0:3]
	v_mad_u64_u32 v[36:37], s[24:25], v108, s34, 0
	v_add3_u32 v37, v37, v39, v38
	v_add_u32_e32 v38, 1, v108
	v_ashrrev_i32_e32 v39, 31, v38
	v_mfma_f32_16x16x16_bf16 a[4:7], v[44:45], v[40:41], a[4:7]
	v_mul_lo_u32 v39, v39, s34
	v_mul_lo_u32 v40, v38, s35
	v_lshl_add_u64 v[36:37], v[36:37], 2, s[20:21]
	s_waitcnt lgkmcnt(1)
	v_mfma_f32_16x16x16_bf16 a[0:3], v[46:47], v[34:35], a[0:3]
	v_mad_u64_u32 v[34:35], s[24:25], v38, s34, 0
	v_add_u32_e32 v38, 2, v108
	v_add3_u32 v35, v35, v40, v39
	v_ashrrev_i32_e32 v39, 31, v38
	v_mul_lo_u32 v40, v39, s34
	v_mul_lo_u32 v41, v38, s35
	v_mad_u64_u32 v[38:39], s[24:25], v38, s34, 0
	v_add3_u32 v39, v39, v41, v40
	v_add_u32_e32 v40, 3, v108
	v_ashrrev_i32_e32 v41, 31, v40
	v_mul_lo_u32 v42, v41, s34
	v_mul_lo_u32 v43, v40, s35
	v_mad_u64_u32 v[40:41], s[24:25], v40, s34, 0
	v_add3_u32 v41, v41, v43, v42
	v_lshl_add_u64 v[40:41], v[40:41], 2, s[20:21]
	s_ashr_i32 s25, s57, 31
	v_lshl_add_u64 v[34:35], v[34:35], 2, s[20:21]
	v_lshl_add_u64 v[38:39], v[38:39], 2, s[20:21]
	global_load_dword v42, v[36:37], off
	global_load_dword v43, v[34:35], off
	;; [unrolled: 1-line block ×3, first 2 shown]
	s_nop 0
	global_load_dword v41, v[40:41], off
	s_add_u32 s24, s55, s57
	s_addc_u32 s25, s54, s25
	s_lshl_b64 s[24:25], s[24:25], 8
	v_lshl_add_u64 v[34:35], v[60:61], 0, s[24:25]
	v_lshl_add_u64 v[34:35], v[34:35], 0, v[58:59]
	global_load_ushort v45, v[34:35], off
	global_load_ushort v108, v[34:35], off offset:256
	global_load_ushort v109, v[34:35], off offset:800
	;; [unrolled: 1-line block ×7, first 2 shown]
	s_load_dword s24, s[42:43], 0x0
	s_waitcnt lgkmcnt(0)
	v_mfma_f32_16x16x16_bf16 a[4:7], v[46:47], v[48:49], a[4:7]
	v_accvgpr_read_b32 v39, a1
	v_accvgpr_read_b32 v35, a3
	v_accvgpr_read_b32 v34, a2
	v_accvgpr_read_b32 v38, a0
	s_and_b64 vcc, exec, s[0:1]
	s_waitcnt vmcnt(11)
	v_sub_f32_e32 v40, s24, v42
	s_waitcnt vmcnt(10)
	v_sub_f32_e32 v48, s24, v43
	;; [unrolled: 2-line block ×4, first 2 shown]
	v_exp_f32_e32 v40, v40
	v_exp_f32_e32 v41, v48
	;; [unrolled: 1-line block ×4, first 2 shown]
	s_waitcnt vmcnt(6)
	v_lshlrev_b32_e32 v43, 16, v108
	v_lshlrev_b32_e32 v42, 16, v45
	s_waitcnt vmcnt(4)
	v_lshlrev_b32_e32 v45, 16, v110
	s_waitcnt vmcnt(2)
	v_lshlrev_b32_e32 v44, 16, v112
	v_pk_add_f32 v[38:39], v[42:43], v[38:39] neg_lo:[0,1] neg_hi:[0,1]
	v_pk_add_f32 v[34:35], v[44:45], v[34:35] neg_lo:[0,1] neg_hi:[0,1]
	v_pk_mul_f32 v[38:39], v[40:41], v[38:39]
	v_pk_mul_f32 v[34:35], v[48:49], v[34:35]
	s_waitcnt vmcnt(1)
	v_lshlrev_b32_e32 v47, 16, v113
	v_perm_b32 v35, v35, v34, s3
	v_perm_b32 v34, v39, v38, s3
	v_accvgpr_read_b32 v39, a5
	s_waitcnt vmcnt(0)
	v_lshlrev_b32_e32 v46, 16, v114
	v_accvgpr_read_b32 v38, a4
	v_pk_add_f32 v[38:39], v[46:47], v[38:39] neg_lo:[0,1] neg_hi:[0,1]
	v_accvgpr_read_b32 v37, a7
	v_accvgpr_read_b32 v36, a6
	v_pk_mul_f32 v[38:39], v[40:41], v[38:39]
	v_lshlrev_b32_e32 v41, 16, v109
	v_lshlrev_b32_e32 v40, 16, v111
	v_pk_add_f32 v[36:37], v[40:41], v[36:37] neg_lo:[0,1] neg_hi:[0,1]
	v_mov_b32_e32 v108, 0
	v_pk_mul_f32 v[36:37], v[48:49], v[36:37]
	v_mov_b32_e32 v40, 0
	v_perm_b32 v37, v37, v36, s3
	v_perm_b32 v36, v39, v38, s3
	ds_write2_b64 v78, v[34:35], v[36:37] offset1:16
	v_mov_b32_e32 v34, 0
	v_mov_b32_e32 v35, 0
	;; [unrolled: 1-line block ×15, first 2 shown]
	s_cbranch_vccnz .LBB290_41
; %bb.40:                               ;   in Loop: Header=BB290_33 Depth=1
	s_and_b32 s29, s29, 0xffff
	s_mov_b32 s31, s27
	buffer_load_dwordx4 v[46:49], v100, s[28:31], 0 offen
	buffer_load_dwordx4 v[38:41], v100, s[28:31], s59 offen
	;; [unrolled: 1-line block ×4, first 2 shown]
	v_mov_b32_e32 v107, v72
	v_mov_b32_e32 v108, v71
.LBB290_41:                             ;   in Loop: Header=BB290_33 Depth=1
	s_waitcnt lgkmcnt(0)
	s_barrier
	ds_read_b64 v[114:115], v57
	ds_read_b64 v[122:123], v96
	;; [unrolled: 1-line block ×5, first 2 shown]
	ds_read_b64 v[128:129], v97 offset:16384
	ds_read_b64 v[130:131], v95 offset:16384
	ds_read2_b64 v[110:113], v91 offset0:16 offset1:128
	s_waitcnt lgkmcnt(6)
	v_mfma_f32_16x16x16_bf16 a[0:3], v[114:115], v[122:123], 0
	ds_read_b64 v[132:133], v92 offset:3072
	ds_read_b64 v[134:135], v99 offset:16384
	s_add_i32 s25, s56, s62
	s_waitcnt lgkmcnt(2)
	v_mfma_f32_16x16x16_bf16 a[4:7], v[114:115], v[110:111], 0
	ds_read2st64_b64 v[114:117], v92 offset0:2 offset1:4
	s_mul_hi_i32 s29, s25, s17
	s_mul_i32 s25, s25, s17
	v_mfma_f32_16x16x16_bf16 a[0:3], v[118:119], v[112:113], a[0:3]
	s_add_u32 s28, s25, s49
	s_addc_u32 s29, s29, s51
	s_lshl_b64 s[28:29], s[28:29], 15
	s_waitcnt lgkmcnt(0)
	v_mfma_f32_16x16x16_bf16 a[4:7], v[118:119], v[114:115], a[4:7]
	ds_read2st64_b64 v[118:121], v91 offset0:4 offset1:6
	s_waitcnt lgkmcnt(0)
	v_mfma_f32_16x16x16_bf16 a[0:3], v[124:125], v[118:119], a[0:3]
	v_mfma_f32_16x16x16_bf16 a[8:11], v[124:125], v[116:117], a[4:7]
	;; [unrolled: 1-line block ×5, first 2 shown]
	ds_read2st64_b64 v[122:125], v94 offset1:8
	v_mfma_f32_16x16x16_bf16 a[12:15], v[130:131], v[110:111], 0
	ds_read_b64 v[130:131], v98 offset:16384
	v_mfma_f32_16x16x16_bf16 a[8:11], v[128:129], v[112:113], a[8:11]
	ds_read2st64_b64 v[110:113], v93 offset1:8
	s_waitcnt lgkmcnt(0)
	v_mov_b32_e32 v126, v110
	v_mfma_f32_16x16x16_bf16 a[12:15], v[128:129], v[114:115], a[12:15]
	v_lshl_add_u64 v[114:115], v[62:63], 0, s[28:29]
	v_add_co_u32_e32 v110, vcc, s39, v114
	v_mfma_f32_16x16x16_bf16 a[8:11], v[130:131], v[118:119], a[8:11]
	v_mov_b32_e32 v127, v111
	v_addc_co_u32_e32 v111, vcc, 0, v115, vcc
	v_mfma_f32_16x16x16_bf16 a[12:15], v[130:131], v[116:117], a[12:15]
	v_mov_b32_e32 v128, v122
	v_mov_b32_e32 v129, v123
	;; [unrolled: 1-line block ×3, first 2 shown]
	v_mfma_f32_16x16x16_bf16 a[8:11], v[134:135], v[120:121], a[8:11]
	v_mov_b32_e32 v123, v113
	s_and_b64 vcc, exec, s[0:1]
	global_store_dwordx4 v[114:115], v[126:129], off
	v_mfma_f32_16x16x16_bf16 a[12:15], v[134:135], v[132:133], a[12:15]
	global_store_dwordx4 v[110:111], v[122:125], off
	s_cbranch_vccnz .LBB290_32
; %bb.42:                               ;   in Loop: Header=BB290_33 Depth=1
	v_lshrrev_b32_e32 v109, 3, v107
	v_and_b32_e32 v109, 6, v109
	v_xor_b32_e32 v108, v109, v108
	v_lshlrev_b32_e32 v108, 2, v108
	v_and_b32_e32 v107, 8, v107
	v_xor_b32_e32 v110, 0x440, v108
	v_cmp_eq_u32_e32 vcc, 0, v107
	s_barrier
	s_nop 0
	v_cndmask_b32_e32 v107, v110, v108, vcc
	v_lshl_or_b32 v107, v109, 10, v107
	s_waitcnt vmcnt(3)
	v_perm_b32 v108, v46, v42, s60
	s_waitcnt vmcnt(2)
	v_perm_b32 v109, v38, v34, s60
	ds_write2st64_b32 v107, v108, v109 offset0:32 offset1:64
	v_xor_b32_e32 v108, 8, v107
	v_perm_b32 v42, v46, v42, s61
	v_perm_b32 v34, v38, v34, s61
	v_add_u32_e32 v38, 0x80, v108
	ds_write2st64_b32 v38, v42, v34 offset0:32 offset1:64
	v_xor_b32_e32 v34, 16, v107
	v_perm_b32 v38, v47, v43, s60
	v_perm_b32 v42, v39, v35, s60
	ds_write2st64_b32 v34, v38, v42 offset0:33 offset1:65
	v_xor_b32_e32 v34, 24, v107
	v_perm_b32 v38, v47, v43, s61
	v_perm_b32 v35, v39, v35, s61
	v_add_u32_e32 v34, 0x80, v34
	ds_write2st64_b32 v34, v38, v35 offset0:33 offset1:65
	v_xor_b32_e32 v34, 32, v107
	v_perm_b32 v35, v48, v44, s60
	;; [unrolled: 9-line block ×3, first 2 shown]
	v_perm_b32 v36, v41, v37, s60
	ds_write2st64_b32 v34, v35, v36 offset0:35 offset1:67
	v_xor_b32_e32 v34, 56, v107
	v_perm_b32 v35, v49, v45, s61
	v_perm_b32 v36, v41, v37, s61
	v_add_u32_e32 v34, 0x80, v34
	ds_write2st64_b32 v34, v35, v36 offset0:35 offset1:67
	ds_write_b64 v106, v[14:15] offset:24576
	v_xor_b32_e32 v14, 8, v106
	ds_write_b64 v14, v[16:17] offset:24576
	ds_write_b64 v106, v[10:11] offset:32768
	;; [unrolled: 1-line block ×4, first 2 shown]
	v_xor_b32_e32 v6, 8, v105
	ds_write_b64 v6, v[8:9] offset:24576
	ds_write_b64 v105, v[2:3] offset:32768
	;; [unrolled: 1-line block ×3, first 2 shown]
	s_branch .LBB290_32
.LBB290_43:
                                        ; implicit-def: $vgpr21
                                        ; implicit-def: $vgpr25
                                        ; implicit-def: $vgpr29
                                        ; implicit-def: $vgpr33
	s_cbranch_execz .LBB290_45
; %bb.44:
	s_waitcnt vmcnt(0)
	v_mad_u64_u32 v[18:19], s[0:1], v36, s19, v[34:35]
	v_lshlrev_b32_e32 v36, 1, v18
	s_lshl_b32 s2, s19, 7
	s_and_b32 s1, s5, 0xffff
	s_mov_b32 s3, 0x20000
	s_mov_b32 s0, s4
	v_add_lshl_u32 v37, v18, s19, 1
	s_movk_i32 s17, 0x80
	buffer_load_dwordx4 v[18:21], v36, s[0:3], 0 offen
	buffer_load_dwordx4 v[26:29], v36, s[0:3], s17 offen
	;; [unrolled: 1-line block ×4, first 2 shown]
.LBB290_45:
	v_lshrrev_b32_e32 v47, 2, v51
	s_cbranch_execnz .LBB290_58
.LBB290_46:
	s_and_b64 vcc, exec, s[6:7]
	s_cbranch_vccz .LBB290_56
; %bb.47:
	s_waitcnt vmcnt(0)
	v_lshlrev_b32_e32 v23, 1, v42
	v_cmp_gt_i32_e32 vcc, s31, v23
	v_mov_b32_e32 v22, 0
	v_lshlrev_b32_e32 v30, 9, v42
	v_mov_b32_e32 v18, 0
	v_mov_b32_e32 v19, 0
	;; [unrolled: 1-line block ×4, first 2 shown]
	s_and_saveexec_b64 s[0:1], vcc
	s_cbranch_execz .LBB290_49
; %bb.48:
	v_mov_b32_e32 v31, 0
	v_lshl_add_u64 v[18:19], s[4:5], 0, v[30:31]
	v_lshlrev_b32_e32 v20, 1, v34
	v_mov_b32_e32 v21, v31
	v_lshl_add_u64 v[18:19], v[18:19], 0, v[20:21]
	global_load_dwordx4 v[18:21], v[18:19], off
.LBB290_49:
	s_or_b64 exec, exec, s[0:1]
	v_or_b32_e32 v23, 1, v23
	v_cmp_gt_i32_e64 s[0:1], s31, v23
	v_lshlrev_b32_e32 v36, 8, v23
	v_mov_b32_e32 v23, 0
	v_mov_b32_e32 v24, 0
	;; [unrolled: 1-line block ×3, first 2 shown]
	s_and_saveexec_b64 s[2:3], s[0:1]
	s_cbranch_execz .LBB290_51
; %bb.50:
	v_mov_b32_e32 v37, 0
	v_lshl_add_u64 v[22:23], s[4:5], 0, v[36:37]
	v_lshlrev_b32_e32 v24, 1, v34
	v_mov_b32_e32 v25, v37
	v_lshl_add_u64 v[22:23], v[22:23], 0, v[24:25]
	global_load_dwordx4 v[22:25], v[22:23], off
.LBB290_51:
	s_or_b64 exec, exec, s[2:3]
	v_mov_b32_e32 v33, 0
	v_mov_b32_e32 v26, 0
	;; [unrolled: 1-line block ×5, first 2 shown]
	s_and_saveexec_b64 s[2:3], vcc
	s_cbranch_execz .LBB290_53
; %bb.52:
	v_mov_b32_e32 v31, 0
	v_lshl_add_u64 v[26:27], s[4:5], 0, v[30:31]
	v_lshlrev_b32_e32 v30, 1, v34
	v_lshl_add_u64 v[26:27], v[26:27], 0, v[30:31]
	global_load_dwordx4 v[26:29], v[26:27], off offset:128
.LBB290_53:
	s_or_b64 exec, exec, s[2:3]
	v_mov_b32_e32 v32, 0
	v_mov_b32_e32 v31, 0
	;; [unrolled: 1-line block ×3, first 2 shown]
	s_and_saveexec_b64 s[2:3], s[0:1]
	s_cbranch_execz .LBB290_55
; %bb.54:
	v_mov_b32_e32 v37, 0
	v_lshl_add_u64 v[30:31], s[4:5], 0, v[36:37]
	v_lshlrev_b32_e32 v36, 1, v34
	v_lshl_add_u64 v[30:31], v[30:31], 0, v[36:37]
	global_load_dwordx4 v[30:33], v[30:31], off offset:128
.LBB290_55:
	s_or_b64 exec, exec, s[2:3]
	s_branch .LBB290_58
.LBB290_56:
                                        ; implicit-def: $vgpr21
                                        ; implicit-def: $vgpr25
                                        ; implicit-def: $vgpr29
                                        ; implicit-def: $vgpr33
	s_cbranch_execz .LBB290_58
; %bb.57:
	s_waitcnt vmcnt(0)
	v_lshlrev_b32_e32 v18, 1, v34
	v_lshl_or_b32 v34, v42, 9, v18
	s_and_b32 s5, s5, 0xffff
	s_mov_b32 s7, 0x20000
	s_movk_i32 s6, 0x4000
	s_movk_i32 s0, 0x80
	buffer_load_dwordx4 v[18:21], v34, s[4:7], 0 offen
	buffer_load_dwordx4 v[22:25], v34, s[4:7], 0 offen offset:256
	buffer_load_dwordx4 v[26:29], v34, s[4:7], s0 offen
	buffer_load_dwordx4 v[30:33], v34, s[4:7], s0 offen offset:256
.LBB290_58:
	ds_read_b64 v[36:37], v43 offset:32768
	v_add_u32_e32 v34, 0xb000, v40
	ds_read2_b64 v[58:61], v34 offset1:16
	ds_read_b64 v[48:49], v44 offset:32768
	ds_read_b64 v[44:45], v45 offset:32768
	;; [unrolled: 1-line block ×3, first 2 shown]
	v_and_b32_e32 v34, 6, v0
	v_xor_b32_e32 v42, v42, v34
	v_lshlrev_b32_e32 v42, 2, v42
	v_and_b32_e32 v43, 1, v0
	v_xor_b32_e32 v46, 0x440, v42
	v_cmp_eq_u32_e32 vcc, 0, v43
	s_waitcnt lgkmcnt(3)
	v_mfma_f32_16x16x16_bf16 a[0:3], v[36:37], v[58:59], a[0:3]
	s_mov_b32 s0, 0x1000504
	v_cndmask_b32_e32 v42, v46, v42, vcc
	v_lshl_or_b32 v34, v34, 10, v42
	v_mfma_f32_16x16x16_bf16 a[4:7], v[36:37], v[60:61], a[4:7]
	ds_read2st64_b64 v[58:61], v40 offset0:90 offset1:92
	ds_read2st64_b64 v[66:69], v41 offset0:90 offset1:92
	s_waitcnt vmcnt(0)
	v_perm_b32 v42, v18, v22, s0
	s_mov_b32 s1, 0x3020706
	s_waitcnt lgkmcnt(1)
	v_mfma_f32_16x16x16_bf16 a[0:3], v[48:49], v[58:59], a[0:3]
	ds_read_b64 v[36:37], v40 offset:48128
	ds_read_b64 v[58:59], v41 offset:48128
	v_perm_b32 v18, v18, v22, s1
	v_perm_b32 v22, v26, v30, s1
	s_waitcnt lgkmcnt(2)
	v_mfma_f32_16x16x16_bf16 a[4:7], v[48:49], v[66:67], a[4:7]
	v_mfma_f32_16x16x16_bf16 a[0:3], v[44:45], v[60:61], a[0:3]
	;; [unrolled: 1-line block ×3, first 2 shown]
	s_waitcnt lgkmcnt(1)
	v_mfma_f32_16x16x16_bf16 a[4:7], v[62:63], v[36:37], a[0:3]
	v_perm_b32 v36, v26, v30, s0
	ds_write2st64_b32 v34, v42, v36 offset0:32 offset1:64
	v_xor_b32_e32 v36, 8, v34
	v_add_u32_e32 v26, 0x80, v36
	ds_write2st64_b32 v26, v18, v22 offset0:32 offset1:64
	v_xor_b32_e32 v18, 16, v34
	v_perm_b32 v22, v19, v23, s0
	v_perm_b32 v26, v27, v31, s0
	ds_write2st64_b32 v18, v22, v26 offset0:33 offset1:65
	v_xor_b32_e32 v18, 24, v34
	v_perm_b32 v19, v19, v23, s1
	v_perm_b32 v22, v27, v31, s1
	v_add_u32_e32 v18, 0x80, v18
	ds_write2st64_b32 v18, v19, v22 offset0:33 offset1:65
	v_xor_b32_e32 v18, 32, v34
	v_perm_b32 v19, v20, v24, s0
	v_perm_b32 v22, v28, v32, s0
	ds_write2st64_b32 v18, v19, v22 offset0:34 offset1:66
	v_xor_b32_e32 v18, 40, v34
	s_waitcnt lgkmcnt(5)
	v_mfma_f32_16x16x16_bf16 a[0:3], v[62:63], v[58:59], a[8:11]
	v_perm_b32 v19, v20, v24, s1
	v_perm_b32 v20, v28, v32, s1
	v_add_u32_e32 v18, 0x80, v18
	ds_write2st64_b32 v18, v19, v20 offset0:34 offset1:66
	v_xor_b32_e32 v18, 48, v34
	v_perm_b32 v19, v21, v25, s0
	v_perm_b32 v20, v29, v33, s0
	ds_write2st64_b32 v18, v19, v20 offset0:35 offset1:67
	v_xor_b32_e32 v18, 56, v34
	v_and_or_b32 v37, v47, 12, v64
	v_perm_b32 v19, v21, v25, s1
	v_perm_b32 v20, v29, v33, s1
	v_add_u32_e32 v18, 0x80, v18
	v_cmp_gt_i32_e32 vcc, s31, v37
	v_mov_b32_e32 v32, 0
	v_mov_b32_e32 v34, 0
	ds_write2st64_b32 v18, v19, v20 offset0:35 offset1:67
	s_and_saveexec_b64 s[0:1], vcc
	s_cbranch_execz .LBB290_60
; %bb.59:
	v_add_u32_e32 v18, s30, v37
	v_ashrrev_i32_e32 v19, 31, v18
	v_mul_lo_u32 v20, v19, s34
	v_mul_lo_u32 v21, v18, s35
	v_mad_u64_u32 v[18:19], s[2:3], v18, s34, 0
	v_add3_u32 v19, v19, v21, v20
	v_lshl_add_u64 v[18:19], v[18:19], 2, s[10:11]
	global_load_dword v18, v[18:19], off
	s_waitcnt vmcnt(0)
	v_sub_f32_e32 v18, s16, v18
	v_exp_f32_e32 v34, v18
.LBB290_60:
	s_or_b64 exec, exec, s[0:1]
	v_or_b32_e32 v26, 1, v37
	v_cmp_gt_i32_e64 s[0:1], s31, v26
	s_and_saveexec_b64 s[2:3], s[0:1]
	s_cbranch_execz .LBB290_62
; %bb.61:
	v_add_u32_e32 v18, s30, v26
	v_ashrrev_i32_e32 v19, 31, v18
	v_mul_lo_u32 v20, v19, s34
	v_mul_lo_u32 v21, v18, s35
	v_mad_u64_u32 v[18:19], s[4:5], v18, s34, 0
	v_add3_u32 v19, v19, v21, v20
	v_lshl_add_u64 v[18:19], v[18:19], 2, s[10:11]
	global_load_dword v18, v[18:19], off
	s_waitcnt vmcnt(0)
	v_sub_f32_e32 v18, s16, v18
	v_exp_f32_e32 v32, v18
.LBB290_62:
	s_or_b64 exec, exec, s[2:3]
	v_or_b32_e32 v27, 2, v37
	v_cmp_gt_i32_e64 s[2:3], s31, v27
	v_mov_b32_e32 v33, 0
	v_mov_b32_e32 v36, 0
	s_and_saveexec_b64 s[4:5], s[2:3]
	s_cbranch_execz .LBB290_64
; %bb.63:
	v_add_u32_e32 v18, s30, v27
	v_ashrrev_i32_e32 v19, 31, v18
	v_mul_lo_u32 v20, v19, s34
	v_mul_lo_u32 v21, v18, s35
	v_mad_u64_u32 v[18:19], s[6:7], v18, s34, 0
	v_add3_u32 v19, v19, v21, v20
	v_lshl_add_u64 v[18:19], v[18:19], 2, s[10:11]
	global_load_dword v18, v[18:19], off
	s_waitcnt vmcnt(0)
	v_sub_f32_e32 v18, s16, v18
	v_exp_f32_e32 v36, v18
.LBB290_64:
	s_or_b64 exec, exec, s[4:5]
	v_or_b32_e32 v42, 3, v37
	v_cmp_gt_i32_e64 s[4:5], s31, v42
	s_and_saveexec_b64 s[6:7], s[4:5]
	s_cbranch_execz .LBB290_66
; %bb.65:
	v_add_u32_e32 v18, s30, v42
	v_ashrrev_i32_e32 v19, 31, v18
	v_mul_lo_u32 v20, v19, s34
	v_mul_lo_u32 v21, v18, s35
	v_mad_u64_u32 v[18:19], s[18:19], v18, s34, 0
	v_add3_u32 v19, v19, v21, v20
	v_lshl_add_u64 v[18:19], v[18:19], 2, s[10:11]
	global_load_dword v18, v[18:19], off
	s_waitcnt vmcnt(0)
	v_sub_f32_e32 v18, s16, v18
	v_exp_f32_e32 v33, v18
.LBB290_66:
	s_or_b64 exec, exec, s[6:7]
	s_add_u32 s6, s8, s24
	v_accvgpr_read_b32 v21, a7
	s_addc_u32 s7, s9, s25
	v_ashrrev_i32_e32 v57, 31, v56
	v_accvgpr_read_b32 v20, a6
	v_accvgpr_read_b32 v19, a5
	;; [unrolled: 1-line block ×3, first 2 shown]
	v_lshl_add_u64 v[22:23], v[56:57], 1, s[6:7]
	v_mov_b32_e32 v29, 0
	v_lshlrev_b32_e32 v24, 8, v37
	v_mov_b32_e32 v25, 0
	s_and_saveexec_b64 s[6:7], vcc
	s_cbranch_execz .LBB290_68
; %bb.67:
	v_mov_b32_e32 v25, 0
	v_lshl_add_u64 v[30:31], v[22:23], 0, v[24:25]
	global_load_ushort v25, v[30:31], off
	s_waitcnt vmcnt(0)
	v_lshlrev_b32_e32 v25, 16, v25
	v_sub_f32_e32 v18, v25, v18
	v_mul_f32_e32 v18, v34, v18
	v_lshrrev_b32_e32 v25, 16, v18
.LBB290_68:
	s_or_b64 exec, exec, s[6:7]
	v_lshlrev_b32_e32 v28, 8, v26
	s_and_saveexec_b64 s[6:7], s[0:1]
	s_cbranch_execz .LBB290_70
; %bb.69:
	v_mov_b32_e32 v29, 0
	v_lshl_add_u64 v[30:31], v[22:23], 0, v[28:29]
	global_load_ushort v18, v[30:31], off
	s_waitcnt vmcnt(0)
	v_lshlrev_b32_e32 v18, 16, v18
	v_sub_f32_e32 v18, v18, v19
	v_mul_f32_e32 v18, v32, v18
	v_lshrrev_b32_e32 v29, 16, v18
.LBB290_70:
	s_or_b64 exec, exec, s[6:7]
	v_mov_b32_e32 v43, 0
	v_lshlrev_b32_e32 v30, 8, v27
	v_mov_b32_e32 v31, 0
	s_and_saveexec_b64 s[6:7], s[2:3]
	s_cbranch_execz .LBB290_72
; %bb.71:
	v_mov_b32_e32 v31, 0
	v_lshl_add_u64 v[18:19], v[22:23], 0, v[30:31]
	global_load_ushort v18, v[18:19], off
	s_waitcnt vmcnt(0)
	v_lshlrev_b32_e32 v18, 16, v18
	v_sub_f32_e32 v18, v18, v20
	v_mul_f32_e32 v18, v36, v18
	v_lshrrev_b32_e32 v31, 16, v18
.LBB290_72:
	s_or_b64 exec, exec, s[6:7]
	v_lshlrev_b32_e32 v26, 8, v42
	s_and_saveexec_b64 s[6:7], s[4:5]
	s_cbranch_execz .LBB290_74
; %bb.73:
	v_mov_b32_e32 v27, 0
	v_lshl_add_u64 v[18:19], v[22:23], 0, v[26:27]
	global_load_ushort v18, v[18:19], off
	s_waitcnt vmcnt(0)
	v_lshlrev_b32_e32 v18, 16, v18
	v_sub_f32_e32 v18, v18, v21
	v_mul_f32_e32 v18, v33, v18
	v_lshrrev_b32_e32 v43, 16, v18
.LBB290_74:
	s_or_b64 exec, exec, s[6:7]
	v_lshlrev_b32_e32 v37, 5, v37
	s_mov_b32 s6, 0x5040100
	v_perm_b32 v42, v29, v25, s6
	v_or_b32_e32 v25, v37, v38
	v_accvgpr_read_b32 v21, a3
	v_perm_b32 v43, v43, v31, s6
	v_lshlrev_b32_e32 v25, 1, v25
	v_accvgpr_read_b32 v20, a2
	v_accvgpr_read_b32 v19, a1
	;; [unrolled: 1-line block ×3, first 2 shown]
	ds_write_b64 v25, v[42:43] offset:45056
	v_mov_b32_e32 v29, 0
	v_mov_b32_e32 v25, 0
	s_and_saveexec_b64 s[6:7], vcc
	s_cbranch_execz .LBB290_76
; %bb.75:
	v_mov_b32_e32 v25, 0
	v_lshl_add_u64 v[24:25], v[22:23], 0, v[24:25]
	global_load_ushort v24, v[24:25], off offset:32
	s_waitcnt vmcnt(0)
	v_lshlrev_b32_e32 v24, 16, v24
	v_sub_f32_e32 v18, v24, v18
	v_mul_f32_e32 v18, v34, v18
	v_lshrrev_b32_e32 v25, 16, v18
.LBB290_76:
	s_or_b64 exec, exec, s[6:7]
	s_and_saveexec_b64 s[6:7], s[0:1]
	s_cbranch_execz .LBB290_78
; %bb.77:
	v_mov_b32_e32 v29, 0
	v_lshl_add_u64 v[28:29], v[22:23], 0, v[28:29]
	global_load_ushort v18, v[28:29], off offset:32
	s_waitcnt vmcnt(0)
	v_lshlrev_b32_e32 v18, 16, v18
	v_sub_f32_e32 v18, v18, v19
	v_mul_f32_e32 v18, v32, v18
	v_lshrrev_b32_e32 v29, 16, v18
.LBB290_78:
	s_or_b64 exec, exec, s[6:7]
	v_mov_b32_e32 v24, 0
	v_mov_b32_e32 v28, 0
	s_and_saveexec_b64 s[0:1], s[2:3]
	s_cbranch_execz .LBB290_80
; %bb.79:
	v_mov_b32_e32 v31, 0
	v_lshl_add_u64 v[18:19], v[22:23], 0, v[30:31]
	global_load_ushort v18, v[18:19], off offset:32
	s_waitcnt vmcnt(0)
	v_lshlrev_b32_e32 v18, 16, v18
	v_sub_f32_e32 v18, v18, v20
	v_mul_f32_e32 v18, v36, v18
	v_lshrrev_b32_e32 v28, 16, v18
.LBB290_80:
	s_or_b64 exec, exec, s[0:1]
	v_or_b32_e32 v19, 0xb000, v40
	v_or_b32_e32 v18, 0xb000, v41
	s_and_saveexec_b64 s[0:1], s[4:5]
	s_cbranch_execz .LBB290_82
; %bb.81:
	v_mov_b32_e32 v27, 0
	v_lshl_add_u64 v[22:23], v[22:23], 0, v[26:27]
	global_load_ushort v20, v[22:23], off offset:32
	s_waitcnt vmcnt(0)
	v_lshlrev_b32_e32 v20, 16, v20
	v_sub_f32_e32 v20, v20, v21
	v_mul_f32_e32 v20, v33, v20
	v_lshrrev_b32_e32 v24, 16, v20
.LBB290_82:
	s_or_b64 exec, exec, s[0:1]
	s_mov_b32 s0, 0x5040100
	v_or_b32_e32 v22, v37, v35
	v_perm_b32 v21, v24, v28, s0
	v_perm_b32 v20, v29, v25, s0
	v_lshlrev_b32_e32 v22, 1, v22
	s_movk_i32 s0, 0x100
	ds_write_b64 v22, v[20:21] offset:45056
	v_and_b32_e32 v20, 7, v0
	v_and_b32_e32 v21, 8, v0
	v_cmp_gt_u32_e32 vcc, s0, v0
	v_lshrrev_b32_e32 v0, 1, v0
	v_lshlrev_b32_e32 v37, 3, v1
	v_and_b32_e32 v38, 24, v0
	v_lshlrev_b32_e32 v34, 3, v20
	v_lshlrev_b32_e32 v35, 7, v20
	v_mov_b32_e32 v20, 0x4000
	v_mov_b32_e32 v22, 0x2000
	v_xor_b32_e32 v0, v37, v38
	v_cndmask_b32_e32 v36, v20, v22, vcc
	v_or_b32_e32 v1, 0x440, v0
	v_cmp_eq_u32_e32 vcc, 0, v21
	s_waitcnt lgkmcnt(0)
	s_barrier
	v_cndmask_b32_e32 v0, v1, v0, vcc
	v_or_b32_e32 v0, v0, v39
	v_xad_u32 v40, v0, v34, v35
	v_add_u32_e32 v0, v36, v40
	ds_read_b64 v[0:1], v0
	ds_read2_b64 v[20:23], v19 offset1:16
	v_or_b32_e32 v24, 32, v38
	v_xor_b32_e32 v24, v37, v24
	v_or_b32_e32 v25, 0x440, v24
	v_cndmask_b32_e32 v24, v25, v24, vcc
	s_waitcnt lgkmcnt(0)
	v_mfma_f32_16x16x16_bf16 a[0:3], v[0:1], v[20:21], 0
	v_or_b32_e32 v24, v24, v39
	v_xad_u32 v41, v24, v34, v35
	v_add_u32_e32 v24, v36, v41
	v_mfma_f32_16x16x16_bf16 a[4:7], v[0:1], v[22:23], 0
	v_or_b32_e32 v0, 64, v38
	v_xor_b32_e32 v0, v37, v0
	v_xor_b32_e32 v1, 0x440, v0
	ds_read_b64 v[32:33], v24
	v_cndmask_b32_e32 v0, v1, v0, vcc
	v_or_b32_e32 v0, v0, v39
	v_xad_u32 v42, v0, v34, v35
	v_add_u32_e32 v0, v36, v42
	ds_read_b64 v[0:1], v0
	ds_read2st64_b64 v[24:27], v19 offset0:2 offset1:4
	ds_read2st64_b64 v[28:31], v18 offset0:2 offset1:4
	s_waitcnt lgkmcnt(1)
	v_mfma_f32_16x16x16_bf16 a[0:3], v[32:33], v[24:25], a[0:3]
	s_waitcnt lgkmcnt(0)
	v_mfma_f32_16x16x16_bf16 a[4:7], v[32:33], v[28:29], a[4:7]
	v_or_b32_e32 v32, 0x60, v38
	v_xor_b32_e32 v32, v37, v32
	v_xor_b32_e32 v33, 0x440, v32
	v_cndmask_b32_e32 v32, v33, v32, vcc
	v_or_b32_e32 v32, v32, v39
	v_xad_u32 v37, v32, v34, v35
	v_add_u32_e32 v32, v36, v37
	ds_read_b64 v[32:33], v32
	v_mfma_f32_16x16x16_bf16 a[0:3], v[0:1], v[26:27], a[0:3]
	v_exp_f32_e32 v36, s16
	v_mfma_f32_16x16x16_bf16 a[4:7], v[0:1], v[30:31], a[4:7]
	ds_read_b64 v[0:1], v19 offset:3072
	ds_read_b64 v[34:35], v18 offset:3072
	;; [unrolled: 1-line block ×3, first 2 shown]
	s_waitcnt lgkmcnt(0)
	v_mfma_f32_16x16x16_bf16 a[8:11], v[18:19], v[20:21], 0
	ds_read_b64 v[20:21], v41 offset:16384
	v_mfma_f32_16x16x16_bf16 a[0:3], v[32:33], v[0:1], a[0:3]
	v_mfma_f32_16x16x16_bf16 a[12:15], v[18:19], v[22:23], 0
	ds_read_b64 v[22:23], v42 offset:16384
	s_nop 4
	v_accvgpr_read_b32 v18, a0
	v_fma_f32 v18, v2, v36, v18
	v_accvgpr_read_b32 v2, a1
	v_fma_f32 v19, v3, v36, v2
	v_accvgpr_read_b32 v2, a2
	s_waitcnt lgkmcnt(1)
	v_mfma_f32_16x16x16_bf16 a[8:11], v[20:21], v[24:25], a[8:11]
	v_mfma_f32_16x16x16_bf16 a[12:15], v[20:21], v[28:29], a[12:15]
	v_fma_f32 v20, v4, v36, v2
	ds_read_b64 v[2:3], v37 offset:16384
	v_accvgpr_read_b32 v21, a3
	s_waitcnt lgkmcnt(1)
	v_mfma_f32_16x16x16_bf16 a[0:3], v[22:23], v[26:27], a[8:11]
	v_fmac_f32_e32 v21, v5, v36
	v_mfma_f32_16x16x16_bf16 a[4:7], v[32:33], v[34:35], a[4:7]
	v_mfma_f32_16x16x16_bf16 a[8:11], v[22:23], v[30:31], a[12:15]
	s_waitcnt lgkmcnt(0)
	v_mfma_f32_16x16x16_bf16 a[0:3], v[2:3], v[0:1], a[0:3]
	s_nop 3
	v_accvgpr_read_b32 v4, a4
	v_fma_f32 v26, v10, v36, v4
	v_accvgpr_read_b32 v4, a5
	v_fma_f32 v27, v11, v36, v4
	v_accvgpr_read_b32 v4, a6
	v_accvgpr_read_b32 v29, a7
	v_mfma_f32_16x16x16_bf16 a[4:7], v[2:3], v[34:35], a[8:11]
	v_accvgpr_read_b32 v0, a0
	v_fma_f32 v22, v6, v36, v0
	v_accvgpr_read_b32 v0, a1
	v_fma_f32 v23, v7, v36, v0
	;; [unrolled: 2-line block ×3, first 2 shown]
	v_accvgpr_read_b32 v25, a3
	v_accvgpr_read_b32 v0, a4
	v_fma_f32 v30, v14, v36, v0
	v_accvgpr_read_b32 v0, a5
	v_fma_f32 v31, v15, v36, v0
	v_accvgpr_read_b32 v0, a6
	v_accvgpr_read_b32 v33, a7
	v_fma_f32 v28, v12, v36, v4
	v_fmac_f32_e32 v29, v13, v36
	v_fmac_f32_e32 v25, v9, v36
	v_fma_f32 v32, v16, v36, v0
	v_fmac_f32_e32 v33, v17, v36
	v_mov_b64_e32 v[2:3], v[18:19]
	v_mov_b64_e32 v[4:5], v[20:21]
	;; [unrolled: 1-line block ×8, first 2 shown]
.LBB290_83:
	s_add_u32 s0, s12, s14
	s_addc_u32 s1, s13, s15
	v_lshl_add_u64 v[0:1], v[52:53], 1, s[0:1]
	v_mov_b32_e32 v51, 0
	s_mov_b32 s2, 0x7060302
	v_lshl_add_u64 v[0:1], v[0:1], 0, v[50:51]
	v_perm_b32 v5, v5, v4, s2
	v_perm_b32 v4, v3, v2, s2
	v_perm_b32 v3, v9, v8, s2
	v_perm_b32 v2, v7, v6, s2
	global_store_dwordx2 v[0:1], v[4:5], off
	global_store_dwordx2 v[0:1], v[2:3], off offset:128
	v_lshl_add_u64 v[0:1], v[54:55], 1, s[0:1]
	v_lshl_add_u64 v[0:1], v[0:1], 0, v[50:51]
	v_perm_b32 v3, v13, v12, s2
	v_perm_b32 v2, v11, v10, s2
	global_store_dwordx2 v[0:1], v[2:3], off
	v_perm_b32 v3, v17, v16, s2
	v_perm_b32 v2, v15, v14, s2
	global_store_dwordx2 v[0:1], v[2:3], off offset:128
	s_endpgm
	.section	.rodata,"a",@progbits
	.p2align	6, 0x0
	.amdhsa_kernel _ZN12_GLOBAL__N_139chunk_gated_delta_rule_fwd_h_hip_kernelILi32ELb1ELb1ELb0ELb1ELb1ELb0ELb1ELb1EEEvPK12hip_bfloat16S3_S3_PKfS5_PKvPS1_S8_PvPKiSB_iiiiilll
		.amdhsa_group_segment_fixed_size 49152
		.amdhsa_private_segment_fixed_size 0
		.amdhsa_kernarg_size 136
		.amdhsa_user_sgpr_count 2
		.amdhsa_user_sgpr_dispatch_ptr 0
		.amdhsa_user_sgpr_queue_ptr 0
		.amdhsa_user_sgpr_kernarg_segment_ptr 1
		.amdhsa_user_sgpr_dispatch_id 0
		.amdhsa_user_sgpr_kernarg_preload_length 0
		.amdhsa_user_sgpr_kernarg_preload_offset 0
		.amdhsa_user_sgpr_private_segment_size 0
		.amdhsa_uses_dynamic_stack 0
		.amdhsa_enable_private_segment 0
		.amdhsa_system_sgpr_workgroup_id_x 1
		.amdhsa_system_sgpr_workgroup_id_y 1
		.amdhsa_system_sgpr_workgroup_id_z 0
		.amdhsa_system_sgpr_workgroup_info 0
		.amdhsa_system_vgpr_workitem_id 0
		.amdhsa_next_free_vgpr 152
		.amdhsa_next_free_sgpr 64
		.amdhsa_accum_offset 136
		.amdhsa_reserve_vcc 1
		.amdhsa_float_round_mode_32 0
		.amdhsa_float_round_mode_16_64 0
		.amdhsa_float_denorm_mode_32 3
		.amdhsa_float_denorm_mode_16_64 3
		.amdhsa_dx10_clamp 1
		.amdhsa_ieee_mode 1
		.amdhsa_fp16_overflow 0
		.amdhsa_tg_split 0
		.amdhsa_exception_fp_ieee_invalid_op 0
		.amdhsa_exception_fp_denorm_src 0
		.amdhsa_exception_fp_ieee_div_zero 0
		.amdhsa_exception_fp_ieee_overflow 0
		.amdhsa_exception_fp_ieee_underflow 0
		.amdhsa_exception_fp_ieee_inexact 0
		.amdhsa_exception_int_div_zero 0
	.end_amdhsa_kernel
	.section	.text._ZN12_GLOBAL__N_139chunk_gated_delta_rule_fwd_h_hip_kernelILi32ELb1ELb1ELb0ELb1ELb1ELb0ELb1ELb1EEEvPK12hip_bfloat16S3_S3_PKfS5_PKvPS1_S8_PvPKiSB_iiiiilll,"axG",@progbits,_ZN12_GLOBAL__N_139chunk_gated_delta_rule_fwd_h_hip_kernelILi32ELb1ELb1ELb0ELb1ELb1ELb0ELb1ELb1EEEvPK12hip_bfloat16S3_S3_PKfS5_PKvPS1_S8_PvPKiSB_iiiiilll,comdat
.Lfunc_end290:
	.size	_ZN12_GLOBAL__N_139chunk_gated_delta_rule_fwd_h_hip_kernelILi32ELb1ELb1ELb0ELb1ELb1ELb0ELb1ELb1EEEvPK12hip_bfloat16S3_S3_PKfS5_PKvPS1_S8_PvPKiSB_iiiiilll, .Lfunc_end290-_ZN12_GLOBAL__N_139chunk_gated_delta_rule_fwd_h_hip_kernelILi32ELb1ELb1ELb0ELb1ELb1ELb0ELb1ELb1EEEvPK12hip_bfloat16S3_S3_PKfS5_PKvPS1_S8_PvPKiSB_iiiiilll
                                        ; -- End function
	.section	.AMDGPU.csdata,"",@progbits
; Kernel info:
; codeLenInByte = 9328
; NumSgprs: 70
; NumVgprs: 136
; NumAgprs: 16
; TotalNumVgprs: 152
; ScratchSize: 0
; MemoryBound: 0
; FloatMode: 240
; IeeeMode: 1
; LDSByteSize: 49152 bytes/workgroup (compile time only)
; SGPRBlocks: 8
; VGPRBlocks: 18
; NumSGPRsForWavesPerEU: 70
; NumVGPRsForWavesPerEU: 152
; AccumOffset: 136
; Occupancy: 1
; WaveLimiterHint : 1
; COMPUTE_PGM_RSRC2:SCRATCH_EN: 0
; COMPUTE_PGM_RSRC2:USER_SGPR: 2
; COMPUTE_PGM_RSRC2:TRAP_HANDLER: 0
; COMPUTE_PGM_RSRC2:TGID_X_EN: 1
; COMPUTE_PGM_RSRC2:TGID_Y_EN: 1
; COMPUTE_PGM_RSRC2:TGID_Z_EN: 0
; COMPUTE_PGM_RSRC2:TIDIG_COMP_CNT: 0
; COMPUTE_PGM_RSRC3_GFX90A:ACCUM_OFFSET: 33
; COMPUTE_PGM_RSRC3_GFX90A:TG_SPLIT: 0
	.section	.text._ZN12_GLOBAL__N_139chunk_gated_delta_rule_fwd_h_hip_kernelILi32ELb1ELb0ELb1ELb1ELb1ELb0ELb1ELb1EEEvPK12hip_bfloat16S3_S3_PKfS5_PKvPS1_S8_PvPKiSB_iiiiilll,"axG",@progbits,_ZN12_GLOBAL__N_139chunk_gated_delta_rule_fwd_h_hip_kernelILi32ELb1ELb0ELb1ELb1ELb1ELb0ELb1ELb1EEEvPK12hip_bfloat16S3_S3_PKfS5_PKvPS1_S8_PvPKiSB_iiiiilll,comdat
	.globl	_ZN12_GLOBAL__N_139chunk_gated_delta_rule_fwd_h_hip_kernelILi32ELb1ELb0ELb1ELb1ELb1ELb0ELb1ELb1EEEvPK12hip_bfloat16S3_S3_PKfS5_PKvPS1_S8_PvPKiSB_iiiiilll ; -- Begin function _ZN12_GLOBAL__N_139chunk_gated_delta_rule_fwd_h_hip_kernelILi32ELb1ELb0ELb1ELb1ELb1ELb0ELb1ELb1EEEvPK12hip_bfloat16S3_S3_PKfS5_PKvPS1_S8_PvPKiSB_iiiiilll
	.p2align	8
	.type	_ZN12_GLOBAL__N_139chunk_gated_delta_rule_fwd_h_hip_kernelILi32ELb1ELb0ELb1ELb1ELb1ELb0ELb1ELb1EEEvPK12hip_bfloat16S3_S3_PKfS5_PKvPS1_S8_PvPKiSB_iiiiilll,@function
_ZN12_GLOBAL__N_139chunk_gated_delta_rule_fwd_h_hip_kernelILi32ELb1ELb0ELb1ELb1ELb1ELb0ELb1ELb1EEEvPK12hip_bfloat16S3_S3_PKfS5_PKvPS1_S8_PvPKiSB_iiiiilll: ; @_ZN12_GLOBAL__N_139chunk_gated_delta_rule_fwd_h_hip_kernelILi32ELb1ELb0ELb1ELb1ELb1ELb0ELb1ELb1EEEvPK12hip_bfloat16S3_S3_PKfS5_PKvPS1_S8_PvPKiSB_iiiiilll
; %bb.0:
	s_load_dwordx4 s[12:15], s[0:1], 0x5c
	s_load_dwordx4 s[4:7], s[0:1], 0x48
	s_abs_i32 s9, s3
	s_ashr_i32 s8, s3, 31
	v_and_b32_e32 v63, 15, v0
	s_waitcnt lgkmcnt(0)
	s_abs_i32 s10, s13
	v_cvt_f32_u32_e32 v1, s10
	s_sub_i32 s16, 0, s10
	s_ashr_i32 s11, s13, 31
	s_xor_b32 s8, s8, s11
	v_rcp_iflag_f32_e32 v1, v1
	v_lshrrev_b32_e32 v61, 6, v0
	v_bfe_u32 v62, v0, 4, 2
	v_mov_b32_e32 v7, 0
	v_mul_f32_e32 v1, 0x4f7ffffe, v1
	v_cvt_u32_f32_e32 v1, v1
	v_and_b32_e32 v60, 63, v0
	v_lshlrev_b32_e32 v64, 3, v0
	v_lshrrev_b32_e32 v65, 3, v60
	v_readfirstlane_b32 s17, v1
	s_mul_i32 s16, s16, s17
	s_mul_hi_u32 s16, s17, s16
	s_add_i32 s17, s17, s16
	s_mul_hi_u32 s16, s9, s17
	s_mul_i32 s17, s16, s10
	s_sub_i32 s9, s9, s17
	s_add_i32 s18, s16, 1
	s_sub_i32 s17, s9, s10
	s_cmp_ge_u32 s9, s10
	s_cselect_b32 s16, s18, s16
	s_cselect_b32 s9, s17, s9
	s_add_i32 s17, s16, 1
	s_cmp_ge_u32 s9, s10
	s_cselect_b32 s9, s17, s16
	s_xor_b32 s9, s9, s8
	s_sub_i32 s20, s9, s8
	s_mul_i32 s24, s20, s13
	s_ashr_i32 s21, s20, 31
	s_sub_i32 s47, s3, s24
	s_lshl_b64 s[8:9], s[20:21], 2
	s_add_u32 s4, s4, s8
	s_addc_u32 s5, s5, s9
	s_add_u32 s22, s6, s8
	s_addc_u32 s23, s7, s9
	s_abs_i32 s3, s14
	v_cvt_f32_u32_e32 v1, s3
	s_load_dwordx2 s[34:35], s[4:5], 0x0
	s_sub_i32 s5, 0, s3
	s_lshl_b32 s2, s2, 5
	v_rcp_iflag_f32_e32 v1, v1
	s_load_dwordx4 s[16:19], s[0:1], 0x28
	s_load_dwordx2 s[28:29], s[0:1], 0x38
	s_waitcnt lgkmcnt(0)
	s_sub_i32 s50, s35, s34
	s_ashr_i32 s4, s50, 31
	v_mul_f32_e32 v1, 0x4f7ffffe, v1
	v_cvt_u32_f32_e32 v1, v1
	s_lshr_b32 s4, s4, 26
	s_add_i32 s4, s50, s4
	s_ashr_i32 s48, s4, 6
	v_readfirstlane_b32 s6, v1
	s_mul_i32 s5, s5, s6
	s_mul_hi_u32 s5, s6, s5
	s_add_i32 s6, s6, s5
	s_mul_hi_u32 s5, s10, s6
	s_mul_i32 s6, s5, s3
	s_ashr_i32 s4, s14, 31
	s_sub_i32 s6, s10, s6
	s_xor_b32 s4, s11, s4
	s_add_i32 s7, s5, 1
	s_sub_i32 s8, s6, s3
	s_cmp_ge_u32 s6, s3
	s_cselect_b32 s5, s7, s5
	s_cselect_b32 s6, s8, s6
	s_add_i32 s7, s5, 1
	s_cmp_ge_u32 s6, s3
	s_cselect_b32 s3, s7, s5
	s_xor_b32 s3, s3, s4
	s_sub_i32 s3, s3, s4
	s_abs_i32 s4, s3
	v_cvt_f32_u32_e32 v1, s4
	s_sub_i32 s6, 0, s4
	s_abs_i32 s5, s47
	s_xor_b32 s3, s47, s3
	v_rcp_iflag_f32_e32 v1, v1
	s_ashr_i32 s3, s3, 31
	v_or_b32_e32 v50, s2, v63
	v_lshlrev_b32_e32 v2, 7, v50
	v_mul_f32_e32 v1, 0x4f7ffffe, v1
	v_cvt_u32_f32_e32 v1, v1
	v_ashrrev_i32_e32 v3, 31, v2
	s_mul_hi_i32 s52, s47, s12
	s_mul_i32 s53, s47, s12
	v_readfirstlane_b32 s7, v1
	s_mul_i32 s6, s6, s7
	s_mul_hi_u32 s6, s7, s6
	s_add_i32 s7, s7, s6
	s_mul_hi_u32 s6, s5, s7
	s_mul_i32 s7, s6, s4
	s_sub_i32 s5, s5, s7
	s_add_i32 s7, s6, 1
	s_sub_i32 s8, s5, s4
	s_cmp_ge_u32 s5, s4
	s_cselect_b32 s6, s7, s6
	s_cselect_b32 s5, s8, s5
	s_add_i32 s7, s6, 1
	s_cmp_ge_u32 s5, s4
	s_cselect_b32 s4, s7, s6
	s_xor_b32 s4, s4, s3
	s_sub_i32 s51, s4, s3
	s_ashr_i32 s49, s47, 31
	s_mul_hi_i32 s3, s20, s13
	s_add_u32 s4, s24, s47
	s_addc_u32 s5, s3, s49
	s_lshl_b64 s[4:5], s[4:5], 15
	s_add_u32 s4, s16, s4
	s_addc_u32 s5, s17, s5
	v_lshlrev_b32_e32 v1, 4, v61
	v_lshl_add_u64 v[4:5], v[2:3], 1, s[4:5]
	v_or_b32_e32 v2, 0x800, v2
	v_lshl_or_b32 v66, v62, 2, v1
	v_ashrrev_i32_e32 v3, 31, v2
	v_lshlrev_b32_e32 v6, 1, v66
	v_lshl_add_u64 v[2:3], v[2:3], 1, s[4:5]
	v_lshl_add_u64 v[4:5], v[4:5], 0, v[6:7]
	;; [unrolled: 1-line block ×3, first 2 shown]
	global_load_dwordx2 v[8:9], v[4:5], off
	v_or_b32_e32 v67, 64, v66
	global_load_dwordx2 v[4:5], v[4:5], off offset:128
	s_nop 0
	global_load_dwordx2 v[6:7], v[2:3], off
	global_load_dwordx2 v[10:11], v[2:3], off offset:128
	s_load_dwordx8 s[4:11], s[0:1], 0x0
	s_load_dwordx2 s[30:31], s[0:1], 0x80
	s_load_dwordx4 s[24:27], s[0:1], 0x70
	s_load_dword s54, s[22:23], 0x0
	s_cmp_lt_i32 s50, 64
	s_waitcnt lgkmcnt(0)
	s_mul_i32 s33, s20, s25
	s_mul_hi_u32 s42, s20, s24
	s_mul_i32 s36, s20, s24
	s_mul_i32 s43, s21, s24
	;; [unrolled: 1-line block ×3, first 2 shown]
	s_mul_hi_u32 s45, s47, s26
	s_mul_i32 s46, s49, s26
	s_mul_i32 s38, s47, s26
	s_waitcnt vmcnt(3)
	v_and_b32_e32 v19, 0xffff0000, v8
	v_lshlrev_b32_e32 v18, 16, v8
	v_and_b32_e32 v21, 0xffff0000, v9
	v_lshlrev_b32_e32 v20, 16, v9
	s_waitcnt vmcnt(2)
	v_and_b32_e32 v23, 0xffff0000, v4
	v_lshlrev_b32_e32 v22, 16, v4
	v_and_b32_e32 v25, 0xffff0000, v5
	v_lshlrev_b32_e32 v24, 16, v5
	;; [unrolled: 5-line block ×4, first 2 shown]
	s_cbranch_scc1 .LBB291_17
; %bb.1:
	s_ashr_i32 s1, s34, 31
	s_add_u32 s0, s53, s34
	s_addc_u32 s1, s52, s1
	s_lshl_b64 s[0:1], s[0:1], 8
	v_and_b32_e32 v69, 56, v64
	s_add_u32 s20, s6, s0
	v_lshl_or_b32 v68, v61, 3, v65
	v_lshlrev_b32_e32 v2, 1, v69
	s_addc_u32 s0, s7, s1
	v_lshl_or_b32 v70, v68, 8, v2
	s_and_b32 s21, s0, 0xffff
	s_mov_b32 s23, 0x20000
	s_movk_i32 s22, 0x4000
	s_movk_i32 s0, 0x80
	v_or_b32_e32 v71, 0x2000, v70
	buffer_load_dwordx4 v[4:7], v70, s[20:23], 0 offen
	buffer_load_dwordx4 v[8:11], v70, s[20:23], s0 offen
	;; [unrolled: 1-line block ×4, first 2 shown]
	v_lshlrev_b32_e32 v3, 3, v68
	v_and_or_b32 v17, v0, 7, v3
	v_and_b32_e32 v3, 0x78, v3
	v_lshlrev_b32_e32 v17, 4, v17
	v_xor_b32_e32 v72, v17, v3
	v_mul_lo_u32 v16, v68, s15
	v_or_b32_e32 v73, 0x1000, v72
	v_xor_b32_e32 v3, 8, v72
	s_cmpk_eq_i32 s15, 0x80
	s_mov_b32 s55, s34
	v_xor_b32_e32 v17, 8, v73
	s_cselect_b64 s[0:1], -1, 0
	s_cmpk_lg_i32 s15, 0x80
	s_waitcnt vmcnt(3)
	ds_write_b64 v72, v[4:5] offset:24576
	ds_write_b64 v3, v[6:7] offset:24576
	s_waitcnt vmcnt(2)
	ds_write_b64 v72, v[8:9] offset:32768
	ds_write_b64 v3, v[10:11] offset:32768
	;; [unrolled: 3-line block ×4, first 2 shown]
	v_lshl_add_u32 v3, v16, 1, v69
	s_cbranch_scc0 .LBB291_3
; %bb.2:
	v_lshlrev_b32_e32 v5, 1, v3
	v_add_lshl_u32 v4, v3, s15, 1
	s_lshl_b32 s22, s15, 7
	v_lshl_or_b32 v2, v68, 9, v2
	s_cbranch_execz .LBB291_4
	s_branch .LBB291_5
.LBB291_3:
                                        ; implicit-def: $vgpr4
                                        ; implicit-def: $vgpr5
                                        ; implicit-def: $sgpr22
	v_lshl_or_b32 v2, v68, 9, v2
.LBB291_4:
	v_or_b32_e32 v4, 0x100, v2
	s_movk_i32 s22, 0x4000
	v_mov_b32_e32 v5, v2
.LBB291_5:
	s_mul_i32 s16, s34, s14
	s_ashr_i32 s56, s51, 31
	s_mul_hi_i32 s3, s34, s14
	s_add_u32 s16, s16, s51
	s_addc_u32 s17, s3, s56
	s_lshl_b64 s[16:17], s[16:17], 8
	s_add_u32 s20, s4, s16
	s_addc_u32 s3, s5, s17
	s_and_b32 s21, s3, 0xffff
	s_movk_i32 s57, 0x80
	buffer_load_dwordx4 v[6:9], v5, s[20:23], 0 offen
	buffer_load_dwordx4 v[10:13], v5, s[20:23], s57 offen
	;; [unrolled: 1-line block ×4, first 2 shown]
	v_and_b32_e32 v4, 6, v0
	v_lshlrev_b32_e32 v39, 6, v66
	v_or_b32_e32 v41, 16, v63
	v_xor_b32_e32 v42, v68, v4
	v_and_b32_e32 v5, 1, v0
	v_lshl_or_b32 v45, v63, 3, v39
	v_lshl_or_b32 v39, v41, 3, v39
	v_lshlrev_b32_e32 v42, 2, v42
	v_lshlrev_b32_e32 v38, 2, v63
	v_or_b32_e32 v76, 0xa000, v39
	v_or_b32_e32 v77, 0xb000, v39
	v_xor_b32_e32 v39, 0x440, v42
	v_cmp_eq_u32_e32 vcc, 0, v5
	s_add_i32 s3, s42, s33
	v_xor_b32_e32 v43, v66, v38
	v_xor_b32_e32 v44, v67, v38
	v_cndmask_b32_e32 v5, v39, v42, vcc
	s_add_i32 s16, s45, s44
	s_add_i32 s37, s3, s43
	s_mov_b32 s58, 0x1000504
	v_lshlrev_b32_e32 v40, 8, v63
	v_lshlrev_b32_e32 v41, 8, v41
	;; [unrolled: 1-line block ×4, first 2 shown]
	v_lshl_or_b32 v4, v4, 10, v5
	s_add_i32 s39, s16, s46
	s_lshl_b64 s[16:17], s[36:37], 2
	s_mov_b32 s59, 0x3020706
	v_or_b32_e32 v74, 0xa000, v45
	v_or_b32_e32 v75, 0xb000, v45
	;; [unrolled: 1-line block ×5, first 2 shown]
	v_xor_b32_e32 v5, 8, v4
	v_xor_b32_e32 v40, 24, v4
	;; [unrolled: 1-line block ×4, first 2 shown]
	s_add_u32 s3, s10, s16
	v_or_b32_e32 v80, v41, v43
	v_xor_b32_e32 v39, 16, v4
	v_xor_b32_e32 v41, 32, v4
	;; [unrolled: 1-line block ×3, first 2 shown]
	v_add_u32_e32 v5, 0x80, v5
	v_add_u32_e32 v40, 0x80, v40
	;; [unrolled: 1-line block ×4, first 2 shown]
	s_addc_u32 s20, s11, s17
	s_lshl_b64 s[16:17], s[38:39], 2
	s_add_u32 s16, s3, s16
	s_movk_i32 s3, 0xf8
	s_addc_u32 s17, s20, s17
	s_lshl_b32 s26, s15, 7
	s_movk_i32 s24, 0x100
	v_mov_b32_e32 v53, 0
	v_lshlrev_b32_e32 v52, 4, v63
	v_cmp_gt_u32_e32 vcc, s24, v0
	v_ashrrev_i32_e32 v51, 31, v50
	s_mov_b32 s60, 0
	s_movk_i32 s37, 0x1000
	s_movk_i32 s22, 0x4000
	s_waitcnt vmcnt(1)
	v_perm_b32 v45, v6, v14, s58
	s_waitcnt vmcnt(0)
	v_perm_b32 v46, v10, v34, s58
	v_perm_b32 v6, v6, v14, s59
	;; [unrolled: 1-line block ×15, first 2 shown]
	ds_write2st64_b32 v4, v45, v46 offset0:32 offset1:64
	ds_write2st64_b32 v5, v6, v10 offset0:32 offset1:64
	;; [unrolled: 1-line block ×8, first 2 shown]
	v_or_b32_e32 v4, v1, v63
	v_lshlrev_b32_e32 v4, 3, v4
	v_lshrrev_b32_e32 v7, 5, v60
	v_and_or_b32 v7, v4, s3, v7
	v_lshlrev_b32_e32 v7, 4, v7
	v_lshlrev_b32_e32 v5, 11, v61
	v_and_b32_e32 v4, 0x78, v4
	v_or_b32_e32 v12, 32, v7
	v_and_b32_e32 v6, 0x1000, v5
	v_lshrrev_b32_e32 v9, 1, v0
	v_xor_b32_e32 v12, v12, v4
	v_and_b32_e32 v10, 8, v9
	v_or_b32_e32 v12, v12, v6
	v_xor_b32_e32 v8, v7, v4
	v_xor_b32_e32 v84, v12, v10
	v_or_b32_e32 v12, 64, v7
	v_or_b32_e32 v7, 0x60, v7
	s_ashr_i32 s3, s2, 31
	v_xor_b32_e32 v12, v12, v4
	v_xor_b32_e32 v4, v7, v4
	s_lshl_b64 s[20:21], s[2:3], 8
	v_or_b32_e32 v8, v8, v6
	v_or_b32_e32 v12, v12, v6
	;; [unrolled: 1-line block ×3, first 2 shown]
	s_add_u32 s20, s18, s20
	v_lshlrev_b32_e32 v6, 1, v63
	v_xor_b32_e32 v86, v12, v10
	v_lshrrev_b32_e32 v12, 4, v0
	s_addc_u32 s21, s19, s21
	v_or_b32_e32 v7, 1, v6
	v_mov_b32_e32 v16, 0x4000
	v_mov_b32_e32 v17, 0x2000
	v_xor_b32_e32 v13, v12, v6
	v_xor_b32_e32 v14, v7, v12
	v_lshl_add_u64 v[6:7], s[20:21], 0, v[52:53]
	v_lshlrev_b32_e32 v52, 8, v12
	v_cndmask_b32_e32 v16, v16, v17, vcc
	v_lshlrev_b32_e32 v17, 3, v61
	v_and_b32_e32 v9, 24, v9
	v_lshl_or_b32 v90, v13, 3, v52
	v_and_b32_e32 v13, 8, v0
	v_xor_b32_e32 v34, v17, v9
	v_or_b32_e32 v35, 0x440, v34
	v_cmp_eq_u32_e32 vcc, 0, v13
	v_and_b32_e32 v12, 7, v0
	v_xor_b32_e32 v82, v8, v10
	v_cndmask_b32_e32 v13, v35, v34, vcc
	v_lshlrev_b32_e32 v8, 7, v62
	v_lshl_or_b32 v91, v14, 3, v52
	v_lshlrev_b32_e32 v14, 3, v12
	v_lshlrev_b32_e32 v12, 7, v12
	;; [unrolled: 1-line block ×3, first 2 shown]
	v_or_b32_e32 v13, v13, v5
	v_or_b32_e32 v11, v8, v38
	v_xad_u32 v92, v13, v14, v12
	v_and_or_b32 v8, v15, 60, v8
	v_mov_b32_e32 v13, 0xb000
	v_lshl_or_b32 v93, v8, 1, v13
	v_or_b32_e32 v8, 32, v9
	v_xor_b32_e32 v8, v17, v8
	v_or_b32_e32 v13, 0x440, v8
	v_cndmask_b32_e32 v8, v13, v8, vcc
	v_or_b32_e32 v8, v8, v5
	v_xad_u32 v94, v8, v14, v12
	v_or_b32_e32 v8, 64, v9
	v_xor_b32_e32 v8, v17, v8
	v_xor_b32_e32 v13, 0x440, v8
	v_cndmask_b32_e32 v8, v13, v8, vcc
	v_or_b32_e32 v8, v8, v5
	v_xad_u32 v95, v8, v14, v12
	v_or_b32_e32 v8, 0x60, v9
	v_xor_b32_e32 v8, v17, v8
	v_xor_b32_e32 v9, 0x440, v8
	v_lshlrev_b32_e32 v11, 1, v11
	v_cndmask_b32_e32 v8, v9, v8, vcc
	v_or_b32_e32 v83, 0xa000, v11
	v_or_b32_e32 v85, 0xa080, v11
	v_xor_b32_e32 v87, v4, v10
	v_or_b32_e32 v88, 0xb000, v11
	v_or_b32_e32 v89, 0xb080, v11
	v_lshlrev_b32_e32 v10, 1, v3
	v_add_lshl_u32 v3, v3, s15, 1
	v_or_b32_e32 v11, 0x100, v2
	v_or_b32_e32 v5, v8, v5
	v_lshlrev_b32_e32 v4, 7, v66
	v_xad_u32 v96, v5, v14, v12
	v_cndmask_b32_e64 v97, v10, v2, s[0:1]
	v_cndmask_b32_e64 v98, v3, v11, s[0:1]
	v_lshlrev_b64 v[2:3], 1, v[50:51]
	v_lshl_add_u64 v[54:55], s[8:9], 0, v[2:3]
	v_lshl_add_u64 v[56:57], s[28:29], 0, v[2:3]
	;; [unrolled: 1-line block ×3, first 2 shown]
	v_lshlrev_b32_e32 v52, 1, v4
	v_add_u32_e32 v51, v16, v92
	v_add_u32_e32 v99, v16, v94
	;; [unrolled: 1-line block ×4, first 2 shown]
	v_mov_b64_e32 v[2:3], v[18:19]
	s_mov_b32 s3, 0x7060302
	v_mov_b64_e32 v[4:5], v[20:21]
	v_mov_b64_e32 v[6:7], v[22:23]
	;; [unrolled: 1-line block ×7, first 2 shown]
	s_waitcnt lgkmcnt(0)
	s_barrier
	s_branch .LBB291_7
.LBB291_6:                              ;   in Loop: Header=BB291_7 Depth=1
	s_waitcnt vmcnt(2)
	v_exp_f32_e32 v34, s20
	v_accvgpr_read_b32 v21, a7
	v_accvgpr_read_b32 v19, a5
	;; [unrolled: 1-line block ×16, first 2 shown]
	v_fma_f32 v18, v2, v34, v18
	v_fma_f32 v19, v3, v34, v19
	v_fma_f32 v20, v4, v34, v20
	v_fmac_f32_e32 v21, v5, v34
	v_fma_f32 v26, v10, v34, v26
	v_fma_f32 v27, v11, v34, v27
	v_fma_f32 v28, v12, v34, v28
	v_fmac_f32_e32 v29, v13, v34
	;; [unrolled: 4-line block ×4, first 2 shown]
	s_add_i32 s55, s55, 64
	v_mov_b64_e32 v[2:3], v[18:19]
	s_cmp_eq_u32 s48, s39
	s_mov_b32 s60, s39
	v_mov_b64_e32 v[4:5], v[20:21]
	v_mov_b64_e32 v[6:7], v[22:23]
	;; [unrolled: 1-line block ×7, first 2 shown]
	s_cbranch_scc1 .LBB291_17
.LBB291_7:                              ; =>This Inner Loop Header: Depth=1
	s_add_i32 s39, s60, 1
	s_cmp_lt_i32 s39, s48
	s_mov_b64 s[24:25], 0
	s_cselect_b64 s[40:41], -1, 0
	s_cmp_ge_i32 s39, s48
	s_mov_b64 s[20:21], 0
	s_cbranch_scc1 .LBB291_9
; %bb.8:                                ;   in Loop: Header=BB291_7 Depth=1
	s_add_i32 s0, s55, 64
	s_ashr_i32 s1, s0, 31
	s_add_u32 s0, s53, s0
	s_addc_u32 s1, s52, s1
	s_lshl_b64 s[0:1], s[0:1], 8
	s_add_u32 s20, s6, s0
	s_addc_u32 s21, s7, s1
.LBB291_9:                              ;   in Loop: Header=BB291_7 Depth=1
	v_cndmask_b32_e64 v18, 0, 1, s[40:41]
	v_cmp_ne_u32_e64 s[0:1], 1, v18
	s_andn2_b64 vcc, exec, s[40:41]
	s_cbranch_vccnz .LBB291_11
; %bb.10:                               ;   in Loop: Header=BB291_7 Depth=1
	s_add_i32 s24, s55, 64
	s_mul_hi_i32 s25, s24, s14
	s_mul_i32 s24, s24, s14
	s_add_u32 s24, s24, s51
	s_addc_u32 s25, s25, s56
	s_lshl_b64 s[24:25], s[24:25], 8
	s_add_u32 s24, s4, s24
	s_addc_u32 s25, s5, s25
.LBB291_11:                             ;   in Loop: Header=BB291_7 Depth=1
	v_perm_b32 v19, v5, v4, s3
	v_perm_b32 v18, v3, v2, s3
	;; [unrolled: 1-line block ×4, first 2 shown]
	ds_write_b64 v74, v[18:19]
	ds_write_b64 v75, v[20:21]
	;; [unrolled: 1-line block ×4, first 2 shown]
	v_perm_b32 v19, v13, v12, s3
	v_perm_b32 v18, v11, v10, s3
	;; [unrolled: 1-line block ×4, first 2 shown]
	ds_write_b64 v76, v[18:19]
	ds_write_b64 v77, v[20:21]
	ds_write_b64 v80, v[18:19]
	ds_write_b64 v81, v[20:21]
	s_waitcnt lgkmcnt(0)
	s_barrier
	ds_read_b64 v[22:23], v82 offset:24576
	ds_read2_b64 v[18:21], v83 offset1:16
	ds_read_b64 v[26:27], v85 offset:3072
	ds_read_b64 v[28:29], v83 offset:3072
	;; [unrolled: 1-line block ×3, first 2 shown]
	s_waitcnt lgkmcnt(3)
	v_mfma_f32_16x16x16_bf16 a[0:3], v[22:23], v[18:19], 0
	s_add_i32 s27, s55, 63
	s_ashr_i32 s40, s27, 31
	s_mul_i32 s41, s27, s31
	v_mfma_f32_16x16x16_bf16 a[4:7], v[22:23], v[20:21], 0
	ds_read2st64_b64 v[18:21], v83 offset0:2 offset1:4
	s_mul_hi_u32 s61, s27, s30
	s_add_i32 s41, s61, s41
	s_waitcnt lgkmcnt(0)
	v_mfma_f32_16x16x16_bf16 a[0:3], v[30:31], v[18:19], a[0:3]
	ds_read2st64_b64 v[22:25], v85 offset0:2 offset1:4
	ds_read_b64 v[18:19], v86 offset:24576
	s_mul_i32 s40, s40, s30
	s_add_i32 s41, s41, s40
	s_waitcnt lgkmcnt(1)
	v_mfma_f32_16x16x16_bf16 a[4:7], v[30:31], v[22:23], a[4:7]
	ds_read_b64 v[22:23], v87 offset:24576
	s_mul_i32 s40, s27, s30
	s_lshl_b64 s[40:41], s[40:41], 2
	s_waitcnt lgkmcnt(1)
	v_mfma_f32_16x16x16_bf16 a[0:3], v[18:19], v[20:21], a[0:3]
	s_add_u32 s40, s16, s40
	s_addc_u32 s41, s17, s41
	s_and_b64 vcc, exec, s[0:1]
	v_mfma_f32_16x16x16_bf16 a[8:11], v[18:19], v[24:25], a[4:7]
	v_mov_b32_e32 v104, 0
	v_mov_b32_e32 v103, 0
	;; [unrolled: 1-line block ×3, first 2 shown]
	s_waitcnt lgkmcnt(0)
	v_mfma_f32_16x16x16_bf16 a[4:7], v[22:23], v[28:29], a[0:3]
	v_mov_b32_e32 v18, 0
	v_mov_b32_e32 v19, 0
	v_mov_b32_e32 v20, 0
	v_mfma_f32_16x16x16_bf16 a[0:3], v[22:23], v[26:27], a[8:11]
	v_mov_b32_e32 v21, 0
	v_mov_b32_e32 v22, 0
	;; [unrolled: 1-line block ×13, first 2 shown]
	s_cbranch_vccnz .LBB291_13
; %bb.12:                               ;   in Loop: Header=BB291_7 Depth=1
	s_and_b32 s21, s21, 0xffff
	buffer_load_dwordx4 v[30:33], v70, s[20:23], 0 offen
	buffer_load_dwordx4 v[26:29], v70, s[20:23], s57 offen
	;; [unrolled: 1-line block ×4, first 2 shown]
	v_mov_b32_e32 v103, v72
	v_mov_b32_e32 v102, v73
.LBB291_13:                             ;   in Loop: Header=BB291_7 Depth=1
	ds_read_b64 v[42:43], v82 offset:32768
	ds_read2_b64 v[34:37], v88 offset1:16
	ds_read_b64 v[44:45], v84 offset:32768
	ds_read_b64 v[46:47], v86 offset:32768
	;; [unrolled: 1-line block ×3, first 2 shown]
	ds_read2st64_b64 v[38:41], v88 offset0:2 offset1:4
	v_add_u32_e32 v105, s55, v66
	s_waitcnt lgkmcnt(4)
	v_mfma_f32_16x16x16_bf16 a[4:7], v[42:43], v[34:35], a[4:7]
	v_ashrrev_i32_e32 v34, 31, v105
	v_mfma_f32_16x16x16_bf16 a[0:3], v[42:43], v[36:37], a[0:3]
	v_mul_lo_u32 v36, v105, s31
	v_mul_lo_u32 v37, v34, s30
	v_mad_u64_u32 v[34:35], s[20:21], v105, s30, 0
	v_add3_u32 v35, v35, v36, v37
	v_add_u32_e32 v36, 1, v105
	v_ashrrev_i32_e32 v37, 31, v36
	s_waitcnt lgkmcnt(0)
	v_mfma_f32_16x16x16_bf16 a[4:7], v[44:45], v[38:39], a[4:7]
	v_mul_lo_u32 v38, v37, s30
	v_mul_lo_u32 v39, v36, s31
	v_mad_u64_u32 v[36:37], s[20:21], v36, s30, 0
	v_add3_u32 v37, v37, v39, v38
	v_add_u32_e32 v38, 2, v105
	v_ashrrev_i32_e32 v39, 31, v38
	v_mul_lo_u32 v42, v39, s30
	v_mul_lo_u32 v43, v38, s31
	v_mad_u64_u32 v[38:39], s[20:21], v38, s30, 0
	v_add3_u32 v39, v39, v43, v42
	v_add_u32_e32 v42, 3, v105
	v_ashrrev_i32_e32 v43, 31, v42
	v_mul_lo_u32 v105, v43, s30
	v_mul_lo_u32 v106, v42, s31
	v_mad_u64_u32 v[42:43], s[20:21], v42, s30, 0
	s_ashr_i32 s21, s55, 31
	v_add3_u32 v43, v43, v106, v105
	s_add_u32 s20, s53, s55
	v_lshl_add_u64 v[34:35], v[34:35], 2, s[16:17]
	v_lshl_add_u64 v[42:43], v[42:43], 2, s[16:17]
	s_addc_u32 s21, s52, s21
	v_lshl_add_u64 v[36:37], v[36:37], 2, s[16:17]
	v_lshl_add_u64 v[38:39], v[38:39], 2, s[16:17]
	global_load_dword v105, v[34:35], off
	global_load_dword v106, v[36:37], off
	;; [unrolled: 1-line block ×3, first 2 shown]
	s_nop 0
	global_load_dword v43, v[42:43], off
	s_lshl_b64 s[62:63], s[20:21], 8
	v_lshl_add_u64 v[34:35], v[54:55], 0, s[62:63]
	v_lshl_add_u64 v[38:39], v[34:35], 0, v[52:53]
	global_load_ushort v108, v[38:39], off offset:256
	global_load_ushort v109, v[38:39], off
	global_load_ushort v110, v[38:39], off offset:768
	global_load_ushort v111, v[38:39], off offset:512
	ds_read2st64_b64 v[34:37], v89 offset0:2 offset1:4
	global_load_ushort v112, v[38:39], off offset:800
	global_load_ushort v113, v[38:39], off offset:544
	;; [unrolled: 1-line block ×4, first 2 shown]
	s_waitcnt lgkmcnt(0)
	v_mfma_f32_16x16x16_bf16 a[0:3], v[44:45], v[34:35], a[0:3]
	s_and_b64 vcc, exec, s[0:1]
	s_waitcnt vmcnt(7)
	v_lshlrev_b32_e32 v45, 16, v108
	v_mfma_f32_16x16x16_bf16 a[4:7], v[46:47], v[40:41], a[4:7]
	s_waitcnt vmcnt(6)
	v_lshlrev_b32_e32 v44, 16, v109
	v_mfma_f32_16x16x16_bf16 a[0:3], v[46:47], v[36:37], a[0:3]
	ds_read_b64 v[34:35], v88 offset:3072
	ds_read_b64 v[36:37], v89 offset:3072
	s_load_dword s20, s[40:41], 0x0
	s_waitcnt vmcnt(5)
	v_lshlrev_b32_e32 v47, 16, v110
	s_waitcnt lgkmcnt(0)
	v_mfma_f32_16x16x16_bf16 a[4:7], v[48:49], v[34:35], a[4:7]
	v_lshl_add_u64 v[34:35], v[56:57], 0, s[62:63]
	v_sub_f32_e32 v42, s20, v105
	v_sub_f32_e32 v46, s20, v106
	v_mfma_f32_16x16x16_bf16 a[0:3], v[48:49], v[36:37], a[0:3]
	v_sub_f32_e32 v48, s20, v107
	v_sub_f32_e32 v49, s20, v43
	v_exp_f32_e32 v42, v42
	v_exp_f32_e32 v43, v46
	;; [unrolled: 1-line block ×4, first 2 shown]
	v_accvgpr_read_b32 v41, a5
	v_accvgpr_read_b32 v37, a7
	;; [unrolled: 1-line block ×4, first 2 shown]
	s_waitcnt vmcnt(4)
	v_lshlrev_b32_e32 v46, 16, v111
	v_lshl_add_u64 v[34:35], v[34:35], 0, v[52:53]
	v_pk_add_f32 v[40:41], v[44:45], v[40:41] neg_lo:[0,1] neg_hi:[0,1]
	v_pk_add_f32 v[36:37], v[46:47], v[36:37] neg_lo:[0,1] neg_hi:[0,1]
	global_store_short_d16_hi v[34:35], v40, off
	global_store_short_d16_hi v[34:35], v41, off offset:256
	global_store_short_d16_hi v[34:35], v36, off offset:512
	;; [unrolled: 1-line block ×3, first 2 shown]
	v_pk_mul_f32 v[40:41], v[42:43], v[40:41]
	v_pk_mul_f32 v[36:37], v[48:49], v[36:37]
	v_accvgpr_read_b32 v45, a1
	v_perm_b32 v40, v41, v40, s3
	v_perm_b32 v41, v37, v36, s3
	s_waitcnt vmcnt(5)
	v_lshlrev_b32_e32 v37, 16, v114
	s_waitcnt vmcnt(4)
	v_lshlrev_b32_e32 v36, 16, v115
	v_accvgpr_read_b32 v44, a0
	v_accvgpr_read_b32 v39, a3
	;; [unrolled: 1-line block ×3, first 2 shown]
	v_pk_add_f32 v[36:37], v[36:37], v[44:45] neg_lo:[0,1] neg_hi:[0,1]
	v_lshlrev_b32_e32 v45, 16, v112
	v_lshlrev_b32_e32 v44, 16, v113
	v_pk_add_f32 v[38:39], v[44:45], v[38:39] neg_lo:[0,1] neg_hi:[0,1]
	global_store_short_d16_hi v[34:35], v36, off offset:32
	global_store_short_d16_hi v[34:35], v37, off offset:288
	;; [unrolled: 1-line block ×4, first 2 shown]
	v_pk_mul_f32 v[34:35], v[42:43], v[36:37]
	v_pk_mul_f32 v[36:37], v[48:49], v[38:39]
	v_mov_b32_e32 v105, 0
	v_perm_b32 v37, v37, v36, s3
	v_perm_b32 v36, v35, v34, s3
	ds_write2_b64 v75, v[40:41], v[36:37] offset1:16
	v_mov_b32_e32 v34, 0
	v_mov_b32_e32 v35, 0
	;; [unrolled: 1-line block ×16, first 2 shown]
	s_cbranch_vccnz .LBB291_15
; %bb.14:                               ;   in Loop: Header=BB291_7 Depth=1
	s_and_b32 s25, s25, 0xffff
	s_mov_b32 s27, s23
	buffer_load_dwordx4 v[46:49], v97, s[24:27], 0 offen
	buffer_load_dwordx4 v[38:41], v97, s[24:27], s57 offen
	buffer_load_dwordx4 v[42:45], v98, s[24:27], 0 offen
	buffer_load_dwordx4 v[34:37], v98, s[24:27], s57 offen
	v_mov_b32_e32 v104, v69
	v_mov_b32_e32 v105, v68
.LBB291_15:                             ;   in Loop: Header=BB291_7 Depth=1
	s_waitcnt lgkmcnt(0)
	s_barrier
	ds_read_b64 v[110:111], v51
	ds_read_b64 v[118:119], v93
	;; [unrolled: 1-line block ×5, first 2 shown]
	ds_read_b64 v[124:125], v94 offset:16384
	ds_read_b64 v[126:127], v92 offset:16384
	ds_read2_b64 v[106:109], v88 offset0:16 offset1:128
	s_waitcnt lgkmcnt(6)
	v_mfma_f32_16x16x16_bf16 a[0:3], v[110:111], v[118:119], 0
	ds_read_b64 v[128:129], v89 offset:3072
	ds_read_b64 v[130:131], v96 offset:16384
	s_add_i32 s21, s54, s60
	s_waitcnt lgkmcnt(2)
	v_mfma_f32_16x16x16_bf16 a[4:7], v[110:111], v[106:107], 0
	ds_read2st64_b64 v[110:113], v89 offset0:2 offset1:4
	s_mul_hi_i32 s25, s21, s13
	s_mul_i32 s21, s21, s13
	v_mfma_f32_16x16x16_bf16 a[0:3], v[114:115], v[108:109], a[0:3]
	s_add_u32 s24, s21, s47
	s_addc_u32 s25, s25, s49
	s_lshl_b64 s[24:25], s[24:25], 15
	s_waitcnt lgkmcnt(0)
	v_mfma_f32_16x16x16_bf16 a[4:7], v[114:115], v[110:111], a[4:7]
	ds_read2st64_b64 v[114:117], v88 offset0:4 offset1:6
	s_waitcnt lgkmcnt(0)
	v_mfma_f32_16x16x16_bf16 a[0:3], v[120:121], v[114:115], a[0:3]
	v_mfma_f32_16x16x16_bf16 a[8:11], v[120:121], v[112:113], a[4:7]
	;; [unrolled: 1-line block ×5, first 2 shown]
	ds_read2st64_b64 v[118:121], v91 offset1:8
	v_mfma_f32_16x16x16_bf16 a[12:15], v[126:127], v[106:107], 0
	ds_read_b64 v[126:127], v95 offset:16384
	v_mfma_f32_16x16x16_bf16 a[8:11], v[124:125], v[108:109], a[8:11]
	ds_read2st64_b64 v[106:109], v90 offset1:8
	s_waitcnt lgkmcnt(0)
	v_mov_b32_e32 v122, v106
	v_mfma_f32_16x16x16_bf16 a[12:15], v[124:125], v[110:111], a[12:15]
	v_lshl_add_u64 v[110:111], v[58:59], 0, s[24:25]
	v_add_co_u32_e32 v106, vcc, s37, v110
	v_mfma_f32_16x16x16_bf16 a[8:11], v[126:127], v[114:115], a[8:11]
	v_mov_b32_e32 v123, v107
	v_addc_co_u32_e32 v107, vcc, 0, v111, vcc
	v_mfma_f32_16x16x16_bf16 a[12:15], v[126:127], v[112:113], a[12:15]
	v_mov_b32_e32 v124, v118
	v_mov_b32_e32 v125, v119
	;; [unrolled: 1-line block ×3, first 2 shown]
	v_mfma_f32_16x16x16_bf16 a[8:11], v[130:131], v[116:117], a[8:11]
	v_mov_b32_e32 v119, v109
	s_and_b64 vcc, exec, s[0:1]
	global_store_dwordx4 v[110:111], v[122:125], off
	v_mfma_f32_16x16x16_bf16 a[12:15], v[130:131], v[128:129], a[12:15]
	global_store_dwordx4 v[106:107], v[118:121], off
	s_cbranch_vccnz .LBB291_6
; %bb.16:                               ;   in Loop: Header=BB291_7 Depth=1
	v_lshrrev_b32_e32 v106, 3, v104
	v_and_b32_e32 v106, 6, v106
	v_xor_b32_e32 v105, v106, v105
	v_lshlrev_b32_e32 v105, 2, v105
	v_and_b32_e32 v104, 8, v104
	v_xor_b32_e32 v107, 0x440, v105
	v_cmp_eq_u32_e32 vcc, 0, v104
	s_barrier
	s_nop 0
	v_cndmask_b32_e32 v104, v107, v105, vcc
	v_lshl_or_b32 v104, v106, 10, v104
	s_waitcnt vmcnt(3)
	v_perm_b32 v105, v46, v42, s58
	s_waitcnt vmcnt(2)
	v_perm_b32 v106, v38, v34, s58
	ds_write2st64_b32 v104, v105, v106 offset0:32 offset1:64
	v_xor_b32_e32 v105, 8, v104
	v_perm_b32 v42, v46, v42, s59
	v_perm_b32 v34, v38, v34, s59
	v_add_u32_e32 v38, 0x80, v105
	ds_write2st64_b32 v38, v42, v34 offset0:32 offset1:64
	v_xor_b32_e32 v34, 16, v104
	v_perm_b32 v38, v47, v43, s58
	v_perm_b32 v42, v39, v35, s58
	ds_write2st64_b32 v34, v38, v42 offset0:33 offset1:65
	v_xor_b32_e32 v34, 24, v104
	v_perm_b32 v38, v47, v43, s59
	v_perm_b32 v35, v39, v35, s59
	v_add_u32_e32 v34, 0x80, v34
	ds_write2st64_b32 v34, v38, v35 offset0:33 offset1:65
	v_xor_b32_e32 v34, 32, v104
	v_perm_b32 v35, v48, v44, s58
	;; [unrolled: 9-line block ×3, first 2 shown]
	v_perm_b32 v36, v41, v37, s58
	ds_write2st64_b32 v34, v35, v36 offset0:35 offset1:67
	v_xor_b32_e32 v34, 56, v104
	v_perm_b32 v35, v49, v45, s59
	v_perm_b32 v36, v41, v37, s59
	v_add_u32_e32 v34, 0x80, v34
	ds_write2st64_b32 v34, v35, v36 offset0:35 offset1:67
	ds_write_b64 v103, v[30:31] offset:24576
	v_xor_b32_e32 v30, 8, v103
	ds_write_b64 v30, v[32:33] offset:24576
	ds_write_b64 v103, v[26:27] offset:32768
	ds_write_b64 v30, v[28:29] offset:32768
	ds_write_b64 v102, v[22:23] offset:24576
	v_xor_b32_e32 v22, 8, v102
	ds_write_b64 v22, v[24:25] offset:24576
	ds_write_b64 v102, v[18:19] offset:32768
	ds_write_b64 v22, v[20:21] offset:32768
	s_branch .LBB291_6
.LBB291_17:
	s_lshl_b32 s26, s48, 6
	s_sub_i32 s27, s50, s26
	s_cmp_gt_i32 s27, 0
	s_cbranch_scc0 .LBB291_82
; %bb.18:
	s_add_i32 s26, s26, s34
	s_ashr_i32 s3, s26, 31
	s_cmpk_lg_i32 s15, 0x80
	s_cselect_b64 s[22:23], -1, 0
	s_and_b64 vcc, exec, s[22:23]
	s_cbranch_vccz .LBB291_20
; %bb.19:
	s_mul_hi_i32 s0, s26, s14
	s_mul_i32 s1, s26, s14
	s_ashr_i32 s14, s51, 31
	s_add_u32 s24, s1, s51
	s_addc_u32 s25, s0, s14
	s_cbranch_execz .LBB291_21
	s_branch .LBB291_22
.LBB291_20:
                                        ; implicit-def: $sgpr24_sgpr25
.LBB291_21:
	s_mul_i32 s1, s51, s12
	s_mul_hi_i32 s0, s51, s12
	s_add_u32 s24, s1, s26
	s_addc_u32 s25, s0, s3
.LBB291_22:
	s_add_i32 s12, s48, s54
	s_add_u32 s0, s53, s26
	v_lshlrev_b32_e32 v6, 5, v66
	v_lshlrev_b32_e32 v34, 2, v63
	s_addc_u32 s1, s52, s3
	s_mov_b32 s3, 0x7060302
	v_or_b32_e32 v9, v6, v34
	v_xor_b32_e32 v7, v66, v34
	v_perm_b32 v3, v21, v20, s3
	v_perm_b32 v2, v19, v18, s3
	;; [unrolled: 1-line block ×4, first 2 shown]
	v_lshlrev_b32_e32 v9, 1, v9
	v_xor_b32_e32 v8, v67, v34
	ds_write2st64_b64 v9, v[2:3], v[4:5] offset0:80 offset1:88
	v_lshlrev_b32_e32 v7, 1, v7
	v_lshlrev_b32_e32 v9, 8, v63
	s_lshl_b64 s[20:21], s[0:1], 8
	v_or_b32_e32 v10, v7, v9
	v_lshlrev_b32_e32 v8, 1, v8
	s_add_u32 s0, s6, s20
	ds_write_b64 v10, v[2:3]
	v_or_b32_e32 v2, v8, v9
	s_addc_u32 s1, s7, s21
	ds_write_b64 v2, v[4:5]
	v_perm_b32 v3, v29, v28, s3
	v_perm_b32 v2, v27, v26, s3
	;; [unrolled: 1-line block ×4, first 2 shown]
	v_or_b32_e32 v9, 16, v63
	s_mul_hi_i32 s3, s12, s13
	s_mul_i32 s12, s12, s13
	v_lshlrev_b32_e32 v19, 2, v9
	s_add_u32 s6, s12, s47
	v_or_b32_e32 v6, v6, v19
	s_addc_u32 s7, s3, s49
	v_lshlrev_b32_e32 v6, 1, v6
	s_ashr_i32 s3, s2, 31
	s_lshl_b64 s[6:7], s[6:7], 15
	ds_write2st64_b64 v6, v[2:3], v[4:5] offset0:80 offset1:88
	v_lshlrev_b32_e32 v6, 8, v9
	s_add_u32 s6, s18, s6
	v_or_b32_e32 v7, v7, v6
	s_addc_u32 s7, s19, s7
	s_lshl_b64 s[2:3], s[2:3], 8
	ds_write_b64 v7, v[2:3]
	v_or_b32_e32 v2, v8, v6
	s_add_u32 s2, s6, s2
	ds_write_b64 v2, v[4:5]
	v_lshrrev_b32_e32 v2, 4, v0
	s_addc_u32 s3, s7, s3
	v_lshlrev_b32_e32 v3, 1, v63
	v_lshlrev_b32_e32 v10, 4, v63
	v_mov_b32_e32 v11, 0
	v_or_b32_e32 v4, 1, v3
	v_xor_b32_e32 v3, v2, v3
	v_lshl_add_u64 v[12:13], s[2:3], 0, v[10:11]
	v_lshlrev_b32_e32 v10, 8, v2
	v_xor_b32_e32 v6, v4, v2
	v_lshl_or_b32 v2, v3, 3, v10
	s_waitcnt lgkmcnt(0)
	s_barrier
	ds_read2st64_b64 v[2:5], v2 offset1:8
	v_lshl_or_b32 v6, v6, 3, v10
	ds_read2st64_b64 v[6:9], v6 offset1:8
	v_lshl_add_u64 v[14:15], v[12:13], 0, v[10:11]
	s_movk_i32 s2, 0x1000
	s_waitcnt lgkmcnt(1)
	v_mov_b32_e32 v10, v2
	v_add_co_u32_e32 v2, vcc, s2, v14
	s_cmp_lg_u32 s27, 64
	v_mov_b32_e32 v11, v3
	v_addc_co_u32_e32 v3, vcc, 0, v15, vcc
	s_cselect_b64 s[6:7], -1, 0
	v_lshl_or_b32 v22, v61, 3, v65
	s_waitcnt lgkmcnt(0)
	v_mov_b32_e32 v12, v6
	v_mov_b32_e32 v13, v7
	;; [unrolled: 1-line block ×4, first 2 shown]
	s_mov_b32 s16, 0
	v_or_b32_e32 v20, 32, v22
	v_and_b32_e32 v18, 56, v64
	s_and_b64 vcc, exec, s[6:7]
	global_store_dwordx4 v[14:15], v[10:13], off
	global_store_dwordx4 v[2:3], v[6:9], off
	s_cbranch_vccz .LBB291_28
; %bb.23:
	s_mov_b32 s17, s16
	s_mov_b32 s18, s16
	;; [unrolled: 1-line block ×3, first 2 shown]
	v_mov_b64_e32 v[6:7], s[16:17]
	v_mov_b64_e32 v[8:9], s[18:19]
	;; [unrolled: 1-line block ×3, first 2 shown]
	v_cmp_gt_i32_e32 vcc, s27, v22
	v_mov_b64_e32 v[4:5], v[8:9]
	s_and_saveexec_b64 s[2:3], vcc
	s_cbranch_execz .LBB291_25
; %bb.24:
	v_lshlrev_b32_e32 v2, 8, v22
	v_mov_b32_e32 v3, 0
	v_lshl_add_u64 v[4:5], s[0:1], 0, v[2:3]
	v_lshlrev_b32_e32 v2, 1, v18
	v_lshl_add_u64 v[10:11], v[4:5], 0, v[2:3]
	global_load_dwordx4 v[6:9], v[10:11], off
	global_load_dwordx4 v[2:5], v[10:11], off offset:128
.LBB291_25:
	s_or_b64 exec, exec, s[2:3]
	s_mov_b32 s17, s16
	s_mov_b32 s18, s16
	;; [unrolled: 1-line block ×3, first 2 shown]
	v_mov_b64_e32 v[14:15], s[16:17]
	v_mov_b64_e32 v[16:17], s[18:19]
	;; [unrolled: 1-line block ×3, first 2 shown]
	v_cmp_gt_i32_e32 vcc, s27, v20
	v_lshlrev_b32_e32 v21, 7, v20
	v_mov_b64_e32 v[12:13], v[16:17]
	s_and_saveexec_b64 s[2:3], vcc
	s_cbranch_execz .LBB291_27
; %bb.26:
	v_lshlrev_b32_e32 v10, 1, v21
	v_mov_b32_e32 v11, 0
	v_lshl_add_u64 v[12:13], s[0:1], 0, v[10:11]
	v_lshlrev_b32_e32 v10, 1, v18
	v_lshl_add_u64 v[24:25], v[12:13], 0, v[10:11]
	global_load_dwordx4 v[14:17], v[24:25], off
	global_load_dwordx4 v[10:13], v[24:25], off offset:128
.LBB291_27:
	s_or_b64 exec, exec, s[2:3]
	v_lshrrev_b32_e32 v23, 3, v18
	v_lshlrev_b32_e32 v24, 3, v22
	v_or_b32_e32 v23, v24, v23
	v_lshlrev_b32_e32 v23, 4, v23
	v_and_b32_e32 v24, 0x78, v24
	v_xor_b32_e32 v23, v23, v24
	s_branch .LBB291_30
.LBB291_28:
                                        ; implicit-def: $vgpr23
                                        ; implicit-def: $vgpr21
                                        ; implicit-def: $vgpr6_vgpr7_vgpr8_vgpr9
                                        ; implicit-def: $vgpr2_vgpr3_vgpr4_vgpr5
                                        ; implicit-def: $vgpr14_vgpr15_vgpr16_vgpr17
                                        ; implicit-def: $vgpr10_vgpr11_vgpr12_vgpr13
	s_cbranch_execz .LBB291_30
; %bb.29:
	s_waitcnt vmcnt(0)
	v_lshlrev_b32_e32 v2, 1, v18
	v_lshl_or_b32 v21, v22, 8, v2
	s_and_b32 s1, s1, 0xffff
	s_mov_b32 s3, 0x20000
	s_movk_i32 s2, 0x4000
	v_lshl_or_b32 v23, v20, 8, v2
	s_movk_i32 s12, 0x80
	buffer_load_dwordx4 v[6:9], v21, s[0:3], 0 offen
	buffer_load_dwordx4 v[2:5], v21, s[0:3], s12 offen
	;; [unrolled: 1-line block ×4, first 2 shown]
	v_lshrrev_b32_e32 v21, 3, v18
	v_lshlrev_b32_e32 v23, 3, v22
	v_or_b32_e32 v21, v23, v21
	v_lshlrev_b32_e32 v21, 4, v21
	v_and_b32_e32 v23, 0x78, v23
	v_xor_b32_e32 v23, v21, v23
	v_lshlrev_b32_e32 v21, 7, v20
.LBB291_30:
	s_lshl_b64 s[0:1], s[24:25], 8
	s_add_u32 s4, s4, s0
	s_movk_i32 s0, 0x1000
	v_and_or_b32 v20, v21, s0, v23
	s_waitcnt vmcnt(1)
	ds_write_b64 v23, v[6:7] offset:24576
	v_xor_b32_e32 v6, 8, v23
	ds_write_b64 v6, v[8:9] offset:24576
	s_waitcnt vmcnt(0)
	ds_write_b64 v23, v[2:3] offset:32768
	ds_write_b64 v6, v[4:5] offset:32768
	;; [unrolled: 1-line block ×3, first 2 shown]
	v_xor_b32_e32 v2, 8, v20
	ds_write_b64 v2, v[16:17] offset:24576
	ds_write_b64 v20, v[10:11] offset:32768
	;; [unrolled: 1-line block ×3, first 2 shown]
	v_or_b32_e32 v2, v1, v63
	v_lshlrev_b32_e32 v3, 11, v61
	v_lshlrev_b32_e32 v2, 3, v2
	v_and_b32_e32 v6, 0x1000, v3
	v_lshrrev_b32_e32 v3, 5, v60
	s_movk_i32 s3, 0xf8
	v_and_or_b32 v3, v2, s3, v3
	v_lshlrev_b32_e32 v7, 4, v3
	v_and_b32_e32 v8, 0x78, v2
	v_or_b32_e32 v10, 32, v7
	v_lshrrev_b32_e32 v3, 1, v60
	v_xor_b32_e32 v10, v10, v8
	v_xor_b32_e32 v2, v7, v8
	v_and_b32_e32 v9, 8, v3
	v_or_b32_e32 v10, v10, v6
	v_or_b32_e32 v2, v2, v6
	v_xor_b32_e32 v25, v10, v9
	v_or_b32_e32 v10, 64, v7
	v_xor_b32_e32 v24, v2, v9
	v_xor_b32_e32 v10, v10, v8
	s_waitcnt lgkmcnt(0)
	s_barrier
	v_or_b32_e32 v12, v10, v6
	ds_read_b64 v[10:11], v24 offset:24576
	v_lshl_or_b32 v20, v62, 7, v34
	v_lshlrev_b32_e32 v23, 1, v20
	v_add_u32_e32 v2, 0xa000, v23
	ds_read2_b64 v[2:5], v2 offset1:16
	v_or_b32_e32 v7, 0x60, v7
	v_xor_b32_e32 v7, v7, v8
	s_waitcnt lgkmcnt(0)
	v_mfma_f32_16x16x16_bf16 a[0:3], v[10:11], v[2:3], 0
	v_or_b32_e32 v2, 64, v20
	v_or_b32_e32 v6, v7, v6
	v_lshlrev_b32_e32 v28, 1, v2
	v_xor_b32_e32 v26, v12, v9
	v_xor_b32_e32 v27, v6, v9
	ds_read_b64 v[12:13], v25 offset:24576
	ds_read_b64 v[14:15], v26 offset:24576
	;; [unrolled: 1-line block ×3, first 2 shown]
	v_mfma_f32_16x16x16_bf16 a[4:7], v[10:11], v[4:5], 0
	ds_read2st64_b64 v[2:5], v28 offset0:82 offset1:84
	ds_read2st64_b64 v[6:9], v23 offset0:82 offset1:84
	s_addc_u32 s5, s5, s1
	s_add_i32 s1, s42, s33
	s_add_i32 s0, s35, -1
	s_add_i32 s37, s1, s43
	s_add_i32 s1, s45, s44
	;; [unrolled: 1-line block ×3, first 2 shown]
	s_ashr_i32 s1, s0, 31
	s_mul_i32 s2, s0, s31
	s_mul_hi_u32 s3, s0, s30
	s_add_i32 s2, s3, s2
	s_mul_i32 s1, s1, s30
	s_waitcnt lgkmcnt(1)
	v_mfma_f32_16x16x16_bf16 a[4:7], v[12:13], v[2:3], a[4:7]
	s_add_i32 s1, s2, s1
	s_lshl_b64 s[2:3], s[36:37], 2
	s_add_u32 s10, s10, s2
	s_waitcnt lgkmcnt(0)
	v_mfma_f32_16x16x16_bf16 a[0:3], v[12:13], v[6:7], a[0:3]
	s_addc_u32 s11, s11, s3
	s_lshl_b64 s[2:3], s[38:39], 2
	s_mul_i32 s0, s0, s30
	s_add_u32 s10, s10, s2
	ds_read_b64 v[2:3], v23 offset:44032
	v_mfma_f32_16x16x16_bf16 a[4:7], v[14:15], v[4:5], a[4:7]
	ds_read_b64 v[4:5], v28 offset:44032
	s_addc_u32 s11, s11, s3
	s_lshl_b64 s[0:1], s[0:1], 2
	v_mfma_f32_16x16x16_bf16 a[0:3], v[14:15], v[8:9], a[0:3]
	s_add_u32 s0, s10, s0
	s_addc_u32 s1, s11, s1
	s_load_dword s12, s[0:1], 0x0
	s_waitcnt lgkmcnt(0)
	v_mfma_f32_16x16x16_bf16 a[0:3], v[16:17], v[2:3], a[0:3]
	s_and_b64 vcc, exec, s[22:23]
	v_mfma_f32_16x16x16_bf16 a[4:7], v[16:17], v[4:5], a[4:7]
	s_cbranch_vccz .LBB291_41
; %bb.31:
	v_lshlrev_b32_e32 v20, 1, v22
	s_and_b64 vcc, exec, s[6:7]
	s_cbranch_vccz .LBB291_42
; %bb.32:
	v_cmp_gt_i32_e32 vcc, s27, v20
	v_mov_b32_e32 v6, 0
	v_mov_b32_e32 v2, 0
	;; [unrolled: 1-line block ×5, first 2 shown]
	s_and_saveexec_b64 s[0:1], vcc
	s_cbranch_execz .LBB291_34
; %bb.33:
	v_mad_i64_i32 v[2:3], s[2:3], s15, v20, 0
	v_lshl_add_u64 v[2:3], v[2:3], 1, s[4:5]
	v_lshlrev_b32_e32 v4, 1, v18
	v_mov_b32_e32 v5, 0
	v_lshl_add_u64 v[2:3], v[2:3], 0, v[4:5]
	global_load_dwordx4 v[2:5], v[2:3], off
.LBB291_34:
	s_or_b64 exec, exec, s[0:1]
	v_or_b32_e32 v21, 1, v20
	v_cmp_gt_i32_e64 s[0:1], s27, v21
	v_mov_b32_e32 v7, 0
	v_mov_b32_e32 v8, 0
	;; [unrolled: 1-line block ×3, first 2 shown]
	s_and_saveexec_b64 s[2:3], s[0:1]
	s_cbranch_execz .LBB291_36
; %bb.35:
	v_mad_i64_i32 v[6:7], s[16:17], s15, v21, 0
	v_lshl_add_u64 v[6:7], v[6:7], 1, s[4:5]
	v_lshlrev_b32_e32 v8, 1, v18
	v_mov_b32_e32 v9, 0
	v_lshl_add_u64 v[6:7], v[6:7], 0, v[8:9]
	global_load_dwordx4 v[6:9], v[6:7], off
.LBB291_36:
	s_or_b64 exec, exec, s[2:3]
	v_mov_b32_e32 v17, 0
	v_mov_b32_e32 v10, 0
	;; [unrolled: 1-line block ×5, first 2 shown]
	s_and_saveexec_b64 s[2:3], vcc
	s_cbranch_execz .LBB291_38
; %bb.37:
	v_mad_i64_i32 v[10:11], s[16:17], s15, v20, 0
	v_lshl_add_u64 v[10:11], v[10:11], 1, s[4:5]
	v_lshlrev_b32_e32 v12, 1, v18
	v_mov_b32_e32 v13, 0
	v_lshl_add_u64 v[10:11], v[10:11], 0, v[12:13]
	global_load_dwordx4 v[10:13], v[10:11], off offset:128
.LBB291_38:
	s_or_b64 exec, exec, s[2:3]
	v_mov_b32_e32 v16, 0
	v_mov_b32_e32 v15, 0
	;; [unrolled: 1-line block ×3, first 2 shown]
	s_and_saveexec_b64 s[2:3], s[0:1]
	s_cbranch_execz .LBB291_40
; %bb.39:
	v_mad_i64_i32 v[14:15], s[0:1], s15, v21, 0
	v_lshl_add_u64 v[14:15], v[14:15], 1, s[4:5]
	v_lshlrev_b32_e32 v16, 1, v18
	v_mov_b32_e32 v17, 0
	v_lshl_add_u64 v[14:15], v[14:15], 0, v[16:17]
	global_load_dwordx4 v[14:17], v[14:15], off offset:128
.LBB291_40:
	s_or_b64 exec, exec, s[2:3]
	s_branch .LBB291_44
.LBB291_41:
                                        ; implicit-def: $vgpr5
                                        ; implicit-def: $vgpr9
                                        ; implicit-def: $vgpr13
                                        ; implicit-def: $vgpr17
	v_lshrrev_b32_e32 v29, 2, v60
	s_branch .LBB291_45
.LBB291_42:
                                        ; implicit-def: $vgpr5
                                        ; implicit-def: $vgpr9
                                        ; implicit-def: $vgpr13
                                        ; implicit-def: $vgpr17
	s_cbranch_execz .LBB291_44
; %bb.43:
	s_waitcnt vmcnt(0)
	v_mad_u64_u32 v[2:3], s[0:1], v20, s15, v[18:19]
	v_lshlrev_b32_e32 v20, 1, v2
	s_lshl_b32 s2, s15, 7
	s_and_b32 s1, s5, 0xffff
	s_mov_b32 s3, 0x20000
	s_mov_b32 s0, s4
	v_add_lshl_u32 v21, v2, s15, 1
	s_movk_i32 s13, 0x80
	buffer_load_dwordx4 v[2:5], v20, s[0:3], 0 offen
	buffer_load_dwordx4 v[10:13], v20, s[0:3], s13 offen
	;; [unrolled: 1-line block ×4, first 2 shown]
.LBB291_44:
	v_lshrrev_b32_e32 v29, 2, v60
	s_cbranch_execnz .LBB291_57
.LBB291_45:
	s_and_b64 vcc, exec, s[6:7]
	s_cbranch_vccz .LBB291_55
; %bb.46:
	s_waitcnt vmcnt(0)
	v_lshlrev_b32_e32 v7, 1, v22
	v_cmp_gt_i32_e32 vcc, s27, v7
	v_mov_b32_e32 v6, 0
	v_lshlrev_b32_e32 v14, 9, v22
	v_mov_b32_e32 v2, 0
	v_mov_b32_e32 v3, 0
	;; [unrolled: 1-line block ×4, first 2 shown]
	s_and_saveexec_b64 s[0:1], vcc
	s_cbranch_execz .LBB291_48
; %bb.47:
	v_mov_b32_e32 v15, 0
	v_lshl_add_u64 v[2:3], s[4:5], 0, v[14:15]
	v_lshlrev_b32_e32 v4, 1, v18
	v_mov_b32_e32 v5, v15
	v_lshl_add_u64 v[2:3], v[2:3], 0, v[4:5]
	global_load_dwordx4 v[2:5], v[2:3], off
.LBB291_48:
	s_or_b64 exec, exec, s[0:1]
	v_or_b32_e32 v7, 1, v7
	v_cmp_gt_i32_e64 s[0:1], s27, v7
	v_lshlrev_b32_e32 v20, 8, v7
	v_mov_b32_e32 v7, 0
	v_mov_b32_e32 v8, 0
	;; [unrolled: 1-line block ×3, first 2 shown]
	s_and_saveexec_b64 s[2:3], s[0:1]
	s_cbranch_execz .LBB291_50
; %bb.49:
	v_mov_b32_e32 v21, 0
	v_lshl_add_u64 v[6:7], s[4:5], 0, v[20:21]
	v_lshlrev_b32_e32 v8, 1, v18
	v_mov_b32_e32 v9, v21
	v_lshl_add_u64 v[6:7], v[6:7], 0, v[8:9]
	global_load_dwordx4 v[6:9], v[6:7], off
.LBB291_50:
	s_or_b64 exec, exec, s[2:3]
	v_mov_b32_e32 v17, 0
	v_mov_b32_e32 v10, 0
	;; [unrolled: 1-line block ×5, first 2 shown]
	s_and_saveexec_b64 s[2:3], vcc
	s_cbranch_execz .LBB291_52
; %bb.51:
	v_mov_b32_e32 v15, 0
	v_lshl_add_u64 v[10:11], s[4:5], 0, v[14:15]
	v_lshlrev_b32_e32 v14, 1, v18
	v_lshl_add_u64 v[10:11], v[10:11], 0, v[14:15]
	global_load_dwordx4 v[10:13], v[10:11], off offset:128
.LBB291_52:
	s_or_b64 exec, exec, s[2:3]
	v_mov_b32_e32 v16, 0
	v_mov_b32_e32 v15, 0
	;; [unrolled: 1-line block ×3, first 2 shown]
	s_and_saveexec_b64 s[2:3], s[0:1]
	s_cbranch_execz .LBB291_54
; %bb.53:
	v_mov_b32_e32 v21, 0
	v_lshl_add_u64 v[14:15], s[4:5], 0, v[20:21]
	v_lshlrev_b32_e32 v20, 1, v18
	v_lshl_add_u64 v[14:15], v[14:15], 0, v[20:21]
	global_load_dwordx4 v[14:17], v[14:15], off offset:128
.LBB291_54:
	s_or_b64 exec, exec, s[2:3]
	s_branch .LBB291_57
.LBB291_55:
                                        ; implicit-def: $vgpr5
                                        ; implicit-def: $vgpr9
                                        ; implicit-def: $vgpr13
                                        ; implicit-def: $vgpr17
	s_cbranch_execz .LBB291_57
; %bb.56:
	s_waitcnt vmcnt(0)
	v_lshlrev_b32_e32 v2, 1, v18
	v_lshl_or_b32 v18, v22, 9, v2
	s_and_b32 s5, s5, 0xffff
	s_mov_b32 s7, 0x20000
	s_movk_i32 s6, 0x4000
	s_movk_i32 s0, 0x80
	buffer_load_dwordx4 v[2:5], v18, s[4:7], 0 offen
	buffer_load_dwordx4 v[6:9], v18, s[4:7], 0 offen offset:256
	buffer_load_dwordx4 v[10:13], v18, s[4:7], s0 offen
	buffer_load_dwordx4 v[14:17], v18, s[4:7], s0 offen offset:256
.LBB291_57:
	ds_read_b64 v[20:21], v24 offset:32768
	v_add_u32_e32 v18, 0xb000, v23
	ds_read2_b64 v[30:33], v18 offset1:16
	ds_read_b64 v[36:37], v25 offset:32768
	ds_read_b64 v[38:39], v26 offset:32768
	;; [unrolled: 1-line block ×3, first 2 shown]
	v_and_b32_e32 v18, 6, v0
	v_xor_b32_e32 v22, v22, v18
	v_lshlrev_b32_e32 v22, 2, v22
	v_and_b32_e32 v0, 1, v0
	v_cmp_eq_u32_e32 vcc, 0, v0
	s_mov_b32 s0, 0x1000504
	s_waitcnt lgkmcnt(3)
	v_mfma_f32_16x16x16_bf16 a[0:3], v[20:21], v[30:31], a[0:3]
	s_mov_b32 s1, 0x3020706
	v_mfma_f32_16x16x16_bf16 a[4:7], v[20:21], v[32:33], a[4:7]
	ds_read2st64_b64 v[24:27], v23 offset0:90 offset1:92
	ds_read2st64_b64 v[30:33], v28 offset0:90 offset1:92
	s_waitcnt lgkmcnt(1)
	v_mfma_f32_16x16x16_bf16 a[0:3], v[36:37], v[24:25], a[0:3]
	ds_read_b64 v[20:21], v23 offset:48128
	ds_read_b64 v[24:25], v28 offset:48128
	v_xor_b32_e32 v23, 0x440, v22
	v_cndmask_b32_e32 v0, v23, v22, vcc
	s_waitcnt lgkmcnt(2)
	v_mfma_f32_16x16x16_bf16 a[4:7], v[36:37], v[30:31], a[4:7]
	v_lshl_or_b32 v0, v18, 10, v0
	s_waitcnt vmcnt(0)
	v_perm_b32 v18, v2, v6, s0
	v_perm_b32 v2, v2, v6, s1
	v_mfma_f32_16x16x16_bf16 a[0:3], v[38:39], v[26:27], a[0:3]
	v_perm_b32 v6, v10, v14, s1
	v_mfma_f32_16x16x16_bf16 a[8:11], v[38:39], v[32:33], a[4:7]
	s_waitcnt lgkmcnt(1)
	v_mfma_f32_16x16x16_bf16 a[4:7], v[40:41], v[20:21], a[0:3]
	v_perm_b32 v20, v10, v14, s0
	ds_write2st64_b32 v0, v18, v20 offset0:32 offset1:64
	v_xor_b32_e32 v18, 8, v0
	v_add_u32_e32 v10, 0x80, v18
	ds_write2st64_b32 v10, v2, v6 offset0:32 offset1:64
	v_xor_b32_e32 v2, 16, v0
	v_perm_b32 v6, v3, v7, s0
	v_perm_b32 v10, v11, v15, s0
	ds_write2st64_b32 v2, v6, v10 offset0:33 offset1:65
	v_xor_b32_e32 v2, 24, v0
	v_perm_b32 v3, v3, v7, s1
	v_perm_b32 v6, v11, v15, s1
	v_add_u32_e32 v2, 0x80, v2
	ds_write2st64_b32 v2, v3, v6 offset0:33 offset1:65
	v_xor_b32_e32 v2, 32, v0
	v_perm_b32 v3, v4, v8, s0
	v_perm_b32 v6, v12, v16, s0
	s_waitcnt lgkmcnt(4)
	v_mfma_f32_16x16x16_bf16 a[0:3], v[40:41], v[24:25], a[8:11]
	ds_write2st64_b32 v2, v3, v6 offset0:34 offset1:66
	v_xor_b32_e32 v2, 40, v0
	v_perm_b32 v3, v4, v8, s1
	v_perm_b32 v4, v12, v16, s1
	v_add_u32_e32 v2, 0x80, v2
	ds_write2st64_b32 v2, v3, v4 offset0:34 offset1:66
	v_xor_b32_e32 v2, 48, v0
	v_perm_b32 v3, v5, v9, s0
	v_perm_b32 v4, v13, v17, s0
	v_xor_b32_e32 v0, 56, v0
	v_and_or_b32 v21, v29, 12, v1
	ds_write2st64_b32 v2, v3, v4 offset0:35 offset1:67
	v_perm_b32 v2, v5, v9, s1
	v_perm_b32 v3, v13, v17, s1
	v_add_u32_e32 v0, 0x80, v0
	v_cmp_gt_i32_e32 vcc, s27, v21
	v_mov_b32_e32 v16, 0
	v_mov_b32_e32 v18, 0
	ds_write2st64_b32 v0, v2, v3 offset0:35 offset1:67
	s_and_saveexec_b64 s[0:1], vcc
	s_cbranch_execz .LBB291_59
; %bb.58:
	v_add_u32_e32 v0, s26, v21
	v_ashrrev_i32_e32 v1, 31, v0
	v_mul_lo_u32 v2, v1, s30
	v_mul_lo_u32 v3, v0, s31
	v_mad_u64_u32 v[0:1], s[2:3], v0, s30, 0
	v_add3_u32 v1, v1, v3, v2
	v_lshl_add_u64 v[0:1], v[0:1], 2, s[10:11]
	global_load_dword v0, v[0:1], off
	s_waitcnt vmcnt(0)
	v_sub_f32_e32 v0, s12, v0
	v_exp_f32_e32 v18, v0
.LBB291_59:
	s_or_b64 exec, exec, s[0:1]
	v_or_b32_e32 v10, 1, v21
	v_cmp_gt_i32_e64 s[2:3], s27, v10
	s_and_saveexec_b64 s[0:1], s[2:3]
	s_cbranch_execz .LBB291_61
; %bb.60:
	v_add_u32_e32 v0, s26, v10
	v_ashrrev_i32_e32 v1, 31, v0
	v_mul_lo_u32 v2, v1, s30
	v_mul_lo_u32 v3, v0, s31
	v_mad_u64_u32 v[0:1], s[4:5], v0, s30, 0
	v_add3_u32 v1, v1, v3, v2
	v_lshl_add_u64 v[0:1], v[0:1], 2, s[10:11]
	global_load_dword v0, v[0:1], off
	s_waitcnt vmcnt(0)
	v_sub_f32_e32 v0, s12, v0
	v_exp_f32_e32 v16, v0
.LBB291_61:
	s_or_b64 exec, exec, s[0:1]
	v_or_b32_e32 v12, 2, v21
	v_cmp_gt_i32_e64 s[0:1], s27, v12
	v_mov_b32_e32 v17, 0
	v_mov_b32_e32 v20, 0
	s_and_saveexec_b64 s[4:5], s[0:1]
	s_cbranch_execz .LBB291_63
; %bb.62:
	v_add_u32_e32 v0, s26, v12
	v_ashrrev_i32_e32 v1, 31, v0
	v_mul_lo_u32 v2, v1, s30
	v_mul_lo_u32 v3, v0, s31
	v_mad_u64_u32 v[0:1], s[6:7], v0, s30, 0
	v_add3_u32 v1, v1, v3, v2
	v_lshl_add_u64 v[0:1], v[0:1], 2, s[10:11]
	global_load_dword v0, v[0:1], off
	s_waitcnt vmcnt(0)
	v_sub_f32_e32 v0, s12, v0
	v_exp_f32_e32 v20, v0
.LBB291_63:
	s_or_b64 exec, exec, s[4:5]
	v_or_b32_e32 v14, 3, v21
	v_cmp_gt_i32_e64 s[4:5], s27, v14
	s_and_saveexec_b64 s[6:7], s[4:5]
	s_cbranch_execz .LBB291_65
; %bb.64:
	v_add_u32_e32 v0, s26, v14
	v_ashrrev_i32_e32 v1, 31, v0
	v_mul_lo_u32 v2, v1, s30
	v_mul_lo_u32 v3, v0, s31
	v_mad_u64_u32 v[0:1], s[14:15], v0, s30, 0
	v_add3_u32 v1, v1, v3, v2
	v_lshl_add_u64 v[0:1], v[0:1], 2, s[10:11]
	global_load_dword v0, v[0:1], off
	s_waitcnt vmcnt(0)
	v_sub_f32_e32 v0, s12, v0
	v_exp_f32_e32 v17, v0
.LBB291_65:
	s_or_b64 exec, exec, s[6:7]
	s_add_u32 s6, s8, s20
	s_addc_u32 s7, s9, s21
	s_add_u32 s8, s28, s20
	v_ashrrev_i32_e32 v51, 31, v50
	v_accvgpr_read_b32 v0, a4
	s_addc_u32 s9, s29, s21
	v_lshlrev_b64 v[4:5], 1, v[50:51]
	v_accvgpr_read_b32 v1, a5
	v_accvgpr_read_b32 v2, a6
	;; [unrolled: 1-line block ×3, first 2 shown]
	v_lshl_add_u64 v[6:7], s[6:7], 0, v[4:5]
	v_lshl_add_u64 v[4:5], s[8:9], 0, v[4:5]
	v_mov_b32_e32 v11, 0
	v_lshlrev_b32_e32 v8, 8, v21
	v_mov_b32_e32 v9, 0
	s_and_saveexec_b64 s[6:7], vcc
	s_cbranch_execz .LBB291_67
; %bb.66:
	v_mov_b32_e32 v9, 0
	v_lshl_add_u64 v[22:23], v[6:7], 0, v[8:9]
	global_load_ushort v13, v[22:23], off
	v_lshl_add_u64 v[22:23], v[4:5], 0, v[8:9]
	s_waitcnt vmcnt(0)
	v_lshlrev_b32_e32 v9, 16, v13
	v_sub_f32_e32 v0, v9, v0
	global_store_short_d16_hi v[22:23], v0, off
	v_mul_f32_e32 v0, v18, v0
	v_lshrrev_b32_e32 v9, 16, v0
.LBB291_67:
	s_or_b64 exec, exec, s[6:7]
	v_lshlrev_b32_e32 v10, 8, v10
	s_and_saveexec_b64 s[6:7], s[2:3]
	s_cbranch_execz .LBB291_69
; %bb.68:
	v_mov_b32_e32 v11, 0
	v_lshl_add_u64 v[22:23], v[6:7], 0, v[10:11]
	global_load_ushort v0, v[22:23], off
	v_lshl_add_u64 v[22:23], v[4:5], 0, v[10:11]
	s_waitcnt vmcnt(0)
	v_lshlrev_b32_e32 v0, 16, v0
	v_sub_f32_e32 v0, v0, v1
	global_store_short_d16_hi v[22:23], v0, off
	v_mul_f32_e32 v0, v16, v0
	v_lshrrev_b32_e32 v11, 16, v0
.LBB291_69:
	s_or_b64 exec, exec, s[6:7]
	v_mov_b32_e32 v15, 0
	v_lshlrev_b32_e32 v12, 8, v12
	v_mov_b32_e32 v13, 0
	s_and_saveexec_b64 s[6:7], s[0:1]
	s_cbranch_execz .LBB291_71
; %bb.70:
	v_mov_b32_e32 v13, 0
	v_lshl_add_u64 v[0:1], v[6:7], 0, v[12:13]
	global_load_ushort v22, v[0:1], off
	v_lshl_add_u64 v[0:1], v[4:5], 0, v[12:13]
	s_waitcnt vmcnt(0)
	v_lshlrev_b32_e32 v13, 16, v22
	v_sub_f32_e32 v2, v13, v2
	global_store_short_d16_hi v[0:1], v2, off
	v_mul_f32_e32 v0, v20, v2
	v_lshrrev_b32_e32 v13, 16, v0
.LBB291_71:
	s_or_b64 exec, exec, s[6:7]
	v_lshlrev_b32_e32 v14, 8, v14
	s_and_saveexec_b64 s[6:7], s[4:5]
	s_cbranch_execz .LBB291_73
; %bb.72:
	v_mov_b32_e32 v15, 0
	v_lshl_add_u64 v[0:1], v[6:7], 0, v[14:15]
	global_load_ushort v2, v[0:1], off
	v_lshl_add_u64 v[0:1], v[4:5], 0, v[14:15]
	s_waitcnt vmcnt(0)
	v_lshlrev_b32_e32 v2, 16, v2
	v_sub_f32_e32 v2, v2, v3
	global_store_short_d16_hi v[0:1], v2, off
	v_mul_f32_e32 v0, v17, v2
	v_lshrrev_b32_e32 v15, 16, v0
.LBB291_73:
	s_or_b64 exec, exec, s[6:7]
	v_lshlrev_b32_e32 v21, 5, v21
	s_mov_b32 s6, 0x5040100
	v_perm_b32 v22, v11, v9, s6
	v_or_b32_e32 v9, v21, v34
	v_accvgpr_read_b32 v0, a0
	v_perm_b32 v23, v15, v13, s6
	v_lshlrev_b32_e32 v9, 1, v9
	v_accvgpr_read_b32 v1, a1
	v_accvgpr_read_b32 v2, a2
	v_accvgpr_read_b32 v3, a3
	ds_write_b64 v9, v[22:23] offset:45056
	v_mov_b32_e32 v11, 0
	v_mov_b32_e32 v9, 0
	s_and_saveexec_b64 s[6:7], vcc
	s_cbranch_execz .LBB291_75
; %bb.74:
	v_mov_b32_e32 v9, 0
	v_lshl_add_u64 v[22:23], v[6:7], 0, v[8:9]
	global_load_ushort v13, v[22:23], off offset:32
	v_lshl_add_u64 v[8:9], v[4:5], 0, v[8:9]
	s_waitcnt vmcnt(0)
	v_lshlrev_b32_e32 v13, 16, v13
	v_sub_f32_e32 v0, v13, v0
	global_store_short_d16_hi v[8:9], v0, off offset:32
	v_mul_f32_e32 v0, v18, v0
	v_lshrrev_b32_e32 v9, 16, v0
.LBB291_75:
	s_or_b64 exec, exec, s[6:7]
	s_and_saveexec_b64 s[6:7], s[2:3]
	s_cbranch_execz .LBB291_77
; %bb.76:
	v_mov_b32_e32 v11, 0
	v_lshl_add_u64 v[22:23], v[6:7], 0, v[10:11]
	global_load_ushort v0, v[22:23], off offset:32
	v_lshl_add_u64 v[10:11], v[4:5], 0, v[10:11]
	s_waitcnt vmcnt(0)
	v_lshlrev_b32_e32 v0, 16, v0
	v_sub_f32_e32 v0, v0, v1
	global_store_short_d16_hi v[10:11], v0, off offset:32
	v_mul_f32_e32 v0, v16, v0
	v_lshrrev_b32_e32 v11, 16, v0
.LBB291_77:
	s_or_b64 exec, exec, s[6:7]
	v_mov_b32_e32 v0, 0
	v_mov_b32_e32 v1, 0
	s_and_saveexec_b64 s[2:3], s[0:1]
	s_cbranch_execz .LBB291_79
; %bb.78:
	v_mov_b32_e32 v13, 0
	v_lshl_add_u64 v[22:23], v[6:7], 0, v[12:13]
	global_load_ushort v1, v[22:23], off offset:32
	v_lshl_add_u64 v[12:13], v[4:5], 0, v[12:13]
	s_waitcnt vmcnt(0)
	v_lshlrev_b32_e32 v1, 16, v1
	v_sub_f32_e32 v1, v1, v2
	global_store_short_d16_hi v[12:13], v1, off offset:32
	v_mul_f32_e32 v1, v20, v1
	v_lshrrev_b32_e32 v1, 16, v1
.LBB291_79:
	s_or_b64 exec, exec, s[2:3]
	s_and_saveexec_b64 s[0:1], s[4:5]
	s_cbranch_execz .LBB291_81
; %bb.80:
	v_mov_b32_e32 v15, 0
	v_lshl_add_u64 v[6:7], v[6:7], 0, v[14:15]
	global_load_ushort v0, v[6:7], off offset:32
	v_lshl_add_u64 v[4:5], v[4:5], 0, v[14:15]
	s_waitcnt vmcnt(0)
	v_lshlrev_b32_e32 v0, 16, v0
	v_sub_f32_e32 v0, v0, v3
	global_store_short_d16_hi v[4:5], v0, off offset:32
	v_mul_f32_e32 v0, v17, v0
	v_lshrrev_b32_e32 v0, 16, v0
.LBB291_81:
	s_or_b64 exec, exec, s[0:1]
	s_mov_b32 s0, 0x5040100
	v_or_b32_e32 v2, v21, v19
	v_perm_b32 v1, v0, v1, s0
	v_perm_b32 v0, v11, v9, s0
	v_lshlrev_b32_e32 v2, 1, v2
	ds_write_b64 v2, v[0:1] offset:45056
	s_waitcnt lgkmcnt(0)
	s_barrier
.LBB291_82:
	s_endpgm
	.section	.rodata,"a",@progbits
	.p2align	6, 0x0
	.amdhsa_kernel _ZN12_GLOBAL__N_139chunk_gated_delta_rule_fwd_h_hip_kernelILi32ELb1ELb0ELb1ELb1ELb1ELb0ELb1ELb1EEEvPK12hip_bfloat16S3_S3_PKfS5_PKvPS1_S8_PvPKiSB_iiiiilll
		.amdhsa_group_segment_fixed_size 49152
		.amdhsa_private_segment_fixed_size 0
		.amdhsa_kernarg_size 136
		.amdhsa_user_sgpr_count 2
		.amdhsa_user_sgpr_dispatch_ptr 0
		.amdhsa_user_sgpr_queue_ptr 0
		.amdhsa_user_sgpr_kernarg_segment_ptr 1
		.amdhsa_user_sgpr_dispatch_id 0
		.amdhsa_user_sgpr_kernarg_preload_length 0
		.amdhsa_user_sgpr_kernarg_preload_offset 0
		.amdhsa_user_sgpr_private_segment_size 0
		.amdhsa_uses_dynamic_stack 0
		.amdhsa_enable_private_segment 0
		.amdhsa_system_sgpr_workgroup_id_x 1
		.amdhsa_system_sgpr_workgroup_id_y 1
		.amdhsa_system_sgpr_workgroup_id_z 0
		.amdhsa_system_sgpr_workgroup_info 0
		.amdhsa_system_vgpr_workitem_id 0
		.amdhsa_next_free_vgpr 148
		.amdhsa_next_free_sgpr 64
		.amdhsa_accum_offset 132
		.amdhsa_reserve_vcc 1
		.amdhsa_float_round_mode_32 0
		.amdhsa_float_round_mode_16_64 0
		.amdhsa_float_denorm_mode_32 3
		.amdhsa_float_denorm_mode_16_64 3
		.amdhsa_dx10_clamp 1
		.amdhsa_ieee_mode 1
		.amdhsa_fp16_overflow 0
		.amdhsa_tg_split 0
		.amdhsa_exception_fp_ieee_invalid_op 0
		.amdhsa_exception_fp_denorm_src 0
		.amdhsa_exception_fp_ieee_div_zero 0
		.amdhsa_exception_fp_ieee_overflow 0
		.amdhsa_exception_fp_ieee_underflow 0
		.amdhsa_exception_fp_ieee_inexact 0
		.amdhsa_exception_int_div_zero 0
	.end_amdhsa_kernel
	.section	.text._ZN12_GLOBAL__N_139chunk_gated_delta_rule_fwd_h_hip_kernelILi32ELb1ELb0ELb1ELb1ELb1ELb0ELb1ELb1EEEvPK12hip_bfloat16S3_S3_PKfS5_PKvPS1_S8_PvPKiSB_iiiiilll,"axG",@progbits,_ZN12_GLOBAL__N_139chunk_gated_delta_rule_fwd_h_hip_kernelILi32ELb1ELb0ELb1ELb1ELb1ELb0ELb1ELb1EEEvPK12hip_bfloat16S3_S3_PKfS5_PKvPS1_S8_PvPKiSB_iiiiilll,comdat
.Lfunc_end291:
	.size	_ZN12_GLOBAL__N_139chunk_gated_delta_rule_fwd_h_hip_kernelILi32ELb1ELb0ELb1ELb1ELb1ELb0ELb1ELb1EEEvPK12hip_bfloat16S3_S3_PKfS5_PKvPS1_S8_PvPKiSB_iiiiilll, .Lfunc_end291-_ZN12_GLOBAL__N_139chunk_gated_delta_rule_fwd_h_hip_kernelILi32ELb1ELb0ELb1ELb1ELb1ELb0ELb1ELb1EEEvPK12hip_bfloat16S3_S3_PKfS5_PKvPS1_S8_PvPKiSB_iiiiilll
                                        ; -- End function
	.section	.AMDGPU.csdata,"",@progbits
; Kernel info:
; codeLenInByte = 8644
; NumSgprs: 70
; NumVgprs: 132
; NumAgprs: 16
; TotalNumVgprs: 148
; ScratchSize: 0
; MemoryBound: 0
; FloatMode: 240
; IeeeMode: 1
; LDSByteSize: 49152 bytes/workgroup (compile time only)
; SGPRBlocks: 8
; VGPRBlocks: 18
; NumSGPRsForWavesPerEU: 70
; NumVGPRsForWavesPerEU: 148
; AccumOffset: 132
; Occupancy: 1
; WaveLimiterHint : 1
; COMPUTE_PGM_RSRC2:SCRATCH_EN: 0
; COMPUTE_PGM_RSRC2:USER_SGPR: 2
; COMPUTE_PGM_RSRC2:TRAP_HANDLER: 0
; COMPUTE_PGM_RSRC2:TGID_X_EN: 1
; COMPUTE_PGM_RSRC2:TGID_Y_EN: 1
; COMPUTE_PGM_RSRC2:TGID_Z_EN: 0
; COMPUTE_PGM_RSRC2:TIDIG_COMP_CNT: 0
; COMPUTE_PGM_RSRC3_GFX90A:ACCUM_OFFSET: 32
; COMPUTE_PGM_RSRC3_GFX90A:TG_SPLIT: 0
	.section	.text._ZN12_GLOBAL__N_139chunk_gated_delta_rule_fwd_h_hip_kernelILi32ELb1ELb0ELb0ELb1ELb1ELb0ELb1ELb1EEEvPK12hip_bfloat16S3_S3_PKfS5_PKvPS1_S8_PvPKiSB_iiiiilll,"axG",@progbits,_ZN12_GLOBAL__N_139chunk_gated_delta_rule_fwd_h_hip_kernelILi32ELb1ELb0ELb0ELb1ELb1ELb0ELb1ELb1EEEvPK12hip_bfloat16S3_S3_PKfS5_PKvPS1_S8_PvPKiSB_iiiiilll,comdat
	.globl	_ZN12_GLOBAL__N_139chunk_gated_delta_rule_fwd_h_hip_kernelILi32ELb1ELb0ELb0ELb1ELb1ELb0ELb1ELb1EEEvPK12hip_bfloat16S3_S3_PKfS5_PKvPS1_S8_PvPKiSB_iiiiilll ; -- Begin function _ZN12_GLOBAL__N_139chunk_gated_delta_rule_fwd_h_hip_kernelILi32ELb1ELb0ELb0ELb1ELb1ELb0ELb1ELb1EEEvPK12hip_bfloat16S3_S3_PKfS5_PKvPS1_S8_PvPKiSB_iiiiilll
	.p2align	8
	.type	_ZN12_GLOBAL__N_139chunk_gated_delta_rule_fwd_h_hip_kernelILi32ELb1ELb0ELb0ELb1ELb1ELb0ELb1ELb1EEEvPK12hip_bfloat16S3_S3_PKfS5_PKvPS1_S8_PvPKiSB_iiiiilll,@function
_ZN12_GLOBAL__N_139chunk_gated_delta_rule_fwd_h_hip_kernelILi32ELb1ELb0ELb0ELb1ELb1ELb0ELb1ELb1EEEvPK12hip_bfloat16S3_S3_PKfS5_PKvPS1_S8_PvPKiSB_iiiiilll: ; @_ZN12_GLOBAL__N_139chunk_gated_delta_rule_fwd_h_hip_kernelILi32ELb1ELb0ELb0ELb1ELb1ELb0ELb1ELb1EEEvPK12hip_bfloat16S3_S3_PKfS5_PKvPS1_S8_PvPKiSB_iiiiilll
; %bb.0:
	s_load_dwordx4 s[12:15], s[0:1], 0x5c
	s_load_dwordx4 s[20:23], s[0:1], 0x70
	s_abs_i32 s9, s3
	s_ashr_i32 s8, s3, 31
	s_load_dwordx4 s[4:7], s[0:1], 0x48
	s_waitcnt lgkmcnt(0)
	s_abs_i32 s10, s13
	v_cvt_f32_u32_e32 v1, s10
	s_sub_i32 s16, 0, s10
	s_ashr_i32 s11, s13, 31
	s_xor_b32 s8, s8, s11
	v_rcp_iflag_f32_e32 v1, v1
	v_and_b32_e32 v61, 15, v0
	v_lshrrev_b32_e32 v59, 6, v0
	v_bfe_u32 v60, v0, 4, 2
	v_mul_f32_e32 v1, 0x4f7ffffe, v1
	v_cvt_u32_f32_e32 v1, v1
	v_mov_b32_e32 v7, 0
	v_and_b32_e32 v58, 63, v0
	v_lshlrev_b32_e32 v62, 3, v0
	v_readfirstlane_b32 s17, v1
	s_mul_i32 s16, s16, s17
	s_mul_hi_u32 s16, s17, s16
	s_add_i32 s17, s17, s16
	s_mul_hi_u32 s16, s9, s17
	s_mul_i32 s17, s16, s10
	s_sub_i32 s9, s9, s17
	s_add_i32 s18, s16, 1
	s_sub_i32 s17, s9, s10
	s_cmp_ge_u32 s9, s10
	s_cselect_b32 s16, s18, s16
	s_cselect_b32 s9, s17, s9
	s_add_i32 s17, s16, 1
	s_cmp_ge_u32 s9, s10
	s_cselect_b32 s9, s17, s16
	s_load_dwordx4 s[16:19], s[0:1], 0x28
	s_xor_b32 s9, s9, s8
	s_sub_i32 s24, s9, s8
	s_mul_i32 s28, s24, s13
	s_ashr_i32 s25, s24, 31
	s_sub_i32 s45, s3, s28
	s_lshl_b64 s[8:9], s[24:25], 2
	s_add_u32 s4, s4, s8
	s_addc_u32 s5, s5, s9
	s_add_u32 s26, s6, s8
	s_addc_u32 s27, s7, s9
	s_abs_i32 s3, s14
	v_cvt_f32_u32_e32 v1, s3
	s_load_dwordx2 s[30:31], s[4:5], 0x0
	s_sub_i32 s5, 0, s3
	s_lshl_b32 s2, s2, 5
	v_rcp_iflag_f32_e32 v1, v1
	v_or_b32_e32 v50, s2, v61
	s_waitcnt lgkmcnt(0)
	s_sub_i32 s48, s31, s30
	s_ashr_i32 s4, s48, 31
	v_mul_f32_e32 v1, 0x4f7ffffe, v1
	v_cvt_u32_f32_e32 v1, v1
	s_lshr_b32 s4, s4, 26
	s_add_i32 s4, s48, s4
	s_ashr_i32 s46, s4, 6
	v_readfirstlane_b32 s6, v1
	s_mul_i32 s5, s5, s6
	s_mul_hi_u32 s5, s6, s5
	s_add_i32 s6, s6, s5
	s_mul_hi_u32 s5, s10, s6
	s_mul_i32 s6, s5, s3
	s_ashr_i32 s4, s14, 31
	s_sub_i32 s6, s10, s6
	s_xor_b32 s4, s11, s4
	s_add_i32 s7, s5, 1
	s_sub_i32 s8, s6, s3
	s_cmp_ge_u32 s6, s3
	s_cselect_b32 s5, s7, s5
	s_cselect_b32 s6, s8, s6
	s_add_i32 s7, s5, 1
	s_cmp_ge_u32 s6, s3
	s_cselect_b32 s3, s7, s5
	s_xor_b32 s3, s3, s4
	s_sub_i32 s3, s3, s4
	s_abs_i32 s4, s3
	v_cvt_f32_u32_e32 v1, s4
	s_sub_i32 s6, 0, s4
	s_abs_i32 s5, s45
	s_xor_b32 s3, s45, s3
	v_rcp_iflag_f32_e32 v1, v1
	s_ashr_i32 s3, s3, 31
	v_lshlrev_b32_e32 v2, 7, v50
	v_ashrrev_i32_e32 v3, 31, v2
	v_mul_f32_e32 v1, 0x4f7ffffe, v1
	v_cvt_u32_f32_e32 v1, v1
	v_lshrrev_b32_e32 v63, 3, v58
	s_mul_i32 s33, s24, s21
	s_mul_hi_u32 s40, s24, s20
	v_readfirstlane_b32 s7, v1
	s_mul_i32 s6, s6, s7
	s_mul_hi_u32 s6, s7, s6
	s_add_i32 s7, s7, s6
	s_mul_hi_u32 s6, s5, s7
	s_mul_i32 s7, s6, s4
	s_sub_i32 s5, s5, s7
	s_add_i32 s7, s6, 1
	s_sub_i32 s8, s5, s4
	s_cmp_ge_u32 s5, s4
	s_cselect_b32 s6, s7, s6
	s_cselect_b32 s5, s8, s5
	s_add_i32 s7, s6, 1
	s_cmp_ge_u32 s5, s4
	s_cselect_b32 s4, s7, s6
	s_xor_b32 s4, s4, s3
	s_sub_i32 s49, s4, s3
	s_ashr_i32 s47, s45, 31
	s_mul_hi_i32 s3, s24, s13
	s_add_u32 s4, s28, s45
	s_addc_u32 s5, s3, s47
	s_lshl_b64 s[4:5], s[4:5], 15
	s_add_u32 s4, s16, s4
	s_addc_u32 s5, s17, s5
	v_lshlrev_b32_e32 v1, 4, v59
	v_lshl_add_u64 v[4:5], v[2:3], 1, s[4:5]
	v_or_b32_e32 v2, 0x800, v2
	v_lshl_or_b32 v64, v60, 2, v1
	v_ashrrev_i32_e32 v3, 31, v2
	v_lshlrev_b32_e32 v6, 1, v64
	v_lshl_add_u64 v[2:3], v[2:3], 1, s[4:5]
	v_lshl_add_u64 v[4:5], v[4:5], 0, v[6:7]
	;; [unrolled: 1-line block ×3, first 2 shown]
	global_load_dwordx2 v[8:9], v[4:5], off
	v_or_b32_e32 v65, 64, v64
	global_load_dwordx2 v[4:5], v[4:5], off offset:128
	s_nop 0
	global_load_dwordx2 v[6:7], v[2:3], off
	global_load_dwordx2 v[10:11], v[2:3], off offset:128
	s_load_dwordx8 s[4:11], s[0:1], 0x0
	s_load_dwordx2 s[28:29], s[0:1], 0x80
	s_load_dword s52, s[26:27], 0x0
	s_mul_i32 s34, s24, s20
	s_mul_i32 s41, s25, s20
	s_mul_hi_i32 s50, s45, s12
	s_mul_i32 s51, s45, s12
	s_mul_i32 s42, s45, s23
	s_mul_hi_u32 s43, s45, s22
	s_mul_i32 s44, s47, s22
	s_cmp_lt_i32 s48, 64
	s_mul_i32 s36, s45, s22
	s_waitcnt vmcnt(3)
	v_and_b32_e32 v19, 0xffff0000, v8
	v_lshlrev_b32_e32 v18, 16, v8
	v_and_b32_e32 v21, 0xffff0000, v9
	v_lshlrev_b32_e32 v20, 16, v9
	s_waitcnt vmcnt(2)
	v_and_b32_e32 v23, 0xffff0000, v4
	v_lshlrev_b32_e32 v22, 16, v4
	v_and_b32_e32 v25, 0xffff0000, v5
	v_lshlrev_b32_e32 v24, 16, v5
	;; [unrolled: 5-line block ×4, first 2 shown]
	s_cbranch_scc1 .LBB292_17
; %bb.1:
	s_ashr_i32 s1, s30, 31
	s_add_u32 s0, s51, s30
	s_addc_u32 s1, s50, s1
	s_lshl_b64 s[0:1], s[0:1], 8
	v_and_b32_e32 v67, 56, v62
	s_waitcnt lgkmcnt(0)
	s_add_u32 s20, s6, s0
	v_lshl_or_b32 v66, v59, 3, v63
	v_lshlrev_b32_e32 v2, 1, v67
	s_addc_u32 s0, s7, s1
	v_lshl_or_b32 v68, v66, 8, v2
	s_and_b32 s21, s0, 0xffff
	s_mov_b32 s23, 0x20000
	s_movk_i32 s22, 0x4000
	s_movk_i32 s0, 0x80
	v_or_b32_e32 v69, 0x2000, v68
	buffer_load_dwordx4 v[4:7], v68, s[20:23], 0 offen
	buffer_load_dwordx4 v[8:11], v68, s[20:23], s0 offen
	;; [unrolled: 1-line block ×4, first 2 shown]
	v_lshlrev_b32_e32 v3, 3, v66
	v_and_or_b32 v17, v0, 7, v3
	v_and_b32_e32 v3, 0x78, v3
	v_lshlrev_b32_e32 v17, 4, v17
	v_xor_b32_e32 v70, v17, v3
	v_mul_lo_u32 v16, v66, s15
	v_or_b32_e32 v71, 0x1000, v70
	v_xor_b32_e32 v3, 8, v70
	s_cmpk_eq_i32 s15, 0x80
	s_mov_b32 s53, s30
	v_xor_b32_e32 v17, 8, v71
	s_cselect_b64 s[0:1], -1, 0
	s_cmpk_lg_i32 s15, 0x80
	s_waitcnt vmcnt(3)
	ds_write_b64 v70, v[4:5] offset:24576
	ds_write_b64 v3, v[6:7] offset:24576
	s_waitcnt vmcnt(2)
	ds_write_b64 v70, v[8:9] offset:32768
	ds_write_b64 v3, v[10:11] offset:32768
	;; [unrolled: 3-line block ×4, first 2 shown]
	v_lshl_add_u32 v3, v16, 1, v67
	s_cbranch_scc0 .LBB292_3
; %bb.2:
	v_lshlrev_b32_e32 v5, 1, v3
	v_add_lshl_u32 v4, v3, s15, 1
	s_lshl_b32 s22, s15, 7
	v_lshl_or_b32 v2, v66, 9, v2
	s_cbranch_execz .LBB292_4
	s_branch .LBB292_5
.LBB292_3:
                                        ; implicit-def: $vgpr4
                                        ; implicit-def: $vgpr5
                                        ; implicit-def: $sgpr22
	v_lshl_or_b32 v2, v66, 9, v2
.LBB292_4:
	v_or_b32_e32 v4, 0x100, v2
	s_movk_i32 s22, 0x4000
	v_mov_b32_e32 v5, v2
.LBB292_5:
	s_mul_i32 s16, s30, s14
	s_ashr_i32 s54, s49, 31
	s_mul_hi_i32 s3, s30, s14
	s_add_u32 s16, s16, s49
	s_addc_u32 s17, s3, s54
	s_lshl_b64 s[16:17], s[16:17], 8
	s_add_u32 s20, s4, s16
	s_addc_u32 s3, s5, s17
	s_and_b32 s21, s3, 0xffff
	s_movk_i32 s55, 0x80
	buffer_load_dwordx4 v[6:9], v5, s[20:23], 0 offen
	buffer_load_dwordx4 v[10:13], v5, s[20:23], s55 offen
	buffer_load_dwordx4 v[14:17], v4, s[20:23], 0 offen
	buffer_load_dwordx4 v[34:37], v4, s[20:23], s55 offen
	v_and_b32_e32 v4, 6, v0
	v_lshlrev_b32_e32 v39, 6, v64
	v_or_b32_e32 v41, 16, v61
	v_xor_b32_e32 v42, v66, v4
	v_and_b32_e32 v5, 1, v0
	v_lshl_or_b32 v45, v61, 3, v39
	v_lshl_or_b32 v39, v41, 3, v39
	v_lshlrev_b32_e32 v42, 2, v42
	v_lshlrev_b32_e32 v38, 2, v61
	v_or_b32_e32 v74, 0xa000, v39
	v_or_b32_e32 v75, 0xb000, v39
	v_xor_b32_e32 v39, 0x440, v42
	v_cmp_eq_u32_e32 vcc, 0, v5
	s_add_i32 s3, s40, s33
	v_xor_b32_e32 v43, v64, v38
	v_xor_b32_e32 v44, v65, v38
	v_cndmask_b32_e32 v5, v39, v42, vcc
	s_add_i32 s16, s43, s42
	s_add_i32 s35, s3, s41
	s_mov_b32 s56, 0x1000504
	v_lshlrev_b32_e32 v40, 8, v61
	v_lshlrev_b32_e32 v41, 8, v41
	;; [unrolled: 1-line block ×4, first 2 shown]
	v_lshl_or_b32 v4, v4, 10, v5
	s_add_i32 s37, s16, s44
	s_lshl_b64 s[16:17], s[34:35], 2
	s_mov_b32 s57, 0x3020706
	v_or_b32_e32 v72, 0xa000, v45
	v_or_b32_e32 v73, 0xb000, v45
	;; [unrolled: 1-line block ×5, first 2 shown]
	v_xor_b32_e32 v5, 8, v4
	v_xor_b32_e32 v40, 24, v4
	;; [unrolled: 1-line block ×4, first 2 shown]
	s_add_u32 s3, s10, s16
	v_or_b32_e32 v78, v41, v43
	v_xor_b32_e32 v39, 16, v4
	v_xor_b32_e32 v41, 32, v4
	;; [unrolled: 1-line block ×3, first 2 shown]
	v_add_u32_e32 v5, 0x80, v5
	v_add_u32_e32 v40, 0x80, v40
	v_add_u32_e32 v42, 0x80, v42
	v_add_u32_e32 v44, 0x80, v44
	s_addc_u32 s20, s11, s17
	s_lshl_b64 s[16:17], s[36:37], 2
	s_add_u32 s16, s3, s16
	s_movk_i32 s3, 0xf8
	s_addc_u32 s17, s20, s17
	s_lshl_b32 s26, s15, 7
	s_movk_i32 s24, 0x100
	v_mov_b32_e32 v53, 0
	v_lshlrev_b32_e32 v52, 4, v61
	v_cmp_gt_u32_e32 vcc, s24, v0
	v_ashrrev_i32_e32 v51, 31, v50
	v_lshl_add_u64 v[54:55], v[50:51], 1, s[8:9]
	s_mov_b32 s58, 0
	s_movk_i32 s35, 0x1000
	s_movk_i32 s22, 0x4000
	s_waitcnt vmcnt(1)
	v_perm_b32 v45, v6, v14, s56
	s_waitcnt vmcnt(0)
	v_perm_b32 v46, v10, v34, s56
	v_perm_b32 v6, v6, v14, s57
	;; [unrolled: 1-line block ×15, first 2 shown]
	ds_write2st64_b32 v4, v45, v46 offset0:32 offset1:64
	ds_write2st64_b32 v5, v6, v10 offset0:32 offset1:64
	;; [unrolled: 1-line block ×8, first 2 shown]
	v_or_b32_e32 v4, v1, v61
	v_lshlrev_b32_e32 v4, 3, v4
	v_lshrrev_b32_e32 v7, 5, v58
	v_and_or_b32 v7, v4, s3, v7
	v_lshlrev_b32_e32 v7, 4, v7
	v_lshlrev_b32_e32 v5, 11, v59
	v_and_b32_e32 v4, 0x78, v4
	v_or_b32_e32 v12, 32, v7
	v_and_b32_e32 v6, 0x1000, v5
	v_lshrrev_b32_e32 v9, 1, v0
	v_xor_b32_e32 v12, v12, v4
	v_and_b32_e32 v10, 8, v9
	v_or_b32_e32 v12, v12, v6
	v_xor_b32_e32 v8, v7, v4
	v_xor_b32_e32 v82, v12, v10
	v_or_b32_e32 v12, 64, v7
	v_or_b32_e32 v7, 0x60, v7
	s_ashr_i32 s3, s2, 31
	v_xor_b32_e32 v12, v12, v4
	v_xor_b32_e32 v4, v7, v4
	s_lshl_b64 s[20:21], s[2:3], 8
	v_or_b32_e32 v8, v8, v6
	v_or_b32_e32 v12, v12, v6
	;; [unrolled: 1-line block ×3, first 2 shown]
	s_add_u32 s20, s18, s20
	v_lshlrev_b32_e32 v6, 1, v61
	v_xor_b32_e32 v84, v12, v10
	v_lshrrev_b32_e32 v12, 4, v0
	s_addc_u32 s21, s19, s21
	v_or_b32_e32 v7, 1, v6
	v_mov_b32_e32 v16, 0x4000
	v_mov_b32_e32 v17, 0x2000
	v_xor_b32_e32 v13, v12, v6
	v_xor_b32_e32 v14, v7, v12
	v_lshl_add_u64 v[6:7], s[20:21], 0, v[52:53]
	v_lshlrev_b32_e32 v52, 8, v12
	v_cndmask_b32_e32 v16, v16, v17, vcc
	v_lshlrev_b32_e32 v17, 3, v59
	v_and_b32_e32 v9, 24, v9
	v_lshl_or_b32 v88, v13, 3, v52
	v_and_b32_e32 v13, 8, v0
	v_xor_b32_e32 v34, v17, v9
	v_or_b32_e32 v35, 0x440, v34
	v_cmp_eq_u32_e32 vcc, 0, v13
	v_and_b32_e32 v12, 7, v0
	v_xor_b32_e32 v80, v8, v10
	v_cndmask_b32_e32 v13, v35, v34, vcc
	v_lshlrev_b32_e32 v8, 7, v60
	v_lshl_or_b32 v89, v14, 3, v52
	v_lshlrev_b32_e32 v14, 3, v12
	v_lshlrev_b32_e32 v12, 7, v12
	;; [unrolled: 1-line block ×3, first 2 shown]
	v_or_b32_e32 v13, v13, v5
	v_or_b32_e32 v11, v8, v38
	v_xad_u32 v90, v13, v14, v12
	v_and_or_b32 v8, v15, 60, v8
	v_mov_b32_e32 v13, 0xb000
	v_lshl_or_b32 v91, v8, 1, v13
	v_or_b32_e32 v8, 32, v9
	v_xor_b32_e32 v8, v17, v8
	v_or_b32_e32 v13, 0x440, v8
	v_cndmask_b32_e32 v8, v13, v8, vcc
	v_or_b32_e32 v8, v8, v5
	v_xad_u32 v92, v8, v14, v12
	v_or_b32_e32 v8, 64, v9
	v_xor_b32_e32 v8, v17, v8
	v_xor_b32_e32 v13, 0x440, v8
	v_cndmask_b32_e32 v8, v13, v8, vcc
	v_or_b32_e32 v8, v8, v5
	v_xad_u32 v93, v8, v14, v12
	v_or_b32_e32 v8, 0x60, v9
	v_xor_b32_e32 v8, v17, v8
	v_xor_b32_e32 v9, 0x440, v8
	v_cndmask_b32_e32 v8, v9, v8, vcc
	v_lshlrev_b32_e32 v11, 1, v11
	v_or_b32_e32 v5, v8, v5
	v_or_b32_e32 v81, 0xa000, v11
	;; [unrolled: 1-line block ×3, first 2 shown]
	v_xor_b32_e32 v85, v4, v10
	v_or_b32_e32 v86, 0xb000, v11
	v_or_b32_e32 v87, 0xb080, v11
	v_lshlrev_b32_e32 v4, 7, v64
	v_lshlrev_b32_e32 v10, 1, v3
	v_add_lshl_u32 v3, v3, s15, 1
	v_or_b32_e32 v11, 0x100, v2
	v_xad_u32 v94, v5, v14, v12
	v_cndmask_b32_e64 v95, v10, v2, s[0:1]
	v_cndmask_b32_e64 v96, v3, v11, s[0:1]
	v_lshl_add_u64 v[56:57], v[6:7], 0, v[52:53]
	v_lshlrev_b32_e32 v52, 1, v4
	v_add_u32_e32 v51, v16, v90
	v_add_u32_e32 v97, v16, v92
	;; [unrolled: 1-line block ×4, first 2 shown]
	v_mov_b64_e32 v[2:3], v[18:19]
	s_mov_b32 s3, 0x7060302
	v_mov_b64_e32 v[4:5], v[20:21]
	v_mov_b64_e32 v[6:7], v[22:23]
	v_mov_b64_e32 v[8:9], v[24:25]
	v_mov_b64_e32 v[10:11], v[26:27]
	v_mov_b64_e32 v[12:13], v[28:29]
	v_mov_b64_e32 v[14:15], v[30:31]
	v_mov_b64_e32 v[16:17], v[32:33]
	s_waitcnt lgkmcnt(0)
	s_barrier
	s_branch .LBB292_7
.LBB292_6:                              ;   in Loop: Header=BB292_7 Depth=1
	s_waitcnt vmcnt(2)
	v_exp_f32_e32 v34, s20
	v_accvgpr_read_b32 v21, a7
	v_accvgpr_read_b32 v19, a5
	;; [unrolled: 1-line block ×16, first 2 shown]
	v_fma_f32 v18, v2, v34, v18
	v_fma_f32 v19, v3, v34, v19
	v_fma_f32 v20, v4, v34, v20
	v_fmac_f32_e32 v21, v5, v34
	v_fma_f32 v26, v10, v34, v26
	v_fma_f32 v27, v11, v34, v27
	v_fma_f32 v28, v12, v34, v28
	v_fmac_f32_e32 v29, v13, v34
	;; [unrolled: 4-line block ×4, first 2 shown]
	s_add_i32 s53, s53, 64
	v_mov_b64_e32 v[2:3], v[18:19]
	s_cmp_eq_u32 s46, s37
	s_mov_b32 s58, s37
	v_mov_b64_e32 v[4:5], v[20:21]
	v_mov_b64_e32 v[6:7], v[22:23]
	;; [unrolled: 1-line block ×7, first 2 shown]
	s_cbranch_scc1 .LBB292_17
.LBB292_7:                              ; =>This Inner Loop Header: Depth=1
	s_add_i32 s37, s58, 1
	s_cmp_lt_i32 s37, s46
	s_mov_b64 s[24:25], 0
	s_cselect_b64 s[38:39], -1, 0
	s_cmp_ge_i32 s37, s46
	s_mov_b64 s[20:21], 0
	s_cbranch_scc1 .LBB292_9
; %bb.8:                                ;   in Loop: Header=BB292_7 Depth=1
	s_add_i32 s0, s53, 64
	s_ashr_i32 s1, s0, 31
	s_add_u32 s0, s51, s0
	s_addc_u32 s1, s50, s1
	s_lshl_b64 s[0:1], s[0:1], 8
	s_add_u32 s20, s6, s0
	s_addc_u32 s21, s7, s1
.LBB292_9:                              ;   in Loop: Header=BB292_7 Depth=1
	v_cndmask_b32_e64 v18, 0, 1, s[38:39]
	v_cmp_ne_u32_e64 s[0:1], 1, v18
	s_andn2_b64 vcc, exec, s[38:39]
	s_cbranch_vccnz .LBB292_11
; %bb.10:                               ;   in Loop: Header=BB292_7 Depth=1
	s_add_i32 s24, s53, 64
	s_mul_hi_i32 s25, s24, s14
	s_mul_i32 s24, s24, s14
	s_add_u32 s24, s24, s49
	s_addc_u32 s25, s25, s54
	s_lshl_b64 s[24:25], s[24:25], 8
	s_add_u32 s24, s4, s24
	s_addc_u32 s25, s5, s25
.LBB292_11:                             ;   in Loop: Header=BB292_7 Depth=1
	v_perm_b32 v19, v5, v4, s3
	v_perm_b32 v18, v3, v2, s3
	v_perm_b32 v21, v9, v8, s3
	v_perm_b32 v20, v7, v6, s3
	ds_write_b64 v72, v[18:19]
	ds_write_b64 v73, v[20:21]
	;; [unrolled: 1-line block ×4, first 2 shown]
	v_perm_b32 v19, v13, v12, s3
	v_perm_b32 v18, v11, v10, s3
	;; [unrolled: 1-line block ×4, first 2 shown]
	ds_write_b64 v74, v[18:19]
	ds_write_b64 v75, v[20:21]
	;; [unrolled: 1-line block ×4, first 2 shown]
	s_waitcnt lgkmcnt(0)
	s_barrier
	ds_read_b64 v[22:23], v80 offset:24576
	ds_read2_b64 v[18:21], v81 offset1:16
	ds_read_b64 v[26:27], v83 offset:3072
	ds_read_b64 v[28:29], v81 offset:3072
	ds_read_b64 v[30:31], v82 offset:24576
	s_waitcnt lgkmcnt(3)
	v_mfma_f32_16x16x16_bf16 a[0:3], v[22:23], v[18:19], 0
	s_add_i32 s27, s53, 63
	s_ashr_i32 s38, s27, 31
	s_mul_i32 s39, s27, s29
	v_mfma_f32_16x16x16_bf16 a[4:7], v[22:23], v[20:21], 0
	ds_read2st64_b64 v[18:21], v81 offset0:2 offset1:4
	s_mul_hi_u32 s59, s27, s28
	s_add_i32 s39, s59, s39
	s_waitcnt lgkmcnt(0)
	v_mfma_f32_16x16x16_bf16 a[0:3], v[30:31], v[18:19], a[0:3]
	ds_read2st64_b64 v[22:25], v83 offset0:2 offset1:4
	ds_read_b64 v[18:19], v84 offset:24576
	s_mul_i32 s38, s38, s28
	s_add_i32 s39, s39, s38
	s_waitcnt lgkmcnt(1)
	v_mfma_f32_16x16x16_bf16 a[4:7], v[30:31], v[22:23], a[4:7]
	ds_read_b64 v[22:23], v85 offset:24576
	s_mul_i32 s38, s27, s28
	s_lshl_b64 s[38:39], s[38:39], 2
	s_waitcnt lgkmcnt(1)
	v_mfma_f32_16x16x16_bf16 a[0:3], v[18:19], v[20:21], a[0:3]
	s_add_u32 s38, s16, s38
	s_addc_u32 s39, s17, s39
	s_and_b64 vcc, exec, s[0:1]
	v_mfma_f32_16x16x16_bf16 a[4:7], v[18:19], v[24:25], a[4:7]
	v_mov_b32_e32 v102, 0
	v_mov_b32_e32 v101, 0
	;; [unrolled: 1-line block ×3, first 2 shown]
	s_waitcnt lgkmcnt(0)
	v_mfma_f32_16x16x16_bf16 a[0:3], v[22:23], v[28:29], a[0:3]
	v_mov_b32_e32 v18, 0
	v_mov_b32_e32 v19, 0
	;; [unrolled: 1-line block ×3, first 2 shown]
	v_mfma_f32_16x16x16_bf16 a[4:7], v[22:23], v[26:27], a[4:7]
	v_mov_b32_e32 v21, 0
	v_mov_b32_e32 v22, 0
	;; [unrolled: 1-line block ×13, first 2 shown]
	s_cbranch_vccnz .LBB292_13
; %bb.12:                               ;   in Loop: Header=BB292_7 Depth=1
	s_and_b32 s21, s21, 0xffff
	buffer_load_dwordx4 v[30:33], v68, s[20:23], 0 offen
	buffer_load_dwordx4 v[26:29], v68, s[20:23], s55 offen
	;; [unrolled: 1-line block ×4, first 2 shown]
	v_mov_b32_e32 v101, v70
	v_mov_b32_e32 v100, v71
.LBB292_13:                             ;   in Loop: Header=BB292_7 Depth=1
	ds_read_b64 v[38:39], v80 offset:32768
	ds_read2_b64 v[34:37], v86 offset1:16
	ds_read_b64 v[42:43], v82 offset:32768
	ds_read_b64 v[44:45], v84 offset:32768
	ds_read_b64 v[46:47], v85 offset:32768
	v_add_u32_e32 v103, s53, v64
	s_waitcnt lgkmcnt(3)
	v_mfma_f32_16x16x16_bf16 a[0:3], v[38:39], v[34:35], a[0:3]
	v_mfma_f32_16x16x16_bf16 a[4:7], v[38:39], v[36:37], a[4:7]
	ds_read2st64_b64 v[34:37], v86 offset0:2 offset1:4
	ds_read2st64_b64 v[38:41], v87 offset0:2 offset1:4
	s_waitcnt lgkmcnt(1)
	v_mfma_f32_16x16x16_bf16 a[0:3], v[42:43], v[34:35], a[0:3]
	ds_read_b64 v[34:35], v86 offset:3072
	ds_read_b64 v[48:49], v87 offset:3072
	s_waitcnt lgkmcnt(2)
	v_mfma_f32_16x16x16_bf16 a[4:7], v[42:43], v[38:39], a[4:7]
	v_ashrrev_i32_e32 v38, 31, v103
	v_mul_lo_u32 v39, v103, s29
	v_mul_lo_u32 v38, v38, s28
	v_mfma_f32_16x16x16_bf16 a[0:3], v[44:45], v[36:37], a[0:3]
	v_mad_u64_u32 v[36:37], s[20:21], v103, s28, 0
	v_add3_u32 v37, v37, v39, v38
	v_add_u32_e32 v38, 1, v103
	v_ashrrev_i32_e32 v39, 31, v38
	v_mfma_f32_16x16x16_bf16 a[4:7], v[44:45], v[40:41], a[4:7]
	v_mul_lo_u32 v39, v39, s28
	v_mul_lo_u32 v40, v38, s29
	v_lshl_add_u64 v[36:37], v[36:37], 2, s[16:17]
	s_waitcnt lgkmcnt(1)
	v_mfma_f32_16x16x16_bf16 a[0:3], v[46:47], v[34:35], a[0:3]
	v_mad_u64_u32 v[34:35], s[20:21], v38, s28, 0
	v_add_u32_e32 v38, 2, v103
	v_add3_u32 v35, v35, v40, v39
	v_ashrrev_i32_e32 v39, 31, v38
	v_mul_lo_u32 v40, v39, s28
	v_mul_lo_u32 v41, v38, s29
	v_mad_u64_u32 v[38:39], s[20:21], v38, s28, 0
	v_add3_u32 v39, v39, v41, v40
	v_add_u32_e32 v40, 3, v103
	v_ashrrev_i32_e32 v41, 31, v40
	v_mul_lo_u32 v42, v41, s28
	v_mul_lo_u32 v43, v40, s29
	v_mad_u64_u32 v[40:41], s[20:21], v40, s28, 0
	v_add3_u32 v41, v41, v43, v42
	v_lshl_add_u64 v[40:41], v[40:41], 2, s[16:17]
	s_ashr_i32 s21, s53, 31
	v_lshl_add_u64 v[34:35], v[34:35], 2, s[16:17]
	v_lshl_add_u64 v[38:39], v[38:39], 2, s[16:17]
	global_load_dword v42, v[36:37], off
	global_load_dword v43, v[34:35], off
	;; [unrolled: 1-line block ×3, first 2 shown]
	s_nop 0
	global_load_dword v41, v[40:41], off
	s_add_u32 s20, s51, s53
	s_addc_u32 s21, s50, s21
	s_lshl_b64 s[20:21], s[20:21], 8
	v_lshl_add_u64 v[34:35], v[54:55], 0, s[20:21]
	v_lshl_add_u64 v[34:35], v[34:35], 0, v[52:53]
	global_load_ushort v45, v[34:35], off
	global_load_ushort v103, v[34:35], off offset:256
	global_load_ushort v104, v[34:35], off offset:800
	global_load_ushort v105, v[34:35], off offset:768
	global_load_ushort v106, v[34:35], off offset:544
	global_load_ushort v107, v[34:35], off offset:512
	global_load_ushort v108, v[34:35], off offset:288
	global_load_ushort v109, v[34:35], off offset:32
	s_load_dword s20, s[38:39], 0x0
	s_waitcnt lgkmcnt(0)
	v_mfma_f32_16x16x16_bf16 a[4:7], v[46:47], v[48:49], a[4:7]
	v_accvgpr_read_b32 v39, a1
	v_accvgpr_read_b32 v35, a3
	;; [unrolled: 1-line block ×4, first 2 shown]
	s_and_b64 vcc, exec, s[0:1]
	s_waitcnt vmcnt(11)
	v_sub_f32_e32 v40, s20, v42
	s_waitcnt vmcnt(10)
	v_sub_f32_e32 v48, s20, v43
	s_waitcnt vmcnt(9)
	v_sub_f32_e32 v49, s20, v44
	s_waitcnt vmcnt(8)
	v_sub_f32_e32 v110, s20, v41
	v_exp_f32_e32 v40, v40
	v_exp_f32_e32 v41, v48
	;; [unrolled: 1-line block ×4, first 2 shown]
	s_waitcnt vmcnt(6)
	v_lshlrev_b32_e32 v43, 16, v103
	v_lshlrev_b32_e32 v42, 16, v45
	s_waitcnt vmcnt(4)
	v_lshlrev_b32_e32 v45, 16, v105
	s_waitcnt vmcnt(2)
	v_lshlrev_b32_e32 v44, 16, v107
	v_pk_add_f32 v[38:39], v[42:43], v[38:39] neg_lo:[0,1] neg_hi:[0,1]
	v_pk_add_f32 v[34:35], v[44:45], v[34:35] neg_lo:[0,1] neg_hi:[0,1]
	v_pk_mul_f32 v[38:39], v[40:41], v[38:39]
	v_pk_mul_f32 v[34:35], v[48:49], v[34:35]
	s_waitcnt vmcnt(1)
	v_lshlrev_b32_e32 v47, 16, v108
	v_perm_b32 v35, v35, v34, s3
	v_perm_b32 v34, v39, v38, s3
	v_accvgpr_read_b32 v39, a5
	s_waitcnt vmcnt(0)
	v_lshlrev_b32_e32 v46, 16, v109
	v_accvgpr_read_b32 v38, a4
	v_pk_add_f32 v[38:39], v[46:47], v[38:39] neg_lo:[0,1] neg_hi:[0,1]
	v_accvgpr_read_b32 v37, a7
	v_accvgpr_read_b32 v36, a6
	v_pk_mul_f32 v[38:39], v[40:41], v[38:39]
	v_lshlrev_b32_e32 v41, 16, v104
	v_lshlrev_b32_e32 v40, 16, v106
	v_pk_add_f32 v[36:37], v[40:41], v[36:37] neg_lo:[0,1] neg_hi:[0,1]
	v_mov_b32_e32 v103, 0
	v_pk_mul_f32 v[36:37], v[48:49], v[36:37]
	v_mov_b32_e32 v40, 0
	v_perm_b32 v37, v37, v36, s3
	v_perm_b32 v36, v39, v38, s3
	ds_write2_b64 v73, v[34:35], v[36:37] offset1:16
	v_mov_b32_e32 v34, 0
	v_mov_b32_e32 v35, 0
	;; [unrolled: 1-line block ×15, first 2 shown]
	s_cbranch_vccnz .LBB292_15
; %bb.14:                               ;   in Loop: Header=BB292_7 Depth=1
	s_and_b32 s25, s25, 0xffff
	s_mov_b32 s27, s23
	buffer_load_dwordx4 v[46:49], v95, s[24:27], 0 offen
	buffer_load_dwordx4 v[38:41], v95, s[24:27], s55 offen
	;; [unrolled: 1-line block ×4, first 2 shown]
	v_mov_b32_e32 v102, v67
	v_mov_b32_e32 v103, v66
.LBB292_15:                             ;   in Loop: Header=BB292_7 Depth=1
	s_waitcnt lgkmcnt(0)
	s_barrier
	ds_read_b64 v[108:109], v51
	ds_read_b64 v[116:117], v91
	;; [unrolled: 1-line block ×5, first 2 shown]
	ds_read_b64 v[122:123], v92 offset:16384
	ds_read_b64 v[124:125], v90 offset:16384
	ds_read2_b64 v[104:107], v86 offset0:16 offset1:128
	s_waitcnt lgkmcnt(6)
	v_mfma_f32_16x16x16_bf16 a[0:3], v[108:109], v[116:117], 0
	ds_read_b64 v[126:127], v87 offset:3072
	ds_read_b64 v[128:129], v94 offset:16384
	s_add_i32 s21, s52, s58
	s_waitcnt lgkmcnt(2)
	v_mfma_f32_16x16x16_bf16 a[4:7], v[108:109], v[104:105], 0
	ds_read2st64_b64 v[108:111], v87 offset0:2 offset1:4
	s_mul_hi_i32 s25, s21, s13
	s_mul_i32 s21, s21, s13
	v_mfma_f32_16x16x16_bf16 a[0:3], v[112:113], v[106:107], a[0:3]
	s_add_u32 s24, s21, s45
	s_addc_u32 s25, s25, s47
	s_lshl_b64 s[24:25], s[24:25], 15
	s_waitcnt lgkmcnt(0)
	v_mfma_f32_16x16x16_bf16 a[4:7], v[112:113], v[108:109], a[4:7]
	ds_read2st64_b64 v[112:115], v86 offset0:4 offset1:6
	s_waitcnt lgkmcnt(0)
	v_mfma_f32_16x16x16_bf16 a[0:3], v[118:119], v[112:113], a[0:3]
	v_mfma_f32_16x16x16_bf16 a[8:11], v[118:119], v[110:111], a[4:7]
	v_mfma_f32_16x16x16_bf16 a[4:7], v[120:121], v[114:115], a[0:3]
	v_mfma_f32_16x16x16_bf16 a[0:3], v[120:121], v[126:127], a[8:11]
	v_mfma_f32_16x16x16_bf16 a[8:11], v[124:125], v[116:117], 0
	ds_read2st64_b64 v[116:119], v89 offset1:8
	v_mfma_f32_16x16x16_bf16 a[12:15], v[124:125], v[104:105], 0
	ds_read_b64 v[124:125], v93 offset:16384
	v_mfma_f32_16x16x16_bf16 a[8:11], v[122:123], v[106:107], a[8:11]
	ds_read2st64_b64 v[104:107], v88 offset1:8
	s_waitcnt lgkmcnt(0)
	v_mov_b32_e32 v120, v104
	v_mfma_f32_16x16x16_bf16 a[12:15], v[122:123], v[108:109], a[12:15]
	v_lshl_add_u64 v[108:109], v[56:57], 0, s[24:25]
	v_add_co_u32_e32 v104, vcc, s35, v108
	v_mfma_f32_16x16x16_bf16 a[8:11], v[124:125], v[112:113], a[8:11]
	v_mov_b32_e32 v121, v105
	v_addc_co_u32_e32 v105, vcc, 0, v109, vcc
	v_mfma_f32_16x16x16_bf16 a[12:15], v[124:125], v[110:111], a[12:15]
	v_mov_b32_e32 v122, v116
	v_mov_b32_e32 v123, v117
	;; [unrolled: 1-line block ×3, first 2 shown]
	v_mfma_f32_16x16x16_bf16 a[8:11], v[128:129], v[114:115], a[8:11]
	v_mov_b32_e32 v117, v107
	s_and_b64 vcc, exec, s[0:1]
	global_store_dwordx4 v[108:109], v[120:123], off
	v_mfma_f32_16x16x16_bf16 a[12:15], v[128:129], v[126:127], a[12:15]
	global_store_dwordx4 v[104:105], v[116:119], off
	s_cbranch_vccnz .LBB292_6
; %bb.16:                               ;   in Loop: Header=BB292_7 Depth=1
	v_lshrrev_b32_e32 v104, 3, v102
	v_and_b32_e32 v104, 6, v104
	v_xor_b32_e32 v103, v104, v103
	v_lshlrev_b32_e32 v103, 2, v103
	v_and_b32_e32 v102, 8, v102
	v_xor_b32_e32 v105, 0x440, v103
	v_cmp_eq_u32_e32 vcc, 0, v102
	s_barrier
	s_nop 0
	v_cndmask_b32_e32 v102, v105, v103, vcc
	v_lshl_or_b32 v102, v104, 10, v102
	s_waitcnt vmcnt(3)
	v_perm_b32 v103, v46, v42, s56
	s_waitcnt vmcnt(2)
	v_perm_b32 v104, v38, v34, s56
	ds_write2st64_b32 v102, v103, v104 offset0:32 offset1:64
	v_xor_b32_e32 v103, 8, v102
	v_perm_b32 v42, v46, v42, s57
	v_perm_b32 v34, v38, v34, s57
	v_add_u32_e32 v38, 0x80, v103
	ds_write2st64_b32 v38, v42, v34 offset0:32 offset1:64
	v_xor_b32_e32 v34, 16, v102
	v_perm_b32 v38, v47, v43, s56
	v_perm_b32 v42, v39, v35, s56
	ds_write2st64_b32 v34, v38, v42 offset0:33 offset1:65
	v_xor_b32_e32 v34, 24, v102
	v_perm_b32 v38, v47, v43, s57
	v_perm_b32 v35, v39, v35, s57
	v_add_u32_e32 v34, 0x80, v34
	ds_write2st64_b32 v34, v38, v35 offset0:33 offset1:65
	v_xor_b32_e32 v34, 32, v102
	v_perm_b32 v35, v48, v44, s56
	;; [unrolled: 9-line block ×3, first 2 shown]
	v_perm_b32 v36, v41, v37, s56
	ds_write2st64_b32 v34, v35, v36 offset0:35 offset1:67
	v_xor_b32_e32 v34, 56, v102
	v_perm_b32 v35, v49, v45, s57
	v_perm_b32 v36, v41, v37, s57
	v_add_u32_e32 v34, 0x80, v34
	ds_write2st64_b32 v34, v35, v36 offset0:35 offset1:67
	ds_write_b64 v101, v[30:31] offset:24576
	v_xor_b32_e32 v30, 8, v101
	ds_write_b64 v30, v[32:33] offset:24576
	ds_write_b64 v101, v[26:27] offset:32768
	;; [unrolled: 1-line block ×4, first 2 shown]
	v_xor_b32_e32 v22, 8, v100
	ds_write_b64 v22, v[24:25] offset:24576
	ds_write_b64 v100, v[18:19] offset:32768
	;; [unrolled: 1-line block ×3, first 2 shown]
	s_branch .LBB292_6
.LBB292_17:
	s_lshl_b32 s26, s46, 6
	s_sub_i32 s27, s48, s26
	s_cmp_gt_i32 s27, 0
	s_cbranch_scc0 .LBB292_82
; %bb.18:
	s_add_i32 s26, s26, s30
	s_ashr_i32 s3, s26, 31
	s_cmpk_lg_i32 s15, 0x80
	s_cselect_b64 s[22:23], -1, 0
	s_and_b64 vcc, exec, s[22:23]
	s_cbranch_vccz .LBB292_20
; %bb.19:
	s_mul_hi_i32 s0, s26, s14
	s_mul_i32 s1, s26, s14
	s_ashr_i32 s14, s49, 31
	s_add_u32 s24, s1, s49
	s_addc_u32 s25, s0, s14
	s_cbranch_execz .LBB292_21
	s_branch .LBB292_22
.LBB292_20:
                                        ; implicit-def: $sgpr24_sgpr25
.LBB292_21:
	s_mul_i32 s1, s49, s12
	s_mul_hi_i32 s0, s49, s12
	s_add_u32 s24, s1, s26
	s_addc_u32 s25, s0, s3
.LBB292_22:
	s_waitcnt lgkmcnt(0)
	s_add_i32 s12, s46, s52
	s_add_u32 s0, s51, s26
	v_lshlrev_b32_e32 v6, 5, v64
	v_lshlrev_b32_e32 v34, 2, v61
	s_addc_u32 s1, s50, s3
	s_mov_b32 s3, 0x7060302
	v_or_b32_e32 v9, v6, v34
	v_xor_b32_e32 v7, v64, v34
	v_perm_b32 v3, v21, v20, s3
	v_perm_b32 v2, v19, v18, s3
	;; [unrolled: 1-line block ×4, first 2 shown]
	v_lshlrev_b32_e32 v9, 1, v9
	v_xor_b32_e32 v8, v65, v34
	ds_write2st64_b64 v9, v[2:3], v[4:5] offset0:80 offset1:88
	v_lshlrev_b32_e32 v7, 1, v7
	v_lshlrev_b32_e32 v9, 8, v61
	s_lshl_b64 s[20:21], s[0:1], 8
	v_or_b32_e32 v10, v7, v9
	v_lshlrev_b32_e32 v8, 1, v8
	s_add_u32 s0, s6, s20
	ds_write_b64 v10, v[2:3]
	v_or_b32_e32 v2, v8, v9
	s_addc_u32 s1, s7, s21
	ds_write_b64 v2, v[4:5]
	v_perm_b32 v3, v29, v28, s3
	v_perm_b32 v2, v27, v26, s3
	;; [unrolled: 1-line block ×4, first 2 shown]
	v_or_b32_e32 v9, 16, v61
	s_mul_hi_i32 s3, s12, s13
	s_mul_i32 s12, s12, s13
	v_lshlrev_b32_e32 v19, 2, v9
	s_add_u32 s6, s12, s45
	v_or_b32_e32 v6, v6, v19
	s_addc_u32 s7, s3, s47
	v_lshlrev_b32_e32 v6, 1, v6
	s_ashr_i32 s3, s2, 31
	s_lshl_b64 s[6:7], s[6:7], 15
	ds_write2st64_b64 v6, v[2:3], v[4:5] offset0:80 offset1:88
	v_lshlrev_b32_e32 v6, 8, v9
	s_add_u32 s6, s18, s6
	v_or_b32_e32 v7, v7, v6
	s_addc_u32 s7, s19, s7
	s_lshl_b64 s[2:3], s[2:3], 8
	ds_write_b64 v7, v[2:3]
	v_or_b32_e32 v2, v8, v6
	s_add_u32 s2, s6, s2
	ds_write_b64 v2, v[4:5]
	v_lshrrev_b32_e32 v2, 4, v0
	s_addc_u32 s3, s7, s3
	v_lshlrev_b32_e32 v3, 1, v61
	v_lshlrev_b32_e32 v10, 4, v61
	v_mov_b32_e32 v11, 0
	v_or_b32_e32 v4, 1, v3
	v_xor_b32_e32 v3, v2, v3
	v_lshl_add_u64 v[12:13], s[2:3], 0, v[10:11]
	v_lshlrev_b32_e32 v10, 8, v2
	v_xor_b32_e32 v6, v4, v2
	v_lshl_or_b32 v2, v3, 3, v10
	s_waitcnt lgkmcnt(0)
	s_barrier
	ds_read2st64_b64 v[2:5], v2 offset1:8
	v_lshl_or_b32 v6, v6, 3, v10
	ds_read2st64_b64 v[6:9], v6 offset1:8
	v_lshl_add_u64 v[14:15], v[12:13], 0, v[10:11]
	s_movk_i32 s2, 0x1000
	s_waitcnt lgkmcnt(1)
	v_mov_b32_e32 v10, v2
	v_add_co_u32_e32 v2, vcc, s2, v14
	s_cmp_lg_u32 s27, 64
	v_mov_b32_e32 v11, v3
	v_addc_co_u32_e32 v3, vcc, 0, v15, vcc
	s_cselect_b64 s[6:7], -1, 0
	v_lshl_or_b32 v22, v59, 3, v63
	s_waitcnt lgkmcnt(0)
	v_mov_b32_e32 v12, v6
	v_mov_b32_e32 v13, v7
	;; [unrolled: 1-line block ×4, first 2 shown]
	s_mov_b32 s16, 0
	v_or_b32_e32 v20, 32, v22
	v_and_b32_e32 v18, 56, v62
	s_and_b64 vcc, exec, s[6:7]
	global_store_dwordx4 v[14:15], v[10:13], off
	global_store_dwordx4 v[2:3], v[6:9], off
	s_cbranch_vccz .LBB292_28
; %bb.23:
	s_mov_b32 s17, s16
	s_mov_b32 s18, s16
	;; [unrolled: 1-line block ×3, first 2 shown]
	v_mov_b64_e32 v[6:7], s[16:17]
	v_mov_b64_e32 v[8:9], s[18:19]
	;; [unrolled: 1-line block ×3, first 2 shown]
	v_cmp_gt_i32_e32 vcc, s27, v22
	v_mov_b64_e32 v[4:5], v[8:9]
	s_and_saveexec_b64 s[2:3], vcc
	s_cbranch_execz .LBB292_25
; %bb.24:
	v_lshlrev_b32_e32 v2, 8, v22
	v_mov_b32_e32 v3, 0
	v_lshl_add_u64 v[4:5], s[0:1], 0, v[2:3]
	v_lshlrev_b32_e32 v2, 1, v18
	v_lshl_add_u64 v[10:11], v[4:5], 0, v[2:3]
	global_load_dwordx4 v[6:9], v[10:11], off
	global_load_dwordx4 v[2:5], v[10:11], off offset:128
.LBB292_25:
	s_or_b64 exec, exec, s[2:3]
	s_mov_b32 s17, s16
	s_mov_b32 s18, s16
	;; [unrolled: 1-line block ×3, first 2 shown]
	v_mov_b64_e32 v[14:15], s[16:17]
	v_mov_b64_e32 v[16:17], s[18:19]
	;; [unrolled: 1-line block ×3, first 2 shown]
	v_cmp_gt_i32_e32 vcc, s27, v20
	v_lshlrev_b32_e32 v21, 7, v20
	v_mov_b64_e32 v[12:13], v[16:17]
	s_and_saveexec_b64 s[2:3], vcc
	s_cbranch_execz .LBB292_27
; %bb.26:
	v_lshlrev_b32_e32 v10, 1, v21
	v_mov_b32_e32 v11, 0
	v_lshl_add_u64 v[12:13], s[0:1], 0, v[10:11]
	v_lshlrev_b32_e32 v10, 1, v18
	v_lshl_add_u64 v[24:25], v[12:13], 0, v[10:11]
	global_load_dwordx4 v[14:17], v[24:25], off
	global_load_dwordx4 v[10:13], v[24:25], off offset:128
.LBB292_27:
	s_or_b64 exec, exec, s[2:3]
	v_lshrrev_b32_e32 v23, 3, v18
	v_lshlrev_b32_e32 v24, 3, v22
	v_or_b32_e32 v23, v24, v23
	v_lshlrev_b32_e32 v23, 4, v23
	v_and_b32_e32 v24, 0x78, v24
	v_xor_b32_e32 v23, v23, v24
	s_branch .LBB292_30
.LBB292_28:
                                        ; implicit-def: $vgpr23
                                        ; implicit-def: $vgpr21
                                        ; implicit-def: $vgpr6_vgpr7_vgpr8_vgpr9
                                        ; implicit-def: $vgpr2_vgpr3_vgpr4_vgpr5
                                        ; implicit-def: $vgpr14_vgpr15_vgpr16_vgpr17
                                        ; implicit-def: $vgpr10_vgpr11_vgpr12_vgpr13
	s_cbranch_execz .LBB292_30
; %bb.29:
	s_waitcnt vmcnt(0)
	v_lshlrev_b32_e32 v2, 1, v18
	v_lshl_or_b32 v21, v22, 8, v2
	s_and_b32 s1, s1, 0xffff
	s_mov_b32 s3, 0x20000
	s_movk_i32 s2, 0x4000
	v_lshl_or_b32 v23, v20, 8, v2
	s_movk_i32 s12, 0x80
	buffer_load_dwordx4 v[6:9], v21, s[0:3], 0 offen
	buffer_load_dwordx4 v[2:5], v21, s[0:3], s12 offen
	;; [unrolled: 1-line block ×4, first 2 shown]
	v_lshrrev_b32_e32 v21, 3, v18
	v_lshlrev_b32_e32 v23, 3, v22
	v_or_b32_e32 v21, v23, v21
	v_lshlrev_b32_e32 v21, 4, v21
	v_and_b32_e32 v23, 0x78, v23
	v_xor_b32_e32 v23, v21, v23
	v_lshlrev_b32_e32 v21, 7, v20
.LBB292_30:
	s_lshl_b64 s[0:1], s[24:25], 8
	s_add_u32 s4, s4, s0
	s_movk_i32 s0, 0x1000
	v_and_or_b32 v20, v21, s0, v23
	s_waitcnt vmcnt(1)
	ds_write_b64 v23, v[6:7] offset:24576
	v_xor_b32_e32 v6, 8, v23
	ds_write_b64 v6, v[8:9] offset:24576
	s_waitcnt vmcnt(0)
	ds_write_b64 v23, v[2:3] offset:32768
	ds_write_b64 v6, v[4:5] offset:32768
	;; [unrolled: 1-line block ×3, first 2 shown]
	v_xor_b32_e32 v2, 8, v20
	ds_write_b64 v2, v[16:17] offset:24576
	ds_write_b64 v20, v[10:11] offset:32768
	;; [unrolled: 1-line block ×3, first 2 shown]
	v_or_b32_e32 v2, v1, v61
	v_lshlrev_b32_e32 v3, 11, v59
	v_lshlrev_b32_e32 v2, 3, v2
	v_and_b32_e32 v6, 0x1000, v3
	v_lshrrev_b32_e32 v3, 5, v58
	s_movk_i32 s3, 0xf8
	v_and_or_b32 v3, v2, s3, v3
	v_lshlrev_b32_e32 v7, 4, v3
	v_and_b32_e32 v8, 0x78, v2
	v_or_b32_e32 v10, 32, v7
	v_lshrrev_b32_e32 v3, 1, v58
	v_xor_b32_e32 v10, v10, v8
	v_xor_b32_e32 v2, v7, v8
	v_and_b32_e32 v9, 8, v3
	v_or_b32_e32 v10, v10, v6
	v_or_b32_e32 v2, v2, v6
	v_xor_b32_e32 v25, v10, v9
	v_or_b32_e32 v10, 64, v7
	v_xor_b32_e32 v24, v2, v9
	v_xor_b32_e32 v10, v10, v8
	s_waitcnt lgkmcnt(0)
	s_barrier
	v_or_b32_e32 v12, v10, v6
	ds_read_b64 v[10:11], v24 offset:24576
	v_lshl_or_b32 v20, v60, 7, v34
	v_lshlrev_b32_e32 v23, 1, v20
	v_add_u32_e32 v2, 0xa000, v23
	ds_read2_b64 v[2:5], v2 offset1:16
	v_or_b32_e32 v7, 0x60, v7
	v_xor_b32_e32 v7, v7, v8
	s_waitcnt lgkmcnt(0)
	v_mfma_f32_16x16x16_bf16 a[0:3], v[10:11], v[2:3], 0
	v_or_b32_e32 v2, 64, v20
	v_or_b32_e32 v6, v7, v6
	v_lshlrev_b32_e32 v28, 1, v2
	v_xor_b32_e32 v26, v12, v9
	v_xor_b32_e32 v27, v6, v9
	ds_read_b64 v[12:13], v25 offset:24576
	ds_read_b64 v[14:15], v26 offset:24576
	;; [unrolled: 1-line block ×3, first 2 shown]
	v_mfma_f32_16x16x16_bf16 a[4:7], v[10:11], v[4:5], 0
	ds_read2st64_b64 v[2:5], v28 offset0:82 offset1:84
	ds_read2st64_b64 v[6:9], v23 offset0:82 offset1:84
	s_addc_u32 s5, s5, s1
	s_add_i32 s1, s40, s33
	s_add_i32 s0, s31, -1
	s_add_i32 s35, s1, s41
	s_add_i32 s1, s43, s42
	;; [unrolled: 1-line block ×3, first 2 shown]
	s_ashr_i32 s1, s0, 31
	s_mul_i32 s2, s0, s29
	s_mul_hi_u32 s3, s0, s28
	s_add_i32 s2, s3, s2
	s_mul_i32 s1, s1, s28
	s_waitcnt lgkmcnt(1)
	v_mfma_f32_16x16x16_bf16 a[4:7], v[12:13], v[2:3], a[4:7]
	s_add_i32 s1, s2, s1
	s_lshl_b64 s[2:3], s[34:35], 2
	s_add_u32 s10, s10, s2
	s_waitcnt lgkmcnt(0)
	v_mfma_f32_16x16x16_bf16 a[0:3], v[12:13], v[6:7], a[0:3]
	s_addc_u32 s11, s11, s3
	s_lshl_b64 s[2:3], s[36:37], 2
	s_mul_i32 s0, s0, s28
	s_add_u32 s10, s10, s2
	ds_read_b64 v[2:3], v23 offset:44032
	v_mfma_f32_16x16x16_bf16 a[4:7], v[14:15], v[4:5], a[4:7]
	ds_read_b64 v[4:5], v28 offset:44032
	s_addc_u32 s11, s11, s3
	s_lshl_b64 s[0:1], s[0:1], 2
	v_mfma_f32_16x16x16_bf16 a[0:3], v[14:15], v[8:9], a[0:3]
	s_add_u32 s0, s10, s0
	s_addc_u32 s1, s11, s1
	s_load_dword s12, s[0:1], 0x0
	s_waitcnt lgkmcnt(0)
	v_mfma_f32_16x16x16_bf16 a[0:3], v[16:17], v[2:3], a[0:3]
	s_and_b64 vcc, exec, s[22:23]
	v_mfma_f32_16x16x16_bf16 a[4:7], v[16:17], v[4:5], a[4:7]
	s_cbranch_vccz .LBB292_41
; %bb.31:
	v_lshlrev_b32_e32 v20, 1, v22
	s_and_b64 vcc, exec, s[6:7]
	s_cbranch_vccz .LBB292_42
; %bb.32:
	v_cmp_gt_i32_e32 vcc, s27, v20
	v_mov_b32_e32 v6, 0
	v_mov_b32_e32 v2, 0
	;; [unrolled: 1-line block ×5, first 2 shown]
	s_and_saveexec_b64 s[0:1], vcc
	s_cbranch_execz .LBB292_34
; %bb.33:
	v_mad_i64_i32 v[2:3], s[2:3], s15, v20, 0
	v_lshl_add_u64 v[2:3], v[2:3], 1, s[4:5]
	v_lshlrev_b32_e32 v4, 1, v18
	v_mov_b32_e32 v5, 0
	v_lshl_add_u64 v[2:3], v[2:3], 0, v[4:5]
	global_load_dwordx4 v[2:5], v[2:3], off
.LBB292_34:
	s_or_b64 exec, exec, s[0:1]
	v_or_b32_e32 v21, 1, v20
	v_cmp_gt_i32_e64 s[0:1], s27, v21
	v_mov_b32_e32 v7, 0
	v_mov_b32_e32 v8, 0
	v_mov_b32_e32 v9, 0
	s_and_saveexec_b64 s[2:3], s[0:1]
	s_cbranch_execz .LBB292_36
; %bb.35:
	v_mad_i64_i32 v[6:7], s[16:17], s15, v21, 0
	v_lshl_add_u64 v[6:7], v[6:7], 1, s[4:5]
	v_lshlrev_b32_e32 v8, 1, v18
	v_mov_b32_e32 v9, 0
	v_lshl_add_u64 v[6:7], v[6:7], 0, v[8:9]
	global_load_dwordx4 v[6:9], v[6:7], off
.LBB292_36:
	s_or_b64 exec, exec, s[2:3]
	v_mov_b32_e32 v17, 0
	v_mov_b32_e32 v10, 0
	;; [unrolled: 1-line block ×5, first 2 shown]
	s_and_saveexec_b64 s[2:3], vcc
	s_cbranch_execz .LBB292_38
; %bb.37:
	v_mad_i64_i32 v[10:11], s[16:17], s15, v20, 0
	v_lshl_add_u64 v[10:11], v[10:11], 1, s[4:5]
	v_lshlrev_b32_e32 v12, 1, v18
	v_mov_b32_e32 v13, 0
	v_lshl_add_u64 v[10:11], v[10:11], 0, v[12:13]
	global_load_dwordx4 v[10:13], v[10:11], off offset:128
.LBB292_38:
	s_or_b64 exec, exec, s[2:3]
	v_mov_b32_e32 v16, 0
	v_mov_b32_e32 v15, 0
	;; [unrolled: 1-line block ×3, first 2 shown]
	s_and_saveexec_b64 s[2:3], s[0:1]
	s_cbranch_execz .LBB292_40
; %bb.39:
	v_mad_i64_i32 v[14:15], s[0:1], s15, v21, 0
	v_lshl_add_u64 v[14:15], v[14:15], 1, s[4:5]
	v_lshlrev_b32_e32 v16, 1, v18
	v_mov_b32_e32 v17, 0
	v_lshl_add_u64 v[14:15], v[14:15], 0, v[16:17]
	global_load_dwordx4 v[14:17], v[14:15], off offset:128
.LBB292_40:
	s_or_b64 exec, exec, s[2:3]
	s_branch .LBB292_44
.LBB292_41:
                                        ; implicit-def: $vgpr5
                                        ; implicit-def: $vgpr9
                                        ; implicit-def: $vgpr13
                                        ; implicit-def: $vgpr17
	v_lshrrev_b32_e32 v29, 2, v58
	s_branch .LBB292_45
.LBB292_42:
                                        ; implicit-def: $vgpr5
                                        ; implicit-def: $vgpr9
                                        ; implicit-def: $vgpr13
                                        ; implicit-def: $vgpr17
	s_cbranch_execz .LBB292_44
; %bb.43:
	s_waitcnt vmcnt(0)
	v_mad_u64_u32 v[2:3], s[0:1], v20, s15, v[18:19]
	v_lshlrev_b32_e32 v20, 1, v2
	s_lshl_b32 s2, s15, 7
	s_and_b32 s1, s5, 0xffff
	s_mov_b32 s3, 0x20000
	s_mov_b32 s0, s4
	v_add_lshl_u32 v21, v2, s15, 1
	s_movk_i32 s13, 0x80
	buffer_load_dwordx4 v[2:5], v20, s[0:3], 0 offen
	buffer_load_dwordx4 v[10:13], v20, s[0:3], s13 offen
	;; [unrolled: 1-line block ×4, first 2 shown]
.LBB292_44:
	v_lshrrev_b32_e32 v29, 2, v58
	s_cbranch_execnz .LBB292_57
.LBB292_45:
	s_and_b64 vcc, exec, s[6:7]
	s_cbranch_vccz .LBB292_55
; %bb.46:
	s_waitcnt vmcnt(0)
	v_lshlrev_b32_e32 v7, 1, v22
	v_cmp_gt_i32_e32 vcc, s27, v7
	v_mov_b32_e32 v6, 0
	v_lshlrev_b32_e32 v14, 9, v22
	v_mov_b32_e32 v2, 0
	v_mov_b32_e32 v3, 0
	;; [unrolled: 1-line block ×4, first 2 shown]
	s_and_saveexec_b64 s[0:1], vcc
	s_cbranch_execz .LBB292_48
; %bb.47:
	v_mov_b32_e32 v15, 0
	v_lshl_add_u64 v[2:3], s[4:5], 0, v[14:15]
	v_lshlrev_b32_e32 v4, 1, v18
	v_mov_b32_e32 v5, v15
	v_lshl_add_u64 v[2:3], v[2:3], 0, v[4:5]
	global_load_dwordx4 v[2:5], v[2:3], off
.LBB292_48:
	s_or_b64 exec, exec, s[0:1]
	v_or_b32_e32 v7, 1, v7
	v_cmp_gt_i32_e64 s[0:1], s27, v7
	v_lshlrev_b32_e32 v20, 8, v7
	v_mov_b32_e32 v7, 0
	v_mov_b32_e32 v8, 0
	v_mov_b32_e32 v9, 0
	s_and_saveexec_b64 s[2:3], s[0:1]
	s_cbranch_execz .LBB292_50
; %bb.49:
	v_mov_b32_e32 v21, 0
	v_lshl_add_u64 v[6:7], s[4:5], 0, v[20:21]
	v_lshlrev_b32_e32 v8, 1, v18
	v_mov_b32_e32 v9, v21
	v_lshl_add_u64 v[6:7], v[6:7], 0, v[8:9]
	global_load_dwordx4 v[6:9], v[6:7], off
.LBB292_50:
	s_or_b64 exec, exec, s[2:3]
	v_mov_b32_e32 v17, 0
	v_mov_b32_e32 v10, 0
	;; [unrolled: 1-line block ×5, first 2 shown]
	s_and_saveexec_b64 s[2:3], vcc
	s_cbranch_execz .LBB292_52
; %bb.51:
	v_mov_b32_e32 v15, 0
	v_lshl_add_u64 v[10:11], s[4:5], 0, v[14:15]
	v_lshlrev_b32_e32 v14, 1, v18
	v_lshl_add_u64 v[10:11], v[10:11], 0, v[14:15]
	global_load_dwordx4 v[10:13], v[10:11], off offset:128
.LBB292_52:
	s_or_b64 exec, exec, s[2:3]
	v_mov_b32_e32 v16, 0
	v_mov_b32_e32 v15, 0
	;; [unrolled: 1-line block ×3, first 2 shown]
	s_and_saveexec_b64 s[2:3], s[0:1]
	s_cbranch_execz .LBB292_54
; %bb.53:
	v_mov_b32_e32 v21, 0
	v_lshl_add_u64 v[14:15], s[4:5], 0, v[20:21]
	v_lshlrev_b32_e32 v20, 1, v18
	v_lshl_add_u64 v[14:15], v[14:15], 0, v[20:21]
	global_load_dwordx4 v[14:17], v[14:15], off offset:128
.LBB292_54:
	s_or_b64 exec, exec, s[2:3]
	s_branch .LBB292_57
.LBB292_55:
                                        ; implicit-def: $vgpr5
                                        ; implicit-def: $vgpr9
                                        ; implicit-def: $vgpr13
                                        ; implicit-def: $vgpr17
	s_cbranch_execz .LBB292_57
; %bb.56:
	s_waitcnt vmcnt(0)
	v_lshlrev_b32_e32 v2, 1, v18
	v_lshl_or_b32 v18, v22, 9, v2
	s_and_b32 s5, s5, 0xffff
	s_mov_b32 s7, 0x20000
	s_movk_i32 s6, 0x4000
	s_movk_i32 s0, 0x80
	buffer_load_dwordx4 v[2:5], v18, s[4:7], 0 offen
	buffer_load_dwordx4 v[6:9], v18, s[4:7], 0 offen offset:256
	buffer_load_dwordx4 v[10:13], v18, s[4:7], s0 offen
	buffer_load_dwordx4 v[14:17], v18, s[4:7], s0 offen offset:256
.LBB292_57:
	ds_read_b64 v[20:21], v24 offset:32768
	v_add_u32_e32 v18, 0xb000, v23
	ds_read2_b64 v[30:33], v18 offset1:16
	ds_read_b64 v[36:37], v25 offset:32768
	ds_read_b64 v[38:39], v26 offset:32768
	;; [unrolled: 1-line block ×3, first 2 shown]
	v_and_b32_e32 v18, 6, v0
	v_xor_b32_e32 v22, v22, v18
	v_lshlrev_b32_e32 v22, 2, v22
	v_and_b32_e32 v0, 1, v0
	v_cmp_eq_u32_e32 vcc, 0, v0
	s_mov_b32 s0, 0x1000504
	s_waitcnt lgkmcnt(3)
	v_mfma_f32_16x16x16_bf16 a[0:3], v[20:21], v[30:31], a[0:3]
	s_mov_b32 s1, 0x3020706
	v_mfma_f32_16x16x16_bf16 a[4:7], v[20:21], v[32:33], a[4:7]
	ds_read2st64_b64 v[24:27], v23 offset0:90 offset1:92
	ds_read2st64_b64 v[30:33], v28 offset0:90 offset1:92
	s_waitcnt lgkmcnt(1)
	v_mfma_f32_16x16x16_bf16 a[0:3], v[36:37], v[24:25], a[0:3]
	ds_read_b64 v[20:21], v23 offset:48128
	ds_read_b64 v[24:25], v28 offset:48128
	v_xor_b32_e32 v23, 0x440, v22
	v_cndmask_b32_e32 v0, v23, v22, vcc
	s_waitcnt lgkmcnt(2)
	v_mfma_f32_16x16x16_bf16 a[4:7], v[36:37], v[30:31], a[4:7]
	v_lshl_or_b32 v0, v18, 10, v0
	s_waitcnt vmcnt(0)
	v_perm_b32 v18, v2, v6, s0
	v_perm_b32 v2, v2, v6, s1
	v_mfma_f32_16x16x16_bf16 a[0:3], v[38:39], v[26:27], a[0:3]
	v_perm_b32 v6, v10, v14, s1
	v_mfma_f32_16x16x16_bf16 a[8:11], v[38:39], v[32:33], a[4:7]
	s_waitcnt lgkmcnt(1)
	v_mfma_f32_16x16x16_bf16 a[4:7], v[40:41], v[20:21], a[0:3]
	v_perm_b32 v20, v10, v14, s0
	ds_write2st64_b32 v0, v18, v20 offset0:32 offset1:64
	v_xor_b32_e32 v18, 8, v0
	v_add_u32_e32 v10, 0x80, v18
	ds_write2st64_b32 v10, v2, v6 offset0:32 offset1:64
	v_xor_b32_e32 v2, 16, v0
	v_perm_b32 v6, v3, v7, s0
	v_perm_b32 v10, v11, v15, s0
	ds_write2st64_b32 v2, v6, v10 offset0:33 offset1:65
	v_xor_b32_e32 v2, 24, v0
	v_perm_b32 v3, v3, v7, s1
	v_perm_b32 v6, v11, v15, s1
	v_add_u32_e32 v2, 0x80, v2
	ds_write2st64_b32 v2, v3, v6 offset0:33 offset1:65
	v_xor_b32_e32 v2, 32, v0
	v_perm_b32 v3, v4, v8, s0
	v_perm_b32 v6, v12, v16, s0
	s_waitcnt lgkmcnt(4)
	v_mfma_f32_16x16x16_bf16 a[0:3], v[40:41], v[24:25], a[8:11]
	ds_write2st64_b32 v2, v3, v6 offset0:34 offset1:66
	v_xor_b32_e32 v2, 40, v0
	v_perm_b32 v3, v4, v8, s1
	v_perm_b32 v4, v12, v16, s1
	v_add_u32_e32 v2, 0x80, v2
	ds_write2st64_b32 v2, v3, v4 offset0:34 offset1:66
	v_xor_b32_e32 v2, 48, v0
	v_perm_b32 v3, v5, v9, s0
	v_perm_b32 v4, v13, v17, s0
	v_xor_b32_e32 v0, 56, v0
	v_and_or_b32 v18, v29, 12, v1
	ds_write2st64_b32 v2, v3, v4 offset0:35 offset1:67
	v_perm_b32 v2, v5, v9, s1
	v_perm_b32 v3, v13, v17, s1
	v_add_u32_e32 v0, 0x80, v0
	v_cmp_gt_i32_e32 vcc, s27, v18
	v_mov_b32_e32 v14, 0
	v_mov_b32_e32 v16, 0
	ds_write2st64_b32 v0, v2, v3 offset0:35 offset1:67
	s_and_saveexec_b64 s[0:1], vcc
	s_cbranch_execz .LBB292_59
; %bb.58:
	v_add_u32_e32 v0, s26, v18
	v_ashrrev_i32_e32 v1, 31, v0
	v_mul_lo_u32 v2, v1, s28
	v_mul_lo_u32 v3, v0, s29
	v_mad_u64_u32 v[0:1], s[2:3], v0, s28, 0
	v_add3_u32 v1, v1, v3, v2
	v_lshl_add_u64 v[0:1], v[0:1], 2, s[10:11]
	global_load_dword v0, v[0:1], off
	s_waitcnt vmcnt(0)
	v_sub_f32_e32 v0, s12, v0
	v_exp_f32_e32 v16, v0
.LBB292_59:
	s_or_b64 exec, exec, s[0:1]
	v_or_b32_e32 v8, 1, v18
	v_cmp_gt_i32_e64 s[0:1], s27, v8
	s_and_saveexec_b64 s[2:3], s[0:1]
	s_cbranch_execz .LBB292_61
; %bb.60:
	v_add_u32_e32 v0, s26, v8
	v_ashrrev_i32_e32 v1, 31, v0
	v_mul_lo_u32 v2, v1, s28
	v_mul_lo_u32 v3, v0, s29
	v_mad_u64_u32 v[0:1], s[4:5], v0, s28, 0
	v_add3_u32 v1, v1, v3, v2
	v_lshl_add_u64 v[0:1], v[0:1], 2, s[10:11]
	global_load_dword v0, v[0:1], off
	s_waitcnt vmcnt(0)
	v_sub_f32_e32 v0, s12, v0
	v_exp_f32_e32 v14, v0
.LBB292_61:
	s_or_b64 exec, exec, s[2:3]
	v_or_b32_e32 v10, 2, v18
	v_cmp_gt_i32_e64 s[2:3], s27, v10
	v_mov_b32_e32 v15, 0
	v_mov_b32_e32 v17, 0
	s_and_saveexec_b64 s[4:5], s[2:3]
	s_cbranch_execz .LBB292_63
; %bb.62:
	v_add_u32_e32 v0, s26, v10
	v_ashrrev_i32_e32 v1, 31, v0
	v_mul_lo_u32 v2, v1, s28
	v_mul_lo_u32 v3, v0, s29
	v_mad_u64_u32 v[0:1], s[6:7], v0, s28, 0
	v_add3_u32 v1, v1, v3, v2
	v_lshl_add_u64 v[0:1], v[0:1], 2, s[10:11]
	global_load_dword v0, v[0:1], off
	s_waitcnt vmcnt(0)
	v_sub_f32_e32 v0, s12, v0
	v_exp_f32_e32 v17, v0
.LBB292_63:
	s_or_b64 exec, exec, s[4:5]
	v_or_b32_e32 v12, 3, v18
	v_cmp_gt_i32_e64 s[4:5], s27, v12
	s_and_saveexec_b64 s[6:7], s[4:5]
	s_cbranch_execz .LBB292_65
; %bb.64:
	v_add_u32_e32 v0, s26, v12
	v_ashrrev_i32_e32 v1, 31, v0
	v_mul_lo_u32 v2, v1, s28
	v_mul_lo_u32 v3, v0, s29
	v_mad_u64_u32 v[0:1], s[14:15], v0, s28, 0
	v_add3_u32 v1, v1, v3, v2
	v_lshl_add_u64 v[0:1], v[0:1], 2, s[10:11]
	global_load_dword v0, v[0:1], off
	s_waitcnt vmcnt(0)
	v_sub_f32_e32 v0, s12, v0
	v_exp_f32_e32 v15, v0
.LBB292_65:
	s_or_b64 exec, exec, s[6:7]
	s_add_u32 s6, s8, s20
	v_accvgpr_read_b32 v0, a4
	s_addc_u32 s7, s9, s21
	v_ashrrev_i32_e32 v51, 31, v50
	v_accvgpr_read_b32 v1, a5
	v_accvgpr_read_b32 v2, a6
	;; [unrolled: 1-line block ×3, first 2 shown]
	v_lshl_add_u64 v[4:5], v[50:51], 1, s[6:7]
	v_mov_b32_e32 v9, 0
	v_lshlrev_b32_e32 v6, 8, v18
	v_mov_b32_e32 v7, 0
	s_and_saveexec_b64 s[6:7], vcc
	s_cbranch_execz .LBB292_67
; %bb.66:
	v_mov_b32_e32 v7, 0
	v_lshl_add_u64 v[20:21], v[4:5], 0, v[6:7]
	global_load_ushort v7, v[20:21], off
	s_waitcnt vmcnt(0)
	v_lshlrev_b32_e32 v7, 16, v7
	v_sub_f32_e32 v0, v7, v0
	v_mul_f32_e32 v0, v16, v0
	v_lshrrev_b32_e32 v7, 16, v0
.LBB292_67:
	s_or_b64 exec, exec, s[6:7]
	v_lshlrev_b32_e32 v8, 8, v8
	s_and_saveexec_b64 s[6:7], s[0:1]
	s_cbranch_execz .LBB292_69
; %bb.68:
	v_mov_b32_e32 v9, 0
	v_lshl_add_u64 v[20:21], v[4:5], 0, v[8:9]
	global_load_ushort v0, v[20:21], off
	s_waitcnt vmcnt(0)
	v_lshlrev_b32_e32 v0, 16, v0
	v_sub_f32_e32 v0, v0, v1
	v_mul_f32_e32 v0, v14, v0
	v_lshrrev_b32_e32 v9, 16, v0
.LBB292_69:
	s_or_b64 exec, exec, s[6:7]
	v_mov_b32_e32 v13, 0
	v_lshlrev_b32_e32 v10, 8, v10
	v_mov_b32_e32 v11, 0
	s_and_saveexec_b64 s[6:7], s[2:3]
	s_cbranch_execz .LBB292_71
; %bb.70:
	v_mov_b32_e32 v11, 0
	v_lshl_add_u64 v[0:1], v[4:5], 0, v[10:11]
	global_load_ushort v0, v[0:1], off
	s_waitcnt vmcnt(0)
	v_lshlrev_b32_e32 v0, 16, v0
	v_sub_f32_e32 v0, v0, v2
	v_mul_f32_e32 v0, v17, v0
	v_lshrrev_b32_e32 v11, 16, v0
.LBB292_71:
	s_or_b64 exec, exec, s[6:7]
	v_lshlrev_b32_e32 v12, 8, v12
	s_and_saveexec_b64 s[6:7], s[4:5]
	s_cbranch_execz .LBB292_73
; %bb.72:
	v_mov_b32_e32 v13, 0
	v_lshl_add_u64 v[0:1], v[4:5], 0, v[12:13]
	global_load_ushort v0, v[0:1], off
	s_waitcnt vmcnt(0)
	v_lshlrev_b32_e32 v0, 16, v0
	v_sub_f32_e32 v0, v0, v3
	v_mul_f32_e32 v0, v15, v0
	v_lshrrev_b32_e32 v13, 16, v0
.LBB292_73:
	s_or_b64 exec, exec, s[6:7]
	v_lshlrev_b32_e32 v18, 5, v18
	s_mov_b32 s6, 0x5040100
	v_perm_b32 v20, v9, v7, s6
	v_or_b32_e32 v7, v18, v34
	v_accvgpr_read_b32 v0, a0
	v_perm_b32 v21, v13, v11, s6
	v_lshlrev_b32_e32 v7, 1, v7
	v_accvgpr_read_b32 v1, a1
	v_accvgpr_read_b32 v2, a2
	;; [unrolled: 1-line block ×3, first 2 shown]
	ds_write_b64 v7, v[20:21] offset:45056
	v_mov_b32_e32 v9, 0
	v_mov_b32_e32 v7, 0
	s_and_saveexec_b64 s[6:7], vcc
	s_cbranch_execz .LBB292_75
; %bb.74:
	v_mov_b32_e32 v7, 0
	v_lshl_add_u64 v[6:7], v[4:5], 0, v[6:7]
	global_load_ushort v6, v[6:7], off offset:32
	s_waitcnt vmcnt(0)
	v_lshlrev_b32_e32 v6, 16, v6
	v_sub_f32_e32 v0, v6, v0
	v_mul_f32_e32 v0, v16, v0
	v_lshrrev_b32_e32 v7, 16, v0
.LBB292_75:
	s_or_b64 exec, exec, s[6:7]
	s_and_saveexec_b64 s[6:7], s[0:1]
	s_cbranch_execz .LBB292_77
; %bb.76:
	v_mov_b32_e32 v9, 0
	v_lshl_add_u64 v[8:9], v[4:5], 0, v[8:9]
	global_load_ushort v0, v[8:9], off offset:32
	s_waitcnt vmcnt(0)
	v_lshlrev_b32_e32 v0, 16, v0
	v_sub_f32_e32 v0, v0, v1
	v_mul_f32_e32 v0, v14, v0
	v_lshrrev_b32_e32 v9, 16, v0
.LBB292_77:
	s_or_b64 exec, exec, s[6:7]
	v_mov_b32_e32 v0, 0
	v_mov_b32_e32 v1, 0
	s_and_saveexec_b64 s[0:1], s[2:3]
	s_cbranch_execz .LBB292_79
; %bb.78:
	v_mov_b32_e32 v11, 0
	v_lshl_add_u64 v[10:11], v[4:5], 0, v[10:11]
	global_load_ushort v1, v[10:11], off offset:32
	s_waitcnt vmcnt(0)
	v_lshlrev_b32_e32 v1, 16, v1
	v_sub_f32_e32 v1, v1, v2
	v_mul_f32_e32 v1, v17, v1
	v_lshrrev_b32_e32 v1, 16, v1
.LBB292_79:
	s_or_b64 exec, exec, s[0:1]
	s_and_saveexec_b64 s[0:1], s[4:5]
	s_cbranch_execz .LBB292_81
; %bb.80:
	v_mov_b32_e32 v13, 0
	v_lshl_add_u64 v[4:5], v[4:5], 0, v[12:13]
	global_load_ushort v0, v[4:5], off offset:32
	s_waitcnt vmcnt(0)
	v_lshlrev_b32_e32 v0, 16, v0
	v_sub_f32_e32 v0, v0, v3
	v_mul_f32_e32 v0, v15, v0
	v_lshrrev_b32_e32 v0, 16, v0
.LBB292_81:
	s_or_b64 exec, exec, s[0:1]
	s_mov_b32 s0, 0x5040100
	v_or_b32_e32 v2, v18, v19
	v_perm_b32 v1, v0, v1, s0
	v_perm_b32 v0, v9, v7, s0
	v_lshlrev_b32_e32 v2, 1, v2
	ds_write_b64 v2, v[0:1] offset:45056
	s_waitcnt lgkmcnt(0)
	s_barrier
.LBB292_82:
	s_endpgm
	.section	.rodata,"a",@progbits
	.p2align	6, 0x0
	.amdhsa_kernel _ZN12_GLOBAL__N_139chunk_gated_delta_rule_fwd_h_hip_kernelILi32ELb1ELb0ELb0ELb1ELb1ELb0ELb1ELb1EEEvPK12hip_bfloat16S3_S3_PKfS5_PKvPS1_S8_PvPKiSB_iiiiilll
		.amdhsa_group_segment_fixed_size 49152
		.amdhsa_private_segment_fixed_size 0
		.amdhsa_kernarg_size 136
		.amdhsa_user_sgpr_count 2
		.amdhsa_user_sgpr_dispatch_ptr 0
		.amdhsa_user_sgpr_queue_ptr 0
		.amdhsa_user_sgpr_kernarg_segment_ptr 1
		.amdhsa_user_sgpr_dispatch_id 0
		.amdhsa_user_sgpr_kernarg_preload_length 0
		.amdhsa_user_sgpr_kernarg_preload_offset 0
		.amdhsa_user_sgpr_private_segment_size 0
		.amdhsa_uses_dynamic_stack 0
		.amdhsa_enable_private_segment 0
		.amdhsa_system_sgpr_workgroup_id_x 1
		.amdhsa_system_sgpr_workgroup_id_y 1
		.amdhsa_system_sgpr_workgroup_id_z 0
		.amdhsa_system_sgpr_workgroup_info 0
		.amdhsa_system_vgpr_workitem_id 0
		.amdhsa_next_free_vgpr 148
		.amdhsa_next_free_sgpr 60
		.amdhsa_accum_offset 132
		.amdhsa_reserve_vcc 1
		.amdhsa_float_round_mode_32 0
		.amdhsa_float_round_mode_16_64 0
		.amdhsa_float_denorm_mode_32 3
		.amdhsa_float_denorm_mode_16_64 3
		.amdhsa_dx10_clamp 1
		.amdhsa_ieee_mode 1
		.amdhsa_fp16_overflow 0
		.amdhsa_tg_split 0
		.amdhsa_exception_fp_ieee_invalid_op 0
		.amdhsa_exception_fp_denorm_src 0
		.amdhsa_exception_fp_ieee_div_zero 0
		.amdhsa_exception_fp_ieee_overflow 0
		.amdhsa_exception_fp_ieee_underflow 0
		.amdhsa_exception_fp_ieee_inexact 0
		.amdhsa_exception_int_div_zero 0
	.end_amdhsa_kernel
	.section	.text._ZN12_GLOBAL__N_139chunk_gated_delta_rule_fwd_h_hip_kernelILi32ELb1ELb0ELb0ELb1ELb1ELb0ELb1ELb1EEEvPK12hip_bfloat16S3_S3_PKfS5_PKvPS1_S8_PvPKiSB_iiiiilll,"axG",@progbits,_ZN12_GLOBAL__N_139chunk_gated_delta_rule_fwd_h_hip_kernelILi32ELb1ELb0ELb0ELb1ELb1ELb0ELb1ELb1EEEvPK12hip_bfloat16S3_S3_PKfS5_PKvPS1_S8_PvPKiSB_iiiiilll,comdat
.Lfunc_end292:
	.size	_ZN12_GLOBAL__N_139chunk_gated_delta_rule_fwd_h_hip_kernelILi32ELb1ELb0ELb0ELb1ELb1ELb0ELb1ELb1EEEvPK12hip_bfloat16S3_S3_PKfS5_PKvPS1_S8_PvPKiSB_iiiiilll, .Lfunc_end292-_ZN12_GLOBAL__N_139chunk_gated_delta_rule_fwd_h_hip_kernelILi32ELb1ELb0ELb0ELb1ELb1ELb0ELb1ELb1EEEvPK12hip_bfloat16S3_S3_PKfS5_PKvPS1_S8_PvPKiSB_iiiiilll
                                        ; -- End function
	.section	.AMDGPU.csdata,"",@progbits
; Kernel info:
; codeLenInByte = 8408
; NumSgprs: 66
; NumVgprs: 130
; NumAgprs: 16
; TotalNumVgprs: 148
; ScratchSize: 0
; MemoryBound: 0
; FloatMode: 240
; IeeeMode: 1
; LDSByteSize: 49152 bytes/workgroup (compile time only)
; SGPRBlocks: 8
; VGPRBlocks: 18
; NumSGPRsForWavesPerEU: 66
; NumVGPRsForWavesPerEU: 148
; AccumOffset: 132
; Occupancy: 1
; WaveLimiterHint : 1
; COMPUTE_PGM_RSRC2:SCRATCH_EN: 0
; COMPUTE_PGM_RSRC2:USER_SGPR: 2
; COMPUTE_PGM_RSRC2:TRAP_HANDLER: 0
; COMPUTE_PGM_RSRC2:TGID_X_EN: 1
; COMPUTE_PGM_RSRC2:TGID_Y_EN: 1
; COMPUTE_PGM_RSRC2:TGID_Z_EN: 0
; COMPUTE_PGM_RSRC2:TIDIG_COMP_CNT: 0
; COMPUTE_PGM_RSRC3_GFX90A:ACCUM_OFFSET: 32
; COMPUTE_PGM_RSRC3_GFX90A:TG_SPLIT: 0
	.section	.text._ZN12_GLOBAL__N_139chunk_gated_delta_rule_fwd_h_hip_kernelILi32ELb0ELb1ELb1ELb1ELb1ELb0ELb1ELb1EEEvPK12hip_bfloat16S3_S3_PKfS5_PKvPS1_S8_PvPKiSB_iiiiilll,"axG",@progbits,_ZN12_GLOBAL__N_139chunk_gated_delta_rule_fwd_h_hip_kernelILi32ELb0ELb1ELb1ELb1ELb1ELb0ELb1ELb1EEEvPK12hip_bfloat16S3_S3_PKfS5_PKvPS1_S8_PvPKiSB_iiiiilll,comdat
	.globl	_ZN12_GLOBAL__N_139chunk_gated_delta_rule_fwd_h_hip_kernelILi32ELb0ELb1ELb1ELb1ELb1ELb0ELb1ELb1EEEvPK12hip_bfloat16S3_S3_PKfS5_PKvPS1_S8_PvPKiSB_iiiiilll ; -- Begin function _ZN12_GLOBAL__N_139chunk_gated_delta_rule_fwd_h_hip_kernelILi32ELb0ELb1ELb1ELb1ELb1ELb0ELb1ELb1EEEvPK12hip_bfloat16S3_S3_PKfS5_PKvPS1_S8_PvPKiSB_iiiiilll
	.p2align	8
	.type	_ZN12_GLOBAL__N_139chunk_gated_delta_rule_fwd_h_hip_kernelILi32ELb0ELb1ELb1ELb1ELb1ELb0ELb1ELb1EEEvPK12hip_bfloat16S3_S3_PKfS5_PKvPS1_S8_PvPKiSB_iiiiilll,@function
_ZN12_GLOBAL__N_139chunk_gated_delta_rule_fwd_h_hip_kernelILi32ELb0ELb1ELb1ELb1ELb1ELb0ELb1ELb1EEEvPK12hip_bfloat16S3_S3_PKfS5_PKvPS1_S8_PvPKiSB_iiiiilll: ; @_ZN12_GLOBAL__N_139chunk_gated_delta_rule_fwd_h_hip_kernelILi32ELb0ELb1ELb1ELb1ELb1ELb0ELb1ELb1EEEvPK12hip_bfloat16S3_S3_PKfS5_PKvPS1_S8_PvPKiSB_iiiiilll
; %bb.0:
	s_load_dwordx4 s[36:39], s[0:1], 0x5c
	s_abs_i32 s7, s3
	s_ashr_i32 s6, s3, 31
	s_load_dwordx2 s[4:5], s[0:1], 0x50
	s_load_dwordx8 s[16:23], s[0:1], 0x30
	s_load_dwordx8 s[24:31], s[0:1], 0x0
	v_lshrrev_b32_e32 v58, 6, v0
	s_waitcnt lgkmcnt(0)
	s_abs_i32 s10, s37
	v_cvt_f32_u32_e32 v1, s10
	s_sub_i32 s8, 0, s10
	s_ashr_i32 s50, s37, 31
	s_xor_b32 s6, s6, s50
	v_rcp_iflag_f32_e32 v1, v1
	v_bfe_u32 v61, v0, 4, 2
	v_lshlrev_b32_e32 v59, 4, v58
	v_lshlrev_b32_e32 v18, 2, v61
	v_mul_f32_e32 v1, 0x4f7ffffe, v1
	v_cvt_u32_f32_e32 v1, v1
	v_and_b32_e32 v60, 63, v0
	s_mov_b32 s33, s37
	v_and_b32_e32 v62, 15, v0
	v_readfirstlane_b32 s9, v1
	s_mul_i32 s8, s8, s9
	s_mul_hi_u32 s8, s9, s8
	s_add_i32 s9, s9, s8
	s_mul_hi_u32 s8, s7, s9
	s_mul_i32 s9, s8, s10
	s_sub_i32 s7, s7, s9
	s_add_i32 s11, s8, 1
	s_sub_i32 s9, s7, s10
	s_cmp_ge_u32 s7, s10
	s_cselect_b32 s8, s11, s8
	s_cselect_b32 s7, s9, s7
	s_add_i32 s9, s8, 1
	s_cmp_ge_u32 s7, s10
	s_cselect_b32 s7, s9, s8
	s_xor_b32 s7, s7, s6
	s_sub_i32 s34, s7, s6
	s_mul_i32 s6, s34, s37
	s_ashr_i32 s35, s34, 31
	s_sub_i32 s51, s3, s6
	s_lshl_b64 s[6:7], s[34:35], 2
	s_add_u32 s8, s22, s6
	s_addc_u32 s9, s23, s7
	s_add_u32 s4, s4, s6
	s_addc_u32 s5, s5, s7
	s_abs_i32 s3, s38
	v_cvt_f32_u32_e32 v1, s3
	s_load_dwordx2 s[44:45], s[8:9], 0x0
	s_load_dwordx2 s[22:23], s[0:1], 0x80
	s_load_dwordx4 s[40:43], s[0:1], 0x70
	s_sub_i32 s1, 0, s3
	v_rcp_iflag_f32_e32 v1, v1
	s_load_dword s57, s[4:5], 0x0
	s_waitcnt lgkmcnt(0)
	s_sub_i32 s48, s45, s44
	s_ashr_i32 s0, s48, 31
	v_mul_f32_e32 v1, 0x4f7ffffe, v1
	v_cvt_u32_f32_e32 v1, v1
	s_lshr_b32 s0, s0, 26
	s_add_i32 s0, s48, s0
	s_ashr_i32 s55, s0, 6
	v_readfirstlane_b32 s6, v1
	s_mul_i32 s1, s1, s6
	s_mul_hi_u32 s1, s6, s1
	s_add_i32 s6, s6, s1
	s_mul_hi_u32 s1, s10, s6
	s_mul_i32 s6, s1, s3
	s_ashr_i32 s0, s38, 31
	s_sub_i32 s6, s10, s6
	s_xor_b32 s0, s50, s0
	s_add_i32 s7, s1, 1
	s_sub_i32 s8, s6, s3
	s_cmp_ge_u32 s6, s3
	s_cselect_b32 s1, s7, s1
	s_cselect_b32 s6, s8, s6
	s_add_i32 s7, s1, 1
	s_cmp_ge_u32 s6, s3
	s_cselect_b32 s1, s7, s1
	s_xor_b32 s1, s1, s0
	s_sub_i32 s1, s1, s0
	s_abs_i32 s3, s1
	v_cvt_f32_u32_e32 v1, s3
	s_sub_i32 s5, 0, s3
	s_abs_i32 s4, s51
	s_xor_b32 s1, s51, s1
	v_rcp_iflag_f32_e32 v1, v1
	s_ashr_i32 s1, s1, 31
	s_mov_b32 s0, 0
	s_mov_b32 s14, s0
	v_mul_f32_e32 v1, 0x4f7ffffe, v1
	v_cvt_u32_f32_e32 v1, v1
	s_mov_b32 s15, s0
	s_mov_b32 s8, s0
	;; [unrolled: 1-line block ×3, first 2 shown]
	v_readfirstlane_b32 s6, v1
	s_mul_i32 s5, s5, s6
	s_mul_hi_u32 s5, s6, s5
	s_add_i32 s6, s6, s5
	s_mul_hi_u32 s5, s4, s6
	s_mul_i32 s6, s5, s3
	s_sub_i32 s4, s4, s6
	s_add_i32 s6, s5, 1
	s_sub_i32 s7, s4, s3
	s_cmp_ge_u32 s4, s3
	s_cselect_b32 s5, s6, s5
	s_cselect_b32 s4, s7, s4
	s_add_i32 s6, s5, 1
	s_cmp_ge_u32 s4, s3
	s_cselect_b32 s3, s6, s5
	s_xor_b32 s3, s3, s1
	s_sub_i32 s58, s3, s1
	v_or_b32_e32 v1, v18, v59
	s_lshl_b32 s46, s2, 5
	s_mov_b32 s1, s0
	s_mov_b32 s2, s0
	;; [unrolled: 1-line block ×11, first 2 shown]
	v_mov_b64_e32 v[16:17], s[14:15]
	v_or_b32_e32 v65, 64, v1
	s_cmp_lt_i32 s48, 64
	v_mov_b64_e32 v[14:15], s[12:13]
	v_mov_b64_e32 v[12:13], s[10:11]
	;; [unrolled: 1-line block ×7, first 2 shown]
	s_mul_hi_i32 s59, s51, s36
	s_mul_i32 s60, s51, s36
	v_lshrrev_b32_e32 v64, 3, v60
	v_lshlrev_b32_e32 v63, 3, v0
	s_mul_i32 s52, s34, s41
	s_mul_hi_u32 s53, s34, s40
	s_mul_i32 s54, s35, s40
	s_mul_i32 s12, s34, s40
	s_cbranch_scc1 .LBB293_19
; %bb.1:
	s_ashr_i32 s40, s51, 31
	s_ashr_i32 s1, s44, 31
	s_add_u32 s0, s60, s44
	s_addc_u32 s1, s59, s1
	s_lshl_b64 s[0:1], s[0:1], 8
	v_and_b32_e32 v9, 56, v63
	s_add_u32 s0, s26, s0
	v_lshl_or_b32 v5, v58, 3, v64
	v_lshlrev_b32_e32 v2, 1, v9
	s_addc_u32 s1, s27, s1
	v_lshl_or_b32 v13, v5, 8, v2
	s_and_b32 s1, s1, 0xffff
	s_mov_b32 s3, 0x20000
	s_movk_i32 s2, 0x4000
	s_movk_i32 s4, 0x80
	v_or_b32_e32 v17, 0x2000, v13
	buffer_load_dwordx4 v[20:23], v13, s[0:3], 0 offen
	buffer_load_dwordx4 v[24:27], v13, s[0:3], s4 offen
	;; [unrolled: 1-line block ×4, first 2 shown]
	v_lshlrev_b32_e32 v3, 3, v5
	v_and_or_b32 v6, v0, 7, v3
	v_and_b32_e32 v3, 0x78, v3
	v_lshlrev_b32_e32 v6, 4, v6
	v_xor_b32_e32 v66, v6, v3
	v_mul_lo_u32 v4, v5, s39
	v_or_b32_e32 v67, 0x1000, v66
	v_xor_b32_e32 v3, 8, v66
	s_cmpk_eq_i32 s39, 0x80
	s_mov_b32 s49, s44
	v_xor_b32_e32 v6, 8, v67
	s_cselect_b64 s[0:1], -1, 0
	s_cmpk_lg_i32 s39, 0x80
	s_waitcnt vmcnt(3)
	ds_write_b64 v66, v[20:21] offset:24576
	ds_write_b64 v3, v[22:23] offset:24576
	s_waitcnt vmcnt(2)
	ds_write_b64 v66, v[24:25] offset:32768
	ds_write_b64 v3, v[26:27] offset:32768
	;; [unrolled: 3-line block ×4, first 2 shown]
	v_lshl_add_u32 v3, v4, 1, v9
	s_cbranch_scc0 .LBB293_3
; %bb.2:
	v_lshlrev_b32_e32 v6, 1, v3
	v_add_lshl_u32 v4, v3, s39, 1
	s_lshl_b32 s6, s39, 7
	v_lshl_or_b32 v2, v5, 9, v2
	s_cbranch_execz .LBB293_4
	s_branch .LBB293_5
.LBB293_3:
                                        ; implicit-def: $vgpr4
                                        ; implicit-def: $vgpr6
                                        ; implicit-def: $sgpr6
	v_lshl_or_b32 v2, v5, 9, v2
.LBB293_4:
	v_or_b32_e32 v4, 0x100, v2
	s_movk_i32 s6, 0x4000
	v_mov_b32_e32 v6, v2
.LBB293_5:
	s_mul_i32 s2, s44, s38
	s_ashr_i32 s41, s58, 31
	s_mul_hi_i32 s3, s44, s38
	s_add_u32 s2, s2, s58
	s_addc_u32 s3, s3, s41
	s_lshl_b64 s[2:3], s[2:3], 8
	s_add_u32 s4, s24, s2
	s_addc_u32 s2, s25, s3
	s_and_b32 s5, s2, 0xffff
	s_mov_b32 s7, 0x20000
	s_movk_i32 s56, 0x80
	buffer_load_dwordx4 v[20:23], v6, s[4:7], 0 offen
	buffer_load_dwordx4 v[24:27], v6, s[4:7], s56 offen
	buffer_load_dwordx4 v[28:31], v4, s[4:7], 0 offen
	buffer_load_dwordx4 v[32:35], v4, s[4:7], s56 offen
	v_and_b32_e32 v4, 6, v0
	v_lshlrev_b32_e32 v8, 6, v1
	v_or_b32_e32 v11, 16, v62
	v_xor_b32_e32 v12, v5, v4
	v_and_b32_e32 v6, 1, v0
	v_lshl_or_b32 v16, v62, 3, v8
	v_lshl_or_b32 v8, v11, 3, v8
	v_lshlrev_b32_e32 v12, 2, v12
	v_lshlrev_b32_e32 v7, 2, v62
	s_mul_i32 s2, s51, s43
	s_mul_hi_u32 s3, s51, s42
	v_or_b32_e32 v70, 0xa000, v8
	v_or_b32_e32 v71, 0xb000, v8
	v_xor_b32_e32 v8, 0x440, v12
	v_cmp_eq_u32_e32 vcc, 0, v6
	s_add_i32 s5, s53, s52
	s_mul_i32 s4, s40, s42
	v_xor_b32_e32 v14, v1, v7
	v_xor_b32_e32 v15, v65, v7
	v_cndmask_b32_e32 v6, v8, v12, vcc
	s_add_i32 s2, s3, s2
	s_add_i32 s13, s5, s54
	s_mov_b32 s61, 0x1000504
	v_lshlrev_b32_e32 v10, 8, v62
	v_lshlrev_b32_e32 v11, 8, v11
	;; [unrolled: 1-line block ×4, first 2 shown]
	v_lshl_or_b32 v4, v4, 10, v6
	s_add_i32 s3, s2, s4
	s_lshl_b64 s[4:5], s[12:13], 2
	s_mov_b32 s62, 0x3020706
	v_or_b32_e32 v68, 0xa000, v16
	v_or_b32_e32 v69, 0xb000, v16
	;; [unrolled: 1-line block ×5, first 2 shown]
	v_xor_b32_e32 v6, 8, v4
	v_xor_b32_e32 v10, 24, v4
	;; [unrolled: 1-line block ×4, first 2 shown]
	s_mul_i32 s2, s51, s42
	s_add_u32 s4, s30, s4
	v_or_b32_e32 v74, v11, v14
	v_xor_b32_e32 v8, 16, v4
	v_xor_b32_e32 v11, 32, v4
	;; [unrolled: 1-line block ×3, first 2 shown]
	v_add_u32_e32 v6, 0x80, v6
	v_add_u32_e32 v10, 0x80, v10
	v_add_u32_e32 v12, 0x80, v12
	v_add_u32_e32 v15, 0x80, v15
	s_addc_u32 s5, s31, s5
	s_lshl_b64 s[2:3], s[2:3], 2
	s_add_u32 s2, s4, s2
	s_movk_i32 s4, 0xf8
	s_addc_u32 s3, s5, s3
	s_ashr_i32 s47, s46, 31
	s_lshl_b32 s10, s39, 7
	s_movk_i32 s8, 0x100
	v_mov_b32_e32 v51, 0
	v_lshlrev_b32_e32 v50, 4, v62
	v_cmp_gt_u32_e32 vcc, s8, v0
	s_mov_b32 s63, 0
	s_movk_i32 s13, 0x1000
	s_movk_i32 s6, 0x4000
	v_add_u32_e32 v93, v59, v18
	v_mov_b32_e32 v99, v51
	v_mov_b32_e32 v98, v51
	;; [unrolled: 1-line block ×4, first 2 shown]
	s_waitcnt vmcnt(1)
	v_perm_b32 v16, v20, v28, s61
	s_waitcnt vmcnt(0)
	v_perm_b32 v19, v24, v32, s61
	v_perm_b32 v20, v20, v28, s62
	;; [unrolled: 1-line block ×15, first 2 shown]
	ds_write2st64_b32 v4, v16, v19 offset0:32 offset1:64
	ds_write2st64_b32 v6, v20, v24 offset0:32 offset1:64
	;; [unrolled: 1-line block ×8, first 2 shown]
	v_or_b32_e32 v4, v59, v62
	v_lshlrev_b32_e32 v4, 3, v4
	v_lshrrev_b32_e32 v10, 5, v60
	v_and_or_b32 v10, v4, s4, v10
	v_lshlrev_b32_e32 v8, 11, v58
	v_lshlrev_b32_e32 v10, 4, v10
	v_and_b32_e32 v4, 0x78, v4
	v_and_b32_e32 v6, 0x1000, v8
	v_xor_b32_e32 v11, v10, v4
	v_lshrrev_b32_e32 v12, 1, v0
	v_or_b32_e32 v11, v11, v6
	v_and_b32_e32 v14, 8, v12
	v_xor_b32_e32 v76, v11, v14
	v_or_b32_e32 v11, 32, v10
	v_xor_b32_e32 v11, v11, v4
	v_or_b32_e32 v11, v11, v6
	;; [unrolled: 2-line block ×4, first 2 shown]
	s_lshl_b64 s[4:5], s[46:47], 8
	v_or_b32_e32 v11, v11, v6
	v_xor_b32_e32 v4, v10, v4
	s_add_u32 s4, s16, s4
	v_lshlrev_b32_e32 v10, 1, v62
	v_xor_b32_e32 v80, v11, v14
	v_lshrrev_b32_e32 v19, 4, v0
	s_addc_u32 s5, s17, s5
	v_or_b32_e32 v11, 1, v10
	v_mov_b32_e32 v23, 0x4000
	v_mov_b32_e32 v24, 0x2000
	v_xor_b32_e32 v20, v19, v10
	v_xor_b32_e32 v21, v11, v19
	v_lshl_add_u64 v[10:11], s[4:5], 0, v[50:51]
	v_lshlrev_b32_e32 v50, 8, v19
	v_cndmask_b32_e32 v23, v23, v24, vcc
	v_lshlrev_b32_e32 v24, 3, v58
	v_and_b32_e32 v12, 24, v12
	v_lshl_or_b32 v84, v20, 3, v50
	v_and_b32_e32 v20, 8, v0
	v_xor_b32_e32 v25, v24, v12
	v_or_b32_e32 v26, 0x440, v25
	v_cmp_eq_u32_e32 vcc, 0, v20
	v_and_b32_e32 v19, 7, v0
	v_lshlrev_b32_e32 v15, 7, v61
	v_cndmask_b32_e32 v20, v26, v25, vcc
	v_lshl_or_b32 v85, v21, 3, v50
	v_lshlrev_b32_e32 v21, 3, v19
	v_lshlrev_b32_e32 v19, 7, v19
	;; [unrolled: 1-line block ×3, first 2 shown]
	v_or_b32_e32 v20, v20, v8
	v_or_b32_e32 v7, v15, v7
	v_xad_u32 v86, v20, v21, v19
	v_and_or_b32 v15, v22, 60, v15
	v_mov_b32_e32 v20, 0xb000
	v_lshl_or_b32 v87, v15, 1, v20
	v_or_b32_e32 v15, 32, v12
	v_xor_b32_e32 v15, v24, v15
	v_or_b32_e32 v20, 0x440, v15
	v_cndmask_b32_e32 v15, v20, v15, vcc
	v_or_b32_e32 v15, v15, v8
	v_xad_u32 v88, v15, v21, v19
	v_or_b32_e32 v15, 64, v12
	v_xor_b32_e32 v15, v24, v15
	v_xor_b32_e32 v20, 0x440, v15
	v_cndmask_b32_e32 v15, v20, v15, vcc
	v_or_b32_e32 v12, 0x60, v12
	v_or_b32_e32 v15, v15, v8
	v_xor_b32_e32 v12, v24, v12
	v_xad_u32 v89, v15, v21, v19
	v_xor_b32_e32 v15, 0x440, v12
	v_lshlrev_b32_e32 v7, 1, v7
	v_or_b32_e32 v4, v4, v6
	v_or_b32_e32 v6, s46, v62
	v_cndmask_b32_e32 v12, v15, v12, vcc
	v_or_b32_e32 v77, 0xa000, v7
	v_or_b32_e32 v79, 0xa080, v7
	v_xor_b32_e32 v81, v4, v14
	v_or_b32_e32 v82, 0xb000, v7
	v_or_b32_e32 v83, 0xb080, v7
	v_ashrrev_i32_e32 v7, 31, v6
	v_lshlrev_b32_e32 v14, 1, v3
	v_add_lshl_u32 v3, v3, s39, 1
	v_or_b32_e32 v16, 0x100, v2
	v_or_b32_e32 v8, v12, v8
	v_lshlrev_b32_e32 v4, 7, v1
	v_xad_u32 v90, v8, v21, v19
	v_cndmask_b32_e64 v91, v14, v2, s[0:1]
	v_cndmask_b32_e64 v92, v3, v16, s[0:1]
	v_lshlrev_b64 v[2:3], 1, v[6:7]
	v_lshl_add_u64 v[52:53], s[28:29], 0, v[2:3]
	v_lshl_add_u64 v[54:55], s[18:19], 0, v[2:3]
	;; [unrolled: 1-line block ×3, first 2 shown]
	s_mov_b32 s47, 0x7060302
	v_lshlrev_b32_e32 v50, 1, v4
	v_add_u32_e32 v94, v23, v86
	v_add_u32_e32 v95, v23, v88
	;; [unrolled: 1-line block ×4, first 2 shown]
	v_mov_b32_e32 v2, v51
	v_mov_b32_e32 v3, v51
	;; [unrolled: 1-line block ×12, first 2 shown]
	s_waitcnt lgkmcnt(0)
	s_barrier
.LBB293_6:                              ; =>This Inner Loop Header: Depth=1
	s_add_i32 s64, s63, 1
	s_cmp_lt_i32 s64, s55
	s_mov_b64 s[8:9], 0
	s_cselect_b64 s[14:15], -1, 0
	s_cmp_ge_i32 s64, s55
	s_mov_b64 s[4:5], 0
	s_cbranch_scc1 .LBB293_8
; %bb.7:                                ;   in Loop: Header=BB293_6 Depth=1
	s_add_i32 s0, s49, 64
	s_ashr_i32 s1, s0, 31
	s_add_u32 s0, s60, s0
	s_addc_u32 s1, s59, s1
	s_lshl_b64 s[0:1], s[0:1], 8
	s_add_u32 s4, s26, s0
	s_addc_u32 s5, s27, s1
.LBB293_8:                              ;   in Loop: Header=BB293_6 Depth=1
	v_cndmask_b32_e64 v18, 0, 1, s[14:15]
	v_cmp_ne_u32_e64 s[0:1], 1, v18
	s_andn2_b64 vcc, exec, s[14:15]
	s_cbranch_vccnz .LBB293_10
; %bb.9:                                ;   in Loop: Header=BB293_6 Depth=1
	s_add_i32 s8, s49, 64
	s_mul_hi_i32 s9, s8, s38
	s_mul_i32 s8, s8, s38
	s_add_u32 s8, s8, s58
	s_addc_u32 s9, s9, s41
	s_lshl_b64 s[8:9], s[8:9], 8
	s_add_u32 s8, s24, s8
	s_addc_u32 s9, s25, s9
.LBB293_10:                             ;   in Loop: Header=BB293_6 Depth=1
	v_perm_b32 v19, v99, v4, s47
	v_perm_b32 v18, v3, v2, s47
	;; [unrolled: 1-line block ×4, first 2 shown]
	ds_write_b64 v68, v[18:19]
	ds_write_b64 v69, v[20:21]
	;; [unrolled: 1-line block ×4, first 2 shown]
	v_perm_b32 v19, v101, v12, s47
	v_perm_b32 v18, v11, v10, s47
	v_perm_b32 v21, v100, v16, s47
	v_perm_b32 v20, v15, v14, s47
	ds_write_b64 v70, v[18:19]
	ds_write_b64 v71, v[20:21]
	;; [unrolled: 1-line block ×4, first 2 shown]
	s_waitcnt lgkmcnt(0)
	s_barrier
	ds_read_b64 v[22:23], v76 offset:24576
	ds_read2_b64 v[18:21], v77 offset1:16
	ds_read_b64 v[26:27], v79 offset:3072
	ds_read_b64 v[28:29], v77 offset:3072
	;; [unrolled: 1-line block ×3, first 2 shown]
	s_waitcnt lgkmcnt(3)
	v_mfma_f32_16x16x16_bf16 a[0:3], v[22:23], v[18:19], 0
	s_add_i32 s11, s49, 63
	s_ashr_i32 s14, s11, 31
	s_mul_i32 s15, s11, s23
	v_mfma_f32_16x16x16_bf16 a[4:7], v[22:23], v[20:21], 0
	ds_read2st64_b64 v[18:21], v77 offset0:2 offset1:4
	s_mul_hi_u32 s65, s11, s22
	s_add_i32 s15, s65, s15
	s_waitcnt lgkmcnt(0)
	v_mfma_f32_16x16x16_bf16 a[0:3], v[30:31], v[18:19], a[0:3]
	ds_read2st64_b64 v[22:25], v79 offset0:2 offset1:4
	ds_read_b64 v[18:19], v80 offset:24576
	s_mul_i32 s14, s14, s22
	s_add_i32 s15, s15, s14
	s_waitcnt lgkmcnt(1)
	v_mfma_f32_16x16x16_bf16 a[4:7], v[30:31], v[22:23], a[4:7]
	ds_read_b64 v[22:23], v81 offset:24576
	s_mul_i32 s14, s11, s22
	s_lshl_b64 s[14:15], s[14:15], 2
	s_waitcnt lgkmcnt(1)
	v_mfma_f32_16x16x16_bf16 a[0:3], v[18:19], v[20:21], a[0:3]
	s_add_u32 s14, s2, s14
	s_addc_u32 s15, s3, s15
	s_and_b64 vcc, exec, s[0:1]
	v_mfma_f32_16x16x16_bf16 a[8:11], v[18:19], v[24:25], a[4:7]
	v_mov_b32_e32 v104, 0
	v_mov_b32_e32 v103, 0
	;; [unrolled: 1-line block ×3, first 2 shown]
	s_waitcnt lgkmcnt(0)
	v_mfma_f32_16x16x16_bf16 a[4:7], v[22:23], v[28:29], a[0:3]
	v_mov_b32_e32 v18, 0
	v_mov_b32_e32 v19, 0
	;; [unrolled: 1-line block ×3, first 2 shown]
	v_mfma_f32_16x16x16_bf16 a[0:3], v[22:23], v[26:27], a[8:11]
	v_mov_b32_e32 v21, 0
	v_mov_b32_e32 v22, 0
	v_mov_b32_e32 v23, 0
	v_mov_b32_e32 v24, 0
	v_mov_b32_e32 v25, 0
	v_mov_b32_e32 v26, 0
	v_mov_b32_e32 v27, 0
	v_mov_b32_e32 v28, 0
	v_mov_b32_e32 v29, 0
	v_mov_b32_e32 v30, 0
	v_mov_b32_e32 v31, 0
	v_mov_b32_e32 v32, 0
	v_mov_b32_e32 v33, 0
	s_cbranch_vccnz .LBB293_12
; %bb.11:                               ;   in Loop: Header=BB293_6 Depth=1
	s_and_b32 s5, s5, 0xffff
	buffer_load_dwordx4 v[30:33], v13, s[4:7], 0 offen
	buffer_load_dwordx4 v[26:29], v13, s[4:7], s56 offen
	;; [unrolled: 1-line block ×4, first 2 shown]
	v_mov_b32_e32 v103, v66
	v_mov_b32_e32 v102, v67
.LBB293_12:                             ;   in Loop: Header=BB293_6 Depth=1
	ds_read_b64 v[42:43], v76 offset:32768
	ds_read2_b64 v[34:37], v82 offset1:16
	ds_read_b64 v[44:45], v78 offset:32768
	ds_read_b64 v[46:47], v80 offset:32768
	;; [unrolled: 1-line block ×3, first 2 shown]
	ds_read2st64_b64 v[38:41], v82 offset0:2 offset1:4
	v_add_u32_e32 v105, s49, v93
	s_waitcnt lgkmcnt(4)
	v_mfma_f32_16x16x16_bf16 a[4:7], v[42:43], v[34:35], a[4:7]
	v_ashrrev_i32_e32 v34, 31, v105
	v_mfma_f32_16x16x16_bf16 a[0:3], v[42:43], v[36:37], a[0:3]
	v_mul_lo_u32 v36, v105, s23
	v_mul_lo_u32 v37, v34, s22
	v_mad_u64_u32 v[34:35], s[4:5], v105, s22, 0
	v_add3_u32 v35, v35, v36, v37
	v_add_u32_e32 v36, 1, v105
	v_ashrrev_i32_e32 v37, 31, v36
	s_waitcnt lgkmcnt(0)
	v_mfma_f32_16x16x16_bf16 a[4:7], v[44:45], v[38:39], a[4:7]
	v_mul_lo_u32 v38, v37, s22
	v_mul_lo_u32 v39, v36, s23
	v_mad_u64_u32 v[36:37], s[4:5], v36, s22, 0
	v_add3_u32 v37, v37, v39, v38
	v_add_u32_e32 v38, 2, v105
	v_ashrrev_i32_e32 v39, 31, v38
	v_mul_lo_u32 v42, v39, s22
	v_mul_lo_u32 v43, v38, s23
	v_mad_u64_u32 v[38:39], s[4:5], v38, s22, 0
	v_add3_u32 v39, v39, v43, v42
	v_add_u32_e32 v42, 3, v105
	v_ashrrev_i32_e32 v43, 31, v42
	v_mul_lo_u32 v105, v43, s22
	v_mul_lo_u32 v106, v42, s23
	v_mad_u64_u32 v[42:43], s[4:5], v42, s22, 0
	s_ashr_i32 s5, s49, 31
	v_add3_u32 v43, v43, v106, v105
	s_add_u32 s4, s60, s49
	v_lshl_add_u64 v[34:35], v[34:35], 2, s[2:3]
	v_lshl_add_u64 v[42:43], v[42:43], 2, s[2:3]
	s_addc_u32 s5, s59, s5
	v_lshl_add_u64 v[36:37], v[36:37], 2, s[2:3]
	v_lshl_add_u64 v[38:39], v[38:39], 2, s[2:3]
	global_load_dword v105, v[34:35], off
	global_load_dword v106, v[36:37], off
	;; [unrolled: 1-line block ×3, first 2 shown]
	s_nop 0
	global_load_dword v43, v[42:43], off
	s_lshl_b64 s[66:67], s[4:5], 8
	v_lshl_add_u64 v[34:35], v[52:53], 0, s[66:67]
	v_lshl_add_u64 v[38:39], v[34:35], 0, v[50:51]
	global_load_ushort v108, v[38:39], off offset:256
	global_load_ushort v109, v[38:39], off
	global_load_ushort v110, v[38:39], off offset:768
	global_load_ushort v111, v[38:39], off offset:512
	ds_read2st64_b64 v[34:37], v83 offset0:2 offset1:4
	global_load_ushort v112, v[38:39], off offset:800
	global_load_ushort v113, v[38:39], off offset:544
	;; [unrolled: 1-line block ×4, first 2 shown]
	s_waitcnt lgkmcnt(0)
	v_mfma_f32_16x16x16_bf16 a[0:3], v[44:45], v[34:35], a[0:3]
	s_and_b64 vcc, exec, s[0:1]
	s_waitcnt vmcnt(7)
	v_lshlrev_b32_e32 v45, 16, v108
	v_mfma_f32_16x16x16_bf16 a[4:7], v[46:47], v[40:41], a[4:7]
	s_waitcnt vmcnt(6)
	v_lshlrev_b32_e32 v44, 16, v109
	v_mfma_f32_16x16x16_bf16 a[0:3], v[46:47], v[36:37], a[0:3]
	ds_read_b64 v[34:35], v82 offset:3072
	ds_read_b64 v[36:37], v83 offset:3072
	s_load_dword s4, s[14:15], 0x0
	s_waitcnt vmcnt(5)
	v_lshlrev_b32_e32 v47, 16, v110
	s_waitcnt lgkmcnt(0)
	v_mfma_f32_16x16x16_bf16 a[4:7], v[48:49], v[34:35], a[4:7]
	v_lshl_add_u64 v[34:35], v[54:55], 0, s[66:67]
	v_sub_f32_e32 v42, s4, v105
	v_sub_f32_e32 v46, s4, v106
	v_mfma_f32_16x16x16_bf16 a[0:3], v[48:49], v[36:37], a[0:3]
	v_sub_f32_e32 v48, s4, v107
	v_sub_f32_e32 v49, s4, v43
	v_exp_f32_e32 v42, v42
	v_exp_f32_e32 v43, v46
	;; [unrolled: 1-line block ×4, first 2 shown]
	v_accvgpr_read_b32 v41, a5
	v_accvgpr_read_b32 v37, a7
	;; [unrolled: 1-line block ×4, first 2 shown]
	s_waitcnt vmcnt(4)
	v_lshlrev_b32_e32 v46, 16, v111
	v_lshl_add_u64 v[34:35], v[34:35], 0, v[50:51]
	v_pk_add_f32 v[40:41], v[44:45], v[40:41] neg_lo:[0,1] neg_hi:[0,1]
	v_pk_add_f32 v[36:37], v[46:47], v[36:37] neg_lo:[0,1] neg_hi:[0,1]
	global_store_short_d16_hi v[34:35], v40, off
	global_store_short_d16_hi v[34:35], v41, off offset:256
	global_store_short_d16_hi v[34:35], v36, off offset:512
	;; [unrolled: 1-line block ×3, first 2 shown]
	v_pk_mul_f32 v[40:41], v[42:43], v[40:41]
	v_pk_mul_f32 v[36:37], v[48:49], v[36:37]
	v_accvgpr_read_b32 v45, a1
	v_perm_b32 v40, v41, v40, s47
	v_perm_b32 v41, v37, v36, s47
	s_waitcnt vmcnt(5)
	v_lshlrev_b32_e32 v37, 16, v114
	s_waitcnt vmcnt(4)
	v_lshlrev_b32_e32 v36, 16, v115
	v_accvgpr_read_b32 v44, a0
	v_accvgpr_read_b32 v39, a3
	;; [unrolled: 1-line block ×3, first 2 shown]
	v_pk_add_f32 v[36:37], v[36:37], v[44:45] neg_lo:[0,1] neg_hi:[0,1]
	v_lshlrev_b32_e32 v45, 16, v112
	v_lshlrev_b32_e32 v44, 16, v113
	v_pk_add_f32 v[38:39], v[44:45], v[38:39] neg_lo:[0,1] neg_hi:[0,1]
	global_store_short_d16_hi v[34:35], v36, off offset:32
	global_store_short_d16_hi v[34:35], v37, off offset:288
	;; [unrolled: 1-line block ×4, first 2 shown]
	v_pk_mul_f32 v[34:35], v[42:43], v[36:37]
	v_pk_mul_f32 v[36:37], v[48:49], v[38:39]
	v_mov_b32_e32 v105, 0
	v_perm_b32 v37, v37, v36, s47
	v_perm_b32 v36, v35, v34, s47
	ds_write2_b64 v69, v[40:41], v[36:37] offset1:16
	v_mov_b32_e32 v34, 0
	v_mov_b32_e32 v35, 0
	;; [unrolled: 1-line block ×16, first 2 shown]
	s_cbranch_vccnz .LBB293_14
; %bb.13:                               ;   in Loop: Header=BB293_6 Depth=1
	s_and_b32 s9, s9, 0xffff
	s_mov_b32 s11, s7
	buffer_load_dwordx4 v[46:49], v91, s[8:11], 0 offen
	buffer_load_dwordx4 v[38:41], v91, s[8:11], s56 offen
	;; [unrolled: 1-line block ×4, first 2 shown]
	v_mov_b32_e32 v104, v9
	v_mov_b32_e32 v105, v5
.LBB293_14:                             ;   in Loop: Header=BB293_6 Depth=1
	s_waitcnt lgkmcnt(0)
	s_barrier
	ds_read_b64 v[110:111], v94
	ds_read_b64 v[118:119], v87
	;; [unrolled: 1-line block ×5, first 2 shown]
	ds_read_b64 v[124:125], v88 offset:16384
	ds_read_b64 v[126:127], v86 offset:16384
	ds_read2_b64 v[106:109], v82 offset0:16 offset1:128
	s_waitcnt lgkmcnt(6)
	v_mfma_f32_16x16x16_bf16 a[0:3], v[110:111], v[118:119], 0
	ds_read_b64 v[128:129], v83 offset:3072
	ds_read_b64 v[130:131], v90 offset:16384
	s_add_i32 s5, s57, s63
	s_waitcnt lgkmcnt(2)
	v_mfma_f32_16x16x16_bf16 a[4:7], v[110:111], v[106:107], 0
	ds_read2st64_b64 v[110:113], v83 offset0:2 offset1:4
	s_mul_hi_i32 s9, s5, s33
	s_mul_i32 s5, s5, s33
	v_mfma_f32_16x16x16_bf16 a[0:3], v[114:115], v[108:109], a[0:3]
	s_add_u32 s8, s5, s51
	s_addc_u32 s9, s9, s40
	s_lshl_b64 s[8:9], s[8:9], 15
	s_waitcnt lgkmcnt(0)
	v_mfma_f32_16x16x16_bf16 a[4:7], v[114:115], v[110:111], a[4:7]
	ds_read2st64_b64 v[114:117], v82 offset0:4 offset1:6
	s_waitcnt lgkmcnt(0)
	v_mfma_f32_16x16x16_bf16 a[0:3], v[120:121], v[114:115], a[0:3]
	v_mfma_f32_16x16x16_bf16 a[8:11], v[120:121], v[112:113], a[4:7]
	v_mfma_f32_16x16x16_bf16 a[4:7], v[122:123], v[116:117], a[0:3]
	v_mfma_f32_16x16x16_bf16 a[0:3], v[122:123], v[128:129], a[8:11]
	v_mfma_f32_16x16x16_bf16 a[8:11], v[126:127], v[118:119], 0
	ds_read2st64_b64 v[118:121], v85 offset1:8
	v_mfma_f32_16x16x16_bf16 a[12:15], v[126:127], v[106:107], 0
	ds_read_b64 v[126:127], v89 offset:16384
	v_mfma_f32_16x16x16_bf16 a[8:11], v[124:125], v[108:109], a[8:11]
	ds_read2st64_b64 v[106:109], v84 offset1:8
	s_waitcnt lgkmcnt(0)
	v_mov_b32_e32 v122, v106
	v_mfma_f32_16x16x16_bf16 a[12:15], v[124:125], v[110:111], a[12:15]
	v_lshl_add_u64 v[110:111], v[56:57], 0, s[8:9]
	v_add_co_u32_e32 v106, vcc, s13, v110
	v_mfma_f32_16x16x16_bf16 a[8:11], v[126:127], v[114:115], a[8:11]
	v_mov_b32_e32 v123, v107
	v_addc_co_u32_e32 v107, vcc, 0, v111, vcc
	v_mfma_f32_16x16x16_bf16 a[12:15], v[126:127], v[112:113], a[12:15]
	v_mov_b32_e32 v124, v118
	v_mov_b32_e32 v125, v119
	;; [unrolled: 1-line block ×3, first 2 shown]
	v_mfma_f32_16x16x16_bf16 a[8:11], v[130:131], v[116:117], a[8:11]
	v_mov_b32_e32 v119, v109
	s_and_b64 vcc, exec, s[0:1]
	global_store_dwordx4 v[110:111], v[122:125], off
	v_mfma_f32_16x16x16_bf16 a[12:15], v[130:131], v[128:129], a[12:15]
	global_store_dwordx4 v[106:107], v[118:121], off
	s_cbranch_vccnz .LBB293_16
; %bb.15:                               ;   in Loop: Header=BB293_6 Depth=1
	v_lshrrev_b32_e32 v106, 3, v104
	v_and_b32_e32 v106, 6, v106
	v_xor_b32_e32 v105, v106, v105
	v_lshlrev_b32_e32 v105, 2, v105
	v_and_b32_e32 v104, 8, v104
	v_xor_b32_e32 v107, 0x440, v105
	v_cmp_eq_u32_e32 vcc, 0, v104
	s_barrier
	s_nop 0
	v_cndmask_b32_e32 v104, v107, v105, vcc
	v_lshl_or_b32 v104, v106, 10, v104
	s_waitcnt vmcnt(3)
	v_perm_b32 v105, v46, v42, s61
	s_waitcnt vmcnt(2)
	v_perm_b32 v106, v38, v34, s61
	ds_write2st64_b32 v104, v105, v106 offset0:32 offset1:64
	v_xor_b32_e32 v105, 8, v104
	v_perm_b32 v42, v46, v42, s62
	v_perm_b32 v34, v38, v34, s62
	v_add_u32_e32 v38, 0x80, v105
	ds_write2st64_b32 v38, v42, v34 offset0:32 offset1:64
	v_xor_b32_e32 v34, 16, v104
	v_perm_b32 v38, v47, v43, s61
	v_perm_b32 v42, v39, v35, s61
	ds_write2st64_b32 v34, v38, v42 offset0:33 offset1:65
	v_xor_b32_e32 v34, 24, v104
	v_perm_b32 v38, v47, v43, s62
	v_perm_b32 v35, v39, v35, s62
	v_add_u32_e32 v34, 0x80, v34
	ds_write2st64_b32 v34, v38, v35 offset0:33 offset1:65
	v_xor_b32_e32 v34, 32, v104
	v_perm_b32 v35, v48, v44, s61
	;; [unrolled: 9-line block ×3, first 2 shown]
	v_perm_b32 v36, v41, v37, s61
	ds_write2st64_b32 v34, v35, v36 offset0:35 offset1:67
	v_xor_b32_e32 v34, 56, v104
	v_perm_b32 v35, v49, v45, s62
	v_perm_b32 v36, v41, v37, s62
	v_add_u32_e32 v34, 0x80, v34
	ds_write2st64_b32 v34, v35, v36 offset0:35 offset1:67
	ds_write_b64 v103, v[30:31] offset:24576
	v_xor_b32_e32 v30, 8, v103
	ds_write_b64 v30, v[32:33] offset:24576
	ds_write_b64 v103, v[26:27] offset:32768
	ds_write_b64 v30, v[28:29] offset:32768
	ds_write_b64 v102, v[22:23] offset:24576
	v_xor_b32_e32 v22, 8, v102
	ds_write_b64 v22, v[24:25] offset:24576
	ds_write_b64 v102, v[18:19] offset:32768
	;; [unrolled: 1-line block ×3, first 2 shown]
.LBB293_16:                             ;   in Loop: Header=BB293_6 Depth=1
	s_waitcnt vmcnt(2)
	v_exp_f32_e32 v34, s4
	v_accvgpr_read_b32 v33, a7
	v_accvgpr_read_b32 v25, a3
	;; [unrolled: 1-line block ×16, first 2 shown]
	s_add_i32 s49, s49, 64
	v_fma_f32 v2, v2, v34, v30
	v_fma_f32 v3, v3, v34, v31
	v_fma_f32 v4, v4, v34, v32
	v_fmac_f32_e32 v33, v99, v34
	v_fma_f32 v10, v10, v34, v22
	v_fma_f32 v11, v11, v34, v23
	v_fma_f32 v12, v12, v34, v24
	v_fmac_f32_e32 v25, v101, v34
	;; [unrolled: 4-line block ×3, first 2 shown]
	v_fma_f32 v14, v14, v34, v18
	v_fma_f32 v15, v15, v34, v19
	;; [unrolled: 1-line block ×3, first 2 shown]
	s_cmp_eq_u32 s55, s64
	v_fmac_f32_e32 v21, v100, v34
	s_cbranch_scc1 .LBB293_18
; %bb.17:                               ;   in Loop: Header=BB293_6 Depth=1
	s_mov_b32 s63, s64
	v_mov_b32_e32 v99, v33
	v_mov_b32_e32 v98, v29
	v_mov_b32_e32 v101, v25
	v_mov_b32_e32 v100, v21
	s_branch .LBB293_6
.LBB293_18:
	v_mov_b32_e32 v5, v33
	v_mov_b32_e32 v9, v29
	;; [unrolled: 1-line block ×4, first 2 shown]
.LBB293_19:
	s_lshl_b32 s2, s55, 6
	s_sub_i32 s56, s48, s2
	s_cmp_gt_i32 s56, 0
	v_or_b32_e32 v34, s46, v62
	s_cbranch_scc1 .LBB293_21
; %bb.20:
	s_ashr_i32 s9, s51, 31
	v_or_b32_e32 v18, s46, v62
	s_cbranch_execz .LBB293_22
	s_branch .LBB293_86
.LBB293_21:
                                        ; implicit-def: $vgpr18
                                        ; implicit-def: $sgpr8_sgpr9
.LBB293_22:
	s_add_i32 s8, s2, s44
	s_ashr_i32 s2, s8, 31
	s_cmpk_lg_i32 s39, 0x80
	s_cselect_b64 s[40:41], -1, 0
	s_and_b64 vcc, exec, s[40:41]
	s_cbranch_vccz .LBB293_24
; %bb.23:
	s_mul_i32 s1, s8, s38
	s_ashr_i32 s3, s58, 31
	s_mul_hi_i32 s0, s8, s38
	s_add_u32 s48, s1, s58
	s_addc_u32 s49, s0, s3
	s_cbranch_execz .LBB293_25
	s_branch .LBB293_26
.LBB293_24:
                                        ; implicit-def: $sgpr48_sgpr49
.LBB293_25:
	s_mul_i32 s1, s58, s36
	s_mul_hi_i32 s0, s58, s36
	s_add_u32 s48, s1, s8
	s_addc_u32 s49, s0, s2
.LBB293_26:
	s_add_i32 s3, s55, s57
	s_ashr_i32 s9, s51, 31
	s_add_u32 s0, s60, s8
	v_lshlrev_b32_e32 v22, 5, v1
	v_lshlrev_b32_e32 v40, 2, v62
	s_addc_u32 s1, s59, s2
	s_mov_b32 s2, 0x7060302
	v_or_b32_e32 v25, v22, v40
	v_xor_b32_e32 v23, v1, v40
	v_perm_b32 v19, v5, v4, s2
	v_perm_b32 v18, v3, v2, s2
	;; [unrolled: 1-line block ×4, first 2 shown]
	v_lshlrev_b32_e32 v25, 1, v25
	s_lshl_b64 s[10:11], s[0:1], 8
	v_xor_b32_e32 v24, v65, v40
	ds_write2st64_b64 v25, v[18:19], v[20:21] offset0:80 offset1:88
	v_lshlrev_b32_e32 v23, 1, v23
	v_lshlrev_b32_e32 v25, 8, v62
	s_add_u32 s0, s26, s10
	v_or_b32_e32 v26, v23, v25
	v_lshlrev_b32_e32 v24, 1, v24
	s_addc_u32 s1, s27, s11
	ds_write_b64 v26, v[18:19]
	v_or_b32_e32 v18, v24, v25
	v_or_b32_e32 v25, 16, v62
	s_mul_hi_i32 s4, s3, s37
	s_mul_i32 s3, s3, s37
	ds_write_b64 v18, v[20:21]
	v_perm_b32 v19, v13, v12, s2
	v_perm_b32 v18, v11, v10, s2
	v_perm_b32 v21, v17, v16, s2
	v_perm_b32 v20, v15, v14, s2
	v_lshlrev_b32_e32 v37, 2, v25
	s_add_u32 s2, s3, s51
	v_or_b32_e32 v22, v22, v37
	s_addc_u32 s3, s4, s9
	v_lshlrev_b32_e32 v22, 1, v22
	s_ashr_i32 s47, s46, 31
	s_lshl_b64 s[2:3], s[2:3], 15
	ds_write2st64_b64 v22, v[18:19], v[20:21] offset0:80 offset1:88
	v_lshlrev_b32_e32 v22, 8, v25
	s_add_u32 s4, s16, s2
	v_or_b32_e32 v23, v23, v22
	s_addc_u32 s5, s17, s3
	s_lshl_b64 s[2:3], s[46:47], 8
	ds_write_b64 v23, v[18:19]
	v_or_b32_e32 v18, v24, v22
	s_add_u32 s2, s4, s2
	ds_write_b64 v18, v[20:21]
	v_lshrrev_b32_e32 v18, 4, v0
	s_addc_u32 s3, s5, s3
	v_lshlrev_b32_e32 v19, 1, v62
	v_lshlrev_b32_e32 v26, 4, v62
	v_mov_b32_e32 v27, 0
	v_or_b32_e32 v20, 1, v19
	v_xor_b32_e32 v19, v18, v19
	v_lshl_add_u64 v[28:29], s[2:3], 0, v[26:27]
	v_lshlrev_b32_e32 v26, 8, v18
	v_xor_b32_e32 v22, v20, v18
	v_lshl_or_b32 v18, v19, 3, v26
	s_waitcnt lgkmcnt(0)
	s_barrier
	ds_read2st64_b64 v[18:21], v18 offset1:8
	v_lshl_or_b32 v22, v22, 3, v26
	ds_read2st64_b64 v[22:25], v22 offset1:8
	v_lshl_add_u64 v[30:31], v[28:29], 0, v[26:27]
	s_movk_i32 s2, 0x1000
	s_waitcnt lgkmcnt(1)
	v_mov_b32_e32 v26, v18
	v_add_co_u32_e32 v18, vcc, s2, v30
	s_cmp_lg_u32 s56, 64
	v_mov_b32_e32 v27, v19
	v_addc_co_u32_e32 v19, vcc, 0, v31, vcc
	s_cselect_b64 s[14:15], -1, 0
	v_lshl_or_b32 v35, v58, 3, v64
	s_waitcnt lgkmcnt(0)
	v_mov_b32_e32 v28, v22
	v_mov_b32_e32 v29, v23
	v_mov_b32_e32 v22, v20
	v_mov_b32_e32 v23, v21
	s_mov_b32 s4, 0
	v_or_b32_e32 v38, 32, v35
	v_and_b32_e32 v36, 56, v63
	s_and_b64 vcc, exec, s[14:15]
	global_store_dwordx4 v[30:31], v[26:29], off
	global_store_dwordx4 v[18:19], v[22:25], off
	s_cbranch_vccz .LBB293_32
; %bb.27:
	s_mov_b32 s6, s4
	s_mov_b32 s7, s4
	;; [unrolled: 1-line block ×3, first 2 shown]
	v_mov_b64_e32 v[24:25], s[6:7]
	v_mov_b64_e32 v[22:23], s[4:5]
	;; [unrolled: 1-line block ×3, first 2 shown]
	v_cmp_gt_i32_e32 vcc, s56, v35
	v_mov_b64_e32 v[20:21], v[24:25]
	s_and_saveexec_b64 s[2:3], vcc
	s_cbranch_execz .LBB293_29
; %bb.28:
	v_lshlrev_b32_e32 v18, 8, v35
	v_mov_b32_e32 v19, 0
	v_lshl_add_u64 v[20:21], s[0:1], 0, v[18:19]
	v_lshlrev_b32_e32 v18, 1, v36
	v_lshl_add_u64 v[26:27], v[20:21], 0, v[18:19]
	global_load_dwordx4 v[22:25], v[26:27], off
	global_load_dwordx4 v[18:21], v[26:27], off offset:128
.LBB293_29:
	s_or_b64 exec, exec, s[2:3]
	s_mov_b32 s6, s4
	s_mov_b32 s7, s4
	;; [unrolled: 1-line block ×3, first 2 shown]
	v_mov_b64_e32 v[32:33], s[6:7]
	v_mov_b64_e32 v[30:31], s[4:5]
	;; [unrolled: 1-line block ×3, first 2 shown]
	v_cmp_gt_i32_e32 vcc, s56, v38
	v_lshlrev_b32_e32 v39, 7, v38
	v_mov_b64_e32 v[28:29], v[32:33]
	s_and_saveexec_b64 s[2:3], vcc
	s_cbranch_execz .LBB293_31
; %bb.30:
	v_lshlrev_b32_e32 v26, 1, v39
	v_mov_b32_e32 v27, 0
	v_lshl_add_u64 v[28:29], s[0:1], 0, v[26:27]
	v_lshlrev_b32_e32 v26, 1, v36
	v_lshl_add_u64 v[42:43], v[28:29], 0, v[26:27]
	global_load_dwordx4 v[30:33], v[42:43], off
	global_load_dwordx4 v[26:29], v[42:43], off offset:128
.LBB293_31:
	s_or_b64 exec, exec, s[2:3]
	v_lshrrev_b32_e32 v41, 3, v36
	v_lshlrev_b32_e32 v42, 3, v35
	v_or_b32_e32 v41, v42, v41
	v_lshlrev_b32_e32 v41, 4, v41
	v_and_b32_e32 v42, 0x78, v42
	v_xor_b32_e32 v41, v41, v42
	s_branch .LBB293_34
.LBB293_32:
                                        ; implicit-def: $vgpr41
                                        ; implicit-def: $vgpr39
                                        ; implicit-def: $vgpr22_vgpr23_vgpr24_vgpr25
                                        ; implicit-def: $vgpr18_vgpr19_vgpr20_vgpr21
                                        ; implicit-def: $vgpr30_vgpr31_vgpr32_vgpr33
                                        ; implicit-def: $vgpr26_vgpr27_vgpr28_vgpr29
	s_cbranch_execz .LBB293_34
; %bb.33:
	s_waitcnt vmcnt(0)
	v_lshlrev_b32_e32 v18, 1, v36
	v_lshl_or_b32 v39, v35, 8, v18
	s_and_b32 s1, s1, 0xffff
	s_mov_b32 s3, 0x20000
	s_movk_i32 s2, 0x4000
	v_lshl_or_b32 v41, v38, 8, v18
	s_movk_i32 s4, 0x80
	buffer_load_dwordx4 v[22:25], v39, s[0:3], 0 offen
	buffer_load_dwordx4 v[18:21], v39, s[0:3], s4 offen
	;; [unrolled: 1-line block ×4, first 2 shown]
	v_lshrrev_b32_e32 v39, 3, v36
	v_lshlrev_b32_e32 v41, 3, v35
	v_or_b32_e32 v39, v41, v39
	v_lshlrev_b32_e32 v39, 4, v39
	v_and_b32_e32 v41, 0x78, v41
	v_xor_b32_e32 v41, v39, v41
	v_lshlrev_b32_e32 v39, 7, v38
.LBB293_34:
	s_lshl_b64 s[0:1], s[48:49], 8
	s_add_u32 s4, s24, s0
	s_movk_i32 s0, 0x1000
	v_and_or_b32 v38, v39, s0, v41
	s_waitcnt vmcnt(1)
	ds_write_b64 v41, v[22:23] offset:24576
	v_xor_b32_e32 v22, 8, v41
	ds_write_b64 v22, v[24:25] offset:24576
	s_waitcnt vmcnt(0)
	ds_write_b64 v41, v[18:19] offset:32768
	ds_write_b64 v22, v[20:21] offset:32768
	;; [unrolled: 1-line block ×3, first 2 shown]
	v_xor_b32_e32 v18, 8, v38
	ds_write_b64 v18, v[32:33] offset:24576
	ds_write_b64 v38, v[26:27] offset:32768
	;; [unrolled: 1-line block ×3, first 2 shown]
	v_or_b32_e32 v18, v59, v62
	v_lshlrev_b32_e32 v18, 3, v18
	v_lshrrev_b32_e32 v19, 5, v60
	s_movk_i32 s7, 0xf8
	v_and_or_b32 v19, v18, s7, v19
	v_lshlrev_b32_e32 v23, 4, v19
	v_lshlrev_b32_e32 v41, 11, v58
	v_and_b32_e32 v24, 0x78, v18
	v_or_b32_e32 v26, 32, v23
	v_and_b32_e32 v22, 0x1000, v41
	v_lshrrev_b32_e32 v19, 1, v60
	v_xor_b32_e32 v26, v26, v24
	v_xor_b32_e32 v18, v23, v24
	v_and_b32_e32 v25, 8, v19
	v_or_b32_e32 v26, v26, v22
	v_or_b32_e32 v18, v18, v22
	v_xor_b32_e32 v45, v26, v25
	v_or_b32_e32 v26, 64, v23
	v_xor_b32_e32 v44, v18, v25
	v_xor_b32_e32 v26, v26, v24
	s_waitcnt lgkmcnt(0)
	s_barrier
	v_or_b32_e32 v28, v26, v22
	ds_read_b64 v[26:27], v44 offset:24576
	v_lshl_or_b32 v38, v61, 7, v40
	v_lshlrev_b32_e32 v42, 1, v38
	v_add_u32_e32 v18, 0xa000, v42
	ds_read2_b64 v[18:21], v18 offset1:16
	v_or_b32_e32 v23, 0x60, v23
	v_xor_b32_e32 v23, v23, v24
	s_waitcnt lgkmcnt(0)
	v_mfma_f32_16x16x16_bf16 a[0:3], v[26:27], v[18:19], 0
	v_or_b32_e32 v18, 64, v38
	v_or_b32_e32 v22, v23, v22
	v_lshlrev_b32_e32 v43, 1, v18
	v_xor_b32_e32 v46, v28, v25
	v_xor_b32_e32 v47, v22, v25
	ds_read_b64 v[28:29], v45 offset:24576
	ds_read_b64 v[30:31], v46 offset:24576
	;; [unrolled: 1-line block ×3, first 2 shown]
	v_mfma_f32_16x16x16_bf16 a[4:7], v[26:27], v[20:21], 0
	ds_read2st64_b64 v[18:21], v43 offset0:82 offset1:84
	ds_read2st64_b64 v[22:25], v42 offset0:82 offset1:84
	s_addc_u32 s5, s25, s1
	s_add_i32 s2, s45, -1
	s_add_i32 s0, s53, s52
	s_add_i32 s13, s0, s54
	s_mul_i32 s0, s51, s43
	s_mul_hi_u32 s1, s51, s42
	s_ashr_i32 s3, s2, 31
	s_mul_i32 s6, s2, s23
	s_mul_hi_u32 s7, s2, s22
	s_add_i32 s0, s1, s0
	s_mul_i32 s1, s9, s42
	s_add_i32 s6, s7, s6
	s_mul_i32 s3, s3, s22
	s_waitcnt lgkmcnt(1)
	v_mfma_f32_16x16x16_bf16 a[4:7], v[28:29], v[18:19], a[4:7]
	s_add_i32 s1, s0, s1
	s_add_i32 s3, s6, s3
	s_lshl_b64 s[6:7], s[12:13], 2
	s_waitcnt lgkmcnt(0)
	v_mfma_f32_16x16x16_bf16 a[0:3], v[28:29], v[22:23], a[0:3]
	s_mul_i32 s0, s51, s42
	s_add_u32 s6, s30, s6
	s_addc_u32 s7, s31, s7
	s_lshl_b64 s[0:1], s[0:1], 2
	s_mul_i32 s2, s2, s22
	s_add_u32 s12, s6, s0
	ds_read_b64 v[18:19], v42 offset:44032
	v_mfma_f32_16x16x16_bf16 a[4:7], v[30:31], v[20:21], a[4:7]
	ds_read_b64 v[20:21], v43 offset:44032
	s_addc_u32 s13, s7, s1
	s_lshl_b64 s[0:1], s[2:3], 2
	v_mfma_f32_16x16x16_bf16 a[0:3], v[30:31], v[24:25], a[0:3]
	s_add_u32 s0, s12, s0
	s_addc_u32 s1, s13, s1
	s_load_dword s16, s[0:1], 0x0
	s_waitcnt lgkmcnt(0)
	v_mfma_f32_16x16x16_bf16 a[0:3], v[32:33], v[18:19], a[0:3]
	s_and_b64 vcc, exec, s[40:41]
	v_mfma_f32_16x16x16_bf16 a[4:7], v[32:33], v[20:21], a[4:7]
	s_cbranch_vccz .LBB293_45
; %bb.35:
	v_lshlrev_b32_e32 v38, 1, v35
	s_and_b64 vcc, exec, s[14:15]
	s_cbranch_vccz .LBB293_46
; %bb.36:
	v_cmp_gt_i32_e32 vcc, s56, v38
	v_mov_b32_e32 v22, 0
	v_mov_b32_e32 v18, 0
	;; [unrolled: 1-line block ×5, first 2 shown]
	s_and_saveexec_b64 s[0:1], vcc
	s_cbranch_execz .LBB293_38
; %bb.37:
	v_mad_i64_i32 v[18:19], s[2:3], s39, v38, 0
	v_lshl_add_u64 v[18:19], v[18:19], 1, s[4:5]
	v_lshlrev_b32_e32 v20, 1, v36
	v_mov_b32_e32 v21, 0
	v_lshl_add_u64 v[18:19], v[18:19], 0, v[20:21]
	global_load_dwordx4 v[18:21], v[18:19], off
.LBB293_38:
	s_or_b64 exec, exec, s[0:1]
	v_or_b32_e32 v39, 1, v38
	v_cmp_gt_i32_e64 s[0:1], s56, v39
	v_mov_b32_e32 v23, 0
	v_mov_b32_e32 v24, 0
	;; [unrolled: 1-line block ×3, first 2 shown]
	s_and_saveexec_b64 s[2:3], s[0:1]
	s_cbranch_execz .LBB293_40
; %bb.39:
	v_mad_i64_i32 v[22:23], s[6:7], s39, v39, 0
	v_lshl_add_u64 v[22:23], v[22:23], 1, s[4:5]
	v_lshlrev_b32_e32 v24, 1, v36
	v_mov_b32_e32 v25, 0
	v_lshl_add_u64 v[22:23], v[22:23], 0, v[24:25]
	global_load_dwordx4 v[22:25], v[22:23], off
.LBB293_40:
	s_or_b64 exec, exec, s[2:3]
	v_mov_b32_e32 v33, 0
	v_mov_b32_e32 v26, 0
	;; [unrolled: 1-line block ×5, first 2 shown]
	s_and_saveexec_b64 s[2:3], vcc
	s_cbranch_execz .LBB293_42
; %bb.41:
	v_mad_i64_i32 v[26:27], s[6:7], s39, v38, 0
	v_lshl_add_u64 v[26:27], v[26:27], 1, s[4:5]
	v_lshlrev_b32_e32 v28, 1, v36
	v_mov_b32_e32 v29, 0
	v_lshl_add_u64 v[26:27], v[26:27], 0, v[28:29]
	global_load_dwordx4 v[26:29], v[26:27], off offset:128
.LBB293_42:
	s_or_b64 exec, exec, s[2:3]
	v_mov_b32_e32 v32, 0
	v_mov_b32_e32 v31, 0
	;; [unrolled: 1-line block ×3, first 2 shown]
	s_and_saveexec_b64 s[2:3], s[0:1]
	s_cbranch_execz .LBB293_44
; %bb.43:
	v_mad_i64_i32 v[30:31], s[0:1], s39, v39, 0
	v_lshl_add_u64 v[30:31], v[30:31], 1, s[4:5]
	v_lshlrev_b32_e32 v32, 1, v36
	v_mov_b32_e32 v33, 0
	v_lshl_add_u64 v[30:31], v[30:31], 0, v[32:33]
	global_load_dwordx4 v[30:33], v[30:31], off offset:128
.LBB293_44:
	s_or_b64 exec, exec, s[2:3]
	s_branch .LBB293_48
.LBB293_45:
                                        ; implicit-def: $vgpr21
                                        ; implicit-def: $vgpr25
                                        ; implicit-def: $vgpr29
                                        ; implicit-def: $vgpr33
	v_lshrrev_b32_e32 v48, 2, v60
	s_branch .LBB293_49
.LBB293_46:
                                        ; implicit-def: $vgpr21
                                        ; implicit-def: $vgpr25
                                        ; implicit-def: $vgpr29
                                        ; implicit-def: $vgpr33
	s_cbranch_execz .LBB293_48
; %bb.47:
	s_waitcnt vmcnt(0)
	v_mad_u64_u32 v[18:19], s[0:1], v38, s39, v[36:37]
	v_lshlrev_b32_e32 v38, 1, v18
	s_lshl_b32 s2, s39, 7
	s_and_b32 s1, s5, 0xffff
	s_mov_b32 s3, 0x20000
	s_mov_b32 s0, s4
	v_add_lshl_u32 v39, v18, s39, 1
	s_movk_i32 s6, 0x80
	buffer_load_dwordx4 v[18:21], v38, s[0:3], 0 offen
	buffer_load_dwordx4 v[26:29], v38, s[0:3], s6 offen
	;; [unrolled: 1-line block ×4, first 2 shown]
.LBB293_48:
	v_lshrrev_b32_e32 v48, 2, v60
	s_cbranch_execnz .LBB293_61
.LBB293_49:
	s_and_b64 vcc, exec, s[14:15]
	s_cbranch_vccz .LBB293_59
; %bb.50:
	s_waitcnt vmcnt(0)
	v_lshlrev_b32_e32 v23, 1, v35
	v_cmp_gt_i32_e32 vcc, s56, v23
	v_mov_b32_e32 v22, 0
	v_lshlrev_b32_e32 v30, 9, v35
	v_mov_b32_e32 v18, 0
	v_mov_b32_e32 v19, 0
	;; [unrolled: 1-line block ×4, first 2 shown]
	s_and_saveexec_b64 s[0:1], vcc
	s_cbranch_execz .LBB293_52
; %bb.51:
	v_mov_b32_e32 v31, 0
	v_lshl_add_u64 v[18:19], s[4:5], 0, v[30:31]
	v_lshlrev_b32_e32 v20, 1, v36
	v_mov_b32_e32 v21, v31
	v_lshl_add_u64 v[18:19], v[18:19], 0, v[20:21]
	global_load_dwordx4 v[18:21], v[18:19], off
.LBB293_52:
	s_or_b64 exec, exec, s[0:1]
	v_or_b32_e32 v23, 1, v23
	v_cmp_gt_i32_e64 s[0:1], s56, v23
	v_lshlrev_b32_e32 v38, 8, v23
	v_mov_b32_e32 v23, 0
	v_mov_b32_e32 v24, 0
	;; [unrolled: 1-line block ×3, first 2 shown]
	s_and_saveexec_b64 s[2:3], s[0:1]
	s_cbranch_execz .LBB293_54
; %bb.53:
	v_mov_b32_e32 v39, 0
	v_lshl_add_u64 v[22:23], s[4:5], 0, v[38:39]
	v_lshlrev_b32_e32 v24, 1, v36
	v_mov_b32_e32 v25, v39
	v_lshl_add_u64 v[22:23], v[22:23], 0, v[24:25]
	global_load_dwordx4 v[22:25], v[22:23], off
.LBB293_54:
	s_or_b64 exec, exec, s[2:3]
	v_mov_b32_e32 v33, 0
	v_mov_b32_e32 v26, 0
	;; [unrolled: 1-line block ×5, first 2 shown]
	s_and_saveexec_b64 s[2:3], vcc
	s_cbranch_execz .LBB293_56
; %bb.55:
	v_mov_b32_e32 v31, 0
	v_lshl_add_u64 v[26:27], s[4:5], 0, v[30:31]
	v_lshlrev_b32_e32 v30, 1, v36
	v_lshl_add_u64 v[26:27], v[26:27], 0, v[30:31]
	global_load_dwordx4 v[26:29], v[26:27], off offset:128
.LBB293_56:
	s_or_b64 exec, exec, s[2:3]
	v_mov_b32_e32 v32, 0
	v_mov_b32_e32 v31, 0
	;; [unrolled: 1-line block ×3, first 2 shown]
	s_and_saveexec_b64 s[2:3], s[0:1]
	s_cbranch_execz .LBB293_58
; %bb.57:
	v_mov_b32_e32 v39, 0
	v_lshl_add_u64 v[30:31], s[4:5], 0, v[38:39]
	v_lshlrev_b32_e32 v38, 1, v36
	v_lshl_add_u64 v[30:31], v[30:31], 0, v[38:39]
	global_load_dwordx4 v[30:33], v[30:31], off offset:128
.LBB293_58:
	s_or_b64 exec, exec, s[2:3]
	s_branch .LBB293_61
.LBB293_59:
                                        ; implicit-def: $vgpr21
                                        ; implicit-def: $vgpr25
                                        ; implicit-def: $vgpr29
                                        ; implicit-def: $vgpr33
	s_cbranch_execz .LBB293_61
; %bb.60:
	s_waitcnt vmcnt(0)
	v_lshlrev_b32_e32 v18, 1, v36
	v_lshl_or_b32 v36, v35, 9, v18
	s_and_b32 s5, s5, 0xffff
	s_mov_b32 s7, 0x20000
	s_movk_i32 s6, 0x4000
	s_movk_i32 s0, 0x80
	buffer_load_dwordx4 v[18:21], v36, s[4:7], 0 offen
	buffer_load_dwordx4 v[22:25], v36, s[4:7], 0 offen offset:256
	buffer_load_dwordx4 v[26:29], v36, s[4:7], s0 offen
	buffer_load_dwordx4 v[30:33], v36, s[4:7], s0 offen offset:256
.LBB293_61:
	ds_read_b64 v[38:39], v44 offset:32768
	v_add_u32_e32 v36, 0xb000, v42
	ds_read2_b64 v[50:53], v36 offset1:16
	ds_read_b64 v[54:55], v45 offset:32768
	ds_read_b64 v[56:57], v46 offset:32768
	;; [unrolled: 1-line block ×3, first 2 shown]
	v_and_b32_e32 v36, 6, v0
	v_xor_b32_e32 v35, v35, v36
	v_lshlrev_b32_e32 v35, 2, v35
	v_and_b32_e32 v49, 1, v0
	v_cmp_eq_u32_e32 vcc, 0, v49
	s_mov_b32 s0, 0x1000504
	s_waitcnt lgkmcnt(3)
	v_mfma_f32_16x16x16_bf16 a[0:3], v[38:39], v[50:51], a[0:3]
	s_mov_b32 s1, 0x3020706
	v_mfma_f32_16x16x16_bf16 a[4:7], v[38:39], v[52:53], a[4:7]
	ds_read2st64_b64 v[44:47], v42 offset0:90 offset1:92
	ds_read2st64_b64 v[50:53], v43 offset0:90 offset1:92
	s_waitcnt lgkmcnt(1)
	v_mfma_f32_16x16x16_bf16 a[0:3], v[54:55], v[44:45], a[0:3]
	ds_read_b64 v[38:39], v42 offset:48128
	ds_read_b64 v[44:45], v43 offset:48128
	s_waitcnt lgkmcnt(2)
	v_mfma_f32_16x16x16_bf16 a[4:7], v[54:55], v[50:51], a[4:7]
	v_mfma_f32_16x16x16_bf16 a[0:3], v[56:57], v[46:47], a[0:3]
	v_xor_b32_e32 v46, 0x440, v35
	v_cndmask_b32_e32 v35, v46, v35, vcc
	v_lshl_or_b32 v35, v36, 10, v35
	v_mfma_f32_16x16x16_bf16 a[8:11], v[56:57], v[52:53], a[4:7]
	s_waitcnt vmcnt(0)
	v_perm_b32 v36, v18, v22, s0
	v_perm_b32 v18, v18, v22, s1
	;; [unrolled: 1-line block ×3, first 2 shown]
	s_waitcnt lgkmcnt(1)
	v_mfma_f32_16x16x16_bf16 a[4:7], v[60:61], v[38:39], a[0:3]
	v_perm_b32 v38, v26, v30, s0
	ds_write2st64_b32 v35, v36, v38 offset0:32 offset1:64
	v_xor_b32_e32 v36, 8, v35
	v_add_u32_e32 v26, 0x80, v36
	ds_write2st64_b32 v26, v18, v22 offset0:32 offset1:64
	v_xor_b32_e32 v18, 16, v35
	v_perm_b32 v22, v19, v23, s0
	v_perm_b32 v26, v27, v31, s0
	ds_write2st64_b32 v18, v22, v26 offset0:33 offset1:65
	v_xor_b32_e32 v18, 24, v35
	v_perm_b32 v19, v19, v23, s1
	v_perm_b32 v22, v27, v31, s1
	v_add_u32_e32 v18, 0x80, v18
	ds_write2st64_b32 v18, v19, v22 offset0:33 offset1:65
	v_xor_b32_e32 v18, 32, v35
	v_perm_b32 v19, v20, v24, s0
	v_perm_b32 v22, v28, v32, s0
	ds_write2st64_b32 v18, v19, v22 offset0:34 offset1:66
	v_xor_b32_e32 v18, 40, v35
	s_waitcnt lgkmcnt(5)
	v_mfma_f32_16x16x16_bf16 a[0:3], v[60:61], v[44:45], a[8:11]
	v_perm_b32 v19, v20, v24, s1
	v_perm_b32 v20, v28, v32, s1
	v_add_u32_e32 v18, 0x80, v18
	ds_write2st64_b32 v18, v19, v20 offset0:34 offset1:66
	v_xor_b32_e32 v18, 48, v35
	v_perm_b32 v19, v21, v25, s0
	v_perm_b32 v20, v29, v33, s0
	ds_write2st64_b32 v18, v19, v20 offset0:35 offset1:67
	v_xor_b32_e32 v18, 56, v35
	v_and_or_b32 v45, v48, 12, v59
	v_perm_b32 v19, v21, v25, s1
	v_perm_b32 v20, v29, v33, s1
	v_add_u32_e32 v18, 0x80, v18
	v_cmp_gt_i32_e64 s[0:1], s56, v45
	v_mov_b32_e32 v38, 0
	v_mov_b32_e32 v39, 0
	ds_write2st64_b32 v18, v19, v20 offset0:35 offset1:67
	s_and_saveexec_b64 s[2:3], s[0:1]
	s_cbranch_execz .LBB293_63
; %bb.62:
	v_add_u32_e32 v18, s8, v45
	v_ashrrev_i32_e32 v19, 31, v18
	v_mul_lo_u32 v20, v19, s22
	v_mul_lo_u32 v21, v18, s23
	v_mad_u64_u32 v[18:19], s[4:5], v18, s22, 0
	v_add3_u32 v19, v19, v21, v20
	v_lshl_add_u64 v[18:19], v[18:19], 2, s[12:13]
	global_load_dword v18, v[18:19], off
	s_waitcnt vmcnt(0)
	v_sub_f32_e32 v18, s16, v18
	v_exp_f32_e32 v39, v18
.LBB293_63:
	s_or_b64 exec, exec, s[2:3]
	v_or_b32_e32 v30, 1, v45
	v_cmp_gt_i32_e64 s[4:5], s56, v30
	s_and_saveexec_b64 s[2:3], s[4:5]
	s_cbranch_execz .LBB293_65
; %bb.64:
	v_add_u32_e32 v18, s8, v30
	v_ashrrev_i32_e32 v19, 31, v18
	v_mul_lo_u32 v20, v19, s22
	v_mul_lo_u32 v21, v18, s23
	v_mad_u64_u32 v[18:19], s[6:7], v18, s22, 0
	v_add3_u32 v19, v19, v21, v20
	v_lshl_add_u64 v[18:19], v[18:19], 2, s[12:13]
	global_load_dword v18, v[18:19], off
	s_waitcnt vmcnt(0)
	v_sub_f32_e32 v18, s16, v18
	v_exp_f32_e32 v38, v18
.LBB293_65:
	s_or_b64 exec, exec, s[2:3]
	v_or_b32_e32 v28, 2, v45
	v_cmp_gt_i32_e64 s[2:3], s56, v28
	v_mov_b32_e32 v36, 0
	v_mov_b32_e32 v44, 0
	s_and_saveexec_b64 s[6:7], s[2:3]
	s_cbranch_execz .LBB293_67
; %bb.66:
	v_add_u32_e32 v18, s8, v28
	v_ashrrev_i32_e32 v19, 31, v18
	v_mul_lo_u32 v20, v19, s22
	v_mul_lo_u32 v21, v18, s23
	v_mad_u64_u32 v[18:19], s[14:15], v18, s22, 0
	v_add3_u32 v19, v19, v21, v20
	v_lshl_add_u64 v[18:19], v[18:19], 2, s[12:13]
	global_load_dword v18, v[18:19], off
	s_waitcnt vmcnt(0)
	v_sub_f32_e32 v18, s16, v18
	v_exp_f32_e32 v44, v18
.LBB293_67:
	s_or_b64 exec, exec, s[6:7]
	v_or_b32_e32 v29, 3, v45
	v_cmp_gt_i32_e32 vcc, s56, v29
	s_and_saveexec_b64 s[6:7], vcc
	s_cbranch_execz .LBB293_69
; %bb.68:
	v_add_u32_e32 v18, s8, v29
	v_ashrrev_i32_e32 v19, 31, v18
	v_mul_lo_u32 v20, v19, s22
	v_mul_lo_u32 v21, v18, s23
	v_mad_u64_u32 v[18:19], s[14:15], v18, s22, 0
	v_add3_u32 v19, v19, v21, v20
	v_lshl_add_u64 v[18:19], v[18:19], 2, s[12:13]
	global_load_dword v18, v[18:19], off
	s_waitcnt vmcnt(0)
	v_sub_f32_e32 v18, s16, v18
	v_exp_f32_e32 v36, v18
.LBB293_69:
	s_or_b64 exec, exec, s[6:7]
	s_add_u32 s6, s28, s10
	s_addc_u32 s7, s29, s11
	s_add_u32 s10, s18, s10
	v_ashrrev_i32_e32 v35, 31, v34
	v_accvgpr_read_b32 v21, a7
	s_addc_u32 s11, s19, s11
	v_lshlrev_b64 v[22:23], 1, v[34:35]
	v_accvgpr_read_b32 v20, a6
	v_accvgpr_read_b32 v19, a5
	;; [unrolled: 1-line block ×3, first 2 shown]
	v_lshl_add_u64 v[24:25], s[6:7], 0, v[22:23]
	v_lshl_add_u64 v[22:23], s[10:11], 0, v[22:23]
	v_mov_b32_e32 v31, 0
	v_lshlrev_b32_e32 v26, 8, v45
	v_mov_b32_e32 v27, 0
	s_and_saveexec_b64 s[6:7], s[0:1]
	s_cbranch_execz .LBB293_71
; %bb.70:
	v_mov_b32_e32 v27, 0
	v_lshl_add_u64 v[32:33], v[24:25], 0, v[26:27]
	global_load_ushort v35, v[32:33], off
	v_lshl_add_u64 v[32:33], v[22:23], 0, v[26:27]
	s_waitcnt vmcnt(0)
	v_lshlrev_b32_e32 v27, 16, v35
	v_sub_f32_e32 v18, v27, v18
	global_store_short_d16_hi v[32:33], v18, off
	v_mul_f32_e32 v18, v39, v18
	v_lshrrev_b32_e32 v27, 16, v18
.LBB293_71:
	s_or_b64 exec, exec, s[6:7]
	v_lshlrev_b32_e32 v30, 8, v30
	s_and_saveexec_b64 s[6:7], s[4:5]
	s_cbranch_execz .LBB293_73
; %bb.72:
	v_mov_b32_e32 v31, 0
	v_lshl_add_u64 v[32:33], v[24:25], 0, v[30:31]
	global_load_ushort v18, v[32:33], off
	v_lshl_add_u64 v[32:33], v[22:23], 0, v[30:31]
	s_waitcnt vmcnt(0)
	v_lshlrev_b32_e32 v18, 16, v18
	v_sub_f32_e32 v18, v18, v19
	global_store_short_d16_hi v[32:33], v18, off
	v_mul_f32_e32 v18, v38, v18
	v_lshrrev_b32_e32 v31, 16, v18
.LBB293_73:
	s_or_b64 exec, exec, s[6:7]
	v_mov_b32_e32 v46, 0
	v_lshlrev_b32_e32 v32, 8, v28
	v_mov_b32_e32 v33, 0
	s_and_saveexec_b64 s[6:7], s[2:3]
	s_cbranch_execz .LBB293_75
; %bb.74:
	v_mov_b32_e32 v33, 0
	v_lshl_add_u64 v[18:19], v[24:25], 0, v[32:33]
	global_load_ushort v28, v[18:19], off
	v_lshl_add_u64 v[18:19], v[22:23], 0, v[32:33]
	s_waitcnt vmcnt(0)
	v_lshlrev_b32_e32 v28, 16, v28
	v_sub_f32_e32 v20, v28, v20
	global_store_short_d16_hi v[18:19], v20, off
	v_mul_f32_e32 v18, v44, v20
	v_lshrrev_b32_e32 v33, 16, v18
.LBB293_75:
	s_or_b64 exec, exec, s[6:7]
	v_lshlrev_b32_e32 v28, 8, v29
	s_and_saveexec_b64 s[6:7], vcc
	s_cbranch_execz .LBB293_77
; %bb.76:
	v_mov_b32_e32 v29, 0
	v_lshl_add_u64 v[18:19], v[24:25], 0, v[28:29]
	global_load_ushort v20, v[18:19], off
	v_lshl_add_u64 v[18:19], v[22:23], 0, v[28:29]
	s_waitcnt vmcnt(0)
	v_lshlrev_b32_e32 v20, 16, v20
	v_sub_f32_e32 v20, v20, v21
	global_store_short_d16_hi v[18:19], v20, off
	v_mul_f32_e32 v18, v36, v20
	v_lshrrev_b32_e32 v46, 16, v18
.LBB293_77:
	s_or_b64 exec, exec, s[6:7]
	v_lshlrev_b32_e32 v35, 5, v45
	s_mov_b32 s6, 0x5040100
	v_perm_b32 v47, v46, v33, s6
	v_perm_b32 v46, v31, v27, s6
	v_or_b32_e32 v27, v35, v40
	v_accvgpr_read_b32 v21, a3
	v_lshlrev_b32_e32 v27, 1, v27
	v_accvgpr_read_b32 v20, a2
	v_accvgpr_read_b32 v19, a1
	;; [unrolled: 1-line block ×3, first 2 shown]
	ds_write_b64 v27, v[46:47] offset:45056
	v_mov_b32_e32 v31, 0
	v_mov_b32_e32 v27, 0
	s_and_saveexec_b64 s[6:7], s[0:1]
	s_cbranch_execz .LBB293_79
; %bb.78:
	v_mov_b32_e32 v27, 0
	v_lshl_add_u64 v[46:47], v[24:25], 0, v[26:27]
	global_load_ushort v29, v[46:47], off offset:32
	v_lshl_add_u64 v[26:27], v[22:23], 0, v[26:27]
	s_waitcnt vmcnt(0)
	v_lshlrev_b32_e32 v29, 16, v29
	v_sub_f32_e32 v18, v29, v18
	global_store_short_d16_hi v[26:27], v18, off offset:32
	v_mul_f32_e32 v18, v39, v18
	v_lshrrev_b32_e32 v27, 16, v18
.LBB293_79:
	s_or_b64 exec, exec, s[6:7]
	s_and_saveexec_b64 s[0:1], s[4:5]
	s_cbranch_execz .LBB293_81
; %bb.80:
	v_mov_b32_e32 v31, 0
	v_lshl_add_u64 v[46:47], v[24:25], 0, v[30:31]
	global_load_ushort v18, v[46:47], off offset:32
	v_lshl_add_u64 v[30:31], v[22:23], 0, v[30:31]
	s_waitcnt vmcnt(0)
	v_lshlrev_b32_e32 v18, 16, v18
	v_sub_f32_e32 v18, v18, v19
	global_store_short_d16_hi v[30:31], v18, off offset:32
	v_mul_f32_e32 v18, v38, v18
	v_lshrrev_b32_e32 v31, 16, v18
.LBB293_81:
	s_or_b64 exec, exec, s[0:1]
	v_mov_b32_e32 v26, 0
	v_mov_b32_e32 v30, 0
	s_and_saveexec_b64 s[0:1], s[2:3]
	s_cbranch_execz .LBB293_83
; %bb.82:
	v_mov_b32_e32 v33, 0
	v_lshl_add_u64 v[18:19], v[24:25], 0, v[32:33]
	global_load_ushort v29, v[18:19], off offset:32
	v_lshl_add_u64 v[18:19], v[22:23], 0, v[32:33]
	s_waitcnt vmcnt(0)
	v_lshlrev_b32_e32 v29, 16, v29
	v_sub_f32_e32 v20, v29, v20
	global_store_short_d16_hi v[18:19], v20, off offset:32
	v_mul_f32_e32 v18, v44, v20
	v_lshrrev_b32_e32 v30, 16, v18
.LBB293_83:
	s_or_b64 exec, exec, s[0:1]
	v_or_b32_e32 v19, 0xb000, v42
	v_or_b32_e32 v18, 0xb000, v43
	s_and_saveexec_b64 s[0:1], vcc
	s_cbranch_execz .LBB293_85
; %bb.84:
	v_mov_b32_e32 v29, 0
	v_lshl_add_u64 v[24:25], v[24:25], 0, v[28:29]
	global_load_ushort v20, v[24:25], off offset:32
	v_lshl_add_u64 v[22:23], v[22:23], 0, v[28:29]
	s_waitcnt vmcnt(0)
	v_lshlrev_b32_e32 v20, 16, v20
	v_sub_f32_e32 v20, v20, v21
	global_store_short_d16_hi v[22:23], v20, off offset:32
	v_mul_f32_e32 v20, v36, v20
	v_lshrrev_b32_e32 v26, 16, v20
.LBB293_85:
	s_or_b64 exec, exec, s[0:1]
	s_mov_b32 s0, 0x5040100
	v_or_b32_e32 v22, v35, v37
	v_perm_b32 v21, v26, v30, s0
	v_perm_b32 v20, v31, v27, s0
	v_lshlrev_b32_e32 v22, 1, v22
	s_movk_i32 s0, 0x100
	ds_write_b64 v22, v[20:21] offset:45056
	v_and_b32_e32 v20, 7, v0
	v_and_b32_e32 v21, 8, v0
	v_cmp_gt_u32_e32 vcc, s0, v0
	v_lshrrev_b32_e32 v0, 1, v0
	v_lshlrev_b32_e32 v35, 3, v20
	v_lshlrev_b32_e32 v36, 7, v20
	v_mov_b32_e32 v20, 0x4000
	v_mov_b32_e32 v22, 0x2000
	v_lshlrev_b32_e32 v38, 3, v58
	v_and_b32_e32 v0, 24, v0
	v_cndmask_b32_e32 v37, v20, v22, vcc
	v_xor_b32_e32 v20, v38, v0
	v_or_b32_e32 v26, 32, v0
	v_or_b32_e32 v22, 0x440, v20
	v_cmp_eq_u32_e32 vcc, 0, v21
	v_xor_b32_e32 v26, v38, v26
	v_or_b32_e32 v27, 0x440, v26
	v_cndmask_b32_e32 v20, v22, v20, vcc
	v_or_b32_e32 v20, v20, v41
	v_cndmask_b32_e32 v26, v27, v26, vcc
	v_xad_u32 v40, v20, v35, v36
	v_or_b32_e32 v26, v26, v41
	v_add_u32_e32 v20, v37, v40
	v_xad_u32 v42, v26, v35, v36
	s_waitcnt lgkmcnt(0)
	s_barrier
	ds_read_b64 v[24:25], v20
	ds_read2_b64 v[20:23], v19 offset1:16
	v_add_u32_e32 v26, v37, v42
	ds_read_b64 v[32:33], v26
	s_waitcnt lgkmcnt(1)
	v_mfma_f32_16x16x16_bf16 a[0:3], v[24:25], v[20:21], 0
	ds_read2st64_b64 v[28:31], v18 offset0:2 offset1:4
	v_mfma_f32_16x16x16_bf16 a[4:7], v[24:25], v[22:23], 0
	ds_read2st64_b64 v[24:27], v19 offset0:2 offset1:4
	s_waitcnt lgkmcnt(0)
	v_mfma_f32_16x16x16_bf16 a[0:3], v[32:33], v[24:25], a[0:3]
	v_mfma_f32_16x16x16_bf16 a[4:7], v[32:33], v[28:29], a[4:7]
	v_or_b32_e32 v32, 64, v0
	v_xor_b32_e32 v32, v38, v32
	v_xor_b32_e32 v33, 0x440, v32
	v_cndmask_b32_e32 v32, v33, v32, vcc
	v_or_b32_e32 v32, v32, v41
	v_xad_u32 v43, v32, v35, v36
	v_add_u32_e32 v32, v37, v43
	ds_read_b64 v[32:33], v32
	v_or_b32_e32 v0, 0x60, v0
	v_xor_b32_e32 v0, v38, v0
	v_xor_b32_e32 v38, 0x440, v0
	v_cndmask_b32_e32 v0, v38, v0, vcc
	v_or_b32_e32 v0, v0, v41
	v_xad_u32 v0, v0, v35, v36
	v_add_u32_e32 v35, v37, v0
	ds_read_b64 v[36:37], v35
	s_waitcnt lgkmcnt(1)
	v_mfma_f32_16x16x16_bf16 a[0:3], v[32:33], v[26:27], a[0:3]
	v_exp_f32_e32 v35, s16
	v_mfma_f32_16x16x16_bf16 a[4:7], v[32:33], v[30:31], a[4:7]
	ds_read_b64 v[32:33], v19 offset:3072
	ds_read_b64 v[38:39], v18 offset:3072
	;; [unrolled: 1-line block ×3, first 2 shown]
	s_waitcnt lgkmcnt(0)
	v_mfma_f32_16x16x16_bf16 a[8:11], v[18:19], v[20:21], 0
	ds_read_b64 v[20:21], v42 offset:16384
	v_mfma_f32_16x16x16_bf16 a[0:3], v[36:37], v[32:33], a[0:3]
	v_mfma_f32_16x16x16_bf16 a[12:15], v[18:19], v[22:23], 0
	ds_read_b64 v[22:23], v43 offset:16384
	s_nop 4
	v_accvgpr_read_b32 v18, a0
	v_fma_f32 v18, v2, v35, v18
	v_accvgpr_read_b32 v2, a1
	v_fma_f32 v19, v3, v35, v2
	v_accvgpr_read_b32 v2, a2
	s_waitcnt lgkmcnt(1)
	v_mfma_f32_16x16x16_bf16 a[8:11], v[20:21], v[24:25], a[8:11]
	v_mfma_f32_16x16x16_bf16 a[12:15], v[20:21], v[28:29], a[12:15]
	v_fma_f32 v20, v4, v35, v2
	ds_read_b64 v[2:3], v0 offset:16384
	v_accvgpr_read_b32 v21, a3
	s_waitcnt lgkmcnt(1)
	v_mfma_f32_16x16x16_bf16 a[0:3], v[22:23], v[26:27], a[8:11]
	v_fmac_f32_e32 v21, v5, v35
	v_mfma_f32_16x16x16_bf16 a[4:7], v[36:37], v[38:39], a[4:7]
	v_mfma_f32_16x16x16_bf16 a[8:11], v[22:23], v[30:31], a[12:15]
	s_waitcnt lgkmcnt(0)
	v_mfma_f32_16x16x16_bf16 a[0:3], v[2:3], v[32:33], a[0:3]
	s_nop 3
	v_accvgpr_read_b32 v0, a4
	v_fma_f32 v26, v10, v35, v0
	v_accvgpr_read_b32 v0, a5
	v_fma_f32 v27, v11, v35, v0
	v_accvgpr_read_b32 v0, a6
	v_accvgpr_read_b32 v29, a7
	v_mfma_f32_16x16x16_bf16 a[4:7], v[2:3], v[38:39], a[8:11]
	v_fma_f32 v28, v12, v35, v0
	v_accvgpr_read_b32 v0, a0
	v_fma_f32 v22, v6, v35, v0
	v_accvgpr_read_b32 v0, a1
	;; [unrolled: 2-line block ×5, first 2 shown]
	v_accvgpr_read_b32 v25, a3
	v_fma_f32 v31, v15, v35, v0
	v_accvgpr_read_b32 v0, a6
	v_accvgpr_read_b32 v33, a7
	v_fmac_f32_e32 v29, v13, v35
	v_fmac_f32_e32 v25, v9, v35
	v_fma_f32 v32, v16, v35, v0
	v_fmac_f32_e32 v33, v17, v35
	v_mov_b64_e32 v[2:3], v[18:19]
	v_mov_b64_e32 v[4:5], v[20:21]
	;; [unrolled: 1-line block ×8, first 2 shown]
	v_mov_b32_e32 v18, v34
.LBB293_86:
	s_mul_i32 s0, s33, s35
	s_mul_hi_u32 s1, s33, s34
	s_add_i32 s0, s1, s0
	s_mul_i32 s1, s50, s34
	s_add_i32 s1, s0, s1
	s_mul_i32 s0, s33, s34
	s_add_u32 s0, s0, s51
	s_addc_u32 s1, s1, s9
	s_lshl_b64 s[0:1], s[0:1], 15
	s_add_u32 s0, s20, s0
	v_lshlrev_b32_e32 v18, 7, v18
	s_addc_u32 s1, s21, s1
	v_ashrrev_i32_e32 v19, 31, v18
	v_lshl_add_u64 v[20:21], v[18:19], 1, s[0:1]
	v_lshlrev_b32_e32 v0, 1, v1
	v_mov_b32_e32 v1, 0
	s_mov_b32 s2, 0x7060302
	v_lshl_add_u64 v[20:21], v[20:21], 0, v[0:1]
	v_perm_b32 v5, v5, v4, s2
	v_perm_b32 v4, v3, v2, s2
	;; [unrolled: 1-line block ×4, first 2 shown]
	global_store_dwordx2 v[20:21], v[2:3], off offset:128
	v_or_b32_e32 v2, 0x800, v18
	v_ashrrev_i32_e32 v3, 31, v2
	v_lshl_add_u64 v[2:3], v[2:3], 1, s[0:1]
	v_lshl_add_u64 v[0:1], v[2:3], 0, v[0:1]
	v_perm_b32 v3, v13, v12, s2
	v_perm_b32 v2, v11, v10, s2
	global_store_dwordx2 v[0:1], v[2:3], off
	v_perm_b32 v3, v17, v16, s2
	v_perm_b32 v2, v15, v14, s2
	global_store_dwordx2 v[20:21], v[4:5], off
	global_store_dwordx2 v[0:1], v[2:3], off offset:128
	s_endpgm
	.section	.rodata,"a",@progbits
	.p2align	6, 0x0
	.amdhsa_kernel _ZN12_GLOBAL__N_139chunk_gated_delta_rule_fwd_h_hip_kernelILi32ELb0ELb1ELb1ELb1ELb1ELb0ELb1ELb1EEEvPK12hip_bfloat16S3_S3_PKfS5_PKvPS1_S8_PvPKiSB_iiiiilll
		.amdhsa_group_segment_fixed_size 49152
		.amdhsa_private_segment_fixed_size 0
		.amdhsa_kernarg_size 136
		.amdhsa_user_sgpr_count 2
		.amdhsa_user_sgpr_dispatch_ptr 0
		.amdhsa_user_sgpr_queue_ptr 0
		.amdhsa_user_sgpr_kernarg_segment_ptr 1
		.amdhsa_user_sgpr_dispatch_id 0
		.amdhsa_user_sgpr_kernarg_preload_length 0
		.amdhsa_user_sgpr_kernarg_preload_offset 0
		.amdhsa_user_sgpr_private_segment_size 0
		.amdhsa_uses_dynamic_stack 0
		.amdhsa_enable_private_segment 0
		.amdhsa_system_sgpr_workgroup_id_x 1
		.amdhsa_system_sgpr_workgroup_id_y 1
		.amdhsa_system_sgpr_workgroup_id_z 0
		.amdhsa_system_sgpr_workgroup_info 0
		.amdhsa_system_vgpr_workitem_id 0
		.amdhsa_next_free_vgpr 148
		.amdhsa_next_free_sgpr 68
		.amdhsa_accum_offset 132
		.amdhsa_reserve_vcc 1
		.amdhsa_float_round_mode_32 0
		.amdhsa_float_round_mode_16_64 0
		.amdhsa_float_denorm_mode_32 3
		.amdhsa_float_denorm_mode_16_64 3
		.amdhsa_dx10_clamp 1
		.amdhsa_ieee_mode 1
		.amdhsa_fp16_overflow 0
		.amdhsa_tg_split 0
		.amdhsa_exception_fp_ieee_invalid_op 0
		.amdhsa_exception_fp_denorm_src 0
		.amdhsa_exception_fp_ieee_div_zero 0
		.amdhsa_exception_fp_ieee_overflow 0
		.amdhsa_exception_fp_ieee_underflow 0
		.amdhsa_exception_fp_ieee_inexact 0
		.amdhsa_exception_int_div_zero 0
	.end_amdhsa_kernel
	.section	.text._ZN12_GLOBAL__N_139chunk_gated_delta_rule_fwd_h_hip_kernelILi32ELb0ELb1ELb1ELb1ELb1ELb0ELb1ELb1EEEvPK12hip_bfloat16S3_S3_PKfS5_PKvPS1_S8_PvPKiSB_iiiiilll,"axG",@progbits,_ZN12_GLOBAL__N_139chunk_gated_delta_rule_fwd_h_hip_kernelILi32ELb0ELb1ELb1ELb1ELb1ELb0ELb1ELb1EEEvPK12hip_bfloat16S3_S3_PKfS5_PKvPS1_S8_PvPKiSB_iiiiilll,comdat
.Lfunc_end293:
	.size	_ZN12_GLOBAL__N_139chunk_gated_delta_rule_fwd_h_hip_kernelILi32ELb0ELb1ELb1ELb1ELb1ELb0ELb1ELb1EEEvPK12hip_bfloat16S3_S3_PKfS5_PKvPS1_S8_PvPKiSB_iiiiilll, .Lfunc_end293-_ZN12_GLOBAL__N_139chunk_gated_delta_rule_fwd_h_hip_kernelILi32ELb0ELb1ELb1ELb1ELb1ELb0ELb1ELb1EEEvPK12hip_bfloat16S3_S3_PKfS5_PKvPS1_S8_PvPKiSB_iiiiilll
                                        ; -- End function
	.section	.AMDGPU.csdata,"",@progbits
; Kernel info:
; codeLenInByte = 9556
; NumSgprs: 74
; NumVgprs: 132
; NumAgprs: 16
; TotalNumVgprs: 148
; ScratchSize: 0
; MemoryBound: 0
; FloatMode: 240
; IeeeMode: 1
; LDSByteSize: 49152 bytes/workgroup (compile time only)
; SGPRBlocks: 9
; VGPRBlocks: 18
; NumSGPRsForWavesPerEU: 74
; NumVGPRsForWavesPerEU: 148
; AccumOffset: 132
; Occupancy: 1
; WaveLimiterHint : 1
; COMPUTE_PGM_RSRC2:SCRATCH_EN: 0
; COMPUTE_PGM_RSRC2:USER_SGPR: 2
; COMPUTE_PGM_RSRC2:TRAP_HANDLER: 0
; COMPUTE_PGM_RSRC2:TGID_X_EN: 1
; COMPUTE_PGM_RSRC2:TGID_Y_EN: 1
; COMPUTE_PGM_RSRC2:TGID_Z_EN: 0
; COMPUTE_PGM_RSRC2:TIDIG_COMP_CNT: 0
; COMPUTE_PGM_RSRC3_GFX90A:ACCUM_OFFSET: 32
; COMPUTE_PGM_RSRC3_GFX90A:TG_SPLIT: 0
	.section	.text._ZN12_GLOBAL__N_139chunk_gated_delta_rule_fwd_h_hip_kernelILi32ELb0ELb1ELb0ELb1ELb1ELb0ELb1ELb1EEEvPK12hip_bfloat16S3_S3_PKfS5_PKvPS1_S8_PvPKiSB_iiiiilll,"axG",@progbits,_ZN12_GLOBAL__N_139chunk_gated_delta_rule_fwd_h_hip_kernelILi32ELb0ELb1ELb0ELb1ELb1ELb0ELb1ELb1EEEvPK12hip_bfloat16S3_S3_PKfS5_PKvPS1_S8_PvPKiSB_iiiiilll,comdat
	.globl	_ZN12_GLOBAL__N_139chunk_gated_delta_rule_fwd_h_hip_kernelILi32ELb0ELb1ELb0ELb1ELb1ELb0ELb1ELb1EEEvPK12hip_bfloat16S3_S3_PKfS5_PKvPS1_S8_PvPKiSB_iiiiilll ; -- Begin function _ZN12_GLOBAL__N_139chunk_gated_delta_rule_fwd_h_hip_kernelILi32ELb0ELb1ELb0ELb1ELb1ELb0ELb1ELb1EEEvPK12hip_bfloat16S3_S3_PKfS5_PKvPS1_S8_PvPKiSB_iiiiilll
	.p2align	8
	.type	_ZN12_GLOBAL__N_139chunk_gated_delta_rule_fwd_h_hip_kernelILi32ELb0ELb1ELb0ELb1ELb1ELb0ELb1ELb1EEEvPK12hip_bfloat16S3_S3_PKfS5_PKvPS1_S8_PvPKiSB_iiiiilll,@function
_ZN12_GLOBAL__N_139chunk_gated_delta_rule_fwd_h_hip_kernelILi32ELb0ELb1ELb0ELb1ELb1ELb0ELb1ELb1EEEvPK12hip_bfloat16S3_S3_PKfS5_PKvPS1_S8_PvPKiSB_iiiiilll: ; @_ZN12_GLOBAL__N_139chunk_gated_delta_rule_fwd_h_hip_kernelILi32ELb0ELb1ELb0ELb1ELb1ELb0ELb1ELb1EEEvPK12hip_bfloat16S3_S3_PKfS5_PKvPS1_S8_PvPKiSB_iiiiilll
; %bb.0:
	s_load_dwordx4 s[28:31], s[0:1], 0x5c
	s_load_dwordx2 s[4:5], s[0:1], 0x50
	s_abs_i32 s7, s3
	s_ashr_i32 s6, s3, 31
	s_load_dwordx8 s[16:23], s[0:1], 0x0
	s_load_dwordx4 s[24:27], s[0:1], 0x40
	s_load_dwordx2 s[42:43], s[0:1], 0x30
	s_waitcnt lgkmcnt(0)
	s_abs_i32 s10, s29
	v_cvt_f32_u32_e32 v1, s10
	s_sub_i32 s8, 0, s10
	s_ashr_i32 s48, s29, 31
	s_xor_b32 s6, s6, s48
	v_rcp_iflag_f32_e32 v1, v1
	v_lshrrev_b32_e32 v56, 6, v0
	v_bfe_u32 v59, v0, 4, 2
	v_lshlrev_b32_e32 v57, 4, v56
	v_mul_f32_e32 v1, 0x4f7ffffe, v1
	v_cvt_u32_f32_e32 v1, v1
	v_lshlrev_b32_e32 v18, 2, v59
	v_and_b32_e32 v58, 63, v0
	s_mov_b32 s33, s29
	v_readfirstlane_b32 s9, v1
	s_mul_i32 s8, s8, s9
	s_mul_hi_u32 s8, s9, s8
	s_add_i32 s9, s9, s8
	s_mul_hi_u32 s8, s7, s9
	s_mul_i32 s9, s8, s10
	s_sub_i32 s7, s7, s9
	s_add_i32 s9, s8, 1
	s_sub_i32 s11, s7, s10
	s_cmp_ge_u32 s7, s10
	s_cselect_b32 s8, s9, s8
	s_cselect_b32 s7, s11, s7
	s_add_i32 s9, s8, 1
	s_cmp_ge_u32 s7, s10
	s_cselect_b32 s7, s9, s8
	s_xor_b32 s7, s7, s6
	s_sub_i32 s34, s7, s6
	s_mul_i32 s6, s34, s29
	s_ashr_i32 s35, s34, 31
	s_sub_i32 s49, s3, s6
	s_lshl_b64 s[6:7], s[34:35], 2
	s_add_u32 s8, s26, s6
	s_addc_u32 s9, s27, s7
	s_add_u32 s4, s4, s6
	s_addc_u32 s5, s5, s7
	s_abs_i32 s3, s30
	v_cvt_f32_u32_e32 v1, s3
	s_load_dwordx2 s[40:41], s[8:9], 0x0
	s_load_dwordx2 s[26:27], s[0:1], 0x80
	s_load_dwordx4 s[36:39], s[0:1], 0x70
	s_sub_i32 s1, 0, s3
	v_rcp_iflag_f32_e32 v1, v1
	s_load_dword s55, s[4:5], 0x0
	s_waitcnt lgkmcnt(0)
	s_sub_i32 s46, s41, s40
	s_ashr_i32 s0, s46, 31
	v_mul_f32_e32 v1, 0x4f7ffffe, v1
	v_cvt_u32_f32_e32 v1, v1
	s_lshr_b32 s0, s0, 26
	s_add_i32 s0, s46, s0
	s_ashr_i32 s53, s0, 6
	v_readfirstlane_b32 s6, v1
	s_mul_i32 s1, s1, s6
	s_mul_hi_u32 s1, s6, s1
	s_add_i32 s6, s6, s1
	s_mul_hi_u32 s1, s10, s6
	s_mul_i32 s6, s1, s3
	s_ashr_i32 s0, s30, 31
	s_sub_i32 s6, s10, s6
	s_xor_b32 s0, s48, s0
	s_add_i32 s7, s1, 1
	s_sub_i32 s8, s6, s3
	s_cmp_ge_u32 s6, s3
	s_cselect_b32 s1, s7, s1
	s_cselect_b32 s6, s8, s6
	s_add_i32 s7, s1, 1
	s_cmp_ge_u32 s6, s3
	s_cselect_b32 s1, s7, s1
	s_xor_b32 s1, s1, s0
	s_sub_i32 s1, s1, s0
	s_abs_i32 s3, s1
	v_cvt_f32_u32_e32 v1, s3
	s_sub_i32 s5, 0, s3
	s_abs_i32 s4, s49
	s_xor_b32 s1, s49, s1
	v_rcp_iflag_f32_e32 v1, v1
	s_ashr_i32 s1, s1, 31
	s_mov_b32 s0, 0
	s_mov_b32 s14, s0
	v_mul_f32_e32 v1, 0x4f7ffffe, v1
	v_cvt_u32_f32_e32 v1, v1
	s_mov_b32 s15, s0
	s_mov_b32 s8, s0
	;; [unrolled: 1-line block ×3, first 2 shown]
	v_readfirstlane_b32 s6, v1
	s_mul_i32 s5, s5, s6
	s_mul_hi_u32 s5, s6, s5
	s_add_i32 s6, s6, s5
	s_mul_hi_u32 s5, s4, s6
	s_mul_i32 s6, s5, s3
	s_sub_i32 s4, s4, s6
	s_add_i32 s6, s5, 1
	s_sub_i32 s7, s4, s3
	s_cmp_ge_u32 s4, s3
	s_cselect_b32 s5, s6, s5
	s_cselect_b32 s4, s7, s4
	s_add_i32 s6, s5, 1
	s_cmp_ge_u32 s4, s3
	s_cselect_b32 s3, s6, s5
	s_xor_b32 s3, s3, s1
	s_sub_i32 s56, s3, s1
	v_or_b32_e32 v1, v18, v57
	s_lshl_b32 s44, s2, 5
	s_mov_b32 s1, s0
	s_mov_b32 s2, s0
	s_mov_b32 s3, s0
	s_mov_b32 s4, s0
	s_mov_b32 s5, s0
	s_mov_b32 s6, s0
	s_mov_b32 s7, s0
	s_mov_b32 s10, s0
	s_mov_b32 s11, s0
	s_mov_b32 s12, s0
	s_mov_b32 s13, s0
	v_mov_b64_e32 v[16:17], s[14:15]
	v_and_b32_e32 v60, 15, v0
	v_or_b32_e32 v63, 64, v1
	s_cmp_lt_i32 s46, 64
	v_mov_b64_e32 v[14:15], s[12:13]
	v_mov_b64_e32 v[12:13], s[10:11]
	;; [unrolled: 1-line block ×7, first 2 shown]
	s_mul_hi_i32 s57, s49, s28
	s_mul_i32 s58, s49, s28
	v_lshrrev_b32_e32 v62, 3, v58
	v_lshlrev_b32_e32 v61, 3, v0
	s_mul_i32 s50, s34, s37
	s_mul_hi_u32 s51, s34, s36
	s_mul_i32 s52, s35, s36
	s_mul_i32 s12, s34, s36
	s_cbranch_scc1 .LBB294_19
; %bb.1:
	s_ashr_i32 s36, s49, 31
	s_ashr_i32 s1, s40, 31
	s_add_u32 s0, s58, s40
	s_addc_u32 s1, s57, s1
	s_lshl_b64 s[0:1], s[0:1], 8
	v_and_b32_e32 v9, 56, v61
	s_add_u32 s0, s18, s0
	v_lshl_or_b32 v5, v56, 3, v62
	v_lshlrev_b32_e32 v2, 1, v9
	s_addc_u32 s1, s19, s1
	v_lshl_or_b32 v13, v5, 8, v2
	s_and_b32 s1, s1, 0xffff
	s_mov_b32 s3, 0x20000
	s_movk_i32 s2, 0x4000
	s_movk_i32 s4, 0x80
	v_or_b32_e32 v17, 0x2000, v13
	buffer_load_dwordx4 v[20:23], v13, s[0:3], 0 offen
	buffer_load_dwordx4 v[24:27], v13, s[0:3], s4 offen
	;; [unrolled: 1-line block ×4, first 2 shown]
	v_lshlrev_b32_e32 v3, 3, v5
	v_and_or_b32 v6, v0, 7, v3
	v_and_b32_e32 v3, 0x78, v3
	v_lshlrev_b32_e32 v6, 4, v6
	v_xor_b32_e32 v64, v6, v3
	v_mul_lo_u32 v4, v5, s31
	v_or_b32_e32 v65, 0x1000, v64
	v_xor_b32_e32 v3, 8, v64
	s_cmpk_eq_i32 s31, 0x80
	s_mov_b32 s47, s40
	v_xor_b32_e32 v6, 8, v65
	s_cselect_b64 s[0:1], -1, 0
	s_cmpk_lg_i32 s31, 0x80
	s_waitcnt vmcnt(3)
	ds_write_b64 v64, v[20:21] offset:24576
	ds_write_b64 v3, v[22:23] offset:24576
	s_waitcnt vmcnt(2)
	ds_write_b64 v64, v[24:25] offset:32768
	ds_write_b64 v3, v[26:27] offset:32768
	;; [unrolled: 3-line block ×4, first 2 shown]
	v_lshl_add_u32 v3, v4, 1, v9
	s_cbranch_scc0 .LBB294_3
; %bb.2:
	v_lshlrev_b32_e32 v6, 1, v3
	v_add_lshl_u32 v4, v3, s31, 1
	s_lshl_b32 s6, s31, 7
	v_lshl_or_b32 v2, v5, 9, v2
	s_cbranch_execz .LBB294_4
	s_branch .LBB294_5
.LBB294_3:
                                        ; implicit-def: $vgpr4
                                        ; implicit-def: $vgpr6
                                        ; implicit-def: $sgpr6
	v_lshl_or_b32 v2, v5, 9, v2
.LBB294_4:
	v_or_b32_e32 v4, 0x100, v2
	s_movk_i32 s6, 0x4000
	v_mov_b32_e32 v6, v2
.LBB294_5:
	s_mul_i32 s2, s40, s30
	s_ashr_i32 s37, s56, 31
	s_mul_hi_i32 s3, s40, s30
	s_add_u32 s2, s2, s56
	s_addc_u32 s3, s3, s37
	s_lshl_b64 s[2:3], s[2:3], 8
	s_add_u32 s4, s16, s2
	s_addc_u32 s2, s17, s3
	s_and_b32 s5, s2, 0xffff
	s_mov_b32 s7, 0x20000
	s_movk_i32 s54, 0x80
	buffer_load_dwordx4 v[20:23], v6, s[4:7], 0 offen
	buffer_load_dwordx4 v[24:27], v6, s[4:7], s54 offen
	;; [unrolled: 1-line block ×4, first 2 shown]
	v_and_b32_e32 v4, 6, v0
	v_lshlrev_b32_e32 v8, 6, v1
	v_or_b32_e32 v11, 16, v60
	v_xor_b32_e32 v12, v5, v4
	v_and_b32_e32 v6, 1, v0
	v_lshl_or_b32 v16, v60, 3, v8
	v_lshl_or_b32 v8, v11, 3, v8
	v_lshlrev_b32_e32 v12, 2, v12
	v_lshlrev_b32_e32 v7, 2, v60
	s_mul_i32 s2, s49, s39
	s_mul_hi_u32 s3, s49, s38
	v_or_b32_e32 v68, 0xa000, v8
	v_or_b32_e32 v69, 0xb000, v8
	v_xor_b32_e32 v8, 0x440, v12
	v_cmp_eq_u32_e32 vcc, 0, v6
	s_add_i32 s5, s51, s50
	s_mul_i32 s4, s36, s38
	v_xor_b32_e32 v14, v1, v7
	v_xor_b32_e32 v15, v63, v7
	v_cndmask_b32_e32 v6, v8, v12, vcc
	s_add_i32 s2, s3, s2
	s_add_i32 s13, s5, s52
	s_mov_b32 s59, 0x1000504
	v_lshlrev_b32_e32 v10, 8, v60
	v_lshlrev_b32_e32 v11, 8, v11
	;; [unrolled: 1-line block ×4, first 2 shown]
	v_lshl_or_b32 v4, v4, 10, v6
	s_add_i32 s3, s2, s4
	s_lshl_b64 s[4:5], s[12:13], 2
	s_mov_b32 s60, 0x3020706
	v_or_b32_e32 v66, 0xa000, v16
	v_or_b32_e32 v67, 0xb000, v16
	;; [unrolled: 1-line block ×5, first 2 shown]
	v_xor_b32_e32 v6, 8, v4
	v_xor_b32_e32 v10, 24, v4
	;; [unrolled: 1-line block ×4, first 2 shown]
	s_mul_i32 s2, s49, s38
	s_add_u32 s4, s22, s4
	v_or_b32_e32 v72, v11, v14
	v_xor_b32_e32 v8, 16, v4
	v_xor_b32_e32 v11, 32, v4
	v_xor_b32_e32 v14, 48, v4
	v_add_u32_e32 v6, 0x80, v6
	v_add_u32_e32 v10, 0x80, v10
	;; [unrolled: 1-line block ×4, first 2 shown]
	s_addc_u32 s5, s23, s5
	s_lshl_b64 s[2:3], s[2:3], 2
	s_add_u32 s2, s4, s2
	s_movk_i32 s4, 0xf8
	s_addc_u32 s3, s5, s3
	s_ashr_i32 s45, s44, 31
	s_lshl_b32 s10, s31, 7
	s_movk_i32 s8, 0x100
	v_mov_b32_e32 v51, 0
	v_lshlrev_b32_e32 v50, 4, v60
	v_cmp_gt_u32_e32 vcc, s8, v0
	s_mov_b32 s61, 0
	s_movk_i32 s13, 0x1000
	s_movk_i32 s6, 0x4000
	v_add_u32_e32 v91, v57, v18
	v_mov_b32_e32 v97, v51
	v_mov_b32_e32 v96, v51
	;; [unrolled: 1-line block ×4, first 2 shown]
	s_waitcnt vmcnt(1)
	v_perm_b32 v16, v20, v28, s59
	s_waitcnt vmcnt(0)
	v_perm_b32 v19, v24, v32, s59
	v_perm_b32 v20, v20, v28, s60
	;; [unrolled: 1-line block ×15, first 2 shown]
	ds_write2st64_b32 v4, v16, v19 offset0:32 offset1:64
	ds_write2st64_b32 v6, v20, v24 offset0:32 offset1:64
	;; [unrolled: 1-line block ×8, first 2 shown]
	v_or_b32_e32 v4, v57, v60
	v_lshlrev_b32_e32 v4, 3, v4
	v_lshrrev_b32_e32 v10, 5, v58
	v_and_or_b32 v10, v4, s4, v10
	v_lshlrev_b32_e32 v8, 11, v56
	v_lshlrev_b32_e32 v10, 4, v10
	v_and_b32_e32 v4, 0x78, v4
	v_and_b32_e32 v6, 0x1000, v8
	v_xor_b32_e32 v11, v10, v4
	v_lshrrev_b32_e32 v12, 1, v0
	v_or_b32_e32 v11, v11, v6
	v_and_b32_e32 v14, 8, v12
	v_xor_b32_e32 v74, v11, v14
	v_or_b32_e32 v11, 32, v10
	v_xor_b32_e32 v11, v11, v4
	v_or_b32_e32 v11, v11, v6
	;; [unrolled: 2-line block ×4, first 2 shown]
	s_lshl_b64 s[4:5], s[44:45], 8
	v_or_b32_e32 v11, v11, v6
	v_xor_b32_e32 v4, v10, v4
	s_add_u32 s4, s42, s4
	v_lshlrev_b32_e32 v10, 1, v60
	v_xor_b32_e32 v78, v11, v14
	v_lshrrev_b32_e32 v19, 4, v0
	s_addc_u32 s5, s43, s5
	v_or_b32_e32 v11, 1, v10
	v_mov_b32_e32 v23, 0x4000
	v_mov_b32_e32 v24, 0x2000
	v_xor_b32_e32 v20, v19, v10
	v_xor_b32_e32 v21, v11, v19
	v_lshl_add_u64 v[10:11], s[4:5], 0, v[50:51]
	v_lshlrev_b32_e32 v50, 8, v19
	v_cndmask_b32_e32 v23, v23, v24, vcc
	v_lshlrev_b32_e32 v24, 3, v56
	v_and_b32_e32 v12, 24, v12
	v_lshl_or_b32 v82, v20, 3, v50
	v_and_b32_e32 v20, 8, v0
	v_xor_b32_e32 v25, v24, v12
	v_or_b32_e32 v26, 0x440, v25
	v_cmp_eq_u32_e32 vcc, 0, v20
	v_and_b32_e32 v19, 7, v0
	v_lshlrev_b32_e32 v15, 7, v59
	v_cndmask_b32_e32 v20, v26, v25, vcc
	v_lshl_or_b32 v83, v21, 3, v50
	v_lshlrev_b32_e32 v21, 3, v19
	v_lshlrev_b32_e32 v19, 7, v19
	;; [unrolled: 1-line block ×3, first 2 shown]
	v_or_b32_e32 v20, v20, v8
	v_or_b32_e32 v7, v15, v7
	v_xad_u32 v84, v20, v21, v19
	v_and_or_b32 v15, v22, 60, v15
	v_mov_b32_e32 v20, 0xb000
	v_lshl_or_b32 v85, v15, 1, v20
	v_or_b32_e32 v15, 32, v12
	v_xor_b32_e32 v15, v24, v15
	v_or_b32_e32 v20, 0x440, v15
	v_cndmask_b32_e32 v15, v20, v15, vcc
	v_or_b32_e32 v15, v15, v8
	v_xad_u32 v86, v15, v21, v19
	v_or_b32_e32 v15, 64, v12
	v_xor_b32_e32 v15, v24, v15
	v_xor_b32_e32 v20, 0x440, v15
	v_cndmask_b32_e32 v15, v20, v15, vcc
	v_or_b32_e32 v12, 0x60, v12
	v_or_b32_e32 v15, v15, v8
	v_xor_b32_e32 v12, v24, v12
	v_xad_u32 v87, v15, v21, v19
	v_xor_b32_e32 v15, 0x440, v12
	v_cndmask_b32_e32 v12, v15, v12, vcc
	v_lshlrev_b32_e32 v7, 1, v7
	v_or_b32_e32 v4, v4, v6
	v_or_b32_e32 v6, s44, v60
	v_or_b32_e32 v8, v12, v8
	v_or_b32_e32 v75, 0xa000, v7
	v_or_b32_e32 v77, 0xa080, v7
	v_xor_b32_e32 v79, v4, v14
	v_or_b32_e32 v80, 0xb000, v7
	v_or_b32_e32 v81, 0xb080, v7
	v_lshlrev_b32_e32 v4, 7, v1
	v_ashrrev_i32_e32 v7, 31, v6
	v_lshlrev_b32_e32 v14, 1, v3
	v_add_lshl_u32 v3, v3, s31, 1
	v_or_b32_e32 v16, 0x100, v2
	v_xad_u32 v88, v8, v21, v19
	v_cndmask_b32_e64 v89, v14, v2, s[0:1]
	v_cndmask_b32_e64 v90, v3, v16, s[0:1]
	v_lshl_add_u64 v[52:53], v[6:7], 1, s[20:21]
	v_lshl_add_u64 v[54:55], v[10:11], 0, v[50:51]
	s_mov_b32 s45, 0x7060302
	v_lshlrev_b32_e32 v50, 1, v4
	v_add_u32_e32 v92, v23, v84
	v_add_u32_e32 v93, v23, v86
	;; [unrolled: 1-line block ×4, first 2 shown]
	v_mov_b32_e32 v2, v51
	v_mov_b32_e32 v3, v51
	;; [unrolled: 1-line block ×12, first 2 shown]
	s_waitcnt lgkmcnt(0)
	s_barrier
.LBB294_6:                              ; =>This Inner Loop Header: Depth=1
	s_add_i32 s62, s61, 1
	s_cmp_lt_i32 s62, s53
	s_mov_b64 s[8:9], 0
	s_cselect_b64 s[14:15], -1, 0
	s_cmp_ge_i32 s62, s53
	s_mov_b64 s[4:5], 0
	s_cbranch_scc1 .LBB294_8
; %bb.7:                                ;   in Loop: Header=BB294_6 Depth=1
	s_add_i32 s0, s47, 64
	s_ashr_i32 s1, s0, 31
	s_add_u32 s0, s58, s0
	s_addc_u32 s1, s57, s1
	s_lshl_b64 s[0:1], s[0:1], 8
	s_add_u32 s4, s18, s0
	s_addc_u32 s5, s19, s1
.LBB294_8:                              ;   in Loop: Header=BB294_6 Depth=1
	v_cndmask_b32_e64 v18, 0, 1, s[14:15]
	v_cmp_ne_u32_e64 s[0:1], 1, v18
	s_andn2_b64 vcc, exec, s[14:15]
	s_cbranch_vccnz .LBB294_10
; %bb.9:                                ;   in Loop: Header=BB294_6 Depth=1
	s_add_i32 s8, s47, 64
	s_mul_hi_i32 s9, s8, s30
	s_mul_i32 s8, s8, s30
	s_add_u32 s8, s8, s56
	s_addc_u32 s9, s9, s37
	s_lshl_b64 s[8:9], s[8:9], 8
	s_add_u32 s8, s16, s8
	s_addc_u32 s9, s17, s9
.LBB294_10:                             ;   in Loop: Header=BB294_6 Depth=1
	v_perm_b32 v19, v97, v4, s45
	v_perm_b32 v18, v3, v2, s45
	;; [unrolled: 1-line block ×4, first 2 shown]
	ds_write_b64 v66, v[18:19]
	ds_write_b64 v67, v[20:21]
	;; [unrolled: 1-line block ×4, first 2 shown]
	v_perm_b32 v19, v99, v12, s45
	v_perm_b32 v18, v11, v10, s45
	;; [unrolled: 1-line block ×4, first 2 shown]
	ds_write_b64 v68, v[18:19]
	ds_write_b64 v69, v[20:21]
	;; [unrolled: 1-line block ×4, first 2 shown]
	s_waitcnt lgkmcnt(0)
	s_barrier
	ds_read_b64 v[22:23], v74 offset:24576
	ds_read2_b64 v[18:21], v75 offset1:16
	ds_read_b64 v[26:27], v77 offset:3072
	ds_read_b64 v[28:29], v75 offset:3072
	;; [unrolled: 1-line block ×3, first 2 shown]
	s_waitcnt lgkmcnt(3)
	v_mfma_f32_16x16x16_bf16 a[0:3], v[22:23], v[18:19], 0
	s_add_i32 s11, s47, 63
	s_ashr_i32 s14, s11, 31
	s_mul_i32 s15, s11, s27
	v_mfma_f32_16x16x16_bf16 a[4:7], v[22:23], v[20:21], 0
	ds_read2st64_b64 v[18:21], v75 offset0:2 offset1:4
	s_mul_hi_u32 s63, s11, s26
	s_add_i32 s15, s63, s15
	s_waitcnt lgkmcnt(0)
	v_mfma_f32_16x16x16_bf16 a[0:3], v[30:31], v[18:19], a[0:3]
	ds_read2st64_b64 v[22:25], v77 offset0:2 offset1:4
	ds_read_b64 v[18:19], v78 offset:24576
	s_mul_i32 s14, s14, s26
	s_add_i32 s15, s15, s14
	s_waitcnt lgkmcnt(1)
	v_mfma_f32_16x16x16_bf16 a[4:7], v[30:31], v[22:23], a[4:7]
	ds_read_b64 v[22:23], v79 offset:24576
	s_mul_i32 s14, s11, s26
	s_lshl_b64 s[14:15], s[14:15], 2
	s_waitcnt lgkmcnt(1)
	v_mfma_f32_16x16x16_bf16 a[0:3], v[18:19], v[20:21], a[0:3]
	s_add_u32 s14, s2, s14
	s_addc_u32 s15, s3, s15
	s_and_b64 vcc, exec, s[0:1]
	v_mfma_f32_16x16x16_bf16 a[4:7], v[18:19], v[24:25], a[4:7]
	v_mov_b32_e32 v102, 0
	v_mov_b32_e32 v101, 0
	;; [unrolled: 1-line block ×3, first 2 shown]
	s_waitcnt lgkmcnt(0)
	v_mfma_f32_16x16x16_bf16 a[0:3], v[22:23], v[28:29], a[0:3]
	v_mov_b32_e32 v18, 0
	v_mov_b32_e32 v19, 0
	;; [unrolled: 1-line block ×3, first 2 shown]
	v_mfma_f32_16x16x16_bf16 a[4:7], v[22:23], v[26:27], a[4:7]
	v_mov_b32_e32 v21, 0
	v_mov_b32_e32 v22, 0
	v_mov_b32_e32 v23, 0
	v_mov_b32_e32 v24, 0
	v_mov_b32_e32 v25, 0
	v_mov_b32_e32 v26, 0
	v_mov_b32_e32 v27, 0
	v_mov_b32_e32 v28, 0
	v_mov_b32_e32 v29, 0
	v_mov_b32_e32 v30, 0
	v_mov_b32_e32 v31, 0
	v_mov_b32_e32 v32, 0
	v_mov_b32_e32 v33, 0
	s_cbranch_vccnz .LBB294_12
; %bb.11:                               ;   in Loop: Header=BB294_6 Depth=1
	s_and_b32 s5, s5, 0xffff
	buffer_load_dwordx4 v[30:33], v13, s[4:7], 0 offen
	buffer_load_dwordx4 v[26:29], v13, s[4:7], s54 offen
	;; [unrolled: 1-line block ×4, first 2 shown]
	v_mov_b32_e32 v101, v64
	v_mov_b32_e32 v100, v65
.LBB294_12:                             ;   in Loop: Header=BB294_6 Depth=1
	ds_read_b64 v[38:39], v74 offset:32768
	ds_read2_b64 v[34:37], v80 offset1:16
	ds_read_b64 v[42:43], v76 offset:32768
	ds_read_b64 v[44:45], v78 offset:32768
	;; [unrolled: 1-line block ×3, first 2 shown]
	v_add_u32_e32 v103, s47, v91
	s_waitcnt lgkmcnt(3)
	v_mfma_f32_16x16x16_bf16 a[0:3], v[38:39], v[34:35], a[0:3]
	v_mfma_f32_16x16x16_bf16 a[4:7], v[38:39], v[36:37], a[4:7]
	ds_read2st64_b64 v[34:37], v80 offset0:2 offset1:4
	ds_read2st64_b64 v[38:41], v81 offset0:2 offset1:4
	s_waitcnt lgkmcnt(1)
	v_mfma_f32_16x16x16_bf16 a[0:3], v[42:43], v[34:35], a[0:3]
	ds_read_b64 v[34:35], v80 offset:3072
	ds_read_b64 v[48:49], v81 offset:3072
	s_waitcnt lgkmcnt(2)
	v_mfma_f32_16x16x16_bf16 a[4:7], v[42:43], v[38:39], a[4:7]
	v_ashrrev_i32_e32 v38, 31, v103
	v_mul_lo_u32 v39, v103, s27
	v_mul_lo_u32 v38, v38, s26
	v_mfma_f32_16x16x16_bf16 a[0:3], v[44:45], v[36:37], a[0:3]
	v_mad_u64_u32 v[36:37], s[4:5], v103, s26, 0
	v_add3_u32 v37, v37, v39, v38
	v_add_u32_e32 v38, 1, v103
	v_ashrrev_i32_e32 v39, 31, v38
	v_mfma_f32_16x16x16_bf16 a[4:7], v[44:45], v[40:41], a[4:7]
	v_mul_lo_u32 v39, v39, s26
	v_mul_lo_u32 v40, v38, s27
	v_lshl_add_u64 v[36:37], v[36:37], 2, s[2:3]
	s_waitcnt lgkmcnt(1)
	v_mfma_f32_16x16x16_bf16 a[0:3], v[46:47], v[34:35], a[0:3]
	v_mad_u64_u32 v[34:35], s[4:5], v38, s26, 0
	v_add_u32_e32 v38, 2, v103
	v_add3_u32 v35, v35, v40, v39
	v_ashrrev_i32_e32 v39, 31, v38
	v_mul_lo_u32 v40, v39, s26
	v_mul_lo_u32 v41, v38, s27
	v_mad_u64_u32 v[38:39], s[4:5], v38, s26, 0
	v_add3_u32 v39, v39, v41, v40
	v_add_u32_e32 v40, 3, v103
	v_ashrrev_i32_e32 v41, 31, v40
	v_mul_lo_u32 v42, v41, s26
	v_mul_lo_u32 v43, v40, s27
	v_mad_u64_u32 v[40:41], s[4:5], v40, s26, 0
	v_add3_u32 v41, v41, v43, v42
	v_lshl_add_u64 v[40:41], v[40:41], 2, s[2:3]
	s_ashr_i32 s5, s47, 31
	v_lshl_add_u64 v[34:35], v[34:35], 2, s[2:3]
	v_lshl_add_u64 v[38:39], v[38:39], 2, s[2:3]
	global_load_dword v42, v[36:37], off
	global_load_dword v43, v[34:35], off
	;; [unrolled: 1-line block ×3, first 2 shown]
	s_nop 0
	global_load_dword v41, v[40:41], off
	s_add_u32 s4, s58, s47
	s_addc_u32 s5, s57, s5
	s_lshl_b64 s[4:5], s[4:5], 8
	v_lshl_add_u64 v[34:35], v[52:53], 0, s[4:5]
	v_lshl_add_u64 v[34:35], v[34:35], 0, v[50:51]
	global_load_ushort v45, v[34:35], off
	global_load_ushort v103, v[34:35], off offset:256
	global_load_ushort v104, v[34:35], off offset:800
	;; [unrolled: 1-line block ×7, first 2 shown]
	s_load_dword s4, s[14:15], 0x0
	s_waitcnt lgkmcnt(0)
	v_mfma_f32_16x16x16_bf16 a[4:7], v[46:47], v[48:49], a[4:7]
	v_accvgpr_read_b32 v39, a1
	v_accvgpr_read_b32 v35, a3
	;; [unrolled: 1-line block ×4, first 2 shown]
	s_and_b64 vcc, exec, s[0:1]
	s_waitcnt vmcnt(11)
	v_sub_f32_e32 v40, s4, v42
	s_waitcnt vmcnt(10)
	v_sub_f32_e32 v48, s4, v43
	;; [unrolled: 2-line block ×4, first 2 shown]
	v_exp_f32_e32 v40, v40
	v_exp_f32_e32 v41, v48
	;; [unrolled: 1-line block ×4, first 2 shown]
	s_waitcnt vmcnt(6)
	v_lshlrev_b32_e32 v43, 16, v103
	v_lshlrev_b32_e32 v42, 16, v45
	s_waitcnt vmcnt(4)
	v_lshlrev_b32_e32 v45, 16, v105
	s_waitcnt vmcnt(2)
	v_lshlrev_b32_e32 v44, 16, v107
	v_pk_add_f32 v[38:39], v[42:43], v[38:39] neg_lo:[0,1] neg_hi:[0,1]
	v_pk_add_f32 v[34:35], v[44:45], v[34:35] neg_lo:[0,1] neg_hi:[0,1]
	v_pk_mul_f32 v[38:39], v[40:41], v[38:39]
	v_pk_mul_f32 v[34:35], v[48:49], v[34:35]
	s_waitcnt vmcnt(1)
	v_lshlrev_b32_e32 v47, 16, v108
	v_perm_b32 v35, v35, v34, s45
	v_perm_b32 v34, v39, v38, s45
	v_accvgpr_read_b32 v39, a5
	s_waitcnt vmcnt(0)
	v_lshlrev_b32_e32 v46, 16, v109
	v_accvgpr_read_b32 v38, a4
	v_pk_add_f32 v[38:39], v[46:47], v[38:39] neg_lo:[0,1] neg_hi:[0,1]
	v_accvgpr_read_b32 v37, a7
	v_accvgpr_read_b32 v36, a6
	v_pk_mul_f32 v[38:39], v[40:41], v[38:39]
	v_lshlrev_b32_e32 v41, 16, v104
	v_lshlrev_b32_e32 v40, 16, v106
	v_pk_add_f32 v[36:37], v[40:41], v[36:37] neg_lo:[0,1] neg_hi:[0,1]
	v_mov_b32_e32 v103, 0
	v_pk_mul_f32 v[36:37], v[48:49], v[36:37]
	v_mov_b32_e32 v40, 0
	v_perm_b32 v37, v37, v36, s45
	v_perm_b32 v36, v39, v38, s45
	ds_write2_b64 v67, v[34:35], v[36:37] offset1:16
	v_mov_b32_e32 v34, 0
	v_mov_b32_e32 v35, 0
	;; [unrolled: 1-line block ×15, first 2 shown]
	s_cbranch_vccnz .LBB294_14
; %bb.13:                               ;   in Loop: Header=BB294_6 Depth=1
	s_and_b32 s9, s9, 0xffff
	s_mov_b32 s11, s7
	buffer_load_dwordx4 v[46:49], v89, s[8:11], 0 offen
	buffer_load_dwordx4 v[38:41], v89, s[8:11], s54 offen
	;; [unrolled: 1-line block ×4, first 2 shown]
	v_mov_b32_e32 v102, v9
	v_mov_b32_e32 v103, v5
.LBB294_14:                             ;   in Loop: Header=BB294_6 Depth=1
	s_waitcnt lgkmcnt(0)
	s_barrier
	ds_read_b64 v[108:109], v92
	ds_read_b64 v[116:117], v85
	ds_read_b64 v[112:113], v93
	ds_read_b64 v[118:119], v94
	ds_read_b64 v[120:121], v95
	ds_read_b64 v[122:123], v86 offset:16384
	ds_read_b64 v[124:125], v84 offset:16384
	ds_read2_b64 v[104:107], v80 offset0:16 offset1:128
	s_waitcnt lgkmcnt(6)
	v_mfma_f32_16x16x16_bf16 a[0:3], v[108:109], v[116:117], 0
	ds_read_b64 v[126:127], v81 offset:3072
	ds_read_b64 v[128:129], v88 offset:16384
	s_add_i32 s5, s55, s61
	s_waitcnt lgkmcnt(2)
	v_mfma_f32_16x16x16_bf16 a[4:7], v[108:109], v[104:105], 0
	ds_read2st64_b64 v[108:111], v81 offset0:2 offset1:4
	s_mul_hi_i32 s9, s5, s33
	s_mul_i32 s5, s5, s33
	v_mfma_f32_16x16x16_bf16 a[0:3], v[112:113], v[106:107], a[0:3]
	s_add_u32 s8, s5, s49
	s_addc_u32 s9, s9, s36
	s_lshl_b64 s[8:9], s[8:9], 15
	s_waitcnt lgkmcnt(0)
	v_mfma_f32_16x16x16_bf16 a[4:7], v[112:113], v[108:109], a[4:7]
	ds_read2st64_b64 v[112:115], v80 offset0:4 offset1:6
	s_waitcnt lgkmcnt(0)
	v_mfma_f32_16x16x16_bf16 a[0:3], v[118:119], v[112:113], a[0:3]
	v_mfma_f32_16x16x16_bf16 a[8:11], v[118:119], v[110:111], a[4:7]
	;; [unrolled: 1-line block ×5, first 2 shown]
	ds_read2st64_b64 v[116:119], v83 offset1:8
	v_mfma_f32_16x16x16_bf16 a[12:15], v[124:125], v[104:105], 0
	ds_read_b64 v[124:125], v87 offset:16384
	v_mfma_f32_16x16x16_bf16 a[8:11], v[122:123], v[106:107], a[8:11]
	ds_read2st64_b64 v[104:107], v82 offset1:8
	s_waitcnt lgkmcnt(0)
	v_mov_b32_e32 v120, v104
	v_mfma_f32_16x16x16_bf16 a[12:15], v[122:123], v[108:109], a[12:15]
	v_lshl_add_u64 v[108:109], v[54:55], 0, s[8:9]
	v_add_co_u32_e32 v104, vcc, s13, v108
	v_mfma_f32_16x16x16_bf16 a[8:11], v[124:125], v[112:113], a[8:11]
	v_mov_b32_e32 v121, v105
	v_addc_co_u32_e32 v105, vcc, 0, v109, vcc
	v_mfma_f32_16x16x16_bf16 a[12:15], v[124:125], v[110:111], a[12:15]
	v_mov_b32_e32 v122, v116
	v_mov_b32_e32 v123, v117
	;; [unrolled: 1-line block ×3, first 2 shown]
	v_mfma_f32_16x16x16_bf16 a[8:11], v[128:129], v[114:115], a[8:11]
	v_mov_b32_e32 v117, v107
	s_and_b64 vcc, exec, s[0:1]
	global_store_dwordx4 v[108:109], v[120:123], off
	v_mfma_f32_16x16x16_bf16 a[12:15], v[128:129], v[126:127], a[12:15]
	global_store_dwordx4 v[104:105], v[116:119], off
	s_cbranch_vccnz .LBB294_16
; %bb.15:                               ;   in Loop: Header=BB294_6 Depth=1
	v_lshrrev_b32_e32 v104, 3, v102
	v_and_b32_e32 v104, 6, v104
	v_xor_b32_e32 v103, v104, v103
	v_lshlrev_b32_e32 v103, 2, v103
	v_and_b32_e32 v102, 8, v102
	v_xor_b32_e32 v105, 0x440, v103
	v_cmp_eq_u32_e32 vcc, 0, v102
	s_barrier
	s_nop 0
	v_cndmask_b32_e32 v102, v105, v103, vcc
	v_lshl_or_b32 v102, v104, 10, v102
	s_waitcnt vmcnt(3)
	v_perm_b32 v103, v46, v42, s59
	s_waitcnt vmcnt(2)
	v_perm_b32 v104, v38, v34, s59
	ds_write2st64_b32 v102, v103, v104 offset0:32 offset1:64
	v_xor_b32_e32 v103, 8, v102
	v_perm_b32 v42, v46, v42, s60
	v_perm_b32 v34, v38, v34, s60
	v_add_u32_e32 v38, 0x80, v103
	ds_write2st64_b32 v38, v42, v34 offset0:32 offset1:64
	v_xor_b32_e32 v34, 16, v102
	v_perm_b32 v38, v47, v43, s59
	v_perm_b32 v42, v39, v35, s59
	ds_write2st64_b32 v34, v38, v42 offset0:33 offset1:65
	v_xor_b32_e32 v34, 24, v102
	v_perm_b32 v38, v47, v43, s60
	v_perm_b32 v35, v39, v35, s60
	v_add_u32_e32 v34, 0x80, v34
	ds_write2st64_b32 v34, v38, v35 offset0:33 offset1:65
	v_xor_b32_e32 v34, 32, v102
	v_perm_b32 v35, v48, v44, s59
	;; [unrolled: 9-line block ×3, first 2 shown]
	v_perm_b32 v36, v41, v37, s59
	ds_write2st64_b32 v34, v35, v36 offset0:35 offset1:67
	v_xor_b32_e32 v34, 56, v102
	v_perm_b32 v35, v49, v45, s60
	v_perm_b32 v36, v41, v37, s60
	v_add_u32_e32 v34, 0x80, v34
	ds_write2st64_b32 v34, v35, v36 offset0:35 offset1:67
	ds_write_b64 v101, v[30:31] offset:24576
	v_xor_b32_e32 v30, 8, v101
	ds_write_b64 v30, v[32:33] offset:24576
	ds_write_b64 v101, v[26:27] offset:32768
	;; [unrolled: 1-line block ×4, first 2 shown]
	v_xor_b32_e32 v22, 8, v100
	ds_write_b64 v22, v[24:25] offset:24576
	ds_write_b64 v100, v[18:19] offset:32768
	;; [unrolled: 1-line block ×3, first 2 shown]
.LBB294_16:                             ;   in Loop: Header=BB294_6 Depth=1
	s_waitcnt vmcnt(2)
	v_exp_f32_e32 v34, s4
	v_accvgpr_read_b32 v33, a7
	v_accvgpr_read_b32 v25, a3
	v_accvgpr_read_b32 v29, a11
	v_accvgpr_read_b32 v21, a15
	v_accvgpr_read_b32 v32, a6
	v_accvgpr_read_b32 v31, a5
	v_accvgpr_read_b32 v30, a4
	v_accvgpr_read_b32 v24, a2
	v_accvgpr_read_b32 v23, a1
	v_accvgpr_read_b32 v22, a0
	v_accvgpr_read_b32 v28, a10
	v_accvgpr_read_b32 v27, a9
	v_accvgpr_read_b32 v26, a8
	v_accvgpr_read_b32 v20, a14
	v_accvgpr_read_b32 v19, a13
	v_accvgpr_read_b32 v18, a12
	s_add_i32 s47, s47, 64
	v_fma_f32 v2, v2, v34, v30
	v_fma_f32 v3, v3, v34, v31
	v_fma_f32 v4, v4, v34, v32
	v_fmac_f32_e32 v33, v97, v34
	v_fma_f32 v10, v10, v34, v22
	v_fma_f32 v11, v11, v34, v23
	v_fma_f32 v12, v12, v34, v24
	v_fmac_f32_e32 v25, v99, v34
	v_fma_f32 v6, v6, v34, v26
	v_fma_f32 v7, v7, v34, v27
	v_fma_f32 v8, v8, v34, v28
	v_fmac_f32_e32 v29, v96, v34
	v_fma_f32 v14, v14, v34, v18
	v_fma_f32 v15, v15, v34, v19
	;; [unrolled: 1-line block ×3, first 2 shown]
	s_cmp_eq_u32 s53, s62
	v_fmac_f32_e32 v21, v98, v34
	s_cbranch_scc1 .LBB294_18
; %bb.17:                               ;   in Loop: Header=BB294_6 Depth=1
	s_mov_b32 s61, s62
	v_mov_b32_e32 v97, v33
	v_mov_b32_e32 v96, v29
	;; [unrolled: 1-line block ×4, first 2 shown]
	s_branch .LBB294_6
.LBB294_18:
	v_mov_b32_e32 v5, v33
	v_mov_b32_e32 v9, v29
	;; [unrolled: 1-line block ×4, first 2 shown]
.LBB294_19:
	s_lshl_b32 s2, s53, 6
	s_sub_i32 s54, s46, s2
	s_cmp_gt_i32 s54, 0
	v_or_b32_e32 v34, s44, v60
	s_cbranch_scc1 .LBB294_21
; %bb.20:
	s_ashr_i32 s9, s49, 31
	v_or_b32_e32 v18, s44, v60
	s_cbranch_execz .LBB294_22
	s_branch .LBB294_86
.LBB294_21:
                                        ; implicit-def: $vgpr18
                                        ; implicit-def: $sgpr8_sgpr9
.LBB294_22:
	s_add_i32 s8, s2, s40
	s_ashr_i32 s2, s8, 31
	s_cmpk_lg_i32 s31, 0x80
	s_cselect_b64 s[36:37], -1, 0
	s_and_b64 vcc, exec, s[36:37]
	s_cbranch_vccz .LBB294_24
; %bb.23:
	s_mul_i32 s1, s8, s30
	s_ashr_i32 s3, s56, 31
	s_mul_hi_i32 s0, s8, s30
	s_add_u32 s46, s1, s56
	s_addc_u32 s47, s0, s3
	s_cbranch_execz .LBB294_25
	s_branch .LBB294_26
.LBB294_24:
                                        ; implicit-def: $sgpr46_sgpr47
.LBB294_25:
	s_mul_i32 s1, s56, s28
	s_mul_hi_i32 s0, s56, s28
	s_add_u32 s46, s1, s8
	s_addc_u32 s47, s0, s2
.LBB294_26:
	s_add_i32 s3, s53, s55
	s_ashr_i32 s9, s49, 31
	s_add_u32 s0, s58, s8
	v_lshlrev_b32_e32 v22, 5, v1
	v_lshlrev_b32_e32 v40, 2, v60
	s_addc_u32 s1, s57, s2
	s_mov_b32 s2, 0x7060302
	v_or_b32_e32 v25, v22, v40
	v_xor_b32_e32 v23, v1, v40
	v_perm_b32 v19, v5, v4, s2
	v_perm_b32 v18, v3, v2, s2
	;; [unrolled: 1-line block ×4, first 2 shown]
	v_lshlrev_b32_e32 v25, 1, v25
	s_lshl_b64 s[10:11], s[0:1], 8
	v_xor_b32_e32 v24, v63, v40
	ds_write2st64_b64 v25, v[18:19], v[20:21] offset0:80 offset1:88
	v_lshlrev_b32_e32 v23, 1, v23
	v_lshlrev_b32_e32 v25, 8, v60
	s_add_u32 s0, s18, s10
	v_or_b32_e32 v26, v23, v25
	v_lshlrev_b32_e32 v24, 1, v24
	s_addc_u32 s1, s19, s11
	ds_write_b64 v26, v[18:19]
	v_or_b32_e32 v18, v24, v25
	v_or_b32_e32 v25, 16, v60
	s_mul_hi_i32 s4, s3, s29
	s_mul_i32 s3, s3, s29
	ds_write_b64 v18, v[20:21]
	v_perm_b32 v19, v13, v12, s2
	v_perm_b32 v18, v11, v10, s2
	;; [unrolled: 1-line block ×4, first 2 shown]
	v_lshlrev_b32_e32 v37, 2, v25
	s_add_u32 s2, s3, s49
	v_or_b32_e32 v22, v22, v37
	s_addc_u32 s3, s4, s9
	v_lshlrev_b32_e32 v22, 1, v22
	s_ashr_i32 s45, s44, 31
	s_lshl_b64 s[2:3], s[2:3], 15
	ds_write2st64_b64 v22, v[18:19], v[20:21] offset0:80 offset1:88
	v_lshlrev_b32_e32 v22, 8, v25
	s_add_u32 s4, s42, s2
	v_or_b32_e32 v23, v23, v22
	s_addc_u32 s5, s43, s3
	s_lshl_b64 s[2:3], s[44:45], 8
	ds_write_b64 v23, v[18:19]
	v_or_b32_e32 v18, v24, v22
	s_add_u32 s2, s4, s2
	ds_write_b64 v18, v[20:21]
	v_lshrrev_b32_e32 v18, 4, v0
	s_addc_u32 s3, s5, s3
	v_lshlrev_b32_e32 v19, 1, v60
	v_lshlrev_b32_e32 v26, 4, v60
	v_mov_b32_e32 v27, 0
	v_or_b32_e32 v20, 1, v19
	v_xor_b32_e32 v19, v18, v19
	v_lshl_add_u64 v[28:29], s[2:3], 0, v[26:27]
	v_lshlrev_b32_e32 v26, 8, v18
	v_xor_b32_e32 v22, v20, v18
	v_lshl_or_b32 v18, v19, 3, v26
	s_waitcnt lgkmcnt(0)
	s_barrier
	ds_read2st64_b64 v[18:21], v18 offset1:8
	v_lshl_or_b32 v22, v22, 3, v26
	ds_read2st64_b64 v[22:25], v22 offset1:8
	v_lshl_add_u64 v[30:31], v[28:29], 0, v[26:27]
	s_movk_i32 s2, 0x1000
	s_waitcnt lgkmcnt(1)
	v_mov_b32_e32 v26, v18
	v_add_co_u32_e32 v18, vcc, s2, v30
	s_cmp_lg_u32 s54, 64
	v_mov_b32_e32 v27, v19
	v_addc_co_u32_e32 v19, vcc, 0, v31, vcc
	s_cselect_b64 s[14:15], -1, 0
	v_lshl_or_b32 v35, v56, 3, v62
	s_waitcnt lgkmcnt(0)
	v_mov_b32_e32 v28, v22
	v_mov_b32_e32 v29, v23
	;; [unrolled: 1-line block ×4, first 2 shown]
	s_mov_b32 s4, 0
	v_or_b32_e32 v38, 32, v35
	v_and_b32_e32 v36, 56, v61
	s_and_b64 vcc, exec, s[14:15]
	global_store_dwordx4 v[30:31], v[26:29], off
	global_store_dwordx4 v[18:19], v[22:25], off
	s_cbranch_vccz .LBB294_32
; %bb.27:
	s_mov_b32 s6, s4
	s_mov_b32 s7, s4
	;; [unrolled: 1-line block ×3, first 2 shown]
	v_mov_b64_e32 v[24:25], s[6:7]
	v_mov_b64_e32 v[22:23], s[4:5]
	;; [unrolled: 1-line block ×3, first 2 shown]
	v_cmp_gt_i32_e32 vcc, s54, v35
	v_mov_b64_e32 v[20:21], v[24:25]
	s_and_saveexec_b64 s[2:3], vcc
	s_cbranch_execz .LBB294_29
; %bb.28:
	v_lshlrev_b32_e32 v18, 8, v35
	v_mov_b32_e32 v19, 0
	v_lshl_add_u64 v[20:21], s[0:1], 0, v[18:19]
	v_lshlrev_b32_e32 v18, 1, v36
	v_lshl_add_u64 v[26:27], v[20:21], 0, v[18:19]
	global_load_dwordx4 v[22:25], v[26:27], off
	global_load_dwordx4 v[18:21], v[26:27], off offset:128
.LBB294_29:
	s_or_b64 exec, exec, s[2:3]
	s_mov_b32 s6, s4
	s_mov_b32 s7, s4
	;; [unrolled: 1-line block ×3, first 2 shown]
	v_mov_b64_e32 v[32:33], s[6:7]
	v_mov_b64_e32 v[30:31], s[4:5]
	;; [unrolled: 1-line block ×3, first 2 shown]
	v_cmp_gt_i32_e32 vcc, s54, v38
	v_lshlrev_b32_e32 v39, 7, v38
	v_mov_b64_e32 v[28:29], v[32:33]
	s_and_saveexec_b64 s[2:3], vcc
	s_cbranch_execz .LBB294_31
; %bb.30:
	v_lshlrev_b32_e32 v26, 1, v39
	v_mov_b32_e32 v27, 0
	v_lshl_add_u64 v[28:29], s[0:1], 0, v[26:27]
	v_lshlrev_b32_e32 v26, 1, v36
	v_lshl_add_u64 v[42:43], v[28:29], 0, v[26:27]
	global_load_dwordx4 v[30:33], v[42:43], off
	global_load_dwordx4 v[26:29], v[42:43], off offset:128
.LBB294_31:
	s_or_b64 exec, exec, s[2:3]
	v_lshrrev_b32_e32 v41, 3, v36
	v_lshlrev_b32_e32 v42, 3, v35
	v_or_b32_e32 v41, v42, v41
	v_lshlrev_b32_e32 v41, 4, v41
	v_and_b32_e32 v42, 0x78, v42
	v_xor_b32_e32 v41, v41, v42
	s_branch .LBB294_34
.LBB294_32:
                                        ; implicit-def: $vgpr41
                                        ; implicit-def: $vgpr39
                                        ; implicit-def: $vgpr22_vgpr23_vgpr24_vgpr25
                                        ; implicit-def: $vgpr18_vgpr19_vgpr20_vgpr21
                                        ; implicit-def: $vgpr30_vgpr31_vgpr32_vgpr33
                                        ; implicit-def: $vgpr26_vgpr27_vgpr28_vgpr29
	s_cbranch_execz .LBB294_34
; %bb.33:
	s_waitcnt vmcnt(0)
	v_lshlrev_b32_e32 v18, 1, v36
	v_lshl_or_b32 v39, v35, 8, v18
	s_and_b32 s1, s1, 0xffff
	s_mov_b32 s3, 0x20000
	s_movk_i32 s2, 0x4000
	v_lshl_or_b32 v41, v38, 8, v18
	s_movk_i32 s4, 0x80
	buffer_load_dwordx4 v[22:25], v39, s[0:3], 0 offen
	buffer_load_dwordx4 v[18:21], v39, s[0:3], s4 offen
	;; [unrolled: 1-line block ×4, first 2 shown]
	v_lshrrev_b32_e32 v39, 3, v36
	v_lshlrev_b32_e32 v41, 3, v35
	v_or_b32_e32 v39, v41, v39
	v_lshlrev_b32_e32 v39, 4, v39
	v_and_b32_e32 v41, 0x78, v41
	v_xor_b32_e32 v41, v39, v41
	v_lshlrev_b32_e32 v39, 7, v38
.LBB294_34:
	s_lshl_b64 s[0:1], s[46:47], 8
	s_add_u32 s4, s16, s0
	s_movk_i32 s0, 0x1000
	v_and_or_b32 v38, v39, s0, v41
	s_waitcnt vmcnt(1)
	ds_write_b64 v41, v[22:23] offset:24576
	v_xor_b32_e32 v22, 8, v41
	ds_write_b64 v22, v[24:25] offset:24576
	s_waitcnt vmcnt(0)
	ds_write_b64 v41, v[18:19] offset:32768
	ds_write_b64 v22, v[20:21] offset:32768
	;; [unrolled: 1-line block ×3, first 2 shown]
	v_xor_b32_e32 v18, 8, v38
	ds_write_b64 v18, v[32:33] offset:24576
	ds_write_b64 v38, v[26:27] offset:32768
	;; [unrolled: 1-line block ×3, first 2 shown]
	v_or_b32_e32 v18, v57, v60
	v_lshlrev_b32_e32 v18, 3, v18
	v_lshrrev_b32_e32 v19, 5, v58
	s_movk_i32 s7, 0xf8
	v_and_or_b32 v19, v18, s7, v19
	v_lshlrev_b32_e32 v23, 4, v19
	v_lshlrev_b32_e32 v41, 11, v56
	v_and_b32_e32 v24, 0x78, v18
	v_or_b32_e32 v26, 32, v23
	v_and_b32_e32 v22, 0x1000, v41
	v_lshrrev_b32_e32 v19, 1, v58
	v_xor_b32_e32 v26, v26, v24
	v_xor_b32_e32 v18, v23, v24
	v_and_b32_e32 v25, 8, v19
	v_or_b32_e32 v26, v26, v22
	v_or_b32_e32 v18, v18, v22
	v_xor_b32_e32 v45, v26, v25
	v_or_b32_e32 v26, 64, v23
	v_xor_b32_e32 v44, v18, v25
	v_xor_b32_e32 v26, v26, v24
	s_waitcnt lgkmcnt(0)
	s_barrier
	v_or_b32_e32 v28, v26, v22
	ds_read_b64 v[26:27], v44 offset:24576
	v_lshl_or_b32 v38, v59, 7, v40
	v_lshlrev_b32_e32 v42, 1, v38
	v_add_u32_e32 v18, 0xa000, v42
	ds_read2_b64 v[18:21], v18 offset1:16
	v_or_b32_e32 v23, 0x60, v23
	v_xor_b32_e32 v23, v23, v24
	s_waitcnt lgkmcnt(0)
	v_mfma_f32_16x16x16_bf16 a[0:3], v[26:27], v[18:19], 0
	v_or_b32_e32 v18, 64, v38
	v_or_b32_e32 v22, v23, v22
	v_lshlrev_b32_e32 v43, 1, v18
	v_xor_b32_e32 v46, v28, v25
	v_xor_b32_e32 v47, v22, v25
	ds_read_b64 v[28:29], v45 offset:24576
	ds_read_b64 v[30:31], v46 offset:24576
	;; [unrolled: 1-line block ×3, first 2 shown]
	v_mfma_f32_16x16x16_bf16 a[4:7], v[26:27], v[20:21], 0
	ds_read2st64_b64 v[18:21], v43 offset0:82 offset1:84
	ds_read2st64_b64 v[22:25], v42 offset0:82 offset1:84
	s_addc_u32 s5, s17, s1
	s_add_i32 s2, s41, -1
	s_add_i32 s0, s51, s50
	s_add_i32 s13, s0, s52
	s_mul_i32 s0, s49, s39
	s_mul_hi_u32 s1, s49, s38
	s_ashr_i32 s3, s2, 31
	s_mul_i32 s6, s2, s27
	s_mul_hi_u32 s7, s2, s26
	s_add_i32 s0, s1, s0
	s_mul_i32 s1, s9, s38
	s_add_i32 s6, s7, s6
	s_mul_i32 s3, s3, s26
	s_waitcnt lgkmcnt(1)
	v_mfma_f32_16x16x16_bf16 a[4:7], v[28:29], v[18:19], a[4:7]
	s_add_i32 s1, s0, s1
	s_add_i32 s3, s6, s3
	s_lshl_b64 s[6:7], s[12:13], 2
	s_waitcnt lgkmcnt(0)
	v_mfma_f32_16x16x16_bf16 a[0:3], v[28:29], v[22:23], a[0:3]
	s_mul_i32 s0, s49, s38
	s_add_u32 s6, s22, s6
	s_addc_u32 s7, s23, s7
	s_lshl_b64 s[0:1], s[0:1], 2
	s_mul_i32 s2, s2, s26
	s_add_u32 s12, s6, s0
	ds_read_b64 v[18:19], v42 offset:44032
	v_mfma_f32_16x16x16_bf16 a[4:7], v[30:31], v[20:21], a[4:7]
	ds_read_b64 v[20:21], v43 offset:44032
	s_addc_u32 s13, s7, s1
	s_lshl_b64 s[0:1], s[2:3], 2
	v_mfma_f32_16x16x16_bf16 a[0:3], v[30:31], v[24:25], a[0:3]
	s_add_u32 s0, s12, s0
	s_addc_u32 s1, s13, s1
	s_load_dword s16, s[0:1], 0x0
	s_waitcnt lgkmcnt(0)
	v_mfma_f32_16x16x16_bf16 a[0:3], v[32:33], v[18:19], a[0:3]
	s_and_b64 vcc, exec, s[36:37]
	v_mfma_f32_16x16x16_bf16 a[4:7], v[32:33], v[20:21], a[4:7]
	s_cbranch_vccz .LBB294_45
; %bb.35:
	v_lshlrev_b32_e32 v38, 1, v35
	s_and_b64 vcc, exec, s[14:15]
	s_cbranch_vccz .LBB294_46
; %bb.36:
	v_cmp_gt_i32_e32 vcc, s54, v38
	v_mov_b32_e32 v22, 0
	v_mov_b32_e32 v18, 0
	v_mov_b32_e32 v19, 0
	v_mov_b32_e32 v20, 0
	v_mov_b32_e32 v21, 0
	s_and_saveexec_b64 s[0:1], vcc
	s_cbranch_execz .LBB294_38
; %bb.37:
	v_mad_i64_i32 v[18:19], s[2:3], s31, v38, 0
	v_lshl_add_u64 v[18:19], v[18:19], 1, s[4:5]
	v_lshlrev_b32_e32 v20, 1, v36
	v_mov_b32_e32 v21, 0
	v_lshl_add_u64 v[18:19], v[18:19], 0, v[20:21]
	global_load_dwordx4 v[18:21], v[18:19], off
.LBB294_38:
	s_or_b64 exec, exec, s[0:1]
	v_or_b32_e32 v39, 1, v38
	v_cmp_gt_i32_e64 s[0:1], s54, v39
	v_mov_b32_e32 v23, 0
	v_mov_b32_e32 v24, 0
	;; [unrolled: 1-line block ×3, first 2 shown]
	s_and_saveexec_b64 s[2:3], s[0:1]
	s_cbranch_execz .LBB294_40
; %bb.39:
	v_mad_i64_i32 v[22:23], s[6:7], s31, v39, 0
	v_lshl_add_u64 v[22:23], v[22:23], 1, s[4:5]
	v_lshlrev_b32_e32 v24, 1, v36
	v_mov_b32_e32 v25, 0
	v_lshl_add_u64 v[22:23], v[22:23], 0, v[24:25]
	global_load_dwordx4 v[22:25], v[22:23], off
.LBB294_40:
	s_or_b64 exec, exec, s[2:3]
	v_mov_b32_e32 v33, 0
	v_mov_b32_e32 v26, 0
	;; [unrolled: 1-line block ×5, first 2 shown]
	s_and_saveexec_b64 s[2:3], vcc
	s_cbranch_execz .LBB294_42
; %bb.41:
	v_mad_i64_i32 v[26:27], s[6:7], s31, v38, 0
	v_lshl_add_u64 v[26:27], v[26:27], 1, s[4:5]
	v_lshlrev_b32_e32 v28, 1, v36
	v_mov_b32_e32 v29, 0
	v_lshl_add_u64 v[26:27], v[26:27], 0, v[28:29]
	global_load_dwordx4 v[26:29], v[26:27], off offset:128
.LBB294_42:
	s_or_b64 exec, exec, s[2:3]
	v_mov_b32_e32 v32, 0
	v_mov_b32_e32 v31, 0
	;; [unrolled: 1-line block ×3, first 2 shown]
	s_and_saveexec_b64 s[2:3], s[0:1]
	s_cbranch_execz .LBB294_44
; %bb.43:
	v_mad_i64_i32 v[30:31], s[0:1], s31, v39, 0
	v_lshl_add_u64 v[30:31], v[30:31], 1, s[4:5]
	v_lshlrev_b32_e32 v32, 1, v36
	v_mov_b32_e32 v33, 0
	v_lshl_add_u64 v[30:31], v[30:31], 0, v[32:33]
	global_load_dwordx4 v[30:33], v[30:31], off offset:128
.LBB294_44:
	s_or_b64 exec, exec, s[2:3]
	s_branch .LBB294_48
.LBB294_45:
                                        ; implicit-def: $vgpr21
                                        ; implicit-def: $vgpr25
                                        ; implicit-def: $vgpr29
                                        ; implicit-def: $vgpr33
	v_lshrrev_b32_e32 v48, 2, v58
	s_branch .LBB294_49
.LBB294_46:
                                        ; implicit-def: $vgpr21
                                        ; implicit-def: $vgpr25
                                        ; implicit-def: $vgpr29
                                        ; implicit-def: $vgpr33
	s_cbranch_execz .LBB294_48
; %bb.47:
	s_waitcnt vmcnt(0)
	v_mad_u64_u32 v[18:19], s[0:1], v38, s31, v[36:37]
	v_lshlrev_b32_e32 v38, 1, v18
	s_lshl_b32 s2, s31, 7
	s_and_b32 s1, s5, 0xffff
	s_mov_b32 s3, 0x20000
	s_mov_b32 s0, s4
	v_add_lshl_u32 v39, v18, s31, 1
	s_movk_i32 s6, 0x80
	buffer_load_dwordx4 v[18:21], v38, s[0:3], 0 offen
	buffer_load_dwordx4 v[26:29], v38, s[0:3], s6 offen
	;; [unrolled: 1-line block ×4, first 2 shown]
.LBB294_48:
	v_lshrrev_b32_e32 v48, 2, v58
	s_cbranch_execnz .LBB294_61
.LBB294_49:
	s_and_b64 vcc, exec, s[14:15]
	s_cbranch_vccz .LBB294_59
; %bb.50:
	s_waitcnt vmcnt(0)
	v_lshlrev_b32_e32 v23, 1, v35
	v_cmp_gt_i32_e32 vcc, s54, v23
	v_mov_b32_e32 v22, 0
	v_lshlrev_b32_e32 v30, 9, v35
	v_mov_b32_e32 v18, 0
	v_mov_b32_e32 v19, 0
	;; [unrolled: 1-line block ×4, first 2 shown]
	s_and_saveexec_b64 s[0:1], vcc
	s_cbranch_execz .LBB294_52
; %bb.51:
	v_mov_b32_e32 v31, 0
	v_lshl_add_u64 v[18:19], s[4:5], 0, v[30:31]
	v_lshlrev_b32_e32 v20, 1, v36
	v_mov_b32_e32 v21, v31
	v_lshl_add_u64 v[18:19], v[18:19], 0, v[20:21]
	global_load_dwordx4 v[18:21], v[18:19], off
.LBB294_52:
	s_or_b64 exec, exec, s[0:1]
	v_or_b32_e32 v23, 1, v23
	v_cmp_gt_i32_e64 s[0:1], s54, v23
	v_lshlrev_b32_e32 v38, 8, v23
	v_mov_b32_e32 v23, 0
	v_mov_b32_e32 v24, 0
	;; [unrolled: 1-line block ×3, first 2 shown]
	s_and_saveexec_b64 s[2:3], s[0:1]
	s_cbranch_execz .LBB294_54
; %bb.53:
	v_mov_b32_e32 v39, 0
	v_lshl_add_u64 v[22:23], s[4:5], 0, v[38:39]
	v_lshlrev_b32_e32 v24, 1, v36
	v_mov_b32_e32 v25, v39
	v_lshl_add_u64 v[22:23], v[22:23], 0, v[24:25]
	global_load_dwordx4 v[22:25], v[22:23], off
.LBB294_54:
	s_or_b64 exec, exec, s[2:3]
	v_mov_b32_e32 v33, 0
	v_mov_b32_e32 v26, 0
	;; [unrolled: 1-line block ×5, first 2 shown]
	s_and_saveexec_b64 s[2:3], vcc
	s_cbranch_execz .LBB294_56
; %bb.55:
	v_mov_b32_e32 v31, 0
	v_lshl_add_u64 v[26:27], s[4:5], 0, v[30:31]
	v_lshlrev_b32_e32 v30, 1, v36
	v_lshl_add_u64 v[26:27], v[26:27], 0, v[30:31]
	global_load_dwordx4 v[26:29], v[26:27], off offset:128
.LBB294_56:
	s_or_b64 exec, exec, s[2:3]
	v_mov_b32_e32 v32, 0
	v_mov_b32_e32 v31, 0
	v_mov_b32_e32 v30, 0
	s_and_saveexec_b64 s[2:3], s[0:1]
	s_cbranch_execz .LBB294_58
; %bb.57:
	v_mov_b32_e32 v39, 0
	v_lshl_add_u64 v[30:31], s[4:5], 0, v[38:39]
	v_lshlrev_b32_e32 v38, 1, v36
	v_lshl_add_u64 v[30:31], v[30:31], 0, v[38:39]
	global_load_dwordx4 v[30:33], v[30:31], off offset:128
.LBB294_58:
	s_or_b64 exec, exec, s[2:3]
	s_branch .LBB294_61
.LBB294_59:
                                        ; implicit-def: $vgpr21
                                        ; implicit-def: $vgpr25
                                        ; implicit-def: $vgpr29
                                        ; implicit-def: $vgpr33
	s_cbranch_execz .LBB294_61
; %bb.60:
	s_waitcnt vmcnt(0)
	v_lshlrev_b32_e32 v18, 1, v36
	v_lshl_or_b32 v36, v35, 9, v18
	s_and_b32 s5, s5, 0xffff
	s_mov_b32 s7, 0x20000
	s_movk_i32 s6, 0x4000
	s_movk_i32 s0, 0x80
	buffer_load_dwordx4 v[18:21], v36, s[4:7], 0 offen
	buffer_load_dwordx4 v[22:25], v36, s[4:7], 0 offen offset:256
	buffer_load_dwordx4 v[26:29], v36, s[4:7], s0 offen
	buffer_load_dwordx4 v[30:33], v36, s[4:7], s0 offen offset:256
.LBB294_61:
	ds_read_b64 v[38:39], v44 offset:32768
	v_add_u32_e32 v36, 0xb000, v42
	ds_read2_b64 v[50:53], v36 offset1:16
	ds_read_b64 v[54:55], v45 offset:32768
	ds_read_b64 v[58:59], v46 offset:32768
	;; [unrolled: 1-line block ×3, first 2 shown]
	v_and_b32_e32 v36, 6, v0
	v_xor_b32_e32 v35, v35, v36
	v_lshlrev_b32_e32 v35, 2, v35
	v_and_b32_e32 v49, 1, v0
	v_cmp_eq_u32_e32 vcc, 0, v49
	s_mov_b32 s0, 0x1000504
	s_waitcnt lgkmcnt(3)
	v_mfma_f32_16x16x16_bf16 a[0:3], v[38:39], v[50:51], a[0:3]
	s_mov_b32 s1, 0x3020706
	v_mfma_f32_16x16x16_bf16 a[4:7], v[38:39], v[52:53], a[4:7]
	ds_read2st64_b64 v[44:47], v42 offset0:90 offset1:92
	ds_read2st64_b64 v[50:53], v43 offset0:90 offset1:92
	s_waitcnt lgkmcnt(1)
	v_mfma_f32_16x16x16_bf16 a[0:3], v[54:55], v[44:45], a[0:3]
	ds_read_b64 v[38:39], v42 offset:48128
	ds_read_b64 v[44:45], v43 offset:48128
	s_waitcnt lgkmcnt(2)
	v_mfma_f32_16x16x16_bf16 a[4:7], v[54:55], v[50:51], a[4:7]
	v_mfma_f32_16x16x16_bf16 a[0:3], v[58:59], v[46:47], a[0:3]
	v_xor_b32_e32 v46, 0x440, v35
	v_cndmask_b32_e32 v35, v46, v35, vcc
	v_lshl_or_b32 v35, v36, 10, v35
	v_mfma_f32_16x16x16_bf16 a[8:11], v[58:59], v[52:53], a[4:7]
	s_waitcnt vmcnt(0)
	v_perm_b32 v36, v18, v22, s0
	v_perm_b32 v18, v18, v22, s1
	;; [unrolled: 1-line block ×3, first 2 shown]
	s_waitcnt lgkmcnt(1)
	v_mfma_f32_16x16x16_bf16 a[4:7], v[60:61], v[38:39], a[0:3]
	v_perm_b32 v38, v26, v30, s0
	ds_write2st64_b32 v35, v36, v38 offset0:32 offset1:64
	v_xor_b32_e32 v36, 8, v35
	v_add_u32_e32 v26, 0x80, v36
	ds_write2st64_b32 v26, v18, v22 offset0:32 offset1:64
	v_xor_b32_e32 v18, 16, v35
	v_perm_b32 v22, v19, v23, s0
	v_perm_b32 v26, v27, v31, s0
	ds_write2st64_b32 v18, v22, v26 offset0:33 offset1:65
	v_xor_b32_e32 v18, 24, v35
	v_perm_b32 v19, v19, v23, s1
	v_perm_b32 v22, v27, v31, s1
	v_add_u32_e32 v18, 0x80, v18
	ds_write2st64_b32 v18, v19, v22 offset0:33 offset1:65
	v_xor_b32_e32 v18, 32, v35
	v_perm_b32 v19, v20, v24, s0
	v_perm_b32 v22, v28, v32, s0
	ds_write2st64_b32 v18, v19, v22 offset0:34 offset1:66
	v_xor_b32_e32 v18, 40, v35
	s_waitcnt lgkmcnt(5)
	v_mfma_f32_16x16x16_bf16 a[0:3], v[60:61], v[44:45], a[8:11]
	v_perm_b32 v19, v20, v24, s1
	v_perm_b32 v20, v28, v32, s1
	v_add_u32_e32 v18, 0x80, v18
	ds_write2st64_b32 v18, v19, v20 offset0:34 offset1:66
	v_xor_b32_e32 v18, 48, v35
	v_perm_b32 v19, v21, v25, s0
	v_perm_b32 v20, v29, v33, s0
	ds_write2st64_b32 v18, v19, v20 offset0:35 offset1:67
	v_xor_b32_e32 v18, 56, v35
	v_and_or_b32 v39, v48, 12, v57
	v_perm_b32 v19, v21, v25, s1
	v_perm_b32 v20, v29, v33, s1
	v_add_u32_e32 v18, 0x80, v18
	v_cmp_gt_i32_e32 vcc, s54, v39
	v_mov_b32_e32 v32, 0
	v_mov_b32_e32 v36, 0
	ds_write2st64_b32 v18, v19, v20 offset0:35 offset1:67
	s_and_saveexec_b64 s[0:1], vcc
	s_cbranch_execz .LBB294_63
; %bb.62:
	v_add_u32_e32 v18, s8, v39
	v_ashrrev_i32_e32 v19, 31, v18
	v_mul_lo_u32 v20, v19, s26
	v_mul_lo_u32 v21, v18, s27
	v_mad_u64_u32 v[18:19], s[2:3], v18, s26, 0
	v_add3_u32 v19, v19, v21, v20
	v_lshl_add_u64 v[18:19], v[18:19], 2, s[12:13]
	global_load_dword v18, v[18:19], off
	s_waitcnt vmcnt(0)
	v_sub_f32_e32 v18, s16, v18
	v_exp_f32_e32 v36, v18
.LBB294_63:
	s_or_b64 exec, exec, s[0:1]
	v_or_b32_e32 v26, 1, v39
	v_cmp_gt_i32_e64 s[0:1], s54, v26
	s_and_saveexec_b64 s[2:3], s[0:1]
	s_cbranch_execz .LBB294_65
; %bb.64:
	v_add_u32_e32 v18, s8, v26
	v_ashrrev_i32_e32 v19, 31, v18
	v_mul_lo_u32 v20, v19, s26
	v_mul_lo_u32 v21, v18, s27
	v_mad_u64_u32 v[18:19], s[4:5], v18, s26, 0
	v_add3_u32 v19, v19, v21, v20
	v_lshl_add_u64 v[18:19], v[18:19], 2, s[12:13]
	global_load_dword v18, v[18:19], off
	s_waitcnt vmcnt(0)
	v_sub_f32_e32 v18, s16, v18
	v_exp_f32_e32 v32, v18
.LBB294_65:
	s_or_b64 exec, exec, s[2:3]
	v_or_b32_e32 v27, 2, v39
	v_cmp_gt_i32_e64 s[2:3], s54, v27
	v_mov_b32_e32 v33, 0
	v_mov_b32_e32 v38, 0
	s_and_saveexec_b64 s[4:5], s[2:3]
	s_cbranch_execz .LBB294_67
; %bb.66:
	v_add_u32_e32 v18, s8, v27
	v_ashrrev_i32_e32 v19, 31, v18
	v_mul_lo_u32 v20, v19, s26
	v_mul_lo_u32 v21, v18, s27
	v_mad_u64_u32 v[18:19], s[6:7], v18, s26, 0
	v_add3_u32 v19, v19, v21, v20
	v_lshl_add_u64 v[18:19], v[18:19], 2, s[12:13]
	global_load_dword v18, v[18:19], off
	s_waitcnt vmcnt(0)
	v_sub_f32_e32 v18, s16, v18
	v_exp_f32_e32 v38, v18
.LBB294_67:
	s_or_b64 exec, exec, s[4:5]
	v_or_b32_e32 v44, 3, v39
	v_cmp_gt_i32_e64 s[4:5], s54, v44
	s_and_saveexec_b64 s[6:7], s[4:5]
	s_cbranch_execz .LBB294_69
; %bb.68:
	v_add_u32_e32 v18, s8, v44
	v_ashrrev_i32_e32 v19, 31, v18
	v_mul_lo_u32 v20, v19, s26
	v_mul_lo_u32 v21, v18, s27
	v_mad_u64_u32 v[18:19], s[14:15], v18, s26, 0
	v_add3_u32 v19, v19, v21, v20
	v_lshl_add_u64 v[18:19], v[18:19], 2, s[12:13]
	global_load_dword v18, v[18:19], off
	s_waitcnt vmcnt(0)
	v_sub_f32_e32 v18, s16, v18
	v_exp_f32_e32 v33, v18
.LBB294_69:
	s_or_b64 exec, exec, s[6:7]
	s_add_u32 s6, s20, s10
	v_accvgpr_read_b32 v21, a7
	s_addc_u32 s7, s21, s11
	v_ashrrev_i32_e32 v35, 31, v34
	v_accvgpr_read_b32 v20, a6
	v_accvgpr_read_b32 v19, a5
	;; [unrolled: 1-line block ×3, first 2 shown]
	v_lshl_add_u64 v[22:23], v[34:35], 1, s[6:7]
	v_mov_b32_e32 v29, 0
	v_lshlrev_b32_e32 v24, 8, v39
	v_mov_b32_e32 v25, 0
	s_and_saveexec_b64 s[6:7], vcc
	s_cbranch_execz .LBB294_71
; %bb.70:
	v_mov_b32_e32 v25, 0
	v_lshl_add_u64 v[30:31], v[22:23], 0, v[24:25]
	global_load_ushort v25, v[30:31], off
	s_waitcnt vmcnt(0)
	v_lshlrev_b32_e32 v25, 16, v25
	v_sub_f32_e32 v18, v25, v18
	v_mul_f32_e32 v18, v36, v18
	v_lshrrev_b32_e32 v25, 16, v18
.LBB294_71:
	s_or_b64 exec, exec, s[6:7]
	v_lshlrev_b32_e32 v28, 8, v26
	s_and_saveexec_b64 s[6:7], s[0:1]
	s_cbranch_execz .LBB294_73
; %bb.72:
	v_mov_b32_e32 v29, 0
	v_lshl_add_u64 v[30:31], v[22:23], 0, v[28:29]
	global_load_ushort v18, v[30:31], off
	s_waitcnt vmcnt(0)
	v_lshlrev_b32_e32 v18, 16, v18
	v_sub_f32_e32 v18, v18, v19
	v_mul_f32_e32 v18, v32, v18
	v_lshrrev_b32_e32 v29, 16, v18
.LBB294_73:
	s_or_b64 exec, exec, s[6:7]
	v_mov_b32_e32 v45, 0
	v_lshlrev_b32_e32 v30, 8, v27
	v_mov_b32_e32 v31, 0
	s_and_saveexec_b64 s[6:7], s[2:3]
	s_cbranch_execz .LBB294_75
; %bb.74:
	v_mov_b32_e32 v31, 0
	v_lshl_add_u64 v[18:19], v[22:23], 0, v[30:31]
	global_load_ushort v18, v[18:19], off
	s_waitcnt vmcnt(0)
	v_lshlrev_b32_e32 v18, 16, v18
	v_sub_f32_e32 v18, v18, v20
	v_mul_f32_e32 v18, v38, v18
	v_lshrrev_b32_e32 v31, 16, v18
.LBB294_75:
	s_or_b64 exec, exec, s[6:7]
	v_lshlrev_b32_e32 v26, 8, v44
	s_and_saveexec_b64 s[6:7], s[4:5]
	s_cbranch_execz .LBB294_77
; %bb.76:
	v_mov_b32_e32 v27, 0
	v_lshl_add_u64 v[18:19], v[22:23], 0, v[26:27]
	global_load_ushort v18, v[18:19], off
	s_waitcnt vmcnt(0)
	v_lshlrev_b32_e32 v18, 16, v18
	v_sub_f32_e32 v18, v18, v21
	v_mul_f32_e32 v18, v33, v18
	v_lshrrev_b32_e32 v45, 16, v18
.LBB294_77:
	s_or_b64 exec, exec, s[6:7]
	v_lshlrev_b32_e32 v35, 5, v39
	s_mov_b32 s6, 0x5040100
	v_perm_b32 v44, v29, v25, s6
	v_or_b32_e32 v25, v35, v40
	v_accvgpr_read_b32 v21, a3
	v_perm_b32 v45, v45, v31, s6
	v_lshlrev_b32_e32 v25, 1, v25
	v_accvgpr_read_b32 v20, a2
	v_accvgpr_read_b32 v19, a1
	;; [unrolled: 1-line block ×3, first 2 shown]
	ds_write_b64 v25, v[44:45] offset:45056
	v_mov_b32_e32 v29, 0
	v_mov_b32_e32 v25, 0
	s_and_saveexec_b64 s[6:7], vcc
	s_cbranch_execz .LBB294_79
; %bb.78:
	v_mov_b32_e32 v25, 0
	v_lshl_add_u64 v[24:25], v[22:23], 0, v[24:25]
	global_load_ushort v24, v[24:25], off offset:32
	s_waitcnt vmcnt(0)
	v_lshlrev_b32_e32 v24, 16, v24
	v_sub_f32_e32 v18, v24, v18
	v_mul_f32_e32 v18, v36, v18
	v_lshrrev_b32_e32 v25, 16, v18
.LBB294_79:
	s_or_b64 exec, exec, s[6:7]
	s_and_saveexec_b64 s[6:7], s[0:1]
	s_cbranch_execz .LBB294_81
; %bb.80:
	v_mov_b32_e32 v29, 0
	v_lshl_add_u64 v[28:29], v[22:23], 0, v[28:29]
	global_load_ushort v18, v[28:29], off offset:32
	s_waitcnt vmcnt(0)
	v_lshlrev_b32_e32 v18, 16, v18
	v_sub_f32_e32 v18, v18, v19
	v_mul_f32_e32 v18, v32, v18
	v_lshrrev_b32_e32 v29, 16, v18
.LBB294_81:
	s_or_b64 exec, exec, s[6:7]
	v_mov_b32_e32 v24, 0
	v_mov_b32_e32 v28, 0
	s_and_saveexec_b64 s[0:1], s[2:3]
	s_cbranch_execz .LBB294_83
; %bb.82:
	v_mov_b32_e32 v31, 0
	v_lshl_add_u64 v[18:19], v[22:23], 0, v[30:31]
	global_load_ushort v18, v[18:19], off offset:32
	s_waitcnt vmcnt(0)
	v_lshlrev_b32_e32 v18, 16, v18
	v_sub_f32_e32 v18, v18, v20
	v_mul_f32_e32 v18, v38, v18
	v_lshrrev_b32_e32 v28, 16, v18
.LBB294_83:
	s_or_b64 exec, exec, s[0:1]
	v_or_b32_e32 v19, 0xb000, v42
	v_or_b32_e32 v18, 0xb000, v43
	s_and_saveexec_b64 s[0:1], s[4:5]
	s_cbranch_execz .LBB294_85
; %bb.84:
	v_mov_b32_e32 v27, 0
	v_lshl_add_u64 v[22:23], v[22:23], 0, v[26:27]
	global_load_ushort v20, v[22:23], off offset:32
	s_waitcnt vmcnt(0)
	v_lshlrev_b32_e32 v20, 16, v20
	v_sub_f32_e32 v20, v20, v21
	v_mul_f32_e32 v20, v33, v20
	v_lshrrev_b32_e32 v24, 16, v20
.LBB294_85:
	s_or_b64 exec, exec, s[0:1]
	s_mov_b32 s0, 0x5040100
	v_or_b32_e32 v22, v35, v37
	v_perm_b32 v21, v24, v28, s0
	v_perm_b32 v20, v29, v25, s0
	v_lshlrev_b32_e32 v22, 1, v22
	s_movk_i32 s0, 0x100
	ds_write_b64 v22, v[20:21] offset:45056
	v_and_b32_e32 v20, 7, v0
	v_and_b32_e32 v21, 8, v0
	v_cmp_gt_u32_e32 vcc, s0, v0
	v_lshrrev_b32_e32 v0, 1, v0
	v_lshlrev_b32_e32 v35, 3, v20
	v_lshlrev_b32_e32 v36, 7, v20
	v_mov_b32_e32 v20, 0x4000
	v_mov_b32_e32 v22, 0x2000
	v_lshlrev_b32_e32 v38, 3, v56
	v_and_b32_e32 v0, 24, v0
	v_cndmask_b32_e32 v37, v20, v22, vcc
	v_xor_b32_e32 v20, v38, v0
	v_or_b32_e32 v26, 32, v0
	v_or_b32_e32 v22, 0x440, v20
	v_cmp_eq_u32_e32 vcc, 0, v21
	v_xor_b32_e32 v26, v38, v26
	v_or_b32_e32 v27, 0x440, v26
	v_cndmask_b32_e32 v20, v22, v20, vcc
	v_or_b32_e32 v20, v20, v41
	v_cndmask_b32_e32 v26, v27, v26, vcc
	v_xad_u32 v40, v20, v35, v36
	v_or_b32_e32 v26, v26, v41
	v_add_u32_e32 v20, v37, v40
	v_xad_u32 v42, v26, v35, v36
	s_waitcnt lgkmcnt(0)
	s_barrier
	ds_read_b64 v[24:25], v20
	ds_read2_b64 v[20:23], v19 offset1:16
	v_add_u32_e32 v26, v37, v42
	ds_read_b64 v[32:33], v26
	s_waitcnt lgkmcnt(1)
	v_mfma_f32_16x16x16_bf16 a[0:3], v[24:25], v[20:21], 0
	ds_read2st64_b64 v[28:31], v18 offset0:2 offset1:4
	v_mfma_f32_16x16x16_bf16 a[4:7], v[24:25], v[22:23], 0
	ds_read2st64_b64 v[24:27], v19 offset0:2 offset1:4
	s_waitcnt lgkmcnt(0)
	v_mfma_f32_16x16x16_bf16 a[0:3], v[32:33], v[24:25], a[0:3]
	v_mfma_f32_16x16x16_bf16 a[4:7], v[32:33], v[28:29], a[4:7]
	v_or_b32_e32 v32, 64, v0
	v_xor_b32_e32 v32, v38, v32
	v_xor_b32_e32 v33, 0x440, v32
	v_cndmask_b32_e32 v32, v33, v32, vcc
	v_or_b32_e32 v32, v32, v41
	v_xad_u32 v43, v32, v35, v36
	v_add_u32_e32 v32, v37, v43
	ds_read_b64 v[32:33], v32
	v_or_b32_e32 v0, 0x60, v0
	v_xor_b32_e32 v0, v38, v0
	v_xor_b32_e32 v38, 0x440, v0
	v_cndmask_b32_e32 v0, v38, v0, vcc
	v_or_b32_e32 v0, v0, v41
	v_xad_u32 v0, v0, v35, v36
	v_add_u32_e32 v35, v37, v0
	ds_read_b64 v[36:37], v35
	s_waitcnt lgkmcnt(1)
	v_mfma_f32_16x16x16_bf16 a[0:3], v[32:33], v[26:27], a[0:3]
	v_exp_f32_e32 v35, s16
	v_mfma_f32_16x16x16_bf16 a[4:7], v[32:33], v[30:31], a[4:7]
	ds_read_b64 v[32:33], v19 offset:3072
	ds_read_b64 v[38:39], v18 offset:3072
	;; [unrolled: 1-line block ×3, first 2 shown]
	s_waitcnt lgkmcnt(0)
	v_mfma_f32_16x16x16_bf16 a[8:11], v[18:19], v[20:21], 0
	ds_read_b64 v[20:21], v42 offset:16384
	v_mfma_f32_16x16x16_bf16 a[0:3], v[36:37], v[32:33], a[0:3]
	v_mfma_f32_16x16x16_bf16 a[12:15], v[18:19], v[22:23], 0
	ds_read_b64 v[22:23], v43 offset:16384
	s_nop 4
	v_accvgpr_read_b32 v18, a0
	v_fma_f32 v18, v2, v35, v18
	v_accvgpr_read_b32 v2, a1
	v_fma_f32 v19, v3, v35, v2
	v_accvgpr_read_b32 v2, a2
	s_waitcnt lgkmcnt(1)
	v_mfma_f32_16x16x16_bf16 a[8:11], v[20:21], v[24:25], a[8:11]
	v_mfma_f32_16x16x16_bf16 a[12:15], v[20:21], v[28:29], a[12:15]
	v_fma_f32 v20, v4, v35, v2
	ds_read_b64 v[2:3], v0 offset:16384
	v_accvgpr_read_b32 v21, a3
	s_waitcnt lgkmcnt(1)
	v_mfma_f32_16x16x16_bf16 a[0:3], v[22:23], v[26:27], a[8:11]
	v_fmac_f32_e32 v21, v5, v35
	v_mfma_f32_16x16x16_bf16 a[4:7], v[36:37], v[38:39], a[4:7]
	v_mfma_f32_16x16x16_bf16 a[8:11], v[22:23], v[30:31], a[12:15]
	s_waitcnt lgkmcnt(0)
	v_mfma_f32_16x16x16_bf16 a[0:3], v[2:3], v[32:33], a[0:3]
	s_nop 3
	v_accvgpr_read_b32 v0, a4
	v_fma_f32 v26, v10, v35, v0
	v_accvgpr_read_b32 v0, a5
	v_fma_f32 v27, v11, v35, v0
	v_accvgpr_read_b32 v0, a6
	v_accvgpr_read_b32 v29, a7
	v_mfma_f32_16x16x16_bf16 a[4:7], v[2:3], v[38:39], a[8:11]
	v_fma_f32 v28, v12, v35, v0
	v_accvgpr_read_b32 v0, a0
	v_fma_f32 v22, v6, v35, v0
	v_accvgpr_read_b32 v0, a1
	;; [unrolled: 2-line block ×5, first 2 shown]
	v_accvgpr_read_b32 v25, a3
	v_fma_f32 v31, v15, v35, v0
	v_accvgpr_read_b32 v0, a6
	v_accvgpr_read_b32 v33, a7
	v_fmac_f32_e32 v29, v13, v35
	v_fmac_f32_e32 v25, v9, v35
	v_fma_f32 v32, v16, v35, v0
	v_fmac_f32_e32 v33, v17, v35
	v_mov_b64_e32 v[2:3], v[18:19]
	v_mov_b64_e32 v[4:5], v[20:21]
	;; [unrolled: 1-line block ×8, first 2 shown]
	v_mov_b32_e32 v18, v34
.LBB294_86:
	s_mul_i32 s0, s33, s35
	s_mul_hi_u32 s1, s33, s34
	s_add_i32 s0, s1, s0
	s_mul_i32 s1, s48, s34
	s_add_i32 s1, s0, s1
	s_mul_i32 s0, s33, s34
	s_add_u32 s0, s0, s49
	s_addc_u32 s1, s1, s9
	s_lshl_b64 s[0:1], s[0:1], 15
	s_add_u32 s0, s24, s0
	v_lshlrev_b32_e32 v18, 7, v18
	s_addc_u32 s1, s25, s1
	v_ashrrev_i32_e32 v19, 31, v18
	v_lshl_add_u64 v[20:21], v[18:19], 1, s[0:1]
	v_lshlrev_b32_e32 v0, 1, v1
	v_mov_b32_e32 v1, 0
	s_mov_b32 s2, 0x7060302
	v_lshl_add_u64 v[20:21], v[20:21], 0, v[0:1]
	v_perm_b32 v5, v5, v4, s2
	v_perm_b32 v4, v3, v2, s2
	;; [unrolled: 1-line block ×4, first 2 shown]
	global_store_dwordx2 v[20:21], v[2:3], off offset:128
	v_or_b32_e32 v2, 0x800, v18
	v_ashrrev_i32_e32 v3, 31, v2
	v_lshl_add_u64 v[2:3], v[2:3], 1, s[0:1]
	v_lshl_add_u64 v[0:1], v[2:3], 0, v[0:1]
	v_perm_b32 v3, v13, v12, s2
	v_perm_b32 v2, v11, v10, s2
	global_store_dwordx2 v[0:1], v[2:3], off
	v_perm_b32 v3, v17, v16, s2
	v_perm_b32 v2, v15, v14, s2
	global_store_dwordx2 v[20:21], v[4:5], off
	global_store_dwordx2 v[0:1], v[2:3], off offset:128
	s_endpgm
	.section	.rodata,"a",@progbits
	.p2align	6, 0x0
	.amdhsa_kernel _ZN12_GLOBAL__N_139chunk_gated_delta_rule_fwd_h_hip_kernelILi32ELb0ELb1ELb0ELb1ELb1ELb0ELb1ELb1EEEvPK12hip_bfloat16S3_S3_PKfS5_PKvPS1_S8_PvPKiSB_iiiiilll
		.amdhsa_group_segment_fixed_size 49152
		.amdhsa_private_segment_fixed_size 0
		.amdhsa_kernarg_size 136
		.amdhsa_user_sgpr_count 2
		.amdhsa_user_sgpr_dispatch_ptr 0
		.amdhsa_user_sgpr_queue_ptr 0
		.amdhsa_user_sgpr_kernarg_segment_ptr 1
		.amdhsa_user_sgpr_dispatch_id 0
		.amdhsa_user_sgpr_kernarg_preload_length 0
		.amdhsa_user_sgpr_kernarg_preload_offset 0
		.amdhsa_user_sgpr_private_segment_size 0
		.amdhsa_uses_dynamic_stack 0
		.amdhsa_enable_private_segment 0
		.amdhsa_system_sgpr_workgroup_id_x 1
		.amdhsa_system_sgpr_workgroup_id_y 1
		.amdhsa_system_sgpr_workgroup_id_z 0
		.amdhsa_system_sgpr_workgroup_info 0
		.amdhsa_system_vgpr_workitem_id 0
		.amdhsa_next_free_vgpr 148
		.amdhsa_next_free_sgpr 64
		.amdhsa_accum_offset 132
		.amdhsa_reserve_vcc 1
		.amdhsa_float_round_mode_32 0
		.amdhsa_float_round_mode_16_64 0
		.amdhsa_float_denorm_mode_32 3
		.amdhsa_float_denorm_mode_16_64 3
		.amdhsa_dx10_clamp 1
		.amdhsa_ieee_mode 1
		.amdhsa_fp16_overflow 0
		.amdhsa_tg_split 0
		.amdhsa_exception_fp_ieee_invalid_op 0
		.amdhsa_exception_fp_denorm_src 0
		.amdhsa_exception_fp_ieee_div_zero 0
		.amdhsa_exception_fp_ieee_overflow 0
		.amdhsa_exception_fp_ieee_underflow 0
		.amdhsa_exception_fp_ieee_inexact 0
		.amdhsa_exception_int_div_zero 0
	.end_amdhsa_kernel
	.section	.text._ZN12_GLOBAL__N_139chunk_gated_delta_rule_fwd_h_hip_kernelILi32ELb0ELb1ELb0ELb1ELb1ELb0ELb1ELb1EEEvPK12hip_bfloat16S3_S3_PKfS5_PKvPS1_S8_PvPKiSB_iiiiilll,"axG",@progbits,_ZN12_GLOBAL__N_139chunk_gated_delta_rule_fwd_h_hip_kernelILi32ELb0ELb1ELb0ELb1ELb1ELb0ELb1ELb1EEEvPK12hip_bfloat16S3_S3_PKfS5_PKvPS1_S8_PvPKiSB_iiiiilll,comdat
.Lfunc_end294:
	.size	_ZN12_GLOBAL__N_139chunk_gated_delta_rule_fwd_h_hip_kernelILi32ELb0ELb1ELb0ELb1ELb1ELb0ELb1ELb1EEEvPK12hip_bfloat16S3_S3_PKfS5_PKvPS1_S8_PvPKiSB_iiiiilll, .Lfunc_end294-_ZN12_GLOBAL__N_139chunk_gated_delta_rule_fwd_h_hip_kernelILi32ELb0ELb1ELb0ELb1ELb1ELb0ELb1ELb1EEEvPK12hip_bfloat16S3_S3_PKfS5_PKvPS1_S8_PvPKiSB_iiiiilll
                                        ; -- End function
	.section	.AMDGPU.csdata,"",@progbits
; Kernel info:
; codeLenInByte = 9332
; NumSgprs: 70
; NumVgprs: 130
; NumAgprs: 16
; TotalNumVgprs: 148
; ScratchSize: 0
; MemoryBound: 0
; FloatMode: 240
; IeeeMode: 1
; LDSByteSize: 49152 bytes/workgroup (compile time only)
; SGPRBlocks: 8
; VGPRBlocks: 18
; NumSGPRsForWavesPerEU: 70
; NumVGPRsForWavesPerEU: 148
; AccumOffset: 132
; Occupancy: 1
; WaveLimiterHint : 1
; COMPUTE_PGM_RSRC2:SCRATCH_EN: 0
; COMPUTE_PGM_RSRC2:USER_SGPR: 2
; COMPUTE_PGM_RSRC2:TRAP_HANDLER: 0
; COMPUTE_PGM_RSRC2:TGID_X_EN: 1
; COMPUTE_PGM_RSRC2:TGID_Y_EN: 1
; COMPUTE_PGM_RSRC2:TGID_Z_EN: 0
; COMPUTE_PGM_RSRC2:TIDIG_COMP_CNT: 0
; COMPUTE_PGM_RSRC3_GFX90A:ACCUM_OFFSET: 32
; COMPUTE_PGM_RSRC3_GFX90A:TG_SPLIT: 0
	.section	.text._ZN12_GLOBAL__N_139chunk_gated_delta_rule_fwd_h_hip_kernelILi32ELb0ELb0ELb1ELb1ELb1ELb0ELb1ELb1EEEvPK12hip_bfloat16S3_S3_PKfS5_PKvPS1_S8_PvPKiSB_iiiiilll,"axG",@progbits,_ZN12_GLOBAL__N_139chunk_gated_delta_rule_fwd_h_hip_kernelILi32ELb0ELb0ELb1ELb1ELb1ELb0ELb1ELb1EEEvPK12hip_bfloat16S3_S3_PKfS5_PKvPS1_S8_PvPKiSB_iiiiilll,comdat
	.globl	_ZN12_GLOBAL__N_139chunk_gated_delta_rule_fwd_h_hip_kernelILi32ELb0ELb0ELb1ELb1ELb1ELb0ELb1ELb1EEEvPK12hip_bfloat16S3_S3_PKfS5_PKvPS1_S8_PvPKiSB_iiiiilll ; -- Begin function _ZN12_GLOBAL__N_139chunk_gated_delta_rule_fwd_h_hip_kernelILi32ELb0ELb0ELb1ELb1ELb1ELb0ELb1ELb1EEEvPK12hip_bfloat16S3_S3_PKfS5_PKvPS1_S8_PvPKiSB_iiiiilll
	.p2align	8
	.type	_ZN12_GLOBAL__N_139chunk_gated_delta_rule_fwd_h_hip_kernelILi32ELb0ELb0ELb1ELb1ELb1ELb0ELb1ELb1EEEvPK12hip_bfloat16S3_S3_PKfS5_PKvPS1_S8_PvPKiSB_iiiiilll,@function
_ZN12_GLOBAL__N_139chunk_gated_delta_rule_fwd_h_hip_kernelILi32ELb0ELb0ELb1ELb1ELb1ELb0ELb1ELb1EEEvPK12hip_bfloat16S3_S3_PKfS5_PKvPS1_S8_PvPKiSB_iiiiilll: ; @_ZN12_GLOBAL__N_139chunk_gated_delta_rule_fwd_h_hip_kernelILi32ELb0ELb0ELb1ELb1ELb1ELb0ELb1ELb1EEEvPK12hip_bfloat16S3_S3_PKfS5_PKvPS1_S8_PvPKiSB_iiiiilll
; %bb.0:
	s_load_dwordx4 s[16:19], s[0:1], 0x5c
	s_load_dwordx4 s[20:23], s[0:1], 0x70
	s_abs_i32 s25, s3
	s_ashr_i32 s24, s3, 31
	s_load_dwordx4 s[12:15], s[0:1], 0x30
	s_load_dwordx4 s[28:31], s[0:1], 0x48
	s_waitcnt lgkmcnt(0)
	s_abs_i32 s34, s17
	v_cvt_f32_u32_e32 v1, s34
	s_sub_i32 s26, 0, s34
	s_ashr_i32 s35, s17, 31
	s_xor_b32 s24, s24, s35
	v_rcp_iflag_f32_e32 v1, v1
	s_load_dwordx8 s[4:11], s[0:1], 0x0
	v_lshrrev_b32_e32 v44, 6, v0
	v_bfe_u32 v45, v0, 4, 2
	v_mul_f32_e32 v1, 0x4f7ffffe, v1
	v_cvt_u32_f32_e32 v1, v1
	v_lshlrev_b32_e32 v2, 2, v45
	v_and_b32_e32 v43, 63, v0
	v_and_b32_e32 v42, 15, v0
	v_readfirstlane_b32 s27, v1
	s_mul_i32 s26, s26, s27
	s_mul_hi_u32 s26, s27, s26
	s_add_i32 s27, s27, s26
	s_mul_hi_u32 s26, s25, s27
	s_mul_i32 s27, s26, s34
	s_sub_i32 s25, s25, s27
	s_add_i32 s33, s26, 1
	s_sub_i32 s27, s25, s34
	s_cmp_ge_u32 s25, s34
	s_cselect_b32 s26, s33, s26
	s_cselect_b32 s25, s27, s25
	s_add_i32 s27, s26, 1
	s_cmp_ge_u32 s25, s34
	s_cselect_b32 s25, s27, s26
	s_xor_b32 s25, s25, s24
	s_sub_i32 s24, s25, s24
	s_mul_i32 s25, s24, s17
	s_sub_i32 s33, s3, s25
	s_ashr_i32 s25, s24, 31
	s_lshl_b64 s[26:27], s[24:25], 2
	s_add_u32 s28, s28, s26
	s_addc_u32 s29, s29, s27
	s_add_u32 s26, s30, s26
	s_addc_u32 s27, s31, s27
	s_abs_i32 s3, s18
	v_cvt_f32_u32_e32 v1, s3
	s_load_dwordx2 s[38:39], s[28:29], 0x0
	s_sub_i32 s29, 0, s3
	s_load_dword s46, s[26:27], 0x0
	v_rcp_iflag_f32_e32 v1, v1
	v_mov_b32_e32 v3, 0
	s_waitcnt lgkmcnt(0)
	s_sub_i32 s47, s39, s38
	s_ashr_i32 s28, s47, 31
	v_mul_f32_e32 v1, 0x4f7ffffe, v1
	v_cvt_u32_f32_e32 v1, v1
	s_lshr_b32 s28, s28, 26
	s_add_i32 s28, s47, s28
	s_ashr_i32 s45, s28, 6
	v_readfirstlane_b32 s30, v1
	s_mul_i32 s29, s29, s30
	s_mul_hi_u32 s29, s30, s29
	s_add_i32 s30, s30, s29
	s_mul_hi_u32 s29, s34, s30
	s_mul_i32 s30, s29, s3
	s_ashr_i32 s28, s18, 31
	s_sub_i32 s30, s34, s30
	s_xor_b32 s28, s35, s28
	s_add_i32 s31, s29, 1
	s_sub_i32 s34, s30, s3
	s_cmp_ge_u32 s30, s3
	s_cselect_b32 s29, s31, s29
	s_cselect_b32 s30, s34, s30
	s_add_i32 s31, s29, 1
	s_cmp_ge_u32 s30, s3
	s_cselect_b32 s3, s31, s29
	s_xor_b32 s3, s3, s28
	s_sub_i32 s3, s3, s28
	s_abs_i32 s28, s3
	v_cvt_f32_u32_e32 v1, s28
	s_load_dwordx2 s[34:35], s[0:1], 0x80
	s_xor_b32 s0, s33, s3
	s_sub_i32 s3, 0, s28
	v_rcp_iflag_f32_e32 v1, v1
	s_abs_i32 s1, s33
	s_ashr_i32 s0, s0, 31
	s_mul_hi_i32 s48, s33, s16
	v_mul_f32_e32 v1, 0x4f7ffffe, v1
	v_cvt_u32_f32_e32 v1, v1
	s_mul_i32 s49, s33, s16
	v_lshrrev_b32_e32 v47, 3, v43
	v_lshlrev_b32_e32 v46, 3, v0
	v_readfirstlane_b32 s26, v1
	s_mul_i32 s3, s3, s26
	s_mul_hi_u32 s3, s26, s3
	s_add_i32 s26, s26, s3
	s_mul_hi_u32 s3, s1, s26
	s_mul_i32 s26, s3, s28
	s_sub_i32 s1, s1, s26
	s_add_i32 s26, s3, 1
	s_sub_i32 s27, s1, s28
	s_cmp_ge_u32 s1, s28
	s_cselect_b32 s3, s26, s3
	s_cselect_b32 s1, s27, s1
	s_add_i32 s26, s3, 1
	s_cmp_ge_u32 s1, s28
	s_cselect_b32 s1, s26, s3
	s_xor_b32 s1, s1, s0
	v_lshlrev_b32_e32 v1, 4, v44
	s_sub_i32 s50, s1, s0
	v_or_b32_e32 v48, v2, v1
	s_lshl_b32 s36, s2, 5
	v_or_b32_e32 v49, 64, v48
	s_cmp_lt_i32 s47, 64
	s_mul_i32 s42, s24, s21
	s_mul_hi_u32 s43, s24, s20
	s_mul_i32 s44, s25, s20
	s_mul_i32 s20, s24, s20
	v_mov_b32_e32 v66, 0
	v_mov_b32_e32 v64, 0
	;; [unrolled: 1-line block ×15, first 2 shown]
	s_cbranch_scc1 .LBB295_18
; %bb.1:
	s_ashr_i32 s53, s33, 31
	s_ashr_i32 s1, s38, 31
	s_add_u32 s0, s49, s38
	s_addc_u32 s1, s48, s1
	s_lshl_b64 s[0:1], s[0:1], 8
	v_and_b32_e32 v51, 56, v46
	s_add_u32 s0, s6, s0
	v_lshl_or_b32 v50, v44, 3, v47
	v_lshlrev_b32_e32 v3, 1, v51
	s_addc_u32 s1, s7, s1
	v_lshl_or_b32 v52, v50, 8, v3
	s_and_b32 s1, s1, 0xffff
	s_mov_b32 s3, 0x20000
	s_movk_i32 s2, 0x4000
	s_movk_i32 s21, 0x80
	v_or_b32_e32 v53, 0x2000, v52
	buffer_load_dwordx4 v[4:7], v52, s[0:3], 0 offen
	buffer_load_dwordx4 v[8:11], v52, s[0:3], s21 offen
	;; [unrolled: 1-line block ×4, first 2 shown]
	v_lshlrev_b32_e32 v20, 3, v50
	v_and_or_b32 v22, v0, 7, v20
	v_and_b32_e32 v20, 0x78, v20
	v_lshlrev_b32_e32 v22, 4, v22
	v_xor_b32_e32 v54, v22, v20
	v_mul_lo_u32 v21, v50, s19
	v_or_b32_e32 v55, 0x1000, v54
	s_cmpk_eq_i32 s19, 0x80
	s_mov_b32 s51, s17
	s_mov_b32 s52, s38
	v_xor_b32_e32 v20, 8, v54
	v_xor_b32_e32 v22, 8, v55
	s_cselect_b64 s[0:1], -1, 0
	s_cmpk_lg_i32 s19, 0x80
	s_waitcnt vmcnt(3)
	ds_write_b64 v54, v[4:5] offset:24576
	ds_write_b64 v20, v[6:7] offset:24576
	s_waitcnt vmcnt(2)
	ds_write_b64 v54, v[8:9] offset:32768
	ds_write_b64 v20, v[10:11] offset:32768
	;; [unrolled: 3-line block ×4, first 2 shown]
	v_lshl_add_u32 v4, v21, 1, v51
	s_cbranch_scc0 .LBB295_3
; %bb.2:
	v_lshlrev_b32_e32 v6, 1, v4
	v_add_lshl_u32 v5, v4, s19, 1
	s_lshl_b32 s26, s19, 7
	v_lshl_or_b32 v3, v50, 9, v3
	s_cbranch_execz .LBB295_4
	s_branch .LBB295_5
.LBB295_3:
                                        ; implicit-def: $vgpr5
                                        ; implicit-def: $vgpr6
                                        ; implicit-def: $sgpr26
	v_lshl_or_b32 v3, v50, 9, v3
.LBB295_4:
	v_or_b32_e32 v5, 0x100, v3
	s_movk_i32 s26, 0x4000
	v_mov_b32_e32 v6, v3
.LBB295_5:
	s_mul_i32 s2, s38, s18
	s_ashr_i32 s54, s50, 31
	s_mul_hi_i32 s3, s38, s18
	s_add_u32 s2, s2, s50
	s_addc_u32 s3, s3, s54
	s_lshl_b64 s[2:3], s[2:3], 8
	s_add_u32 s24, s4, s2
	s_addc_u32 s2, s5, s3
	s_and_b32 s25, s2, 0xffff
	s_mov_b32 s27, 0x20000
	s_movk_i32 s55, 0x80
	buffer_load_dwordx4 v[8:11], v6, s[24:27], 0 offen
	buffer_load_dwordx4 v[12:15], v6, s[24:27], s55 offen
	;; [unrolled: 1-line block ×4, first 2 shown]
	v_and_b32_e32 v5, 6, v0
	v_lshlrev_b32_e32 v24, 6, v48
	v_or_b32_e32 v26, 16, v42
	v_xor_b32_e32 v27, v50, v5
	v_and_b32_e32 v6, 1, v0
	s_mul_i32 s2, s33, s23
	s_mul_hi_u32 s3, s33, s22
	v_lshl_or_b32 v30, v42, 3, v24
	v_lshl_or_b32 v24, v26, 3, v24
	v_lshlrev_b32_e32 v27, 2, v27
	s_add_i32 s21, s43, s42
	v_lshlrev_b32_e32 v7, 2, v42
	s_mul_i32 s24, s53, s22
	v_or_b32_e32 v58, 0xa000, v24
	v_or_b32_e32 v59, 0xb000, v24
	v_xor_b32_e32 v24, 0x440, v27
	v_cmp_eq_u32_e32 vcc, 0, v6
	s_add_i32 s2, s3, s2
	s_add_i32 s21, s21, s44
	v_xor_b32_e32 v28, v48, v7
	v_xor_b32_e32 v29, v49, v7
	v_cndmask_b32_e32 v6, v24, v27, vcc
	s_add_i32 s3, s2, s24
	s_lshl_b64 s[24:25], s[20:21], 2
	s_mov_b32 s56, 0x1000504
	v_lshlrev_b32_e32 v25, 8, v42
	v_lshlrev_b32_e32 v26, 8, v26
	;; [unrolled: 1-line block ×4, first 2 shown]
	v_lshl_or_b32 v5, v5, 10, v6
	s_mul_i32 s2, s33, s22
	s_add_u32 s21, s10, s24
	s_mov_b32 s57, 0x3020706
	v_or_b32_e32 v56, 0xa000, v30
	v_or_b32_e32 v57, 0xb000, v30
	;; [unrolled: 1-line block ×5, first 2 shown]
	v_xor_b32_e32 v6, 8, v5
	v_xor_b32_e32 v25, 24, v5
	;; [unrolled: 1-line block ×4, first 2 shown]
	s_addc_u32 s24, s11, s25
	s_lshl_b64 s[2:3], s[2:3], 2
	v_or_b32_e32 v62, v26, v28
	v_xor_b32_e32 v24, 16, v5
	v_xor_b32_e32 v26, 32, v5
	;; [unrolled: 1-line block ×3, first 2 shown]
	v_add_u32_e32 v6, 0x80, v6
	v_add_u32_e32 v25, 0x80, v25
	;; [unrolled: 1-line block ×4, first 2 shown]
	s_add_u32 s2, s21, s2
	s_addc_u32 s3, s24, s3
	s_movk_i32 s24, 0xf8
	s_ashr_i32 s37, s36, 31
	s_lshl_b32 s30, s19, 7
	s_movk_i32 s28, 0x100
	v_mov_b32_e32 v35, 0
	v_lshlrev_b32_e32 v34, 4, v42
	v_cmp_gt_u32_e32 vcc, s28, v0
	s_mov_b32 s58, 0
	s_movk_i32 s21, 0x1000
	s_movk_i32 s26, 0x4000
	v_add_u32_e32 v93, v1, v2
	v_mov_b32_e32 v76, v35
	v_mov_b32_e32 v75, v35
	v_mov_b32_e32 v77, v35
	v_mov_b32_e32 v100, v35
	v_mov_b32_e32 v72, v35
	v_mov_b32_e32 v71, v35
	v_mov_b32_e32 v73, v35
	v_mov_b32_e32 v98, v35
	v_mov_b32_e32 v68, v35
	v_mov_b32_e32 v67, v35
	v_mov_b32_e32 v69, v35
	v_mov_b32_e32 v101, v35
	v_mov_b32_e32 v65, v35
	s_waitcnt vmcnt(1)
	v_perm_b32 v30, v8, v16, s56
	s_waitcnt vmcnt(0)
	v_perm_b32 v31, v12, v20, s56
	v_perm_b32 v8, v8, v16, s57
	;; [unrolled: 1-line block ×15, first 2 shown]
	ds_write2st64_b32 v5, v30, v31 offset0:32 offset1:64
	ds_write2st64_b32 v6, v8, v12 offset0:32 offset1:64
	;; [unrolled: 1-line block ×8, first 2 shown]
	v_or_b32_e32 v5, v1, v42
	v_lshlrev_b32_e32 v5, 3, v5
	v_lshrrev_b32_e32 v8, 5, v43
	v_and_or_b32 v8, v5, s24, v8
	v_lshlrev_b32_e32 v8, 4, v8
	v_lshlrev_b32_e32 v9, 11, v44
	v_and_b32_e32 v5, 0x78, v5
	v_or_b32_e32 v13, 32, v8
	v_and_b32_e32 v6, 0x1000, v9
	v_lshrrev_b32_e32 v11, 1, v0
	v_xor_b32_e32 v13, v13, v5
	v_and_b32_e32 v12, 8, v11
	v_or_b32_e32 v13, v13, v6
	v_xor_b32_e32 v10, v8, v5
	v_xor_b32_e32 v78, v13, v12
	v_or_b32_e32 v13, 64, v8
	v_or_b32_e32 v8, 0x60, v8
	v_xor_b32_e32 v13, v13, v5
	v_xor_b32_e32 v5, v8, v5
	v_or_b32_e32 v10, v10, v6
	v_or_b32_e32 v13, v13, v6
	;; [unrolled: 1-line block ×3, first 2 shown]
	s_lshl_b64 s[24:25], s[36:37], 8
	v_xor_b32_e32 v70, v10, v12
	v_xor_b32_e32 v80, v13, v12
	;; [unrolled: 1-line block ×3, first 2 shown]
	v_lshlrev_b32_e32 v12, 1, v4
	v_add_lshl_u32 v13, v4, s19, 1
	s_add_u32 s24, s12, s24
	v_lshlrev_b32_e32 v4, 1, v42
	v_lshrrev_b32_e32 v15, 4, v0
	s_addc_u32 s25, s13, s25
	v_or_b32_e32 v5, 1, v4
	v_mov_b32_e32 v19, 0x4000
	v_mov_b32_e32 v20, 0x2000
	v_xor_b32_e32 v16, v15, v4
	v_xor_b32_e32 v17, v5, v15
	v_lshl_add_u64 v[4:5], s[24:25], 0, v[34:35]
	v_lshlrev_b32_e32 v34, 8, v15
	v_cndmask_b32_e32 v19, v19, v20, vcc
	v_lshlrev_b32_e32 v20, 3, v44
	v_and_b32_e32 v11, 24, v11
	v_lshl_or_b32 v84, v16, 3, v34
	v_and_b32_e32 v16, 8, v0
	v_xor_b32_e32 v21, v20, v11
	v_or_b32_e32 v22, 0x440, v21
	v_cmp_eq_u32_e32 vcc, 0, v16
	v_and_b32_e32 v15, 7, v0
	v_lshlrev_b32_e32 v10, 7, v45
	v_cndmask_b32_e32 v16, v22, v21, vcc
	v_lshl_or_b32 v85, v17, 3, v34
	v_lshlrev_b32_e32 v17, 3, v15
	v_lshlrev_b32_e32 v15, 7, v15
	;; [unrolled: 1-line block ×3, first 2 shown]
	v_or_b32_e32 v16, v16, v9
	v_or_b32_e32 v7, v10, v7
	v_xad_u32 v86, v16, v17, v15
	v_and_or_b32 v10, v18, 60, v10
	v_mov_b32_e32 v16, 0xb000
	v_lshl_or_b32 v87, v10, 1, v16
	v_or_b32_e32 v10, 32, v11
	v_xor_b32_e32 v10, v20, v10
	v_or_b32_e32 v16, 0x440, v10
	v_cndmask_b32_e32 v10, v16, v10, vcc
	v_or_b32_e32 v10, v10, v9
	v_xad_u32 v88, v10, v17, v15
	v_or_b32_e32 v10, 64, v11
	v_xor_b32_e32 v10, v20, v10
	v_xor_b32_e32 v16, 0x440, v10
	v_cndmask_b32_e32 v10, v16, v10, vcc
	v_or_b32_e32 v10, v10, v9
	v_xad_u32 v89, v10, v17, v15
	v_or_b32_e32 v10, 0x60, v11
	v_xor_b32_e32 v10, v20, v10
	v_xor_b32_e32 v11, 0x440, v10
	v_lshlrev_b32_e32 v7, 1, v7
	v_or_b32_e32 v6, s36, v42
	v_cndmask_b32_e32 v10, v11, v10, vcc
	v_or_b32_e32 v74, 0xa000, v7
	v_or_b32_e32 v79, 0xa080, v7
	;; [unrolled: 1-line block ×4, first 2 shown]
	v_ashrrev_i32_e32 v7, 31, v6
	v_or_b32_e32 v9, v10, v9
	v_lshlrev_b32_e32 v8, 7, v48
	v_or_b32_e32 v14, 0x100, v3
	v_xad_u32 v90, v9, v17, v15
	v_lshlrev_b64 v[6:7], 1, v[6:7]
	v_cndmask_b32_e64 v91, v12, v3, s[0:1]
	v_cndmask_b32_e64 v92, v13, v14, s[0:1]
	v_lshl_add_u64 v[36:37], s[8:9], 0, v[6:7]
	v_lshl_add_u64 v[38:39], s[14:15], 0, v[6:7]
	;; [unrolled: 1-line block ×3, first 2 shown]
	s_mov_b32 s37, 0x7060302
	v_lshlrev_b32_e32 v34, 1, v8
	v_add_u32_e32 v94, v19, v86
	v_add_u32_e32 v95, v19, v88
	v_add_u32_e32 v96, v19, v89
	v_add_u32_e32 v97, v19, v90
	v_mov_b32_e32 v64, v35
	v_mov_b32_e32 v66, v35
	;; [unrolled: 1-line block ×3, first 2 shown]
	s_waitcnt lgkmcnt(0)
	s_barrier
.LBB295_6:                              ; =>This Inner Loop Header: Depth=1
	s_add_i32 s59, s58, 1
	s_cmp_lt_i32 s59, s45
	s_mov_b64 s[28:29], 0
	s_cselect_b64 s[40:41], -1, 0
	s_cmp_ge_i32 s59, s45
	s_mov_b64 s[24:25], 0
	s_cbranch_scc1 .LBB295_8
; %bb.7:                                ;   in Loop: Header=BB295_6 Depth=1
	s_add_i32 s0, s52, 64
	s_ashr_i32 s1, s0, 31
	s_add_u32 s0, s49, s0
	s_addc_u32 s1, s48, s1
	s_lshl_b64 s[0:1], s[0:1], 8
	s_add_u32 s24, s6, s0
	s_addc_u32 s25, s7, s1
.LBB295_8:                              ;   in Loop: Header=BB295_6 Depth=1
	v_cndmask_b32_e64 v2, 0, 1, s[40:41]
	v_cmp_ne_u32_e64 s[0:1], 1, v2
	s_andn2_b64 vcc, exec, s[40:41]
	s_cbranch_vccnz .LBB295_10
; %bb.9:                                ;   in Loop: Header=BB295_6 Depth=1
	s_add_i32 s28, s52, 64
	s_mul_hi_i32 s29, s28, s18
	s_mul_i32 s28, s28, s18
	s_add_u32 s28, s28, s50
	s_addc_u32 s29, s29, s54
	s_lshl_b64 s[28:29], s[28:29], 8
	s_add_u32 s28, s4, s28
	s_addc_u32 s29, s5, s29
.LBB295_10:                             ;   in Loop: Header=BB295_6 Depth=1
	v_perm_b32 v3, v100, v77, s37
	v_perm_b32 v2, v75, v76, s37
	;; [unrolled: 1-line block ×4, first 2 shown]
	ds_write_b64 v56, v[2:3]
	ds_write_b64 v57, v[4:5]
	;; [unrolled: 1-line block ×4, first 2 shown]
	v_perm_b32 v3, v101, v69, s37
	v_perm_b32 v2, v67, v68, s37
	v_perm_b32 v5, v99, v66, s37
	v_perm_b32 v4, v64, v65, s37
	ds_write_b64 v58, v[2:3]
	ds_write_b64 v59, v[4:5]
	;; [unrolled: 1-line block ×4, first 2 shown]
	s_waitcnt lgkmcnt(0)
	s_barrier
	ds_read_b64 v[6:7], v70 offset:24576
	ds_read2_b64 v[2:5], v74 offset1:16
	ds_read_b64 v[10:11], v79 offset:3072
	ds_read_b64 v[12:13], v74 offset:3072
	;; [unrolled: 1-line block ×3, first 2 shown]
	s_waitcnt lgkmcnt(3)
	v_mfma_f32_16x16x16_bf16 a[0:3], v[6:7], v[2:3], 0
	s_add_i32 s31, s52, 63
	s_ashr_i32 s40, s31, 31
	s_mul_i32 s41, s31, s35
	v_mfma_f32_16x16x16_bf16 a[4:7], v[6:7], v[4:5], 0
	ds_read2st64_b64 v[2:5], v74 offset0:2 offset1:4
	s_mul_hi_u32 s60, s31, s34
	s_add_i32 s41, s60, s41
	s_waitcnt lgkmcnt(0)
	v_mfma_f32_16x16x16_bf16 a[0:3], v[14:15], v[2:3], a[0:3]
	ds_read2st64_b64 v[6:9], v79 offset0:2 offset1:4
	ds_read_b64 v[2:3], v80 offset:24576
	s_mul_i32 s40, s40, s34
	s_add_i32 s41, s41, s40
	s_waitcnt lgkmcnt(1)
	v_mfma_f32_16x16x16_bf16 a[4:7], v[14:15], v[6:7], a[4:7]
	ds_read_b64 v[6:7], v81 offset:24576
	s_mul_i32 s40, s31, s34
	s_lshl_b64 s[40:41], s[40:41], 2
	s_waitcnt lgkmcnt(1)
	v_mfma_f32_16x16x16_bf16 a[0:3], v[2:3], v[4:5], a[0:3]
	s_add_u32 s40, s2, s40
	s_addc_u32 s41, s3, s41
	s_and_b64 vcc, exec, s[0:1]
	v_mfma_f32_16x16x16_bf16 a[8:11], v[2:3], v[8:9], a[4:7]
	v_mov_b32_e32 v104, 0
	v_mov_b32_e32 v103, 0
	v_mov_b32_e32 v102, 0
	s_waitcnt lgkmcnt(0)
	v_mfma_f32_16x16x16_bf16 a[4:7], v[6:7], v[12:13], a[0:3]
	v_mov_b32_e32 v2, 0
	v_mov_b32_e32 v3, 0
	;; [unrolled: 1-line block ×3, first 2 shown]
	v_mfma_f32_16x16x16_bf16 a[0:3], v[6:7], v[10:11], a[8:11]
	v_mov_b32_e32 v5, 0
	v_mov_b32_e32 v6, 0
	;; [unrolled: 1-line block ×13, first 2 shown]
	s_cbranch_vccnz .LBB295_12
; %bb.11:                               ;   in Loop: Header=BB295_6 Depth=1
	s_and_b32 s25, s25, 0xffff
	buffer_load_dwordx4 v[14:17], v52, s[24:27], 0 offen
	buffer_load_dwordx4 v[10:13], v52, s[24:27], s55 offen
	;; [unrolled: 1-line block ×4, first 2 shown]
	v_mov_b32_e32 v103, v54
	v_mov_b32_e32 v102, v55
.LBB295_12:                             ;   in Loop: Header=BB295_6 Depth=1
	s_waitcnt vmcnt(3)
	ds_read_b64 v[26:27], v70 offset:32768
	s_waitcnt vmcnt(2)
	ds_read2_b64 v[18:21], v82 offset1:16
	ds_read_b64 v[28:29], v78 offset:32768
	ds_read_b64 v[30:31], v80 offset:32768
	;; [unrolled: 1-line block ×3, first 2 shown]
	ds_read2st64_b64 v[22:25], v82 offset0:2 offset1:4
	v_add_u32_e32 v105, s52, v93
	s_waitcnt lgkmcnt(4)
	v_mfma_f32_16x16x16_bf16 a[4:7], v[26:27], v[18:19], a[4:7]
	v_ashrrev_i32_e32 v18, 31, v105
	v_mfma_f32_16x16x16_bf16 a[0:3], v[26:27], v[20:21], a[0:3]
	v_mul_lo_u32 v20, v105, s35
	v_mul_lo_u32 v21, v18, s34
	v_mad_u64_u32 v[18:19], s[24:25], v105, s34, 0
	v_add3_u32 v19, v19, v20, v21
	v_add_u32_e32 v20, 1, v105
	v_ashrrev_i32_e32 v21, 31, v20
	s_waitcnt lgkmcnt(0)
	v_mfma_f32_16x16x16_bf16 a[4:7], v[28:29], v[22:23], a[4:7]
	v_mul_lo_u32 v22, v21, s34
	v_mul_lo_u32 v23, v20, s35
	v_mad_u64_u32 v[20:21], s[24:25], v20, s34, 0
	v_add3_u32 v21, v21, v23, v22
	v_add_u32_e32 v22, 2, v105
	v_ashrrev_i32_e32 v23, 31, v22
	v_mul_lo_u32 v26, v23, s34
	v_mul_lo_u32 v27, v22, s35
	v_mad_u64_u32 v[22:23], s[24:25], v22, s34, 0
	v_add3_u32 v23, v23, v27, v26
	v_add_u32_e32 v26, 3, v105
	v_ashrrev_i32_e32 v27, 31, v26
	v_mul_lo_u32 v105, v27, s34
	v_mul_lo_u32 v106, v26, s35
	v_mad_u64_u32 v[26:27], s[24:25], v26, s34, 0
	s_ashr_i32 s25, s52, 31
	v_add3_u32 v27, v27, v106, v105
	s_add_u32 s24, s49, s52
	v_lshl_add_u64 v[18:19], v[18:19], 2, s[2:3]
	v_lshl_add_u64 v[26:27], v[26:27], 2, s[2:3]
	s_addc_u32 s25, s48, s25
	v_lshl_add_u64 v[20:21], v[20:21], 2, s[2:3]
	v_lshl_add_u64 v[22:23], v[22:23], 2, s[2:3]
	global_load_dword v105, v[18:19], off
	global_load_dword v106, v[20:21], off
	;; [unrolled: 1-line block ×3, first 2 shown]
	s_nop 0
	global_load_dword v27, v[26:27], off
	s_lshl_b64 s[60:61], s[24:25], 8
	v_lshl_add_u64 v[18:19], v[36:37], 0, s[60:61]
	v_lshl_add_u64 v[22:23], v[18:19], 0, v[34:35]
	global_load_ushort v108, v[22:23], off offset:256
	global_load_ushort v109, v[22:23], off
	global_load_ushort v110, v[22:23], off offset:768
	global_load_ushort v111, v[22:23], off offset:512
	ds_read2st64_b64 v[18:21], v83 offset0:2 offset1:4
	global_load_ushort v112, v[22:23], off offset:800
	global_load_ushort v113, v[22:23], off offset:544
	global_load_ushort v114, v[22:23], off offset:288
	global_load_ushort v115, v[22:23], off offset:32
	s_waitcnt lgkmcnt(0)
	v_mfma_f32_16x16x16_bf16 a[0:3], v[28:29], v[18:19], a[0:3]
	s_and_b64 vcc, exec, s[0:1]
	s_waitcnt vmcnt(7)
	v_lshlrev_b32_e32 v29, 16, v108
	v_mfma_f32_16x16x16_bf16 a[4:7], v[30:31], v[24:25], a[4:7]
	s_waitcnt vmcnt(6)
	v_lshlrev_b32_e32 v28, 16, v109
	v_mfma_f32_16x16x16_bf16 a[0:3], v[30:31], v[20:21], a[0:3]
	ds_read_b64 v[18:19], v82 offset:3072
	ds_read_b64 v[20:21], v83 offset:3072
	s_load_dword s24, s[40:41], 0x0
	s_waitcnt vmcnt(5)
	v_lshlrev_b32_e32 v31, 16, v110
	s_waitcnt lgkmcnt(0)
	v_mfma_f32_16x16x16_bf16 a[4:7], v[32:33], v[18:19], a[4:7]
	v_lshl_add_u64 v[18:19], v[38:39], 0, s[60:61]
	v_sub_f32_e32 v26, s24, v105
	v_sub_f32_e32 v30, s24, v106
	v_mfma_f32_16x16x16_bf16 a[0:3], v[32:33], v[20:21], a[0:3]
	v_sub_f32_e32 v32, s24, v107
	v_sub_f32_e32 v33, s24, v27
	v_exp_f32_e32 v26, v26
	v_exp_f32_e32 v27, v30
	;; [unrolled: 1-line block ×4, first 2 shown]
	v_accvgpr_read_b32 v25, a5
	v_accvgpr_read_b32 v21, a7
	;; [unrolled: 1-line block ×4, first 2 shown]
	s_waitcnt vmcnt(4)
	v_lshlrev_b32_e32 v30, 16, v111
	v_lshl_add_u64 v[18:19], v[18:19], 0, v[34:35]
	v_pk_add_f32 v[24:25], v[28:29], v[24:25] neg_lo:[0,1] neg_hi:[0,1]
	v_pk_add_f32 v[20:21], v[30:31], v[20:21] neg_lo:[0,1] neg_hi:[0,1]
	global_store_short_d16_hi v[18:19], v24, off
	global_store_short_d16_hi v[18:19], v25, off offset:256
	global_store_short_d16_hi v[18:19], v20, off offset:512
	;; [unrolled: 1-line block ×3, first 2 shown]
	v_pk_mul_f32 v[24:25], v[26:27], v[24:25]
	v_pk_mul_f32 v[20:21], v[32:33], v[20:21]
	v_accvgpr_read_b32 v29, a1
	v_perm_b32 v24, v25, v24, s37
	v_perm_b32 v25, v21, v20, s37
	s_waitcnt vmcnt(5)
	v_lshlrev_b32_e32 v21, 16, v114
	s_waitcnt vmcnt(4)
	v_lshlrev_b32_e32 v20, 16, v115
	v_accvgpr_read_b32 v28, a0
	v_accvgpr_read_b32 v23, a3
	;; [unrolled: 1-line block ×3, first 2 shown]
	v_pk_add_f32 v[20:21], v[20:21], v[28:29] neg_lo:[0,1] neg_hi:[0,1]
	v_lshlrev_b32_e32 v29, 16, v112
	v_lshlrev_b32_e32 v28, 16, v113
	v_pk_add_f32 v[22:23], v[28:29], v[22:23] neg_lo:[0,1] neg_hi:[0,1]
	global_store_short_d16_hi v[18:19], v20, off offset:32
	global_store_short_d16_hi v[18:19], v21, off offset:288
	;; [unrolled: 1-line block ×4, first 2 shown]
	v_pk_mul_f32 v[18:19], v[26:27], v[20:21]
	v_pk_mul_f32 v[20:21], v[32:33], v[22:23]
	v_mov_b32_e32 v105, 0
	v_perm_b32 v21, v21, v20, s37
	v_perm_b32 v20, v19, v18, s37
	ds_write2_b64 v57, v[24:25], v[20:21] offset1:16
	v_mov_b32_e32 v18, 0
	v_mov_b32_e32 v19, 0
	;; [unrolled: 1-line block ×16, first 2 shown]
	s_cbranch_vccnz .LBB295_14
; %bb.13:                               ;   in Loop: Header=BB295_6 Depth=1
	s_and_b32 s29, s29, 0xffff
	s_mov_b32 s31, s27
	buffer_load_dwordx4 v[30:33], v91, s[28:31], 0 offen
	buffer_load_dwordx4 v[22:25], v91, s[28:31], s55 offen
	;; [unrolled: 1-line block ×4, first 2 shown]
	v_mov_b32_e32 v104, v51
	v_mov_b32_e32 v105, v50
.LBB295_14:                             ;   in Loop: Header=BB295_6 Depth=1
	s_waitcnt lgkmcnt(0)
	s_barrier
	ds_read_b64 v[110:111], v94
	ds_read_b64 v[118:119], v87
	;; [unrolled: 1-line block ×5, first 2 shown]
	ds_read_b64 v[124:125], v88 offset:16384
	ds_read_b64 v[126:127], v86 offset:16384
	ds_read2_b64 v[106:109], v82 offset0:16 offset1:128
	s_waitcnt lgkmcnt(6)
	v_mfma_f32_16x16x16_bf16 a[0:3], v[110:111], v[118:119], 0
	ds_read_b64 v[128:129], v83 offset:3072
	ds_read_b64 v[130:131], v90 offset:16384
	s_add_i32 s25, s46, s58
	s_waitcnt lgkmcnt(2)
	v_mfma_f32_16x16x16_bf16 a[4:7], v[110:111], v[106:107], 0
	ds_read2st64_b64 v[110:113], v83 offset0:2 offset1:4
	s_mul_hi_i32 s29, s25, s51
	s_mul_i32 s25, s25, s51
	v_mfma_f32_16x16x16_bf16 a[0:3], v[114:115], v[108:109], a[0:3]
	s_add_u32 s28, s25, s33
	s_addc_u32 s29, s29, s53
	s_lshl_b64 s[28:29], s[28:29], 15
	s_waitcnt lgkmcnt(0)
	v_mfma_f32_16x16x16_bf16 a[4:7], v[114:115], v[110:111], a[4:7]
	ds_read2st64_b64 v[114:117], v82 offset0:4 offset1:6
	s_waitcnt lgkmcnt(0)
	v_mfma_f32_16x16x16_bf16 a[0:3], v[120:121], v[114:115], a[0:3]
	v_mfma_f32_16x16x16_bf16 a[8:11], v[120:121], v[112:113], a[4:7]
	;; [unrolled: 1-line block ×5, first 2 shown]
	ds_read2st64_b64 v[118:121], v85 offset1:8
	v_mfma_f32_16x16x16_bf16 a[12:15], v[126:127], v[106:107], 0
	ds_read_b64 v[126:127], v89 offset:16384
	v_mfma_f32_16x16x16_bf16 a[8:11], v[124:125], v[108:109], a[8:11]
	ds_read2st64_b64 v[106:109], v84 offset1:8
	s_waitcnt lgkmcnt(0)
	v_mov_b32_e32 v122, v106
	v_mfma_f32_16x16x16_bf16 a[12:15], v[124:125], v[110:111], a[12:15]
	v_lshl_add_u64 v[110:111], v[40:41], 0, s[28:29]
	v_add_co_u32_e32 v106, vcc, s21, v110
	v_mfma_f32_16x16x16_bf16 a[8:11], v[126:127], v[114:115], a[8:11]
	v_mov_b32_e32 v123, v107
	v_addc_co_u32_e32 v107, vcc, 0, v111, vcc
	v_mfma_f32_16x16x16_bf16 a[16:19], v[126:127], v[112:113], a[12:15]
	v_mov_b32_e32 v124, v118
	v_mov_b32_e32 v125, v119
	;; [unrolled: 1-line block ×3, first 2 shown]
	v_mfma_f32_16x16x16_bf16 a[12:15], v[130:131], v[116:117], a[8:11]
	v_mov_b32_e32 v119, v109
	s_and_b64 vcc, exec, s[0:1]
	global_store_dwordx4 v[110:111], v[122:125], off
	v_mfma_f32_16x16x16_bf16 a[8:11], v[130:131], v[128:129], a[16:19]
	global_store_dwordx4 v[106:107], v[118:121], off
	s_cbranch_vccnz .LBB295_16
; %bb.15:                               ;   in Loop: Header=BB295_6 Depth=1
	v_lshrrev_b32_e32 v106, 3, v104
	v_and_b32_e32 v106, 6, v106
	v_xor_b32_e32 v105, v106, v105
	v_lshlrev_b32_e32 v105, 2, v105
	v_and_b32_e32 v104, 8, v104
	v_xor_b32_e32 v107, 0x440, v105
	v_cmp_eq_u32_e32 vcc, 0, v104
	s_barrier
	s_nop 0
	v_cndmask_b32_e32 v104, v107, v105, vcc
	v_lshl_or_b32 v104, v106, 10, v104
	s_waitcnt vmcnt(3)
	v_perm_b32 v105, v30, v26, s56
	s_waitcnt vmcnt(2)
	v_perm_b32 v106, v22, v18, s56
	ds_write2st64_b32 v104, v105, v106 offset0:32 offset1:64
	v_xor_b32_e32 v105, 8, v104
	v_perm_b32 v26, v30, v26, s57
	v_perm_b32 v18, v22, v18, s57
	v_add_u32_e32 v22, 0x80, v105
	ds_write2st64_b32 v22, v26, v18 offset0:32 offset1:64
	v_xor_b32_e32 v18, 16, v104
	v_perm_b32 v22, v31, v27, s56
	v_perm_b32 v26, v23, v19, s56
	ds_write2st64_b32 v18, v22, v26 offset0:33 offset1:65
	v_xor_b32_e32 v18, 24, v104
	v_perm_b32 v22, v31, v27, s57
	v_perm_b32 v19, v23, v19, s57
	v_add_u32_e32 v18, 0x80, v18
	ds_write2st64_b32 v18, v22, v19 offset0:33 offset1:65
	v_xor_b32_e32 v18, 32, v104
	v_perm_b32 v19, v32, v28, s56
	;; [unrolled: 9-line block ×3, first 2 shown]
	v_perm_b32 v20, v25, v21, s56
	ds_write2st64_b32 v18, v19, v20 offset0:35 offset1:67
	v_xor_b32_e32 v18, 56, v104
	v_perm_b32 v19, v33, v29, s57
	v_perm_b32 v20, v25, v21, s57
	v_add_u32_e32 v18, 0x80, v18
	ds_write2st64_b32 v18, v19, v20 offset0:35 offset1:67
	ds_write_b64 v103, v[14:15] offset:24576
	v_xor_b32_e32 v14, 8, v103
	ds_write_b64 v14, v[16:17] offset:24576
	ds_write_b64 v103, v[10:11] offset:32768
	;; [unrolled: 1-line block ×4, first 2 shown]
	v_xor_b32_e32 v6, 8, v102
	ds_write_b64 v6, v[8:9] offset:24576
	ds_write_b64 v102, v[2:3] offset:32768
	;; [unrolled: 1-line block ×3, first 2 shown]
.LBB295_16:                             ;   in Loop: Header=BB295_6 Depth=1
	v_exp_f32_e32 v2, s24
	v_accvgpr_read_b32 v3, a4
	v_accvgpr_read_b32 v4, a5
	v_accvgpr_read_b32 v5, a7
	v_fma_f32 v76, v76, v2, v3
	v_accvgpr_read_b32 v3, a6
	v_fma_f32 v77, v77, v2, v3
	v_accvgpr_read_b32 v3, a0
	;; [unrolled: 2-line block ×11, first 2 shown]
	v_accvgpr_read_b32 v6, a15
	v_fma_f32 v66, v66, v2, v3
	v_accvgpr_read_b32 v3, a11
	s_add_i32 s52, s52, 64
	v_fmac_f32_e32 v5, v100, v2
	v_fmac_f32_e32 v4, v101, v2
	;; [unrolled: 1-line block ×3, first 2 shown]
	s_cmp_eq_u32 s45, s59
	v_fmac_f32_e32 v3, v99, v2
	s_cbranch_scc1 .LBB295_18
; %bb.17:                               ;   in Loop: Header=BB295_6 Depth=1
	s_mov_b32 s58, s59
	v_mov_b32_e32 v100, v5
	v_mov_b32_e32 v98, v6
	;; [unrolled: 1-line block ×4, first 2 shown]
	s_branch .LBB295_6
.LBB295_18:
	s_lshl_b32 s0, s45, 6
	s_sub_i32 s47, s47, s0
	s_cmp_gt_i32 s47, 0
	s_cbranch_scc0 .LBB295_83
; %bb.19:
	s_add_i32 s38, s0, s38
	s_ashr_i32 s2, s38, 31
	s_cmpk_lg_i32 s19, 0x80
	s_cselect_b64 s[30:31], -1, 0
	s_and_b64 vcc, exec, s[30:31]
	s_cbranch_vccz .LBB295_21
; %bb.20:
	s_mul_i32 s1, s38, s18
	s_ashr_i32 s3, s50, 31
	s_mul_hi_i32 s0, s38, s18
	s_add_u32 s40, s1, s50
	s_addc_u32 s41, s0, s3
	s_cbranch_execz .LBB295_22
	s_branch .LBB295_23
.LBB295_21:
                                        ; implicit-def: $sgpr40_sgpr41
.LBB295_22:
	s_mul_i32 s1, s50, s16
	s_mul_hi_i32 s0, s50, s16
	s_add_u32 s40, s1, s38
	s_addc_u32 s41, s0, s2
.LBB295_23:
	s_add_i32 s3, s45, s46
	s_ashr_i32 s16, s33, 31
	s_add_u32 s0, s49, s38
	s_addc_u32 s1, s48, s2
	v_lshlrev_b32_e32 v10, 5, v48
	s_waitcnt vmcnt(4)
	v_lshlrev_b32_e32 v22, 2, v42
	s_mov_b32 s2, 0x7060302
	v_xor_b32_e32 v2, v48, v22
	v_perm_b32 v9, v5, v77, s2
	v_or_b32_e32 v5, v10, v22
	v_perm_b32 v8, v75, v76, s2
	v_perm_b32 v7, v6, v73, s2
	;; [unrolled: 1-line block ×3, first 2 shown]
	v_lshlrev_b32_e32 v5, 1, v5
	v_lshlrev_b32_e32 v12, 1, v2
	;; [unrolled: 1-line block ×3, first 2 shown]
	s_lshl_b64 s[28:29], s[0:1], 8
	v_xor_b32_e32 v11, v49, v22
	ds_write2st64_b64 v5, v[8:9], v[6:7] offset0:80 offset1:88
	v_or_b32_e32 v5, v12, v2
	s_add_u32 s0, s6, s28
	ds_write_b64 v5, v[8:9]
	v_lshlrev_b32_e32 v8, 1, v11
	s_addc_u32 s1, s7, s29
	v_or_b32_e32 v2, v8, v2
	s_mul_hi_i32 s6, s3, s17
	s_mul_i32 s3, s3, s17
	ds_write_b64 v2, v[6:7]
	v_perm_b32 v5, v4, v69, s2
	v_perm_b32 v4, v67, v68, s2
	;; [unrolled: 1-line block ×4, first 2 shown]
	v_or_b32_e32 v6, 16, v42
	s_add_u32 s2, s3, s33
	s_waitcnt vmcnt(2)
	v_lshlrev_b32_e32 v19, 2, v6
	s_addc_u32 s3, s6, s16
	v_or_b32_e32 v7, v10, v19
	s_ashr_i32 s37, s36, 31
	s_lshl_b64 s[2:3], s[2:3], 15
	v_lshlrev_b32_e32 v7, 1, v7
	v_lshlrev_b32_e32 v6, 8, v6
	s_add_u32 s6, s12, s2
	ds_write2st64_b64 v7, v[4:5], v[2:3] offset0:80 offset1:88
	v_or_b32_e32 v7, v12, v6
	s_addc_u32 s7, s13, s3
	s_lshl_b64 s[2:3], s[36:37], 8
	ds_write_b64 v7, v[4:5]
	v_or_b32_e32 v4, v8, v6
	s_add_u32 s2, s6, s2
	ds_write_b64 v4, v[2:3]
	v_lshrrev_b32_e32 v2, 4, v0
	s_addc_u32 s3, s7, s3
	v_lshlrev_b32_e32 v3, 1, v42
	v_lshlrev_b32_e32 v10, 4, v42
	v_mov_b32_e32 v11, 0
	v_or_b32_e32 v4, 1, v3
	v_xor_b32_e32 v3, v2, v3
	v_lshl_add_u64 v[12:13], s[2:3], 0, v[10:11]
	v_lshlrev_b32_e32 v10, 8, v2
	v_xor_b32_e32 v6, v4, v2
	v_lshl_or_b32 v2, v3, 3, v10
	s_waitcnt lgkmcnt(0)
	s_barrier
	ds_read2st64_b64 v[2:5], v2 offset1:8
	v_lshl_or_b32 v6, v6, 3, v10
	ds_read2st64_b64 v[6:9], v6 offset1:8
	v_lshl_add_u64 v[14:15], v[12:13], 0, v[10:11]
	s_movk_i32 s2, 0x1000
	s_waitcnt lgkmcnt(1)
	v_mov_b32_e32 v10, v2
	v_add_co_u32_e32 v2, vcc, s2, v14
	s_cmp_lg_u32 s47, 64
	v_mov_b32_e32 v11, v3
	v_addc_co_u32_e32 v3, vcc, 0, v15, vcc
	s_cselect_b64 s[6:7], -1, 0
	v_lshl_or_b32 v23, v44, 3, v47
	s_waitcnt lgkmcnt(0)
	v_mov_b32_e32 v12, v6
	v_mov_b32_e32 v13, v7
	;; [unrolled: 1-line block ×4, first 2 shown]
	s_mov_b32 s24, 0
	v_or_b32_e32 v20, 32, v23
	v_and_b32_e32 v18, 56, v46
	s_and_b64 vcc, exec, s[6:7]
	global_store_dwordx4 v[14:15], v[10:13], off
	global_store_dwordx4 v[2:3], v[6:9], off
	s_cbranch_vccz .LBB295_29
; %bb.24:
	s_mov_b32 s25, s24
	s_mov_b32 s26, s24
	;; [unrolled: 1-line block ×3, first 2 shown]
	v_mov_b64_e32 v[6:7], s[24:25]
	v_mov_b64_e32 v[8:9], s[26:27]
	;; [unrolled: 1-line block ×3, first 2 shown]
	v_cmp_gt_i32_e32 vcc, s47, v23
	v_mov_b64_e32 v[4:5], v[8:9]
	s_and_saveexec_b64 s[2:3], vcc
	s_cbranch_execz .LBB295_26
; %bb.25:
	v_lshlrev_b32_e32 v2, 8, v23
	v_mov_b32_e32 v3, 0
	v_lshl_add_u64 v[4:5], s[0:1], 0, v[2:3]
	v_lshlrev_b32_e32 v2, 1, v18
	v_lshl_add_u64 v[10:11], v[4:5], 0, v[2:3]
	global_load_dwordx4 v[6:9], v[10:11], off
	global_load_dwordx4 v[2:5], v[10:11], off offset:128
.LBB295_26:
	s_or_b64 exec, exec, s[2:3]
	s_mov_b32 s25, s24
	s_mov_b32 s26, s24
	;; [unrolled: 1-line block ×3, first 2 shown]
	v_mov_b64_e32 v[14:15], s[24:25]
	v_mov_b64_e32 v[16:17], s[26:27]
	v_mov_b64_e32 v[10:11], v[14:15]
	v_cmp_gt_i32_e32 vcc, s47, v20
	v_lshlrev_b32_e32 v21, 7, v20
	v_mov_b64_e32 v[12:13], v[16:17]
	s_and_saveexec_b64 s[2:3], vcc
	s_cbranch_execz .LBB295_28
; %bb.27:
	v_lshlrev_b32_e32 v10, 1, v21
	v_mov_b32_e32 v11, 0
	v_lshl_add_u64 v[12:13], s[0:1], 0, v[10:11]
	v_lshlrev_b32_e32 v10, 1, v18
	v_lshl_add_u64 v[24:25], v[12:13], 0, v[10:11]
	global_load_dwordx4 v[14:17], v[24:25], off
	global_load_dwordx4 v[10:13], v[24:25], off offset:128
.LBB295_28:
	s_or_b64 exec, exec, s[2:3]
	v_lshrrev_b32_e32 v24, 3, v18
	v_lshlrev_b32_e32 v25, 3, v23
	v_or_b32_e32 v24, v25, v24
	v_lshlrev_b32_e32 v24, 4, v24
	v_and_b32_e32 v25, 0x78, v25
	v_xor_b32_e32 v24, v24, v25
	s_branch .LBB295_31
.LBB295_29:
                                        ; implicit-def: $vgpr24
                                        ; implicit-def: $vgpr21
                                        ; implicit-def: $vgpr6_vgpr7_vgpr8_vgpr9
                                        ; implicit-def: $vgpr2_vgpr3_vgpr4_vgpr5
                                        ; implicit-def: $vgpr14_vgpr15_vgpr16_vgpr17
                                        ; implicit-def: $vgpr10_vgpr11_vgpr12_vgpr13
	s_cbranch_execz .LBB295_31
; %bb.30:
	s_waitcnt vmcnt(0)
	v_lshlrev_b32_e32 v2, 1, v18
	v_lshl_or_b32 v21, v23, 8, v2
	s_and_b32 s1, s1, 0xffff
	s_mov_b32 s3, 0x20000
	s_movk_i32 s2, 0x4000
	v_lshl_or_b32 v24, v20, 8, v2
	s_movk_i32 s12, 0x80
	buffer_load_dwordx4 v[6:9], v21, s[0:3], 0 offen
	buffer_load_dwordx4 v[2:5], v21, s[0:3], s12 offen
	;; [unrolled: 1-line block ×4, first 2 shown]
	v_lshrrev_b32_e32 v21, 3, v18
	v_lshlrev_b32_e32 v24, 3, v23
	v_or_b32_e32 v21, v24, v21
	v_lshlrev_b32_e32 v21, 4, v21
	v_and_b32_e32 v24, 0x78, v24
	v_xor_b32_e32 v24, v21, v24
	v_lshlrev_b32_e32 v21, 7, v20
.LBB295_31:
	s_lshl_b64 s[0:1], s[40:41], 8
	s_add_u32 s4, s4, s0
	s_movk_i32 s0, 0x1000
	v_and_or_b32 v20, v21, s0, v24
	s_waitcnt vmcnt(1)
	ds_write_b64 v24, v[6:7] offset:24576
	v_xor_b32_e32 v6, 8, v24
	ds_write_b64 v6, v[8:9] offset:24576
	s_waitcnt vmcnt(0)
	ds_write_b64 v24, v[2:3] offset:32768
	ds_write_b64 v6, v[4:5] offset:32768
	;; [unrolled: 1-line block ×3, first 2 shown]
	v_xor_b32_e32 v2, 8, v20
	ds_write_b64 v2, v[16:17] offset:24576
	ds_write_b64 v20, v[10:11] offset:32768
	;; [unrolled: 1-line block ×3, first 2 shown]
	v_or_b32_e32 v2, v1, v42
	v_lshlrev_b32_e32 v3, 11, v44
	v_lshlrev_b32_e32 v2, 3, v2
	v_and_b32_e32 v6, 0x1000, v3
	v_lshrrev_b32_e32 v3, 5, v43
	s_movk_i32 s13, 0xf8
	v_and_or_b32 v3, v2, s13, v3
	v_lshlrev_b32_e32 v7, 4, v3
	v_and_b32_e32 v8, 0x78, v2
	v_or_b32_e32 v10, 32, v7
	v_lshrrev_b32_e32 v3, 1, v43
	v_xor_b32_e32 v10, v10, v8
	v_xor_b32_e32 v2, v7, v8
	v_and_b32_e32 v9, 8, v3
	v_or_b32_e32 v10, v10, v6
	v_or_b32_e32 v2, v2, v6
	v_xor_b32_e32 v26, v10, v9
	v_or_b32_e32 v10, 64, v7
	v_xor_b32_e32 v25, v2, v9
	v_xor_b32_e32 v10, v10, v8
	s_waitcnt lgkmcnt(0)
	s_barrier
	v_or_b32_e32 v12, v10, v6
	ds_read_b64 v[10:11], v25 offset:24576
	v_lshl_or_b32 v20, v45, 7, v22
	v_lshlrev_b32_e32 v24, 1, v20
	v_add_u32_e32 v2, 0xa000, v24
	ds_read2_b64 v[2:5], v2 offset1:16
	v_or_b32_e32 v7, 0x60, v7
	v_xor_b32_e32 v7, v7, v8
	s_waitcnt lgkmcnt(0)
	v_mfma_f32_16x16x16_bf16 a[0:3], v[10:11], v[2:3], 0
	v_or_b32_e32 v2, 64, v20
	v_or_b32_e32 v6, v7, v6
	v_lshlrev_b32_e32 v29, 1, v2
	v_xor_b32_e32 v27, v12, v9
	v_xor_b32_e32 v28, v6, v9
	ds_read_b64 v[12:13], v26 offset:24576
	ds_read_b64 v[14:15], v27 offset:24576
	;; [unrolled: 1-line block ×3, first 2 shown]
	v_mfma_f32_16x16x16_bf16 a[4:7], v[10:11], v[4:5], 0
	ds_read2st64_b64 v[2:5], v29 offset0:82 offset1:84
	ds_read2st64_b64 v[6:9], v24 offset0:82 offset1:84
	s_addc_u32 s5, s5, s1
	s_add_i32 s2, s39, -1
	s_add_i32 s0, s43, s42
	s_add_i32 s21, s0, s44
	s_mul_i32 s0, s33, s23
	s_mul_hi_u32 s1, s33, s22
	s_ashr_i32 s3, s2, 31
	s_mul_i32 s12, s2, s35
	s_mul_hi_u32 s13, s2, s34
	s_add_i32 s0, s1, s0
	s_mul_i32 s1, s16, s22
	s_add_i32 s12, s13, s12
	s_mul_i32 s3, s3, s34
	s_waitcnt lgkmcnt(1)
	v_mfma_f32_16x16x16_bf16 a[4:7], v[12:13], v[2:3], a[4:7]
	s_add_i32 s1, s0, s1
	s_add_i32 s3, s12, s3
	s_lshl_b64 s[12:13], s[20:21], 2
	s_waitcnt lgkmcnt(0)
	v_mfma_f32_16x16x16_bf16 a[0:3], v[12:13], v[6:7], a[0:3]
	s_mul_i32 s0, s33, s22
	s_add_u32 s10, s10, s12
	s_addc_u32 s11, s11, s13
	s_lshl_b64 s[0:1], s[0:1], 2
	s_mul_i32 s2, s2, s34
	s_add_u32 s10, s10, s0
	ds_read_b64 v[2:3], v24 offset:44032
	v_mfma_f32_16x16x16_bf16 a[4:7], v[14:15], v[4:5], a[4:7]
	ds_read_b64 v[4:5], v29 offset:44032
	s_addc_u32 s11, s11, s1
	s_lshl_b64 s[0:1], s[2:3], 2
	v_mfma_f32_16x16x16_bf16 a[0:3], v[14:15], v[8:9], a[0:3]
	s_add_u32 s0, s10, s0
	s_addc_u32 s1, s11, s1
	s_load_dword s12, s[0:1], 0x0
	s_waitcnt lgkmcnt(0)
	v_mfma_f32_16x16x16_bf16 a[0:3], v[16:17], v[2:3], a[0:3]
	s_and_b64 vcc, exec, s[30:31]
	v_mfma_f32_16x16x16_bf16 a[4:7], v[16:17], v[4:5], a[4:7]
	s_cbranch_vccz .LBB295_42
; %bb.32:
	v_lshlrev_b32_e32 v20, 1, v23
	s_and_b64 vcc, exec, s[6:7]
	s_cbranch_vccz .LBB295_43
; %bb.33:
	v_cmp_gt_i32_e32 vcc, s47, v20
	v_mov_b32_e32 v6, 0
	v_mov_b32_e32 v2, 0
	;; [unrolled: 1-line block ×5, first 2 shown]
	s_and_saveexec_b64 s[0:1], vcc
	s_cbranch_execz .LBB295_35
; %bb.34:
	v_mad_i64_i32 v[2:3], s[2:3], s19, v20, 0
	v_lshl_add_u64 v[2:3], v[2:3], 1, s[4:5]
	v_lshlrev_b32_e32 v4, 1, v18
	v_mov_b32_e32 v5, 0
	v_lshl_add_u64 v[2:3], v[2:3], 0, v[4:5]
	global_load_dwordx4 v[2:5], v[2:3], off
.LBB295_35:
	s_or_b64 exec, exec, s[0:1]
	v_or_b32_e32 v21, 1, v20
	v_cmp_gt_i32_e64 s[0:1], s47, v21
	v_mov_b32_e32 v7, 0
	v_mov_b32_e32 v8, 0
	;; [unrolled: 1-line block ×3, first 2 shown]
	s_and_saveexec_b64 s[2:3], s[0:1]
	s_cbranch_execz .LBB295_37
; %bb.36:
	v_mad_i64_i32 v[6:7], s[16:17], s19, v21, 0
	v_lshl_add_u64 v[6:7], v[6:7], 1, s[4:5]
	v_lshlrev_b32_e32 v8, 1, v18
	v_mov_b32_e32 v9, 0
	v_lshl_add_u64 v[6:7], v[6:7], 0, v[8:9]
	global_load_dwordx4 v[6:9], v[6:7], off
.LBB295_37:
	s_or_b64 exec, exec, s[2:3]
	v_mov_b32_e32 v17, 0
	v_mov_b32_e32 v10, 0
	;; [unrolled: 1-line block ×5, first 2 shown]
	s_and_saveexec_b64 s[2:3], vcc
	s_cbranch_execz .LBB295_39
; %bb.38:
	v_mad_i64_i32 v[10:11], s[16:17], s19, v20, 0
	v_lshl_add_u64 v[10:11], v[10:11], 1, s[4:5]
	v_lshlrev_b32_e32 v12, 1, v18
	v_mov_b32_e32 v13, 0
	v_lshl_add_u64 v[10:11], v[10:11], 0, v[12:13]
	global_load_dwordx4 v[10:13], v[10:11], off offset:128
.LBB295_39:
	s_or_b64 exec, exec, s[2:3]
	v_mov_b32_e32 v16, 0
	v_mov_b32_e32 v15, 0
	;; [unrolled: 1-line block ×3, first 2 shown]
	s_and_saveexec_b64 s[2:3], s[0:1]
	s_cbranch_execz .LBB295_41
; %bb.40:
	v_mad_i64_i32 v[14:15], s[0:1], s19, v21, 0
	v_lshl_add_u64 v[14:15], v[14:15], 1, s[4:5]
	v_lshlrev_b32_e32 v16, 1, v18
	v_mov_b32_e32 v17, 0
	v_lshl_add_u64 v[14:15], v[14:15], 0, v[16:17]
	global_load_dwordx4 v[14:17], v[14:15], off offset:128
.LBB295_41:
	s_or_b64 exec, exec, s[2:3]
	s_branch .LBB295_45
.LBB295_42:
                                        ; implicit-def: $vgpr5
                                        ; implicit-def: $vgpr9
                                        ; implicit-def: $vgpr13
                                        ; implicit-def: $vgpr17
	v_lshrrev_b32_e32 v30, 2, v43
	s_branch .LBB295_46
.LBB295_43:
                                        ; implicit-def: $vgpr5
                                        ; implicit-def: $vgpr9
                                        ; implicit-def: $vgpr13
                                        ; implicit-def: $vgpr17
	s_cbranch_execz .LBB295_45
; %bb.44:
	s_waitcnt vmcnt(0)
	v_mad_u64_u32 v[2:3], s[0:1], v20, s19, v[18:19]
	v_lshlrev_b32_e32 v20, 1, v2
	s_lshl_b32 s2, s19, 7
	s_and_b32 s1, s5, 0xffff
	s_mov_b32 s3, 0x20000
	s_mov_b32 s0, s4
	v_add_lshl_u32 v21, v2, s19, 1
	s_movk_i32 s13, 0x80
	buffer_load_dwordx4 v[2:5], v20, s[0:3], 0 offen
	buffer_load_dwordx4 v[10:13], v20, s[0:3], s13 offen
	;; [unrolled: 1-line block ×4, first 2 shown]
.LBB295_45:
	v_lshrrev_b32_e32 v30, 2, v43
	s_cbranch_execnz .LBB295_58
.LBB295_46:
	s_and_b64 vcc, exec, s[6:7]
	s_cbranch_vccz .LBB295_56
; %bb.47:
	s_waitcnt vmcnt(0)
	v_lshlrev_b32_e32 v7, 1, v23
	v_cmp_gt_i32_e32 vcc, s47, v7
	v_mov_b32_e32 v6, 0
	v_lshlrev_b32_e32 v14, 9, v23
	v_mov_b32_e32 v2, 0
	v_mov_b32_e32 v3, 0
	;; [unrolled: 1-line block ×4, first 2 shown]
	s_and_saveexec_b64 s[0:1], vcc
	s_cbranch_execz .LBB295_49
; %bb.48:
	v_mov_b32_e32 v15, 0
	v_lshl_add_u64 v[2:3], s[4:5], 0, v[14:15]
	v_lshlrev_b32_e32 v4, 1, v18
	v_mov_b32_e32 v5, v15
	v_lshl_add_u64 v[2:3], v[2:3], 0, v[4:5]
	global_load_dwordx4 v[2:5], v[2:3], off
.LBB295_49:
	s_or_b64 exec, exec, s[0:1]
	v_or_b32_e32 v7, 1, v7
	v_cmp_gt_i32_e64 s[0:1], s47, v7
	v_lshlrev_b32_e32 v20, 8, v7
	v_mov_b32_e32 v7, 0
	v_mov_b32_e32 v8, 0
	;; [unrolled: 1-line block ×3, first 2 shown]
	s_and_saveexec_b64 s[2:3], s[0:1]
	s_cbranch_execz .LBB295_51
; %bb.50:
	v_mov_b32_e32 v21, 0
	v_lshl_add_u64 v[6:7], s[4:5], 0, v[20:21]
	v_lshlrev_b32_e32 v8, 1, v18
	v_mov_b32_e32 v9, v21
	v_lshl_add_u64 v[6:7], v[6:7], 0, v[8:9]
	global_load_dwordx4 v[6:9], v[6:7], off
.LBB295_51:
	s_or_b64 exec, exec, s[2:3]
	v_mov_b32_e32 v17, 0
	v_mov_b32_e32 v10, 0
	;; [unrolled: 1-line block ×5, first 2 shown]
	s_and_saveexec_b64 s[2:3], vcc
	s_cbranch_execz .LBB295_53
; %bb.52:
	v_mov_b32_e32 v15, 0
	v_lshl_add_u64 v[10:11], s[4:5], 0, v[14:15]
	v_lshlrev_b32_e32 v14, 1, v18
	v_lshl_add_u64 v[10:11], v[10:11], 0, v[14:15]
	global_load_dwordx4 v[10:13], v[10:11], off offset:128
.LBB295_53:
	s_or_b64 exec, exec, s[2:3]
	v_mov_b32_e32 v16, 0
	v_mov_b32_e32 v15, 0
	;; [unrolled: 1-line block ×3, first 2 shown]
	s_and_saveexec_b64 s[2:3], s[0:1]
	s_cbranch_execz .LBB295_55
; %bb.54:
	v_mov_b32_e32 v21, 0
	v_lshl_add_u64 v[14:15], s[4:5], 0, v[20:21]
	v_lshlrev_b32_e32 v20, 1, v18
	v_lshl_add_u64 v[14:15], v[14:15], 0, v[20:21]
	global_load_dwordx4 v[14:17], v[14:15], off offset:128
.LBB295_55:
	s_or_b64 exec, exec, s[2:3]
	s_branch .LBB295_58
.LBB295_56:
                                        ; implicit-def: $vgpr5
                                        ; implicit-def: $vgpr9
                                        ; implicit-def: $vgpr13
                                        ; implicit-def: $vgpr17
	s_cbranch_execz .LBB295_58
; %bb.57:
	s_waitcnt vmcnt(0)
	v_lshlrev_b32_e32 v2, 1, v18
	v_lshl_or_b32 v18, v23, 9, v2
	s_and_b32 s5, s5, 0xffff
	s_mov_b32 s7, 0x20000
	s_movk_i32 s6, 0x4000
	s_movk_i32 s0, 0x80
	buffer_load_dwordx4 v[2:5], v18, s[4:7], 0 offen
	buffer_load_dwordx4 v[6:9], v18, s[4:7], 0 offen offset:256
	buffer_load_dwordx4 v[10:13], v18, s[4:7], s0 offen
	buffer_load_dwordx4 v[14:17], v18, s[4:7], s0 offen offset:256
.LBB295_58:
	ds_read_b64 v[20:21], v25 offset:32768
	v_add_u32_e32 v18, 0xb000, v24
	ds_read2_b64 v[32:35], v18 offset1:16
	ds_read_b64 v[40:41], v26 offset:32768
	ds_read_b64 v[26:27], v27 offset:32768
	ds_read_b64 v[44:45], v28 offset:32768
	v_and_b32_e32 v18, 6, v0
	v_xor_b32_e32 v23, v23, v18
	v_lshlrev_b32_e32 v23, 2, v23
	v_and_b32_e32 v0, 1, v0
	v_xor_b32_e32 v28, 0x440, v23
	v_cmp_eq_u32_e32 vcc, 0, v0
	s_waitcnt lgkmcnt(3)
	v_mfma_f32_16x16x16_bf16 a[0:3], v[20:21], v[32:33], a[0:3]
	s_mov_b32 s0, 0x1000504
	v_cndmask_b32_e32 v0, v28, v23, vcc
	v_lshl_or_b32 v0, v18, 10, v0
	v_mfma_f32_16x16x16_bf16 a[4:7], v[20:21], v[34:35], a[4:7]
	ds_read2st64_b64 v[32:35], v24 offset0:90 offset1:92
	ds_read2st64_b64 v[36:39], v29 offset0:90 offset1:92
	ds_read_b64 v[20:21], v24 offset:48128
	ds_read_b64 v[24:25], v29 offset:48128
	s_waitcnt vmcnt(0)
	v_perm_b32 v18, v2, v6, s0
	s_waitcnt lgkmcnt(3)
	v_mfma_f32_16x16x16_bf16 a[0:3], v[40:41], v[32:33], a[0:3]
	s_mov_b32 s1, 0x3020706
	v_perm_b32 v2, v2, v6, s1
	v_perm_b32 v6, v10, v14, s1
	s_waitcnt lgkmcnt(2)
	v_mfma_f32_16x16x16_bf16 a[4:7], v[40:41], v[36:37], a[4:7]
	v_mfma_f32_16x16x16_bf16 a[0:3], v[26:27], v[34:35], a[0:3]
	;; [unrolled: 1-line block ×3, first 2 shown]
	s_waitcnt lgkmcnt(1)
	v_mfma_f32_16x16x16_bf16 a[4:7], v[44:45], v[20:21], a[0:3]
	v_perm_b32 v20, v10, v14, s0
	ds_write2st64_b32 v0, v18, v20 offset0:32 offset1:64
	v_xor_b32_e32 v18, 8, v0
	v_add_u32_e32 v10, 0x80, v18
	ds_write2st64_b32 v10, v2, v6 offset0:32 offset1:64
	v_xor_b32_e32 v2, 16, v0
	v_perm_b32 v6, v3, v7, s0
	v_perm_b32 v10, v11, v15, s0
	ds_write2st64_b32 v2, v6, v10 offset0:33 offset1:65
	v_xor_b32_e32 v2, 24, v0
	v_perm_b32 v3, v3, v7, s1
	v_perm_b32 v6, v11, v15, s1
	v_add_u32_e32 v2, 0x80, v2
	ds_write2st64_b32 v2, v3, v6 offset0:33 offset1:65
	v_xor_b32_e32 v2, 32, v0
	v_perm_b32 v3, v4, v8, s0
	v_perm_b32 v6, v12, v16, s0
	s_waitcnt lgkmcnt(4)
	v_mfma_f32_16x16x16_bf16 a[0:3], v[44:45], v[24:25], a[8:11]
	ds_write2st64_b32 v2, v3, v6 offset0:34 offset1:66
	v_xor_b32_e32 v2, 40, v0
	v_perm_b32 v3, v4, v8, s1
	v_perm_b32 v4, v12, v16, s1
	v_add_u32_e32 v2, 0x80, v2
	ds_write2st64_b32 v2, v3, v4 offset0:34 offset1:66
	v_xor_b32_e32 v2, 48, v0
	v_perm_b32 v3, v5, v9, s0
	v_perm_b32 v4, v13, v17, s0
	v_xor_b32_e32 v0, 56, v0
	v_and_or_b32 v21, v30, 12, v1
	ds_write2st64_b32 v2, v3, v4 offset0:35 offset1:67
	v_perm_b32 v2, v5, v9, s1
	v_perm_b32 v3, v13, v17, s1
	v_add_u32_e32 v0, 0x80, v0
	v_cmp_gt_i32_e32 vcc, s47, v21
	v_mov_b32_e32 v16, 0
	v_mov_b32_e32 v18, 0
	ds_write2st64_b32 v0, v2, v3 offset0:35 offset1:67
	s_and_saveexec_b64 s[0:1], vcc
	s_cbranch_execz .LBB295_60
; %bb.59:
	v_add_u32_e32 v0, s38, v21
	v_ashrrev_i32_e32 v1, 31, v0
	v_mul_lo_u32 v2, v1, s34
	v_mul_lo_u32 v3, v0, s35
	v_mad_u64_u32 v[0:1], s[2:3], v0, s34, 0
	v_add3_u32 v1, v1, v3, v2
	v_lshl_add_u64 v[0:1], v[0:1], 2, s[10:11]
	global_load_dword v0, v[0:1], off
	s_waitcnt vmcnt(0)
	v_sub_f32_e32 v0, s12, v0
	v_exp_f32_e32 v18, v0
.LBB295_60:
	s_or_b64 exec, exec, s[0:1]
	v_or_b32_e32 v10, 1, v21
	v_cmp_gt_i32_e64 s[2:3], s47, v10
	s_and_saveexec_b64 s[0:1], s[2:3]
	s_cbranch_execz .LBB295_62
; %bb.61:
	v_add_u32_e32 v0, s38, v10
	v_ashrrev_i32_e32 v1, 31, v0
	v_mul_lo_u32 v2, v1, s34
	v_mul_lo_u32 v3, v0, s35
	v_mad_u64_u32 v[0:1], s[4:5], v0, s34, 0
	v_add3_u32 v1, v1, v3, v2
	v_lshl_add_u64 v[0:1], v[0:1], 2, s[10:11]
	global_load_dword v0, v[0:1], off
	s_waitcnt vmcnt(0)
	v_sub_f32_e32 v0, s12, v0
	v_exp_f32_e32 v16, v0
.LBB295_62:
	s_or_b64 exec, exec, s[0:1]
	v_or_b32_e32 v12, 2, v21
	v_cmp_gt_i32_e64 s[0:1], s47, v12
	v_mov_b32_e32 v17, 0
	v_mov_b32_e32 v20, 0
	s_and_saveexec_b64 s[4:5], s[0:1]
	s_cbranch_execz .LBB295_64
; %bb.63:
	v_add_u32_e32 v0, s38, v12
	v_ashrrev_i32_e32 v1, 31, v0
	v_mul_lo_u32 v2, v1, s34
	v_mul_lo_u32 v3, v0, s35
	v_mad_u64_u32 v[0:1], s[6:7], v0, s34, 0
	v_add3_u32 v1, v1, v3, v2
	v_lshl_add_u64 v[0:1], v[0:1], 2, s[10:11]
	global_load_dword v0, v[0:1], off
	s_waitcnt vmcnt(0)
	v_sub_f32_e32 v0, s12, v0
	v_exp_f32_e32 v20, v0
.LBB295_64:
	s_or_b64 exec, exec, s[4:5]
	v_or_b32_e32 v14, 3, v21
	v_cmp_gt_i32_e64 s[4:5], s47, v14
	s_and_saveexec_b64 s[6:7], s[4:5]
	s_cbranch_execz .LBB295_66
; %bb.65:
	v_add_u32_e32 v0, s38, v14
	v_ashrrev_i32_e32 v1, 31, v0
	v_mul_lo_u32 v2, v1, s34
	v_mul_lo_u32 v3, v0, s35
	v_mad_u64_u32 v[0:1], s[16:17], v0, s34, 0
	v_add3_u32 v1, v1, v3, v2
	v_lshl_add_u64 v[0:1], v[0:1], 2, s[10:11]
	global_load_dword v0, v[0:1], off
	s_waitcnt vmcnt(0)
	v_sub_f32_e32 v0, s12, v0
	v_exp_f32_e32 v17, v0
.LBB295_66:
	s_or_b64 exec, exec, s[6:7]
	s_add_u32 s6, s8, s28
	v_or_b32_e32 v4, s36, v42
	s_addc_u32 s7, s9, s29
	s_add_u32 s8, s14, s28
	v_ashrrev_i32_e32 v5, 31, v4
	v_accvgpr_read_b32 v0, a4
	s_addc_u32 s9, s15, s29
	v_lshlrev_b64 v[4:5], 1, v[4:5]
	v_accvgpr_read_b32 v1, a5
	v_accvgpr_read_b32 v2, a6
	;; [unrolled: 1-line block ×3, first 2 shown]
	v_lshl_add_u64 v[6:7], s[6:7], 0, v[4:5]
	v_lshl_add_u64 v[4:5], s[8:9], 0, v[4:5]
	v_mov_b32_e32 v11, 0
	v_lshlrev_b32_e32 v8, 8, v21
	v_mov_b32_e32 v9, 0
	s_and_saveexec_b64 s[6:7], vcc
	s_cbranch_execz .LBB295_68
; %bb.67:
	v_mov_b32_e32 v9, 0
	v_lshl_add_u64 v[24:25], v[6:7], 0, v[8:9]
	global_load_ushort v13, v[24:25], off
	v_lshl_add_u64 v[24:25], v[4:5], 0, v[8:9]
	s_waitcnt vmcnt(0)
	v_lshlrev_b32_e32 v9, 16, v13
	v_sub_f32_e32 v0, v9, v0
	global_store_short_d16_hi v[24:25], v0, off
	v_mul_f32_e32 v0, v18, v0
	v_lshrrev_b32_e32 v9, 16, v0
.LBB295_68:
	s_or_b64 exec, exec, s[6:7]
	v_lshlrev_b32_e32 v10, 8, v10
	s_and_saveexec_b64 s[6:7], s[2:3]
	s_cbranch_execz .LBB295_70
; %bb.69:
	v_mov_b32_e32 v11, 0
	v_lshl_add_u64 v[24:25], v[6:7], 0, v[10:11]
	global_load_ushort v0, v[24:25], off
	v_lshl_add_u64 v[24:25], v[4:5], 0, v[10:11]
	s_waitcnt vmcnt(0)
	v_lshlrev_b32_e32 v0, 16, v0
	v_sub_f32_e32 v0, v0, v1
	global_store_short_d16_hi v[24:25], v0, off
	v_mul_f32_e32 v0, v16, v0
	v_lshrrev_b32_e32 v11, 16, v0
.LBB295_70:
	s_or_b64 exec, exec, s[6:7]
	v_mov_b32_e32 v15, 0
	v_lshlrev_b32_e32 v12, 8, v12
	v_mov_b32_e32 v13, 0
	s_and_saveexec_b64 s[6:7], s[0:1]
	s_cbranch_execz .LBB295_72
; %bb.71:
	v_mov_b32_e32 v13, 0
	v_lshl_add_u64 v[0:1], v[6:7], 0, v[12:13]
	global_load_ushort v23, v[0:1], off
	v_lshl_add_u64 v[0:1], v[4:5], 0, v[12:13]
	s_waitcnt vmcnt(0)
	v_lshlrev_b32_e32 v13, 16, v23
	v_sub_f32_e32 v2, v13, v2
	global_store_short_d16_hi v[0:1], v2, off
	v_mul_f32_e32 v0, v20, v2
	v_lshrrev_b32_e32 v13, 16, v0
.LBB295_72:
	s_or_b64 exec, exec, s[6:7]
	v_lshlrev_b32_e32 v14, 8, v14
	s_and_saveexec_b64 s[6:7], s[4:5]
	s_cbranch_execz .LBB295_74
; %bb.73:
	v_mov_b32_e32 v15, 0
	v_lshl_add_u64 v[0:1], v[6:7], 0, v[14:15]
	global_load_ushort v2, v[0:1], off
	v_lshl_add_u64 v[0:1], v[4:5], 0, v[14:15]
	s_waitcnt vmcnt(0)
	v_lshlrev_b32_e32 v2, 16, v2
	v_sub_f32_e32 v2, v2, v3
	global_store_short_d16_hi v[0:1], v2, off
	v_mul_f32_e32 v0, v17, v2
	v_lshrrev_b32_e32 v15, 16, v0
.LBB295_74:
	s_or_b64 exec, exec, s[6:7]
	v_lshlrev_b32_e32 v21, 5, v21
	s_mov_b32 s6, 0x5040100
	v_perm_b32 v24, v11, v9, s6
	v_or_b32_e32 v9, v21, v22
	v_accvgpr_read_b32 v0, a0
	v_perm_b32 v25, v15, v13, s6
	v_lshlrev_b32_e32 v9, 1, v9
	v_accvgpr_read_b32 v1, a1
	v_accvgpr_read_b32 v2, a2
	;; [unrolled: 1-line block ×3, first 2 shown]
	ds_write_b64 v9, v[24:25] offset:45056
	v_mov_b32_e32 v11, 0
	v_mov_b32_e32 v9, 0
	s_and_saveexec_b64 s[6:7], vcc
	s_cbranch_execz .LBB295_76
; %bb.75:
	v_mov_b32_e32 v9, 0
	v_lshl_add_u64 v[22:23], v[6:7], 0, v[8:9]
	global_load_ushort v13, v[22:23], off offset:32
	v_lshl_add_u64 v[8:9], v[4:5], 0, v[8:9]
	s_waitcnt vmcnt(0)
	v_lshlrev_b32_e32 v13, 16, v13
	v_sub_f32_e32 v0, v13, v0
	global_store_short_d16_hi v[8:9], v0, off offset:32
	v_mul_f32_e32 v0, v18, v0
	v_lshrrev_b32_e32 v9, 16, v0
.LBB295_76:
	s_or_b64 exec, exec, s[6:7]
	s_and_saveexec_b64 s[6:7], s[2:3]
	s_cbranch_execz .LBB295_78
; %bb.77:
	v_mov_b32_e32 v11, 0
	v_lshl_add_u64 v[22:23], v[6:7], 0, v[10:11]
	global_load_ushort v0, v[22:23], off offset:32
	v_lshl_add_u64 v[10:11], v[4:5], 0, v[10:11]
	s_waitcnt vmcnt(0)
	v_lshlrev_b32_e32 v0, 16, v0
	v_sub_f32_e32 v0, v0, v1
	global_store_short_d16_hi v[10:11], v0, off offset:32
	v_mul_f32_e32 v0, v16, v0
	v_lshrrev_b32_e32 v11, 16, v0
.LBB295_78:
	s_or_b64 exec, exec, s[6:7]
	v_mov_b32_e32 v0, 0
	v_mov_b32_e32 v1, 0
	s_and_saveexec_b64 s[2:3], s[0:1]
	s_cbranch_execz .LBB295_80
; %bb.79:
	v_mov_b32_e32 v13, 0
	v_lshl_add_u64 v[22:23], v[6:7], 0, v[12:13]
	global_load_ushort v1, v[22:23], off offset:32
	v_lshl_add_u64 v[12:13], v[4:5], 0, v[12:13]
	s_waitcnt vmcnt(0)
	v_lshlrev_b32_e32 v1, 16, v1
	v_sub_f32_e32 v1, v1, v2
	global_store_short_d16_hi v[12:13], v1, off offset:32
	v_mul_f32_e32 v1, v20, v1
	v_lshrrev_b32_e32 v1, 16, v1
.LBB295_80:
	s_or_b64 exec, exec, s[2:3]
	s_and_saveexec_b64 s[0:1], s[4:5]
	s_cbranch_execz .LBB295_82
; %bb.81:
	v_mov_b32_e32 v15, 0
	v_lshl_add_u64 v[6:7], v[6:7], 0, v[14:15]
	global_load_ushort v0, v[6:7], off offset:32
	v_lshl_add_u64 v[4:5], v[4:5], 0, v[14:15]
	s_waitcnt vmcnt(0)
	v_lshlrev_b32_e32 v0, 16, v0
	v_sub_f32_e32 v0, v0, v3
	global_store_short_d16_hi v[4:5], v0, off offset:32
	v_mul_f32_e32 v0, v17, v0
	v_lshrrev_b32_e32 v0, 16, v0
.LBB295_82:
	s_or_b64 exec, exec, s[0:1]
	s_mov_b32 s0, 0x5040100
	v_or_b32_e32 v2, v21, v19
	v_perm_b32 v1, v0, v1, s0
	v_perm_b32 v0, v11, v9, s0
	v_lshlrev_b32_e32 v2, 1, v2
	ds_write_b64 v2, v[0:1] offset:45056
	s_waitcnt lgkmcnt(0)
	s_barrier
.LBB295_83:
	s_endpgm
	.section	.rodata,"a",@progbits
	.p2align	6, 0x0
	.amdhsa_kernel _ZN12_GLOBAL__N_139chunk_gated_delta_rule_fwd_h_hip_kernelILi32ELb0ELb0ELb1ELb1ELb1ELb0ELb1ELb1EEEvPK12hip_bfloat16S3_S3_PKfS5_PKvPS1_S8_PvPKiSB_iiiiilll
		.amdhsa_group_segment_fixed_size 49152
		.amdhsa_private_segment_fixed_size 0
		.amdhsa_kernarg_size 136
		.amdhsa_user_sgpr_count 2
		.amdhsa_user_sgpr_dispatch_ptr 0
		.amdhsa_user_sgpr_queue_ptr 0
		.amdhsa_user_sgpr_kernarg_segment_ptr 1
		.amdhsa_user_sgpr_dispatch_id 0
		.amdhsa_user_sgpr_kernarg_preload_length 0
		.amdhsa_user_sgpr_kernarg_preload_offset 0
		.amdhsa_user_sgpr_private_segment_size 0
		.amdhsa_uses_dynamic_stack 0
		.amdhsa_enable_private_segment 0
		.amdhsa_system_sgpr_workgroup_id_x 1
		.amdhsa_system_sgpr_workgroup_id_y 1
		.amdhsa_system_sgpr_workgroup_id_z 0
		.amdhsa_system_sgpr_workgroup_info 0
		.amdhsa_system_vgpr_workitem_id 0
		.amdhsa_next_free_vgpr 152
		.amdhsa_next_free_sgpr 62
		.amdhsa_accum_offset 132
		.amdhsa_reserve_vcc 1
		.amdhsa_float_round_mode_32 0
		.amdhsa_float_round_mode_16_64 0
		.amdhsa_float_denorm_mode_32 3
		.amdhsa_float_denorm_mode_16_64 3
		.amdhsa_dx10_clamp 1
		.amdhsa_ieee_mode 1
		.amdhsa_fp16_overflow 0
		.amdhsa_tg_split 0
		.amdhsa_exception_fp_ieee_invalid_op 0
		.amdhsa_exception_fp_denorm_src 0
		.amdhsa_exception_fp_ieee_div_zero 0
		.amdhsa_exception_fp_ieee_overflow 0
		.amdhsa_exception_fp_ieee_underflow 0
		.amdhsa_exception_fp_ieee_inexact 0
		.amdhsa_exception_int_div_zero 0
	.end_amdhsa_kernel
	.section	.text._ZN12_GLOBAL__N_139chunk_gated_delta_rule_fwd_h_hip_kernelILi32ELb0ELb0ELb1ELb1ELb1ELb0ELb1ELb1EEEvPK12hip_bfloat16S3_S3_PKfS5_PKvPS1_S8_PvPKiSB_iiiiilll,"axG",@progbits,_ZN12_GLOBAL__N_139chunk_gated_delta_rule_fwd_h_hip_kernelILi32ELb0ELb0ELb1ELb1ELb1ELb0ELb1ELb1EEEvPK12hip_bfloat16S3_S3_PKfS5_PKvPS1_S8_PvPKiSB_iiiiilll,comdat
.Lfunc_end295:
	.size	_ZN12_GLOBAL__N_139chunk_gated_delta_rule_fwd_h_hip_kernelILi32ELb0ELb0ELb1ELb1ELb1ELb0ELb1ELb1EEEvPK12hip_bfloat16S3_S3_PKfS5_PKvPS1_S8_PvPKiSB_iiiiilll, .Lfunc_end295-_ZN12_GLOBAL__N_139chunk_gated_delta_rule_fwd_h_hip_kernelILi32ELb0ELb0ELb1ELb1ELb1ELb0ELb1ELb1EEEvPK12hip_bfloat16S3_S3_PKfS5_PKvPS1_S8_PvPKiSB_iiiiilll
                                        ; -- End function
	.section	.AMDGPU.csdata,"",@progbits
; Kernel info:
; codeLenInByte = 8528
; NumSgprs: 68
; NumVgprs: 132
; NumAgprs: 20
; TotalNumVgprs: 152
; ScratchSize: 0
; MemoryBound: 0
; FloatMode: 240
; IeeeMode: 1
; LDSByteSize: 49152 bytes/workgroup (compile time only)
; SGPRBlocks: 8
; VGPRBlocks: 18
; NumSGPRsForWavesPerEU: 68
; NumVGPRsForWavesPerEU: 152
; AccumOffset: 132
; Occupancy: 1
; WaveLimiterHint : 1
; COMPUTE_PGM_RSRC2:SCRATCH_EN: 0
; COMPUTE_PGM_RSRC2:USER_SGPR: 2
; COMPUTE_PGM_RSRC2:TRAP_HANDLER: 0
; COMPUTE_PGM_RSRC2:TGID_X_EN: 1
; COMPUTE_PGM_RSRC2:TGID_Y_EN: 1
; COMPUTE_PGM_RSRC2:TGID_Z_EN: 0
; COMPUTE_PGM_RSRC2:TIDIG_COMP_CNT: 0
; COMPUTE_PGM_RSRC3_GFX90A:ACCUM_OFFSET: 32
; COMPUTE_PGM_RSRC3_GFX90A:TG_SPLIT: 0
	.section	.text._ZN12_GLOBAL__N_139chunk_gated_delta_rule_fwd_h_hip_kernelILi32ELb0ELb0ELb0ELb1ELb1ELb0ELb1ELb1EEEvPK12hip_bfloat16S3_S3_PKfS5_PKvPS1_S8_PvPKiSB_iiiiilll,"axG",@progbits,_ZN12_GLOBAL__N_139chunk_gated_delta_rule_fwd_h_hip_kernelILi32ELb0ELb0ELb0ELb1ELb1ELb0ELb1ELb1EEEvPK12hip_bfloat16S3_S3_PKfS5_PKvPS1_S8_PvPKiSB_iiiiilll,comdat
	.globl	_ZN12_GLOBAL__N_139chunk_gated_delta_rule_fwd_h_hip_kernelILi32ELb0ELb0ELb0ELb1ELb1ELb0ELb1ELb1EEEvPK12hip_bfloat16S3_S3_PKfS5_PKvPS1_S8_PvPKiSB_iiiiilll ; -- Begin function _ZN12_GLOBAL__N_139chunk_gated_delta_rule_fwd_h_hip_kernelILi32ELb0ELb0ELb0ELb1ELb1ELb0ELb1ELb1EEEvPK12hip_bfloat16S3_S3_PKfS5_PKvPS1_S8_PvPKiSB_iiiiilll
	.p2align	8
	.type	_ZN12_GLOBAL__N_139chunk_gated_delta_rule_fwd_h_hip_kernelILi32ELb0ELb0ELb0ELb1ELb1ELb0ELb1ELb1EEEvPK12hip_bfloat16S3_S3_PKfS5_PKvPS1_S8_PvPKiSB_iiiiilll,@function
_ZN12_GLOBAL__N_139chunk_gated_delta_rule_fwd_h_hip_kernelILi32ELb0ELb0ELb0ELb1ELb1ELb0ELb1ELb1EEEvPK12hip_bfloat16S3_S3_PKfS5_PKvPS1_S8_PvPKiSB_iiiiilll: ; @_ZN12_GLOBAL__N_139chunk_gated_delta_rule_fwd_h_hip_kernelILi32ELb0ELb0ELb0ELb1ELb1ELb0ELb1ELb1EEEvPK12hip_bfloat16S3_S3_PKfS5_PKvPS1_S8_PvPKiSB_iiiiilll
; %bb.0:
	s_load_dwordx4 s[12:15], s[0:1], 0x5c
	s_load_dwordx4 s[16:19], s[0:1], 0x70
	s_abs_i32 s21, s3
	s_ashr_i32 s20, s3, 31
	s_load_dwordx2 s[36:37], s[0:1], 0x30
	s_load_dwordx4 s[24:27], s[0:1], 0x48
	s_waitcnt lgkmcnt(0)
	s_abs_i32 s28, s13
	v_cvt_f32_u32_e32 v1, s28
	s_sub_i32 s22, 0, s28
	s_ashr_i32 s29, s13, 31
	s_xor_b32 s20, s20, s29
	v_rcp_iflag_f32_e32 v1, v1
	s_load_dwordx8 s[4:11], s[0:1], 0x0
	v_lshrrev_b32_e32 v42, 6, v0
	v_bfe_u32 v43, v0, 4, 2
	v_mul_f32_e32 v1, 0x4f7ffffe, v1
	v_cvt_u32_f32_e32 v1, v1
	v_lshlrev_b32_e32 v2, 2, v43
	v_and_b32_e32 v41, 63, v0
	v_and_b32_e32 v40, 15, v0
	v_readfirstlane_b32 s23, v1
	s_mul_i32 s22, s22, s23
	s_mul_hi_u32 s22, s23, s22
	s_add_i32 s23, s23, s22
	s_mul_hi_u32 s22, s21, s23
	s_mul_i32 s23, s22, s28
	s_sub_i32 s21, s21, s23
	s_add_i32 s30, s22, 1
	s_sub_i32 s23, s21, s28
	s_cmp_ge_u32 s21, s28
	s_cselect_b32 s22, s30, s22
	s_cselect_b32 s21, s23, s21
	s_add_i32 s23, s22, 1
	s_cmp_ge_u32 s21, s28
	s_cselect_b32 s21, s23, s22
	s_xor_b32 s21, s21, s20
	s_sub_i32 s20, s21, s20
	s_mul_i32 s21, s20, s13
	s_sub_i32 s33, s3, s21
	s_ashr_i32 s21, s20, 31
	s_lshl_b64 s[22:23], s[20:21], 2
	s_add_u32 s24, s24, s22
	s_addc_u32 s25, s25, s23
	s_add_u32 s22, s26, s22
	s_addc_u32 s23, s27, s23
	s_abs_i32 s3, s14
	v_cvt_f32_u32_e32 v1, s3
	s_load_dwordx2 s[34:35], s[24:25], 0x0
	s_sub_i32 s25, 0, s3
	s_load_dword s45, s[22:23], 0x0
	v_rcp_iflag_f32_e32 v1, v1
	v_mov_b32_e32 v3, 0
	s_waitcnt lgkmcnt(0)
	s_sub_i32 s44, s35, s34
	s_ashr_i32 s24, s44, 31
	v_mul_f32_e32 v1, 0x4f7ffffe, v1
	v_cvt_u32_f32_e32 v1, v1
	s_lshr_b32 s24, s24, 26
	s_add_i32 s24, s44, s24
	s_ashr_i32 s43, s24, 6
	v_readfirstlane_b32 s26, v1
	s_mul_i32 s25, s25, s26
	s_mul_hi_u32 s25, s26, s25
	s_add_i32 s26, s26, s25
	s_mul_hi_u32 s25, s28, s26
	s_mul_i32 s26, s25, s3
	s_ashr_i32 s24, s14, 31
	s_sub_i32 s26, s28, s26
	s_xor_b32 s24, s29, s24
	s_add_i32 s27, s25, 1
	s_sub_i32 s28, s26, s3
	s_cmp_ge_u32 s26, s3
	s_cselect_b32 s25, s27, s25
	s_cselect_b32 s26, s28, s26
	s_add_i32 s27, s25, 1
	s_cmp_ge_u32 s26, s3
	s_cselect_b32 s3, s27, s25
	s_xor_b32 s3, s3, s24
	s_sub_i32 s3, s3, s24
	s_abs_i32 s24, s3
	v_cvt_f32_u32_e32 v1, s24
	s_load_dwordx2 s[28:29], s[0:1], 0x80
	s_xor_b32 s0, s33, s3
	s_sub_i32 s3, 0, s24
	v_rcp_iflag_f32_e32 v1, v1
	s_abs_i32 s1, s33
	s_ashr_i32 s0, s0, 31
	s_mul_hi_i32 s46, s33, s12
	v_mul_f32_e32 v1, 0x4f7ffffe, v1
	v_cvt_u32_f32_e32 v1, v1
	s_mul_i32 s47, s33, s12
	v_lshrrev_b32_e32 v45, 3, v41
	v_lshlrev_b32_e32 v44, 3, v0
	v_readfirstlane_b32 s22, v1
	s_mul_i32 s3, s3, s22
	s_mul_hi_u32 s3, s22, s3
	s_add_i32 s22, s22, s3
	s_mul_hi_u32 s3, s1, s22
	s_mul_i32 s22, s3, s24
	s_sub_i32 s1, s1, s22
	s_add_i32 s22, s3, 1
	s_sub_i32 s23, s1, s24
	s_cmp_ge_u32 s1, s24
	s_cselect_b32 s3, s22, s3
	s_cselect_b32 s1, s23, s1
	s_add_i32 s22, s3, 1
	s_cmp_ge_u32 s1, s24
	s_cselect_b32 s1, s22, s3
	s_xor_b32 s1, s1, s0
	v_lshlrev_b32_e32 v1, 4, v42
	s_sub_i32 s48, s1, s0
	v_or_b32_e32 v46, v2, v1
	s_lshl_b32 s30, s2, 5
	v_or_b32_e32 v47, 64, v46
	s_cmp_lt_i32 s44, 64
	s_mul_i32 s40, s20, s17
	s_mul_hi_u32 s41, s20, s16
	s_mul_i32 s42, s21, s16
	s_mul_i32 s16, s20, s16
	v_mov_b32_e32 v64, 0
	v_mov_b32_e32 v62, 0
	;; [unrolled: 1-line block ×15, first 2 shown]
	s_cbranch_scc1 .LBB296_18
; %bb.1:
	s_ashr_i32 s51, s33, 31
	s_ashr_i32 s1, s34, 31
	s_add_u32 s0, s47, s34
	s_addc_u32 s1, s46, s1
	s_lshl_b64 s[0:1], s[0:1], 8
	v_and_b32_e32 v49, 56, v44
	s_add_u32 s0, s6, s0
	v_lshl_or_b32 v48, v42, 3, v45
	v_lshlrev_b32_e32 v3, 1, v49
	s_addc_u32 s1, s7, s1
	v_lshl_or_b32 v50, v48, 8, v3
	s_and_b32 s1, s1, 0xffff
	s_mov_b32 s3, 0x20000
	s_movk_i32 s2, 0x4000
	s_movk_i32 s17, 0x80
	v_or_b32_e32 v51, 0x2000, v50
	buffer_load_dwordx4 v[4:7], v50, s[0:3], 0 offen
	buffer_load_dwordx4 v[8:11], v50, s[0:3], s17 offen
	;; [unrolled: 1-line block ×4, first 2 shown]
	v_lshlrev_b32_e32 v20, 3, v48
	v_and_or_b32 v22, v0, 7, v20
	v_and_b32_e32 v20, 0x78, v20
	v_lshlrev_b32_e32 v22, 4, v22
	v_xor_b32_e32 v52, v22, v20
	v_mul_lo_u32 v21, v48, s15
	v_or_b32_e32 v53, 0x1000, v52
	s_cmpk_eq_i32 s15, 0x80
	s_mov_b32 s49, s13
	s_mov_b32 s50, s34
	v_xor_b32_e32 v20, 8, v52
	v_xor_b32_e32 v22, 8, v53
	s_cselect_b64 s[0:1], -1, 0
	s_cmpk_lg_i32 s15, 0x80
	s_waitcnt vmcnt(3)
	ds_write_b64 v52, v[4:5] offset:24576
	ds_write_b64 v20, v[6:7] offset:24576
	s_waitcnt vmcnt(2)
	ds_write_b64 v52, v[8:9] offset:32768
	ds_write_b64 v20, v[10:11] offset:32768
	s_waitcnt vmcnt(1)
	ds_write_b64 v52, v[12:13] offset:28672
	ds_write_b64 v22, v[14:15] offset:24576
	s_waitcnt vmcnt(0)
	ds_write_b64 v52, v[16:17] offset:36864
	ds_write_b64 v22, v[18:19] offset:32768
	v_lshl_add_u32 v4, v21, 1, v49
	s_cbranch_scc0 .LBB296_3
; %bb.2:
	v_lshlrev_b32_e32 v6, 1, v4
	v_add_lshl_u32 v5, v4, s15, 1
	s_lshl_b32 s22, s15, 7
	v_lshl_or_b32 v3, v48, 9, v3
	s_cbranch_execz .LBB296_4
	s_branch .LBB296_5
.LBB296_3:
                                        ; implicit-def: $vgpr5
                                        ; implicit-def: $vgpr6
                                        ; implicit-def: $sgpr22
	v_lshl_or_b32 v3, v48, 9, v3
.LBB296_4:
	v_or_b32_e32 v5, 0x100, v3
	s_movk_i32 s22, 0x4000
	v_mov_b32_e32 v6, v3
.LBB296_5:
	s_mul_i32 s2, s34, s14
	s_ashr_i32 s52, s48, 31
	s_mul_hi_i32 s3, s34, s14
	s_add_u32 s2, s2, s48
	s_addc_u32 s3, s3, s52
	s_lshl_b64 s[2:3], s[2:3], 8
	s_add_u32 s20, s4, s2
	s_addc_u32 s2, s5, s3
	s_and_b32 s21, s2, 0xffff
	s_mov_b32 s23, 0x20000
	s_movk_i32 s53, 0x80
	buffer_load_dwordx4 v[8:11], v6, s[20:23], 0 offen
	buffer_load_dwordx4 v[12:15], v6, s[20:23], s53 offen
	buffer_load_dwordx4 v[16:19], v5, s[20:23], 0 offen
	buffer_load_dwordx4 v[20:23], v5, s[20:23], s53 offen
	v_and_b32_e32 v5, 6, v0
	v_lshlrev_b32_e32 v24, 6, v46
	v_or_b32_e32 v26, 16, v40
	v_xor_b32_e32 v27, v48, v5
	v_and_b32_e32 v6, 1, v0
	s_mul_i32 s2, s33, s19
	s_mul_hi_u32 s3, s33, s18
	v_lshl_or_b32 v30, v40, 3, v24
	v_lshl_or_b32 v24, v26, 3, v24
	v_lshlrev_b32_e32 v27, 2, v27
	s_add_i32 s17, s41, s40
	v_lshlrev_b32_e32 v7, 2, v40
	s_mul_i32 s20, s51, s18
	v_or_b32_e32 v56, 0xa000, v24
	v_or_b32_e32 v57, 0xb000, v24
	v_xor_b32_e32 v24, 0x440, v27
	v_cmp_eq_u32_e32 vcc, 0, v6
	s_add_i32 s2, s3, s2
	s_add_i32 s17, s17, s42
	v_xor_b32_e32 v28, v46, v7
	v_xor_b32_e32 v29, v47, v7
	v_cndmask_b32_e32 v6, v24, v27, vcc
	s_add_i32 s3, s2, s20
	s_lshl_b64 s[20:21], s[16:17], 2
	s_mov_b32 s54, 0x1000504
	v_lshlrev_b32_e32 v25, 8, v40
	v_lshlrev_b32_e32 v26, 8, v26
	;; [unrolled: 1-line block ×4, first 2 shown]
	v_lshl_or_b32 v5, v5, 10, v6
	s_mul_i32 s2, s33, s18
	s_add_u32 s17, s10, s20
	s_mov_b32 s55, 0x3020706
	v_or_b32_e32 v54, 0xa000, v30
	v_or_b32_e32 v55, 0xb000, v30
	;; [unrolled: 1-line block ×5, first 2 shown]
	v_xor_b32_e32 v6, 8, v5
	v_xor_b32_e32 v25, 24, v5
	v_xor_b32_e32 v27, 40, v5
	v_xor_b32_e32 v29, 56, v5
	s_addc_u32 s20, s11, s21
	s_lshl_b64 s[2:3], s[2:3], 2
	v_or_b32_e32 v60, v26, v28
	v_xor_b32_e32 v24, 16, v5
	v_xor_b32_e32 v26, 32, v5
	;; [unrolled: 1-line block ×3, first 2 shown]
	v_add_u32_e32 v6, 0x80, v6
	v_add_u32_e32 v25, 0x80, v25
	;; [unrolled: 1-line block ×4, first 2 shown]
	s_add_u32 s2, s17, s2
	s_addc_u32 s3, s20, s3
	s_movk_i32 s20, 0xf8
	s_ashr_i32 s31, s30, 31
	s_lshl_b32 s26, s15, 7
	s_movk_i32 s24, 0x100
	v_mov_b32_e32 v35, 0
	v_lshlrev_b32_e32 v34, 4, v40
	v_cmp_gt_u32_e32 vcc, s24, v0
	s_mov_b32 s56, 0
	s_movk_i32 s17, 0x1000
	s_movk_i32 s22, 0x4000
	v_add_u32_e32 v91, v1, v2
	v_mov_b32_e32 v73, v35
	v_mov_b32_e32 v72, v35
	;; [unrolled: 1-line block ×13, first 2 shown]
	s_waitcnt vmcnt(1)
	v_perm_b32 v30, v8, v16, s54
	s_waitcnt vmcnt(0)
	v_perm_b32 v31, v12, v20, s54
	v_perm_b32 v8, v8, v16, s55
	;; [unrolled: 1-line block ×15, first 2 shown]
	ds_write2st64_b32 v5, v30, v31 offset0:32 offset1:64
	ds_write2st64_b32 v6, v8, v12 offset0:32 offset1:64
	ds_write2st64_b32 v24, v16, v20 offset0:33 offset1:65
	ds_write2st64_b32 v25, v9, v13 offset0:33 offset1:65
	ds_write2st64_b32 v26, v17, v21 offset0:34 offset1:66
	ds_write2st64_b32 v27, v10, v14 offset0:34 offset1:66
	ds_write2st64_b32 v28, v18, v22 offset0:35 offset1:67
	ds_write2st64_b32 v29, v11, v15 offset0:35 offset1:67
	v_or_b32_e32 v5, v1, v40
	v_lshlrev_b32_e32 v5, 3, v5
	v_lshrrev_b32_e32 v8, 5, v41
	v_and_or_b32 v8, v5, s20, v8
	v_lshlrev_b32_e32 v8, 4, v8
	v_lshlrev_b32_e32 v9, 11, v42
	v_and_b32_e32 v5, 0x78, v5
	v_or_b32_e32 v13, 32, v8
	v_and_b32_e32 v6, 0x1000, v9
	v_lshrrev_b32_e32 v11, 1, v0
	v_xor_b32_e32 v13, v13, v5
	v_and_b32_e32 v12, 8, v11
	v_or_b32_e32 v13, v13, v6
	v_xor_b32_e32 v10, v8, v5
	v_xor_b32_e32 v76, v13, v12
	v_or_b32_e32 v13, 64, v8
	v_or_b32_e32 v8, 0x60, v8
	v_xor_b32_e32 v13, v13, v5
	v_xor_b32_e32 v5, v8, v5
	v_or_b32_e32 v10, v10, v6
	v_or_b32_e32 v13, v13, v6
	;; [unrolled: 1-line block ×3, first 2 shown]
	s_lshl_b64 s[20:21], s[30:31], 8
	v_xor_b32_e32 v71, v10, v12
	v_xor_b32_e32 v78, v13, v12
	;; [unrolled: 1-line block ×3, first 2 shown]
	v_lshlrev_b32_e32 v12, 1, v4
	v_add_lshl_u32 v13, v4, s15, 1
	s_add_u32 s20, s36, s20
	v_lshlrev_b32_e32 v4, 1, v40
	v_lshrrev_b32_e32 v15, 4, v0
	s_addc_u32 s21, s37, s21
	v_or_b32_e32 v5, 1, v4
	v_mov_b32_e32 v19, 0x4000
	v_mov_b32_e32 v20, 0x2000
	v_xor_b32_e32 v16, v15, v4
	v_xor_b32_e32 v17, v5, v15
	v_lshl_add_u64 v[4:5], s[20:21], 0, v[34:35]
	v_lshlrev_b32_e32 v34, 8, v15
	v_cndmask_b32_e32 v19, v19, v20, vcc
	v_lshlrev_b32_e32 v20, 3, v42
	v_and_b32_e32 v11, 24, v11
	v_lshl_or_b32 v82, v16, 3, v34
	v_and_b32_e32 v16, 8, v0
	v_xor_b32_e32 v21, v20, v11
	v_or_b32_e32 v22, 0x440, v21
	v_cmp_eq_u32_e32 vcc, 0, v16
	v_and_b32_e32 v15, 7, v0
	v_lshlrev_b32_e32 v10, 7, v43
	v_cndmask_b32_e32 v16, v22, v21, vcc
	v_lshl_or_b32 v83, v17, 3, v34
	v_lshlrev_b32_e32 v17, 3, v15
	v_lshlrev_b32_e32 v15, 7, v15
	;; [unrolled: 1-line block ×3, first 2 shown]
	v_or_b32_e32 v16, v16, v9
	v_or_b32_e32 v7, v10, v7
	v_xad_u32 v84, v16, v17, v15
	v_and_or_b32 v10, v18, 60, v10
	v_mov_b32_e32 v16, 0xb000
	v_lshl_or_b32 v85, v10, 1, v16
	v_or_b32_e32 v10, 32, v11
	v_xor_b32_e32 v10, v20, v10
	v_or_b32_e32 v16, 0x440, v10
	v_cndmask_b32_e32 v10, v16, v10, vcc
	v_or_b32_e32 v10, v10, v9
	v_xad_u32 v86, v10, v17, v15
	v_or_b32_e32 v10, 64, v11
	v_xor_b32_e32 v10, v20, v10
	v_xor_b32_e32 v16, 0x440, v10
	v_cndmask_b32_e32 v10, v16, v10, vcc
	v_or_b32_e32 v10, v10, v9
	v_xad_u32 v87, v10, v17, v15
	v_or_b32_e32 v10, 0x60, v11
	v_xor_b32_e32 v10, v20, v10
	v_xor_b32_e32 v11, 0x440, v10
	v_cndmask_b32_e32 v10, v11, v10, vcc
	v_lshlrev_b32_e32 v7, 1, v7
	v_or_b32_e32 v6, s30, v40
	v_or_b32_e32 v9, v10, v9
	;; [unrolled: 1-line block ×6, first 2 shown]
	v_lshlrev_b32_e32 v8, 7, v46
	v_ashrrev_i32_e32 v7, 31, v6
	v_or_b32_e32 v14, 0x100, v3
	v_xad_u32 v88, v9, v17, v15
	v_cndmask_b32_e64 v89, v12, v3, s[0:1]
	v_cndmask_b32_e64 v90, v13, v14, s[0:1]
	v_lshl_add_u64 v[36:37], v[6:7], 1, s[8:9]
	v_lshl_add_u64 v[38:39], v[4:5], 0, v[34:35]
	s_mov_b32 s31, 0x7060302
	v_lshlrev_b32_e32 v34, 1, v8
	v_add_u32_e32 v92, v19, v84
	v_add_u32_e32 v93, v19, v86
	;; [unrolled: 1-line block ×4, first 2 shown]
	v_mov_b32_e32 v62, v35
	v_mov_b32_e32 v64, v35
	;; [unrolled: 1-line block ×3, first 2 shown]
	s_waitcnt lgkmcnt(0)
	s_barrier
.LBB296_6:                              ; =>This Inner Loop Header: Depth=1
	s_add_i32 s57, s56, 1
	s_cmp_lt_i32 s57, s43
	s_mov_b64 s[24:25], 0
	s_cselect_b64 s[38:39], -1, 0
	s_cmp_ge_i32 s57, s43
	s_mov_b64 s[20:21], 0
	s_cbranch_scc1 .LBB296_8
; %bb.7:                                ;   in Loop: Header=BB296_6 Depth=1
	s_add_i32 s0, s50, 64
	s_ashr_i32 s1, s0, 31
	s_add_u32 s0, s47, s0
	s_addc_u32 s1, s46, s1
	s_lshl_b64 s[0:1], s[0:1], 8
	s_add_u32 s20, s6, s0
	s_addc_u32 s21, s7, s1
.LBB296_8:                              ;   in Loop: Header=BB296_6 Depth=1
	v_cndmask_b32_e64 v2, 0, 1, s[38:39]
	v_cmp_ne_u32_e64 s[0:1], 1, v2
	s_andn2_b64 vcc, exec, s[38:39]
	s_cbranch_vccnz .LBB296_10
; %bb.9:                                ;   in Loop: Header=BB296_6 Depth=1
	s_add_i32 s24, s50, 64
	s_mul_hi_i32 s25, s24, s14
	s_mul_i32 s24, s24, s14
	s_add_u32 s24, s24, s48
	s_addc_u32 s25, s25, s52
	s_lshl_b64 s[24:25], s[24:25], 8
	s_add_u32 s24, s4, s24
	s_addc_u32 s25, s5, s25
.LBB296_10:                             ;   in Loop: Header=BB296_6 Depth=1
	v_perm_b32 v3, v98, v74, s31
	v_perm_b32 v2, v72, v73, s31
	;; [unrolled: 1-line block ×4, first 2 shown]
	ds_write_b64 v54, v[2:3]
	ds_write_b64 v55, v[4:5]
	;; [unrolled: 1-line block ×4, first 2 shown]
	v_perm_b32 v3, v99, v67, s31
	v_perm_b32 v2, v65, v66, s31
	;; [unrolled: 1-line block ×4, first 2 shown]
	ds_write_b64 v56, v[2:3]
	ds_write_b64 v57, v[4:5]
	;; [unrolled: 1-line block ×4, first 2 shown]
	s_waitcnt lgkmcnt(0)
	s_barrier
	ds_read_b64 v[6:7], v71 offset:24576
	ds_read2_b64 v[2:5], v75 offset1:16
	ds_read_b64 v[10:11], v77 offset:3072
	ds_read_b64 v[12:13], v75 offset:3072
	;; [unrolled: 1-line block ×3, first 2 shown]
	s_waitcnt lgkmcnt(3)
	v_mfma_f32_16x16x16_bf16 a[0:3], v[6:7], v[2:3], 0
	s_add_i32 s27, s50, 63
	s_ashr_i32 s38, s27, 31
	s_mul_i32 s39, s27, s29
	v_mfma_f32_16x16x16_bf16 a[4:7], v[6:7], v[4:5], 0
	ds_read2st64_b64 v[2:5], v75 offset0:2 offset1:4
	s_mul_hi_u32 s58, s27, s28
	s_add_i32 s39, s58, s39
	s_waitcnt lgkmcnt(0)
	v_mfma_f32_16x16x16_bf16 a[0:3], v[14:15], v[2:3], a[0:3]
	ds_read2st64_b64 v[6:9], v77 offset0:2 offset1:4
	ds_read_b64 v[2:3], v78 offset:24576
	s_mul_i32 s38, s38, s28
	s_add_i32 s39, s39, s38
	s_waitcnt lgkmcnt(1)
	v_mfma_f32_16x16x16_bf16 a[4:7], v[14:15], v[6:7], a[4:7]
	ds_read_b64 v[6:7], v79 offset:24576
	s_mul_i32 s38, s27, s28
	s_lshl_b64 s[38:39], s[38:39], 2
	s_waitcnt lgkmcnt(1)
	v_mfma_f32_16x16x16_bf16 a[0:3], v[2:3], v[4:5], a[0:3]
	s_add_u32 s38, s2, s38
	s_addc_u32 s39, s3, s39
	s_and_b64 vcc, exec, s[0:1]
	v_mfma_f32_16x16x16_bf16 a[4:7], v[2:3], v[8:9], a[4:7]
	v_mov_b32_e32 v102, 0
	v_mov_b32_e32 v101, 0
	v_mov_b32_e32 v100, 0
	s_waitcnt lgkmcnt(0)
	v_mfma_f32_16x16x16_bf16 a[0:3], v[6:7], v[12:13], a[0:3]
	v_mov_b32_e32 v2, 0
	v_mov_b32_e32 v3, 0
	;; [unrolled: 1-line block ×3, first 2 shown]
	v_mfma_f32_16x16x16_bf16 a[4:7], v[6:7], v[10:11], a[4:7]
	v_mov_b32_e32 v5, 0
	v_mov_b32_e32 v6, 0
	;; [unrolled: 1-line block ×13, first 2 shown]
	s_cbranch_vccnz .LBB296_12
; %bb.11:                               ;   in Loop: Header=BB296_6 Depth=1
	s_and_b32 s21, s21, 0xffff
	buffer_load_dwordx4 v[14:17], v50, s[20:23], 0 offen
	buffer_load_dwordx4 v[10:13], v50, s[20:23], s53 offen
	;; [unrolled: 1-line block ×4, first 2 shown]
	v_mov_b32_e32 v101, v52
	v_mov_b32_e32 v100, v53
.LBB296_12:                             ;   in Loop: Header=BB296_6 Depth=1
	s_waitcnt vmcnt(4)
	ds_read_b64 v[22:23], v71 offset:32768
	s_waitcnt vmcnt(2)
	ds_read2_b64 v[18:21], v80 offset1:16
	ds_read_b64 v[26:27], v76 offset:32768
	ds_read_b64 v[28:29], v78 offset:32768
	;; [unrolled: 1-line block ×3, first 2 shown]
	v_add_u32_e32 v103, s50, v91
	s_waitcnt lgkmcnt(3)
	v_mfma_f32_16x16x16_bf16 a[0:3], v[22:23], v[18:19], a[0:3]
	v_mfma_f32_16x16x16_bf16 a[4:7], v[22:23], v[20:21], a[4:7]
	ds_read2st64_b64 v[18:21], v80 offset0:2 offset1:4
	ds_read2st64_b64 v[22:25], v81 offset0:2 offset1:4
	s_waitcnt lgkmcnt(1)
	v_mfma_f32_16x16x16_bf16 a[0:3], v[26:27], v[18:19], a[0:3]
	ds_read_b64 v[18:19], v80 offset:3072
	ds_read_b64 v[32:33], v81 offset:3072
	s_waitcnt lgkmcnt(2)
	v_mfma_f32_16x16x16_bf16 a[4:7], v[26:27], v[22:23], a[4:7]
	v_ashrrev_i32_e32 v22, 31, v103
	v_mul_lo_u32 v23, v103, s29
	v_mul_lo_u32 v22, v22, s28
	v_mfma_f32_16x16x16_bf16 a[0:3], v[28:29], v[20:21], a[0:3]
	v_mad_u64_u32 v[20:21], s[20:21], v103, s28, 0
	v_add3_u32 v21, v21, v23, v22
	v_add_u32_e32 v22, 1, v103
	v_ashrrev_i32_e32 v23, 31, v22
	v_mfma_f32_16x16x16_bf16 a[4:7], v[28:29], v[24:25], a[4:7]
	v_mul_lo_u32 v23, v23, s28
	v_mul_lo_u32 v24, v22, s29
	v_lshl_add_u64 v[20:21], v[20:21], 2, s[2:3]
	s_waitcnt lgkmcnt(1)
	v_mfma_f32_16x16x16_bf16 a[0:3], v[30:31], v[18:19], a[0:3]
	v_mad_u64_u32 v[18:19], s[20:21], v22, s28, 0
	v_add_u32_e32 v22, 2, v103
	v_add3_u32 v19, v19, v24, v23
	v_ashrrev_i32_e32 v23, 31, v22
	v_mul_lo_u32 v24, v23, s28
	v_mul_lo_u32 v25, v22, s29
	v_mad_u64_u32 v[22:23], s[20:21], v22, s28, 0
	v_add3_u32 v23, v23, v25, v24
	v_add_u32_e32 v24, 3, v103
	v_ashrrev_i32_e32 v25, 31, v24
	v_mul_lo_u32 v26, v25, s28
	v_mul_lo_u32 v27, v24, s29
	v_mad_u64_u32 v[24:25], s[20:21], v24, s28, 0
	v_add3_u32 v25, v25, v27, v26
	v_lshl_add_u64 v[24:25], v[24:25], 2, s[2:3]
	s_ashr_i32 s21, s50, 31
	v_lshl_add_u64 v[18:19], v[18:19], 2, s[2:3]
	v_lshl_add_u64 v[22:23], v[22:23], 2, s[2:3]
	global_load_dword v26, v[20:21], off
	global_load_dword v27, v[18:19], off
	;; [unrolled: 1-line block ×3, first 2 shown]
	s_nop 0
	global_load_dword v25, v[24:25], off
	s_add_u32 s20, s47, s50
	s_addc_u32 s21, s46, s21
	s_lshl_b64 s[20:21], s[20:21], 8
	v_lshl_add_u64 v[18:19], v[36:37], 0, s[20:21]
	v_lshl_add_u64 v[18:19], v[18:19], 0, v[34:35]
	global_load_ushort v29, v[18:19], off
	global_load_ushort v103, v[18:19], off offset:256
	global_load_ushort v104, v[18:19], off offset:800
	;; [unrolled: 1-line block ×7, first 2 shown]
	s_load_dword s20, s[38:39], 0x0
	s_waitcnt lgkmcnt(0)
	v_mfma_f32_16x16x16_bf16 a[4:7], v[30:31], v[32:33], a[4:7]
	v_accvgpr_read_b32 v23, a1
	v_accvgpr_read_b32 v19, a3
	;; [unrolled: 1-line block ×4, first 2 shown]
	s_and_b64 vcc, exec, s[0:1]
	s_waitcnt vmcnt(11)
	v_sub_f32_e32 v24, s20, v26
	s_waitcnt vmcnt(10)
	v_sub_f32_e32 v32, s20, v27
	;; [unrolled: 2-line block ×4, first 2 shown]
	v_exp_f32_e32 v24, v24
	v_exp_f32_e32 v25, v32
	;; [unrolled: 1-line block ×4, first 2 shown]
	s_waitcnt vmcnt(6)
	v_lshlrev_b32_e32 v27, 16, v103
	v_lshlrev_b32_e32 v26, 16, v29
	s_waitcnt vmcnt(4)
	v_lshlrev_b32_e32 v29, 16, v105
	s_waitcnt vmcnt(2)
	v_lshlrev_b32_e32 v28, 16, v107
	v_pk_add_f32 v[22:23], v[26:27], v[22:23] neg_lo:[0,1] neg_hi:[0,1]
	v_pk_add_f32 v[18:19], v[28:29], v[18:19] neg_lo:[0,1] neg_hi:[0,1]
	v_pk_mul_f32 v[22:23], v[24:25], v[22:23]
	v_pk_mul_f32 v[18:19], v[32:33], v[18:19]
	s_waitcnt vmcnt(1)
	v_lshlrev_b32_e32 v31, 16, v108
	v_perm_b32 v19, v19, v18, s31
	v_perm_b32 v18, v23, v22, s31
	v_accvgpr_read_b32 v23, a5
	s_waitcnt vmcnt(0)
	v_lshlrev_b32_e32 v30, 16, v109
	v_accvgpr_read_b32 v22, a4
	v_pk_add_f32 v[22:23], v[30:31], v[22:23] neg_lo:[0,1] neg_hi:[0,1]
	v_accvgpr_read_b32 v21, a7
	v_accvgpr_read_b32 v20, a6
	v_pk_mul_f32 v[22:23], v[24:25], v[22:23]
	v_lshlrev_b32_e32 v25, 16, v104
	v_lshlrev_b32_e32 v24, 16, v106
	v_pk_add_f32 v[20:21], v[24:25], v[20:21] neg_lo:[0,1] neg_hi:[0,1]
	v_mov_b32_e32 v103, 0
	v_pk_mul_f32 v[20:21], v[32:33], v[20:21]
	v_mov_b32_e32 v24, 0
	v_perm_b32 v21, v21, v20, s31
	v_perm_b32 v20, v23, v22, s31
	ds_write2_b64 v55, v[18:19], v[20:21] offset1:16
	v_mov_b32_e32 v18, 0
	v_mov_b32_e32 v19, 0
	;; [unrolled: 1-line block ×15, first 2 shown]
	s_cbranch_vccnz .LBB296_14
; %bb.13:                               ;   in Loop: Header=BB296_6 Depth=1
	s_and_b32 s25, s25, 0xffff
	s_mov_b32 s27, s23
	buffer_load_dwordx4 v[30:33], v89, s[24:27], 0 offen
	buffer_load_dwordx4 v[22:25], v89, s[24:27], s53 offen
	;; [unrolled: 1-line block ×4, first 2 shown]
	v_mov_b32_e32 v102, v49
	v_mov_b32_e32 v103, v48
.LBB296_14:                             ;   in Loop: Header=BB296_6 Depth=1
	s_waitcnt lgkmcnt(0)
	s_barrier
	ds_read_b64 v[108:109], v92
	ds_read_b64 v[116:117], v85
	ds_read_b64 v[112:113], v93
	ds_read_b64 v[118:119], v94
	ds_read_b64 v[120:121], v95
	ds_read_b64 v[122:123], v86 offset:16384
	ds_read_b64 v[124:125], v84 offset:16384
	ds_read2_b64 v[104:107], v80 offset0:16 offset1:128
	s_waitcnt lgkmcnt(6)
	v_mfma_f32_16x16x16_bf16 a[0:3], v[108:109], v[116:117], 0
	ds_read_b64 v[126:127], v81 offset:3072
	ds_read_b64 v[128:129], v88 offset:16384
	s_add_i32 s21, s45, s56
	s_waitcnt lgkmcnt(2)
	v_mfma_f32_16x16x16_bf16 a[4:7], v[108:109], v[104:105], 0
	ds_read2st64_b64 v[108:111], v81 offset0:2 offset1:4
	s_mul_hi_i32 s25, s21, s49
	s_mul_i32 s21, s21, s49
	v_mfma_f32_16x16x16_bf16 a[0:3], v[112:113], v[106:107], a[0:3]
	s_add_u32 s24, s21, s33
	s_addc_u32 s25, s25, s51
	s_lshl_b64 s[24:25], s[24:25], 15
	s_waitcnt lgkmcnt(0)
	v_mfma_f32_16x16x16_bf16 a[4:7], v[112:113], v[108:109], a[4:7]
	ds_read2st64_b64 v[112:115], v80 offset0:4 offset1:6
	s_waitcnt lgkmcnt(0)
	v_mfma_f32_16x16x16_bf16 a[0:3], v[118:119], v[112:113], a[0:3]
	v_mfma_f32_16x16x16_bf16 a[8:11], v[118:119], v[110:111], a[4:7]
	;; [unrolled: 1-line block ×5, first 2 shown]
	ds_read2st64_b64 v[116:119], v83 offset1:8
	v_mfma_f32_16x16x16_bf16 a[12:15], v[124:125], v[104:105], 0
	ds_read_b64 v[124:125], v87 offset:16384
	v_mfma_f32_16x16x16_bf16 a[8:11], v[122:123], v[106:107], a[8:11]
	ds_read2st64_b64 v[104:107], v82 offset1:8
	s_waitcnt lgkmcnt(0)
	v_mov_b32_e32 v120, v104
	v_mfma_f32_16x16x16_bf16 a[12:15], v[122:123], v[108:109], a[12:15]
	v_lshl_add_u64 v[108:109], v[38:39], 0, s[24:25]
	v_add_co_u32_e32 v104, vcc, s17, v108
	v_mfma_f32_16x16x16_bf16 a[8:11], v[124:125], v[112:113], a[8:11]
	v_mov_b32_e32 v121, v105
	v_addc_co_u32_e32 v105, vcc, 0, v109, vcc
	v_mfma_f32_16x16x16_bf16 a[16:19], v[124:125], v[110:111], a[12:15]
	v_mov_b32_e32 v122, v116
	v_mov_b32_e32 v123, v117
	;; [unrolled: 1-line block ×3, first 2 shown]
	v_mfma_f32_16x16x16_bf16 a[12:15], v[128:129], v[114:115], a[8:11]
	v_mov_b32_e32 v117, v107
	s_and_b64 vcc, exec, s[0:1]
	global_store_dwordx4 v[108:109], v[120:123], off
	v_mfma_f32_16x16x16_bf16 a[8:11], v[128:129], v[126:127], a[16:19]
	global_store_dwordx4 v[104:105], v[116:119], off
	s_cbranch_vccnz .LBB296_16
; %bb.15:                               ;   in Loop: Header=BB296_6 Depth=1
	v_lshrrev_b32_e32 v104, 3, v102
	v_and_b32_e32 v104, 6, v104
	v_xor_b32_e32 v103, v104, v103
	v_lshlrev_b32_e32 v103, 2, v103
	v_and_b32_e32 v102, 8, v102
	v_xor_b32_e32 v105, 0x440, v103
	v_cmp_eq_u32_e32 vcc, 0, v102
	s_barrier
	s_nop 0
	v_cndmask_b32_e32 v102, v105, v103, vcc
	v_lshl_or_b32 v102, v104, 10, v102
	s_waitcnt vmcnt(3)
	v_perm_b32 v103, v30, v26, s54
	s_waitcnt vmcnt(2)
	v_perm_b32 v104, v22, v18, s54
	ds_write2st64_b32 v102, v103, v104 offset0:32 offset1:64
	v_xor_b32_e32 v103, 8, v102
	v_perm_b32 v26, v30, v26, s55
	v_perm_b32 v18, v22, v18, s55
	v_add_u32_e32 v22, 0x80, v103
	ds_write2st64_b32 v22, v26, v18 offset0:32 offset1:64
	v_xor_b32_e32 v18, 16, v102
	v_perm_b32 v22, v31, v27, s54
	v_perm_b32 v26, v23, v19, s54
	ds_write2st64_b32 v18, v22, v26 offset0:33 offset1:65
	v_xor_b32_e32 v18, 24, v102
	v_perm_b32 v22, v31, v27, s55
	v_perm_b32 v19, v23, v19, s55
	v_add_u32_e32 v18, 0x80, v18
	ds_write2st64_b32 v18, v22, v19 offset0:33 offset1:65
	v_xor_b32_e32 v18, 32, v102
	v_perm_b32 v19, v32, v28, s54
	;; [unrolled: 9-line block ×3, first 2 shown]
	v_perm_b32 v20, v25, v21, s54
	ds_write2st64_b32 v18, v19, v20 offset0:35 offset1:67
	v_xor_b32_e32 v18, 56, v102
	v_perm_b32 v19, v33, v29, s55
	v_perm_b32 v20, v25, v21, s55
	v_add_u32_e32 v18, 0x80, v18
	ds_write2st64_b32 v18, v19, v20 offset0:35 offset1:67
	ds_write_b64 v101, v[14:15] offset:24576
	v_xor_b32_e32 v14, 8, v101
	ds_write_b64 v14, v[16:17] offset:24576
	ds_write_b64 v101, v[10:11] offset:32768
	;; [unrolled: 1-line block ×4, first 2 shown]
	v_xor_b32_e32 v6, 8, v100
	ds_write_b64 v6, v[8:9] offset:24576
	ds_write_b64 v100, v[2:3] offset:32768
	;; [unrolled: 1-line block ×3, first 2 shown]
.LBB296_16:                             ;   in Loop: Header=BB296_6 Depth=1
	v_exp_f32_e32 v2, s20
	v_accvgpr_read_b32 v3, a4
	v_accvgpr_read_b32 v4, a5
	;; [unrolled: 1-line block ×3, first 2 shown]
	v_fma_f32 v73, v73, v2, v3
	v_accvgpr_read_b32 v3, a6
	v_fma_f32 v74, v74, v2, v3
	v_accvgpr_read_b32 v3, a0
	;; [unrolled: 2-line block ×11, first 2 shown]
	v_accvgpr_read_b32 v6, a15
	v_fma_f32 v64, v64, v2, v3
	v_accvgpr_read_b32 v3, a11
	s_add_i32 s50, s50, 64
	v_fmac_f32_e32 v5, v98, v2
	v_fmac_f32_e32 v4, v99, v2
	v_fmac_f32_e32 v6, v96, v2
	s_cmp_eq_u32 s43, s57
	v_fmac_f32_e32 v3, v97, v2
	s_cbranch_scc1 .LBB296_18
; %bb.17:                               ;   in Loop: Header=BB296_6 Depth=1
	s_mov_b32 s56, s57
	v_mov_b32_e32 v98, v5
	v_mov_b32_e32 v96, v6
	;; [unrolled: 1-line block ×4, first 2 shown]
	s_branch .LBB296_6
.LBB296_18:
	s_lshl_b32 s0, s43, 6
	s_sub_i32 s44, s44, s0
	s_cmp_gt_i32 s44, 0
	s_cbranch_scc0 .LBB296_83
; %bb.19:
	s_add_i32 s34, s0, s34
	s_ashr_i32 s2, s34, 31
	s_cmpk_lg_i32 s15, 0x80
	s_cselect_b64 s[26:27], -1, 0
	s_and_b64 vcc, exec, s[26:27]
	s_cbranch_vccz .LBB296_21
; %bb.20:
	s_mul_i32 s1, s34, s14
	s_ashr_i32 s3, s48, 31
	s_mul_hi_i32 s0, s34, s14
	s_add_u32 s38, s1, s48
	s_addc_u32 s39, s0, s3
	s_cbranch_execz .LBB296_22
	s_branch .LBB296_23
.LBB296_21:
                                        ; implicit-def: $sgpr38_sgpr39
.LBB296_22:
	s_mul_i32 s1, s48, s12
	s_mul_hi_i32 s0, s48, s12
	s_add_u32 s38, s1, s34
	s_addc_u32 s39, s0, s2
.LBB296_23:
	s_add_i32 s3, s43, s45
	s_ashr_i32 s12, s33, 31
	s_add_u32 s0, s47, s34
	s_addc_u32 s1, s46, s2
	v_lshlrev_b32_e32 v10, 5, v46
	s_waitcnt vmcnt(4)
	v_lshlrev_b32_e32 v22, 2, v40
	s_mov_b32 s2, 0x7060302
	v_xor_b32_e32 v2, v46, v22
	v_perm_b32 v9, v5, v74, s2
	v_or_b32_e32 v5, v10, v22
	v_perm_b32 v8, v72, v73, s2
	v_perm_b32 v7, v6, v70, s2
	;; [unrolled: 1-line block ×3, first 2 shown]
	v_lshlrev_b32_e32 v5, 1, v5
	v_lshlrev_b32_e32 v12, 1, v2
	;; [unrolled: 1-line block ×3, first 2 shown]
	s_lshl_b64 s[24:25], s[0:1], 8
	v_xor_b32_e32 v11, v47, v22
	ds_write2st64_b64 v5, v[8:9], v[6:7] offset0:80 offset1:88
	v_or_b32_e32 v5, v12, v2
	s_add_u32 s0, s6, s24
	ds_write_b64 v5, v[8:9]
	v_lshlrev_b32_e32 v8, 1, v11
	s_addc_u32 s1, s7, s25
	v_or_b32_e32 v2, v8, v2
	s_mul_hi_i32 s6, s3, s13
	s_mul_i32 s3, s3, s13
	ds_write_b64 v2, v[6:7]
	v_perm_b32 v5, v4, v67, s2
	v_perm_b32 v4, v65, v66, s2
	;; [unrolled: 1-line block ×4, first 2 shown]
	v_or_b32_e32 v6, 16, v40
	s_add_u32 s2, s3, s33
	s_waitcnt vmcnt(2)
	v_lshlrev_b32_e32 v19, 2, v6
	s_addc_u32 s3, s6, s12
	v_or_b32_e32 v7, v10, v19
	s_ashr_i32 s31, s30, 31
	s_lshl_b64 s[2:3], s[2:3], 15
	v_lshlrev_b32_e32 v7, 1, v7
	v_lshlrev_b32_e32 v6, 8, v6
	s_add_u32 s6, s36, s2
	ds_write2st64_b64 v7, v[4:5], v[2:3] offset0:80 offset1:88
	v_or_b32_e32 v7, v12, v6
	s_addc_u32 s7, s37, s3
	s_lshl_b64 s[2:3], s[30:31], 8
	ds_write_b64 v7, v[4:5]
	v_or_b32_e32 v4, v8, v6
	s_add_u32 s2, s6, s2
	ds_write_b64 v4, v[2:3]
	v_lshrrev_b32_e32 v2, 4, v0
	s_addc_u32 s3, s7, s3
	v_lshlrev_b32_e32 v3, 1, v40
	v_lshlrev_b32_e32 v10, 4, v40
	v_mov_b32_e32 v11, 0
	v_or_b32_e32 v4, 1, v3
	v_xor_b32_e32 v3, v2, v3
	v_lshl_add_u64 v[12:13], s[2:3], 0, v[10:11]
	v_lshlrev_b32_e32 v10, 8, v2
	v_xor_b32_e32 v6, v4, v2
	v_lshl_or_b32 v2, v3, 3, v10
	s_waitcnt lgkmcnt(0)
	s_barrier
	ds_read2st64_b64 v[2:5], v2 offset1:8
	v_lshl_or_b32 v6, v6, 3, v10
	ds_read2st64_b64 v[6:9], v6 offset1:8
	v_lshl_add_u64 v[14:15], v[12:13], 0, v[10:11]
	s_movk_i32 s2, 0x1000
	s_waitcnt lgkmcnt(1)
	v_mov_b32_e32 v10, v2
	v_add_co_u32_e32 v2, vcc, s2, v14
	s_cmp_lg_u32 s44, 64
	v_mov_b32_e32 v11, v3
	v_addc_co_u32_e32 v3, vcc, 0, v15, vcc
	s_cselect_b64 s[6:7], -1, 0
	v_lshl_or_b32 v23, v42, 3, v45
	s_waitcnt lgkmcnt(0)
	v_mov_b32_e32 v12, v6
	v_mov_b32_e32 v13, v7
	;; [unrolled: 1-line block ×4, first 2 shown]
	s_mov_b32 s20, 0
	v_or_b32_e32 v20, 32, v23
	v_and_b32_e32 v18, 56, v44
	s_and_b64 vcc, exec, s[6:7]
	global_store_dwordx4 v[14:15], v[10:13], off
	global_store_dwordx4 v[2:3], v[6:9], off
	s_cbranch_vccz .LBB296_29
; %bb.24:
	s_mov_b32 s21, s20
	s_mov_b32 s22, s20
	;; [unrolled: 1-line block ×3, first 2 shown]
	v_mov_b64_e32 v[6:7], s[20:21]
	v_mov_b64_e32 v[8:9], s[22:23]
	;; [unrolled: 1-line block ×3, first 2 shown]
	v_cmp_gt_i32_e32 vcc, s44, v23
	v_mov_b64_e32 v[4:5], v[8:9]
	s_and_saveexec_b64 s[2:3], vcc
	s_cbranch_execz .LBB296_26
; %bb.25:
	v_lshlrev_b32_e32 v2, 8, v23
	v_mov_b32_e32 v3, 0
	v_lshl_add_u64 v[4:5], s[0:1], 0, v[2:3]
	v_lshlrev_b32_e32 v2, 1, v18
	v_lshl_add_u64 v[10:11], v[4:5], 0, v[2:3]
	global_load_dwordx4 v[6:9], v[10:11], off
	global_load_dwordx4 v[2:5], v[10:11], off offset:128
.LBB296_26:
	s_or_b64 exec, exec, s[2:3]
	s_mov_b32 s21, s20
	s_mov_b32 s22, s20
	;; [unrolled: 1-line block ×3, first 2 shown]
	v_mov_b64_e32 v[14:15], s[20:21]
	v_mov_b64_e32 v[16:17], s[22:23]
	;; [unrolled: 1-line block ×3, first 2 shown]
	v_cmp_gt_i32_e32 vcc, s44, v20
	v_lshlrev_b32_e32 v21, 7, v20
	v_mov_b64_e32 v[12:13], v[16:17]
	s_and_saveexec_b64 s[2:3], vcc
	s_cbranch_execz .LBB296_28
; %bb.27:
	v_lshlrev_b32_e32 v10, 1, v21
	v_mov_b32_e32 v11, 0
	v_lshl_add_u64 v[12:13], s[0:1], 0, v[10:11]
	v_lshlrev_b32_e32 v10, 1, v18
	v_lshl_add_u64 v[24:25], v[12:13], 0, v[10:11]
	global_load_dwordx4 v[14:17], v[24:25], off
	global_load_dwordx4 v[10:13], v[24:25], off offset:128
.LBB296_28:
	s_or_b64 exec, exec, s[2:3]
	v_lshrrev_b32_e32 v24, 3, v18
	v_lshlrev_b32_e32 v25, 3, v23
	v_or_b32_e32 v24, v25, v24
	v_lshlrev_b32_e32 v24, 4, v24
	v_and_b32_e32 v25, 0x78, v25
	v_xor_b32_e32 v24, v24, v25
	s_branch .LBB296_31
.LBB296_29:
                                        ; implicit-def: $vgpr24
                                        ; implicit-def: $vgpr21
                                        ; implicit-def: $vgpr6_vgpr7_vgpr8_vgpr9
                                        ; implicit-def: $vgpr2_vgpr3_vgpr4_vgpr5
                                        ; implicit-def: $vgpr14_vgpr15_vgpr16_vgpr17
                                        ; implicit-def: $vgpr10_vgpr11_vgpr12_vgpr13
	s_cbranch_execz .LBB296_31
; %bb.30:
	s_waitcnt vmcnt(0)
	v_lshlrev_b32_e32 v2, 1, v18
	v_lshl_or_b32 v21, v23, 8, v2
	s_and_b32 s1, s1, 0xffff
	s_mov_b32 s3, 0x20000
	s_movk_i32 s2, 0x4000
	v_lshl_or_b32 v24, v20, 8, v2
	s_movk_i32 s13, 0x80
	buffer_load_dwordx4 v[6:9], v21, s[0:3], 0 offen
	buffer_load_dwordx4 v[2:5], v21, s[0:3], s13 offen
	;; [unrolled: 1-line block ×4, first 2 shown]
	v_lshrrev_b32_e32 v21, 3, v18
	v_lshlrev_b32_e32 v24, 3, v23
	v_or_b32_e32 v21, v24, v21
	v_lshlrev_b32_e32 v21, 4, v21
	v_and_b32_e32 v24, 0x78, v24
	v_xor_b32_e32 v24, v21, v24
	v_lshlrev_b32_e32 v21, 7, v20
.LBB296_31:
	s_lshl_b64 s[0:1], s[38:39], 8
	s_add_u32 s4, s4, s0
	s_movk_i32 s0, 0x1000
	v_and_or_b32 v20, v21, s0, v24
	s_waitcnt vmcnt(1)
	ds_write_b64 v24, v[6:7] offset:24576
	v_xor_b32_e32 v6, 8, v24
	ds_write_b64 v6, v[8:9] offset:24576
	s_waitcnt vmcnt(0)
	ds_write_b64 v24, v[2:3] offset:32768
	ds_write_b64 v6, v[4:5] offset:32768
	;; [unrolled: 1-line block ×3, first 2 shown]
	v_xor_b32_e32 v2, 8, v20
	ds_write_b64 v2, v[16:17] offset:24576
	ds_write_b64 v20, v[10:11] offset:32768
	;; [unrolled: 1-line block ×3, first 2 shown]
	v_or_b32_e32 v2, v1, v40
	v_lshlrev_b32_e32 v3, 11, v42
	v_lshlrev_b32_e32 v2, 3, v2
	v_and_b32_e32 v6, 0x1000, v3
	v_lshrrev_b32_e32 v3, 5, v41
	s_movk_i32 s13, 0xf8
	v_and_or_b32 v3, v2, s13, v3
	v_lshlrev_b32_e32 v7, 4, v3
	v_and_b32_e32 v8, 0x78, v2
	v_or_b32_e32 v10, 32, v7
	v_lshrrev_b32_e32 v3, 1, v41
	v_xor_b32_e32 v10, v10, v8
	v_xor_b32_e32 v2, v7, v8
	v_and_b32_e32 v9, 8, v3
	v_or_b32_e32 v10, v10, v6
	v_or_b32_e32 v2, v2, v6
	v_xor_b32_e32 v26, v10, v9
	v_or_b32_e32 v10, 64, v7
	v_xor_b32_e32 v25, v2, v9
	v_xor_b32_e32 v10, v10, v8
	s_waitcnt lgkmcnt(0)
	s_barrier
	v_or_b32_e32 v12, v10, v6
	ds_read_b64 v[10:11], v25 offset:24576
	v_lshl_or_b32 v20, v43, 7, v22
	v_lshlrev_b32_e32 v24, 1, v20
	v_add_u32_e32 v2, 0xa000, v24
	ds_read2_b64 v[2:5], v2 offset1:16
	v_or_b32_e32 v7, 0x60, v7
	v_xor_b32_e32 v7, v7, v8
	s_waitcnt lgkmcnt(0)
	v_mfma_f32_16x16x16_bf16 a[0:3], v[10:11], v[2:3], 0
	v_or_b32_e32 v2, 64, v20
	v_or_b32_e32 v6, v7, v6
	v_lshlrev_b32_e32 v29, 1, v2
	v_xor_b32_e32 v27, v12, v9
	v_xor_b32_e32 v28, v6, v9
	ds_read_b64 v[12:13], v26 offset:24576
	ds_read_b64 v[14:15], v27 offset:24576
	ds_read_b64 v[16:17], v28 offset:24576
	v_mfma_f32_16x16x16_bf16 a[4:7], v[10:11], v[4:5], 0
	ds_read2st64_b64 v[2:5], v29 offset0:82 offset1:84
	ds_read2st64_b64 v[6:9], v24 offset0:82 offset1:84
	s_addc_u32 s5, s5, s1
	s_add_i32 s0, s41, s40
	s_add_i32 s2, s35, -1
	s_add_i32 s17, s0, s42
	s_mul_i32 s0, s33, s19
	s_mul_hi_u32 s1, s33, s18
	s_add_i32 s0, s1, s0
	s_mul_i32 s1, s12, s18
	s_ashr_i32 s3, s2, 31
	s_mul_i32 s12, s2, s29
	s_mul_hi_u32 s13, s2, s28
	s_add_i32 s12, s13, s12
	s_mul_i32 s3, s3, s28
	s_waitcnt lgkmcnt(1)
	v_mfma_f32_16x16x16_bf16 a[4:7], v[12:13], v[2:3], a[4:7]
	s_add_i32 s1, s0, s1
	s_add_i32 s3, s12, s3
	s_lshl_b64 s[12:13], s[16:17], 2
	s_waitcnt lgkmcnt(0)
	v_mfma_f32_16x16x16_bf16 a[0:3], v[12:13], v[6:7], a[0:3]
	s_mul_i32 s0, s33, s18
	s_add_u32 s10, s10, s12
	s_addc_u32 s11, s11, s13
	s_lshl_b64 s[0:1], s[0:1], 2
	s_mul_i32 s2, s2, s28
	s_add_u32 s10, s10, s0
	ds_read_b64 v[2:3], v24 offset:44032
	v_mfma_f32_16x16x16_bf16 a[4:7], v[14:15], v[4:5], a[4:7]
	ds_read_b64 v[4:5], v29 offset:44032
	s_addc_u32 s11, s11, s1
	s_lshl_b64 s[0:1], s[2:3], 2
	v_mfma_f32_16x16x16_bf16 a[0:3], v[14:15], v[8:9], a[0:3]
	s_add_u32 s0, s10, s0
	s_addc_u32 s1, s11, s1
	s_load_dword s12, s[0:1], 0x0
	s_waitcnt lgkmcnt(0)
	v_mfma_f32_16x16x16_bf16 a[0:3], v[16:17], v[2:3], a[0:3]
	s_and_b64 vcc, exec, s[26:27]
	v_mfma_f32_16x16x16_bf16 a[4:7], v[16:17], v[4:5], a[4:7]
	s_cbranch_vccz .LBB296_42
; %bb.32:
	v_lshlrev_b32_e32 v20, 1, v23
	s_and_b64 vcc, exec, s[6:7]
	s_cbranch_vccz .LBB296_43
; %bb.33:
	v_cmp_gt_i32_e32 vcc, s44, v20
	v_mov_b32_e32 v6, 0
	v_mov_b32_e32 v2, 0
	;; [unrolled: 1-line block ×5, first 2 shown]
	s_and_saveexec_b64 s[0:1], vcc
	s_cbranch_execz .LBB296_35
; %bb.34:
	v_mad_i64_i32 v[2:3], s[2:3], s15, v20, 0
	v_lshl_add_u64 v[2:3], v[2:3], 1, s[4:5]
	v_lshlrev_b32_e32 v4, 1, v18
	v_mov_b32_e32 v5, 0
	v_lshl_add_u64 v[2:3], v[2:3], 0, v[4:5]
	global_load_dwordx4 v[2:5], v[2:3], off
.LBB296_35:
	s_or_b64 exec, exec, s[0:1]
	v_or_b32_e32 v21, 1, v20
	v_cmp_gt_i32_e64 s[0:1], s44, v21
	v_mov_b32_e32 v7, 0
	v_mov_b32_e32 v8, 0
	;; [unrolled: 1-line block ×3, first 2 shown]
	s_and_saveexec_b64 s[2:3], s[0:1]
	s_cbranch_execz .LBB296_37
; %bb.36:
	v_mad_i64_i32 v[6:7], s[16:17], s15, v21, 0
	v_lshl_add_u64 v[6:7], v[6:7], 1, s[4:5]
	v_lshlrev_b32_e32 v8, 1, v18
	v_mov_b32_e32 v9, 0
	v_lshl_add_u64 v[6:7], v[6:7], 0, v[8:9]
	global_load_dwordx4 v[6:9], v[6:7], off
.LBB296_37:
	s_or_b64 exec, exec, s[2:3]
	v_mov_b32_e32 v17, 0
	v_mov_b32_e32 v10, 0
	;; [unrolled: 1-line block ×5, first 2 shown]
	s_and_saveexec_b64 s[2:3], vcc
	s_cbranch_execz .LBB296_39
; %bb.38:
	v_mad_i64_i32 v[10:11], s[16:17], s15, v20, 0
	v_lshl_add_u64 v[10:11], v[10:11], 1, s[4:5]
	v_lshlrev_b32_e32 v12, 1, v18
	v_mov_b32_e32 v13, 0
	v_lshl_add_u64 v[10:11], v[10:11], 0, v[12:13]
	global_load_dwordx4 v[10:13], v[10:11], off offset:128
.LBB296_39:
	s_or_b64 exec, exec, s[2:3]
	v_mov_b32_e32 v16, 0
	v_mov_b32_e32 v15, 0
	v_mov_b32_e32 v14, 0
	s_and_saveexec_b64 s[2:3], s[0:1]
	s_cbranch_execz .LBB296_41
; %bb.40:
	v_mad_i64_i32 v[14:15], s[0:1], s15, v21, 0
	v_lshl_add_u64 v[14:15], v[14:15], 1, s[4:5]
	v_lshlrev_b32_e32 v16, 1, v18
	v_mov_b32_e32 v17, 0
	v_lshl_add_u64 v[14:15], v[14:15], 0, v[16:17]
	global_load_dwordx4 v[14:17], v[14:15], off offset:128
.LBB296_41:
	s_or_b64 exec, exec, s[2:3]
	s_branch .LBB296_45
.LBB296_42:
                                        ; implicit-def: $vgpr5
                                        ; implicit-def: $vgpr9
                                        ; implicit-def: $vgpr13
                                        ; implicit-def: $vgpr17
	v_lshrrev_b32_e32 v30, 2, v41
	s_branch .LBB296_46
.LBB296_43:
                                        ; implicit-def: $vgpr5
                                        ; implicit-def: $vgpr9
                                        ; implicit-def: $vgpr13
                                        ; implicit-def: $vgpr17
	s_cbranch_execz .LBB296_45
; %bb.44:
	s_waitcnt vmcnt(0)
	v_mad_u64_u32 v[2:3], s[0:1], v20, s15, v[18:19]
	v_lshlrev_b32_e32 v20, 1, v2
	s_lshl_b32 s2, s15, 7
	s_and_b32 s1, s5, 0xffff
	s_mov_b32 s3, 0x20000
	s_mov_b32 s0, s4
	v_add_lshl_u32 v21, v2, s15, 1
	s_movk_i32 s13, 0x80
	buffer_load_dwordx4 v[2:5], v20, s[0:3], 0 offen
	buffer_load_dwordx4 v[10:13], v20, s[0:3], s13 offen
	;; [unrolled: 1-line block ×4, first 2 shown]
.LBB296_45:
	v_lshrrev_b32_e32 v30, 2, v41
	s_cbranch_execnz .LBB296_58
.LBB296_46:
	s_and_b64 vcc, exec, s[6:7]
	s_cbranch_vccz .LBB296_56
; %bb.47:
	s_waitcnt vmcnt(0)
	v_lshlrev_b32_e32 v7, 1, v23
	v_cmp_gt_i32_e32 vcc, s44, v7
	v_mov_b32_e32 v6, 0
	v_lshlrev_b32_e32 v14, 9, v23
	v_mov_b32_e32 v2, 0
	v_mov_b32_e32 v3, 0
	;; [unrolled: 1-line block ×4, first 2 shown]
	s_and_saveexec_b64 s[0:1], vcc
	s_cbranch_execz .LBB296_49
; %bb.48:
	v_mov_b32_e32 v15, 0
	v_lshl_add_u64 v[2:3], s[4:5], 0, v[14:15]
	v_lshlrev_b32_e32 v4, 1, v18
	v_mov_b32_e32 v5, v15
	v_lshl_add_u64 v[2:3], v[2:3], 0, v[4:5]
	global_load_dwordx4 v[2:5], v[2:3], off
.LBB296_49:
	s_or_b64 exec, exec, s[0:1]
	v_or_b32_e32 v7, 1, v7
	v_cmp_gt_i32_e64 s[0:1], s44, v7
	v_lshlrev_b32_e32 v20, 8, v7
	v_mov_b32_e32 v7, 0
	v_mov_b32_e32 v8, 0
	;; [unrolled: 1-line block ×3, first 2 shown]
	s_and_saveexec_b64 s[2:3], s[0:1]
	s_cbranch_execz .LBB296_51
; %bb.50:
	v_mov_b32_e32 v21, 0
	v_lshl_add_u64 v[6:7], s[4:5], 0, v[20:21]
	v_lshlrev_b32_e32 v8, 1, v18
	v_mov_b32_e32 v9, v21
	v_lshl_add_u64 v[6:7], v[6:7], 0, v[8:9]
	global_load_dwordx4 v[6:9], v[6:7], off
.LBB296_51:
	s_or_b64 exec, exec, s[2:3]
	v_mov_b32_e32 v17, 0
	v_mov_b32_e32 v10, 0
	v_mov_b32_e32 v11, 0
	v_mov_b32_e32 v12, 0
	v_mov_b32_e32 v13, 0
	s_and_saveexec_b64 s[2:3], vcc
	s_cbranch_execz .LBB296_53
; %bb.52:
	v_mov_b32_e32 v15, 0
	v_lshl_add_u64 v[10:11], s[4:5], 0, v[14:15]
	v_lshlrev_b32_e32 v14, 1, v18
	v_lshl_add_u64 v[10:11], v[10:11], 0, v[14:15]
	global_load_dwordx4 v[10:13], v[10:11], off offset:128
.LBB296_53:
	s_or_b64 exec, exec, s[2:3]
	v_mov_b32_e32 v16, 0
	v_mov_b32_e32 v15, 0
	;; [unrolled: 1-line block ×3, first 2 shown]
	s_and_saveexec_b64 s[2:3], s[0:1]
	s_cbranch_execz .LBB296_55
; %bb.54:
	v_mov_b32_e32 v21, 0
	v_lshl_add_u64 v[14:15], s[4:5], 0, v[20:21]
	v_lshlrev_b32_e32 v20, 1, v18
	v_lshl_add_u64 v[14:15], v[14:15], 0, v[20:21]
	global_load_dwordx4 v[14:17], v[14:15], off offset:128
.LBB296_55:
	s_or_b64 exec, exec, s[2:3]
	s_branch .LBB296_58
.LBB296_56:
                                        ; implicit-def: $vgpr5
                                        ; implicit-def: $vgpr9
                                        ; implicit-def: $vgpr13
                                        ; implicit-def: $vgpr17
	s_cbranch_execz .LBB296_58
; %bb.57:
	s_waitcnt vmcnt(0)
	v_lshlrev_b32_e32 v2, 1, v18
	v_lshl_or_b32 v18, v23, 9, v2
	s_and_b32 s5, s5, 0xffff
	s_mov_b32 s7, 0x20000
	s_movk_i32 s6, 0x4000
	s_movk_i32 s0, 0x80
	buffer_load_dwordx4 v[2:5], v18, s[4:7], 0 offen
	buffer_load_dwordx4 v[6:9], v18, s[4:7], 0 offen offset:256
	buffer_load_dwordx4 v[10:13], v18, s[4:7], s0 offen
	buffer_load_dwordx4 v[14:17], v18, s[4:7], s0 offen offset:256
.LBB296_58:
	ds_read_b64 v[20:21], v25 offset:32768
	v_add_u32_e32 v18, 0xb000, v24
	ds_read2_b64 v[32:35], v18 offset1:16
	ds_read_b64 v[42:43], v26 offset:32768
	ds_read_b64 v[26:27], v27 offset:32768
	;; [unrolled: 1-line block ×3, first 2 shown]
	v_and_b32_e32 v18, 6, v0
	v_xor_b32_e32 v23, v23, v18
	v_lshlrev_b32_e32 v23, 2, v23
	v_and_b32_e32 v0, 1, v0
	v_xor_b32_e32 v28, 0x440, v23
	v_cmp_eq_u32_e32 vcc, 0, v0
	s_waitcnt lgkmcnt(3)
	v_mfma_f32_16x16x16_bf16 a[0:3], v[20:21], v[32:33], a[0:3]
	s_mov_b32 s0, 0x1000504
	v_cndmask_b32_e32 v0, v28, v23, vcc
	v_lshl_or_b32 v0, v18, 10, v0
	v_mfma_f32_16x16x16_bf16 a[4:7], v[20:21], v[34:35], a[4:7]
	ds_read2st64_b64 v[32:35], v24 offset0:90 offset1:92
	ds_read2st64_b64 v[36:39], v29 offset0:90 offset1:92
	ds_read_b64 v[20:21], v24 offset:48128
	ds_read_b64 v[24:25], v29 offset:48128
	s_waitcnt vmcnt(0)
	v_perm_b32 v18, v2, v6, s0
	s_waitcnt lgkmcnt(3)
	v_mfma_f32_16x16x16_bf16 a[0:3], v[42:43], v[32:33], a[0:3]
	s_mov_b32 s1, 0x3020706
	v_perm_b32 v2, v2, v6, s1
	v_perm_b32 v6, v10, v14, s1
	s_waitcnt lgkmcnt(2)
	v_mfma_f32_16x16x16_bf16 a[4:7], v[42:43], v[36:37], a[4:7]
	v_mfma_f32_16x16x16_bf16 a[0:3], v[26:27], v[34:35], a[0:3]
	v_mfma_f32_16x16x16_bf16 a[8:11], v[26:27], v[38:39], a[4:7]
	s_waitcnt lgkmcnt(1)
	v_mfma_f32_16x16x16_bf16 a[4:7], v[44:45], v[20:21], a[0:3]
	v_perm_b32 v20, v10, v14, s0
	ds_write2st64_b32 v0, v18, v20 offset0:32 offset1:64
	v_xor_b32_e32 v18, 8, v0
	v_add_u32_e32 v10, 0x80, v18
	ds_write2st64_b32 v10, v2, v6 offset0:32 offset1:64
	v_xor_b32_e32 v2, 16, v0
	v_perm_b32 v6, v3, v7, s0
	v_perm_b32 v10, v11, v15, s0
	ds_write2st64_b32 v2, v6, v10 offset0:33 offset1:65
	v_xor_b32_e32 v2, 24, v0
	v_perm_b32 v3, v3, v7, s1
	v_perm_b32 v6, v11, v15, s1
	v_add_u32_e32 v2, 0x80, v2
	ds_write2st64_b32 v2, v3, v6 offset0:33 offset1:65
	v_xor_b32_e32 v2, 32, v0
	v_perm_b32 v3, v4, v8, s0
	v_perm_b32 v6, v12, v16, s0
	s_waitcnt lgkmcnt(4)
	v_mfma_f32_16x16x16_bf16 a[0:3], v[44:45], v[24:25], a[8:11]
	ds_write2st64_b32 v2, v3, v6 offset0:34 offset1:66
	v_xor_b32_e32 v2, 40, v0
	v_perm_b32 v3, v4, v8, s1
	v_perm_b32 v4, v12, v16, s1
	v_add_u32_e32 v2, 0x80, v2
	ds_write2st64_b32 v2, v3, v4 offset0:34 offset1:66
	v_xor_b32_e32 v2, 48, v0
	v_perm_b32 v3, v5, v9, s0
	v_perm_b32 v4, v13, v17, s0
	v_xor_b32_e32 v0, 56, v0
	v_and_or_b32 v18, v30, 12, v1
	ds_write2st64_b32 v2, v3, v4 offset0:35 offset1:67
	v_perm_b32 v2, v5, v9, s1
	v_perm_b32 v3, v13, v17, s1
	v_add_u32_e32 v0, 0x80, v0
	v_cmp_gt_i32_e32 vcc, s44, v18
	v_mov_b32_e32 v14, 0
	v_mov_b32_e32 v16, 0
	ds_write2st64_b32 v0, v2, v3 offset0:35 offset1:67
	s_and_saveexec_b64 s[0:1], vcc
	s_cbranch_execz .LBB296_60
; %bb.59:
	v_add_u32_e32 v0, s34, v18
	v_ashrrev_i32_e32 v1, 31, v0
	v_mul_lo_u32 v2, v1, s28
	v_mul_lo_u32 v3, v0, s29
	v_mad_u64_u32 v[0:1], s[2:3], v0, s28, 0
	v_add3_u32 v1, v1, v3, v2
	v_lshl_add_u64 v[0:1], v[0:1], 2, s[10:11]
	global_load_dword v0, v[0:1], off
	s_waitcnt vmcnt(0)
	v_sub_f32_e32 v0, s12, v0
	v_exp_f32_e32 v16, v0
.LBB296_60:
	s_or_b64 exec, exec, s[0:1]
	v_or_b32_e32 v8, 1, v18
	v_cmp_gt_i32_e64 s[0:1], s44, v8
	s_and_saveexec_b64 s[2:3], s[0:1]
	s_cbranch_execz .LBB296_62
; %bb.61:
	v_add_u32_e32 v0, s34, v8
	v_ashrrev_i32_e32 v1, 31, v0
	v_mul_lo_u32 v2, v1, s28
	v_mul_lo_u32 v3, v0, s29
	v_mad_u64_u32 v[0:1], s[4:5], v0, s28, 0
	v_add3_u32 v1, v1, v3, v2
	v_lshl_add_u64 v[0:1], v[0:1], 2, s[10:11]
	global_load_dword v0, v[0:1], off
	s_waitcnt vmcnt(0)
	v_sub_f32_e32 v0, s12, v0
	v_exp_f32_e32 v14, v0
.LBB296_62:
	s_or_b64 exec, exec, s[2:3]
	v_or_b32_e32 v10, 2, v18
	v_cmp_gt_i32_e64 s[2:3], s44, v10
	v_mov_b32_e32 v15, 0
	v_mov_b32_e32 v17, 0
	s_and_saveexec_b64 s[4:5], s[2:3]
	s_cbranch_execz .LBB296_64
; %bb.63:
	v_add_u32_e32 v0, s34, v10
	v_ashrrev_i32_e32 v1, 31, v0
	v_mul_lo_u32 v2, v1, s28
	v_mul_lo_u32 v3, v0, s29
	v_mad_u64_u32 v[0:1], s[6:7], v0, s28, 0
	v_add3_u32 v1, v1, v3, v2
	v_lshl_add_u64 v[0:1], v[0:1], 2, s[10:11]
	global_load_dword v0, v[0:1], off
	s_waitcnt vmcnt(0)
	v_sub_f32_e32 v0, s12, v0
	v_exp_f32_e32 v17, v0
.LBB296_64:
	s_or_b64 exec, exec, s[4:5]
	v_or_b32_e32 v12, 3, v18
	v_cmp_gt_i32_e64 s[4:5], s44, v12
	s_and_saveexec_b64 s[6:7], s[4:5]
	s_cbranch_execz .LBB296_66
; %bb.65:
	v_add_u32_e32 v0, s34, v12
	v_ashrrev_i32_e32 v1, 31, v0
	v_mul_lo_u32 v2, v1, s28
	v_mul_lo_u32 v3, v0, s29
	v_mad_u64_u32 v[0:1], s[14:15], v0, s28, 0
	v_add3_u32 v1, v1, v3, v2
	v_lshl_add_u64 v[0:1], v[0:1], 2, s[10:11]
	global_load_dword v0, v[0:1], off
	s_waitcnt vmcnt(0)
	v_sub_f32_e32 v0, s12, v0
	v_exp_f32_e32 v15, v0
.LBB296_66:
	s_or_b64 exec, exec, s[6:7]
	v_or_b32_e32 v4, s30, v40
	s_add_u32 s6, s8, s24
	v_accvgpr_read_b32 v0, a4
	s_addc_u32 s7, s9, s25
	v_ashrrev_i32_e32 v5, 31, v4
	v_accvgpr_read_b32 v1, a5
	v_accvgpr_read_b32 v2, a6
	;; [unrolled: 1-line block ×3, first 2 shown]
	v_lshl_add_u64 v[4:5], v[4:5], 1, s[6:7]
	v_mov_b32_e32 v9, 0
	v_lshlrev_b32_e32 v6, 8, v18
	v_mov_b32_e32 v7, 0
	s_and_saveexec_b64 s[6:7], vcc
	s_cbranch_execz .LBB296_68
; %bb.67:
	v_mov_b32_e32 v7, 0
	v_lshl_add_u64 v[20:21], v[4:5], 0, v[6:7]
	global_load_ushort v7, v[20:21], off
	s_waitcnt vmcnt(0)
	v_lshlrev_b32_e32 v7, 16, v7
	v_sub_f32_e32 v0, v7, v0
	v_mul_f32_e32 v0, v16, v0
	v_lshrrev_b32_e32 v7, 16, v0
.LBB296_68:
	s_or_b64 exec, exec, s[6:7]
	v_lshlrev_b32_e32 v8, 8, v8
	s_and_saveexec_b64 s[6:7], s[0:1]
	s_cbranch_execz .LBB296_70
; %bb.69:
	v_mov_b32_e32 v9, 0
	v_lshl_add_u64 v[20:21], v[4:5], 0, v[8:9]
	global_load_ushort v0, v[20:21], off
	s_waitcnt vmcnt(0)
	v_lshlrev_b32_e32 v0, 16, v0
	v_sub_f32_e32 v0, v0, v1
	v_mul_f32_e32 v0, v14, v0
	v_lshrrev_b32_e32 v9, 16, v0
.LBB296_70:
	s_or_b64 exec, exec, s[6:7]
	v_mov_b32_e32 v13, 0
	v_lshlrev_b32_e32 v10, 8, v10
	v_mov_b32_e32 v11, 0
	s_and_saveexec_b64 s[6:7], s[2:3]
	s_cbranch_execz .LBB296_72
; %bb.71:
	v_mov_b32_e32 v11, 0
	v_lshl_add_u64 v[0:1], v[4:5], 0, v[10:11]
	global_load_ushort v0, v[0:1], off
	s_waitcnt vmcnt(0)
	v_lshlrev_b32_e32 v0, 16, v0
	v_sub_f32_e32 v0, v0, v2
	v_mul_f32_e32 v0, v17, v0
	v_lshrrev_b32_e32 v11, 16, v0
.LBB296_72:
	s_or_b64 exec, exec, s[6:7]
	v_lshlrev_b32_e32 v12, 8, v12
	s_and_saveexec_b64 s[6:7], s[4:5]
	s_cbranch_execz .LBB296_74
; %bb.73:
	v_mov_b32_e32 v13, 0
	v_lshl_add_u64 v[0:1], v[4:5], 0, v[12:13]
	global_load_ushort v0, v[0:1], off
	s_waitcnt vmcnt(0)
	v_lshlrev_b32_e32 v0, 16, v0
	v_sub_f32_e32 v0, v0, v3
	v_mul_f32_e32 v0, v15, v0
	v_lshrrev_b32_e32 v13, 16, v0
.LBB296_74:
	s_or_b64 exec, exec, s[6:7]
	v_lshlrev_b32_e32 v18, 5, v18
	s_mov_b32 s6, 0x5040100
	v_perm_b32 v20, v9, v7, s6
	v_or_b32_e32 v7, v18, v22
	v_accvgpr_read_b32 v0, a0
	v_perm_b32 v21, v13, v11, s6
	v_lshlrev_b32_e32 v7, 1, v7
	v_accvgpr_read_b32 v1, a1
	v_accvgpr_read_b32 v2, a2
	;; [unrolled: 1-line block ×3, first 2 shown]
	ds_write_b64 v7, v[20:21] offset:45056
	v_mov_b32_e32 v9, 0
	v_mov_b32_e32 v7, 0
	s_and_saveexec_b64 s[6:7], vcc
	s_cbranch_execz .LBB296_76
; %bb.75:
	v_mov_b32_e32 v7, 0
	v_lshl_add_u64 v[6:7], v[4:5], 0, v[6:7]
	global_load_ushort v6, v[6:7], off offset:32
	s_waitcnt vmcnt(0)
	v_lshlrev_b32_e32 v6, 16, v6
	v_sub_f32_e32 v0, v6, v0
	v_mul_f32_e32 v0, v16, v0
	v_lshrrev_b32_e32 v7, 16, v0
.LBB296_76:
	s_or_b64 exec, exec, s[6:7]
	s_and_saveexec_b64 s[6:7], s[0:1]
	s_cbranch_execz .LBB296_78
; %bb.77:
	v_mov_b32_e32 v9, 0
	v_lshl_add_u64 v[8:9], v[4:5], 0, v[8:9]
	global_load_ushort v0, v[8:9], off offset:32
	s_waitcnt vmcnt(0)
	v_lshlrev_b32_e32 v0, 16, v0
	v_sub_f32_e32 v0, v0, v1
	v_mul_f32_e32 v0, v14, v0
	v_lshrrev_b32_e32 v9, 16, v0
.LBB296_78:
	s_or_b64 exec, exec, s[6:7]
	v_mov_b32_e32 v0, 0
	v_mov_b32_e32 v1, 0
	s_and_saveexec_b64 s[0:1], s[2:3]
	s_cbranch_execz .LBB296_80
; %bb.79:
	v_mov_b32_e32 v11, 0
	v_lshl_add_u64 v[10:11], v[4:5], 0, v[10:11]
	global_load_ushort v1, v[10:11], off offset:32
	s_waitcnt vmcnt(0)
	v_lshlrev_b32_e32 v1, 16, v1
	v_sub_f32_e32 v1, v1, v2
	v_mul_f32_e32 v1, v17, v1
	v_lshrrev_b32_e32 v1, 16, v1
.LBB296_80:
	s_or_b64 exec, exec, s[0:1]
	s_and_saveexec_b64 s[0:1], s[4:5]
	s_cbranch_execz .LBB296_82
; %bb.81:
	v_mov_b32_e32 v13, 0
	v_lshl_add_u64 v[4:5], v[4:5], 0, v[12:13]
	global_load_ushort v0, v[4:5], off offset:32
	s_waitcnt vmcnt(0)
	v_lshlrev_b32_e32 v0, 16, v0
	v_sub_f32_e32 v0, v0, v3
	v_mul_f32_e32 v0, v15, v0
	v_lshrrev_b32_e32 v0, 16, v0
.LBB296_82:
	s_or_b64 exec, exec, s[0:1]
	s_mov_b32 s0, 0x5040100
	v_or_b32_e32 v2, v18, v19
	v_perm_b32 v1, v0, v1, s0
	v_perm_b32 v0, v9, v7, s0
	v_lshlrev_b32_e32 v2, 1, v2
	ds_write_b64 v2, v[0:1] offset:45056
	s_waitcnt lgkmcnt(0)
	s_barrier
.LBB296_83:
	s_endpgm
	.section	.rodata,"a",@progbits
	.p2align	6, 0x0
	.amdhsa_kernel _ZN12_GLOBAL__N_139chunk_gated_delta_rule_fwd_h_hip_kernelILi32ELb0ELb0ELb0ELb1ELb1ELb0ELb1ELb1EEEvPK12hip_bfloat16S3_S3_PKfS5_PKvPS1_S8_PvPKiSB_iiiiilll
		.amdhsa_group_segment_fixed_size 49152
		.amdhsa_private_segment_fixed_size 0
		.amdhsa_kernarg_size 136
		.amdhsa_user_sgpr_count 2
		.amdhsa_user_sgpr_dispatch_ptr 0
		.amdhsa_user_sgpr_queue_ptr 0
		.amdhsa_user_sgpr_kernarg_segment_ptr 1
		.amdhsa_user_sgpr_dispatch_id 0
		.amdhsa_user_sgpr_kernarg_preload_length 0
		.amdhsa_user_sgpr_kernarg_preload_offset 0
		.amdhsa_user_sgpr_private_segment_size 0
		.amdhsa_uses_dynamic_stack 0
		.amdhsa_enable_private_segment 0
		.amdhsa_system_sgpr_workgroup_id_x 1
		.amdhsa_system_sgpr_workgroup_id_y 1
		.amdhsa_system_sgpr_workgroup_id_z 0
		.amdhsa_system_sgpr_workgroup_info 0
		.amdhsa_system_vgpr_workitem_id 0
		.amdhsa_next_free_vgpr 152
		.amdhsa_next_free_sgpr 59
		.amdhsa_accum_offset 132
		.amdhsa_reserve_vcc 1
		.amdhsa_float_round_mode_32 0
		.amdhsa_float_round_mode_16_64 0
		.amdhsa_float_denorm_mode_32 3
		.amdhsa_float_denorm_mode_16_64 3
		.amdhsa_dx10_clamp 1
		.amdhsa_ieee_mode 1
		.amdhsa_fp16_overflow 0
		.amdhsa_tg_split 0
		.amdhsa_exception_fp_ieee_invalid_op 0
		.amdhsa_exception_fp_denorm_src 0
		.amdhsa_exception_fp_ieee_div_zero 0
		.amdhsa_exception_fp_ieee_overflow 0
		.amdhsa_exception_fp_ieee_underflow 0
		.amdhsa_exception_fp_ieee_inexact 0
		.amdhsa_exception_int_div_zero 0
	.end_amdhsa_kernel
	.section	.text._ZN12_GLOBAL__N_139chunk_gated_delta_rule_fwd_h_hip_kernelILi32ELb0ELb0ELb0ELb1ELb1ELb0ELb1ELb1EEEvPK12hip_bfloat16S3_S3_PKfS5_PKvPS1_S8_PvPKiSB_iiiiilll,"axG",@progbits,_ZN12_GLOBAL__N_139chunk_gated_delta_rule_fwd_h_hip_kernelILi32ELb0ELb0ELb0ELb1ELb1ELb0ELb1ELb1EEEvPK12hip_bfloat16S3_S3_PKfS5_PKvPS1_S8_PvPKiSB_iiiiilll,comdat
.Lfunc_end296:
	.size	_ZN12_GLOBAL__N_139chunk_gated_delta_rule_fwd_h_hip_kernelILi32ELb0ELb0ELb0ELb1ELb1ELb0ELb1ELb1EEEvPK12hip_bfloat16S3_S3_PKfS5_PKvPS1_S8_PvPKiSB_iiiiilll, .Lfunc_end296-_ZN12_GLOBAL__N_139chunk_gated_delta_rule_fwd_h_hip_kernelILi32ELb0ELb0ELb0ELb1ELb1ELb0ELb1ELb1EEEvPK12hip_bfloat16S3_S3_PKfS5_PKvPS1_S8_PvPKiSB_iiiiilll
                                        ; -- End function
	.section	.AMDGPU.csdata,"",@progbits
; Kernel info:
; codeLenInByte = 8296
; NumSgprs: 65
; NumVgprs: 130
; NumAgprs: 20
; TotalNumVgprs: 152
; ScratchSize: 0
; MemoryBound: 0
; FloatMode: 240
; IeeeMode: 1
; LDSByteSize: 49152 bytes/workgroup (compile time only)
; SGPRBlocks: 8
; VGPRBlocks: 18
; NumSGPRsForWavesPerEU: 65
; NumVGPRsForWavesPerEU: 152
; AccumOffset: 132
; Occupancy: 1
; WaveLimiterHint : 1
; COMPUTE_PGM_RSRC2:SCRATCH_EN: 0
; COMPUTE_PGM_RSRC2:USER_SGPR: 2
; COMPUTE_PGM_RSRC2:TRAP_HANDLER: 0
; COMPUTE_PGM_RSRC2:TGID_X_EN: 1
; COMPUTE_PGM_RSRC2:TGID_Y_EN: 1
; COMPUTE_PGM_RSRC2:TGID_Z_EN: 0
; COMPUTE_PGM_RSRC2:TIDIG_COMP_CNT: 0
; COMPUTE_PGM_RSRC3_GFX90A:ACCUM_OFFSET: 32
; COMPUTE_PGM_RSRC3_GFX90A:TG_SPLIT: 0
	.section	.text._ZN12_GLOBAL__N_139chunk_gated_delta_rule_fwd_h_hip_kernelILi32ELb1ELb1ELb1ELb0ELb1ELb0ELb1ELb1EEEvPK12hip_bfloat16S3_S3_PKfS5_PKvPS1_S8_PvPKiSB_iiiiilll,"axG",@progbits,_ZN12_GLOBAL__N_139chunk_gated_delta_rule_fwd_h_hip_kernelILi32ELb1ELb1ELb1ELb0ELb1ELb0ELb1ELb1EEEvPK12hip_bfloat16S3_S3_PKfS5_PKvPS1_S8_PvPKiSB_iiiiilll,comdat
	.globl	_ZN12_GLOBAL__N_139chunk_gated_delta_rule_fwd_h_hip_kernelILi32ELb1ELb1ELb1ELb0ELb1ELb0ELb1ELb1EEEvPK12hip_bfloat16S3_S3_PKfS5_PKvPS1_S8_PvPKiSB_iiiiilll ; -- Begin function _ZN12_GLOBAL__N_139chunk_gated_delta_rule_fwd_h_hip_kernelILi32ELb1ELb1ELb1ELb0ELb1ELb0ELb1ELb1EEEvPK12hip_bfloat16S3_S3_PKfS5_PKvPS1_S8_PvPKiSB_iiiiilll
	.p2align	8
	.type	_ZN12_GLOBAL__N_139chunk_gated_delta_rule_fwd_h_hip_kernelILi32ELb1ELb1ELb1ELb0ELb1ELb0ELb1ELb1EEEvPK12hip_bfloat16S3_S3_PKfS5_PKvPS1_S8_PvPKiSB_iiiiilll,@function
_ZN12_GLOBAL__N_139chunk_gated_delta_rule_fwd_h_hip_kernelILi32ELb1ELb1ELb1ELb0ELb1ELb0ELb1ELb1EEEvPK12hip_bfloat16S3_S3_PKfS5_PKvPS1_S8_PvPKiSB_iiiiilll: ; @_ZN12_GLOBAL__N_139chunk_gated_delta_rule_fwd_h_hip_kernelILi32ELb1ELb1ELb1ELb0ELb1ELb0ELb1ELb1EEEvPK12hip_bfloat16S3_S3_PKfS5_PKvPS1_S8_PvPKiSB_iiiiilll
; %bb.0:
	s_load_dwordx4 s[20:23], s[0:1], 0x5c
	s_load_dwordx4 s[24:27], s[0:1], 0x70
	s_abs_i32 s6, s3
	s_ashr_i32 s5, s3, 31
	v_and_b32_e32 v68, 15, v0
	s_waitcnt lgkmcnt(0)
	s_abs_i32 s4, s21
	v_cvt_f32_u32_e32 v1, s4
	s_sub_i32 s8, 0, s4
	s_ashr_i32 s7, s21, 31
	s_xor_b32 s5, s5, s7
	v_rcp_iflag_f32_e32 v1, v1
	v_bfe_u32 v67, v0, 4, 2
	v_mov_b32_e32 v51, 0
	v_lshlrev_b32_e32 v69, 3, v0
	v_mul_f32_e32 v1, 0x4f7ffffe, v1
	v_cvt_u32_f32_e32 v1, v1
	s_nop 0
	v_readfirstlane_b32 s9, v1
	s_mul_i32 s8, s8, s9
	s_mul_hi_u32 s8, s9, s8
	s_add_i32 s9, s9, s8
	s_mul_hi_u32 s8, s6, s9
	s_mul_i32 s9, s8, s4
	s_sub_i32 s6, s6, s9
	s_add_i32 s10, s8, 1
	s_sub_i32 s9, s6, s4
	s_cmp_ge_u32 s6, s4
	s_cselect_b32 s8, s10, s8
	s_cselect_b32 s6, s9, s6
	s_add_i32 s9, s8, 1
	s_cmp_ge_u32 s6, s4
	s_cselect_b32 s6, s9, s8
	s_xor_b32 s6, s6, s5
	s_add_i32 s8, s20, 63
	s_sub_i32 s55, s6, s5
	s_ashr_i32 s9, s8, 31
	s_mul_i32 s12, s55, s21
	s_sub_i32 s53, s3, s12
	s_lshr_b32 s3, s9, 26
	s_add_i32 s8, s8, s3
	s_abs_i32 s3, s22
	v_cvt_f32_u32_e32 v1, s3
	s_ashr_i32 s54, s20, 31
	s_lshr_b32 s5, s54, 26
	s_add_i32 s5, s20, s5
	v_rcp_iflag_f32_e32 v1, v1
	s_ashr_i32 s58, s22, 31
	s_ashr_i32 s56, s5, 6
	s_xor_b32 s5, s7, s58
	v_mul_f32_e32 v1, 0x4f7ffffe, v1
	v_cvt_u32_f32_e32 v1, v1
	s_sub_i32 s6, 0, s3
	s_ashr_i32 s28, s8, 6
	s_lshl_b32 s2, s2, 5
	v_readfirstlane_b32 s7, v1
	s_mul_i32 s6, s6, s7
	s_mul_hi_u32 s6, s7, s6
	s_add_i32 s7, s7, s6
	s_mul_hi_u32 s6, s4, s7
	s_mul_i32 s7, s6, s3
	s_sub_i32 s4, s4, s7
	s_add_i32 s7, s6, 1
	s_sub_i32 s8, s4, s3
	s_cmp_ge_u32 s4, s3
	s_cselect_b32 s6, s7, s6
	s_cselect_b32 s4, s8, s4
	s_add_i32 s7, s6, 1
	s_cmp_ge_u32 s4, s3
	s_cselect_b32 s3, s7, s6
	s_xor_b32 s3, s3, s5
	s_sub_i32 s3, s3, s5
	s_abs_i32 s13, s3
	v_cvt_f32_u32_e32 v1, s13
	s_sub_i32 s15, 0, s13
	s_abs_i32 s14, s53
	s_xor_b32 s3, s53, s3
	v_rcp_iflag_f32_e32 v2, v1
	s_ashr_i32 s3, s3, 31
	s_load_dwordx8 s[4:11], s[0:1], 0x28
	v_or_b32_e32 v56, s2, v68
	v_mul_f32_e32 v2, 0x4f7ffffe, v2
	v_cvt_u32_f32_e32 v2, v2
	v_lshrrev_b32_e32 v1, 6, v0
	v_lshlrev_b32_e32 v52, 7, v56
	v_lshlrev_b32_e32 v66, 4, v1
	v_readfirstlane_b32 s16, v2
	s_mul_i32 s15, s15, s16
	s_mul_hi_u32 s15, s16, s15
	s_add_i32 s16, s16, s15
	s_mul_hi_u32 s15, s14, s16
	s_mul_i32 s16, s15, s13
	s_sub_i32 s14, s14, s16
	s_add_i32 s16, s15, 1
	s_sub_i32 s17, s14, s13
	s_cmp_ge_u32 s14, s13
	s_cselect_b32 s15, s16, s15
	s_cselect_b32 s14, s17, s14
	s_add_i32 s16, s15, 1
	s_cmp_ge_u32 s14, s13
	s_cselect_b32 s13, s16, s15
	s_xor_b32 s13, s13, s3
	s_sub_i32 s59, s13, s3
	s_ashr_i32 s3, s55, 31
	s_ashr_i32 s57, s53, 31
	s_mul_hi_i32 s13, s55, s21
	s_add_u32 s42, s12, s53
	s_addc_u32 s43, s13, s57
	s_lshl_b64 s[34:35], s[42:43], 15
	s_waitcnt lgkmcnt(0)
	s_add_u32 s4, s4, s34
	v_or_b32_e32 v54, 0x800, v52
	v_lshl_or_b32 v71, v67, 2, v66
	s_addc_u32 s5, s5, s35
	v_ashrrev_i32_e32 v53, 31, v52
	v_ashrrev_i32_e32 v55, 31, v54
	v_lshl_add_u64 v[2:3], v[52:53], 1, s[4:5]
	v_lshlrev_b32_e32 v50, 1, v71
	v_lshl_add_u64 v[6:7], v[54:55], 1, s[4:5]
	v_lshl_add_u64 v[2:3], v[2:3], 0, v[50:51]
	v_lshl_add_u64 v[6:7], v[6:7], 0, v[50:51]
	global_load_dwordx2 v[4:5], v[2:3], off
	v_and_b32_e32 v51, 63, v0
	global_load_dwordx2 v[2:3], v[2:3], off offset:128
	s_nop 0
	global_load_dwordx2 v[8:9], v[6:7], off
	global_load_dwordx2 v[10:11], v[6:7], off offset:128
	s_load_dwordx8 s[12:19], s[0:1], 0x0
	s_load_dwordx2 s[36:37], s[0:1], 0x80
	v_lshrrev_b32_e32 v70, 3, v51
	v_or_b32_e32 v72, 64, v71
	s_mul_i32 s33, s55, s25
	s_mul_hi_u32 s48, s55, s24
	s_mul_i32 s38, s55, s24
	s_mul_i32 s60, s55, s28
	s_mul_i32 s49, s53, s27
	s_mul_hi_u32 s50, s53, s26
	s_mul_i32 s52, s3, s24
	s_mul_i32 s51, s57, s26
	s_mul_hi_u32 s61, s42, s20
	s_mul_i32 s4, s42, s20
	s_mul_i32 s43, s43, s20
	s_cmp_lt_i32 s20, 64
	s_mul_i32 s40, s53, s26
	s_waitcnt vmcnt(3)
	v_and_b32_e32 v19, 0xffff0000, v4
	v_lshlrev_b32_e32 v18, 16, v4
	v_and_b32_e32 v21, 0xffff0000, v5
	v_lshlrev_b32_e32 v20, 16, v5
	s_waitcnt vmcnt(2)
	v_and_b32_e32 v23, 0xffff0000, v2
	v_lshlrev_b32_e32 v22, 16, v2
	v_and_b32_e32 v25, 0xffff0000, v3
	v_lshlrev_b32_e32 v24, 16, v3
	;; [unrolled: 5-line block ×4, first 2 shown]
	s_cbranch_scc1 .LBB297_3
; %bb.1:
	s_add_i32 s5, s61, s43
	s_lshl_b64 s[0:1], s[4:5], 8
	v_and_b32_e32 v74, 56, v69
	s_waitcnt lgkmcnt(0)
	s_add_u32 s24, s14, s0
	v_lshl_or_b32 v73, v1, 3, v70
	v_lshlrev_b32_e32 v2, 1, v74
	s_addc_u32 s0, s15, s1
	v_lshl_or_b32 v75, v73, 8, v2
	s_and_b32 s25, s0, 0xffff
	s_mov_b32 s27, 0x20000
	s_movk_i32 s26, 0x4000
	s_movk_i32 s0, 0x80
	v_or_b32_e32 v76, 0x2000, v75
	buffer_load_dwordx4 v[4:7], v75, s[24:27], 0 offen
	buffer_load_dwordx4 v[8:11], v75, s[24:27], s0 offen
	;; [unrolled: 1-line block ×4, first 2 shown]
	v_lshlrev_b32_e32 v3, 3, v73
	v_and_or_b32 v17, v0, 7, v3
	v_and_b32_e32 v3, 0x78, v3
	v_lshlrev_b32_e32 v17, 4, v17
	v_xor_b32_e32 v77, v17, v3
	v_mul_lo_u32 v16, v73, s23
	v_or_b32_e32 v78, 0x1000, v77
	v_xor_b32_e32 v3, 8, v77
	s_cmpk_eq_i32 s23, 0x80
	s_mov_b32 s62, s22
	v_xor_b32_e32 v17, 8, v78
	s_cselect_b64 s[0:1], -1, 0
	s_cmpk_lg_i32 s23, 0x80
	s_waitcnt vmcnt(3)
	ds_write_b64 v77, v[4:5] offset:24576
	ds_write_b64 v3, v[6:7] offset:24576
	s_waitcnt vmcnt(2)
	ds_write_b64 v77, v[8:9] offset:32768
	ds_write_b64 v3, v[10:11] offset:32768
	;; [unrolled: 3-line block ×4, first 2 shown]
	v_lshl_add_u32 v3, v16, 1, v74
	s_cbranch_scc0 .LBB297_29
; %bb.2:
	v_lshlrev_b32_e32 v5, 1, v3
	v_add_lshl_u32 v4, v3, s23, 1
	s_lshl_b32 s26, s23, 7
	v_lshl_or_b32 v2, v73, 9, v2
	s_cbranch_execz .LBB297_30
	s_branch .LBB297_31
.LBB297_3:
	v_mov_b64_e32 v[2:3], v[18:19]
	v_mov_b64_e32 v[4:5], v[20:21]
	;; [unrolled: 1-line block ×8, first 2 shown]
.LBB297_4:
	s_lshl_b32 s30, s56, 6
	s_sub_i32 s31, s20, s30
	s_cmp_gt_i32 s31, 0
	s_cbranch_scc0 .LBB297_83
; %bb.5:
	s_ashr_i32 s3, s30, 31
	s_cmpk_lg_i32 s23, 0x80
	s_cselect_b64 s[26:27], -1, 0
	s_and_b64 vcc, exec, s[26:27]
	s_cbranch_vccz .LBB297_7
; %bb.6:
	s_mul_i32 s1, s55, s20
	s_mul_hi_i32 s0, s55, s20
	s_add_u32 s1, s1, s30
	s_addc_u32 s0, s0, s3
	s_mul_i32 s5, s1, s58
	s_mul_hi_u32 s24, s1, s22
	s_add_i32 s5, s24, s5
	s_mul_i32 s0, s0, s22
	s_add_i32 s5, s5, s0
	s_mul_i32 s1, s1, s22
	s_ashr_i32 s0, s59, 31
	s_add_u32 s28, s1, s59
	s_addc_u32 s29, s5, s0
	s_cbranch_execz .LBB297_8
	s_branch .LBB297_9
.LBB297_7:
                                        ; implicit-def: $sgpr28_sgpr29
.LBB297_8:
	s_mul_hi_i32 s0, s55, s22
	s_mul_i32 s55, s55, s22
	s_ashr_i32 s1, s59, 31
	s_add_u32 s5, s55, s59
	s_addc_u32 s0, s0, s1
	s_mul_i32 s1, s5, s54
	s_mul_hi_u32 s22, s5, s20
	s_add_i32 s1, s22, s1
	s_mul_i32 s0, s0, s20
	s_add_i32 s1, s1, s0
	s_mul_i32 s5, s5, s20
	s_add_u32 s28, s5, s30
	s_addc_u32 s29, s1, s3
.LBB297_9:
	s_mul_i32 s0, s42, s54
	s_add_i32 s0, s61, s0
	s_add_i32 s5, s60, s56
	;; [unrolled: 1-line block ×3, first 2 shown]
	s_add_u32 s0, s4, s30
	v_lshlrev_b32_e32 v22, 5, v71
	v_lshlrev_b32_e32 v38, 2, v68
	s_addc_u32 s1, s1, s3
	s_mov_b32 s3, 0x7060302
	v_or_b32_e32 v25, v22, v38
	v_xor_b32_e32 v23, v71, v38
	v_perm_b32 v19, v5, v4, s3
	v_perm_b32 v18, v3, v2, s3
	v_perm_b32 v21, v9, v8, s3
	v_perm_b32 v20, v7, v6, s3
	v_lshlrev_b32_e32 v25, 1, v25
	v_xor_b32_e32 v24, v72, v38
	ds_write2st64_b64 v25, v[18:19], v[20:21] offset0:80 offset1:88
	v_lshlrev_b32_e32 v23, 1, v23
	v_lshlrev_b32_e32 v25, 8, v68
	s_lshl_b64 s[24:25], s[0:1], 8
	v_or_b32_e32 v26, v23, v25
	v_lshlrev_b32_e32 v24, 1, v24
	s_waitcnt lgkmcnt(0)
	s_add_u32 s0, s14, s24
	ds_write_b64 v26, v[18:19]
	v_or_b32_e32 v18, v24, v25
	s_addc_u32 s1, s15, s25
	ds_write_b64 v18, v[20:21]
	v_perm_b32 v19, v13, v12, s3
	v_perm_b32 v18, v11, v10, s3
	;; [unrolled: 1-line block ×4, first 2 shown]
	v_or_b32_e32 v25, 16, v68
	s_mul_hi_i32 s3, s5, s21
	s_mul_i32 s5, s5, s21
	v_lshlrev_b32_e32 v35, 2, v25
	s_add_u32 s4, s5, s53
	v_or_b32_e32 v22, v22, v35
	s_addc_u32 s5, s3, s57
	v_lshlrev_b32_e32 v22, 1, v22
	s_ashr_i32 s3, s2, 31
	s_lshl_b64 s[4:5], s[4:5], 15
	ds_write2st64_b64 v22, v[18:19], v[20:21] offset0:80 offset1:88
	v_lshlrev_b32_e32 v22, 8, v25
	s_add_u32 s4, s6, s4
	v_or_b32_e32 v23, v23, v22
	s_addc_u32 s5, s7, s5
	s_lshl_b64 s[2:3], s[2:3], 8
	ds_write_b64 v23, v[18:19]
	v_or_b32_e32 v18, v24, v22
	s_add_u32 s2, s4, s2
	ds_write_b64 v18, v[20:21]
	v_lshrrev_b32_e32 v18, 4, v0
	s_addc_u32 s3, s5, s3
	v_lshlrev_b32_e32 v19, 1, v68
	v_lshlrev_b32_e32 v26, 4, v68
	v_mov_b32_e32 v27, 0
	v_or_b32_e32 v20, 1, v19
	v_xor_b32_e32 v19, v18, v19
	v_lshl_add_u64 v[28:29], s[2:3], 0, v[26:27]
	v_lshlrev_b32_e32 v26, 8, v18
	v_xor_b32_e32 v22, v20, v18
	v_lshl_or_b32 v18, v19, 3, v26
	s_waitcnt lgkmcnt(0)
	s_barrier
	ds_read2st64_b64 v[18:21], v18 offset1:8
	v_lshl_or_b32 v22, v22, 3, v26
	ds_read2st64_b64 v[22:25], v22 offset1:8
	v_lshl_add_u64 v[30:31], v[28:29], 0, v[26:27]
	s_movk_i32 s2, 0x1000
	s_waitcnt lgkmcnt(1)
	v_mov_b32_e32 v26, v18
	v_add_co_u32_e32 v18, vcc, s2, v30
	s_cmp_lg_u32 s31, 64
	v_mov_b32_e32 v27, v19
	v_addc_co_u32_e32 v19, vcc, 0, v31, vcc
	s_cselect_b64 s[14:15], -1, 0
	v_lshl_or_b32 v42, v1, 3, v70
	s_waitcnt lgkmcnt(0)
	v_mov_b32_e32 v28, v22
	v_mov_b32_e32 v29, v23
	;; [unrolled: 1-line block ×4, first 2 shown]
	s_mov_b32 s4, 0
	v_or_b32_e32 v36, 32, v42
	v_and_b32_e32 v34, 56, v69
	s_and_b64 vcc, exec, s[14:15]
	global_store_dwordx4 v[30:31], v[26:29], off
	global_store_dwordx4 v[18:19], v[22:25], off
	s_cbranch_vccz .LBB297_15
; %bb.10:
	s_mov_b32 s6, s4
	s_mov_b32 s7, s4
	;; [unrolled: 1-line block ×3, first 2 shown]
	v_mov_b64_e32 v[24:25], s[6:7]
	v_mov_b64_e32 v[22:23], s[4:5]
	;; [unrolled: 1-line block ×3, first 2 shown]
	v_cmp_gt_i32_e32 vcc, s31, v42
	v_mov_b64_e32 v[20:21], v[24:25]
	s_and_saveexec_b64 s[2:3], vcc
	s_cbranch_execz .LBB297_12
; %bb.11:
	v_lshlrev_b32_e32 v18, 8, v42
	v_mov_b32_e32 v19, 0
	v_lshl_add_u64 v[20:21], s[0:1], 0, v[18:19]
	v_lshlrev_b32_e32 v18, 1, v34
	v_lshl_add_u64 v[26:27], v[20:21], 0, v[18:19]
	global_load_dwordx4 v[22:25], v[26:27], off
	global_load_dwordx4 v[18:21], v[26:27], off offset:128
.LBB297_12:
	s_or_b64 exec, exec, s[2:3]
	s_mov_b32 s6, s4
	s_mov_b32 s7, s4
	s_mov_b32 s5, s4
	v_mov_b64_e32 v[32:33], s[6:7]
	v_mov_b64_e32 v[30:31], s[4:5]
	;; [unrolled: 1-line block ×3, first 2 shown]
	v_cmp_gt_i32_e32 vcc, s31, v36
	v_lshlrev_b32_e32 v37, 7, v36
	v_mov_b64_e32 v[28:29], v[32:33]
	s_and_saveexec_b64 s[2:3], vcc
	s_cbranch_execz .LBB297_14
; %bb.13:
	v_lshlrev_b32_e32 v26, 1, v37
	v_mov_b32_e32 v27, 0
	v_lshl_add_u64 v[28:29], s[0:1], 0, v[26:27]
	v_lshlrev_b32_e32 v26, 1, v34
	v_lshl_add_u64 v[40:41], v[28:29], 0, v[26:27]
	global_load_dwordx4 v[30:33], v[40:41], off
	global_load_dwordx4 v[26:29], v[40:41], off offset:128
.LBB297_14:
	s_or_b64 exec, exec, s[2:3]
	v_lshrrev_b32_e32 v39, 3, v34
	v_lshlrev_b32_e32 v40, 3, v42
	v_or_b32_e32 v39, v40, v39
	v_lshlrev_b32_e32 v39, 4, v39
	v_and_b32_e32 v40, 0x78, v40
	v_xor_b32_e32 v39, v39, v40
	s_branch .LBB297_17
.LBB297_15:
                                        ; implicit-def: $vgpr39
                                        ; implicit-def: $vgpr37
                                        ; implicit-def: $vgpr22_vgpr23_vgpr24_vgpr25
                                        ; implicit-def: $vgpr18_vgpr19_vgpr20_vgpr21
                                        ; implicit-def: $vgpr30_vgpr31_vgpr32_vgpr33
                                        ; implicit-def: $vgpr26_vgpr27_vgpr28_vgpr29
	s_cbranch_execz .LBB297_17
; %bb.16:
	s_waitcnt vmcnt(0)
	v_lshlrev_b32_e32 v18, 1, v34
	v_lshl_or_b32 v37, v42, 8, v18
	s_and_b32 s1, s1, 0xffff
	s_mov_b32 s3, 0x20000
	s_movk_i32 s2, 0x4000
	v_lshl_or_b32 v39, v36, 8, v18
	s_movk_i32 s4, 0x80
	buffer_load_dwordx4 v[22:25], v37, s[0:3], 0 offen
	buffer_load_dwordx4 v[18:21], v37, s[0:3], s4 offen
	;; [unrolled: 1-line block ×4, first 2 shown]
	v_lshrrev_b32_e32 v37, 3, v34
	v_lshlrev_b32_e32 v39, 3, v42
	v_or_b32_e32 v37, v39, v37
	v_lshlrev_b32_e32 v37, 4, v37
	v_and_b32_e32 v39, 0x78, v39
	v_xor_b32_e32 v39, v37, v39
	v_lshlrev_b32_e32 v37, 7, v36
.LBB297_17:
	s_lshl_b64 s[0:1], s[28:29], 8
	s_add_u32 s4, s12, s0
	s_movk_i32 s0, 0x1000
	v_and_or_b32 v36, v37, s0, v39
	s_waitcnt vmcnt(1)
	ds_write_b64 v39, v[22:23] offset:24576
	v_xor_b32_e32 v22, 8, v39
	ds_write_b64 v22, v[24:25] offset:24576
	s_waitcnt vmcnt(0)
	ds_write_b64 v39, v[18:19] offset:32768
	ds_write_b64 v22, v[20:21] offset:32768
	;; [unrolled: 1-line block ×3, first 2 shown]
	v_xor_b32_e32 v18, 8, v36
	ds_write_b64 v18, v[32:33] offset:24576
	ds_write_b64 v36, v[26:27] offset:32768
	;; [unrolled: 1-line block ×3, first 2 shown]
	v_or_b32_e32 v18, v66, v68
	v_lshlrev_b32_e32 v18, 3, v18
	v_lshrrev_b32_e32 v19, 5, v51
	s_movk_i32 s3, 0xf8
	v_and_or_b32 v19, v18, s3, v19
	v_lshlrev_b32_e32 v23, 4, v19
	v_lshlrev_b32_e32 v39, 11, v1
	v_and_b32_e32 v24, 0x78, v18
	v_or_b32_e32 v26, 32, v23
	v_and_b32_e32 v22, 0x1000, v39
	v_lshrrev_b32_e32 v19, 1, v51
	v_xor_b32_e32 v26, v26, v24
	v_xor_b32_e32 v18, v23, v24
	v_and_b32_e32 v25, 8, v19
	v_or_b32_e32 v26, v26, v22
	v_or_b32_e32 v18, v18, v22
	v_xor_b32_e32 v44, v26, v25
	v_or_b32_e32 v26, 64, v23
	v_xor_b32_e32 v43, v18, v25
	v_xor_b32_e32 v26, v26, v24
	s_waitcnt lgkmcnt(0)
	s_barrier
	v_or_b32_e32 v28, v26, v22
	ds_read_b64 v[26:27], v43 offset:24576
	v_lshl_or_b32 v36, v67, 7, v38
	v_lshlrev_b32_e32 v40, 1, v36
	v_add_u32_e32 v18, 0xa000, v40
	ds_read2_b64 v[18:21], v18 offset1:16
	v_or_b32_e32 v23, 0x60, v23
	v_xor_b32_e32 v23, v23, v24
	s_waitcnt lgkmcnt(0)
	v_mfma_f32_16x16x16_bf16 a[0:3], v[26:27], v[18:19], 0
	v_or_b32_e32 v18, 64, v36
	v_or_b32_e32 v22, v23, v22
	v_lshlrev_b32_e32 v41, 1, v18
	v_xor_b32_e32 v45, v28, v25
	v_xor_b32_e32 v46, v22, v25
	ds_read_b64 v[28:29], v44 offset:24576
	ds_read_b64 v[30:31], v45 offset:24576
	;; [unrolled: 1-line block ×3, first 2 shown]
	v_mfma_f32_16x16x16_bf16 a[4:7], v[26:27], v[20:21], 0
	ds_read2st64_b64 v[18:21], v41 offset0:82 offset1:84
	ds_read2st64_b64 v[22:25], v40 offset0:82 offset1:84
	s_addc_u32 s5, s13, s1
	s_add_i32 s1, s48, s33
	s_add_i32 s0, s20, -1
	s_add_i32 s39, s1, s52
	s_add_i32 s1, s50, s49
	;; [unrolled: 1-line block ×3, first 2 shown]
	s_ashr_i32 s1, s0, 31
	s_mul_i32 s2, s0, s37
	s_mul_hi_u32 s3, s0, s36
	s_add_i32 s2, s3, s2
	s_mul_i32 s1, s1, s36
	s_waitcnt lgkmcnt(1)
	v_mfma_f32_16x16x16_bf16 a[4:7], v[28:29], v[18:19], a[4:7]
	s_add_i32 s1, s2, s1
	s_lshl_b64 s[2:3], s[38:39], 2
	s_add_u32 s6, s18, s2
	s_waitcnt lgkmcnt(0)
	v_mfma_f32_16x16x16_bf16 a[0:3], v[28:29], v[22:23], a[0:3]
	s_addc_u32 s7, s19, s3
	s_lshl_b64 s[2:3], s[40:41], 2
	s_mul_i32 s0, s0, s36
	s_add_u32 s12, s6, s2
	ds_read_b64 v[18:19], v40 offset:44032
	v_mfma_f32_16x16x16_bf16 a[4:7], v[30:31], v[20:21], a[4:7]
	ds_read_b64 v[20:21], v41 offset:44032
	s_addc_u32 s13, s7, s3
	s_lshl_b64 s[0:1], s[0:1], 2
	v_mfma_f32_16x16x16_bf16 a[0:3], v[30:31], v[24:25], a[0:3]
	s_add_u32 s0, s12, s0
	s_addc_u32 s1, s13, s1
	s_load_dword s18, s[0:1], 0x0
	s_waitcnt lgkmcnt(0)
	v_mfma_f32_16x16x16_bf16 a[0:3], v[32:33], v[18:19], a[0:3]
	s_and_b64 vcc, exec, s[26:27]
	v_mfma_f32_16x16x16_bf16 a[4:7], v[32:33], v[20:21], a[4:7]
	s_cbranch_vccz .LBB297_28
; %bb.18:
	v_lshlrev_b32_e32 v36, 1, v42
	s_and_b64 vcc, exec, s[14:15]
	s_cbranch_vccz .LBB297_43
; %bb.19:
	v_cmp_gt_i32_e32 vcc, s31, v36
	v_mov_b32_e32 v22, 0
	v_mov_b32_e32 v18, 0
	;; [unrolled: 1-line block ×5, first 2 shown]
	s_and_saveexec_b64 s[0:1], vcc
	s_cbranch_execz .LBB297_21
; %bb.20:
	v_mad_i64_i32 v[18:19], s[2:3], s23, v36, 0
	v_lshl_add_u64 v[18:19], v[18:19], 1, s[4:5]
	v_lshlrev_b32_e32 v20, 1, v34
	v_mov_b32_e32 v21, 0
	v_lshl_add_u64 v[18:19], v[18:19], 0, v[20:21]
	global_load_dwordx4 v[18:21], v[18:19], off
.LBB297_21:
	s_or_b64 exec, exec, s[0:1]
	v_or_b32_e32 v37, 1, v36
	v_cmp_gt_i32_e64 s[0:1], s31, v37
	v_mov_b32_e32 v23, 0
	v_mov_b32_e32 v24, 0
	;; [unrolled: 1-line block ×3, first 2 shown]
	s_and_saveexec_b64 s[2:3], s[0:1]
	s_cbranch_execz .LBB297_23
; %bb.22:
	v_mad_i64_i32 v[22:23], s[6:7], s23, v37, 0
	v_lshl_add_u64 v[22:23], v[22:23], 1, s[4:5]
	v_lshlrev_b32_e32 v24, 1, v34
	v_mov_b32_e32 v25, 0
	v_lshl_add_u64 v[22:23], v[22:23], 0, v[24:25]
	global_load_dwordx4 v[22:25], v[22:23], off
.LBB297_23:
	s_or_b64 exec, exec, s[2:3]
	v_mov_b32_e32 v33, 0
	v_mov_b32_e32 v26, 0
	;; [unrolled: 1-line block ×5, first 2 shown]
	s_and_saveexec_b64 s[2:3], vcc
	s_cbranch_execz .LBB297_25
; %bb.24:
	v_mad_i64_i32 v[26:27], s[6:7], s23, v36, 0
	v_lshl_add_u64 v[26:27], v[26:27], 1, s[4:5]
	v_lshlrev_b32_e32 v28, 1, v34
	v_mov_b32_e32 v29, 0
	v_lshl_add_u64 v[26:27], v[26:27], 0, v[28:29]
	global_load_dwordx4 v[26:29], v[26:27], off offset:128
.LBB297_25:
	s_or_b64 exec, exec, s[2:3]
	v_mov_b32_e32 v32, 0
	v_mov_b32_e32 v31, 0
	;; [unrolled: 1-line block ×3, first 2 shown]
	s_and_saveexec_b64 s[2:3], s[0:1]
	s_cbranch_execz .LBB297_27
; %bb.26:
	v_mad_i64_i32 v[30:31], s[0:1], s23, v37, 0
	v_lshl_add_u64 v[30:31], v[30:31], 1, s[4:5]
	v_lshlrev_b32_e32 v32, 1, v34
	v_mov_b32_e32 v33, 0
	v_lshl_add_u64 v[30:31], v[30:31], 0, v[32:33]
	global_load_dwordx4 v[30:33], v[30:31], off offset:128
.LBB297_27:
	s_or_b64 exec, exec, s[2:3]
	s_branch .LBB297_45
.LBB297_28:
                                        ; implicit-def: $vgpr21
                                        ; implicit-def: $vgpr25
                                        ; implicit-def: $vgpr29
                                        ; implicit-def: $vgpr33
	v_lshrrev_b32_e32 v47, 2, v51
	s_branch .LBB297_46
.LBB297_29:
                                        ; implicit-def: $vgpr4
                                        ; implicit-def: $vgpr5
                                        ; implicit-def: $sgpr26
	v_lshl_or_b32 v2, v73, 9, v2
.LBB297_30:
	v_or_b32_e32 v4, 0x100, v2
	s_movk_i32 s26, 0x4000
	v_mov_b32_e32 v5, v2
.LBB297_31:
	s_mul_hi_u32 s24, s22, s20
	s_mul_i32 s25, s58, s20
	s_add_i32 s24, s24, s25
	s_mul_i32 s25, s22, s20
	s_mul_i32 s27, s25, s3
	s_mul_hi_u32 s28, s25, s55
	s_add_i32 s27, s28, s27
	s_mul_i32 s24, s24, s55
	s_add_i32 s27, s27, s24
	s_mul_i32 s25, s25, s55
	s_ashr_i32 s63, s59, 31
	s_add_u32 s24, s25, s59
	s_addc_u32 s25, s27, s63
	s_lshl_b64 s[24:25], s[24:25], 8
	s_add_u32 s24, s12, s24
	s_addc_u32 s25, s13, s25
	s_and_b32 s25, s25, 0xffff
	s_mov_b32 s27, 0x20000
	s_movk_i32 s64, 0x80
	buffer_load_dwordx4 v[6:9], v5, s[24:27], 0 offen
	buffer_load_dwordx4 v[10:13], v5, s[24:27], s64 offen
	;; [unrolled: 1-line block ×4, first 2 shown]
	v_and_b32_e32 v4, 6, v0
	v_lshlrev_b32_e32 v39, 6, v71
	v_or_b32_e32 v41, 16, v68
	v_xor_b32_e32 v42, v73, v4
	v_and_b32_e32 v5, 1, v0
	v_lshl_or_b32 v45, v68, 3, v39
	v_lshl_or_b32 v39, v41, 3, v39
	v_lshlrev_b32_e32 v42, 2, v42
	s_mul_i32 s3, s3, s20
	s_mul_hi_u32 s24, s55, s20
	v_lshlrev_b32_e32 v38, 2, v68
	v_or_b32_e32 v81, 0xa000, v39
	v_or_b32_e32 v82, 0xb000, v39
	v_xor_b32_e32 v39, 0x440, v42
	v_cmp_eq_u32_e32 vcc, 0, v5
	v_xor_b32_e32 v43, v71, v38
	v_xor_b32_e32 v44, v72, v38
	v_cndmask_b32_e32 v5, v39, v42, vcc
	s_add_i32 s69, s24, s3
	s_add_i32 s3, s48, s33
	s_mov_b32 s66, 0x1000504
	v_lshlrev_b32_e32 v40, 8, v68
	v_lshlrev_b32_e32 v43, 1, v43
	;; [unrolled: 1-line block ×3, first 2 shown]
	v_lshl_or_b32 v4, v4, 10, v5
	s_add_i32 s39, s3, s52
	s_add_i32 s3, s50, s49
	s_mov_b32 s67, 0x3020706
	v_or_b32_e32 v79, 0xa000, v45
	v_or_b32_e32 v80, 0xb000, v45
	;; [unrolled: 1-line block ×4, first 2 shown]
	v_xor_b32_e32 v5, 8, v4
	v_xor_b32_e32 v40, 24, v4
	;; [unrolled: 1-line block ×4, first 2 shown]
	s_add_i32 s41, s3, s51
	s_lshl_b64 s[24:25], s[38:39], 2
	v_xor_b32_e32 v39, 16, v4
	v_xor_b32_e32 v42, 32, v4
	;; [unrolled: 1-line block ×3, first 2 shown]
	v_add_u32_e32 v5, 0x80, v5
	v_add_u32_e32 v40, 0x80, v40
	;; [unrolled: 1-line block ×4, first 2 shown]
	s_add_u32 s3, s18, s24
	s_addc_u32 s26, s19, s25
	s_lshl_b64 s[24:25], s[40:41], 2
	s_add_u32 s44, s3, s24
	s_movk_i32 s3, 0xf8
	s_addc_u32 s45, s26, s25
	s_lshl_b32 s30, s23, 7
	s_movk_i32 s28, 0x100
	v_mov_b32_e32 v59, 0
	v_lshlrev_b32_e32 v58, 4, v68
	v_cmp_gt_u32_e32 vcc, s28, v0
	v_ashrrev_i32_e32 v57, 31, v56
	s_mov_b32 s65, 0
	s_mul_i32 s68, s55, s20
	s_movk_i32 s39, 0x1000
	s_movk_i32 s26, 0x4000
	s_mov_b32 s70, 0
	s_waitcnt vmcnt(1)
	v_perm_b32 v48, v6, v14, s66
	s_waitcnt vmcnt(0)
	v_perm_b32 v49, v10, v34, s66
	v_perm_b32 v6, v6, v14, s67
	;; [unrolled: 1-line block ×15, first 2 shown]
	ds_write2st64_b32 v4, v48, v49 offset0:32 offset1:64
	ds_write2st64_b32 v5, v6, v10 offset0:32 offset1:64
	ds_write2st64_b32 v39, v14, v34 offset0:33 offset1:65
	ds_write2st64_b32 v40, v7, v11 offset0:33 offset1:65
	ds_write2st64_b32 v42, v15, v35 offset0:34 offset1:66
	ds_write2st64_b32 v45, v8, v12 offset0:34 offset1:66
	ds_write2st64_b32 v46, v16, v36 offset0:35 offset1:67
	ds_write2st64_b32 v47, v9, v13 offset0:35 offset1:67
	v_lshlrev_b32_e32 v4, 8, v41
	v_or_b32_e32 v85, v4, v43
	v_or_b32_e32 v86, v4, v44
	;; [unrolled: 1-line block ×3, first 2 shown]
	v_lshlrev_b32_e32 v4, 3, v4
	v_lshrrev_b32_e32 v7, 5, v51
	v_and_or_b32 v7, v4, s3, v7
	v_lshlrev_b32_e32 v7, 4, v7
	v_lshlrev_b32_e32 v5, 11, v1
	v_and_b32_e32 v4, 0x78, v4
	v_or_b32_e32 v12, 32, v7
	v_and_b32_e32 v6, 0x1000, v5
	v_lshrrev_b32_e32 v9, 1, v0
	v_xor_b32_e32 v12, v12, v4
	v_and_b32_e32 v10, 8, v9
	v_or_b32_e32 v12, v12, v6
	v_xor_b32_e32 v8, v7, v4
	v_xor_b32_e32 v89, v12, v10
	v_or_b32_e32 v12, 64, v7
	v_or_b32_e32 v7, 0x60, v7
	s_ashr_i32 s3, s2, 31
	v_xor_b32_e32 v12, v12, v4
	v_xor_b32_e32 v4, v7, v4
	s_lshl_b64 s[24:25], s[2:3], 8
	v_or_b32_e32 v8, v8, v6
	v_or_b32_e32 v12, v12, v6
	;; [unrolled: 1-line block ×3, first 2 shown]
	s_add_u32 s24, s6, s24
	v_lshlrev_b32_e32 v6, 1, v68
	v_xor_b32_e32 v91, v12, v10
	v_lshrrev_b32_e32 v12, 4, v0
	s_addc_u32 s25, s7, s25
	v_or_b32_e32 v7, 1, v6
	v_mov_b32_e32 v16, 0x4000
	v_mov_b32_e32 v17, 0x2000
	v_xor_b32_e32 v13, v12, v6
	v_xor_b32_e32 v14, v7, v12
	v_lshl_add_u64 v[6:7], s[24:25], 0, v[58:59]
	v_lshlrev_b32_e32 v58, 8, v12
	v_cndmask_b32_e32 v16, v16, v17, vcc
	v_lshlrev_b32_e32 v17, 3, v1
	v_and_b32_e32 v9, 24, v9
	v_lshl_or_b32 v95, v13, 3, v58
	v_and_b32_e32 v13, 8, v0
	v_xor_b32_e32 v34, v17, v9
	v_or_b32_e32 v35, 0x440, v34
	v_cmp_eq_u32_e32 vcc, 0, v13
	v_and_b32_e32 v12, 7, v0
	v_xor_b32_e32 v87, v8, v10
	v_cndmask_b32_e32 v13, v35, v34, vcc
	v_lshlrev_b32_e32 v8, 7, v67
	v_lshl_or_b32 v96, v14, 3, v58
	v_lshlrev_b32_e32 v14, 3, v12
	v_lshlrev_b32_e32 v12, 7, v12
	;; [unrolled: 1-line block ×3, first 2 shown]
	v_or_b32_e32 v13, v13, v5
	v_or_b32_e32 v11, v8, v38
	v_xad_u32 v97, v13, v14, v12
	v_and_or_b32 v8, v15, 60, v8
	v_mov_b32_e32 v13, 0xb000
	v_lshl_or_b32 v98, v8, 1, v13
	v_or_b32_e32 v8, 32, v9
	v_xor_b32_e32 v8, v17, v8
	v_or_b32_e32 v13, 0x440, v8
	v_cndmask_b32_e32 v8, v13, v8, vcc
	v_or_b32_e32 v8, v8, v5
	v_xad_u32 v99, v8, v14, v12
	v_or_b32_e32 v8, 64, v9
	v_xor_b32_e32 v8, v17, v8
	v_xor_b32_e32 v13, 0x440, v8
	v_cndmask_b32_e32 v8, v13, v8, vcc
	v_or_b32_e32 v8, v8, v5
	v_xad_u32 v100, v8, v14, v12
	v_or_b32_e32 v8, 0x60, v9
	v_xor_b32_e32 v8, v17, v8
	v_xor_b32_e32 v9, 0x440, v8
	v_lshlrev_b32_e32 v11, 1, v11
	v_cndmask_b32_e32 v8, v9, v8, vcc
	v_or_b32_e32 v88, 0xa000, v11
	v_or_b32_e32 v90, 0xa080, v11
	v_xor_b32_e32 v92, v4, v10
	v_or_b32_e32 v93, 0xb000, v11
	v_or_b32_e32 v94, 0xb080, v11
	v_lshlrev_b32_e32 v10, 1, v3
	v_add_lshl_u32 v3, v3, s23, 1
	v_or_b32_e32 v11, 0x100, v2
	v_or_b32_e32 v5, v8, v5
	v_lshlrev_b32_e32 v4, 7, v71
	v_xad_u32 v101, v5, v14, v12
	v_cndmask_b32_e64 v102, v10, v2, s[0:1]
	v_cndmask_b32_e64 v103, v3, v11, s[0:1]
	v_lshlrev_b64 v[2:3], 1, v[56:57]
	v_lshl_add_u64 v[60:61], s[16:17], 0, v[2:3]
	v_lshl_add_u64 v[62:63], s[8:9], 0, v[2:3]
	;; [unrolled: 1-line block ×3, first 2 shown]
	s_mov_b32 s3, 0x7060302
	v_lshlrev_b32_e32 v58, 1, v4
	v_add_u32_e32 v57, v16, v97
	v_add_u32_e32 v104, v16, v99
	;; [unrolled: 1-line block ×4, first 2 shown]
	s_waitcnt lgkmcnt(0)
	s_barrier
	s_branch .LBB297_33
.LBB297_32:                             ;   in Loop: Header=BB297_33 Depth=1
	s_waitcnt vmcnt(2)
	v_exp_f32_e32 v34, s24
	s_nop 2
	v_accvgpr_read_b32 v17, a15
	v_accvgpr_read_b32 v2, a4
	;; [unrolled: 1-line block ×16, first 2 shown]
	v_fma_f32 v16, v32, v34, v16
	v_fmac_f32_e32 v17, v33, v34
	v_fma_f32 v2, v18, v34, v2
	v_fma_f32 v3, v19, v34, v3
	v_fma_f32 v4, v20, v34, v4
	v_fmac_f32_e32 v5, v21, v34
	v_fma_f32 v10, v26, v34, v10
	v_fma_f32 v11, v27, v34, v11
	;; [unrolled: 4-line block ×4, first 2 shown]
	s_add_i32 s65, s65, 64
	v_mov_b64_e32 v[32:33], v[16:17]
	s_cmp_eq_u32 s56, s41
	s_mov_b32 s70, s41
	v_mov_b64_e32 v[30:31], v[14:15]
	v_mov_b64_e32 v[28:29], v[12:13]
	;; [unrolled: 1-line block ×7, first 2 shown]
	s_cbranch_scc1 .LBB297_4
.LBB297_33:                             ; =>This Inner Loop Header: Depth=1
	s_add_i32 s41, s70, 1
	s_cmp_lt_i32 s41, s56
	s_mov_b64 s[28:29], 0
	s_cselect_b64 s[46:47], -1, 0
	s_cmp_ge_i32 s41, s56
	s_mov_b64 s[24:25], 0
	s_cbranch_scc1 .LBB297_35
; %bb.34:                               ;   in Loop: Header=BB297_33 Depth=1
	s_add_i32 s0, s65, 64
	s_add_u32 s0, s4, s0
	s_addc_u32 s1, s5, 0
	s_lshl_b64 s[0:1], s[0:1], 8
	s_add_u32 s24, s14, s0
	s_addc_u32 s25, s15, s1
.LBB297_35:                             ;   in Loop: Header=BB297_33 Depth=1
	v_cndmask_b32_e64 v2, 0, 1, s[46:47]
	v_cmp_ne_u32_e64 s[0:1], 1, v2
	s_andn2_b64 vcc, exec, s[46:47]
	s_cbranch_vccnz .LBB297_37
; %bb.36:                               ;   in Loop: Header=BB297_33 Depth=1
	s_add_i32 s28, s65, 64
	s_add_u32 s28, s68, s28
	s_addc_u32 s29, s69, 0
	s_mul_i32 s31, s28, s58
	s_mul_hi_u32 s46, s28, s62
	s_add_i32 s31, s46, s31
	s_mul_i32 s29, s29, s62
	s_add_i32 s31, s31, s29
	s_mul_i32 s28, s28, s62
	s_add_u32 s28, s28, s59
	s_addc_u32 s29, s31, s63
	s_lshl_b64 s[28:29], s[28:29], 8
	s_add_u32 s28, s12, s28
	s_addc_u32 s29, s13, s29
.LBB297_37:                             ;   in Loop: Header=BB297_33 Depth=1
	v_perm_b32 v3, v21, v20, s3
	v_perm_b32 v2, v19, v18, s3
	;; [unrolled: 1-line block ×4, first 2 shown]
	ds_write_b64 v79, v[2:3]
	ds_write_b64 v80, v[4:5]
	;; [unrolled: 1-line block ×4, first 2 shown]
	v_perm_b32 v3, v29, v28, s3
	v_perm_b32 v2, v27, v26, s3
	;; [unrolled: 1-line block ×4, first 2 shown]
	ds_write_b64 v81, v[2:3]
	ds_write_b64 v82, v[4:5]
	;; [unrolled: 1-line block ×4, first 2 shown]
	s_waitcnt lgkmcnt(0)
	s_barrier
	ds_read_b64 v[6:7], v87 offset:24576
	ds_read2_b64 v[2:5], v88 offset1:16
	ds_read_b64 v[10:11], v90 offset:3072
	ds_read_b64 v[12:13], v88 offset:3072
	;; [unrolled: 1-line block ×3, first 2 shown]
	s_waitcnt lgkmcnt(3)
	v_mfma_f32_16x16x16_bf16 a[0:3], v[6:7], v[2:3], 0
	s_add_i32 s31, s65, 63
	s_mul_i32 s46, s31, s37
	s_mul_hi_u32 s47, s31, s36
	v_mfma_f32_16x16x16_bf16 a[4:7], v[6:7], v[4:5], 0
	ds_read2st64_b64 v[2:5], v88 offset0:2 offset1:4
	ds_read2st64_b64 v[6:9], v90 offset0:2 offset1:4
	s_add_i32 s47, s47, s46
	s_waitcnt lgkmcnt(1)
	v_mfma_f32_16x16x16_bf16 a[0:3], v[14:15], v[2:3], a[0:3]
	s_mul_i32 s46, s31, s36
	s_lshl_b64 s[46:47], s[46:47], 2
	s_add_u32 s46, s44, s46
	s_waitcnt lgkmcnt(0)
	v_mfma_f32_16x16x16_bf16 a[4:7], v[14:15], v[6:7], a[4:7]
	ds_read_b64 v[2:3], v91 offset:24576
	ds_read_b64 v[6:7], v92 offset:24576
	s_addc_u32 s47, s45, s47
	s_and_b64 vcc, exec, s[0:1]
	s_waitcnt lgkmcnt(1)
	v_mfma_f32_16x16x16_bf16 a[0:3], v[2:3], v[4:5], a[0:3]
	v_mov_b32_e32 v109, 0
	v_mov_b32_e32 v108, 0
	;; [unrolled: 1-line block ×3, first 2 shown]
	v_mfma_f32_16x16x16_bf16 a[8:11], v[2:3], v[8:9], a[4:7]
	v_mov_b32_e32 v2, 0
	v_mov_b32_e32 v3, 0
	;; [unrolled: 1-line block ×3, first 2 shown]
	s_waitcnt lgkmcnt(0)
	v_mfma_f32_16x16x16_bf16 a[4:7], v[6:7], v[12:13], a[0:3]
	v_mov_b32_e32 v5, 0
	v_mov_b32_e32 v8, 0
	;; [unrolled: 1-line block ×3, first 2 shown]
	v_mfma_f32_16x16x16_bf16 a[0:3], v[6:7], v[10:11], a[8:11]
	v_mov_b32_e32 v6, 0
	v_mov_b32_e32 v7, 0
	;; [unrolled: 1-line block ×10, first 2 shown]
	s_cbranch_vccnz .LBB297_39
; %bb.38:                               ;   in Loop: Header=BB297_33 Depth=1
	s_and_b32 s25, s25, 0xffff
	buffer_load_dwordx4 v[14:17], v75, s[24:27], 0 offen
	buffer_load_dwordx4 v[10:13], v75, s[24:27], s64 offen
	;; [unrolled: 1-line block ×4, first 2 shown]
	v_mov_b32_e32 v108, v77
	v_mov_b32_e32 v107, v78
.LBB297_39:                             ;   in Loop: Header=BB297_33 Depth=1
	ds_read_b64 v[42:43], v87 offset:32768
	ds_read2_b64 v[34:37], v93 offset1:16
	ds_read_b64 v[44:45], v89 offset:32768
	ds_read_b64 v[46:47], v91 offset:32768
	;; [unrolled: 1-line block ×3, first 2 shown]
	ds_read2st64_b64 v[38:41], v93 offset0:2 offset1:4
	v_add_u32_e32 v110, s65, v71
	s_waitcnt lgkmcnt(4)
	v_mfma_f32_16x16x16_bf16 a[4:7], v[42:43], v[34:35], a[4:7]
	v_ashrrev_i32_e32 v34, 31, v110
	v_mfma_f32_16x16x16_bf16 a[0:3], v[42:43], v[36:37], a[0:3]
	v_mul_lo_u32 v36, v110, s37
	v_mul_lo_u32 v37, v34, s36
	v_mad_u64_u32 v[34:35], s[24:25], v110, s36, 0
	v_add3_u32 v35, v35, v36, v37
	v_add_u32_e32 v36, 1, v110
	v_ashrrev_i32_e32 v37, 31, v36
	s_waitcnt lgkmcnt(0)
	v_mfma_f32_16x16x16_bf16 a[4:7], v[44:45], v[38:39], a[4:7]
	v_mul_lo_u32 v38, v37, s36
	v_mul_lo_u32 v39, v36, s37
	v_mad_u64_u32 v[36:37], s[24:25], v36, s36, 0
	v_add3_u32 v37, v37, v39, v38
	v_add_u32_e32 v38, 2, v110
	v_ashrrev_i32_e32 v39, 31, v38
	v_mul_lo_u32 v42, v39, s36
	v_mul_lo_u32 v43, v38, s37
	v_mad_u64_u32 v[38:39], s[24:25], v38, s36, 0
	v_add3_u32 v39, v39, v43, v42
	v_add_u32_e32 v42, 3, v110
	v_ashrrev_i32_e32 v43, 31, v42
	v_mul_lo_u32 v110, v43, s36
	v_mul_lo_u32 v111, v42, s37
	v_mad_u64_u32 v[42:43], s[24:25], v42, s36, 0
	s_add_u32 s24, s4, s65
	s_addc_u32 s25, s5, 0
	s_lshl_b64 s[72:73], s[24:25], 8
	v_lshl_add_u64 v[34:35], v[34:35], 2, s[44:45]
	v_add3_u32 v43, v43, v111, v110
	v_lshl_add_u64 v[110:111], v[60:61], 0, s[72:73]
	v_lshl_add_u64 v[36:37], v[36:37], 2, s[44:45]
	;; [unrolled: 1-line block ×3, first 2 shown]
	global_load_dword v112, v[34:35], off
	global_load_ushort v113, v[110:111], off offset:256
	global_load_ushort v114, v[110:111], off
	global_load_ushort v115, v[110:111], off offset:768
	v_lshl_add_u64 v[34:35], v[42:43], 2, s[44:45]
	v_lshl_add_u64 v[38:39], v[38:39], 2, s[44:45]
	global_load_dword v116, v[36:37], off
	global_load_dword v117, v[38:39], off
	;; [unrolled: 1-line block ×3, first 2 shown]
	ds_read2st64_b64 v[34:37], v94 offset0:2 offset1:4
	s_waitcnt lgkmcnt(0)
	v_mfma_f32_16x16x16_bf16 a[0:3], v[44:45], v[34:35], a[0:3]
	global_load_ushort v44, v[110:111], off offset:512
	global_load_ushort v119, v[110:111], off offset:800
	;; [unrolled: 1-line block ×4, first 2 shown]
	s_nop 0
	global_load_ushort v110, v[110:111], off offset:32
	s_and_b64 vcc, exec, s[0:1]
	v_mfma_f32_16x16x16_bf16 a[4:7], v[46:47], v[40:41], a[4:7]
	s_waitcnt vmcnt(10)
	v_lshlrev_b32_e32 v43, 16, v113
	v_mfma_f32_16x16x16_bf16 a[0:3], v[46:47], v[36:37], a[0:3]
	ds_read_b64 v[34:35], v93 offset:3072
	ds_read_b64 v[36:37], v94 offset:3072
	s_load_dword s24, s[46:47], 0x0
	s_waitcnt vmcnt(9)
	v_lshlrev_b32_e32 v42, 16, v114
	s_waitcnt lgkmcnt(0)
	v_mfma_f32_16x16x16_bf16 a[4:7], v[48:49], v[34:35], a[4:7]
	v_lshl_add_u64 v[34:35], v[62:63], 0, s[72:73]
	v_sub_f32_e32 v46, s24, v112
	s_waitcnt vmcnt(7)
	v_sub_f32_e32 v47, s24, v116
	v_mfma_f32_16x16x16_bf16 a[0:3], v[48:49], v[36:37], a[0:3]
	s_waitcnt vmcnt(6)
	v_sub_f32_e32 v48, s24, v117
	s_waitcnt vmcnt(5)
	v_sub_f32_e32 v49, s24, v118
	v_accvgpr_read_b32 v41, a5
	v_accvgpr_read_b32 v40, a4
	v_exp_f32_e32 v46, v46
	v_pk_add_f32 v[40:41], v[42:43], v[40:41] neg_lo:[0,1] neg_hi:[0,1]
	v_exp_f32_e32 v47, v47
	v_exp_f32_e32 v42, v48
	;; [unrolled: 1-line block ×3, first 2 shown]
	v_accvgpr_read_b32 v37, a7
	v_accvgpr_read_b32 v36, a6
	v_lshlrev_b32_e32 v45, 16, v115
	s_waitcnt vmcnt(4)
	v_lshlrev_b32_e32 v44, 16, v44
	v_lshl_add_u64 v[34:35], v[34:35], 0, v[58:59]
	v_pk_add_f32 v[36:37], v[44:45], v[36:37] neg_lo:[0,1] neg_hi:[0,1]
	global_store_short_d16_hi v[34:35], v40, off
	global_store_short_d16_hi v[34:35], v41, off offset:256
	global_store_short_d16_hi v[34:35], v36, off offset:512
	;; [unrolled: 1-line block ×3, first 2 shown]
	v_pk_mul_f32 v[40:41], v[46:47], v[40:41]
	v_pk_mul_f32 v[36:37], v[42:43], v[36:37]
	v_accvgpr_read_b32 v45, a1
	v_perm_b32 v40, v41, v40, s3
	v_perm_b32 v41, v37, v36, s3
	s_waitcnt vmcnt(5)
	v_lshlrev_b32_e32 v37, 16, v121
	s_waitcnt vmcnt(4)
	v_lshlrev_b32_e32 v36, 16, v110
	v_accvgpr_read_b32 v44, a0
	v_accvgpr_read_b32 v39, a3
	;; [unrolled: 1-line block ×3, first 2 shown]
	v_pk_add_f32 v[36:37], v[36:37], v[44:45] neg_lo:[0,1] neg_hi:[0,1]
	v_lshlrev_b32_e32 v45, 16, v119
	v_lshlrev_b32_e32 v44, 16, v120
	v_pk_add_f32 v[38:39], v[44:45], v[38:39] neg_lo:[0,1] neg_hi:[0,1]
	global_store_short_d16_hi v[34:35], v36, off offset:32
	global_store_short_d16_hi v[34:35], v37, off offset:288
	;; [unrolled: 1-line block ×4, first 2 shown]
	v_pk_mul_f32 v[34:35], v[46:47], v[36:37]
	v_pk_mul_f32 v[36:37], v[42:43], v[38:39]
	v_mov_b32_e32 v110, 0
	v_perm_b32 v37, v37, v36, s3
	v_perm_b32 v36, v35, v34, s3
	ds_write2_b64 v80, v[40:41], v[36:37] offset1:16
	v_mov_b32_e32 v34, 0
	v_mov_b32_e32 v35, 0
	;; [unrolled: 1-line block ×16, first 2 shown]
	s_cbranch_vccnz .LBB297_41
; %bb.40:                               ;   in Loop: Header=BB297_33 Depth=1
	s_and_b32 s29, s29, 0xffff
	s_mov_b32 s31, s27
	buffer_load_dwordx4 v[46:49], v102, s[28:31], 0 offen
	buffer_load_dwordx4 v[38:41], v102, s[28:31], s64 offen
	buffer_load_dwordx4 v[42:45], v103, s[28:31], 0 offen
	buffer_load_dwordx4 v[34:37], v103, s[28:31], s64 offen
	v_mov_b32_e32 v109, v74
	v_mov_b32_e32 v110, v73
.LBB297_41:                             ;   in Loop: Header=BB297_33 Depth=1
	s_waitcnt lgkmcnt(0)
	s_barrier
	ds_read_b64 v[116:117], v57
	ds_read_b64 v[124:125], v98
	;; [unrolled: 1-line block ×5, first 2 shown]
	ds_read_b64 v[130:131], v99 offset:16384
	ds_read_b64 v[132:133], v97 offset:16384
	ds_read2_b64 v[112:115], v93 offset0:16 offset1:128
	s_waitcnt lgkmcnt(6)
	v_mfma_f32_16x16x16_bf16 a[0:3], v[116:117], v[124:125], 0
	ds_read_b64 v[134:135], v94 offset:3072
	ds_read_b64 v[136:137], v101 offset:16384
	s_add_i32 s25, s60, s70
	s_waitcnt lgkmcnt(2)
	v_mfma_f32_16x16x16_bf16 a[4:7], v[116:117], v[112:113], 0
	ds_read2st64_b64 v[116:119], v94 offset0:2 offset1:4
	s_mul_hi_i32 s29, s25, s21
	s_mul_i32 s25, s25, s21
	v_mfma_f32_16x16x16_bf16 a[0:3], v[120:121], v[114:115], a[0:3]
	s_add_u32 s28, s25, s53
	s_addc_u32 s29, s29, s57
	s_lshl_b64 s[28:29], s[28:29], 15
	s_waitcnt lgkmcnt(0)
	v_mfma_f32_16x16x16_bf16 a[4:7], v[120:121], v[116:117], a[4:7]
	ds_read2st64_b64 v[120:123], v93 offset0:4 offset1:6
	s_waitcnt lgkmcnt(0)
	v_mfma_f32_16x16x16_bf16 a[0:3], v[126:127], v[120:121], a[0:3]
	v_mfma_f32_16x16x16_bf16 a[8:11], v[126:127], v[118:119], a[4:7]
	;; [unrolled: 1-line block ×5, first 2 shown]
	ds_read2st64_b64 v[124:127], v96 offset1:8
	v_mfma_f32_16x16x16_bf16 a[12:15], v[132:133], v[112:113], 0
	ds_read_b64 v[132:133], v100 offset:16384
	v_mfma_f32_16x16x16_bf16 a[8:11], v[130:131], v[114:115], a[8:11]
	ds_read2st64_b64 v[112:115], v95 offset1:8
	s_waitcnt lgkmcnt(0)
	v_mov_b32_e32 v128, v112
	v_mfma_f32_16x16x16_bf16 a[12:15], v[130:131], v[116:117], a[12:15]
	v_lshl_add_u64 v[116:117], v[64:65], 0, s[28:29]
	v_add_co_u32_e32 v112, vcc, s39, v116
	v_mfma_f32_16x16x16_bf16 a[8:11], v[132:133], v[120:121], a[8:11]
	v_mov_b32_e32 v129, v113
	v_addc_co_u32_e32 v113, vcc, 0, v117, vcc
	v_mfma_f32_16x16x16_bf16 a[12:15], v[132:133], v[118:119], a[12:15]
	v_mov_b32_e32 v130, v124
	v_mov_b32_e32 v131, v125
	;; [unrolled: 1-line block ×3, first 2 shown]
	v_mfma_f32_16x16x16_bf16 a[8:11], v[136:137], v[122:123], a[8:11]
	v_mov_b32_e32 v125, v115
	s_and_b64 vcc, exec, s[0:1]
	global_store_dwordx4 v[116:117], v[128:131], off
	v_mfma_f32_16x16x16_bf16 a[12:15], v[136:137], v[134:135], a[12:15]
	global_store_dwordx4 v[112:113], v[124:127], off
	s_cbranch_vccnz .LBB297_32
; %bb.42:                               ;   in Loop: Header=BB297_33 Depth=1
	v_lshrrev_b32_e32 v111, 3, v109
	v_and_b32_e32 v111, 6, v111
	v_xor_b32_e32 v110, v111, v110
	v_lshlrev_b32_e32 v110, 2, v110
	v_and_b32_e32 v109, 8, v109
	v_xor_b32_e32 v112, 0x440, v110
	v_cmp_eq_u32_e32 vcc, 0, v109
	s_barrier
	s_nop 0
	v_cndmask_b32_e32 v109, v112, v110, vcc
	v_lshl_or_b32 v109, v111, 10, v109
	s_waitcnt vmcnt(3)
	v_perm_b32 v110, v46, v42, s66
	s_waitcnt vmcnt(2)
	v_perm_b32 v111, v38, v34, s66
	ds_write2st64_b32 v109, v110, v111 offset0:32 offset1:64
	v_xor_b32_e32 v110, 8, v109
	v_perm_b32 v42, v46, v42, s67
	v_perm_b32 v34, v38, v34, s67
	v_add_u32_e32 v38, 0x80, v110
	ds_write2st64_b32 v38, v42, v34 offset0:32 offset1:64
	v_xor_b32_e32 v34, 16, v109
	v_perm_b32 v38, v47, v43, s66
	v_perm_b32 v42, v39, v35, s66
	ds_write2st64_b32 v34, v38, v42 offset0:33 offset1:65
	v_xor_b32_e32 v34, 24, v109
	v_perm_b32 v38, v47, v43, s67
	v_perm_b32 v35, v39, v35, s67
	v_add_u32_e32 v34, 0x80, v34
	ds_write2st64_b32 v34, v38, v35 offset0:33 offset1:65
	v_xor_b32_e32 v34, 32, v109
	v_perm_b32 v35, v48, v44, s66
	;; [unrolled: 9-line block ×3, first 2 shown]
	v_perm_b32 v36, v41, v37, s66
	ds_write2st64_b32 v34, v35, v36 offset0:35 offset1:67
	v_xor_b32_e32 v34, 56, v109
	v_perm_b32 v35, v49, v45, s67
	v_perm_b32 v36, v41, v37, s67
	v_add_u32_e32 v34, 0x80, v34
	ds_write2st64_b32 v34, v35, v36 offset0:35 offset1:67
	ds_write_b64 v108, v[14:15] offset:24576
	v_xor_b32_e32 v14, 8, v108
	ds_write_b64 v14, v[16:17] offset:24576
	ds_write_b64 v108, v[10:11] offset:32768
	;; [unrolled: 1-line block ×4, first 2 shown]
	v_xor_b32_e32 v6, 8, v107
	ds_write_b64 v6, v[8:9] offset:24576
	ds_write_b64 v107, v[2:3] offset:32768
	;; [unrolled: 1-line block ×3, first 2 shown]
	s_branch .LBB297_32
.LBB297_43:
                                        ; implicit-def: $vgpr21
                                        ; implicit-def: $vgpr25
                                        ; implicit-def: $vgpr29
                                        ; implicit-def: $vgpr33
	s_cbranch_execz .LBB297_45
; %bb.44:
	s_waitcnt vmcnt(0)
	v_mad_u64_u32 v[18:19], s[0:1], v36, s23, v[34:35]
	v_lshlrev_b32_e32 v36, 1, v18
	s_lshl_b32 s2, s23, 7
	s_and_b32 s1, s5, 0xffff
	s_mov_b32 s3, 0x20000
	s_mov_b32 s0, s4
	v_add_lshl_u32 v37, v18, s23, 1
	s_movk_i32 s6, 0x80
	buffer_load_dwordx4 v[18:21], v36, s[0:3], 0 offen
	buffer_load_dwordx4 v[26:29], v36, s[0:3], s6 offen
	;; [unrolled: 1-line block ×4, first 2 shown]
.LBB297_45:
	v_lshrrev_b32_e32 v47, 2, v51
	s_cbranch_execnz .LBB297_58
.LBB297_46:
	s_and_b64 vcc, exec, s[14:15]
	s_cbranch_vccz .LBB297_56
; %bb.47:
	s_waitcnt vmcnt(0)
	v_lshlrev_b32_e32 v23, 1, v42
	v_cmp_gt_i32_e32 vcc, s31, v23
	v_mov_b32_e32 v22, 0
	v_lshlrev_b32_e32 v30, 9, v42
	v_mov_b32_e32 v18, 0
	v_mov_b32_e32 v19, 0
	;; [unrolled: 1-line block ×4, first 2 shown]
	s_and_saveexec_b64 s[0:1], vcc
	s_cbranch_execz .LBB297_49
; %bb.48:
	v_mov_b32_e32 v31, 0
	v_lshl_add_u64 v[18:19], s[4:5], 0, v[30:31]
	v_lshlrev_b32_e32 v20, 1, v34
	v_mov_b32_e32 v21, v31
	v_lshl_add_u64 v[18:19], v[18:19], 0, v[20:21]
	global_load_dwordx4 v[18:21], v[18:19], off
.LBB297_49:
	s_or_b64 exec, exec, s[0:1]
	v_or_b32_e32 v23, 1, v23
	v_cmp_gt_i32_e64 s[0:1], s31, v23
	v_lshlrev_b32_e32 v36, 8, v23
	v_mov_b32_e32 v23, 0
	v_mov_b32_e32 v24, 0
	;; [unrolled: 1-line block ×3, first 2 shown]
	s_and_saveexec_b64 s[2:3], s[0:1]
	s_cbranch_execz .LBB297_51
; %bb.50:
	v_mov_b32_e32 v37, 0
	v_lshl_add_u64 v[22:23], s[4:5], 0, v[36:37]
	v_lshlrev_b32_e32 v24, 1, v34
	v_mov_b32_e32 v25, v37
	v_lshl_add_u64 v[22:23], v[22:23], 0, v[24:25]
	global_load_dwordx4 v[22:25], v[22:23], off
.LBB297_51:
	s_or_b64 exec, exec, s[2:3]
	v_mov_b32_e32 v33, 0
	v_mov_b32_e32 v26, 0
	;; [unrolled: 1-line block ×5, first 2 shown]
	s_and_saveexec_b64 s[2:3], vcc
	s_cbranch_execz .LBB297_53
; %bb.52:
	v_mov_b32_e32 v31, 0
	v_lshl_add_u64 v[26:27], s[4:5], 0, v[30:31]
	v_lshlrev_b32_e32 v30, 1, v34
	v_lshl_add_u64 v[26:27], v[26:27], 0, v[30:31]
	global_load_dwordx4 v[26:29], v[26:27], off offset:128
.LBB297_53:
	s_or_b64 exec, exec, s[2:3]
	v_mov_b32_e32 v32, 0
	v_mov_b32_e32 v31, 0
	;; [unrolled: 1-line block ×3, first 2 shown]
	s_and_saveexec_b64 s[2:3], s[0:1]
	s_cbranch_execz .LBB297_55
; %bb.54:
	v_mov_b32_e32 v37, 0
	v_lshl_add_u64 v[30:31], s[4:5], 0, v[36:37]
	v_lshlrev_b32_e32 v36, 1, v34
	v_lshl_add_u64 v[30:31], v[30:31], 0, v[36:37]
	global_load_dwordx4 v[30:33], v[30:31], off offset:128
.LBB297_55:
	s_or_b64 exec, exec, s[2:3]
	s_branch .LBB297_58
.LBB297_56:
                                        ; implicit-def: $vgpr21
                                        ; implicit-def: $vgpr25
                                        ; implicit-def: $vgpr29
                                        ; implicit-def: $vgpr33
	s_cbranch_execz .LBB297_58
; %bb.57:
	s_waitcnt vmcnt(0)
	v_lshlrev_b32_e32 v18, 1, v34
	v_lshl_or_b32 v34, v42, 9, v18
	s_and_b32 s5, s5, 0xffff
	s_mov_b32 s7, 0x20000
	s_movk_i32 s6, 0x4000
	s_movk_i32 s0, 0x80
	buffer_load_dwordx4 v[18:21], v34, s[4:7], 0 offen
	buffer_load_dwordx4 v[22:25], v34, s[4:7], 0 offen offset:256
	buffer_load_dwordx4 v[26:29], v34, s[4:7], s0 offen
	buffer_load_dwordx4 v[30:33], v34, s[4:7], s0 offen offset:256
.LBB297_58:
	ds_read_b64 v[36:37], v43 offset:32768
	v_add_u32_e32 v34, 0xb000, v40
	ds_read2_b64 v[58:61], v34 offset1:16
	ds_read_b64 v[48:49], v44 offset:32768
	ds_read_b64 v[44:45], v45 offset:32768
	;; [unrolled: 1-line block ×3, first 2 shown]
	v_and_b32_e32 v34, 6, v0
	v_xor_b32_e32 v42, v42, v34
	v_lshlrev_b32_e32 v42, 2, v42
	v_and_b32_e32 v43, 1, v0
	v_xor_b32_e32 v46, 0x440, v42
	v_cmp_eq_u32_e32 vcc, 0, v43
	s_waitcnt lgkmcnt(3)
	v_mfma_f32_16x16x16_bf16 a[0:3], v[36:37], v[58:59], a[0:3]
	s_mov_b32 s0, 0x1000504
	v_cndmask_b32_e32 v42, v46, v42, vcc
	v_lshl_or_b32 v34, v34, 10, v42
	v_mfma_f32_16x16x16_bf16 a[4:7], v[36:37], v[60:61], a[4:7]
	ds_read2st64_b64 v[58:61], v40 offset0:90 offset1:92
	ds_read2st64_b64 v[62:65], v41 offset0:90 offset1:92
	s_waitcnt vmcnt(0)
	v_perm_b32 v42, v18, v22, s0
	s_mov_b32 s1, 0x3020706
	s_waitcnt lgkmcnt(1)
	v_mfma_f32_16x16x16_bf16 a[0:3], v[48:49], v[58:59], a[0:3]
	ds_read_b64 v[36:37], v40 offset:48128
	ds_read_b64 v[58:59], v41 offset:48128
	v_perm_b32 v18, v18, v22, s1
	v_perm_b32 v22, v26, v30, s1
	s_waitcnt lgkmcnt(2)
	v_mfma_f32_16x16x16_bf16 a[4:7], v[48:49], v[62:63], a[4:7]
	v_and_or_b32 v43, v47, 12, v66
	v_mfma_f32_16x16x16_bf16 a[0:3], v[44:45], v[60:61], a[0:3]
	v_mfma_f32_16x16x16_bf16 a[8:11], v[44:45], v[64:65], a[4:7]
	s_waitcnt lgkmcnt(1)
	v_mfma_f32_16x16x16_bf16 a[4:7], v[68:69], v[36:37], a[0:3]
	v_perm_b32 v36, v26, v30, s0
	ds_write2st64_b32 v34, v42, v36 offset0:32 offset1:64
	v_xor_b32_e32 v36, 8, v34
	v_add_u32_e32 v26, 0x80, v36
	ds_write2st64_b32 v26, v18, v22 offset0:32 offset1:64
	v_xor_b32_e32 v18, 16, v34
	v_perm_b32 v22, v19, v23, s0
	v_perm_b32 v26, v27, v31, s0
	ds_write2st64_b32 v18, v22, v26 offset0:33 offset1:65
	v_xor_b32_e32 v18, 24, v34
	v_perm_b32 v19, v19, v23, s1
	v_perm_b32 v22, v27, v31, s1
	v_add_u32_e32 v18, 0x80, v18
	ds_write2st64_b32 v18, v19, v22 offset0:33 offset1:65
	v_xor_b32_e32 v18, 32, v34
	v_perm_b32 v19, v20, v24, s0
	v_perm_b32 v22, v28, v32, s0
	ds_write2st64_b32 v18, v19, v22 offset0:34 offset1:66
	v_xor_b32_e32 v18, 40, v34
	s_waitcnt lgkmcnt(5)
	v_mfma_f32_16x16x16_bf16 a[0:3], v[68:69], v[58:59], a[8:11]
	v_perm_b32 v19, v20, v24, s1
	v_perm_b32 v20, v28, v32, s1
	v_add_u32_e32 v18, 0x80, v18
	ds_write2st64_b32 v18, v19, v20 offset0:34 offset1:66
	v_xor_b32_e32 v18, 48, v34
	v_perm_b32 v19, v21, v25, s0
	v_perm_b32 v20, v29, v33, s0
	ds_write2st64_b32 v18, v19, v20 offset0:35 offset1:67
	v_xor_b32_e32 v18, 56, v34
	v_perm_b32 v19, v21, v25, s1
	v_perm_b32 v20, v29, v33, s1
	v_add_u32_e32 v18, 0x80, v18
	v_cmp_gt_i32_e64 s[0:1], s31, v43
	v_mov_b32_e32 v36, 0
	v_mov_b32_e32 v37, 0
	ds_write2st64_b32 v18, v19, v20 offset0:35 offset1:67
	s_and_saveexec_b64 s[2:3], s[0:1]
	s_cbranch_execz .LBB297_60
; %bb.59:
	v_add_u32_e32 v18, s30, v43
	v_ashrrev_i32_e32 v19, 31, v18
	v_mul_lo_u32 v20, v19, s36
	v_mul_lo_u32 v21, v18, s37
	v_mad_u64_u32 v[18:19], s[4:5], v18, s36, 0
	v_add3_u32 v19, v19, v21, v20
	v_lshl_add_u64 v[18:19], v[18:19], 2, s[12:13]
	global_load_dword v18, v[18:19], off
	s_waitcnt vmcnt(0)
	v_sub_f32_e32 v18, s18, v18
	v_exp_f32_e32 v37, v18
.LBB297_60:
	s_or_b64 exec, exec, s[2:3]
	v_or_b32_e32 v30, 1, v43
	v_cmp_gt_i32_e64 s[4:5], s31, v30
	s_and_saveexec_b64 s[2:3], s[4:5]
	s_cbranch_execz .LBB297_62
; %bb.61:
	v_add_u32_e32 v18, s30, v30
	v_ashrrev_i32_e32 v19, 31, v18
	v_mul_lo_u32 v20, v19, s36
	v_mul_lo_u32 v21, v18, s37
	v_mad_u64_u32 v[18:19], s[6:7], v18, s36, 0
	v_add3_u32 v19, v19, v21, v20
	v_lshl_add_u64 v[18:19], v[18:19], 2, s[12:13]
	global_load_dword v18, v[18:19], off
	s_waitcnt vmcnt(0)
	v_sub_f32_e32 v18, s18, v18
	v_exp_f32_e32 v36, v18
.LBB297_62:
	s_or_b64 exec, exec, s[2:3]
	v_or_b32_e32 v28, 2, v43
	v_cmp_gt_i32_e64 s[2:3], s31, v28
	v_mov_b32_e32 v34, 0
	v_mov_b32_e32 v42, 0
	s_and_saveexec_b64 s[6:7], s[2:3]
	s_cbranch_execz .LBB297_64
; %bb.63:
	v_add_u32_e32 v18, s30, v28
	v_ashrrev_i32_e32 v19, 31, v18
	v_mul_lo_u32 v20, v19, s36
	v_mul_lo_u32 v21, v18, s37
	v_mad_u64_u32 v[18:19], s[14:15], v18, s36, 0
	v_add3_u32 v19, v19, v21, v20
	v_lshl_add_u64 v[18:19], v[18:19], 2, s[12:13]
	global_load_dword v18, v[18:19], off
	s_waitcnt vmcnt(0)
	v_sub_f32_e32 v18, s18, v18
	v_exp_f32_e32 v42, v18
.LBB297_64:
	s_or_b64 exec, exec, s[6:7]
	v_or_b32_e32 v29, 3, v43
	v_cmp_gt_i32_e32 vcc, s31, v29
	s_and_saveexec_b64 s[6:7], vcc
	s_cbranch_execz .LBB297_66
; %bb.65:
	v_add_u32_e32 v18, s30, v29
	v_ashrrev_i32_e32 v19, 31, v18
	v_mul_lo_u32 v20, v19, s36
	v_mul_lo_u32 v21, v18, s37
	v_mad_u64_u32 v[18:19], s[14:15], v18, s36, 0
	v_add3_u32 v19, v19, v21, v20
	v_lshl_add_u64 v[18:19], v[18:19], 2, s[12:13]
	global_load_dword v18, v[18:19], off
	s_waitcnt vmcnt(0)
	v_sub_f32_e32 v18, s18, v18
	v_exp_f32_e32 v34, v18
.LBB297_66:
	s_or_b64 exec, exec, s[6:7]
	s_add_u32 s6, s16, s24
	s_addc_u32 s7, s17, s25
	s_add_u32 s8, s8, s24
	v_ashrrev_i32_e32 v57, 31, v56
	v_accvgpr_read_b32 v21, a7
	s_addc_u32 s9, s9, s25
	v_lshlrev_b64 v[22:23], 1, v[56:57]
	v_accvgpr_read_b32 v20, a6
	v_accvgpr_read_b32 v19, a5
	;; [unrolled: 1-line block ×3, first 2 shown]
	v_lshl_add_u64 v[24:25], s[6:7], 0, v[22:23]
	v_lshl_add_u64 v[22:23], s[8:9], 0, v[22:23]
	v_mov_b32_e32 v31, 0
	v_lshlrev_b32_e32 v26, 8, v43
	v_mov_b32_e32 v27, 0
	s_and_saveexec_b64 s[6:7], s[0:1]
	s_cbranch_execz .LBB297_68
; %bb.67:
	v_mov_b32_e32 v27, 0
	v_lshl_add_u64 v[32:33], v[24:25], 0, v[26:27]
	global_load_ushort v44, v[32:33], off
	v_lshl_add_u64 v[32:33], v[22:23], 0, v[26:27]
	s_waitcnt vmcnt(0)
	v_lshlrev_b32_e32 v27, 16, v44
	v_sub_f32_e32 v18, v27, v18
	global_store_short_d16_hi v[32:33], v18, off
	v_mul_f32_e32 v18, v37, v18
	v_lshrrev_b32_e32 v27, 16, v18
.LBB297_68:
	s_or_b64 exec, exec, s[6:7]
	v_lshlrev_b32_e32 v30, 8, v30
	s_and_saveexec_b64 s[6:7], s[4:5]
	s_cbranch_execz .LBB297_70
; %bb.69:
	v_mov_b32_e32 v31, 0
	v_lshl_add_u64 v[32:33], v[24:25], 0, v[30:31]
	global_load_ushort v18, v[32:33], off
	v_lshl_add_u64 v[32:33], v[22:23], 0, v[30:31]
	s_waitcnt vmcnt(0)
	v_lshlrev_b32_e32 v18, 16, v18
	v_sub_f32_e32 v18, v18, v19
	global_store_short_d16_hi v[32:33], v18, off
	v_mul_f32_e32 v18, v36, v18
	v_lshrrev_b32_e32 v31, 16, v18
.LBB297_70:
	s_or_b64 exec, exec, s[6:7]
	v_mov_b32_e32 v44, 0
	v_lshlrev_b32_e32 v32, 8, v28
	v_mov_b32_e32 v33, 0
	s_and_saveexec_b64 s[6:7], s[2:3]
	s_cbranch_execz .LBB297_72
; %bb.71:
	v_mov_b32_e32 v33, 0
	v_lshl_add_u64 v[18:19], v[24:25], 0, v[32:33]
	global_load_ushort v28, v[18:19], off
	v_lshl_add_u64 v[18:19], v[22:23], 0, v[32:33]
	s_waitcnt vmcnt(0)
	v_lshlrev_b32_e32 v28, 16, v28
	v_sub_f32_e32 v20, v28, v20
	global_store_short_d16_hi v[18:19], v20, off
	v_mul_f32_e32 v18, v42, v20
	v_lshrrev_b32_e32 v33, 16, v18
.LBB297_72:
	s_or_b64 exec, exec, s[6:7]
	v_lshlrev_b32_e32 v28, 8, v29
	s_and_saveexec_b64 s[6:7], vcc
	s_cbranch_execz .LBB297_74
; %bb.73:
	v_mov_b32_e32 v29, 0
	v_lshl_add_u64 v[18:19], v[24:25], 0, v[28:29]
	global_load_ushort v20, v[18:19], off
	v_lshl_add_u64 v[18:19], v[22:23], 0, v[28:29]
	s_waitcnt vmcnt(0)
	v_lshlrev_b32_e32 v20, 16, v20
	v_sub_f32_e32 v20, v20, v21
	global_store_short_d16_hi v[18:19], v20, off
	v_mul_f32_e32 v18, v34, v20
	v_lshrrev_b32_e32 v44, 16, v18
.LBB297_74:
	s_or_b64 exec, exec, s[6:7]
	v_lshlrev_b32_e32 v43, 5, v43
	s_mov_b32 s6, 0x5040100
	v_perm_b32 v45, v44, v33, s6
	v_perm_b32 v44, v31, v27, s6
	v_or_b32_e32 v27, v43, v38
	v_accvgpr_read_b32 v21, a3
	v_lshlrev_b32_e32 v27, 1, v27
	v_accvgpr_read_b32 v20, a2
	v_accvgpr_read_b32 v19, a1
	;; [unrolled: 1-line block ×3, first 2 shown]
	ds_write_b64 v27, v[44:45] offset:45056
	v_mov_b32_e32 v31, 0
	v_mov_b32_e32 v27, 0
	s_and_saveexec_b64 s[6:7], s[0:1]
	s_cbranch_execz .LBB297_76
; %bb.75:
	v_mov_b32_e32 v27, 0
	v_lshl_add_u64 v[44:45], v[24:25], 0, v[26:27]
	global_load_ushort v29, v[44:45], off offset:32
	v_lshl_add_u64 v[26:27], v[22:23], 0, v[26:27]
	s_waitcnt vmcnt(0)
	v_lshlrev_b32_e32 v29, 16, v29
	v_sub_f32_e32 v18, v29, v18
	global_store_short_d16_hi v[26:27], v18, off offset:32
	v_mul_f32_e32 v18, v37, v18
	v_lshrrev_b32_e32 v27, 16, v18
.LBB297_76:
	s_or_b64 exec, exec, s[6:7]
	s_and_saveexec_b64 s[0:1], s[4:5]
	s_cbranch_execz .LBB297_78
; %bb.77:
	v_mov_b32_e32 v31, 0
	v_lshl_add_u64 v[44:45], v[24:25], 0, v[30:31]
	global_load_ushort v18, v[44:45], off offset:32
	v_lshl_add_u64 v[30:31], v[22:23], 0, v[30:31]
	s_waitcnt vmcnt(0)
	v_lshlrev_b32_e32 v18, 16, v18
	v_sub_f32_e32 v18, v18, v19
	global_store_short_d16_hi v[30:31], v18, off offset:32
	v_mul_f32_e32 v18, v36, v18
	v_lshrrev_b32_e32 v31, 16, v18
.LBB297_78:
	s_or_b64 exec, exec, s[0:1]
	v_mov_b32_e32 v26, 0
	v_mov_b32_e32 v30, 0
	s_and_saveexec_b64 s[0:1], s[2:3]
	s_cbranch_execz .LBB297_80
; %bb.79:
	v_mov_b32_e32 v33, 0
	v_lshl_add_u64 v[18:19], v[24:25], 0, v[32:33]
	global_load_ushort v29, v[18:19], off offset:32
	v_lshl_add_u64 v[18:19], v[22:23], 0, v[32:33]
	s_waitcnt vmcnt(0)
	v_lshlrev_b32_e32 v29, 16, v29
	v_sub_f32_e32 v20, v29, v20
	global_store_short_d16_hi v[18:19], v20, off offset:32
	v_mul_f32_e32 v18, v42, v20
	v_lshrrev_b32_e32 v30, 16, v18
.LBB297_80:
	s_or_b64 exec, exec, s[0:1]
	v_or_b32_e32 v19, 0xb000, v40
	v_or_b32_e32 v18, 0xb000, v41
	s_and_saveexec_b64 s[0:1], vcc
	s_cbranch_execz .LBB297_82
; %bb.81:
	v_mov_b32_e32 v29, 0
	v_lshl_add_u64 v[24:25], v[24:25], 0, v[28:29]
	global_load_ushort v20, v[24:25], off offset:32
	v_lshl_add_u64 v[22:23], v[22:23], 0, v[28:29]
	s_waitcnt vmcnt(0)
	v_lshlrev_b32_e32 v20, 16, v20
	v_sub_f32_e32 v20, v20, v21
	global_store_short_d16_hi v[22:23], v20, off offset:32
	v_mul_f32_e32 v20, v34, v20
	v_lshrrev_b32_e32 v26, 16, v20
.LBB297_82:
	s_or_b64 exec, exec, s[0:1]
	s_mov_b32 s0, 0x5040100
	v_or_b32_e32 v22, v43, v35
	v_perm_b32 v21, v26, v30, s0
	v_perm_b32 v20, v31, v27, s0
	v_lshlrev_b32_e32 v22, 1, v22
	s_movk_i32 s0, 0x100
	ds_write_b64 v22, v[20:21] offset:45056
	v_and_b32_e32 v20, 7, v0
	v_and_b32_e32 v21, 8, v0
	v_cmp_gt_u32_e32 vcc, s0, v0
	v_lshrrev_b32_e32 v0, 1, v0
	v_lshlrev_b32_e32 v37, 3, v1
	v_and_b32_e32 v38, 24, v0
	v_lshlrev_b32_e32 v34, 3, v20
	v_lshlrev_b32_e32 v35, 7, v20
	v_mov_b32_e32 v20, 0x4000
	v_mov_b32_e32 v22, 0x2000
	v_xor_b32_e32 v0, v37, v38
	v_cndmask_b32_e32 v36, v20, v22, vcc
	v_or_b32_e32 v1, 0x440, v0
	v_cmp_eq_u32_e32 vcc, 0, v21
	s_waitcnt lgkmcnt(0)
	s_barrier
	v_cndmask_b32_e32 v0, v1, v0, vcc
	v_or_b32_e32 v0, v0, v39
	v_xad_u32 v40, v0, v34, v35
	v_add_u32_e32 v0, v36, v40
	ds_read_b64 v[0:1], v0
	ds_read2_b64 v[20:23], v19 offset1:16
	v_or_b32_e32 v24, 32, v38
	v_xor_b32_e32 v24, v37, v24
	v_or_b32_e32 v25, 0x440, v24
	v_cndmask_b32_e32 v24, v25, v24, vcc
	s_waitcnt lgkmcnt(0)
	v_mfma_f32_16x16x16_bf16 a[0:3], v[0:1], v[20:21], 0
	v_or_b32_e32 v24, v24, v39
	v_xad_u32 v41, v24, v34, v35
	v_add_u32_e32 v24, v36, v41
	v_mfma_f32_16x16x16_bf16 a[4:7], v[0:1], v[22:23], 0
	v_or_b32_e32 v0, 64, v38
	v_xor_b32_e32 v0, v37, v0
	v_xor_b32_e32 v1, 0x440, v0
	ds_read_b64 v[32:33], v24
	v_cndmask_b32_e32 v0, v1, v0, vcc
	v_or_b32_e32 v0, v0, v39
	v_xad_u32 v42, v0, v34, v35
	v_add_u32_e32 v0, v36, v42
	ds_read_b64 v[0:1], v0
	ds_read2st64_b64 v[24:27], v19 offset0:2 offset1:4
	ds_read2st64_b64 v[28:31], v18 offset0:2 offset1:4
	s_waitcnt lgkmcnt(1)
	v_mfma_f32_16x16x16_bf16 a[0:3], v[32:33], v[24:25], a[0:3]
	s_waitcnt lgkmcnt(0)
	v_mfma_f32_16x16x16_bf16 a[4:7], v[32:33], v[28:29], a[4:7]
	v_or_b32_e32 v32, 0x60, v38
	v_xor_b32_e32 v32, v37, v32
	v_xor_b32_e32 v33, 0x440, v32
	v_cndmask_b32_e32 v32, v33, v32, vcc
	v_or_b32_e32 v32, v32, v39
	v_xad_u32 v37, v32, v34, v35
	v_add_u32_e32 v32, v36, v37
	ds_read_b64 v[32:33], v32
	v_mfma_f32_16x16x16_bf16 a[0:3], v[0:1], v[26:27], a[0:3]
	v_exp_f32_e32 v36, s18
	v_mfma_f32_16x16x16_bf16 a[4:7], v[0:1], v[30:31], a[4:7]
	ds_read_b64 v[0:1], v19 offset:3072
	ds_read_b64 v[34:35], v18 offset:3072
	ds_read_b64 v[18:19], v40 offset:16384
	s_waitcnt lgkmcnt(0)
	v_mfma_f32_16x16x16_bf16 a[8:11], v[18:19], v[20:21], 0
	ds_read_b64 v[20:21], v41 offset:16384
	v_mfma_f32_16x16x16_bf16 a[0:3], v[32:33], v[0:1], a[0:3]
	v_mfma_f32_16x16x16_bf16 a[12:15], v[18:19], v[22:23], 0
	ds_read_b64 v[22:23], v42 offset:16384
	s_nop 4
	v_accvgpr_read_b32 v18, a0
	v_fma_f32 v18, v2, v36, v18
	v_accvgpr_read_b32 v2, a1
	v_fma_f32 v19, v3, v36, v2
	v_accvgpr_read_b32 v2, a2
	s_waitcnt lgkmcnt(1)
	v_mfma_f32_16x16x16_bf16 a[8:11], v[20:21], v[24:25], a[8:11]
	v_mfma_f32_16x16x16_bf16 a[12:15], v[20:21], v[28:29], a[12:15]
	v_fma_f32 v20, v4, v36, v2
	ds_read_b64 v[2:3], v37 offset:16384
	v_accvgpr_read_b32 v21, a3
	s_waitcnt lgkmcnt(1)
	v_mfma_f32_16x16x16_bf16 a[0:3], v[22:23], v[26:27], a[8:11]
	v_fmac_f32_e32 v21, v5, v36
	v_mfma_f32_16x16x16_bf16 a[4:7], v[32:33], v[34:35], a[4:7]
	v_mfma_f32_16x16x16_bf16 a[8:11], v[22:23], v[30:31], a[12:15]
	s_waitcnt lgkmcnt(0)
	v_mfma_f32_16x16x16_bf16 a[0:3], v[2:3], v[0:1], a[0:3]
	s_nop 3
	v_accvgpr_read_b32 v4, a4
	v_fma_f32 v26, v10, v36, v4
	v_accvgpr_read_b32 v4, a5
	v_fma_f32 v27, v11, v36, v4
	v_accvgpr_read_b32 v4, a6
	v_accvgpr_read_b32 v29, a7
	v_mfma_f32_16x16x16_bf16 a[4:7], v[2:3], v[34:35], a[8:11]
	v_accvgpr_read_b32 v0, a0
	v_fma_f32 v22, v6, v36, v0
	v_accvgpr_read_b32 v0, a1
	v_fma_f32 v23, v7, v36, v0
	;; [unrolled: 2-line block ×3, first 2 shown]
	v_accvgpr_read_b32 v25, a3
	v_accvgpr_read_b32 v0, a4
	v_fma_f32 v30, v14, v36, v0
	v_accvgpr_read_b32 v0, a5
	v_fma_f32 v31, v15, v36, v0
	v_accvgpr_read_b32 v0, a6
	v_accvgpr_read_b32 v33, a7
	v_fma_f32 v28, v12, v36, v4
	v_fmac_f32_e32 v29, v13, v36
	v_fmac_f32_e32 v25, v9, v36
	v_fma_f32 v32, v16, v36, v0
	v_fmac_f32_e32 v33, v17, v36
	v_mov_b64_e32 v[2:3], v[18:19]
	v_mov_b64_e32 v[4:5], v[20:21]
	;; [unrolled: 1-line block ×8, first 2 shown]
.LBB297_83:
	s_add_u32 s0, s10, s34
	s_addc_u32 s1, s11, s35
	v_lshl_add_u64 v[0:1], v[52:53], 1, s[0:1]
	v_mov_b32_e32 v51, 0
	s_mov_b32 s2, 0x7060302
	v_lshl_add_u64 v[0:1], v[0:1], 0, v[50:51]
	v_perm_b32 v5, v5, v4, s2
	v_perm_b32 v4, v3, v2, s2
	;; [unrolled: 1-line block ×4, first 2 shown]
	global_store_dwordx2 v[0:1], v[4:5], off
	global_store_dwordx2 v[0:1], v[2:3], off offset:128
	v_lshl_add_u64 v[0:1], v[54:55], 1, s[0:1]
	v_lshl_add_u64 v[0:1], v[0:1], 0, v[50:51]
	v_perm_b32 v3, v13, v12, s2
	v_perm_b32 v2, v11, v10, s2
	global_store_dwordx2 v[0:1], v[2:3], off
	v_perm_b32 v3, v17, v16, s2
	v_perm_b32 v2, v15, v14, s2
	global_store_dwordx2 v[0:1], v[2:3], off offset:128
	s_endpgm
	.section	.rodata,"a",@progbits
	.p2align	6, 0x0
	.amdhsa_kernel _ZN12_GLOBAL__N_139chunk_gated_delta_rule_fwd_h_hip_kernelILi32ELb1ELb1ELb1ELb0ELb1ELb0ELb1ELb1EEEvPK12hip_bfloat16S3_S3_PKfS5_PKvPS1_S8_PvPKiSB_iiiiilll
		.amdhsa_group_segment_fixed_size 49152
		.amdhsa_private_segment_fixed_size 0
		.amdhsa_kernarg_size 136
		.amdhsa_user_sgpr_count 2
		.amdhsa_user_sgpr_dispatch_ptr 0
		.amdhsa_user_sgpr_queue_ptr 0
		.amdhsa_user_sgpr_kernarg_segment_ptr 1
		.amdhsa_user_sgpr_dispatch_id 0
		.amdhsa_user_sgpr_kernarg_preload_length 0
		.amdhsa_user_sgpr_kernarg_preload_offset 0
		.amdhsa_user_sgpr_private_segment_size 0
		.amdhsa_uses_dynamic_stack 0
		.amdhsa_enable_private_segment 0
		.amdhsa_system_sgpr_workgroup_id_x 1
		.amdhsa_system_sgpr_workgroup_id_y 1
		.amdhsa_system_sgpr_workgroup_id_z 0
		.amdhsa_system_sgpr_workgroup_info 0
		.amdhsa_system_vgpr_workitem_id 0
		.amdhsa_next_free_vgpr 156
		.amdhsa_next_free_sgpr 74
		.amdhsa_accum_offset 140
		.amdhsa_reserve_vcc 1
		.amdhsa_float_round_mode_32 0
		.amdhsa_float_round_mode_16_64 0
		.amdhsa_float_denorm_mode_32 3
		.amdhsa_float_denorm_mode_16_64 3
		.amdhsa_dx10_clamp 1
		.amdhsa_ieee_mode 1
		.amdhsa_fp16_overflow 0
		.amdhsa_tg_split 0
		.amdhsa_exception_fp_ieee_invalid_op 0
		.amdhsa_exception_fp_denorm_src 0
		.amdhsa_exception_fp_ieee_div_zero 0
		.amdhsa_exception_fp_ieee_overflow 0
		.amdhsa_exception_fp_ieee_underflow 0
		.amdhsa_exception_fp_ieee_inexact 0
		.amdhsa_exception_int_div_zero 0
	.end_amdhsa_kernel
	.section	.text._ZN12_GLOBAL__N_139chunk_gated_delta_rule_fwd_h_hip_kernelILi32ELb1ELb1ELb1ELb0ELb1ELb0ELb1ELb1EEEvPK12hip_bfloat16S3_S3_PKfS5_PKvPS1_S8_PvPKiSB_iiiiilll,"axG",@progbits,_ZN12_GLOBAL__N_139chunk_gated_delta_rule_fwd_h_hip_kernelILi32ELb1ELb1ELb1ELb0ELb1ELb0ELb1ELb1EEEvPK12hip_bfloat16S3_S3_PKfS5_PKvPS1_S8_PvPKiSB_iiiiilll,comdat
.Lfunc_end297:
	.size	_ZN12_GLOBAL__N_139chunk_gated_delta_rule_fwd_h_hip_kernelILi32ELb1ELb1ELb1ELb0ELb1ELb0ELb1ELb1EEEvPK12hip_bfloat16S3_S3_PKfS5_PKvPS1_S8_PvPKiSB_iiiiilll, .Lfunc_end297-_ZN12_GLOBAL__N_139chunk_gated_delta_rule_fwd_h_hip_kernelILi32ELb1ELb1ELb1ELb0ELb1ELb0ELb1ELb1EEEvPK12hip_bfloat16S3_S3_PKfS5_PKvPS1_S8_PvPKiSB_iiiiilll
                                        ; -- End function
	.section	.AMDGPU.csdata,"",@progbits
; Kernel info:
; codeLenInByte = 9680
; NumSgprs: 80
; NumVgprs: 138
; NumAgprs: 16
; TotalNumVgprs: 156
; ScratchSize: 0
; MemoryBound: 0
; FloatMode: 240
; IeeeMode: 1
; LDSByteSize: 49152 bytes/workgroup (compile time only)
; SGPRBlocks: 9
; VGPRBlocks: 19
; NumSGPRsForWavesPerEU: 80
; NumVGPRsForWavesPerEU: 156
; AccumOffset: 140
; Occupancy: 1
; WaveLimiterHint : 1
; COMPUTE_PGM_RSRC2:SCRATCH_EN: 0
; COMPUTE_PGM_RSRC2:USER_SGPR: 2
; COMPUTE_PGM_RSRC2:TRAP_HANDLER: 0
; COMPUTE_PGM_RSRC2:TGID_X_EN: 1
; COMPUTE_PGM_RSRC2:TGID_Y_EN: 1
; COMPUTE_PGM_RSRC2:TGID_Z_EN: 0
; COMPUTE_PGM_RSRC2:TIDIG_COMP_CNT: 0
; COMPUTE_PGM_RSRC3_GFX90A:ACCUM_OFFSET: 34
; COMPUTE_PGM_RSRC3_GFX90A:TG_SPLIT: 0
	.section	.text._ZN12_GLOBAL__N_139chunk_gated_delta_rule_fwd_h_hip_kernelILi32ELb1ELb1ELb0ELb0ELb1ELb0ELb1ELb1EEEvPK12hip_bfloat16S3_S3_PKfS5_PKvPS1_S8_PvPKiSB_iiiiilll,"axG",@progbits,_ZN12_GLOBAL__N_139chunk_gated_delta_rule_fwd_h_hip_kernelILi32ELb1ELb1ELb0ELb0ELb1ELb0ELb1ELb1EEEvPK12hip_bfloat16S3_S3_PKfS5_PKvPS1_S8_PvPKiSB_iiiiilll,comdat
	.globl	_ZN12_GLOBAL__N_139chunk_gated_delta_rule_fwd_h_hip_kernelILi32ELb1ELb1ELb0ELb0ELb1ELb0ELb1ELb1EEEvPK12hip_bfloat16S3_S3_PKfS5_PKvPS1_S8_PvPKiSB_iiiiilll ; -- Begin function _ZN12_GLOBAL__N_139chunk_gated_delta_rule_fwd_h_hip_kernelILi32ELb1ELb1ELb0ELb0ELb1ELb0ELb1ELb1EEEvPK12hip_bfloat16S3_S3_PKfS5_PKvPS1_S8_PvPKiSB_iiiiilll
	.p2align	8
	.type	_ZN12_GLOBAL__N_139chunk_gated_delta_rule_fwd_h_hip_kernelILi32ELb1ELb1ELb0ELb0ELb1ELb0ELb1ELb1EEEvPK12hip_bfloat16S3_S3_PKfS5_PKvPS1_S8_PvPKiSB_iiiiilll,@function
_ZN12_GLOBAL__N_139chunk_gated_delta_rule_fwd_h_hip_kernelILi32ELb1ELb1ELb0ELb0ELb1ELb0ELb1ELb1EEEvPK12hip_bfloat16S3_S3_PKfS5_PKvPS1_S8_PvPKiSB_iiiiilll: ; @_ZN12_GLOBAL__N_139chunk_gated_delta_rule_fwd_h_hip_kernelILi32ELb1ELb1ELb0ELb0ELb1ELb0ELb1ELb1EEEvPK12hip_bfloat16S3_S3_PKfS5_PKvPS1_S8_PvPKiSB_iiiiilll
; %bb.0:
	s_load_dwordx4 s[12:15], s[0:1], 0x5c
	s_load_dwordx4 s[20:23], s[0:1], 0x70
	s_abs_i32 s6, s3
	s_ashr_i32 s5, s3, 31
	s_load_dwordx4 s[16:19], s[0:1], 0x28
	s_waitcnt lgkmcnt(0)
	s_abs_i32 s4, s13
	v_cvt_f32_u32_e32 v1, s4
	s_sub_i32 s8, 0, s4
	s_ashr_i32 s7, s13, 31
	s_xor_b32 s5, s5, s7
	v_rcp_iflag_f32_e32 v1, v1
	v_and_b32_e32 v66, 15, v0
	v_bfe_u32 v65, v0, 4, 2
	v_mov_b32_e32 v51, 0
	v_mul_f32_e32 v1, 0x4f7ffffe, v1
	v_cvt_u32_f32_e32 v1, v1
	v_lshlrev_b32_e32 v67, 3, v0
	v_readfirstlane_b32 s9, v1
	s_mul_i32 s8, s8, s9
	s_mul_hi_u32 s8, s9, s8
	s_add_i32 s9, s9, s8
	s_mul_hi_u32 s8, s6, s9
	s_mul_i32 s9, s8, s4
	s_sub_i32 s6, s6, s9
	s_add_i32 s10, s8, 1
	s_sub_i32 s9, s6, s4
	s_cmp_ge_u32 s6, s4
	s_cselect_b32 s8, s10, s8
	s_cselect_b32 s6, s9, s6
	s_add_i32 s9, s8, 1
	s_cmp_ge_u32 s6, s4
	s_cselect_b32 s6, s9, s8
	s_xor_b32 s6, s6, s5
	s_add_i32 s8, s12, 63
	s_sub_i32 s53, s6, s5
	s_ashr_i32 s9, s8, 31
	s_mul_i32 s5, s53, s13
	s_sub_i32 s51, s3, s5
	s_lshr_b32 s3, s9, 26
	s_add_i32 s8, s8, s3
	s_abs_i32 s3, s14
	v_cvt_f32_u32_e32 v1, s3
	s_ashr_i32 s52, s12, 31
	s_lshr_b32 s6, s52, 26
	s_add_i32 s6, s12, s6
	v_rcp_iflag_f32_e32 v1, v1
	s_ashr_i32 s56, s14, 31
	s_ashr_i32 s24, s8, 6
	;; [unrolled: 1-line block ×3, first 2 shown]
	v_mul_f32_e32 v1, 0x4f7ffffe, v1
	v_cvt_u32_f32_e32 v1, v1
	s_xor_b32 s6, s7, s56
	s_sub_i32 s7, 0, s3
	s_lshl_b32 s2, s2, 5
	v_readfirstlane_b32 s8, v1
	s_mul_i32 s7, s7, s8
	s_mul_hi_u32 s7, s8, s7
	s_add_i32 s8, s8, s7
	s_mul_hi_u32 s7, s4, s8
	s_mul_i32 s8, s7, s3
	s_sub_i32 s4, s4, s8
	s_add_i32 s8, s7, 1
	s_sub_i32 s9, s4, s3
	s_cmp_ge_u32 s4, s3
	s_cselect_b32 s7, s8, s7
	s_cselect_b32 s4, s9, s4
	s_add_i32 s8, s7, 1
	s_cmp_ge_u32 s4, s3
	s_cselect_b32 s3, s8, s7
	s_xor_b32 s3, s3, s6
	s_sub_i32 s3, s3, s6
	s_abs_i32 s4, s3
	v_cvt_f32_u32_e32 v1, s4
	s_sub_i32 s7, 0, s4
	s_abs_i32 s6, s51
	s_xor_b32 s3, s51, s3
	v_rcp_iflag_f32_e32 v2, v1
	s_ashr_i32 s3, s3, 31
	v_or_b32_e32 v56, s2, v66
	v_lshrrev_b32_e32 v1, 6, v0
	v_mul_f32_e32 v2, 0x4f7ffffe, v2
	v_cvt_u32_f32_e32 v2, v2
	v_lshlrev_b32_e32 v52, 7, v56
	v_lshlrev_b32_e32 v64, 4, v1
	v_or_b32_e32 v54, 0x800, v52
	v_readfirstlane_b32 s8, v2
	s_mul_i32 s7, s7, s8
	s_mul_hi_u32 s7, s8, s7
	s_add_i32 s8, s8, s7
	s_mul_hi_u32 s7, s6, s8
	s_mul_i32 s8, s7, s4
	s_sub_i32 s6, s6, s8
	s_add_i32 s8, s7, 1
	s_sub_i32 s9, s6, s4
	s_cmp_ge_u32 s6, s4
	s_cselect_b32 s7, s8, s7
	s_cselect_b32 s6, s9, s6
	s_add_i32 s8, s7, 1
	s_cmp_ge_u32 s6, s4
	s_cselect_b32 s4, s8, s7
	s_xor_b32 s4, s4, s3
	s_sub_i32 s57, s4, s3
	s_ashr_i32 s3, s53, 31
	s_ashr_i32 s55, s51, 31
	s_mul_hi_i32 s4, s53, s13
	s_add_u32 s40, s5, s51
	s_addc_u32 s41, s4, s55
	s_lshl_b64 s[28:29], s[40:41], 15
	s_add_u32 s4, s16, s28
	v_lshl_or_b32 v69, v65, 2, v64
	s_addc_u32 s5, s17, s29
	v_ashrrev_i32_e32 v53, 31, v52
	v_ashrrev_i32_e32 v55, 31, v54
	v_lshl_add_u64 v[2:3], v[52:53], 1, s[4:5]
	v_lshlrev_b32_e32 v50, 1, v69
	v_lshl_add_u64 v[6:7], v[54:55], 1, s[4:5]
	v_lshl_add_u64 v[2:3], v[2:3], 0, v[50:51]
	;; [unrolled: 1-line block ×3, first 2 shown]
	global_load_dwordx2 v[4:5], v[2:3], off
	v_and_b32_e32 v51, 63, v0
	global_load_dwordx2 v[2:3], v[2:3], off offset:128
	s_nop 0
	global_load_dwordx2 v[8:9], v[6:7], off
	global_load_dwordx2 v[10:11], v[6:7], off offset:128
	s_load_dwordx2 s[30:31], s[0:1], 0x40
	s_load_dwordx8 s[4:11], s[0:1], 0x0
	s_load_dwordx2 s[34:35], s[0:1], 0x80
	v_lshrrev_b32_e32 v68, 3, v51
	v_or_b32_e32 v70, 64, v69
	s_mul_i32 s33, s53, s21
	s_mul_hi_u32 s46, s53, s20
	s_mul_i32 s36, s53, s20
	s_mul_i32 s58, s53, s24
	;; [unrolled: 1-line block ×3, first 2 shown]
	s_mul_hi_u32 s48, s51, s22
	s_mul_i32 s50, s3, s20
	s_mul_i32 s49, s55, s22
	s_mul_hi_u32 s59, s40, s12
	s_mul_i32 s16, s40, s12
	s_mul_i32 s41, s41, s12
	s_cmp_lt_i32 s12, 64
	s_mul_i32 s38, s51, s22
	s_waitcnt vmcnt(3)
	v_and_b32_e32 v19, 0xffff0000, v4
	v_lshlrev_b32_e32 v18, 16, v4
	v_and_b32_e32 v21, 0xffff0000, v5
	v_lshlrev_b32_e32 v20, 16, v5
	s_waitcnt vmcnt(2)
	v_and_b32_e32 v23, 0xffff0000, v2
	v_lshlrev_b32_e32 v22, 16, v2
	v_and_b32_e32 v25, 0xffff0000, v3
	v_lshlrev_b32_e32 v24, 16, v3
	s_waitcnt vmcnt(1)
	v_and_b32_e32 v27, 0xffff0000, v8
	v_lshlrev_b32_e32 v26, 16, v8
	v_and_b32_e32 v29, 0xffff0000, v9
	v_lshlrev_b32_e32 v28, 16, v9
	s_waitcnt vmcnt(0)
	v_and_b32_e32 v31, 0xffff0000, v10
	v_lshlrev_b32_e32 v30, 16, v10
	v_and_b32_e32 v33, 0xffff0000, v11
	v_lshlrev_b32_e32 v32, 16, v11
	s_cbranch_scc1 .LBB298_3
; %bb.1:
	s_add_i32 s17, s59, s41
	s_lshl_b64 s[0:1], s[16:17], 8
	v_and_b32_e32 v72, 56, v67
	s_waitcnt lgkmcnt(0)
	s_add_u32 s20, s6, s0
	v_lshl_or_b32 v71, v1, 3, v68
	v_lshlrev_b32_e32 v2, 1, v72
	s_addc_u32 s0, s7, s1
	v_lshl_or_b32 v73, v71, 8, v2
	s_and_b32 s21, s0, 0xffff
	s_mov_b32 s23, 0x20000
	s_movk_i32 s22, 0x4000
	s_movk_i32 s0, 0x80
	v_or_b32_e32 v74, 0x2000, v73
	buffer_load_dwordx4 v[4:7], v73, s[20:23], 0 offen
	buffer_load_dwordx4 v[8:11], v73, s[20:23], s0 offen
	;; [unrolled: 1-line block ×4, first 2 shown]
	v_lshlrev_b32_e32 v3, 3, v71
	v_and_or_b32 v17, v0, 7, v3
	v_and_b32_e32 v3, 0x78, v3
	v_lshlrev_b32_e32 v17, 4, v17
	v_xor_b32_e32 v75, v17, v3
	v_mul_lo_u32 v16, v71, s15
	v_or_b32_e32 v76, 0x1000, v75
	v_xor_b32_e32 v3, 8, v75
	s_cmpk_eq_i32 s15, 0x80
	s_mov_b32 s60, s14
	v_xor_b32_e32 v17, 8, v76
	s_cselect_b64 s[0:1], -1, 0
	s_cmpk_lg_i32 s15, 0x80
	s_waitcnt vmcnt(3)
	ds_write_b64 v75, v[4:5] offset:24576
	ds_write_b64 v3, v[6:7] offset:24576
	s_waitcnt vmcnt(2)
	ds_write_b64 v75, v[8:9] offset:32768
	ds_write_b64 v3, v[10:11] offset:32768
	;; [unrolled: 3-line block ×4, first 2 shown]
	v_lshl_add_u32 v3, v16, 1, v72
	s_cbranch_scc0 .LBB298_29
; %bb.2:
	v_lshlrev_b32_e32 v5, 1, v3
	v_add_lshl_u32 v4, v3, s15, 1
	s_lshl_b32 s22, s15, 7
	v_lshl_or_b32 v2, v71, 9, v2
	s_cbranch_execz .LBB298_30
	s_branch .LBB298_31
.LBB298_3:
	v_mov_b64_e32 v[2:3], v[18:19]
	v_mov_b64_e32 v[4:5], v[20:21]
	;; [unrolled: 1-line block ×8, first 2 shown]
.LBB298_4:
	s_lshl_b32 s26, s54, 6
	s_sub_i32 s27, s12, s26
	s_cmp_gt_i32 s27, 0
	s_cbranch_scc0 .LBB298_83
; %bb.5:
	s_ashr_i32 s3, s26, 31
	s_cmpk_lg_i32 s15, 0x80
	s_cselect_b64 s[22:23], -1, 0
	s_and_b64 vcc, exec, s[22:23]
	s_cbranch_vccz .LBB298_7
; %bb.6:
	s_mul_i32 s1, s53, s12
	s_mul_hi_i32 s0, s53, s12
	s_add_u32 s1, s1, s26
	s_addc_u32 s0, s0, s3
	s_mul_i32 s17, s1, s56
	s_mul_hi_u32 s20, s1, s14
	s_add_i32 s17, s20, s17
	s_mul_i32 s0, s0, s14
	s_add_i32 s17, s17, s0
	s_mul_i32 s1, s1, s14
	s_ashr_i32 s0, s57, 31
	s_add_u32 s24, s1, s57
	s_addc_u32 s25, s17, s0
	s_cbranch_execz .LBB298_8
	s_branch .LBB298_9
.LBB298_7:
                                        ; implicit-def: $sgpr24_sgpr25
.LBB298_8:
	s_mul_hi_i32 s0, s53, s14
	s_mul_i32 s53, s53, s14
	s_ashr_i32 s1, s57, 31
	s_add_u32 s14, s53, s57
	s_addc_u32 s0, s0, s1
	s_mul_i32 s1, s14, s52
	s_mul_hi_u32 s17, s14, s12
	s_add_i32 s1, s17, s1
	s_mul_i32 s0, s0, s12
	s_add_i32 s1, s1, s0
	s_mul_i32 s14, s14, s12
	s_add_u32 s24, s14, s26
	s_addc_u32 s25, s1, s3
.LBB298_9:
	s_mul_i32 s0, s40, s52
	s_add_i32 s0, s59, s0
	s_add_i32 s14, s58, s54
	;; [unrolled: 1-line block ×3, first 2 shown]
	s_add_u32 s0, s16, s26
	v_lshlrev_b32_e32 v22, 5, v69
	v_lshlrev_b32_e32 v38, 2, v66
	s_addc_u32 s1, s1, s3
	s_mov_b32 s3, 0x7060302
	v_or_b32_e32 v25, v22, v38
	v_xor_b32_e32 v23, v69, v38
	v_perm_b32 v19, v5, v4, s3
	v_perm_b32 v18, v3, v2, s3
	;; [unrolled: 1-line block ×4, first 2 shown]
	v_lshlrev_b32_e32 v25, 1, v25
	v_xor_b32_e32 v24, v70, v38
	ds_write2st64_b64 v25, v[18:19], v[20:21] offset0:80 offset1:88
	v_lshlrev_b32_e32 v23, 1, v23
	v_lshlrev_b32_e32 v25, 8, v66
	s_lshl_b64 s[20:21], s[0:1], 8
	v_or_b32_e32 v26, v23, v25
	v_lshlrev_b32_e32 v24, 1, v24
	s_waitcnt lgkmcnt(0)
	s_add_u32 s0, s6, s20
	ds_write_b64 v26, v[18:19]
	v_or_b32_e32 v18, v24, v25
	s_addc_u32 s1, s7, s21
	ds_write_b64 v18, v[20:21]
	v_perm_b32 v19, v13, v12, s3
	v_perm_b32 v18, v11, v10, s3
	;; [unrolled: 1-line block ×4, first 2 shown]
	v_or_b32_e32 v25, 16, v66
	s_mul_hi_i32 s3, s14, s13
	s_mul_i32 s14, s14, s13
	v_lshlrev_b32_e32 v35, 2, v25
	s_add_u32 s6, s14, s51
	v_or_b32_e32 v22, v22, v35
	s_addc_u32 s7, s3, s55
	v_lshlrev_b32_e32 v22, 1, v22
	s_ashr_i32 s3, s2, 31
	s_lshl_b64 s[6:7], s[6:7], 15
	ds_write2st64_b64 v22, v[18:19], v[20:21] offset0:80 offset1:88
	v_lshlrev_b32_e32 v22, 8, v25
	s_add_u32 s6, s18, s6
	v_or_b32_e32 v23, v23, v22
	s_addc_u32 s7, s19, s7
	s_lshl_b64 s[2:3], s[2:3], 8
	ds_write_b64 v23, v[18:19]
	v_or_b32_e32 v18, v24, v22
	s_add_u32 s2, s6, s2
	ds_write_b64 v18, v[20:21]
	v_lshrrev_b32_e32 v18, 4, v0
	s_addc_u32 s3, s7, s3
	v_lshlrev_b32_e32 v19, 1, v66
	v_lshlrev_b32_e32 v26, 4, v66
	v_mov_b32_e32 v27, 0
	v_or_b32_e32 v20, 1, v19
	v_xor_b32_e32 v19, v18, v19
	v_lshl_add_u64 v[28:29], s[2:3], 0, v[26:27]
	v_lshlrev_b32_e32 v26, 8, v18
	v_xor_b32_e32 v22, v20, v18
	v_lshl_or_b32 v18, v19, 3, v26
	s_waitcnt lgkmcnt(0)
	s_barrier
	ds_read2st64_b64 v[18:21], v18 offset1:8
	v_lshl_or_b32 v22, v22, 3, v26
	ds_read2st64_b64 v[22:25], v22 offset1:8
	v_lshl_add_u64 v[30:31], v[28:29], 0, v[26:27]
	s_movk_i32 s2, 0x1000
	s_waitcnt lgkmcnt(1)
	v_mov_b32_e32 v26, v18
	v_add_co_u32_e32 v18, vcc, s2, v30
	s_cmp_lg_u32 s27, 64
	v_mov_b32_e32 v27, v19
	v_addc_co_u32_e32 v19, vcc, 0, v31, vcc
	s_cselect_b64 s[6:7], -1, 0
	v_lshl_or_b32 v42, v1, 3, v68
	s_waitcnt lgkmcnt(0)
	v_mov_b32_e32 v28, v22
	v_mov_b32_e32 v29, v23
	;; [unrolled: 1-line block ×4, first 2 shown]
	s_mov_b32 s16, 0
	v_or_b32_e32 v36, 32, v42
	v_and_b32_e32 v34, 56, v67
	s_and_b64 vcc, exec, s[6:7]
	global_store_dwordx4 v[30:31], v[26:29], off
	global_store_dwordx4 v[18:19], v[22:25], off
	s_cbranch_vccz .LBB298_15
; %bb.10:
	s_mov_b32 s18, s16
	s_mov_b32 s19, s16
	;; [unrolled: 1-line block ×3, first 2 shown]
	v_mov_b64_e32 v[24:25], s[18:19]
	v_mov_b64_e32 v[22:23], s[16:17]
	v_mov_b64_e32 v[18:19], v[22:23]
	v_cmp_gt_i32_e32 vcc, s27, v42
	v_mov_b64_e32 v[20:21], v[24:25]
	s_and_saveexec_b64 s[2:3], vcc
	s_cbranch_execz .LBB298_12
; %bb.11:
	v_lshlrev_b32_e32 v18, 8, v42
	v_mov_b32_e32 v19, 0
	v_lshl_add_u64 v[20:21], s[0:1], 0, v[18:19]
	v_lshlrev_b32_e32 v18, 1, v34
	v_lshl_add_u64 v[26:27], v[20:21], 0, v[18:19]
	global_load_dwordx4 v[22:25], v[26:27], off
	global_load_dwordx4 v[18:21], v[26:27], off offset:128
.LBB298_12:
	s_or_b64 exec, exec, s[2:3]
	s_mov_b32 s18, s16
	s_mov_b32 s19, s16
	s_mov_b32 s17, s16
	v_mov_b64_e32 v[32:33], s[18:19]
	v_mov_b64_e32 v[30:31], s[16:17]
	;; [unrolled: 1-line block ×3, first 2 shown]
	v_cmp_gt_i32_e32 vcc, s27, v36
	v_lshlrev_b32_e32 v37, 7, v36
	v_mov_b64_e32 v[28:29], v[32:33]
	s_and_saveexec_b64 s[2:3], vcc
	s_cbranch_execz .LBB298_14
; %bb.13:
	v_lshlrev_b32_e32 v26, 1, v37
	v_mov_b32_e32 v27, 0
	v_lshl_add_u64 v[28:29], s[0:1], 0, v[26:27]
	v_lshlrev_b32_e32 v26, 1, v34
	v_lshl_add_u64 v[40:41], v[28:29], 0, v[26:27]
	global_load_dwordx4 v[30:33], v[40:41], off
	global_load_dwordx4 v[26:29], v[40:41], off offset:128
.LBB298_14:
	s_or_b64 exec, exec, s[2:3]
	v_lshrrev_b32_e32 v39, 3, v34
	v_lshlrev_b32_e32 v40, 3, v42
	v_or_b32_e32 v39, v40, v39
	v_lshlrev_b32_e32 v39, 4, v39
	v_and_b32_e32 v40, 0x78, v40
	v_xor_b32_e32 v39, v39, v40
	s_branch .LBB298_17
.LBB298_15:
                                        ; implicit-def: $vgpr39
                                        ; implicit-def: $vgpr37
                                        ; implicit-def: $vgpr22_vgpr23_vgpr24_vgpr25
                                        ; implicit-def: $vgpr18_vgpr19_vgpr20_vgpr21
                                        ; implicit-def: $vgpr30_vgpr31_vgpr32_vgpr33
                                        ; implicit-def: $vgpr26_vgpr27_vgpr28_vgpr29
	s_cbranch_execz .LBB298_17
; %bb.16:
	s_waitcnt vmcnt(0)
	v_lshlrev_b32_e32 v18, 1, v34
	v_lshl_or_b32 v37, v42, 8, v18
	s_and_b32 s1, s1, 0xffff
	s_mov_b32 s3, 0x20000
	s_movk_i32 s2, 0x4000
	v_lshl_or_b32 v39, v36, 8, v18
	s_movk_i32 s13, 0x80
	buffer_load_dwordx4 v[22:25], v37, s[0:3], 0 offen
	buffer_load_dwordx4 v[18:21], v37, s[0:3], s13 offen
	;; [unrolled: 1-line block ×4, first 2 shown]
	v_lshrrev_b32_e32 v37, 3, v34
	v_lshlrev_b32_e32 v39, 3, v42
	v_or_b32_e32 v37, v39, v37
	v_lshlrev_b32_e32 v37, 4, v37
	v_and_b32_e32 v39, 0x78, v39
	v_xor_b32_e32 v39, v37, v39
	v_lshlrev_b32_e32 v37, 7, v36
.LBB298_17:
	s_lshl_b64 s[0:1], s[24:25], 8
	s_add_u32 s4, s4, s0
	s_movk_i32 s0, 0x1000
	v_and_or_b32 v36, v37, s0, v39
	s_waitcnt vmcnt(1)
	ds_write_b64 v39, v[22:23] offset:24576
	v_xor_b32_e32 v22, 8, v39
	ds_write_b64 v22, v[24:25] offset:24576
	s_waitcnt vmcnt(0)
	ds_write_b64 v39, v[18:19] offset:32768
	ds_write_b64 v22, v[20:21] offset:32768
	;; [unrolled: 1-line block ×3, first 2 shown]
	v_xor_b32_e32 v18, 8, v36
	ds_write_b64 v18, v[32:33] offset:24576
	ds_write_b64 v36, v[26:27] offset:32768
	;; [unrolled: 1-line block ×3, first 2 shown]
	v_or_b32_e32 v18, v64, v66
	v_lshlrev_b32_e32 v18, 3, v18
	v_lshrrev_b32_e32 v19, 5, v51
	s_movk_i32 s3, 0xf8
	v_and_or_b32 v19, v18, s3, v19
	v_lshlrev_b32_e32 v23, 4, v19
	v_lshlrev_b32_e32 v39, 11, v1
	v_and_b32_e32 v24, 0x78, v18
	v_or_b32_e32 v26, 32, v23
	v_and_b32_e32 v22, 0x1000, v39
	v_lshrrev_b32_e32 v19, 1, v51
	v_xor_b32_e32 v26, v26, v24
	v_xor_b32_e32 v18, v23, v24
	v_and_b32_e32 v25, 8, v19
	v_or_b32_e32 v26, v26, v22
	v_or_b32_e32 v18, v18, v22
	v_xor_b32_e32 v44, v26, v25
	v_or_b32_e32 v26, 64, v23
	v_xor_b32_e32 v43, v18, v25
	v_xor_b32_e32 v26, v26, v24
	s_waitcnt lgkmcnt(0)
	s_barrier
	v_or_b32_e32 v28, v26, v22
	ds_read_b64 v[26:27], v43 offset:24576
	v_lshl_or_b32 v36, v65, 7, v38
	v_lshlrev_b32_e32 v40, 1, v36
	v_add_u32_e32 v18, 0xa000, v40
	ds_read2_b64 v[18:21], v18 offset1:16
	v_or_b32_e32 v23, 0x60, v23
	v_xor_b32_e32 v23, v23, v24
	s_waitcnt lgkmcnt(0)
	v_mfma_f32_16x16x16_bf16 a[0:3], v[26:27], v[18:19], 0
	v_or_b32_e32 v18, 64, v36
	v_or_b32_e32 v22, v23, v22
	v_lshlrev_b32_e32 v41, 1, v18
	v_xor_b32_e32 v45, v28, v25
	v_xor_b32_e32 v46, v22, v25
	ds_read_b64 v[28:29], v44 offset:24576
	ds_read_b64 v[30:31], v45 offset:24576
	;; [unrolled: 1-line block ×3, first 2 shown]
	v_mfma_f32_16x16x16_bf16 a[4:7], v[26:27], v[20:21], 0
	ds_read2st64_b64 v[18:21], v41 offset0:82 offset1:84
	ds_read2st64_b64 v[22:25], v40 offset0:82 offset1:84
	s_addc_u32 s5, s5, s1
	s_add_i32 s1, s46, s33
	s_add_i32 s0, s12, -1
	s_add_i32 s37, s1, s50
	s_add_i32 s1, s48, s47
	;; [unrolled: 1-line block ×3, first 2 shown]
	s_ashr_i32 s1, s0, 31
	s_mul_i32 s2, s0, s35
	s_mul_hi_u32 s3, s0, s34
	s_add_i32 s2, s3, s2
	s_mul_i32 s1, s1, s34
	s_waitcnt lgkmcnt(1)
	v_mfma_f32_16x16x16_bf16 a[4:7], v[28:29], v[18:19], a[4:7]
	s_add_i32 s1, s2, s1
	s_lshl_b64 s[2:3], s[36:37], 2
	s_add_u32 s10, s10, s2
	s_waitcnt lgkmcnt(0)
	v_mfma_f32_16x16x16_bf16 a[0:3], v[28:29], v[22:23], a[0:3]
	s_addc_u32 s11, s11, s3
	s_lshl_b64 s[2:3], s[38:39], 2
	s_mul_i32 s0, s0, s34
	s_add_u32 s10, s10, s2
	ds_read_b64 v[18:19], v40 offset:44032
	v_mfma_f32_16x16x16_bf16 a[4:7], v[30:31], v[20:21], a[4:7]
	ds_read_b64 v[20:21], v41 offset:44032
	s_addc_u32 s11, s11, s3
	s_lshl_b64 s[0:1], s[0:1], 2
	v_mfma_f32_16x16x16_bf16 a[0:3], v[30:31], v[24:25], a[0:3]
	s_add_u32 s0, s10, s0
	s_addc_u32 s1, s11, s1
	s_load_dword s12, s[0:1], 0x0
	s_waitcnt lgkmcnt(0)
	v_mfma_f32_16x16x16_bf16 a[0:3], v[32:33], v[18:19], a[0:3]
	s_and_b64 vcc, exec, s[22:23]
	v_mfma_f32_16x16x16_bf16 a[4:7], v[32:33], v[20:21], a[4:7]
	s_cbranch_vccz .LBB298_28
; %bb.18:
	v_lshlrev_b32_e32 v36, 1, v42
	s_and_b64 vcc, exec, s[6:7]
	s_cbranch_vccz .LBB298_43
; %bb.19:
	v_cmp_gt_i32_e32 vcc, s27, v36
	v_mov_b32_e32 v22, 0
	v_mov_b32_e32 v18, 0
	v_mov_b32_e32 v19, 0
	v_mov_b32_e32 v20, 0
	v_mov_b32_e32 v21, 0
	s_and_saveexec_b64 s[0:1], vcc
	s_cbranch_execz .LBB298_21
; %bb.20:
	v_mad_i64_i32 v[18:19], s[2:3], s15, v36, 0
	v_lshl_add_u64 v[18:19], v[18:19], 1, s[4:5]
	v_lshlrev_b32_e32 v20, 1, v34
	v_mov_b32_e32 v21, 0
	v_lshl_add_u64 v[18:19], v[18:19], 0, v[20:21]
	global_load_dwordx4 v[18:21], v[18:19], off
.LBB298_21:
	s_or_b64 exec, exec, s[0:1]
	v_or_b32_e32 v37, 1, v36
	v_cmp_gt_i32_e64 s[0:1], s27, v37
	v_mov_b32_e32 v23, 0
	v_mov_b32_e32 v24, 0
	;; [unrolled: 1-line block ×3, first 2 shown]
	s_and_saveexec_b64 s[2:3], s[0:1]
	s_cbranch_execz .LBB298_23
; %bb.22:
	v_mad_i64_i32 v[22:23], s[16:17], s15, v37, 0
	v_lshl_add_u64 v[22:23], v[22:23], 1, s[4:5]
	v_lshlrev_b32_e32 v24, 1, v34
	v_mov_b32_e32 v25, 0
	v_lshl_add_u64 v[22:23], v[22:23], 0, v[24:25]
	global_load_dwordx4 v[22:25], v[22:23], off
.LBB298_23:
	s_or_b64 exec, exec, s[2:3]
	v_mov_b32_e32 v33, 0
	v_mov_b32_e32 v26, 0
	;; [unrolled: 1-line block ×5, first 2 shown]
	s_and_saveexec_b64 s[2:3], vcc
	s_cbranch_execz .LBB298_25
; %bb.24:
	v_mad_i64_i32 v[26:27], s[16:17], s15, v36, 0
	v_lshl_add_u64 v[26:27], v[26:27], 1, s[4:5]
	v_lshlrev_b32_e32 v28, 1, v34
	v_mov_b32_e32 v29, 0
	v_lshl_add_u64 v[26:27], v[26:27], 0, v[28:29]
	global_load_dwordx4 v[26:29], v[26:27], off offset:128
.LBB298_25:
	s_or_b64 exec, exec, s[2:3]
	v_mov_b32_e32 v32, 0
	v_mov_b32_e32 v31, 0
	v_mov_b32_e32 v30, 0
	s_and_saveexec_b64 s[2:3], s[0:1]
	s_cbranch_execz .LBB298_27
; %bb.26:
	v_mad_i64_i32 v[30:31], s[0:1], s15, v37, 0
	v_lshl_add_u64 v[30:31], v[30:31], 1, s[4:5]
	v_lshlrev_b32_e32 v32, 1, v34
	v_mov_b32_e32 v33, 0
	v_lshl_add_u64 v[30:31], v[30:31], 0, v[32:33]
	global_load_dwordx4 v[30:33], v[30:31], off offset:128
.LBB298_27:
	s_or_b64 exec, exec, s[2:3]
	s_branch .LBB298_45
.LBB298_28:
                                        ; implicit-def: $vgpr21
                                        ; implicit-def: $vgpr25
                                        ; implicit-def: $vgpr29
                                        ; implicit-def: $vgpr33
	v_lshrrev_b32_e32 v47, 2, v51
	s_branch .LBB298_46
.LBB298_29:
                                        ; implicit-def: $vgpr4
                                        ; implicit-def: $vgpr5
                                        ; implicit-def: $sgpr22
	v_lshl_or_b32 v2, v71, 9, v2
.LBB298_30:
	v_or_b32_e32 v4, 0x100, v2
	s_movk_i32 s22, 0x4000
	v_mov_b32_e32 v5, v2
.LBB298_31:
	s_mul_hi_u32 s20, s14, s12
	s_mul_i32 s21, s56, s12
	s_add_i32 s20, s20, s21
	s_mul_i32 s21, s14, s12
	s_mul_i32 s23, s21, s3
	s_mul_hi_u32 s24, s21, s53
	s_add_i32 s23, s24, s23
	s_mul_i32 s20, s20, s53
	s_add_i32 s23, s23, s20
	s_mul_i32 s21, s21, s53
	s_ashr_i32 s61, s57, 31
	s_add_u32 s20, s21, s57
	s_addc_u32 s21, s23, s61
	s_lshl_b64 s[20:21], s[20:21], 8
	s_add_u32 s20, s4, s20
	s_addc_u32 s21, s5, s21
	s_and_b32 s21, s21, 0xffff
	s_mov_b32 s23, 0x20000
	s_movk_i32 s62, 0x80
	buffer_load_dwordx4 v[6:9], v5, s[20:23], 0 offen
	buffer_load_dwordx4 v[10:13], v5, s[20:23], s62 offen
	;; [unrolled: 1-line block ×4, first 2 shown]
	v_and_b32_e32 v4, 6, v0
	v_lshlrev_b32_e32 v39, 6, v69
	v_or_b32_e32 v41, 16, v66
	v_xor_b32_e32 v42, v71, v4
	v_and_b32_e32 v5, 1, v0
	v_lshl_or_b32 v45, v66, 3, v39
	v_lshl_or_b32 v39, v41, 3, v39
	v_lshlrev_b32_e32 v42, 2, v42
	s_mul_i32 s3, s3, s12
	s_mul_hi_u32 s20, s53, s12
	v_lshlrev_b32_e32 v38, 2, v66
	v_or_b32_e32 v79, 0xa000, v39
	v_or_b32_e32 v80, 0xb000, v39
	v_xor_b32_e32 v39, 0x440, v42
	v_cmp_eq_u32_e32 vcc, 0, v5
	v_xor_b32_e32 v43, v69, v38
	v_xor_b32_e32 v44, v70, v38
	v_cndmask_b32_e32 v5, v39, v42, vcc
	s_add_i32 s67, s20, s3
	s_add_i32 s3, s46, s33
	s_mov_b32 s64, 0x1000504
	v_lshlrev_b32_e32 v40, 8, v66
	v_lshlrev_b32_e32 v43, 1, v43
	;; [unrolled: 1-line block ×3, first 2 shown]
	v_lshl_or_b32 v4, v4, 10, v5
	s_add_i32 s37, s3, s50
	s_add_i32 s3, s48, s47
	s_mov_b32 s65, 0x3020706
	v_or_b32_e32 v77, 0xa000, v45
	v_or_b32_e32 v78, 0xb000, v45
	v_or_b32_e32 v81, v40, v43
	v_or_b32_e32 v82, v40, v44
	v_xor_b32_e32 v5, 8, v4
	v_xor_b32_e32 v40, 24, v4
	;; [unrolled: 1-line block ×4, first 2 shown]
	s_add_i32 s39, s3, s49
	s_lshl_b64 s[20:21], s[36:37], 2
	v_xor_b32_e32 v39, 16, v4
	v_xor_b32_e32 v42, 32, v4
	;; [unrolled: 1-line block ×3, first 2 shown]
	v_add_u32_e32 v5, 0x80, v5
	v_add_u32_e32 v40, 0x80, v40
	;; [unrolled: 1-line block ×4, first 2 shown]
	s_add_u32 s3, s10, s20
	s_addc_u32 s22, s11, s21
	s_lshl_b64 s[20:21], s[38:39], 2
	s_add_u32 s42, s3, s20
	s_movk_i32 s3, 0xf8
	s_addc_u32 s43, s22, s21
	s_lshl_b32 s26, s15, 7
	s_movk_i32 s24, 0x100
	v_mov_b32_e32 v59, 0
	v_lshlrev_b32_e32 v58, 4, v66
	v_cmp_gt_u32_e32 vcc, s24, v0
	v_ashrrev_i32_e32 v57, 31, v56
	s_mov_b32 s63, 0
	s_mul_i32 s66, s53, s12
	s_movk_i32 s37, 0x1000
	s_movk_i32 s22, 0x4000
	v_lshl_add_u64 v[60:61], v[56:57], 1, s[8:9]
	s_mov_b32 s68, 0
	s_waitcnt vmcnt(1)
	v_perm_b32 v48, v6, v14, s64
	s_waitcnt vmcnt(0)
	v_perm_b32 v49, v10, v34, s64
	v_perm_b32 v6, v6, v14, s65
	;; [unrolled: 1-line block ×15, first 2 shown]
	ds_write2st64_b32 v4, v48, v49 offset0:32 offset1:64
	ds_write2st64_b32 v5, v6, v10 offset0:32 offset1:64
	;; [unrolled: 1-line block ×8, first 2 shown]
	v_lshlrev_b32_e32 v4, 8, v41
	v_or_b32_e32 v83, v4, v43
	v_or_b32_e32 v84, v4, v44
	;; [unrolled: 1-line block ×3, first 2 shown]
	v_lshlrev_b32_e32 v4, 3, v4
	v_lshrrev_b32_e32 v7, 5, v51
	v_and_or_b32 v7, v4, s3, v7
	v_lshlrev_b32_e32 v7, 4, v7
	v_lshlrev_b32_e32 v5, 11, v1
	v_and_b32_e32 v4, 0x78, v4
	v_or_b32_e32 v12, 32, v7
	v_and_b32_e32 v6, 0x1000, v5
	v_lshrrev_b32_e32 v9, 1, v0
	v_xor_b32_e32 v12, v12, v4
	v_and_b32_e32 v10, 8, v9
	v_or_b32_e32 v12, v12, v6
	v_xor_b32_e32 v8, v7, v4
	v_xor_b32_e32 v87, v12, v10
	v_or_b32_e32 v12, 64, v7
	v_or_b32_e32 v7, 0x60, v7
	s_ashr_i32 s3, s2, 31
	v_xor_b32_e32 v12, v12, v4
	v_xor_b32_e32 v4, v7, v4
	s_lshl_b64 s[20:21], s[2:3], 8
	v_or_b32_e32 v8, v8, v6
	v_or_b32_e32 v12, v12, v6
	;; [unrolled: 1-line block ×3, first 2 shown]
	s_add_u32 s20, s18, s20
	v_lshlrev_b32_e32 v6, 1, v66
	v_xor_b32_e32 v89, v12, v10
	v_lshrrev_b32_e32 v12, 4, v0
	s_addc_u32 s21, s19, s21
	v_or_b32_e32 v7, 1, v6
	v_mov_b32_e32 v16, 0x4000
	v_mov_b32_e32 v17, 0x2000
	v_xor_b32_e32 v13, v12, v6
	v_xor_b32_e32 v14, v7, v12
	v_lshl_add_u64 v[6:7], s[20:21], 0, v[58:59]
	v_lshlrev_b32_e32 v58, 8, v12
	v_cndmask_b32_e32 v16, v16, v17, vcc
	v_lshlrev_b32_e32 v17, 3, v1
	v_and_b32_e32 v9, 24, v9
	v_lshl_or_b32 v93, v13, 3, v58
	v_and_b32_e32 v13, 8, v0
	v_xor_b32_e32 v34, v17, v9
	v_or_b32_e32 v35, 0x440, v34
	v_cmp_eq_u32_e32 vcc, 0, v13
	v_and_b32_e32 v12, 7, v0
	v_xor_b32_e32 v85, v8, v10
	v_cndmask_b32_e32 v13, v35, v34, vcc
	v_lshlrev_b32_e32 v8, 7, v65
	v_lshl_or_b32 v94, v14, 3, v58
	v_lshlrev_b32_e32 v14, 3, v12
	v_lshlrev_b32_e32 v12, 7, v12
	;; [unrolled: 1-line block ×3, first 2 shown]
	v_or_b32_e32 v13, v13, v5
	v_or_b32_e32 v11, v8, v38
	v_xad_u32 v95, v13, v14, v12
	v_and_or_b32 v8, v15, 60, v8
	v_mov_b32_e32 v13, 0xb000
	v_lshl_or_b32 v96, v8, 1, v13
	v_or_b32_e32 v8, 32, v9
	v_xor_b32_e32 v8, v17, v8
	v_or_b32_e32 v13, 0x440, v8
	v_cndmask_b32_e32 v8, v13, v8, vcc
	v_or_b32_e32 v8, v8, v5
	v_xad_u32 v97, v8, v14, v12
	v_or_b32_e32 v8, 64, v9
	v_xor_b32_e32 v8, v17, v8
	v_xor_b32_e32 v13, 0x440, v8
	v_cndmask_b32_e32 v8, v13, v8, vcc
	v_or_b32_e32 v8, v8, v5
	v_xad_u32 v98, v8, v14, v12
	v_or_b32_e32 v8, 0x60, v9
	v_xor_b32_e32 v8, v17, v8
	v_xor_b32_e32 v9, 0x440, v8
	v_cndmask_b32_e32 v8, v9, v8, vcc
	v_lshlrev_b32_e32 v11, 1, v11
	v_or_b32_e32 v5, v8, v5
	v_or_b32_e32 v86, 0xa000, v11
	;; [unrolled: 1-line block ×3, first 2 shown]
	v_xor_b32_e32 v90, v4, v10
	v_or_b32_e32 v91, 0xb000, v11
	v_or_b32_e32 v92, 0xb080, v11
	v_lshlrev_b32_e32 v4, 7, v69
	v_lshlrev_b32_e32 v10, 1, v3
	v_add_lshl_u32 v3, v3, s15, 1
	v_or_b32_e32 v11, 0x100, v2
	v_xad_u32 v99, v5, v14, v12
	v_cndmask_b32_e64 v100, v10, v2, s[0:1]
	v_cndmask_b32_e64 v101, v3, v11, s[0:1]
	v_lshl_add_u64 v[62:63], v[6:7], 0, v[58:59]
	s_mov_b32 s3, 0x7060302
	v_lshlrev_b32_e32 v58, 1, v4
	v_add_u32_e32 v57, v16, v95
	v_add_u32_e32 v102, v16, v97
	;; [unrolled: 1-line block ×4, first 2 shown]
	s_waitcnt lgkmcnt(0)
	s_barrier
	s_branch .LBB298_33
.LBB298_32:                             ;   in Loop: Header=BB298_33 Depth=1
	s_waitcnt vmcnt(2)
	v_exp_f32_e32 v34, s20
	s_nop 2
	v_accvgpr_read_b32 v17, a15
	v_accvgpr_read_b32 v2, a4
	;; [unrolled: 1-line block ×16, first 2 shown]
	v_fma_f32 v16, v32, v34, v16
	v_fmac_f32_e32 v17, v33, v34
	v_fma_f32 v2, v18, v34, v2
	v_fma_f32 v3, v19, v34, v3
	v_fma_f32 v4, v20, v34, v4
	v_fmac_f32_e32 v5, v21, v34
	v_fma_f32 v10, v26, v34, v10
	v_fma_f32 v11, v27, v34, v11
	;; [unrolled: 4-line block ×4, first 2 shown]
	s_add_i32 s63, s63, 64
	v_mov_b64_e32 v[32:33], v[16:17]
	s_cmp_eq_u32 s54, s39
	s_mov_b32 s68, s39
	v_mov_b64_e32 v[30:31], v[14:15]
	v_mov_b64_e32 v[28:29], v[12:13]
	;; [unrolled: 1-line block ×7, first 2 shown]
	s_cbranch_scc1 .LBB298_4
.LBB298_33:                             ; =>This Inner Loop Header: Depth=1
	s_add_i32 s39, s68, 1
	s_cmp_lt_i32 s39, s54
	s_mov_b64 s[24:25], 0
	s_cselect_b64 s[44:45], -1, 0
	s_cmp_ge_i32 s39, s54
	s_mov_b64 s[20:21], 0
	s_cbranch_scc1 .LBB298_35
; %bb.34:                               ;   in Loop: Header=BB298_33 Depth=1
	s_add_i32 s0, s63, 64
	s_add_u32 s0, s16, s0
	s_addc_u32 s1, s17, 0
	s_lshl_b64 s[0:1], s[0:1], 8
	s_add_u32 s20, s6, s0
	s_addc_u32 s21, s7, s1
.LBB298_35:                             ;   in Loop: Header=BB298_33 Depth=1
	v_cndmask_b32_e64 v2, 0, 1, s[44:45]
	v_cmp_ne_u32_e64 s[0:1], 1, v2
	s_andn2_b64 vcc, exec, s[44:45]
	s_cbranch_vccnz .LBB298_37
; %bb.36:                               ;   in Loop: Header=BB298_33 Depth=1
	s_add_i32 s24, s63, 64
	s_add_u32 s24, s66, s24
	s_addc_u32 s25, s67, 0
	s_mul_i32 s27, s24, s56
	s_mul_hi_u32 s44, s24, s60
	s_add_i32 s27, s44, s27
	s_mul_i32 s25, s25, s60
	s_add_i32 s27, s27, s25
	s_mul_i32 s24, s24, s60
	s_add_u32 s24, s24, s57
	s_addc_u32 s25, s27, s61
	s_lshl_b64 s[24:25], s[24:25], 8
	s_add_u32 s24, s4, s24
	s_addc_u32 s25, s5, s25
.LBB298_37:                             ;   in Loop: Header=BB298_33 Depth=1
	v_perm_b32 v3, v21, v20, s3
	v_perm_b32 v2, v19, v18, s3
	;; [unrolled: 1-line block ×4, first 2 shown]
	ds_write_b64 v77, v[2:3]
	ds_write_b64 v78, v[4:5]
	;; [unrolled: 1-line block ×4, first 2 shown]
	v_perm_b32 v3, v29, v28, s3
	v_perm_b32 v2, v27, v26, s3
	;; [unrolled: 1-line block ×4, first 2 shown]
	ds_write_b64 v79, v[2:3]
	ds_write_b64 v80, v[4:5]
	ds_write_b64 v83, v[2:3]
	ds_write_b64 v84, v[4:5]
	s_waitcnt lgkmcnt(0)
	s_barrier
	ds_read_b64 v[6:7], v85 offset:24576
	ds_read2_b64 v[2:5], v86 offset1:16
	ds_read_b64 v[10:11], v88 offset:3072
	ds_read_b64 v[12:13], v86 offset:3072
	;; [unrolled: 1-line block ×3, first 2 shown]
	s_waitcnt lgkmcnt(3)
	v_mfma_f32_16x16x16_bf16 a[0:3], v[6:7], v[2:3], 0
	s_add_i32 s27, s63, 63
	s_mul_i32 s44, s27, s35
	s_mul_hi_u32 s45, s27, s34
	v_mfma_f32_16x16x16_bf16 a[4:7], v[6:7], v[4:5], 0
	ds_read2st64_b64 v[2:5], v86 offset0:2 offset1:4
	ds_read2st64_b64 v[6:9], v88 offset0:2 offset1:4
	s_add_i32 s45, s45, s44
	s_waitcnt lgkmcnt(1)
	v_mfma_f32_16x16x16_bf16 a[0:3], v[14:15], v[2:3], a[0:3]
	s_mul_i32 s44, s27, s34
	s_lshl_b64 s[44:45], s[44:45], 2
	s_add_u32 s44, s42, s44
	s_waitcnt lgkmcnt(0)
	v_mfma_f32_16x16x16_bf16 a[4:7], v[14:15], v[6:7], a[4:7]
	ds_read_b64 v[2:3], v89 offset:24576
	ds_read_b64 v[6:7], v90 offset:24576
	s_addc_u32 s45, s43, s45
	s_and_b64 vcc, exec, s[0:1]
	s_waitcnt lgkmcnt(1)
	v_mfma_f32_16x16x16_bf16 a[0:3], v[2:3], v[4:5], a[0:3]
	v_mov_b32_e32 v107, 0
	v_mov_b32_e32 v106, 0
	;; [unrolled: 1-line block ×3, first 2 shown]
	v_mfma_f32_16x16x16_bf16 a[4:7], v[2:3], v[8:9], a[4:7]
	v_mov_b32_e32 v2, 0
	v_mov_b32_e32 v3, 0
	;; [unrolled: 1-line block ×3, first 2 shown]
	s_waitcnt lgkmcnt(0)
	v_mfma_f32_16x16x16_bf16 a[0:3], v[6:7], v[12:13], a[0:3]
	v_mov_b32_e32 v5, 0
	v_mov_b32_e32 v8, 0
	;; [unrolled: 1-line block ×3, first 2 shown]
	v_mfma_f32_16x16x16_bf16 a[4:7], v[6:7], v[10:11], a[4:7]
	v_mov_b32_e32 v6, 0
	v_mov_b32_e32 v7, 0
	;; [unrolled: 1-line block ×10, first 2 shown]
	s_cbranch_vccnz .LBB298_39
; %bb.38:                               ;   in Loop: Header=BB298_33 Depth=1
	s_and_b32 s21, s21, 0xffff
	buffer_load_dwordx4 v[14:17], v73, s[20:23], 0 offen
	buffer_load_dwordx4 v[10:13], v73, s[20:23], s62 offen
	;; [unrolled: 1-line block ×4, first 2 shown]
	v_mov_b32_e32 v106, v75
	v_mov_b32_e32 v105, v76
.LBB298_39:                             ;   in Loop: Header=BB298_33 Depth=1
	ds_read_b64 v[38:39], v85 offset:32768
	ds_read2_b64 v[34:37], v91 offset1:16
	ds_read_b64 v[42:43], v87 offset:32768
	ds_read_b64 v[44:45], v89 offset:32768
	;; [unrolled: 1-line block ×3, first 2 shown]
	v_add_u32_e32 v108, s63, v69
	s_waitcnt lgkmcnt(3)
	v_mfma_f32_16x16x16_bf16 a[0:3], v[38:39], v[34:35], a[0:3]
	v_mfma_f32_16x16x16_bf16 a[4:7], v[38:39], v[36:37], a[4:7]
	ds_read2st64_b64 v[34:37], v91 offset0:2 offset1:4
	ds_read2st64_b64 v[38:41], v92 offset0:2 offset1:4
	s_waitcnt lgkmcnt(1)
	v_mfma_f32_16x16x16_bf16 a[0:3], v[42:43], v[34:35], a[0:3]
	ds_read_b64 v[34:35], v91 offset:3072
	ds_read_b64 v[48:49], v92 offset:3072
	s_waitcnt lgkmcnt(2)
	v_mfma_f32_16x16x16_bf16 a[4:7], v[42:43], v[38:39], a[4:7]
	v_ashrrev_i32_e32 v38, 31, v108
	v_mul_lo_u32 v39, v108, s35
	v_mul_lo_u32 v38, v38, s34
	v_mfma_f32_16x16x16_bf16 a[0:3], v[44:45], v[36:37], a[0:3]
	v_mad_u64_u32 v[36:37], s[20:21], v108, s34, 0
	v_add3_u32 v37, v37, v39, v38
	v_lshl_add_u64 v[36:37], v[36:37], 2, s[42:43]
	global_load_dword v42, v[36:37], off
	v_add_u32_e32 v36, 1, v108
	v_ashrrev_i32_e32 v37, 31, v36
	s_waitcnt lgkmcnt(1)
	v_mfma_f32_16x16x16_bf16 a[0:3], v[46:47], v[34:35], a[0:3]
	v_mul_lo_u32 v37, v37, s34
	v_mul_lo_u32 v38, v36, s35
	v_mad_u64_u32 v[34:35], s[20:21], v36, s34, 0
	v_add_u32_e32 v36, 2, v108
	v_add3_u32 v35, v35, v38, v37
	v_ashrrev_i32_e32 v37, 31, v36
	v_mul_lo_u32 v38, v37, s34
	v_mul_lo_u32 v39, v36, s35
	v_mad_u64_u32 v[36:37], s[20:21], v36, s34, 0
	v_add3_u32 v37, v37, v39, v38
	v_add_u32_e32 v38, 3, v108
	v_ashrrev_i32_e32 v39, 31, v38
	v_mfma_f32_16x16x16_bf16 a[4:7], v[44:45], v[40:41], a[4:7]
	v_mul_lo_u32 v40, v39, s34
	v_mul_lo_u32 v41, v38, s35
	v_mad_u64_u32 v[38:39], s[20:21], v38, s34, 0
	s_add_u32 s20, s16, s63
	s_addc_u32 s21, s17, 0
	s_lshl_b64 s[20:21], s[20:21], 8
	v_add3_u32 v39, v39, v41, v40
	v_lshl_add_u64 v[40:41], v[60:61], 0, s[20:21]
	v_lshl_add_u64 v[34:35], v[34:35], 2, s[42:43]
	;; [unrolled: 1-line block ×4, first 2 shown]
	global_load_ushort v44, v[40:41], off
	global_load_ushort v43, v[40:41], off offset:256
	global_load_ushort v110, v[40:41], off offset:800
	;; [unrolled: 1-line block ×7, first 2 shown]
	v_lshl_add_u64 v[38:39], v[38:39], 2, s[42:43]
	global_load_dword v113, v[34:35], off
	global_load_dword v114, v[36:37], off
	global_load_dword v115, v[38:39], off
	s_load_dword s20, s[44:45], 0x0
	s_waitcnt lgkmcnt(0)
	v_mfma_f32_16x16x16_bf16 a[4:7], v[46:47], v[48:49], a[4:7]
	v_accvgpr_read_b32 v39, a1
	v_accvgpr_read_b32 v35, a3
	;; [unrolled: 1-line block ×4, first 2 shown]
	s_and_b64 vcc, exec, s[0:1]
	s_waitcnt vmcnt(11)
	v_sub_f32_e32 v48, s20, v42
	v_exp_f32_e32 v48, v48
	v_accvgpr_read_b32 v41, a5
	v_accvgpr_read_b32 v40, a4
	;; [unrolled: 1-line block ×4, first 2 shown]
	s_waitcnt vmcnt(10)
	v_lshlrev_b32_e32 v42, 16, v44
	s_waitcnt vmcnt(9)
	v_lshlrev_b32_e32 v43, 16, v43
	v_pk_add_f32 v[38:39], v[42:43], v[38:39] neg_lo:[0,1] neg_hi:[0,1]
	s_waitcnt vmcnt(7)
	v_lshlrev_b32_e32 v45, 16, v45
	v_mov_b32_e32 v42, 0
	s_waitcnt vmcnt(5)
	v_lshlrev_b32_e32 v44, 16, v108
	s_waitcnt vmcnt(4)
	v_lshlrev_b32_e32 v47, 16, v109
	s_waitcnt vmcnt(2)
	v_sub_f32_e32 v49, s20, v113
	s_waitcnt vmcnt(1)
	v_sub_f32_e32 v108, s20, v114
	;; [unrolled: 2-line block ×3, first 2 shown]
	v_exp_f32_e32 v49, v49
	v_exp_f32_e32 v108, v108
	;; [unrolled: 1-line block ×3, first 2 shown]
	v_pk_add_f32 v[34:35], v[44:45], v[34:35] neg_lo:[0,1] neg_hi:[0,1]
	v_lshlrev_b32_e32 v46, 16, v112
	v_pk_mul_f32 v[38:39], v[48:49], v[38:39]
	v_pk_mul_f32 v[34:35], v[108:109], v[34:35]
	v_mov_b32_e32 v43, 0
	v_perm_b32 v35, v35, v34, s3
	v_perm_b32 v34, v39, v38, s3
	v_pk_add_f32 v[38:39], v[46:47], v[40:41] neg_lo:[0,1] neg_hi:[0,1]
	v_lshlrev_b32_e32 v41, 16, v110
	v_lshlrev_b32_e32 v40, 16, v111
	v_pk_add_f32 v[36:37], v[40:41], v[36:37] neg_lo:[0,1] neg_hi:[0,1]
	v_pk_mul_f32 v[38:39], v[48:49], v[38:39]
	v_pk_mul_f32 v[36:37], v[108:109], v[36:37]
	v_mov_b32_e32 v108, 0
	v_perm_b32 v37, v37, v36, s3
	v_perm_b32 v36, v39, v38, s3
	ds_write2_b64 v78, v[34:35], v[36:37] offset1:16
	v_mov_b32_e32 v34, 0
	v_mov_b32_e32 v35, 0
	;; [unrolled: 1-line block ×14, first 2 shown]
	s_cbranch_vccnz .LBB298_41
; %bb.40:                               ;   in Loop: Header=BB298_33 Depth=1
	s_and_b32 s25, s25, 0xffff
	s_mov_b32 s27, s23
	buffer_load_dwordx4 v[46:49], v100, s[24:27], 0 offen
	buffer_load_dwordx4 v[38:41], v100, s[24:27], s62 offen
	;; [unrolled: 1-line block ×4, first 2 shown]
	v_mov_b32_e32 v107, v72
	v_mov_b32_e32 v108, v71
.LBB298_41:                             ;   in Loop: Header=BB298_33 Depth=1
	s_waitcnt lgkmcnt(0)
	s_barrier
	ds_read_b64 v[114:115], v57
	ds_read_b64 v[122:123], v96
	;; [unrolled: 1-line block ×5, first 2 shown]
	ds_read_b64 v[128:129], v97 offset:16384
	ds_read_b64 v[130:131], v95 offset:16384
	ds_read2_b64 v[110:113], v91 offset0:16 offset1:128
	s_waitcnt lgkmcnt(6)
	v_mfma_f32_16x16x16_bf16 a[0:3], v[114:115], v[122:123], 0
	ds_read_b64 v[132:133], v92 offset:3072
	ds_read_b64 v[134:135], v99 offset:16384
	s_add_i32 s21, s58, s68
	s_waitcnt lgkmcnt(2)
	v_mfma_f32_16x16x16_bf16 a[4:7], v[114:115], v[110:111], 0
	ds_read2st64_b64 v[114:117], v92 offset0:2 offset1:4
	s_mul_hi_i32 s25, s21, s13
	s_mul_i32 s21, s21, s13
	v_mfma_f32_16x16x16_bf16 a[0:3], v[118:119], v[112:113], a[0:3]
	s_add_u32 s24, s21, s51
	s_addc_u32 s25, s25, s55
	s_lshl_b64 s[24:25], s[24:25], 15
	s_waitcnt lgkmcnt(0)
	v_mfma_f32_16x16x16_bf16 a[4:7], v[118:119], v[114:115], a[4:7]
	ds_read2st64_b64 v[118:121], v91 offset0:4 offset1:6
	s_waitcnt lgkmcnt(0)
	v_mfma_f32_16x16x16_bf16 a[0:3], v[124:125], v[118:119], a[0:3]
	v_mfma_f32_16x16x16_bf16 a[8:11], v[124:125], v[116:117], a[4:7]
	;; [unrolled: 1-line block ×5, first 2 shown]
	ds_read2st64_b64 v[122:125], v94 offset1:8
	v_mfma_f32_16x16x16_bf16 a[12:15], v[130:131], v[110:111], 0
	ds_read_b64 v[130:131], v98 offset:16384
	v_mfma_f32_16x16x16_bf16 a[8:11], v[128:129], v[112:113], a[8:11]
	ds_read2st64_b64 v[110:113], v93 offset1:8
	s_waitcnt lgkmcnt(0)
	v_mov_b32_e32 v126, v110
	v_mfma_f32_16x16x16_bf16 a[12:15], v[128:129], v[114:115], a[12:15]
	v_lshl_add_u64 v[114:115], v[62:63], 0, s[24:25]
	v_add_co_u32_e32 v110, vcc, s37, v114
	v_mfma_f32_16x16x16_bf16 a[8:11], v[130:131], v[118:119], a[8:11]
	v_mov_b32_e32 v127, v111
	v_addc_co_u32_e32 v111, vcc, 0, v115, vcc
	v_mfma_f32_16x16x16_bf16 a[12:15], v[130:131], v[116:117], a[12:15]
	v_mov_b32_e32 v128, v122
	v_mov_b32_e32 v129, v123
	;; [unrolled: 1-line block ×3, first 2 shown]
	v_mfma_f32_16x16x16_bf16 a[8:11], v[134:135], v[120:121], a[8:11]
	v_mov_b32_e32 v123, v113
	s_and_b64 vcc, exec, s[0:1]
	global_store_dwordx4 v[114:115], v[126:129], off
	v_mfma_f32_16x16x16_bf16 a[12:15], v[134:135], v[132:133], a[12:15]
	global_store_dwordx4 v[110:111], v[122:125], off
	s_cbranch_vccnz .LBB298_32
; %bb.42:                               ;   in Loop: Header=BB298_33 Depth=1
	v_lshrrev_b32_e32 v109, 3, v107
	v_and_b32_e32 v109, 6, v109
	v_xor_b32_e32 v108, v109, v108
	v_lshlrev_b32_e32 v108, 2, v108
	v_and_b32_e32 v107, 8, v107
	v_xor_b32_e32 v110, 0x440, v108
	v_cmp_eq_u32_e32 vcc, 0, v107
	s_barrier
	s_nop 0
	v_cndmask_b32_e32 v107, v110, v108, vcc
	v_lshl_or_b32 v107, v109, 10, v107
	s_waitcnt vmcnt(3)
	v_perm_b32 v108, v46, v42, s64
	s_waitcnt vmcnt(2)
	v_perm_b32 v109, v38, v34, s64
	ds_write2st64_b32 v107, v108, v109 offset0:32 offset1:64
	v_xor_b32_e32 v108, 8, v107
	v_perm_b32 v42, v46, v42, s65
	v_perm_b32 v34, v38, v34, s65
	v_add_u32_e32 v38, 0x80, v108
	ds_write2st64_b32 v38, v42, v34 offset0:32 offset1:64
	v_xor_b32_e32 v34, 16, v107
	v_perm_b32 v38, v47, v43, s64
	v_perm_b32 v42, v39, v35, s64
	ds_write2st64_b32 v34, v38, v42 offset0:33 offset1:65
	v_xor_b32_e32 v34, 24, v107
	v_perm_b32 v38, v47, v43, s65
	v_perm_b32 v35, v39, v35, s65
	v_add_u32_e32 v34, 0x80, v34
	ds_write2st64_b32 v34, v38, v35 offset0:33 offset1:65
	v_xor_b32_e32 v34, 32, v107
	v_perm_b32 v35, v48, v44, s64
	;; [unrolled: 9-line block ×3, first 2 shown]
	v_perm_b32 v36, v41, v37, s64
	ds_write2st64_b32 v34, v35, v36 offset0:35 offset1:67
	v_xor_b32_e32 v34, 56, v107
	v_perm_b32 v35, v49, v45, s65
	v_perm_b32 v36, v41, v37, s65
	v_add_u32_e32 v34, 0x80, v34
	ds_write2st64_b32 v34, v35, v36 offset0:35 offset1:67
	ds_write_b64 v106, v[14:15] offset:24576
	v_xor_b32_e32 v14, 8, v106
	ds_write_b64 v14, v[16:17] offset:24576
	ds_write_b64 v106, v[10:11] offset:32768
	;; [unrolled: 1-line block ×4, first 2 shown]
	v_xor_b32_e32 v6, 8, v105
	ds_write_b64 v6, v[8:9] offset:24576
	ds_write_b64 v105, v[2:3] offset:32768
	;; [unrolled: 1-line block ×3, first 2 shown]
	s_branch .LBB298_32
.LBB298_43:
                                        ; implicit-def: $vgpr21
                                        ; implicit-def: $vgpr25
                                        ; implicit-def: $vgpr29
                                        ; implicit-def: $vgpr33
	s_cbranch_execz .LBB298_45
; %bb.44:
	s_waitcnt vmcnt(0)
	v_mad_u64_u32 v[18:19], s[0:1], v36, s15, v[34:35]
	v_lshlrev_b32_e32 v36, 1, v18
	s_lshl_b32 s2, s15, 7
	s_and_b32 s1, s5, 0xffff
	s_mov_b32 s3, 0x20000
	s_mov_b32 s0, s4
	v_add_lshl_u32 v37, v18, s15, 1
	s_movk_i32 s13, 0x80
	buffer_load_dwordx4 v[18:21], v36, s[0:3], 0 offen
	buffer_load_dwordx4 v[26:29], v36, s[0:3], s13 offen
	;; [unrolled: 1-line block ×4, first 2 shown]
.LBB298_45:
	v_lshrrev_b32_e32 v47, 2, v51
	s_cbranch_execnz .LBB298_58
.LBB298_46:
	s_and_b64 vcc, exec, s[6:7]
	s_cbranch_vccz .LBB298_56
; %bb.47:
	s_waitcnt vmcnt(0)
	v_lshlrev_b32_e32 v23, 1, v42
	v_cmp_gt_i32_e32 vcc, s27, v23
	v_mov_b32_e32 v22, 0
	v_lshlrev_b32_e32 v30, 9, v42
	v_mov_b32_e32 v18, 0
	v_mov_b32_e32 v19, 0
	;; [unrolled: 1-line block ×4, first 2 shown]
	s_and_saveexec_b64 s[0:1], vcc
	s_cbranch_execz .LBB298_49
; %bb.48:
	v_mov_b32_e32 v31, 0
	v_lshl_add_u64 v[18:19], s[4:5], 0, v[30:31]
	v_lshlrev_b32_e32 v20, 1, v34
	v_mov_b32_e32 v21, v31
	v_lshl_add_u64 v[18:19], v[18:19], 0, v[20:21]
	global_load_dwordx4 v[18:21], v[18:19], off
.LBB298_49:
	s_or_b64 exec, exec, s[0:1]
	v_or_b32_e32 v23, 1, v23
	v_cmp_gt_i32_e64 s[0:1], s27, v23
	v_lshlrev_b32_e32 v36, 8, v23
	v_mov_b32_e32 v23, 0
	v_mov_b32_e32 v24, 0
	;; [unrolled: 1-line block ×3, first 2 shown]
	s_and_saveexec_b64 s[2:3], s[0:1]
	s_cbranch_execz .LBB298_51
; %bb.50:
	v_mov_b32_e32 v37, 0
	v_lshl_add_u64 v[22:23], s[4:5], 0, v[36:37]
	v_lshlrev_b32_e32 v24, 1, v34
	v_mov_b32_e32 v25, v37
	v_lshl_add_u64 v[22:23], v[22:23], 0, v[24:25]
	global_load_dwordx4 v[22:25], v[22:23], off
.LBB298_51:
	s_or_b64 exec, exec, s[2:3]
	v_mov_b32_e32 v33, 0
	v_mov_b32_e32 v26, 0
	;; [unrolled: 1-line block ×5, first 2 shown]
	s_and_saveexec_b64 s[2:3], vcc
	s_cbranch_execz .LBB298_53
; %bb.52:
	v_mov_b32_e32 v31, 0
	v_lshl_add_u64 v[26:27], s[4:5], 0, v[30:31]
	v_lshlrev_b32_e32 v30, 1, v34
	v_lshl_add_u64 v[26:27], v[26:27], 0, v[30:31]
	global_load_dwordx4 v[26:29], v[26:27], off offset:128
.LBB298_53:
	s_or_b64 exec, exec, s[2:3]
	v_mov_b32_e32 v32, 0
	v_mov_b32_e32 v31, 0
	v_mov_b32_e32 v30, 0
	s_and_saveexec_b64 s[2:3], s[0:1]
	s_cbranch_execz .LBB298_55
; %bb.54:
	v_mov_b32_e32 v37, 0
	v_lshl_add_u64 v[30:31], s[4:5], 0, v[36:37]
	v_lshlrev_b32_e32 v36, 1, v34
	v_lshl_add_u64 v[30:31], v[30:31], 0, v[36:37]
	global_load_dwordx4 v[30:33], v[30:31], off offset:128
.LBB298_55:
	s_or_b64 exec, exec, s[2:3]
	s_branch .LBB298_58
.LBB298_56:
                                        ; implicit-def: $vgpr21
                                        ; implicit-def: $vgpr25
                                        ; implicit-def: $vgpr29
                                        ; implicit-def: $vgpr33
	s_cbranch_execz .LBB298_58
; %bb.57:
	s_waitcnt vmcnt(0)
	v_lshlrev_b32_e32 v18, 1, v34
	v_lshl_or_b32 v34, v42, 9, v18
	s_and_b32 s5, s5, 0xffff
	s_mov_b32 s7, 0x20000
	s_movk_i32 s6, 0x4000
	s_movk_i32 s0, 0x80
	buffer_load_dwordx4 v[18:21], v34, s[4:7], 0 offen
	buffer_load_dwordx4 v[22:25], v34, s[4:7], 0 offen offset:256
	buffer_load_dwordx4 v[26:29], v34, s[4:7], s0 offen
	buffer_load_dwordx4 v[30:33], v34, s[4:7], s0 offen offset:256
.LBB298_58:
	ds_read_b64 v[36:37], v43 offset:32768
	v_add_u32_e32 v34, 0xb000, v40
	ds_read2_b64 v[58:61], v34 offset1:16
	ds_read_b64 v[48:49], v44 offset:32768
	ds_read_b64 v[44:45], v45 offset:32768
	;; [unrolled: 1-line block ×3, first 2 shown]
	v_and_b32_e32 v34, 6, v0
	v_xor_b32_e32 v42, v42, v34
	v_lshlrev_b32_e32 v42, 2, v42
	v_and_b32_e32 v43, 1, v0
	v_xor_b32_e32 v46, 0x440, v42
	v_cmp_eq_u32_e32 vcc, 0, v43
	s_waitcnt lgkmcnt(3)
	v_mfma_f32_16x16x16_bf16 a[0:3], v[36:37], v[58:59], a[0:3]
	s_mov_b32 s0, 0x1000504
	v_cndmask_b32_e32 v42, v46, v42, vcc
	v_lshl_or_b32 v34, v34, 10, v42
	v_mfma_f32_16x16x16_bf16 a[4:7], v[36:37], v[60:61], a[4:7]
	ds_read2st64_b64 v[58:61], v40 offset0:90 offset1:92
	ds_read2st64_b64 v[66:69], v41 offset0:90 offset1:92
	s_waitcnt vmcnt(0)
	v_perm_b32 v42, v18, v22, s0
	s_mov_b32 s1, 0x3020706
	s_waitcnt lgkmcnt(1)
	v_mfma_f32_16x16x16_bf16 a[0:3], v[48:49], v[58:59], a[0:3]
	ds_read_b64 v[36:37], v40 offset:48128
	ds_read_b64 v[58:59], v41 offset:48128
	v_perm_b32 v18, v18, v22, s1
	v_perm_b32 v22, v26, v30, s1
	s_waitcnt lgkmcnt(2)
	v_mfma_f32_16x16x16_bf16 a[4:7], v[48:49], v[66:67], a[4:7]
	v_mfma_f32_16x16x16_bf16 a[0:3], v[44:45], v[60:61], a[0:3]
	;; [unrolled: 1-line block ×3, first 2 shown]
	s_waitcnt lgkmcnt(1)
	v_mfma_f32_16x16x16_bf16 a[4:7], v[62:63], v[36:37], a[0:3]
	v_perm_b32 v36, v26, v30, s0
	ds_write2st64_b32 v34, v42, v36 offset0:32 offset1:64
	v_xor_b32_e32 v36, 8, v34
	v_add_u32_e32 v26, 0x80, v36
	ds_write2st64_b32 v26, v18, v22 offset0:32 offset1:64
	v_xor_b32_e32 v18, 16, v34
	v_perm_b32 v22, v19, v23, s0
	v_perm_b32 v26, v27, v31, s0
	ds_write2st64_b32 v18, v22, v26 offset0:33 offset1:65
	v_xor_b32_e32 v18, 24, v34
	v_perm_b32 v19, v19, v23, s1
	v_perm_b32 v22, v27, v31, s1
	v_add_u32_e32 v18, 0x80, v18
	ds_write2st64_b32 v18, v19, v22 offset0:33 offset1:65
	v_xor_b32_e32 v18, 32, v34
	v_perm_b32 v19, v20, v24, s0
	v_perm_b32 v22, v28, v32, s0
	ds_write2st64_b32 v18, v19, v22 offset0:34 offset1:66
	v_xor_b32_e32 v18, 40, v34
	s_waitcnt lgkmcnt(5)
	v_mfma_f32_16x16x16_bf16 a[0:3], v[62:63], v[58:59], a[8:11]
	v_perm_b32 v19, v20, v24, s1
	v_perm_b32 v20, v28, v32, s1
	v_add_u32_e32 v18, 0x80, v18
	ds_write2st64_b32 v18, v19, v20 offset0:34 offset1:66
	v_xor_b32_e32 v18, 48, v34
	v_perm_b32 v19, v21, v25, s0
	v_perm_b32 v20, v29, v33, s0
	ds_write2st64_b32 v18, v19, v20 offset0:35 offset1:67
	v_xor_b32_e32 v18, 56, v34
	v_and_or_b32 v37, v47, 12, v64
	v_perm_b32 v19, v21, v25, s1
	v_perm_b32 v20, v29, v33, s1
	v_add_u32_e32 v18, 0x80, v18
	v_cmp_gt_i32_e32 vcc, s27, v37
	v_mov_b32_e32 v32, 0
	v_mov_b32_e32 v34, 0
	ds_write2st64_b32 v18, v19, v20 offset0:35 offset1:67
	s_and_saveexec_b64 s[0:1], vcc
	s_cbranch_execz .LBB298_60
; %bb.59:
	v_add_u32_e32 v18, s26, v37
	v_ashrrev_i32_e32 v19, 31, v18
	v_mul_lo_u32 v20, v19, s34
	v_mul_lo_u32 v21, v18, s35
	v_mad_u64_u32 v[18:19], s[2:3], v18, s34, 0
	v_add3_u32 v19, v19, v21, v20
	v_lshl_add_u64 v[18:19], v[18:19], 2, s[10:11]
	global_load_dword v18, v[18:19], off
	s_waitcnt vmcnt(0)
	v_sub_f32_e32 v18, s12, v18
	v_exp_f32_e32 v34, v18
.LBB298_60:
	s_or_b64 exec, exec, s[0:1]
	v_or_b32_e32 v26, 1, v37
	v_cmp_gt_i32_e64 s[0:1], s27, v26
	s_and_saveexec_b64 s[2:3], s[0:1]
	s_cbranch_execz .LBB298_62
; %bb.61:
	v_add_u32_e32 v18, s26, v26
	v_ashrrev_i32_e32 v19, 31, v18
	v_mul_lo_u32 v20, v19, s34
	v_mul_lo_u32 v21, v18, s35
	v_mad_u64_u32 v[18:19], s[4:5], v18, s34, 0
	v_add3_u32 v19, v19, v21, v20
	v_lshl_add_u64 v[18:19], v[18:19], 2, s[10:11]
	global_load_dword v18, v[18:19], off
	s_waitcnt vmcnt(0)
	v_sub_f32_e32 v18, s12, v18
	v_exp_f32_e32 v32, v18
.LBB298_62:
	s_or_b64 exec, exec, s[2:3]
	v_or_b32_e32 v27, 2, v37
	v_cmp_gt_i32_e64 s[2:3], s27, v27
	v_mov_b32_e32 v33, 0
	v_mov_b32_e32 v36, 0
	s_and_saveexec_b64 s[4:5], s[2:3]
	s_cbranch_execz .LBB298_64
; %bb.63:
	v_add_u32_e32 v18, s26, v27
	v_ashrrev_i32_e32 v19, 31, v18
	v_mul_lo_u32 v20, v19, s34
	v_mul_lo_u32 v21, v18, s35
	v_mad_u64_u32 v[18:19], s[6:7], v18, s34, 0
	v_add3_u32 v19, v19, v21, v20
	v_lshl_add_u64 v[18:19], v[18:19], 2, s[10:11]
	global_load_dword v18, v[18:19], off
	s_waitcnt vmcnt(0)
	v_sub_f32_e32 v18, s12, v18
	v_exp_f32_e32 v36, v18
.LBB298_64:
	s_or_b64 exec, exec, s[4:5]
	v_or_b32_e32 v42, 3, v37
	v_cmp_gt_i32_e64 s[4:5], s27, v42
	s_and_saveexec_b64 s[6:7], s[4:5]
	s_cbranch_execz .LBB298_66
; %bb.65:
	v_add_u32_e32 v18, s26, v42
	v_ashrrev_i32_e32 v19, 31, v18
	v_mul_lo_u32 v20, v19, s34
	v_mul_lo_u32 v21, v18, s35
	v_mad_u64_u32 v[18:19], s[14:15], v18, s34, 0
	v_add3_u32 v19, v19, v21, v20
	v_lshl_add_u64 v[18:19], v[18:19], 2, s[10:11]
	global_load_dword v18, v[18:19], off
	s_waitcnt vmcnt(0)
	v_sub_f32_e32 v18, s12, v18
	v_exp_f32_e32 v33, v18
.LBB298_66:
	s_or_b64 exec, exec, s[6:7]
	s_add_u32 s6, s8, s20
	v_accvgpr_read_b32 v21, a7
	s_addc_u32 s7, s9, s21
	v_ashrrev_i32_e32 v57, 31, v56
	v_accvgpr_read_b32 v20, a6
	v_accvgpr_read_b32 v19, a5
	v_accvgpr_read_b32 v18, a4
	v_lshl_add_u64 v[22:23], v[56:57], 1, s[6:7]
	v_mov_b32_e32 v29, 0
	v_lshlrev_b32_e32 v24, 8, v37
	v_mov_b32_e32 v25, 0
	s_and_saveexec_b64 s[6:7], vcc
	s_cbranch_execz .LBB298_68
; %bb.67:
	v_mov_b32_e32 v25, 0
	v_lshl_add_u64 v[30:31], v[22:23], 0, v[24:25]
	global_load_ushort v25, v[30:31], off
	s_waitcnt vmcnt(0)
	v_lshlrev_b32_e32 v25, 16, v25
	v_sub_f32_e32 v18, v25, v18
	v_mul_f32_e32 v18, v34, v18
	v_lshrrev_b32_e32 v25, 16, v18
.LBB298_68:
	s_or_b64 exec, exec, s[6:7]
	v_lshlrev_b32_e32 v28, 8, v26
	s_and_saveexec_b64 s[6:7], s[0:1]
	s_cbranch_execz .LBB298_70
; %bb.69:
	v_mov_b32_e32 v29, 0
	v_lshl_add_u64 v[30:31], v[22:23], 0, v[28:29]
	global_load_ushort v18, v[30:31], off
	s_waitcnt vmcnt(0)
	v_lshlrev_b32_e32 v18, 16, v18
	v_sub_f32_e32 v18, v18, v19
	v_mul_f32_e32 v18, v32, v18
	v_lshrrev_b32_e32 v29, 16, v18
.LBB298_70:
	s_or_b64 exec, exec, s[6:7]
	v_mov_b32_e32 v43, 0
	v_lshlrev_b32_e32 v30, 8, v27
	v_mov_b32_e32 v31, 0
	s_and_saveexec_b64 s[6:7], s[2:3]
	s_cbranch_execz .LBB298_72
; %bb.71:
	v_mov_b32_e32 v31, 0
	v_lshl_add_u64 v[18:19], v[22:23], 0, v[30:31]
	global_load_ushort v18, v[18:19], off
	s_waitcnt vmcnt(0)
	v_lshlrev_b32_e32 v18, 16, v18
	v_sub_f32_e32 v18, v18, v20
	v_mul_f32_e32 v18, v36, v18
	v_lshrrev_b32_e32 v31, 16, v18
.LBB298_72:
	s_or_b64 exec, exec, s[6:7]
	v_lshlrev_b32_e32 v26, 8, v42
	s_and_saveexec_b64 s[6:7], s[4:5]
	s_cbranch_execz .LBB298_74
; %bb.73:
	v_mov_b32_e32 v27, 0
	v_lshl_add_u64 v[18:19], v[22:23], 0, v[26:27]
	global_load_ushort v18, v[18:19], off
	s_waitcnt vmcnt(0)
	v_lshlrev_b32_e32 v18, 16, v18
	v_sub_f32_e32 v18, v18, v21
	v_mul_f32_e32 v18, v33, v18
	v_lshrrev_b32_e32 v43, 16, v18
.LBB298_74:
	s_or_b64 exec, exec, s[6:7]
	v_lshlrev_b32_e32 v37, 5, v37
	s_mov_b32 s6, 0x5040100
	v_perm_b32 v42, v29, v25, s6
	v_or_b32_e32 v25, v37, v38
	v_accvgpr_read_b32 v21, a3
	v_perm_b32 v43, v43, v31, s6
	v_lshlrev_b32_e32 v25, 1, v25
	v_accvgpr_read_b32 v20, a2
	v_accvgpr_read_b32 v19, a1
	;; [unrolled: 1-line block ×3, first 2 shown]
	ds_write_b64 v25, v[42:43] offset:45056
	v_mov_b32_e32 v29, 0
	v_mov_b32_e32 v25, 0
	s_and_saveexec_b64 s[6:7], vcc
	s_cbranch_execz .LBB298_76
; %bb.75:
	v_mov_b32_e32 v25, 0
	v_lshl_add_u64 v[24:25], v[22:23], 0, v[24:25]
	global_load_ushort v24, v[24:25], off offset:32
	s_waitcnt vmcnt(0)
	v_lshlrev_b32_e32 v24, 16, v24
	v_sub_f32_e32 v18, v24, v18
	v_mul_f32_e32 v18, v34, v18
	v_lshrrev_b32_e32 v25, 16, v18
.LBB298_76:
	s_or_b64 exec, exec, s[6:7]
	s_and_saveexec_b64 s[6:7], s[0:1]
	s_cbranch_execz .LBB298_78
; %bb.77:
	v_mov_b32_e32 v29, 0
	v_lshl_add_u64 v[28:29], v[22:23], 0, v[28:29]
	global_load_ushort v18, v[28:29], off offset:32
	s_waitcnt vmcnt(0)
	v_lshlrev_b32_e32 v18, 16, v18
	v_sub_f32_e32 v18, v18, v19
	v_mul_f32_e32 v18, v32, v18
	v_lshrrev_b32_e32 v29, 16, v18
.LBB298_78:
	s_or_b64 exec, exec, s[6:7]
	v_mov_b32_e32 v24, 0
	v_mov_b32_e32 v28, 0
	s_and_saveexec_b64 s[0:1], s[2:3]
	s_cbranch_execz .LBB298_80
; %bb.79:
	v_mov_b32_e32 v31, 0
	v_lshl_add_u64 v[18:19], v[22:23], 0, v[30:31]
	global_load_ushort v18, v[18:19], off offset:32
	s_waitcnt vmcnt(0)
	v_lshlrev_b32_e32 v18, 16, v18
	v_sub_f32_e32 v18, v18, v20
	v_mul_f32_e32 v18, v36, v18
	v_lshrrev_b32_e32 v28, 16, v18
.LBB298_80:
	s_or_b64 exec, exec, s[0:1]
	v_or_b32_e32 v19, 0xb000, v40
	v_or_b32_e32 v18, 0xb000, v41
	s_and_saveexec_b64 s[0:1], s[4:5]
	s_cbranch_execz .LBB298_82
; %bb.81:
	v_mov_b32_e32 v27, 0
	v_lshl_add_u64 v[22:23], v[22:23], 0, v[26:27]
	global_load_ushort v20, v[22:23], off offset:32
	s_waitcnt vmcnt(0)
	v_lshlrev_b32_e32 v20, 16, v20
	v_sub_f32_e32 v20, v20, v21
	v_mul_f32_e32 v20, v33, v20
	v_lshrrev_b32_e32 v24, 16, v20
.LBB298_82:
	s_or_b64 exec, exec, s[0:1]
	s_mov_b32 s0, 0x5040100
	v_or_b32_e32 v22, v37, v35
	v_perm_b32 v21, v24, v28, s0
	v_perm_b32 v20, v29, v25, s0
	v_lshlrev_b32_e32 v22, 1, v22
	s_movk_i32 s0, 0x100
	ds_write_b64 v22, v[20:21] offset:45056
	v_and_b32_e32 v20, 7, v0
	v_and_b32_e32 v21, 8, v0
	v_cmp_gt_u32_e32 vcc, s0, v0
	v_lshrrev_b32_e32 v0, 1, v0
	v_lshlrev_b32_e32 v37, 3, v1
	v_and_b32_e32 v38, 24, v0
	v_lshlrev_b32_e32 v34, 3, v20
	v_lshlrev_b32_e32 v35, 7, v20
	v_mov_b32_e32 v20, 0x4000
	v_mov_b32_e32 v22, 0x2000
	v_xor_b32_e32 v0, v37, v38
	v_cndmask_b32_e32 v36, v20, v22, vcc
	v_or_b32_e32 v1, 0x440, v0
	v_cmp_eq_u32_e32 vcc, 0, v21
	s_waitcnt lgkmcnt(0)
	s_barrier
	v_cndmask_b32_e32 v0, v1, v0, vcc
	v_or_b32_e32 v0, v0, v39
	v_xad_u32 v40, v0, v34, v35
	v_add_u32_e32 v0, v36, v40
	ds_read_b64 v[0:1], v0
	ds_read2_b64 v[20:23], v19 offset1:16
	v_or_b32_e32 v24, 32, v38
	v_xor_b32_e32 v24, v37, v24
	v_or_b32_e32 v25, 0x440, v24
	v_cndmask_b32_e32 v24, v25, v24, vcc
	s_waitcnt lgkmcnt(0)
	v_mfma_f32_16x16x16_bf16 a[0:3], v[0:1], v[20:21], 0
	v_or_b32_e32 v24, v24, v39
	v_xad_u32 v41, v24, v34, v35
	v_add_u32_e32 v24, v36, v41
	v_mfma_f32_16x16x16_bf16 a[4:7], v[0:1], v[22:23], 0
	v_or_b32_e32 v0, 64, v38
	v_xor_b32_e32 v0, v37, v0
	v_xor_b32_e32 v1, 0x440, v0
	ds_read_b64 v[32:33], v24
	v_cndmask_b32_e32 v0, v1, v0, vcc
	v_or_b32_e32 v0, v0, v39
	v_xad_u32 v42, v0, v34, v35
	v_add_u32_e32 v0, v36, v42
	ds_read_b64 v[0:1], v0
	ds_read2st64_b64 v[24:27], v19 offset0:2 offset1:4
	ds_read2st64_b64 v[28:31], v18 offset0:2 offset1:4
	s_waitcnt lgkmcnt(1)
	v_mfma_f32_16x16x16_bf16 a[0:3], v[32:33], v[24:25], a[0:3]
	s_waitcnt lgkmcnt(0)
	v_mfma_f32_16x16x16_bf16 a[4:7], v[32:33], v[28:29], a[4:7]
	v_or_b32_e32 v32, 0x60, v38
	v_xor_b32_e32 v32, v37, v32
	v_xor_b32_e32 v33, 0x440, v32
	v_cndmask_b32_e32 v32, v33, v32, vcc
	v_or_b32_e32 v32, v32, v39
	v_xad_u32 v37, v32, v34, v35
	v_add_u32_e32 v32, v36, v37
	ds_read_b64 v[32:33], v32
	v_mfma_f32_16x16x16_bf16 a[0:3], v[0:1], v[26:27], a[0:3]
	v_exp_f32_e32 v36, s12
	v_mfma_f32_16x16x16_bf16 a[4:7], v[0:1], v[30:31], a[4:7]
	ds_read_b64 v[0:1], v19 offset:3072
	ds_read_b64 v[34:35], v18 offset:3072
	;; [unrolled: 1-line block ×3, first 2 shown]
	s_waitcnt lgkmcnt(0)
	v_mfma_f32_16x16x16_bf16 a[8:11], v[18:19], v[20:21], 0
	ds_read_b64 v[20:21], v41 offset:16384
	v_mfma_f32_16x16x16_bf16 a[0:3], v[32:33], v[0:1], a[0:3]
	v_mfma_f32_16x16x16_bf16 a[12:15], v[18:19], v[22:23], 0
	ds_read_b64 v[22:23], v42 offset:16384
	s_nop 4
	v_accvgpr_read_b32 v18, a0
	v_fma_f32 v18, v2, v36, v18
	v_accvgpr_read_b32 v2, a1
	v_fma_f32 v19, v3, v36, v2
	v_accvgpr_read_b32 v2, a2
	s_waitcnt lgkmcnt(1)
	v_mfma_f32_16x16x16_bf16 a[8:11], v[20:21], v[24:25], a[8:11]
	v_mfma_f32_16x16x16_bf16 a[12:15], v[20:21], v[28:29], a[12:15]
	v_fma_f32 v20, v4, v36, v2
	ds_read_b64 v[2:3], v37 offset:16384
	v_accvgpr_read_b32 v21, a3
	s_waitcnt lgkmcnt(1)
	v_mfma_f32_16x16x16_bf16 a[0:3], v[22:23], v[26:27], a[8:11]
	v_fmac_f32_e32 v21, v5, v36
	v_mfma_f32_16x16x16_bf16 a[4:7], v[32:33], v[34:35], a[4:7]
	v_mfma_f32_16x16x16_bf16 a[8:11], v[22:23], v[30:31], a[12:15]
	s_waitcnt lgkmcnt(0)
	v_mfma_f32_16x16x16_bf16 a[0:3], v[2:3], v[0:1], a[0:3]
	s_nop 3
	v_accvgpr_read_b32 v4, a4
	v_fma_f32 v26, v10, v36, v4
	v_accvgpr_read_b32 v4, a5
	v_fma_f32 v27, v11, v36, v4
	v_accvgpr_read_b32 v4, a6
	v_accvgpr_read_b32 v29, a7
	v_mfma_f32_16x16x16_bf16 a[4:7], v[2:3], v[34:35], a[8:11]
	v_accvgpr_read_b32 v0, a0
	v_fma_f32 v22, v6, v36, v0
	v_accvgpr_read_b32 v0, a1
	v_fma_f32 v23, v7, v36, v0
	;; [unrolled: 2-line block ×3, first 2 shown]
	v_accvgpr_read_b32 v25, a3
	v_accvgpr_read_b32 v0, a4
	v_fma_f32 v30, v14, v36, v0
	v_accvgpr_read_b32 v0, a5
	v_fma_f32 v31, v15, v36, v0
	v_accvgpr_read_b32 v0, a6
	v_accvgpr_read_b32 v33, a7
	v_fma_f32 v28, v12, v36, v4
	v_fmac_f32_e32 v29, v13, v36
	v_fmac_f32_e32 v25, v9, v36
	v_fma_f32 v32, v16, v36, v0
	v_fmac_f32_e32 v33, v17, v36
	v_mov_b64_e32 v[2:3], v[18:19]
	v_mov_b64_e32 v[4:5], v[20:21]
	;; [unrolled: 1-line block ×8, first 2 shown]
.LBB298_83:
	s_waitcnt lgkmcnt(0)
	s_add_u32 s0, s30, s28
	s_addc_u32 s1, s31, s29
	v_lshl_add_u64 v[0:1], v[52:53], 1, s[0:1]
	v_mov_b32_e32 v51, 0
	s_mov_b32 s2, 0x7060302
	v_lshl_add_u64 v[0:1], v[0:1], 0, v[50:51]
	v_perm_b32 v5, v5, v4, s2
	v_perm_b32 v4, v3, v2, s2
	;; [unrolled: 1-line block ×4, first 2 shown]
	global_store_dwordx2 v[0:1], v[4:5], off
	global_store_dwordx2 v[0:1], v[2:3], off offset:128
	v_lshl_add_u64 v[0:1], v[54:55], 1, s[0:1]
	v_lshl_add_u64 v[0:1], v[0:1], 0, v[50:51]
	v_perm_b32 v3, v13, v12, s2
	v_perm_b32 v2, v11, v10, s2
	global_store_dwordx2 v[0:1], v[2:3], off
	v_perm_b32 v3, v17, v16, s2
	v_perm_b32 v2, v15, v14, s2
	global_store_dwordx2 v[0:1], v[2:3], off offset:128
	s_endpgm
	.section	.rodata,"a",@progbits
	.p2align	6, 0x0
	.amdhsa_kernel _ZN12_GLOBAL__N_139chunk_gated_delta_rule_fwd_h_hip_kernelILi32ELb1ELb1ELb0ELb0ELb1ELb0ELb1ELb1EEEvPK12hip_bfloat16S3_S3_PKfS5_PKvPS1_S8_PvPKiSB_iiiiilll
		.amdhsa_group_segment_fixed_size 49152
		.amdhsa_private_segment_fixed_size 0
		.amdhsa_kernarg_size 136
		.amdhsa_user_sgpr_count 2
		.amdhsa_user_sgpr_dispatch_ptr 0
		.amdhsa_user_sgpr_queue_ptr 0
		.amdhsa_user_sgpr_kernarg_segment_ptr 1
		.amdhsa_user_sgpr_dispatch_id 0
		.amdhsa_user_sgpr_kernarg_preload_length 0
		.amdhsa_user_sgpr_kernarg_preload_offset 0
		.amdhsa_user_sgpr_private_segment_size 0
		.amdhsa_uses_dynamic_stack 0
		.amdhsa_enable_private_segment 0
		.amdhsa_system_sgpr_workgroup_id_x 1
		.amdhsa_system_sgpr_workgroup_id_y 1
		.amdhsa_system_sgpr_workgroup_id_z 0
		.amdhsa_system_sgpr_workgroup_info 0
		.amdhsa_system_vgpr_workitem_id 0
		.amdhsa_next_free_vgpr 152
		.amdhsa_next_free_sgpr 69
		.amdhsa_accum_offset 136
		.amdhsa_reserve_vcc 1
		.amdhsa_float_round_mode_32 0
		.amdhsa_float_round_mode_16_64 0
		.amdhsa_float_denorm_mode_32 3
		.amdhsa_float_denorm_mode_16_64 3
		.amdhsa_dx10_clamp 1
		.amdhsa_ieee_mode 1
		.amdhsa_fp16_overflow 0
		.amdhsa_tg_split 0
		.amdhsa_exception_fp_ieee_invalid_op 0
		.amdhsa_exception_fp_denorm_src 0
		.amdhsa_exception_fp_ieee_div_zero 0
		.amdhsa_exception_fp_ieee_overflow 0
		.amdhsa_exception_fp_ieee_underflow 0
		.amdhsa_exception_fp_ieee_inexact 0
		.amdhsa_exception_int_div_zero 0
	.end_amdhsa_kernel
	.section	.text._ZN12_GLOBAL__N_139chunk_gated_delta_rule_fwd_h_hip_kernelILi32ELb1ELb1ELb0ELb0ELb1ELb0ELb1ELb1EEEvPK12hip_bfloat16S3_S3_PKfS5_PKvPS1_S8_PvPKiSB_iiiiilll,"axG",@progbits,_ZN12_GLOBAL__N_139chunk_gated_delta_rule_fwd_h_hip_kernelILi32ELb1ELb1ELb0ELb0ELb1ELb0ELb1ELb1EEEvPK12hip_bfloat16S3_S3_PKfS5_PKvPS1_S8_PvPKiSB_iiiiilll,comdat
.Lfunc_end298:
	.size	_ZN12_GLOBAL__N_139chunk_gated_delta_rule_fwd_h_hip_kernelILi32ELb1ELb1ELb0ELb0ELb1ELb0ELb1ELb1EEEvPK12hip_bfloat16S3_S3_PKfS5_PKvPS1_S8_PvPKiSB_iiiiilll, .Lfunc_end298-_ZN12_GLOBAL__N_139chunk_gated_delta_rule_fwd_h_hip_kernelILi32ELb1ELb1ELb0ELb0ELb1ELb0ELb1ELb1EEEvPK12hip_bfloat16S3_S3_PKfS5_PKvPS1_S8_PvPKiSB_iiiiilll
                                        ; -- End function
	.section	.AMDGPU.csdata,"",@progbits
; Kernel info:
; codeLenInByte = 9440
; NumSgprs: 75
; NumVgprs: 136
; NumAgprs: 16
; TotalNumVgprs: 152
; ScratchSize: 0
; MemoryBound: 0
; FloatMode: 240
; IeeeMode: 1
; LDSByteSize: 49152 bytes/workgroup (compile time only)
; SGPRBlocks: 9
; VGPRBlocks: 18
; NumSGPRsForWavesPerEU: 75
; NumVGPRsForWavesPerEU: 152
; AccumOffset: 136
; Occupancy: 1
; WaveLimiterHint : 1
; COMPUTE_PGM_RSRC2:SCRATCH_EN: 0
; COMPUTE_PGM_RSRC2:USER_SGPR: 2
; COMPUTE_PGM_RSRC2:TRAP_HANDLER: 0
; COMPUTE_PGM_RSRC2:TGID_X_EN: 1
; COMPUTE_PGM_RSRC2:TGID_Y_EN: 1
; COMPUTE_PGM_RSRC2:TGID_Z_EN: 0
; COMPUTE_PGM_RSRC2:TIDIG_COMP_CNT: 0
; COMPUTE_PGM_RSRC3_GFX90A:ACCUM_OFFSET: 33
; COMPUTE_PGM_RSRC3_GFX90A:TG_SPLIT: 0
	.section	.text._ZN12_GLOBAL__N_139chunk_gated_delta_rule_fwd_h_hip_kernelILi32ELb1ELb0ELb1ELb0ELb1ELb0ELb1ELb1EEEvPK12hip_bfloat16S3_S3_PKfS5_PKvPS1_S8_PvPKiSB_iiiiilll,"axG",@progbits,_ZN12_GLOBAL__N_139chunk_gated_delta_rule_fwd_h_hip_kernelILi32ELb1ELb0ELb1ELb0ELb1ELb0ELb1ELb1EEEvPK12hip_bfloat16S3_S3_PKfS5_PKvPS1_S8_PvPKiSB_iiiiilll,comdat
	.globl	_ZN12_GLOBAL__N_139chunk_gated_delta_rule_fwd_h_hip_kernelILi32ELb1ELb0ELb1ELb0ELb1ELb0ELb1ELb1EEEvPK12hip_bfloat16S3_S3_PKfS5_PKvPS1_S8_PvPKiSB_iiiiilll ; -- Begin function _ZN12_GLOBAL__N_139chunk_gated_delta_rule_fwd_h_hip_kernelILi32ELb1ELb0ELb1ELb0ELb1ELb0ELb1ELb1EEEvPK12hip_bfloat16S3_S3_PKfS5_PKvPS1_S8_PvPKiSB_iiiiilll
	.p2align	8
	.type	_ZN12_GLOBAL__N_139chunk_gated_delta_rule_fwd_h_hip_kernelILi32ELb1ELb0ELb1ELb0ELb1ELb0ELb1ELb1EEEvPK12hip_bfloat16S3_S3_PKfS5_PKvPS1_S8_PvPKiSB_iiiiilll,@function
_ZN12_GLOBAL__N_139chunk_gated_delta_rule_fwd_h_hip_kernelILi32ELb1ELb0ELb1ELb0ELb1ELb0ELb1ELb1EEEvPK12hip_bfloat16S3_S3_PKfS5_PKvPS1_S8_PvPKiSB_iiiiilll: ; @_ZN12_GLOBAL__N_139chunk_gated_delta_rule_fwd_h_hip_kernelILi32ELb1ELb0ELb1ELb0ELb1ELb0ELb1ELb1EEEvPK12hip_bfloat16S3_S3_PKfS5_PKvPS1_S8_PvPKiSB_iiiiilll
; %bb.0:
	s_load_dwordx4 s[12:15], s[0:1], 0x5c
	s_load_dwordx4 s[20:23], s[0:1], 0x70
	s_abs_i32 s6, s3
	s_ashr_i32 s5, s3, 31
	s_load_dwordx4 s[16:19], s[0:1], 0x28
	s_load_dwordx2 s[28:29], s[0:1], 0x38
	s_waitcnt lgkmcnt(0)
	s_abs_i32 s4, s13
	v_cvt_f32_u32_e32 v1, s4
	s_sub_i32 s8, 0, s4
	s_ashr_i32 s7, s13, 31
	s_xor_b32 s5, s5, s7
	v_rcp_iflag_f32_e32 v1, v1
	v_and_b32_e32 v63, 15, v0
	v_lshrrev_b32_e32 v61, 6, v0
	v_bfe_u32 v62, v0, 4, 2
	v_mul_f32_e32 v1, 0x4f7ffffe, v1
	v_cvt_u32_f32_e32 v1, v1
	v_mov_b32_e32 v7, 0
	v_and_b32_e32 v60, 63, v0
	v_lshlrev_b32_e32 v64, 3, v0
	v_readfirstlane_b32 s9, v1
	s_mul_i32 s8, s8, s9
	s_mul_hi_u32 s8, s9, s8
	s_add_i32 s9, s9, s8
	s_mul_hi_u32 s8, s6, s9
	s_mul_i32 s9, s8, s4
	s_sub_i32 s6, s6, s9
	s_add_i32 s10, s8, 1
	s_sub_i32 s9, s6, s4
	s_cmp_ge_u32 s6, s4
	s_cselect_b32 s8, s10, s8
	s_cselect_b32 s6, s9, s6
	s_add_i32 s9, s8, 1
	s_cmp_ge_u32 s6, s4
	s_cselect_b32 s6, s9, s8
	s_xor_b32 s6, s6, s5
	s_add_i32 s8, s12, 63
	s_sub_i32 s51, s6, s5
	s_ashr_i32 s9, s8, 31
	s_mul_i32 s5, s51, s13
	s_sub_i32 s49, s3, s5
	s_lshr_b32 s3, s9, 26
	s_add_i32 s8, s8, s3
	s_abs_i32 s3, s14
	v_cvt_f32_u32_e32 v1, s3
	s_ashr_i32 s50, s12, 31
	s_lshr_b32 s6, s50, 26
	s_add_i32 s6, s12, s6
	v_rcp_iflag_f32_e32 v1, v1
	s_ashr_i32 s54, s14, 31
	s_ashr_i32 s24, s8, 6
	;; [unrolled: 1-line block ×3, first 2 shown]
	v_mul_f32_e32 v1, 0x4f7ffffe, v1
	v_cvt_u32_f32_e32 v1, v1
	s_xor_b32 s6, s7, s54
	s_sub_i32 s7, 0, s3
	s_lshl_b32 s2, s2, 5
	v_readfirstlane_b32 s8, v1
	s_mul_i32 s7, s7, s8
	s_mul_hi_u32 s7, s8, s7
	s_add_i32 s8, s8, s7
	s_mul_hi_u32 s7, s4, s8
	s_mul_i32 s8, s7, s3
	s_sub_i32 s4, s4, s8
	s_add_i32 s8, s7, 1
	s_sub_i32 s9, s4, s3
	s_cmp_ge_u32 s4, s3
	s_cselect_b32 s7, s8, s7
	s_cselect_b32 s4, s9, s4
	s_add_i32 s8, s7, 1
	s_cmp_ge_u32 s4, s3
	s_cselect_b32 s3, s8, s7
	s_xor_b32 s3, s3, s6
	s_sub_i32 s3, s3, s6
	s_abs_i32 s4, s3
	v_cvt_f32_u32_e32 v1, s4
	s_sub_i32 s7, 0, s4
	s_abs_i32 s6, s49
	s_xor_b32 s3, s49, s3
	v_rcp_iflag_f32_e32 v1, v1
	s_ashr_i32 s3, s3, 31
	v_or_b32_e32 v50, s2, v63
	v_lshlrev_b32_e32 v2, 7, v50
	v_mul_f32_e32 v1, 0x4f7ffffe, v1
	v_cvt_u32_f32_e32 v1, v1
	v_ashrrev_i32_e32 v3, 31, v2
	v_lshrrev_b32_e32 v65, 3, v60
	s_mul_i32 s33, s51, s21
	v_readfirstlane_b32 s8, v1
	s_mul_i32 s7, s7, s8
	s_mul_hi_u32 s7, s8, s7
	s_add_i32 s8, s8, s7
	s_mul_hi_u32 s7, s6, s8
	s_mul_i32 s8, s7, s4
	s_sub_i32 s6, s6, s8
	s_add_i32 s8, s7, 1
	s_sub_i32 s9, s6, s4
	s_cmp_ge_u32 s6, s4
	s_cselect_b32 s7, s8, s7
	s_cselect_b32 s6, s9, s6
	s_add_i32 s8, s7, 1
	s_cmp_ge_u32 s6, s4
	s_cselect_b32 s4, s8, s7
	s_xor_b32 s4, s4, s3
	s_sub_i32 s55, s4, s3
	s_ashr_i32 s3, s51, 31
	s_ashr_i32 s53, s49, 31
	s_mul_hi_i32 s4, s51, s13
	s_add_u32 s38, s5, s49
	s_addc_u32 s39, s4, s53
	s_lshl_b64 s[4:5], s[38:39], 15
	s_add_u32 s4, s16, s4
	s_addc_u32 s5, s17, s5
	v_lshlrev_b32_e32 v1, 4, v61
	v_lshl_add_u64 v[4:5], v[2:3], 1, s[4:5]
	v_or_b32_e32 v2, 0x800, v2
	v_lshl_or_b32 v66, v62, 2, v1
	v_ashrrev_i32_e32 v3, 31, v2
	v_lshlrev_b32_e32 v6, 1, v66
	v_lshl_add_u64 v[2:3], v[2:3], 1, s[4:5]
	v_lshl_add_u64 v[4:5], v[4:5], 0, v[6:7]
	;; [unrolled: 1-line block ×3, first 2 shown]
	global_load_dwordx2 v[8:9], v[4:5], off
	v_or_b32_e32 v67, 64, v66
	global_load_dwordx2 v[4:5], v[4:5], off offset:128
	s_nop 0
	global_load_dwordx2 v[6:7], v[2:3], off
	global_load_dwordx2 v[10:11], v[2:3], off offset:128
	s_load_dwordx8 s[4:11], s[0:1], 0x0
	s_load_dwordx2 s[30:31], s[0:1], 0x80
	s_mul_hi_u32 s44, s51, s20
	s_mul_i32 s34, s51, s20
	s_mul_i32 s56, s51, s24
	;; [unrolled: 1-line block ×3, first 2 shown]
	s_mul_hi_u32 s46, s49, s22
	s_mul_i32 s48, s3, s20
	s_mul_i32 s47, s53, s22
	s_mul_hi_u32 s57, s38, s12
	s_mul_i32 s16, s38, s12
	s_mul_i32 s39, s39, s12
	s_cmp_lt_i32 s12, 64
	s_mul_i32 s36, s49, s22
	s_waitcnt vmcnt(3)
	v_and_b32_e32 v19, 0xffff0000, v8
	v_lshlrev_b32_e32 v18, 16, v8
	v_and_b32_e32 v21, 0xffff0000, v9
	v_lshlrev_b32_e32 v20, 16, v9
	s_waitcnt vmcnt(2)
	v_and_b32_e32 v23, 0xffff0000, v4
	v_lshlrev_b32_e32 v22, 16, v4
	v_and_b32_e32 v25, 0xffff0000, v5
	v_lshlrev_b32_e32 v24, 16, v5
	;; [unrolled: 5-line block ×4, first 2 shown]
	s_cbranch_scc1 .LBB299_17
; %bb.1:
	s_add_i32 s17, s57, s39
	s_lshl_b64 s[0:1], s[16:17], 8
	v_and_b32_e32 v69, 56, v64
	s_waitcnt lgkmcnt(0)
	s_add_u32 s20, s6, s0
	v_lshl_or_b32 v68, v61, 3, v65
	v_lshlrev_b32_e32 v2, 1, v69
	s_addc_u32 s0, s7, s1
	v_lshl_or_b32 v70, v68, 8, v2
	s_and_b32 s21, s0, 0xffff
	s_mov_b32 s23, 0x20000
	s_movk_i32 s22, 0x4000
	s_movk_i32 s0, 0x80
	v_or_b32_e32 v71, 0x2000, v70
	buffer_load_dwordx4 v[4:7], v70, s[20:23], 0 offen
	buffer_load_dwordx4 v[8:11], v70, s[20:23], s0 offen
	;; [unrolled: 1-line block ×4, first 2 shown]
	v_lshlrev_b32_e32 v3, 3, v68
	v_and_or_b32 v17, v0, 7, v3
	v_and_b32_e32 v3, 0x78, v3
	v_lshlrev_b32_e32 v17, 4, v17
	v_xor_b32_e32 v72, v17, v3
	v_mul_lo_u32 v16, v68, s15
	v_or_b32_e32 v73, 0x1000, v72
	v_xor_b32_e32 v3, 8, v72
	s_cmpk_eq_i32 s15, 0x80
	s_mov_b32 s58, s14
	v_xor_b32_e32 v17, 8, v73
	s_cselect_b64 s[0:1], -1, 0
	s_cmpk_lg_i32 s15, 0x80
	s_waitcnt vmcnt(3)
	ds_write_b64 v72, v[4:5] offset:24576
	ds_write_b64 v3, v[6:7] offset:24576
	s_waitcnt vmcnt(2)
	ds_write_b64 v72, v[8:9] offset:32768
	ds_write_b64 v3, v[10:11] offset:32768
	;; [unrolled: 3-line block ×4, first 2 shown]
	v_lshl_add_u32 v3, v16, 1, v69
	s_cbranch_scc0 .LBB299_3
; %bb.2:
	v_lshlrev_b32_e32 v5, 1, v3
	v_add_lshl_u32 v4, v3, s15, 1
	s_lshl_b32 s22, s15, 7
	v_lshl_or_b32 v2, v68, 9, v2
	s_cbranch_execz .LBB299_4
	s_branch .LBB299_5
.LBB299_3:
                                        ; implicit-def: $vgpr4
                                        ; implicit-def: $vgpr5
                                        ; implicit-def: $sgpr22
	v_lshl_or_b32 v2, v68, 9, v2
.LBB299_4:
	v_or_b32_e32 v4, 0x100, v2
	s_movk_i32 s22, 0x4000
	v_mov_b32_e32 v5, v2
.LBB299_5:
	s_mul_hi_u32 s20, s14, s12
	s_mul_i32 s21, s54, s12
	s_add_i32 s20, s20, s21
	s_mul_i32 s21, s14, s12
	s_mul_i32 s23, s21, s3
	s_mul_hi_u32 s24, s21, s51
	s_add_i32 s23, s24, s23
	s_mul_i32 s20, s20, s51
	s_add_i32 s23, s23, s20
	s_mul_i32 s21, s21, s51
	s_ashr_i32 s59, s55, 31
	s_add_u32 s20, s21, s55
	s_addc_u32 s21, s23, s59
	s_lshl_b64 s[20:21], s[20:21], 8
	s_add_u32 s20, s4, s20
	s_addc_u32 s21, s5, s21
	s_and_b32 s21, s21, 0xffff
	s_mov_b32 s23, 0x20000
	s_movk_i32 s60, 0x80
	buffer_load_dwordx4 v[6:9], v5, s[20:23], 0 offen
	buffer_load_dwordx4 v[10:13], v5, s[20:23], s60 offen
	;; [unrolled: 1-line block ×4, first 2 shown]
	v_and_b32_e32 v4, 6, v0
	v_lshlrev_b32_e32 v39, 6, v66
	v_or_b32_e32 v41, 16, v63
	v_xor_b32_e32 v42, v68, v4
	v_and_b32_e32 v5, 1, v0
	v_lshl_or_b32 v45, v63, 3, v39
	v_lshl_or_b32 v39, v41, 3, v39
	v_lshlrev_b32_e32 v42, 2, v42
	s_mul_i32 s3, s3, s12
	s_mul_hi_u32 s20, s51, s12
	v_lshlrev_b32_e32 v38, 2, v63
	v_or_b32_e32 v76, 0xa000, v39
	v_or_b32_e32 v77, 0xb000, v39
	v_xor_b32_e32 v39, 0x440, v42
	v_cmp_eq_u32_e32 vcc, 0, v5
	v_xor_b32_e32 v43, v66, v38
	v_xor_b32_e32 v44, v67, v38
	v_cndmask_b32_e32 v5, v39, v42, vcc
	s_add_i32 s65, s20, s3
	s_add_i32 s3, s44, s33
	s_mov_b32 s62, 0x1000504
	v_lshlrev_b32_e32 v40, 8, v63
	v_lshlrev_b32_e32 v43, 1, v43
	;; [unrolled: 1-line block ×3, first 2 shown]
	v_lshl_or_b32 v4, v4, 10, v5
	s_add_i32 s35, s3, s48
	s_add_i32 s3, s46, s45
	s_mov_b32 s63, 0x3020706
	v_or_b32_e32 v74, 0xa000, v45
	v_or_b32_e32 v75, 0xb000, v45
	;; [unrolled: 1-line block ×4, first 2 shown]
	v_xor_b32_e32 v5, 8, v4
	v_xor_b32_e32 v40, 24, v4
	;; [unrolled: 1-line block ×4, first 2 shown]
	s_add_i32 s37, s3, s47
	s_lshl_b64 s[20:21], s[34:35], 2
	v_xor_b32_e32 v39, 16, v4
	v_xor_b32_e32 v42, 32, v4
	;; [unrolled: 1-line block ×3, first 2 shown]
	v_add_u32_e32 v5, 0x80, v5
	v_add_u32_e32 v40, 0x80, v40
	;; [unrolled: 1-line block ×4, first 2 shown]
	s_add_u32 s3, s10, s20
	s_addc_u32 s22, s11, s21
	s_lshl_b64 s[20:21], s[36:37], 2
	s_add_u32 s40, s3, s20
	s_movk_i32 s3, 0xf8
	s_addc_u32 s41, s22, s21
	s_lshl_b32 s26, s15, 7
	s_movk_i32 s24, 0x100
	v_mov_b32_e32 v53, 0
	v_lshlrev_b32_e32 v52, 4, v63
	v_cmp_gt_u32_e32 vcc, s24, v0
	v_ashrrev_i32_e32 v51, 31, v50
	s_mov_b32 s61, 0
	s_mul_i32 s64, s51, s12
	s_movk_i32 s35, 0x1000
	s_movk_i32 s22, 0x4000
	s_mov_b32 s66, 0
	s_waitcnt vmcnt(1)
	v_perm_b32 v48, v6, v14, s62
	s_waitcnt vmcnt(0)
	v_perm_b32 v49, v10, v34, s62
	v_perm_b32 v6, v6, v14, s63
	;; [unrolled: 1-line block ×15, first 2 shown]
	ds_write2st64_b32 v4, v48, v49 offset0:32 offset1:64
	ds_write2st64_b32 v5, v6, v10 offset0:32 offset1:64
	;; [unrolled: 1-line block ×8, first 2 shown]
	v_lshlrev_b32_e32 v4, 8, v41
	v_or_b32_e32 v80, v4, v43
	v_or_b32_e32 v81, v4, v44
	;; [unrolled: 1-line block ×3, first 2 shown]
	v_lshlrev_b32_e32 v4, 3, v4
	v_lshrrev_b32_e32 v7, 5, v60
	v_and_or_b32 v7, v4, s3, v7
	v_lshlrev_b32_e32 v7, 4, v7
	v_lshlrev_b32_e32 v5, 11, v61
	v_and_b32_e32 v4, 0x78, v4
	v_or_b32_e32 v12, 32, v7
	v_and_b32_e32 v6, 0x1000, v5
	v_lshrrev_b32_e32 v9, 1, v0
	v_xor_b32_e32 v12, v12, v4
	v_and_b32_e32 v10, 8, v9
	v_or_b32_e32 v12, v12, v6
	v_xor_b32_e32 v8, v7, v4
	v_xor_b32_e32 v84, v12, v10
	v_or_b32_e32 v12, 64, v7
	v_or_b32_e32 v7, 0x60, v7
	s_ashr_i32 s3, s2, 31
	v_xor_b32_e32 v12, v12, v4
	v_xor_b32_e32 v4, v7, v4
	s_lshl_b64 s[20:21], s[2:3], 8
	v_or_b32_e32 v8, v8, v6
	v_or_b32_e32 v12, v12, v6
	;; [unrolled: 1-line block ×3, first 2 shown]
	s_add_u32 s20, s18, s20
	v_lshlrev_b32_e32 v6, 1, v63
	v_xor_b32_e32 v86, v12, v10
	v_lshrrev_b32_e32 v12, 4, v0
	s_addc_u32 s21, s19, s21
	v_or_b32_e32 v7, 1, v6
	v_mov_b32_e32 v16, 0x4000
	v_mov_b32_e32 v17, 0x2000
	v_xor_b32_e32 v13, v12, v6
	v_xor_b32_e32 v14, v7, v12
	v_lshl_add_u64 v[6:7], s[20:21], 0, v[52:53]
	v_lshlrev_b32_e32 v52, 8, v12
	v_cndmask_b32_e32 v16, v16, v17, vcc
	v_lshlrev_b32_e32 v17, 3, v61
	v_and_b32_e32 v9, 24, v9
	v_lshl_or_b32 v90, v13, 3, v52
	v_and_b32_e32 v13, 8, v0
	v_xor_b32_e32 v34, v17, v9
	v_or_b32_e32 v35, 0x440, v34
	v_cmp_eq_u32_e32 vcc, 0, v13
	v_and_b32_e32 v12, 7, v0
	v_xor_b32_e32 v82, v8, v10
	v_cndmask_b32_e32 v13, v35, v34, vcc
	v_lshlrev_b32_e32 v8, 7, v62
	v_lshl_or_b32 v91, v14, 3, v52
	v_lshlrev_b32_e32 v14, 3, v12
	v_lshlrev_b32_e32 v12, 7, v12
	;; [unrolled: 1-line block ×3, first 2 shown]
	v_or_b32_e32 v13, v13, v5
	v_or_b32_e32 v11, v8, v38
	v_xad_u32 v92, v13, v14, v12
	v_and_or_b32 v8, v15, 60, v8
	v_mov_b32_e32 v13, 0xb000
	v_lshl_or_b32 v93, v8, 1, v13
	v_or_b32_e32 v8, 32, v9
	v_xor_b32_e32 v8, v17, v8
	v_or_b32_e32 v13, 0x440, v8
	v_cndmask_b32_e32 v8, v13, v8, vcc
	v_or_b32_e32 v8, v8, v5
	v_xad_u32 v94, v8, v14, v12
	v_or_b32_e32 v8, 64, v9
	v_xor_b32_e32 v8, v17, v8
	v_xor_b32_e32 v13, 0x440, v8
	v_cndmask_b32_e32 v8, v13, v8, vcc
	v_or_b32_e32 v8, v8, v5
	v_xad_u32 v95, v8, v14, v12
	v_or_b32_e32 v8, 0x60, v9
	v_xor_b32_e32 v8, v17, v8
	v_xor_b32_e32 v9, 0x440, v8
	v_lshlrev_b32_e32 v11, 1, v11
	v_cndmask_b32_e32 v8, v9, v8, vcc
	v_or_b32_e32 v83, 0xa000, v11
	v_or_b32_e32 v85, 0xa080, v11
	v_xor_b32_e32 v87, v4, v10
	v_or_b32_e32 v88, 0xb000, v11
	v_or_b32_e32 v89, 0xb080, v11
	v_lshlrev_b32_e32 v10, 1, v3
	v_add_lshl_u32 v3, v3, s15, 1
	v_or_b32_e32 v11, 0x100, v2
	v_or_b32_e32 v5, v8, v5
	v_lshlrev_b32_e32 v4, 7, v66
	v_xad_u32 v96, v5, v14, v12
	v_cndmask_b32_e64 v97, v10, v2, s[0:1]
	v_cndmask_b32_e64 v98, v3, v11, s[0:1]
	v_lshlrev_b64 v[2:3], 1, v[50:51]
	v_lshl_add_u64 v[54:55], s[8:9], 0, v[2:3]
	v_lshl_add_u64 v[56:57], s[28:29], 0, v[2:3]
	v_lshl_add_u64 v[58:59], v[6:7], 0, v[52:53]
	v_lshlrev_b32_e32 v52, 1, v4
	v_add_u32_e32 v51, v16, v92
	v_add_u32_e32 v99, v16, v94
	v_add_u32_e32 v100, v16, v95
	v_add_u32_e32 v101, v16, v96
	v_mov_b64_e32 v[2:3], v[18:19]
	s_mov_b32 s3, 0x7060302
	v_mov_b64_e32 v[4:5], v[20:21]
	v_mov_b64_e32 v[6:7], v[22:23]
	;; [unrolled: 1-line block ×7, first 2 shown]
	s_waitcnt lgkmcnt(0)
	s_barrier
	s_branch .LBB299_7
.LBB299_6:                              ;   in Loop: Header=BB299_7 Depth=1
	s_waitcnt vmcnt(2)
	v_exp_f32_e32 v34, s20
	v_accvgpr_read_b32 v21, a7
	v_accvgpr_read_b32 v19, a5
	;; [unrolled: 1-line block ×16, first 2 shown]
	v_fma_f32 v18, v2, v34, v18
	v_fma_f32 v19, v3, v34, v19
	v_fma_f32 v20, v4, v34, v20
	v_fmac_f32_e32 v21, v5, v34
	v_fma_f32 v26, v10, v34, v26
	v_fma_f32 v27, v11, v34, v27
	v_fma_f32 v28, v12, v34, v28
	v_fmac_f32_e32 v29, v13, v34
	;; [unrolled: 4-line block ×4, first 2 shown]
	s_add_i32 s61, s61, 64
	v_mov_b64_e32 v[2:3], v[18:19]
	s_cmp_eq_u32 s52, s37
	s_mov_b32 s66, s37
	v_mov_b64_e32 v[4:5], v[20:21]
	v_mov_b64_e32 v[6:7], v[22:23]
	;; [unrolled: 1-line block ×7, first 2 shown]
	s_cbranch_scc1 .LBB299_17
.LBB299_7:                              ; =>This Inner Loop Header: Depth=1
	s_add_i32 s37, s66, 1
	s_cmp_lt_i32 s37, s52
	s_mov_b64 s[24:25], 0
	s_cselect_b64 s[42:43], -1, 0
	s_cmp_ge_i32 s37, s52
	s_mov_b64 s[20:21], 0
	s_cbranch_scc1 .LBB299_9
; %bb.8:                                ;   in Loop: Header=BB299_7 Depth=1
	s_add_i32 s0, s61, 64
	s_add_u32 s0, s16, s0
	s_addc_u32 s1, s17, 0
	s_lshl_b64 s[0:1], s[0:1], 8
	s_add_u32 s20, s6, s0
	s_addc_u32 s21, s7, s1
.LBB299_9:                              ;   in Loop: Header=BB299_7 Depth=1
	v_cndmask_b32_e64 v18, 0, 1, s[42:43]
	v_cmp_ne_u32_e64 s[0:1], 1, v18
	s_andn2_b64 vcc, exec, s[42:43]
	s_cbranch_vccnz .LBB299_11
; %bb.10:                               ;   in Loop: Header=BB299_7 Depth=1
	s_add_i32 s24, s61, 64
	s_add_u32 s24, s64, s24
	s_addc_u32 s25, s65, 0
	s_mul_i32 s27, s24, s54
	s_mul_hi_u32 s42, s24, s58
	s_add_i32 s27, s42, s27
	s_mul_i32 s25, s25, s58
	s_add_i32 s27, s27, s25
	s_mul_i32 s24, s24, s58
	s_add_u32 s24, s24, s55
	s_addc_u32 s25, s27, s59
	s_lshl_b64 s[24:25], s[24:25], 8
	s_add_u32 s24, s4, s24
	s_addc_u32 s25, s5, s25
.LBB299_11:                             ;   in Loop: Header=BB299_7 Depth=1
	v_perm_b32 v19, v5, v4, s3
	v_perm_b32 v18, v3, v2, s3
	;; [unrolled: 1-line block ×4, first 2 shown]
	ds_write_b64 v74, v[18:19]
	ds_write_b64 v75, v[20:21]
	;; [unrolled: 1-line block ×4, first 2 shown]
	v_perm_b32 v19, v13, v12, s3
	v_perm_b32 v18, v11, v10, s3
	;; [unrolled: 1-line block ×4, first 2 shown]
	ds_write_b64 v76, v[18:19]
	ds_write_b64 v77, v[20:21]
	;; [unrolled: 1-line block ×4, first 2 shown]
	s_waitcnt lgkmcnt(0)
	s_barrier
	ds_read_b64 v[22:23], v82 offset:24576
	ds_read2_b64 v[18:21], v83 offset1:16
	ds_read_b64 v[26:27], v85 offset:3072
	ds_read_b64 v[28:29], v83 offset:3072
	;; [unrolled: 1-line block ×3, first 2 shown]
	s_waitcnt lgkmcnt(3)
	v_mfma_f32_16x16x16_bf16 a[0:3], v[22:23], v[18:19], 0
	s_add_i32 s27, s61, 63
	s_mul_i32 s42, s27, s31
	s_mul_hi_u32 s43, s27, s30
	v_mfma_f32_16x16x16_bf16 a[4:7], v[22:23], v[20:21], 0
	ds_read2st64_b64 v[18:21], v83 offset0:2 offset1:4
	ds_read2st64_b64 v[22:25], v85 offset0:2 offset1:4
	s_add_i32 s43, s43, s42
	s_waitcnt lgkmcnt(1)
	v_mfma_f32_16x16x16_bf16 a[0:3], v[30:31], v[18:19], a[0:3]
	s_mul_i32 s42, s27, s30
	s_lshl_b64 s[42:43], s[42:43], 2
	s_add_u32 s42, s40, s42
	s_waitcnt lgkmcnt(0)
	v_mfma_f32_16x16x16_bf16 a[4:7], v[30:31], v[22:23], a[4:7]
	ds_read_b64 v[18:19], v86 offset:24576
	ds_read_b64 v[22:23], v87 offset:24576
	s_addc_u32 s43, s41, s43
	s_and_b64 vcc, exec, s[0:1]
	s_waitcnt lgkmcnt(1)
	v_mfma_f32_16x16x16_bf16 a[0:3], v[18:19], v[20:21], a[0:3]
	v_mov_b32_e32 v104, 0
	v_mov_b32_e32 v103, 0
	;; [unrolled: 1-line block ×3, first 2 shown]
	v_mfma_f32_16x16x16_bf16 a[8:11], v[18:19], v[24:25], a[4:7]
	v_mov_b32_e32 v18, 0
	v_mov_b32_e32 v19, 0
	;; [unrolled: 1-line block ×3, first 2 shown]
	s_waitcnt lgkmcnt(0)
	v_mfma_f32_16x16x16_bf16 a[4:7], v[22:23], v[28:29], a[0:3]
	v_mov_b32_e32 v21, 0
	v_mov_b32_e32 v24, 0
	;; [unrolled: 1-line block ×3, first 2 shown]
	v_mfma_f32_16x16x16_bf16 a[0:3], v[22:23], v[26:27], a[8:11]
	v_mov_b32_e32 v22, 0
	v_mov_b32_e32 v23, 0
	v_mov_b32_e32 v26, 0
	v_mov_b32_e32 v27, 0
	v_mov_b32_e32 v28, 0
	v_mov_b32_e32 v29, 0
	v_mov_b32_e32 v30, 0
	v_mov_b32_e32 v31, 0
	v_mov_b32_e32 v32, 0
	v_mov_b32_e32 v33, 0
	s_cbranch_vccnz .LBB299_13
; %bb.12:                               ;   in Loop: Header=BB299_7 Depth=1
	s_and_b32 s21, s21, 0xffff
	buffer_load_dwordx4 v[30:33], v70, s[20:23], 0 offen
	buffer_load_dwordx4 v[26:29], v70, s[20:23], s60 offen
	;; [unrolled: 1-line block ×4, first 2 shown]
	v_mov_b32_e32 v103, v72
	v_mov_b32_e32 v102, v73
.LBB299_13:                             ;   in Loop: Header=BB299_7 Depth=1
	ds_read_b64 v[42:43], v82 offset:32768
	ds_read2_b64 v[34:37], v88 offset1:16
	ds_read_b64 v[44:45], v84 offset:32768
	ds_read_b64 v[46:47], v86 offset:32768
	;; [unrolled: 1-line block ×3, first 2 shown]
	ds_read2st64_b64 v[38:41], v88 offset0:2 offset1:4
	v_add_u32_e32 v105, s61, v66
	s_waitcnt lgkmcnt(4)
	v_mfma_f32_16x16x16_bf16 a[4:7], v[42:43], v[34:35], a[4:7]
	v_ashrrev_i32_e32 v34, 31, v105
	v_mfma_f32_16x16x16_bf16 a[0:3], v[42:43], v[36:37], a[0:3]
	v_mul_lo_u32 v36, v105, s31
	v_mul_lo_u32 v37, v34, s30
	v_mad_u64_u32 v[34:35], s[20:21], v105, s30, 0
	v_add3_u32 v35, v35, v36, v37
	v_add_u32_e32 v36, 1, v105
	v_ashrrev_i32_e32 v37, 31, v36
	s_waitcnt lgkmcnt(0)
	v_mfma_f32_16x16x16_bf16 a[4:7], v[44:45], v[38:39], a[4:7]
	v_mul_lo_u32 v38, v37, s30
	v_mul_lo_u32 v39, v36, s31
	v_mad_u64_u32 v[36:37], s[20:21], v36, s30, 0
	v_add3_u32 v37, v37, v39, v38
	v_add_u32_e32 v38, 2, v105
	v_ashrrev_i32_e32 v39, 31, v38
	v_mul_lo_u32 v42, v39, s30
	v_mul_lo_u32 v43, v38, s31
	v_mad_u64_u32 v[38:39], s[20:21], v38, s30, 0
	v_add3_u32 v39, v39, v43, v42
	v_add_u32_e32 v42, 3, v105
	v_ashrrev_i32_e32 v43, 31, v42
	v_mul_lo_u32 v105, v43, s30
	v_mul_lo_u32 v106, v42, s31
	v_mad_u64_u32 v[42:43], s[20:21], v42, s30, 0
	s_add_u32 s20, s16, s61
	s_addc_u32 s21, s17, 0
	s_lshl_b64 s[68:69], s[20:21], 8
	v_lshl_add_u64 v[34:35], v[34:35], 2, s[40:41]
	v_add3_u32 v43, v43, v106, v105
	v_lshl_add_u64 v[106:107], v[54:55], 0, s[68:69]
	v_lshl_add_u64 v[36:37], v[36:37], 2, s[40:41]
	;; [unrolled: 1-line block ×3, first 2 shown]
	global_load_dword v105, v[34:35], off
	global_load_ushort v108, v[106:107], off offset:256
	global_load_ushort v109, v[106:107], off
	global_load_ushort v110, v[106:107], off offset:768
	v_lshl_add_u64 v[34:35], v[42:43], 2, s[40:41]
	v_lshl_add_u64 v[38:39], v[38:39], 2, s[40:41]
	global_load_dword v111, v[36:37], off
	global_load_dword v112, v[38:39], off
	;; [unrolled: 1-line block ×3, first 2 shown]
	ds_read2st64_b64 v[34:37], v89 offset0:2 offset1:4
	s_waitcnt lgkmcnt(0)
	v_mfma_f32_16x16x16_bf16 a[0:3], v[44:45], v[34:35], a[0:3]
	global_load_ushort v44, v[106:107], off offset:512
	global_load_ushort v114, v[106:107], off offset:800
	;; [unrolled: 1-line block ×4, first 2 shown]
	s_nop 0
	global_load_ushort v106, v[106:107], off offset:32
	s_and_b64 vcc, exec, s[0:1]
	v_mfma_f32_16x16x16_bf16 a[4:7], v[46:47], v[40:41], a[4:7]
	s_waitcnt vmcnt(10)
	v_lshlrev_b32_e32 v43, 16, v108
	v_mfma_f32_16x16x16_bf16 a[0:3], v[46:47], v[36:37], a[0:3]
	ds_read_b64 v[34:35], v88 offset:3072
	ds_read_b64 v[36:37], v89 offset:3072
	s_load_dword s20, s[42:43], 0x0
	s_waitcnt vmcnt(9)
	v_lshlrev_b32_e32 v42, 16, v109
	s_waitcnt lgkmcnt(0)
	v_mfma_f32_16x16x16_bf16 a[4:7], v[48:49], v[34:35], a[4:7]
	v_lshl_add_u64 v[34:35], v[56:57], 0, s[68:69]
	v_sub_f32_e32 v46, s20, v105
	s_waitcnt vmcnt(7)
	v_sub_f32_e32 v47, s20, v111
	v_mfma_f32_16x16x16_bf16 a[0:3], v[48:49], v[36:37], a[0:3]
	s_waitcnt vmcnt(6)
	v_sub_f32_e32 v48, s20, v112
	s_waitcnt vmcnt(5)
	v_sub_f32_e32 v49, s20, v113
	v_accvgpr_read_b32 v41, a5
	v_accvgpr_read_b32 v40, a4
	v_exp_f32_e32 v46, v46
	v_pk_add_f32 v[40:41], v[42:43], v[40:41] neg_lo:[0,1] neg_hi:[0,1]
	v_exp_f32_e32 v47, v47
	v_exp_f32_e32 v42, v48
	;; [unrolled: 1-line block ×3, first 2 shown]
	v_accvgpr_read_b32 v37, a7
	v_accvgpr_read_b32 v36, a6
	v_lshlrev_b32_e32 v45, 16, v110
	s_waitcnt vmcnt(4)
	v_lshlrev_b32_e32 v44, 16, v44
	v_lshl_add_u64 v[34:35], v[34:35], 0, v[52:53]
	v_pk_add_f32 v[36:37], v[44:45], v[36:37] neg_lo:[0,1] neg_hi:[0,1]
	global_store_short_d16_hi v[34:35], v40, off
	global_store_short_d16_hi v[34:35], v41, off offset:256
	global_store_short_d16_hi v[34:35], v36, off offset:512
	;; [unrolled: 1-line block ×3, first 2 shown]
	v_pk_mul_f32 v[40:41], v[46:47], v[40:41]
	v_pk_mul_f32 v[36:37], v[42:43], v[36:37]
	v_accvgpr_read_b32 v45, a1
	v_perm_b32 v40, v41, v40, s3
	v_perm_b32 v41, v37, v36, s3
	s_waitcnt vmcnt(5)
	v_lshlrev_b32_e32 v37, 16, v116
	s_waitcnt vmcnt(4)
	v_lshlrev_b32_e32 v36, 16, v106
	v_accvgpr_read_b32 v44, a0
	v_accvgpr_read_b32 v39, a3
	;; [unrolled: 1-line block ×3, first 2 shown]
	v_pk_add_f32 v[36:37], v[36:37], v[44:45] neg_lo:[0,1] neg_hi:[0,1]
	v_lshlrev_b32_e32 v45, 16, v114
	v_lshlrev_b32_e32 v44, 16, v115
	v_pk_add_f32 v[38:39], v[44:45], v[38:39] neg_lo:[0,1] neg_hi:[0,1]
	global_store_short_d16_hi v[34:35], v36, off offset:32
	global_store_short_d16_hi v[34:35], v37, off offset:288
	;; [unrolled: 1-line block ×4, first 2 shown]
	v_pk_mul_f32 v[34:35], v[46:47], v[36:37]
	v_pk_mul_f32 v[36:37], v[42:43], v[38:39]
	v_mov_b32_e32 v105, 0
	v_perm_b32 v37, v37, v36, s3
	v_perm_b32 v36, v35, v34, s3
	ds_write2_b64 v75, v[40:41], v[36:37] offset1:16
	v_mov_b32_e32 v34, 0
	v_mov_b32_e32 v35, 0
	;; [unrolled: 1-line block ×16, first 2 shown]
	s_cbranch_vccnz .LBB299_15
; %bb.14:                               ;   in Loop: Header=BB299_7 Depth=1
	s_and_b32 s25, s25, 0xffff
	s_mov_b32 s27, s23
	buffer_load_dwordx4 v[46:49], v97, s[24:27], 0 offen
	buffer_load_dwordx4 v[38:41], v97, s[24:27], s60 offen
	;; [unrolled: 1-line block ×4, first 2 shown]
	v_mov_b32_e32 v104, v69
	v_mov_b32_e32 v105, v68
.LBB299_15:                             ;   in Loop: Header=BB299_7 Depth=1
	s_waitcnt lgkmcnt(0)
	s_barrier
	ds_read_b64 v[110:111], v51
	ds_read_b64 v[118:119], v93
	;; [unrolled: 1-line block ×5, first 2 shown]
	ds_read_b64 v[124:125], v94 offset:16384
	ds_read_b64 v[126:127], v92 offset:16384
	ds_read2_b64 v[106:109], v88 offset0:16 offset1:128
	s_waitcnt lgkmcnt(6)
	v_mfma_f32_16x16x16_bf16 a[0:3], v[110:111], v[118:119], 0
	ds_read_b64 v[128:129], v89 offset:3072
	ds_read_b64 v[130:131], v96 offset:16384
	s_add_i32 s21, s56, s66
	s_waitcnt lgkmcnt(2)
	v_mfma_f32_16x16x16_bf16 a[4:7], v[110:111], v[106:107], 0
	ds_read2st64_b64 v[110:113], v89 offset0:2 offset1:4
	s_mul_hi_i32 s25, s21, s13
	s_mul_i32 s21, s21, s13
	v_mfma_f32_16x16x16_bf16 a[0:3], v[114:115], v[108:109], a[0:3]
	s_add_u32 s24, s21, s49
	s_addc_u32 s25, s25, s53
	s_lshl_b64 s[24:25], s[24:25], 15
	s_waitcnt lgkmcnt(0)
	v_mfma_f32_16x16x16_bf16 a[4:7], v[114:115], v[110:111], a[4:7]
	ds_read2st64_b64 v[114:117], v88 offset0:4 offset1:6
	s_waitcnt lgkmcnt(0)
	v_mfma_f32_16x16x16_bf16 a[0:3], v[120:121], v[114:115], a[0:3]
	v_mfma_f32_16x16x16_bf16 a[8:11], v[120:121], v[112:113], a[4:7]
	v_mfma_f32_16x16x16_bf16 a[4:7], v[122:123], v[116:117], a[0:3]
	v_mfma_f32_16x16x16_bf16 a[0:3], v[122:123], v[128:129], a[8:11]
	v_mfma_f32_16x16x16_bf16 a[8:11], v[126:127], v[118:119], 0
	ds_read2st64_b64 v[118:121], v91 offset1:8
	v_mfma_f32_16x16x16_bf16 a[12:15], v[126:127], v[106:107], 0
	ds_read_b64 v[126:127], v95 offset:16384
	v_mfma_f32_16x16x16_bf16 a[8:11], v[124:125], v[108:109], a[8:11]
	ds_read2st64_b64 v[106:109], v90 offset1:8
	s_waitcnt lgkmcnt(0)
	v_mov_b32_e32 v122, v106
	v_mfma_f32_16x16x16_bf16 a[12:15], v[124:125], v[110:111], a[12:15]
	v_lshl_add_u64 v[110:111], v[58:59], 0, s[24:25]
	v_add_co_u32_e32 v106, vcc, s35, v110
	v_mfma_f32_16x16x16_bf16 a[8:11], v[126:127], v[114:115], a[8:11]
	v_mov_b32_e32 v123, v107
	v_addc_co_u32_e32 v107, vcc, 0, v111, vcc
	v_mfma_f32_16x16x16_bf16 a[12:15], v[126:127], v[112:113], a[12:15]
	v_mov_b32_e32 v124, v118
	v_mov_b32_e32 v125, v119
	;; [unrolled: 1-line block ×3, first 2 shown]
	v_mfma_f32_16x16x16_bf16 a[8:11], v[130:131], v[116:117], a[8:11]
	v_mov_b32_e32 v119, v109
	s_and_b64 vcc, exec, s[0:1]
	global_store_dwordx4 v[110:111], v[122:125], off
	v_mfma_f32_16x16x16_bf16 a[12:15], v[130:131], v[128:129], a[12:15]
	global_store_dwordx4 v[106:107], v[118:121], off
	s_cbranch_vccnz .LBB299_6
; %bb.16:                               ;   in Loop: Header=BB299_7 Depth=1
	v_lshrrev_b32_e32 v106, 3, v104
	v_and_b32_e32 v106, 6, v106
	v_xor_b32_e32 v105, v106, v105
	v_lshlrev_b32_e32 v105, 2, v105
	v_and_b32_e32 v104, 8, v104
	v_xor_b32_e32 v107, 0x440, v105
	v_cmp_eq_u32_e32 vcc, 0, v104
	s_barrier
	s_nop 0
	v_cndmask_b32_e32 v104, v107, v105, vcc
	v_lshl_or_b32 v104, v106, 10, v104
	s_waitcnt vmcnt(3)
	v_perm_b32 v105, v46, v42, s62
	s_waitcnt vmcnt(2)
	v_perm_b32 v106, v38, v34, s62
	ds_write2st64_b32 v104, v105, v106 offset0:32 offset1:64
	v_xor_b32_e32 v105, 8, v104
	v_perm_b32 v42, v46, v42, s63
	v_perm_b32 v34, v38, v34, s63
	v_add_u32_e32 v38, 0x80, v105
	ds_write2st64_b32 v38, v42, v34 offset0:32 offset1:64
	v_xor_b32_e32 v34, 16, v104
	v_perm_b32 v38, v47, v43, s62
	v_perm_b32 v42, v39, v35, s62
	ds_write2st64_b32 v34, v38, v42 offset0:33 offset1:65
	v_xor_b32_e32 v34, 24, v104
	v_perm_b32 v38, v47, v43, s63
	v_perm_b32 v35, v39, v35, s63
	v_add_u32_e32 v34, 0x80, v34
	ds_write2st64_b32 v34, v38, v35 offset0:33 offset1:65
	v_xor_b32_e32 v34, 32, v104
	v_perm_b32 v35, v48, v44, s62
	;; [unrolled: 9-line block ×3, first 2 shown]
	v_perm_b32 v36, v41, v37, s62
	ds_write2st64_b32 v34, v35, v36 offset0:35 offset1:67
	v_xor_b32_e32 v34, 56, v104
	v_perm_b32 v35, v49, v45, s63
	v_perm_b32 v36, v41, v37, s63
	v_add_u32_e32 v34, 0x80, v34
	ds_write2st64_b32 v34, v35, v36 offset0:35 offset1:67
	ds_write_b64 v103, v[30:31] offset:24576
	v_xor_b32_e32 v30, 8, v103
	ds_write_b64 v30, v[32:33] offset:24576
	ds_write_b64 v103, v[26:27] offset:32768
	;; [unrolled: 1-line block ×4, first 2 shown]
	v_xor_b32_e32 v22, 8, v102
	ds_write_b64 v22, v[24:25] offset:24576
	ds_write_b64 v102, v[18:19] offset:32768
	;; [unrolled: 1-line block ×3, first 2 shown]
	s_branch .LBB299_6
.LBB299_17:
	s_lshl_b32 s26, s52, 6
	s_sub_i32 s27, s12, s26
	s_cmp_gt_i32 s27, 0
	s_cbranch_scc0 .LBB299_82
; %bb.18:
	s_ashr_i32 s3, s26, 31
	s_cmpk_lg_i32 s15, 0x80
	s_cselect_b64 s[22:23], -1, 0
	s_and_b64 vcc, exec, s[22:23]
	s_cbranch_vccz .LBB299_20
; %bb.19:
	s_mul_i32 s1, s51, s12
	s_mul_hi_i32 s0, s51, s12
	s_add_u32 s1, s1, s26
	s_addc_u32 s0, s0, s3
	s_mul_i32 s17, s1, s54
	s_mul_hi_u32 s20, s1, s14
	s_add_i32 s17, s20, s17
	s_mul_i32 s0, s0, s14
	s_add_i32 s17, s17, s0
	s_mul_i32 s1, s1, s14
	s_ashr_i32 s0, s55, 31
	s_add_u32 s24, s1, s55
	s_addc_u32 s25, s17, s0
	s_cbranch_execz .LBB299_21
	s_branch .LBB299_22
.LBB299_20:
                                        ; implicit-def: $sgpr24_sgpr25
.LBB299_21:
	s_mul_hi_i32 s0, s51, s14
	s_mul_i32 s51, s51, s14
	s_ashr_i32 s1, s55, 31
	s_add_u32 s14, s51, s55
	s_addc_u32 s0, s0, s1
	s_mul_i32 s1, s14, s50
	s_mul_hi_u32 s17, s14, s12
	s_add_i32 s1, s17, s1
	s_mul_i32 s0, s0, s12
	s_add_i32 s1, s1, s0
	s_mul_i32 s14, s14, s12
	s_add_u32 s24, s14, s26
	s_addc_u32 s25, s1, s3
.LBB299_22:
	s_mul_i32 s0, s38, s50
	s_add_i32 s0, s57, s0
	s_add_i32 s14, s56, s52
	;; [unrolled: 1-line block ×3, first 2 shown]
	s_add_u32 s0, s16, s26
	v_lshlrev_b32_e32 v6, 5, v66
	v_lshlrev_b32_e32 v34, 2, v63
	s_addc_u32 s1, s1, s3
	s_mov_b32 s3, 0x7060302
	v_or_b32_e32 v9, v6, v34
	v_xor_b32_e32 v7, v66, v34
	v_perm_b32 v3, v21, v20, s3
	v_perm_b32 v2, v19, v18, s3
	;; [unrolled: 1-line block ×4, first 2 shown]
	v_lshlrev_b32_e32 v9, 1, v9
	v_xor_b32_e32 v8, v67, v34
	ds_write2st64_b64 v9, v[2:3], v[4:5] offset0:80 offset1:88
	v_lshlrev_b32_e32 v7, 1, v7
	v_lshlrev_b32_e32 v9, 8, v63
	s_lshl_b64 s[20:21], s[0:1], 8
	v_or_b32_e32 v10, v7, v9
	v_lshlrev_b32_e32 v8, 1, v8
	s_waitcnt lgkmcnt(0)
	s_add_u32 s0, s6, s20
	ds_write_b64 v10, v[2:3]
	v_or_b32_e32 v2, v8, v9
	s_addc_u32 s1, s7, s21
	ds_write_b64 v2, v[4:5]
	v_perm_b32 v3, v29, v28, s3
	v_perm_b32 v2, v27, v26, s3
	;; [unrolled: 1-line block ×4, first 2 shown]
	v_or_b32_e32 v9, 16, v63
	s_mul_hi_i32 s3, s14, s13
	s_mul_i32 s14, s14, s13
	v_lshlrev_b32_e32 v19, 2, v9
	s_add_u32 s6, s14, s49
	v_or_b32_e32 v6, v6, v19
	s_addc_u32 s7, s3, s53
	v_lshlrev_b32_e32 v6, 1, v6
	s_ashr_i32 s3, s2, 31
	s_lshl_b64 s[6:7], s[6:7], 15
	ds_write2st64_b64 v6, v[2:3], v[4:5] offset0:80 offset1:88
	v_lshlrev_b32_e32 v6, 8, v9
	s_add_u32 s6, s18, s6
	v_or_b32_e32 v7, v7, v6
	s_addc_u32 s7, s19, s7
	s_lshl_b64 s[2:3], s[2:3], 8
	ds_write_b64 v7, v[2:3]
	v_or_b32_e32 v2, v8, v6
	s_add_u32 s2, s6, s2
	ds_write_b64 v2, v[4:5]
	v_lshrrev_b32_e32 v2, 4, v0
	s_addc_u32 s3, s7, s3
	v_lshlrev_b32_e32 v3, 1, v63
	v_lshlrev_b32_e32 v10, 4, v63
	v_mov_b32_e32 v11, 0
	v_or_b32_e32 v4, 1, v3
	v_xor_b32_e32 v3, v2, v3
	v_lshl_add_u64 v[12:13], s[2:3], 0, v[10:11]
	v_lshlrev_b32_e32 v10, 8, v2
	v_xor_b32_e32 v6, v4, v2
	v_lshl_or_b32 v2, v3, 3, v10
	s_waitcnt lgkmcnt(0)
	s_barrier
	ds_read2st64_b64 v[2:5], v2 offset1:8
	v_lshl_or_b32 v6, v6, 3, v10
	ds_read2st64_b64 v[6:9], v6 offset1:8
	v_lshl_add_u64 v[14:15], v[12:13], 0, v[10:11]
	s_movk_i32 s2, 0x1000
	s_waitcnt lgkmcnt(1)
	v_mov_b32_e32 v10, v2
	v_add_co_u32_e32 v2, vcc, s2, v14
	s_cmp_lg_u32 s27, 64
	v_mov_b32_e32 v11, v3
	v_addc_co_u32_e32 v3, vcc, 0, v15, vcc
	s_cselect_b64 s[6:7], -1, 0
	v_lshl_or_b32 v22, v61, 3, v65
	s_waitcnt lgkmcnt(0)
	v_mov_b32_e32 v12, v6
	v_mov_b32_e32 v13, v7
	;; [unrolled: 1-line block ×4, first 2 shown]
	s_mov_b32 s16, 0
	v_or_b32_e32 v20, 32, v22
	v_and_b32_e32 v18, 56, v64
	s_and_b64 vcc, exec, s[6:7]
	global_store_dwordx4 v[14:15], v[10:13], off
	global_store_dwordx4 v[2:3], v[6:9], off
	s_cbranch_vccz .LBB299_28
; %bb.23:
	s_mov_b32 s17, s16
	s_mov_b32 s18, s16
	;; [unrolled: 1-line block ×3, first 2 shown]
	v_mov_b64_e32 v[6:7], s[16:17]
	v_mov_b64_e32 v[8:9], s[18:19]
	;; [unrolled: 1-line block ×3, first 2 shown]
	v_cmp_gt_i32_e32 vcc, s27, v22
	v_mov_b64_e32 v[4:5], v[8:9]
	s_and_saveexec_b64 s[2:3], vcc
	s_cbranch_execz .LBB299_25
; %bb.24:
	v_lshlrev_b32_e32 v2, 8, v22
	v_mov_b32_e32 v3, 0
	v_lshl_add_u64 v[4:5], s[0:1], 0, v[2:3]
	v_lshlrev_b32_e32 v2, 1, v18
	v_lshl_add_u64 v[10:11], v[4:5], 0, v[2:3]
	global_load_dwordx4 v[6:9], v[10:11], off
	global_load_dwordx4 v[2:5], v[10:11], off offset:128
.LBB299_25:
	s_or_b64 exec, exec, s[2:3]
	s_mov_b32 s17, s16
	s_mov_b32 s18, s16
	;; [unrolled: 1-line block ×3, first 2 shown]
	v_mov_b64_e32 v[14:15], s[16:17]
	v_mov_b64_e32 v[16:17], s[18:19]
	;; [unrolled: 1-line block ×3, first 2 shown]
	v_cmp_gt_i32_e32 vcc, s27, v20
	v_lshlrev_b32_e32 v21, 7, v20
	v_mov_b64_e32 v[12:13], v[16:17]
	s_and_saveexec_b64 s[2:3], vcc
	s_cbranch_execz .LBB299_27
; %bb.26:
	v_lshlrev_b32_e32 v10, 1, v21
	v_mov_b32_e32 v11, 0
	v_lshl_add_u64 v[12:13], s[0:1], 0, v[10:11]
	v_lshlrev_b32_e32 v10, 1, v18
	v_lshl_add_u64 v[24:25], v[12:13], 0, v[10:11]
	global_load_dwordx4 v[14:17], v[24:25], off
	global_load_dwordx4 v[10:13], v[24:25], off offset:128
.LBB299_27:
	s_or_b64 exec, exec, s[2:3]
	v_lshrrev_b32_e32 v23, 3, v18
	v_lshlrev_b32_e32 v24, 3, v22
	v_or_b32_e32 v23, v24, v23
	v_lshlrev_b32_e32 v23, 4, v23
	v_and_b32_e32 v24, 0x78, v24
	v_xor_b32_e32 v23, v23, v24
	s_branch .LBB299_30
.LBB299_28:
                                        ; implicit-def: $vgpr23
                                        ; implicit-def: $vgpr21
                                        ; implicit-def: $vgpr6_vgpr7_vgpr8_vgpr9
                                        ; implicit-def: $vgpr2_vgpr3_vgpr4_vgpr5
                                        ; implicit-def: $vgpr14_vgpr15_vgpr16_vgpr17
                                        ; implicit-def: $vgpr10_vgpr11_vgpr12_vgpr13
	s_cbranch_execz .LBB299_30
; %bb.29:
	s_waitcnt vmcnt(0)
	v_lshlrev_b32_e32 v2, 1, v18
	v_lshl_or_b32 v21, v22, 8, v2
	s_and_b32 s1, s1, 0xffff
	s_mov_b32 s3, 0x20000
	s_movk_i32 s2, 0x4000
	v_lshl_or_b32 v23, v20, 8, v2
	s_movk_i32 s13, 0x80
	buffer_load_dwordx4 v[6:9], v21, s[0:3], 0 offen
	buffer_load_dwordx4 v[2:5], v21, s[0:3], s13 offen
	;; [unrolled: 1-line block ×4, first 2 shown]
	v_lshrrev_b32_e32 v21, 3, v18
	v_lshlrev_b32_e32 v23, 3, v22
	v_or_b32_e32 v21, v23, v21
	v_lshlrev_b32_e32 v21, 4, v21
	v_and_b32_e32 v23, 0x78, v23
	v_xor_b32_e32 v23, v21, v23
	v_lshlrev_b32_e32 v21, 7, v20
.LBB299_30:
	s_lshl_b64 s[0:1], s[24:25], 8
	s_add_u32 s4, s4, s0
	s_movk_i32 s0, 0x1000
	v_and_or_b32 v20, v21, s0, v23
	s_waitcnt vmcnt(1)
	ds_write_b64 v23, v[6:7] offset:24576
	v_xor_b32_e32 v6, 8, v23
	ds_write_b64 v6, v[8:9] offset:24576
	s_waitcnt vmcnt(0)
	ds_write_b64 v23, v[2:3] offset:32768
	ds_write_b64 v6, v[4:5] offset:32768
	;; [unrolled: 1-line block ×3, first 2 shown]
	v_xor_b32_e32 v2, 8, v20
	ds_write_b64 v2, v[16:17] offset:24576
	ds_write_b64 v20, v[10:11] offset:32768
	ds_write_b64 v2, v[12:13] offset:32768
	v_or_b32_e32 v2, v1, v63
	v_lshlrev_b32_e32 v3, 11, v61
	v_lshlrev_b32_e32 v2, 3, v2
	v_and_b32_e32 v6, 0x1000, v3
	v_lshrrev_b32_e32 v3, 5, v60
	s_movk_i32 s3, 0xf8
	v_and_or_b32 v3, v2, s3, v3
	v_lshlrev_b32_e32 v7, 4, v3
	v_and_b32_e32 v8, 0x78, v2
	v_or_b32_e32 v10, 32, v7
	v_lshrrev_b32_e32 v3, 1, v60
	v_xor_b32_e32 v10, v10, v8
	v_xor_b32_e32 v2, v7, v8
	v_and_b32_e32 v9, 8, v3
	v_or_b32_e32 v10, v10, v6
	v_or_b32_e32 v2, v2, v6
	v_xor_b32_e32 v25, v10, v9
	v_or_b32_e32 v10, 64, v7
	v_xor_b32_e32 v24, v2, v9
	v_xor_b32_e32 v10, v10, v8
	s_waitcnt lgkmcnt(0)
	s_barrier
	v_or_b32_e32 v12, v10, v6
	ds_read_b64 v[10:11], v24 offset:24576
	v_lshl_or_b32 v20, v62, 7, v34
	v_lshlrev_b32_e32 v23, 1, v20
	v_add_u32_e32 v2, 0xa000, v23
	ds_read2_b64 v[2:5], v2 offset1:16
	v_or_b32_e32 v7, 0x60, v7
	v_xor_b32_e32 v7, v7, v8
	s_waitcnt lgkmcnt(0)
	v_mfma_f32_16x16x16_bf16 a[0:3], v[10:11], v[2:3], 0
	v_or_b32_e32 v2, 64, v20
	v_or_b32_e32 v6, v7, v6
	v_lshlrev_b32_e32 v28, 1, v2
	v_xor_b32_e32 v26, v12, v9
	v_xor_b32_e32 v27, v6, v9
	ds_read_b64 v[12:13], v25 offset:24576
	ds_read_b64 v[14:15], v26 offset:24576
	;; [unrolled: 1-line block ×3, first 2 shown]
	v_mfma_f32_16x16x16_bf16 a[4:7], v[10:11], v[4:5], 0
	ds_read2st64_b64 v[2:5], v28 offset0:82 offset1:84
	ds_read2st64_b64 v[6:9], v23 offset0:82 offset1:84
	s_addc_u32 s5, s5, s1
	s_add_i32 s1, s44, s33
	s_add_i32 s0, s12, -1
	s_add_i32 s35, s1, s48
	s_add_i32 s1, s46, s45
	;; [unrolled: 1-line block ×3, first 2 shown]
	s_ashr_i32 s1, s0, 31
	s_mul_i32 s2, s0, s31
	s_mul_hi_u32 s3, s0, s30
	s_add_i32 s2, s3, s2
	s_mul_i32 s1, s1, s30
	s_waitcnt lgkmcnt(1)
	v_mfma_f32_16x16x16_bf16 a[4:7], v[12:13], v[2:3], a[4:7]
	s_add_i32 s1, s2, s1
	s_lshl_b64 s[2:3], s[34:35], 2
	s_add_u32 s10, s10, s2
	s_waitcnt lgkmcnt(0)
	v_mfma_f32_16x16x16_bf16 a[0:3], v[12:13], v[6:7], a[0:3]
	s_addc_u32 s11, s11, s3
	s_lshl_b64 s[2:3], s[36:37], 2
	s_mul_i32 s0, s0, s30
	s_add_u32 s10, s10, s2
	ds_read_b64 v[2:3], v23 offset:44032
	v_mfma_f32_16x16x16_bf16 a[4:7], v[14:15], v[4:5], a[4:7]
	ds_read_b64 v[4:5], v28 offset:44032
	s_addc_u32 s11, s11, s3
	s_lshl_b64 s[0:1], s[0:1], 2
	v_mfma_f32_16x16x16_bf16 a[0:3], v[14:15], v[8:9], a[0:3]
	s_add_u32 s0, s10, s0
	s_addc_u32 s1, s11, s1
	s_load_dword s12, s[0:1], 0x0
	s_waitcnt lgkmcnt(0)
	v_mfma_f32_16x16x16_bf16 a[0:3], v[16:17], v[2:3], a[0:3]
	s_and_b64 vcc, exec, s[22:23]
	v_mfma_f32_16x16x16_bf16 a[4:7], v[16:17], v[4:5], a[4:7]
	s_cbranch_vccz .LBB299_41
; %bb.31:
	v_lshlrev_b32_e32 v20, 1, v22
	s_and_b64 vcc, exec, s[6:7]
	s_cbranch_vccz .LBB299_42
; %bb.32:
	v_cmp_gt_i32_e32 vcc, s27, v20
	v_mov_b32_e32 v6, 0
	v_mov_b32_e32 v2, 0
	;; [unrolled: 1-line block ×5, first 2 shown]
	s_and_saveexec_b64 s[0:1], vcc
	s_cbranch_execz .LBB299_34
; %bb.33:
	v_mad_i64_i32 v[2:3], s[2:3], s15, v20, 0
	v_lshl_add_u64 v[2:3], v[2:3], 1, s[4:5]
	v_lshlrev_b32_e32 v4, 1, v18
	v_mov_b32_e32 v5, 0
	v_lshl_add_u64 v[2:3], v[2:3], 0, v[4:5]
	global_load_dwordx4 v[2:5], v[2:3], off
.LBB299_34:
	s_or_b64 exec, exec, s[0:1]
	v_or_b32_e32 v21, 1, v20
	v_cmp_gt_i32_e64 s[0:1], s27, v21
	v_mov_b32_e32 v7, 0
	v_mov_b32_e32 v8, 0
	;; [unrolled: 1-line block ×3, first 2 shown]
	s_and_saveexec_b64 s[2:3], s[0:1]
	s_cbranch_execz .LBB299_36
; %bb.35:
	v_mad_i64_i32 v[6:7], s[16:17], s15, v21, 0
	v_lshl_add_u64 v[6:7], v[6:7], 1, s[4:5]
	v_lshlrev_b32_e32 v8, 1, v18
	v_mov_b32_e32 v9, 0
	v_lshl_add_u64 v[6:7], v[6:7], 0, v[8:9]
	global_load_dwordx4 v[6:9], v[6:7], off
.LBB299_36:
	s_or_b64 exec, exec, s[2:3]
	v_mov_b32_e32 v17, 0
	v_mov_b32_e32 v10, 0
	;; [unrolled: 1-line block ×5, first 2 shown]
	s_and_saveexec_b64 s[2:3], vcc
	s_cbranch_execz .LBB299_38
; %bb.37:
	v_mad_i64_i32 v[10:11], s[16:17], s15, v20, 0
	v_lshl_add_u64 v[10:11], v[10:11], 1, s[4:5]
	v_lshlrev_b32_e32 v12, 1, v18
	v_mov_b32_e32 v13, 0
	v_lshl_add_u64 v[10:11], v[10:11], 0, v[12:13]
	global_load_dwordx4 v[10:13], v[10:11], off offset:128
.LBB299_38:
	s_or_b64 exec, exec, s[2:3]
	v_mov_b32_e32 v16, 0
	v_mov_b32_e32 v15, 0
	;; [unrolled: 1-line block ×3, first 2 shown]
	s_and_saveexec_b64 s[2:3], s[0:1]
	s_cbranch_execz .LBB299_40
; %bb.39:
	v_mad_i64_i32 v[14:15], s[0:1], s15, v21, 0
	v_lshl_add_u64 v[14:15], v[14:15], 1, s[4:5]
	v_lshlrev_b32_e32 v16, 1, v18
	v_mov_b32_e32 v17, 0
	v_lshl_add_u64 v[14:15], v[14:15], 0, v[16:17]
	global_load_dwordx4 v[14:17], v[14:15], off offset:128
.LBB299_40:
	s_or_b64 exec, exec, s[2:3]
	s_branch .LBB299_44
.LBB299_41:
                                        ; implicit-def: $vgpr5
                                        ; implicit-def: $vgpr9
                                        ; implicit-def: $vgpr13
                                        ; implicit-def: $vgpr17
	v_lshrrev_b32_e32 v29, 2, v60
	s_branch .LBB299_45
.LBB299_42:
                                        ; implicit-def: $vgpr5
                                        ; implicit-def: $vgpr9
                                        ; implicit-def: $vgpr13
                                        ; implicit-def: $vgpr17
	s_cbranch_execz .LBB299_44
; %bb.43:
	s_waitcnt vmcnt(0)
	v_mad_u64_u32 v[2:3], s[0:1], v20, s15, v[18:19]
	v_lshlrev_b32_e32 v20, 1, v2
	s_lshl_b32 s2, s15, 7
	s_and_b32 s1, s5, 0xffff
	s_mov_b32 s3, 0x20000
	s_mov_b32 s0, s4
	v_add_lshl_u32 v21, v2, s15, 1
	s_movk_i32 s13, 0x80
	buffer_load_dwordx4 v[2:5], v20, s[0:3], 0 offen
	buffer_load_dwordx4 v[10:13], v20, s[0:3], s13 offen
	buffer_load_dwordx4 v[6:9], v21, s[0:3], 0 offen
	buffer_load_dwordx4 v[14:17], v21, s[0:3], s13 offen
.LBB299_44:
	v_lshrrev_b32_e32 v29, 2, v60
	s_cbranch_execnz .LBB299_57
.LBB299_45:
	s_and_b64 vcc, exec, s[6:7]
	s_cbranch_vccz .LBB299_55
; %bb.46:
	s_waitcnt vmcnt(0)
	v_lshlrev_b32_e32 v7, 1, v22
	v_cmp_gt_i32_e32 vcc, s27, v7
	v_mov_b32_e32 v6, 0
	v_lshlrev_b32_e32 v14, 9, v22
	v_mov_b32_e32 v2, 0
	v_mov_b32_e32 v3, 0
	;; [unrolled: 1-line block ×4, first 2 shown]
	s_and_saveexec_b64 s[0:1], vcc
	s_cbranch_execz .LBB299_48
; %bb.47:
	v_mov_b32_e32 v15, 0
	v_lshl_add_u64 v[2:3], s[4:5], 0, v[14:15]
	v_lshlrev_b32_e32 v4, 1, v18
	v_mov_b32_e32 v5, v15
	v_lshl_add_u64 v[2:3], v[2:3], 0, v[4:5]
	global_load_dwordx4 v[2:5], v[2:3], off
.LBB299_48:
	s_or_b64 exec, exec, s[0:1]
	v_or_b32_e32 v7, 1, v7
	v_cmp_gt_i32_e64 s[0:1], s27, v7
	v_lshlrev_b32_e32 v20, 8, v7
	v_mov_b32_e32 v7, 0
	v_mov_b32_e32 v8, 0
	;; [unrolled: 1-line block ×3, first 2 shown]
	s_and_saveexec_b64 s[2:3], s[0:1]
	s_cbranch_execz .LBB299_50
; %bb.49:
	v_mov_b32_e32 v21, 0
	v_lshl_add_u64 v[6:7], s[4:5], 0, v[20:21]
	v_lshlrev_b32_e32 v8, 1, v18
	v_mov_b32_e32 v9, v21
	v_lshl_add_u64 v[6:7], v[6:7], 0, v[8:9]
	global_load_dwordx4 v[6:9], v[6:7], off
.LBB299_50:
	s_or_b64 exec, exec, s[2:3]
	v_mov_b32_e32 v17, 0
	v_mov_b32_e32 v10, 0
	;; [unrolled: 1-line block ×5, first 2 shown]
	s_and_saveexec_b64 s[2:3], vcc
	s_cbranch_execz .LBB299_52
; %bb.51:
	v_mov_b32_e32 v15, 0
	v_lshl_add_u64 v[10:11], s[4:5], 0, v[14:15]
	v_lshlrev_b32_e32 v14, 1, v18
	v_lshl_add_u64 v[10:11], v[10:11], 0, v[14:15]
	global_load_dwordx4 v[10:13], v[10:11], off offset:128
.LBB299_52:
	s_or_b64 exec, exec, s[2:3]
	v_mov_b32_e32 v16, 0
	v_mov_b32_e32 v15, 0
	;; [unrolled: 1-line block ×3, first 2 shown]
	s_and_saveexec_b64 s[2:3], s[0:1]
	s_cbranch_execz .LBB299_54
; %bb.53:
	v_mov_b32_e32 v21, 0
	v_lshl_add_u64 v[14:15], s[4:5], 0, v[20:21]
	v_lshlrev_b32_e32 v20, 1, v18
	v_lshl_add_u64 v[14:15], v[14:15], 0, v[20:21]
	global_load_dwordx4 v[14:17], v[14:15], off offset:128
.LBB299_54:
	s_or_b64 exec, exec, s[2:3]
	s_branch .LBB299_57
.LBB299_55:
                                        ; implicit-def: $vgpr5
                                        ; implicit-def: $vgpr9
                                        ; implicit-def: $vgpr13
                                        ; implicit-def: $vgpr17
	s_cbranch_execz .LBB299_57
; %bb.56:
	s_waitcnt vmcnt(0)
	v_lshlrev_b32_e32 v2, 1, v18
	v_lshl_or_b32 v18, v22, 9, v2
	s_and_b32 s5, s5, 0xffff
	s_mov_b32 s7, 0x20000
	s_movk_i32 s6, 0x4000
	s_movk_i32 s0, 0x80
	buffer_load_dwordx4 v[2:5], v18, s[4:7], 0 offen
	buffer_load_dwordx4 v[6:9], v18, s[4:7], 0 offen offset:256
	buffer_load_dwordx4 v[10:13], v18, s[4:7], s0 offen
	buffer_load_dwordx4 v[14:17], v18, s[4:7], s0 offen offset:256
.LBB299_57:
	ds_read_b64 v[20:21], v24 offset:32768
	v_add_u32_e32 v18, 0xb000, v23
	ds_read2_b64 v[30:33], v18 offset1:16
	ds_read_b64 v[36:37], v25 offset:32768
	ds_read_b64 v[38:39], v26 offset:32768
	ds_read_b64 v[40:41], v27 offset:32768
	v_and_b32_e32 v18, 6, v0
	v_xor_b32_e32 v22, v22, v18
	v_lshlrev_b32_e32 v22, 2, v22
	v_and_b32_e32 v0, 1, v0
	v_cmp_eq_u32_e32 vcc, 0, v0
	s_mov_b32 s0, 0x1000504
	s_waitcnt lgkmcnt(3)
	v_mfma_f32_16x16x16_bf16 a[0:3], v[20:21], v[30:31], a[0:3]
	s_mov_b32 s1, 0x3020706
	v_mfma_f32_16x16x16_bf16 a[4:7], v[20:21], v[32:33], a[4:7]
	ds_read2st64_b64 v[24:27], v23 offset0:90 offset1:92
	ds_read2st64_b64 v[30:33], v28 offset0:90 offset1:92
	s_waitcnt lgkmcnt(1)
	v_mfma_f32_16x16x16_bf16 a[0:3], v[36:37], v[24:25], a[0:3]
	ds_read_b64 v[20:21], v23 offset:48128
	ds_read_b64 v[24:25], v28 offset:48128
	v_xor_b32_e32 v23, 0x440, v22
	v_cndmask_b32_e32 v0, v23, v22, vcc
	s_waitcnt lgkmcnt(2)
	v_mfma_f32_16x16x16_bf16 a[4:7], v[36:37], v[30:31], a[4:7]
	v_lshl_or_b32 v0, v18, 10, v0
	s_waitcnt vmcnt(0)
	v_perm_b32 v18, v2, v6, s0
	v_perm_b32 v2, v2, v6, s1
	v_mfma_f32_16x16x16_bf16 a[0:3], v[38:39], v[26:27], a[0:3]
	v_perm_b32 v6, v10, v14, s1
	v_mfma_f32_16x16x16_bf16 a[8:11], v[38:39], v[32:33], a[4:7]
	s_waitcnt lgkmcnt(1)
	v_mfma_f32_16x16x16_bf16 a[4:7], v[40:41], v[20:21], a[0:3]
	v_perm_b32 v20, v10, v14, s0
	ds_write2st64_b32 v0, v18, v20 offset0:32 offset1:64
	v_xor_b32_e32 v18, 8, v0
	v_add_u32_e32 v10, 0x80, v18
	ds_write2st64_b32 v10, v2, v6 offset0:32 offset1:64
	v_xor_b32_e32 v2, 16, v0
	v_perm_b32 v6, v3, v7, s0
	v_perm_b32 v10, v11, v15, s0
	ds_write2st64_b32 v2, v6, v10 offset0:33 offset1:65
	v_xor_b32_e32 v2, 24, v0
	v_perm_b32 v3, v3, v7, s1
	v_perm_b32 v6, v11, v15, s1
	v_add_u32_e32 v2, 0x80, v2
	ds_write2st64_b32 v2, v3, v6 offset0:33 offset1:65
	v_xor_b32_e32 v2, 32, v0
	v_perm_b32 v3, v4, v8, s0
	v_perm_b32 v6, v12, v16, s0
	s_waitcnt lgkmcnt(4)
	v_mfma_f32_16x16x16_bf16 a[0:3], v[40:41], v[24:25], a[8:11]
	ds_write2st64_b32 v2, v3, v6 offset0:34 offset1:66
	v_xor_b32_e32 v2, 40, v0
	v_perm_b32 v3, v4, v8, s1
	v_perm_b32 v4, v12, v16, s1
	v_add_u32_e32 v2, 0x80, v2
	ds_write2st64_b32 v2, v3, v4 offset0:34 offset1:66
	v_xor_b32_e32 v2, 48, v0
	v_perm_b32 v3, v5, v9, s0
	v_perm_b32 v4, v13, v17, s0
	v_xor_b32_e32 v0, 56, v0
	v_and_or_b32 v21, v29, 12, v1
	ds_write2st64_b32 v2, v3, v4 offset0:35 offset1:67
	v_perm_b32 v2, v5, v9, s1
	v_perm_b32 v3, v13, v17, s1
	v_add_u32_e32 v0, 0x80, v0
	v_cmp_gt_i32_e32 vcc, s27, v21
	v_mov_b32_e32 v16, 0
	v_mov_b32_e32 v18, 0
	ds_write2st64_b32 v0, v2, v3 offset0:35 offset1:67
	s_and_saveexec_b64 s[0:1], vcc
	s_cbranch_execz .LBB299_59
; %bb.58:
	v_add_u32_e32 v0, s26, v21
	v_ashrrev_i32_e32 v1, 31, v0
	v_mul_lo_u32 v2, v1, s30
	v_mul_lo_u32 v3, v0, s31
	v_mad_u64_u32 v[0:1], s[2:3], v0, s30, 0
	v_add3_u32 v1, v1, v3, v2
	v_lshl_add_u64 v[0:1], v[0:1], 2, s[10:11]
	global_load_dword v0, v[0:1], off
	s_waitcnt vmcnt(0)
	v_sub_f32_e32 v0, s12, v0
	v_exp_f32_e32 v18, v0
.LBB299_59:
	s_or_b64 exec, exec, s[0:1]
	v_or_b32_e32 v10, 1, v21
	v_cmp_gt_i32_e64 s[2:3], s27, v10
	s_and_saveexec_b64 s[0:1], s[2:3]
	s_cbranch_execz .LBB299_61
; %bb.60:
	v_add_u32_e32 v0, s26, v10
	v_ashrrev_i32_e32 v1, 31, v0
	v_mul_lo_u32 v2, v1, s30
	v_mul_lo_u32 v3, v0, s31
	v_mad_u64_u32 v[0:1], s[4:5], v0, s30, 0
	v_add3_u32 v1, v1, v3, v2
	v_lshl_add_u64 v[0:1], v[0:1], 2, s[10:11]
	global_load_dword v0, v[0:1], off
	s_waitcnt vmcnt(0)
	v_sub_f32_e32 v0, s12, v0
	v_exp_f32_e32 v16, v0
.LBB299_61:
	s_or_b64 exec, exec, s[0:1]
	v_or_b32_e32 v12, 2, v21
	v_cmp_gt_i32_e64 s[0:1], s27, v12
	v_mov_b32_e32 v17, 0
	v_mov_b32_e32 v20, 0
	s_and_saveexec_b64 s[4:5], s[0:1]
	s_cbranch_execz .LBB299_63
; %bb.62:
	v_add_u32_e32 v0, s26, v12
	v_ashrrev_i32_e32 v1, 31, v0
	v_mul_lo_u32 v2, v1, s30
	v_mul_lo_u32 v3, v0, s31
	v_mad_u64_u32 v[0:1], s[6:7], v0, s30, 0
	v_add3_u32 v1, v1, v3, v2
	v_lshl_add_u64 v[0:1], v[0:1], 2, s[10:11]
	global_load_dword v0, v[0:1], off
	s_waitcnt vmcnt(0)
	v_sub_f32_e32 v0, s12, v0
	v_exp_f32_e32 v20, v0
.LBB299_63:
	s_or_b64 exec, exec, s[4:5]
	v_or_b32_e32 v14, 3, v21
	v_cmp_gt_i32_e64 s[4:5], s27, v14
	s_and_saveexec_b64 s[6:7], s[4:5]
	s_cbranch_execz .LBB299_65
; %bb.64:
	v_add_u32_e32 v0, s26, v14
	v_ashrrev_i32_e32 v1, 31, v0
	v_mul_lo_u32 v2, v1, s30
	v_mul_lo_u32 v3, v0, s31
	v_mad_u64_u32 v[0:1], s[14:15], v0, s30, 0
	v_add3_u32 v1, v1, v3, v2
	v_lshl_add_u64 v[0:1], v[0:1], 2, s[10:11]
	global_load_dword v0, v[0:1], off
	s_waitcnt vmcnt(0)
	v_sub_f32_e32 v0, s12, v0
	v_exp_f32_e32 v17, v0
.LBB299_65:
	s_or_b64 exec, exec, s[6:7]
	s_add_u32 s6, s8, s20
	s_addc_u32 s7, s9, s21
	s_add_u32 s8, s28, s20
	v_ashrrev_i32_e32 v51, 31, v50
	v_accvgpr_read_b32 v0, a4
	s_addc_u32 s9, s29, s21
	v_lshlrev_b64 v[4:5], 1, v[50:51]
	v_accvgpr_read_b32 v1, a5
	v_accvgpr_read_b32 v2, a6
	v_accvgpr_read_b32 v3, a7
	v_lshl_add_u64 v[6:7], s[6:7], 0, v[4:5]
	v_lshl_add_u64 v[4:5], s[8:9], 0, v[4:5]
	v_mov_b32_e32 v11, 0
	v_lshlrev_b32_e32 v8, 8, v21
	v_mov_b32_e32 v9, 0
	s_and_saveexec_b64 s[6:7], vcc
	s_cbranch_execz .LBB299_67
; %bb.66:
	v_mov_b32_e32 v9, 0
	v_lshl_add_u64 v[22:23], v[6:7], 0, v[8:9]
	global_load_ushort v13, v[22:23], off
	v_lshl_add_u64 v[22:23], v[4:5], 0, v[8:9]
	s_waitcnt vmcnt(0)
	v_lshlrev_b32_e32 v9, 16, v13
	v_sub_f32_e32 v0, v9, v0
	global_store_short_d16_hi v[22:23], v0, off
	v_mul_f32_e32 v0, v18, v0
	v_lshrrev_b32_e32 v9, 16, v0
.LBB299_67:
	s_or_b64 exec, exec, s[6:7]
	v_lshlrev_b32_e32 v10, 8, v10
	s_and_saveexec_b64 s[6:7], s[2:3]
	s_cbranch_execz .LBB299_69
; %bb.68:
	v_mov_b32_e32 v11, 0
	v_lshl_add_u64 v[22:23], v[6:7], 0, v[10:11]
	global_load_ushort v0, v[22:23], off
	v_lshl_add_u64 v[22:23], v[4:5], 0, v[10:11]
	s_waitcnt vmcnt(0)
	v_lshlrev_b32_e32 v0, 16, v0
	v_sub_f32_e32 v0, v0, v1
	global_store_short_d16_hi v[22:23], v0, off
	v_mul_f32_e32 v0, v16, v0
	v_lshrrev_b32_e32 v11, 16, v0
.LBB299_69:
	s_or_b64 exec, exec, s[6:7]
	v_mov_b32_e32 v15, 0
	v_lshlrev_b32_e32 v12, 8, v12
	v_mov_b32_e32 v13, 0
	s_and_saveexec_b64 s[6:7], s[0:1]
	s_cbranch_execz .LBB299_71
; %bb.70:
	v_mov_b32_e32 v13, 0
	v_lshl_add_u64 v[0:1], v[6:7], 0, v[12:13]
	global_load_ushort v22, v[0:1], off
	v_lshl_add_u64 v[0:1], v[4:5], 0, v[12:13]
	s_waitcnt vmcnt(0)
	v_lshlrev_b32_e32 v13, 16, v22
	v_sub_f32_e32 v2, v13, v2
	global_store_short_d16_hi v[0:1], v2, off
	v_mul_f32_e32 v0, v20, v2
	v_lshrrev_b32_e32 v13, 16, v0
.LBB299_71:
	s_or_b64 exec, exec, s[6:7]
	v_lshlrev_b32_e32 v14, 8, v14
	s_and_saveexec_b64 s[6:7], s[4:5]
	s_cbranch_execz .LBB299_73
; %bb.72:
	v_mov_b32_e32 v15, 0
	v_lshl_add_u64 v[0:1], v[6:7], 0, v[14:15]
	global_load_ushort v2, v[0:1], off
	v_lshl_add_u64 v[0:1], v[4:5], 0, v[14:15]
	s_waitcnt vmcnt(0)
	v_lshlrev_b32_e32 v2, 16, v2
	v_sub_f32_e32 v2, v2, v3
	global_store_short_d16_hi v[0:1], v2, off
	v_mul_f32_e32 v0, v17, v2
	v_lshrrev_b32_e32 v15, 16, v0
.LBB299_73:
	s_or_b64 exec, exec, s[6:7]
	v_lshlrev_b32_e32 v21, 5, v21
	s_mov_b32 s6, 0x5040100
	v_perm_b32 v22, v11, v9, s6
	v_or_b32_e32 v9, v21, v34
	v_accvgpr_read_b32 v0, a0
	v_perm_b32 v23, v15, v13, s6
	v_lshlrev_b32_e32 v9, 1, v9
	v_accvgpr_read_b32 v1, a1
	v_accvgpr_read_b32 v2, a2
	;; [unrolled: 1-line block ×3, first 2 shown]
	ds_write_b64 v9, v[22:23] offset:45056
	v_mov_b32_e32 v11, 0
	v_mov_b32_e32 v9, 0
	s_and_saveexec_b64 s[6:7], vcc
	s_cbranch_execz .LBB299_75
; %bb.74:
	v_mov_b32_e32 v9, 0
	v_lshl_add_u64 v[22:23], v[6:7], 0, v[8:9]
	global_load_ushort v13, v[22:23], off offset:32
	v_lshl_add_u64 v[8:9], v[4:5], 0, v[8:9]
	s_waitcnt vmcnt(0)
	v_lshlrev_b32_e32 v13, 16, v13
	v_sub_f32_e32 v0, v13, v0
	global_store_short_d16_hi v[8:9], v0, off offset:32
	v_mul_f32_e32 v0, v18, v0
	v_lshrrev_b32_e32 v9, 16, v0
.LBB299_75:
	s_or_b64 exec, exec, s[6:7]
	s_and_saveexec_b64 s[6:7], s[2:3]
	s_cbranch_execz .LBB299_77
; %bb.76:
	v_mov_b32_e32 v11, 0
	v_lshl_add_u64 v[22:23], v[6:7], 0, v[10:11]
	global_load_ushort v0, v[22:23], off offset:32
	v_lshl_add_u64 v[10:11], v[4:5], 0, v[10:11]
	s_waitcnt vmcnt(0)
	v_lshlrev_b32_e32 v0, 16, v0
	v_sub_f32_e32 v0, v0, v1
	global_store_short_d16_hi v[10:11], v0, off offset:32
	v_mul_f32_e32 v0, v16, v0
	v_lshrrev_b32_e32 v11, 16, v0
.LBB299_77:
	s_or_b64 exec, exec, s[6:7]
	v_mov_b32_e32 v0, 0
	v_mov_b32_e32 v1, 0
	s_and_saveexec_b64 s[2:3], s[0:1]
	s_cbranch_execz .LBB299_79
; %bb.78:
	v_mov_b32_e32 v13, 0
	v_lshl_add_u64 v[22:23], v[6:7], 0, v[12:13]
	global_load_ushort v1, v[22:23], off offset:32
	v_lshl_add_u64 v[12:13], v[4:5], 0, v[12:13]
	s_waitcnt vmcnt(0)
	v_lshlrev_b32_e32 v1, 16, v1
	v_sub_f32_e32 v1, v1, v2
	global_store_short_d16_hi v[12:13], v1, off offset:32
	v_mul_f32_e32 v1, v20, v1
	v_lshrrev_b32_e32 v1, 16, v1
.LBB299_79:
	s_or_b64 exec, exec, s[2:3]
	s_and_saveexec_b64 s[0:1], s[4:5]
	s_cbranch_execz .LBB299_81
; %bb.80:
	v_mov_b32_e32 v15, 0
	v_lshl_add_u64 v[6:7], v[6:7], 0, v[14:15]
	global_load_ushort v0, v[6:7], off offset:32
	v_lshl_add_u64 v[4:5], v[4:5], 0, v[14:15]
	s_waitcnt vmcnt(0)
	v_lshlrev_b32_e32 v0, 16, v0
	v_sub_f32_e32 v0, v0, v3
	global_store_short_d16_hi v[4:5], v0, off offset:32
	v_mul_f32_e32 v0, v17, v0
	v_lshrrev_b32_e32 v0, 16, v0
.LBB299_81:
	s_or_b64 exec, exec, s[0:1]
	s_mov_b32 s0, 0x5040100
	v_or_b32_e32 v2, v21, v19
	v_perm_b32 v1, v0, v1, s0
	v_perm_b32 v0, v11, v9, s0
	v_lshlrev_b32_e32 v2, 1, v2
	ds_write_b64 v2, v[0:1] offset:45056
	s_waitcnt lgkmcnt(0)
	s_barrier
.LBB299_82:
	s_endpgm
	.section	.rodata,"a",@progbits
	.p2align	6, 0x0
	.amdhsa_kernel _ZN12_GLOBAL__N_139chunk_gated_delta_rule_fwd_h_hip_kernelILi32ELb1ELb0ELb1ELb0ELb1ELb0ELb1ELb1EEEvPK12hip_bfloat16S3_S3_PKfS5_PKvPS1_S8_PvPKiSB_iiiiilll
		.amdhsa_group_segment_fixed_size 49152
		.amdhsa_private_segment_fixed_size 0
		.amdhsa_kernarg_size 136
		.amdhsa_user_sgpr_count 2
		.amdhsa_user_sgpr_dispatch_ptr 0
		.amdhsa_user_sgpr_queue_ptr 0
		.amdhsa_user_sgpr_kernarg_segment_ptr 1
		.amdhsa_user_sgpr_dispatch_id 0
		.amdhsa_user_sgpr_kernarg_preload_length 0
		.amdhsa_user_sgpr_kernarg_preload_offset 0
		.amdhsa_user_sgpr_private_segment_size 0
		.amdhsa_uses_dynamic_stack 0
		.amdhsa_enable_private_segment 0
		.amdhsa_system_sgpr_workgroup_id_x 1
		.amdhsa_system_sgpr_workgroup_id_y 1
		.amdhsa_system_sgpr_workgroup_id_z 0
		.amdhsa_system_sgpr_workgroup_info 0
		.amdhsa_system_vgpr_workitem_id 0
		.amdhsa_next_free_vgpr 148
		.amdhsa_next_free_sgpr 70
		.amdhsa_accum_offset 132
		.amdhsa_reserve_vcc 1
		.amdhsa_float_round_mode_32 0
		.amdhsa_float_round_mode_16_64 0
		.amdhsa_float_denorm_mode_32 3
		.amdhsa_float_denorm_mode_16_64 3
		.amdhsa_dx10_clamp 1
		.amdhsa_ieee_mode 1
		.amdhsa_fp16_overflow 0
		.amdhsa_tg_split 0
		.amdhsa_exception_fp_ieee_invalid_op 0
		.amdhsa_exception_fp_denorm_src 0
		.amdhsa_exception_fp_ieee_div_zero 0
		.amdhsa_exception_fp_ieee_overflow 0
		.amdhsa_exception_fp_ieee_underflow 0
		.amdhsa_exception_fp_ieee_inexact 0
		.amdhsa_exception_int_div_zero 0
	.end_amdhsa_kernel
	.section	.text._ZN12_GLOBAL__N_139chunk_gated_delta_rule_fwd_h_hip_kernelILi32ELb1ELb0ELb1ELb0ELb1ELb0ELb1ELb1EEEvPK12hip_bfloat16S3_S3_PKfS5_PKvPS1_S8_PvPKiSB_iiiiilll,"axG",@progbits,_ZN12_GLOBAL__N_139chunk_gated_delta_rule_fwd_h_hip_kernelILi32ELb1ELb0ELb1ELb0ELb1ELb0ELb1ELb1EEEvPK12hip_bfloat16S3_S3_PKfS5_PKvPS1_S8_PvPKiSB_iiiiilll,comdat
.Lfunc_end299:
	.size	_ZN12_GLOBAL__N_139chunk_gated_delta_rule_fwd_h_hip_kernelILi32ELb1ELb0ELb1ELb0ELb1ELb0ELb1ELb1EEEvPK12hip_bfloat16S3_S3_PKfS5_PKvPS1_S8_PvPKiSB_iiiiilll, .Lfunc_end299-_ZN12_GLOBAL__N_139chunk_gated_delta_rule_fwd_h_hip_kernelILi32ELb1ELb0ELb1ELb0ELb1ELb0ELb1ELb1EEEvPK12hip_bfloat16S3_S3_PKfS5_PKvPS1_S8_PvPKiSB_iiiiilll
                                        ; -- End function
	.section	.AMDGPU.csdata,"",@progbits
; Kernel info:
; codeLenInByte = 8764
; NumSgprs: 76
; NumVgprs: 132
; NumAgprs: 16
; TotalNumVgprs: 148
; ScratchSize: 0
; MemoryBound: 0
; FloatMode: 240
; IeeeMode: 1
; LDSByteSize: 49152 bytes/workgroup (compile time only)
; SGPRBlocks: 9
; VGPRBlocks: 18
; NumSGPRsForWavesPerEU: 76
; NumVGPRsForWavesPerEU: 148
; AccumOffset: 132
; Occupancy: 1
; WaveLimiterHint : 1
; COMPUTE_PGM_RSRC2:SCRATCH_EN: 0
; COMPUTE_PGM_RSRC2:USER_SGPR: 2
; COMPUTE_PGM_RSRC2:TRAP_HANDLER: 0
; COMPUTE_PGM_RSRC2:TGID_X_EN: 1
; COMPUTE_PGM_RSRC2:TGID_Y_EN: 1
; COMPUTE_PGM_RSRC2:TGID_Z_EN: 0
; COMPUTE_PGM_RSRC2:TIDIG_COMP_CNT: 0
; COMPUTE_PGM_RSRC3_GFX90A:ACCUM_OFFSET: 32
; COMPUTE_PGM_RSRC3_GFX90A:TG_SPLIT: 0
	.section	.text._ZN12_GLOBAL__N_139chunk_gated_delta_rule_fwd_h_hip_kernelILi32ELb1ELb0ELb0ELb0ELb1ELb0ELb1ELb1EEEvPK12hip_bfloat16S3_S3_PKfS5_PKvPS1_S8_PvPKiSB_iiiiilll,"axG",@progbits,_ZN12_GLOBAL__N_139chunk_gated_delta_rule_fwd_h_hip_kernelILi32ELb1ELb0ELb0ELb0ELb1ELb0ELb1ELb1EEEvPK12hip_bfloat16S3_S3_PKfS5_PKvPS1_S8_PvPKiSB_iiiiilll,comdat
	.globl	_ZN12_GLOBAL__N_139chunk_gated_delta_rule_fwd_h_hip_kernelILi32ELb1ELb0ELb0ELb0ELb1ELb0ELb1ELb1EEEvPK12hip_bfloat16S3_S3_PKfS5_PKvPS1_S8_PvPKiSB_iiiiilll ; -- Begin function _ZN12_GLOBAL__N_139chunk_gated_delta_rule_fwd_h_hip_kernelILi32ELb1ELb0ELb0ELb0ELb1ELb0ELb1ELb1EEEvPK12hip_bfloat16S3_S3_PKfS5_PKvPS1_S8_PvPKiSB_iiiiilll
	.p2align	8
	.type	_ZN12_GLOBAL__N_139chunk_gated_delta_rule_fwd_h_hip_kernelILi32ELb1ELb0ELb0ELb0ELb1ELb0ELb1ELb1EEEvPK12hip_bfloat16S3_S3_PKfS5_PKvPS1_S8_PvPKiSB_iiiiilll,@function
_ZN12_GLOBAL__N_139chunk_gated_delta_rule_fwd_h_hip_kernelILi32ELb1ELb0ELb0ELb0ELb1ELb0ELb1ELb1EEEvPK12hip_bfloat16S3_S3_PKfS5_PKvPS1_S8_PvPKiSB_iiiiilll: ; @_ZN12_GLOBAL__N_139chunk_gated_delta_rule_fwd_h_hip_kernelILi32ELb1ELb0ELb0ELb0ELb1ELb0ELb1ELb1EEEvPK12hip_bfloat16S3_S3_PKfS5_PKvPS1_S8_PvPKiSB_iiiiilll
; %bb.0:
	s_load_dwordx4 s[12:15], s[0:1], 0x5c
	s_load_dwordx4 s[16:19], s[0:1], 0x28
	s_abs_i32 s6, s3
	s_ashr_i32 s5, s3, 31
	v_and_b32_e32 v61, 15, v0
	s_waitcnt lgkmcnt(0)
	s_abs_i32 s4, s13
	v_cvt_f32_u32_e32 v1, s4
	s_sub_i32 s8, 0, s4
	s_ashr_i32 s7, s13, 31
	s_xor_b32 s5, s5, s7
	v_rcp_iflag_f32_e32 v1, v1
	v_lshrrev_b32_e32 v59, 6, v0
	v_bfe_u32 v60, v0, 4, 2
	v_mov_b32_e32 v7, 0
	v_mul_f32_e32 v1, 0x4f7ffffe, v1
	v_cvt_u32_f32_e32 v1, v1
	v_and_b32_e32 v58, 63, v0
	v_lshlrev_b32_e32 v62, 3, v0
	v_lshrrev_b32_e32 v63, 3, v58
	v_readfirstlane_b32 s9, v1
	s_mul_i32 s8, s8, s9
	s_mul_hi_u32 s8, s9, s8
	s_add_i32 s9, s9, s8
	s_mul_hi_u32 s8, s6, s9
	s_mul_i32 s9, s8, s4
	s_sub_i32 s6, s6, s9
	s_add_i32 s10, s8, 1
	s_sub_i32 s9, s6, s4
	s_cmp_ge_u32 s6, s4
	s_cselect_b32 s8, s10, s8
	s_cselect_b32 s6, s9, s6
	s_add_i32 s9, s8, 1
	s_cmp_ge_u32 s6, s4
	s_cselect_b32 s6, s9, s8
	s_xor_b32 s6, s6, s5
	s_sub_i32 s49, s6, s5
	s_mul_i32 s6, s49, s13
	s_sub_i32 s47, s3, s6
	s_abs_i32 s3, s14
	v_cvt_f32_u32_e32 v1, s3
	s_add_i32 s8, s12, 63
	s_ashr_i32 s9, s8, 31
	s_lshr_b32 s5, s9, 26
	v_rcp_iflag_f32_e32 v1, v1
	s_ashr_i32 s48, s12, 31
	s_add_i32 s8, s8, s5
	s_lshr_b32 s5, s48, 26
	v_mul_f32_e32 v1, 0x4f7ffffe, v1
	v_cvt_u32_f32_e32 v1, v1
	s_add_i32 s5, s12, s5
	s_ashr_i32 s52, s14, 31
	s_ashr_i32 s24, s8, 6
	;; [unrolled: 1-line block ×3, first 2 shown]
	s_xor_b32 s5, s7, s52
	s_sub_i32 s7, 0, s3
	v_readfirstlane_b32 s8, v1
	s_mul_i32 s7, s7, s8
	s_mul_hi_u32 s7, s8, s7
	s_add_i32 s8, s8, s7
	s_mul_hi_u32 s7, s4, s8
	s_mul_i32 s8, s7, s3
	s_sub_i32 s4, s4, s8
	s_lshl_b32 s2, s2, 5
	s_add_i32 s8, s7, 1
	s_sub_i32 s9, s4, s3
	s_cmp_ge_u32 s4, s3
	s_cselect_b32 s7, s8, s7
	s_cselect_b32 s4, s9, s4
	s_add_i32 s8, s7, 1
	s_cmp_ge_u32 s4, s3
	s_cselect_b32 s3, s8, s7
	s_xor_b32 s3, s3, s5
	s_sub_i32 s3, s3, s5
	s_abs_i32 s4, s3
	v_cvt_f32_u32_e32 v1, s4
	s_sub_i32 s7, 0, s4
	s_abs_i32 s5, s47
	s_xor_b32 s3, s47, s3
	v_rcp_iflag_f32_e32 v1, v1
	s_ashr_i32 s3, s3, 31
	v_or_b32_e32 v50, s2, v61
	v_lshlrev_b32_e32 v2, 7, v50
	v_mul_f32_e32 v1, 0x4f7ffffe, v1
	v_cvt_u32_f32_e32 v1, v1
	v_ashrrev_i32_e32 v3, 31, v2
	s_mul_i32 s54, s49, s24
	v_readfirstlane_b32 s8, v1
	s_mul_i32 s7, s7, s8
	s_mul_hi_u32 s7, s8, s7
	s_add_i32 s8, s8, s7
	s_mul_hi_u32 s7, s5, s8
	s_mul_i32 s8, s7, s4
	s_sub_i32 s5, s5, s8
	s_add_i32 s8, s7, 1
	s_sub_i32 s9, s5, s4
	s_cmp_ge_u32 s5, s4
	s_cselect_b32 s7, s8, s7
	s_cselect_b32 s5, s9, s5
	s_add_i32 s8, s7, 1
	s_cmp_ge_u32 s5, s4
	s_cselect_b32 s4, s8, s7
	s_xor_b32 s4, s4, s3
	s_sub_i32 s53, s4, s3
	s_ashr_i32 s3, s49, 31
	s_ashr_i32 s51, s47, 31
	s_mul_hi_i32 s4, s49, s13
	s_add_u32 s36, s6, s47
	s_addc_u32 s37, s4, s51
	s_lshl_b64 s[4:5], s[36:37], 15
	s_add_u32 s4, s16, s4
	s_addc_u32 s5, s17, s5
	v_lshlrev_b32_e32 v1, 4, v59
	v_lshl_add_u64 v[4:5], v[2:3], 1, s[4:5]
	v_or_b32_e32 v2, 0x800, v2
	v_lshl_or_b32 v64, v60, 2, v1
	v_ashrrev_i32_e32 v3, 31, v2
	v_lshlrev_b32_e32 v6, 1, v64
	v_lshl_add_u64 v[2:3], v[2:3], 1, s[4:5]
	v_lshl_add_u64 v[4:5], v[4:5], 0, v[6:7]
	;; [unrolled: 1-line block ×3, first 2 shown]
	global_load_dwordx2 v[8:9], v[4:5], off
	v_or_b32_e32 v65, 64, v64
	global_load_dwordx2 v[4:5], v[4:5], off offset:128
	s_nop 0
	global_load_dwordx2 v[6:7], v[2:3], off
	global_load_dwordx2 v[10:11], v[2:3], off offset:128
	s_load_dwordx8 s[4:11], s[0:1], 0x0
	s_load_dwordx2 s[28:29], s[0:1], 0x80
	s_load_dwordx4 s[20:23], s[0:1], 0x70
	s_mul_hi_u32 s55, s36, s12
	s_mul_i32 s16, s36, s12
	s_mul_i32 s37, s37, s12
	s_cmp_lt_i32 s12, 64
	s_waitcnt lgkmcnt(0)
	s_mul_i32 s33, s49, s21
	s_mul_hi_u32 s42, s49, s20
	s_mul_i32 s30, s49, s20
	s_mul_i32 s43, s47, s23
	s_mul_hi_u32 s44, s47, s22
	s_mul_i32 s46, s3, s20
	s_mul_i32 s45, s51, s22
	;; [unrolled: 1-line block ×3, first 2 shown]
	s_waitcnt vmcnt(3)
	v_and_b32_e32 v19, 0xffff0000, v8
	v_lshlrev_b32_e32 v18, 16, v8
	v_and_b32_e32 v21, 0xffff0000, v9
	v_lshlrev_b32_e32 v20, 16, v9
	s_waitcnt vmcnt(2)
	v_and_b32_e32 v23, 0xffff0000, v4
	v_lshlrev_b32_e32 v22, 16, v4
	v_and_b32_e32 v25, 0xffff0000, v5
	v_lshlrev_b32_e32 v24, 16, v5
	;; [unrolled: 5-line block ×4, first 2 shown]
	s_cbranch_scc1 .LBB300_17
; %bb.1:
	s_add_i32 s17, s55, s37
	s_lshl_b64 s[0:1], s[16:17], 8
	v_and_b32_e32 v67, 56, v62
	s_add_u32 s20, s6, s0
	v_lshl_or_b32 v66, v59, 3, v63
	v_lshlrev_b32_e32 v2, 1, v67
	s_addc_u32 s0, s7, s1
	v_lshl_or_b32 v68, v66, 8, v2
	s_and_b32 s21, s0, 0xffff
	s_mov_b32 s23, 0x20000
	s_movk_i32 s22, 0x4000
	s_movk_i32 s0, 0x80
	v_or_b32_e32 v69, 0x2000, v68
	buffer_load_dwordx4 v[4:7], v68, s[20:23], 0 offen
	buffer_load_dwordx4 v[8:11], v68, s[20:23], s0 offen
	;; [unrolled: 1-line block ×4, first 2 shown]
	v_lshlrev_b32_e32 v3, 3, v66
	v_and_or_b32 v17, v0, 7, v3
	v_and_b32_e32 v3, 0x78, v3
	v_lshlrev_b32_e32 v17, 4, v17
	v_xor_b32_e32 v70, v17, v3
	v_mul_lo_u32 v16, v66, s15
	v_or_b32_e32 v71, 0x1000, v70
	v_xor_b32_e32 v3, 8, v70
	s_cmpk_eq_i32 s15, 0x80
	s_mov_b32 s56, s14
	v_xor_b32_e32 v17, 8, v71
	s_cselect_b64 s[0:1], -1, 0
	s_cmpk_lg_i32 s15, 0x80
	s_waitcnt vmcnt(3)
	ds_write_b64 v70, v[4:5] offset:24576
	ds_write_b64 v3, v[6:7] offset:24576
	s_waitcnt vmcnt(2)
	ds_write_b64 v70, v[8:9] offset:32768
	ds_write_b64 v3, v[10:11] offset:32768
	;; [unrolled: 3-line block ×4, first 2 shown]
	v_lshl_add_u32 v3, v16, 1, v67
	s_cbranch_scc0 .LBB300_3
; %bb.2:
	v_lshlrev_b32_e32 v5, 1, v3
	v_add_lshl_u32 v4, v3, s15, 1
	s_lshl_b32 s22, s15, 7
	v_lshl_or_b32 v2, v66, 9, v2
	s_cbranch_execz .LBB300_4
	s_branch .LBB300_5
.LBB300_3:
                                        ; implicit-def: $vgpr4
                                        ; implicit-def: $vgpr5
                                        ; implicit-def: $sgpr22
	v_lshl_or_b32 v2, v66, 9, v2
.LBB300_4:
	v_or_b32_e32 v4, 0x100, v2
	s_movk_i32 s22, 0x4000
	v_mov_b32_e32 v5, v2
.LBB300_5:
	s_mul_hi_u32 s20, s14, s12
	s_mul_i32 s21, s52, s12
	s_add_i32 s20, s20, s21
	s_mul_i32 s21, s14, s12
	s_mul_i32 s23, s21, s3
	s_mul_hi_u32 s24, s21, s49
	s_add_i32 s23, s24, s23
	s_mul_i32 s20, s20, s49
	s_add_i32 s23, s23, s20
	s_mul_i32 s21, s21, s49
	s_ashr_i32 s57, s53, 31
	s_add_u32 s20, s21, s53
	s_addc_u32 s21, s23, s57
	s_lshl_b64 s[20:21], s[20:21], 8
	s_add_u32 s20, s4, s20
	s_addc_u32 s21, s5, s21
	s_and_b32 s21, s21, 0xffff
	s_mov_b32 s23, 0x20000
	s_movk_i32 s58, 0x80
	buffer_load_dwordx4 v[6:9], v5, s[20:23], 0 offen
	buffer_load_dwordx4 v[10:13], v5, s[20:23], s58 offen
	;; [unrolled: 1-line block ×4, first 2 shown]
	v_and_b32_e32 v4, 6, v0
	v_lshlrev_b32_e32 v39, 6, v64
	v_or_b32_e32 v41, 16, v61
	v_xor_b32_e32 v42, v66, v4
	v_and_b32_e32 v5, 1, v0
	v_lshl_or_b32 v45, v61, 3, v39
	v_lshl_or_b32 v39, v41, 3, v39
	v_lshlrev_b32_e32 v42, 2, v42
	s_mul_i32 s3, s3, s12
	s_mul_hi_u32 s20, s49, s12
	v_lshlrev_b32_e32 v38, 2, v61
	v_or_b32_e32 v74, 0xa000, v39
	v_or_b32_e32 v75, 0xb000, v39
	v_xor_b32_e32 v39, 0x440, v42
	v_cmp_eq_u32_e32 vcc, 0, v5
	v_xor_b32_e32 v43, v64, v38
	v_xor_b32_e32 v44, v65, v38
	v_cndmask_b32_e32 v5, v39, v42, vcc
	s_add_i32 s63, s20, s3
	s_add_i32 s3, s42, s33
	s_mov_b32 s60, 0x1000504
	v_lshlrev_b32_e32 v40, 8, v61
	v_lshlrev_b32_e32 v43, 1, v43
	v_lshlrev_b32_e32 v44, 1, v44
	v_lshl_or_b32 v4, v4, 10, v5
	s_add_i32 s31, s3, s46
	s_add_i32 s3, s44, s43
	s_mov_b32 s61, 0x3020706
	v_or_b32_e32 v72, 0xa000, v45
	v_or_b32_e32 v73, 0xb000, v45
	;; [unrolled: 1-line block ×4, first 2 shown]
	v_xor_b32_e32 v5, 8, v4
	v_xor_b32_e32 v40, 24, v4
	;; [unrolled: 1-line block ×4, first 2 shown]
	s_add_i32 s35, s3, s45
	s_lshl_b64 s[20:21], s[30:31], 2
	v_xor_b32_e32 v39, 16, v4
	v_xor_b32_e32 v42, 32, v4
	;; [unrolled: 1-line block ×3, first 2 shown]
	v_add_u32_e32 v5, 0x80, v5
	v_add_u32_e32 v40, 0x80, v40
	;; [unrolled: 1-line block ×4, first 2 shown]
	s_add_u32 s3, s10, s20
	s_addc_u32 s22, s11, s21
	s_lshl_b64 s[20:21], s[34:35], 2
	s_add_u32 s38, s3, s20
	s_movk_i32 s3, 0xf8
	s_addc_u32 s39, s22, s21
	s_lshl_b32 s26, s15, 7
	s_movk_i32 s24, 0x100
	v_mov_b32_e32 v53, 0
	v_lshlrev_b32_e32 v52, 4, v61
	v_cmp_gt_u32_e32 vcc, s24, v0
	v_ashrrev_i32_e32 v51, 31, v50
	v_lshl_add_u64 v[54:55], v[50:51], 1, s[8:9]
	s_mov_b32 s59, 0
	s_mul_i32 s62, s49, s12
	s_movk_i32 s31, 0x1000
	s_movk_i32 s22, 0x4000
	s_mov_b32 s64, 0
	s_waitcnt vmcnt(1)
	v_perm_b32 v48, v6, v14, s60
	s_waitcnt vmcnt(0)
	v_perm_b32 v49, v10, v34, s60
	v_perm_b32 v6, v6, v14, s61
	;; [unrolled: 1-line block ×15, first 2 shown]
	ds_write2st64_b32 v4, v48, v49 offset0:32 offset1:64
	ds_write2st64_b32 v5, v6, v10 offset0:32 offset1:64
	;; [unrolled: 1-line block ×8, first 2 shown]
	v_lshlrev_b32_e32 v4, 8, v41
	v_or_b32_e32 v78, v4, v43
	v_or_b32_e32 v79, v4, v44
	;; [unrolled: 1-line block ×3, first 2 shown]
	v_lshlrev_b32_e32 v4, 3, v4
	v_lshrrev_b32_e32 v7, 5, v58
	v_and_or_b32 v7, v4, s3, v7
	v_lshlrev_b32_e32 v7, 4, v7
	v_lshlrev_b32_e32 v5, 11, v59
	v_and_b32_e32 v4, 0x78, v4
	v_or_b32_e32 v12, 32, v7
	v_and_b32_e32 v6, 0x1000, v5
	v_lshrrev_b32_e32 v9, 1, v0
	v_xor_b32_e32 v12, v12, v4
	v_and_b32_e32 v10, 8, v9
	v_or_b32_e32 v12, v12, v6
	v_xor_b32_e32 v8, v7, v4
	v_xor_b32_e32 v82, v12, v10
	v_or_b32_e32 v12, 64, v7
	v_or_b32_e32 v7, 0x60, v7
	s_ashr_i32 s3, s2, 31
	v_xor_b32_e32 v12, v12, v4
	v_xor_b32_e32 v4, v7, v4
	s_lshl_b64 s[20:21], s[2:3], 8
	v_or_b32_e32 v8, v8, v6
	v_or_b32_e32 v12, v12, v6
	;; [unrolled: 1-line block ×3, first 2 shown]
	s_add_u32 s20, s18, s20
	v_lshlrev_b32_e32 v6, 1, v61
	v_xor_b32_e32 v84, v12, v10
	v_lshrrev_b32_e32 v12, 4, v0
	s_addc_u32 s21, s19, s21
	v_or_b32_e32 v7, 1, v6
	v_mov_b32_e32 v16, 0x4000
	v_mov_b32_e32 v17, 0x2000
	v_xor_b32_e32 v13, v12, v6
	v_xor_b32_e32 v14, v7, v12
	v_lshl_add_u64 v[6:7], s[20:21], 0, v[52:53]
	v_lshlrev_b32_e32 v52, 8, v12
	v_cndmask_b32_e32 v16, v16, v17, vcc
	v_lshlrev_b32_e32 v17, 3, v59
	v_and_b32_e32 v9, 24, v9
	v_lshl_or_b32 v88, v13, 3, v52
	v_and_b32_e32 v13, 8, v0
	v_xor_b32_e32 v34, v17, v9
	v_or_b32_e32 v35, 0x440, v34
	v_cmp_eq_u32_e32 vcc, 0, v13
	v_and_b32_e32 v12, 7, v0
	v_xor_b32_e32 v80, v8, v10
	v_cndmask_b32_e32 v13, v35, v34, vcc
	v_lshlrev_b32_e32 v8, 7, v60
	v_lshl_or_b32 v89, v14, 3, v52
	v_lshlrev_b32_e32 v14, 3, v12
	v_lshlrev_b32_e32 v12, 7, v12
	;; [unrolled: 1-line block ×3, first 2 shown]
	v_or_b32_e32 v13, v13, v5
	v_or_b32_e32 v11, v8, v38
	v_xad_u32 v90, v13, v14, v12
	v_and_or_b32 v8, v15, 60, v8
	v_mov_b32_e32 v13, 0xb000
	v_lshl_or_b32 v91, v8, 1, v13
	v_or_b32_e32 v8, 32, v9
	v_xor_b32_e32 v8, v17, v8
	v_or_b32_e32 v13, 0x440, v8
	v_cndmask_b32_e32 v8, v13, v8, vcc
	v_or_b32_e32 v8, v8, v5
	v_xad_u32 v92, v8, v14, v12
	v_or_b32_e32 v8, 64, v9
	v_xor_b32_e32 v8, v17, v8
	v_xor_b32_e32 v13, 0x440, v8
	v_cndmask_b32_e32 v8, v13, v8, vcc
	v_or_b32_e32 v8, v8, v5
	v_xad_u32 v93, v8, v14, v12
	v_or_b32_e32 v8, 0x60, v9
	v_xor_b32_e32 v8, v17, v8
	v_xor_b32_e32 v9, 0x440, v8
	v_cndmask_b32_e32 v8, v9, v8, vcc
	v_lshlrev_b32_e32 v11, 1, v11
	v_or_b32_e32 v5, v8, v5
	v_or_b32_e32 v81, 0xa000, v11
	;; [unrolled: 1-line block ×3, first 2 shown]
	v_xor_b32_e32 v85, v4, v10
	v_or_b32_e32 v86, 0xb000, v11
	v_or_b32_e32 v87, 0xb080, v11
	v_lshlrev_b32_e32 v4, 7, v64
	v_lshlrev_b32_e32 v10, 1, v3
	v_add_lshl_u32 v3, v3, s15, 1
	v_or_b32_e32 v11, 0x100, v2
	v_xad_u32 v94, v5, v14, v12
	v_cndmask_b32_e64 v95, v10, v2, s[0:1]
	v_cndmask_b32_e64 v96, v3, v11, s[0:1]
	v_lshl_add_u64 v[56:57], v[6:7], 0, v[52:53]
	v_lshlrev_b32_e32 v52, 1, v4
	v_add_u32_e32 v51, v16, v90
	v_add_u32_e32 v97, v16, v92
	;; [unrolled: 1-line block ×4, first 2 shown]
	v_mov_b64_e32 v[2:3], v[18:19]
	s_mov_b32 s3, 0x7060302
	v_mov_b64_e32 v[4:5], v[20:21]
	v_mov_b64_e32 v[6:7], v[22:23]
	;; [unrolled: 1-line block ×7, first 2 shown]
	s_waitcnt lgkmcnt(0)
	s_barrier
	s_branch .LBB300_7
.LBB300_6:                              ;   in Loop: Header=BB300_7 Depth=1
	s_waitcnt vmcnt(2)
	v_exp_f32_e32 v34, s20
	v_accvgpr_read_b32 v21, a7
	v_accvgpr_read_b32 v19, a5
	;; [unrolled: 1-line block ×16, first 2 shown]
	v_fma_f32 v18, v2, v34, v18
	v_fma_f32 v19, v3, v34, v19
	v_fma_f32 v20, v4, v34, v20
	v_fmac_f32_e32 v21, v5, v34
	v_fma_f32 v26, v10, v34, v26
	v_fma_f32 v27, v11, v34, v27
	v_fma_f32 v28, v12, v34, v28
	v_fmac_f32_e32 v29, v13, v34
	;; [unrolled: 4-line block ×4, first 2 shown]
	s_add_i32 s59, s59, 64
	v_mov_b64_e32 v[2:3], v[18:19]
	s_cmp_eq_u32 s50, s35
	s_mov_b32 s64, s35
	v_mov_b64_e32 v[4:5], v[20:21]
	v_mov_b64_e32 v[6:7], v[22:23]
	;; [unrolled: 1-line block ×7, first 2 shown]
	s_cbranch_scc1 .LBB300_17
.LBB300_7:                              ; =>This Inner Loop Header: Depth=1
	s_add_i32 s35, s64, 1
	s_cmp_lt_i32 s35, s50
	s_mov_b64 s[24:25], 0
	s_cselect_b64 s[40:41], -1, 0
	s_cmp_ge_i32 s35, s50
	s_mov_b64 s[20:21], 0
	s_cbranch_scc1 .LBB300_9
; %bb.8:                                ;   in Loop: Header=BB300_7 Depth=1
	s_add_i32 s0, s59, 64
	s_add_u32 s0, s16, s0
	s_addc_u32 s1, s17, 0
	s_lshl_b64 s[0:1], s[0:1], 8
	s_add_u32 s20, s6, s0
	s_addc_u32 s21, s7, s1
.LBB300_9:                              ;   in Loop: Header=BB300_7 Depth=1
	v_cndmask_b32_e64 v18, 0, 1, s[40:41]
	v_cmp_ne_u32_e64 s[0:1], 1, v18
	s_andn2_b64 vcc, exec, s[40:41]
	s_cbranch_vccnz .LBB300_11
; %bb.10:                               ;   in Loop: Header=BB300_7 Depth=1
	s_add_i32 s24, s59, 64
	s_add_u32 s24, s62, s24
	s_addc_u32 s25, s63, 0
	s_mul_i32 s27, s24, s52
	s_mul_hi_u32 s40, s24, s56
	s_add_i32 s27, s40, s27
	s_mul_i32 s25, s25, s56
	s_add_i32 s27, s27, s25
	s_mul_i32 s24, s24, s56
	s_add_u32 s24, s24, s53
	s_addc_u32 s25, s27, s57
	s_lshl_b64 s[24:25], s[24:25], 8
	s_add_u32 s24, s4, s24
	s_addc_u32 s25, s5, s25
.LBB300_11:                             ;   in Loop: Header=BB300_7 Depth=1
	v_perm_b32 v19, v5, v4, s3
	v_perm_b32 v18, v3, v2, s3
	;; [unrolled: 1-line block ×4, first 2 shown]
	ds_write_b64 v72, v[18:19]
	ds_write_b64 v73, v[20:21]
	;; [unrolled: 1-line block ×4, first 2 shown]
	v_perm_b32 v19, v13, v12, s3
	v_perm_b32 v18, v11, v10, s3
	;; [unrolled: 1-line block ×4, first 2 shown]
	ds_write_b64 v74, v[18:19]
	ds_write_b64 v75, v[20:21]
	;; [unrolled: 1-line block ×4, first 2 shown]
	s_waitcnt lgkmcnt(0)
	s_barrier
	ds_read_b64 v[22:23], v80 offset:24576
	ds_read2_b64 v[18:21], v81 offset1:16
	ds_read_b64 v[26:27], v83 offset:3072
	ds_read_b64 v[28:29], v81 offset:3072
	;; [unrolled: 1-line block ×3, first 2 shown]
	s_waitcnt lgkmcnt(3)
	v_mfma_f32_16x16x16_bf16 a[0:3], v[22:23], v[18:19], 0
	s_add_i32 s27, s59, 63
	s_mul_i32 s40, s27, s29
	s_mul_hi_u32 s41, s27, s28
	v_mfma_f32_16x16x16_bf16 a[4:7], v[22:23], v[20:21], 0
	ds_read2st64_b64 v[18:21], v81 offset0:2 offset1:4
	ds_read2st64_b64 v[22:25], v83 offset0:2 offset1:4
	s_add_i32 s41, s41, s40
	s_waitcnt lgkmcnt(1)
	v_mfma_f32_16x16x16_bf16 a[0:3], v[30:31], v[18:19], a[0:3]
	s_mul_i32 s40, s27, s28
	s_lshl_b64 s[40:41], s[40:41], 2
	s_add_u32 s40, s38, s40
	s_waitcnt lgkmcnt(0)
	v_mfma_f32_16x16x16_bf16 a[4:7], v[30:31], v[22:23], a[4:7]
	ds_read_b64 v[18:19], v84 offset:24576
	ds_read_b64 v[22:23], v85 offset:24576
	s_addc_u32 s41, s39, s41
	s_and_b64 vcc, exec, s[0:1]
	s_waitcnt lgkmcnt(1)
	v_mfma_f32_16x16x16_bf16 a[0:3], v[18:19], v[20:21], a[0:3]
	v_mov_b32_e32 v102, 0
	v_mov_b32_e32 v101, 0
	;; [unrolled: 1-line block ×3, first 2 shown]
	v_mfma_f32_16x16x16_bf16 a[4:7], v[18:19], v[24:25], a[4:7]
	v_mov_b32_e32 v18, 0
	v_mov_b32_e32 v19, 0
	;; [unrolled: 1-line block ×3, first 2 shown]
	s_waitcnt lgkmcnt(0)
	v_mfma_f32_16x16x16_bf16 a[0:3], v[22:23], v[28:29], a[0:3]
	v_mov_b32_e32 v21, 0
	v_mov_b32_e32 v24, 0
	;; [unrolled: 1-line block ×3, first 2 shown]
	v_mfma_f32_16x16x16_bf16 a[4:7], v[22:23], v[26:27], a[4:7]
	v_mov_b32_e32 v22, 0
	v_mov_b32_e32 v23, 0
	v_mov_b32_e32 v26, 0
	v_mov_b32_e32 v27, 0
	v_mov_b32_e32 v28, 0
	v_mov_b32_e32 v29, 0
	v_mov_b32_e32 v30, 0
	v_mov_b32_e32 v31, 0
	v_mov_b32_e32 v32, 0
	v_mov_b32_e32 v33, 0
	s_cbranch_vccnz .LBB300_13
; %bb.12:                               ;   in Loop: Header=BB300_7 Depth=1
	s_and_b32 s21, s21, 0xffff
	buffer_load_dwordx4 v[30:33], v68, s[20:23], 0 offen
	buffer_load_dwordx4 v[26:29], v68, s[20:23], s58 offen
	;; [unrolled: 1-line block ×4, first 2 shown]
	v_mov_b32_e32 v101, v70
	v_mov_b32_e32 v100, v71
.LBB300_13:                             ;   in Loop: Header=BB300_7 Depth=1
	ds_read_b64 v[38:39], v80 offset:32768
	ds_read2_b64 v[34:37], v86 offset1:16
	ds_read_b64 v[42:43], v82 offset:32768
	ds_read_b64 v[44:45], v84 offset:32768
	ds_read_b64 v[46:47], v85 offset:32768
	v_add_u32_e32 v103, s59, v64
	s_waitcnt lgkmcnt(3)
	v_mfma_f32_16x16x16_bf16 a[0:3], v[38:39], v[34:35], a[0:3]
	v_mfma_f32_16x16x16_bf16 a[4:7], v[38:39], v[36:37], a[4:7]
	ds_read2st64_b64 v[34:37], v86 offset0:2 offset1:4
	ds_read2st64_b64 v[38:41], v87 offset0:2 offset1:4
	s_waitcnt lgkmcnt(1)
	v_mfma_f32_16x16x16_bf16 a[0:3], v[42:43], v[34:35], a[0:3]
	ds_read_b64 v[34:35], v86 offset:3072
	ds_read_b64 v[48:49], v87 offset:3072
	s_waitcnt lgkmcnt(2)
	v_mfma_f32_16x16x16_bf16 a[4:7], v[42:43], v[38:39], a[4:7]
	v_ashrrev_i32_e32 v38, 31, v103
	v_mul_lo_u32 v39, v103, s29
	v_mul_lo_u32 v38, v38, s28
	v_mfma_f32_16x16x16_bf16 a[0:3], v[44:45], v[36:37], a[0:3]
	v_mad_u64_u32 v[36:37], s[20:21], v103, s28, 0
	v_add3_u32 v37, v37, v39, v38
	v_lshl_add_u64 v[36:37], v[36:37], 2, s[38:39]
	global_load_dword v42, v[36:37], off
	v_add_u32_e32 v36, 1, v103
	v_ashrrev_i32_e32 v37, 31, v36
	s_waitcnt lgkmcnt(1)
	v_mfma_f32_16x16x16_bf16 a[0:3], v[46:47], v[34:35], a[0:3]
	v_mul_lo_u32 v37, v37, s28
	v_mul_lo_u32 v38, v36, s29
	v_mad_u64_u32 v[34:35], s[20:21], v36, s28, 0
	v_add_u32_e32 v36, 2, v103
	v_add3_u32 v35, v35, v38, v37
	v_ashrrev_i32_e32 v37, 31, v36
	v_mul_lo_u32 v38, v37, s28
	v_mul_lo_u32 v39, v36, s29
	v_mad_u64_u32 v[36:37], s[20:21], v36, s28, 0
	v_add3_u32 v37, v37, v39, v38
	v_add_u32_e32 v38, 3, v103
	v_ashrrev_i32_e32 v39, 31, v38
	v_mfma_f32_16x16x16_bf16 a[4:7], v[44:45], v[40:41], a[4:7]
	v_mul_lo_u32 v40, v39, s28
	v_mul_lo_u32 v41, v38, s29
	v_mad_u64_u32 v[38:39], s[20:21], v38, s28, 0
	s_add_u32 s20, s16, s59
	s_addc_u32 s21, s17, 0
	s_lshl_b64 s[20:21], s[20:21], 8
	v_add3_u32 v39, v39, v41, v40
	v_lshl_add_u64 v[40:41], v[54:55], 0, s[20:21]
	v_lshl_add_u64 v[34:35], v[34:35], 2, s[38:39]
	;; [unrolled: 1-line block ×4, first 2 shown]
	global_load_ushort v44, v[40:41], off
	global_load_ushort v43, v[40:41], off offset:256
	global_load_ushort v103, v[40:41], off offset:800
	;; [unrolled: 1-line block ×7, first 2 shown]
	v_lshl_add_u64 v[38:39], v[38:39], 2, s[38:39]
	global_load_dword v108, v[34:35], off
	global_load_dword v109, v[36:37], off
	;; [unrolled: 1-line block ×3, first 2 shown]
	s_load_dword s20, s[40:41], 0x0
	s_waitcnt lgkmcnt(0)
	v_mfma_f32_16x16x16_bf16 a[4:7], v[46:47], v[48:49], a[4:7]
	v_accvgpr_read_b32 v39, a1
	v_accvgpr_read_b32 v35, a3
	;; [unrolled: 1-line block ×4, first 2 shown]
	s_and_b64 vcc, exec, s[0:1]
	s_waitcnt vmcnt(11)
	v_sub_f32_e32 v48, s20, v42
	v_exp_f32_e32 v48, v48
	v_accvgpr_read_b32 v41, a5
	v_accvgpr_read_b32 v40, a4
	;; [unrolled: 1-line block ×4, first 2 shown]
	s_waitcnt vmcnt(10)
	v_lshlrev_b32_e32 v42, 16, v44
	s_waitcnt vmcnt(9)
	v_lshlrev_b32_e32 v43, 16, v43
	v_pk_add_f32 v[38:39], v[42:43], v[38:39] neg_lo:[0,1] neg_hi:[0,1]
	s_waitcnt vmcnt(7)
	v_lshlrev_b32_e32 v45, 16, v45
	v_mov_b32_e32 v42, 0
	s_waitcnt vmcnt(5)
	v_lshlrev_b32_e32 v44, 16, v104
	s_waitcnt vmcnt(4)
	v_lshlrev_b32_e32 v47, 16, v105
	s_waitcnt vmcnt(2)
	v_sub_f32_e32 v49, s20, v108
	s_waitcnt vmcnt(1)
	v_sub_f32_e32 v104, s20, v109
	;; [unrolled: 2-line block ×3, first 2 shown]
	v_exp_f32_e32 v49, v49
	v_exp_f32_e32 v104, v104
	;; [unrolled: 1-line block ×3, first 2 shown]
	v_pk_add_f32 v[34:35], v[44:45], v[34:35] neg_lo:[0,1] neg_hi:[0,1]
	v_lshlrev_b32_e32 v46, 16, v107
	v_pk_mul_f32 v[38:39], v[48:49], v[38:39]
	v_pk_mul_f32 v[34:35], v[104:105], v[34:35]
	v_mov_b32_e32 v43, 0
	v_perm_b32 v35, v35, v34, s3
	v_perm_b32 v34, v39, v38, s3
	v_pk_add_f32 v[38:39], v[46:47], v[40:41] neg_lo:[0,1] neg_hi:[0,1]
	v_lshlrev_b32_e32 v41, 16, v103
	v_lshlrev_b32_e32 v40, 16, v106
	v_pk_add_f32 v[36:37], v[40:41], v[36:37] neg_lo:[0,1] neg_hi:[0,1]
	v_pk_mul_f32 v[38:39], v[48:49], v[38:39]
	v_pk_mul_f32 v[36:37], v[104:105], v[36:37]
	v_mov_b32_e32 v103, 0
	v_perm_b32 v37, v37, v36, s3
	v_perm_b32 v36, v39, v38, s3
	ds_write2_b64 v73, v[34:35], v[36:37] offset1:16
	v_mov_b32_e32 v34, 0
	v_mov_b32_e32 v35, 0
	;; [unrolled: 1-line block ×14, first 2 shown]
	s_cbranch_vccnz .LBB300_15
; %bb.14:                               ;   in Loop: Header=BB300_7 Depth=1
	s_and_b32 s25, s25, 0xffff
	s_mov_b32 s27, s23
	buffer_load_dwordx4 v[46:49], v95, s[24:27], 0 offen
	buffer_load_dwordx4 v[38:41], v95, s[24:27], s58 offen
	;; [unrolled: 1-line block ×4, first 2 shown]
	v_mov_b32_e32 v102, v67
	v_mov_b32_e32 v103, v66
.LBB300_15:                             ;   in Loop: Header=BB300_7 Depth=1
	s_waitcnt lgkmcnt(0)
	s_barrier
	ds_read_b64 v[108:109], v51
	ds_read_b64 v[116:117], v91
	;; [unrolled: 1-line block ×5, first 2 shown]
	ds_read_b64 v[122:123], v92 offset:16384
	ds_read_b64 v[124:125], v90 offset:16384
	ds_read2_b64 v[104:107], v86 offset0:16 offset1:128
	s_waitcnt lgkmcnt(6)
	v_mfma_f32_16x16x16_bf16 a[0:3], v[108:109], v[116:117], 0
	ds_read_b64 v[126:127], v87 offset:3072
	ds_read_b64 v[128:129], v94 offset:16384
	s_add_i32 s21, s54, s64
	s_waitcnt lgkmcnt(2)
	v_mfma_f32_16x16x16_bf16 a[4:7], v[108:109], v[104:105], 0
	ds_read2st64_b64 v[108:111], v87 offset0:2 offset1:4
	s_mul_hi_i32 s25, s21, s13
	s_mul_i32 s21, s21, s13
	v_mfma_f32_16x16x16_bf16 a[0:3], v[112:113], v[106:107], a[0:3]
	s_add_u32 s24, s21, s47
	s_addc_u32 s25, s25, s51
	s_lshl_b64 s[24:25], s[24:25], 15
	s_waitcnt lgkmcnt(0)
	v_mfma_f32_16x16x16_bf16 a[4:7], v[112:113], v[108:109], a[4:7]
	ds_read2st64_b64 v[112:115], v86 offset0:4 offset1:6
	s_waitcnt lgkmcnt(0)
	v_mfma_f32_16x16x16_bf16 a[0:3], v[118:119], v[112:113], a[0:3]
	v_mfma_f32_16x16x16_bf16 a[8:11], v[118:119], v[110:111], a[4:7]
	;; [unrolled: 1-line block ×5, first 2 shown]
	ds_read2st64_b64 v[116:119], v89 offset1:8
	v_mfma_f32_16x16x16_bf16 a[12:15], v[124:125], v[104:105], 0
	ds_read_b64 v[124:125], v93 offset:16384
	v_mfma_f32_16x16x16_bf16 a[8:11], v[122:123], v[106:107], a[8:11]
	ds_read2st64_b64 v[104:107], v88 offset1:8
	s_waitcnt lgkmcnt(0)
	v_mov_b32_e32 v120, v104
	v_mfma_f32_16x16x16_bf16 a[12:15], v[122:123], v[108:109], a[12:15]
	v_lshl_add_u64 v[108:109], v[56:57], 0, s[24:25]
	v_add_co_u32_e32 v104, vcc, s31, v108
	v_mfma_f32_16x16x16_bf16 a[8:11], v[124:125], v[112:113], a[8:11]
	v_mov_b32_e32 v121, v105
	v_addc_co_u32_e32 v105, vcc, 0, v109, vcc
	v_mfma_f32_16x16x16_bf16 a[12:15], v[124:125], v[110:111], a[12:15]
	v_mov_b32_e32 v122, v116
	v_mov_b32_e32 v123, v117
	v_mov_b32_e32 v116, v106
	v_mfma_f32_16x16x16_bf16 a[8:11], v[128:129], v[114:115], a[8:11]
	v_mov_b32_e32 v117, v107
	s_and_b64 vcc, exec, s[0:1]
	global_store_dwordx4 v[108:109], v[120:123], off
	v_mfma_f32_16x16x16_bf16 a[12:15], v[128:129], v[126:127], a[12:15]
	global_store_dwordx4 v[104:105], v[116:119], off
	s_cbranch_vccnz .LBB300_6
; %bb.16:                               ;   in Loop: Header=BB300_7 Depth=1
	v_lshrrev_b32_e32 v104, 3, v102
	v_and_b32_e32 v104, 6, v104
	v_xor_b32_e32 v103, v104, v103
	v_lshlrev_b32_e32 v103, 2, v103
	v_and_b32_e32 v102, 8, v102
	v_xor_b32_e32 v105, 0x440, v103
	v_cmp_eq_u32_e32 vcc, 0, v102
	s_barrier
	s_nop 0
	v_cndmask_b32_e32 v102, v105, v103, vcc
	v_lshl_or_b32 v102, v104, 10, v102
	s_waitcnt vmcnt(3)
	v_perm_b32 v103, v46, v42, s60
	s_waitcnt vmcnt(2)
	v_perm_b32 v104, v38, v34, s60
	ds_write2st64_b32 v102, v103, v104 offset0:32 offset1:64
	v_xor_b32_e32 v103, 8, v102
	v_perm_b32 v42, v46, v42, s61
	v_perm_b32 v34, v38, v34, s61
	v_add_u32_e32 v38, 0x80, v103
	ds_write2st64_b32 v38, v42, v34 offset0:32 offset1:64
	v_xor_b32_e32 v34, 16, v102
	v_perm_b32 v38, v47, v43, s60
	v_perm_b32 v42, v39, v35, s60
	ds_write2st64_b32 v34, v38, v42 offset0:33 offset1:65
	v_xor_b32_e32 v34, 24, v102
	v_perm_b32 v38, v47, v43, s61
	v_perm_b32 v35, v39, v35, s61
	v_add_u32_e32 v34, 0x80, v34
	ds_write2st64_b32 v34, v38, v35 offset0:33 offset1:65
	v_xor_b32_e32 v34, 32, v102
	v_perm_b32 v35, v48, v44, s60
	v_perm_b32 v38, v40, v36, s60
	ds_write2st64_b32 v34, v35, v38 offset0:34 offset1:66
	v_xor_b32_e32 v34, 40, v102
	v_perm_b32 v35, v48, v44, s61
	v_perm_b32 v36, v40, v36, s61
	v_add_u32_e32 v34, 0x80, v34
	ds_write2st64_b32 v34, v35, v36 offset0:34 offset1:66
	v_xor_b32_e32 v34, 48, v102
	v_perm_b32 v35, v49, v45, s60
	v_perm_b32 v36, v41, v37, s60
	ds_write2st64_b32 v34, v35, v36 offset0:35 offset1:67
	v_xor_b32_e32 v34, 56, v102
	v_perm_b32 v35, v49, v45, s61
	v_perm_b32 v36, v41, v37, s61
	v_add_u32_e32 v34, 0x80, v34
	ds_write2st64_b32 v34, v35, v36 offset0:35 offset1:67
	ds_write_b64 v101, v[30:31] offset:24576
	v_xor_b32_e32 v30, 8, v101
	ds_write_b64 v30, v[32:33] offset:24576
	ds_write_b64 v101, v[26:27] offset:32768
	;; [unrolled: 1-line block ×4, first 2 shown]
	v_xor_b32_e32 v22, 8, v100
	ds_write_b64 v22, v[24:25] offset:24576
	ds_write_b64 v100, v[18:19] offset:32768
	;; [unrolled: 1-line block ×3, first 2 shown]
	s_branch .LBB300_6
.LBB300_17:
	s_lshl_b32 s26, s50, 6
	s_sub_i32 s27, s12, s26
	s_cmp_gt_i32 s27, 0
	s_cbranch_scc0 .LBB300_82
; %bb.18:
	s_ashr_i32 s3, s26, 31
	s_cmpk_lg_i32 s15, 0x80
	s_cselect_b64 s[22:23], -1, 0
	s_and_b64 vcc, exec, s[22:23]
	s_cbranch_vccz .LBB300_20
; %bb.19:
	s_mul_i32 s1, s49, s12
	s_mul_hi_i32 s0, s49, s12
	s_add_u32 s1, s1, s26
	s_addc_u32 s0, s0, s3
	s_mul_i32 s17, s1, s52
	s_mul_hi_u32 s20, s1, s14
	s_add_i32 s17, s20, s17
	s_mul_i32 s0, s0, s14
	s_add_i32 s17, s17, s0
	s_mul_i32 s1, s1, s14
	s_ashr_i32 s0, s53, 31
	s_add_u32 s24, s1, s53
	s_addc_u32 s25, s17, s0
	s_cbranch_execz .LBB300_21
	s_branch .LBB300_22
.LBB300_20:
                                        ; implicit-def: $sgpr24_sgpr25
.LBB300_21:
	s_mul_hi_i32 s0, s49, s14
	s_mul_i32 s49, s49, s14
	s_ashr_i32 s1, s53, 31
	s_add_u32 s14, s49, s53
	s_addc_u32 s0, s0, s1
	s_mul_i32 s1, s14, s48
	s_mul_hi_u32 s17, s14, s12
	s_add_i32 s1, s17, s1
	s_mul_i32 s0, s0, s12
	s_add_i32 s1, s1, s0
	s_mul_i32 s14, s14, s12
	s_add_u32 s24, s14, s26
	s_addc_u32 s25, s1, s3
.LBB300_22:
	s_mul_i32 s0, s36, s48
	s_add_i32 s0, s55, s0
	s_add_i32 s14, s54, s50
	;; [unrolled: 1-line block ×3, first 2 shown]
	s_add_u32 s0, s16, s26
	v_lshlrev_b32_e32 v6, 5, v64
	v_lshlrev_b32_e32 v34, 2, v61
	s_addc_u32 s1, s1, s3
	s_mov_b32 s3, 0x7060302
	v_or_b32_e32 v9, v6, v34
	v_xor_b32_e32 v7, v64, v34
	v_perm_b32 v3, v21, v20, s3
	v_perm_b32 v2, v19, v18, s3
	;; [unrolled: 1-line block ×4, first 2 shown]
	v_lshlrev_b32_e32 v9, 1, v9
	v_xor_b32_e32 v8, v65, v34
	ds_write2st64_b64 v9, v[2:3], v[4:5] offset0:80 offset1:88
	v_lshlrev_b32_e32 v7, 1, v7
	v_lshlrev_b32_e32 v9, 8, v61
	s_lshl_b64 s[20:21], s[0:1], 8
	v_or_b32_e32 v10, v7, v9
	v_lshlrev_b32_e32 v8, 1, v8
	s_add_u32 s0, s6, s20
	ds_write_b64 v10, v[2:3]
	v_or_b32_e32 v2, v8, v9
	s_addc_u32 s1, s7, s21
	ds_write_b64 v2, v[4:5]
	v_perm_b32 v3, v29, v28, s3
	v_perm_b32 v2, v27, v26, s3
	;; [unrolled: 1-line block ×4, first 2 shown]
	v_or_b32_e32 v9, 16, v61
	s_mul_hi_i32 s3, s14, s13
	s_mul_i32 s14, s14, s13
	v_lshlrev_b32_e32 v19, 2, v9
	s_add_u32 s6, s14, s47
	v_or_b32_e32 v6, v6, v19
	s_addc_u32 s7, s3, s51
	v_lshlrev_b32_e32 v6, 1, v6
	s_ashr_i32 s3, s2, 31
	s_lshl_b64 s[6:7], s[6:7], 15
	ds_write2st64_b64 v6, v[2:3], v[4:5] offset0:80 offset1:88
	v_lshlrev_b32_e32 v6, 8, v9
	s_add_u32 s6, s18, s6
	v_or_b32_e32 v7, v7, v6
	s_addc_u32 s7, s19, s7
	s_lshl_b64 s[2:3], s[2:3], 8
	ds_write_b64 v7, v[2:3]
	v_or_b32_e32 v2, v8, v6
	s_add_u32 s2, s6, s2
	ds_write_b64 v2, v[4:5]
	v_lshrrev_b32_e32 v2, 4, v0
	s_addc_u32 s3, s7, s3
	v_lshlrev_b32_e32 v3, 1, v61
	v_lshlrev_b32_e32 v10, 4, v61
	v_mov_b32_e32 v11, 0
	v_or_b32_e32 v4, 1, v3
	v_xor_b32_e32 v3, v2, v3
	v_lshl_add_u64 v[12:13], s[2:3], 0, v[10:11]
	v_lshlrev_b32_e32 v10, 8, v2
	v_xor_b32_e32 v6, v4, v2
	v_lshl_or_b32 v2, v3, 3, v10
	s_waitcnt lgkmcnt(0)
	s_barrier
	ds_read2st64_b64 v[2:5], v2 offset1:8
	v_lshl_or_b32 v6, v6, 3, v10
	ds_read2st64_b64 v[6:9], v6 offset1:8
	v_lshl_add_u64 v[14:15], v[12:13], 0, v[10:11]
	s_movk_i32 s2, 0x1000
	s_waitcnt lgkmcnt(1)
	v_mov_b32_e32 v10, v2
	v_add_co_u32_e32 v2, vcc, s2, v14
	s_cmp_lg_u32 s27, 64
	v_mov_b32_e32 v11, v3
	v_addc_co_u32_e32 v3, vcc, 0, v15, vcc
	s_cselect_b64 s[6:7], -1, 0
	v_lshl_or_b32 v22, v59, 3, v63
	s_waitcnt lgkmcnt(0)
	v_mov_b32_e32 v12, v6
	v_mov_b32_e32 v13, v7
	v_mov_b32_e32 v6, v4
	v_mov_b32_e32 v7, v5
	s_mov_b32 s16, 0
	v_or_b32_e32 v20, 32, v22
	v_and_b32_e32 v18, 56, v62
	s_and_b64 vcc, exec, s[6:7]
	global_store_dwordx4 v[14:15], v[10:13], off
	global_store_dwordx4 v[2:3], v[6:9], off
	s_cbranch_vccz .LBB300_28
; %bb.23:
	s_mov_b32 s17, s16
	s_mov_b32 s18, s16
	;; [unrolled: 1-line block ×3, first 2 shown]
	v_mov_b64_e32 v[6:7], s[16:17]
	v_mov_b64_e32 v[8:9], s[18:19]
	;; [unrolled: 1-line block ×3, first 2 shown]
	v_cmp_gt_i32_e32 vcc, s27, v22
	v_mov_b64_e32 v[4:5], v[8:9]
	s_and_saveexec_b64 s[2:3], vcc
	s_cbranch_execz .LBB300_25
; %bb.24:
	v_lshlrev_b32_e32 v2, 8, v22
	v_mov_b32_e32 v3, 0
	v_lshl_add_u64 v[4:5], s[0:1], 0, v[2:3]
	v_lshlrev_b32_e32 v2, 1, v18
	v_lshl_add_u64 v[10:11], v[4:5], 0, v[2:3]
	global_load_dwordx4 v[6:9], v[10:11], off
	global_load_dwordx4 v[2:5], v[10:11], off offset:128
.LBB300_25:
	s_or_b64 exec, exec, s[2:3]
	s_mov_b32 s17, s16
	s_mov_b32 s18, s16
	;; [unrolled: 1-line block ×3, first 2 shown]
	v_mov_b64_e32 v[14:15], s[16:17]
	v_mov_b64_e32 v[16:17], s[18:19]
	;; [unrolled: 1-line block ×3, first 2 shown]
	v_cmp_gt_i32_e32 vcc, s27, v20
	v_lshlrev_b32_e32 v21, 7, v20
	v_mov_b64_e32 v[12:13], v[16:17]
	s_and_saveexec_b64 s[2:3], vcc
	s_cbranch_execz .LBB300_27
; %bb.26:
	v_lshlrev_b32_e32 v10, 1, v21
	v_mov_b32_e32 v11, 0
	v_lshl_add_u64 v[12:13], s[0:1], 0, v[10:11]
	v_lshlrev_b32_e32 v10, 1, v18
	v_lshl_add_u64 v[24:25], v[12:13], 0, v[10:11]
	global_load_dwordx4 v[14:17], v[24:25], off
	global_load_dwordx4 v[10:13], v[24:25], off offset:128
.LBB300_27:
	s_or_b64 exec, exec, s[2:3]
	v_lshrrev_b32_e32 v23, 3, v18
	v_lshlrev_b32_e32 v24, 3, v22
	v_or_b32_e32 v23, v24, v23
	v_lshlrev_b32_e32 v23, 4, v23
	v_and_b32_e32 v24, 0x78, v24
	v_xor_b32_e32 v23, v23, v24
	s_branch .LBB300_30
.LBB300_28:
                                        ; implicit-def: $vgpr23
                                        ; implicit-def: $vgpr21
                                        ; implicit-def: $vgpr6_vgpr7_vgpr8_vgpr9
                                        ; implicit-def: $vgpr2_vgpr3_vgpr4_vgpr5
                                        ; implicit-def: $vgpr14_vgpr15_vgpr16_vgpr17
                                        ; implicit-def: $vgpr10_vgpr11_vgpr12_vgpr13
	s_cbranch_execz .LBB300_30
; %bb.29:
	s_waitcnt vmcnt(0)
	v_lshlrev_b32_e32 v2, 1, v18
	v_lshl_or_b32 v21, v22, 8, v2
	s_and_b32 s1, s1, 0xffff
	s_mov_b32 s3, 0x20000
	s_movk_i32 s2, 0x4000
	v_lshl_or_b32 v23, v20, 8, v2
	s_movk_i32 s13, 0x80
	buffer_load_dwordx4 v[6:9], v21, s[0:3], 0 offen
	buffer_load_dwordx4 v[2:5], v21, s[0:3], s13 offen
	;; [unrolled: 1-line block ×4, first 2 shown]
	v_lshrrev_b32_e32 v21, 3, v18
	v_lshlrev_b32_e32 v23, 3, v22
	v_or_b32_e32 v21, v23, v21
	v_lshlrev_b32_e32 v21, 4, v21
	v_and_b32_e32 v23, 0x78, v23
	v_xor_b32_e32 v23, v21, v23
	v_lshlrev_b32_e32 v21, 7, v20
.LBB300_30:
	s_lshl_b64 s[0:1], s[24:25], 8
	s_add_u32 s4, s4, s0
	s_movk_i32 s0, 0x1000
	v_and_or_b32 v20, v21, s0, v23
	s_waitcnt vmcnt(1)
	ds_write_b64 v23, v[6:7] offset:24576
	v_xor_b32_e32 v6, 8, v23
	ds_write_b64 v6, v[8:9] offset:24576
	s_waitcnt vmcnt(0)
	ds_write_b64 v23, v[2:3] offset:32768
	ds_write_b64 v6, v[4:5] offset:32768
	;; [unrolled: 1-line block ×3, first 2 shown]
	v_xor_b32_e32 v2, 8, v20
	ds_write_b64 v2, v[16:17] offset:24576
	ds_write_b64 v20, v[10:11] offset:32768
	;; [unrolled: 1-line block ×3, first 2 shown]
	v_or_b32_e32 v2, v1, v61
	v_lshlrev_b32_e32 v3, 11, v59
	v_lshlrev_b32_e32 v2, 3, v2
	v_and_b32_e32 v6, 0x1000, v3
	v_lshrrev_b32_e32 v3, 5, v58
	s_movk_i32 s3, 0xf8
	v_and_or_b32 v3, v2, s3, v3
	v_lshlrev_b32_e32 v7, 4, v3
	v_and_b32_e32 v8, 0x78, v2
	v_or_b32_e32 v10, 32, v7
	v_lshrrev_b32_e32 v3, 1, v58
	v_xor_b32_e32 v10, v10, v8
	v_xor_b32_e32 v2, v7, v8
	v_and_b32_e32 v9, 8, v3
	v_or_b32_e32 v10, v10, v6
	v_or_b32_e32 v2, v2, v6
	v_xor_b32_e32 v25, v10, v9
	v_or_b32_e32 v10, 64, v7
	v_xor_b32_e32 v24, v2, v9
	v_xor_b32_e32 v10, v10, v8
	s_waitcnt lgkmcnt(0)
	s_barrier
	v_or_b32_e32 v12, v10, v6
	ds_read_b64 v[10:11], v24 offset:24576
	v_lshl_or_b32 v20, v60, 7, v34
	v_lshlrev_b32_e32 v23, 1, v20
	v_add_u32_e32 v2, 0xa000, v23
	ds_read2_b64 v[2:5], v2 offset1:16
	v_or_b32_e32 v7, 0x60, v7
	v_xor_b32_e32 v7, v7, v8
	s_waitcnt lgkmcnt(0)
	v_mfma_f32_16x16x16_bf16 a[0:3], v[10:11], v[2:3], 0
	v_or_b32_e32 v2, 64, v20
	v_or_b32_e32 v6, v7, v6
	v_lshlrev_b32_e32 v28, 1, v2
	v_xor_b32_e32 v26, v12, v9
	v_xor_b32_e32 v27, v6, v9
	ds_read_b64 v[12:13], v25 offset:24576
	ds_read_b64 v[14:15], v26 offset:24576
	ds_read_b64 v[16:17], v27 offset:24576
	v_mfma_f32_16x16x16_bf16 a[4:7], v[10:11], v[4:5], 0
	ds_read2st64_b64 v[2:5], v28 offset0:82 offset1:84
	ds_read2st64_b64 v[6:9], v23 offset0:82 offset1:84
	s_addc_u32 s5, s5, s1
	s_add_i32 s1, s42, s33
	s_add_i32 s0, s12, -1
	s_add_i32 s31, s1, s46
	s_add_i32 s1, s44, s43
	;; [unrolled: 1-line block ×3, first 2 shown]
	s_ashr_i32 s1, s0, 31
	s_mul_i32 s2, s0, s29
	s_mul_hi_u32 s3, s0, s28
	s_add_i32 s2, s3, s2
	s_mul_i32 s1, s1, s28
	s_waitcnt lgkmcnt(1)
	v_mfma_f32_16x16x16_bf16 a[4:7], v[12:13], v[2:3], a[4:7]
	s_add_i32 s1, s2, s1
	s_lshl_b64 s[2:3], s[30:31], 2
	s_add_u32 s10, s10, s2
	s_waitcnt lgkmcnt(0)
	v_mfma_f32_16x16x16_bf16 a[0:3], v[12:13], v[6:7], a[0:3]
	s_addc_u32 s11, s11, s3
	s_lshl_b64 s[2:3], s[34:35], 2
	s_mul_i32 s0, s0, s28
	s_add_u32 s10, s10, s2
	ds_read_b64 v[2:3], v23 offset:44032
	v_mfma_f32_16x16x16_bf16 a[4:7], v[14:15], v[4:5], a[4:7]
	ds_read_b64 v[4:5], v28 offset:44032
	s_addc_u32 s11, s11, s3
	s_lshl_b64 s[0:1], s[0:1], 2
	v_mfma_f32_16x16x16_bf16 a[0:3], v[14:15], v[8:9], a[0:3]
	s_add_u32 s0, s10, s0
	s_addc_u32 s1, s11, s1
	s_load_dword s12, s[0:1], 0x0
	s_waitcnt lgkmcnt(0)
	v_mfma_f32_16x16x16_bf16 a[0:3], v[16:17], v[2:3], a[0:3]
	s_and_b64 vcc, exec, s[22:23]
	v_mfma_f32_16x16x16_bf16 a[4:7], v[16:17], v[4:5], a[4:7]
	s_cbranch_vccz .LBB300_41
; %bb.31:
	v_lshlrev_b32_e32 v20, 1, v22
	s_and_b64 vcc, exec, s[6:7]
	s_cbranch_vccz .LBB300_42
; %bb.32:
	v_cmp_gt_i32_e32 vcc, s27, v20
	v_mov_b32_e32 v6, 0
	v_mov_b32_e32 v2, 0
	v_mov_b32_e32 v3, 0
	v_mov_b32_e32 v4, 0
	v_mov_b32_e32 v5, 0
	s_and_saveexec_b64 s[0:1], vcc
	s_cbranch_execz .LBB300_34
; %bb.33:
	v_mad_i64_i32 v[2:3], s[2:3], s15, v20, 0
	v_lshl_add_u64 v[2:3], v[2:3], 1, s[4:5]
	v_lshlrev_b32_e32 v4, 1, v18
	v_mov_b32_e32 v5, 0
	v_lshl_add_u64 v[2:3], v[2:3], 0, v[4:5]
	global_load_dwordx4 v[2:5], v[2:3], off
.LBB300_34:
	s_or_b64 exec, exec, s[0:1]
	v_or_b32_e32 v21, 1, v20
	v_cmp_gt_i32_e64 s[0:1], s27, v21
	v_mov_b32_e32 v7, 0
	v_mov_b32_e32 v8, 0
	;; [unrolled: 1-line block ×3, first 2 shown]
	s_and_saveexec_b64 s[2:3], s[0:1]
	s_cbranch_execz .LBB300_36
; %bb.35:
	v_mad_i64_i32 v[6:7], s[16:17], s15, v21, 0
	v_lshl_add_u64 v[6:7], v[6:7], 1, s[4:5]
	v_lshlrev_b32_e32 v8, 1, v18
	v_mov_b32_e32 v9, 0
	v_lshl_add_u64 v[6:7], v[6:7], 0, v[8:9]
	global_load_dwordx4 v[6:9], v[6:7], off
.LBB300_36:
	s_or_b64 exec, exec, s[2:3]
	v_mov_b32_e32 v17, 0
	v_mov_b32_e32 v10, 0
	;; [unrolled: 1-line block ×5, first 2 shown]
	s_and_saveexec_b64 s[2:3], vcc
	s_cbranch_execz .LBB300_38
; %bb.37:
	v_mad_i64_i32 v[10:11], s[16:17], s15, v20, 0
	v_lshl_add_u64 v[10:11], v[10:11], 1, s[4:5]
	v_lshlrev_b32_e32 v12, 1, v18
	v_mov_b32_e32 v13, 0
	v_lshl_add_u64 v[10:11], v[10:11], 0, v[12:13]
	global_load_dwordx4 v[10:13], v[10:11], off offset:128
.LBB300_38:
	s_or_b64 exec, exec, s[2:3]
	v_mov_b32_e32 v16, 0
	v_mov_b32_e32 v15, 0
	;; [unrolled: 1-line block ×3, first 2 shown]
	s_and_saveexec_b64 s[2:3], s[0:1]
	s_cbranch_execz .LBB300_40
; %bb.39:
	v_mad_i64_i32 v[14:15], s[0:1], s15, v21, 0
	v_lshl_add_u64 v[14:15], v[14:15], 1, s[4:5]
	v_lshlrev_b32_e32 v16, 1, v18
	v_mov_b32_e32 v17, 0
	v_lshl_add_u64 v[14:15], v[14:15], 0, v[16:17]
	global_load_dwordx4 v[14:17], v[14:15], off offset:128
.LBB300_40:
	s_or_b64 exec, exec, s[2:3]
	s_branch .LBB300_44
.LBB300_41:
                                        ; implicit-def: $vgpr5
                                        ; implicit-def: $vgpr9
                                        ; implicit-def: $vgpr13
                                        ; implicit-def: $vgpr17
	v_lshrrev_b32_e32 v29, 2, v58
	s_branch .LBB300_45
.LBB300_42:
                                        ; implicit-def: $vgpr5
                                        ; implicit-def: $vgpr9
                                        ; implicit-def: $vgpr13
                                        ; implicit-def: $vgpr17
	s_cbranch_execz .LBB300_44
; %bb.43:
	s_waitcnt vmcnt(0)
	v_mad_u64_u32 v[2:3], s[0:1], v20, s15, v[18:19]
	v_lshlrev_b32_e32 v20, 1, v2
	s_lshl_b32 s2, s15, 7
	s_and_b32 s1, s5, 0xffff
	s_mov_b32 s3, 0x20000
	s_mov_b32 s0, s4
	v_add_lshl_u32 v21, v2, s15, 1
	s_movk_i32 s13, 0x80
	buffer_load_dwordx4 v[2:5], v20, s[0:3], 0 offen
	buffer_load_dwordx4 v[10:13], v20, s[0:3], s13 offen
	;; [unrolled: 1-line block ×4, first 2 shown]
.LBB300_44:
	v_lshrrev_b32_e32 v29, 2, v58
	s_cbranch_execnz .LBB300_57
.LBB300_45:
	s_and_b64 vcc, exec, s[6:7]
	s_cbranch_vccz .LBB300_55
; %bb.46:
	s_waitcnt vmcnt(0)
	v_lshlrev_b32_e32 v7, 1, v22
	v_cmp_gt_i32_e32 vcc, s27, v7
	v_mov_b32_e32 v6, 0
	v_lshlrev_b32_e32 v14, 9, v22
	v_mov_b32_e32 v2, 0
	v_mov_b32_e32 v3, 0
	;; [unrolled: 1-line block ×4, first 2 shown]
	s_and_saveexec_b64 s[0:1], vcc
	s_cbranch_execz .LBB300_48
; %bb.47:
	v_mov_b32_e32 v15, 0
	v_lshl_add_u64 v[2:3], s[4:5], 0, v[14:15]
	v_lshlrev_b32_e32 v4, 1, v18
	v_mov_b32_e32 v5, v15
	v_lshl_add_u64 v[2:3], v[2:3], 0, v[4:5]
	global_load_dwordx4 v[2:5], v[2:3], off
.LBB300_48:
	s_or_b64 exec, exec, s[0:1]
	v_or_b32_e32 v7, 1, v7
	v_cmp_gt_i32_e64 s[0:1], s27, v7
	v_lshlrev_b32_e32 v20, 8, v7
	v_mov_b32_e32 v7, 0
	v_mov_b32_e32 v8, 0
	v_mov_b32_e32 v9, 0
	s_and_saveexec_b64 s[2:3], s[0:1]
	s_cbranch_execz .LBB300_50
; %bb.49:
	v_mov_b32_e32 v21, 0
	v_lshl_add_u64 v[6:7], s[4:5], 0, v[20:21]
	v_lshlrev_b32_e32 v8, 1, v18
	v_mov_b32_e32 v9, v21
	v_lshl_add_u64 v[6:7], v[6:7], 0, v[8:9]
	global_load_dwordx4 v[6:9], v[6:7], off
.LBB300_50:
	s_or_b64 exec, exec, s[2:3]
	v_mov_b32_e32 v17, 0
	v_mov_b32_e32 v10, 0
	;; [unrolled: 1-line block ×5, first 2 shown]
	s_and_saveexec_b64 s[2:3], vcc
	s_cbranch_execz .LBB300_52
; %bb.51:
	v_mov_b32_e32 v15, 0
	v_lshl_add_u64 v[10:11], s[4:5], 0, v[14:15]
	v_lshlrev_b32_e32 v14, 1, v18
	v_lshl_add_u64 v[10:11], v[10:11], 0, v[14:15]
	global_load_dwordx4 v[10:13], v[10:11], off offset:128
.LBB300_52:
	s_or_b64 exec, exec, s[2:3]
	v_mov_b32_e32 v16, 0
	v_mov_b32_e32 v15, 0
	v_mov_b32_e32 v14, 0
	s_and_saveexec_b64 s[2:3], s[0:1]
	s_cbranch_execz .LBB300_54
; %bb.53:
	v_mov_b32_e32 v21, 0
	v_lshl_add_u64 v[14:15], s[4:5], 0, v[20:21]
	v_lshlrev_b32_e32 v20, 1, v18
	v_lshl_add_u64 v[14:15], v[14:15], 0, v[20:21]
	global_load_dwordx4 v[14:17], v[14:15], off offset:128
.LBB300_54:
	s_or_b64 exec, exec, s[2:3]
	s_branch .LBB300_57
.LBB300_55:
                                        ; implicit-def: $vgpr5
                                        ; implicit-def: $vgpr9
                                        ; implicit-def: $vgpr13
                                        ; implicit-def: $vgpr17
	s_cbranch_execz .LBB300_57
; %bb.56:
	s_waitcnt vmcnt(0)
	v_lshlrev_b32_e32 v2, 1, v18
	v_lshl_or_b32 v18, v22, 9, v2
	s_and_b32 s5, s5, 0xffff
	s_mov_b32 s7, 0x20000
	s_movk_i32 s6, 0x4000
	s_movk_i32 s0, 0x80
	buffer_load_dwordx4 v[2:5], v18, s[4:7], 0 offen
	buffer_load_dwordx4 v[6:9], v18, s[4:7], 0 offen offset:256
	buffer_load_dwordx4 v[10:13], v18, s[4:7], s0 offen
	buffer_load_dwordx4 v[14:17], v18, s[4:7], s0 offen offset:256
.LBB300_57:
	ds_read_b64 v[20:21], v24 offset:32768
	v_add_u32_e32 v18, 0xb000, v23
	ds_read2_b64 v[30:33], v18 offset1:16
	ds_read_b64 v[36:37], v25 offset:32768
	ds_read_b64 v[38:39], v26 offset:32768
	;; [unrolled: 1-line block ×3, first 2 shown]
	v_and_b32_e32 v18, 6, v0
	v_xor_b32_e32 v22, v22, v18
	v_lshlrev_b32_e32 v22, 2, v22
	v_and_b32_e32 v0, 1, v0
	v_cmp_eq_u32_e32 vcc, 0, v0
	s_mov_b32 s0, 0x1000504
	s_waitcnt lgkmcnt(3)
	v_mfma_f32_16x16x16_bf16 a[0:3], v[20:21], v[30:31], a[0:3]
	s_mov_b32 s1, 0x3020706
	v_mfma_f32_16x16x16_bf16 a[4:7], v[20:21], v[32:33], a[4:7]
	ds_read2st64_b64 v[24:27], v23 offset0:90 offset1:92
	ds_read2st64_b64 v[30:33], v28 offset0:90 offset1:92
	s_waitcnt lgkmcnt(1)
	v_mfma_f32_16x16x16_bf16 a[0:3], v[36:37], v[24:25], a[0:3]
	ds_read_b64 v[20:21], v23 offset:48128
	ds_read_b64 v[24:25], v28 offset:48128
	v_xor_b32_e32 v23, 0x440, v22
	v_cndmask_b32_e32 v0, v23, v22, vcc
	s_waitcnt lgkmcnt(2)
	v_mfma_f32_16x16x16_bf16 a[4:7], v[36:37], v[30:31], a[4:7]
	v_lshl_or_b32 v0, v18, 10, v0
	s_waitcnt vmcnt(0)
	v_perm_b32 v18, v2, v6, s0
	v_perm_b32 v2, v2, v6, s1
	v_mfma_f32_16x16x16_bf16 a[0:3], v[38:39], v[26:27], a[0:3]
	v_perm_b32 v6, v10, v14, s1
	v_mfma_f32_16x16x16_bf16 a[8:11], v[38:39], v[32:33], a[4:7]
	s_waitcnt lgkmcnt(1)
	v_mfma_f32_16x16x16_bf16 a[4:7], v[40:41], v[20:21], a[0:3]
	v_perm_b32 v20, v10, v14, s0
	ds_write2st64_b32 v0, v18, v20 offset0:32 offset1:64
	v_xor_b32_e32 v18, 8, v0
	v_add_u32_e32 v10, 0x80, v18
	ds_write2st64_b32 v10, v2, v6 offset0:32 offset1:64
	v_xor_b32_e32 v2, 16, v0
	v_perm_b32 v6, v3, v7, s0
	v_perm_b32 v10, v11, v15, s0
	ds_write2st64_b32 v2, v6, v10 offset0:33 offset1:65
	v_xor_b32_e32 v2, 24, v0
	v_perm_b32 v3, v3, v7, s1
	v_perm_b32 v6, v11, v15, s1
	v_add_u32_e32 v2, 0x80, v2
	ds_write2st64_b32 v2, v3, v6 offset0:33 offset1:65
	v_xor_b32_e32 v2, 32, v0
	v_perm_b32 v3, v4, v8, s0
	v_perm_b32 v6, v12, v16, s0
	s_waitcnt lgkmcnt(4)
	v_mfma_f32_16x16x16_bf16 a[0:3], v[40:41], v[24:25], a[8:11]
	ds_write2st64_b32 v2, v3, v6 offset0:34 offset1:66
	v_xor_b32_e32 v2, 40, v0
	v_perm_b32 v3, v4, v8, s1
	v_perm_b32 v4, v12, v16, s1
	v_add_u32_e32 v2, 0x80, v2
	ds_write2st64_b32 v2, v3, v4 offset0:34 offset1:66
	v_xor_b32_e32 v2, 48, v0
	v_perm_b32 v3, v5, v9, s0
	v_perm_b32 v4, v13, v17, s0
	v_xor_b32_e32 v0, 56, v0
	v_and_or_b32 v18, v29, 12, v1
	ds_write2st64_b32 v2, v3, v4 offset0:35 offset1:67
	v_perm_b32 v2, v5, v9, s1
	v_perm_b32 v3, v13, v17, s1
	v_add_u32_e32 v0, 0x80, v0
	v_cmp_gt_i32_e32 vcc, s27, v18
	v_mov_b32_e32 v14, 0
	v_mov_b32_e32 v16, 0
	ds_write2st64_b32 v0, v2, v3 offset0:35 offset1:67
	s_and_saveexec_b64 s[0:1], vcc
	s_cbranch_execz .LBB300_59
; %bb.58:
	v_add_u32_e32 v0, s26, v18
	v_ashrrev_i32_e32 v1, 31, v0
	v_mul_lo_u32 v2, v1, s28
	v_mul_lo_u32 v3, v0, s29
	v_mad_u64_u32 v[0:1], s[2:3], v0, s28, 0
	v_add3_u32 v1, v1, v3, v2
	v_lshl_add_u64 v[0:1], v[0:1], 2, s[10:11]
	global_load_dword v0, v[0:1], off
	s_waitcnt vmcnt(0)
	v_sub_f32_e32 v0, s12, v0
	v_exp_f32_e32 v16, v0
.LBB300_59:
	s_or_b64 exec, exec, s[0:1]
	v_or_b32_e32 v8, 1, v18
	v_cmp_gt_i32_e64 s[0:1], s27, v8
	s_and_saveexec_b64 s[2:3], s[0:1]
	s_cbranch_execz .LBB300_61
; %bb.60:
	v_add_u32_e32 v0, s26, v8
	v_ashrrev_i32_e32 v1, 31, v0
	v_mul_lo_u32 v2, v1, s28
	v_mul_lo_u32 v3, v0, s29
	v_mad_u64_u32 v[0:1], s[4:5], v0, s28, 0
	v_add3_u32 v1, v1, v3, v2
	v_lshl_add_u64 v[0:1], v[0:1], 2, s[10:11]
	global_load_dword v0, v[0:1], off
	s_waitcnt vmcnt(0)
	v_sub_f32_e32 v0, s12, v0
	v_exp_f32_e32 v14, v0
.LBB300_61:
	s_or_b64 exec, exec, s[2:3]
	v_or_b32_e32 v10, 2, v18
	v_cmp_gt_i32_e64 s[2:3], s27, v10
	v_mov_b32_e32 v15, 0
	v_mov_b32_e32 v17, 0
	s_and_saveexec_b64 s[4:5], s[2:3]
	s_cbranch_execz .LBB300_63
; %bb.62:
	v_add_u32_e32 v0, s26, v10
	v_ashrrev_i32_e32 v1, 31, v0
	v_mul_lo_u32 v2, v1, s28
	v_mul_lo_u32 v3, v0, s29
	v_mad_u64_u32 v[0:1], s[6:7], v0, s28, 0
	v_add3_u32 v1, v1, v3, v2
	v_lshl_add_u64 v[0:1], v[0:1], 2, s[10:11]
	global_load_dword v0, v[0:1], off
	s_waitcnt vmcnt(0)
	v_sub_f32_e32 v0, s12, v0
	v_exp_f32_e32 v17, v0
.LBB300_63:
	s_or_b64 exec, exec, s[4:5]
	v_or_b32_e32 v12, 3, v18
	v_cmp_gt_i32_e64 s[4:5], s27, v12
	s_and_saveexec_b64 s[6:7], s[4:5]
	s_cbranch_execz .LBB300_65
; %bb.64:
	v_add_u32_e32 v0, s26, v12
	v_ashrrev_i32_e32 v1, 31, v0
	v_mul_lo_u32 v2, v1, s28
	v_mul_lo_u32 v3, v0, s29
	v_mad_u64_u32 v[0:1], s[14:15], v0, s28, 0
	v_add3_u32 v1, v1, v3, v2
	v_lshl_add_u64 v[0:1], v[0:1], 2, s[10:11]
	global_load_dword v0, v[0:1], off
	s_waitcnt vmcnt(0)
	v_sub_f32_e32 v0, s12, v0
	v_exp_f32_e32 v15, v0
.LBB300_65:
	s_or_b64 exec, exec, s[6:7]
	s_add_u32 s6, s8, s20
	v_accvgpr_read_b32 v0, a4
	s_addc_u32 s7, s9, s21
	v_ashrrev_i32_e32 v51, 31, v50
	v_accvgpr_read_b32 v1, a5
	v_accvgpr_read_b32 v2, a6
	;; [unrolled: 1-line block ×3, first 2 shown]
	v_lshl_add_u64 v[4:5], v[50:51], 1, s[6:7]
	v_mov_b32_e32 v9, 0
	v_lshlrev_b32_e32 v6, 8, v18
	v_mov_b32_e32 v7, 0
	s_and_saveexec_b64 s[6:7], vcc
	s_cbranch_execz .LBB300_67
; %bb.66:
	v_mov_b32_e32 v7, 0
	v_lshl_add_u64 v[20:21], v[4:5], 0, v[6:7]
	global_load_ushort v7, v[20:21], off
	s_waitcnt vmcnt(0)
	v_lshlrev_b32_e32 v7, 16, v7
	v_sub_f32_e32 v0, v7, v0
	v_mul_f32_e32 v0, v16, v0
	v_lshrrev_b32_e32 v7, 16, v0
.LBB300_67:
	s_or_b64 exec, exec, s[6:7]
	v_lshlrev_b32_e32 v8, 8, v8
	s_and_saveexec_b64 s[6:7], s[0:1]
	s_cbranch_execz .LBB300_69
; %bb.68:
	v_mov_b32_e32 v9, 0
	v_lshl_add_u64 v[20:21], v[4:5], 0, v[8:9]
	global_load_ushort v0, v[20:21], off
	s_waitcnt vmcnt(0)
	v_lshlrev_b32_e32 v0, 16, v0
	v_sub_f32_e32 v0, v0, v1
	v_mul_f32_e32 v0, v14, v0
	v_lshrrev_b32_e32 v9, 16, v0
.LBB300_69:
	s_or_b64 exec, exec, s[6:7]
	v_mov_b32_e32 v13, 0
	v_lshlrev_b32_e32 v10, 8, v10
	v_mov_b32_e32 v11, 0
	s_and_saveexec_b64 s[6:7], s[2:3]
	s_cbranch_execz .LBB300_71
; %bb.70:
	v_mov_b32_e32 v11, 0
	v_lshl_add_u64 v[0:1], v[4:5], 0, v[10:11]
	global_load_ushort v0, v[0:1], off
	s_waitcnt vmcnt(0)
	v_lshlrev_b32_e32 v0, 16, v0
	v_sub_f32_e32 v0, v0, v2
	v_mul_f32_e32 v0, v17, v0
	v_lshrrev_b32_e32 v11, 16, v0
.LBB300_71:
	s_or_b64 exec, exec, s[6:7]
	v_lshlrev_b32_e32 v12, 8, v12
	s_and_saveexec_b64 s[6:7], s[4:5]
	s_cbranch_execz .LBB300_73
; %bb.72:
	v_mov_b32_e32 v13, 0
	v_lshl_add_u64 v[0:1], v[4:5], 0, v[12:13]
	global_load_ushort v0, v[0:1], off
	s_waitcnt vmcnt(0)
	v_lshlrev_b32_e32 v0, 16, v0
	v_sub_f32_e32 v0, v0, v3
	v_mul_f32_e32 v0, v15, v0
	v_lshrrev_b32_e32 v13, 16, v0
.LBB300_73:
	s_or_b64 exec, exec, s[6:7]
	v_lshlrev_b32_e32 v18, 5, v18
	s_mov_b32 s6, 0x5040100
	v_perm_b32 v20, v9, v7, s6
	v_or_b32_e32 v7, v18, v34
	v_accvgpr_read_b32 v0, a0
	v_perm_b32 v21, v13, v11, s6
	v_lshlrev_b32_e32 v7, 1, v7
	v_accvgpr_read_b32 v1, a1
	v_accvgpr_read_b32 v2, a2
	;; [unrolled: 1-line block ×3, first 2 shown]
	ds_write_b64 v7, v[20:21] offset:45056
	v_mov_b32_e32 v9, 0
	v_mov_b32_e32 v7, 0
	s_and_saveexec_b64 s[6:7], vcc
	s_cbranch_execz .LBB300_75
; %bb.74:
	v_mov_b32_e32 v7, 0
	v_lshl_add_u64 v[6:7], v[4:5], 0, v[6:7]
	global_load_ushort v6, v[6:7], off offset:32
	s_waitcnt vmcnt(0)
	v_lshlrev_b32_e32 v6, 16, v6
	v_sub_f32_e32 v0, v6, v0
	v_mul_f32_e32 v0, v16, v0
	v_lshrrev_b32_e32 v7, 16, v0
.LBB300_75:
	s_or_b64 exec, exec, s[6:7]
	s_and_saveexec_b64 s[6:7], s[0:1]
	s_cbranch_execz .LBB300_77
; %bb.76:
	v_mov_b32_e32 v9, 0
	v_lshl_add_u64 v[8:9], v[4:5], 0, v[8:9]
	global_load_ushort v0, v[8:9], off offset:32
	s_waitcnt vmcnt(0)
	v_lshlrev_b32_e32 v0, 16, v0
	v_sub_f32_e32 v0, v0, v1
	v_mul_f32_e32 v0, v14, v0
	v_lshrrev_b32_e32 v9, 16, v0
.LBB300_77:
	s_or_b64 exec, exec, s[6:7]
	v_mov_b32_e32 v0, 0
	v_mov_b32_e32 v1, 0
	s_and_saveexec_b64 s[0:1], s[2:3]
	s_cbranch_execz .LBB300_79
; %bb.78:
	v_mov_b32_e32 v11, 0
	v_lshl_add_u64 v[10:11], v[4:5], 0, v[10:11]
	global_load_ushort v1, v[10:11], off offset:32
	s_waitcnt vmcnt(0)
	v_lshlrev_b32_e32 v1, 16, v1
	v_sub_f32_e32 v1, v1, v2
	v_mul_f32_e32 v1, v17, v1
	v_lshrrev_b32_e32 v1, 16, v1
.LBB300_79:
	s_or_b64 exec, exec, s[0:1]
	s_and_saveexec_b64 s[0:1], s[4:5]
	s_cbranch_execz .LBB300_81
; %bb.80:
	v_mov_b32_e32 v13, 0
	v_lshl_add_u64 v[4:5], v[4:5], 0, v[12:13]
	global_load_ushort v0, v[4:5], off offset:32
	s_waitcnt vmcnt(0)
	v_lshlrev_b32_e32 v0, 16, v0
	v_sub_f32_e32 v0, v0, v3
	v_mul_f32_e32 v0, v15, v0
	v_lshrrev_b32_e32 v0, 16, v0
.LBB300_81:
	s_or_b64 exec, exec, s[0:1]
	s_mov_b32 s0, 0x5040100
	v_or_b32_e32 v2, v18, v19
	v_perm_b32 v1, v0, v1, s0
	v_perm_b32 v0, v9, v7, s0
	v_lshlrev_b32_e32 v2, 1, v2
	ds_write_b64 v2, v[0:1] offset:45056
	s_waitcnt lgkmcnt(0)
	s_barrier
.LBB300_82:
	s_endpgm
	.section	.rodata,"a",@progbits
	.p2align	6, 0x0
	.amdhsa_kernel _ZN12_GLOBAL__N_139chunk_gated_delta_rule_fwd_h_hip_kernelILi32ELb1ELb0ELb0ELb0ELb1ELb0ELb1ELb1EEEvPK12hip_bfloat16S3_S3_PKfS5_PKvPS1_S8_PvPKiSB_iiiiilll
		.amdhsa_group_segment_fixed_size 49152
		.amdhsa_private_segment_fixed_size 0
		.amdhsa_kernarg_size 136
		.amdhsa_user_sgpr_count 2
		.amdhsa_user_sgpr_dispatch_ptr 0
		.amdhsa_user_sgpr_queue_ptr 0
		.amdhsa_user_sgpr_kernarg_segment_ptr 1
		.amdhsa_user_sgpr_dispatch_id 0
		.amdhsa_user_sgpr_kernarg_preload_length 0
		.amdhsa_user_sgpr_kernarg_preload_offset 0
		.amdhsa_user_sgpr_private_segment_size 0
		.amdhsa_uses_dynamic_stack 0
		.amdhsa_enable_private_segment 0
		.amdhsa_system_sgpr_workgroup_id_x 1
		.amdhsa_system_sgpr_workgroup_id_y 1
		.amdhsa_system_sgpr_workgroup_id_z 0
		.amdhsa_system_sgpr_workgroup_info 0
		.amdhsa_system_vgpr_workitem_id 0
		.amdhsa_next_free_vgpr 148
		.amdhsa_next_free_sgpr 65
		.amdhsa_accum_offset 132
		.amdhsa_reserve_vcc 1
		.amdhsa_float_round_mode_32 0
		.amdhsa_float_round_mode_16_64 0
		.amdhsa_float_denorm_mode_32 3
		.amdhsa_float_denorm_mode_16_64 3
		.amdhsa_dx10_clamp 1
		.amdhsa_ieee_mode 1
		.amdhsa_fp16_overflow 0
		.amdhsa_tg_split 0
		.amdhsa_exception_fp_ieee_invalid_op 0
		.amdhsa_exception_fp_denorm_src 0
		.amdhsa_exception_fp_ieee_div_zero 0
		.amdhsa_exception_fp_ieee_overflow 0
		.amdhsa_exception_fp_ieee_underflow 0
		.amdhsa_exception_fp_ieee_inexact 0
		.amdhsa_exception_int_div_zero 0
	.end_amdhsa_kernel
	.section	.text._ZN12_GLOBAL__N_139chunk_gated_delta_rule_fwd_h_hip_kernelILi32ELb1ELb0ELb0ELb0ELb1ELb0ELb1ELb1EEEvPK12hip_bfloat16S3_S3_PKfS5_PKvPS1_S8_PvPKiSB_iiiiilll,"axG",@progbits,_ZN12_GLOBAL__N_139chunk_gated_delta_rule_fwd_h_hip_kernelILi32ELb1ELb0ELb0ELb0ELb1ELb0ELb1ELb1EEEvPK12hip_bfloat16S3_S3_PKfS5_PKvPS1_S8_PvPKiSB_iiiiilll,comdat
.Lfunc_end300:
	.size	_ZN12_GLOBAL__N_139chunk_gated_delta_rule_fwd_h_hip_kernelILi32ELb1ELb0ELb0ELb0ELb1ELb0ELb1ELb1EEEvPK12hip_bfloat16S3_S3_PKfS5_PKvPS1_S8_PvPKiSB_iiiiilll, .Lfunc_end300-_ZN12_GLOBAL__N_139chunk_gated_delta_rule_fwd_h_hip_kernelILi32ELb1ELb0ELb0ELb0ELb1ELb0ELb1ELb1EEEvPK12hip_bfloat16S3_S3_PKfS5_PKvPS1_S8_PvPKiSB_iiiiilll
                                        ; -- End function
	.section	.AMDGPU.csdata,"",@progbits
; Kernel info:
; codeLenInByte = 8508
; NumSgprs: 71
; NumVgprs: 130
; NumAgprs: 16
; TotalNumVgprs: 148
; ScratchSize: 0
; MemoryBound: 0
; FloatMode: 240
; IeeeMode: 1
; LDSByteSize: 49152 bytes/workgroup (compile time only)
; SGPRBlocks: 8
; VGPRBlocks: 18
; NumSGPRsForWavesPerEU: 71
; NumVGPRsForWavesPerEU: 148
; AccumOffset: 132
; Occupancy: 1
; WaveLimiterHint : 1
; COMPUTE_PGM_RSRC2:SCRATCH_EN: 0
; COMPUTE_PGM_RSRC2:USER_SGPR: 2
; COMPUTE_PGM_RSRC2:TRAP_HANDLER: 0
; COMPUTE_PGM_RSRC2:TGID_X_EN: 1
; COMPUTE_PGM_RSRC2:TGID_Y_EN: 1
; COMPUTE_PGM_RSRC2:TGID_Z_EN: 0
; COMPUTE_PGM_RSRC2:TIDIG_COMP_CNT: 0
; COMPUTE_PGM_RSRC3_GFX90A:ACCUM_OFFSET: 32
; COMPUTE_PGM_RSRC3_GFX90A:TG_SPLIT: 0
	.section	.text._ZN12_GLOBAL__N_139chunk_gated_delta_rule_fwd_h_hip_kernelILi32ELb0ELb1ELb1ELb0ELb1ELb0ELb1ELb1EEEvPK12hip_bfloat16S3_S3_PKfS5_PKvPS1_S8_PvPKiSB_iiiiilll,"axG",@progbits,_ZN12_GLOBAL__N_139chunk_gated_delta_rule_fwd_h_hip_kernelILi32ELb0ELb1ELb1ELb0ELb1ELb0ELb1ELb1EEEvPK12hip_bfloat16S3_S3_PKfS5_PKvPS1_S8_PvPKiSB_iiiiilll,comdat
	.globl	_ZN12_GLOBAL__N_139chunk_gated_delta_rule_fwd_h_hip_kernelILi32ELb0ELb1ELb1ELb0ELb1ELb0ELb1ELb1EEEvPK12hip_bfloat16S3_S3_PKfS5_PKvPS1_S8_PvPKiSB_iiiiilll ; -- Begin function _ZN12_GLOBAL__N_139chunk_gated_delta_rule_fwd_h_hip_kernelILi32ELb0ELb1ELb1ELb0ELb1ELb0ELb1ELb1EEEvPK12hip_bfloat16S3_S3_PKfS5_PKvPS1_S8_PvPKiSB_iiiiilll
	.p2align	8
	.type	_ZN12_GLOBAL__N_139chunk_gated_delta_rule_fwd_h_hip_kernelILi32ELb0ELb1ELb1ELb0ELb1ELb0ELb1ELb1EEEvPK12hip_bfloat16S3_S3_PKfS5_PKvPS1_S8_PvPKiSB_iiiiilll,@function
_ZN12_GLOBAL__N_139chunk_gated_delta_rule_fwd_h_hip_kernelILi32ELb0ELb1ELb1ELb0ELb1ELb0ELb1ELb1EEEvPK12hip_bfloat16S3_S3_PKfS5_PKvPS1_S8_PvPKiSB_iiiiilll: ; @_ZN12_GLOBAL__N_139chunk_gated_delta_rule_fwd_h_hip_kernelILi32ELb0ELb1ELb1ELb0ELb1ELb0ELb1ELb1EEEvPK12hip_bfloat16S3_S3_PKfS5_PKvPS1_S8_PvPKiSB_iiiiilll
; %bb.0:
	s_load_dwordx4 s[28:31], s[0:1], 0x5c
	s_load_dwordx4 s[36:39], s[0:1], 0x70
	s_abs_i32 s6, s3
	s_ashr_i32 s5, s3, 31
	s_load_dwordx8 s[16:23], s[0:1], 0x0
	s_waitcnt lgkmcnt(0)
	s_abs_i32 s4, s29
	v_cvt_f32_u32_e32 v1, s4
	s_sub_i32 s8, 0, s4
	s_ashr_i32 s7, s29, 31
	s_xor_b32 s5, s5, s7
	v_rcp_iflag_f32_e32 v1, v1
	s_load_dwordx2 s[34:35], s[0:1], 0x40
	s_load_dwordx4 s[24:27], s[0:1], 0x30
	s_load_dwordx2 s[40:41], s[0:1], 0x80
	s_mov_b32 s0, 0
	v_mul_f32_e32 v1, 0x4f7ffffe, v1
	v_cvt_u32_f32_e32 v1, v1
	v_lshrrev_b32_e32 v58, 6, v0
	v_bfe_u32 v61, v0, 4, 2
	v_lshlrev_b32_e32 v59, 4, v58
	v_readfirstlane_b32 s9, v1
	s_mul_i32 s8, s8, s9
	s_mul_hi_u32 s8, s9, s8
	s_add_i32 s9, s9, s8
	s_mul_hi_u32 s8, s6, s9
	s_mul_i32 s9, s8, s4
	s_sub_i32 s6, s6, s9
	s_add_i32 s10, s8, 1
	s_sub_i32 s9, s6, s4
	s_cmp_ge_u32 s6, s4
	s_cselect_b32 s8, s10, s8
	s_cselect_b32 s6, s9, s6
	s_add_i32 s9, s8, 1
	s_cmp_ge_u32 s6, s4
	s_cselect_b32 s6, s9, s8
	s_xor_b32 s6, s6, s5
	s_sub_i32 s51, s6, s5
	s_abs_i32 s6, s30
	v_cvt_f32_u32_e32 v1, s6
	s_mul_i32 s49, s51, s29
	s_sub_i32 s33, s3, s49
	s_add_i32 s3, s28, 63
	v_rcp_iflag_f32_e32 v1, v1
	s_ashr_i32 s5, s3, 31
	s_lshr_b32 s5, s5, 26
	s_ashr_i32 s50, s28, 31
	v_mul_f32_e32 v1, 0x4f7ffffe, v1
	v_cvt_u32_f32_e32 v1, v1
	s_add_i32 s3, s3, s5
	s_lshr_b32 s5, s50, 26
	s_add_i32 s5, s28, s5
	s_ashr_i32 s46, s30, 31
	s_ashr_i32 s52, s5, 6
	s_xor_b32 s5, s7, s46
	s_sub_i32 s7, 0, s6
	v_readfirstlane_b32 s8, v1
	s_mul_i32 s7, s7, s8
	s_mul_hi_u32 s7, s8, s7
	s_add_i32 s8, s8, s7
	s_mul_hi_u32 s7, s4, s8
	s_mul_i32 s8, s7, s6
	s_sub_i32 s4, s4, s8
	s_ashr_i32 s3, s3, 6
	s_add_i32 s8, s7, 1
	s_sub_i32 s9, s4, s6
	s_cmp_ge_u32 s4, s6
	s_cselect_b32 s7, s8, s7
	s_cselect_b32 s4, s9, s4
	s_add_i32 s8, s7, 1
	s_cmp_ge_u32 s4, s6
	s_cselect_b32 s4, s8, s7
	s_xor_b32 s4, s4, s5
	s_sub_i32 s4, s4, s5
	s_abs_i32 s5, s4
	v_cvt_f32_u32_e32 v1, s5
	s_sub_i32 s6, 0, s5
	s_xor_b32 s1, s33, s4
	s_abs_i32 s4, s33
	v_rcp_iflag_f32_e32 v1, v1
	s_ashr_i32 s1, s1, 31
	v_lshlrev_b32_e32 v18, 2, v61
	s_mov_b32 s14, s0
	v_mul_f32_e32 v1, 0x4f7ffffe, v1
	v_cvt_u32_f32_e32 v1, v1
	s_mov_b32 s15, s0
	v_and_b32_e32 v60, 63, v0
	s_mul_i32 s55, s51, s3
	v_readfirstlane_b32 s7, v1
	s_mul_i32 s6, s6, s7
	s_mul_hi_u32 s6, s7, s6
	s_add_i32 s7, s7, s6
	s_mul_hi_u32 s6, s4, s7
	s_mul_i32 s7, s6, s5
	s_sub_i32 s4, s4, s7
	s_add_i32 s7, s6, 1
	s_sub_i32 s8, s4, s5
	s_cmp_ge_u32 s4, s5
	s_cselect_b32 s6, s7, s6
	s_cselect_b32 s4, s8, s4
	s_add_i32 s7, s6, 1
	s_cmp_ge_u32 s4, s5
	s_cselect_b32 s4, s7, s6
	s_xor_b32 s4, s4, s1
	s_sub_i32 s56, s4, s1
	v_or_b32_e32 v1, v18, v59
	s_lshl_b32 s42, s2, 5
	s_mov_b32 s1, s0
	s_mov_b32 s2, s0
	;; [unrolled: 1-line block ×13, first 2 shown]
	v_mov_b64_e32 v[16:17], s[14:15]
	v_and_b32_e32 v62, 15, v0
	v_or_b32_e32 v65, 64, v1
	s_cmp_lt_i32 s28, 64
	v_mov_b64_e32 v[14:15], s[12:13]
	v_mov_b64_e32 v[12:13], s[10:11]
	;; [unrolled: 1-line block ×7, first 2 shown]
	s_mul_hi_i32 s57, s51, s29
	v_lshrrev_b32_e32 v64, 3, v60
	v_lshlrev_b32_e32 v63, 3, v0
	s_mul_i32 s37, s51, s37
	s_mul_hi_u32 s48, s51, s36
	s_mul_i32 s12, s51, s36
	s_cbranch_scc1 .LBB301_19
; %bb.1:
	s_ashr_i32 s8, s51, 31
	s_ashr_i32 s53, s33, 31
	s_add_u32 s0, s49, s33
	s_addc_u32 s1, s57, s53
	s_mul_i32 s1, s28, s1
	s_mul_hi_u32 s2, s28, s0
	s_add_i32 s3, s2, s1
	s_mul_i32 s2, s28, s0
	s_lshl_b64 s[0:1], s[2:3], 8
	v_and_b32_e32 v9, 56, v63
	s_add_u32 s4, s18, s0
	v_lshl_or_b32 v5, v58, 3, v64
	v_lshlrev_b32_e32 v2, 1, v9
	s_addc_u32 s0, s19, s1
	v_lshl_or_b32 v13, v5, 8, v2
	s_and_b32 s5, s0, 0xffff
	s_mov_b32 s7, 0x20000
	s_movk_i32 s6, 0x4000
	s_movk_i32 s0, 0x80
	v_or_b32_e32 v17, 0x2000, v13
	buffer_load_dwordx4 v[20:23], v13, s[4:7], 0 offen
	buffer_load_dwordx4 v[24:27], v13, s[4:7], s0 offen
	;; [unrolled: 1-line block ×4, first 2 shown]
	v_lshlrev_b32_e32 v3, 3, v5
	v_and_or_b32 v6, v0, 7, v3
	v_and_b32_e32 v3, 0x78, v3
	v_lshlrev_b32_e32 v6, 4, v6
	v_xor_b32_e32 v66, v6, v3
	v_mul_lo_u32 v4, v5, s31
	v_or_b32_e32 v67, 0x1000, v66
	v_xor_b32_e32 v3, 8, v66
	s_cmpk_eq_i32 s31, 0x80
	s_mov_b32 s47, s30
	v_xor_b32_e32 v6, 8, v67
	s_cselect_b64 s[0:1], -1, 0
	s_cmpk_lg_i32 s31, 0x80
	s_waitcnt vmcnt(3)
	ds_write_b64 v66, v[20:21] offset:24576
	ds_write_b64 v3, v[22:23] offset:24576
	s_waitcnt vmcnt(2)
	ds_write_b64 v66, v[24:25] offset:32768
	ds_write_b64 v3, v[26:27] offset:32768
	;; [unrolled: 3-line block ×4, first 2 shown]
	v_lshl_add_u32 v3, v4, 1, v9
	s_cbranch_scc0 .LBB301_3
; %bb.2:
	v_lshlrev_b32_e32 v6, 1, v3
	v_add_lshl_u32 v4, v3, s31, 1
	s_lshl_b32 s6, s31, 7
	v_lshl_or_b32 v2, v5, 9, v2
	s_cbranch_execz .LBB301_4
	s_branch .LBB301_5
.LBB301_3:
                                        ; implicit-def: $vgpr4
                                        ; implicit-def: $vgpr6
                                        ; implicit-def: $sgpr6
	v_lshl_or_b32 v2, v5, 9, v2
.LBB301_4:
	v_or_b32_e32 v4, 0x100, v2
	s_movk_i32 s6, 0x4000
	v_mov_b32_e32 v6, v2
.LBB301_5:
	s_mul_hi_u32 s4, s30, s28
	s_mul_i32 s5, s46, s28
	s_add_i32 s4, s4, s5
	s_mul_i32 s5, s30, s28
	s_mul_i32 s7, s5, s8
	s_mul_hi_u32 s9, s5, s51
	s_add_i32 s7, s9, s7
	s_mul_i32 s4, s4, s51
	s_add_i32 s7, s7, s4
	s_mul_i32 s5, s5, s51
	s_ashr_i32 s54, s56, 31
	s_add_u32 s4, s5, s56
	s_addc_u32 s5, s7, s54
	s_lshl_b64 s[4:5], s[4:5], 8
	s_add_u32 s4, s16, s4
	s_addc_u32 s5, s17, s5
	s_and_b32 s5, s5, 0xffff
	s_mov_b32 s7, 0x20000
	s_movk_i32 s58, 0x80
	buffer_load_dwordx4 v[20:23], v6, s[4:7], 0 offen
	buffer_load_dwordx4 v[24:27], v6, s[4:7], s58 offen
	;; [unrolled: 1-line block ×4, first 2 shown]
	v_and_b32_e32 v4, 6, v0
	v_lshlrev_b32_e32 v8, 6, v1
	v_or_b32_e32 v11, 16, v62
	v_xor_b32_e32 v12, v5, v4
	v_and_b32_e32 v6, 1, v0
	s_mul_i32 s4, s8, s28
	s_mul_hi_u32 s5, s51, s28
	v_lshl_or_b32 v16, v62, 3, v8
	v_lshl_or_b32 v8, v11, 3, v8
	v_lshlrev_b32_e32 v12, 2, v12
	v_lshlrev_b32_e32 v7, 2, v62
	v_or_b32_e32 v70, 0xa000, v8
	v_or_b32_e32 v71, 0xb000, v8
	v_xor_b32_e32 v8, 0x440, v12
	v_cmp_eq_u32_e32 vcc, 0, v6
	s_add_i32 s63, s5, s4
	s_add_i32 s4, s48, s37
	s_mul_i32 s8, s8, s36
	v_xor_b32_e32 v14, v1, v7
	v_xor_b32_e32 v15, v65, v7
	v_cndmask_b32_e32 v6, v8, v12, vcc
	s_add_i32 s13, s4, s8
	s_mul_i32 s4, s33, s39
	s_mul_hi_u32 s5, s33, s38
	s_mov_b32 s60, 0x1000504
	v_lshlrev_b32_e32 v10, 8, v62
	v_lshlrev_b32_e32 v14, 1, v14
	v_lshlrev_b32_e32 v15, 1, v15
	v_lshl_or_b32 v4, v4, 10, v6
	s_add_i32 s4, s5, s4
	s_mul_i32 s5, s53, s38
	s_mov_b32 s61, 0x3020706
	v_or_b32_e32 v68, 0xa000, v16
	v_or_b32_e32 v69, 0xb000, v16
	;; [unrolled: 1-line block ×4, first 2 shown]
	v_xor_b32_e32 v6, 8, v4
	v_xor_b32_e32 v10, 24, v4
	;; [unrolled: 1-line block ×4, first 2 shown]
	s_add_i32 s5, s4, s5
	s_lshl_b64 s[8:9], s[12:13], 2
	v_xor_b32_e32 v8, 16, v4
	v_xor_b32_e32 v12, 32, v4
	;; [unrolled: 1-line block ×3, first 2 shown]
	v_add_u32_e32 v6, 0x80, v6
	v_add_u32_e32 v10, 0x80, v10
	;; [unrolled: 1-line block ×4, first 2 shown]
	s_mul_i32 s4, s33, s38
	s_add_u32 s6, s22, s8
	s_addc_u32 s8, s23, s9
	s_lshl_b64 s[4:5], s[4:5], 2
	s_add_u32 s14, s6, s4
	s_movk_i32 s4, 0xf8
	s_addc_u32 s15, s8, s5
	s_ashr_i32 s43, s42, 31
	s_lshl_b32 s10, s31, 7
	s_movk_i32 s8, 0x100
	v_mov_b32_e32 v51, 0
	v_lshlrev_b32_e32 v50, 4, v62
	v_cmp_gt_u32_e32 vcc, s8, v0
	s_mov_b32 s59, 0
	s_mul_i32 s62, s51, s28
	s_movk_i32 s13, 0x1000
	s_movk_i32 s6, 0x4000
	v_add_u32_e32 v93, v59, v18
	s_mov_b32 s65, 0
	v_mov_b32_e32 v99, v51
	v_mov_b32_e32 v98, v51
	;; [unrolled: 1-line block ×4, first 2 shown]
	s_waitcnt vmcnt(1)
	v_perm_b32 v37, v20, v28, s60
	s_waitcnt vmcnt(0)
	v_perm_b32 v38, v24, v32, s60
	v_perm_b32 v20, v20, v28, s61
	;; [unrolled: 1-line block ×15, first 2 shown]
	ds_write2st64_b32 v4, v37, v38 offset0:32 offset1:64
	ds_write2st64_b32 v6, v20, v24 offset0:32 offset1:64
	;; [unrolled: 1-line block ×8, first 2 shown]
	v_lshlrev_b32_e32 v4, 8, v11
	v_or_b32_e32 v74, v4, v14
	v_or_b32_e32 v75, v4, v15
	;; [unrolled: 1-line block ×3, first 2 shown]
	v_lshlrev_b32_e32 v4, 3, v4
	v_lshrrev_b32_e32 v10, 5, v60
	v_and_or_b32 v10, v4, s4, v10
	v_lshlrev_b32_e32 v8, 11, v58
	v_lshlrev_b32_e32 v10, 4, v10
	v_and_b32_e32 v4, 0x78, v4
	v_and_b32_e32 v6, 0x1000, v8
	v_xor_b32_e32 v11, v10, v4
	v_lshrrev_b32_e32 v12, 1, v0
	v_or_b32_e32 v11, v11, v6
	v_and_b32_e32 v14, 8, v12
	v_xor_b32_e32 v76, v11, v14
	v_or_b32_e32 v11, 32, v10
	v_xor_b32_e32 v11, v11, v4
	v_or_b32_e32 v11, v11, v6
	;; [unrolled: 2-line block ×4, first 2 shown]
	s_lshl_b64 s[4:5], s[42:43], 8
	v_or_b32_e32 v11, v11, v6
	v_xor_b32_e32 v4, v10, v4
	s_waitcnt lgkmcnt(0)
	s_add_u32 s4, s24, s4
	v_lshlrev_b32_e32 v10, 1, v62
	v_xor_b32_e32 v80, v11, v14
	v_lshrrev_b32_e32 v19, 4, v0
	s_addc_u32 s5, s25, s5
	v_or_b32_e32 v11, 1, v10
	v_mov_b32_e32 v23, 0x4000
	v_mov_b32_e32 v24, 0x2000
	v_xor_b32_e32 v20, v19, v10
	v_xor_b32_e32 v21, v11, v19
	v_lshl_add_u64 v[10:11], s[4:5], 0, v[50:51]
	v_lshlrev_b32_e32 v50, 8, v19
	v_cndmask_b32_e32 v23, v23, v24, vcc
	v_lshlrev_b32_e32 v24, 3, v58
	v_and_b32_e32 v12, 24, v12
	v_lshl_or_b32 v84, v20, 3, v50
	v_and_b32_e32 v20, 8, v0
	v_xor_b32_e32 v25, v24, v12
	v_or_b32_e32 v26, 0x440, v25
	v_cmp_eq_u32_e32 vcc, 0, v20
	v_and_b32_e32 v19, 7, v0
	v_lshlrev_b32_e32 v15, 7, v61
	v_cndmask_b32_e32 v20, v26, v25, vcc
	v_lshl_or_b32 v85, v21, 3, v50
	v_lshlrev_b32_e32 v21, 3, v19
	v_lshlrev_b32_e32 v19, 7, v19
	;; [unrolled: 1-line block ×3, first 2 shown]
	v_or_b32_e32 v20, v20, v8
	v_or_b32_e32 v7, v15, v7
	v_xad_u32 v86, v20, v21, v19
	v_and_or_b32 v15, v22, 60, v15
	v_mov_b32_e32 v20, 0xb000
	v_lshl_or_b32 v87, v15, 1, v20
	v_or_b32_e32 v15, 32, v12
	v_xor_b32_e32 v15, v24, v15
	v_or_b32_e32 v20, 0x440, v15
	v_cndmask_b32_e32 v15, v20, v15, vcc
	v_or_b32_e32 v15, v15, v8
	v_xad_u32 v88, v15, v21, v19
	v_or_b32_e32 v15, 64, v12
	v_xor_b32_e32 v15, v24, v15
	v_xor_b32_e32 v20, 0x440, v15
	v_cndmask_b32_e32 v15, v20, v15, vcc
	v_or_b32_e32 v12, 0x60, v12
	v_or_b32_e32 v15, v15, v8
	v_xor_b32_e32 v12, v24, v12
	v_xad_u32 v89, v15, v21, v19
	v_xor_b32_e32 v15, 0x440, v12
	v_lshlrev_b32_e32 v7, 1, v7
	v_or_b32_e32 v4, v4, v6
	v_or_b32_e32 v6, s42, v62
	v_cndmask_b32_e32 v12, v15, v12, vcc
	v_or_b32_e32 v77, 0xa000, v7
	v_or_b32_e32 v79, 0xa080, v7
	v_xor_b32_e32 v81, v4, v14
	v_or_b32_e32 v82, 0xb000, v7
	v_or_b32_e32 v83, 0xb080, v7
	v_ashrrev_i32_e32 v7, 31, v6
	v_lshlrev_b32_e32 v14, 1, v3
	v_add_lshl_u32 v3, v3, s31, 1
	v_or_b32_e32 v16, 0x100, v2
	v_or_b32_e32 v8, v12, v8
	v_lshlrev_b32_e32 v4, 7, v1
	v_xad_u32 v90, v8, v21, v19
	v_cndmask_b32_e64 v91, v14, v2, s[0:1]
	v_cndmask_b32_e64 v92, v3, v16, s[0:1]
	v_lshlrev_b64 v[2:3], 1, v[6:7]
	v_lshl_add_u64 v[52:53], s[20:21], 0, v[2:3]
	v_lshl_add_u64 v[54:55], s[26:27], 0, v[2:3]
	;; [unrolled: 1-line block ×3, first 2 shown]
	s_mov_b32 s43, 0x7060302
	v_lshlrev_b32_e32 v50, 1, v4
	v_add_u32_e32 v94, v23, v86
	v_add_u32_e32 v95, v23, v88
	;; [unrolled: 1-line block ×4, first 2 shown]
	v_mov_b32_e32 v2, v51
	v_mov_b32_e32 v3, v51
	;; [unrolled: 1-line block ×12, first 2 shown]
	s_barrier
.LBB301_6:                              ; =>This Inner Loop Header: Depth=1
	s_add_i32 s64, s65, 1
	s_cmp_lt_i32 s64, s52
	s_mov_b64 s[8:9], 0
	s_cselect_b64 s[44:45], -1, 0
	s_cmp_ge_i32 s64, s52
	s_mov_b64 s[4:5], 0
	s_cbranch_scc1 .LBB301_8
; %bb.7:                                ;   in Loop: Header=BB301_6 Depth=1
	s_add_i32 s0, s59, 64
	s_add_u32 s0, s2, s0
	s_addc_u32 s1, s3, 0
	s_lshl_b64 s[0:1], s[0:1], 8
	s_add_u32 s4, s18, s0
	s_addc_u32 s5, s19, s1
.LBB301_8:                              ;   in Loop: Header=BB301_6 Depth=1
	v_cndmask_b32_e64 v18, 0, 1, s[44:45]
	v_cmp_ne_u32_e64 s[0:1], 1, v18
	s_andn2_b64 vcc, exec, s[44:45]
	s_cbranch_vccnz .LBB301_10
; %bb.9:                                ;   in Loop: Header=BB301_6 Depth=1
	s_add_i32 s8, s59, 64
	s_add_u32 s8, s62, s8
	s_addc_u32 s9, s63, 0
	s_mul_i32 s11, s8, s46
	s_mul_hi_u32 s44, s8, s47
	s_add_i32 s11, s44, s11
	s_mul_i32 s9, s9, s47
	s_add_i32 s11, s11, s9
	s_mul_i32 s8, s8, s47
	s_add_u32 s8, s8, s56
	s_addc_u32 s9, s11, s54
	s_lshl_b64 s[8:9], s[8:9], 8
	s_add_u32 s8, s16, s8
	s_addc_u32 s9, s17, s9
.LBB301_10:                             ;   in Loop: Header=BB301_6 Depth=1
	v_perm_b32 v19, v99, v4, s43
	v_perm_b32 v18, v3, v2, s43
	;; [unrolled: 1-line block ×4, first 2 shown]
	ds_write_b64 v68, v[18:19]
	ds_write_b64 v69, v[20:21]
	;; [unrolled: 1-line block ×4, first 2 shown]
	v_perm_b32 v19, v101, v12, s43
	v_perm_b32 v18, v11, v10, s43
	;; [unrolled: 1-line block ×4, first 2 shown]
	ds_write_b64 v70, v[18:19]
	ds_write_b64 v71, v[20:21]
	ds_write_b64 v74, v[18:19]
	ds_write_b64 v75, v[20:21]
	s_waitcnt lgkmcnt(0)
	s_barrier
	ds_read_b64 v[22:23], v76 offset:24576
	ds_read2_b64 v[18:21], v77 offset1:16
	ds_read_b64 v[26:27], v79 offset:3072
	ds_read_b64 v[28:29], v77 offset:3072
	;; [unrolled: 1-line block ×3, first 2 shown]
	s_waitcnt lgkmcnt(3)
	v_mfma_f32_16x16x16_bf16 a[0:3], v[22:23], v[18:19], 0
	s_add_i32 s11, s59, 63
	s_mul_i32 s44, s11, s41
	s_mul_hi_u32 s45, s11, s40
	v_mfma_f32_16x16x16_bf16 a[4:7], v[22:23], v[20:21], 0
	ds_read2st64_b64 v[18:21], v77 offset0:2 offset1:4
	ds_read2st64_b64 v[22:25], v79 offset0:2 offset1:4
	s_add_i32 s45, s45, s44
	s_waitcnt lgkmcnt(1)
	v_mfma_f32_16x16x16_bf16 a[0:3], v[30:31], v[18:19], a[0:3]
	s_mul_i32 s44, s11, s40
	s_lshl_b64 s[44:45], s[44:45], 2
	s_add_u32 s44, s14, s44
	s_waitcnt lgkmcnt(0)
	v_mfma_f32_16x16x16_bf16 a[4:7], v[30:31], v[22:23], a[4:7]
	ds_read_b64 v[18:19], v80 offset:24576
	ds_read_b64 v[22:23], v81 offset:24576
	s_addc_u32 s45, s15, s45
	s_and_b64 vcc, exec, s[0:1]
	s_waitcnt lgkmcnt(1)
	v_mfma_f32_16x16x16_bf16 a[0:3], v[18:19], v[20:21], a[0:3]
	v_mov_b32_e32 v104, 0
	v_mov_b32_e32 v103, 0
	;; [unrolled: 1-line block ×3, first 2 shown]
	v_mfma_f32_16x16x16_bf16 a[8:11], v[18:19], v[24:25], a[4:7]
	v_mov_b32_e32 v18, 0
	v_mov_b32_e32 v19, 0
	;; [unrolled: 1-line block ×3, first 2 shown]
	s_waitcnt lgkmcnt(0)
	v_mfma_f32_16x16x16_bf16 a[4:7], v[22:23], v[28:29], a[0:3]
	v_mov_b32_e32 v21, 0
	v_mov_b32_e32 v24, 0
	;; [unrolled: 1-line block ×3, first 2 shown]
	v_mfma_f32_16x16x16_bf16 a[0:3], v[22:23], v[26:27], a[8:11]
	v_mov_b32_e32 v22, 0
	v_mov_b32_e32 v23, 0
	;; [unrolled: 1-line block ×10, first 2 shown]
	s_cbranch_vccnz .LBB301_12
; %bb.11:                               ;   in Loop: Header=BB301_6 Depth=1
	s_and_b32 s5, s5, 0xffff
	buffer_load_dwordx4 v[30:33], v13, s[4:7], 0 offen
	buffer_load_dwordx4 v[26:29], v13, s[4:7], s58 offen
	;; [unrolled: 1-line block ×4, first 2 shown]
	v_mov_b32_e32 v103, v66
	v_mov_b32_e32 v102, v67
.LBB301_12:                             ;   in Loop: Header=BB301_6 Depth=1
	ds_read_b64 v[42:43], v76 offset:32768
	ds_read2_b64 v[34:37], v82 offset1:16
	ds_read_b64 v[44:45], v78 offset:32768
	ds_read_b64 v[46:47], v80 offset:32768
	;; [unrolled: 1-line block ×3, first 2 shown]
	ds_read2st64_b64 v[38:41], v82 offset0:2 offset1:4
	v_add_u32_e32 v105, s59, v93
	s_waitcnt lgkmcnt(4)
	v_mfma_f32_16x16x16_bf16 a[4:7], v[42:43], v[34:35], a[4:7]
	v_ashrrev_i32_e32 v34, 31, v105
	v_mfma_f32_16x16x16_bf16 a[0:3], v[42:43], v[36:37], a[0:3]
	v_mul_lo_u32 v36, v105, s41
	v_mul_lo_u32 v37, v34, s40
	v_mad_u64_u32 v[34:35], s[4:5], v105, s40, 0
	v_add3_u32 v35, v35, v36, v37
	v_add_u32_e32 v36, 1, v105
	v_ashrrev_i32_e32 v37, 31, v36
	s_waitcnt lgkmcnt(0)
	v_mfma_f32_16x16x16_bf16 a[4:7], v[44:45], v[38:39], a[4:7]
	v_mul_lo_u32 v38, v37, s40
	v_mul_lo_u32 v39, v36, s41
	v_mad_u64_u32 v[36:37], s[4:5], v36, s40, 0
	v_add3_u32 v37, v37, v39, v38
	v_add_u32_e32 v38, 2, v105
	v_ashrrev_i32_e32 v39, 31, v38
	v_mul_lo_u32 v42, v39, s40
	v_mul_lo_u32 v43, v38, s41
	v_mad_u64_u32 v[38:39], s[4:5], v38, s40, 0
	v_add3_u32 v39, v39, v43, v42
	v_add_u32_e32 v42, 3, v105
	v_ashrrev_i32_e32 v43, 31, v42
	v_mul_lo_u32 v105, v43, s40
	v_mul_lo_u32 v106, v42, s41
	v_mad_u64_u32 v[42:43], s[4:5], v42, s40, 0
	s_add_u32 s4, s2, s59
	s_addc_u32 s5, s3, 0
	s_lshl_b64 s[66:67], s[4:5], 8
	v_lshl_add_u64 v[34:35], v[34:35], 2, s[14:15]
	v_add3_u32 v43, v43, v106, v105
	v_lshl_add_u64 v[106:107], v[52:53], 0, s[66:67]
	v_lshl_add_u64 v[36:37], v[36:37], 2, s[14:15]
	;; [unrolled: 1-line block ×3, first 2 shown]
	global_load_dword v105, v[34:35], off
	global_load_ushort v108, v[106:107], off offset:256
	global_load_ushort v109, v[106:107], off
	global_load_ushort v110, v[106:107], off offset:768
	v_lshl_add_u64 v[34:35], v[42:43], 2, s[14:15]
	v_lshl_add_u64 v[38:39], v[38:39], 2, s[14:15]
	global_load_dword v111, v[36:37], off
	global_load_dword v112, v[38:39], off
	;; [unrolled: 1-line block ×3, first 2 shown]
	ds_read2st64_b64 v[34:37], v83 offset0:2 offset1:4
	s_waitcnt lgkmcnt(0)
	v_mfma_f32_16x16x16_bf16 a[0:3], v[44:45], v[34:35], a[0:3]
	global_load_ushort v44, v[106:107], off offset:512
	global_load_ushort v114, v[106:107], off offset:800
	;; [unrolled: 1-line block ×4, first 2 shown]
	s_nop 0
	global_load_ushort v106, v[106:107], off offset:32
	s_and_b64 vcc, exec, s[0:1]
	v_mfma_f32_16x16x16_bf16 a[4:7], v[46:47], v[40:41], a[4:7]
	s_waitcnt vmcnt(10)
	v_lshlrev_b32_e32 v43, 16, v108
	v_mfma_f32_16x16x16_bf16 a[0:3], v[46:47], v[36:37], a[0:3]
	ds_read_b64 v[34:35], v82 offset:3072
	ds_read_b64 v[36:37], v83 offset:3072
	s_load_dword s4, s[44:45], 0x0
	s_waitcnt vmcnt(9)
	v_lshlrev_b32_e32 v42, 16, v109
	s_waitcnt lgkmcnt(0)
	v_mfma_f32_16x16x16_bf16 a[4:7], v[48:49], v[34:35], a[4:7]
	v_lshl_add_u64 v[34:35], v[54:55], 0, s[66:67]
	v_sub_f32_e32 v46, s4, v105
	s_waitcnt vmcnt(7)
	v_sub_f32_e32 v47, s4, v111
	v_mfma_f32_16x16x16_bf16 a[0:3], v[48:49], v[36:37], a[0:3]
	s_waitcnt vmcnt(6)
	v_sub_f32_e32 v48, s4, v112
	s_waitcnt vmcnt(5)
	v_sub_f32_e32 v49, s4, v113
	v_accvgpr_read_b32 v41, a5
	v_accvgpr_read_b32 v40, a4
	v_exp_f32_e32 v46, v46
	v_pk_add_f32 v[40:41], v[42:43], v[40:41] neg_lo:[0,1] neg_hi:[0,1]
	v_exp_f32_e32 v47, v47
	v_exp_f32_e32 v42, v48
	v_exp_f32_e32 v43, v49
	v_accvgpr_read_b32 v37, a7
	v_accvgpr_read_b32 v36, a6
	v_lshlrev_b32_e32 v45, 16, v110
	s_waitcnt vmcnt(4)
	v_lshlrev_b32_e32 v44, 16, v44
	v_lshl_add_u64 v[34:35], v[34:35], 0, v[50:51]
	v_pk_add_f32 v[36:37], v[44:45], v[36:37] neg_lo:[0,1] neg_hi:[0,1]
	global_store_short_d16_hi v[34:35], v40, off
	global_store_short_d16_hi v[34:35], v41, off offset:256
	global_store_short_d16_hi v[34:35], v36, off offset:512
	;; [unrolled: 1-line block ×3, first 2 shown]
	v_pk_mul_f32 v[40:41], v[46:47], v[40:41]
	v_pk_mul_f32 v[36:37], v[42:43], v[36:37]
	v_accvgpr_read_b32 v45, a1
	v_perm_b32 v40, v41, v40, s43
	v_perm_b32 v41, v37, v36, s43
	s_waitcnt vmcnt(5)
	v_lshlrev_b32_e32 v37, 16, v116
	s_waitcnt vmcnt(4)
	v_lshlrev_b32_e32 v36, 16, v106
	v_accvgpr_read_b32 v44, a0
	v_accvgpr_read_b32 v39, a3
	;; [unrolled: 1-line block ×3, first 2 shown]
	v_pk_add_f32 v[36:37], v[36:37], v[44:45] neg_lo:[0,1] neg_hi:[0,1]
	v_lshlrev_b32_e32 v45, 16, v114
	v_lshlrev_b32_e32 v44, 16, v115
	v_pk_add_f32 v[38:39], v[44:45], v[38:39] neg_lo:[0,1] neg_hi:[0,1]
	global_store_short_d16_hi v[34:35], v36, off offset:32
	global_store_short_d16_hi v[34:35], v37, off offset:288
	;; [unrolled: 1-line block ×4, first 2 shown]
	v_pk_mul_f32 v[34:35], v[46:47], v[36:37]
	v_pk_mul_f32 v[36:37], v[42:43], v[38:39]
	v_mov_b32_e32 v105, 0
	v_perm_b32 v37, v37, v36, s43
	v_perm_b32 v36, v35, v34, s43
	ds_write2_b64 v69, v[40:41], v[36:37] offset1:16
	v_mov_b32_e32 v34, 0
	v_mov_b32_e32 v35, 0
	;; [unrolled: 1-line block ×16, first 2 shown]
	s_cbranch_vccnz .LBB301_14
; %bb.13:                               ;   in Loop: Header=BB301_6 Depth=1
	s_and_b32 s9, s9, 0xffff
	s_mov_b32 s11, s7
	buffer_load_dwordx4 v[46:49], v91, s[8:11], 0 offen
	buffer_load_dwordx4 v[38:41], v91, s[8:11], s58 offen
	;; [unrolled: 1-line block ×4, first 2 shown]
	v_mov_b32_e32 v104, v9
	v_mov_b32_e32 v105, v5
.LBB301_14:                             ;   in Loop: Header=BB301_6 Depth=1
	s_waitcnt lgkmcnt(0)
	s_barrier
	ds_read_b64 v[110:111], v94
	ds_read_b64 v[118:119], v87
	;; [unrolled: 1-line block ×5, first 2 shown]
	ds_read_b64 v[124:125], v88 offset:16384
	ds_read_b64 v[126:127], v86 offset:16384
	ds_read2_b64 v[106:109], v82 offset0:16 offset1:128
	s_waitcnt lgkmcnt(6)
	v_mfma_f32_16x16x16_bf16 a[0:3], v[110:111], v[118:119], 0
	ds_read_b64 v[128:129], v83 offset:3072
	ds_read_b64 v[130:131], v90 offset:16384
	s_add_i32 s5, s55, s65
	s_waitcnt lgkmcnt(2)
	v_mfma_f32_16x16x16_bf16 a[4:7], v[110:111], v[106:107], 0
	ds_read2st64_b64 v[110:113], v83 offset0:2 offset1:4
	s_mul_hi_i32 s9, s5, s29
	s_mul_i32 s5, s5, s29
	v_mfma_f32_16x16x16_bf16 a[0:3], v[114:115], v[108:109], a[0:3]
	s_add_u32 s8, s5, s33
	s_addc_u32 s9, s9, s53
	s_lshl_b64 s[8:9], s[8:9], 15
	s_waitcnt lgkmcnt(0)
	v_mfma_f32_16x16x16_bf16 a[4:7], v[114:115], v[110:111], a[4:7]
	ds_read2st64_b64 v[114:117], v82 offset0:4 offset1:6
	s_waitcnt lgkmcnt(0)
	v_mfma_f32_16x16x16_bf16 a[0:3], v[120:121], v[114:115], a[0:3]
	v_mfma_f32_16x16x16_bf16 a[8:11], v[120:121], v[112:113], a[4:7]
	;; [unrolled: 1-line block ×5, first 2 shown]
	ds_read2st64_b64 v[118:121], v85 offset1:8
	v_mfma_f32_16x16x16_bf16 a[12:15], v[126:127], v[106:107], 0
	ds_read_b64 v[126:127], v89 offset:16384
	v_mfma_f32_16x16x16_bf16 a[8:11], v[124:125], v[108:109], a[8:11]
	ds_read2st64_b64 v[106:109], v84 offset1:8
	s_waitcnt lgkmcnt(0)
	v_mov_b32_e32 v122, v106
	v_mfma_f32_16x16x16_bf16 a[12:15], v[124:125], v[110:111], a[12:15]
	v_lshl_add_u64 v[110:111], v[56:57], 0, s[8:9]
	v_add_co_u32_e32 v106, vcc, s13, v110
	v_mfma_f32_16x16x16_bf16 a[8:11], v[126:127], v[114:115], a[8:11]
	v_mov_b32_e32 v123, v107
	v_addc_co_u32_e32 v107, vcc, 0, v111, vcc
	v_mfma_f32_16x16x16_bf16 a[12:15], v[126:127], v[112:113], a[12:15]
	v_mov_b32_e32 v124, v118
	v_mov_b32_e32 v125, v119
	;; [unrolled: 1-line block ×3, first 2 shown]
	v_mfma_f32_16x16x16_bf16 a[8:11], v[130:131], v[116:117], a[8:11]
	v_mov_b32_e32 v119, v109
	s_and_b64 vcc, exec, s[0:1]
	global_store_dwordx4 v[110:111], v[122:125], off
	v_mfma_f32_16x16x16_bf16 a[12:15], v[130:131], v[128:129], a[12:15]
	global_store_dwordx4 v[106:107], v[118:121], off
	s_cbranch_vccnz .LBB301_16
; %bb.15:                               ;   in Loop: Header=BB301_6 Depth=1
	v_lshrrev_b32_e32 v106, 3, v104
	v_and_b32_e32 v106, 6, v106
	v_xor_b32_e32 v105, v106, v105
	v_lshlrev_b32_e32 v105, 2, v105
	v_and_b32_e32 v104, 8, v104
	v_xor_b32_e32 v107, 0x440, v105
	v_cmp_eq_u32_e32 vcc, 0, v104
	s_barrier
	s_nop 0
	v_cndmask_b32_e32 v104, v107, v105, vcc
	v_lshl_or_b32 v104, v106, 10, v104
	s_waitcnt vmcnt(3)
	v_perm_b32 v105, v46, v42, s60
	s_waitcnt vmcnt(2)
	v_perm_b32 v106, v38, v34, s60
	ds_write2st64_b32 v104, v105, v106 offset0:32 offset1:64
	v_xor_b32_e32 v105, 8, v104
	v_perm_b32 v42, v46, v42, s61
	v_perm_b32 v34, v38, v34, s61
	v_add_u32_e32 v38, 0x80, v105
	ds_write2st64_b32 v38, v42, v34 offset0:32 offset1:64
	v_xor_b32_e32 v34, 16, v104
	v_perm_b32 v38, v47, v43, s60
	v_perm_b32 v42, v39, v35, s60
	ds_write2st64_b32 v34, v38, v42 offset0:33 offset1:65
	v_xor_b32_e32 v34, 24, v104
	v_perm_b32 v38, v47, v43, s61
	v_perm_b32 v35, v39, v35, s61
	v_add_u32_e32 v34, 0x80, v34
	ds_write2st64_b32 v34, v38, v35 offset0:33 offset1:65
	v_xor_b32_e32 v34, 32, v104
	v_perm_b32 v35, v48, v44, s60
	;; [unrolled: 9-line block ×3, first 2 shown]
	v_perm_b32 v36, v41, v37, s60
	ds_write2st64_b32 v34, v35, v36 offset0:35 offset1:67
	v_xor_b32_e32 v34, 56, v104
	v_perm_b32 v35, v49, v45, s61
	v_perm_b32 v36, v41, v37, s61
	v_add_u32_e32 v34, 0x80, v34
	ds_write2st64_b32 v34, v35, v36 offset0:35 offset1:67
	ds_write_b64 v103, v[30:31] offset:24576
	v_xor_b32_e32 v30, 8, v103
	ds_write_b64 v30, v[32:33] offset:24576
	ds_write_b64 v103, v[26:27] offset:32768
	;; [unrolled: 1-line block ×4, first 2 shown]
	v_xor_b32_e32 v22, 8, v102
	ds_write_b64 v22, v[24:25] offset:24576
	ds_write_b64 v102, v[18:19] offset:32768
	;; [unrolled: 1-line block ×3, first 2 shown]
.LBB301_16:                             ;   in Loop: Header=BB301_6 Depth=1
	s_waitcnt vmcnt(2)
	v_exp_f32_e32 v34, s4
	v_accvgpr_read_b32 v33, a7
	v_accvgpr_read_b32 v25, a3
	;; [unrolled: 1-line block ×16, first 2 shown]
	s_add_i32 s59, s59, 64
	v_fma_f32 v2, v2, v34, v30
	v_fma_f32 v3, v3, v34, v31
	v_fma_f32 v4, v4, v34, v32
	v_fmac_f32_e32 v33, v99, v34
	v_fma_f32 v10, v10, v34, v22
	v_fma_f32 v11, v11, v34, v23
	v_fma_f32 v12, v12, v34, v24
	v_fmac_f32_e32 v25, v101, v34
	;; [unrolled: 4-line block ×3, first 2 shown]
	v_fma_f32 v14, v14, v34, v18
	v_fma_f32 v15, v15, v34, v19
	;; [unrolled: 1-line block ×3, first 2 shown]
	s_cmp_eq_u32 s52, s64
	v_fmac_f32_e32 v21, v100, v34
	s_cbranch_scc1 .LBB301_18
; %bb.17:                               ;   in Loop: Header=BB301_6 Depth=1
	s_mov_b32 s65, s64
	v_mov_b32_e32 v99, v33
	v_mov_b32_e32 v98, v29
	;; [unrolled: 1-line block ×4, first 2 shown]
	s_branch .LBB301_6
.LBB301_18:
	v_mov_b32_e32 v5, v33
	v_mov_b32_e32 v9, v29
	;; [unrolled: 1-line block ×4, first 2 shown]
.LBB301_19:
	s_lshl_b32 s53, s52, 6
	s_sub_i32 s54, s28, s53
	s_cmp_gt_i32 s54, 0
	v_or_b32_e32 v34, s42, v62
	s_cbranch_scc1 .LBB301_21
; %bb.20:
	s_ashr_i32 s0, s33, 31
	s_add_u32 s8, s49, s33
	s_addc_u32 s9, s57, s0
	v_or_b32_e32 v18, s42, v62
	s_cbranch_execz .LBB301_22
	s_branch .LBB301_86
.LBB301_21:
                                        ; implicit-def: $sgpr8_sgpr9
                                        ; implicit-def: $vgpr18
.LBB301_22:
	s_ashr_i32 s13, s51, 31
	s_ashr_i32 s2, s53, 31
	s_cmpk_lg_i32 s31, 0x80
	s_cselect_b64 s[44:45], -1, 0
	s_and_b64 vcc, exec, s[44:45]
	s_cbranch_vccz .LBB301_24
; %bb.23:
	s_mul_i32 s1, s51, s28
	s_mul_hi_i32 s0, s51, s28
	s_add_u32 s1, s1, s53
	s_addc_u32 s0, s0, s2
	s_mul_i32 s3, s1, s46
	s_mul_hi_u32 s4, s1, s30
	s_add_i32 s3, s4, s3
	s_mul_i32 s0, s0, s30
	s_add_i32 s3, s3, s0
	s_mul_i32 s1, s1, s30
	s_ashr_i32 s0, s56, 31
	s_add_u32 s46, s1, s56
	s_addc_u32 s47, s3, s0
	s_cbranch_execz .LBB301_25
	s_branch .LBB301_26
.LBB301_24:
                                        ; implicit-def: $sgpr46_sgpr47
.LBB301_25:
	s_mul_hi_i32 s0, s51, s30
	s_mul_i32 s51, s51, s30
	s_ashr_i32 s1, s56, 31
	s_add_u32 s3, s51, s56
	s_addc_u32 s0, s0, s1
	s_mul_i32 s1, s3, s50
	s_mul_hi_u32 s4, s3, s28
	s_add_i32 s1, s4, s1
	s_mul_i32 s0, s0, s28
	s_add_i32 s1, s1, s0
	s_mul_i32 s3, s3, s28
	s_add_u32 s46, s3, s53
	s_addc_u32 s47, s1, s2
.LBB301_26:
	s_add_i32 s3, s55, s52
	s_ashr_i32 s30, s33, 31
	s_add_u32 s8, s49, s33
	s_addc_u32 s9, s57, s30
	s_mul_i32 s0, s8, s50
	s_mul_hi_u32 s1, s8, s28
	s_add_i32 s0, s1, s0
	s_mul_i32 s1, s9, s28
	s_add_i32 s1, s0, s1
	s_mul_i32 s0, s8, s28
	s_add_u32 s0, s0, s53
	v_lshlrev_b32_e32 v22, 5, v1
	v_lshlrev_b32_e32 v40, 2, v62
	s_addc_u32 s1, s1, s2
	s_mov_b32 s2, 0x7060302
	v_or_b32_e32 v25, v22, v40
	v_xor_b32_e32 v23, v1, v40
	v_perm_b32 v19, v5, v4, s2
	v_perm_b32 v18, v3, v2, s2
	;; [unrolled: 1-line block ×4, first 2 shown]
	v_lshlrev_b32_e32 v25, 1, v25
	s_lshl_b64 s[10:11], s[0:1], 8
	v_xor_b32_e32 v24, v65, v40
	ds_write2st64_b64 v25, v[18:19], v[20:21] offset0:80 offset1:88
	v_lshlrev_b32_e32 v23, 1, v23
	v_lshlrev_b32_e32 v25, 8, v62
	s_add_u32 s0, s18, s10
	v_or_b32_e32 v26, v23, v25
	v_lshlrev_b32_e32 v24, 1, v24
	s_addc_u32 s1, s19, s11
	ds_write_b64 v26, v[18:19]
	v_or_b32_e32 v18, v24, v25
	v_or_b32_e32 v25, 16, v62
	s_mul_hi_i32 s4, s3, s29
	s_mul_i32 s3, s3, s29
	ds_write_b64 v18, v[20:21]
	v_perm_b32 v19, v13, v12, s2
	v_perm_b32 v18, v11, v10, s2
	v_perm_b32 v21, v17, v16, s2
	v_perm_b32 v20, v15, v14, s2
	v_lshlrev_b32_e32 v37, 2, v25
	s_add_u32 s2, s3, s33
	v_or_b32_e32 v22, v22, v37
	s_addc_u32 s3, s4, s30
	v_lshlrev_b32_e32 v22, 1, v22
	s_ashr_i32 s43, s42, 31
	s_lshl_b64 s[2:3], s[2:3], 15
	ds_write2st64_b64 v22, v[18:19], v[20:21] offset0:80 offset1:88
	v_lshlrev_b32_e32 v22, 8, v25
	s_waitcnt lgkmcnt(0)
	s_add_u32 s4, s24, s2
	v_or_b32_e32 v23, v23, v22
	s_addc_u32 s5, s25, s3
	s_lshl_b64 s[2:3], s[42:43], 8
	ds_write_b64 v23, v[18:19]
	v_or_b32_e32 v18, v24, v22
	s_add_u32 s2, s4, s2
	ds_write_b64 v18, v[20:21]
	v_lshrrev_b32_e32 v18, 4, v0
	s_addc_u32 s3, s5, s3
	v_lshlrev_b32_e32 v19, 1, v62
	v_lshlrev_b32_e32 v26, 4, v62
	v_mov_b32_e32 v27, 0
	v_or_b32_e32 v20, 1, v19
	v_xor_b32_e32 v19, v18, v19
	v_lshl_add_u64 v[28:29], s[2:3], 0, v[26:27]
	v_lshlrev_b32_e32 v26, 8, v18
	v_xor_b32_e32 v22, v20, v18
	v_lshl_or_b32 v18, v19, 3, v26
	s_waitcnt lgkmcnt(0)
	s_barrier
	ds_read2st64_b64 v[18:21], v18 offset1:8
	v_lshl_or_b32 v22, v22, 3, v26
	ds_read2st64_b64 v[22:25], v22 offset1:8
	v_lshl_add_u64 v[30:31], v[28:29], 0, v[26:27]
	s_movk_i32 s2, 0x1000
	s_waitcnt lgkmcnt(1)
	v_mov_b32_e32 v26, v18
	v_add_co_u32_e32 v18, vcc, s2, v30
	s_cmp_lg_u32 s54, 64
	v_mov_b32_e32 v27, v19
	v_addc_co_u32_e32 v19, vcc, 0, v31, vcc
	s_cselect_b64 s[14:15], -1, 0
	v_lshl_or_b32 v35, v58, 3, v64
	s_waitcnt lgkmcnt(0)
	v_mov_b32_e32 v28, v22
	v_mov_b32_e32 v29, v23
	;; [unrolled: 1-line block ×4, first 2 shown]
	s_mov_b32 s4, 0
	v_or_b32_e32 v38, 32, v35
	v_and_b32_e32 v36, 56, v63
	s_and_b64 vcc, exec, s[14:15]
	global_store_dwordx4 v[30:31], v[26:29], off
	global_store_dwordx4 v[18:19], v[22:25], off
	s_cbranch_vccz .LBB301_32
; %bb.27:
	s_mov_b32 s6, s4
	s_mov_b32 s7, s4
	;; [unrolled: 1-line block ×3, first 2 shown]
	v_mov_b64_e32 v[24:25], s[6:7]
	v_mov_b64_e32 v[22:23], s[4:5]
	;; [unrolled: 1-line block ×3, first 2 shown]
	v_cmp_gt_i32_e32 vcc, s54, v35
	v_mov_b64_e32 v[20:21], v[24:25]
	s_and_saveexec_b64 s[2:3], vcc
	s_cbranch_execz .LBB301_29
; %bb.28:
	v_lshlrev_b32_e32 v18, 8, v35
	v_mov_b32_e32 v19, 0
	v_lshl_add_u64 v[20:21], s[0:1], 0, v[18:19]
	v_lshlrev_b32_e32 v18, 1, v36
	v_lshl_add_u64 v[26:27], v[20:21], 0, v[18:19]
	global_load_dwordx4 v[22:25], v[26:27], off
	global_load_dwordx4 v[18:21], v[26:27], off offset:128
.LBB301_29:
	s_or_b64 exec, exec, s[2:3]
	s_mov_b32 s6, s4
	s_mov_b32 s7, s4
	;; [unrolled: 1-line block ×3, first 2 shown]
	v_mov_b64_e32 v[32:33], s[6:7]
	v_mov_b64_e32 v[30:31], s[4:5]
	;; [unrolled: 1-line block ×3, first 2 shown]
	v_cmp_gt_i32_e32 vcc, s54, v38
	v_lshlrev_b32_e32 v39, 7, v38
	v_mov_b64_e32 v[28:29], v[32:33]
	s_and_saveexec_b64 s[2:3], vcc
	s_cbranch_execz .LBB301_31
; %bb.30:
	v_lshlrev_b32_e32 v26, 1, v39
	v_mov_b32_e32 v27, 0
	v_lshl_add_u64 v[28:29], s[0:1], 0, v[26:27]
	v_lshlrev_b32_e32 v26, 1, v36
	v_lshl_add_u64 v[42:43], v[28:29], 0, v[26:27]
	global_load_dwordx4 v[30:33], v[42:43], off
	global_load_dwordx4 v[26:29], v[42:43], off offset:128
.LBB301_31:
	s_or_b64 exec, exec, s[2:3]
	v_lshrrev_b32_e32 v41, 3, v36
	v_lshlrev_b32_e32 v42, 3, v35
	v_or_b32_e32 v41, v42, v41
	v_lshlrev_b32_e32 v41, 4, v41
	v_and_b32_e32 v42, 0x78, v42
	v_xor_b32_e32 v41, v41, v42
	s_branch .LBB301_34
.LBB301_32:
                                        ; implicit-def: $vgpr41
                                        ; implicit-def: $vgpr39
                                        ; implicit-def: $vgpr22_vgpr23_vgpr24_vgpr25
                                        ; implicit-def: $vgpr18_vgpr19_vgpr20_vgpr21
                                        ; implicit-def: $vgpr30_vgpr31_vgpr32_vgpr33
                                        ; implicit-def: $vgpr26_vgpr27_vgpr28_vgpr29
	s_cbranch_execz .LBB301_34
; %bb.33:
	s_waitcnt vmcnt(0)
	v_lshlrev_b32_e32 v18, 1, v36
	v_lshl_or_b32 v39, v35, 8, v18
	s_and_b32 s1, s1, 0xffff
	s_mov_b32 s3, 0x20000
	s_movk_i32 s2, 0x4000
	v_lshl_or_b32 v41, v38, 8, v18
	s_movk_i32 s4, 0x80
	buffer_load_dwordx4 v[22:25], v39, s[0:3], 0 offen
	buffer_load_dwordx4 v[18:21], v39, s[0:3], s4 offen
	;; [unrolled: 1-line block ×4, first 2 shown]
	v_lshrrev_b32_e32 v39, 3, v36
	v_lshlrev_b32_e32 v41, 3, v35
	v_or_b32_e32 v39, v41, v39
	v_lshlrev_b32_e32 v39, 4, v39
	v_and_b32_e32 v41, 0x78, v41
	v_xor_b32_e32 v41, v39, v41
	v_lshlrev_b32_e32 v39, 7, v38
.LBB301_34:
	s_lshl_b64 s[0:1], s[46:47], 8
	s_add_u32 s4, s16, s0
	s_movk_i32 s0, 0x1000
	v_and_or_b32 v38, v39, s0, v41
	s_waitcnt vmcnt(1)
	ds_write_b64 v41, v[22:23] offset:24576
	v_xor_b32_e32 v22, 8, v41
	ds_write_b64 v22, v[24:25] offset:24576
	s_waitcnt vmcnt(0)
	ds_write_b64 v41, v[18:19] offset:32768
	ds_write_b64 v22, v[20:21] offset:32768
	;; [unrolled: 1-line block ×3, first 2 shown]
	v_xor_b32_e32 v18, 8, v38
	ds_write_b64 v18, v[32:33] offset:24576
	ds_write_b64 v38, v[26:27] offset:32768
	;; [unrolled: 1-line block ×3, first 2 shown]
	v_or_b32_e32 v18, v59, v62
	v_lshlrev_b32_e32 v18, 3, v18
	v_lshrrev_b32_e32 v19, 5, v60
	s_movk_i32 s7, 0xf8
	v_and_or_b32 v19, v18, s7, v19
	v_lshlrev_b32_e32 v23, 4, v19
	v_lshlrev_b32_e32 v41, 11, v58
	v_and_b32_e32 v24, 0x78, v18
	v_or_b32_e32 v26, 32, v23
	v_and_b32_e32 v22, 0x1000, v41
	v_lshrrev_b32_e32 v19, 1, v60
	v_xor_b32_e32 v26, v26, v24
	v_xor_b32_e32 v18, v23, v24
	v_and_b32_e32 v25, 8, v19
	v_or_b32_e32 v26, v26, v22
	v_or_b32_e32 v18, v18, v22
	v_xor_b32_e32 v45, v26, v25
	v_or_b32_e32 v26, 64, v23
	v_xor_b32_e32 v44, v18, v25
	v_xor_b32_e32 v26, v26, v24
	s_waitcnt lgkmcnt(0)
	s_barrier
	v_or_b32_e32 v28, v26, v22
	ds_read_b64 v[26:27], v44 offset:24576
	v_lshl_or_b32 v38, v61, 7, v40
	v_lshlrev_b32_e32 v42, 1, v38
	v_add_u32_e32 v18, 0xa000, v42
	ds_read2_b64 v[18:21], v18 offset1:16
	v_or_b32_e32 v23, 0x60, v23
	v_xor_b32_e32 v23, v23, v24
	s_waitcnt lgkmcnt(0)
	v_mfma_f32_16x16x16_bf16 a[0:3], v[26:27], v[18:19], 0
	v_or_b32_e32 v18, 64, v38
	v_or_b32_e32 v22, v23, v22
	v_lshlrev_b32_e32 v43, 1, v18
	v_xor_b32_e32 v46, v28, v25
	v_xor_b32_e32 v47, v22, v25
	ds_read_b64 v[28:29], v45 offset:24576
	ds_read_b64 v[30:31], v46 offset:24576
	;; [unrolled: 1-line block ×3, first 2 shown]
	v_mfma_f32_16x16x16_bf16 a[4:7], v[26:27], v[20:21], 0
	ds_read2st64_b64 v[18:21], v43 offset0:82 offset1:84
	ds_read2st64_b64 v[22:25], v42 offset0:82 offset1:84
	s_addc_u32 s5, s17, s1
	s_add_i32 s2, s28, -1
	s_add_i32 s0, s48, s37
	s_mul_i32 s13, s13, s36
	s_add_i32 s13, s0, s13
	s_mul_i32 s0, s33, s39
	s_mul_hi_u32 s1, s33, s38
	s_ashr_i32 s3, s2, 31
	s_mul_i32 s6, s2, s41
	s_mul_hi_u32 s7, s2, s40
	s_add_i32 s0, s1, s0
	s_mul_i32 s1, s30, s38
	s_add_i32 s6, s7, s6
	s_mul_i32 s3, s3, s40
	s_waitcnt lgkmcnt(1)
	v_mfma_f32_16x16x16_bf16 a[4:7], v[28:29], v[18:19], a[4:7]
	s_add_i32 s1, s0, s1
	s_add_i32 s3, s6, s3
	s_lshl_b64 s[6:7], s[12:13], 2
	s_waitcnt lgkmcnt(0)
	v_mfma_f32_16x16x16_bf16 a[0:3], v[28:29], v[22:23], a[0:3]
	s_mul_i32 s0, s33, s38
	s_add_u32 s6, s22, s6
	s_addc_u32 s7, s23, s7
	s_lshl_b64 s[0:1], s[0:1], 2
	s_mul_i32 s2, s2, s40
	s_add_u32 s12, s6, s0
	ds_read_b64 v[18:19], v42 offset:44032
	v_mfma_f32_16x16x16_bf16 a[4:7], v[30:31], v[20:21], a[4:7]
	ds_read_b64 v[20:21], v43 offset:44032
	s_addc_u32 s13, s7, s1
	s_lshl_b64 s[0:1], s[2:3], 2
	v_mfma_f32_16x16x16_bf16 a[0:3], v[30:31], v[24:25], a[0:3]
	s_add_u32 s0, s12, s0
	s_addc_u32 s1, s13, s1
	s_load_dword s16, s[0:1], 0x0
	s_waitcnt lgkmcnt(0)
	v_mfma_f32_16x16x16_bf16 a[0:3], v[32:33], v[18:19], a[0:3]
	s_and_b64 vcc, exec, s[44:45]
	v_mfma_f32_16x16x16_bf16 a[4:7], v[32:33], v[20:21], a[4:7]
	s_cbranch_vccz .LBB301_45
; %bb.35:
	v_lshlrev_b32_e32 v38, 1, v35
	s_and_b64 vcc, exec, s[14:15]
	s_cbranch_vccz .LBB301_46
; %bb.36:
	v_cmp_gt_i32_e32 vcc, s54, v38
	v_mov_b32_e32 v22, 0
	v_mov_b32_e32 v18, 0
	v_mov_b32_e32 v19, 0
	v_mov_b32_e32 v20, 0
	v_mov_b32_e32 v21, 0
	s_and_saveexec_b64 s[0:1], vcc
	s_cbranch_execz .LBB301_38
; %bb.37:
	v_mad_i64_i32 v[18:19], s[2:3], s31, v38, 0
	v_lshl_add_u64 v[18:19], v[18:19], 1, s[4:5]
	v_lshlrev_b32_e32 v20, 1, v36
	v_mov_b32_e32 v21, 0
	v_lshl_add_u64 v[18:19], v[18:19], 0, v[20:21]
	global_load_dwordx4 v[18:21], v[18:19], off
.LBB301_38:
	s_or_b64 exec, exec, s[0:1]
	v_or_b32_e32 v39, 1, v38
	v_cmp_gt_i32_e64 s[0:1], s54, v39
	v_mov_b32_e32 v23, 0
	v_mov_b32_e32 v24, 0
	;; [unrolled: 1-line block ×3, first 2 shown]
	s_and_saveexec_b64 s[2:3], s[0:1]
	s_cbranch_execz .LBB301_40
; %bb.39:
	v_mad_i64_i32 v[22:23], s[6:7], s31, v39, 0
	v_lshl_add_u64 v[22:23], v[22:23], 1, s[4:5]
	v_lshlrev_b32_e32 v24, 1, v36
	v_mov_b32_e32 v25, 0
	v_lshl_add_u64 v[22:23], v[22:23], 0, v[24:25]
	global_load_dwordx4 v[22:25], v[22:23], off
.LBB301_40:
	s_or_b64 exec, exec, s[2:3]
	v_mov_b32_e32 v33, 0
	v_mov_b32_e32 v26, 0
	v_mov_b32_e32 v27, 0
	v_mov_b32_e32 v28, 0
	v_mov_b32_e32 v29, 0
	s_and_saveexec_b64 s[2:3], vcc
	s_cbranch_execz .LBB301_42
; %bb.41:
	v_mad_i64_i32 v[26:27], s[6:7], s31, v38, 0
	v_lshl_add_u64 v[26:27], v[26:27], 1, s[4:5]
	v_lshlrev_b32_e32 v28, 1, v36
	v_mov_b32_e32 v29, 0
	v_lshl_add_u64 v[26:27], v[26:27], 0, v[28:29]
	global_load_dwordx4 v[26:29], v[26:27], off offset:128
.LBB301_42:
	s_or_b64 exec, exec, s[2:3]
	v_mov_b32_e32 v32, 0
	v_mov_b32_e32 v31, 0
	;; [unrolled: 1-line block ×3, first 2 shown]
	s_and_saveexec_b64 s[2:3], s[0:1]
	s_cbranch_execz .LBB301_44
; %bb.43:
	v_mad_i64_i32 v[30:31], s[0:1], s31, v39, 0
	v_lshl_add_u64 v[30:31], v[30:31], 1, s[4:5]
	v_lshlrev_b32_e32 v32, 1, v36
	v_mov_b32_e32 v33, 0
	v_lshl_add_u64 v[30:31], v[30:31], 0, v[32:33]
	global_load_dwordx4 v[30:33], v[30:31], off offset:128
.LBB301_44:
	s_or_b64 exec, exec, s[2:3]
	s_branch .LBB301_48
.LBB301_45:
                                        ; implicit-def: $vgpr21
                                        ; implicit-def: $vgpr25
                                        ; implicit-def: $vgpr29
                                        ; implicit-def: $vgpr33
	v_lshrrev_b32_e32 v48, 2, v60
	s_branch .LBB301_49
.LBB301_46:
                                        ; implicit-def: $vgpr21
                                        ; implicit-def: $vgpr25
                                        ; implicit-def: $vgpr29
                                        ; implicit-def: $vgpr33
	s_cbranch_execz .LBB301_48
; %bb.47:
	s_waitcnt vmcnt(0)
	v_mad_u64_u32 v[18:19], s[0:1], v38, s31, v[36:37]
	v_lshlrev_b32_e32 v38, 1, v18
	s_lshl_b32 s2, s31, 7
	s_and_b32 s1, s5, 0xffff
	s_mov_b32 s3, 0x20000
	s_mov_b32 s0, s4
	v_add_lshl_u32 v39, v18, s31, 1
	s_movk_i32 s6, 0x80
	buffer_load_dwordx4 v[18:21], v38, s[0:3], 0 offen
	buffer_load_dwordx4 v[26:29], v38, s[0:3], s6 offen
	;; [unrolled: 1-line block ×4, first 2 shown]
.LBB301_48:
	v_lshrrev_b32_e32 v48, 2, v60
	s_cbranch_execnz .LBB301_61
.LBB301_49:
	s_and_b64 vcc, exec, s[14:15]
	s_cbranch_vccz .LBB301_59
; %bb.50:
	s_waitcnt vmcnt(0)
	v_lshlrev_b32_e32 v23, 1, v35
	v_cmp_gt_i32_e32 vcc, s54, v23
	v_mov_b32_e32 v22, 0
	v_lshlrev_b32_e32 v30, 9, v35
	v_mov_b32_e32 v18, 0
	v_mov_b32_e32 v19, 0
	;; [unrolled: 1-line block ×4, first 2 shown]
	s_and_saveexec_b64 s[0:1], vcc
	s_cbranch_execz .LBB301_52
; %bb.51:
	v_mov_b32_e32 v31, 0
	v_lshl_add_u64 v[18:19], s[4:5], 0, v[30:31]
	v_lshlrev_b32_e32 v20, 1, v36
	v_mov_b32_e32 v21, v31
	v_lshl_add_u64 v[18:19], v[18:19], 0, v[20:21]
	global_load_dwordx4 v[18:21], v[18:19], off
.LBB301_52:
	s_or_b64 exec, exec, s[0:1]
	v_or_b32_e32 v23, 1, v23
	v_cmp_gt_i32_e64 s[0:1], s54, v23
	v_lshlrev_b32_e32 v38, 8, v23
	v_mov_b32_e32 v23, 0
	v_mov_b32_e32 v24, 0
	;; [unrolled: 1-line block ×3, first 2 shown]
	s_and_saveexec_b64 s[2:3], s[0:1]
	s_cbranch_execz .LBB301_54
; %bb.53:
	v_mov_b32_e32 v39, 0
	v_lshl_add_u64 v[22:23], s[4:5], 0, v[38:39]
	v_lshlrev_b32_e32 v24, 1, v36
	v_mov_b32_e32 v25, v39
	v_lshl_add_u64 v[22:23], v[22:23], 0, v[24:25]
	global_load_dwordx4 v[22:25], v[22:23], off
.LBB301_54:
	s_or_b64 exec, exec, s[2:3]
	v_mov_b32_e32 v33, 0
	v_mov_b32_e32 v26, 0
	;; [unrolled: 1-line block ×5, first 2 shown]
	s_and_saveexec_b64 s[2:3], vcc
	s_cbranch_execz .LBB301_56
; %bb.55:
	v_mov_b32_e32 v31, 0
	v_lshl_add_u64 v[26:27], s[4:5], 0, v[30:31]
	v_lshlrev_b32_e32 v30, 1, v36
	v_lshl_add_u64 v[26:27], v[26:27], 0, v[30:31]
	global_load_dwordx4 v[26:29], v[26:27], off offset:128
.LBB301_56:
	s_or_b64 exec, exec, s[2:3]
	v_mov_b32_e32 v32, 0
	v_mov_b32_e32 v31, 0
	;; [unrolled: 1-line block ×3, first 2 shown]
	s_and_saveexec_b64 s[2:3], s[0:1]
	s_cbranch_execz .LBB301_58
; %bb.57:
	v_mov_b32_e32 v39, 0
	v_lshl_add_u64 v[30:31], s[4:5], 0, v[38:39]
	v_lshlrev_b32_e32 v38, 1, v36
	v_lshl_add_u64 v[30:31], v[30:31], 0, v[38:39]
	global_load_dwordx4 v[30:33], v[30:31], off offset:128
.LBB301_58:
	s_or_b64 exec, exec, s[2:3]
	s_branch .LBB301_61
.LBB301_59:
                                        ; implicit-def: $vgpr21
                                        ; implicit-def: $vgpr25
                                        ; implicit-def: $vgpr29
                                        ; implicit-def: $vgpr33
	s_cbranch_execz .LBB301_61
; %bb.60:
	s_waitcnt vmcnt(0)
	v_lshlrev_b32_e32 v18, 1, v36
	v_lshl_or_b32 v36, v35, 9, v18
	s_and_b32 s5, s5, 0xffff
	s_mov_b32 s7, 0x20000
	s_movk_i32 s6, 0x4000
	s_movk_i32 s0, 0x80
	buffer_load_dwordx4 v[18:21], v36, s[4:7], 0 offen
	buffer_load_dwordx4 v[22:25], v36, s[4:7], 0 offen offset:256
	buffer_load_dwordx4 v[26:29], v36, s[4:7], s0 offen
	buffer_load_dwordx4 v[30:33], v36, s[4:7], s0 offen offset:256
.LBB301_61:
	ds_read_b64 v[38:39], v44 offset:32768
	v_add_u32_e32 v36, 0xb000, v42
	ds_read2_b64 v[50:53], v36 offset1:16
	ds_read_b64 v[54:55], v45 offset:32768
	ds_read_b64 v[56:57], v46 offset:32768
	;; [unrolled: 1-line block ×3, first 2 shown]
	v_and_b32_e32 v36, 6, v0
	v_xor_b32_e32 v35, v35, v36
	v_lshlrev_b32_e32 v35, 2, v35
	v_and_b32_e32 v49, 1, v0
	v_cmp_eq_u32_e32 vcc, 0, v49
	s_mov_b32 s0, 0x1000504
	s_waitcnt lgkmcnt(3)
	v_mfma_f32_16x16x16_bf16 a[0:3], v[38:39], v[50:51], a[0:3]
	s_mov_b32 s1, 0x3020706
	v_mfma_f32_16x16x16_bf16 a[4:7], v[38:39], v[52:53], a[4:7]
	ds_read2st64_b64 v[44:47], v42 offset0:90 offset1:92
	ds_read2st64_b64 v[50:53], v43 offset0:90 offset1:92
	s_waitcnt lgkmcnt(1)
	v_mfma_f32_16x16x16_bf16 a[0:3], v[54:55], v[44:45], a[0:3]
	ds_read_b64 v[38:39], v42 offset:48128
	ds_read_b64 v[44:45], v43 offset:48128
	s_waitcnt lgkmcnt(2)
	v_mfma_f32_16x16x16_bf16 a[4:7], v[54:55], v[50:51], a[4:7]
	v_mfma_f32_16x16x16_bf16 a[0:3], v[56:57], v[46:47], a[0:3]
	v_xor_b32_e32 v46, 0x440, v35
	v_cndmask_b32_e32 v35, v46, v35, vcc
	v_lshl_or_b32 v35, v36, 10, v35
	v_mfma_f32_16x16x16_bf16 a[8:11], v[56:57], v[52:53], a[4:7]
	s_waitcnt vmcnt(0)
	v_perm_b32 v36, v18, v22, s0
	v_perm_b32 v18, v18, v22, s1
	;; [unrolled: 1-line block ×3, first 2 shown]
	s_waitcnt lgkmcnt(1)
	v_mfma_f32_16x16x16_bf16 a[4:7], v[60:61], v[38:39], a[0:3]
	v_perm_b32 v38, v26, v30, s0
	ds_write2st64_b32 v35, v36, v38 offset0:32 offset1:64
	v_xor_b32_e32 v36, 8, v35
	v_add_u32_e32 v26, 0x80, v36
	ds_write2st64_b32 v26, v18, v22 offset0:32 offset1:64
	v_xor_b32_e32 v18, 16, v35
	v_perm_b32 v22, v19, v23, s0
	v_perm_b32 v26, v27, v31, s0
	ds_write2st64_b32 v18, v22, v26 offset0:33 offset1:65
	v_xor_b32_e32 v18, 24, v35
	v_perm_b32 v19, v19, v23, s1
	v_perm_b32 v22, v27, v31, s1
	v_add_u32_e32 v18, 0x80, v18
	ds_write2st64_b32 v18, v19, v22 offset0:33 offset1:65
	v_xor_b32_e32 v18, 32, v35
	v_perm_b32 v19, v20, v24, s0
	v_perm_b32 v22, v28, v32, s0
	ds_write2st64_b32 v18, v19, v22 offset0:34 offset1:66
	v_xor_b32_e32 v18, 40, v35
	s_waitcnt lgkmcnt(5)
	v_mfma_f32_16x16x16_bf16 a[0:3], v[60:61], v[44:45], a[8:11]
	v_perm_b32 v19, v20, v24, s1
	v_perm_b32 v20, v28, v32, s1
	v_add_u32_e32 v18, 0x80, v18
	ds_write2st64_b32 v18, v19, v20 offset0:34 offset1:66
	v_xor_b32_e32 v18, 48, v35
	v_perm_b32 v19, v21, v25, s0
	v_perm_b32 v20, v29, v33, s0
	ds_write2st64_b32 v18, v19, v20 offset0:35 offset1:67
	v_xor_b32_e32 v18, 56, v35
	v_and_or_b32 v45, v48, 12, v59
	v_perm_b32 v19, v21, v25, s1
	v_perm_b32 v20, v29, v33, s1
	v_add_u32_e32 v18, 0x80, v18
	v_cmp_gt_i32_e64 s[0:1], s54, v45
	v_mov_b32_e32 v38, 0
	v_mov_b32_e32 v39, 0
	ds_write2st64_b32 v18, v19, v20 offset0:35 offset1:67
	s_and_saveexec_b64 s[2:3], s[0:1]
	s_cbranch_execz .LBB301_63
; %bb.62:
	v_add_u32_e32 v18, s53, v45
	v_ashrrev_i32_e32 v19, 31, v18
	v_mul_lo_u32 v20, v19, s40
	v_mul_lo_u32 v21, v18, s41
	v_mad_u64_u32 v[18:19], s[4:5], v18, s40, 0
	v_add3_u32 v19, v19, v21, v20
	v_lshl_add_u64 v[18:19], v[18:19], 2, s[12:13]
	global_load_dword v18, v[18:19], off
	s_waitcnt vmcnt(0)
	v_sub_f32_e32 v18, s16, v18
	v_exp_f32_e32 v39, v18
.LBB301_63:
	s_or_b64 exec, exec, s[2:3]
	v_or_b32_e32 v30, 1, v45
	v_cmp_gt_i32_e64 s[4:5], s54, v30
	s_and_saveexec_b64 s[2:3], s[4:5]
	s_cbranch_execz .LBB301_65
; %bb.64:
	v_add_u32_e32 v18, s53, v30
	v_ashrrev_i32_e32 v19, 31, v18
	v_mul_lo_u32 v20, v19, s40
	v_mul_lo_u32 v21, v18, s41
	v_mad_u64_u32 v[18:19], s[6:7], v18, s40, 0
	v_add3_u32 v19, v19, v21, v20
	v_lshl_add_u64 v[18:19], v[18:19], 2, s[12:13]
	global_load_dword v18, v[18:19], off
	s_waitcnt vmcnt(0)
	v_sub_f32_e32 v18, s16, v18
	v_exp_f32_e32 v38, v18
.LBB301_65:
	s_or_b64 exec, exec, s[2:3]
	v_or_b32_e32 v28, 2, v45
	v_cmp_gt_i32_e64 s[2:3], s54, v28
	v_mov_b32_e32 v36, 0
	v_mov_b32_e32 v44, 0
	s_and_saveexec_b64 s[6:7], s[2:3]
	s_cbranch_execz .LBB301_67
; %bb.66:
	v_add_u32_e32 v18, s53, v28
	v_ashrrev_i32_e32 v19, 31, v18
	v_mul_lo_u32 v20, v19, s40
	v_mul_lo_u32 v21, v18, s41
	v_mad_u64_u32 v[18:19], s[14:15], v18, s40, 0
	v_add3_u32 v19, v19, v21, v20
	v_lshl_add_u64 v[18:19], v[18:19], 2, s[12:13]
	global_load_dword v18, v[18:19], off
	s_waitcnt vmcnt(0)
	v_sub_f32_e32 v18, s16, v18
	v_exp_f32_e32 v44, v18
.LBB301_67:
	s_or_b64 exec, exec, s[6:7]
	v_or_b32_e32 v29, 3, v45
	v_cmp_gt_i32_e32 vcc, s54, v29
	s_and_saveexec_b64 s[6:7], vcc
	s_cbranch_execz .LBB301_69
; %bb.68:
	v_add_u32_e32 v18, s53, v29
	v_ashrrev_i32_e32 v19, 31, v18
	v_mul_lo_u32 v20, v19, s40
	v_mul_lo_u32 v21, v18, s41
	v_mad_u64_u32 v[18:19], s[14:15], v18, s40, 0
	v_add3_u32 v19, v19, v21, v20
	v_lshl_add_u64 v[18:19], v[18:19], 2, s[12:13]
	global_load_dword v18, v[18:19], off
	s_waitcnt vmcnt(0)
	v_sub_f32_e32 v18, s16, v18
	v_exp_f32_e32 v36, v18
.LBB301_69:
	s_or_b64 exec, exec, s[6:7]
	s_add_u32 s6, s20, s10
	s_addc_u32 s7, s21, s11
	s_add_u32 s10, s26, s10
	v_ashrrev_i32_e32 v35, 31, v34
	v_accvgpr_read_b32 v21, a7
	s_addc_u32 s11, s27, s11
	v_lshlrev_b64 v[22:23], 1, v[34:35]
	v_accvgpr_read_b32 v20, a6
	v_accvgpr_read_b32 v19, a5
	;; [unrolled: 1-line block ×3, first 2 shown]
	v_lshl_add_u64 v[24:25], s[6:7], 0, v[22:23]
	v_lshl_add_u64 v[22:23], s[10:11], 0, v[22:23]
	v_mov_b32_e32 v31, 0
	v_lshlrev_b32_e32 v26, 8, v45
	v_mov_b32_e32 v27, 0
	s_and_saveexec_b64 s[6:7], s[0:1]
	s_cbranch_execz .LBB301_71
; %bb.70:
	v_mov_b32_e32 v27, 0
	v_lshl_add_u64 v[32:33], v[24:25], 0, v[26:27]
	global_load_ushort v35, v[32:33], off
	v_lshl_add_u64 v[32:33], v[22:23], 0, v[26:27]
	s_waitcnt vmcnt(0)
	v_lshlrev_b32_e32 v27, 16, v35
	v_sub_f32_e32 v18, v27, v18
	global_store_short_d16_hi v[32:33], v18, off
	v_mul_f32_e32 v18, v39, v18
	v_lshrrev_b32_e32 v27, 16, v18
.LBB301_71:
	s_or_b64 exec, exec, s[6:7]
	v_lshlrev_b32_e32 v30, 8, v30
	s_and_saveexec_b64 s[6:7], s[4:5]
	s_cbranch_execz .LBB301_73
; %bb.72:
	v_mov_b32_e32 v31, 0
	v_lshl_add_u64 v[32:33], v[24:25], 0, v[30:31]
	global_load_ushort v18, v[32:33], off
	v_lshl_add_u64 v[32:33], v[22:23], 0, v[30:31]
	s_waitcnt vmcnt(0)
	v_lshlrev_b32_e32 v18, 16, v18
	v_sub_f32_e32 v18, v18, v19
	global_store_short_d16_hi v[32:33], v18, off
	v_mul_f32_e32 v18, v38, v18
	v_lshrrev_b32_e32 v31, 16, v18
.LBB301_73:
	s_or_b64 exec, exec, s[6:7]
	v_mov_b32_e32 v46, 0
	v_lshlrev_b32_e32 v32, 8, v28
	v_mov_b32_e32 v33, 0
	s_and_saveexec_b64 s[6:7], s[2:3]
	s_cbranch_execz .LBB301_75
; %bb.74:
	v_mov_b32_e32 v33, 0
	v_lshl_add_u64 v[18:19], v[24:25], 0, v[32:33]
	global_load_ushort v28, v[18:19], off
	v_lshl_add_u64 v[18:19], v[22:23], 0, v[32:33]
	s_waitcnt vmcnt(0)
	v_lshlrev_b32_e32 v28, 16, v28
	v_sub_f32_e32 v20, v28, v20
	global_store_short_d16_hi v[18:19], v20, off
	v_mul_f32_e32 v18, v44, v20
	v_lshrrev_b32_e32 v33, 16, v18
.LBB301_75:
	s_or_b64 exec, exec, s[6:7]
	v_lshlrev_b32_e32 v28, 8, v29
	s_and_saveexec_b64 s[6:7], vcc
	s_cbranch_execz .LBB301_77
; %bb.76:
	v_mov_b32_e32 v29, 0
	v_lshl_add_u64 v[18:19], v[24:25], 0, v[28:29]
	global_load_ushort v20, v[18:19], off
	v_lshl_add_u64 v[18:19], v[22:23], 0, v[28:29]
	s_waitcnt vmcnt(0)
	v_lshlrev_b32_e32 v20, 16, v20
	v_sub_f32_e32 v20, v20, v21
	global_store_short_d16_hi v[18:19], v20, off
	v_mul_f32_e32 v18, v36, v20
	v_lshrrev_b32_e32 v46, 16, v18
.LBB301_77:
	s_or_b64 exec, exec, s[6:7]
	v_lshlrev_b32_e32 v35, 5, v45
	s_mov_b32 s6, 0x5040100
	v_perm_b32 v47, v46, v33, s6
	v_perm_b32 v46, v31, v27, s6
	v_or_b32_e32 v27, v35, v40
	v_accvgpr_read_b32 v21, a3
	v_lshlrev_b32_e32 v27, 1, v27
	v_accvgpr_read_b32 v20, a2
	v_accvgpr_read_b32 v19, a1
	;; [unrolled: 1-line block ×3, first 2 shown]
	ds_write_b64 v27, v[46:47] offset:45056
	v_mov_b32_e32 v31, 0
	v_mov_b32_e32 v27, 0
	s_and_saveexec_b64 s[6:7], s[0:1]
	s_cbranch_execz .LBB301_79
; %bb.78:
	v_mov_b32_e32 v27, 0
	v_lshl_add_u64 v[46:47], v[24:25], 0, v[26:27]
	global_load_ushort v29, v[46:47], off offset:32
	v_lshl_add_u64 v[26:27], v[22:23], 0, v[26:27]
	s_waitcnt vmcnt(0)
	v_lshlrev_b32_e32 v29, 16, v29
	v_sub_f32_e32 v18, v29, v18
	global_store_short_d16_hi v[26:27], v18, off offset:32
	v_mul_f32_e32 v18, v39, v18
	v_lshrrev_b32_e32 v27, 16, v18
.LBB301_79:
	s_or_b64 exec, exec, s[6:7]
	s_and_saveexec_b64 s[0:1], s[4:5]
	s_cbranch_execz .LBB301_81
; %bb.80:
	v_mov_b32_e32 v31, 0
	v_lshl_add_u64 v[46:47], v[24:25], 0, v[30:31]
	global_load_ushort v18, v[46:47], off offset:32
	v_lshl_add_u64 v[30:31], v[22:23], 0, v[30:31]
	s_waitcnt vmcnt(0)
	v_lshlrev_b32_e32 v18, 16, v18
	v_sub_f32_e32 v18, v18, v19
	global_store_short_d16_hi v[30:31], v18, off offset:32
	v_mul_f32_e32 v18, v38, v18
	v_lshrrev_b32_e32 v31, 16, v18
.LBB301_81:
	s_or_b64 exec, exec, s[0:1]
	v_mov_b32_e32 v26, 0
	v_mov_b32_e32 v30, 0
	s_and_saveexec_b64 s[0:1], s[2:3]
	s_cbranch_execz .LBB301_83
; %bb.82:
	v_mov_b32_e32 v33, 0
	v_lshl_add_u64 v[18:19], v[24:25], 0, v[32:33]
	global_load_ushort v29, v[18:19], off offset:32
	v_lshl_add_u64 v[18:19], v[22:23], 0, v[32:33]
	s_waitcnt vmcnt(0)
	v_lshlrev_b32_e32 v29, 16, v29
	v_sub_f32_e32 v20, v29, v20
	global_store_short_d16_hi v[18:19], v20, off offset:32
	v_mul_f32_e32 v18, v44, v20
	v_lshrrev_b32_e32 v30, 16, v18
.LBB301_83:
	s_or_b64 exec, exec, s[0:1]
	v_or_b32_e32 v19, 0xb000, v42
	v_or_b32_e32 v18, 0xb000, v43
	s_and_saveexec_b64 s[0:1], vcc
	s_cbranch_execz .LBB301_85
; %bb.84:
	v_mov_b32_e32 v29, 0
	v_lshl_add_u64 v[24:25], v[24:25], 0, v[28:29]
	global_load_ushort v20, v[24:25], off offset:32
	v_lshl_add_u64 v[22:23], v[22:23], 0, v[28:29]
	s_waitcnt vmcnt(0)
	v_lshlrev_b32_e32 v20, 16, v20
	v_sub_f32_e32 v20, v20, v21
	global_store_short_d16_hi v[22:23], v20, off offset:32
	v_mul_f32_e32 v20, v36, v20
	v_lshrrev_b32_e32 v26, 16, v20
.LBB301_85:
	s_or_b64 exec, exec, s[0:1]
	s_mov_b32 s0, 0x5040100
	v_or_b32_e32 v22, v35, v37
	v_perm_b32 v21, v26, v30, s0
	v_perm_b32 v20, v31, v27, s0
	v_lshlrev_b32_e32 v22, 1, v22
	s_movk_i32 s0, 0x100
	ds_write_b64 v22, v[20:21] offset:45056
	v_and_b32_e32 v20, 7, v0
	v_and_b32_e32 v21, 8, v0
	v_cmp_gt_u32_e32 vcc, s0, v0
	v_lshrrev_b32_e32 v0, 1, v0
	v_lshlrev_b32_e32 v35, 3, v20
	v_lshlrev_b32_e32 v36, 7, v20
	v_mov_b32_e32 v20, 0x4000
	v_mov_b32_e32 v22, 0x2000
	v_lshlrev_b32_e32 v38, 3, v58
	v_and_b32_e32 v0, 24, v0
	v_cndmask_b32_e32 v37, v20, v22, vcc
	v_xor_b32_e32 v20, v38, v0
	v_or_b32_e32 v26, 32, v0
	v_or_b32_e32 v22, 0x440, v20
	v_cmp_eq_u32_e32 vcc, 0, v21
	v_xor_b32_e32 v26, v38, v26
	v_or_b32_e32 v27, 0x440, v26
	v_cndmask_b32_e32 v20, v22, v20, vcc
	v_or_b32_e32 v20, v20, v41
	v_cndmask_b32_e32 v26, v27, v26, vcc
	v_xad_u32 v40, v20, v35, v36
	v_or_b32_e32 v26, v26, v41
	v_add_u32_e32 v20, v37, v40
	v_xad_u32 v42, v26, v35, v36
	s_waitcnt lgkmcnt(0)
	s_barrier
	ds_read_b64 v[24:25], v20
	ds_read2_b64 v[20:23], v19 offset1:16
	v_add_u32_e32 v26, v37, v42
	ds_read_b64 v[32:33], v26
	s_waitcnt lgkmcnt(1)
	v_mfma_f32_16x16x16_bf16 a[0:3], v[24:25], v[20:21], 0
	ds_read2st64_b64 v[28:31], v18 offset0:2 offset1:4
	v_mfma_f32_16x16x16_bf16 a[4:7], v[24:25], v[22:23], 0
	ds_read2st64_b64 v[24:27], v19 offset0:2 offset1:4
	s_waitcnt lgkmcnt(0)
	v_mfma_f32_16x16x16_bf16 a[0:3], v[32:33], v[24:25], a[0:3]
	v_mfma_f32_16x16x16_bf16 a[4:7], v[32:33], v[28:29], a[4:7]
	v_or_b32_e32 v32, 64, v0
	v_xor_b32_e32 v32, v38, v32
	v_xor_b32_e32 v33, 0x440, v32
	v_cndmask_b32_e32 v32, v33, v32, vcc
	v_or_b32_e32 v32, v32, v41
	v_xad_u32 v43, v32, v35, v36
	v_add_u32_e32 v32, v37, v43
	ds_read_b64 v[32:33], v32
	v_or_b32_e32 v0, 0x60, v0
	v_xor_b32_e32 v0, v38, v0
	v_xor_b32_e32 v38, 0x440, v0
	v_cndmask_b32_e32 v0, v38, v0, vcc
	v_or_b32_e32 v0, v0, v41
	v_xad_u32 v0, v0, v35, v36
	v_add_u32_e32 v35, v37, v0
	ds_read_b64 v[36:37], v35
	s_waitcnt lgkmcnt(1)
	v_mfma_f32_16x16x16_bf16 a[0:3], v[32:33], v[26:27], a[0:3]
	v_exp_f32_e32 v35, s16
	v_mfma_f32_16x16x16_bf16 a[4:7], v[32:33], v[30:31], a[4:7]
	ds_read_b64 v[32:33], v19 offset:3072
	ds_read_b64 v[38:39], v18 offset:3072
	;; [unrolled: 1-line block ×3, first 2 shown]
	s_waitcnt lgkmcnt(0)
	v_mfma_f32_16x16x16_bf16 a[8:11], v[18:19], v[20:21], 0
	ds_read_b64 v[20:21], v42 offset:16384
	v_mfma_f32_16x16x16_bf16 a[0:3], v[36:37], v[32:33], a[0:3]
	v_mfma_f32_16x16x16_bf16 a[12:15], v[18:19], v[22:23], 0
	ds_read_b64 v[22:23], v43 offset:16384
	s_nop 4
	v_accvgpr_read_b32 v18, a0
	v_fma_f32 v18, v2, v35, v18
	v_accvgpr_read_b32 v2, a1
	v_fma_f32 v19, v3, v35, v2
	v_accvgpr_read_b32 v2, a2
	s_waitcnt lgkmcnt(1)
	v_mfma_f32_16x16x16_bf16 a[8:11], v[20:21], v[24:25], a[8:11]
	v_mfma_f32_16x16x16_bf16 a[12:15], v[20:21], v[28:29], a[12:15]
	v_fma_f32 v20, v4, v35, v2
	ds_read_b64 v[2:3], v0 offset:16384
	v_accvgpr_read_b32 v21, a3
	s_waitcnt lgkmcnt(1)
	v_mfma_f32_16x16x16_bf16 a[0:3], v[22:23], v[26:27], a[8:11]
	v_fmac_f32_e32 v21, v5, v35
	v_mfma_f32_16x16x16_bf16 a[4:7], v[36:37], v[38:39], a[4:7]
	v_mfma_f32_16x16x16_bf16 a[8:11], v[22:23], v[30:31], a[12:15]
	s_waitcnt lgkmcnt(0)
	v_mfma_f32_16x16x16_bf16 a[0:3], v[2:3], v[32:33], a[0:3]
	s_nop 3
	v_accvgpr_read_b32 v0, a4
	v_fma_f32 v26, v10, v35, v0
	v_accvgpr_read_b32 v0, a5
	v_fma_f32 v27, v11, v35, v0
	v_accvgpr_read_b32 v0, a6
	v_accvgpr_read_b32 v29, a7
	v_mfma_f32_16x16x16_bf16 a[4:7], v[2:3], v[38:39], a[8:11]
	v_fma_f32 v28, v12, v35, v0
	v_accvgpr_read_b32 v0, a0
	v_fma_f32 v22, v6, v35, v0
	v_accvgpr_read_b32 v0, a1
	;; [unrolled: 2-line block ×5, first 2 shown]
	v_accvgpr_read_b32 v25, a3
	v_fma_f32 v31, v15, v35, v0
	v_accvgpr_read_b32 v0, a6
	v_accvgpr_read_b32 v33, a7
	v_fmac_f32_e32 v29, v13, v35
	v_fmac_f32_e32 v25, v9, v35
	v_fma_f32 v32, v16, v35, v0
	v_fmac_f32_e32 v33, v17, v35
	v_mov_b64_e32 v[2:3], v[18:19]
	v_mov_b64_e32 v[4:5], v[20:21]
	;; [unrolled: 1-line block ×8, first 2 shown]
	v_mov_b32_e32 v18, v34
.LBB301_86:
	s_lshl_b64 s[0:1], s[8:9], 15
	s_waitcnt lgkmcnt(0)
	s_add_u32 s0, s34, s0
	v_lshlrev_b32_e32 v18, 7, v18
	s_addc_u32 s1, s35, s1
	v_ashrrev_i32_e32 v19, 31, v18
	v_lshl_add_u64 v[20:21], v[18:19], 1, s[0:1]
	v_lshlrev_b32_e32 v0, 1, v1
	v_mov_b32_e32 v1, 0
	s_mov_b32 s2, 0x7060302
	v_lshl_add_u64 v[20:21], v[20:21], 0, v[0:1]
	v_perm_b32 v5, v5, v4, s2
	v_perm_b32 v4, v3, v2, s2
	;; [unrolled: 1-line block ×4, first 2 shown]
	global_store_dwordx2 v[20:21], v[2:3], off offset:128
	v_or_b32_e32 v2, 0x800, v18
	v_ashrrev_i32_e32 v3, 31, v2
	v_lshl_add_u64 v[2:3], v[2:3], 1, s[0:1]
	v_lshl_add_u64 v[0:1], v[2:3], 0, v[0:1]
	v_perm_b32 v3, v13, v12, s2
	v_perm_b32 v2, v11, v10, s2
	global_store_dwordx2 v[0:1], v[2:3], off
	v_perm_b32 v3, v17, v16, s2
	v_perm_b32 v2, v15, v14, s2
	global_store_dwordx2 v[20:21], v[4:5], off
	global_store_dwordx2 v[0:1], v[2:3], off offset:128
	s_endpgm
	.section	.rodata,"a",@progbits
	.p2align	6, 0x0
	.amdhsa_kernel _ZN12_GLOBAL__N_139chunk_gated_delta_rule_fwd_h_hip_kernelILi32ELb0ELb1ELb1ELb0ELb1ELb0ELb1ELb1EEEvPK12hip_bfloat16S3_S3_PKfS5_PKvPS1_S8_PvPKiSB_iiiiilll
		.amdhsa_group_segment_fixed_size 49152
		.amdhsa_private_segment_fixed_size 0
		.amdhsa_kernarg_size 136
		.amdhsa_user_sgpr_count 2
		.amdhsa_user_sgpr_dispatch_ptr 0
		.amdhsa_user_sgpr_queue_ptr 0
		.amdhsa_user_sgpr_kernarg_segment_ptr 1
		.amdhsa_user_sgpr_dispatch_id 0
		.amdhsa_user_sgpr_kernarg_preload_length 0
		.amdhsa_user_sgpr_kernarg_preload_offset 0
		.amdhsa_user_sgpr_private_segment_size 0
		.amdhsa_uses_dynamic_stack 0
		.amdhsa_enable_private_segment 0
		.amdhsa_system_sgpr_workgroup_id_x 1
		.amdhsa_system_sgpr_workgroup_id_y 1
		.amdhsa_system_sgpr_workgroup_id_z 0
		.amdhsa_system_sgpr_workgroup_info 0
		.amdhsa_system_vgpr_workitem_id 0
		.amdhsa_next_free_vgpr 148
		.amdhsa_next_free_sgpr 68
		.amdhsa_accum_offset 132
		.amdhsa_reserve_vcc 1
		.amdhsa_float_round_mode_32 0
		.amdhsa_float_round_mode_16_64 0
		.amdhsa_float_denorm_mode_32 3
		.amdhsa_float_denorm_mode_16_64 3
		.amdhsa_dx10_clamp 1
		.amdhsa_ieee_mode 1
		.amdhsa_fp16_overflow 0
		.amdhsa_tg_split 0
		.amdhsa_exception_fp_ieee_invalid_op 0
		.amdhsa_exception_fp_denorm_src 0
		.amdhsa_exception_fp_ieee_div_zero 0
		.amdhsa_exception_fp_ieee_overflow 0
		.amdhsa_exception_fp_ieee_underflow 0
		.amdhsa_exception_fp_ieee_inexact 0
		.amdhsa_exception_int_div_zero 0
	.end_amdhsa_kernel
	.section	.text._ZN12_GLOBAL__N_139chunk_gated_delta_rule_fwd_h_hip_kernelILi32ELb0ELb1ELb1ELb0ELb1ELb0ELb1ELb1EEEvPK12hip_bfloat16S3_S3_PKfS5_PKvPS1_S8_PvPKiSB_iiiiilll,"axG",@progbits,_ZN12_GLOBAL__N_139chunk_gated_delta_rule_fwd_h_hip_kernelILi32ELb0ELb1ELb1ELb0ELb1ELb0ELb1ELb1EEEvPK12hip_bfloat16S3_S3_PKfS5_PKvPS1_S8_PvPKiSB_iiiiilll,comdat
.Lfunc_end301:
	.size	_ZN12_GLOBAL__N_139chunk_gated_delta_rule_fwd_h_hip_kernelILi32ELb0ELb1ELb1ELb0ELb1ELb0ELb1ELb1EEEvPK12hip_bfloat16S3_S3_PKfS5_PKvPS1_S8_PvPKiSB_iiiiilll, .Lfunc_end301-_ZN12_GLOBAL__N_139chunk_gated_delta_rule_fwd_h_hip_kernelILi32ELb0ELb1ELb1ELb0ELb1ELb0ELb1ELb1EEEvPK12hip_bfloat16S3_S3_PKfS5_PKvPS1_S8_PvPKiSB_iiiiilll
                                        ; -- End function
	.section	.AMDGPU.csdata,"",@progbits
; Kernel info:
; codeLenInByte = 9692
; NumSgprs: 74
; NumVgprs: 132
; NumAgprs: 16
; TotalNumVgprs: 148
; ScratchSize: 0
; MemoryBound: 0
; FloatMode: 240
; IeeeMode: 1
; LDSByteSize: 49152 bytes/workgroup (compile time only)
; SGPRBlocks: 9
; VGPRBlocks: 18
; NumSGPRsForWavesPerEU: 74
; NumVGPRsForWavesPerEU: 148
; AccumOffset: 132
; Occupancy: 1
; WaveLimiterHint : 1
; COMPUTE_PGM_RSRC2:SCRATCH_EN: 0
; COMPUTE_PGM_RSRC2:USER_SGPR: 2
; COMPUTE_PGM_RSRC2:TRAP_HANDLER: 0
; COMPUTE_PGM_RSRC2:TGID_X_EN: 1
; COMPUTE_PGM_RSRC2:TGID_Y_EN: 1
; COMPUTE_PGM_RSRC2:TGID_Z_EN: 0
; COMPUTE_PGM_RSRC2:TIDIG_COMP_CNT: 0
; COMPUTE_PGM_RSRC3_GFX90A:ACCUM_OFFSET: 32
; COMPUTE_PGM_RSRC3_GFX90A:TG_SPLIT: 0
	.section	.text._ZN12_GLOBAL__N_139chunk_gated_delta_rule_fwd_h_hip_kernelILi32ELb0ELb1ELb0ELb0ELb1ELb0ELb1ELb1EEEvPK12hip_bfloat16S3_S3_PKfS5_PKvPS1_S8_PvPKiSB_iiiiilll,"axG",@progbits,_ZN12_GLOBAL__N_139chunk_gated_delta_rule_fwd_h_hip_kernelILi32ELb0ELb1ELb0ELb0ELb1ELb0ELb1ELb1EEEvPK12hip_bfloat16S3_S3_PKfS5_PKvPS1_S8_PvPKiSB_iiiiilll,comdat
	.globl	_ZN12_GLOBAL__N_139chunk_gated_delta_rule_fwd_h_hip_kernelILi32ELb0ELb1ELb0ELb0ELb1ELb0ELb1ELb1EEEvPK12hip_bfloat16S3_S3_PKfS5_PKvPS1_S8_PvPKiSB_iiiiilll ; -- Begin function _ZN12_GLOBAL__N_139chunk_gated_delta_rule_fwd_h_hip_kernelILi32ELb0ELb1ELb0ELb0ELb1ELb0ELb1ELb1EEEvPK12hip_bfloat16S3_S3_PKfS5_PKvPS1_S8_PvPKiSB_iiiiilll
	.p2align	8
	.type	_ZN12_GLOBAL__N_139chunk_gated_delta_rule_fwd_h_hip_kernelILi32ELb0ELb1ELb0ELb0ELb1ELb0ELb1ELb1EEEvPK12hip_bfloat16S3_S3_PKfS5_PKvPS1_S8_PvPKiSB_iiiiilll,@function
_ZN12_GLOBAL__N_139chunk_gated_delta_rule_fwd_h_hip_kernelILi32ELb0ELb1ELb0ELb0ELb1ELb0ELb1ELb1EEEvPK12hip_bfloat16S3_S3_PKfS5_PKvPS1_S8_PvPKiSB_iiiiilll: ; @_ZN12_GLOBAL__N_139chunk_gated_delta_rule_fwd_h_hip_kernelILi32ELb0ELb1ELb0ELb0ELb1ELb0ELb1ELb1EEEvPK12hip_bfloat16S3_S3_PKfS5_PKvPS1_S8_PvPKiSB_iiiiilll
; %bb.0:
	s_load_dwordx4 s[24:27], s[0:1], 0x5c
	s_load_dwordx4 s[28:31], s[0:1], 0x70
	s_abs_i32 s6, s3
	s_ashr_i32 s5, s3, 31
	s_load_dwordx8 s[16:23], s[0:1], 0x0
	s_waitcnt lgkmcnt(0)
	s_abs_i32 s4, s25
	v_cvt_f32_u32_e32 v1, s4
	s_sub_i32 s8, 0, s4
	s_ashr_i32 s7, s25, 31
	s_xor_b32 s5, s5, s7
	v_rcp_iflag_f32_e32 v1, v1
	s_load_dwordx2 s[34:35], s[0:1], 0x40
	s_load_dwordx2 s[38:39], s[0:1], 0x30
	;; [unrolled: 1-line block ×3, first 2 shown]
	s_mov_b32 s0, 0
	v_mul_f32_e32 v1, 0x4f7ffffe, v1
	v_cvt_u32_f32_e32 v1, v1
	v_lshrrev_b32_e32 v56, 6, v0
	v_bfe_u32 v59, v0, 4, 2
	v_lshlrev_b32_e32 v57, 4, v56
	v_readfirstlane_b32 s9, v1
	s_mul_i32 s8, s8, s9
	s_mul_hi_u32 s8, s9, s8
	s_add_i32 s9, s9, s8
	s_mul_hi_u32 s8, s6, s9
	s_mul_i32 s9, s8, s4
	s_sub_i32 s6, s6, s9
	s_add_i32 s10, s8, 1
	s_sub_i32 s9, s6, s4
	s_cmp_ge_u32 s6, s4
	s_cselect_b32 s8, s10, s8
	s_cselect_b32 s6, s9, s6
	s_add_i32 s9, s8, 1
	s_cmp_ge_u32 s6, s4
	s_cselect_b32 s6, s9, s8
	s_xor_b32 s6, s6, s5
	s_sub_i32 s49, s6, s5
	s_abs_i32 s6, s26
	v_cvt_f32_u32_e32 v1, s6
	s_mul_i32 s47, s49, s25
	s_sub_i32 s33, s3, s47
	s_add_i32 s3, s24, 63
	v_rcp_iflag_f32_e32 v1, v1
	s_ashr_i32 s5, s3, 31
	s_lshr_b32 s5, s5, 26
	s_ashr_i32 s48, s24, 31
	v_mul_f32_e32 v1, 0x4f7ffffe, v1
	v_cvt_u32_f32_e32 v1, v1
	s_add_i32 s3, s3, s5
	s_lshr_b32 s5, s48, 26
	s_add_i32 s5, s24, s5
	s_ashr_i32 s44, s26, 31
	s_ashr_i32 s51, s5, 6
	s_xor_b32 s5, s7, s44
	s_sub_i32 s7, 0, s6
	v_readfirstlane_b32 s8, v1
	s_mul_i32 s7, s7, s8
	s_mul_hi_u32 s7, s8, s7
	s_add_i32 s8, s8, s7
	s_mul_hi_u32 s7, s4, s8
	s_mul_i32 s8, s7, s6
	s_sub_i32 s4, s4, s8
	s_ashr_i32 s3, s3, 6
	s_add_i32 s8, s7, 1
	s_sub_i32 s9, s4, s6
	s_cmp_ge_u32 s4, s6
	s_cselect_b32 s7, s8, s7
	s_cselect_b32 s4, s9, s4
	s_add_i32 s8, s7, 1
	s_cmp_ge_u32 s4, s6
	s_cselect_b32 s4, s8, s7
	s_xor_b32 s4, s4, s5
	s_sub_i32 s4, s4, s5
	s_abs_i32 s5, s4
	v_cvt_f32_u32_e32 v1, s5
	s_sub_i32 s6, 0, s5
	s_xor_b32 s1, s33, s4
	s_abs_i32 s4, s33
	v_rcp_iflag_f32_e32 v1, v1
	s_ashr_i32 s1, s1, 31
	v_lshlrev_b32_e32 v18, 2, v59
	s_mov_b32 s14, s0
	v_mul_f32_e32 v1, 0x4f7ffffe, v1
	v_cvt_u32_f32_e32 v1, v1
	s_mov_b32 s15, s0
	v_and_b32_e32 v58, 63, v0
	s_mul_i32 s53, s49, s3
	v_readfirstlane_b32 s7, v1
	s_mul_i32 s6, s6, s7
	s_mul_hi_u32 s6, s7, s6
	s_add_i32 s7, s7, s6
	s_mul_hi_u32 s6, s4, s7
	s_mul_i32 s7, s6, s5
	s_sub_i32 s4, s4, s7
	s_add_i32 s7, s6, 1
	s_sub_i32 s8, s4, s5
	s_cmp_ge_u32 s4, s5
	s_cselect_b32 s6, s7, s6
	s_cselect_b32 s4, s8, s4
	s_add_i32 s7, s6, 1
	s_cmp_ge_u32 s4, s5
	s_cselect_b32 s4, s7, s6
	s_xor_b32 s4, s4, s1
	s_sub_i32 s54, s4, s1
	v_or_b32_e32 v1, v18, v57
	s_lshl_b32 s40, s2, 5
	s_mov_b32 s1, s0
	s_mov_b32 s2, s0
	;; [unrolled: 1-line block ×13, first 2 shown]
	v_mov_b64_e32 v[16:17], s[14:15]
	v_and_b32_e32 v60, 15, v0
	v_or_b32_e32 v63, 64, v1
	s_cmp_lt_i32 s24, 64
	v_mov_b64_e32 v[14:15], s[12:13]
	v_mov_b64_e32 v[12:13], s[10:11]
	;; [unrolled: 1-line block ×7, first 2 shown]
	s_mul_hi_i32 s55, s49, s25
	v_lshrrev_b32_e32 v62, 3, v58
	v_lshlrev_b32_e32 v61, 3, v0
	s_mul_i32 s29, s49, s29
	s_mul_hi_u32 s46, s49, s28
	s_mul_i32 s12, s49, s28
	s_cbranch_scc1 .LBB302_19
; %bb.1:
	s_ashr_i32 s8, s49, 31
	s_ashr_i32 s50, s33, 31
	s_add_u32 s0, s47, s33
	s_addc_u32 s1, s55, s50
	s_mul_i32 s1, s24, s1
	s_mul_hi_u32 s2, s24, s0
	s_add_i32 s3, s2, s1
	s_mul_i32 s2, s24, s0
	s_lshl_b64 s[0:1], s[2:3], 8
	v_and_b32_e32 v9, 56, v61
	s_add_u32 s4, s18, s0
	v_lshl_or_b32 v5, v56, 3, v62
	v_lshlrev_b32_e32 v2, 1, v9
	s_addc_u32 s0, s19, s1
	v_lshl_or_b32 v13, v5, 8, v2
	s_and_b32 s5, s0, 0xffff
	s_mov_b32 s7, 0x20000
	s_movk_i32 s6, 0x4000
	s_movk_i32 s0, 0x80
	v_or_b32_e32 v17, 0x2000, v13
	buffer_load_dwordx4 v[20:23], v13, s[4:7], 0 offen
	buffer_load_dwordx4 v[24:27], v13, s[4:7], s0 offen
	;; [unrolled: 1-line block ×4, first 2 shown]
	v_lshlrev_b32_e32 v3, 3, v5
	v_and_or_b32 v6, v0, 7, v3
	v_and_b32_e32 v3, 0x78, v3
	v_lshlrev_b32_e32 v6, 4, v6
	v_xor_b32_e32 v64, v6, v3
	v_mul_lo_u32 v4, v5, s27
	v_or_b32_e32 v65, 0x1000, v64
	v_xor_b32_e32 v3, 8, v64
	s_cmpk_eq_i32 s27, 0x80
	s_mov_b32 s45, s26
	v_xor_b32_e32 v6, 8, v65
	s_cselect_b64 s[0:1], -1, 0
	s_cmpk_lg_i32 s27, 0x80
	s_waitcnt vmcnt(3)
	ds_write_b64 v64, v[20:21] offset:24576
	ds_write_b64 v3, v[22:23] offset:24576
	s_waitcnt vmcnt(2)
	ds_write_b64 v64, v[24:25] offset:32768
	ds_write_b64 v3, v[26:27] offset:32768
	;; [unrolled: 3-line block ×4, first 2 shown]
	v_lshl_add_u32 v3, v4, 1, v9
	s_cbranch_scc0 .LBB302_3
; %bb.2:
	v_lshlrev_b32_e32 v6, 1, v3
	v_add_lshl_u32 v4, v3, s27, 1
	s_lshl_b32 s6, s27, 7
	v_lshl_or_b32 v2, v5, 9, v2
	s_cbranch_execz .LBB302_4
	s_branch .LBB302_5
.LBB302_3:
                                        ; implicit-def: $vgpr4
                                        ; implicit-def: $vgpr6
                                        ; implicit-def: $sgpr6
	v_lshl_or_b32 v2, v5, 9, v2
.LBB302_4:
	v_or_b32_e32 v4, 0x100, v2
	s_movk_i32 s6, 0x4000
	v_mov_b32_e32 v6, v2
.LBB302_5:
	s_mul_hi_u32 s4, s26, s24
	s_mul_i32 s5, s44, s24
	s_add_i32 s4, s4, s5
	s_mul_i32 s5, s26, s24
	s_mul_i32 s7, s5, s8
	s_mul_hi_u32 s9, s5, s49
	s_add_i32 s7, s9, s7
	s_mul_i32 s4, s4, s49
	s_add_i32 s7, s7, s4
	s_mul_i32 s5, s5, s49
	s_ashr_i32 s52, s54, 31
	s_add_u32 s4, s5, s54
	s_addc_u32 s5, s7, s52
	s_lshl_b64 s[4:5], s[4:5], 8
	s_add_u32 s4, s16, s4
	s_addc_u32 s5, s17, s5
	s_and_b32 s5, s5, 0xffff
	s_mov_b32 s7, 0x20000
	s_movk_i32 s56, 0x80
	buffer_load_dwordx4 v[20:23], v6, s[4:7], 0 offen
	buffer_load_dwordx4 v[24:27], v6, s[4:7], s56 offen
	;; [unrolled: 1-line block ×4, first 2 shown]
	v_and_b32_e32 v4, 6, v0
	v_lshlrev_b32_e32 v8, 6, v1
	v_or_b32_e32 v11, 16, v60
	v_xor_b32_e32 v12, v5, v4
	v_and_b32_e32 v6, 1, v0
	s_mul_i32 s4, s8, s24
	s_mul_hi_u32 s5, s49, s24
	v_lshl_or_b32 v16, v60, 3, v8
	v_lshl_or_b32 v8, v11, 3, v8
	v_lshlrev_b32_e32 v12, 2, v12
	v_lshlrev_b32_e32 v7, 2, v60
	v_or_b32_e32 v68, 0xa000, v8
	v_or_b32_e32 v69, 0xb000, v8
	v_xor_b32_e32 v8, 0x440, v12
	v_cmp_eq_u32_e32 vcc, 0, v6
	s_add_i32 s61, s5, s4
	s_add_i32 s4, s46, s29
	s_mul_i32 s8, s8, s28
	v_xor_b32_e32 v14, v1, v7
	v_xor_b32_e32 v15, v63, v7
	v_cndmask_b32_e32 v6, v8, v12, vcc
	s_add_i32 s13, s4, s8
	s_mul_i32 s4, s33, s31
	s_mul_hi_u32 s5, s33, s30
	s_mov_b32 s58, 0x1000504
	v_lshlrev_b32_e32 v10, 8, v60
	v_lshlrev_b32_e32 v14, 1, v14
	;; [unrolled: 1-line block ×3, first 2 shown]
	v_lshl_or_b32 v4, v4, 10, v6
	s_add_i32 s4, s5, s4
	s_mul_i32 s5, s50, s30
	s_mov_b32 s59, 0x3020706
	v_or_b32_e32 v66, 0xa000, v16
	v_or_b32_e32 v67, 0xb000, v16
	v_or_b32_e32 v70, v10, v14
	v_or_b32_e32 v71, v10, v15
	v_xor_b32_e32 v6, 8, v4
	v_xor_b32_e32 v10, 24, v4
	;; [unrolled: 1-line block ×4, first 2 shown]
	s_add_i32 s5, s4, s5
	s_lshl_b64 s[8:9], s[12:13], 2
	v_xor_b32_e32 v8, 16, v4
	v_xor_b32_e32 v12, 32, v4
	;; [unrolled: 1-line block ×3, first 2 shown]
	v_add_u32_e32 v6, 0x80, v6
	v_add_u32_e32 v10, 0x80, v10
	;; [unrolled: 1-line block ×4, first 2 shown]
	s_mul_i32 s4, s33, s30
	s_add_u32 s6, s22, s8
	s_addc_u32 s8, s23, s9
	s_lshl_b64 s[4:5], s[4:5], 2
	s_add_u32 s14, s6, s4
	s_movk_i32 s4, 0xf8
	s_addc_u32 s15, s8, s5
	s_ashr_i32 s41, s40, 31
	s_lshl_b32 s10, s27, 7
	s_movk_i32 s8, 0x100
	v_mov_b32_e32 v51, 0
	v_lshlrev_b32_e32 v50, 4, v60
	v_cmp_gt_u32_e32 vcc, s8, v0
	s_mov_b32 s57, 0
	s_mul_i32 s60, s49, s24
	s_movk_i32 s13, 0x1000
	s_movk_i32 s6, 0x4000
	v_add_u32_e32 v91, v57, v18
	s_mov_b32 s63, 0
	v_mov_b32_e32 v97, v51
	v_mov_b32_e32 v96, v51
	;; [unrolled: 1-line block ×4, first 2 shown]
	s_waitcnt vmcnt(1)
	v_perm_b32 v37, v20, v28, s58
	s_waitcnt vmcnt(0)
	v_perm_b32 v38, v24, v32, s58
	v_perm_b32 v20, v20, v28, s59
	;; [unrolled: 1-line block ×15, first 2 shown]
	ds_write2st64_b32 v4, v37, v38 offset0:32 offset1:64
	ds_write2st64_b32 v6, v20, v24 offset0:32 offset1:64
	;; [unrolled: 1-line block ×8, first 2 shown]
	v_lshlrev_b32_e32 v4, 8, v11
	v_or_b32_e32 v72, v4, v14
	v_or_b32_e32 v73, v4, v15
	;; [unrolled: 1-line block ×3, first 2 shown]
	v_lshlrev_b32_e32 v4, 3, v4
	v_lshrrev_b32_e32 v10, 5, v58
	v_and_or_b32 v10, v4, s4, v10
	v_lshlrev_b32_e32 v8, 11, v56
	v_lshlrev_b32_e32 v10, 4, v10
	v_and_b32_e32 v4, 0x78, v4
	v_and_b32_e32 v6, 0x1000, v8
	v_xor_b32_e32 v11, v10, v4
	v_lshrrev_b32_e32 v12, 1, v0
	v_or_b32_e32 v11, v11, v6
	v_and_b32_e32 v14, 8, v12
	v_xor_b32_e32 v74, v11, v14
	v_or_b32_e32 v11, 32, v10
	v_xor_b32_e32 v11, v11, v4
	v_or_b32_e32 v11, v11, v6
	;; [unrolled: 2-line block ×4, first 2 shown]
	s_lshl_b64 s[4:5], s[40:41], 8
	v_or_b32_e32 v11, v11, v6
	v_xor_b32_e32 v4, v10, v4
	s_waitcnt lgkmcnt(0)
	s_add_u32 s4, s38, s4
	v_lshlrev_b32_e32 v10, 1, v60
	v_xor_b32_e32 v78, v11, v14
	v_lshrrev_b32_e32 v19, 4, v0
	s_addc_u32 s5, s39, s5
	v_or_b32_e32 v11, 1, v10
	v_mov_b32_e32 v23, 0x4000
	v_mov_b32_e32 v24, 0x2000
	v_xor_b32_e32 v20, v19, v10
	v_xor_b32_e32 v21, v11, v19
	v_lshl_add_u64 v[10:11], s[4:5], 0, v[50:51]
	v_lshlrev_b32_e32 v50, 8, v19
	v_cndmask_b32_e32 v23, v23, v24, vcc
	v_lshlrev_b32_e32 v24, 3, v56
	v_and_b32_e32 v12, 24, v12
	v_lshl_or_b32 v82, v20, 3, v50
	v_and_b32_e32 v20, 8, v0
	v_xor_b32_e32 v25, v24, v12
	v_or_b32_e32 v26, 0x440, v25
	v_cmp_eq_u32_e32 vcc, 0, v20
	v_and_b32_e32 v19, 7, v0
	v_lshlrev_b32_e32 v15, 7, v59
	v_cndmask_b32_e32 v20, v26, v25, vcc
	v_lshl_or_b32 v83, v21, 3, v50
	v_lshlrev_b32_e32 v21, 3, v19
	v_lshlrev_b32_e32 v19, 7, v19
	;; [unrolled: 1-line block ×3, first 2 shown]
	v_or_b32_e32 v20, v20, v8
	v_or_b32_e32 v7, v15, v7
	v_xad_u32 v84, v20, v21, v19
	v_and_or_b32 v15, v22, 60, v15
	v_mov_b32_e32 v20, 0xb000
	v_lshl_or_b32 v85, v15, 1, v20
	v_or_b32_e32 v15, 32, v12
	v_xor_b32_e32 v15, v24, v15
	v_or_b32_e32 v20, 0x440, v15
	v_cndmask_b32_e32 v15, v20, v15, vcc
	v_or_b32_e32 v15, v15, v8
	v_xad_u32 v86, v15, v21, v19
	v_or_b32_e32 v15, 64, v12
	v_xor_b32_e32 v15, v24, v15
	v_xor_b32_e32 v20, 0x440, v15
	v_cndmask_b32_e32 v15, v20, v15, vcc
	v_or_b32_e32 v12, 0x60, v12
	v_or_b32_e32 v15, v15, v8
	v_xor_b32_e32 v12, v24, v12
	v_xad_u32 v87, v15, v21, v19
	v_xor_b32_e32 v15, 0x440, v12
	v_cndmask_b32_e32 v12, v15, v12, vcc
	v_lshlrev_b32_e32 v7, 1, v7
	v_or_b32_e32 v4, v4, v6
	v_or_b32_e32 v6, s40, v60
	;; [unrolled: 1-line block ×5, first 2 shown]
	v_xor_b32_e32 v79, v4, v14
	v_or_b32_e32 v80, 0xb000, v7
	v_or_b32_e32 v81, 0xb080, v7
	v_lshlrev_b32_e32 v4, 7, v1
	v_ashrrev_i32_e32 v7, 31, v6
	v_lshlrev_b32_e32 v14, 1, v3
	v_add_lshl_u32 v3, v3, s27, 1
	v_or_b32_e32 v16, 0x100, v2
	v_xad_u32 v88, v8, v21, v19
	v_cndmask_b32_e64 v89, v14, v2, s[0:1]
	v_cndmask_b32_e64 v90, v3, v16, s[0:1]
	v_lshl_add_u64 v[52:53], v[6:7], 1, s[20:21]
	v_lshl_add_u64 v[54:55], v[10:11], 0, v[50:51]
	s_mov_b32 s41, 0x7060302
	v_lshlrev_b32_e32 v50, 1, v4
	v_add_u32_e32 v92, v23, v84
	v_add_u32_e32 v93, v23, v86
	;; [unrolled: 1-line block ×4, first 2 shown]
	v_mov_b32_e32 v2, v51
	v_mov_b32_e32 v3, v51
	;; [unrolled: 1-line block ×12, first 2 shown]
	s_barrier
.LBB302_6:                              ; =>This Inner Loop Header: Depth=1
	s_add_i32 s62, s63, 1
	s_cmp_lt_i32 s62, s51
	s_mov_b64 s[8:9], 0
	s_cselect_b64 s[42:43], -1, 0
	s_cmp_ge_i32 s62, s51
	s_mov_b64 s[4:5], 0
	s_cbranch_scc1 .LBB302_8
; %bb.7:                                ;   in Loop: Header=BB302_6 Depth=1
	s_add_i32 s0, s57, 64
	s_add_u32 s0, s2, s0
	s_addc_u32 s1, s3, 0
	s_lshl_b64 s[0:1], s[0:1], 8
	s_add_u32 s4, s18, s0
	s_addc_u32 s5, s19, s1
.LBB302_8:                              ;   in Loop: Header=BB302_6 Depth=1
	v_cndmask_b32_e64 v18, 0, 1, s[42:43]
	v_cmp_ne_u32_e64 s[0:1], 1, v18
	s_andn2_b64 vcc, exec, s[42:43]
	s_cbranch_vccnz .LBB302_10
; %bb.9:                                ;   in Loop: Header=BB302_6 Depth=1
	s_add_i32 s8, s57, 64
	s_add_u32 s8, s60, s8
	s_addc_u32 s9, s61, 0
	s_mul_i32 s11, s8, s44
	s_mul_hi_u32 s42, s8, s45
	s_add_i32 s11, s42, s11
	s_mul_i32 s9, s9, s45
	s_add_i32 s11, s11, s9
	s_mul_i32 s8, s8, s45
	s_add_u32 s8, s8, s54
	s_addc_u32 s9, s11, s52
	s_lshl_b64 s[8:9], s[8:9], 8
	s_add_u32 s8, s16, s8
	s_addc_u32 s9, s17, s9
.LBB302_10:                             ;   in Loop: Header=BB302_6 Depth=1
	v_perm_b32 v19, v97, v4, s41
	v_perm_b32 v18, v3, v2, s41
	;; [unrolled: 1-line block ×4, first 2 shown]
	ds_write_b64 v66, v[18:19]
	ds_write_b64 v67, v[20:21]
	;; [unrolled: 1-line block ×4, first 2 shown]
	v_perm_b32 v19, v99, v12, s41
	v_perm_b32 v18, v11, v10, s41
	;; [unrolled: 1-line block ×4, first 2 shown]
	ds_write_b64 v68, v[18:19]
	ds_write_b64 v69, v[20:21]
	;; [unrolled: 1-line block ×4, first 2 shown]
	s_waitcnt lgkmcnt(0)
	s_barrier
	ds_read_b64 v[22:23], v74 offset:24576
	ds_read2_b64 v[18:21], v75 offset1:16
	ds_read_b64 v[26:27], v77 offset:3072
	ds_read_b64 v[28:29], v75 offset:3072
	;; [unrolled: 1-line block ×3, first 2 shown]
	s_waitcnt lgkmcnt(3)
	v_mfma_f32_16x16x16_bf16 a[0:3], v[22:23], v[18:19], 0
	s_add_i32 s11, s57, 63
	s_mul_i32 s42, s11, s37
	s_mul_hi_u32 s43, s11, s36
	v_mfma_f32_16x16x16_bf16 a[4:7], v[22:23], v[20:21], 0
	ds_read2st64_b64 v[18:21], v75 offset0:2 offset1:4
	ds_read2st64_b64 v[22:25], v77 offset0:2 offset1:4
	s_add_i32 s43, s43, s42
	s_waitcnt lgkmcnt(1)
	v_mfma_f32_16x16x16_bf16 a[0:3], v[30:31], v[18:19], a[0:3]
	s_mul_i32 s42, s11, s36
	s_lshl_b64 s[42:43], s[42:43], 2
	s_add_u32 s42, s14, s42
	s_waitcnt lgkmcnt(0)
	v_mfma_f32_16x16x16_bf16 a[4:7], v[30:31], v[22:23], a[4:7]
	ds_read_b64 v[18:19], v78 offset:24576
	ds_read_b64 v[22:23], v79 offset:24576
	s_addc_u32 s43, s15, s43
	s_and_b64 vcc, exec, s[0:1]
	s_waitcnt lgkmcnt(1)
	v_mfma_f32_16x16x16_bf16 a[0:3], v[18:19], v[20:21], a[0:3]
	v_mov_b32_e32 v102, 0
	v_mov_b32_e32 v101, 0
	;; [unrolled: 1-line block ×3, first 2 shown]
	v_mfma_f32_16x16x16_bf16 a[4:7], v[18:19], v[24:25], a[4:7]
	v_mov_b32_e32 v18, 0
	v_mov_b32_e32 v19, 0
	;; [unrolled: 1-line block ×3, first 2 shown]
	s_waitcnt lgkmcnt(0)
	v_mfma_f32_16x16x16_bf16 a[0:3], v[22:23], v[28:29], a[0:3]
	v_mov_b32_e32 v21, 0
	v_mov_b32_e32 v24, 0
	;; [unrolled: 1-line block ×3, first 2 shown]
	v_mfma_f32_16x16x16_bf16 a[4:7], v[22:23], v[26:27], a[4:7]
	v_mov_b32_e32 v22, 0
	v_mov_b32_e32 v23, 0
	;; [unrolled: 1-line block ×10, first 2 shown]
	s_cbranch_vccnz .LBB302_12
; %bb.11:                               ;   in Loop: Header=BB302_6 Depth=1
	s_and_b32 s5, s5, 0xffff
	buffer_load_dwordx4 v[30:33], v13, s[4:7], 0 offen
	buffer_load_dwordx4 v[26:29], v13, s[4:7], s56 offen
	buffer_load_dwordx4 v[22:25], v17, s[4:7], 0 offen
	buffer_load_dwordx4 v[18:21], v17, s[4:7], s56 offen
	v_mov_b32_e32 v101, v64
	v_mov_b32_e32 v100, v65
.LBB302_12:                             ;   in Loop: Header=BB302_6 Depth=1
	ds_read_b64 v[38:39], v74 offset:32768
	ds_read2_b64 v[34:37], v80 offset1:16
	ds_read_b64 v[42:43], v76 offset:32768
	ds_read_b64 v[44:45], v78 offset:32768
	;; [unrolled: 1-line block ×3, first 2 shown]
	v_add_u32_e32 v103, s57, v91
	s_waitcnt lgkmcnt(3)
	v_mfma_f32_16x16x16_bf16 a[0:3], v[38:39], v[34:35], a[0:3]
	v_mfma_f32_16x16x16_bf16 a[4:7], v[38:39], v[36:37], a[4:7]
	ds_read2st64_b64 v[34:37], v80 offset0:2 offset1:4
	ds_read2st64_b64 v[38:41], v81 offset0:2 offset1:4
	s_waitcnt lgkmcnt(1)
	v_mfma_f32_16x16x16_bf16 a[0:3], v[42:43], v[34:35], a[0:3]
	ds_read_b64 v[34:35], v80 offset:3072
	ds_read_b64 v[48:49], v81 offset:3072
	s_waitcnt lgkmcnt(2)
	v_mfma_f32_16x16x16_bf16 a[4:7], v[42:43], v[38:39], a[4:7]
	v_ashrrev_i32_e32 v38, 31, v103
	v_mul_lo_u32 v39, v103, s37
	v_mul_lo_u32 v38, v38, s36
	v_mfma_f32_16x16x16_bf16 a[0:3], v[44:45], v[36:37], a[0:3]
	v_mad_u64_u32 v[36:37], s[4:5], v103, s36, 0
	v_add3_u32 v37, v37, v39, v38
	v_lshl_add_u64 v[36:37], v[36:37], 2, s[14:15]
	global_load_dword v42, v[36:37], off
	v_add_u32_e32 v36, 1, v103
	v_ashrrev_i32_e32 v37, 31, v36
	s_waitcnt lgkmcnt(1)
	v_mfma_f32_16x16x16_bf16 a[0:3], v[46:47], v[34:35], a[0:3]
	v_mul_lo_u32 v37, v37, s36
	v_mul_lo_u32 v38, v36, s37
	v_mad_u64_u32 v[34:35], s[4:5], v36, s36, 0
	v_add_u32_e32 v36, 2, v103
	v_add3_u32 v35, v35, v38, v37
	v_ashrrev_i32_e32 v37, 31, v36
	v_mul_lo_u32 v38, v37, s36
	v_mul_lo_u32 v39, v36, s37
	v_mad_u64_u32 v[36:37], s[4:5], v36, s36, 0
	v_add3_u32 v37, v37, v39, v38
	v_add_u32_e32 v38, 3, v103
	v_ashrrev_i32_e32 v39, 31, v38
	v_mfma_f32_16x16x16_bf16 a[4:7], v[44:45], v[40:41], a[4:7]
	v_mul_lo_u32 v40, v39, s36
	v_mul_lo_u32 v41, v38, s37
	v_mad_u64_u32 v[38:39], s[4:5], v38, s36, 0
	s_add_u32 s4, s2, s57
	s_addc_u32 s5, s3, 0
	s_lshl_b64 s[4:5], s[4:5], 8
	v_add3_u32 v39, v39, v41, v40
	v_lshl_add_u64 v[40:41], v[52:53], 0, s[4:5]
	v_lshl_add_u64 v[34:35], v[34:35], 2, s[14:15]
	;; [unrolled: 1-line block ×4, first 2 shown]
	global_load_ushort v44, v[40:41], off
	global_load_ushort v43, v[40:41], off offset:256
	global_load_ushort v103, v[40:41], off offset:800
	;; [unrolled: 1-line block ×7, first 2 shown]
	v_lshl_add_u64 v[38:39], v[38:39], 2, s[14:15]
	global_load_dword v108, v[34:35], off
	global_load_dword v109, v[36:37], off
	;; [unrolled: 1-line block ×3, first 2 shown]
	s_load_dword s4, s[42:43], 0x0
	s_waitcnt lgkmcnt(0)
	v_mfma_f32_16x16x16_bf16 a[4:7], v[46:47], v[48:49], a[4:7]
	v_accvgpr_read_b32 v39, a1
	v_accvgpr_read_b32 v35, a3
	;; [unrolled: 1-line block ×4, first 2 shown]
	s_and_b64 vcc, exec, s[0:1]
	s_waitcnt vmcnt(11)
	v_sub_f32_e32 v48, s4, v42
	v_exp_f32_e32 v48, v48
	v_accvgpr_read_b32 v41, a5
	v_accvgpr_read_b32 v40, a4
	;; [unrolled: 1-line block ×4, first 2 shown]
	s_waitcnt vmcnt(10)
	v_lshlrev_b32_e32 v42, 16, v44
	s_waitcnt vmcnt(9)
	v_lshlrev_b32_e32 v43, 16, v43
	v_pk_add_f32 v[38:39], v[42:43], v[38:39] neg_lo:[0,1] neg_hi:[0,1]
	s_waitcnt vmcnt(7)
	v_lshlrev_b32_e32 v45, 16, v45
	v_mov_b32_e32 v42, 0
	s_waitcnt vmcnt(5)
	v_lshlrev_b32_e32 v44, 16, v104
	s_waitcnt vmcnt(4)
	v_lshlrev_b32_e32 v47, 16, v105
	s_waitcnt vmcnt(2)
	v_sub_f32_e32 v49, s4, v108
	s_waitcnt vmcnt(1)
	v_sub_f32_e32 v104, s4, v109
	;; [unrolled: 2-line block ×3, first 2 shown]
	v_exp_f32_e32 v49, v49
	v_exp_f32_e32 v104, v104
	;; [unrolled: 1-line block ×3, first 2 shown]
	v_pk_add_f32 v[34:35], v[44:45], v[34:35] neg_lo:[0,1] neg_hi:[0,1]
	v_lshlrev_b32_e32 v46, 16, v107
	v_pk_mul_f32 v[38:39], v[48:49], v[38:39]
	v_pk_mul_f32 v[34:35], v[104:105], v[34:35]
	v_mov_b32_e32 v43, 0
	v_perm_b32 v35, v35, v34, s41
	v_perm_b32 v34, v39, v38, s41
	v_pk_add_f32 v[38:39], v[46:47], v[40:41] neg_lo:[0,1] neg_hi:[0,1]
	v_lshlrev_b32_e32 v41, 16, v103
	v_lshlrev_b32_e32 v40, 16, v106
	v_pk_add_f32 v[36:37], v[40:41], v[36:37] neg_lo:[0,1] neg_hi:[0,1]
	v_pk_mul_f32 v[38:39], v[48:49], v[38:39]
	v_pk_mul_f32 v[36:37], v[104:105], v[36:37]
	v_mov_b32_e32 v103, 0
	v_perm_b32 v37, v37, v36, s41
	v_perm_b32 v36, v39, v38, s41
	ds_write2_b64 v67, v[34:35], v[36:37] offset1:16
	v_mov_b32_e32 v34, 0
	v_mov_b32_e32 v35, 0
	;; [unrolled: 1-line block ×14, first 2 shown]
	s_cbranch_vccnz .LBB302_14
; %bb.13:                               ;   in Loop: Header=BB302_6 Depth=1
	s_and_b32 s9, s9, 0xffff
	s_mov_b32 s11, s7
	buffer_load_dwordx4 v[46:49], v89, s[8:11], 0 offen
	buffer_load_dwordx4 v[38:41], v89, s[8:11], s56 offen
	;; [unrolled: 1-line block ×4, first 2 shown]
	v_mov_b32_e32 v102, v9
	v_mov_b32_e32 v103, v5
.LBB302_14:                             ;   in Loop: Header=BB302_6 Depth=1
	s_waitcnt lgkmcnt(0)
	s_barrier
	ds_read_b64 v[108:109], v92
	ds_read_b64 v[116:117], v85
	ds_read_b64 v[112:113], v93
	ds_read_b64 v[118:119], v94
	ds_read_b64 v[120:121], v95
	ds_read_b64 v[122:123], v86 offset:16384
	ds_read_b64 v[124:125], v84 offset:16384
	ds_read2_b64 v[104:107], v80 offset0:16 offset1:128
	s_waitcnt lgkmcnt(6)
	v_mfma_f32_16x16x16_bf16 a[0:3], v[108:109], v[116:117], 0
	ds_read_b64 v[126:127], v81 offset:3072
	ds_read_b64 v[128:129], v88 offset:16384
	s_add_i32 s5, s53, s63
	s_waitcnt lgkmcnt(2)
	v_mfma_f32_16x16x16_bf16 a[4:7], v[108:109], v[104:105], 0
	ds_read2st64_b64 v[108:111], v81 offset0:2 offset1:4
	s_mul_hi_i32 s9, s5, s25
	s_mul_i32 s5, s5, s25
	v_mfma_f32_16x16x16_bf16 a[0:3], v[112:113], v[106:107], a[0:3]
	s_add_u32 s8, s5, s33
	s_addc_u32 s9, s9, s50
	s_lshl_b64 s[8:9], s[8:9], 15
	s_waitcnt lgkmcnt(0)
	v_mfma_f32_16x16x16_bf16 a[4:7], v[112:113], v[108:109], a[4:7]
	ds_read2st64_b64 v[112:115], v80 offset0:4 offset1:6
	s_waitcnt lgkmcnt(0)
	v_mfma_f32_16x16x16_bf16 a[0:3], v[118:119], v[112:113], a[0:3]
	v_mfma_f32_16x16x16_bf16 a[8:11], v[118:119], v[110:111], a[4:7]
	;; [unrolled: 1-line block ×5, first 2 shown]
	ds_read2st64_b64 v[116:119], v83 offset1:8
	v_mfma_f32_16x16x16_bf16 a[12:15], v[124:125], v[104:105], 0
	ds_read_b64 v[124:125], v87 offset:16384
	v_mfma_f32_16x16x16_bf16 a[8:11], v[122:123], v[106:107], a[8:11]
	ds_read2st64_b64 v[104:107], v82 offset1:8
	s_waitcnt lgkmcnt(0)
	v_mov_b32_e32 v120, v104
	v_mfma_f32_16x16x16_bf16 a[12:15], v[122:123], v[108:109], a[12:15]
	v_lshl_add_u64 v[108:109], v[54:55], 0, s[8:9]
	v_add_co_u32_e32 v104, vcc, s13, v108
	v_mfma_f32_16x16x16_bf16 a[8:11], v[124:125], v[112:113], a[8:11]
	v_mov_b32_e32 v121, v105
	v_addc_co_u32_e32 v105, vcc, 0, v109, vcc
	v_mfma_f32_16x16x16_bf16 a[12:15], v[124:125], v[110:111], a[12:15]
	v_mov_b32_e32 v122, v116
	v_mov_b32_e32 v123, v117
	;; [unrolled: 1-line block ×3, first 2 shown]
	v_mfma_f32_16x16x16_bf16 a[8:11], v[128:129], v[114:115], a[8:11]
	v_mov_b32_e32 v117, v107
	s_and_b64 vcc, exec, s[0:1]
	global_store_dwordx4 v[108:109], v[120:123], off
	v_mfma_f32_16x16x16_bf16 a[12:15], v[128:129], v[126:127], a[12:15]
	global_store_dwordx4 v[104:105], v[116:119], off
	s_cbranch_vccnz .LBB302_16
; %bb.15:                               ;   in Loop: Header=BB302_6 Depth=1
	v_lshrrev_b32_e32 v104, 3, v102
	v_and_b32_e32 v104, 6, v104
	v_xor_b32_e32 v103, v104, v103
	v_lshlrev_b32_e32 v103, 2, v103
	v_and_b32_e32 v102, 8, v102
	v_xor_b32_e32 v105, 0x440, v103
	v_cmp_eq_u32_e32 vcc, 0, v102
	s_barrier
	s_nop 0
	v_cndmask_b32_e32 v102, v105, v103, vcc
	v_lshl_or_b32 v102, v104, 10, v102
	s_waitcnt vmcnt(3)
	v_perm_b32 v103, v46, v42, s58
	s_waitcnt vmcnt(2)
	v_perm_b32 v104, v38, v34, s58
	ds_write2st64_b32 v102, v103, v104 offset0:32 offset1:64
	v_xor_b32_e32 v103, 8, v102
	v_perm_b32 v42, v46, v42, s59
	v_perm_b32 v34, v38, v34, s59
	v_add_u32_e32 v38, 0x80, v103
	ds_write2st64_b32 v38, v42, v34 offset0:32 offset1:64
	v_xor_b32_e32 v34, 16, v102
	v_perm_b32 v38, v47, v43, s58
	v_perm_b32 v42, v39, v35, s58
	ds_write2st64_b32 v34, v38, v42 offset0:33 offset1:65
	v_xor_b32_e32 v34, 24, v102
	v_perm_b32 v38, v47, v43, s59
	v_perm_b32 v35, v39, v35, s59
	v_add_u32_e32 v34, 0x80, v34
	ds_write2st64_b32 v34, v38, v35 offset0:33 offset1:65
	v_xor_b32_e32 v34, 32, v102
	v_perm_b32 v35, v48, v44, s58
	;; [unrolled: 9-line block ×3, first 2 shown]
	v_perm_b32 v36, v41, v37, s58
	ds_write2st64_b32 v34, v35, v36 offset0:35 offset1:67
	v_xor_b32_e32 v34, 56, v102
	v_perm_b32 v35, v49, v45, s59
	v_perm_b32 v36, v41, v37, s59
	v_add_u32_e32 v34, 0x80, v34
	ds_write2st64_b32 v34, v35, v36 offset0:35 offset1:67
	ds_write_b64 v101, v[30:31] offset:24576
	v_xor_b32_e32 v30, 8, v101
	ds_write_b64 v30, v[32:33] offset:24576
	ds_write_b64 v101, v[26:27] offset:32768
	;; [unrolled: 1-line block ×4, first 2 shown]
	v_xor_b32_e32 v22, 8, v100
	ds_write_b64 v22, v[24:25] offset:24576
	ds_write_b64 v100, v[18:19] offset:32768
	;; [unrolled: 1-line block ×3, first 2 shown]
.LBB302_16:                             ;   in Loop: Header=BB302_6 Depth=1
	s_waitcnt vmcnt(2)
	v_exp_f32_e32 v34, s4
	v_accvgpr_read_b32 v33, a7
	v_accvgpr_read_b32 v25, a3
	;; [unrolled: 1-line block ×16, first 2 shown]
	s_add_i32 s57, s57, 64
	v_fma_f32 v2, v2, v34, v30
	v_fma_f32 v3, v3, v34, v31
	v_fma_f32 v4, v4, v34, v32
	v_fmac_f32_e32 v33, v97, v34
	v_fma_f32 v10, v10, v34, v22
	v_fma_f32 v11, v11, v34, v23
	v_fma_f32 v12, v12, v34, v24
	v_fmac_f32_e32 v25, v99, v34
	;; [unrolled: 4-line block ×3, first 2 shown]
	v_fma_f32 v14, v14, v34, v18
	v_fma_f32 v15, v15, v34, v19
	;; [unrolled: 1-line block ×3, first 2 shown]
	s_cmp_eq_u32 s51, s62
	v_fmac_f32_e32 v21, v98, v34
	s_cbranch_scc1 .LBB302_18
; %bb.17:                               ;   in Loop: Header=BB302_6 Depth=1
	s_mov_b32 s63, s62
	v_mov_b32_e32 v97, v33
	v_mov_b32_e32 v96, v29
	;; [unrolled: 1-line block ×4, first 2 shown]
	s_branch .LBB302_6
.LBB302_18:
	v_mov_b32_e32 v5, v33
	v_mov_b32_e32 v9, v29
	;; [unrolled: 1-line block ×4, first 2 shown]
.LBB302_19:
	s_lshl_b32 s50, s51, 6
	s_sub_i32 s52, s24, s50
	s_cmp_gt_i32 s52, 0
	v_or_b32_e32 v34, s40, v60
	s_cbranch_scc1 .LBB302_21
; %bb.20:
	s_ashr_i32 s0, s33, 31
	s_add_u32 s8, s47, s33
	s_addc_u32 s9, s55, s0
	v_or_b32_e32 v18, s40, v60
	s_cbranch_execz .LBB302_22
	s_branch .LBB302_86
.LBB302_21:
                                        ; implicit-def: $sgpr8_sgpr9
                                        ; implicit-def: $vgpr18
.LBB302_22:
	s_ashr_i32 s13, s49, 31
	s_ashr_i32 s2, s50, 31
	s_cmpk_lg_i32 s27, 0x80
	s_cselect_b64 s[42:43], -1, 0
	s_and_b64 vcc, exec, s[42:43]
	s_cbranch_vccz .LBB302_24
; %bb.23:
	s_mul_i32 s1, s49, s24
	s_mul_hi_i32 s0, s49, s24
	s_add_u32 s1, s1, s50
	s_addc_u32 s0, s0, s2
	s_mul_i32 s3, s1, s44
	s_mul_hi_u32 s4, s1, s26
	s_add_i32 s3, s4, s3
	s_mul_i32 s0, s0, s26
	s_add_i32 s3, s3, s0
	s_mul_i32 s1, s1, s26
	s_ashr_i32 s0, s54, 31
	s_add_u32 s44, s1, s54
	s_addc_u32 s45, s3, s0
	s_cbranch_execz .LBB302_25
	s_branch .LBB302_26
.LBB302_24:
                                        ; implicit-def: $sgpr44_sgpr45
.LBB302_25:
	s_mul_hi_i32 s0, s49, s26
	s_mul_i32 s49, s49, s26
	s_ashr_i32 s1, s54, 31
	s_add_u32 s3, s49, s54
	s_addc_u32 s0, s0, s1
	s_mul_i32 s1, s3, s48
	s_mul_hi_u32 s4, s3, s24
	s_add_i32 s1, s4, s1
	s_mul_i32 s0, s0, s24
	s_add_i32 s1, s1, s0
	s_mul_i32 s3, s3, s24
	s_add_u32 s44, s3, s50
	s_addc_u32 s45, s1, s2
.LBB302_26:
	s_add_i32 s3, s53, s51
	s_ashr_i32 s26, s33, 31
	s_add_u32 s8, s47, s33
	s_addc_u32 s9, s55, s26
	s_mul_i32 s0, s8, s48
	s_mul_hi_u32 s1, s8, s24
	s_add_i32 s0, s1, s0
	s_mul_i32 s1, s9, s24
	s_add_i32 s1, s0, s1
	s_mul_i32 s0, s8, s24
	s_add_u32 s0, s0, s50
	v_lshlrev_b32_e32 v22, 5, v1
	v_lshlrev_b32_e32 v40, 2, v60
	s_addc_u32 s1, s1, s2
	s_mov_b32 s2, 0x7060302
	v_or_b32_e32 v25, v22, v40
	v_xor_b32_e32 v23, v1, v40
	v_perm_b32 v19, v5, v4, s2
	v_perm_b32 v18, v3, v2, s2
	;; [unrolled: 1-line block ×4, first 2 shown]
	v_lshlrev_b32_e32 v25, 1, v25
	s_lshl_b64 s[10:11], s[0:1], 8
	v_xor_b32_e32 v24, v63, v40
	ds_write2st64_b64 v25, v[18:19], v[20:21] offset0:80 offset1:88
	v_lshlrev_b32_e32 v23, 1, v23
	v_lshlrev_b32_e32 v25, 8, v60
	s_add_u32 s0, s18, s10
	v_or_b32_e32 v26, v23, v25
	v_lshlrev_b32_e32 v24, 1, v24
	s_addc_u32 s1, s19, s11
	ds_write_b64 v26, v[18:19]
	v_or_b32_e32 v18, v24, v25
	v_or_b32_e32 v25, 16, v60
	s_mul_hi_i32 s4, s3, s25
	s_mul_i32 s3, s3, s25
	ds_write_b64 v18, v[20:21]
	v_perm_b32 v19, v13, v12, s2
	v_perm_b32 v18, v11, v10, s2
	;; [unrolled: 1-line block ×4, first 2 shown]
	v_lshlrev_b32_e32 v37, 2, v25
	s_add_u32 s2, s3, s33
	v_or_b32_e32 v22, v22, v37
	s_addc_u32 s3, s4, s26
	v_lshlrev_b32_e32 v22, 1, v22
	s_ashr_i32 s41, s40, 31
	s_lshl_b64 s[2:3], s[2:3], 15
	ds_write2st64_b64 v22, v[18:19], v[20:21] offset0:80 offset1:88
	v_lshlrev_b32_e32 v22, 8, v25
	s_waitcnt lgkmcnt(0)
	s_add_u32 s4, s38, s2
	v_or_b32_e32 v23, v23, v22
	s_addc_u32 s5, s39, s3
	s_lshl_b64 s[2:3], s[40:41], 8
	ds_write_b64 v23, v[18:19]
	v_or_b32_e32 v18, v24, v22
	s_add_u32 s2, s4, s2
	ds_write_b64 v18, v[20:21]
	v_lshrrev_b32_e32 v18, 4, v0
	s_addc_u32 s3, s5, s3
	v_lshlrev_b32_e32 v19, 1, v60
	v_lshlrev_b32_e32 v26, 4, v60
	v_mov_b32_e32 v27, 0
	v_or_b32_e32 v20, 1, v19
	v_xor_b32_e32 v19, v18, v19
	v_lshl_add_u64 v[28:29], s[2:3], 0, v[26:27]
	v_lshlrev_b32_e32 v26, 8, v18
	v_xor_b32_e32 v22, v20, v18
	v_lshl_or_b32 v18, v19, 3, v26
	s_waitcnt lgkmcnt(0)
	s_barrier
	ds_read2st64_b64 v[18:21], v18 offset1:8
	v_lshl_or_b32 v22, v22, 3, v26
	ds_read2st64_b64 v[22:25], v22 offset1:8
	v_lshl_add_u64 v[30:31], v[28:29], 0, v[26:27]
	s_movk_i32 s2, 0x1000
	s_waitcnt lgkmcnt(1)
	v_mov_b32_e32 v26, v18
	v_add_co_u32_e32 v18, vcc, s2, v30
	s_cmp_lg_u32 s52, 64
	v_mov_b32_e32 v27, v19
	v_addc_co_u32_e32 v19, vcc, 0, v31, vcc
	s_cselect_b64 s[14:15], -1, 0
	v_lshl_or_b32 v35, v56, 3, v62
	s_waitcnt lgkmcnt(0)
	v_mov_b32_e32 v28, v22
	v_mov_b32_e32 v29, v23
	;; [unrolled: 1-line block ×4, first 2 shown]
	s_mov_b32 s4, 0
	v_or_b32_e32 v38, 32, v35
	v_and_b32_e32 v36, 56, v61
	s_and_b64 vcc, exec, s[14:15]
	global_store_dwordx4 v[30:31], v[26:29], off
	global_store_dwordx4 v[18:19], v[22:25], off
	s_cbranch_vccz .LBB302_32
; %bb.27:
	s_mov_b32 s6, s4
	s_mov_b32 s7, s4
	;; [unrolled: 1-line block ×3, first 2 shown]
	v_mov_b64_e32 v[24:25], s[6:7]
	v_mov_b64_e32 v[22:23], s[4:5]
	;; [unrolled: 1-line block ×3, first 2 shown]
	v_cmp_gt_i32_e32 vcc, s52, v35
	v_mov_b64_e32 v[20:21], v[24:25]
	s_and_saveexec_b64 s[2:3], vcc
	s_cbranch_execz .LBB302_29
; %bb.28:
	v_lshlrev_b32_e32 v18, 8, v35
	v_mov_b32_e32 v19, 0
	v_lshl_add_u64 v[20:21], s[0:1], 0, v[18:19]
	v_lshlrev_b32_e32 v18, 1, v36
	v_lshl_add_u64 v[26:27], v[20:21], 0, v[18:19]
	global_load_dwordx4 v[22:25], v[26:27], off
	global_load_dwordx4 v[18:21], v[26:27], off offset:128
.LBB302_29:
	s_or_b64 exec, exec, s[2:3]
	s_mov_b32 s6, s4
	s_mov_b32 s7, s4
	;; [unrolled: 1-line block ×3, first 2 shown]
	v_mov_b64_e32 v[32:33], s[6:7]
	v_mov_b64_e32 v[30:31], s[4:5]
	;; [unrolled: 1-line block ×3, first 2 shown]
	v_cmp_gt_i32_e32 vcc, s52, v38
	v_lshlrev_b32_e32 v39, 7, v38
	v_mov_b64_e32 v[28:29], v[32:33]
	s_and_saveexec_b64 s[2:3], vcc
	s_cbranch_execz .LBB302_31
; %bb.30:
	v_lshlrev_b32_e32 v26, 1, v39
	v_mov_b32_e32 v27, 0
	v_lshl_add_u64 v[28:29], s[0:1], 0, v[26:27]
	v_lshlrev_b32_e32 v26, 1, v36
	v_lshl_add_u64 v[42:43], v[28:29], 0, v[26:27]
	global_load_dwordx4 v[30:33], v[42:43], off
	global_load_dwordx4 v[26:29], v[42:43], off offset:128
.LBB302_31:
	s_or_b64 exec, exec, s[2:3]
	v_lshrrev_b32_e32 v41, 3, v36
	v_lshlrev_b32_e32 v42, 3, v35
	v_or_b32_e32 v41, v42, v41
	v_lshlrev_b32_e32 v41, 4, v41
	v_and_b32_e32 v42, 0x78, v42
	v_xor_b32_e32 v41, v41, v42
	s_branch .LBB302_34
.LBB302_32:
                                        ; implicit-def: $vgpr41
                                        ; implicit-def: $vgpr39
                                        ; implicit-def: $vgpr22_vgpr23_vgpr24_vgpr25
                                        ; implicit-def: $vgpr18_vgpr19_vgpr20_vgpr21
                                        ; implicit-def: $vgpr30_vgpr31_vgpr32_vgpr33
                                        ; implicit-def: $vgpr26_vgpr27_vgpr28_vgpr29
	s_cbranch_execz .LBB302_34
; %bb.33:
	s_waitcnt vmcnt(0)
	v_lshlrev_b32_e32 v18, 1, v36
	v_lshl_or_b32 v39, v35, 8, v18
	s_and_b32 s1, s1, 0xffff
	s_mov_b32 s3, 0x20000
	s_movk_i32 s2, 0x4000
	v_lshl_or_b32 v41, v38, 8, v18
	s_movk_i32 s4, 0x80
	buffer_load_dwordx4 v[22:25], v39, s[0:3], 0 offen
	buffer_load_dwordx4 v[18:21], v39, s[0:3], s4 offen
	;; [unrolled: 1-line block ×4, first 2 shown]
	v_lshrrev_b32_e32 v39, 3, v36
	v_lshlrev_b32_e32 v41, 3, v35
	v_or_b32_e32 v39, v41, v39
	v_lshlrev_b32_e32 v39, 4, v39
	v_and_b32_e32 v41, 0x78, v41
	v_xor_b32_e32 v41, v39, v41
	v_lshlrev_b32_e32 v39, 7, v38
.LBB302_34:
	s_lshl_b64 s[0:1], s[44:45], 8
	s_add_u32 s4, s16, s0
	s_movk_i32 s0, 0x1000
	v_and_or_b32 v38, v39, s0, v41
	s_waitcnt vmcnt(1)
	ds_write_b64 v41, v[22:23] offset:24576
	v_xor_b32_e32 v22, 8, v41
	ds_write_b64 v22, v[24:25] offset:24576
	s_waitcnt vmcnt(0)
	ds_write_b64 v41, v[18:19] offset:32768
	ds_write_b64 v22, v[20:21] offset:32768
	;; [unrolled: 1-line block ×3, first 2 shown]
	v_xor_b32_e32 v18, 8, v38
	ds_write_b64 v18, v[32:33] offset:24576
	ds_write_b64 v38, v[26:27] offset:32768
	;; [unrolled: 1-line block ×3, first 2 shown]
	v_or_b32_e32 v18, v57, v60
	v_lshlrev_b32_e32 v18, 3, v18
	v_lshrrev_b32_e32 v19, 5, v58
	s_movk_i32 s7, 0xf8
	v_and_or_b32 v19, v18, s7, v19
	v_lshlrev_b32_e32 v23, 4, v19
	v_lshlrev_b32_e32 v41, 11, v56
	v_and_b32_e32 v24, 0x78, v18
	v_or_b32_e32 v26, 32, v23
	v_and_b32_e32 v22, 0x1000, v41
	v_lshrrev_b32_e32 v19, 1, v58
	v_xor_b32_e32 v26, v26, v24
	v_xor_b32_e32 v18, v23, v24
	v_and_b32_e32 v25, 8, v19
	v_or_b32_e32 v26, v26, v22
	v_or_b32_e32 v18, v18, v22
	v_xor_b32_e32 v45, v26, v25
	v_or_b32_e32 v26, 64, v23
	v_xor_b32_e32 v44, v18, v25
	v_xor_b32_e32 v26, v26, v24
	s_waitcnt lgkmcnt(0)
	s_barrier
	v_or_b32_e32 v28, v26, v22
	ds_read_b64 v[26:27], v44 offset:24576
	v_lshl_or_b32 v38, v59, 7, v40
	v_lshlrev_b32_e32 v42, 1, v38
	v_add_u32_e32 v18, 0xa000, v42
	ds_read2_b64 v[18:21], v18 offset1:16
	v_or_b32_e32 v23, 0x60, v23
	v_xor_b32_e32 v23, v23, v24
	s_waitcnt lgkmcnt(0)
	v_mfma_f32_16x16x16_bf16 a[0:3], v[26:27], v[18:19], 0
	v_or_b32_e32 v18, 64, v38
	v_or_b32_e32 v22, v23, v22
	v_lshlrev_b32_e32 v43, 1, v18
	v_xor_b32_e32 v46, v28, v25
	v_xor_b32_e32 v47, v22, v25
	ds_read_b64 v[28:29], v45 offset:24576
	ds_read_b64 v[30:31], v46 offset:24576
	;; [unrolled: 1-line block ×3, first 2 shown]
	v_mfma_f32_16x16x16_bf16 a[4:7], v[26:27], v[20:21], 0
	ds_read2st64_b64 v[18:21], v43 offset0:82 offset1:84
	ds_read2st64_b64 v[22:25], v42 offset0:82 offset1:84
	s_addc_u32 s5, s17, s1
	s_add_i32 s2, s24, -1
	s_add_i32 s0, s46, s29
	s_mul_i32 s13, s13, s28
	s_add_i32 s13, s0, s13
	s_mul_i32 s0, s33, s31
	s_mul_hi_u32 s1, s33, s30
	s_ashr_i32 s3, s2, 31
	s_mul_i32 s6, s2, s37
	s_mul_hi_u32 s7, s2, s36
	s_add_i32 s0, s1, s0
	s_mul_i32 s1, s26, s30
	s_add_i32 s6, s7, s6
	s_mul_i32 s3, s3, s36
	s_waitcnt lgkmcnt(1)
	v_mfma_f32_16x16x16_bf16 a[4:7], v[28:29], v[18:19], a[4:7]
	s_add_i32 s1, s0, s1
	s_add_i32 s3, s6, s3
	s_lshl_b64 s[6:7], s[12:13], 2
	s_waitcnt lgkmcnt(0)
	v_mfma_f32_16x16x16_bf16 a[0:3], v[28:29], v[22:23], a[0:3]
	s_mul_i32 s0, s33, s30
	s_add_u32 s6, s22, s6
	s_addc_u32 s7, s23, s7
	s_lshl_b64 s[0:1], s[0:1], 2
	s_mul_i32 s2, s2, s36
	s_add_u32 s12, s6, s0
	ds_read_b64 v[18:19], v42 offset:44032
	v_mfma_f32_16x16x16_bf16 a[4:7], v[30:31], v[20:21], a[4:7]
	ds_read_b64 v[20:21], v43 offset:44032
	s_addc_u32 s13, s7, s1
	s_lshl_b64 s[0:1], s[2:3], 2
	v_mfma_f32_16x16x16_bf16 a[0:3], v[30:31], v[24:25], a[0:3]
	s_add_u32 s0, s12, s0
	s_addc_u32 s1, s13, s1
	s_load_dword s16, s[0:1], 0x0
	s_waitcnt lgkmcnt(0)
	v_mfma_f32_16x16x16_bf16 a[0:3], v[32:33], v[18:19], a[0:3]
	s_and_b64 vcc, exec, s[42:43]
	v_mfma_f32_16x16x16_bf16 a[4:7], v[32:33], v[20:21], a[4:7]
	s_cbranch_vccz .LBB302_45
; %bb.35:
	v_lshlrev_b32_e32 v38, 1, v35
	s_and_b64 vcc, exec, s[14:15]
	s_cbranch_vccz .LBB302_46
; %bb.36:
	v_cmp_gt_i32_e32 vcc, s52, v38
	v_mov_b32_e32 v22, 0
	v_mov_b32_e32 v18, 0
	;; [unrolled: 1-line block ×5, first 2 shown]
	s_and_saveexec_b64 s[0:1], vcc
	s_cbranch_execz .LBB302_38
; %bb.37:
	v_mad_i64_i32 v[18:19], s[2:3], s27, v38, 0
	v_lshl_add_u64 v[18:19], v[18:19], 1, s[4:5]
	v_lshlrev_b32_e32 v20, 1, v36
	v_mov_b32_e32 v21, 0
	v_lshl_add_u64 v[18:19], v[18:19], 0, v[20:21]
	global_load_dwordx4 v[18:21], v[18:19], off
.LBB302_38:
	s_or_b64 exec, exec, s[0:1]
	v_or_b32_e32 v39, 1, v38
	v_cmp_gt_i32_e64 s[0:1], s52, v39
	v_mov_b32_e32 v23, 0
	v_mov_b32_e32 v24, 0
	;; [unrolled: 1-line block ×3, first 2 shown]
	s_and_saveexec_b64 s[2:3], s[0:1]
	s_cbranch_execz .LBB302_40
; %bb.39:
	v_mad_i64_i32 v[22:23], s[6:7], s27, v39, 0
	v_lshl_add_u64 v[22:23], v[22:23], 1, s[4:5]
	v_lshlrev_b32_e32 v24, 1, v36
	v_mov_b32_e32 v25, 0
	v_lshl_add_u64 v[22:23], v[22:23], 0, v[24:25]
	global_load_dwordx4 v[22:25], v[22:23], off
.LBB302_40:
	s_or_b64 exec, exec, s[2:3]
	v_mov_b32_e32 v33, 0
	v_mov_b32_e32 v26, 0
	;; [unrolled: 1-line block ×5, first 2 shown]
	s_and_saveexec_b64 s[2:3], vcc
	s_cbranch_execz .LBB302_42
; %bb.41:
	v_mad_i64_i32 v[26:27], s[6:7], s27, v38, 0
	v_lshl_add_u64 v[26:27], v[26:27], 1, s[4:5]
	v_lshlrev_b32_e32 v28, 1, v36
	v_mov_b32_e32 v29, 0
	v_lshl_add_u64 v[26:27], v[26:27], 0, v[28:29]
	global_load_dwordx4 v[26:29], v[26:27], off offset:128
.LBB302_42:
	s_or_b64 exec, exec, s[2:3]
	v_mov_b32_e32 v32, 0
	v_mov_b32_e32 v31, 0
	;; [unrolled: 1-line block ×3, first 2 shown]
	s_and_saveexec_b64 s[2:3], s[0:1]
	s_cbranch_execz .LBB302_44
; %bb.43:
	v_mad_i64_i32 v[30:31], s[0:1], s27, v39, 0
	v_lshl_add_u64 v[30:31], v[30:31], 1, s[4:5]
	v_lshlrev_b32_e32 v32, 1, v36
	v_mov_b32_e32 v33, 0
	v_lshl_add_u64 v[30:31], v[30:31], 0, v[32:33]
	global_load_dwordx4 v[30:33], v[30:31], off offset:128
.LBB302_44:
	s_or_b64 exec, exec, s[2:3]
	s_branch .LBB302_48
.LBB302_45:
                                        ; implicit-def: $vgpr21
                                        ; implicit-def: $vgpr25
                                        ; implicit-def: $vgpr29
                                        ; implicit-def: $vgpr33
	v_lshrrev_b32_e32 v48, 2, v58
	s_branch .LBB302_49
.LBB302_46:
                                        ; implicit-def: $vgpr21
                                        ; implicit-def: $vgpr25
                                        ; implicit-def: $vgpr29
                                        ; implicit-def: $vgpr33
	s_cbranch_execz .LBB302_48
; %bb.47:
	s_waitcnt vmcnt(0)
	v_mad_u64_u32 v[18:19], s[0:1], v38, s27, v[36:37]
	v_lshlrev_b32_e32 v38, 1, v18
	s_lshl_b32 s2, s27, 7
	s_and_b32 s1, s5, 0xffff
	s_mov_b32 s3, 0x20000
	s_mov_b32 s0, s4
	v_add_lshl_u32 v39, v18, s27, 1
	s_movk_i32 s6, 0x80
	buffer_load_dwordx4 v[18:21], v38, s[0:3], 0 offen
	buffer_load_dwordx4 v[26:29], v38, s[0:3], s6 offen
	;; [unrolled: 1-line block ×4, first 2 shown]
.LBB302_48:
	v_lshrrev_b32_e32 v48, 2, v58
	s_cbranch_execnz .LBB302_61
.LBB302_49:
	s_and_b64 vcc, exec, s[14:15]
	s_cbranch_vccz .LBB302_59
; %bb.50:
	s_waitcnt vmcnt(0)
	v_lshlrev_b32_e32 v23, 1, v35
	v_cmp_gt_i32_e32 vcc, s52, v23
	v_mov_b32_e32 v22, 0
	v_lshlrev_b32_e32 v30, 9, v35
	v_mov_b32_e32 v18, 0
	v_mov_b32_e32 v19, 0
	;; [unrolled: 1-line block ×4, first 2 shown]
	s_and_saveexec_b64 s[0:1], vcc
	s_cbranch_execz .LBB302_52
; %bb.51:
	v_mov_b32_e32 v31, 0
	v_lshl_add_u64 v[18:19], s[4:5], 0, v[30:31]
	v_lshlrev_b32_e32 v20, 1, v36
	v_mov_b32_e32 v21, v31
	v_lshl_add_u64 v[18:19], v[18:19], 0, v[20:21]
	global_load_dwordx4 v[18:21], v[18:19], off
.LBB302_52:
	s_or_b64 exec, exec, s[0:1]
	v_or_b32_e32 v23, 1, v23
	v_cmp_gt_i32_e64 s[0:1], s52, v23
	v_lshlrev_b32_e32 v38, 8, v23
	v_mov_b32_e32 v23, 0
	v_mov_b32_e32 v24, 0
	;; [unrolled: 1-line block ×3, first 2 shown]
	s_and_saveexec_b64 s[2:3], s[0:1]
	s_cbranch_execz .LBB302_54
; %bb.53:
	v_mov_b32_e32 v39, 0
	v_lshl_add_u64 v[22:23], s[4:5], 0, v[38:39]
	v_lshlrev_b32_e32 v24, 1, v36
	v_mov_b32_e32 v25, v39
	v_lshl_add_u64 v[22:23], v[22:23], 0, v[24:25]
	global_load_dwordx4 v[22:25], v[22:23], off
.LBB302_54:
	s_or_b64 exec, exec, s[2:3]
	v_mov_b32_e32 v33, 0
	v_mov_b32_e32 v26, 0
	;; [unrolled: 1-line block ×5, first 2 shown]
	s_and_saveexec_b64 s[2:3], vcc
	s_cbranch_execz .LBB302_56
; %bb.55:
	v_mov_b32_e32 v31, 0
	v_lshl_add_u64 v[26:27], s[4:5], 0, v[30:31]
	v_lshlrev_b32_e32 v30, 1, v36
	v_lshl_add_u64 v[26:27], v[26:27], 0, v[30:31]
	global_load_dwordx4 v[26:29], v[26:27], off offset:128
.LBB302_56:
	s_or_b64 exec, exec, s[2:3]
	v_mov_b32_e32 v32, 0
	v_mov_b32_e32 v31, 0
	;; [unrolled: 1-line block ×3, first 2 shown]
	s_and_saveexec_b64 s[2:3], s[0:1]
	s_cbranch_execz .LBB302_58
; %bb.57:
	v_mov_b32_e32 v39, 0
	v_lshl_add_u64 v[30:31], s[4:5], 0, v[38:39]
	v_lshlrev_b32_e32 v38, 1, v36
	v_lshl_add_u64 v[30:31], v[30:31], 0, v[38:39]
	global_load_dwordx4 v[30:33], v[30:31], off offset:128
.LBB302_58:
	s_or_b64 exec, exec, s[2:3]
	s_branch .LBB302_61
.LBB302_59:
                                        ; implicit-def: $vgpr21
                                        ; implicit-def: $vgpr25
                                        ; implicit-def: $vgpr29
                                        ; implicit-def: $vgpr33
	s_cbranch_execz .LBB302_61
; %bb.60:
	s_waitcnt vmcnt(0)
	v_lshlrev_b32_e32 v18, 1, v36
	v_lshl_or_b32 v36, v35, 9, v18
	s_and_b32 s5, s5, 0xffff
	s_mov_b32 s7, 0x20000
	s_movk_i32 s6, 0x4000
	s_movk_i32 s0, 0x80
	buffer_load_dwordx4 v[18:21], v36, s[4:7], 0 offen
	buffer_load_dwordx4 v[22:25], v36, s[4:7], 0 offen offset:256
	buffer_load_dwordx4 v[26:29], v36, s[4:7], s0 offen
	buffer_load_dwordx4 v[30:33], v36, s[4:7], s0 offen offset:256
.LBB302_61:
	ds_read_b64 v[38:39], v44 offset:32768
	v_add_u32_e32 v36, 0xb000, v42
	ds_read2_b64 v[50:53], v36 offset1:16
	ds_read_b64 v[54:55], v45 offset:32768
	ds_read_b64 v[58:59], v46 offset:32768
	;; [unrolled: 1-line block ×3, first 2 shown]
	v_and_b32_e32 v36, 6, v0
	v_xor_b32_e32 v35, v35, v36
	v_lshlrev_b32_e32 v35, 2, v35
	v_and_b32_e32 v49, 1, v0
	v_cmp_eq_u32_e32 vcc, 0, v49
	s_mov_b32 s0, 0x1000504
	s_waitcnt lgkmcnt(3)
	v_mfma_f32_16x16x16_bf16 a[0:3], v[38:39], v[50:51], a[0:3]
	s_mov_b32 s1, 0x3020706
	v_mfma_f32_16x16x16_bf16 a[4:7], v[38:39], v[52:53], a[4:7]
	ds_read2st64_b64 v[44:47], v42 offset0:90 offset1:92
	ds_read2st64_b64 v[50:53], v43 offset0:90 offset1:92
	s_waitcnt lgkmcnt(1)
	v_mfma_f32_16x16x16_bf16 a[0:3], v[54:55], v[44:45], a[0:3]
	ds_read_b64 v[38:39], v42 offset:48128
	ds_read_b64 v[44:45], v43 offset:48128
	s_waitcnt lgkmcnt(2)
	v_mfma_f32_16x16x16_bf16 a[4:7], v[54:55], v[50:51], a[4:7]
	v_mfma_f32_16x16x16_bf16 a[0:3], v[58:59], v[46:47], a[0:3]
	v_xor_b32_e32 v46, 0x440, v35
	v_cndmask_b32_e32 v35, v46, v35, vcc
	v_lshl_or_b32 v35, v36, 10, v35
	v_mfma_f32_16x16x16_bf16 a[8:11], v[58:59], v[52:53], a[4:7]
	s_waitcnt vmcnt(0)
	v_perm_b32 v36, v18, v22, s0
	v_perm_b32 v18, v18, v22, s1
	;; [unrolled: 1-line block ×3, first 2 shown]
	s_waitcnt lgkmcnt(1)
	v_mfma_f32_16x16x16_bf16 a[4:7], v[60:61], v[38:39], a[0:3]
	v_perm_b32 v38, v26, v30, s0
	ds_write2st64_b32 v35, v36, v38 offset0:32 offset1:64
	v_xor_b32_e32 v36, 8, v35
	v_add_u32_e32 v26, 0x80, v36
	ds_write2st64_b32 v26, v18, v22 offset0:32 offset1:64
	v_xor_b32_e32 v18, 16, v35
	v_perm_b32 v22, v19, v23, s0
	v_perm_b32 v26, v27, v31, s0
	ds_write2st64_b32 v18, v22, v26 offset0:33 offset1:65
	v_xor_b32_e32 v18, 24, v35
	v_perm_b32 v19, v19, v23, s1
	v_perm_b32 v22, v27, v31, s1
	v_add_u32_e32 v18, 0x80, v18
	ds_write2st64_b32 v18, v19, v22 offset0:33 offset1:65
	v_xor_b32_e32 v18, 32, v35
	v_perm_b32 v19, v20, v24, s0
	v_perm_b32 v22, v28, v32, s0
	ds_write2st64_b32 v18, v19, v22 offset0:34 offset1:66
	v_xor_b32_e32 v18, 40, v35
	s_waitcnt lgkmcnt(5)
	v_mfma_f32_16x16x16_bf16 a[0:3], v[60:61], v[44:45], a[8:11]
	v_perm_b32 v19, v20, v24, s1
	v_perm_b32 v20, v28, v32, s1
	v_add_u32_e32 v18, 0x80, v18
	ds_write2st64_b32 v18, v19, v20 offset0:34 offset1:66
	v_xor_b32_e32 v18, 48, v35
	v_perm_b32 v19, v21, v25, s0
	v_perm_b32 v20, v29, v33, s0
	ds_write2st64_b32 v18, v19, v20 offset0:35 offset1:67
	v_xor_b32_e32 v18, 56, v35
	v_and_or_b32 v39, v48, 12, v57
	v_perm_b32 v19, v21, v25, s1
	v_perm_b32 v20, v29, v33, s1
	v_add_u32_e32 v18, 0x80, v18
	v_cmp_gt_i32_e32 vcc, s52, v39
	v_mov_b32_e32 v32, 0
	v_mov_b32_e32 v36, 0
	ds_write2st64_b32 v18, v19, v20 offset0:35 offset1:67
	s_and_saveexec_b64 s[0:1], vcc
	s_cbranch_execz .LBB302_63
; %bb.62:
	v_add_u32_e32 v18, s50, v39
	v_ashrrev_i32_e32 v19, 31, v18
	v_mul_lo_u32 v20, v19, s36
	v_mul_lo_u32 v21, v18, s37
	v_mad_u64_u32 v[18:19], s[2:3], v18, s36, 0
	v_add3_u32 v19, v19, v21, v20
	v_lshl_add_u64 v[18:19], v[18:19], 2, s[12:13]
	global_load_dword v18, v[18:19], off
	s_waitcnt vmcnt(0)
	v_sub_f32_e32 v18, s16, v18
	v_exp_f32_e32 v36, v18
.LBB302_63:
	s_or_b64 exec, exec, s[0:1]
	v_or_b32_e32 v26, 1, v39
	v_cmp_gt_i32_e64 s[0:1], s52, v26
	s_and_saveexec_b64 s[2:3], s[0:1]
	s_cbranch_execz .LBB302_65
; %bb.64:
	v_add_u32_e32 v18, s50, v26
	v_ashrrev_i32_e32 v19, 31, v18
	v_mul_lo_u32 v20, v19, s36
	v_mul_lo_u32 v21, v18, s37
	v_mad_u64_u32 v[18:19], s[4:5], v18, s36, 0
	v_add3_u32 v19, v19, v21, v20
	v_lshl_add_u64 v[18:19], v[18:19], 2, s[12:13]
	global_load_dword v18, v[18:19], off
	s_waitcnt vmcnt(0)
	v_sub_f32_e32 v18, s16, v18
	v_exp_f32_e32 v32, v18
.LBB302_65:
	s_or_b64 exec, exec, s[2:3]
	v_or_b32_e32 v27, 2, v39
	v_cmp_gt_i32_e64 s[2:3], s52, v27
	v_mov_b32_e32 v33, 0
	v_mov_b32_e32 v38, 0
	s_and_saveexec_b64 s[4:5], s[2:3]
	s_cbranch_execz .LBB302_67
; %bb.66:
	v_add_u32_e32 v18, s50, v27
	v_ashrrev_i32_e32 v19, 31, v18
	v_mul_lo_u32 v20, v19, s36
	v_mul_lo_u32 v21, v18, s37
	v_mad_u64_u32 v[18:19], s[6:7], v18, s36, 0
	v_add3_u32 v19, v19, v21, v20
	v_lshl_add_u64 v[18:19], v[18:19], 2, s[12:13]
	global_load_dword v18, v[18:19], off
	s_waitcnt vmcnt(0)
	v_sub_f32_e32 v18, s16, v18
	v_exp_f32_e32 v38, v18
.LBB302_67:
	s_or_b64 exec, exec, s[4:5]
	v_or_b32_e32 v44, 3, v39
	v_cmp_gt_i32_e64 s[4:5], s52, v44
	s_and_saveexec_b64 s[6:7], s[4:5]
	s_cbranch_execz .LBB302_69
; %bb.68:
	v_add_u32_e32 v18, s50, v44
	v_ashrrev_i32_e32 v19, 31, v18
	v_mul_lo_u32 v20, v19, s36
	v_mul_lo_u32 v21, v18, s37
	v_mad_u64_u32 v[18:19], s[14:15], v18, s36, 0
	v_add3_u32 v19, v19, v21, v20
	v_lshl_add_u64 v[18:19], v[18:19], 2, s[12:13]
	global_load_dword v18, v[18:19], off
	s_waitcnt vmcnt(0)
	v_sub_f32_e32 v18, s16, v18
	v_exp_f32_e32 v33, v18
.LBB302_69:
	s_or_b64 exec, exec, s[6:7]
	s_add_u32 s6, s20, s10
	v_accvgpr_read_b32 v21, a7
	s_addc_u32 s7, s21, s11
	v_ashrrev_i32_e32 v35, 31, v34
	v_accvgpr_read_b32 v20, a6
	v_accvgpr_read_b32 v19, a5
	;; [unrolled: 1-line block ×3, first 2 shown]
	v_lshl_add_u64 v[22:23], v[34:35], 1, s[6:7]
	v_mov_b32_e32 v29, 0
	v_lshlrev_b32_e32 v24, 8, v39
	v_mov_b32_e32 v25, 0
	s_and_saveexec_b64 s[6:7], vcc
	s_cbranch_execz .LBB302_71
; %bb.70:
	v_mov_b32_e32 v25, 0
	v_lshl_add_u64 v[30:31], v[22:23], 0, v[24:25]
	global_load_ushort v25, v[30:31], off
	s_waitcnt vmcnt(0)
	v_lshlrev_b32_e32 v25, 16, v25
	v_sub_f32_e32 v18, v25, v18
	v_mul_f32_e32 v18, v36, v18
	v_lshrrev_b32_e32 v25, 16, v18
.LBB302_71:
	s_or_b64 exec, exec, s[6:7]
	v_lshlrev_b32_e32 v28, 8, v26
	s_and_saveexec_b64 s[6:7], s[0:1]
	s_cbranch_execz .LBB302_73
; %bb.72:
	v_mov_b32_e32 v29, 0
	v_lshl_add_u64 v[30:31], v[22:23], 0, v[28:29]
	global_load_ushort v18, v[30:31], off
	s_waitcnt vmcnt(0)
	v_lshlrev_b32_e32 v18, 16, v18
	v_sub_f32_e32 v18, v18, v19
	v_mul_f32_e32 v18, v32, v18
	v_lshrrev_b32_e32 v29, 16, v18
.LBB302_73:
	s_or_b64 exec, exec, s[6:7]
	v_mov_b32_e32 v45, 0
	v_lshlrev_b32_e32 v30, 8, v27
	v_mov_b32_e32 v31, 0
	s_and_saveexec_b64 s[6:7], s[2:3]
	s_cbranch_execz .LBB302_75
; %bb.74:
	v_mov_b32_e32 v31, 0
	v_lshl_add_u64 v[18:19], v[22:23], 0, v[30:31]
	global_load_ushort v18, v[18:19], off
	s_waitcnt vmcnt(0)
	v_lshlrev_b32_e32 v18, 16, v18
	v_sub_f32_e32 v18, v18, v20
	v_mul_f32_e32 v18, v38, v18
	v_lshrrev_b32_e32 v31, 16, v18
.LBB302_75:
	s_or_b64 exec, exec, s[6:7]
	v_lshlrev_b32_e32 v26, 8, v44
	s_and_saveexec_b64 s[6:7], s[4:5]
	s_cbranch_execz .LBB302_77
; %bb.76:
	v_mov_b32_e32 v27, 0
	v_lshl_add_u64 v[18:19], v[22:23], 0, v[26:27]
	global_load_ushort v18, v[18:19], off
	s_waitcnt vmcnt(0)
	v_lshlrev_b32_e32 v18, 16, v18
	v_sub_f32_e32 v18, v18, v21
	v_mul_f32_e32 v18, v33, v18
	v_lshrrev_b32_e32 v45, 16, v18
.LBB302_77:
	s_or_b64 exec, exec, s[6:7]
	v_lshlrev_b32_e32 v35, 5, v39
	s_mov_b32 s6, 0x5040100
	v_perm_b32 v44, v29, v25, s6
	v_or_b32_e32 v25, v35, v40
	v_accvgpr_read_b32 v21, a3
	v_perm_b32 v45, v45, v31, s6
	v_lshlrev_b32_e32 v25, 1, v25
	v_accvgpr_read_b32 v20, a2
	v_accvgpr_read_b32 v19, a1
	;; [unrolled: 1-line block ×3, first 2 shown]
	ds_write_b64 v25, v[44:45] offset:45056
	v_mov_b32_e32 v29, 0
	v_mov_b32_e32 v25, 0
	s_and_saveexec_b64 s[6:7], vcc
	s_cbranch_execz .LBB302_79
; %bb.78:
	v_mov_b32_e32 v25, 0
	v_lshl_add_u64 v[24:25], v[22:23], 0, v[24:25]
	global_load_ushort v24, v[24:25], off offset:32
	s_waitcnt vmcnt(0)
	v_lshlrev_b32_e32 v24, 16, v24
	v_sub_f32_e32 v18, v24, v18
	v_mul_f32_e32 v18, v36, v18
	v_lshrrev_b32_e32 v25, 16, v18
.LBB302_79:
	s_or_b64 exec, exec, s[6:7]
	s_and_saveexec_b64 s[6:7], s[0:1]
	s_cbranch_execz .LBB302_81
; %bb.80:
	v_mov_b32_e32 v29, 0
	v_lshl_add_u64 v[28:29], v[22:23], 0, v[28:29]
	global_load_ushort v18, v[28:29], off offset:32
	s_waitcnt vmcnt(0)
	v_lshlrev_b32_e32 v18, 16, v18
	v_sub_f32_e32 v18, v18, v19
	v_mul_f32_e32 v18, v32, v18
	v_lshrrev_b32_e32 v29, 16, v18
.LBB302_81:
	s_or_b64 exec, exec, s[6:7]
	v_mov_b32_e32 v24, 0
	v_mov_b32_e32 v28, 0
	s_and_saveexec_b64 s[0:1], s[2:3]
	s_cbranch_execz .LBB302_83
; %bb.82:
	v_mov_b32_e32 v31, 0
	v_lshl_add_u64 v[18:19], v[22:23], 0, v[30:31]
	global_load_ushort v18, v[18:19], off offset:32
	s_waitcnt vmcnt(0)
	v_lshlrev_b32_e32 v18, 16, v18
	v_sub_f32_e32 v18, v18, v20
	v_mul_f32_e32 v18, v38, v18
	v_lshrrev_b32_e32 v28, 16, v18
.LBB302_83:
	s_or_b64 exec, exec, s[0:1]
	v_or_b32_e32 v19, 0xb000, v42
	v_or_b32_e32 v18, 0xb000, v43
	s_and_saveexec_b64 s[0:1], s[4:5]
	s_cbranch_execz .LBB302_85
; %bb.84:
	v_mov_b32_e32 v27, 0
	v_lshl_add_u64 v[22:23], v[22:23], 0, v[26:27]
	global_load_ushort v20, v[22:23], off offset:32
	s_waitcnt vmcnt(0)
	v_lshlrev_b32_e32 v20, 16, v20
	v_sub_f32_e32 v20, v20, v21
	v_mul_f32_e32 v20, v33, v20
	v_lshrrev_b32_e32 v24, 16, v20
.LBB302_85:
	s_or_b64 exec, exec, s[0:1]
	s_mov_b32 s0, 0x5040100
	v_or_b32_e32 v22, v35, v37
	v_perm_b32 v21, v24, v28, s0
	v_perm_b32 v20, v29, v25, s0
	v_lshlrev_b32_e32 v22, 1, v22
	s_movk_i32 s0, 0x100
	ds_write_b64 v22, v[20:21] offset:45056
	v_and_b32_e32 v20, 7, v0
	v_and_b32_e32 v21, 8, v0
	v_cmp_gt_u32_e32 vcc, s0, v0
	v_lshrrev_b32_e32 v0, 1, v0
	v_lshlrev_b32_e32 v35, 3, v20
	v_lshlrev_b32_e32 v36, 7, v20
	v_mov_b32_e32 v20, 0x4000
	v_mov_b32_e32 v22, 0x2000
	v_lshlrev_b32_e32 v38, 3, v56
	v_and_b32_e32 v0, 24, v0
	v_cndmask_b32_e32 v37, v20, v22, vcc
	v_xor_b32_e32 v20, v38, v0
	v_or_b32_e32 v26, 32, v0
	v_or_b32_e32 v22, 0x440, v20
	v_cmp_eq_u32_e32 vcc, 0, v21
	v_xor_b32_e32 v26, v38, v26
	v_or_b32_e32 v27, 0x440, v26
	v_cndmask_b32_e32 v20, v22, v20, vcc
	v_or_b32_e32 v20, v20, v41
	v_cndmask_b32_e32 v26, v27, v26, vcc
	v_xad_u32 v40, v20, v35, v36
	v_or_b32_e32 v26, v26, v41
	v_add_u32_e32 v20, v37, v40
	v_xad_u32 v42, v26, v35, v36
	s_waitcnt lgkmcnt(0)
	s_barrier
	ds_read_b64 v[24:25], v20
	ds_read2_b64 v[20:23], v19 offset1:16
	v_add_u32_e32 v26, v37, v42
	ds_read_b64 v[32:33], v26
	s_waitcnt lgkmcnt(1)
	v_mfma_f32_16x16x16_bf16 a[0:3], v[24:25], v[20:21], 0
	ds_read2st64_b64 v[28:31], v18 offset0:2 offset1:4
	v_mfma_f32_16x16x16_bf16 a[4:7], v[24:25], v[22:23], 0
	ds_read2st64_b64 v[24:27], v19 offset0:2 offset1:4
	s_waitcnt lgkmcnt(0)
	v_mfma_f32_16x16x16_bf16 a[0:3], v[32:33], v[24:25], a[0:3]
	v_mfma_f32_16x16x16_bf16 a[4:7], v[32:33], v[28:29], a[4:7]
	v_or_b32_e32 v32, 64, v0
	v_xor_b32_e32 v32, v38, v32
	v_xor_b32_e32 v33, 0x440, v32
	v_cndmask_b32_e32 v32, v33, v32, vcc
	v_or_b32_e32 v32, v32, v41
	v_xad_u32 v43, v32, v35, v36
	v_add_u32_e32 v32, v37, v43
	ds_read_b64 v[32:33], v32
	v_or_b32_e32 v0, 0x60, v0
	v_xor_b32_e32 v0, v38, v0
	v_xor_b32_e32 v38, 0x440, v0
	v_cndmask_b32_e32 v0, v38, v0, vcc
	v_or_b32_e32 v0, v0, v41
	v_xad_u32 v0, v0, v35, v36
	v_add_u32_e32 v35, v37, v0
	ds_read_b64 v[36:37], v35
	s_waitcnt lgkmcnt(1)
	v_mfma_f32_16x16x16_bf16 a[0:3], v[32:33], v[26:27], a[0:3]
	v_exp_f32_e32 v35, s16
	v_mfma_f32_16x16x16_bf16 a[4:7], v[32:33], v[30:31], a[4:7]
	ds_read_b64 v[32:33], v19 offset:3072
	ds_read_b64 v[38:39], v18 offset:3072
	;; [unrolled: 1-line block ×3, first 2 shown]
	s_waitcnt lgkmcnt(0)
	v_mfma_f32_16x16x16_bf16 a[8:11], v[18:19], v[20:21], 0
	ds_read_b64 v[20:21], v42 offset:16384
	v_mfma_f32_16x16x16_bf16 a[0:3], v[36:37], v[32:33], a[0:3]
	v_mfma_f32_16x16x16_bf16 a[12:15], v[18:19], v[22:23], 0
	ds_read_b64 v[22:23], v43 offset:16384
	s_nop 4
	v_accvgpr_read_b32 v18, a0
	v_fma_f32 v18, v2, v35, v18
	v_accvgpr_read_b32 v2, a1
	v_fma_f32 v19, v3, v35, v2
	v_accvgpr_read_b32 v2, a2
	s_waitcnt lgkmcnt(1)
	v_mfma_f32_16x16x16_bf16 a[8:11], v[20:21], v[24:25], a[8:11]
	v_mfma_f32_16x16x16_bf16 a[12:15], v[20:21], v[28:29], a[12:15]
	v_fma_f32 v20, v4, v35, v2
	ds_read_b64 v[2:3], v0 offset:16384
	v_accvgpr_read_b32 v21, a3
	s_waitcnt lgkmcnt(1)
	v_mfma_f32_16x16x16_bf16 a[0:3], v[22:23], v[26:27], a[8:11]
	v_fmac_f32_e32 v21, v5, v35
	v_mfma_f32_16x16x16_bf16 a[4:7], v[36:37], v[38:39], a[4:7]
	v_mfma_f32_16x16x16_bf16 a[8:11], v[22:23], v[30:31], a[12:15]
	s_waitcnt lgkmcnt(0)
	v_mfma_f32_16x16x16_bf16 a[0:3], v[2:3], v[32:33], a[0:3]
	s_nop 3
	v_accvgpr_read_b32 v0, a4
	v_fma_f32 v26, v10, v35, v0
	v_accvgpr_read_b32 v0, a5
	v_fma_f32 v27, v11, v35, v0
	v_accvgpr_read_b32 v0, a6
	v_accvgpr_read_b32 v29, a7
	v_mfma_f32_16x16x16_bf16 a[4:7], v[2:3], v[38:39], a[8:11]
	v_fma_f32 v28, v12, v35, v0
	v_accvgpr_read_b32 v0, a0
	v_fma_f32 v22, v6, v35, v0
	v_accvgpr_read_b32 v0, a1
	;; [unrolled: 2-line block ×5, first 2 shown]
	v_accvgpr_read_b32 v25, a3
	v_fma_f32 v31, v15, v35, v0
	v_accvgpr_read_b32 v0, a6
	v_accvgpr_read_b32 v33, a7
	v_fmac_f32_e32 v29, v13, v35
	v_fmac_f32_e32 v25, v9, v35
	v_fma_f32 v32, v16, v35, v0
	v_fmac_f32_e32 v33, v17, v35
	v_mov_b64_e32 v[2:3], v[18:19]
	v_mov_b64_e32 v[4:5], v[20:21]
	;; [unrolled: 1-line block ×8, first 2 shown]
	v_mov_b32_e32 v18, v34
.LBB302_86:
	s_lshl_b64 s[0:1], s[8:9], 15
	s_waitcnt lgkmcnt(0)
	s_add_u32 s0, s34, s0
	v_lshlrev_b32_e32 v18, 7, v18
	s_addc_u32 s1, s35, s1
	v_ashrrev_i32_e32 v19, 31, v18
	v_lshl_add_u64 v[20:21], v[18:19], 1, s[0:1]
	v_lshlrev_b32_e32 v0, 1, v1
	v_mov_b32_e32 v1, 0
	s_mov_b32 s2, 0x7060302
	v_lshl_add_u64 v[20:21], v[20:21], 0, v[0:1]
	v_perm_b32 v5, v5, v4, s2
	v_perm_b32 v4, v3, v2, s2
	;; [unrolled: 1-line block ×4, first 2 shown]
	global_store_dwordx2 v[20:21], v[2:3], off offset:128
	v_or_b32_e32 v2, 0x800, v18
	v_ashrrev_i32_e32 v3, 31, v2
	v_lshl_add_u64 v[2:3], v[2:3], 1, s[0:1]
	v_lshl_add_u64 v[0:1], v[2:3], 0, v[0:1]
	v_perm_b32 v3, v13, v12, s2
	v_perm_b32 v2, v11, v10, s2
	global_store_dwordx2 v[0:1], v[2:3], off
	v_perm_b32 v3, v17, v16, s2
	v_perm_b32 v2, v15, v14, s2
	global_store_dwordx2 v[20:21], v[4:5], off
	global_store_dwordx2 v[0:1], v[2:3], off offset:128
	s_endpgm
	.section	.rodata,"a",@progbits
	.p2align	6, 0x0
	.amdhsa_kernel _ZN12_GLOBAL__N_139chunk_gated_delta_rule_fwd_h_hip_kernelILi32ELb0ELb1ELb0ELb0ELb1ELb0ELb1ELb1EEEvPK12hip_bfloat16S3_S3_PKfS5_PKvPS1_S8_PvPKiSB_iiiiilll
		.amdhsa_group_segment_fixed_size 49152
		.amdhsa_private_segment_fixed_size 0
		.amdhsa_kernarg_size 136
		.amdhsa_user_sgpr_count 2
		.amdhsa_user_sgpr_dispatch_ptr 0
		.amdhsa_user_sgpr_queue_ptr 0
		.amdhsa_user_sgpr_kernarg_segment_ptr 1
		.amdhsa_user_sgpr_dispatch_id 0
		.amdhsa_user_sgpr_kernarg_preload_length 0
		.amdhsa_user_sgpr_kernarg_preload_offset 0
		.amdhsa_user_sgpr_private_segment_size 0
		.amdhsa_uses_dynamic_stack 0
		.amdhsa_enable_private_segment 0
		.amdhsa_system_sgpr_workgroup_id_x 1
		.amdhsa_system_sgpr_workgroup_id_y 1
		.amdhsa_system_sgpr_workgroup_id_z 0
		.amdhsa_system_sgpr_workgroup_info 0
		.amdhsa_system_vgpr_workitem_id 0
		.amdhsa_next_free_vgpr 148
		.amdhsa_next_free_sgpr 64
		.amdhsa_accum_offset 132
		.amdhsa_reserve_vcc 1
		.amdhsa_float_round_mode_32 0
		.amdhsa_float_round_mode_16_64 0
		.amdhsa_float_denorm_mode_32 3
		.amdhsa_float_denorm_mode_16_64 3
		.amdhsa_dx10_clamp 1
		.amdhsa_ieee_mode 1
		.amdhsa_fp16_overflow 0
		.amdhsa_tg_split 0
		.amdhsa_exception_fp_ieee_invalid_op 0
		.amdhsa_exception_fp_denorm_src 0
		.amdhsa_exception_fp_ieee_div_zero 0
		.amdhsa_exception_fp_ieee_overflow 0
		.amdhsa_exception_fp_ieee_underflow 0
		.amdhsa_exception_fp_ieee_inexact 0
		.amdhsa_exception_int_div_zero 0
	.end_amdhsa_kernel
	.section	.text._ZN12_GLOBAL__N_139chunk_gated_delta_rule_fwd_h_hip_kernelILi32ELb0ELb1ELb0ELb0ELb1ELb0ELb1ELb1EEEvPK12hip_bfloat16S3_S3_PKfS5_PKvPS1_S8_PvPKiSB_iiiiilll,"axG",@progbits,_ZN12_GLOBAL__N_139chunk_gated_delta_rule_fwd_h_hip_kernelILi32ELb0ELb1ELb0ELb0ELb1ELb0ELb1ELb1EEEvPK12hip_bfloat16S3_S3_PKfS5_PKvPS1_S8_PvPKiSB_iiiiilll,comdat
.Lfunc_end302:
	.size	_ZN12_GLOBAL__N_139chunk_gated_delta_rule_fwd_h_hip_kernelILi32ELb0ELb1ELb0ELb0ELb1ELb0ELb1ELb1EEEvPK12hip_bfloat16S3_S3_PKfS5_PKvPS1_S8_PvPKiSB_iiiiilll, .Lfunc_end302-_ZN12_GLOBAL__N_139chunk_gated_delta_rule_fwd_h_hip_kernelILi32ELb0ELb1ELb0ELb0ELb1ELb0ELb1ELb1EEEvPK12hip_bfloat16S3_S3_PKfS5_PKvPS1_S8_PvPKiSB_iiiiilll
                                        ; -- End function
	.section	.AMDGPU.csdata,"",@progbits
; Kernel info:
; codeLenInByte = 9448
; NumSgprs: 70
; NumVgprs: 130
; NumAgprs: 16
; TotalNumVgprs: 148
; ScratchSize: 0
; MemoryBound: 0
; FloatMode: 240
; IeeeMode: 1
; LDSByteSize: 49152 bytes/workgroup (compile time only)
; SGPRBlocks: 8
; VGPRBlocks: 18
; NumSGPRsForWavesPerEU: 70
; NumVGPRsForWavesPerEU: 148
; AccumOffset: 132
; Occupancy: 1
; WaveLimiterHint : 1
; COMPUTE_PGM_RSRC2:SCRATCH_EN: 0
; COMPUTE_PGM_RSRC2:USER_SGPR: 2
; COMPUTE_PGM_RSRC2:TRAP_HANDLER: 0
; COMPUTE_PGM_RSRC2:TGID_X_EN: 1
; COMPUTE_PGM_RSRC2:TGID_Y_EN: 1
; COMPUTE_PGM_RSRC2:TGID_Z_EN: 0
; COMPUTE_PGM_RSRC2:TIDIG_COMP_CNT: 0
; COMPUTE_PGM_RSRC3_GFX90A:ACCUM_OFFSET: 32
; COMPUTE_PGM_RSRC3_GFX90A:TG_SPLIT: 0
	.section	.text._ZN12_GLOBAL__N_139chunk_gated_delta_rule_fwd_h_hip_kernelILi32ELb0ELb0ELb1ELb0ELb1ELb0ELb1ELb1EEEvPK12hip_bfloat16S3_S3_PKfS5_PKvPS1_S8_PvPKiSB_iiiiilll,"axG",@progbits,_ZN12_GLOBAL__N_139chunk_gated_delta_rule_fwd_h_hip_kernelILi32ELb0ELb0ELb1ELb0ELb1ELb0ELb1ELb1EEEvPK12hip_bfloat16S3_S3_PKfS5_PKvPS1_S8_PvPKiSB_iiiiilll,comdat
	.globl	_ZN12_GLOBAL__N_139chunk_gated_delta_rule_fwd_h_hip_kernelILi32ELb0ELb0ELb1ELb0ELb1ELb0ELb1ELb1EEEvPK12hip_bfloat16S3_S3_PKfS5_PKvPS1_S8_PvPKiSB_iiiiilll ; -- Begin function _ZN12_GLOBAL__N_139chunk_gated_delta_rule_fwd_h_hip_kernelILi32ELb0ELb0ELb1ELb0ELb1ELb0ELb1ELb1EEEvPK12hip_bfloat16S3_S3_PKfS5_PKvPS1_S8_PvPKiSB_iiiiilll
	.p2align	8
	.type	_ZN12_GLOBAL__N_139chunk_gated_delta_rule_fwd_h_hip_kernelILi32ELb0ELb0ELb1ELb0ELb1ELb0ELb1ELb1EEEvPK12hip_bfloat16S3_S3_PKfS5_PKvPS1_S8_PvPKiSB_iiiiilll,@function
_ZN12_GLOBAL__N_139chunk_gated_delta_rule_fwd_h_hip_kernelILi32ELb0ELb0ELb1ELb0ELb1ELb0ELb1ELb1EEEvPK12hip_bfloat16S3_S3_PKfS5_PKvPS1_S8_PvPKiSB_iiiiilll: ; @_ZN12_GLOBAL__N_139chunk_gated_delta_rule_fwd_h_hip_kernelILi32ELb0ELb0ELb1ELb0ELb1ELb0ELb1ELb1EEEvPK12hip_bfloat16S3_S3_PKfS5_PKvPS1_S8_PvPKiSB_iiiiilll
; %bb.0:
	s_load_dwordx4 s[16:19], s[0:1], 0x5c
	s_load_dwordx4 s[12:15], s[0:1], 0x30
	s_abs_i32 s22, s3
	s_ashr_i32 s21, s3, 31
	s_load_dwordx8 s[4:11], s[0:1], 0x0
	s_waitcnt lgkmcnt(0)
	s_abs_i32 s20, s17
	v_cvt_f32_u32_e32 v1, s20
	s_sub_i32 s24, 0, s20
	s_ashr_i32 s23, s17, 31
	s_xor_b32 s21, s21, s23
	v_rcp_iflag_f32_e32 v1, v1
	v_lshrrev_b32_e32 v44, 6, v0
	v_bfe_u32 v45, v0, 4, 2
	v_lshlrev_b32_e32 v2, 2, v45
	v_mul_f32_e32 v1, 0x4f7ffffe, v1
	v_cvt_u32_f32_e32 v1, v1
	v_and_b32_e32 v43, 63, v0
	v_and_b32_e32 v42, 15, v0
	v_mov_b32_e32 v3, 0
	v_readfirstlane_b32 s25, v1
	s_mul_i32 s24, s24, s25
	s_mul_hi_u32 s24, s25, s24
	s_add_i32 s25, s25, s24
	s_mul_hi_u32 s24, s22, s25
	s_mul_i32 s25, s24, s20
	s_sub_i32 s22, s22, s25
	s_add_i32 s26, s24, 1
	s_sub_i32 s25, s22, s20
	s_cmp_ge_u32 s22, s20
	s_cselect_b32 s24, s26, s24
	s_cselect_b32 s22, s25, s22
	s_add_i32 s25, s24, 1
	s_cmp_ge_u32 s22, s20
	s_cselect_b32 s22, s25, s24
	s_xor_b32 s22, s22, s21
	s_sub_i32 s47, s22, s21
	s_abs_i32 s21, s18
	v_cvt_f32_u32_e32 v1, s21
	s_add_i32 s24, s16, 63
	s_mul_i32 s45, s47, s17
	s_sub_i32 s33, s3, s45
	v_rcp_iflag_f32_e32 v1, v1
	s_ashr_i32 s3, s24, 31
	s_ashr_i32 s46, s16, 31
	s_lshr_b32 s3, s3, 26
	v_mul_f32_e32 v1, 0x4f7ffffe, v1
	v_cvt_u32_f32_e32 v1, v1
	s_lshr_b32 s22, s46, 26
	s_add_i32 s24, s24, s3
	s_add_i32 s22, s16, s22
	s_ashr_i32 s49, s18, 31
	s_ashr_i32 s3, s24, 6
	s_ashr_i32 s48, s22, 6
	s_xor_b32 s22, s23, s49
	s_sub_i32 s23, 0, s21
	v_readfirstlane_b32 s24, v1
	s_mul_i32 s23, s23, s24
	s_mul_hi_u32 s23, s24, s23
	s_add_i32 s24, s24, s23
	s_mul_hi_u32 s23, s20, s24
	s_mul_i32 s24, s23, s21
	s_sub_i32 s20, s20, s24
	s_add_i32 s24, s23, 1
	s_sub_i32 s25, s20, s21
	s_cmp_ge_u32 s20, s21
	s_cselect_b32 s23, s24, s23
	s_cselect_b32 s20, s25, s20
	s_add_i32 s24, s23, 1
	s_cmp_ge_u32 s20, s21
	s_cselect_b32 s20, s24, s23
	s_xor_b32 s20, s20, s22
	s_sub_i32 s24, s20, s22
	s_abs_i32 s25, s24
	v_cvt_f32_u32_e32 v1, s25
	s_load_dwordx2 s[34:35], s[0:1], 0x80
	s_load_dwordx4 s[20:23], s[0:1], 0x70
	s_xor_b32 s0, s33, s24
	s_sub_i32 s24, 0, s25
	v_rcp_iflag_f32_e32 v1, v1
	s_abs_i32 s1, s33
	s_ashr_i32 s0, s0, 31
	s_mul_i32 s50, s47, s3
	v_mul_f32_e32 v1, 0x4f7ffffe, v1
	v_cvt_u32_f32_e32 v1, v1
	s_mul_hi_i32 s51, s47, s17
	v_lshrrev_b32_e32 v47, 3, v43
	v_lshlrev_b32_e32 v46, 3, v0
	v_readfirstlane_b32 s26, v1
	s_mul_i32 s24, s24, s26
	s_mul_hi_u32 s24, s26, s24
	s_add_i32 s26, s26, s24
	s_mul_hi_u32 s24, s1, s26
	s_mul_i32 s26, s24, s25
	s_sub_i32 s1, s1, s26
	s_add_i32 s26, s24, 1
	s_sub_i32 s27, s1, s25
	s_cmp_ge_u32 s1, s25
	s_cselect_b32 s24, s26, s24
	s_cselect_b32 s1, s27, s1
	s_add_i32 s26, s24, 1
	s_cmp_ge_u32 s1, s25
	s_cselect_b32 s1, s26, s24
	s_xor_b32 s1, s1, s0
	v_lshlrev_b32_e32 v1, 4, v44
	s_sub_i32 s52, s1, s0
	v_or_b32_e32 v48, v2, v1
	s_lshl_b32 s36, s2, 5
	v_or_b32_e32 v49, 64, v48
	s_cmp_lt_i32 s16, 64
	s_waitcnt lgkmcnt(0)
	s_mul_i32 s21, s47, s21
	s_mul_hi_u32 s44, s47, s20
	s_mul_i32 s38, s47, s20
	v_mov_b32_e32 v64, 0
	v_mov_b32_e32 v62, 0
	;; [unrolled: 1-line block ×15, first 2 shown]
	s_cbranch_scc1 .LBB303_18
; %bb.1:
	s_ashr_i32 s28, s47, 31
	s_ashr_i32 s54, s33, 31
	s_add_u32 s0, s45, s33
	s_addc_u32 s1, s51, s54
	s_mul_i32 s1, s16, s1
	s_mul_hi_u32 s2, s16, s0
	s_add_i32 s3, s2, s1
	s_mul_i32 s2, s16, s0
	s_lshl_b64 s[0:1], s[2:3], 8
	v_and_b32_e32 v51, 56, v46
	s_add_u32 s24, s6, s0
	v_lshl_or_b32 v50, v44, 3, v47
	v_lshlrev_b32_e32 v3, 1, v51
	s_addc_u32 s0, s7, s1
	v_lshl_or_b32 v52, v50, 8, v3
	s_and_b32 s25, s0, 0xffff
	s_mov_b32 s27, 0x20000
	s_movk_i32 s26, 0x4000
	s_movk_i32 s0, 0x80
	v_or_b32_e32 v53, 0x2000, v52
	buffer_load_dwordx4 v[4:7], v52, s[24:27], 0 offen
	buffer_load_dwordx4 v[8:11], v52, s[24:27], s0 offen
	;; [unrolled: 1-line block ×4, first 2 shown]
	v_lshlrev_b32_e32 v20, 3, v50
	v_and_or_b32 v22, v0, 7, v20
	v_and_b32_e32 v20, 0x78, v20
	v_lshlrev_b32_e32 v22, 4, v22
	v_xor_b32_e32 v54, v22, v20
	v_mul_lo_u32 v21, v50, s19
	v_or_b32_e32 v55, 0x1000, v54
	s_cmpk_eq_i32 s19, 0x80
	s_mov_b32 s53, s18
	v_xor_b32_e32 v20, 8, v54
	v_xor_b32_e32 v22, 8, v55
	s_cselect_b64 s[0:1], -1, 0
	s_cmpk_lg_i32 s19, 0x80
	s_waitcnt vmcnt(3)
	ds_write_b64 v54, v[4:5] offset:24576
	ds_write_b64 v20, v[6:7] offset:24576
	s_waitcnt vmcnt(2)
	ds_write_b64 v54, v[8:9] offset:32768
	ds_write_b64 v20, v[10:11] offset:32768
	;; [unrolled: 3-line block ×4, first 2 shown]
	v_lshl_add_u32 v4, v21, 1, v51
	s_cbranch_scc0 .LBB303_3
; %bb.2:
	v_lshlrev_b32_e32 v6, 1, v4
	v_add_lshl_u32 v5, v4, s19, 1
	s_lshl_b32 s26, s19, 7
	v_lshl_or_b32 v3, v50, 9, v3
	s_cbranch_execz .LBB303_4
	s_branch .LBB303_5
.LBB303_3:
                                        ; implicit-def: $vgpr5
                                        ; implicit-def: $vgpr6
                                        ; implicit-def: $sgpr26
	v_lshl_or_b32 v3, v50, 9, v3
.LBB303_4:
	v_or_b32_e32 v5, 0x100, v3
	s_movk_i32 s26, 0x4000
	v_mov_b32_e32 v6, v3
.LBB303_5:
	s_mul_hi_u32 s24, s18, s16
	s_mul_i32 s25, s49, s16
	s_add_i32 s24, s24, s25
	s_mul_i32 s25, s18, s16
	s_mul_i32 s27, s25, s28
	s_mul_hi_u32 s29, s25, s47
	s_add_i32 s27, s29, s27
	s_mul_i32 s24, s24, s47
	s_add_i32 s27, s27, s24
	s_mul_i32 s25, s25, s47
	s_ashr_i32 s55, s52, 31
	s_add_u32 s24, s25, s52
	s_addc_u32 s25, s27, s55
	s_lshl_b64 s[24:25], s[24:25], 8
	s_add_u32 s24, s4, s24
	s_addc_u32 s25, s5, s25
	s_and_b32 s25, s25, 0xffff
	s_mov_b32 s27, 0x20000
	s_movk_i32 s56, 0x80
	buffer_load_dwordx4 v[8:11], v6, s[24:27], 0 offen
	buffer_load_dwordx4 v[12:15], v6, s[24:27], s56 offen
	;; [unrolled: 1-line block ×4, first 2 shown]
	v_and_b32_e32 v5, 6, v0
	v_lshlrev_b32_e32 v24, 6, v48
	v_or_b32_e32 v26, 16, v42
	v_xor_b32_e32 v27, v50, v5
	v_and_b32_e32 v6, 1, v0
	s_mul_i32 s24, s28, s16
	s_mul_hi_u32 s25, s47, s16
	v_lshl_or_b32 v30, v42, 3, v24
	v_lshl_or_b32 v24, v26, 3, v24
	v_lshlrev_b32_e32 v27, 2, v27
	v_lshlrev_b32_e32 v7, 2, v42
	v_or_b32_e32 v58, 0xa000, v24
	v_or_b32_e32 v59, 0xb000, v24
	v_xor_b32_e32 v24, 0x440, v27
	v_cmp_eq_u32_e32 vcc, 0, v6
	s_add_i32 s61, s25, s24
	s_add_i32 s24, s44, s21
	s_mul_i32 s28, s28, s20
	v_xor_b32_e32 v28, v48, v7
	v_xor_b32_e32 v29, v49, v7
	v_cndmask_b32_e32 v6, v24, v27, vcc
	s_add_i32 s39, s24, s28
	s_mul_i32 s24, s33, s23
	s_mul_hi_u32 s25, s33, s22
	s_mov_b32 s58, 0x1000504
	v_lshlrev_b32_e32 v25, 8, v42
	v_lshlrev_b32_e32 v28, 1, v28
	v_lshlrev_b32_e32 v29, 1, v29
	v_lshl_or_b32 v5, v5, 10, v6
	s_add_i32 s24, s25, s24
	s_mul_i32 s25, s54, s22
	s_mov_b32 s59, 0x3020706
	v_or_b32_e32 v56, 0xa000, v30
	v_or_b32_e32 v57, 0xb000, v30
	;; [unrolled: 1-line block ×4, first 2 shown]
	v_xor_b32_e32 v6, 8, v5
	v_xor_b32_e32 v25, 24, v5
	;; [unrolled: 1-line block ×4, first 2 shown]
	s_add_i32 s25, s24, s25
	s_lshl_b64 s[28:29], s[38:39], 2
	v_xor_b32_e32 v24, 16, v5
	v_xor_b32_e32 v27, 32, v5
	;; [unrolled: 1-line block ×3, first 2 shown]
	v_add_u32_e32 v6, 0x80, v6
	v_add_u32_e32 v25, 0x80, v25
	;; [unrolled: 1-line block ×4, first 2 shown]
	s_mul_i32 s24, s33, s22
	s_add_u32 s26, s10, s28
	s_addc_u32 s28, s11, s29
	s_lshl_b64 s[24:25], s[24:25], 2
	s_add_u32 s40, s26, s24
	s_movk_i32 s24, 0xf8
	s_addc_u32 s41, s28, s25
	s_ashr_i32 s37, s36, 31
	s_lshl_b32 s30, s19, 7
	s_movk_i32 s28, 0x100
	v_mov_b32_e32 v35, 0
	v_cmp_gt_u32_e32 vcc, s28, v0
	s_mov_b32 s57, 0
	s_mul_i32 s60, s47, s16
	s_movk_i32 s39, 0x1000
	s_movk_i32 s26, 0x4000
	v_add_u32_e32 v93, v1, v2
	s_mov_b32 s63, 0
	v_mov_b32_e32 v74, v35
	v_mov_b32_e32 v73, v35
	;; [unrolled: 1-line block ×11, first 2 shown]
	s_waitcnt vmcnt(1)
	v_perm_b32 v33, v8, v16, s58
	s_waitcnt vmcnt(0)
	v_perm_b32 v34, v12, v20, s58
	v_perm_b32 v8, v8, v16, s59
	;; [unrolled: 1-line block ×15, first 2 shown]
	ds_write2st64_b32 v5, v33, v34 offset0:32 offset1:64
	ds_write2st64_b32 v6, v8, v12 offset0:32 offset1:64
	;; [unrolled: 1-line block ×8, first 2 shown]
	v_lshlrev_b32_e32 v5, 8, v26
	v_or_b32_e32 v68, v5, v28
	v_or_b32_e32 v69, v5, v29
	;; [unrolled: 1-line block ×3, first 2 shown]
	v_lshlrev_b32_e32 v5, 3, v5
	v_lshrrev_b32_e32 v8, 5, v43
	v_and_or_b32 v8, v5, s24, v8
	v_lshlrev_b32_e32 v8, 4, v8
	v_lshlrev_b32_e32 v9, 11, v44
	v_and_b32_e32 v5, 0x78, v5
	v_or_b32_e32 v13, 32, v8
	v_and_b32_e32 v6, 0x1000, v9
	v_lshrrev_b32_e32 v11, 1, v0
	v_xor_b32_e32 v13, v13, v5
	v_and_b32_e32 v12, 8, v11
	v_or_b32_e32 v13, v13, v6
	v_xor_b32_e32 v10, v8, v5
	v_xor_b32_e32 v78, v13, v12
	v_or_b32_e32 v13, 64, v8
	v_or_b32_e32 v8, 0x60, v8
	v_xor_b32_e32 v13, v13, v5
	v_xor_b32_e32 v5, v8, v5
	v_or_b32_e32 v10, v10, v6
	v_or_b32_e32 v13, v13, v6
	;; [unrolled: 1-line block ×3, first 2 shown]
	s_lshl_b64 s[24:25], s[36:37], 8
	v_xor_b32_e32 v76, v10, v12
	v_xor_b32_e32 v80, v13, v12
	;; [unrolled: 1-line block ×3, first 2 shown]
	v_lshlrev_b32_e32 v12, 1, v4
	v_add_lshl_u32 v13, v4, s19, 1
	s_add_u32 s24, s12, s24
	v_lshlrev_b32_e32 v4, 1, v42
	v_lshrrev_b32_e32 v15, 4, v0
	s_addc_u32 s25, s13, s25
	v_or_b32_e32 v5, 1, v4
	v_lshlrev_b32_e32 v34, 4, v42
	v_mov_b32_e32 v19, 0x4000
	v_mov_b32_e32 v20, 0x2000
	v_xor_b32_e32 v16, v15, v4
	v_xor_b32_e32 v17, v5, v15
	v_lshl_add_u64 v[4:5], s[24:25], 0, v[34:35]
	v_lshlrev_b32_e32 v34, 8, v15
	v_cndmask_b32_e32 v19, v19, v20, vcc
	v_lshlrev_b32_e32 v20, 3, v44
	v_and_b32_e32 v11, 24, v11
	v_lshl_or_b32 v84, v16, 3, v34
	v_and_b32_e32 v16, 8, v0
	v_xor_b32_e32 v21, v20, v11
	v_or_b32_e32 v22, 0x440, v21
	v_cmp_eq_u32_e32 vcc, 0, v16
	v_and_b32_e32 v15, 7, v0
	v_lshlrev_b32_e32 v10, 7, v45
	v_cndmask_b32_e32 v16, v22, v21, vcc
	v_lshl_or_b32 v85, v17, 3, v34
	v_lshlrev_b32_e32 v17, 3, v15
	v_lshlrev_b32_e32 v15, 7, v15
	;; [unrolled: 1-line block ×3, first 2 shown]
	v_or_b32_e32 v16, v16, v9
	v_or_b32_e32 v7, v10, v7
	v_xad_u32 v86, v16, v17, v15
	v_and_or_b32 v10, v18, 60, v10
	v_mov_b32_e32 v16, 0xb000
	v_lshl_or_b32 v87, v10, 1, v16
	v_or_b32_e32 v10, 32, v11
	v_xor_b32_e32 v10, v20, v10
	v_or_b32_e32 v16, 0x440, v10
	v_cndmask_b32_e32 v10, v16, v10, vcc
	v_or_b32_e32 v10, v10, v9
	v_xad_u32 v88, v10, v17, v15
	v_or_b32_e32 v10, 64, v11
	v_xor_b32_e32 v10, v20, v10
	v_xor_b32_e32 v16, 0x440, v10
	v_cndmask_b32_e32 v10, v16, v10, vcc
	v_or_b32_e32 v10, v10, v9
	v_xad_u32 v89, v10, v17, v15
	v_or_b32_e32 v10, 0x60, v11
	v_xor_b32_e32 v10, v20, v10
	v_xor_b32_e32 v11, 0x440, v10
	v_lshlrev_b32_e32 v7, 1, v7
	v_or_b32_e32 v6, s36, v42
	v_cndmask_b32_e32 v10, v11, v10, vcc
	v_or_b32_e32 v77, 0xa000, v7
	v_or_b32_e32 v79, 0xa080, v7
	;; [unrolled: 1-line block ×4, first 2 shown]
	v_ashrrev_i32_e32 v7, 31, v6
	v_or_b32_e32 v9, v10, v9
	v_lshlrev_b32_e32 v8, 7, v48
	v_or_b32_e32 v14, 0x100, v3
	v_xad_u32 v90, v9, v17, v15
	v_lshlrev_b64 v[6:7], 1, v[6:7]
	v_cndmask_b32_e64 v91, v12, v3, s[0:1]
	v_cndmask_b32_e64 v92, v13, v14, s[0:1]
	v_lshl_add_u64 v[36:37], s[8:9], 0, v[6:7]
	v_lshl_add_u64 v[38:39], s[14:15], 0, v[6:7]
	;; [unrolled: 1-line block ×3, first 2 shown]
	s_mov_b32 s37, 0x7060302
	v_lshlrev_b32_e32 v34, 1, v8
	v_add_u32_e32 v94, v19, v86
	v_add_u32_e32 v95, v19, v88
	;; [unrolled: 1-line block ×4, first 2 shown]
	v_mov_b32_e32 v101, v35
	v_mov_b32_e32 v63, v35
	;; [unrolled: 1-line block ×5, first 2 shown]
	s_waitcnt lgkmcnt(0)
	s_barrier
.LBB303_6:                              ; =>This Inner Loop Header: Depth=1
	s_add_i32 s62, s63, 1
	s_cmp_lt_i32 s62, s48
	s_mov_b64 s[28:29], 0
	s_cselect_b64 s[42:43], -1, 0
	s_cmp_ge_i32 s62, s48
	s_mov_b64 s[24:25], 0
	s_cbranch_scc1 .LBB303_8
; %bb.7:                                ;   in Loop: Header=BB303_6 Depth=1
	s_add_i32 s0, s57, 64
	s_add_u32 s0, s2, s0
	s_addc_u32 s1, s3, 0
	s_lshl_b64 s[0:1], s[0:1], 8
	s_add_u32 s24, s6, s0
	s_addc_u32 s25, s7, s1
.LBB303_8:                              ;   in Loop: Header=BB303_6 Depth=1
	v_cndmask_b32_e64 v2, 0, 1, s[42:43]
	v_cmp_ne_u32_e64 s[0:1], 1, v2
	s_andn2_b64 vcc, exec, s[42:43]
	s_cbranch_vccnz .LBB303_10
; %bb.9:                                ;   in Loop: Header=BB303_6 Depth=1
	s_add_i32 s28, s57, 64
	s_add_u32 s28, s60, s28
	s_addc_u32 s29, s61, 0
	s_mul_i32 s31, s28, s49
	s_mul_hi_u32 s42, s28, s53
	s_add_i32 s31, s42, s31
	s_mul_i32 s29, s29, s53
	s_add_i32 s31, s31, s29
	s_mul_i32 s28, s28, s53
	s_add_u32 s28, s28, s52
	s_addc_u32 s29, s31, s55
	s_lshl_b64 s[28:29], s[28:29], 8
	s_add_u32 s28, s4, s28
	s_addc_u32 s29, s5, s29
.LBB303_10:                             ;   in Loop: Header=BB303_6 Depth=1
	v_perm_b32 v3, v100, v75, s37
	v_perm_b32 v2, v73, v74, s37
	;; [unrolled: 1-line block ×4, first 2 shown]
	ds_write_b64 v56, v[2:3]
	ds_write_b64 v57, v[4:5]
	;; [unrolled: 1-line block ×4, first 2 shown]
	v_perm_b32 v3, v101, v67, s37
	v_perm_b32 v2, v65, v66, s37
	;; [unrolled: 1-line block ×4, first 2 shown]
	ds_write_b64 v58, v[2:3]
	ds_write_b64 v59, v[4:5]
	;; [unrolled: 1-line block ×4, first 2 shown]
	s_waitcnt lgkmcnt(0)
	s_barrier
	ds_read_b64 v[6:7], v76 offset:24576
	ds_read2_b64 v[2:5], v77 offset1:16
	ds_read_b64 v[10:11], v79 offset:3072
	ds_read_b64 v[12:13], v77 offset:3072
	;; [unrolled: 1-line block ×3, first 2 shown]
	s_waitcnt lgkmcnt(3)
	v_mfma_f32_16x16x16_bf16 a[0:3], v[6:7], v[2:3], 0
	s_add_i32 s31, s57, 63
	s_mul_i32 s42, s31, s35
	s_mul_hi_u32 s43, s31, s34
	v_mfma_f32_16x16x16_bf16 a[4:7], v[6:7], v[4:5], 0
	ds_read2st64_b64 v[2:5], v77 offset0:2 offset1:4
	ds_read2st64_b64 v[6:9], v79 offset0:2 offset1:4
	s_add_i32 s43, s43, s42
	s_waitcnt lgkmcnt(1)
	v_mfma_f32_16x16x16_bf16 a[0:3], v[14:15], v[2:3], a[0:3]
	s_mul_i32 s42, s31, s34
	s_lshl_b64 s[42:43], s[42:43], 2
	s_add_u32 s42, s40, s42
	s_waitcnt lgkmcnt(0)
	v_mfma_f32_16x16x16_bf16 a[4:7], v[14:15], v[6:7], a[4:7]
	ds_read_b64 v[2:3], v80 offset:24576
	ds_read_b64 v[6:7], v81 offset:24576
	s_addc_u32 s43, s41, s43
	s_and_b64 vcc, exec, s[0:1]
	s_waitcnt lgkmcnt(1)
	v_mfma_f32_16x16x16_bf16 a[0:3], v[2:3], v[4:5], a[0:3]
	v_mov_b32_e32 v104, 0
	v_mov_b32_e32 v103, 0
	;; [unrolled: 1-line block ×3, first 2 shown]
	v_mfma_f32_16x16x16_bf16 a[8:11], v[2:3], v[8:9], a[4:7]
	v_mov_b32_e32 v2, 0
	v_mov_b32_e32 v3, 0
	;; [unrolled: 1-line block ×3, first 2 shown]
	s_waitcnt lgkmcnt(0)
	v_mfma_f32_16x16x16_bf16 a[4:7], v[6:7], v[12:13], a[0:3]
	v_mov_b32_e32 v5, 0
	v_mov_b32_e32 v8, 0
	;; [unrolled: 1-line block ×3, first 2 shown]
	v_mfma_f32_16x16x16_bf16 a[0:3], v[6:7], v[10:11], a[8:11]
	v_mov_b32_e32 v6, 0
	v_mov_b32_e32 v7, 0
	;; [unrolled: 1-line block ×10, first 2 shown]
	s_cbranch_vccnz .LBB303_12
; %bb.11:                               ;   in Loop: Header=BB303_6 Depth=1
	s_and_b32 s25, s25, 0xffff
	buffer_load_dwordx4 v[14:17], v52, s[24:27], 0 offen
	buffer_load_dwordx4 v[10:13], v52, s[24:27], s56 offen
	;; [unrolled: 1-line block ×4, first 2 shown]
	v_mov_b32_e32 v103, v54
	v_mov_b32_e32 v102, v55
.LBB303_12:                             ;   in Loop: Header=BB303_6 Depth=1
	s_waitcnt vmcnt(3)
	ds_read_b64 v[26:27], v76 offset:32768
	s_waitcnt vmcnt(2)
	ds_read2_b64 v[18:21], v82 offset1:16
	ds_read_b64 v[28:29], v78 offset:32768
	ds_read_b64 v[30:31], v80 offset:32768
	;; [unrolled: 1-line block ×3, first 2 shown]
	ds_read2st64_b64 v[22:25], v82 offset0:2 offset1:4
	v_add_u32_e32 v105, s57, v93
	s_waitcnt lgkmcnt(4)
	v_mfma_f32_16x16x16_bf16 a[4:7], v[26:27], v[18:19], a[4:7]
	v_ashrrev_i32_e32 v18, 31, v105
	v_mfma_f32_16x16x16_bf16 a[0:3], v[26:27], v[20:21], a[0:3]
	v_mul_lo_u32 v20, v105, s35
	v_mul_lo_u32 v21, v18, s34
	v_mad_u64_u32 v[18:19], s[24:25], v105, s34, 0
	v_add3_u32 v19, v19, v20, v21
	v_add_u32_e32 v20, 1, v105
	v_ashrrev_i32_e32 v21, 31, v20
	s_waitcnt lgkmcnt(0)
	v_mfma_f32_16x16x16_bf16 a[4:7], v[28:29], v[22:23], a[4:7]
	v_mul_lo_u32 v22, v21, s34
	v_mul_lo_u32 v23, v20, s35
	v_mad_u64_u32 v[20:21], s[24:25], v20, s34, 0
	v_add3_u32 v21, v21, v23, v22
	v_add_u32_e32 v22, 2, v105
	v_ashrrev_i32_e32 v23, 31, v22
	v_mul_lo_u32 v26, v23, s34
	v_mul_lo_u32 v27, v22, s35
	v_mad_u64_u32 v[22:23], s[24:25], v22, s34, 0
	v_add3_u32 v23, v23, v27, v26
	v_add_u32_e32 v26, 3, v105
	v_ashrrev_i32_e32 v27, 31, v26
	v_mul_lo_u32 v105, v27, s34
	v_mul_lo_u32 v106, v26, s35
	v_mad_u64_u32 v[26:27], s[24:25], v26, s34, 0
	s_add_u32 s24, s2, s57
	s_addc_u32 s25, s3, 0
	s_lshl_b64 s[64:65], s[24:25], 8
	v_lshl_add_u64 v[18:19], v[18:19], 2, s[40:41]
	v_add3_u32 v27, v27, v106, v105
	v_lshl_add_u64 v[106:107], v[36:37], 0, s[64:65]
	v_lshl_add_u64 v[20:21], v[20:21], 2, s[40:41]
	;; [unrolled: 1-line block ×3, first 2 shown]
	global_load_dword v105, v[18:19], off
	global_load_ushort v108, v[106:107], off offset:256
	global_load_ushort v109, v[106:107], off
	global_load_ushort v110, v[106:107], off offset:768
	v_lshl_add_u64 v[18:19], v[26:27], 2, s[40:41]
	v_lshl_add_u64 v[22:23], v[22:23], 2, s[40:41]
	global_load_dword v111, v[20:21], off
	global_load_dword v112, v[22:23], off
	;; [unrolled: 1-line block ×3, first 2 shown]
	ds_read2st64_b64 v[18:21], v83 offset0:2 offset1:4
	s_waitcnt lgkmcnt(0)
	v_mfma_f32_16x16x16_bf16 a[0:3], v[28:29], v[18:19], a[0:3]
	global_load_ushort v28, v[106:107], off offset:512
	global_load_ushort v114, v[106:107], off offset:800
	;; [unrolled: 1-line block ×4, first 2 shown]
	s_nop 0
	global_load_ushort v106, v[106:107], off offset:32
	s_and_b64 vcc, exec, s[0:1]
	v_mfma_f32_16x16x16_bf16 a[4:7], v[30:31], v[24:25], a[4:7]
	s_waitcnt vmcnt(10)
	v_lshlrev_b32_e32 v27, 16, v108
	v_mfma_f32_16x16x16_bf16 a[0:3], v[30:31], v[20:21], a[0:3]
	ds_read_b64 v[18:19], v82 offset:3072
	ds_read_b64 v[20:21], v83 offset:3072
	s_load_dword s24, s[42:43], 0x0
	s_waitcnt vmcnt(9)
	v_lshlrev_b32_e32 v26, 16, v109
	s_waitcnt lgkmcnt(0)
	v_mfma_f32_16x16x16_bf16 a[4:7], v[32:33], v[18:19], a[4:7]
	v_lshl_add_u64 v[18:19], v[38:39], 0, s[64:65]
	v_sub_f32_e32 v30, s24, v105
	s_waitcnt vmcnt(7)
	v_sub_f32_e32 v31, s24, v111
	v_mfma_f32_16x16x16_bf16 a[0:3], v[32:33], v[20:21], a[0:3]
	s_waitcnt vmcnt(6)
	v_sub_f32_e32 v32, s24, v112
	s_waitcnt vmcnt(5)
	v_sub_f32_e32 v33, s24, v113
	v_accvgpr_read_b32 v25, a5
	v_accvgpr_read_b32 v24, a4
	v_exp_f32_e32 v30, v30
	v_pk_add_f32 v[24:25], v[26:27], v[24:25] neg_lo:[0,1] neg_hi:[0,1]
	v_exp_f32_e32 v31, v31
	v_exp_f32_e32 v26, v32
	;; [unrolled: 1-line block ×3, first 2 shown]
	v_accvgpr_read_b32 v21, a7
	v_accvgpr_read_b32 v20, a6
	v_lshlrev_b32_e32 v29, 16, v110
	s_waitcnt vmcnt(4)
	v_lshlrev_b32_e32 v28, 16, v28
	v_lshl_add_u64 v[18:19], v[18:19], 0, v[34:35]
	v_pk_add_f32 v[20:21], v[28:29], v[20:21] neg_lo:[0,1] neg_hi:[0,1]
	global_store_short_d16_hi v[18:19], v24, off
	global_store_short_d16_hi v[18:19], v25, off offset:256
	global_store_short_d16_hi v[18:19], v20, off offset:512
	;; [unrolled: 1-line block ×3, first 2 shown]
	v_pk_mul_f32 v[24:25], v[30:31], v[24:25]
	v_pk_mul_f32 v[20:21], v[26:27], v[20:21]
	v_accvgpr_read_b32 v29, a1
	v_perm_b32 v24, v25, v24, s37
	v_perm_b32 v25, v21, v20, s37
	s_waitcnt vmcnt(5)
	v_lshlrev_b32_e32 v21, 16, v116
	s_waitcnt vmcnt(4)
	v_lshlrev_b32_e32 v20, 16, v106
	v_accvgpr_read_b32 v28, a0
	v_accvgpr_read_b32 v23, a3
	;; [unrolled: 1-line block ×3, first 2 shown]
	v_pk_add_f32 v[20:21], v[20:21], v[28:29] neg_lo:[0,1] neg_hi:[0,1]
	v_lshlrev_b32_e32 v29, 16, v114
	v_lshlrev_b32_e32 v28, 16, v115
	v_pk_add_f32 v[22:23], v[28:29], v[22:23] neg_lo:[0,1] neg_hi:[0,1]
	global_store_short_d16_hi v[18:19], v20, off offset:32
	global_store_short_d16_hi v[18:19], v21, off offset:288
	;; [unrolled: 1-line block ×4, first 2 shown]
	v_pk_mul_f32 v[18:19], v[30:31], v[20:21]
	v_pk_mul_f32 v[20:21], v[26:27], v[22:23]
	v_mov_b32_e32 v105, 0
	v_perm_b32 v21, v21, v20, s37
	v_perm_b32 v20, v19, v18, s37
	ds_write2_b64 v57, v[24:25], v[20:21] offset1:16
	v_mov_b32_e32 v18, 0
	v_mov_b32_e32 v19, 0
	;; [unrolled: 1-line block ×16, first 2 shown]
	s_cbranch_vccnz .LBB303_14
; %bb.13:                               ;   in Loop: Header=BB303_6 Depth=1
	s_and_b32 s29, s29, 0xffff
	s_mov_b32 s31, s27
	buffer_load_dwordx4 v[30:33], v91, s[28:31], 0 offen
	buffer_load_dwordx4 v[22:25], v91, s[28:31], s56 offen
	;; [unrolled: 1-line block ×4, first 2 shown]
	v_mov_b32_e32 v104, v51
	v_mov_b32_e32 v105, v50
.LBB303_14:                             ;   in Loop: Header=BB303_6 Depth=1
	s_waitcnt lgkmcnt(0)
	s_barrier
	ds_read_b64 v[110:111], v94
	ds_read_b64 v[118:119], v87
	;; [unrolled: 1-line block ×5, first 2 shown]
	ds_read_b64 v[124:125], v88 offset:16384
	ds_read_b64 v[126:127], v86 offset:16384
	ds_read2_b64 v[106:109], v82 offset0:16 offset1:128
	s_waitcnt lgkmcnt(6)
	v_mfma_f32_16x16x16_bf16 a[0:3], v[110:111], v[118:119], 0
	ds_read_b64 v[128:129], v83 offset:3072
	ds_read_b64 v[130:131], v90 offset:16384
	s_add_i32 s25, s50, s63
	s_waitcnt lgkmcnt(2)
	v_mfma_f32_16x16x16_bf16 a[4:7], v[110:111], v[106:107], 0
	ds_read2st64_b64 v[110:113], v83 offset0:2 offset1:4
	s_mul_hi_i32 s29, s25, s17
	s_mul_i32 s25, s25, s17
	v_mfma_f32_16x16x16_bf16 a[0:3], v[114:115], v[108:109], a[0:3]
	s_add_u32 s28, s25, s33
	s_addc_u32 s29, s29, s54
	s_lshl_b64 s[28:29], s[28:29], 15
	s_waitcnt lgkmcnt(0)
	v_mfma_f32_16x16x16_bf16 a[4:7], v[114:115], v[110:111], a[4:7]
	ds_read2st64_b64 v[114:117], v82 offset0:4 offset1:6
	s_waitcnt lgkmcnt(0)
	v_mfma_f32_16x16x16_bf16 a[0:3], v[120:121], v[114:115], a[0:3]
	v_mfma_f32_16x16x16_bf16 a[8:11], v[120:121], v[112:113], a[4:7]
	;; [unrolled: 1-line block ×5, first 2 shown]
	ds_read2st64_b64 v[118:121], v85 offset1:8
	v_mfma_f32_16x16x16_bf16 a[12:15], v[126:127], v[106:107], 0
	ds_read_b64 v[126:127], v89 offset:16384
	v_mfma_f32_16x16x16_bf16 a[8:11], v[124:125], v[108:109], a[8:11]
	ds_read2st64_b64 v[106:109], v84 offset1:8
	s_waitcnt lgkmcnt(0)
	v_mov_b32_e32 v122, v106
	v_mfma_f32_16x16x16_bf16 a[12:15], v[124:125], v[110:111], a[12:15]
	v_lshl_add_u64 v[110:111], v[40:41], 0, s[28:29]
	v_add_co_u32_e32 v106, vcc, s39, v110
	v_mfma_f32_16x16x16_bf16 a[8:11], v[126:127], v[114:115], a[8:11]
	v_mov_b32_e32 v123, v107
	v_addc_co_u32_e32 v107, vcc, 0, v111, vcc
	v_mfma_f32_16x16x16_bf16 a[16:19], v[126:127], v[112:113], a[12:15]
	v_mov_b32_e32 v124, v118
	v_mov_b32_e32 v125, v119
	;; [unrolled: 1-line block ×3, first 2 shown]
	v_mfma_f32_16x16x16_bf16 a[12:15], v[130:131], v[116:117], a[8:11]
	v_mov_b32_e32 v119, v109
	s_and_b64 vcc, exec, s[0:1]
	global_store_dwordx4 v[110:111], v[122:125], off
	v_mfma_f32_16x16x16_bf16 a[8:11], v[130:131], v[128:129], a[16:19]
	global_store_dwordx4 v[106:107], v[118:121], off
	s_cbranch_vccnz .LBB303_16
; %bb.15:                               ;   in Loop: Header=BB303_6 Depth=1
	v_lshrrev_b32_e32 v106, 3, v104
	v_and_b32_e32 v106, 6, v106
	v_xor_b32_e32 v105, v106, v105
	v_lshlrev_b32_e32 v105, 2, v105
	v_and_b32_e32 v104, 8, v104
	v_xor_b32_e32 v107, 0x440, v105
	v_cmp_eq_u32_e32 vcc, 0, v104
	s_barrier
	s_nop 0
	v_cndmask_b32_e32 v104, v107, v105, vcc
	v_lshl_or_b32 v104, v106, 10, v104
	s_waitcnt vmcnt(3)
	v_perm_b32 v105, v30, v26, s58
	s_waitcnt vmcnt(2)
	v_perm_b32 v106, v22, v18, s58
	ds_write2st64_b32 v104, v105, v106 offset0:32 offset1:64
	v_xor_b32_e32 v105, 8, v104
	v_perm_b32 v26, v30, v26, s59
	v_perm_b32 v18, v22, v18, s59
	v_add_u32_e32 v22, 0x80, v105
	ds_write2st64_b32 v22, v26, v18 offset0:32 offset1:64
	v_xor_b32_e32 v18, 16, v104
	v_perm_b32 v22, v31, v27, s58
	v_perm_b32 v26, v23, v19, s58
	ds_write2st64_b32 v18, v22, v26 offset0:33 offset1:65
	v_xor_b32_e32 v18, 24, v104
	v_perm_b32 v22, v31, v27, s59
	v_perm_b32 v19, v23, v19, s59
	v_add_u32_e32 v18, 0x80, v18
	ds_write2st64_b32 v18, v22, v19 offset0:33 offset1:65
	v_xor_b32_e32 v18, 32, v104
	v_perm_b32 v19, v32, v28, s58
	v_perm_b32 v22, v24, v20, s58
	ds_write2st64_b32 v18, v19, v22 offset0:34 offset1:66
	v_xor_b32_e32 v18, 40, v104
	v_perm_b32 v19, v32, v28, s59
	v_perm_b32 v20, v24, v20, s59
	v_add_u32_e32 v18, 0x80, v18
	ds_write2st64_b32 v18, v19, v20 offset0:34 offset1:66
	v_xor_b32_e32 v18, 48, v104
	v_perm_b32 v19, v33, v29, s58
	v_perm_b32 v20, v25, v21, s58
	ds_write2st64_b32 v18, v19, v20 offset0:35 offset1:67
	v_xor_b32_e32 v18, 56, v104
	v_perm_b32 v19, v33, v29, s59
	v_perm_b32 v20, v25, v21, s59
	v_add_u32_e32 v18, 0x80, v18
	ds_write2st64_b32 v18, v19, v20 offset0:35 offset1:67
	ds_write_b64 v103, v[14:15] offset:24576
	v_xor_b32_e32 v14, 8, v103
	ds_write_b64 v14, v[16:17] offset:24576
	ds_write_b64 v103, v[10:11] offset:32768
	;; [unrolled: 1-line block ×4, first 2 shown]
	v_xor_b32_e32 v6, 8, v102
	ds_write_b64 v6, v[8:9] offset:24576
	ds_write_b64 v102, v[2:3] offset:32768
	;; [unrolled: 1-line block ×3, first 2 shown]
.LBB303_16:                             ;   in Loop: Header=BB303_6 Depth=1
	v_exp_f32_e32 v2, s24
	v_accvgpr_read_b32 v3, a4
	v_accvgpr_read_b32 v4, a5
	;; [unrolled: 1-line block ×3, first 2 shown]
	v_fma_f32 v74, v74, v2, v3
	v_accvgpr_read_b32 v3, a6
	v_fma_f32 v75, v75, v2, v3
	v_accvgpr_read_b32 v3, a0
	;; [unrolled: 2-line block ×11, first 2 shown]
	v_accvgpr_read_b32 v6, a15
	v_fma_f32 v64, v64, v2, v3
	v_accvgpr_read_b32 v3, a11
	s_add_i32 s57, s57, 64
	v_fmac_f32_e32 v5, v100, v2
	v_fmac_f32_e32 v4, v101, v2
	v_fmac_f32_e32 v6, v98, v2
	s_cmp_eq_u32 s48, s62
	v_fmac_f32_e32 v3, v99, v2
	s_cbranch_scc1 .LBB303_18
; %bb.17:                               ;   in Loop: Header=BB303_6 Depth=1
	s_mov_b32 s63, s62
	v_mov_b32_e32 v100, v5
	v_mov_b32_e32 v98, v6
	;; [unrolled: 1-line block ×4, first 2 shown]
	s_branch .LBB303_6
.LBB303_18:
	s_lshl_b32 s42, s48, 6
	s_sub_i32 s43, s16, s42
	s_cmp_gt_i32 s43, 0
	s_cbranch_scc0 .LBB303_83
; %bb.19:
	s_ashr_i32 s39, s47, 31
	s_ashr_i32 s2, s42, 31
	s_cmpk_lg_i32 s19, 0x80
	s_cselect_b64 s[30:31], -1, 0
	s_and_b64 vcc, exec, s[30:31]
	s_cbranch_vccz .LBB303_21
; %bb.20:
	s_mul_i32 s1, s47, s16
	s_mul_hi_i32 s0, s47, s16
	s_add_u32 s1, s1, s42
	s_addc_u32 s0, s0, s2
	s_mul_i32 s3, s1, s49
	s_mul_hi_u32 s24, s1, s18
	s_add_i32 s3, s24, s3
	s_mul_i32 s0, s0, s18
	s_add_i32 s3, s3, s0
	s_mul_i32 s1, s1, s18
	s_ashr_i32 s0, s52, 31
	s_add_u32 s40, s1, s52
	s_addc_u32 s41, s3, s0
	s_cbranch_execz .LBB303_22
	s_branch .LBB303_23
.LBB303_21:
                                        ; implicit-def: $sgpr40_sgpr41
.LBB303_22:
	s_mul_hi_i32 s0, s47, s18
	s_mul_i32 s47, s47, s18
	s_ashr_i32 s1, s52, 31
	s_add_u32 s3, s47, s52
	s_addc_u32 s0, s0, s1
	s_mul_i32 s1, s3, s46
	s_mul_hi_u32 s18, s3, s16
	s_add_i32 s1, s18, s1
	s_mul_i32 s0, s0, s16
	s_add_i32 s1, s1, s0
	s_mul_i32 s3, s3, s16
	s_add_u32 s40, s3, s42
	s_addc_u32 s41, s1, s2
.LBB303_23:
	s_add_i32 s3, s50, s48
	s_ashr_i32 s18, s33, 31
	s_add_u32 s0, s45, s33
	s_addc_u32 s1, s51, s18
	s_mul_i32 s24, s0, s46
	s_mul_hi_u32 s25, s0, s16
	s_add_i32 s24, s25, s24
	s_mul_i32 s1, s1, s16
	s_add_i32 s24, s24, s1
	s_mul_i32 s0, s0, s16
	s_add_u32 s0, s0, s42
	s_addc_u32 s1, s24, s2
	v_lshlrev_b32_e32 v10, 5, v48
	s_waitcnt vmcnt(4)
	v_lshlrev_b32_e32 v22, 2, v42
	s_mov_b32 s2, 0x7060302
	v_xor_b32_e32 v2, v48, v22
	v_perm_b32 v9, v5, v75, s2
	v_or_b32_e32 v5, v10, v22
	v_perm_b32 v8, v73, v74, s2
	v_perm_b32 v7, v6, v72, s2
	;; [unrolled: 1-line block ×3, first 2 shown]
	v_lshlrev_b32_e32 v5, 1, v5
	v_lshlrev_b32_e32 v12, 1, v2
	;; [unrolled: 1-line block ×3, first 2 shown]
	s_lshl_b64 s[28:29], s[0:1], 8
	v_xor_b32_e32 v11, v49, v22
	ds_write2st64_b64 v5, v[8:9], v[6:7] offset0:80 offset1:88
	v_or_b32_e32 v5, v12, v2
	s_add_u32 s0, s6, s28
	ds_write_b64 v5, v[8:9]
	v_lshlrev_b32_e32 v8, 1, v11
	s_addc_u32 s1, s7, s29
	v_or_b32_e32 v2, v8, v2
	s_mul_hi_i32 s6, s3, s17
	s_mul_i32 s3, s3, s17
	ds_write_b64 v2, v[6:7]
	v_perm_b32 v5, v4, v67, s2
	v_perm_b32 v4, v65, v66, s2
	;; [unrolled: 1-line block ×4, first 2 shown]
	v_or_b32_e32 v6, 16, v42
	s_add_u32 s2, s3, s33
	s_waitcnt vmcnt(2)
	v_lshlrev_b32_e32 v19, 2, v6
	s_addc_u32 s3, s6, s18
	v_or_b32_e32 v7, v10, v19
	s_ashr_i32 s37, s36, 31
	s_lshl_b64 s[2:3], s[2:3], 15
	v_lshlrev_b32_e32 v7, 1, v7
	v_lshlrev_b32_e32 v6, 8, v6
	s_add_u32 s6, s12, s2
	ds_write2st64_b64 v7, v[4:5], v[2:3] offset0:80 offset1:88
	v_or_b32_e32 v7, v12, v6
	s_addc_u32 s7, s13, s3
	s_lshl_b64 s[2:3], s[36:37], 8
	ds_write_b64 v7, v[4:5]
	v_or_b32_e32 v4, v8, v6
	s_add_u32 s2, s6, s2
	ds_write_b64 v4, v[2:3]
	v_lshrrev_b32_e32 v2, 4, v0
	s_addc_u32 s3, s7, s3
	v_lshlrev_b32_e32 v3, 1, v42
	v_lshlrev_b32_e32 v10, 4, v42
	v_mov_b32_e32 v11, 0
	v_or_b32_e32 v4, 1, v3
	v_xor_b32_e32 v3, v2, v3
	v_lshl_add_u64 v[12:13], s[2:3], 0, v[10:11]
	v_lshlrev_b32_e32 v10, 8, v2
	v_xor_b32_e32 v6, v4, v2
	v_lshl_or_b32 v2, v3, 3, v10
	s_waitcnt lgkmcnt(0)
	s_barrier
	ds_read2st64_b64 v[2:5], v2 offset1:8
	v_lshl_or_b32 v6, v6, 3, v10
	ds_read2st64_b64 v[6:9], v6 offset1:8
	v_lshl_add_u64 v[14:15], v[12:13], 0, v[10:11]
	s_movk_i32 s2, 0x1000
	s_waitcnt lgkmcnt(1)
	v_mov_b32_e32 v10, v2
	v_add_co_u32_e32 v2, vcc, s2, v14
	s_cmp_lg_u32 s43, 64
	v_mov_b32_e32 v11, v3
	v_addc_co_u32_e32 v3, vcc, 0, v15, vcc
	s_cselect_b64 s[6:7], -1, 0
	v_lshl_or_b32 v23, v44, 3, v47
	s_waitcnt lgkmcnt(0)
	v_mov_b32_e32 v12, v6
	v_mov_b32_e32 v13, v7
	;; [unrolled: 1-line block ×4, first 2 shown]
	s_mov_b32 s24, 0
	v_or_b32_e32 v20, 32, v23
	v_and_b32_e32 v18, 56, v46
	s_and_b64 vcc, exec, s[6:7]
	global_store_dwordx4 v[14:15], v[10:13], off
	global_store_dwordx4 v[2:3], v[6:9], off
	s_cbranch_vccz .LBB303_29
; %bb.24:
	s_mov_b32 s25, s24
	s_mov_b32 s26, s24
	;; [unrolled: 1-line block ×3, first 2 shown]
	v_mov_b64_e32 v[6:7], s[24:25]
	v_mov_b64_e32 v[8:9], s[26:27]
	;; [unrolled: 1-line block ×3, first 2 shown]
	v_cmp_gt_i32_e32 vcc, s43, v23
	v_mov_b64_e32 v[4:5], v[8:9]
	s_and_saveexec_b64 s[2:3], vcc
	s_cbranch_execz .LBB303_26
; %bb.25:
	v_lshlrev_b32_e32 v2, 8, v23
	v_mov_b32_e32 v3, 0
	v_lshl_add_u64 v[4:5], s[0:1], 0, v[2:3]
	v_lshlrev_b32_e32 v2, 1, v18
	v_lshl_add_u64 v[10:11], v[4:5], 0, v[2:3]
	global_load_dwordx4 v[6:9], v[10:11], off
	global_load_dwordx4 v[2:5], v[10:11], off offset:128
.LBB303_26:
	s_or_b64 exec, exec, s[2:3]
	s_mov_b32 s25, s24
	s_mov_b32 s26, s24
	;; [unrolled: 1-line block ×3, first 2 shown]
	v_mov_b64_e32 v[14:15], s[24:25]
	v_mov_b64_e32 v[16:17], s[26:27]
	;; [unrolled: 1-line block ×3, first 2 shown]
	v_cmp_gt_i32_e32 vcc, s43, v20
	v_lshlrev_b32_e32 v21, 7, v20
	v_mov_b64_e32 v[12:13], v[16:17]
	s_and_saveexec_b64 s[2:3], vcc
	s_cbranch_execz .LBB303_28
; %bb.27:
	v_lshlrev_b32_e32 v10, 1, v21
	v_mov_b32_e32 v11, 0
	v_lshl_add_u64 v[12:13], s[0:1], 0, v[10:11]
	v_lshlrev_b32_e32 v10, 1, v18
	v_lshl_add_u64 v[24:25], v[12:13], 0, v[10:11]
	global_load_dwordx4 v[14:17], v[24:25], off
	global_load_dwordx4 v[10:13], v[24:25], off offset:128
.LBB303_28:
	s_or_b64 exec, exec, s[2:3]
	v_lshrrev_b32_e32 v24, 3, v18
	v_lshlrev_b32_e32 v25, 3, v23
	v_or_b32_e32 v24, v25, v24
	v_lshlrev_b32_e32 v24, 4, v24
	v_and_b32_e32 v25, 0x78, v25
	v_xor_b32_e32 v24, v24, v25
	s_branch .LBB303_31
.LBB303_29:
                                        ; implicit-def: $vgpr24
                                        ; implicit-def: $vgpr21
                                        ; implicit-def: $vgpr6_vgpr7_vgpr8_vgpr9
                                        ; implicit-def: $vgpr2_vgpr3_vgpr4_vgpr5
                                        ; implicit-def: $vgpr14_vgpr15_vgpr16_vgpr17
                                        ; implicit-def: $vgpr10_vgpr11_vgpr12_vgpr13
	s_cbranch_execz .LBB303_31
; %bb.30:
	s_waitcnt vmcnt(0)
	v_lshlrev_b32_e32 v2, 1, v18
	v_lshl_or_b32 v21, v23, 8, v2
	s_and_b32 s1, s1, 0xffff
	s_mov_b32 s3, 0x20000
	s_movk_i32 s2, 0x4000
	v_lshl_or_b32 v24, v20, 8, v2
	s_movk_i32 s12, 0x80
	buffer_load_dwordx4 v[6:9], v21, s[0:3], 0 offen
	buffer_load_dwordx4 v[2:5], v21, s[0:3], s12 offen
	;; [unrolled: 1-line block ×4, first 2 shown]
	v_lshrrev_b32_e32 v21, 3, v18
	v_lshlrev_b32_e32 v24, 3, v23
	v_or_b32_e32 v21, v24, v21
	v_lshlrev_b32_e32 v21, 4, v21
	v_and_b32_e32 v24, 0x78, v24
	v_xor_b32_e32 v24, v21, v24
	v_lshlrev_b32_e32 v21, 7, v20
.LBB303_31:
	s_lshl_b64 s[0:1], s[40:41], 8
	s_add_u32 s4, s4, s0
	s_movk_i32 s0, 0x1000
	v_and_or_b32 v20, v21, s0, v24
	s_waitcnt vmcnt(1)
	ds_write_b64 v24, v[6:7] offset:24576
	v_xor_b32_e32 v6, 8, v24
	ds_write_b64 v6, v[8:9] offset:24576
	s_waitcnt vmcnt(0)
	ds_write_b64 v24, v[2:3] offset:32768
	ds_write_b64 v6, v[4:5] offset:32768
	;; [unrolled: 1-line block ×3, first 2 shown]
	v_xor_b32_e32 v2, 8, v20
	ds_write_b64 v2, v[16:17] offset:24576
	ds_write_b64 v20, v[10:11] offset:32768
	;; [unrolled: 1-line block ×3, first 2 shown]
	v_or_b32_e32 v2, v1, v42
	v_lshlrev_b32_e32 v3, 11, v44
	v_lshlrev_b32_e32 v2, 3, v2
	v_and_b32_e32 v6, 0x1000, v3
	v_lshrrev_b32_e32 v3, 5, v43
	s_movk_i32 s13, 0xf8
	v_and_or_b32 v3, v2, s13, v3
	v_lshlrev_b32_e32 v7, 4, v3
	v_and_b32_e32 v8, 0x78, v2
	v_or_b32_e32 v10, 32, v7
	v_lshrrev_b32_e32 v3, 1, v43
	v_xor_b32_e32 v10, v10, v8
	v_xor_b32_e32 v2, v7, v8
	v_and_b32_e32 v9, 8, v3
	v_or_b32_e32 v10, v10, v6
	v_or_b32_e32 v2, v2, v6
	v_xor_b32_e32 v26, v10, v9
	v_or_b32_e32 v10, 64, v7
	v_xor_b32_e32 v25, v2, v9
	v_xor_b32_e32 v10, v10, v8
	s_waitcnt lgkmcnt(0)
	s_barrier
	v_or_b32_e32 v12, v10, v6
	ds_read_b64 v[10:11], v25 offset:24576
	v_lshl_or_b32 v20, v45, 7, v22
	v_lshlrev_b32_e32 v24, 1, v20
	v_add_u32_e32 v2, 0xa000, v24
	ds_read2_b64 v[2:5], v2 offset1:16
	v_or_b32_e32 v7, 0x60, v7
	v_xor_b32_e32 v7, v7, v8
	s_waitcnt lgkmcnt(0)
	v_mfma_f32_16x16x16_bf16 a[0:3], v[10:11], v[2:3], 0
	v_or_b32_e32 v2, 64, v20
	v_or_b32_e32 v6, v7, v6
	v_lshlrev_b32_e32 v29, 1, v2
	v_xor_b32_e32 v27, v12, v9
	v_xor_b32_e32 v28, v6, v9
	ds_read_b64 v[12:13], v26 offset:24576
	ds_read_b64 v[14:15], v27 offset:24576
	;; [unrolled: 1-line block ×3, first 2 shown]
	v_mfma_f32_16x16x16_bf16 a[4:7], v[10:11], v[4:5], 0
	ds_read2st64_b64 v[2:5], v29 offset0:82 offset1:84
	ds_read2st64_b64 v[6:9], v24 offset0:82 offset1:84
	s_addc_u32 s5, s5, s1
	s_add_i32 s2, s16, -1
	s_add_i32 s0, s44, s21
	s_mul_i32 s39, s39, s20
	s_add_i32 s39, s0, s39
	s_mul_i32 s0, s33, s23
	s_mul_hi_u32 s1, s33, s22
	s_ashr_i32 s3, s2, 31
	s_mul_i32 s12, s2, s35
	s_mul_hi_u32 s13, s2, s34
	s_add_i32 s0, s1, s0
	s_mul_i32 s1, s18, s22
	s_add_i32 s12, s13, s12
	s_mul_i32 s3, s3, s34
	s_waitcnt lgkmcnt(1)
	v_mfma_f32_16x16x16_bf16 a[4:7], v[12:13], v[2:3], a[4:7]
	s_add_i32 s1, s0, s1
	s_add_i32 s3, s12, s3
	s_lshl_b64 s[12:13], s[38:39], 2
	s_waitcnt lgkmcnt(0)
	v_mfma_f32_16x16x16_bf16 a[0:3], v[12:13], v[6:7], a[0:3]
	s_mul_i32 s0, s33, s22
	s_add_u32 s10, s10, s12
	s_addc_u32 s11, s11, s13
	s_lshl_b64 s[0:1], s[0:1], 2
	s_mul_i32 s2, s2, s34
	s_add_u32 s10, s10, s0
	ds_read_b64 v[2:3], v24 offset:44032
	v_mfma_f32_16x16x16_bf16 a[4:7], v[14:15], v[4:5], a[4:7]
	ds_read_b64 v[4:5], v29 offset:44032
	s_addc_u32 s11, s11, s1
	s_lshl_b64 s[0:1], s[2:3], 2
	v_mfma_f32_16x16x16_bf16 a[0:3], v[14:15], v[8:9], a[0:3]
	s_add_u32 s0, s10, s0
	s_addc_u32 s1, s11, s1
	s_load_dword s12, s[0:1], 0x0
	s_waitcnt lgkmcnt(0)
	v_mfma_f32_16x16x16_bf16 a[0:3], v[16:17], v[2:3], a[0:3]
	s_and_b64 vcc, exec, s[30:31]
	v_mfma_f32_16x16x16_bf16 a[4:7], v[16:17], v[4:5], a[4:7]
	s_cbranch_vccz .LBB303_42
; %bb.32:
	v_lshlrev_b32_e32 v20, 1, v23
	s_and_b64 vcc, exec, s[6:7]
	s_cbranch_vccz .LBB303_43
; %bb.33:
	v_cmp_gt_i32_e32 vcc, s43, v20
	v_mov_b32_e32 v6, 0
	v_mov_b32_e32 v2, 0
	;; [unrolled: 1-line block ×5, first 2 shown]
	s_and_saveexec_b64 s[0:1], vcc
	s_cbranch_execz .LBB303_35
; %bb.34:
	v_mad_i64_i32 v[2:3], s[2:3], s19, v20, 0
	v_lshl_add_u64 v[2:3], v[2:3], 1, s[4:5]
	v_lshlrev_b32_e32 v4, 1, v18
	v_mov_b32_e32 v5, 0
	v_lshl_add_u64 v[2:3], v[2:3], 0, v[4:5]
	global_load_dwordx4 v[2:5], v[2:3], off
.LBB303_35:
	s_or_b64 exec, exec, s[0:1]
	v_or_b32_e32 v21, 1, v20
	v_cmp_gt_i32_e64 s[0:1], s43, v21
	v_mov_b32_e32 v7, 0
	v_mov_b32_e32 v8, 0
	;; [unrolled: 1-line block ×3, first 2 shown]
	s_and_saveexec_b64 s[2:3], s[0:1]
	s_cbranch_execz .LBB303_37
; %bb.36:
	v_mad_i64_i32 v[6:7], s[16:17], s19, v21, 0
	v_lshl_add_u64 v[6:7], v[6:7], 1, s[4:5]
	v_lshlrev_b32_e32 v8, 1, v18
	v_mov_b32_e32 v9, 0
	v_lshl_add_u64 v[6:7], v[6:7], 0, v[8:9]
	global_load_dwordx4 v[6:9], v[6:7], off
.LBB303_37:
	s_or_b64 exec, exec, s[2:3]
	v_mov_b32_e32 v17, 0
	v_mov_b32_e32 v10, 0
	;; [unrolled: 1-line block ×5, first 2 shown]
	s_and_saveexec_b64 s[2:3], vcc
	s_cbranch_execz .LBB303_39
; %bb.38:
	v_mad_i64_i32 v[10:11], s[16:17], s19, v20, 0
	v_lshl_add_u64 v[10:11], v[10:11], 1, s[4:5]
	v_lshlrev_b32_e32 v12, 1, v18
	v_mov_b32_e32 v13, 0
	v_lshl_add_u64 v[10:11], v[10:11], 0, v[12:13]
	global_load_dwordx4 v[10:13], v[10:11], off offset:128
.LBB303_39:
	s_or_b64 exec, exec, s[2:3]
	v_mov_b32_e32 v16, 0
	v_mov_b32_e32 v15, 0
	;; [unrolled: 1-line block ×3, first 2 shown]
	s_and_saveexec_b64 s[2:3], s[0:1]
	s_cbranch_execz .LBB303_41
; %bb.40:
	v_mad_i64_i32 v[14:15], s[0:1], s19, v21, 0
	v_lshl_add_u64 v[14:15], v[14:15], 1, s[4:5]
	v_lshlrev_b32_e32 v16, 1, v18
	v_mov_b32_e32 v17, 0
	v_lshl_add_u64 v[14:15], v[14:15], 0, v[16:17]
	global_load_dwordx4 v[14:17], v[14:15], off offset:128
.LBB303_41:
	s_or_b64 exec, exec, s[2:3]
	s_branch .LBB303_45
.LBB303_42:
                                        ; implicit-def: $vgpr5
                                        ; implicit-def: $vgpr9
                                        ; implicit-def: $vgpr13
                                        ; implicit-def: $vgpr17
	v_lshrrev_b32_e32 v30, 2, v43
	s_branch .LBB303_46
.LBB303_43:
                                        ; implicit-def: $vgpr5
                                        ; implicit-def: $vgpr9
                                        ; implicit-def: $vgpr13
                                        ; implicit-def: $vgpr17
	s_cbranch_execz .LBB303_45
; %bb.44:
	s_waitcnt vmcnt(0)
	v_mad_u64_u32 v[2:3], s[0:1], v20, s19, v[18:19]
	v_lshlrev_b32_e32 v20, 1, v2
	s_lshl_b32 s2, s19, 7
	s_and_b32 s1, s5, 0xffff
	s_mov_b32 s3, 0x20000
	s_mov_b32 s0, s4
	v_add_lshl_u32 v21, v2, s19, 1
	s_movk_i32 s13, 0x80
	buffer_load_dwordx4 v[2:5], v20, s[0:3], 0 offen
	buffer_load_dwordx4 v[10:13], v20, s[0:3], s13 offen
	;; [unrolled: 1-line block ×4, first 2 shown]
.LBB303_45:
	v_lshrrev_b32_e32 v30, 2, v43
	s_cbranch_execnz .LBB303_58
.LBB303_46:
	s_and_b64 vcc, exec, s[6:7]
	s_cbranch_vccz .LBB303_56
; %bb.47:
	s_waitcnt vmcnt(0)
	v_lshlrev_b32_e32 v7, 1, v23
	v_cmp_gt_i32_e32 vcc, s43, v7
	v_mov_b32_e32 v6, 0
	v_lshlrev_b32_e32 v14, 9, v23
	v_mov_b32_e32 v2, 0
	v_mov_b32_e32 v3, 0
	;; [unrolled: 1-line block ×4, first 2 shown]
	s_and_saveexec_b64 s[0:1], vcc
	s_cbranch_execz .LBB303_49
; %bb.48:
	v_mov_b32_e32 v15, 0
	v_lshl_add_u64 v[2:3], s[4:5], 0, v[14:15]
	v_lshlrev_b32_e32 v4, 1, v18
	v_mov_b32_e32 v5, v15
	v_lshl_add_u64 v[2:3], v[2:3], 0, v[4:5]
	global_load_dwordx4 v[2:5], v[2:3], off
.LBB303_49:
	s_or_b64 exec, exec, s[0:1]
	v_or_b32_e32 v7, 1, v7
	v_cmp_gt_i32_e64 s[0:1], s43, v7
	v_lshlrev_b32_e32 v20, 8, v7
	v_mov_b32_e32 v7, 0
	v_mov_b32_e32 v8, 0
	;; [unrolled: 1-line block ×3, first 2 shown]
	s_and_saveexec_b64 s[2:3], s[0:1]
	s_cbranch_execz .LBB303_51
; %bb.50:
	v_mov_b32_e32 v21, 0
	v_lshl_add_u64 v[6:7], s[4:5], 0, v[20:21]
	v_lshlrev_b32_e32 v8, 1, v18
	v_mov_b32_e32 v9, v21
	v_lshl_add_u64 v[6:7], v[6:7], 0, v[8:9]
	global_load_dwordx4 v[6:9], v[6:7], off
.LBB303_51:
	s_or_b64 exec, exec, s[2:3]
	v_mov_b32_e32 v17, 0
	v_mov_b32_e32 v10, 0
	;; [unrolled: 1-line block ×5, first 2 shown]
	s_and_saveexec_b64 s[2:3], vcc
	s_cbranch_execz .LBB303_53
; %bb.52:
	v_mov_b32_e32 v15, 0
	v_lshl_add_u64 v[10:11], s[4:5], 0, v[14:15]
	v_lshlrev_b32_e32 v14, 1, v18
	v_lshl_add_u64 v[10:11], v[10:11], 0, v[14:15]
	global_load_dwordx4 v[10:13], v[10:11], off offset:128
.LBB303_53:
	s_or_b64 exec, exec, s[2:3]
	v_mov_b32_e32 v16, 0
	v_mov_b32_e32 v15, 0
	;; [unrolled: 1-line block ×3, first 2 shown]
	s_and_saveexec_b64 s[2:3], s[0:1]
	s_cbranch_execz .LBB303_55
; %bb.54:
	v_mov_b32_e32 v21, 0
	v_lshl_add_u64 v[14:15], s[4:5], 0, v[20:21]
	v_lshlrev_b32_e32 v20, 1, v18
	v_lshl_add_u64 v[14:15], v[14:15], 0, v[20:21]
	global_load_dwordx4 v[14:17], v[14:15], off offset:128
.LBB303_55:
	s_or_b64 exec, exec, s[2:3]
	s_branch .LBB303_58
.LBB303_56:
                                        ; implicit-def: $vgpr5
                                        ; implicit-def: $vgpr9
                                        ; implicit-def: $vgpr13
                                        ; implicit-def: $vgpr17
	s_cbranch_execz .LBB303_58
; %bb.57:
	s_waitcnt vmcnt(0)
	v_lshlrev_b32_e32 v2, 1, v18
	v_lshl_or_b32 v18, v23, 9, v2
	s_and_b32 s5, s5, 0xffff
	s_mov_b32 s7, 0x20000
	s_movk_i32 s6, 0x4000
	s_movk_i32 s0, 0x80
	buffer_load_dwordx4 v[2:5], v18, s[4:7], 0 offen
	buffer_load_dwordx4 v[6:9], v18, s[4:7], 0 offen offset:256
	buffer_load_dwordx4 v[10:13], v18, s[4:7], s0 offen
	buffer_load_dwordx4 v[14:17], v18, s[4:7], s0 offen offset:256
.LBB303_58:
	ds_read_b64 v[20:21], v25 offset:32768
	v_add_u32_e32 v18, 0xb000, v24
	ds_read2_b64 v[32:35], v18 offset1:16
	ds_read_b64 v[40:41], v26 offset:32768
	ds_read_b64 v[26:27], v27 offset:32768
	;; [unrolled: 1-line block ×3, first 2 shown]
	v_and_b32_e32 v18, 6, v0
	v_xor_b32_e32 v23, v23, v18
	v_lshlrev_b32_e32 v23, 2, v23
	v_and_b32_e32 v0, 1, v0
	v_xor_b32_e32 v28, 0x440, v23
	v_cmp_eq_u32_e32 vcc, 0, v0
	s_waitcnt lgkmcnt(3)
	v_mfma_f32_16x16x16_bf16 a[0:3], v[20:21], v[32:33], a[0:3]
	s_mov_b32 s0, 0x1000504
	v_cndmask_b32_e32 v0, v28, v23, vcc
	v_lshl_or_b32 v0, v18, 10, v0
	v_mfma_f32_16x16x16_bf16 a[4:7], v[20:21], v[34:35], a[4:7]
	ds_read2st64_b64 v[32:35], v24 offset0:90 offset1:92
	ds_read2st64_b64 v[36:39], v29 offset0:90 offset1:92
	ds_read_b64 v[20:21], v24 offset:48128
	ds_read_b64 v[24:25], v29 offset:48128
	s_waitcnt vmcnt(0)
	v_perm_b32 v18, v2, v6, s0
	s_waitcnt lgkmcnt(3)
	v_mfma_f32_16x16x16_bf16 a[0:3], v[40:41], v[32:33], a[0:3]
	s_mov_b32 s1, 0x3020706
	v_perm_b32 v2, v2, v6, s1
	v_perm_b32 v6, v10, v14, s1
	s_waitcnt lgkmcnt(2)
	v_mfma_f32_16x16x16_bf16 a[4:7], v[40:41], v[36:37], a[4:7]
	v_mfma_f32_16x16x16_bf16 a[0:3], v[26:27], v[34:35], a[0:3]
	;; [unrolled: 1-line block ×3, first 2 shown]
	s_waitcnt lgkmcnt(1)
	v_mfma_f32_16x16x16_bf16 a[4:7], v[44:45], v[20:21], a[0:3]
	v_perm_b32 v20, v10, v14, s0
	ds_write2st64_b32 v0, v18, v20 offset0:32 offset1:64
	v_xor_b32_e32 v18, 8, v0
	v_add_u32_e32 v10, 0x80, v18
	ds_write2st64_b32 v10, v2, v6 offset0:32 offset1:64
	v_xor_b32_e32 v2, 16, v0
	v_perm_b32 v6, v3, v7, s0
	v_perm_b32 v10, v11, v15, s0
	ds_write2st64_b32 v2, v6, v10 offset0:33 offset1:65
	v_xor_b32_e32 v2, 24, v0
	v_perm_b32 v3, v3, v7, s1
	v_perm_b32 v6, v11, v15, s1
	v_add_u32_e32 v2, 0x80, v2
	ds_write2st64_b32 v2, v3, v6 offset0:33 offset1:65
	v_xor_b32_e32 v2, 32, v0
	v_perm_b32 v3, v4, v8, s0
	v_perm_b32 v6, v12, v16, s0
	s_waitcnt lgkmcnt(4)
	v_mfma_f32_16x16x16_bf16 a[0:3], v[44:45], v[24:25], a[8:11]
	ds_write2st64_b32 v2, v3, v6 offset0:34 offset1:66
	v_xor_b32_e32 v2, 40, v0
	v_perm_b32 v3, v4, v8, s1
	v_perm_b32 v4, v12, v16, s1
	v_add_u32_e32 v2, 0x80, v2
	ds_write2st64_b32 v2, v3, v4 offset0:34 offset1:66
	v_xor_b32_e32 v2, 48, v0
	v_perm_b32 v3, v5, v9, s0
	v_perm_b32 v4, v13, v17, s0
	v_xor_b32_e32 v0, 56, v0
	v_and_or_b32 v21, v30, 12, v1
	ds_write2st64_b32 v2, v3, v4 offset0:35 offset1:67
	v_perm_b32 v2, v5, v9, s1
	v_perm_b32 v3, v13, v17, s1
	v_add_u32_e32 v0, 0x80, v0
	v_cmp_gt_i32_e32 vcc, s43, v21
	v_mov_b32_e32 v16, 0
	v_mov_b32_e32 v18, 0
	ds_write2st64_b32 v0, v2, v3 offset0:35 offset1:67
	s_and_saveexec_b64 s[0:1], vcc
	s_cbranch_execz .LBB303_60
; %bb.59:
	v_add_u32_e32 v0, s42, v21
	v_ashrrev_i32_e32 v1, 31, v0
	v_mul_lo_u32 v2, v1, s34
	v_mul_lo_u32 v3, v0, s35
	v_mad_u64_u32 v[0:1], s[2:3], v0, s34, 0
	v_add3_u32 v1, v1, v3, v2
	v_lshl_add_u64 v[0:1], v[0:1], 2, s[10:11]
	global_load_dword v0, v[0:1], off
	s_waitcnt vmcnt(0)
	v_sub_f32_e32 v0, s12, v0
	v_exp_f32_e32 v18, v0
.LBB303_60:
	s_or_b64 exec, exec, s[0:1]
	v_or_b32_e32 v10, 1, v21
	v_cmp_gt_i32_e64 s[2:3], s43, v10
	s_and_saveexec_b64 s[0:1], s[2:3]
	s_cbranch_execz .LBB303_62
; %bb.61:
	v_add_u32_e32 v0, s42, v10
	v_ashrrev_i32_e32 v1, 31, v0
	v_mul_lo_u32 v2, v1, s34
	v_mul_lo_u32 v3, v0, s35
	v_mad_u64_u32 v[0:1], s[4:5], v0, s34, 0
	v_add3_u32 v1, v1, v3, v2
	v_lshl_add_u64 v[0:1], v[0:1], 2, s[10:11]
	global_load_dword v0, v[0:1], off
	s_waitcnt vmcnt(0)
	v_sub_f32_e32 v0, s12, v0
	v_exp_f32_e32 v16, v0
.LBB303_62:
	s_or_b64 exec, exec, s[0:1]
	v_or_b32_e32 v12, 2, v21
	v_cmp_gt_i32_e64 s[0:1], s43, v12
	v_mov_b32_e32 v17, 0
	v_mov_b32_e32 v20, 0
	s_and_saveexec_b64 s[4:5], s[0:1]
	s_cbranch_execz .LBB303_64
; %bb.63:
	v_add_u32_e32 v0, s42, v12
	v_ashrrev_i32_e32 v1, 31, v0
	v_mul_lo_u32 v2, v1, s34
	v_mul_lo_u32 v3, v0, s35
	v_mad_u64_u32 v[0:1], s[6:7], v0, s34, 0
	v_add3_u32 v1, v1, v3, v2
	v_lshl_add_u64 v[0:1], v[0:1], 2, s[10:11]
	global_load_dword v0, v[0:1], off
	s_waitcnt vmcnt(0)
	v_sub_f32_e32 v0, s12, v0
	v_exp_f32_e32 v20, v0
.LBB303_64:
	s_or_b64 exec, exec, s[4:5]
	v_or_b32_e32 v14, 3, v21
	v_cmp_gt_i32_e64 s[4:5], s43, v14
	s_and_saveexec_b64 s[6:7], s[4:5]
	s_cbranch_execz .LBB303_66
; %bb.65:
	v_add_u32_e32 v0, s42, v14
	v_ashrrev_i32_e32 v1, 31, v0
	v_mul_lo_u32 v2, v1, s34
	v_mul_lo_u32 v3, v0, s35
	v_mad_u64_u32 v[0:1], s[16:17], v0, s34, 0
	v_add3_u32 v1, v1, v3, v2
	v_lshl_add_u64 v[0:1], v[0:1], 2, s[10:11]
	global_load_dword v0, v[0:1], off
	s_waitcnt vmcnt(0)
	v_sub_f32_e32 v0, s12, v0
	v_exp_f32_e32 v17, v0
.LBB303_66:
	s_or_b64 exec, exec, s[6:7]
	s_add_u32 s6, s8, s28
	v_or_b32_e32 v4, s36, v42
	s_addc_u32 s7, s9, s29
	s_add_u32 s8, s14, s28
	v_ashrrev_i32_e32 v5, 31, v4
	v_accvgpr_read_b32 v0, a4
	s_addc_u32 s9, s15, s29
	v_lshlrev_b64 v[4:5], 1, v[4:5]
	v_accvgpr_read_b32 v1, a5
	v_accvgpr_read_b32 v2, a6
	;; [unrolled: 1-line block ×3, first 2 shown]
	v_lshl_add_u64 v[6:7], s[6:7], 0, v[4:5]
	v_lshl_add_u64 v[4:5], s[8:9], 0, v[4:5]
	v_mov_b32_e32 v11, 0
	v_lshlrev_b32_e32 v8, 8, v21
	v_mov_b32_e32 v9, 0
	s_and_saveexec_b64 s[6:7], vcc
	s_cbranch_execz .LBB303_68
; %bb.67:
	v_mov_b32_e32 v9, 0
	v_lshl_add_u64 v[24:25], v[6:7], 0, v[8:9]
	global_load_ushort v13, v[24:25], off
	v_lshl_add_u64 v[24:25], v[4:5], 0, v[8:9]
	s_waitcnt vmcnt(0)
	v_lshlrev_b32_e32 v9, 16, v13
	v_sub_f32_e32 v0, v9, v0
	global_store_short_d16_hi v[24:25], v0, off
	v_mul_f32_e32 v0, v18, v0
	v_lshrrev_b32_e32 v9, 16, v0
.LBB303_68:
	s_or_b64 exec, exec, s[6:7]
	v_lshlrev_b32_e32 v10, 8, v10
	s_and_saveexec_b64 s[6:7], s[2:3]
	s_cbranch_execz .LBB303_70
; %bb.69:
	v_mov_b32_e32 v11, 0
	v_lshl_add_u64 v[24:25], v[6:7], 0, v[10:11]
	global_load_ushort v0, v[24:25], off
	v_lshl_add_u64 v[24:25], v[4:5], 0, v[10:11]
	s_waitcnt vmcnt(0)
	v_lshlrev_b32_e32 v0, 16, v0
	v_sub_f32_e32 v0, v0, v1
	global_store_short_d16_hi v[24:25], v0, off
	v_mul_f32_e32 v0, v16, v0
	v_lshrrev_b32_e32 v11, 16, v0
.LBB303_70:
	s_or_b64 exec, exec, s[6:7]
	v_mov_b32_e32 v15, 0
	v_lshlrev_b32_e32 v12, 8, v12
	v_mov_b32_e32 v13, 0
	s_and_saveexec_b64 s[6:7], s[0:1]
	s_cbranch_execz .LBB303_72
; %bb.71:
	v_mov_b32_e32 v13, 0
	v_lshl_add_u64 v[0:1], v[6:7], 0, v[12:13]
	global_load_ushort v23, v[0:1], off
	v_lshl_add_u64 v[0:1], v[4:5], 0, v[12:13]
	s_waitcnt vmcnt(0)
	v_lshlrev_b32_e32 v13, 16, v23
	v_sub_f32_e32 v2, v13, v2
	global_store_short_d16_hi v[0:1], v2, off
	v_mul_f32_e32 v0, v20, v2
	v_lshrrev_b32_e32 v13, 16, v0
.LBB303_72:
	s_or_b64 exec, exec, s[6:7]
	v_lshlrev_b32_e32 v14, 8, v14
	s_and_saveexec_b64 s[6:7], s[4:5]
	s_cbranch_execz .LBB303_74
; %bb.73:
	v_mov_b32_e32 v15, 0
	v_lshl_add_u64 v[0:1], v[6:7], 0, v[14:15]
	global_load_ushort v2, v[0:1], off
	v_lshl_add_u64 v[0:1], v[4:5], 0, v[14:15]
	s_waitcnt vmcnt(0)
	v_lshlrev_b32_e32 v2, 16, v2
	v_sub_f32_e32 v2, v2, v3
	global_store_short_d16_hi v[0:1], v2, off
	v_mul_f32_e32 v0, v17, v2
	v_lshrrev_b32_e32 v15, 16, v0
.LBB303_74:
	s_or_b64 exec, exec, s[6:7]
	v_lshlrev_b32_e32 v21, 5, v21
	s_mov_b32 s6, 0x5040100
	v_perm_b32 v24, v11, v9, s6
	v_or_b32_e32 v9, v21, v22
	v_accvgpr_read_b32 v0, a0
	v_perm_b32 v25, v15, v13, s6
	v_lshlrev_b32_e32 v9, 1, v9
	v_accvgpr_read_b32 v1, a1
	v_accvgpr_read_b32 v2, a2
	;; [unrolled: 1-line block ×3, first 2 shown]
	ds_write_b64 v9, v[24:25] offset:45056
	v_mov_b32_e32 v11, 0
	v_mov_b32_e32 v9, 0
	s_and_saveexec_b64 s[6:7], vcc
	s_cbranch_execz .LBB303_76
; %bb.75:
	v_mov_b32_e32 v9, 0
	v_lshl_add_u64 v[22:23], v[6:7], 0, v[8:9]
	global_load_ushort v13, v[22:23], off offset:32
	v_lshl_add_u64 v[8:9], v[4:5], 0, v[8:9]
	s_waitcnt vmcnt(0)
	v_lshlrev_b32_e32 v13, 16, v13
	v_sub_f32_e32 v0, v13, v0
	global_store_short_d16_hi v[8:9], v0, off offset:32
	v_mul_f32_e32 v0, v18, v0
	v_lshrrev_b32_e32 v9, 16, v0
.LBB303_76:
	s_or_b64 exec, exec, s[6:7]
	s_and_saveexec_b64 s[6:7], s[2:3]
	s_cbranch_execz .LBB303_78
; %bb.77:
	v_mov_b32_e32 v11, 0
	v_lshl_add_u64 v[22:23], v[6:7], 0, v[10:11]
	global_load_ushort v0, v[22:23], off offset:32
	v_lshl_add_u64 v[10:11], v[4:5], 0, v[10:11]
	s_waitcnt vmcnt(0)
	v_lshlrev_b32_e32 v0, 16, v0
	v_sub_f32_e32 v0, v0, v1
	global_store_short_d16_hi v[10:11], v0, off offset:32
	v_mul_f32_e32 v0, v16, v0
	v_lshrrev_b32_e32 v11, 16, v0
.LBB303_78:
	s_or_b64 exec, exec, s[6:7]
	v_mov_b32_e32 v0, 0
	v_mov_b32_e32 v1, 0
	s_and_saveexec_b64 s[2:3], s[0:1]
	s_cbranch_execz .LBB303_80
; %bb.79:
	v_mov_b32_e32 v13, 0
	v_lshl_add_u64 v[22:23], v[6:7], 0, v[12:13]
	global_load_ushort v1, v[22:23], off offset:32
	v_lshl_add_u64 v[12:13], v[4:5], 0, v[12:13]
	s_waitcnt vmcnt(0)
	v_lshlrev_b32_e32 v1, 16, v1
	v_sub_f32_e32 v1, v1, v2
	global_store_short_d16_hi v[12:13], v1, off offset:32
	v_mul_f32_e32 v1, v20, v1
	v_lshrrev_b32_e32 v1, 16, v1
.LBB303_80:
	s_or_b64 exec, exec, s[2:3]
	s_and_saveexec_b64 s[0:1], s[4:5]
	s_cbranch_execz .LBB303_82
; %bb.81:
	v_mov_b32_e32 v15, 0
	v_lshl_add_u64 v[6:7], v[6:7], 0, v[14:15]
	global_load_ushort v0, v[6:7], off offset:32
	v_lshl_add_u64 v[4:5], v[4:5], 0, v[14:15]
	s_waitcnt vmcnt(0)
	v_lshlrev_b32_e32 v0, 16, v0
	v_sub_f32_e32 v0, v0, v3
	global_store_short_d16_hi v[4:5], v0, off offset:32
	v_mul_f32_e32 v0, v17, v0
	v_lshrrev_b32_e32 v0, 16, v0
.LBB303_82:
	s_or_b64 exec, exec, s[0:1]
	s_mov_b32 s0, 0x5040100
	v_or_b32_e32 v2, v21, v19
	v_perm_b32 v1, v0, v1, s0
	v_perm_b32 v0, v11, v9, s0
	v_lshlrev_b32_e32 v2, 1, v2
	ds_write_b64 v2, v[0:1] offset:45056
	s_waitcnt lgkmcnt(0)
	s_barrier
.LBB303_83:
	s_endpgm
	.section	.rodata,"a",@progbits
	.p2align	6, 0x0
	.amdhsa_kernel _ZN12_GLOBAL__N_139chunk_gated_delta_rule_fwd_h_hip_kernelILi32ELb0ELb0ELb1ELb0ELb1ELb0ELb1ELb1EEEvPK12hip_bfloat16S3_S3_PKfS5_PKvPS1_S8_PvPKiSB_iiiiilll
		.amdhsa_group_segment_fixed_size 49152
		.amdhsa_private_segment_fixed_size 0
		.amdhsa_kernarg_size 136
		.amdhsa_user_sgpr_count 2
		.amdhsa_user_sgpr_dispatch_ptr 0
		.amdhsa_user_sgpr_queue_ptr 0
		.amdhsa_user_sgpr_kernarg_segment_ptr 1
		.amdhsa_user_sgpr_dispatch_id 0
		.amdhsa_user_sgpr_kernarg_preload_length 0
		.amdhsa_user_sgpr_kernarg_preload_offset 0
		.amdhsa_user_sgpr_private_segment_size 0
		.amdhsa_uses_dynamic_stack 0
		.amdhsa_enable_private_segment 0
		.amdhsa_system_sgpr_workgroup_id_x 1
		.amdhsa_system_sgpr_workgroup_id_y 1
		.amdhsa_system_sgpr_workgroup_id_z 0
		.amdhsa_system_sgpr_workgroup_info 0
		.amdhsa_system_vgpr_workitem_id 0
		.amdhsa_next_free_vgpr 152
		.amdhsa_next_free_sgpr 66
		.amdhsa_accum_offset 132
		.amdhsa_reserve_vcc 1
		.amdhsa_float_round_mode_32 0
		.amdhsa_float_round_mode_16_64 0
		.amdhsa_float_denorm_mode_32 3
		.amdhsa_float_denorm_mode_16_64 3
		.amdhsa_dx10_clamp 1
		.amdhsa_ieee_mode 1
		.amdhsa_fp16_overflow 0
		.amdhsa_tg_split 0
		.amdhsa_exception_fp_ieee_invalid_op 0
		.amdhsa_exception_fp_denorm_src 0
		.amdhsa_exception_fp_ieee_div_zero 0
		.amdhsa_exception_fp_ieee_overflow 0
		.amdhsa_exception_fp_ieee_underflow 0
		.amdhsa_exception_fp_ieee_inexact 0
		.amdhsa_exception_int_div_zero 0
	.end_amdhsa_kernel
	.section	.text._ZN12_GLOBAL__N_139chunk_gated_delta_rule_fwd_h_hip_kernelILi32ELb0ELb0ELb1ELb0ELb1ELb0ELb1ELb1EEEvPK12hip_bfloat16S3_S3_PKfS5_PKvPS1_S8_PvPKiSB_iiiiilll,"axG",@progbits,_ZN12_GLOBAL__N_139chunk_gated_delta_rule_fwd_h_hip_kernelILi32ELb0ELb0ELb1ELb0ELb1ELb0ELb1ELb1EEEvPK12hip_bfloat16S3_S3_PKfS5_PKvPS1_S8_PvPKiSB_iiiiilll,comdat
.Lfunc_end303:
	.size	_ZN12_GLOBAL__N_139chunk_gated_delta_rule_fwd_h_hip_kernelILi32ELb0ELb0ELb1ELb0ELb1ELb0ELb1ELb1EEEvPK12hip_bfloat16S3_S3_PKfS5_PKvPS1_S8_PvPKiSB_iiiiilll, .Lfunc_end303-_ZN12_GLOBAL__N_139chunk_gated_delta_rule_fwd_h_hip_kernelILi32ELb0ELb0ELb1ELb0ELb1ELb0ELb1ELb1EEEvPK12hip_bfloat16S3_S3_PKfS5_PKvPS1_S8_PvPKiSB_iiiiilll
                                        ; -- End function
	.section	.AMDGPU.csdata,"",@progbits
; Kernel info:
; codeLenInByte = 8676
; NumSgprs: 72
; NumVgprs: 132
; NumAgprs: 20
; TotalNumVgprs: 152
; ScratchSize: 0
; MemoryBound: 0
; FloatMode: 240
; IeeeMode: 1
; LDSByteSize: 49152 bytes/workgroup (compile time only)
; SGPRBlocks: 8
; VGPRBlocks: 18
; NumSGPRsForWavesPerEU: 72
; NumVGPRsForWavesPerEU: 152
; AccumOffset: 132
; Occupancy: 1
; WaveLimiterHint : 1
; COMPUTE_PGM_RSRC2:SCRATCH_EN: 0
; COMPUTE_PGM_RSRC2:USER_SGPR: 2
; COMPUTE_PGM_RSRC2:TRAP_HANDLER: 0
; COMPUTE_PGM_RSRC2:TGID_X_EN: 1
; COMPUTE_PGM_RSRC2:TGID_Y_EN: 1
; COMPUTE_PGM_RSRC2:TGID_Z_EN: 0
; COMPUTE_PGM_RSRC2:TIDIG_COMP_CNT: 0
; COMPUTE_PGM_RSRC3_GFX90A:ACCUM_OFFSET: 32
; COMPUTE_PGM_RSRC3_GFX90A:TG_SPLIT: 0
	.section	.text._ZN12_GLOBAL__N_139chunk_gated_delta_rule_fwd_h_hip_kernelILi32ELb0ELb0ELb0ELb0ELb1ELb0ELb1ELb1EEEvPK12hip_bfloat16S3_S3_PKfS5_PKvPS1_S8_PvPKiSB_iiiiilll,"axG",@progbits,_ZN12_GLOBAL__N_139chunk_gated_delta_rule_fwd_h_hip_kernelILi32ELb0ELb0ELb0ELb0ELb1ELb0ELb1ELb1EEEvPK12hip_bfloat16S3_S3_PKfS5_PKvPS1_S8_PvPKiSB_iiiiilll,comdat
	.globl	_ZN12_GLOBAL__N_139chunk_gated_delta_rule_fwd_h_hip_kernelILi32ELb0ELb0ELb0ELb0ELb1ELb0ELb1ELb1EEEvPK12hip_bfloat16S3_S3_PKfS5_PKvPS1_S8_PvPKiSB_iiiiilll ; -- Begin function _ZN12_GLOBAL__N_139chunk_gated_delta_rule_fwd_h_hip_kernelILi32ELb0ELb0ELb0ELb0ELb1ELb0ELb1ELb1EEEvPK12hip_bfloat16S3_S3_PKfS5_PKvPS1_S8_PvPKiSB_iiiiilll
	.p2align	8
	.type	_ZN12_GLOBAL__N_139chunk_gated_delta_rule_fwd_h_hip_kernelILi32ELb0ELb0ELb0ELb0ELb1ELb0ELb1ELb1EEEvPK12hip_bfloat16S3_S3_PKfS5_PKvPS1_S8_PvPKiSB_iiiiilll,@function
_ZN12_GLOBAL__N_139chunk_gated_delta_rule_fwd_h_hip_kernelILi32ELb0ELb0ELb0ELb0ELb1ELb0ELb1ELb1EEEvPK12hip_bfloat16S3_S3_PKfS5_PKvPS1_S8_PvPKiSB_iiiiilll: ; @_ZN12_GLOBAL__N_139chunk_gated_delta_rule_fwd_h_hip_kernelILi32ELb0ELb0ELb0ELb0ELb1ELb0ELb1ELb1EEEvPK12hip_bfloat16S3_S3_PKfS5_PKvPS1_S8_PvPKiSB_iiiiilll
; %bb.0:
	s_load_dwordx4 s[12:15], s[0:1], 0x5c
	s_load_dwordx2 s[36:37], s[0:1], 0x30
	s_abs_i32 s18, s3
	s_ashr_i32 s17, s3, 31
	s_load_dwordx8 s[4:11], s[0:1], 0x0
	s_waitcnt lgkmcnt(0)
	s_abs_i32 s16, s13
	v_cvt_f32_u32_e32 v1, s16
	s_sub_i32 s20, 0, s16
	s_ashr_i32 s19, s13, 31
	s_xor_b32 s17, s17, s19
	v_rcp_iflag_f32_e32 v1, v1
	v_lshrrev_b32_e32 v42, 6, v0
	v_bfe_u32 v43, v0, 4, 2
	v_lshlrev_b32_e32 v2, 2, v43
	v_mul_f32_e32 v1, 0x4f7ffffe, v1
	v_cvt_u32_f32_e32 v1, v1
	v_and_b32_e32 v41, 63, v0
	v_and_b32_e32 v40, 15, v0
	v_mov_b32_e32 v3, 0
	v_readfirstlane_b32 s21, v1
	s_mul_i32 s20, s20, s21
	s_mul_hi_u32 s20, s21, s20
	s_add_i32 s21, s21, s20
	s_mul_hi_u32 s20, s18, s21
	s_mul_i32 s21, s20, s16
	s_sub_i32 s18, s18, s21
	s_add_i32 s22, s20, 1
	s_sub_i32 s21, s18, s16
	s_cmp_ge_u32 s18, s16
	s_cselect_b32 s20, s22, s20
	s_cselect_b32 s18, s21, s18
	s_add_i32 s21, s20, 1
	s_cmp_ge_u32 s18, s16
	s_cselect_b32 s18, s21, s20
	s_xor_b32 s18, s18, s17
	s_sub_i32 s45, s18, s17
	s_abs_i32 s17, s14
	v_cvt_f32_u32_e32 v1, s17
	s_add_i32 s20, s12, 63
	s_mul_i32 s43, s45, s13
	s_sub_i32 s33, s3, s43
	v_rcp_iflag_f32_e32 v1, v1
	s_ashr_i32 s3, s20, 31
	s_ashr_i32 s44, s12, 31
	s_lshr_b32 s3, s3, 26
	v_mul_f32_e32 v1, 0x4f7ffffe, v1
	v_cvt_u32_f32_e32 v1, v1
	s_lshr_b32 s18, s44, 26
	s_add_i32 s20, s20, s3
	s_add_i32 s18, s12, s18
	s_ashr_i32 s47, s14, 31
	s_ashr_i32 s3, s20, 6
	s_ashr_i32 s46, s18, 6
	s_xor_b32 s18, s19, s47
	s_sub_i32 s19, 0, s17
	v_readfirstlane_b32 s20, v1
	s_mul_i32 s19, s19, s20
	s_mul_hi_u32 s19, s20, s19
	s_add_i32 s20, s20, s19
	s_mul_hi_u32 s19, s16, s20
	s_mul_i32 s20, s19, s17
	s_sub_i32 s16, s16, s20
	s_add_i32 s20, s19, 1
	s_sub_i32 s21, s16, s17
	s_cmp_ge_u32 s16, s17
	s_cselect_b32 s19, s20, s19
	s_cselect_b32 s16, s21, s16
	s_add_i32 s20, s19, 1
	s_cmp_ge_u32 s16, s17
	s_cselect_b32 s16, s20, s19
	s_xor_b32 s16, s16, s18
	s_sub_i32 s20, s16, s18
	s_abs_i32 s21, s20
	v_cvt_f32_u32_e32 v1, s21
	s_load_dwordx2 s[28:29], s[0:1], 0x80
	s_load_dwordx4 s[16:19], s[0:1], 0x70
	s_xor_b32 s0, s33, s20
	s_sub_i32 s20, 0, s21
	v_rcp_iflag_f32_e32 v1, v1
	s_abs_i32 s1, s33
	s_ashr_i32 s0, s0, 31
	s_mul_i32 s48, s45, s3
	v_mul_f32_e32 v1, 0x4f7ffffe, v1
	v_cvt_u32_f32_e32 v1, v1
	s_mul_hi_i32 s49, s45, s13
	v_lshrrev_b32_e32 v45, 3, v41
	v_lshlrev_b32_e32 v44, 3, v0
	v_readfirstlane_b32 s22, v1
	s_mul_i32 s20, s20, s22
	s_mul_hi_u32 s20, s22, s20
	s_add_i32 s22, s22, s20
	s_mul_hi_u32 s20, s1, s22
	s_mul_i32 s22, s20, s21
	s_sub_i32 s1, s1, s22
	s_add_i32 s22, s20, 1
	s_sub_i32 s23, s1, s21
	s_cmp_ge_u32 s1, s21
	s_cselect_b32 s20, s22, s20
	s_cselect_b32 s1, s23, s1
	s_add_i32 s22, s20, 1
	s_cmp_ge_u32 s1, s21
	s_cselect_b32 s1, s22, s20
	s_xor_b32 s1, s1, s0
	v_lshlrev_b32_e32 v1, 4, v42
	s_sub_i32 s50, s1, s0
	v_or_b32_e32 v46, v2, v1
	s_lshl_b32 s30, s2, 5
	v_or_b32_e32 v47, 64, v46
	s_cmp_lt_i32 s12, 64
	s_waitcnt lgkmcnt(0)
	s_mul_i32 s17, s45, s17
	s_mul_hi_u32 s42, s45, s16
	s_mul_i32 s34, s45, s16
	v_mov_b32_e32 v62, 0
	v_mov_b32_e32 v60, 0
	;; [unrolled: 1-line block ×15, first 2 shown]
	s_cbranch_scc1 .LBB304_18
; %bb.1:
	s_ashr_i32 s24, s45, 31
	s_ashr_i32 s52, s33, 31
	s_add_u32 s0, s43, s33
	s_addc_u32 s1, s49, s52
	s_mul_i32 s1, s12, s1
	s_mul_hi_u32 s2, s12, s0
	s_add_i32 s3, s2, s1
	s_mul_i32 s2, s12, s0
	s_lshl_b64 s[0:1], s[2:3], 8
	v_and_b32_e32 v49, 56, v44
	s_add_u32 s20, s6, s0
	v_lshl_or_b32 v48, v42, 3, v45
	v_lshlrev_b32_e32 v3, 1, v49
	s_addc_u32 s0, s7, s1
	v_lshl_or_b32 v50, v48, 8, v3
	s_and_b32 s21, s0, 0xffff
	s_mov_b32 s23, 0x20000
	s_movk_i32 s22, 0x4000
	s_movk_i32 s0, 0x80
	v_or_b32_e32 v51, 0x2000, v50
	buffer_load_dwordx4 v[4:7], v50, s[20:23], 0 offen
	buffer_load_dwordx4 v[8:11], v50, s[20:23], s0 offen
	;; [unrolled: 1-line block ×4, first 2 shown]
	v_lshlrev_b32_e32 v20, 3, v48
	v_and_or_b32 v22, v0, 7, v20
	v_and_b32_e32 v20, 0x78, v20
	v_lshlrev_b32_e32 v22, 4, v22
	v_xor_b32_e32 v52, v22, v20
	v_mul_lo_u32 v21, v48, s15
	v_or_b32_e32 v53, 0x1000, v52
	s_cmpk_eq_i32 s15, 0x80
	s_mov_b32 s51, s14
	v_xor_b32_e32 v20, 8, v52
	v_xor_b32_e32 v22, 8, v53
	s_cselect_b64 s[0:1], -1, 0
	s_cmpk_lg_i32 s15, 0x80
	s_waitcnt vmcnt(3)
	ds_write_b64 v52, v[4:5] offset:24576
	ds_write_b64 v20, v[6:7] offset:24576
	s_waitcnt vmcnt(2)
	ds_write_b64 v52, v[8:9] offset:32768
	ds_write_b64 v20, v[10:11] offset:32768
	;; [unrolled: 3-line block ×4, first 2 shown]
	v_lshl_add_u32 v4, v21, 1, v49
	s_cbranch_scc0 .LBB304_3
; %bb.2:
	v_lshlrev_b32_e32 v6, 1, v4
	v_add_lshl_u32 v5, v4, s15, 1
	s_lshl_b32 s22, s15, 7
	v_lshl_or_b32 v3, v48, 9, v3
	s_cbranch_execz .LBB304_4
	s_branch .LBB304_5
.LBB304_3:
                                        ; implicit-def: $vgpr5
                                        ; implicit-def: $vgpr6
                                        ; implicit-def: $sgpr22
	v_lshl_or_b32 v3, v48, 9, v3
.LBB304_4:
	v_or_b32_e32 v5, 0x100, v3
	s_movk_i32 s22, 0x4000
	v_mov_b32_e32 v6, v3
.LBB304_5:
	s_mul_hi_u32 s20, s14, s12
	s_mul_i32 s21, s47, s12
	s_add_i32 s20, s20, s21
	s_mul_i32 s21, s14, s12
	s_mul_i32 s23, s21, s24
	s_mul_hi_u32 s25, s21, s45
	s_add_i32 s23, s25, s23
	s_mul_i32 s20, s20, s45
	s_add_i32 s23, s23, s20
	s_mul_i32 s21, s21, s45
	s_ashr_i32 s53, s50, 31
	s_add_u32 s20, s21, s50
	s_addc_u32 s21, s23, s53
	s_lshl_b64 s[20:21], s[20:21], 8
	s_add_u32 s20, s4, s20
	s_addc_u32 s21, s5, s21
	s_and_b32 s21, s21, 0xffff
	s_mov_b32 s23, 0x20000
	s_movk_i32 s54, 0x80
	buffer_load_dwordx4 v[8:11], v6, s[20:23], 0 offen
	buffer_load_dwordx4 v[12:15], v6, s[20:23], s54 offen
	buffer_load_dwordx4 v[16:19], v5, s[20:23], 0 offen
	buffer_load_dwordx4 v[20:23], v5, s[20:23], s54 offen
	v_and_b32_e32 v5, 6, v0
	v_lshlrev_b32_e32 v24, 6, v46
	v_or_b32_e32 v26, 16, v40
	v_xor_b32_e32 v27, v48, v5
	v_and_b32_e32 v6, 1, v0
	s_mul_i32 s20, s24, s12
	s_mul_hi_u32 s21, s45, s12
	v_lshl_or_b32 v30, v40, 3, v24
	v_lshl_or_b32 v24, v26, 3, v24
	v_lshlrev_b32_e32 v27, 2, v27
	v_lshlrev_b32_e32 v7, 2, v40
	v_or_b32_e32 v56, 0xa000, v24
	v_or_b32_e32 v57, 0xb000, v24
	v_xor_b32_e32 v24, 0x440, v27
	v_cmp_eq_u32_e32 vcc, 0, v6
	s_add_i32 s59, s21, s20
	s_add_i32 s20, s42, s17
	s_mul_i32 s24, s24, s16
	v_xor_b32_e32 v28, v46, v7
	v_xor_b32_e32 v29, v47, v7
	v_cndmask_b32_e32 v6, v24, v27, vcc
	s_add_i32 s35, s20, s24
	s_mul_i32 s20, s33, s19
	s_mul_hi_u32 s21, s33, s18
	s_mov_b32 s56, 0x1000504
	v_lshlrev_b32_e32 v25, 8, v40
	v_lshlrev_b32_e32 v28, 1, v28
	v_lshlrev_b32_e32 v29, 1, v29
	v_lshl_or_b32 v5, v5, 10, v6
	s_add_i32 s20, s21, s20
	s_mul_i32 s21, s52, s18
	s_mov_b32 s57, 0x3020706
	v_or_b32_e32 v54, 0xa000, v30
	v_or_b32_e32 v55, 0xb000, v30
	;; [unrolled: 1-line block ×4, first 2 shown]
	v_xor_b32_e32 v6, 8, v5
	v_xor_b32_e32 v25, 24, v5
	;; [unrolled: 1-line block ×4, first 2 shown]
	s_add_i32 s21, s20, s21
	s_lshl_b64 s[24:25], s[34:35], 2
	v_xor_b32_e32 v24, 16, v5
	v_xor_b32_e32 v27, 32, v5
	;; [unrolled: 1-line block ×3, first 2 shown]
	v_add_u32_e32 v6, 0x80, v6
	v_add_u32_e32 v25, 0x80, v25
	;; [unrolled: 1-line block ×4, first 2 shown]
	s_mul_i32 s20, s33, s18
	s_add_u32 s22, s10, s24
	s_addc_u32 s24, s11, s25
	s_lshl_b64 s[20:21], s[20:21], 2
	s_add_u32 s38, s22, s20
	s_movk_i32 s20, 0xf8
	s_addc_u32 s39, s24, s21
	s_ashr_i32 s31, s30, 31
	s_lshl_b32 s26, s15, 7
	s_movk_i32 s24, 0x100
	v_mov_b32_e32 v35, 0
	v_cmp_gt_u32_e32 vcc, s24, v0
	s_mov_b32 s55, 0
	s_mul_i32 s58, s45, s12
	s_movk_i32 s35, 0x1000
	s_movk_i32 s22, 0x4000
	v_add_u32_e32 v91, v1, v2
	s_mov_b32 s61, 0
	v_mov_b32_e32 v72, v35
	v_mov_b32_e32 v71, v35
	;; [unrolled: 1-line block ×11, first 2 shown]
	s_waitcnt vmcnt(1)
	v_perm_b32 v33, v8, v16, s56
	s_waitcnt vmcnt(0)
	v_perm_b32 v34, v12, v20, s56
	v_perm_b32 v8, v8, v16, s57
	;; [unrolled: 1-line block ×15, first 2 shown]
	ds_write2st64_b32 v5, v33, v34 offset0:32 offset1:64
	ds_write2st64_b32 v6, v8, v12 offset0:32 offset1:64
	;; [unrolled: 1-line block ×8, first 2 shown]
	v_lshlrev_b32_e32 v5, 8, v26
	v_or_b32_e32 v66, v5, v28
	v_or_b32_e32 v67, v5, v29
	;; [unrolled: 1-line block ×3, first 2 shown]
	v_lshlrev_b32_e32 v5, 3, v5
	v_lshrrev_b32_e32 v8, 5, v41
	v_and_or_b32 v8, v5, s20, v8
	v_lshlrev_b32_e32 v8, 4, v8
	v_lshlrev_b32_e32 v9, 11, v42
	v_and_b32_e32 v5, 0x78, v5
	v_or_b32_e32 v13, 32, v8
	v_and_b32_e32 v6, 0x1000, v9
	v_lshrrev_b32_e32 v11, 1, v0
	v_xor_b32_e32 v13, v13, v5
	v_and_b32_e32 v12, 8, v11
	v_or_b32_e32 v13, v13, v6
	v_xor_b32_e32 v10, v8, v5
	v_xor_b32_e32 v76, v13, v12
	v_or_b32_e32 v13, 64, v8
	v_or_b32_e32 v8, 0x60, v8
	v_xor_b32_e32 v13, v13, v5
	v_xor_b32_e32 v5, v8, v5
	v_or_b32_e32 v10, v10, v6
	v_or_b32_e32 v13, v13, v6
	;; [unrolled: 1-line block ×3, first 2 shown]
	s_lshl_b64 s[20:21], s[30:31], 8
	v_xor_b32_e32 v74, v10, v12
	v_xor_b32_e32 v78, v13, v12
	;; [unrolled: 1-line block ×3, first 2 shown]
	v_lshlrev_b32_e32 v12, 1, v4
	v_add_lshl_u32 v13, v4, s15, 1
	s_add_u32 s20, s36, s20
	v_lshlrev_b32_e32 v4, 1, v40
	v_lshrrev_b32_e32 v15, 4, v0
	s_addc_u32 s21, s37, s21
	v_or_b32_e32 v5, 1, v4
	v_lshlrev_b32_e32 v34, 4, v40
	v_mov_b32_e32 v19, 0x4000
	v_mov_b32_e32 v20, 0x2000
	v_xor_b32_e32 v16, v15, v4
	v_xor_b32_e32 v17, v5, v15
	v_lshl_add_u64 v[4:5], s[20:21], 0, v[34:35]
	v_lshlrev_b32_e32 v34, 8, v15
	v_cndmask_b32_e32 v19, v19, v20, vcc
	v_lshlrev_b32_e32 v20, 3, v42
	v_and_b32_e32 v11, 24, v11
	v_lshl_or_b32 v82, v16, 3, v34
	v_and_b32_e32 v16, 8, v0
	v_xor_b32_e32 v21, v20, v11
	v_or_b32_e32 v22, 0x440, v21
	v_cmp_eq_u32_e32 vcc, 0, v16
	v_and_b32_e32 v15, 7, v0
	v_lshlrev_b32_e32 v10, 7, v43
	v_cndmask_b32_e32 v16, v22, v21, vcc
	v_lshl_or_b32 v83, v17, 3, v34
	v_lshlrev_b32_e32 v17, 3, v15
	v_lshlrev_b32_e32 v15, 7, v15
	v_lshlrev_b32_e32 v18, 2, v0
	v_or_b32_e32 v16, v16, v9
	v_or_b32_e32 v7, v10, v7
	v_xad_u32 v84, v16, v17, v15
	v_and_or_b32 v10, v18, 60, v10
	v_mov_b32_e32 v16, 0xb000
	v_lshl_or_b32 v85, v10, 1, v16
	v_or_b32_e32 v10, 32, v11
	v_xor_b32_e32 v10, v20, v10
	v_or_b32_e32 v16, 0x440, v10
	v_cndmask_b32_e32 v10, v16, v10, vcc
	v_or_b32_e32 v10, v10, v9
	v_xad_u32 v86, v10, v17, v15
	v_or_b32_e32 v10, 64, v11
	v_xor_b32_e32 v10, v20, v10
	v_xor_b32_e32 v16, 0x440, v10
	v_cndmask_b32_e32 v10, v16, v10, vcc
	v_or_b32_e32 v10, v10, v9
	v_xad_u32 v87, v10, v17, v15
	v_or_b32_e32 v10, 0x60, v11
	v_xor_b32_e32 v10, v20, v10
	v_xor_b32_e32 v11, 0x440, v10
	v_cndmask_b32_e32 v10, v11, v10, vcc
	v_lshlrev_b32_e32 v7, 1, v7
	v_or_b32_e32 v6, s30, v40
	v_or_b32_e32 v9, v10, v9
	;; [unrolled: 1-line block ×6, first 2 shown]
	v_lshlrev_b32_e32 v8, 7, v46
	v_ashrrev_i32_e32 v7, 31, v6
	v_or_b32_e32 v14, 0x100, v3
	v_xad_u32 v88, v9, v17, v15
	v_cndmask_b32_e64 v89, v12, v3, s[0:1]
	v_cndmask_b32_e64 v90, v13, v14, s[0:1]
	v_lshl_add_u64 v[36:37], v[6:7], 1, s[8:9]
	v_lshl_add_u64 v[38:39], v[4:5], 0, v[34:35]
	s_mov_b32 s31, 0x7060302
	v_lshlrev_b32_e32 v34, 1, v8
	v_add_u32_e32 v92, v19, v84
	v_add_u32_e32 v93, v19, v86
	v_add_u32_e32 v94, v19, v87
	v_add_u32_e32 v95, v19, v88
	v_mov_b32_e32 v99, v35
	v_mov_b32_e32 v61, v35
	;; [unrolled: 1-line block ×5, first 2 shown]
	s_waitcnt lgkmcnt(0)
	s_barrier
.LBB304_6:                              ; =>This Inner Loop Header: Depth=1
	s_add_i32 s60, s61, 1
	s_cmp_lt_i32 s60, s46
	s_mov_b64 s[24:25], 0
	s_cselect_b64 s[40:41], -1, 0
	s_cmp_ge_i32 s60, s46
	s_mov_b64 s[20:21], 0
	s_cbranch_scc1 .LBB304_8
; %bb.7:                                ;   in Loop: Header=BB304_6 Depth=1
	s_add_i32 s0, s55, 64
	s_add_u32 s0, s2, s0
	s_addc_u32 s1, s3, 0
	s_lshl_b64 s[0:1], s[0:1], 8
	s_add_u32 s20, s6, s0
	s_addc_u32 s21, s7, s1
.LBB304_8:                              ;   in Loop: Header=BB304_6 Depth=1
	v_cndmask_b32_e64 v2, 0, 1, s[40:41]
	v_cmp_ne_u32_e64 s[0:1], 1, v2
	s_andn2_b64 vcc, exec, s[40:41]
	s_cbranch_vccnz .LBB304_10
; %bb.9:                                ;   in Loop: Header=BB304_6 Depth=1
	s_add_i32 s24, s55, 64
	s_add_u32 s24, s58, s24
	s_addc_u32 s25, s59, 0
	s_mul_i32 s27, s24, s47
	s_mul_hi_u32 s40, s24, s51
	s_add_i32 s27, s40, s27
	s_mul_i32 s25, s25, s51
	s_add_i32 s27, s27, s25
	s_mul_i32 s24, s24, s51
	s_add_u32 s24, s24, s50
	s_addc_u32 s25, s27, s53
	s_lshl_b64 s[24:25], s[24:25], 8
	s_add_u32 s24, s4, s24
	s_addc_u32 s25, s5, s25
.LBB304_10:                             ;   in Loop: Header=BB304_6 Depth=1
	v_perm_b32 v3, v98, v73, s31
	v_perm_b32 v2, v71, v72, s31
	;; [unrolled: 1-line block ×4, first 2 shown]
	ds_write_b64 v54, v[2:3]
	ds_write_b64 v55, v[4:5]
	;; [unrolled: 1-line block ×4, first 2 shown]
	v_perm_b32 v3, v99, v65, s31
	v_perm_b32 v2, v63, v64, s31
	;; [unrolled: 1-line block ×4, first 2 shown]
	ds_write_b64 v56, v[2:3]
	ds_write_b64 v57, v[4:5]
	;; [unrolled: 1-line block ×4, first 2 shown]
	s_waitcnt lgkmcnt(0)
	s_barrier
	ds_read_b64 v[6:7], v74 offset:24576
	ds_read2_b64 v[2:5], v75 offset1:16
	ds_read_b64 v[10:11], v77 offset:3072
	ds_read_b64 v[12:13], v75 offset:3072
	;; [unrolled: 1-line block ×3, first 2 shown]
	s_waitcnt lgkmcnt(3)
	v_mfma_f32_16x16x16_bf16 a[0:3], v[6:7], v[2:3], 0
	s_add_i32 s27, s55, 63
	s_mul_i32 s40, s27, s29
	s_mul_hi_u32 s41, s27, s28
	v_mfma_f32_16x16x16_bf16 a[4:7], v[6:7], v[4:5], 0
	ds_read2st64_b64 v[2:5], v75 offset0:2 offset1:4
	ds_read2st64_b64 v[6:9], v77 offset0:2 offset1:4
	s_add_i32 s41, s41, s40
	s_waitcnt lgkmcnt(1)
	v_mfma_f32_16x16x16_bf16 a[0:3], v[14:15], v[2:3], a[0:3]
	s_mul_i32 s40, s27, s28
	s_lshl_b64 s[40:41], s[40:41], 2
	s_add_u32 s40, s38, s40
	s_waitcnt lgkmcnt(0)
	v_mfma_f32_16x16x16_bf16 a[4:7], v[14:15], v[6:7], a[4:7]
	ds_read_b64 v[2:3], v78 offset:24576
	ds_read_b64 v[6:7], v79 offset:24576
	s_addc_u32 s41, s39, s41
	s_and_b64 vcc, exec, s[0:1]
	s_waitcnt lgkmcnt(1)
	v_mfma_f32_16x16x16_bf16 a[0:3], v[2:3], v[4:5], a[0:3]
	v_mov_b32_e32 v102, 0
	v_mov_b32_e32 v101, 0
	;; [unrolled: 1-line block ×3, first 2 shown]
	v_mfma_f32_16x16x16_bf16 a[4:7], v[2:3], v[8:9], a[4:7]
	v_mov_b32_e32 v2, 0
	v_mov_b32_e32 v3, 0
	;; [unrolled: 1-line block ×3, first 2 shown]
	s_waitcnt lgkmcnt(0)
	v_mfma_f32_16x16x16_bf16 a[0:3], v[6:7], v[12:13], a[0:3]
	v_mov_b32_e32 v5, 0
	v_mov_b32_e32 v8, 0
	;; [unrolled: 1-line block ×3, first 2 shown]
	v_mfma_f32_16x16x16_bf16 a[4:7], v[6:7], v[10:11], a[4:7]
	v_mov_b32_e32 v6, 0
	v_mov_b32_e32 v7, 0
	;; [unrolled: 1-line block ×10, first 2 shown]
	s_cbranch_vccnz .LBB304_12
; %bb.11:                               ;   in Loop: Header=BB304_6 Depth=1
	s_and_b32 s21, s21, 0xffff
	buffer_load_dwordx4 v[14:17], v50, s[20:23], 0 offen
	buffer_load_dwordx4 v[10:13], v50, s[20:23], s54 offen
	;; [unrolled: 1-line block ×4, first 2 shown]
	v_mov_b32_e32 v101, v52
	v_mov_b32_e32 v100, v53
.LBB304_12:                             ;   in Loop: Header=BB304_6 Depth=1
	s_waitcnt vmcnt(4)
	ds_read_b64 v[22:23], v74 offset:32768
	s_waitcnt vmcnt(2)
	ds_read2_b64 v[18:21], v80 offset1:16
	ds_read_b64 v[26:27], v76 offset:32768
	ds_read_b64 v[28:29], v78 offset:32768
	;; [unrolled: 1-line block ×3, first 2 shown]
	v_add_u32_e32 v103, s55, v91
	s_waitcnt lgkmcnt(3)
	v_mfma_f32_16x16x16_bf16 a[0:3], v[22:23], v[18:19], a[0:3]
	v_mfma_f32_16x16x16_bf16 a[4:7], v[22:23], v[20:21], a[4:7]
	ds_read2st64_b64 v[18:21], v80 offset0:2 offset1:4
	ds_read2st64_b64 v[22:25], v81 offset0:2 offset1:4
	s_waitcnt lgkmcnt(1)
	v_mfma_f32_16x16x16_bf16 a[0:3], v[26:27], v[18:19], a[0:3]
	ds_read_b64 v[18:19], v80 offset:3072
	ds_read_b64 v[32:33], v81 offset:3072
	s_waitcnt lgkmcnt(2)
	v_mfma_f32_16x16x16_bf16 a[4:7], v[26:27], v[22:23], a[4:7]
	v_ashrrev_i32_e32 v22, 31, v103
	v_mul_lo_u32 v23, v103, s29
	v_mul_lo_u32 v22, v22, s28
	v_mfma_f32_16x16x16_bf16 a[0:3], v[28:29], v[20:21], a[0:3]
	v_mad_u64_u32 v[20:21], s[20:21], v103, s28, 0
	v_add3_u32 v21, v21, v23, v22
	v_lshl_add_u64 v[20:21], v[20:21], 2, s[38:39]
	global_load_dword v26, v[20:21], off
	v_add_u32_e32 v20, 1, v103
	v_ashrrev_i32_e32 v21, 31, v20
	s_waitcnt lgkmcnt(1)
	v_mfma_f32_16x16x16_bf16 a[0:3], v[30:31], v[18:19], a[0:3]
	v_mul_lo_u32 v21, v21, s28
	v_mul_lo_u32 v22, v20, s29
	v_mad_u64_u32 v[18:19], s[20:21], v20, s28, 0
	v_add_u32_e32 v20, 2, v103
	v_add3_u32 v19, v19, v22, v21
	v_ashrrev_i32_e32 v21, 31, v20
	v_mul_lo_u32 v22, v21, s28
	v_mul_lo_u32 v23, v20, s29
	v_mad_u64_u32 v[20:21], s[20:21], v20, s28, 0
	v_add3_u32 v21, v21, v23, v22
	v_add_u32_e32 v22, 3, v103
	v_ashrrev_i32_e32 v23, 31, v22
	v_mfma_f32_16x16x16_bf16 a[4:7], v[28:29], v[24:25], a[4:7]
	v_mul_lo_u32 v24, v23, s28
	v_mul_lo_u32 v25, v22, s29
	v_mad_u64_u32 v[22:23], s[20:21], v22, s28, 0
	s_add_u32 s20, s2, s55
	s_addc_u32 s21, s3, 0
	s_lshl_b64 s[20:21], s[20:21], 8
	v_add3_u32 v23, v23, v25, v24
	v_lshl_add_u64 v[24:25], v[36:37], 0, s[20:21]
	v_lshl_add_u64 v[18:19], v[18:19], 2, s[38:39]
	;; [unrolled: 1-line block ×4, first 2 shown]
	global_load_ushort v28, v[24:25], off
	global_load_ushort v27, v[24:25], off offset:256
	global_load_ushort v103, v[24:25], off offset:800
	global_load_ushort v29, v[24:25], off offset:768
	global_load_ushort v106, v[24:25], off offset:544
	global_load_ushort v104, v[24:25], off offset:512
	global_load_ushort v105, v[24:25], off offset:288
	global_load_ushort v107, v[24:25], off offset:32
	v_lshl_add_u64 v[22:23], v[22:23], 2, s[38:39]
	global_load_dword v108, v[18:19], off
	global_load_dword v109, v[20:21], off
	;; [unrolled: 1-line block ×3, first 2 shown]
	s_load_dword s20, s[40:41], 0x0
	s_waitcnt lgkmcnt(0)
	v_mfma_f32_16x16x16_bf16 a[4:7], v[30:31], v[32:33], a[4:7]
	v_accvgpr_read_b32 v23, a1
	v_accvgpr_read_b32 v19, a3
	;; [unrolled: 1-line block ×4, first 2 shown]
	s_and_b64 vcc, exec, s[0:1]
	s_waitcnt vmcnt(11)
	v_sub_f32_e32 v32, s20, v26
	v_exp_f32_e32 v32, v32
	v_accvgpr_read_b32 v25, a5
	v_accvgpr_read_b32 v24, a4
	;; [unrolled: 1-line block ×4, first 2 shown]
	s_waitcnt vmcnt(10)
	v_lshlrev_b32_e32 v26, 16, v28
	s_waitcnt vmcnt(9)
	v_lshlrev_b32_e32 v27, 16, v27
	v_pk_add_f32 v[22:23], v[26:27], v[22:23] neg_lo:[0,1] neg_hi:[0,1]
	s_waitcnt vmcnt(7)
	v_lshlrev_b32_e32 v29, 16, v29
	v_mov_b32_e32 v26, 0
	s_waitcnt vmcnt(5)
	v_lshlrev_b32_e32 v28, 16, v104
	s_waitcnt vmcnt(4)
	v_lshlrev_b32_e32 v31, 16, v105
	s_waitcnt vmcnt(2)
	v_sub_f32_e32 v33, s20, v108
	s_waitcnt vmcnt(1)
	v_sub_f32_e32 v104, s20, v109
	;; [unrolled: 2-line block ×3, first 2 shown]
	v_exp_f32_e32 v33, v33
	v_exp_f32_e32 v104, v104
	;; [unrolled: 1-line block ×3, first 2 shown]
	v_pk_add_f32 v[18:19], v[28:29], v[18:19] neg_lo:[0,1] neg_hi:[0,1]
	v_lshlrev_b32_e32 v30, 16, v107
	v_pk_mul_f32 v[22:23], v[32:33], v[22:23]
	v_pk_mul_f32 v[18:19], v[104:105], v[18:19]
	v_mov_b32_e32 v27, 0
	v_perm_b32 v19, v19, v18, s31
	v_perm_b32 v18, v23, v22, s31
	v_pk_add_f32 v[22:23], v[30:31], v[24:25] neg_lo:[0,1] neg_hi:[0,1]
	v_lshlrev_b32_e32 v25, 16, v103
	v_lshlrev_b32_e32 v24, 16, v106
	v_pk_add_f32 v[20:21], v[24:25], v[20:21] neg_lo:[0,1] neg_hi:[0,1]
	v_pk_mul_f32 v[22:23], v[32:33], v[22:23]
	v_pk_mul_f32 v[20:21], v[104:105], v[20:21]
	v_mov_b32_e32 v103, 0
	v_perm_b32 v21, v21, v20, s31
	v_perm_b32 v20, v23, v22, s31
	ds_write2_b64 v55, v[18:19], v[20:21] offset1:16
	v_mov_b32_e32 v18, 0
	v_mov_b32_e32 v19, 0
	;; [unrolled: 1-line block ×14, first 2 shown]
	s_cbranch_vccnz .LBB304_14
; %bb.13:                               ;   in Loop: Header=BB304_6 Depth=1
	s_and_b32 s25, s25, 0xffff
	s_mov_b32 s27, s23
	buffer_load_dwordx4 v[30:33], v89, s[24:27], 0 offen
	buffer_load_dwordx4 v[22:25], v89, s[24:27], s54 offen
	;; [unrolled: 1-line block ×4, first 2 shown]
	v_mov_b32_e32 v102, v49
	v_mov_b32_e32 v103, v48
.LBB304_14:                             ;   in Loop: Header=BB304_6 Depth=1
	s_waitcnt lgkmcnt(0)
	s_barrier
	ds_read_b64 v[108:109], v92
	ds_read_b64 v[116:117], v85
	;; [unrolled: 1-line block ×5, first 2 shown]
	ds_read_b64 v[122:123], v86 offset:16384
	ds_read_b64 v[124:125], v84 offset:16384
	ds_read2_b64 v[104:107], v80 offset0:16 offset1:128
	s_waitcnt lgkmcnt(6)
	v_mfma_f32_16x16x16_bf16 a[0:3], v[108:109], v[116:117], 0
	ds_read_b64 v[126:127], v81 offset:3072
	ds_read_b64 v[128:129], v88 offset:16384
	s_add_i32 s21, s48, s61
	s_waitcnt lgkmcnt(2)
	v_mfma_f32_16x16x16_bf16 a[4:7], v[108:109], v[104:105], 0
	ds_read2st64_b64 v[108:111], v81 offset0:2 offset1:4
	s_mul_hi_i32 s25, s21, s13
	s_mul_i32 s21, s21, s13
	v_mfma_f32_16x16x16_bf16 a[0:3], v[112:113], v[106:107], a[0:3]
	s_add_u32 s24, s21, s33
	s_addc_u32 s25, s25, s52
	s_lshl_b64 s[24:25], s[24:25], 15
	s_waitcnt lgkmcnt(0)
	v_mfma_f32_16x16x16_bf16 a[4:7], v[112:113], v[108:109], a[4:7]
	ds_read2st64_b64 v[112:115], v80 offset0:4 offset1:6
	s_waitcnt lgkmcnt(0)
	v_mfma_f32_16x16x16_bf16 a[0:3], v[118:119], v[112:113], a[0:3]
	v_mfma_f32_16x16x16_bf16 a[8:11], v[118:119], v[110:111], a[4:7]
	;; [unrolled: 1-line block ×5, first 2 shown]
	ds_read2st64_b64 v[116:119], v83 offset1:8
	v_mfma_f32_16x16x16_bf16 a[12:15], v[124:125], v[104:105], 0
	ds_read_b64 v[124:125], v87 offset:16384
	v_mfma_f32_16x16x16_bf16 a[8:11], v[122:123], v[106:107], a[8:11]
	ds_read2st64_b64 v[104:107], v82 offset1:8
	s_waitcnt lgkmcnt(0)
	v_mov_b32_e32 v120, v104
	v_mfma_f32_16x16x16_bf16 a[12:15], v[122:123], v[108:109], a[12:15]
	v_lshl_add_u64 v[108:109], v[38:39], 0, s[24:25]
	v_add_co_u32_e32 v104, vcc, s35, v108
	v_mfma_f32_16x16x16_bf16 a[8:11], v[124:125], v[112:113], a[8:11]
	v_mov_b32_e32 v121, v105
	v_addc_co_u32_e32 v105, vcc, 0, v109, vcc
	v_mfma_f32_16x16x16_bf16 a[16:19], v[124:125], v[110:111], a[12:15]
	v_mov_b32_e32 v122, v116
	v_mov_b32_e32 v123, v117
	;; [unrolled: 1-line block ×3, first 2 shown]
	v_mfma_f32_16x16x16_bf16 a[12:15], v[128:129], v[114:115], a[8:11]
	v_mov_b32_e32 v117, v107
	s_and_b64 vcc, exec, s[0:1]
	global_store_dwordx4 v[108:109], v[120:123], off
	v_mfma_f32_16x16x16_bf16 a[8:11], v[128:129], v[126:127], a[16:19]
	global_store_dwordx4 v[104:105], v[116:119], off
	s_cbranch_vccnz .LBB304_16
; %bb.15:                               ;   in Loop: Header=BB304_6 Depth=1
	v_lshrrev_b32_e32 v104, 3, v102
	v_and_b32_e32 v104, 6, v104
	v_xor_b32_e32 v103, v104, v103
	v_lshlrev_b32_e32 v103, 2, v103
	v_and_b32_e32 v102, 8, v102
	v_xor_b32_e32 v105, 0x440, v103
	v_cmp_eq_u32_e32 vcc, 0, v102
	s_barrier
	s_nop 0
	v_cndmask_b32_e32 v102, v105, v103, vcc
	v_lshl_or_b32 v102, v104, 10, v102
	s_waitcnt vmcnt(3)
	v_perm_b32 v103, v30, v26, s56
	s_waitcnt vmcnt(2)
	v_perm_b32 v104, v22, v18, s56
	ds_write2st64_b32 v102, v103, v104 offset0:32 offset1:64
	v_xor_b32_e32 v103, 8, v102
	v_perm_b32 v26, v30, v26, s57
	v_perm_b32 v18, v22, v18, s57
	v_add_u32_e32 v22, 0x80, v103
	ds_write2st64_b32 v22, v26, v18 offset0:32 offset1:64
	v_xor_b32_e32 v18, 16, v102
	v_perm_b32 v22, v31, v27, s56
	v_perm_b32 v26, v23, v19, s56
	ds_write2st64_b32 v18, v22, v26 offset0:33 offset1:65
	v_xor_b32_e32 v18, 24, v102
	v_perm_b32 v22, v31, v27, s57
	v_perm_b32 v19, v23, v19, s57
	v_add_u32_e32 v18, 0x80, v18
	ds_write2st64_b32 v18, v22, v19 offset0:33 offset1:65
	v_xor_b32_e32 v18, 32, v102
	v_perm_b32 v19, v32, v28, s56
	;; [unrolled: 9-line block ×3, first 2 shown]
	v_perm_b32 v20, v25, v21, s56
	ds_write2st64_b32 v18, v19, v20 offset0:35 offset1:67
	v_xor_b32_e32 v18, 56, v102
	v_perm_b32 v19, v33, v29, s57
	v_perm_b32 v20, v25, v21, s57
	v_add_u32_e32 v18, 0x80, v18
	ds_write2st64_b32 v18, v19, v20 offset0:35 offset1:67
	ds_write_b64 v101, v[14:15] offset:24576
	v_xor_b32_e32 v14, 8, v101
	ds_write_b64 v14, v[16:17] offset:24576
	ds_write_b64 v101, v[10:11] offset:32768
	;; [unrolled: 1-line block ×4, first 2 shown]
	v_xor_b32_e32 v6, 8, v100
	ds_write_b64 v6, v[8:9] offset:24576
	ds_write_b64 v100, v[2:3] offset:32768
	;; [unrolled: 1-line block ×3, first 2 shown]
.LBB304_16:                             ;   in Loop: Header=BB304_6 Depth=1
	v_exp_f32_e32 v2, s20
	v_accvgpr_read_b32 v3, a4
	v_accvgpr_read_b32 v4, a5
	;; [unrolled: 1-line block ×3, first 2 shown]
	v_fma_f32 v72, v72, v2, v3
	v_accvgpr_read_b32 v3, a6
	v_fma_f32 v73, v73, v2, v3
	v_accvgpr_read_b32 v3, a0
	;; [unrolled: 2-line block ×11, first 2 shown]
	v_accvgpr_read_b32 v6, a15
	v_fma_f32 v62, v62, v2, v3
	v_accvgpr_read_b32 v3, a11
	s_add_i32 s55, s55, 64
	v_fmac_f32_e32 v5, v98, v2
	v_fmac_f32_e32 v4, v99, v2
	;; [unrolled: 1-line block ×3, first 2 shown]
	s_cmp_eq_u32 s46, s60
	v_fmac_f32_e32 v3, v97, v2
	s_cbranch_scc1 .LBB304_18
; %bb.17:                               ;   in Loop: Header=BB304_6 Depth=1
	s_mov_b32 s61, s60
	v_mov_b32_e32 v98, v5
	v_mov_b32_e32 v96, v6
	;; [unrolled: 1-line block ×4, first 2 shown]
	s_branch .LBB304_6
.LBB304_18:
	s_lshl_b32 s40, s46, 6
	s_sub_i32 s41, s12, s40
	s_cmp_gt_i32 s41, 0
	s_cbranch_scc0 .LBB304_83
; %bb.19:
	s_ashr_i32 s35, s45, 31
	s_ashr_i32 s2, s40, 31
	s_cmpk_lg_i32 s15, 0x80
	s_cselect_b64 s[26:27], -1, 0
	s_and_b64 vcc, exec, s[26:27]
	s_cbranch_vccz .LBB304_21
; %bb.20:
	s_mul_i32 s1, s45, s12
	s_mul_hi_i32 s0, s45, s12
	s_add_u32 s1, s1, s40
	s_addc_u32 s0, s0, s2
	s_mul_i32 s3, s1, s47
	s_mul_hi_u32 s20, s1, s14
	s_add_i32 s3, s20, s3
	s_mul_i32 s0, s0, s14
	s_add_i32 s3, s3, s0
	s_mul_i32 s1, s1, s14
	s_ashr_i32 s0, s50, 31
	s_add_u32 s38, s1, s50
	s_addc_u32 s39, s3, s0
	s_cbranch_execz .LBB304_22
	s_branch .LBB304_23
.LBB304_21:
                                        ; implicit-def: $sgpr38_sgpr39
.LBB304_22:
	s_mul_hi_i32 s0, s45, s14
	s_mul_i32 s45, s45, s14
	s_ashr_i32 s1, s50, 31
	s_add_u32 s3, s45, s50
	s_addc_u32 s0, s0, s1
	s_mul_i32 s1, s3, s44
	s_mul_hi_u32 s14, s3, s12
	s_add_i32 s1, s14, s1
	s_mul_i32 s0, s0, s12
	s_add_i32 s1, s1, s0
	s_mul_i32 s3, s3, s12
	s_add_u32 s38, s3, s40
	s_addc_u32 s39, s1, s2
.LBB304_23:
	s_add_i32 s3, s48, s46
	s_ashr_i32 s14, s33, 31
	s_add_u32 s0, s43, s33
	s_addc_u32 s1, s49, s14
	s_mul_i32 s20, s0, s44
	s_mul_hi_u32 s21, s0, s12
	s_add_i32 s20, s21, s20
	s_mul_i32 s1, s1, s12
	s_add_i32 s20, s20, s1
	s_mul_i32 s0, s0, s12
	s_add_u32 s0, s0, s40
	s_addc_u32 s1, s20, s2
	v_lshlrev_b32_e32 v10, 5, v46
	s_waitcnt vmcnt(4)
	v_lshlrev_b32_e32 v22, 2, v40
	s_mov_b32 s2, 0x7060302
	v_xor_b32_e32 v2, v46, v22
	v_perm_b32 v9, v5, v73, s2
	v_or_b32_e32 v5, v10, v22
	v_perm_b32 v8, v71, v72, s2
	v_perm_b32 v7, v6, v70, s2
	;; [unrolled: 1-line block ×3, first 2 shown]
	v_lshlrev_b32_e32 v5, 1, v5
	v_lshlrev_b32_e32 v12, 1, v2
	;; [unrolled: 1-line block ×3, first 2 shown]
	s_lshl_b64 s[24:25], s[0:1], 8
	v_xor_b32_e32 v11, v47, v22
	ds_write2st64_b64 v5, v[8:9], v[6:7] offset0:80 offset1:88
	v_or_b32_e32 v5, v12, v2
	s_add_u32 s0, s6, s24
	ds_write_b64 v5, v[8:9]
	v_lshlrev_b32_e32 v8, 1, v11
	s_addc_u32 s1, s7, s25
	v_or_b32_e32 v2, v8, v2
	s_mul_hi_i32 s6, s3, s13
	s_mul_i32 s3, s3, s13
	ds_write_b64 v2, v[6:7]
	v_perm_b32 v5, v4, v65, s2
	v_perm_b32 v4, v63, v64, s2
	;; [unrolled: 1-line block ×4, first 2 shown]
	v_or_b32_e32 v6, 16, v40
	s_add_u32 s2, s3, s33
	s_waitcnt vmcnt(2)
	v_lshlrev_b32_e32 v19, 2, v6
	s_addc_u32 s3, s6, s14
	v_or_b32_e32 v7, v10, v19
	s_ashr_i32 s31, s30, 31
	s_lshl_b64 s[2:3], s[2:3], 15
	v_lshlrev_b32_e32 v7, 1, v7
	v_lshlrev_b32_e32 v6, 8, v6
	s_add_u32 s6, s36, s2
	ds_write2st64_b64 v7, v[4:5], v[2:3] offset0:80 offset1:88
	v_or_b32_e32 v7, v12, v6
	s_addc_u32 s7, s37, s3
	s_lshl_b64 s[2:3], s[30:31], 8
	ds_write_b64 v7, v[4:5]
	v_or_b32_e32 v4, v8, v6
	s_add_u32 s2, s6, s2
	ds_write_b64 v4, v[2:3]
	v_lshrrev_b32_e32 v2, 4, v0
	s_addc_u32 s3, s7, s3
	v_lshlrev_b32_e32 v3, 1, v40
	v_lshlrev_b32_e32 v10, 4, v40
	v_mov_b32_e32 v11, 0
	v_or_b32_e32 v4, 1, v3
	v_xor_b32_e32 v3, v2, v3
	v_lshl_add_u64 v[12:13], s[2:3], 0, v[10:11]
	v_lshlrev_b32_e32 v10, 8, v2
	v_xor_b32_e32 v6, v4, v2
	v_lshl_or_b32 v2, v3, 3, v10
	s_waitcnt lgkmcnt(0)
	s_barrier
	ds_read2st64_b64 v[2:5], v2 offset1:8
	v_lshl_or_b32 v6, v6, 3, v10
	ds_read2st64_b64 v[6:9], v6 offset1:8
	v_lshl_add_u64 v[14:15], v[12:13], 0, v[10:11]
	s_movk_i32 s2, 0x1000
	s_waitcnt lgkmcnt(1)
	v_mov_b32_e32 v10, v2
	v_add_co_u32_e32 v2, vcc, s2, v14
	s_cmp_lg_u32 s41, 64
	v_mov_b32_e32 v11, v3
	v_addc_co_u32_e32 v3, vcc, 0, v15, vcc
	s_cselect_b64 s[6:7], -1, 0
	v_lshl_or_b32 v23, v42, 3, v45
	s_waitcnt lgkmcnt(0)
	v_mov_b32_e32 v12, v6
	v_mov_b32_e32 v13, v7
	;; [unrolled: 1-line block ×4, first 2 shown]
	s_mov_b32 s20, 0
	v_or_b32_e32 v20, 32, v23
	v_and_b32_e32 v18, 56, v44
	s_and_b64 vcc, exec, s[6:7]
	global_store_dwordx4 v[14:15], v[10:13], off
	global_store_dwordx4 v[2:3], v[6:9], off
	s_cbranch_vccz .LBB304_29
; %bb.24:
	s_mov_b32 s21, s20
	s_mov_b32 s22, s20
	;; [unrolled: 1-line block ×3, first 2 shown]
	v_mov_b64_e32 v[6:7], s[20:21]
	v_mov_b64_e32 v[8:9], s[22:23]
	;; [unrolled: 1-line block ×3, first 2 shown]
	v_cmp_gt_i32_e32 vcc, s41, v23
	v_mov_b64_e32 v[4:5], v[8:9]
	s_and_saveexec_b64 s[2:3], vcc
	s_cbranch_execz .LBB304_26
; %bb.25:
	v_lshlrev_b32_e32 v2, 8, v23
	v_mov_b32_e32 v3, 0
	v_lshl_add_u64 v[4:5], s[0:1], 0, v[2:3]
	v_lshlrev_b32_e32 v2, 1, v18
	v_lshl_add_u64 v[10:11], v[4:5], 0, v[2:3]
	global_load_dwordx4 v[6:9], v[10:11], off
	global_load_dwordx4 v[2:5], v[10:11], off offset:128
.LBB304_26:
	s_or_b64 exec, exec, s[2:3]
	s_mov_b32 s21, s20
	s_mov_b32 s22, s20
	;; [unrolled: 1-line block ×3, first 2 shown]
	v_mov_b64_e32 v[14:15], s[20:21]
	v_mov_b64_e32 v[16:17], s[22:23]
	;; [unrolled: 1-line block ×3, first 2 shown]
	v_cmp_gt_i32_e32 vcc, s41, v20
	v_lshlrev_b32_e32 v21, 7, v20
	v_mov_b64_e32 v[12:13], v[16:17]
	s_and_saveexec_b64 s[2:3], vcc
	s_cbranch_execz .LBB304_28
; %bb.27:
	v_lshlrev_b32_e32 v10, 1, v21
	v_mov_b32_e32 v11, 0
	v_lshl_add_u64 v[12:13], s[0:1], 0, v[10:11]
	v_lshlrev_b32_e32 v10, 1, v18
	v_lshl_add_u64 v[24:25], v[12:13], 0, v[10:11]
	global_load_dwordx4 v[14:17], v[24:25], off
	global_load_dwordx4 v[10:13], v[24:25], off offset:128
.LBB304_28:
	s_or_b64 exec, exec, s[2:3]
	v_lshrrev_b32_e32 v24, 3, v18
	v_lshlrev_b32_e32 v25, 3, v23
	v_or_b32_e32 v24, v25, v24
	v_lshlrev_b32_e32 v24, 4, v24
	v_and_b32_e32 v25, 0x78, v25
	v_xor_b32_e32 v24, v24, v25
	s_branch .LBB304_31
.LBB304_29:
                                        ; implicit-def: $vgpr24
                                        ; implicit-def: $vgpr21
                                        ; implicit-def: $vgpr6_vgpr7_vgpr8_vgpr9
                                        ; implicit-def: $vgpr2_vgpr3_vgpr4_vgpr5
                                        ; implicit-def: $vgpr14_vgpr15_vgpr16_vgpr17
                                        ; implicit-def: $vgpr10_vgpr11_vgpr12_vgpr13
	s_cbranch_execz .LBB304_31
; %bb.30:
	s_waitcnt vmcnt(0)
	v_lshlrev_b32_e32 v2, 1, v18
	v_lshl_or_b32 v21, v23, 8, v2
	s_and_b32 s1, s1, 0xffff
	s_mov_b32 s3, 0x20000
	s_movk_i32 s2, 0x4000
	v_lshl_or_b32 v24, v20, 8, v2
	s_movk_i32 s13, 0x80
	buffer_load_dwordx4 v[6:9], v21, s[0:3], 0 offen
	buffer_load_dwordx4 v[2:5], v21, s[0:3], s13 offen
	;; [unrolled: 1-line block ×4, first 2 shown]
	v_lshrrev_b32_e32 v21, 3, v18
	v_lshlrev_b32_e32 v24, 3, v23
	v_or_b32_e32 v21, v24, v21
	v_lshlrev_b32_e32 v21, 4, v21
	v_and_b32_e32 v24, 0x78, v24
	v_xor_b32_e32 v24, v21, v24
	v_lshlrev_b32_e32 v21, 7, v20
.LBB304_31:
	s_lshl_b64 s[0:1], s[38:39], 8
	s_add_u32 s4, s4, s0
	s_movk_i32 s0, 0x1000
	v_and_or_b32 v20, v21, s0, v24
	s_waitcnt vmcnt(1)
	ds_write_b64 v24, v[6:7] offset:24576
	v_xor_b32_e32 v6, 8, v24
	ds_write_b64 v6, v[8:9] offset:24576
	s_waitcnt vmcnt(0)
	ds_write_b64 v24, v[2:3] offset:32768
	ds_write_b64 v6, v[4:5] offset:32768
	;; [unrolled: 1-line block ×3, first 2 shown]
	v_xor_b32_e32 v2, 8, v20
	ds_write_b64 v2, v[16:17] offset:24576
	ds_write_b64 v20, v[10:11] offset:32768
	;; [unrolled: 1-line block ×3, first 2 shown]
	v_or_b32_e32 v2, v1, v40
	v_lshlrev_b32_e32 v3, 11, v42
	v_lshlrev_b32_e32 v2, 3, v2
	v_and_b32_e32 v6, 0x1000, v3
	v_lshrrev_b32_e32 v3, 5, v41
	s_movk_i32 s13, 0xf8
	v_and_or_b32 v3, v2, s13, v3
	v_lshlrev_b32_e32 v7, 4, v3
	v_and_b32_e32 v8, 0x78, v2
	v_or_b32_e32 v10, 32, v7
	v_lshrrev_b32_e32 v3, 1, v41
	v_xor_b32_e32 v10, v10, v8
	v_xor_b32_e32 v2, v7, v8
	v_and_b32_e32 v9, 8, v3
	v_or_b32_e32 v10, v10, v6
	v_or_b32_e32 v2, v2, v6
	v_xor_b32_e32 v26, v10, v9
	v_or_b32_e32 v10, 64, v7
	v_xor_b32_e32 v25, v2, v9
	v_xor_b32_e32 v10, v10, v8
	s_waitcnt lgkmcnt(0)
	s_barrier
	v_or_b32_e32 v12, v10, v6
	ds_read_b64 v[10:11], v25 offset:24576
	v_lshl_or_b32 v20, v43, 7, v22
	v_lshlrev_b32_e32 v24, 1, v20
	v_add_u32_e32 v2, 0xa000, v24
	ds_read2_b64 v[2:5], v2 offset1:16
	v_or_b32_e32 v7, 0x60, v7
	v_xor_b32_e32 v7, v7, v8
	s_waitcnt lgkmcnt(0)
	v_mfma_f32_16x16x16_bf16 a[0:3], v[10:11], v[2:3], 0
	v_or_b32_e32 v2, 64, v20
	v_or_b32_e32 v6, v7, v6
	v_lshlrev_b32_e32 v29, 1, v2
	v_xor_b32_e32 v27, v12, v9
	v_xor_b32_e32 v28, v6, v9
	ds_read_b64 v[12:13], v26 offset:24576
	ds_read_b64 v[14:15], v27 offset:24576
	;; [unrolled: 1-line block ×3, first 2 shown]
	v_mfma_f32_16x16x16_bf16 a[4:7], v[10:11], v[4:5], 0
	ds_read2st64_b64 v[2:5], v29 offset0:82 offset1:84
	ds_read2st64_b64 v[6:9], v24 offset0:82 offset1:84
	s_addc_u32 s5, s5, s1
	s_add_i32 s2, s12, -1
	s_add_i32 s0, s42, s17
	s_mul_i32 s35, s35, s16
	s_add_i32 s35, s0, s35
	s_mul_i32 s0, s33, s19
	s_mul_hi_u32 s1, s33, s18
	s_ashr_i32 s3, s2, 31
	s_mul_i32 s12, s2, s29
	s_mul_hi_u32 s13, s2, s28
	s_add_i32 s0, s1, s0
	s_mul_i32 s1, s14, s18
	s_add_i32 s12, s13, s12
	s_mul_i32 s3, s3, s28
	s_waitcnt lgkmcnt(1)
	v_mfma_f32_16x16x16_bf16 a[4:7], v[12:13], v[2:3], a[4:7]
	s_add_i32 s1, s0, s1
	s_add_i32 s3, s12, s3
	s_lshl_b64 s[12:13], s[34:35], 2
	s_waitcnt lgkmcnt(0)
	v_mfma_f32_16x16x16_bf16 a[0:3], v[12:13], v[6:7], a[0:3]
	s_mul_i32 s0, s33, s18
	s_add_u32 s10, s10, s12
	s_addc_u32 s11, s11, s13
	s_lshl_b64 s[0:1], s[0:1], 2
	s_mul_i32 s2, s2, s28
	s_add_u32 s10, s10, s0
	ds_read_b64 v[2:3], v24 offset:44032
	v_mfma_f32_16x16x16_bf16 a[4:7], v[14:15], v[4:5], a[4:7]
	ds_read_b64 v[4:5], v29 offset:44032
	s_addc_u32 s11, s11, s1
	s_lshl_b64 s[0:1], s[2:3], 2
	v_mfma_f32_16x16x16_bf16 a[0:3], v[14:15], v[8:9], a[0:3]
	s_add_u32 s0, s10, s0
	s_addc_u32 s1, s11, s1
	s_load_dword s12, s[0:1], 0x0
	s_waitcnt lgkmcnt(0)
	v_mfma_f32_16x16x16_bf16 a[0:3], v[16:17], v[2:3], a[0:3]
	s_and_b64 vcc, exec, s[26:27]
	v_mfma_f32_16x16x16_bf16 a[4:7], v[16:17], v[4:5], a[4:7]
	s_cbranch_vccz .LBB304_42
; %bb.32:
	v_lshlrev_b32_e32 v20, 1, v23
	s_and_b64 vcc, exec, s[6:7]
	s_cbranch_vccz .LBB304_43
; %bb.33:
	v_cmp_gt_i32_e32 vcc, s41, v20
	v_mov_b32_e32 v6, 0
	v_mov_b32_e32 v2, 0
	;; [unrolled: 1-line block ×5, first 2 shown]
	s_and_saveexec_b64 s[0:1], vcc
	s_cbranch_execz .LBB304_35
; %bb.34:
	v_mad_i64_i32 v[2:3], s[2:3], s15, v20, 0
	v_lshl_add_u64 v[2:3], v[2:3], 1, s[4:5]
	v_lshlrev_b32_e32 v4, 1, v18
	v_mov_b32_e32 v5, 0
	v_lshl_add_u64 v[2:3], v[2:3], 0, v[4:5]
	global_load_dwordx4 v[2:5], v[2:3], off
.LBB304_35:
	s_or_b64 exec, exec, s[0:1]
	v_or_b32_e32 v21, 1, v20
	v_cmp_gt_i32_e64 s[0:1], s41, v21
	v_mov_b32_e32 v7, 0
	v_mov_b32_e32 v8, 0
	;; [unrolled: 1-line block ×3, first 2 shown]
	s_and_saveexec_b64 s[2:3], s[0:1]
	s_cbranch_execz .LBB304_37
; %bb.36:
	v_mad_i64_i32 v[6:7], s[16:17], s15, v21, 0
	v_lshl_add_u64 v[6:7], v[6:7], 1, s[4:5]
	v_lshlrev_b32_e32 v8, 1, v18
	v_mov_b32_e32 v9, 0
	v_lshl_add_u64 v[6:7], v[6:7], 0, v[8:9]
	global_load_dwordx4 v[6:9], v[6:7], off
.LBB304_37:
	s_or_b64 exec, exec, s[2:3]
	v_mov_b32_e32 v17, 0
	v_mov_b32_e32 v10, 0
	;; [unrolled: 1-line block ×5, first 2 shown]
	s_and_saveexec_b64 s[2:3], vcc
	s_cbranch_execz .LBB304_39
; %bb.38:
	v_mad_i64_i32 v[10:11], s[16:17], s15, v20, 0
	v_lshl_add_u64 v[10:11], v[10:11], 1, s[4:5]
	v_lshlrev_b32_e32 v12, 1, v18
	v_mov_b32_e32 v13, 0
	v_lshl_add_u64 v[10:11], v[10:11], 0, v[12:13]
	global_load_dwordx4 v[10:13], v[10:11], off offset:128
.LBB304_39:
	s_or_b64 exec, exec, s[2:3]
	v_mov_b32_e32 v16, 0
	v_mov_b32_e32 v15, 0
	;; [unrolled: 1-line block ×3, first 2 shown]
	s_and_saveexec_b64 s[2:3], s[0:1]
	s_cbranch_execz .LBB304_41
; %bb.40:
	v_mad_i64_i32 v[14:15], s[0:1], s15, v21, 0
	v_lshl_add_u64 v[14:15], v[14:15], 1, s[4:5]
	v_lshlrev_b32_e32 v16, 1, v18
	v_mov_b32_e32 v17, 0
	v_lshl_add_u64 v[14:15], v[14:15], 0, v[16:17]
	global_load_dwordx4 v[14:17], v[14:15], off offset:128
.LBB304_41:
	s_or_b64 exec, exec, s[2:3]
	s_branch .LBB304_45
.LBB304_42:
                                        ; implicit-def: $vgpr5
                                        ; implicit-def: $vgpr9
                                        ; implicit-def: $vgpr13
                                        ; implicit-def: $vgpr17
	v_lshrrev_b32_e32 v30, 2, v41
	s_branch .LBB304_46
.LBB304_43:
                                        ; implicit-def: $vgpr5
                                        ; implicit-def: $vgpr9
                                        ; implicit-def: $vgpr13
                                        ; implicit-def: $vgpr17
	s_cbranch_execz .LBB304_45
; %bb.44:
	s_waitcnt vmcnt(0)
	v_mad_u64_u32 v[2:3], s[0:1], v20, s15, v[18:19]
	v_lshlrev_b32_e32 v20, 1, v2
	s_lshl_b32 s2, s15, 7
	s_and_b32 s1, s5, 0xffff
	s_mov_b32 s3, 0x20000
	s_mov_b32 s0, s4
	v_add_lshl_u32 v21, v2, s15, 1
	s_movk_i32 s13, 0x80
	buffer_load_dwordx4 v[2:5], v20, s[0:3], 0 offen
	buffer_load_dwordx4 v[10:13], v20, s[0:3], s13 offen
	;; [unrolled: 1-line block ×4, first 2 shown]
.LBB304_45:
	v_lshrrev_b32_e32 v30, 2, v41
	s_cbranch_execnz .LBB304_58
.LBB304_46:
	s_and_b64 vcc, exec, s[6:7]
	s_cbranch_vccz .LBB304_56
; %bb.47:
	s_waitcnt vmcnt(0)
	v_lshlrev_b32_e32 v7, 1, v23
	v_cmp_gt_i32_e32 vcc, s41, v7
	v_mov_b32_e32 v6, 0
	v_lshlrev_b32_e32 v14, 9, v23
	v_mov_b32_e32 v2, 0
	v_mov_b32_e32 v3, 0
	;; [unrolled: 1-line block ×4, first 2 shown]
	s_and_saveexec_b64 s[0:1], vcc
	s_cbranch_execz .LBB304_49
; %bb.48:
	v_mov_b32_e32 v15, 0
	v_lshl_add_u64 v[2:3], s[4:5], 0, v[14:15]
	v_lshlrev_b32_e32 v4, 1, v18
	v_mov_b32_e32 v5, v15
	v_lshl_add_u64 v[2:3], v[2:3], 0, v[4:5]
	global_load_dwordx4 v[2:5], v[2:3], off
.LBB304_49:
	s_or_b64 exec, exec, s[0:1]
	v_or_b32_e32 v7, 1, v7
	v_cmp_gt_i32_e64 s[0:1], s41, v7
	v_lshlrev_b32_e32 v20, 8, v7
	v_mov_b32_e32 v7, 0
	v_mov_b32_e32 v8, 0
	;; [unrolled: 1-line block ×3, first 2 shown]
	s_and_saveexec_b64 s[2:3], s[0:1]
	s_cbranch_execz .LBB304_51
; %bb.50:
	v_mov_b32_e32 v21, 0
	v_lshl_add_u64 v[6:7], s[4:5], 0, v[20:21]
	v_lshlrev_b32_e32 v8, 1, v18
	v_mov_b32_e32 v9, v21
	v_lshl_add_u64 v[6:7], v[6:7], 0, v[8:9]
	global_load_dwordx4 v[6:9], v[6:7], off
.LBB304_51:
	s_or_b64 exec, exec, s[2:3]
	v_mov_b32_e32 v17, 0
	v_mov_b32_e32 v10, 0
	;; [unrolled: 1-line block ×5, first 2 shown]
	s_and_saveexec_b64 s[2:3], vcc
	s_cbranch_execz .LBB304_53
; %bb.52:
	v_mov_b32_e32 v15, 0
	v_lshl_add_u64 v[10:11], s[4:5], 0, v[14:15]
	v_lshlrev_b32_e32 v14, 1, v18
	v_lshl_add_u64 v[10:11], v[10:11], 0, v[14:15]
	global_load_dwordx4 v[10:13], v[10:11], off offset:128
.LBB304_53:
	s_or_b64 exec, exec, s[2:3]
	v_mov_b32_e32 v16, 0
	v_mov_b32_e32 v15, 0
	;; [unrolled: 1-line block ×3, first 2 shown]
	s_and_saveexec_b64 s[2:3], s[0:1]
	s_cbranch_execz .LBB304_55
; %bb.54:
	v_mov_b32_e32 v21, 0
	v_lshl_add_u64 v[14:15], s[4:5], 0, v[20:21]
	v_lshlrev_b32_e32 v20, 1, v18
	v_lshl_add_u64 v[14:15], v[14:15], 0, v[20:21]
	global_load_dwordx4 v[14:17], v[14:15], off offset:128
.LBB304_55:
	s_or_b64 exec, exec, s[2:3]
	s_branch .LBB304_58
.LBB304_56:
                                        ; implicit-def: $vgpr5
                                        ; implicit-def: $vgpr9
                                        ; implicit-def: $vgpr13
                                        ; implicit-def: $vgpr17
	s_cbranch_execz .LBB304_58
; %bb.57:
	s_waitcnt vmcnt(0)
	v_lshlrev_b32_e32 v2, 1, v18
	v_lshl_or_b32 v18, v23, 9, v2
	s_and_b32 s5, s5, 0xffff
	s_mov_b32 s7, 0x20000
	s_movk_i32 s6, 0x4000
	s_movk_i32 s0, 0x80
	buffer_load_dwordx4 v[2:5], v18, s[4:7], 0 offen
	buffer_load_dwordx4 v[6:9], v18, s[4:7], 0 offen offset:256
	buffer_load_dwordx4 v[10:13], v18, s[4:7], s0 offen
	buffer_load_dwordx4 v[14:17], v18, s[4:7], s0 offen offset:256
.LBB304_58:
	ds_read_b64 v[20:21], v25 offset:32768
	v_add_u32_e32 v18, 0xb000, v24
	ds_read2_b64 v[32:35], v18 offset1:16
	ds_read_b64 v[42:43], v26 offset:32768
	ds_read_b64 v[26:27], v27 offset:32768
	;; [unrolled: 1-line block ×3, first 2 shown]
	v_and_b32_e32 v18, 6, v0
	v_xor_b32_e32 v23, v23, v18
	v_lshlrev_b32_e32 v23, 2, v23
	v_and_b32_e32 v0, 1, v0
	v_xor_b32_e32 v28, 0x440, v23
	v_cmp_eq_u32_e32 vcc, 0, v0
	s_waitcnt lgkmcnt(3)
	v_mfma_f32_16x16x16_bf16 a[0:3], v[20:21], v[32:33], a[0:3]
	s_mov_b32 s0, 0x1000504
	v_cndmask_b32_e32 v0, v28, v23, vcc
	v_lshl_or_b32 v0, v18, 10, v0
	v_mfma_f32_16x16x16_bf16 a[4:7], v[20:21], v[34:35], a[4:7]
	ds_read2st64_b64 v[32:35], v24 offset0:90 offset1:92
	ds_read2st64_b64 v[36:39], v29 offset0:90 offset1:92
	ds_read_b64 v[20:21], v24 offset:48128
	ds_read_b64 v[24:25], v29 offset:48128
	s_waitcnt vmcnt(0)
	v_perm_b32 v18, v2, v6, s0
	s_waitcnt lgkmcnt(3)
	v_mfma_f32_16x16x16_bf16 a[0:3], v[42:43], v[32:33], a[0:3]
	s_mov_b32 s1, 0x3020706
	v_perm_b32 v2, v2, v6, s1
	v_perm_b32 v6, v10, v14, s1
	s_waitcnt lgkmcnt(2)
	v_mfma_f32_16x16x16_bf16 a[4:7], v[42:43], v[36:37], a[4:7]
	v_mfma_f32_16x16x16_bf16 a[0:3], v[26:27], v[34:35], a[0:3]
	;; [unrolled: 1-line block ×3, first 2 shown]
	s_waitcnt lgkmcnt(1)
	v_mfma_f32_16x16x16_bf16 a[4:7], v[44:45], v[20:21], a[0:3]
	v_perm_b32 v20, v10, v14, s0
	ds_write2st64_b32 v0, v18, v20 offset0:32 offset1:64
	v_xor_b32_e32 v18, 8, v0
	v_add_u32_e32 v10, 0x80, v18
	ds_write2st64_b32 v10, v2, v6 offset0:32 offset1:64
	v_xor_b32_e32 v2, 16, v0
	v_perm_b32 v6, v3, v7, s0
	v_perm_b32 v10, v11, v15, s0
	ds_write2st64_b32 v2, v6, v10 offset0:33 offset1:65
	v_xor_b32_e32 v2, 24, v0
	v_perm_b32 v3, v3, v7, s1
	v_perm_b32 v6, v11, v15, s1
	v_add_u32_e32 v2, 0x80, v2
	ds_write2st64_b32 v2, v3, v6 offset0:33 offset1:65
	v_xor_b32_e32 v2, 32, v0
	v_perm_b32 v3, v4, v8, s0
	v_perm_b32 v6, v12, v16, s0
	s_waitcnt lgkmcnt(4)
	v_mfma_f32_16x16x16_bf16 a[0:3], v[44:45], v[24:25], a[8:11]
	ds_write2st64_b32 v2, v3, v6 offset0:34 offset1:66
	v_xor_b32_e32 v2, 40, v0
	v_perm_b32 v3, v4, v8, s1
	v_perm_b32 v4, v12, v16, s1
	v_add_u32_e32 v2, 0x80, v2
	ds_write2st64_b32 v2, v3, v4 offset0:34 offset1:66
	v_xor_b32_e32 v2, 48, v0
	v_perm_b32 v3, v5, v9, s0
	v_perm_b32 v4, v13, v17, s0
	v_xor_b32_e32 v0, 56, v0
	v_and_or_b32 v18, v30, 12, v1
	ds_write2st64_b32 v2, v3, v4 offset0:35 offset1:67
	v_perm_b32 v2, v5, v9, s1
	v_perm_b32 v3, v13, v17, s1
	v_add_u32_e32 v0, 0x80, v0
	v_cmp_gt_i32_e32 vcc, s41, v18
	v_mov_b32_e32 v14, 0
	v_mov_b32_e32 v16, 0
	ds_write2st64_b32 v0, v2, v3 offset0:35 offset1:67
	s_and_saveexec_b64 s[0:1], vcc
	s_cbranch_execz .LBB304_60
; %bb.59:
	v_add_u32_e32 v0, s40, v18
	v_ashrrev_i32_e32 v1, 31, v0
	v_mul_lo_u32 v2, v1, s28
	v_mul_lo_u32 v3, v0, s29
	v_mad_u64_u32 v[0:1], s[2:3], v0, s28, 0
	v_add3_u32 v1, v1, v3, v2
	v_lshl_add_u64 v[0:1], v[0:1], 2, s[10:11]
	global_load_dword v0, v[0:1], off
	s_waitcnt vmcnt(0)
	v_sub_f32_e32 v0, s12, v0
	v_exp_f32_e32 v16, v0
.LBB304_60:
	s_or_b64 exec, exec, s[0:1]
	v_or_b32_e32 v8, 1, v18
	v_cmp_gt_i32_e64 s[0:1], s41, v8
	s_and_saveexec_b64 s[2:3], s[0:1]
	s_cbranch_execz .LBB304_62
; %bb.61:
	v_add_u32_e32 v0, s40, v8
	v_ashrrev_i32_e32 v1, 31, v0
	v_mul_lo_u32 v2, v1, s28
	v_mul_lo_u32 v3, v0, s29
	v_mad_u64_u32 v[0:1], s[4:5], v0, s28, 0
	v_add3_u32 v1, v1, v3, v2
	v_lshl_add_u64 v[0:1], v[0:1], 2, s[10:11]
	global_load_dword v0, v[0:1], off
	s_waitcnt vmcnt(0)
	v_sub_f32_e32 v0, s12, v0
	v_exp_f32_e32 v14, v0
.LBB304_62:
	s_or_b64 exec, exec, s[2:3]
	v_or_b32_e32 v10, 2, v18
	v_cmp_gt_i32_e64 s[2:3], s41, v10
	v_mov_b32_e32 v15, 0
	v_mov_b32_e32 v17, 0
	s_and_saveexec_b64 s[4:5], s[2:3]
	s_cbranch_execz .LBB304_64
; %bb.63:
	v_add_u32_e32 v0, s40, v10
	v_ashrrev_i32_e32 v1, 31, v0
	v_mul_lo_u32 v2, v1, s28
	v_mul_lo_u32 v3, v0, s29
	v_mad_u64_u32 v[0:1], s[6:7], v0, s28, 0
	v_add3_u32 v1, v1, v3, v2
	v_lshl_add_u64 v[0:1], v[0:1], 2, s[10:11]
	global_load_dword v0, v[0:1], off
	s_waitcnt vmcnt(0)
	v_sub_f32_e32 v0, s12, v0
	v_exp_f32_e32 v17, v0
.LBB304_64:
	s_or_b64 exec, exec, s[4:5]
	v_or_b32_e32 v12, 3, v18
	v_cmp_gt_i32_e64 s[4:5], s41, v12
	s_and_saveexec_b64 s[6:7], s[4:5]
	s_cbranch_execz .LBB304_66
; %bb.65:
	v_add_u32_e32 v0, s40, v12
	v_ashrrev_i32_e32 v1, 31, v0
	v_mul_lo_u32 v2, v1, s28
	v_mul_lo_u32 v3, v0, s29
	v_mad_u64_u32 v[0:1], s[14:15], v0, s28, 0
	v_add3_u32 v1, v1, v3, v2
	v_lshl_add_u64 v[0:1], v[0:1], 2, s[10:11]
	global_load_dword v0, v[0:1], off
	s_waitcnt vmcnt(0)
	v_sub_f32_e32 v0, s12, v0
	v_exp_f32_e32 v15, v0
.LBB304_66:
	s_or_b64 exec, exec, s[6:7]
	v_or_b32_e32 v4, s30, v40
	s_add_u32 s6, s8, s24
	v_accvgpr_read_b32 v0, a4
	s_addc_u32 s7, s9, s25
	v_ashrrev_i32_e32 v5, 31, v4
	v_accvgpr_read_b32 v1, a5
	v_accvgpr_read_b32 v2, a6
	;; [unrolled: 1-line block ×3, first 2 shown]
	v_lshl_add_u64 v[4:5], v[4:5], 1, s[6:7]
	v_mov_b32_e32 v9, 0
	v_lshlrev_b32_e32 v6, 8, v18
	v_mov_b32_e32 v7, 0
	s_and_saveexec_b64 s[6:7], vcc
	s_cbranch_execz .LBB304_68
; %bb.67:
	v_mov_b32_e32 v7, 0
	v_lshl_add_u64 v[20:21], v[4:5], 0, v[6:7]
	global_load_ushort v7, v[20:21], off
	s_waitcnt vmcnt(0)
	v_lshlrev_b32_e32 v7, 16, v7
	v_sub_f32_e32 v0, v7, v0
	v_mul_f32_e32 v0, v16, v0
	v_lshrrev_b32_e32 v7, 16, v0
.LBB304_68:
	s_or_b64 exec, exec, s[6:7]
	v_lshlrev_b32_e32 v8, 8, v8
	s_and_saveexec_b64 s[6:7], s[0:1]
	s_cbranch_execz .LBB304_70
; %bb.69:
	v_mov_b32_e32 v9, 0
	v_lshl_add_u64 v[20:21], v[4:5], 0, v[8:9]
	global_load_ushort v0, v[20:21], off
	s_waitcnt vmcnt(0)
	v_lshlrev_b32_e32 v0, 16, v0
	v_sub_f32_e32 v0, v0, v1
	v_mul_f32_e32 v0, v14, v0
	v_lshrrev_b32_e32 v9, 16, v0
.LBB304_70:
	s_or_b64 exec, exec, s[6:7]
	v_mov_b32_e32 v13, 0
	v_lshlrev_b32_e32 v10, 8, v10
	v_mov_b32_e32 v11, 0
	s_and_saveexec_b64 s[6:7], s[2:3]
	s_cbranch_execz .LBB304_72
; %bb.71:
	v_mov_b32_e32 v11, 0
	v_lshl_add_u64 v[0:1], v[4:5], 0, v[10:11]
	global_load_ushort v0, v[0:1], off
	s_waitcnt vmcnt(0)
	v_lshlrev_b32_e32 v0, 16, v0
	v_sub_f32_e32 v0, v0, v2
	v_mul_f32_e32 v0, v17, v0
	v_lshrrev_b32_e32 v11, 16, v0
.LBB304_72:
	s_or_b64 exec, exec, s[6:7]
	v_lshlrev_b32_e32 v12, 8, v12
	s_and_saveexec_b64 s[6:7], s[4:5]
	s_cbranch_execz .LBB304_74
; %bb.73:
	v_mov_b32_e32 v13, 0
	v_lshl_add_u64 v[0:1], v[4:5], 0, v[12:13]
	global_load_ushort v0, v[0:1], off
	s_waitcnt vmcnt(0)
	v_lshlrev_b32_e32 v0, 16, v0
	v_sub_f32_e32 v0, v0, v3
	v_mul_f32_e32 v0, v15, v0
	v_lshrrev_b32_e32 v13, 16, v0
.LBB304_74:
	s_or_b64 exec, exec, s[6:7]
	v_lshlrev_b32_e32 v18, 5, v18
	s_mov_b32 s6, 0x5040100
	v_perm_b32 v20, v9, v7, s6
	v_or_b32_e32 v7, v18, v22
	v_accvgpr_read_b32 v0, a0
	v_perm_b32 v21, v13, v11, s6
	v_lshlrev_b32_e32 v7, 1, v7
	v_accvgpr_read_b32 v1, a1
	v_accvgpr_read_b32 v2, a2
	;; [unrolled: 1-line block ×3, first 2 shown]
	ds_write_b64 v7, v[20:21] offset:45056
	v_mov_b32_e32 v9, 0
	v_mov_b32_e32 v7, 0
	s_and_saveexec_b64 s[6:7], vcc
	s_cbranch_execz .LBB304_76
; %bb.75:
	v_mov_b32_e32 v7, 0
	v_lshl_add_u64 v[6:7], v[4:5], 0, v[6:7]
	global_load_ushort v6, v[6:7], off offset:32
	s_waitcnt vmcnt(0)
	v_lshlrev_b32_e32 v6, 16, v6
	v_sub_f32_e32 v0, v6, v0
	v_mul_f32_e32 v0, v16, v0
	v_lshrrev_b32_e32 v7, 16, v0
.LBB304_76:
	s_or_b64 exec, exec, s[6:7]
	s_and_saveexec_b64 s[6:7], s[0:1]
	s_cbranch_execz .LBB304_78
; %bb.77:
	v_mov_b32_e32 v9, 0
	v_lshl_add_u64 v[8:9], v[4:5], 0, v[8:9]
	global_load_ushort v0, v[8:9], off offset:32
	s_waitcnt vmcnt(0)
	v_lshlrev_b32_e32 v0, 16, v0
	v_sub_f32_e32 v0, v0, v1
	v_mul_f32_e32 v0, v14, v0
	v_lshrrev_b32_e32 v9, 16, v0
.LBB304_78:
	s_or_b64 exec, exec, s[6:7]
	v_mov_b32_e32 v0, 0
	v_mov_b32_e32 v1, 0
	s_and_saveexec_b64 s[0:1], s[2:3]
	s_cbranch_execz .LBB304_80
; %bb.79:
	v_mov_b32_e32 v11, 0
	v_lshl_add_u64 v[10:11], v[4:5], 0, v[10:11]
	global_load_ushort v1, v[10:11], off offset:32
	s_waitcnt vmcnt(0)
	v_lshlrev_b32_e32 v1, 16, v1
	v_sub_f32_e32 v1, v1, v2
	v_mul_f32_e32 v1, v17, v1
	v_lshrrev_b32_e32 v1, 16, v1
.LBB304_80:
	s_or_b64 exec, exec, s[0:1]
	s_and_saveexec_b64 s[0:1], s[4:5]
	s_cbranch_execz .LBB304_82
; %bb.81:
	v_mov_b32_e32 v13, 0
	v_lshl_add_u64 v[4:5], v[4:5], 0, v[12:13]
	global_load_ushort v0, v[4:5], off offset:32
	s_waitcnt vmcnt(0)
	v_lshlrev_b32_e32 v0, 16, v0
	v_sub_f32_e32 v0, v0, v3
	v_mul_f32_e32 v0, v15, v0
	v_lshrrev_b32_e32 v0, 16, v0
.LBB304_82:
	s_or_b64 exec, exec, s[0:1]
	s_mov_b32 s0, 0x5040100
	v_or_b32_e32 v2, v18, v19
	v_perm_b32 v1, v0, v1, s0
	v_perm_b32 v0, v9, v7, s0
	v_lshlrev_b32_e32 v2, 1, v2
	ds_write_b64 v2, v[0:1] offset:45056
	s_waitcnt lgkmcnt(0)
	s_barrier
.LBB304_83:
	s_endpgm
	.section	.rodata,"a",@progbits
	.p2align	6, 0x0
	.amdhsa_kernel _ZN12_GLOBAL__N_139chunk_gated_delta_rule_fwd_h_hip_kernelILi32ELb0ELb0ELb0ELb0ELb1ELb0ELb1ELb1EEEvPK12hip_bfloat16S3_S3_PKfS5_PKvPS1_S8_PvPKiSB_iiiiilll
		.amdhsa_group_segment_fixed_size 49152
		.amdhsa_private_segment_fixed_size 0
		.amdhsa_kernarg_size 136
		.amdhsa_user_sgpr_count 2
		.amdhsa_user_sgpr_dispatch_ptr 0
		.amdhsa_user_sgpr_queue_ptr 0
		.amdhsa_user_sgpr_kernarg_segment_ptr 1
		.amdhsa_user_sgpr_dispatch_id 0
		.amdhsa_user_sgpr_kernarg_preload_length 0
		.amdhsa_user_sgpr_kernarg_preload_offset 0
		.amdhsa_user_sgpr_private_segment_size 0
		.amdhsa_uses_dynamic_stack 0
		.amdhsa_enable_private_segment 0
		.amdhsa_system_sgpr_workgroup_id_x 1
		.amdhsa_system_sgpr_workgroup_id_y 1
		.amdhsa_system_sgpr_workgroup_id_z 0
		.amdhsa_system_sgpr_workgroup_info 0
		.amdhsa_system_vgpr_workitem_id 0
		.amdhsa_next_free_vgpr 152
		.amdhsa_next_free_sgpr 62
		.amdhsa_accum_offset 132
		.amdhsa_reserve_vcc 1
		.amdhsa_float_round_mode_32 0
		.amdhsa_float_round_mode_16_64 0
		.amdhsa_float_denorm_mode_32 3
		.amdhsa_float_denorm_mode_16_64 3
		.amdhsa_dx10_clamp 1
		.amdhsa_ieee_mode 1
		.amdhsa_fp16_overflow 0
		.amdhsa_tg_split 0
		.amdhsa_exception_fp_ieee_invalid_op 0
		.amdhsa_exception_fp_denorm_src 0
		.amdhsa_exception_fp_ieee_div_zero 0
		.amdhsa_exception_fp_ieee_overflow 0
		.amdhsa_exception_fp_ieee_underflow 0
		.amdhsa_exception_fp_ieee_inexact 0
		.amdhsa_exception_int_div_zero 0
	.end_amdhsa_kernel
	.section	.text._ZN12_GLOBAL__N_139chunk_gated_delta_rule_fwd_h_hip_kernelILi32ELb0ELb0ELb0ELb0ELb1ELb0ELb1ELb1EEEvPK12hip_bfloat16S3_S3_PKfS5_PKvPS1_S8_PvPKiSB_iiiiilll,"axG",@progbits,_ZN12_GLOBAL__N_139chunk_gated_delta_rule_fwd_h_hip_kernelILi32ELb0ELb0ELb0ELb0ELb1ELb0ELb1ELb1EEEvPK12hip_bfloat16S3_S3_PKfS5_PKvPS1_S8_PvPKiSB_iiiiilll,comdat
.Lfunc_end304:
	.size	_ZN12_GLOBAL__N_139chunk_gated_delta_rule_fwd_h_hip_kernelILi32ELb0ELb0ELb0ELb0ELb1ELb0ELb1ELb1EEEvPK12hip_bfloat16S3_S3_PKfS5_PKvPS1_S8_PvPKiSB_iiiiilll, .Lfunc_end304-_ZN12_GLOBAL__N_139chunk_gated_delta_rule_fwd_h_hip_kernelILi32ELb0ELb0ELb0ELb0ELb1ELb0ELb1ELb1EEEvPK12hip_bfloat16S3_S3_PKfS5_PKvPS1_S8_PvPKiSB_iiiiilll
                                        ; -- End function
	.section	.AMDGPU.csdata,"",@progbits
; Kernel info:
; codeLenInByte = 8432
; NumSgprs: 68
; NumVgprs: 130
; NumAgprs: 20
; TotalNumVgprs: 152
; ScratchSize: 0
; MemoryBound: 0
; FloatMode: 240
; IeeeMode: 1
; LDSByteSize: 49152 bytes/workgroup (compile time only)
; SGPRBlocks: 8
; VGPRBlocks: 18
; NumSGPRsForWavesPerEU: 68
; NumVGPRsForWavesPerEU: 152
; AccumOffset: 132
; Occupancy: 1
; WaveLimiterHint : 1
; COMPUTE_PGM_RSRC2:SCRATCH_EN: 0
; COMPUTE_PGM_RSRC2:USER_SGPR: 2
; COMPUTE_PGM_RSRC2:TRAP_HANDLER: 0
; COMPUTE_PGM_RSRC2:TGID_X_EN: 1
; COMPUTE_PGM_RSRC2:TGID_Y_EN: 1
; COMPUTE_PGM_RSRC2:TGID_Z_EN: 0
; COMPUTE_PGM_RSRC2:TIDIG_COMP_CNT: 0
; COMPUTE_PGM_RSRC3_GFX90A:ACCUM_OFFSET: 32
; COMPUTE_PGM_RSRC3_GFX90A:TG_SPLIT: 0
	.section	.text._ZN12_GLOBAL__N_139chunk_gated_delta_rule_fwd_h_hip_kernelILi32ELb1ELb1ELb1ELb1ELb1ELb0ELb0ELb1EEEvPK12hip_bfloat16S3_S3_PKfS5_PKvPS1_S8_PvPKiSB_iiiiilll,"axG",@progbits,_ZN12_GLOBAL__N_139chunk_gated_delta_rule_fwd_h_hip_kernelILi32ELb1ELb1ELb1ELb1ELb1ELb0ELb0ELb1EEEvPK12hip_bfloat16S3_S3_PKfS5_PKvPS1_S8_PvPKiSB_iiiiilll,comdat
	.globl	_ZN12_GLOBAL__N_139chunk_gated_delta_rule_fwd_h_hip_kernelILi32ELb1ELb1ELb1ELb1ELb1ELb0ELb0ELb1EEEvPK12hip_bfloat16S3_S3_PKfS5_PKvPS1_S8_PvPKiSB_iiiiilll ; -- Begin function _ZN12_GLOBAL__N_139chunk_gated_delta_rule_fwd_h_hip_kernelILi32ELb1ELb1ELb1ELb1ELb1ELb0ELb0ELb1EEEvPK12hip_bfloat16S3_S3_PKfS5_PKvPS1_S8_PvPKiSB_iiiiilll
	.p2align	8
	.type	_ZN12_GLOBAL__N_139chunk_gated_delta_rule_fwd_h_hip_kernelILi32ELb1ELb1ELb1ELb1ELb1ELb0ELb0ELb1EEEvPK12hip_bfloat16S3_S3_PKfS5_PKvPS1_S8_PvPKiSB_iiiiilll,@function
_ZN12_GLOBAL__N_139chunk_gated_delta_rule_fwd_h_hip_kernelILi32ELb1ELb1ELb1ELb1ELb1ELb0ELb0ELb1EEEvPK12hip_bfloat16S3_S3_PKfS5_PKvPS1_S8_PvPKiSB_iiiiilll: ; @_ZN12_GLOBAL__N_139chunk_gated_delta_rule_fwd_h_hip_kernelILi32ELb1ELb1ELb1ELb1ELb1ELb0ELb0ELb1EEEvPK12hip_bfloat16S3_S3_PKfS5_PKvPS1_S8_PvPKiSB_iiiiilll
; %bb.0:
	s_load_dwordx4 s[20:23], s[0:1], 0x5c
	s_load_dwordx4 s[4:7], s[0:1], 0x48
	s_abs_i32 s9, s3
	s_ashr_i32 s8, s3, 31
	v_and_b32_e32 v68, 15, v0
	s_waitcnt lgkmcnt(0)
	s_abs_i32 s10, s21
	v_cvt_f32_u32_e32 v1, s10
	s_sub_i32 s12, 0, s10
	s_ashr_i32 s11, s21, 31
	s_xor_b32 s8, s8, s11
	v_rcp_iflag_f32_e32 v1, v1
	v_bfe_u32 v67, v0, 4, 2
	v_mov_b32_e32 v51, 0
	v_lshlrev_b32_e32 v69, 3, v0
	v_mul_f32_e32 v1, 0x4f7ffffe, v1
	v_cvt_u32_f32_e32 v1, v1
	s_nop 0
	v_readfirstlane_b32 s13, v1
	s_mul_i32 s12, s12, s13
	s_mul_hi_u32 s12, s13, s12
	s_add_i32 s13, s13, s12
	s_mul_hi_u32 s12, s9, s13
	s_mul_i32 s13, s12, s10
	s_sub_i32 s9, s9, s13
	s_add_i32 s14, s12, 1
	s_sub_i32 s13, s9, s10
	s_cmp_ge_u32 s9, s10
	s_cselect_b32 s12, s14, s12
	s_cselect_b32 s9, s13, s9
	s_add_i32 s13, s12, 1
	s_cmp_ge_u32 s9, s10
	s_cselect_b32 s9, s13, s12
	s_xor_b32 s9, s9, s8
	s_sub_i32 s28, s9, s8
	s_mul_i32 s12, s28, s21
	s_ashr_i32 s29, s28, 31
	s_sub_i32 s51, s3, s12
	s_lshl_b64 s[8:9], s[28:29], 2
	s_add_u32 s4, s4, s8
	s_addc_u32 s5, s5, s9
	s_add_u32 s30, s6, s8
	s_addc_u32 s31, s7, s9
	s_abs_i32 s3, s22
	v_cvt_f32_u32_e32 v1, s3
	s_load_dwordx2 s[38:39], s[4:5], 0x0
	s_sub_i32 s5, 0, s3
	s_lshl_b32 s2, s2, 5
	v_rcp_iflag_f32_e32 v1, v1
	v_or_b32_e32 v56, s2, v68
	s_waitcnt lgkmcnt(0)
	s_sub_i32 s54, s39, s38
	s_ashr_i32 s4, s54, 31
	v_mul_f32_e32 v1, 0x4f7ffffe, v1
	v_cvt_u32_f32_e32 v1, v1
	s_lshr_b32 s4, s4, 26
	s_add_i32 s4, s54, s4
	s_ashr_i32 s52, s4, 6
	v_readfirstlane_b32 s6, v1
	s_mul_i32 s5, s5, s6
	s_mul_hi_u32 s5, s6, s5
	s_add_i32 s6, s6, s5
	s_mul_hi_u32 s5, s10, s6
	s_mul_i32 s6, s5, s3
	s_ashr_i32 s4, s22, 31
	s_sub_i32 s6, s10, s6
	s_xor_b32 s4, s11, s4
	s_add_i32 s7, s5, 1
	s_sub_i32 s8, s6, s3
	s_cmp_ge_u32 s6, s3
	s_cselect_b32 s5, s7, s5
	s_cselect_b32 s6, s8, s6
	s_add_i32 s7, s5, 1
	s_cmp_ge_u32 s6, s3
	s_cselect_b32 s3, s7, s5
	s_xor_b32 s3, s3, s4
	s_sub_i32 s3, s3, s4
	s_abs_i32 s13, s3
	v_cvt_f32_u32_e32 v1, s13
	s_sub_i32 s15, 0, s13
	s_abs_i32 s14, s51
	s_xor_b32 s3, s51, s3
	v_rcp_iflag_f32_e32 v2, v1
	s_ashr_i32 s3, s3, 31
	s_load_dwordx8 s[4:11], s[0:1], 0x28
	v_lshrrev_b32_e32 v1, 6, v0
	v_mul_f32_e32 v2, 0x4f7ffffe, v2
	v_cvt_u32_f32_e32 v2, v2
	v_lshlrev_b32_e32 v52, 7, v56
	v_lshlrev_b32_e32 v66, 4, v1
	v_or_b32_e32 v54, 0x800, v52
	v_readfirstlane_b32 s16, v2
	s_mul_i32 s15, s15, s16
	s_mul_hi_u32 s15, s16, s15
	s_add_i32 s16, s16, s15
	s_mul_hi_u32 s15, s14, s16
	s_mul_i32 s16, s15, s13
	s_sub_i32 s14, s14, s16
	s_add_i32 s16, s15, 1
	s_sub_i32 s17, s14, s13
	s_cmp_ge_u32 s14, s13
	s_cselect_b32 s15, s16, s15
	s_cselect_b32 s14, s17, s14
	s_add_i32 s16, s15, 1
	s_cmp_ge_u32 s14, s13
	s_cselect_b32 s13, s16, s15
	s_xor_b32 s13, s13, s3
	s_sub_i32 s55, s13, s3
	s_ashr_i32 s53, s51, 31
	s_mul_hi_i32 s3, s28, s21
	s_add_u32 s12, s12, s51
	s_addc_u32 s13, s3, s53
	s_lshl_b64 s[34:35], s[12:13], 15
	s_waitcnt lgkmcnt(0)
	s_add_u32 s4, s4, s34
	v_lshl_or_b32 v71, v67, 2, v66
	s_addc_u32 s5, s5, s35
	v_ashrrev_i32_e32 v53, 31, v52
	v_ashrrev_i32_e32 v55, 31, v54
	v_lshl_add_u64 v[2:3], v[52:53], 1, s[4:5]
	v_lshlrev_b32_e32 v50, 1, v71
	v_lshl_add_u64 v[6:7], v[54:55], 1, s[4:5]
	v_lshl_add_u64 v[2:3], v[2:3], 0, v[50:51]
	;; [unrolled: 1-line block ×3, first 2 shown]
	global_load_dwordx2 v[4:5], v[2:3], off
	v_and_b32_e32 v51, 63, v0
	global_load_dwordx2 v[2:3], v[2:3], off offset:128
	s_nop 0
	global_load_dwordx2 v[8:9], v[6:7], off
	global_load_dwordx2 v[10:11], v[6:7], off offset:128
	s_load_dwordx8 s[12:19], s[0:1], 0x0
	s_load_dwordx2 s[36:37], s[0:1], 0x80
	s_load_dwordx4 s[24:27], s[0:1], 0x70
	s_load_dword s58, s[30:31], 0x0
	v_lshrrev_b32_e32 v70, 3, v51
	v_or_b32_e32 v72, 64, v71
	s_mul_hi_i32 s56, s51, s20
	s_waitcnt lgkmcnt(0)
	s_mul_i32 s33, s28, s25
	s_mul_hi_u32 s46, s28, s24
	s_mul_i32 s40, s28, s24
	s_mul_i32 s47, s29, s24
	;; [unrolled: 1-line block ×4, first 2 shown]
	s_mul_hi_u32 s49, s51, s26
	s_mul_i32 s50, s53, s26
	s_cmp_lt_i32 s54, 64
	s_mul_i32 s42, s51, s26
	s_waitcnt vmcnt(3)
	v_and_b32_e32 v19, 0xffff0000, v4
	v_lshlrev_b32_e32 v18, 16, v4
	v_and_b32_e32 v21, 0xffff0000, v5
	v_lshlrev_b32_e32 v20, 16, v5
	s_waitcnt vmcnt(2)
	v_and_b32_e32 v23, 0xffff0000, v2
	v_lshlrev_b32_e32 v22, 16, v2
	v_and_b32_e32 v25, 0xffff0000, v3
	v_lshlrev_b32_e32 v24, 16, v3
	;; [unrolled: 5-line block ×4, first 2 shown]
	s_cbranch_scc1 .LBB305_3
; %bb.1:
	s_ashr_i32 s1, s38, 31
	s_add_u32 s0, s57, s38
	s_addc_u32 s1, s56, s1
	s_lshl_b64 s[0:1], s[0:1], 8
	v_and_b32_e32 v74, 56, v69
	s_add_u32 s24, s14, s0
	v_lshl_or_b32 v73, v1, 3, v70
	v_lshlrev_b32_e32 v2, 1, v74
	s_addc_u32 s0, s15, s1
	v_lshl_or_b32 v75, v73, 8, v2
	s_and_b32 s25, s0, 0xffff
	s_mov_b32 s27, 0x20000
	s_movk_i32 s26, 0x4000
	s_movk_i32 s0, 0x80
	v_or_b32_e32 v76, 0x2000, v75
	buffer_load_dwordx4 v[4:7], v75, s[24:27], 0 offen
	buffer_load_dwordx4 v[8:11], v75, s[24:27], s0 offen
	buffer_load_dwordx4 v[12:15], v76, s[24:27], 0 offen
	buffer_load_dwordx4 v[34:37], v76, s[24:27], s0 offen
	v_lshlrev_b32_e32 v3, 3, v73
	v_and_or_b32 v17, v0, 7, v3
	v_and_b32_e32 v3, 0x78, v3
	v_lshlrev_b32_e32 v17, 4, v17
	v_xor_b32_e32 v77, v17, v3
	v_mul_lo_u32 v16, v73, s23
	v_or_b32_e32 v78, 0x1000, v77
	v_xor_b32_e32 v3, 8, v77
	s_cmpk_eq_i32 s23, 0x80
	s_mov_b32 s59, s38
	v_xor_b32_e32 v17, 8, v78
	s_cselect_b64 s[0:1], -1, 0
	s_cmpk_lg_i32 s23, 0x80
	s_waitcnt vmcnt(3)
	ds_write_b64 v77, v[4:5] offset:24576
	ds_write_b64 v3, v[6:7] offset:24576
	s_waitcnt vmcnt(2)
	ds_write_b64 v77, v[8:9] offset:32768
	ds_write_b64 v3, v[10:11] offset:32768
	;; [unrolled: 3-line block ×4, first 2 shown]
	v_lshl_add_u32 v3, v16, 1, v74
	s_cbranch_scc0 .LBB305_29
; %bb.2:
	v_lshlrev_b32_e32 v5, 1, v3
	v_add_lshl_u32 v4, v3, s23, 1
	s_lshl_b32 s26, s23, 7
	v_lshl_or_b32 v2, v73, 9, v2
	s_cbranch_execz .LBB305_30
	s_branch .LBB305_31
.LBB305_3:
	v_mov_b64_e32 v[2:3], v[18:19]
	v_mov_b64_e32 v[4:5], v[20:21]
	v_mov_b64_e32 v[6:7], v[22:23]
	v_mov_b64_e32 v[8:9], v[24:25]
	v_mov_b64_e32 v[10:11], v[26:27]
	v_mov_b64_e32 v[12:13], v[28:29]
	v_mov_b64_e32 v[14:15], v[30:31]
	v_mov_b64_e32 v[16:17], v[32:33]
.LBB305_4:
	s_lshl_b32 s30, s52, 6
	s_sub_i32 s31, s54, s30
	s_cmp_gt_i32 s31, 0
	s_cbranch_scc0 .LBB305_83
; %bb.5:
	s_add_i32 s30, s30, s38
	s_ashr_i32 s3, s30, 31
	s_cmpk_lg_i32 s23, 0x80
	s_cselect_b64 s[26:27], -1, 0
	s_and_b64 vcc, exec, s[26:27]
	s_cbranch_vccz .LBB305_7
; %bb.6:
	s_mul_i32 s1, s30, s22
	s_ashr_i32 s4, s55, 31
	s_mul_hi_i32 s0, s30, s22
	s_add_u32 s28, s1, s55
	s_addc_u32 s29, s0, s4
	s_cbranch_execz .LBB305_8
	s_branch .LBB305_9
.LBB305_7:
                                        ; implicit-def: $sgpr28_sgpr29
.LBB305_8:
	s_mul_i32 s1, s55, s20
	s_mul_hi_i32 s0, s55, s20
	s_add_u32 s28, s1, s30
	s_addc_u32 s29, s0, s3
.LBB305_9:
	s_add_i32 s4, s52, s58
	s_add_u32 s0, s57, s30
	v_lshlrev_b32_e32 v22, 5, v71
	v_lshlrev_b32_e32 v38, 2, v68
	s_addc_u32 s1, s56, s3
	s_mov_b32 s3, 0x7060302
	v_or_b32_e32 v25, v22, v38
	v_xor_b32_e32 v23, v71, v38
	v_perm_b32 v19, v5, v4, s3
	v_perm_b32 v18, v3, v2, s3
	;; [unrolled: 1-line block ×4, first 2 shown]
	v_lshlrev_b32_e32 v25, 1, v25
	v_xor_b32_e32 v24, v72, v38
	ds_write2st64_b64 v25, v[18:19], v[20:21] offset0:80 offset1:88
	v_lshlrev_b32_e32 v23, 1, v23
	v_lshlrev_b32_e32 v25, 8, v68
	s_lshl_b64 s[24:25], s[0:1], 8
	v_or_b32_e32 v26, v23, v25
	v_lshlrev_b32_e32 v24, 1, v24
	s_add_u32 s0, s14, s24
	ds_write_b64 v26, v[18:19]
	v_or_b32_e32 v18, v24, v25
	s_addc_u32 s1, s15, s25
	ds_write_b64 v18, v[20:21]
	v_perm_b32 v19, v13, v12, s3
	v_perm_b32 v18, v11, v10, s3
	;; [unrolled: 1-line block ×4, first 2 shown]
	v_or_b32_e32 v25, 16, v68
	s_mul_hi_i32 s3, s4, s21
	s_mul_i32 s4, s4, s21
	v_lshlrev_b32_e32 v35, 2, v25
	s_add_u32 s4, s4, s51
	v_or_b32_e32 v22, v22, v35
	s_addc_u32 s5, s3, s53
	v_lshlrev_b32_e32 v22, 1, v22
	s_ashr_i32 s3, s2, 31
	s_lshl_b64 s[4:5], s[4:5], 15
	ds_write2st64_b64 v22, v[18:19], v[20:21] offset0:80 offset1:88
	v_lshlrev_b32_e32 v22, 8, v25
	s_add_u32 s4, s6, s4
	v_or_b32_e32 v23, v23, v22
	s_addc_u32 s5, s7, s5
	s_lshl_b64 s[2:3], s[2:3], 8
	ds_write_b64 v23, v[18:19]
	v_or_b32_e32 v18, v24, v22
	s_add_u32 s2, s4, s2
	ds_write_b64 v18, v[20:21]
	v_lshrrev_b32_e32 v18, 4, v0
	s_addc_u32 s3, s5, s3
	v_lshlrev_b32_e32 v19, 1, v68
	v_lshlrev_b32_e32 v26, 4, v68
	v_mov_b32_e32 v27, 0
	v_or_b32_e32 v20, 1, v19
	v_xor_b32_e32 v19, v18, v19
	v_lshl_add_u64 v[28:29], s[2:3], 0, v[26:27]
	v_lshlrev_b32_e32 v26, 8, v18
	v_xor_b32_e32 v22, v20, v18
	v_lshl_or_b32 v18, v19, 3, v26
	s_waitcnt lgkmcnt(0)
	s_barrier
	ds_read2st64_b64 v[18:21], v18 offset1:8
	v_lshl_or_b32 v22, v22, 3, v26
	ds_read2st64_b64 v[22:25], v22 offset1:8
	v_lshl_add_u64 v[30:31], v[28:29], 0, v[26:27]
	s_movk_i32 s2, 0x1000
	s_waitcnt lgkmcnt(1)
	v_mov_b32_e32 v26, v18
	v_add_co_u32_e32 v18, vcc, s2, v30
	s_cmp_lg_u32 s31, 64
	v_mov_b32_e32 v27, v19
	v_addc_co_u32_e32 v19, vcc, 0, v31, vcc
	s_cselect_b64 s[14:15], -1, 0
	v_lshl_or_b32 v42, v1, 3, v70
	s_waitcnt lgkmcnt(0)
	v_mov_b32_e32 v28, v22
	v_mov_b32_e32 v29, v23
	;; [unrolled: 1-line block ×4, first 2 shown]
	s_mov_b32 s4, 0
	v_or_b32_e32 v36, 32, v42
	v_and_b32_e32 v34, 56, v69
	s_and_b64 vcc, exec, s[14:15]
	global_store_dwordx4 v[30:31], v[26:29], off
	global_store_dwordx4 v[18:19], v[22:25], off
	s_cbranch_vccz .LBB305_15
; %bb.10:
	s_mov_b32 s6, s4
	s_mov_b32 s7, s4
	;; [unrolled: 1-line block ×3, first 2 shown]
	v_mov_b64_e32 v[24:25], s[6:7]
	v_mov_b64_e32 v[22:23], s[4:5]
	;; [unrolled: 1-line block ×3, first 2 shown]
	v_cmp_gt_i32_e32 vcc, s31, v42
	v_mov_b64_e32 v[20:21], v[24:25]
	s_and_saveexec_b64 s[2:3], vcc
	s_cbranch_execz .LBB305_12
; %bb.11:
	v_lshlrev_b32_e32 v18, 8, v42
	v_mov_b32_e32 v19, 0
	v_lshl_add_u64 v[20:21], s[0:1], 0, v[18:19]
	v_lshlrev_b32_e32 v18, 1, v34
	v_lshl_add_u64 v[26:27], v[20:21], 0, v[18:19]
	global_load_dwordx4 v[22:25], v[26:27], off
	global_load_dwordx4 v[18:21], v[26:27], off offset:128
.LBB305_12:
	s_or_b64 exec, exec, s[2:3]
	s_mov_b32 s6, s4
	s_mov_b32 s7, s4
	;; [unrolled: 1-line block ×3, first 2 shown]
	v_mov_b64_e32 v[32:33], s[6:7]
	v_mov_b64_e32 v[30:31], s[4:5]
	;; [unrolled: 1-line block ×3, first 2 shown]
	v_cmp_gt_i32_e32 vcc, s31, v36
	v_lshlrev_b32_e32 v37, 7, v36
	v_mov_b64_e32 v[28:29], v[32:33]
	s_and_saveexec_b64 s[2:3], vcc
	s_cbranch_execz .LBB305_14
; %bb.13:
	v_lshlrev_b32_e32 v26, 1, v37
	v_mov_b32_e32 v27, 0
	v_lshl_add_u64 v[28:29], s[0:1], 0, v[26:27]
	v_lshlrev_b32_e32 v26, 1, v34
	v_lshl_add_u64 v[40:41], v[28:29], 0, v[26:27]
	global_load_dwordx4 v[30:33], v[40:41], off
	global_load_dwordx4 v[26:29], v[40:41], off offset:128
.LBB305_14:
	s_or_b64 exec, exec, s[2:3]
	v_lshrrev_b32_e32 v39, 3, v34
	v_lshlrev_b32_e32 v40, 3, v42
	v_or_b32_e32 v39, v40, v39
	v_lshlrev_b32_e32 v39, 4, v39
	v_and_b32_e32 v40, 0x78, v40
	v_xor_b32_e32 v39, v39, v40
	s_branch .LBB305_17
.LBB305_15:
                                        ; implicit-def: $vgpr39
                                        ; implicit-def: $vgpr37
                                        ; implicit-def: $vgpr22_vgpr23_vgpr24_vgpr25
                                        ; implicit-def: $vgpr18_vgpr19_vgpr20_vgpr21
                                        ; implicit-def: $vgpr30_vgpr31_vgpr32_vgpr33
                                        ; implicit-def: $vgpr26_vgpr27_vgpr28_vgpr29
	s_cbranch_execz .LBB305_17
; %bb.16:
	s_waitcnt vmcnt(0)
	v_lshlrev_b32_e32 v18, 1, v34
	v_lshl_or_b32 v37, v42, 8, v18
	s_and_b32 s1, s1, 0xffff
	s_mov_b32 s3, 0x20000
	s_movk_i32 s2, 0x4000
	v_lshl_or_b32 v39, v36, 8, v18
	s_movk_i32 s4, 0x80
	buffer_load_dwordx4 v[22:25], v37, s[0:3], 0 offen
	buffer_load_dwordx4 v[18:21], v37, s[0:3], s4 offen
	;; [unrolled: 1-line block ×4, first 2 shown]
	v_lshrrev_b32_e32 v37, 3, v34
	v_lshlrev_b32_e32 v39, 3, v42
	v_or_b32_e32 v37, v39, v37
	v_lshlrev_b32_e32 v37, 4, v37
	v_and_b32_e32 v39, 0x78, v39
	v_xor_b32_e32 v39, v37, v39
	v_lshlrev_b32_e32 v37, 7, v36
.LBB305_17:
	s_lshl_b64 s[0:1], s[28:29], 8
	s_add_u32 s4, s12, s0
	s_movk_i32 s0, 0x1000
	v_and_or_b32 v36, v37, s0, v39
	s_waitcnt vmcnt(1)
	ds_write_b64 v39, v[22:23] offset:24576
	v_xor_b32_e32 v22, 8, v39
	ds_write_b64 v22, v[24:25] offset:24576
	s_waitcnt vmcnt(0)
	ds_write_b64 v39, v[18:19] offset:32768
	ds_write_b64 v22, v[20:21] offset:32768
	;; [unrolled: 1-line block ×3, first 2 shown]
	v_xor_b32_e32 v18, 8, v36
	ds_write_b64 v18, v[32:33] offset:24576
	ds_write_b64 v36, v[26:27] offset:32768
	;; [unrolled: 1-line block ×3, first 2 shown]
	v_or_b32_e32 v18, v66, v68
	v_lshlrev_b32_e32 v18, 3, v18
	v_lshrrev_b32_e32 v19, 5, v51
	s_movk_i32 s3, 0xf8
	v_and_or_b32 v19, v18, s3, v19
	v_lshlrev_b32_e32 v23, 4, v19
	v_lshlrev_b32_e32 v39, 11, v1
	v_and_b32_e32 v24, 0x78, v18
	v_or_b32_e32 v26, 32, v23
	v_and_b32_e32 v22, 0x1000, v39
	v_lshrrev_b32_e32 v19, 1, v51
	v_xor_b32_e32 v26, v26, v24
	v_xor_b32_e32 v18, v23, v24
	v_and_b32_e32 v25, 8, v19
	v_or_b32_e32 v26, v26, v22
	v_or_b32_e32 v18, v18, v22
	v_xor_b32_e32 v44, v26, v25
	v_or_b32_e32 v26, 64, v23
	v_xor_b32_e32 v43, v18, v25
	v_xor_b32_e32 v26, v26, v24
	s_waitcnt lgkmcnt(0)
	s_barrier
	v_or_b32_e32 v28, v26, v22
	ds_read_b64 v[26:27], v43 offset:24576
	v_lshl_or_b32 v36, v67, 7, v38
	v_lshlrev_b32_e32 v40, 1, v36
	v_add_u32_e32 v18, 0xa000, v40
	ds_read2_b64 v[18:21], v18 offset1:16
	v_or_b32_e32 v23, 0x60, v23
	v_xor_b32_e32 v23, v23, v24
	s_waitcnt lgkmcnt(0)
	v_mfma_f32_16x16x16_bf16 a[0:3], v[26:27], v[18:19], 0
	v_or_b32_e32 v18, 64, v36
	v_or_b32_e32 v22, v23, v22
	v_lshlrev_b32_e32 v41, 1, v18
	v_xor_b32_e32 v45, v28, v25
	v_xor_b32_e32 v46, v22, v25
	ds_read_b64 v[28:29], v44 offset:24576
	ds_read_b64 v[30:31], v45 offset:24576
	ds_read_b64 v[32:33], v46 offset:24576
	v_mfma_f32_16x16x16_bf16 a[4:7], v[26:27], v[20:21], 0
	ds_read2st64_b64 v[18:21], v41 offset0:82 offset1:84
	ds_read2st64_b64 v[22:25], v40 offset0:82 offset1:84
	s_addc_u32 s5, s13, s1
	s_add_i32 s1, s46, s33
	s_add_i32 s0, s39, -1
	s_add_i32 s41, s1, s47
	s_add_i32 s1, s49, s48
	;; [unrolled: 1-line block ×3, first 2 shown]
	s_ashr_i32 s1, s0, 31
	s_mul_i32 s2, s0, s37
	s_mul_hi_u32 s3, s0, s36
	s_add_i32 s2, s3, s2
	s_mul_i32 s1, s1, s36
	s_waitcnt lgkmcnt(1)
	v_mfma_f32_16x16x16_bf16 a[4:7], v[28:29], v[18:19], a[4:7]
	s_add_i32 s1, s2, s1
	s_lshl_b64 s[2:3], s[40:41], 2
	s_add_u32 s6, s18, s2
	s_waitcnt lgkmcnt(0)
	v_mfma_f32_16x16x16_bf16 a[0:3], v[28:29], v[22:23], a[0:3]
	s_addc_u32 s7, s19, s3
	s_lshl_b64 s[2:3], s[42:43], 2
	s_mul_i32 s0, s0, s36
	s_add_u32 s12, s6, s2
	ds_read_b64 v[18:19], v40 offset:44032
	v_mfma_f32_16x16x16_bf16 a[4:7], v[30:31], v[20:21], a[4:7]
	ds_read_b64 v[20:21], v41 offset:44032
	s_addc_u32 s13, s7, s3
	s_lshl_b64 s[0:1], s[0:1], 2
	v_mfma_f32_16x16x16_bf16 a[0:3], v[30:31], v[24:25], a[0:3]
	s_add_u32 s0, s12, s0
	s_addc_u32 s1, s13, s1
	s_load_dword s18, s[0:1], 0x0
	s_waitcnt lgkmcnt(0)
	v_mfma_f32_16x16x16_bf16 a[0:3], v[32:33], v[18:19], a[0:3]
	s_and_b64 vcc, exec, s[26:27]
	v_mfma_f32_16x16x16_bf16 a[4:7], v[32:33], v[20:21], a[4:7]
	s_cbranch_vccz .LBB305_28
; %bb.18:
	v_lshlrev_b32_e32 v36, 1, v42
	s_and_b64 vcc, exec, s[14:15]
	s_cbranch_vccz .LBB305_43
; %bb.19:
	v_cmp_gt_i32_e32 vcc, s31, v36
	v_mov_b32_e32 v22, 0
	v_mov_b32_e32 v18, 0
	;; [unrolled: 1-line block ×5, first 2 shown]
	s_and_saveexec_b64 s[0:1], vcc
	s_cbranch_execz .LBB305_21
; %bb.20:
	v_mad_i64_i32 v[18:19], s[2:3], s23, v36, 0
	v_lshl_add_u64 v[18:19], v[18:19], 1, s[4:5]
	v_lshlrev_b32_e32 v20, 1, v34
	v_mov_b32_e32 v21, 0
	v_lshl_add_u64 v[18:19], v[18:19], 0, v[20:21]
	global_load_dwordx4 v[18:21], v[18:19], off
.LBB305_21:
	s_or_b64 exec, exec, s[0:1]
	v_or_b32_e32 v37, 1, v36
	v_cmp_gt_i32_e64 s[0:1], s31, v37
	v_mov_b32_e32 v23, 0
	v_mov_b32_e32 v24, 0
	;; [unrolled: 1-line block ×3, first 2 shown]
	s_and_saveexec_b64 s[2:3], s[0:1]
	s_cbranch_execz .LBB305_23
; %bb.22:
	v_mad_i64_i32 v[22:23], s[6:7], s23, v37, 0
	v_lshl_add_u64 v[22:23], v[22:23], 1, s[4:5]
	v_lshlrev_b32_e32 v24, 1, v34
	v_mov_b32_e32 v25, 0
	v_lshl_add_u64 v[22:23], v[22:23], 0, v[24:25]
	global_load_dwordx4 v[22:25], v[22:23], off
.LBB305_23:
	s_or_b64 exec, exec, s[2:3]
	v_mov_b32_e32 v33, 0
	v_mov_b32_e32 v26, 0
	;; [unrolled: 1-line block ×5, first 2 shown]
	s_and_saveexec_b64 s[2:3], vcc
	s_cbranch_execz .LBB305_25
; %bb.24:
	v_mad_i64_i32 v[26:27], s[6:7], s23, v36, 0
	v_lshl_add_u64 v[26:27], v[26:27], 1, s[4:5]
	v_lshlrev_b32_e32 v28, 1, v34
	v_mov_b32_e32 v29, 0
	v_lshl_add_u64 v[26:27], v[26:27], 0, v[28:29]
	global_load_dwordx4 v[26:29], v[26:27], off offset:128
.LBB305_25:
	s_or_b64 exec, exec, s[2:3]
	v_mov_b32_e32 v32, 0
	v_mov_b32_e32 v31, 0
	v_mov_b32_e32 v30, 0
	s_and_saveexec_b64 s[2:3], s[0:1]
	s_cbranch_execz .LBB305_27
; %bb.26:
	v_mad_i64_i32 v[30:31], s[0:1], s23, v37, 0
	v_lshl_add_u64 v[30:31], v[30:31], 1, s[4:5]
	v_lshlrev_b32_e32 v32, 1, v34
	v_mov_b32_e32 v33, 0
	v_lshl_add_u64 v[30:31], v[30:31], 0, v[32:33]
	global_load_dwordx4 v[30:33], v[30:31], off offset:128
.LBB305_27:
	s_or_b64 exec, exec, s[2:3]
	s_branch .LBB305_45
.LBB305_28:
                                        ; implicit-def: $vgpr21
                                        ; implicit-def: $vgpr25
                                        ; implicit-def: $vgpr29
                                        ; implicit-def: $vgpr33
	v_lshrrev_b32_e32 v47, 2, v51
	s_branch .LBB305_46
.LBB305_29:
                                        ; implicit-def: $vgpr4
                                        ; implicit-def: $vgpr5
                                        ; implicit-def: $sgpr26
	v_lshl_or_b32 v2, v73, 9, v2
.LBB305_30:
	v_or_b32_e32 v4, 0x100, v2
	s_movk_i32 s26, 0x4000
	v_mov_b32_e32 v5, v2
.LBB305_31:
	s_mul_i32 s4, s38, s22
	s_ashr_i32 s60, s55, 31
	s_mul_hi_i32 s3, s38, s22
	s_add_u32 s4, s4, s55
	s_addc_u32 s5, s3, s60
	s_lshl_b64 s[4:5], s[4:5], 8
	s_add_u32 s24, s12, s4
	s_addc_u32 s3, s13, s5
	s_and_b32 s25, s3, 0xffff
	s_movk_i32 s61, 0x80
	buffer_load_dwordx4 v[6:9], v5, s[24:27], 0 offen
	buffer_load_dwordx4 v[10:13], v5, s[24:27], s61 offen
	;; [unrolled: 1-line block ×4, first 2 shown]
	v_and_b32_e32 v4, 6, v0
	v_lshlrev_b32_e32 v39, 6, v71
	v_or_b32_e32 v41, 16, v68
	v_xor_b32_e32 v42, v73, v4
	v_and_b32_e32 v5, 1, v0
	v_lshl_or_b32 v45, v68, 3, v39
	v_lshl_or_b32 v39, v41, 3, v39
	v_lshlrev_b32_e32 v42, 2, v42
	v_lshlrev_b32_e32 v38, 2, v68
	v_or_b32_e32 v81, 0xa000, v39
	v_or_b32_e32 v82, 0xb000, v39
	v_xor_b32_e32 v39, 0x440, v42
	v_cmp_eq_u32_e32 vcc, 0, v5
	s_add_i32 s3, s46, s33
	v_xor_b32_e32 v43, v71, v38
	v_xor_b32_e32 v44, v72, v38
	v_cndmask_b32_e32 v5, v39, v42, vcc
	s_add_i32 s4, s49, s48
	s_add_i32 s41, s3, s47
	s_mov_b32 s62, 0x1000504
	v_lshlrev_b32_e32 v40, 8, v68
	v_lshlrev_b32_e32 v41, 8, v41
	;; [unrolled: 1-line block ×4, first 2 shown]
	v_lshl_or_b32 v4, v4, 10, v5
	s_add_i32 s43, s4, s50
	s_lshl_b64 s[4:5], s[40:41], 2
	s_mov_b32 s63, 0x3020706
	v_or_b32_e32 v79, 0xa000, v45
	v_or_b32_e32 v80, 0xb000, v45
	;; [unrolled: 1-line block ×5, first 2 shown]
	v_xor_b32_e32 v5, 8, v4
	v_xor_b32_e32 v40, 24, v4
	;; [unrolled: 1-line block ×4, first 2 shown]
	s_add_u32 s3, s18, s4
	v_or_b32_e32 v85, v41, v43
	v_xor_b32_e32 v39, 16, v4
	v_xor_b32_e32 v41, 32, v4
	;; [unrolled: 1-line block ×3, first 2 shown]
	v_add_u32_e32 v5, 0x80, v5
	v_add_u32_e32 v40, 0x80, v40
	;; [unrolled: 1-line block ×4, first 2 shown]
	s_addc_u32 s24, s19, s5
	s_lshl_b64 s[4:5], s[42:43], 2
	s_add_u32 s4, s3, s4
	s_movk_i32 s3, 0xf8
	s_addc_u32 s5, s24, s5
	s_lshl_b32 s30, s23, 7
	s_movk_i32 s28, 0x100
	v_mov_b32_e32 v59, 0
	v_lshlrev_b32_e32 v58, 4, v68
	v_cmp_gt_u32_e32 vcc, s28, v0
	v_ashrrev_i32_e32 v57, 31, v56
	s_mov_b32 s64, 0
	s_movk_i32 s41, 0x1000
	s_movk_i32 s26, 0x4000
	s_waitcnt vmcnt(1)
	v_perm_b32 v45, v6, v14, s62
	s_waitcnt vmcnt(0)
	v_perm_b32 v46, v10, v34, s62
	v_perm_b32 v6, v6, v14, s63
	;; [unrolled: 1-line block ×15, first 2 shown]
	ds_write2st64_b32 v4, v45, v46 offset0:32 offset1:64
	ds_write2st64_b32 v5, v6, v10 offset0:32 offset1:64
	;; [unrolled: 1-line block ×8, first 2 shown]
	v_or_b32_e32 v4, v66, v68
	v_lshlrev_b32_e32 v4, 3, v4
	v_lshrrev_b32_e32 v7, 5, v51
	v_and_or_b32 v7, v4, s3, v7
	v_lshlrev_b32_e32 v7, 4, v7
	v_lshlrev_b32_e32 v5, 11, v1
	v_and_b32_e32 v4, 0x78, v4
	v_or_b32_e32 v12, 32, v7
	v_and_b32_e32 v6, 0x1000, v5
	v_lshrrev_b32_e32 v9, 1, v0
	v_xor_b32_e32 v12, v12, v4
	v_and_b32_e32 v10, 8, v9
	v_or_b32_e32 v12, v12, v6
	v_xor_b32_e32 v8, v7, v4
	v_xor_b32_e32 v89, v12, v10
	v_or_b32_e32 v12, 64, v7
	v_or_b32_e32 v7, 0x60, v7
	s_ashr_i32 s3, s2, 31
	v_xor_b32_e32 v12, v12, v4
	v_xor_b32_e32 v4, v7, v4
	s_lshl_b64 s[24:25], s[2:3], 8
	v_or_b32_e32 v8, v8, v6
	v_or_b32_e32 v12, v12, v6
	;; [unrolled: 1-line block ×3, first 2 shown]
	s_add_u32 s24, s6, s24
	v_lshlrev_b32_e32 v6, 1, v68
	v_xor_b32_e32 v91, v12, v10
	v_lshrrev_b32_e32 v12, 4, v0
	s_addc_u32 s25, s7, s25
	v_or_b32_e32 v7, 1, v6
	v_mov_b32_e32 v16, 0x4000
	v_mov_b32_e32 v17, 0x2000
	v_xor_b32_e32 v13, v12, v6
	v_xor_b32_e32 v14, v7, v12
	v_lshl_add_u64 v[6:7], s[24:25], 0, v[58:59]
	v_lshlrev_b32_e32 v58, 8, v12
	v_cndmask_b32_e32 v16, v16, v17, vcc
	v_lshlrev_b32_e32 v17, 3, v1
	v_and_b32_e32 v9, 24, v9
	v_lshl_or_b32 v95, v13, 3, v58
	v_and_b32_e32 v13, 8, v0
	v_xor_b32_e32 v34, v17, v9
	v_or_b32_e32 v35, 0x440, v34
	v_cmp_eq_u32_e32 vcc, 0, v13
	v_and_b32_e32 v12, 7, v0
	v_xor_b32_e32 v87, v8, v10
	v_cndmask_b32_e32 v13, v35, v34, vcc
	v_lshlrev_b32_e32 v8, 7, v67
	v_lshl_or_b32 v96, v14, 3, v58
	v_lshlrev_b32_e32 v14, 3, v12
	v_lshlrev_b32_e32 v12, 7, v12
	;; [unrolled: 1-line block ×3, first 2 shown]
	v_or_b32_e32 v13, v13, v5
	v_or_b32_e32 v11, v8, v38
	v_xad_u32 v97, v13, v14, v12
	v_and_or_b32 v8, v15, 60, v8
	v_mov_b32_e32 v13, 0xb000
	v_lshl_or_b32 v98, v8, 1, v13
	v_or_b32_e32 v8, 32, v9
	v_xor_b32_e32 v8, v17, v8
	v_or_b32_e32 v13, 0x440, v8
	v_cndmask_b32_e32 v8, v13, v8, vcc
	v_or_b32_e32 v8, v8, v5
	v_xad_u32 v99, v8, v14, v12
	v_or_b32_e32 v8, 64, v9
	v_xor_b32_e32 v8, v17, v8
	v_xor_b32_e32 v13, 0x440, v8
	v_cndmask_b32_e32 v8, v13, v8, vcc
	v_or_b32_e32 v8, v8, v5
	v_xad_u32 v100, v8, v14, v12
	v_or_b32_e32 v8, 0x60, v9
	v_xor_b32_e32 v8, v17, v8
	v_xor_b32_e32 v9, 0x440, v8
	v_lshlrev_b32_e32 v11, 1, v11
	v_cndmask_b32_e32 v8, v9, v8, vcc
	v_or_b32_e32 v88, 0xa000, v11
	v_or_b32_e32 v90, 0xa080, v11
	v_xor_b32_e32 v92, v4, v10
	v_or_b32_e32 v93, 0xb000, v11
	v_or_b32_e32 v94, 0xb080, v11
	v_lshlrev_b32_e32 v10, 1, v3
	v_add_lshl_u32 v3, v3, s23, 1
	v_or_b32_e32 v11, 0x100, v2
	v_or_b32_e32 v5, v8, v5
	v_lshlrev_b32_e32 v4, 7, v71
	v_xad_u32 v101, v5, v14, v12
	v_cndmask_b32_e64 v102, v10, v2, s[0:1]
	v_cndmask_b32_e64 v103, v3, v11, s[0:1]
	v_lshlrev_b64 v[2:3], 1, v[56:57]
	v_lshl_add_u64 v[60:61], s[16:17], 0, v[2:3]
	v_lshl_add_u64 v[62:63], s[8:9], 0, v[2:3]
	;; [unrolled: 1-line block ×3, first 2 shown]
	s_mov_b32 s3, 0x7060302
	v_lshlrev_b32_e32 v58, 1, v4
	v_add_u32_e32 v57, v16, v97
	v_add_u32_e32 v104, v16, v99
	;; [unrolled: 1-line block ×4, first 2 shown]
	s_waitcnt lgkmcnt(0)
	s_barrier
	s_branch .LBB305_33
.LBB305_32:                             ;   in Loop: Header=BB305_33 Depth=1
	s_waitcnt vmcnt(2)
	v_exp_f32_e32 v34, s24
	s_nop 2
	v_accvgpr_read_b32 v17, a15
	v_accvgpr_read_b32 v2, a4
	;; [unrolled: 1-line block ×16, first 2 shown]
	v_fma_f32 v16, v32, v34, v16
	v_fmac_f32_e32 v17, v33, v34
	v_fma_f32 v2, v18, v34, v2
	v_fma_f32 v3, v19, v34, v3
	v_fma_f32 v4, v20, v34, v4
	v_fmac_f32_e32 v5, v21, v34
	v_fma_f32 v10, v26, v34, v10
	v_fma_f32 v11, v27, v34, v11
	;; [unrolled: 4-line block ×4, first 2 shown]
	s_add_i32 s59, s59, 64
	v_mov_b64_e32 v[32:33], v[16:17]
	s_cmp_eq_u32 s52, s43
	s_mov_b32 s64, s43
	v_mov_b64_e32 v[30:31], v[14:15]
	v_mov_b64_e32 v[28:29], v[12:13]
	;; [unrolled: 1-line block ×7, first 2 shown]
	s_cbranch_scc1 .LBB305_4
.LBB305_33:                             ; =>This Inner Loop Header: Depth=1
	s_add_i32 s43, s64, 1
	s_cmp_lt_i32 s43, s52
	s_mov_b64 s[28:29], 0
	s_cselect_b64 s[44:45], -1, 0
	s_cmp_ge_i32 s43, s52
	s_mov_b64 s[24:25], 0
	s_cbranch_scc1 .LBB305_35
; %bb.34:                               ;   in Loop: Header=BB305_33 Depth=1
	s_add_i32 s0, s59, 64
	s_ashr_i32 s1, s0, 31
	s_add_u32 s0, s57, s0
	s_addc_u32 s1, s56, s1
	s_lshl_b64 s[0:1], s[0:1], 8
	s_add_u32 s24, s14, s0
	s_addc_u32 s25, s15, s1
.LBB305_35:                             ;   in Loop: Header=BB305_33 Depth=1
	v_cndmask_b32_e64 v2, 0, 1, s[44:45]
	v_cmp_ne_u32_e64 s[0:1], 1, v2
	s_andn2_b64 vcc, exec, s[44:45]
	s_cbranch_vccnz .LBB305_37
; %bb.36:                               ;   in Loop: Header=BB305_33 Depth=1
	s_add_i32 s28, s59, 64
	s_mul_hi_i32 s29, s28, s22
	s_mul_i32 s28, s28, s22
	s_add_u32 s28, s28, s55
	s_addc_u32 s29, s29, s60
	s_lshl_b64 s[28:29], s[28:29], 8
	s_add_u32 s28, s12, s28
	s_addc_u32 s29, s13, s29
.LBB305_37:                             ;   in Loop: Header=BB305_33 Depth=1
	v_perm_b32 v3, v21, v20, s3
	v_perm_b32 v2, v19, v18, s3
	v_perm_b32 v5, v25, v24, s3
	v_perm_b32 v4, v23, v22, s3
	ds_write_b64 v79, v[2:3]
	ds_write_b64 v80, v[4:5]
	;; [unrolled: 1-line block ×4, first 2 shown]
	v_perm_b32 v3, v29, v28, s3
	v_perm_b32 v2, v27, v26, s3
	;; [unrolled: 1-line block ×4, first 2 shown]
	ds_write_b64 v81, v[2:3]
	ds_write_b64 v82, v[4:5]
	;; [unrolled: 1-line block ×4, first 2 shown]
	s_waitcnt lgkmcnt(0)
	s_barrier
	ds_read_b64 v[6:7], v87 offset:24576
	ds_read2_b64 v[2:5], v88 offset1:16
	ds_read_b64 v[10:11], v90 offset:3072
	ds_read_b64 v[12:13], v88 offset:3072
	;; [unrolled: 1-line block ×3, first 2 shown]
	s_waitcnt lgkmcnt(3)
	v_mfma_f32_16x16x16_bf16 a[0:3], v[6:7], v[2:3], 0
	s_add_i32 s31, s59, 63
	s_ashr_i32 s44, s31, 31
	s_mul_i32 s45, s31, s37
	v_mfma_f32_16x16x16_bf16 a[4:7], v[6:7], v[4:5], 0
	ds_read2st64_b64 v[2:5], v88 offset0:2 offset1:4
	s_mul_hi_u32 s65, s31, s36
	s_add_i32 s45, s65, s45
	s_waitcnt lgkmcnt(0)
	v_mfma_f32_16x16x16_bf16 a[0:3], v[14:15], v[2:3], a[0:3]
	ds_read2st64_b64 v[6:9], v90 offset0:2 offset1:4
	ds_read_b64 v[2:3], v91 offset:24576
	s_mul_i32 s44, s44, s36
	s_add_i32 s45, s45, s44
	s_waitcnt lgkmcnt(1)
	v_mfma_f32_16x16x16_bf16 a[4:7], v[14:15], v[6:7], a[4:7]
	ds_read_b64 v[6:7], v92 offset:24576
	s_mul_i32 s44, s31, s36
	s_lshl_b64 s[44:45], s[44:45], 2
	s_waitcnt lgkmcnt(1)
	v_mfma_f32_16x16x16_bf16 a[0:3], v[2:3], v[4:5], a[0:3]
	s_add_u32 s44, s4, s44
	s_addc_u32 s45, s5, s45
	s_and_b64 vcc, exec, s[0:1]
	v_mfma_f32_16x16x16_bf16 a[8:11], v[2:3], v[8:9], a[4:7]
	v_mov_b32_e32 v109, 0
	v_mov_b32_e32 v108, 0
	v_mov_b32_e32 v107, 0
	s_waitcnt lgkmcnt(0)
	v_mfma_f32_16x16x16_bf16 a[4:7], v[6:7], v[12:13], a[0:3]
	v_mov_b32_e32 v2, 0
	v_mov_b32_e32 v3, 0
	;; [unrolled: 1-line block ×3, first 2 shown]
	v_mfma_f32_16x16x16_bf16 a[0:3], v[6:7], v[10:11], a[8:11]
	v_mov_b32_e32 v5, 0
	v_mov_b32_e32 v6, 0
	;; [unrolled: 1-line block ×13, first 2 shown]
	s_cbranch_vccnz .LBB305_39
; %bb.38:                               ;   in Loop: Header=BB305_33 Depth=1
	s_and_b32 s25, s25, 0xffff
	buffer_load_dwordx4 v[14:17], v75, s[24:27], 0 offen
	buffer_load_dwordx4 v[10:13], v75, s[24:27], s61 offen
	;; [unrolled: 1-line block ×4, first 2 shown]
	v_mov_b32_e32 v108, v77
	v_mov_b32_e32 v107, v78
.LBB305_39:                             ;   in Loop: Header=BB305_33 Depth=1
	ds_read_b64 v[42:43], v87 offset:32768
	ds_read2_b64 v[34:37], v93 offset1:16
	ds_read_b64 v[44:45], v89 offset:32768
	ds_read_b64 v[46:47], v91 offset:32768
	;; [unrolled: 1-line block ×3, first 2 shown]
	ds_read2st64_b64 v[38:41], v93 offset0:2 offset1:4
	v_add_u32_e32 v110, s59, v71
	s_waitcnt lgkmcnt(4)
	v_mfma_f32_16x16x16_bf16 a[4:7], v[42:43], v[34:35], a[4:7]
	v_ashrrev_i32_e32 v34, 31, v110
	v_mfma_f32_16x16x16_bf16 a[0:3], v[42:43], v[36:37], a[0:3]
	v_mul_lo_u32 v36, v110, s37
	v_mul_lo_u32 v37, v34, s36
	v_mad_u64_u32 v[34:35], s[24:25], v110, s36, 0
	v_add3_u32 v35, v35, v36, v37
	v_add_u32_e32 v36, 1, v110
	v_ashrrev_i32_e32 v37, 31, v36
	s_waitcnt lgkmcnt(0)
	v_mfma_f32_16x16x16_bf16 a[4:7], v[44:45], v[38:39], a[4:7]
	v_mul_lo_u32 v38, v37, s36
	v_mul_lo_u32 v39, v36, s37
	v_mad_u64_u32 v[36:37], s[24:25], v36, s36, 0
	v_add3_u32 v37, v37, v39, v38
	v_add_u32_e32 v38, 2, v110
	v_ashrrev_i32_e32 v39, 31, v38
	v_mul_lo_u32 v42, v39, s36
	v_mul_lo_u32 v43, v38, s37
	v_mad_u64_u32 v[38:39], s[24:25], v38, s36, 0
	v_add3_u32 v39, v39, v43, v42
	v_add_u32_e32 v42, 3, v110
	v_ashrrev_i32_e32 v43, 31, v42
	v_mul_lo_u32 v110, v43, s36
	v_mul_lo_u32 v111, v42, s37
	v_mad_u64_u32 v[42:43], s[24:25], v42, s36, 0
	s_ashr_i32 s25, s59, 31
	v_add3_u32 v43, v43, v111, v110
	s_add_u32 s24, s57, s59
	v_lshl_add_u64 v[34:35], v[34:35], 2, s[4:5]
	v_lshl_add_u64 v[42:43], v[42:43], 2, s[4:5]
	s_addc_u32 s25, s56, s25
	v_lshl_add_u64 v[36:37], v[36:37], 2, s[4:5]
	v_lshl_add_u64 v[38:39], v[38:39], 2, s[4:5]
	global_load_dword v110, v[34:35], off
	global_load_dword v111, v[36:37], off
	;; [unrolled: 1-line block ×3, first 2 shown]
	s_nop 0
	global_load_dword v43, v[42:43], off
	s_lshl_b64 s[66:67], s[24:25], 8
	v_lshl_add_u64 v[34:35], v[60:61], 0, s[66:67]
	v_lshl_add_u64 v[38:39], v[34:35], 0, v[58:59]
	global_load_ushort v113, v[38:39], off offset:256
	global_load_ushort v114, v[38:39], off
	global_load_ushort v115, v[38:39], off offset:768
	global_load_ushort v116, v[38:39], off offset:512
	ds_read2st64_b64 v[34:37], v94 offset0:2 offset1:4
	global_load_ushort v117, v[38:39], off offset:800
	global_load_ushort v118, v[38:39], off offset:544
	;; [unrolled: 1-line block ×4, first 2 shown]
	s_waitcnt lgkmcnt(0)
	v_mfma_f32_16x16x16_bf16 a[0:3], v[44:45], v[34:35], a[0:3]
	s_and_b64 vcc, exec, s[0:1]
	s_waitcnt vmcnt(7)
	v_lshlrev_b32_e32 v45, 16, v113
	v_mfma_f32_16x16x16_bf16 a[4:7], v[46:47], v[40:41], a[4:7]
	s_waitcnt vmcnt(6)
	v_lshlrev_b32_e32 v44, 16, v114
	v_mfma_f32_16x16x16_bf16 a[0:3], v[46:47], v[36:37], a[0:3]
	ds_read_b64 v[34:35], v93 offset:3072
	ds_read_b64 v[36:37], v94 offset:3072
	s_load_dword s24, s[44:45], 0x0
	s_waitcnt vmcnt(5)
	v_lshlrev_b32_e32 v47, 16, v115
	s_waitcnt lgkmcnt(0)
	v_mfma_f32_16x16x16_bf16 a[4:7], v[48:49], v[34:35], a[4:7]
	v_lshl_add_u64 v[34:35], v[62:63], 0, s[66:67]
	v_sub_f32_e32 v42, s24, v110
	v_sub_f32_e32 v46, s24, v111
	v_mfma_f32_16x16x16_bf16 a[0:3], v[48:49], v[36:37], a[0:3]
	v_sub_f32_e32 v48, s24, v112
	v_sub_f32_e32 v49, s24, v43
	v_exp_f32_e32 v42, v42
	v_exp_f32_e32 v43, v46
	;; [unrolled: 1-line block ×4, first 2 shown]
	v_accvgpr_read_b32 v41, a5
	v_accvgpr_read_b32 v37, a7
	;; [unrolled: 1-line block ×4, first 2 shown]
	s_waitcnt vmcnt(4)
	v_lshlrev_b32_e32 v46, 16, v116
	v_lshl_add_u64 v[34:35], v[34:35], 0, v[58:59]
	v_pk_add_f32 v[40:41], v[44:45], v[40:41] neg_lo:[0,1] neg_hi:[0,1]
	v_pk_add_f32 v[36:37], v[46:47], v[36:37] neg_lo:[0,1] neg_hi:[0,1]
	global_store_short_d16_hi v[34:35], v40, off
	global_store_short_d16_hi v[34:35], v41, off offset:256
	global_store_short_d16_hi v[34:35], v36, off offset:512
	;; [unrolled: 1-line block ×3, first 2 shown]
	v_pk_mul_f32 v[40:41], v[42:43], v[40:41]
	v_pk_mul_f32 v[36:37], v[48:49], v[36:37]
	v_accvgpr_read_b32 v45, a1
	v_perm_b32 v40, v41, v40, s3
	v_perm_b32 v41, v37, v36, s3
	s_waitcnt vmcnt(5)
	v_lshlrev_b32_e32 v37, 16, v119
	s_waitcnt vmcnt(4)
	v_lshlrev_b32_e32 v36, 16, v120
	v_accvgpr_read_b32 v44, a0
	v_accvgpr_read_b32 v39, a3
	;; [unrolled: 1-line block ×3, first 2 shown]
	v_pk_add_f32 v[36:37], v[36:37], v[44:45] neg_lo:[0,1] neg_hi:[0,1]
	v_lshlrev_b32_e32 v45, 16, v117
	v_lshlrev_b32_e32 v44, 16, v118
	v_pk_add_f32 v[38:39], v[44:45], v[38:39] neg_lo:[0,1] neg_hi:[0,1]
	global_store_short_d16_hi v[34:35], v36, off offset:32
	global_store_short_d16_hi v[34:35], v37, off offset:288
	;; [unrolled: 1-line block ×4, first 2 shown]
	v_pk_mul_f32 v[34:35], v[42:43], v[36:37]
	v_pk_mul_f32 v[36:37], v[48:49], v[38:39]
	v_mov_b32_e32 v110, 0
	v_perm_b32 v37, v37, v36, s3
	v_perm_b32 v36, v35, v34, s3
	ds_write2_b64 v80, v[40:41], v[36:37] offset1:16
	v_mov_b32_e32 v34, 0
	v_mov_b32_e32 v35, 0
	;; [unrolled: 1-line block ×16, first 2 shown]
	s_cbranch_vccnz .LBB305_41
; %bb.40:                               ;   in Loop: Header=BB305_33 Depth=1
	s_and_b32 s29, s29, 0xffff
	s_mov_b32 s31, s27
	buffer_load_dwordx4 v[46:49], v102, s[28:31], 0 offen
	buffer_load_dwordx4 v[38:41], v102, s[28:31], s61 offen
	;; [unrolled: 1-line block ×4, first 2 shown]
	v_mov_b32_e32 v109, v74
	v_mov_b32_e32 v110, v73
.LBB305_41:                             ;   in Loop: Header=BB305_33 Depth=1
	s_waitcnt lgkmcnt(0)
	s_barrier
	ds_read_b64 v[116:117], v57
	ds_read_b64 v[124:125], v98
	ds_read_b64 v[120:121], v104
	ds_read_b64 v[126:127], v105
	ds_read_b64 v[128:129], v106
	ds_read_b64 v[130:131], v99 offset:16384
	ds_read_b64 v[132:133], v97 offset:16384
	ds_read2_b64 v[112:115], v93 offset0:16 offset1:128
	s_waitcnt lgkmcnt(6)
	v_mfma_f32_16x16x16_bf16 a[0:3], v[116:117], v[124:125], 0
	ds_read_b64 v[134:135], v94 offset:3072
	ds_read_b64 v[136:137], v101 offset:16384
	s_add_i32 s25, s58, s64
	s_waitcnt lgkmcnt(2)
	v_mfma_f32_16x16x16_bf16 a[4:7], v[116:117], v[112:113], 0
	ds_read2st64_b64 v[116:119], v94 offset0:2 offset1:4
	s_mul_hi_i32 s29, s25, s21
	s_mul_i32 s25, s25, s21
	v_mfma_f32_16x16x16_bf16 a[0:3], v[120:121], v[114:115], a[0:3]
	s_add_u32 s28, s25, s51
	s_addc_u32 s29, s29, s53
	s_lshl_b64 s[28:29], s[28:29], 15
	s_waitcnt lgkmcnt(0)
	v_mfma_f32_16x16x16_bf16 a[4:7], v[120:121], v[116:117], a[4:7]
	ds_read2st64_b64 v[120:123], v93 offset0:4 offset1:6
	s_waitcnt lgkmcnt(0)
	v_mfma_f32_16x16x16_bf16 a[0:3], v[126:127], v[120:121], a[0:3]
	v_mfma_f32_16x16x16_bf16 a[8:11], v[126:127], v[118:119], a[4:7]
	;; [unrolled: 1-line block ×5, first 2 shown]
	ds_read2st64_b64 v[124:127], v96 offset1:8
	v_mfma_f32_16x16x16_bf16 a[12:15], v[132:133], v[112:113], 0
	ds_read_b64 v[132:133], v100 offset:16384
	v_mfma_f32_16x16x16_bf16 a[8:11], v[130:131], v[114:115], a[8:11]
	ds_read2st64_b64 v[112:115], v95 offset1:8
	s_waitcnt lgkmcnt(0)
	v_mov_b32_e32 v128, v112
	v_mfma_f32_16x16x16_bf16 a[12:15], v[130:131], v[116:117], a[12:15]
	v_lshl_add_u64 v[116:117], v[64:65], 0, s[28:29]
	v_add_co_u32_e32 v112, vcc, s41, v116
	v_mfma_f32_16x16x16_bf16 a[8:11], v[132:133], v[120:121], a[8:11]
	v_mov_b32_e32 v129, v113
	v_addc_co_u32_e32 v113, vcc, 0, v117, vcc
	v_mfma_f32_16x16x16_bf16 a[12:15], v[132:133], v[118:119], a[12:15]
	v_mov_b32_e32 v130, v124
	v_mov_b32_e32 v131, v125
	;; [unrolled: 1-line block ×3, first 2 shown]
	v_mfma_f32_16x16x16_bf16 a[8:11], v[136:137], v[122:123], a[8:11]
	v_mov_b32_e32 v125, v115
	s_and_b64 vcc, exec, s[0:1]
	global_store_dwordx4 v[116:117], v[128:131], off
	v_mfma_f32_16x16x16_bf16 a[12:15], v[136:137], v[134:135], a[12:15]
	global_store_dwordx4 v[112:113], v[124:127], off
	s_cbranch_vccnz .LBB305_32
; %bb.42:                               ;   in Loop: Header=BB305_33 Depth=1
	v_lshrrev_b32_e32 v111, 3, v109
	v_and_b32_e32 v111, 6, v111
	v_xor_b32_e32 v110, v111, v110
	v_lshlrev_b32_e32 v110, 2, v110
	v_and_b32_e32 v109, 8, v109
	v_xor_b32_e32 v112, 0x440, v110
	v_cmp_eq_u32_e32 vcc, 0, v109
	s_barrier
	s_nop 0
	v_cndmask_b32_e32 v109, v112, v110, vcc
	v_lshl_or_b32 v109, v111, 10, v109
	s_waitcnt vmcnt(3)
	v_perm_b32 v110, v46, v42, s62
	s_waitcnt vmcnt(2)
	v_perm_b32 v111, v38, v34, s62
	ds_write2st64_b32 v109, v110, v111 offset0:32 offset1:64
	v_xor_b32_e32 v110, 8, v109
	v_perm_b32 v42, v46, v42, s63
	v_perm_b32 v34, v38, v34, s63
	v_add_u32_e32 v38, 0x80, v110
	ds_write2st64_b32 v38, v42, v34 offset0:32 offset1:64
	v_xor_b32_e32 v34, 16, v109
	v_perm_b32 v38, v47, v43, s62
	v_perm_b32 v42, v39, v35, s62
	ds_write2st64_b32 v34, v38, v42 offset0:33 offset1:65
	v_xor_b32_e32 v34, 24, v109
	v_perm_b32 v38, v47, v43, s63
	v_perm_b32 v35, v39, v35, s63
	v_add_u32_e32 v34, 0x80, v34
	ds_write2st64_b32 v34, v38, v35 offset0:33 offset1:65
	v_xor_b32_e32 v34, 32, v109
	v_perm_b32 v35, v48, v44, s62
	;; [unrolled: 9-line block ×3, first 2 shown]
	v_perm_b32 v36, v41, v37, s62
	ds_write2st64_b32 v34, v35, v36 offset0:35 offset1:67
	v_xor_b32_e32 v34, 56, v109
	v_perm_b32 v35, v49, v45, s63
	v_perm_b32 v36, v41, v37, s63
	v_add_u32_e32 v34, 0x80, v34
	ds_write2st64_b32 v34, v35, v36 offset0:35 offset1:67
	ds_write_b64 v108, v[14:15] offset:24576
	v_xor_b32_e32 v14, 8, v108
	ds_write_b64 v14, v[16:17] offset:24576
	ds_write_b64 v108, v[10:11] offset:32768
	;; [unrolled: 1-line block ×4, first 2 shown]
	v_xor_b32_e32 v6, 8, v107
	ds_write_b64 v6, v[8:9] offset:24576
	ds_write_b64 v107, v[2:3] offset:32768
	;; [unrolled: 1-line block ×3, first 2 shown]
	s_branch .LBB305_32
.LBB305_43:
                                        ; implicit-def: $vgpr21
                                        ; implicit-def: $vgpr25
                                        ; implicit-def: $vgpr29
                                        ; implicit-def: $vgpr33
	s_cbranch_execz .LBB305_45
; %bb.44:
	s_waitcnt vmcnt(0)
	v_mad_u64_u32 v[18:19], s[0:1], v36, s23, v[34:35]
	v_lshlrev_b32_e32 v36, 1, v18
	s_lshl_b32 s2, s23, 7
	s_and_b32 s1, s5, 0xffff
	s_mov_b32 s3, 0x20000
	s_mov_b32 s0, s4
	v_add_lshl_u32 v37, v18, s23, 1
	s_movk_i32 s6, 0x80
	buffer_load_dwordx4 v[18:21], v36, s[0:3], 0 offen
	buffer_load_dwordx4 v[26:29], v36, s[0:3], s6 offen
	;; [unrolled: 1-line block ×4, first 2 shown]
.LBB305_45:
	v_lshrrev_b32_e32 v47, 2, v51
	s_cbranch_execnz .LBB305_58
.LBB305_46:
	s_and_b64 vcc, exec, s[14:15]
	s_cbranch_vccz .LBB305_56
; %bb.47:
	s_waitcnt vmcnt(0)
	v_lshlrev_b32_e32 v23, 1, v42
	v_cmp_gt_i32_e32 vcc, s31, v23
	v_mov_b32_e32 v22, 0
	v_lshlrev_b32_e32 v30, 9, v42
	v_mov_b32_e32 v18, 0
	v_mov_b32_e32 v19, 0
	;; [unrolled: 1-line block ×4, first 2 shown]
	s_and_saveexec_b64 s[0:1], vcc
	s_cbranch_execz .LBB305_49
; %bb.48:
	v_mov_b32_e32 v31, 0
	v_lshl_add_u64 v[18:19], s[4:5], 0, v[30:31]
	v_lshlrev_b32_e32 v20, 1, v34
	v_mov_b32_e32 v21, v31
	v_lshl_add_u64 v[18:19], v[18:19], 0, v[20:21]
	global_load_dwordx4 v[18:21], v[18:19], off
.LBB305_49:
	s_or_b64 exec, exec, s[0:1]
	v_or_b32_e32 v23, 1, v23
	v_cmp_gt_i32_e64 s[0:1], s31, v23
	v_lshlrev_b32_e32 v36, 8, v23
	v_mov_b32_e32 v23, 0
	v_mov_b32_e32 v24, 0
	;; [unrolled: 1-line block ×3, first 2 shown]
	s_and_saveexec_b64 s[2:3], s[0:1]
	s_cbranch_execz .LBB305_51
; %bb.50:
	v_mov_b32_e32 v37, 0
	v_lshl_add_u64 v[22:23], s[4:5], 0, v[36:37]
	v_lshlrev_b32_e32 v24, 1, v34
	v_mov_b32_e32 v25, v37
	v_lshl_add_u64 v[22:23], v[22:23], 0, v[24:25]
	global_load_dwordx4 v[22:25], v[22:23], off
.LBB305_51:
	s_or_b64 exec, exec, s[2:3]
	v_mov_b32_e32 v33, 0
	v_mov_b32_e32 v26, 0
	;; [unrolled: 1-line block ×5, first 2 shown]
	s_and_saveexec_b64 s[2:3], vcc
	s_cbranch_execz .LBB305_53
; %bb.52:
	v_mov_b32_e32 v31, 0
	v_lshl_add_u64 v[26:27], s[4:5], 0, v[30:31]
	v_lshlrev_b32_e32 v30, 1, v34
	v_lshl_add_u64 v[26:27], v[26:27], 0, v[30:31]
	global_load_dwordx4 v[26:29], v[26:27], off offset:128
.LBB305_53:
	s_or_b64 exec, exec, s[2:3]
	v_mov_b32_e32 v32, 0
	v_mov_b32_e32 v31, 0
	;; [unrolled: 1-line block ×3, first 2 shown]
	s_and_saveexec_b64 s[2:3], s[0:1]
	s_cbranch_execz .LBB305_55
; %bb.54:
	v_mov_b32_e32 v37, 0
	v_lshl_add_u64 v[30:31], s[4:5], 0, v[36:37]
	v_lshlrev_b32_e32 v36, 1, v34
	v_lshl_add_u64 v[30:31], v[30:31], 0, v[36:37]
	global_load_dwordx4 v[30:33], v[30:31], off offset:128
.LBB305_55:
	s_or_b64 exec, exec, s[2:3]
	s_branch .LBB305_58
.LBB305_56:
                                        ; implicit-def: $vgpr21
                                        ; implicit-def: $vgpr25
                                        ; implicit-def: $vgpr29
                                        ; implicit-def: $vgpr33
	s_cbranch_execz .LBB305_58
; %bb.57:
	s_waitcnt vmcnt(0)
	v_lshlrev_b32_e32 v18, 1, v34
	v_lshl_or_b32 v34, v42, 9, v18
	s_and_b32 s5, s5, 0xffff
	s_mov_b32 s7, 0x20000
	s_movk_i32 s6, 0x4000
	s_movk_i32 s0, 0x80
	buffer_load_dwordx4 v[18:21], v34, s[4:7], 0 offen
	buffer_load_dwordx4 v[22:25], v34, s[4:7], 0 offen offset:256
	buffer_load_dwordx4 v[26:29], v34, s[4:7], s0 offen
	buffer_load_dwordx4 v[30:33], v34, s[4:7], s0 offen offset:256
.LBB305_58:
	ds_read_b64 v[36:37], v43 offset:32768
	v_add_u32_e32 v34, 0xb000, v40
	ds_read2_b64 v[58:61], v34 offset1:16
	ds_read_b64 v[48:49], v44 offset:32768
	ds_read_b64 v[44:45], v45 offset:32768
	ds_read_b64 v[68:69], v46 offset:32768
	v_and_b32_e32 v34, 6, v0
	v_xor_b32_e32 v42, v42, v34
	v_lshlrev_b32_e32 v42, 2, v42
	v_and_b32_e32 v43, 1, v0
	v_xor_b32_e32 v46, 0x440, v42
	v_cmp_eq_u32_e32 vcc, 0, v43
	s_waitcnt lgkmcnt(3)
	v_mfma_f32_16x16x16_bf16 a[0:3], v[36:37], v[58:59], a[0:3]
	s_mov_b32 s0, 0x1000504
	v_cndmask_b32_e32 v42, v46, v42, vcc
	v_lshl_or_b32 v34, v34, 10, v42
	v_mfma_f32_16x16x16_bf16 a[4:7], v[36:37], v[60:61], a[4:7]
	ds_read2st64_b64 v[58:61], v40 offset0:90 offset1:92
	ds_read2st64_b64 v[62:65], v41 offset0:90 offset1:92
	s_waitcnt vmcnt(0)
	v_perm_b32 v42, v18, v22, s0
	s_mov_b32 s1, 0x3020706
	s_waitcnt lgkmcnt(1)
	v_mfma_f32_16x16x16_bf16 a[0:3], v[48:49], v[58:59], a[0:3]
	ds_read_b64 v[36:37], v40 offset:48128
	ds_read_b64 v[58:59], v41 offset:48128
	v_perm_b32 v18, v18, v22, s1
	v_perm_b32 v22, v26, v30, s1
	s_waitcnt lgkmcnt(2)
	v_mfma_f32_16x16x16_bf16 a[4:7], v[48:49], v[62:63], a[4:7]
	v_and_or_b32 v43, v47, 12, v66
	v_mfma_f32_16x16x16_bf16 a[0:3], v[44:45], v[60:61], a[0:3]
	v_mfma_f32_16x16x16_bf16 a[8:11], v[44:45], v[64:65], a[4:7]
	s_waitcnt lgkmcnt(1)
	v_mfma_f32_16x16x16_bf16 a[4:7], v[68:69], v[36:37], a[0:3]
	v_perm_b32 v36, v26, v30, s0
	ds_write2st64_b32 v34, v42, v36 offset0:32 offset1:64
	v_xor_b32_e32 v36, 8, v34
	v_add_u32_e32 v26, 0x80, v36
	ds_write2st64_b32 v26, v18, v22 offset0:32 offset1:64
	v_xor_b32_e32 v18, 16, v34
	v_perm_b32 v22, v19, v23, s0
	v_perm_b32 v26, v27, v31, s0
	ds_write2st64_b32 v18, v22, v26 offset0:33 offset1:65
	v_xor_b32_e32 v18, 24, v34
	v_perm_b32 v19, v19, v23, s1
	v_perm_b32 v22, v27, v31, s1
	v_add_u32_e32 v18, 0x80, v18
	ds_write2st64_b32 v18, v19, v22 offset0:33 offset1:65
	v_xor_b32_e32 v18, 32, v34
	v_perm_b32 v19, v20, v24, s0
	v_perm_b32 v22, v28, v32, s0
	ds_write2st64_b32 v18, v19, v22 offset0:34 offset1:66
	v_xor_b32_e32 v18, 40, v34
	s_waitcnt lgkmcnt(5)
	v_mfma_f32_16x16x16_bf16 a[0:3], v[68:69], v[58:59], a[8:11]
	v_perm_b32 v19, v20, v24, s1
	v_perm_b32 v20, v28, v32, s1
	v_add_u32_e32 v18, 0x80, v18
	ds_write2st64_b32 v18, v19, v20 offset0:34 offset1:66
	v_xor_b32_e32 v18, 48, v34
	v_perm_b32 v19, v21, v25, s0
	v_perm_b32 v20, v29, v33, s0
	ds_write2st64_b32 v18, v19, v20 offset0:35 offset1:67
	v_xor_b32_e32 v18, 56, v34
	v_perm_b32 v19, v21, v25, s1
	v_perm_b32 v20, v29, v33, s1
	v_add_u32_e32 v18, 0x80, v18
	v_cmp_gt_i32_e64 s[0:1], s31, v43
	v_mov_b32_e32 v36, 0
	v_mov_b32_e32 v37, 0
	ds_write2st64_b32 v18, v19, v20 offset0:35 offset1:67
	s_and_saveexec_b64 s[2:3], s[0:1]
	s_cbranch_execz .LBB305_60
; %bb.59:
	v_add_u32_e32 v18, s30, v43
	v_ashrrev_i32_e32 v19, 31, v18
	v_mul_lo_u32 v20, v19, s36
	v_mul_lo_u32 v21, v18, s37
	v_mad_u64_u32 v[18:19], s[4:5], v18, s36, 0
	v_add3_u32 v19, v19, v21, v20
	v_lshl_add_u64 v[18:19], v[18:19], 2, s[12:13]
	global_load_dword v18, v[18:19], off
	s_waitcnt vmcnt(0)
	v_sub_f32_e32 v18, s18, v18
	v_exp_f32_e32 v37, v18
.LBB305_60:
	s_or_b64 exec, exec, s[2:3]
	v_or_b32_e32 v30, 1, v43
	v_cmp_gt_i32_e64 s[4:5], s31, v30
	s_and_saveexec_b64 s[2:3], s[4:5]
	s_cbranch_execz .LBB305_62
; %bb.61:
	v_add_u32_e32 v18, s30, v30
	v_ashrrev_i32_e32 v19, 31, v18
	v_mul_lo_u32 v20, v19, s36
	v_mul_lo_u32 v21, v18, s37
	v_mad_u64_u32 v[18:19], s[6:7], v18, s36, 0
	v_add3_u32 v19, v19, v21, v20
	v_lshl_add_u64 v[18:19], v[18:19], 2, s[12:13]
	global_load_dword v18, v[18:19], off
	s_waitcnt vmcnt(0)
	v_sub_f32_e32 v18, s18, v18
	v_exp_f32_e32 v36, v18
.LBB305_62:
	s_or_b64 exec, exec, s[2:3]
	v_or_b32_e32 v28, 2, v43
	v_cmp_gt_i32_e64 s[2:3], s31, v28
	v_mov_b32_e32 v34, 0
	v_mov_b32_e32 v42, 0
	s_and_saveexec_b64 s[6:7], s[2:3]
	s_cbranch_execz .LBB305_64
; %bb.63:
	v_add_u32_e32 v18, s30, v28
	v_ashrrev_i32_e32 v19, 31, v18
	v_mul_lo_u32 v20, v19, s36
	v_mul_lo_u32 v21, v18, s37
	v_mad_u64_u32 v[18:19], s[14:15], v18, s36, 0
	v_add3_u32 v19, v19, v21, v20
	v_lshl_add_u64 v[18:19], v[18:19], 2, s[12:13]
	global_load_dword v18, v[18:19], off
	s_waitcnt vmcnt(0)
	v_sub_f32_e32 v18, s18, v18
	v_exp_f32_e32 v42, v18
.LBB305_64:
	s_or_b64 exec, exec, s[6:7]
	v_or_b32_e32 v29, 3, v43
	v_cmp_gt_i32_e32 vcc, s31, v29
	s_and_saveexec_b64 s[6:7], vcc
	s_cbranch_execz .LBB305_66
; %bb.65:
	v_add_u32_e32 v18, s30, v29
	v_ashrrev_i32_e32 v19, 31, v18
	v_mul_lo_u32 v20, v19, s36
	v_mul_lo_u32 v21, v18, s37
	v_mad_u64_u32 v[18:19], s[14:15], v18, s36, 0
	v_add3_u32 v19, v19, v21, v20
	v_lshl_add_u64 v[18:19], v[18:19], 2, s[12:13]
	global_load_dword v18, v[18:19], off
	s_waitcnt vmcnt(0)
	v_sub_f32_e32 v18, s18, v18
	v_exp_f32_e32 v34, v18
.LBB305_66:
	s_or_b64 exec, exec, s[6:7]
	s_add_u32 s6, s16, s24
	s_addc_u32 s7, s17, s25
	s_add_u32 s8, s8, s24
	v_ashrrev_i32_e32 v57, 31, v56
	v_accvgpr_read_b32 v21, a7
	s_addc_u32 s9, s9, s25
	v_lshlrev_b64 v[22:23], 1, v[56:57]
	v_accvgpr_read_b32 v20, a6
	v_accvgpr_read_b32 v19, a5
	;; [unrolled: 1-line block ×3, first 2 shown]
	v_lshl_add_u64 v[24:25], s[6:7], 0, v[22:23]
	v_lshl_add_u64 v[22:23], s[8:9], 0, v[22:23]
	v_mov_b32_e32 v31, 0
	v_lshlrev_b32_e32 v26, 8, v43
	v_mov_b32_e32 v27, 0
	s_and_saveexec_b64 s[6:7], s[0:1]
	s_cbranch_execz .LBB305_68
; %bb.67:
	v_mov_b32_e32 v27, 0
	v_lshl_add_u64 v[32:33], v[24:25], 0, v[26:27]
	global_load_ushort v44, v[32:33], off
	v_lshl_add_u64 v[32:33], v[22:23], 0, v[26:27]
	s_waitcnt vmcnt(0)
	v_lshlrev_b32_e32 v27, 16, v44
	v_sub_f32_e32 v18, v27, v18
	global_store_short_d16_hi v[32:33], v18, off
	v_mul_f32_e32 v18, v37, v18
	v_lshrrev_b32_e32 v27, 16, v18
.LBB305_68:
	s_or_b64 exec, exec, s[6:7]
	v_lshlrev_b32_e32 v30, 8, v30
	s_and_saveexec_b64 s[6:7], s[4:5]
	s_cbranch_execz .LBB305_70
; %bb.69:
	v_mov_b32_e32 v31, 0
	v_lshl_add_u64 v[32:33], v[24:25], 0, v[30:31]
	global_load_ushort v18, v[32:33], off
	v_lshl_add_u64 v[32:33], v[22:23], 0, v[30:31]
	s_waitcnt vmcnt(0)
	v_lshlrev_b32_e32 v18, 16, v18
	v_sub_f32_e32 v18, v18, v19
	global_store_short_d16_hi v[32:33], v18, off
	v_mul_f32_e32 v18, v36, v18
	v_lshrrev_b32_e32 v31, 16, v18
.LBB305_70:
	s_or_b64 exec, exec, s[6:7]
	v_mov_b32_e32 v44, 0
	v_lshlrev_b32_e32 v32, 8, v28
	v_mov_b32_e32 v33, 0
	s_and_saveexec_b64 s[6:7], s[2:3]
	s_cbranch_execz .LBB305_72
; %bb.71:
	v_mov_b32_e32 v33, 0
	v_lshl_add_u64 v[18:19], v[24:25], 0, v[32:33]
	global_load_ushort v28, v[18:19], off
	v_lshl_add_u64 v[18:19], v[22:23], 0, v[32:33]
	s_waitcnt vmcnt(0)
	v_lshlrev_b32_e32 v28, 16, v28
	v_sub_f32_e32 v20, v28, v20
	global_store_short_d16_hi v[18:19], v20, off
	v_mul_f32_e32 v18, v42, v20
	v_lshrrev_b32_e32 v33, 16, v18
.LBB305_72:
	s_or_b64 exec, exec, s[6:7]
	v_lshlrev_b32_e32 v28, 8, v29
	s_and_saveexec_b64 s[6:7], vcc
	s_cbranch_execz .LBB305_74
; %bb.73:
	v_mov_b32_e32 v29, 0
	v_lshl_add_u64 v[18:19], v[24:25], 0, v[28:29]
	global_load_ushort v20, v[18:19], off
	v_lshl_add_u64 v[18:19], v[22:23], 0, v[28:29]
	s_waitcnt vmcnt(0)
	v_lshlrev_b32_e32 v20, 16, v20
	v_sub_f32_e32 v20, v20, v21
	global_store_short_d16_hi v[18:19], v20, off
	v_mul_f32_e32 v18, v34, v20
	v_lshrrev_b32_e32 v44, 16, v18
.LBB305_74:
	s_or_b64 exec, exec, s[6:7]
	v_lshlrev_b32_e32 v43, 5, v43
	s_mov_b32 s6, 0x5040100
	v_perm_b32 v45, v44, v33, s6
	v_perm_b32 v44, v31, v27, s6
	v_or_b32_e32 v27, v43, v38
	v_accvgpr_read_b32 v21, a3
	v_lshlrev_b32_e32 v27, 1, v27
	v_accvgpr_read_b32 v20, a2
	v_accvgpr_read_b32 v19, a1
	;; [unrolled: 1-line block ×3, first 2 shown]
	ds_write_b64 v27, v[44:45] offset:45056
	v_mov_b32_e32 v31, 0
	v_mov_b32_e32 v27, 0
	s_and_saveexec_b64 s[6:7], s[0:1]
	s_cbranch_execz .LBB305_76
; %bb.75:
	v_mov_b32_e32 v27, 0
	v_lshl_add_u64 v[44:45], v[24:25], 0, v[26:27]
	global_load_ushort v29, v[44:45], off offset:32
	v_lshl_add_u64 v[26:27], v[22:23], 0, v[26:27]
	s_waitcnt vmcnt(0)
	v_lshlrev_b32_e32 v29, 16, v29
	v_sub_f32_e32 v18, v29, v18
	global_store_short_d16_hi v[26:27], v18, off offset:32
	v_mul_f32_e32 v18, v37, v18
	v_lshrrev_b32_e32 v27, 16, v18
.LBB305_76:
	s_or_b64 exec, exec, s[6:7]
	s_and_saveexec_b64 s[0:1], s[4:5]
	s_cbranch_execz .LBB305_78
; %bb.77:
	v_mov_b32_e32 v31, 0
	v_lshl_add_u64 v[44:45], v[24:25], 0, v[30:31]
	global_load_ushort v18, v[44:45], off offset:32
	v_lshl_add_u64 v[30:31], v[22:23], 0, v[30:31]
	s_waitcnt vmcnt(0)
	v_lshlrev_b32_e32 v18, 16, v18
	v_sub_f32_e32 v18, v18, v19
	global_store_short_d16_hi v[30:31], v18, off offset:32
	v_mul_f32_e32 v18, v36, v18
	v_lshrrev_b32_e32 v31, 16, v18
.LBB305_78:
	s_or_b64 exec, exec, s[0:1]
	v_mov_b32_e32 v26, 0
	v_mov_b32_e32 v30, 0
	s_and_saveexec_b64 s[0:1], s[2:3]
	s_cbranch_execz .LBB305_80
; %bb.79:
	v_mov_b32_e32 v33, 0
	v_lshl_add_u64 v[18:19], v[24:25], 0, v[32:33]
	global_load_ushort v29, v[18:19], off offset:32
	v_lshl_add_u64 v[18:19], v[22:23], 0, v[32:33]
	s_waitcnt vmcnt(0)
	v_lshlrev_b32_e32 v29, 16, v29
	v_sub_f32_e32 v20, v29, v20
	global_store_short_d16_hi v[18:19], v20, off offset:32
	v_mul_f32_e32 v18, v42, v20
	v_lshrrev_b32_e32 v30, 16, v18
.LBB305_80:
	s_or_b64 exec, exec, s[0:1]
	v_or_b32_e32 v19, 0xb000, v40
	v_or_b32_e32 v18, 0xb000, v41
	s_and_saveexec_b64 s[0:1], vcc
	s_cbranch_execz .LBB305_82
; %bb.81:
	v_mov_b32_e32 v29, 0
	v_lshl_add_u64 v[24:25], v[24:25], 0, v[28:29]
	global_load_ushort v20, v[24:25], off offset:32
	v_lshl_add_u64 v[22:23], v[22:23], 0, v[28:29]
	s_waitcnt vmcnt(0)
	v_lshlrev_b32_e32 v20, 16, v20
	v_sub_f32_e32 v20, v20, v21
	global_store_short_d16_hi v[22:23], v20, off offset:32
	v_mul_f32_e32 v20, v34, v20
	v_lshrrev_b32_e32 v26, 16, v20
.LBB305_82:
	s_or_b64 exec, exec, s[0:1]
	s_mov_b32 s0, 0x5040100
	v_or_b32_e32 v22, v43, v35
	v_perm_b32 v21, v26, v30, s0
	v_perm_b32 v20, v31, v27, s0
	v_lshlrev_b32_e32 v22, 1, v22
	s_movk_i32 s0, 0x100
	ds_write_b64 v22, v[20:21] offset:45056
	v_and_b32_e32 v20, 7, v0
	v_and_b32_e32 v21, 8, v0
	v_cmp_gt_u32_e32 vcc, s0, v0
	v_lshrrev_b32_e32 v0, 1, v0
	v_lshlrev_b32_e32 v37, 3, v1
	v_and_b32_e32 v38, 24, v0
	v_lshlrev_b32_e32 v34, 3, v20
	v_lshlrev_b32_e32 v35, 7, v20
	v_mov_b32_e32 v20, 0x4000
	v_mov_b32_e32 v22, 0x2000
	v_xor_b32_e32 v0, v37, v38
	v_cndmask_b32_e32 v36, v20, v22, vcc
	v_or_b32_e32 v1, 0x440, v0
	v_cmp_eq_u32_e32 vcc, 0, v21
	s_waitcnt lgkmcnt(0)
	s_barrier
	v_cndmask_b32_e32 v0, v1, v0, vcc
	v_or_b32_e32 v0, v0, v39
	v_xad_u32 v40, v0, v34, v35
	v_add_u32_e32 v0, v36, v40
	ds_read_b64 v[0:1], v0
	ds_read2_b64 v[20:23], v19 offset1:16
	v_or_b32_e32 v24, 32, v38
	v_xor_b32_e32 v24, v37, v24
	v_or_b32_e32 v25, 0x440, v24
	v_cndmask_b32_e32 v24, v25, v24, vcc
	s_waitcnt lgkmcnt(0)
	v_mfma_f32_16x16x16_bf16 a[0:3], v[0:1], v[20:21], 0
	v_or_b32_e32 v24, v24, v39
	v_xad_u32 v41, v24, v34, v35
	v_add_u32_e32 v24, v36, v41
	v_mfma_f32_16x16x16_bf16 a[4:7], v[0:1], v[22:23], 0
	v_or_b32_e32 v0, 64, v38
	v_xor_b32_e32 v0, v37, v0
	v_xor_b32_e32 v1, 0x440, v0
	ds_read_b64 v[32:33], v24
	v_cndmask_b32_e32 v0, v1, v0, vcc
	v_or_b32_e32 v0, v0, v39
	v_xad_u32 v42, v0, v34, v35
	v_add_u32_e32 v0, v36, v42
	ds_read_b64 v[0:1], v0
	ds_read2st64_b64 v[24:27], v19 offset0:2 offset1:4
	ds_read2st64_b64 v[28:31], v18 offset0:2 offset1:4
	s_waitcnt lgkmcnt(1)
	v_mfma_f32_16x16x16_bf16 a[0:3], v[32:33], v[24:25], a[0:3]
	s_waitcnt lgkmcnt(0)
	v_mfma_f32_16x16x16_bf16 a[4:7], v[32:33], v[28:29], a[4:7]
	v_or_b32_e32 v32, 0x60, v38
	v_xor_b32_e32 v32, v37, v32
	v_xor_b32_e32 v33, 0x440, v32
	v_cndmask_b32_e32 v32, v33, v32, vcc
	v_or_b32_e32 v32, v32, v39
	v_xad_u32 v37, v32, v34, v35
	v_add_u32_e32 v32, v36, v37
	ds_read_b64 v[32:33], v32
	v_mfma_f32_16x16x16_bf16 a[0:3], v[0:1], v[26:27], a[0:3]
	v_exp_f32_e32 v36, s18
	v_mfma_f32_16x16x16_bf16 a[4:7], v[0:1], v[30:31], a[4:7]
	ds_read_b64 v[0:1], v19 offset:3072
	ds_read_b64 v[34:35], v18 offset:3072
	;; [unrolled: 1-line block ×3, first 2 shown]
	s_waitcnt lgkmcnt(0)
	v_mfma_f32_16x16x16_bf16 a[8:11], v[18:19], v[20:21], 0
	ds_read_b64 v[20:21], v41 offset:16384
	v_mfma_f32_16x16x16_bf16 a[0:3], v[32:33], v[0:1], a[0:3]
	v_mfma_f32_16x16x16_bf16 a[12:15], v[18:19], v[22:23], 0
	ds_read_b64 v[22:23], v42 offset:16384
	s_nop 4
	v_accvgpr_read_b32 v18, a0
	v_fma_f32 v18, v2, v36, v18
	v_accvgpr_read_b32 v2, a1
	v_fma_f32 v19, v3, v36, v2
	v_accvgpr_read_b32 v2, a2
	s_waitcnt lgkmcnt(1)
	v_mfma_f32_16x16x16_bf16 a[8:11], v[20:21], v[24:25], a[8:11]
	v_mfma_f32_16x16x16_bf16 a[12:15], v[20:21], v[28:29], a[12:15]
	v_fma_f32 v20, v4, v36, v2
	ds_read_b64 v[2:3], v37 offset:16384
	v_accvgpr_read_b32 v21, a3
	s_waitcnt lgkmcnt(1)
	v_mfma_f32_16x16x16_bf16 a[0:3], v[22:23], v[26:27], a[8:11]
	v_fmac_f32_e32 v21, v5, v36
	v_mfma_f32_16x16x16_bf16 a[4:7], v[32:33], v[34:35], a[4:7]
	v_mfma_f32_16x16x16_bf16 a[8:11], v[22:23], v[30:31], a[12:15]
	s_waitcnt lgkmcnt(0)
	v_mfma_f32_16x16x16_bf16 a[0:3], v[2:3], v[0:1], a[0:3]
	s_nop 3
	v_accvgpr_read_b32 v4, a4
	v_fma_f32 v26, v10, v36, v4
	v_accvgpr_read_b32 v4, a5
	v_fma_f32 v27, v11, v36, v4
	v_accvgpr_read_b32 v4, a6
	v_accvgpr_read_b32 v29, a7
	v_mfma_f32_16x16x16_bf16 a[4:7], v[2:3], v[34:35], a[8:11]
	v_accvgpr_read_b32 v0, a0
	v_fma_f32 v22, v6, v36, v0
	v_accvgpr_read_b32 v0, a1
	v_fma_f32 v23, v7, v36, v0
	;; [unrolled: 2-line block ×3, first 2 shown]
	v_accvgpr_read_b32 v25, a3
	v_accvgpr_read_b32 v0, a4
	v_fma_f32 v30, v14, v36, v0
	v_accvgpr_read_b32 v0, a5
	v_fma_f32 v31, v15, v36, v0
	v_accvgpr_read_b32 v0, a6
	v_accvgpr_read_b32 v33, a7
	v_fma_f32 v28, v12, v36, v4
	v_fmac_f32_e32 v29, v13, v36
	v_fmac_f32_e32 v25, v9, v36
	v_fma_f32 v32, v16, v36, v0
	v_fmac_f32_e32 v33, v17, v36
	v_mov_b64_e32 v[2:3], v[18:19]
	v_mov_b64_e32 v[4:5], v[20:21]
	;; [unrolled: 1-line block ×8, first 2 shown]
.LBB305_83:
	s_add_u32 s0, s10, s34
	s_addc_u32 s1, s11, s35
	v_lshl_add_u64 v[0:1], v[52:53], 1, s[0:1]
	v_mov_b32_e32 v51, 0
	s_mov_b32 s2, 0x7060302
	v_lshl_add_u64 v[0:1], v[0:1], 0, v[50:51]
	v_perm_b32 v5, v5, v4, s2
	v_perm_b32 v4, v3, v2, s2
	;; [unrolled: 1-line block ×4, first 2 shown]
	global_store_dwordx2 v[0:1], v[4:5], off
	global_store_dwordx2 v[0:1], v[2:3], off offset:128
	v_lshl_add_u64 v[0:1], v[54:55], 1, s[0:1]
	v_lshl_add_u64 v[0:1], v[0:1], 0, v[50:51]
	v_perm_b32 v3, v13, v12, s2
	v_perm_b32 v2, v11, v10, s2
	global_store_dwordx2 v[0:1], v[2:3], off
	v_perm_b32 v3, v17, v16, s2
	v_perm_b32 v2, v15, v14, s2
	global_store_dwordx2 v[0:1], v[2:3], off offset:128
	s_endpgm
	.section	.rodata,"a",@progbits
	.p2align	6, 0x0
	.amdhsa_kernel _ZN12_GLOBAL__N_139chunk_gated_delta_rule_fwd_h_hip_kernelILi32ELb1ELb1ELb1ELb1ELb1ELb0ELb0ELb1EEEvPK12hip_bfloat16S3_S3_PKfS5_PKvPS1_S8_PvPKiSB_iiiiilll
		.amdhsa_group_segment_fixed_size 49152
		.amdhsa_private_segment_fixed_size 0
		.amdhsa_kernarg_size 136
		.amdhsa_user_sgpr_count 2
		.amdhsa_user_sgpr_dispatch_ptr 0
		.amdhsa_user_sgpr_queue_ptr 0
		.amdhsa_user_sgpr_kernarg_segment_ptr 1
		.amdhsa_user_sgpr_dispatch_id 0
		.amdhsa_user_sgpr_kernarg_preload_length 0
		.amdhsa_user_sgpr_kernarg_preload_offset 0
		.amdhsa_user_sgpr_private_segment_size 0
		.amdhsa_uses_dynamic_stack 0
		.amdhsa_enable_private_segment 0
		.amdhsa_system_sgpr_workgroup_id_x 1
		.amdhsa_system_sgpr_workgroup_id_y 1
		.amdhsa_system_sgpr_workgroup_id_z 0
		.amdhsa_system_sgpr_workgroup_info 0
		.amdhsa_system_vgpr_workitem_id 0
		.amdhsa_next_free_vgpr 156
		.amdhsa_next_free_sgpr 68
		.amdhsa_accum_offset 140
		.amdhsa_reserve_vcc 1
		.amdhsa_float_round_mode_32 0
		.amdhsa_float_round_mode_16_64 0
		.amdhsa_float_denorm_mode_32 3
		.amdhsa_float_denorm_mode_16_64 3
		.amdhsa_dx10_clamp 1
		.amdhsa_ieee_mode 1
		.amdhsa_fp16_overflow 0
		.amdhsa_tg_split 0
		.amdhsa_exception_fp_ieee_invalid_op 0
		.amdhsa_exception_fp_denorm_src 0
		.amdhsa_exception_fp_ieee_div_zero 0
		.amdhsa_exception_fp_ieee_overflow 0
		.amdhsa_exception_fp_ieee_underflow 0
		.amdhsa_exception_fp_ieee_inexact 0
		.amdhsa_exception_int_div_zero 0
	.end_amdhsa_kernel
	.section	.text._ZN12_GLOBAL__N_139chunk_gated_delta_rule_fwd_h_hip_kernelILi32ELb1ELb1ELb1ELb1ELb1ELb0ELb0ELb1EEEvPK12hip_bfloat16S3_S3_PKfS5_PKvPS1_S8_PvPKiSB_iiiiilll,"axG",@progbits,_ZN12_GLOBAL__N_139chunk_gated_delta_rule_fwd_h_hip_kernelILi32ELb1ELb1ELb1ELb1ELb1ELb0ELb0ELb1EEEvPK12hip_bfloat16S3_S3_PKfS5_PKvPS1_S8_PvPKiSB_iiiiilll,comdat
.Lfunc_end305:
	.size	_ZN12_GLOBAL__N_139chunk_gated_delta_rule_fwd_h_hip_kernelILi32ELb1ELb1ELb1ELb1ELb1ELb0ELb0ELb1EEEvPK12hip_bfloat16S3_S3_PKfS5_PKvPS1_S8_PvPKiSB_iiiiilll, .Lfunc_end305-_ZN12_GLOBAL__N_139chunk_gated_delta_rule_fwd_h_hip_kernelILi32ELb1ELb1ELb1ELb1ELb1ELb0ELb0ELb1EEEvPK12hip_bfloat16S3_S3_PKfS5_PKvPS1_S8_PvPKiSB_iiiiilll
                                        ; -- End function
	.section	.AMDGPU.csdata,"",@progbits
; Kernel info:
; codeLenInByte = 9560
; NumSgprs: 74
; NumVgprs: 138
; NumAgprs: 16
; TotalNumVgprs: 156
; ScratchSize: 0
; MemoryBound: 0
; FloatMode: 240
; IeeeMode: 1
; LDSByteSize: 49152 bytes/workgroup (compile time only)
; SGPRBlocks: 9
; VGPRBlocks: 19
; NumSGPRsForWavesPerEU: 74
; NumVGPRsForWavesPerEU: 156
; AccumOffset: 140
; Occupancy: 1
; WaveLimiterHint : 1
; COMPUTE_PGM_RSRC2:SCRATCH_EN: 0
; COMPUTE_PGM_RSRC2:USER_SGPR: 2
; COMPUTE_PGM_RSRC2:TRAP_HANDLER: 0
; COMPUTE_PGM_RSRC2:TGID_X_EN: 1
; COMPUTE_PGM_RSRC2:TGID_Y_EN: 1
; COMPUTE_PGM_RSRC2:TGID_Z_EN: 0
; COMPUTE_PGM_RSRC2:TIDIG_COMP_CNT: 0
; COMPUTE_PGM_RSRC3_GFX90A:ACCUM_OFFSET: 34
; COMPUTE_PGM_RSRC3_GFX90A:TG_SPLIT: 0
	.section	.text._ZN12_GLOBAL__N_139chunk_gated_delta_rule_fwd_h_hip_kernelILi32ELb1ELb1ELb0ELb1ELb1ELb0ELb0ELb1EEEvPK12hip_bfloat16S3_S3_PKfS5_PKvPS1_S8_PvPKiSB_iiiiilll,"axG",@progbits,_ZN12_GLOBAL__N_139chunk_gated_delta_rule_fwd_h_hip_kernelILi32ELb1ELb1ELb0ELb1ELb1ELb0ELb0ELb1EEEvPK12hip_bfloat16S3_S3_PKfS5_PKvPS1_S8_PvPKiSB_iiiiilll,comdat
	.globl	_ZN12_GLOBAL__N_139chunk_gated_delta_rule_fwd_h_hip_kernelILi32ELb1ELb1ELb0ELb1ELb1ELb0ELb0ELb1EEEvPK12hip_bfloat16S3_S3_PKfS5_PKvPS1_S8_PvPKiSB_iiiiilll ; -- Begin function _ZN12_GLOBAL__N_139chunk_gated_delta_rule_fwd_h_hip_kernelILi32ELb1ELb1ELb0ELb1ELb1ELb0ELb0ELb1EEEvPK12hip_bfloat16S3_S3_PKfS5_PKvPS1_S8_PvPKiSB_iiiiilll
	.p2align	8
	.type	_ZN12_GLOBAL__N_139chunk_gated_delta_rule_fwd_h_hip_kernelILi32ELb1ELb1ELb0ELb1ELb1ELb0ELb0ELb1EEEvPK12hip_bfloat16S3_S3_PKfS5_PKvPS1_S8_PvPKiSB_iiiiilll,@function
_ZN12_GLOBAL__N_139chunk_gated_delta_rule_fwd_h_hip_kernelILi32ELb1ELb1ELb0ELb1ELb1ELb0ELb0ELb1EEEvPK12hip_bfloat16S3_S3_PKfS5_PKvPS1_S8_PvPKiSB_iiiiilll: ; @_ZN12_GLOBAL__N_139chunk_gated_delta_rule_fwd_h_hip_kernelILi32ELb1ELb1ELb0ELb1ELb1ELb0ELb0ELb1EEEvPK12hip_bfloat16S3_S3_PKfS5_PKvPS1_S8_PvPKiSB_iiiiilll
; %bb.0:
	s_load_dwordx4 s[16:19], s[0:1], 0x5c
	s_load_dwordx2 s[4:5], s[0:1], 0x50
	s_abs_i32 s7, s3
	s_ashr_i32 s6, s3, 31
	s_load_dwordx4 s[12:15], s[0:1], 0x40
	s_load_dwordx4 s[20:23], s[0:1], 0x28
	s_waitcnt lgkmcnt(0)
	s_abs_i32 s10, s17
	v_cvt_f32_u32_e32 v1, s10
	s_sub_i32 s8, 0, s10
	s_ashr_i32 s11, s17, 31
	s_xor_b32 s6, s6, s11
	v_rcp_iflag_f32_e32 v1, v1
	v_and_b32_e32 v66, 15, v0
	v_bfe_u32 v65, v0, 4, 2
	v_mov_b32_e32 v51, 0
	v_mul_f32_e32 v1, 0x4f7ffffe, v1
	v_cvt_u32_f32_e32 v1, v1
	v_lshlrev_b32_e32 v67, 3, v0
	v_readfirstlane_b32 s9, v1
	s_mul_i32 s8, s8, s9
	s_mul_hi_u32 s8, s9, s8
	s_add_i32 s9, s9, s8
	s_mul_hi_u32 s8, s7, s9
	s_mul_i32 s9, s8, s10
	s_sub_i32 s7, s7, s9
	s_add_i32 s24, s8, 1
	s_sub_i32 s9, s7, s10
	s_cmp_ge_u32 s7, s10
	s_cselect_b32 s8, s24, s8
	s_cselect_b32 s7, s9, s7
	s_add_i32 s9, s8, 1
	s_cmp_ge_u32 s7, s10
	s_cselect_b32 s7, s9, s8
	s_xor_b32 s7, s7, s6
	s_sub_i32 s28, s7, s6
	s_mul_i32 s24, s28, s17
	s_ashr_i32 s29, s28, 31
	s_sub_i32 s49, s3, s24
	s_lshl_b64 s[6:7], s[28:29], 2
	s_add_u32 s8, s14, s6
	s_addc_u32 s9, s15, s7
	s_add_u32 s30, s4, s6
	s_addc_u32 s31, s5, s7
	s_abs_i32 s3, s18
	v_cvt_f32_u32_e32 v1, s3
	s_load_dwordx2 s[36:37], s[8:9], 0x0
	s_sub_i32 s5, 0, s3
	s_lshl_b32 s2, s2, 5
	v_rcp_iflag_f32_e32 v1, v1
	v_or_b32_e32 v56, s2, v66
	s_waitcnt lgkmcnt(0)
	s_sub_i32 s52, s37, s36
	s_ashr_i32 s4, s52, 31
	v_mul_f32_e32 v1, 0x4f7ffffe, v1
	v_cvt_u32_f32_e32 v1, v1
	s_lshr_b32 s4, s4, 26
	s_add_i32 s4, s52, s4
	s_ashr_i32 s50, s4, 6
	v_readfirstlane_b32 s6, v1
	s_mul_i32 s5, s5, s6
	s_mul_hi_u32 s5, s6, s5
	s_add_i32 s6, s6, s5
	s_mul_hi_u32 s5, s10, s6
	s_mul_i32 s6, s5, s3
	s_ashr_i32 s4, s18, 31
	s_sub_i32 s6, s10, s6
	s_xor_b32 s4, s11, s4
	s_add_i32 s7, s5, 1
	s_sub_i32 s8, s6, s3
	s_cmp_ge_u32 s6, s3
	s_cselect_b32 s5, s7, s5
	s_cselect_b32 s6, s8, s6
	s_add_i32 s7, s5, 1
	s_cmp_ge_u32 s6, s3
	s_cselect_b32 s3, s7, s5
	s_xor_b32 s3, s3, s4
	s_sub_i32 s3, s3, s4
	s_abs_i32 s4, s3
	v_cvt_f32_u32_e32 v1, s4
	s_sub_i32 s6, 0, s4
	s_abs_i32 s5, s49
	s_xor_b32 s3, s49, s3
	v_rcp_iflag_f32_e32 v2, v1
	s_ashr_i32 s3, s3, 31
	v_lshrrev_b32_e32 v1, 6, v0
	v_lshlrev_b32_e32 v52, 7, v56
	v_mul_f32_e32 v2, 0x4f7ffffe, v2
	v_cvt_u32_f32_e32 v2, v2
	v_lshlrev_b32_e32 v64, 4, v1
	v_or_b32_e32 v54, 0x800, v52
	v_lshl_or_b32 v69, v65, 2, v64
	v_readfirstlane_b32 s7, v2
	s_mul_i32 s6, s6, s7
	s_mul_hi_u32 s6, s7, s6
	s_add_i32 s7, s7, s6
	s_mul_hi_u32 s6, s5, s7
	s_mul_i32 s7, s6, s4
	s_sub_i32 s5, s5, s7
	s_add_i32 s7, s6, 1
	s_sub_i32 s8, s5, s4
	s_cmp_ge_u32 s5, s4
	s_cselect_b32 s6, s7, s6
	s_cselect_b32 s5, s8, s5
	s_add_i32 s7, s6, 1
	s_cmp_ge_u32 s5, s4
	s_cselect_b32 s4, s7, s6
	s_xor_b32 s4, s4, s3
	s_sub_i32 s53, s4, s3
	s_ashr_i32 s51, s49, 31
	s_mul_hi_i32 s3, s28, s17
	s_add_u32 s4, s24, s49
	s_addc_u32 s5, s3, s51
	s_lshl_b64 s[14:15], s[4:5], 15
	s_add_u32 s4, s20, s14
	s_addc_u32 s5, s21, s15
	v_ashrrev_i32_e32 v53, 31, v52
	v_ashrrev_i32_e32 v55, 31, v54
	v_lshl_add_u64 v[2:3], v[52:53], 1, s[4:5]
	v_lshlrev_b32_e32 v50, 1, v69
	v_lshl_add_u64 v[6:7], v[54:55], 1, s[4:5]
	v_lshl_add_u64 v[2:3], v[2:3], 0, v[50:51]
	;; [unrolled: 1-line block ×3, first 2 shown]
	global_load_dwordx2 v[4:5], v[2:3], off
	v_and_b32_e32 v51, 63, v0
	global_load_dwordx2 v[2:3], v[2:3], off offset:128
	s_nop 0
	global_load_dwordx2 v[8:9], v[6:7], off
	global_load_dwordx2 v[10:11], v[6:7], off offset:128
	s_load_dwordx8 s[4:11], s[0:1], 0x0
	s_load_dwordx2 s[34:35], s[0:1], 0x80
	s_load_dwordx4 s[24:27], s[0:1], 0x70
	s_load_dword s56, s[30:31], 0x0
	v_lshrrev_b32_e32 v68, 3, v51
	v_or_b32_e32 v70, 64, v69
	s_mul_hi_i32 s54, s49, s16
	s_waitcnt lgkmcnt(0)
	s_mul_i32 s33, s28, s25
	s_mul_hi_u32 s44, s28, s24
	s_mul_i32 s38, s28, s24
	s_mul_i32 s45, s29, s24
	s_mul_i32 s55, s49, s16
	s_mul_i32 s46, s49, s27
	s_mul_hi_u32 s47, s49, s26
	s_mul_i32 s48, s51, s26
	s_cmp_lt_i32 s52, 64
	s_mul_i32 s40, s49, s26
	s_waitcnt vmcnt(3)
	v_and_b32_e32 v19, 0xffff0000, v4
	v_lshlrev_b32_e32 v18, 16, v4
	v_and_b32_e32 v21, 0xffff0000, v5
	v_lshlrev_b32_e32 v20, 16, v5
	s_waitcnt vmcnt(2)
	v_and_b32_e32 v23, 0xffff0000, v2
	v_lshlrev_b32_e32 v22, 16, v2
	v_and_b32_e32 v25, 0xffff0000, v3
	v_lshlrev_b32_e32 v24, 16, v3
	;; [unrolled: 5-line block ×4, first 2 shown]
	s_cbranch_scc1 .LBB306_3
; %bb.1:
	s_ashr_i32 s1, s36, 31
	s_add_u32 s0, s55, s36
	s_addc_u32 s1, s54, s1
	s_lshl_b64 s[0:1], s[0:1], 8
	v_and_b32_e32 v72, 56, v67
	s_add_u32 s24, s6, s0
	v_lshl_or_b32 v71, v1, 3, v68
	v_lshlrev_b32_e32 v2, 1, v72
	s_addc_u32 s0, s7, s1
	v_lshl_or_b32 v73, v71, 8, v2
	s_and_b32 s25, s0, 0xffff
	s_mov_b32 s27, 0x20000
	s_movk_i32 s26, 0x4000
	s_movk_i32 s0, 0x80
	v_or_b32_e32 v74, 0x2000, v73
	buffer_load_dwordx4 v[4:7], v73, s[24:27], 0 offen
	buffer_load_dwordx4 v[8:11], v73, s[24:27], s0 offen
	;; [unrolled: 1-line block ×4, first 2 shown]
	v_lshlrev_b32_e32 v3, 3, v71
	v_and_or_b32 v17, v0, 7, v3
	v_and_b32_e32 v3, 0x78, v3
	v_lshlrev_b32_e32 v17, 4, v17
	v_xor_b32_e32 v75, v17, v3
	v_mul_lo_u32 v16, v71, s19
	v_or_b32_e32 v76, 0x1000, v75
	v_xor_b32_e32 v3, 8, v75
	s_cmpk_eq_i32 s19, 0x80
	s_mov_b32 s57, s36
	v_xor_b32_e32 v17, 8, v76
	s_cselect_b64 s[0:1], -1, 0
	s_cmpk_lg_i32 s19, 0x80
	s_waitcnt vmcnt(3)
	ds_write_b64 v75, v[4:5] offset:24576
	ds_write_b64 v3, v[6:7] offset:24576
	s_waitcnt vmcnt(2)
	ds_write_b64 v75, v[8:9] offset:32768
	ds_write_b64 v3, v[10:11] offset:32768
	;; [unrolled: 3-line block ×4, first 2 shown]
	v_lshl_add_u32 v3, v16, 1, v72
	s_cbranch_scc0 .LBB306_29
; %bb.2:
	v_lshlrev_b32_e32 v5, 1, v3
	v_add_lshl_u32 v4, v3, s19, 1
	s_lshl_b32 s26, s19, 7
	v_lshl_or_b32 v2, v71, 9, v2
	s_cbranch_execz .LBB306_30
	s_branch .LBB306_31
.LBB306_3:
	v_mov_b64_e32 v[2:3], v[18:19]
	v_mov_b64_e32 v[4:5], v[20:21]
	;; [unrolled: 1-line block ×8, first 2 shown]
.LBB306_4:
	s_lshl_b32 s30, s50, 6
	s_sub_i32 s31, s52, s30
	s_cmp_gt_i32 s31, 0
	s_cbranch_scc0 .LBB306_83
; %bb.5:
	s_add_i32 s30, s30, s36
	s_ashr_i32 s3, s30, 31
	s_cmpk_lg_i32 s19, 0x80
	s_cselect_b64 s[26:27], -1, 0
	s_and_b64 vcc, exec, s[26:27]
	s_cbranch_vccz .LBB306_7
; %bb.6:
	s_mul_hi_i32 s0, s30, s18
	s_mul_i32 s1, s30, s18
	s_ashr_i32 s18, s53, 31
	s_add_u32 s28, s1, s53
	s_addc_u32 s29, s0, s18
	s_cbranch_execz .LBB306_8
	s_branch .LBB306_9
.LBB306_7:
                                        ; implicit-def: $sgpr28_sgpr29
.LBB306_8:
	s_mul_i32 s1, s53, s16
	s_mul_hi_i32 s0, s53, s16
	s_add_u32 s28, s1, s30
	s_addc_u32 s29, s0, s3
.LBB306_9:
	s_add_i32 s16, s50, s56
	s_add_u32 s0, s55, s30
	v_lshlrev_b32_e32 v22, 5, v69
	v_lshlrev_b32_e32 v38, 2, v66
	s_addc_u32 s1, s54, s3
	s_mov_b32 s3, 0x7060302
	v_or_b32_e32 v25, v22, v38
	v_xor_b32_e32 v23, v69, v38
	v_perm_b32 v19, v5, v4, s3
	v_perm_b32 v18, v3, v2, s3
	;; [unrolled: 1-line block ×4, first 2 shown]
	v_lshlrev_b32_e32 v25, 1, v25
	v_xor_b32_e32 v24, v70, v38
	ds_write2st64_b64 v25, v[18:19], v[20:21] offset0:80 offset1:88
	v_lshlrev_b32_e32 v23, 1, v23
	v_lshlrev_b32_e32 v25, 8, v66
	s_lshl_b64 s[24:25], s[0:1], 8
	v_or_b32_e32 v26, v23, v25
	v_lshlrev_b32_e32 v24, 1, v24
	s_add_u32 s0, s6, s24
	ds_write_b64 v26, v[18:19]
	v_or_b32_e32 v18, v24, v25
	s_addc_u32 s1, s7, s25
	ds_write_b64 v18, v[20:21]
	v_perm_b32 v19, v13, v12, s3
	v_perm_b32 v18, v11, v10, s3
	;; [unrolled: 1-line block ×4, first 2 shown]
	v_or_b32_e32 v25, 16, v66
	s_mul_hi_i32 s3, s16, s17
	s_mul_i32 s16, s16, s17
	v_lshlrev_b32_e32 v35, 2, v25
	s_add_u32 s6, s16, s49
	v_or_b32_e32 v22, v22, v35
	s_addc_u32 s7, s3, s51
	v_lshlrev_b32_e32 v22, 1, v22
	s_ashr_i32 s3, s2, 31
	s_lshl_b64 s[6:7], s[6:7], 15
	ds_write2st64_b64 v22, v[18:19], v[20:21] offset0:80 offset1:88
	v_lshlrev_b32_e32 v22, 8, v25
	s_add_u32 s6, s22, s6
	v_or_b32_e32 v23, v23, v22
	s_addc_u32 s7, s23, s7
	s_lshl_b64 s[2:3], s[2:3], 8
	ds_write_b64 v23, v[18:19]
	v_or_b32_e32 v18, v24, v22
	s_add_u32 s2, s6, s2
	ds_write_b64 v18, v[20:21]
	v_lshrrev_b32_e32 v18, 4, v0
	s_addc_u32 s3, s7, s3
	v_lshlrev_b32_e32 v19, 1, v66
	v_lshlrev_b32_e32 v26, 4, v66
	v_mov_b32_e32 v27, 0
	v_or_b32_e32 v20, 1, v19
	v_xor_b32_e32 v19, v18, v19
	v_lshl_add_u64 v[28:29], s[2:3], 0, v[26:27]
	v_lshlrev_b32_e32 v26, 8, v18
	v_xor_b32_e32 v22, v20, v18
	v_lshl_or_b32 v18, v19, 3, v26
	s_waitcnt lgkmcnt(0)
	s_barrier
	ds_read2st64_b64 v[18:21], v18 offset1:8
	v_lshl_or_b32 v22, v22, 3, v26
	ds_read2st64_b64 v[22:25], v22 offset1:8
	v_lshl_add_u64 v[30:31], v[28:29], 0, v[26:27]
	s_movk_i32 s2, 0x1000
	s_waitcnt lgkmcnt(1)
	v_mov_b32_e32 v26, v18
	v_add_co_u32_e32 v18, vcc, s2, v30
	s_cmp_lg_u32 s31, 64
	v_mov_b32_e32 v27, v19
	v_addc_co_u32_e32 v19, vcc, 0, v31, vcc
	s_cselect_b64 s[6:7], -1, 0
	v_lshl_or_b32 v42, v1, 3, v68
	s_waitcnt lgkmcnt(0)
	v_mov_b32_e32 v28, v22
	v_mov_b32_e32 v29, v23
	;; [unrolled: 1-line block ×4, first 2 shown]
	s_mov_b32 s20, 0
	v_or_b32_e32 v36, 32, v42
	v_and_b32_e32 v34, 56, v67
	s_and_b64 vcc, exec, s[6:7]
	global_store_dwordx4 v[30:31], v[26:29], off
	global_store_dwordx4 v[18:19], v[22:25], off
	s_cbranch_vccz .LBB306_15
; %bb.10:
	s_mov_b32 s22, s20
	s_mov_b32 s23, s20
	s_mov_b32 s21, s20
	v_mov_b64_e32 v[24:25], s[22:23]
	v_mov_b64_e32 v[22:23], s[20:21]
	v_mov_b64_e32 v[18:19], v[22:23]
	v_cmp_gt_i32_e32 vcc, s31, v42
	v_mov_b64_e32 v[20:21], v[24:25]
	s_and_saveexec_b64 s[2:3], vcc
	s_cbranch_execz .LBB306_12
; %bb.11:
	v_lshlrev_b32_e32 v18, 8, v42
	v_mov_b32_e32 v19, 0
	v_lshl_add_u64 v[20:21], s[0:1], 0, v[18:19]
	v_lshlrev_b32_e32 v18, 1, v34
	v_lshl_add_u64 v[26:27], v[20:21], 0, v[18:19]
	global_load_dwordx4 v[22:25], v[26:27], off
	global_load_dwordx4 v[18:21], v[26:27], off offset:128
.LBB306_12:
	s_or_b64 exec, exec, s[2:3]
	s_mov_b32 s22, s20
	s_mov_b32 s23, s20
	;; [unrolled: 1-line block ×3, first 2 shown]
	v_mov_b64_e32 v[32:33], s[22:23]
	v_mov_b64_e32 v[30:31], s[20:21]
	;; [unrolled: 1-line block ×3, first 2 shown]
	v_cmp_gt_i32_e32 vcc, s31, v36
	v_lshlrev_b32_e32 v37, 7, v36
	v_mov_b64_e32 v[28:29], v[32:33]
	s_and_saveexec_b64 s[2:3], vcc
	s_cbranch_execz .LBB306_14
; %bb.13:
	v_lshlrev_b32_e32 v26, 1, v37
	v_mov_b32_e32 v27, 0
	v_lshl_add_u64 v[28:29], s[0:1], 0, v[26:27]
	v_lshlrev_b32_e32 v26, 1, v34
	v_lshl_add_u64 v[40:41], v[28:29], 0, v[26:27]
	global_load_dwordx4 v[30:33], v[40:41], off
	global_load_dwordx4 v[26:29], v[40:41], off offset:128
.LBB306_14:
	s_or_b64 exec, exec, s[2:3]
	v_lshrrev_b32_e32 v39, 3, v34
	v_lshlrev_b32_e32 v40, 3, v42
	v_or_b32_e32 v39, v40, v39
	v_lshlrev_b32_e32 v39, 4, v39
	v_and_b32_e32 v40, 0x78, v40
	v_xor_b32_e32 v39, v39, v40
	s_branch .LBB306_17
.LBB306_15:
                                        ; implicit-def: $vgpr39
                                        ; implicit-def: $vgpr37
                                        ; implicit-def: $vgpr22_vgpr23_vgpr24_vgpr25
                                        ; implicit-def: $vgpr18_vgpr19_vgpr20_vgpr21
                                        ; implicit-def: $vgpr30_vgpr31_vgpr32_vgpr33
                                        ; implicit-def: $vgpr26_vgpr27_vgpr28_vgpr29
	s_cbranch_execz .LBB306_17
; %bb.16:
	s_waitcnt vmcnt(0)
	v_lshlrev_b32_e32 v18, 1, v34
	v_lshl_or_b32 v37, v42, 8, v18
	s_and_b32 s1, s1, 0xffff
	s_mov_b32 s3, 0x20000
	s_movk_i32 s2, 0x4000
	v_lshl_or_b32 v39, v36, 8, v18
	s_movk_i32 s16, 0x80
	buffer_load_dwordx4 v[22:25], v37, s[0:3], 0 offen
	buffer_load_dwordx4 v[18:21], v37, s[0:3], s16 offen
	;; [unrolled: 1-line block ×4, first 2 shown]
	v_lshrrev_b32_e32 v37, 3, v34
	v_lshlrev_b32_e32 v39, 3, v42
	v_or_b32_e32 v37, v39, v37
	v_lshlrev_b32_e32 v37, 4, v37
	v_and_b32_e32 v39, 0x78, v39
	v_xor_b32_e32 v39, v37, v39
	v_lshlrev_b32_e32 v37, 7, v36
.LBB306_17:
	s_lshl_b64 s[0:1], s[28:29], 8
	s_add_u32 s4, s4, s0
	s_movk_i32 s0, 0x1000
	v_and_or_b32 v36, v37, s0, v39
	s_waitcnt vmcnt(1)
	ds_write_b64 v39, v[22:23] offset:24576
	v_xor_b32_e32 v22, 8, v39
	ds_write_b64 v22, v[24:25] offset:24576
	s_waitcnt vmcnt(0)
	ds_write_b64 v39, v[18:19] offset:32768
	ds_write_b64 v22, v[20:21] offset:32768
	;; [unrolled: 1-line block ×3, first 2 shown]
	v_xor_b32_e32 v18, 8, v36
	ds_write_b64 v18, v[32:33] offset:24576
	ds_write_b64 v36, v[26:27] offset:32768
	;; [unrolled: 1-line block ×3, first 2 shown]
	v_or_b32_e32 v18, v64, v66
	v_lshlrev_b32_e32 v18, 3, v18
	v_lshrrev_b32_e32 v19, 5, v51
	s_movk_i32 s3, 0xf8
	v_and_or_b32 v19, v18, s3, v19
	v_lshlrev_b32_e32 v23, 4, v19
	v_lshlrev_b32_e32 v39, 11, v1
	v_and_b32_e32 v24, 0x78, v18
	v_or_b32_e32 v26, 32, v23
	v_and_b32_e32 v22, 0x1000, v39
	v_lshrrev_b32_e32 v19, 1, v51
	v_xor_b32_e32 v26, v26, v24
	v_xor_b32_e32 v18, v23, v24
	v_and_b32_e32 v25, 8, v19
	v_or_b32_e32 v26, v26, v22
	v_or_b32_e32 v18, v18, v22
	v_xor_b32_e32 v44, v26, v25
	v_or_b32_e32 v26, 64, v23
	v_xor_b32_e32 v43, v18, v25
	v_xor_b32_e32 v26, v26, v24
	s_waitcnt lgkmcnt(0)
	s_barrier
	v_or_b32_e32 v28, v26, v22
	ds_read_b64 v[26:27], v43 offset:24576
	v_lshl_or_b32 v36, v65, 7, v38
	v_lshlrev_b32_e32 v40, 1, v36
	v_add_u32_e32 v18, 0xa000, v40
	ds_read2_b64 v[18:21], v18 offset1:16
	v_or_b32_e32 v23, 0x60, v23
	v_xor_b32_e32 v23, v23, v24
	s_waitcnt lgkmcnt(0)
	v_mfma_f32_16x16x16_bf16 a[0:3], v[26:27], v[18:19], 0
	v_or_b32_e32 v18, 64, v36
	v_or_b32_e32 v22, v23, v22
	v_lshlrev_b32_e32 v41, 1, v18
	v_xor_b32_e32 v45, v28, v25
	v_xor_b32_e32 v46, v22, v25
	ds_read_b64 v[28:29], v44 offset:24576
	ds_read_b64 v[30:31], v45 offset:24576
	;; [unrolled: 1-line block ×3, first 2 shown]
	v_mfma_f32_16x16x16_bf16 a[4:7], v[26:27], v[20:21], 0
	ds_read2st64_b64 v[18:21], v41 offset0:82 offset1:84
	ds_read2st64_b64 v[22:25], v40 offset0:82 offset1:84
	s_addc_u32 s5, s5, s1
	s_add_i32 s1, s44, s33
	s_add_i32 s0, s37, -1
	s_add_i32 s39, s1, s45
	s_add_i32 s1, s47, s46
	;; [unrolled: 1-line block ×3, first 2 shown]
	s_ashr_i32 s1, s0, 31
	s_mul_i32 s2, s0, s35
	s_mul_hi_u32 s3, s0, s34
	s_add_i32 s2, s3, s2
	s_mul_i32 s1, s1, s34
	s_waitcnt lgkmcnt(1)
	v_mfma_f32_16x16x16_bf16 a[4:7], v[28:29], v[18:19], a[4:7]
	s_add_i32 s1, s2, s1
	s_lshl_b64 s[2:3], s[38:39], 2
	s_add_u32 s10, s10, s2
	s_waitcnt lgkmcnt(0)
	v_mfma_f32_16x16x16_bf16 a[0:3], v[28:29], v[22:23], a[0:3]
	s_addc_u32 s11, s11, s3
	s_lshl_b64 s[2:3], s[40:41], 2
	s_mul_i32 s0, s0, s34
	s_add_u32 s10, s10, s2
	ds_read_b64 v[18:19], v40 offset:44032
	v_mfma_f32_16x16x16_bf16 a[4:7], v[30:31], v[20:21], a[4:7]
	ds_read_b64 v[20:21], v41 offset:44032
	s_addc_u32 s11, s11, s3
	s_lshl_b64 s[0:1], s[0:1], 2
	v_mfma_f32_16x16x16_bf16 a[0:3], v[30:31], v[24:25], a[0:3]
	s_add_u32 s0, s10, s0
	s_addc_u32 s1, s11, s1
	s_load_dword s16, s[0:1], 0x0
	s_waitcnt lgkmcnt(0)
	v_mfma_f32_16x16x16_bf16 a[0:3], v[32:33], v[18:19], a[0:3]
	s_and_b64 vcc, exec, s[26:27]
	v_mfma_f32_16x16x16_bf16 a[4:7], v[32:33], v[20:21], a[4:7]
	s_cbranch_vccz .LBB306_28
; %bb.18:
	v_lshlrev_b32_e32 v36, 1, v42
	s_and_b64 vcc, exec, s[6:7]
	s_cbranch_vccz .LBB306_43
; %bb.19:
	v_cmp_gt_i32_e32 vcc, s31, v36
	v_mov_b32_e32 v22, 0
	v_mov_b32_e32 v18, 0
	;; [unrolled: 1-line block ×5, first 2 shown]
	s_and_saveexec_b64 s[0:1], vcc
	s_cbranch_execz .LBB306_21
; %bb.20:
	v_mad_i64_i32 v[18:19], s[2:3], s19, v36, 0
	v_lshl_add_u64 v[18:19], v[18:19], 1, s[4:5]
	v_lshlrev_b32_e32 v20, 1, v34
	v_mov_b32_e32 v21, 0
	v_lshl_add_u64 v[18:19], v[18:19], 0, v[20:21]
	global_load_dwordx4 v[18:21], v[18:19], off
.LBB306_21:
	s_or_b64 exec, exec, s[0:1]
	v_or_b32_e32 v37, 1, v36
	v_cmp_gt_i32_e64 s[0:1], s31, v37
	v_mov_b32_e32 v23, 0
	v_mov_b32_e32 v24, 0
	;; [unrolled: 1-line block ×3, first 2 shown]
	s_and_saveexec_b64 s[2:3], s[0:1]
	s_cbranch_execz .LBB306_23
; %bb.22:
	v_mad_i64_i32 v[22:23], s[20:21], s19, v37, 0
	v_lshl_add_u64 v[22:23], v[22:23], 1, s[4:5]
	v_lshlrev_b32_e32 v24, 1, v34
	v_mov_b32_e32 v25, 0
	v_lshl_add_u64 v[22:23], v[22:23], 0, v[24:25]
	global_load_dwordx4 v[22:25], v[22:23], off
.LBB306_23:
	s_or_b64 exec, exec, s[2:3]
	v_mov_b32_e32 v33, 0
	v_mov_b32_e32 v26, 0
	;; [unrolled: 1-line block ×5, first 2 shown]
	s_and_saveexec_b64 s[2:3], vcc
	s_cbranch_execz .LBB306_25
; %bb.24:
	v_mad_i64_i32 v[26:27], s[20:21], s19, v36, 0
	v_lshl_add_u64 v[26:27], v[26:27], 1, s[4:5]
	v_lshlrev_b32_e32 v28, 1, v34
	v_mov_b32_e32 v29, 0
	v_lshl_add_u64 v[26:27], v[26:27], 0, v[28:29]
	global_load_dwordx4 v[26:29], v[26:27], off offset:128
.LBB306_25:
	s_or_b64 exec, exec, s[2:3]
	v_mov_b32_e32 v32, 0
	v_mov_b32_e32 v31, 0
	;; [unrolled: 1-line block ×3, first 2 shown]
	s_and_saveexec_b64 s[2:3], s[0:1]
	s_cbranch_execz .LBB306_27
; %bb.26:
	v_mad_i64_i32 v[30:31], s[0:1], s19, v37, 0
	v_lshl_add_u64 v[30:31], v[30:31], 1, s[4:5]
	v_lshlrev_b32_e32 v32, 1, v34
	v_mov_b32_e32 v33, 0
	v_lshl_add_u64 v[30:31], v[30:31], 0, v[32:33]
	global_load_dwordx4 v[30:33], v[30:31], off offset:128
.LBB306_27:
	s_or_b64 exec, exec, s[2:3]
	s_branch .LBB306_45
.LBB306_28:
                                        ; implicit-def: $vgpr21
                                        ; implicit-def: $vgpr25
                                        ; implicit-def: $vgpr29
                                        ; implicit-def: $vgpr33
	v_lshrrev_b32_e32 v47, 2, v51
	s_branch .LBB306_46
.LBB306_29:
                                        ; implicit-def: $vgpr4
                                        ; implicit-def: $vgpr5
                                        ; implicit-def: $sgpr26
	v_lshl_or_b32 v2, v71, 9, v2
.LBB306_30:
	v_or_b32_e32 v4, 0x100, v2
	s_movk_i32 s26, 0x4000
	v_mov_b32_e32 v5, v2
.LBB306_31:
	s_mul_i32 s20, s36, s18
	s_ashr_i32 s58, s53, 31
	s_mul_hi_i32 s3, s36, s18
	s_add_u32 s20, s20, s53
	s_addc_u32 s21, s3, s58
	s_lshl_b64 s[20:21], s[20:21], 8
	s_add_u32 s24, s4, s20
	s_addc_u32 s3, s5, s21
	s_and_b32 s25, s3, 0xffff
	s_movk_i32 s59, 0x80
	buffer_load_dwordx4 v[6:9], v5, s[24:27], 0 offen
	buffer_load_dwordx4 v[10:13], v5, s[24:27], s59 offen
	;; [unrolled: 1-line block ×4, first 2 shown]
	v_and_b32_e32 v4, 6, v0
	v_lshlrev_b32_e32 v39, 6, v69
	v_or_b32_e32 v41, 16, v66
	v_xor_b32_e32 v42, v71, v4
	v_and_b32_e32 v5, 1, v0
	v_lshl_or_b32 v45, v66, 3, v39
	v_lshl_or_b32 v39, v41, 3, v39
	v_lshlrev_b32_e32 v42, 2, v42
	v_lshlrev_b32_e32 v38, 2, v66
	v_or_b32_e32 v79, 0xa000, v39
	v_or_b32_e32 v80, 0xb000, v39
	v_xor_b32_e32 v39, 0x440, v42
	v_cmp_eq_u32_e32 vcc, 0, v5
	s_add_i32 s3, s44, s33
	v_xor_b32_e32 v43, v69, v38
	v_xor_b32_e32 v44, v70, v38
	v_cndmask_b32_e32 v5, v39, v42, vcc
	s_add_i32 s20, s47, s46
	s_add_i32 s39, s3, s45
	s_mov_b32 s60, 0x1000504
	v_lshlrev_b32_e32 v40, 8, v66
	v_lshlrev_b32_e32 v41, 8, v41
	;; [unrolled: 1-line block ×4, first 2 shown]
	v_lshl_or_b32 v4, v4, 10, v5
	s_add_i32 s41, s20, s48
	s_lshl_b64 s[20:21], s[38:39], 2
	s_mov_b32 s61, 0x3020706
	v_or_b32_e32 v77, 0xa000, v45
	v_or_b32_e32 v78, 0xb000, v45
	v_or_b32_e32 v81, v40, v43
	v_or_b32_e32 v82, v40, v44
	v_or_b32_e32 v84, v41, v44
	v_xor_b32_e32 v5, 8, v4
	v_xor_b32_e32 v40, 24, v4
	v_xor_b32_e32 v42, 40, v4
	v_xor_b32_e32 v44, 56, v4
	s_add_u32 s3, s10, s20
	v_or_b32_e32 v83, v41, v43
	v_xor_b32_e32 v39, 16, v4
	v_xor_b32_e32 v41, 32, v4
	;; [unrolled: 1-line block ×3, first 2 shown]
	v_add_u32_e32 v5, 0x80, v5
	v_add_u32_e32 v40, 0x80, v40
	;; [unrolled: 1-line block ×4, first 2 shown]
	s_addc_u32 s24, s11, s21
	s_lshl_b64 s[20:21], s[40:41], 2
	s_add_u32 s20, s3, s20
	s_movk_i32 s3, 0xf8
	s_addc_u32 s21, s24, s21
	s_lshl_b32 s30, s19, 7
	s_movk_i32 s28, 0x100
	v_mov_b32_e32 v59, 0
	v_lshlrev_b32_e32 v58, 4, v66
	v_cmp_gt_u32_e32 vcc, s28, v0
	v_ashrrev_i32_e32 v57, 31, v56
	s_mov_b32 s62, 0
	s_movk_i32 s39, 0x1000
	s_movk_i32 s26, 0x4000
	v_lshl_add_u64 v[60:61], v[56:57], 1, s[8:9]
	s_waitcnt vmcnt(1)
	v_perm_b32 v45, v6, v14, s60
	s_waitcnt vmcnt(0)
	v_perm_b32 v46, v10, v34, s60
	v_perm_b32 v6, v6, v14, s61
	;; [unrolled: 1-line block ×15, first 2 shown]
	ds_write2st64_b32 v4, v45, v46 offset0:32 offset1:64
	ds_write2st64_b32 v5, v6, v10 offset0:32 offset1:64
	;; [unrolled: 1-line block ×8, first 2 shown]
	v_or_b32_e32 v4, v64, v66
	v_lshlrev_b32_e32 v4, 3, v4
	v_lshrrev_b32_e32 v7, 5, v51
	v_and_or_b32 v7, v4, s3, v7
	v_lshlrev_b32_e32 v7, 4, v7
	v_lshlrev_b32_e32 v5, 11, v1
	v_and_b32_e32 v4, 0x78, v4
	v_or_b32_e32 v12, 32, v7
	v_and_b32_e32 v6, 0x1000, v5
	v_lshrrev_b32_e32 v9, 1, v0
	v_xor_b32_e32 v12, v12, v4
	v_and_b32_e32 v10, 8, v9
	v_or_b32_e32 v12, v12, v6
	v_xor_b32_e32 v8, v7, v4
	v_xor_b32_e32 v87, v12, v10
	v_or_b32_e32 v12, 64, v7
	v_or_b32_e32 v7, 0x60, v7
	s_ashr_i32 s3, s2, 31
	v_xor_b32_e32 v12, v12, v4
	v_xor_b32_e32 v4, v7, v4
	s_lshl_b64 s[24:25], s[2:3], 8
	v_or_b32_e32 v8, v8, v6
	v_or_b32_e32 v12, v12, v6
	;; [unrolled: 1-line block ×3, first 2 shown]
	s_add_u32 s24, s22, s24
	v_lshlrev_b32_e32 v6, 1, v66
	v_xor_b32_e32 v89, v12, v10
	v_lshrrev_b32_e32 v12, 4, v0
	s_addc_u32 s25, s23, s25
	v_or_b32_e32 v7, 1, v6
	v_mov_b32_e32 v16, 0x4000
	v_mov_b32_e32 v17, 0x2000
	v_xor_b32_e32 v13, v12, v6
	v_xor_b32_e32 v14, v7, v12
	v_lshl_add_u64 v[6:7], s[24:25], 0, v[58:59]
	v_lshlrev_b32_e32 v58, 8, v12
	v_cndmask_b32_e32 v16, v16, v17, vcc
	v_lshlrev_b32_e32 v17, 3, v1
	v_and_b32_e32 v9, 24, v9
	v_lshl_or_b32 v93, v13, 3, v58
	v_and_b32_e32 v13, 8, v0
	v_xor_b32_e32 v34, v17, v9
	v_or_b32_e32 v35, 0x440, v34
	v_cmp_eq_u32_e32 vcc, 0, v13
	v_and_b32_e32 v12, 7, v0
	v_xor_b32_e32 v85, v8, v10
	v_cndmask_b32_e32 v13, v35, v34, vcc
	v_lshlrev_b32_e32 v8, 7, v65
	v_lshl_or_b32 v94, v14, 3, v58
	v_lshlrev_b32_e32 v14, 3, v12
	v_lshlrev_b32_e32 v12, 7, v12
	;; [unrolled: 1-line block ×3, first 2 shown]
	v_or_b32_e32 v13, v13, v5
	v_or_b32_e32 v11, v8, v38
	v_xad_u32 v95, v13, v14, v12
	v_and_or_b32 v8, v15, 60, v8
	v_mov_b32_e32 v13, 0xb000
	v_lshl_or_b32 v96, v8, 1, v13
	v_or_b32_e32 v8, 32, v9
	v_xor_b32_e32 v8, v17, v8
	v_or_b32_e32 v13, 0x440, v8
	v_cndmask_b32_e32 v8, v13, v8, vcc
	v_or_b32_e32 v8, v8, v5
	v_xad_u32 v97, v8, v14, v12
	v_or_b32_e32 v8, 64, v9
	v_xor_b32_e32 v8, v17, v8
	v_xor_b32_e32 v13, 0x440, v8
	v_cndmask_b32_e32 v8, v13, v8, vcc
	v_or_b32_e32 v8, v8, v5
	v_xad_u32 v98, v8, v14, v12
	v_or_b32_e32 v8, 0x60, v9
	v_xor_b32_e32 v8, v17, v8
	v_xor_b32_e32 v9, 0x440, v8
	v_cndmask_b32_e32 v8, v9, v8, vcc
	v_lshlrev_b32_e32 v11, 1, v11
	v_or_b32_e32 v5, v8, v5
	v_or_b32_e32 v86, 0xa000, v11
	;; [unrolled: 1-line block ×3, first 2 shown]
	v_xor_b32_e32 v90, v4, v10
	v_or_b32_e32 v91, 0xb000, v11
	v_or_b32_e32 v92, 0xb080, v11
	v_lshlrev_b32_e32 v4, 7, v69
	v_lshlrev_b32_e32 v10, 1, v3
	v_add_lshl_u32 v3, v3, s19, 1
	v_or_b32_e32 v11, 0x100, v2
	v_xad_u32 v99, v5, v14, v12
	v_cndmask_b32_e64 v100, v10, v2, s[0:1]
	v_cndmask_b32_e64 v101, v3, v11, s[0:1]
	v_lshl_add_u64 v[62:63], v[6:7], 0, v[58:59]
	s_mov_b32 s3, 0x7060302
	v_lshlrev_b32_e32 v58, 1, v4
	v_add_u32_e32 v57, v16, v95
	v_add_u32_e32 v102, v16, v97
	;; [unrolled: 1-line block ×4, first 2 shown]
	s_waitcnt lgkmcnt(0)
	s_barrier
	s_branch .LBB306_33
.LBB306_32:                             ;   in Loop: Header=BB306_33 Depth=1
	s_waitcnt vmcnt(2)
	v_exp_f32_e32 v34, s24
	s_nop 2
	v_accvgpr_read_b32 v17, a15
	v_accvgpr_read_b32 v2, a4
	;; [unrolled: 1-line block ×16, first 2 shown]
	v_fma_f32 v16, v32, v34, v16
	v_fmac_f32_e32 v17, v33, v34
	v_fma_f32 v2, v18, v34, v2
	v_fma_f32 v3, v19, v34, v3
	v_fma_f32 v4, v20, v34, v4
	v_fmac_f32_e32 v5, v21, v34
	v_fma_f32 v10, v26, v34, v10
	v_fma_f32 v11, v27, v34, v11
	;; [unrolled: 4-line block ×4, first 2 shown]
	s_add_i32 s57, s57, 64
	v_mov_b64_e32 v[32:33], v[16:17]
	s_cmp_eq_u32 s50, s41
	s_mov_b32 s62, s41
	v_mov_b64_e32 v[30:31], v[14:15]
	v_mov_b64_e32 v[28:29], v[12:13]
	;; [unrolled: 1-line block ×7, first 2 shown]
	s_cbranch_scc1 .LBB306_4
.LBB306_33:                             ; =>This Inner Loop Header: Depth=1
	s_add_i32 s41, s62, 1
	s_cmp_lt_i32 s41, s50
	s_mov_b64 s[28:29], 0
	s_cselect_b64 s[42:43], -1, 0
	s_cmp_ge_i32 s41, s50
	s_mov_b64 s[24:25], 0
	s_cbranch_scc1 .LBB306_35
; %bb.34:                               ;   in Loop: Header=BB306_33 Depth=1
	s_add_i32 s0, s57, 64
	s_ashr_i32 s1, s0, 31
	s_add_u32 s0, s55, s0
	s_addc_u32 s1, s54, s1
	s_lshl_b64 s[0:1], s[0:1], 8
	s_add_u32 s24, s6, s0
	s_addc_u32 s25, s7, s1
.LBB306_35:                             ;   in Loop: Header=BB306_33 Depth=1
	v_cndmask_b32_e64 v2, 0, 1, s[42:43]
	v_cmp_ne_u32_e64 s[0:1], 1, v2
	s_andn2_b64 vcc, exec, s[42:43]
	s_cbranch_vccnz .LBB306_37
; %bb.36:                               ;   in Loop: Header=BB306_33 Depth=1
	s_add_i32 s28, s57, 64
	s_mul_hi_i32 s29, s28, s18
	s_mul_i32 s28, s28, s18
	s_add_u32 s28, s28, s53
	s_addc_u32 s29, s29, s58
	s_lshl_b64 s[28:29], s[28:29], 8
	s_add_u32 s28, s4, s28
	s_addc_u32 s29, s5, s29
.LBB306_37:                             ;   in Loop: Header=BB306_33 Depth=1
	v_perm_b32 v3, v21, v20, s3
	v_perm_b32 v2, v19, v18, s3
	;; [unrolled: 1-line block ×4, first 2 shown]
	ds_write_b64 v77, v[2:3]
	ds_write_b64 v78, v[4:5]
	;; [unrolled: 1-line block ×4, first 2 shown]
	v_perm_b32 v3, v29, v28, s3
	v_perm_b32 v2, v27, v26, s3
	;; [unrolled: 1-line block ×4, first 2 shown]
	ds_write_b64 v79, v[2:3]
	ds_write_b64 v80, v[4:5]
	;; [unrolled: 1-line block ×4, first 2 shown]
	s_waitcnt lgkmcnt(0)
	s_barrier
	ds_read_b64 v[6:7], v85 offset:24576
	ds_read2_b64 v[2:5], v86 offset1:16
	ds_read_b64 v[10:11], v88 offset:3072
	ds_read_b64 v[12:13], v86 offset:3072
	;; [unrolled: 1-line block ×3, first 2 shown]
	s_waitcnt lgkmcnt(3)
	v_mfma_f32_16x16x16_bf16 a[0:3], v[6:7], v[2:3], 0
	s_add_i32 s31, s57, 63
	s_ashr_i32 s42, s31, 31
	s_mul_i32 s43, s31, s35
	v_mfma_f32_16x16x16_bf16 a[4:7], v[6:7], v[4:5], 0
	ds_read2st64_b64 v[2:5], v86 offset0:2 offset1:4
	s_mul_hi_u32 s63, s31, s34
	s_add_i32 s43, s63, s43
	s_waitcnt lgkmcnt(0)
	v_mfma_f32_16x16x16_bf16 a[0:3], v[14:15], v[2:3], a[0:3]
	ds_read2st64_b64 v[6:9], v88 offset0:2 offset1:4
	ds_read_b64 v[2:3], v89 offset:24576
	s_mul_i32 s42, s42, s34
	s_add_i32 s43, s43, s42
	s_waitcnt lgkmcnt(1)
	v_mfma_f32_16x16x16_bf16 a[4:7], v[14:15], v[6:7], a[4:7]
	ds_read_b64 v[6:7], v90 offset:24576
	s_mul_i32 s42, s31, s34
	s_lshl_b64 s[42:43], s[42:43], 2
	s_waitcnt lgkmcnt(1)
	v_mfma_f32_16x16x16_bf16 a[0:3], v[2:3], v[4:5], a[0:3]
	s_add_u32 s42, s20, s42
	s_addc_u32 s43, s21, s43
	s_and_b64 vcc, exec, s[0:1]
	v_mfma_f32_16x16x16_bf16 a[4:7], v[2:3], v[8:9], a[4:7]
	v_mov_b32_e32 v107, 0
	v_mov_b32_e32 v106, 0
	;; [unrolled: 1-line block ×3, first 2 shown]
	s_waitcnt lgkmcnt(0)
	v_mfma_f32_16x16x16_bf16 a[0:3], v[6:7], v[12:13], a[0:3]
	v_mov_b32_e32 v2, 0
	v_mov_b32_e32 v3, 0
	;; [unrolled: 1-line block ×3, first 2 shown]
	v_mfma_f32_16x16x16_bf16 a[4:7], v[6:7], v[10:11], a[4:7]
	v_mov_b32_e32 v5, 0
	v_mov_b32_e32 v6, 0
	;; [unrolled: 1-line block ×13, first 2 shown]
	s_cbranch_vccnz .LBB306_39
; %bb.38:                               ;   in Loop: Header=BB306_33 Depth=1
	s_and_b32 s25, s25, 0xffff
	buffer_load_dwordx4 v[14:17], v73, s[24:27], 0 offen
	buffer_load_dwordx4 v[10:13], v73, s[24:27], s59 offen
	;; [unrolled: 1-line block ×4, first 2 shown]
	v_mov_b32_e32 v106, v75
	v_mov_b32_e32 v105, v76
.LBB306_39:                             ;   in Loop: Header=BB306_33 Depth=1
	ds_read_b64 v[38:39], v85 offset:32768
	ds_read2_b64 v[34:37], v91 offset1:16
	ds_read_b64 v[42:43], v87 offset:32768
	ds_read_b64 v[44:45], v89 offset:32768
	;; [unrolled: 1-line block ×3, first 2 shown]
	v_add_u32_e32 v108, s57, v69
	s_waitcnt lgkmcnt(3)
	v_mfma_f32_16x16x16_bf16 a[0:3], v[38:39], v[34:35], a[0:3]
	v_mfma_f32_16x16x16_bf16 a[4:7], v[38:39], v[36:37], a[4:7]
	ds_read2st64_b64 v[34:37], v91 offset0:2 offset1:4
	ds_read2st64_b64 v[38:41], v92 offset0:2 offset1:4
	s_waitcnt lgkmcnt(1)
	v_mfma_f32_16x16x16_bf16 a[0:3], v[42:43], v[34:35], a[0:3]
	ds_read_b64 v[34:35], v91 offset:3072
	ds_read_b64 v[48:49], v92 offset:3072
	s_waitcnt lgkmcnt(2)
	v_mfma_f32_16x16x16_bf16 a[4:7], v[42:43], v[38:39], a[4:7]
	v_ashrrev_i32_e32 v38, 31, v108
	v_mul_lo_u32 v39, v108, s35
	v_mul_lo_u32 v38, v38, s34
	v_mfma_f32_16x16x16_bf16 a[0:3], v[44:45], v[36:37], a[0:3]
	v_mad_u64_u32 v[36:37], s[24:25], v108, s34, 0
	v_add3_u32 v37, v37, v39, v38
	v_add_u32_e32 v38, 1, v108
	v_ashrrev_i32_e32 v39, 31, v38
	v_mfma_f32_16x16x16_bf16 a[4:7], v[44:45], v[40:41], a[4:7]
	v_mul_lo_u32 v39, v39, s34
	v_mul_lo_u32 v40, v38, s35
	v_lshl_add_u64 v[36:37], v[36:37], 2, s[20:21]
	s_waitcnt lgkmcnt(1)
	v_mfma_f32_16x16x16_bf16 a[0:3], v[46:47], v[34:35], a[0:3]
	v_mad_u64_u32 v[34:35], s[24:25], v38, s34, 0
	v_add_u32_e32 v38, 2, v108
	v_add3_u32 v35, v35, v40, v39
	v_ashrrev_i32_e32 v39, 31, v38
	v_mul_lo_u32 v40, v39, s34
	v_mul_lo_u32 v41, v38, s35
	v_mad_u64_u32 v[38:39], s[24:25], v38, s34, 0
	v_add3_u32 v39, v39, v41, v40
	v_add_u32_e32 v40, 3, v108
	v_ashrrev_i32_e32 v41, 31, v40
	v_mul_lo_u32 v42, v41, s34
	v_mul_lo_u32 v43, v40, s35
	v_mad_u64_u32 v[40:41], s[24:25], v40, s34, 0
	v_add3_u32 v41, v41, v43, v42
	v_lshl_add_u64 v[40:41], v[40:41], 2, s[20:21]
	s_ashr_i32 s25, s57, 31
	v_lshl_add_u64 v[34:35], v[34:35], 2, s[20:21]
	v_lshl_add_u64 v[38:39], v[38:39], 2, s[20:21]
	global_load_dword v42, v[36:37], off
	global_load_dword v43, v[34:35], off
	;; [unrolled: 1-line block ×3, first 2 shown]
	s_nop 0
	global_load_dword v41, v[40:41], off
	s_add_u32 s24, s55, s57
	s_addc_u32 s25, s54, s25
	s_lshl_b64 s[24:25], s[24:25], 8
	v_lshl_add_u64 v[34:35], v[60:61], 0, s[24:25]
	v_lshl_add_u64 v[34:35], v[34:35], 0, v[58:59]
	global_load_ushort v45, v[34:35], off
	global_load_ushort v108, v[34:35], off offset:256
	global_load_ushort v109, v[34:35], off offset:800
	;; [unrolled: 1-line block ×7, first 2 shown]
	s_load_dword s24, s[42:43], 0x0
	s_waitcnt lgkmcnt(0)
	v_mfma_f32_16x16x16_bf16 a[4:7], v[46:47], v[48:49], a[4:7]
	v_accvgpr_read_b32 v39, a1
	v_accvgpr_read_b32 v35, a3
	;; [unrolled: 1-line block ×4, first 2 shown]
	s_and_b64 vcc, exec, s[0:1]
	s_waitcnt vmcnt(11)
	v_sub_f32_e32 v40, s24, v42
	s_waitcnt vmcnt(10)
	v_sub_f32_e32 v48, s24, v43
	;; [unrolled: 2-line block ×4, first 2 shown]
	v_exp_f32_e32 v40, v40
	v_exp_f32_e32 v41, v48
	;; [unrolled: 1-line block ×4, first 2 shown]
	s_waitcnt vmcnt(6)
	v_lshlrev_b32_e32 v43, 16, v108
	v_lshlrev_b32_e32 v42, 16, v45
	s_waitcnt vmcnt(4)
	v_lshlrev_b32_e32 v45, 16, v110
	s_waitcnt vmcnt(2)
	v_lshlrev_b32_e32 v44, 16, v112
	v_pk_add_f32 v[38:39], v[42:43], v[38:39] neg_lo:[0,1] neg_hi:[0,1]
	v_pk_add_f32 v[34:35], v[44:45], v[34:35] neg_lo:[0,1] neg_hi:[0,1]
	v_pk_mul_f32 v[38:39], v[40:41], v[38:39]
	v_pk_mul_f32 v[34:35], v[48:49], v[34:35]
	s_waitcnt vmcnt(1)
	v_lshlrev_b32_e32 v47, 16, v113
	v_perm_b32 v35, v35, v34, s3
	v_perm_b32 v34, v39, v38, s3
	v_accvgpr_read_b32 v39, a5
	s_waitcnt vmcnt(0)
	v_lshlrev_b32_e32 v46, 16, v114
	v_accvgpr_read_b32 v38, a4
	v_pk_add_f32 v[38:39], v[46:47], v[38:39] neg_lo:[0,1] neg_hi:[0,1]
	v_accvgpr_read_b32 v37, a7
	v_accvgpr_read_b32 v36, a6
	v_pk_mul_f32 v[38:39], v[40:41], v[38:39]
	v_lshlrev_b32_e32 v41, 16, v109
	v_lshlrev_b32_e32 v40, 16, v111
	v_pk_add_f32 v[36:37], v[40:41], v[36:37] neg_lo:[0,1] neg_hi:[0,1]
	v_mov_b32_e32 v108, 0
	v_pk_mul_f32 v[36:37], v[48:49], v[36:37]
	v_mov_b32_e32 v40, 0
	v_perm_b32 v37, v37, v36, s3
	v_perm_b32 v36, v39, v38, s3
	ds_write2_b64 v78, v[34:35], v[36:37] offset1:16
	v_mov_b32_e32 v34, 0
	v_mov_b32_e32 v35, 0
	;; [unrolled: 1-line block ×15, first 2 shown]
	s_cbranch_vccnz .LBB306_41
; %bb.40:                               ;   in Loop: Header=BB306_33 Depth=1
	s_and_b32 s29, s29, 0xffff
	s_mov_b32 s31, s27
	buffer_load_dwordx4 v[46:49], v100, s[28:31], 0 offen
	buffer_load_dwordx4 v[38:41], v100, s[28:31], s59 offen
	buffer_load_dwordx4 v[42:45], v101, s[28:31], 0 offen
	buffer_load_dwordx4 v[34:37], v101, s[28:31], s59 offen
	v_mov_b32_e32 v107, v72
	v_mov_b32_e32 v108, v71
.LBB306_41:                             ;   in Loop: Header=BB306_33 Depth=1
	s_waitcnt lgkmcnt(0)
	s_barrier
	ds_read_b64 v[114:115], v57
	ds_read_b64 v[122:123], v96
	;; [unrolled: 1-line block ×5, first 2 shown]
	ds_read_b64 v[128:129], v97 offset:16384
	ds_read_b64 v[130:131], v95 offset:16384
	ds_read2_b64 v[110:113], v91 offset0:16 offset1:128
	s_waitcnt lgkmcnt(6)
	v_mfma_f32_16x16x16_bf16 a[0:3], v[114:115], v[122:123], 0
	ds_read_b64 v[132:133], v92 offset:3072
	ds_read_b64 v[134:135], v99 offset:16384
	s_add_i32 s25, s56, s62
	s_waitcnt lgkmcnt(2)
	v_mfma_f32_16x16x16_bf16 a[4:7], v[114:115], v[110:111], 0
	ds_read2st64_b64 v[114:117], v92 offset0:2 offset1:4
	s_mul_hi_i32 s29, s25, s17
	s_mul_i32 s25, s25, s17
	v_mfma_f32_16x16x16_bf16 a[0:3], v[118:119], v[112:113], a[0:3]
	s_add_u32 s28, s25, s49
	s_addc_u32 s29, s29, s51
	s_lshl_b64 s[28:29], s[28:29], 15
	s_waitcnt lgkmcnt(0)
	v_mfma_f32_16x16x16_bf16 a[4:7], v[118:119], v[114:115], a[4:7]
	ds_read2st64_b64 v[118:121], v91 offset0:4 offset1:6
	s_waitcnt lgkmcnt(0)
	v_mfma_f32_16x16x16_bf16 a[0:3], v[124:125], v[118:119], a[0:3]
	v_mfma_f32_16x16x16_bf16 a[8:11], v[124:125], v[116:117], a[4:7]
	;; [unrolled: 1-line block ×5, first 2 shown]
	ds_read2st64_b64 v[122:125], v94 offset1:8
	v_mfma_f32_16x16x16_bf16 a[12:15], v[130:131], v[110:111], 0
	ds_read_b64 v[130:131], v98 offset:16384
	v_mfma_f32_16x16x16_bf16 a[8:11], v[128:129], v[112:113], a[8:11]
	ds_read2st64_b64 v[110:113], v93 offset1:8
	s_waitcnt lgkmcnt(0)
	v_mov_b32_e32 v126, v110
	v_mfma_f32_16x16x16_bf16 a[12:15], v[128:129], v[114:115], a[12:15]
	v_lshl_add_u64 v[114:115], v[62:63], 0, s[28:29]
	v_add_co_u32_e32 v110, vcc, s39, v114
	v_mfma_f32_16x16x16_bf16 a[8:11], v[130:131], v[118:119], a[8:11]
	v_mov_b32_e32 v127, v111
	v_addc_co_u32_e32 v111, vcc, 0, v115, vcc
	v_mfma_f32_16x16x16_bf16 a[12:15], v[130:131], v[116:117], a[12:15]
	v_mov_b32_e32 v128, v122
	v_mov_b32_e32 v129, v123
	;; [unrolled: 1-line block ×3, first 2 shown]
	v_mfma_f32_16x16x16_bf16 a[8:11], v[134:135], v[120:121], a[8:11]
	v_mov_b32_e32 v123, v113
	s_and_b64 vcc, exec, s[0:1]
	global_store_dwordx4 v[114:115], v[126:129], off
	v_mfma_f32_16x16x16_bf16 a[12:15], v[134:135], v[132:133], a[12:15]
	global_store_dwordx4 v[110:111], v[122:125], off
	s_cbranch_vccnz .LBB306_32
; %bb.42:                               ;   in Loop: Header=BB306_33 Depth=1
	v_lshrrev_b32_e32 v109, 3, v107
	v_and_b32_e32 v109, 6, v109
	v_xor_b32_e32 v108, v109, v108
	v_lshlrev_b32_e32 v108, 2, v108
	v_and_b32_e32 v107, 8, v107
	v_xor_b32_e32 v110, 0x440, v108
	v_cmp_eq_u32_e32 vcc, 0, v107
	s_barrier
	s_nop 0
	v_cndmask_b32_e32 v107, v110, v108, vcc
	v_lshl_or_b32 v107, v109, 10, v107
	s_waitcnt vmcnt(3)
	v_perm_b32 v108, v46, v42, s60
	s_waitcnt vmcnt(2)
	v_perm_b32 v109, v38, v34, s60
	ds_write2st64_b32 v107, v108, v109 offset0:32 offset1:64
	v_xor_b32_e32 v108, 8, v107
	v_perm_b32 v42, v46, v42, s61
	v_perm_b32 v34, v38, v34, s61
	v_add_u32_e32 v38, 0x80, v108
	ds_write2st64_b32 v38, v42, v34 offset0:32 offset1:64
	v_xor_b32_e32 v34, 16, v107
	v_perm_b32 v38, v47, v43, s60
	v_perm_b32 v42, v39, v35, s60
	ds_write2st64_b32 v34, v38, v42 offset0:33 offset1:65
	v_xor_b32_e32 v34, 24, v107
	v_perm_b32 v38, v47, v43, s61
	v_perm_b32 v35, v39, v35, s61
	v_add_u32_e32 v34, 0x80, v34
	ds_write2st64_b32 v34, v38, v35 offset0:33 offset1:65
	v_xor_b32_e32 v34, 32, v107
	v_perm_b32 v35, v48, v44, s60
	;; [unrolled: 9-line block ×3, first 2 shown]
	v_perm_b32 v36, v41, v37, s60
	ds_write2st64_b32 v34, v35, v36 offset0:35 offset1:67
	v_xor_b32_e32 v34, 56, v107
	v_perm_b32 v35, v49, v45, s61
	v_perm_b32 v36, v41, v37, s61
	v_add_u32_e32 v34, 0x80, v34
	ds_write2st64_b32 v34, v35, v36 offset0:35 offset1:67
	ds_write_b64 v106, v[14:15] offset:24576
	v_xor_b32_e32 v14, 8, v106
	ds_write_b64 v14, v[16:17] offset:24576
	ds_write_b64 v106, v[10:11] offset:32768
	;; [unrolled: 1-line block ×4, first 2 shown]
	v_xor_b32_e32 v6, 8, v105
	ds_write_b64 v6, v[8:9] offset:24576
	ds_write_b64 v105, v[2:3] offset:32768
	;; [unrolled: 1-line block ×3, first 2 shown]
	s_branch .LBB306_32
.LBB306_43:
                                        ; implicit-def: $vgpr21
                                        ; implicit-def: $vgpr25
                                        ; implicit-def: $vgpr29
                                        ; implicit-def: $vgpr33
	s_cbranch_execz .LBB306_45
; %bb.44:
	s_waitcnt vmcnt(0)
	v_mad_u64_u32 v[18:19], s[0:1], v36, s19, v[34:35]
	v_lshlrev_b32_e32 v36, 1, v18
	s_lshl_b32 s2, s19, 7
	s_and_b32 s1, s5, 0xffff
	s_mov_b32 s3, 0x20000
	s_mov_b32 s0, s4
	v_add_lshl_u32 v37, v18, s19, 1
	s_movk_i32 s17, 0x80
	buffer_load_dwordx4 v[18:21], v36, s[0:3], 0 offen
	buffer_load_dwordx4 v[26:29], v36, s[0:3], s17 offen
	buffer_load_dwordx4 v[22:25], v37, s[0:3], 0 offen
	buffer_load_dwordx4 v[30:33], v37, s[0:3], s17 offen
.LBB306_45:
	v_lshrrev_b32_e32 v47, 2, v51
	s_cbranch_execnz .LBB306_58
.LBB306_46:
	s_and_b64 vcc, exec, s[6:7]
	s_cbranch_vccz .LBB306_56
; %bb.47:
	s_waitcnt vmcnt(0)
	v_lshlrev_b32_e32 v23, 1, v42
	v_cmp_gt_i32_e32 vcc, s31, v23
	v_mov_b32_e32 v22, 0
	v_lshlrev_b32_e32 v30, 9, v42
	v_mov_b32_e32 v18, 0
	v_mov_b32_e32 v19, 0
	v_mov_b32_e32 v20, 0
	v_mov_b32_e32 v21, 0
	s_and_saveexec_b64 s[0:1], vcc
	s_cbranch_execz .LBB306_49
; %bb.48:
	v_mov_b32_e32 v31, 0
	v_lshl_add_u64 v[18:19], s[4:5], 0, v[30:31]
	v_lshlrev_b32_e32 v20, 1, v34
	v_mov_b32_e32 v21, v31
	v_lshl_add_u64 v[18:19], v[18:19], 0, v[20:21]
	global_load_dwordx4 v[18:21], v[18:19], off
.LBB306_49:
	s_or_b64 exec, exec, s[0:1]
	v_or_b32_e32 v23, 1, v23
	v_cmp_gt_i32_e64 s[0:1], s31, v23
	v_lshlrev_b32_e32 v36, 8, v23
	v_mov_b32_e32 v23, 0
	v_mov_b32_e32 v24, 0
	;; [unrolled: 1-line block ×3, first 2 shown]
	s_and_saveexec_b64 s[2:3], s[0:1]
	s_cbranch_execz .LBB306_51
; %bb.50:
	v_mov_b32_e32 v37, 0
	v_lshl_add_u64 v[22:23], s[4:5], 0, v[36:37]
	v_lshlrev_b32_e32 v24, 1, v34
	v_mov_b32_e32 v25, v37
	v_lshl_add_u64 v[22:23], v[22:23], 0, v[24:25]
	global_load_dwordx4 v[22:25], v[22:23], off
.LBB306_51:
	s_or_b64 exec, exec, s[2:3]
	v_mov_b32_e32 v33, 0
	v_mov_b32_e32 v26, 0
	;; [unrolled: 1-line block ×5, first 2 shown]
	s_and_saveexec_b64 s[2:3], vcc
	s_cbranch_execz .LBB306_53
; %bb.52:
	v_mov_b32_e32 v31, 0
	v_lshl_add_u64 v[26:27], s[4:5], 0, v[30:31]
	v_lshlrev_b32_e32 v30, 1, v34
	v_lshl_add_u64 v[26:27], v[26:27], 0, v[30:31]
	global_load_dwordx4 v[26:29], v[26:27], off offset:128
.LBB306_53:
	s_or_b64 exec, exec, s[2:3]
	v_mov_b32_e32 v32, 0
	v_mov_b32_e32 v31, 0
	;; [unrolled: 1-line block ×3, first 2 shown]
	s_and_saveexec_b64 s[2:3], s[0:1]
	s_cbranch_execz .LBB306_55
; %bb.54:
	v_mov_b32_e32 v37, 0
	v_lshl_add_u64 v[30:31], s[4:5], 0, v[36:37]
	v_lshlrev_b32_e32 v36, 1, v34
	v_lshl_add_u64 v[30:31], v[30:31], 0, v[36:37]
	global_load_dwordx4 v[30:33], v[30:31], off offset:128
.LBB306_55:
	s_or_b64 exec, exec, s[2:3]
	s_branch .LBB306_58
.LBB306_56:
                                        ; implicit-def: $vgpr21
                                        ; implicit-def: $vgpr25
                                        ; implicit-def: $vgpr29
                                        ; implicit-def: $vgpr33
	s_cbranch_execz .LBB306_58
; %bb.57:
	s_waitcnt vmcnt(0)
	v_lshlrev_b32_e32 v18, 1, v34
	v_lshl_or_b32 v34, v42, 9, v18
	s_and_b32 s5, s5, 0xffff
	s_mov_b32 s7, 0x20000
	s_movk_i32 s6, 0x4000
	s_movk_i32 s0, 0x80
	buffer_load_dwordx4 v[18:21], v34, s[4:7], 0 offen
	buffer_load_dwordx4 v[22:25], v34, s[4:7], 0 offen offset:256
	buffer_load_dwordx4 v[26:29], v34, s[4:7], s0 offen
	buffer_load_dwordx4 v[30:33], v34, s[4:7], s0 offen offset:256
.LBB306_58:
	ds_read_b64 v[36:37], v43 offset:32768
	v_add_u32_e32 v34, 0xb000, v40
	ds_read2_b64 v[58:61], v34 offset1:16
	ds_read_b64 v[48:49], v44 offset:32768
	ds_read_b64 v[44:45], v45 offset:32768
	;; [unrolled: 1-line block ×3, first 2 shown]
	v_and_b32_e32 v34, 6, v0
	v_xor_b32_e32 v42, v42, v34
	v_lshlrev_b32_e32 v42, 2, v42
	v_and_b32_e32 v43, 1, v0
	v_xor_b32_e32 v46, 0x440, v42
	v_cmp_eq_u32_e32 vcc, 0, v43
	s_waitcnt lgkmcnt(3)
	v_mfma_f32_16x16x16_bf16 a[0:3], v[36:37], v[58:59], a[0:3]
	s_mov_b32 s0, 0x1000504
	v_cndmask_b32_e32 v42, v46, v42, vcc
	v_lshl_or_b32 v34, v34, 10, v42
	v_mfma_f32_16x16x16_bf16 a[4:7], v[36:37], v[60:61], a[4:7]
	ds_read2st64_b64 v[58:61], v40 offset0:90 offset1:92
	ds_read2st64_b64 v[66:69], v41 offset0:90 offset1:92
	s_waitcnt vmcnt(0)
	v_perm_b32 v42, v18, v22, s0
	s_mov_b32 s1, 0x3020706
	s_waitcnt lgkmcnt(1)
	v_mfma_f32_16x16x16_bf16 a[0:3], v[48:49], v[58:59], a[0:3]
	ds_read_b64 v[36:37], v40 offset:48128
	ds_read_b64 v[58:59], v41 offset:48128
	v_perm_b32 v18, v18, v22, s1
	v_perm_b32 v22, v26, v30, s1
	s_waitcnt lgkmcnt(2)
	v_mfma_f32_16x16x16_bf16 a[4:7], v[48:49], v[66:67], a[4:7]
	v_mfma_f32_16x16x16_bf16 a[0:3], v[44:45], v[60:61], a[0:3]
	;; [unrolled: 1-line block ×3, first 2 shown]
	s_waitcnt lgkmcnt(1)
	v_mfma_f32_16x16x16_bf16 a[4:7], v[62:63], v[36:37], a[0:3]
	v_perm_b32 v36, v26, v30, s0
	ds_write2st64_b32 v34, v42, v36 offset0:32 offset1:64
	v_xor_b32_e32 v36, 8, v34
	v_add_u32_e32 v26, 0x80, v36
	ds_write2st64_b32 v26, v18, v22 offset0:32 offset1:64
	v_xor_b32_e32 v18, 16, v34
	v_perm_b32 v22, v19, v23, s0
	v_perm_b32 v26, v27, v31, s0
	ds_write2st64_b32 v18, v22, v26 offset0:33 offset1:65
	v_xor_b32_e32 v18, 24, v34
	v_perm_b32 v19, v19, v23, s1
	v_perm_b32 v22, v27, v31, s1
	v_add_u32_e32 v18, 0x80, v18
	ds_write2st64_b32 v18, v19, v22 offset0:33 offset1:65
	v_xor_b32_e32 v18, 32, v34
	v_perm_b32 v19, v20, v24, s0
	v_perm_b32 v22, v28, v32, s0
	ds_write2st64_b32 v18, v19, v22 offset0:34 offset1:66
	v_xor_b32_e32 v18, 40, v34
	s_waitcnt lgkmcnt(5)
	v_mfma_f32_16x16x16_bf16 a[0:3], v[62:63], v[58:59], a[8:11]
	v_perm_b32 v19, v20, v24, s1
	v_perm_b32 v20, v28, v32, s1
	v_add_u32_e32 v18, 0x80, v18
	ds_write2st64_b32 v18, v19, v20 offset0:34 offset1:66
	v_xor_b32_e32 v18, 48, v34
	v_perm_b32 v19, v21, v25, s0
	v_perm_b32 v20, v29, v33, s0
	ds_write2st64_b32 v18, v19, v20 offset0:35 offset1:67
	v_xor_b32_e32 v18, 56, v34
	v_and_or_b32 v37, v47, 12, v64
	v_perm_b32 v19, v21, v25, s1
	v_perm_b32 v20, v29, v33, s1
	v_add_u32_e32 v18, 0x80, v18
	v_cmp_gt_i32_e32 vcc, s31, v37
	v_mov_b32_e32 v32, 0
	v_mov_b32_e32 v34, 0
	ds_write2st64_b32 v18, v19, v20 offset0:35 offset1:67
	s_and_saveexec_b64 s[0:1], vcc
	s_cbranch_execz .LBB306_60
; %bb.59:
	v_add_u32_e32 v18, s30, v37
	v_ashrrev_i32_e32 v19, 31, v18
	v_mul_lo_u32 v20, v19, s34
	v_mul_lo_u32 v21, v18, s35
	v_mad_u64_u32 v[18:19], s[2:3], v18, s34, 0
	v_add3_u32 v19, v19, v21, v20
	v_lshl_add_u64 v[18:19], v[18:19], 2, s[10:11]
	global_load_dword v18, v[18:19], off
	s_waitcnt vmcnt(0)
	v_sub_f32_e32 v18, s16, v18
	v_exp_f32_e32 v34, v18
.LBB306_60:
	s_or_b64 exec, exec, s[0:1]
	v_or_b32_e32 v26, 1, v37
	v_cmp_gt_i32_e64 s[0:1], s31, v26
	s_and_saveexec_b64 s[2:3], s[0:1]
	s_cbranch_execz .LBB306_62
; %bb.61:
	v_add_u32_e32 v18, s30, v26
	v_ashrrev_i32_e32 v19, 31, v18
	v_mul_lo_u32 v20, v19, s34
	v_mul_lo_u32 v21, v18, s35
	v_mad_u64_u32 v[18:19], s[4:5], v18, s34, 0
	v_add3_u32 v19, v19, v21, v20
	v_lshl_add_u64 v[18:19], v[18:19], 2, s[10:11]
	global_load_dword v18, v[18:19], off
	s_waitcnt vmcnt(0)
	v_sub_f32_e32 v18, s16, v18
	v_exp_f32_e32 v32, v18
.LBB306_62:
	s_or_b64 exec, exec, s[2:3]
	v_or_b32_e32 v27, 2, v37
	v_cmp_gt_i32_e64 s[2:3], s31, v27
	v_mov_b32_e32 v33, 0
	v_mov_b32_e32 v36, 0
	s_and_saveexec_b64 s[4:5], s[2:3]
	s_cbranch_execz .LBB306_64
; %bb.63:
	v_add_u32_e32 v18, s30, v27
	v_ashrrev_i32_e32 v19, 31, v18
	v_mul_lo_u32 v20, v19, s34
	v_mul_lo_u32 v21, v18, s35
	v_mad_u64_u32 v[18:19], s[6:7], v18, s34, 0
	v_add3_u32 v19, v19, v21, v20
	v_lshl_add_u64 v[18:19], v[18:19], 2, s[10:11]
	global_load_dword v18, v[18:19], off
	s_waitcnt vmcnt(0)
	v_sub_f32_e32 v18, s16, v18
	v_exp_f32_e32 v36, v18
.LBB306_64:
	s_or_b64 exec, exec, s[4:5]
	v_or_b32_e32 v42, 3, v37
	v_cmp_gt_i32_e64 s[4:5], s31, v42
	s_and_saveexec_b64 s[6:7], s[4:5]
	s_cbranch_execz .LBB306_66
; %bb.65:
	v_add_u32_e32 v18, s30, v42
	v_ashrrev_i32_e32 v19, 31, v18
	v_mul_lo_u32 v20, v19, s34
	v_mul_lo_u32 v21, v18, s35
	v_mad_u64_u32 v[18:19], s[18:19], v18, s34, 0
	v_add3_u32 v19, v19, v21, v20
	v_lshl_add_u64 v[18:19], v[18:19], 2, s[10:11]
	global_load_dword v18, v[18:19], off
	s_waitcnt vmcnt(0)
	v_sub_f32_e32 v18, s16, v18
	v_exp_f32_e32 v33, v18
.LBB306_66:
	s_or_b64 exec, exec, s[6:7]
	s_add_u32 s6, s8, s24
	v_accvgpr_read_b32 v21, a7
	s_addc_u32 s7, s9, s25
	v_ashrrev_i32_e32 v57, 31, v56
	v_accvgpr_read_b32 v20, a6
	v_accvgpr_read_b32 v19, a5
	;; [unrolled: 1-line block ×3, first 2 shown]
	v_lshl_add_u64 v[22:23], v[56:57], 1, s[6:7]
	v_mov_b32_e32 v29, 0
	v_lshlrev_b32_e32 v24, 8, v37
	v_mov_b32_e32 v25, 0
	s_and_saveexec_b64 s[6:7], vcc
	s_cbranch_execz .LBB306_68
; %bb.67:
	v_mov_b32_e32 v25, 0
	v_lshl_add_u64 v[30:31], v[22:23], 0, v[24:25]
	global_load_ushort v25, v[30:31], off
	s_waitcnt vmcnt(0)
	v_lshlrev_b32_e32 v25, 16, v25
	v_sub_f32_e32 v18, v25, v18
	v_mul_f32_e32 v18, v34, v18
	v_lshrrev_b32_e32 v25, 16, v18
.LBB306_68:
	s_or_b64 exec, exec, s[6:7]
	v_lshlrev_b32_e32 v28, 8, v26
	s_and_saveexec_b64 s[6:7], s[0:1]
	s_cbranch_execz .LBB306_70
; %bb.69:
	v_mov_b32_e32 v29, 0
	v_lshl_add_u64 v[30:31], v[22:23], 0, v[28:29]
	global_load_ushort v18, v[30:31], off
	s_waitcnt vmcnt(0)
	v_lshlrev_b32_e32 v18, 16, v18
	v_sub_f32_e32 v18, v18, v19
	v_mul_f32_e32 v18, v32, v18
	v_lshrrev_b32_e32 v29, 16, v18
.LBB306_70:
	s_or_b64 exec, exec, s[6:7]
	v_mov_b32_e32 v43, 0
	v_lshlrev_b32_e32 v30, 8, v27
	v_mov_b32_e32 v31, 0
	s_and_saveexec_b64 s[6:7], s[2:3]
	s_cbranch_execz .LBB306_72
; %bb.71:
	v_mov_b32_e32 v31, 0
	v_lshl_add_u64 v[18:19], v[22:23], 0, v[30:31]
	global_load_ushort v18, v[18:19], off
	s_waitcnt vmcnt(0)
	v_lshlrev_b32_e32 v18, 16, v18
	v_sub_f32_e32 v18, v18, v20
	v_mul_f32_e32 v18, v36, v18
	v_lshrrev_b32_e32 v31, 16, v18
.LBB306_72:
	s_or_b64 exec, exec, s[6:7]
	v_lshlrev_b32_e32 v26, 8, v42
	s_and_saveexec_b64 s[6:7], s[4:5]
	s_cbranch_execz .LBB306_74
; %bb.73:
	v_mov_b32_e32 v27, 0
	v_lshl_add_u64 v[18:19], v[22:23], 0, v[26:27]
	global_load_ushort v18, v[18:19], off
	s_waitcnt vmcnt(0)
	v_lshlrev_b32_e32 v18, 16, v18
	v_sub_f32_e32 v18, v18, v21
	v_mul_f32_e32 v18, v33, v18
	v_lshrrev_b32_e32 v43, 16, v18
.LBB306_74:
	s_or_b64 exec, exec, s[6:7]
	v_lshlrev_b32_e32 v37, 5, v37
	s_mov_b32 s6, 0x5040100
	v_perm_b32 v42, v29, v25, s6
	v_or_b32_e32 v25, v37, v38
	v_accvgpr_read_b32 v21, a3
	v_perm_b32 v43, v43, v31, s6
	v_lshlrev_b32_e32 v25, 1, v25
	v_accvgpr_read_b32 v20, a2
	v_accvgpr_read_b32 v19, a1
	;; [unrolled: 1-line block ×3, first 2 shown]
	ds_write_b64 v25, v[42:43] offset:45056
	v_mov_b32_e32 v29, 0
	v_mov_b32_e32 v25, 0
	s_and_saveexec_b64 s[6:7], vcc
	s_cbranch_execz .LBB306_76
; %bb.75:
	v_mov_b32_e32 v25, 0
	v_lshl_add_u64 v[24:25], v[22:23], 0, v[24:25]
	global_load_ushort v24, v[24:25], off offset:32
	s_waitcnt vmcnt(0)
	v_lshlrev_b32_e32 v24, 16, v24
	v_sub_f32_e32 v18, v24, v18
	v_mul_f32_e32 v18, v34, v18
	v_lshrrev_b32_e32 v25, 16, v18
.LBB306_76:
	s_or_b64 exec, exec, s[6:7]
	s_and_saveexec_b64 s[6:7], s[0:1]
	s_cbranch_execz .LBB306_78
; %bb.77:
	v_mov_b32_e32 v29, 0
	v_lshl_add_u64 v[28:29], v[22:23], 0, v[28:29]
	global_load_ushort v18, v[28:29], off offset:32
	s_waitcnt vmcnt(0)
	v_lshlrev_b32_e32 v18, 16, v18
	v_sub_f32_e32 v18, v18, v19
	v_mul_f32_e32 v18, v32, v18
	v_lshrrev_b32_e32 v29, 16, v18
.LBB306_78:
	s_or_b64 exec, exec, s[6:7]
	v_mov_b32_e32 v24, 0
	v_mov_b32_e32 v28, 0
	s_and_saveexec_b64 s[0:1], s[2:3]
	s_cbranch_execz .LBB306_80
; %bb.79:
	v_mov_b32_e32 v31, 0
	v_lshl_add_u64 v[18:19], v[22:23], 0, v[30:31]
	global_load_ushort v18, v[18:19], off offset:32
	s_waitcnt vmcnt(0)
	v_lshlrev_b32_e32 v18, 16, v18
	v_sub_f32_e32 v18, v18, v20
	v_mul_f32_e32 v18, v36, v18
	v_lshrrev_b32_e32 v28, 16, v18
.LBB306_80:
	s_or_b64 exec, exec, s[0:1]
	v_or_b32_e32 v19, 0xb000, v40
	v_or_b32_e32 v18, 0xb000, v41
	s_and_saveexec_b64 s[0:1], s[4:5]
	s_cbranch_execz .LBB306_82
; %bb.81:
	v_mov_b32_e32 v27, 0
	v_lshl_add_u64 v[22:23], v[22:23], 0, v[26:27]
	global_load_ushort v20, v[22:23], off offset:32
	s_waitcnt vmcnt(0)
	v_lshlrev_b32_e32 v20, 16, v20
	v_sub_f32_e32 v20, v20, v21
	v_mul_f32_e32 v20, v33, v20
	v_lshrrev_b32_e32 v24, 16, v20
.LBB306_82:
	s_or_b64 exec, exec, s[0:1]
	s_mov_b32 s0, 0x5040100
	v_or_b32_e32 v22, v37, v35
	v_perm_b32 v21, v24, v28, s0
	v_perm_b32 v20, v29, v25, s0
	v_lshlrev_b32_e32 v22, 1, v22
	s_movk_i32 s0, 0x100
	ds_write_b64 v22, v[20:21] offset:45056
	v_and_b32_e32 v20, 7, v0
	v_and_b32_e32 v21, 8, v0
	v_cmp_gt_u32_e32 vcc, s0, v0
	v_lshrrev_b32_e32 v0, 1, v0
	v_lshlrev_b32_e32 v37, 3, v1
	v_and_b32_e32 v38, 24, v0
	v_lshlrev_b32_e32 v34, 3, v20
	v_lshlrev_b32_e32 v35, 7, v20
	v_mov_b32_e32 v20, 0x4000
	v_mov_b32_e32 v22, 0x2000
	v_xor_b32_e32 v0, v37, v38
	v_cndmask_b32_e32 v36, v20, v22, vcc
	v_or_b32_e32 v1, 0x440, v0
	v_cmp_eq_u32_e32 vcc, 0, v21
	s_waitcnt lgkmcnt(0)
	s_barrier
	v_cndmask_b32_e32 v0, v1, v0, vcc
	v_or_b32_e32 v0, v0, v39
	v_xad_u32 v40, v0, v34, v35
	v_add_u32_e32 v0, v36, v40
	ds_read_b64 v[0:1], v0
	ds_read2_b64 v[20:23], v19 offset1:16
	v_or_b32_e32 v24, 32, v38
	v_xor_b32_e32 v24, v37, v24
	v_or_b32_e32 v25, 0x440, v24
	v_cndmask_b32_e32 v24, v25, v24, vcc
	s_waitcnt lgkmcnt(0)
	v_mfma_f32_16x16x16_bf16 a[0:3], v[0:1], v[20:21], 0
	v_or_b32_e32 v24, v24, v39
	v_xad_u32 v41, v24, v34, v35
	v_add_u32_e32 v24, v36, v41
	v_mfma_f32_16x16x16_bf16 a[4:7], v[0:1], v[22:23], 0
	v_or_b32_e32 v0, 64, v38
	v_xor_b32_e32 v0, v37, v0
	v_xor_b32_e32 v1, 0x440, v0
	ds_read_b64 v[32:33], v24
	v_cndmask_b32_e32 v0, v1, v0, vcc
	v_or_b32_e32 v0, v0, v39
	v_xad_u32 v42, v0, v34, v35
	v_add_u32_e32 v0, v36, v42
	ds_read_b64 v[0:1], v0
	ds_read2st64_b64 v[24:27], v19 offset0:2 offset1:4
	ds_read2st64_b64 v[28:31], v18 offset0:2 offset1:4
	s_waitcnt lgkmcnt(1)
	v_mfma_f32_16x16x16_bf16 a[0:3], v[32:33], v[24:25], a[0:3]
	s_waitcnt lgkmcnt(0)
	v_mfma_f32_16x16x16_bf16 a[4:7], v[32:33], v[28:29], a[4:7]
	v_or_b32_e32 v32, 0x60, v38
	v_xor_b32_e32 v32, v37, v32
	v_xor_b32_e32 v33, 0x440, v32
	v_cndmask_b32_e32 v32, v33, v32, vcc
	v_or_b32_e32 v32, v32, v39
	v_xad_u32 v37, v32, v34, v35
	v_add_u32_e32 v32, v36, v37
	ds_read_b64 v[32:33], v32
	v_mfma_f32_16x16x16_bf16 a[0:3], v[0:1], v[26:27], a[0:3]
	v_exp_f32_e32 v36, s16
	v_mfma_f32_16x16x16_bf16 a[4:7], v[0:1], v[30:31], a[4:7]
	ds_read_b64 v[0:1], v19 offset:3072
	ds_read_b64 v[34:35], v18 offset:3072
	;; [unrolled: 1-line block ×3, first 2 shown]
	s_waitcnt lgkmcnt(0)
	v_mfma_f32_16x16x16_bf16 a[8:11], v[18:19], v[20:21], 0
	ds_read_b64 v[20:21], v41 offset:16384
	v_mfma_f32_16x16x16_bf16 a[0:3], v[32:33], v[0:1], a[0:3]
	v_mfma_f32_16x16x16_bf16 a[12:15], v[18:19], v[22:23], 0
	ds_read_b64 v[22:23], v42 offset:16384
	s_nop 4
	v_accvgpr_read_b32 v18, a0
	v_fma_f32 v18, v2, v36, v18
	v_accvgpr_read_b32 v2, a1
	v_fma_f32 v19, v3, v36, v2
	v_accvgpr_read_b32 v2, a2
	s_waitcnt lgkmcnt(1)
	v_mfma_f32_16x16x16_bf16 a[8:11], v[20:21], v[24:25], a[8:11]
	v_mfma_f32_16x16x16_bf16 a[12:15], v[20:21], v[28:29], a[12:15]
	v_fma_f32 v20, v4, v36, v2
	ds_read_b64 v[2:3], v37 offset:16384
	v_accvgpr_read_b32 v21, a3
	s_waitcnt lgkmcnt(1)
	v_mfma_f32_16x16x16_bf16 a[0:3], v[22:23], v[26:27], a[8:11]
	v_fmac_f32_e32 v21, v5, v36
	v_mfma_f32_16x16x16_bf16 a[4:7], v[32:33], v[34:35], a[4:7]
	v_mfma_f32_16x16x16_bf16 a[8:11], v[22:23], v[30:31], a[12:15]
	s_waitcnt lgkmcnt(0)
	v_mfma_f32_16x16x16_bf16 a[0:3], v[2:3], v[0:1], a[0:3]
	s_nop 3
	v_accvgpr_read_b32 v4, a4
	v_fma_f32 v26, v10, v36, v4
	v_accvgpr_read_b32 v4, a5
	v_fma_f32 v27, v11, v36, v4
	v_accvgpr_read_b32 v4, a6
	v_accvgpr_read_b32 v29, a7
	v_mfma_f32_16x16x16_bf16 a[4:7], v[2:3], v[34:35], a[8:11]
	v_accvgpr_read_b32 v0, a0
	v_fma_f32 v22, v6, v36, v0
	v_accvgpr_read_b32 v0, a1
	v_fma_f32 v23, v7, v36, v0
	v_accvgpr_read_b32 v0, a2
	v_fma_f32 v24, v8, v36, v0
	v_accvgpr_read_b32 v25, a3
	v_accvgpr_read_b32 v0, a4
	v_fma_f32 v30, v14, v36, v0
	v_accvgpr_read_b32 v0, a5
	v_fma_f32 v31, v15, v36, v0
	v_accvgpr_read_b32 v0, a6
	v_accvgpr_read_b32 v33, a7
	v_fma_f32 v28, v12, v36, v4
	v_fmac_f32_e32 v29, v13, v36
	v_fmac_f32_e32 v25, v9, v36
	v_fma_f32 v32, v16, v36, v0
	v_fmac_f32_e32 v33, v17, v36
	v_mov_b64_e32 v[2:3], v[18:19]
	v_mov_b64_e32 v[4:5], v[20:21]
	;; [unrolled: 1-line block ×8, first 2 shown]
.LBB306_83:
	s_add_u32 s0, s12, s14
	s_addc_u32 s1, s13, s15
	v_lshl_add_u64 v[0:1], v[52:53], 1, s[0:1]
	v_mov_b32_e32 v51, 0
	s_mov_b32 s2, 0x7060302
	v_lshl_add_u64 v[0:1], v[0:1], 0, v[50:51]
	v_perm_b32 v5, v5, v4, s2
	v_perm_b32 v4, v3, v2, s2
	;; [unrolled: 1-line block ×4, first 2 shown]
	global_store_dwordx2 v[0:1], v[4:5], off
	global_store_dwordx2 v[0:1], v[2:3], off offset:128
	v_lshl_add_u64 v[0:1], v[54:55], 1, s[0:1]
	v_lshl_add_u64 v[0:1], v[0:1], 0, v[50:51]
	v_perm_b32 v3, v13, v12, s2
	v_perm_b32 v2, v11, v10, s2
	global_store_dwordx2 v[0:1], v[2:3], off
	v_perm_b32 v3, v17, v16, s2
	v_perm_b32 v2, v15, v14, s2
	global_store_dwordx2 v[0:1], v[2:3], off offset:128
	s_endpgm
	.section	.rodata,"a",@progbits
	.p2align	6, 0x0
	.amdhsa_kernel _ZN12_GLOBAL__N_139chunk_gated_delta_rule_fwd_h_hip_kernelILi32ELb1ELb1ELb0ELb1ELb1ELb0ELb0ELb1EEEvPK12hip_bfloat16S3_S3_PKfS5_PKvPS1_S8_PvPKiSB_iiiiilll
		.amdhsa_group_segment_fixed_size 49152
		.amdhsa_private_segment_fixed_size 0
		.amdhsa_kernarg_size 136
		.amdhsa_user_sgpr_count 2
		.amdhsa_user_sgpr_dispatch_ptr 0
		.amdhsa_user_sgpr_queue_ptr 0
		.amdhsa_user_sgpr_kernarg_segment_ptr 1
		.amdhsa_user_sgpr_dispatch_id 0
		.amdhsa_user_sgpr_kernarg_preload_length 0
		.amdhsa_user_sgpr_kernarg_preload_offset 0
		.amdhsa_user_sgpr_private_segment_size 0
		.amdhsa_uses_dynamic_stack 0
		.amdhsa_enable_private_segment 0
		.amdhsa_system_sgpr_workgroup_id_x 1
		.amdhsa_system_sgpr_workgroup_id_y 1
		.amdhsa_system_sgpr_workgroup_id_z 0
		.amdhsa_system_sgpr_workgroup_info 0
		.amdhsa_system_vgpr_workitem_id 0
		.amdhsa_next_free_vgpr 152
		.amdhsa_next_free_sgpr 64
		.amdhsa_accum_offset 136
		.amdhsa_reserve_vcc 1
		.amdhsa_float_round_mode_32 0
		.amdhsa_float_round_mode_16_64 0
		.amdhsa_float_denorm_mode_32 3
		.amdhsa_float_denorm_mode_16_64 3
		.amdhsa_dx10_clamp 1
		.amdhsa_ieee_mode 1
		.amdhsa_fp16_overflow 0
		.amdhsa_tg_split 0
		.amdhsa_exception_fp_ieee_invalid_op 0
		.amdhsa_exception_fp_denorm_src 0
		.amdhsa_exception_fp_ieee_div_zero 0
		.amdhsa_exception_fp_ieee_overflow 0
		.amdhsa_exception_fp_ieee_underflow 0
		.amdhsa_exception_fp_ieee_inexact 0
		.amdhsa_exception_int_div_zero 0
	.end_amdhsa_kernel
	.section	.text._ZN12_GLOBAL__N_139chunk_gated_delta_rule_fwd_h_hip_kernelILi32ELb1ELb1ELb0ELb1ELb1ELb0ELb0ELb1EEEvPK12hip_bfloat16S3_S3_PKfS5_PKvPS1_S8_PvPKiSB_iiiiilll,"axG",@progbits,_ZN12_GLOBAL__N_139chunk_gated_delta_rule_fwd_h_hip_kernelILi32ELb1ELb1ELb0ELb1ELb1ELb0ELb0ELb1EEEvPK12hip_bfloat16S3_S3_PKfS5_PKvPS1_S8_PvPKiSB_iiiiilll,comdat
.Lfunc_end306:
	.size	_ZN12_GLOBAL__N_139chunk_gated_delta_rule_fwd_h_hip_kernelILi32ELb1ELb1ELb0ELb1ELb1ELb0ELb0ELb1EEEvPK12hip_bfloat16S3_S3_PKfS5_PKvPS1_S8_PvPKiSB_iiiiilll, .Lfunc_end306-_ZN12_GLOBAL__N_139chunk_gated_delta_rule_fwd_h_hip_kernelILi32ELb1ELb1ELb0ELb1ELb1ELb0ELb0ELb1EEEvPK12hip_bfloat16S3_S3_PKfS5_PKvPS1_S8_PvPKiSB_iiiiilll
                                        ; -- End function
	.section	.AMDGPU.csdata,"",@progbits
; Kernel info:
; codeLenInByte = 9328
; NumSgprs: 70
; NumVgprs: 136
; NumAgprs: 16
; TotalNumVgprs: 152
; ScratchSize: 0
; MemoryBound: 0
; FloatMode: 240
; IeeeMode: 1
; LDSByteSize: 49152 bytes/workgroup (compile time only)
; SGPRBlocks: 8
; VGPRBlocks: 18
; NumSGPRsForWavesPerEU: 70
; NumVGPRsForWavesPerEU: 152
; AccumOffset: 136
; Occupancy: 1
; WaveLimiterHint : 1
; COMPUTE_PGM_RSRC2:SCRATCH_EN: 0
; COMPUTE_PGM_RSRC2:USER_SGPR: 2
; COMPUTE_PGM_RSRC2:TRAP_HANDLER: 0
; COMPUTE_PGM_RSRC2:TGID_X_EN: 1
; COMPUTE_PGM_RSRC2:TGID_Y_EN: 1
; COMPUTE_PGM_RSRC2:TGID_Z_EN: 0
; COMPUTE_PGM_RSRC2:TIDIG_COMP_CNT: 0
; COMPUTE_PGM_RSRC3_GFX90A:ACCUM_OFFSET: 33
; COMPUTE_PGM_RSRC3_GFX90A:TG_SPLIT: 0
	.section	.text._ZN12_GLOBAL__N_139chunk_gated_delta_rule_fwd_h_hip_kernelILi32ELb1ELb0ELb1ELb1ELb1ELb0ELb0ELb1EEEvPK12hip_bfloat16S3_S3_PKfS5_PKvPS1_S8_PvPKiSB_iiiiilll,"axG",@progbits,_ZN12_GLOBAL__N_139chunk_gated_delta_rule_fwd_h_hip_kernelILi32ELb1ELb0ELb1ELb1ELb1ELb0ELb0ELb1EEEvPK12hip_bfloat16S3_S3_PKfS5_PKvPS1_S8_PvPKiSB_iiiiilll,comdat
	.globl	_ZN12_GLOBAL__N_139chunk_gated_delta_rule_fwd_h_hip_kernelILi32ELb1ELb0ELb1ELb1ELb1ELb0ELb0ELb1EEEvPK12hip_bfloat16S3_S3_PKfS5_PKvPS1_S8_PvPKiSB_iiiiilll ; -- Begin function _ZN12_GLOBAL__N_139chunk_gated_delta_rule_fwd_h_hip_kernelILi32ELb1ELb0ELb1ELb1ELb1ELb0ELb0ELb1EEEvPK12hip_bfloat16S3_S3_PKfS5_PKvPS1_S8_PvPKiSB_iiiiilll
	.p2align	8
	.type	_ZN12_GLOBAL__N_139chunk_gated_delta_rule_fwd_h_hip_kernelILi32ELb1ELb0ELb1ELb1ELb1ELb0ELb0ELb1EEEvPK12hip_bfloat16S3_S3_PKfS5_PKvPS1_S8_PvPKiSB_iiiiilll,@function
_ZN12_GLOBAL__N_139chunk_gated_delta_rule_fwd_h_hip_kernelILi32ELb1ELb0ELb1ELb1ELb1ELb0ELb0ELb1EEEvPK12hip_bfloat16S3_S3_PKfS5_PKvPS1_S8_PvPKiSB_iiiiilll: ; @_ZN12_GLOBAL__N_139chunk_gated_delta_rule_fwd_h_hip_kernelILi32ELb1ELb0ELb1ELb1ELb1ELb0ELb0ELb1EEEvPK12hip_bfloat16S3_S3_PKfS5_PKvPS1_S8_PvPKiSB_iiiiilll
; %bb.0:
	s_load_dwordx4 s[12:15], s[0:1], 0x5c
	s_load_dwordx4 s[4:7], s[0:1], 0x48
	s_abs_i32 s9, s3
	s_ashr_i32 s8, s3, 31
	v_and_b32_e32 v63, 15, v0
	s_waitcnt lgkmcnt(0)
	s_abs_i32 s10, s13
	v_cvt_f32_u32_e32 v1, s10
	s_sub_i32 s16, 0, s10
	s_ashr_i32 s11, s13, 31
	s_xor_b32 s8, s8, s11
	v_rcp_iflag_f32_e32 v1, v1
	v_lshrrev_b32_e32 v61, 6, v0
	v_bfe_u32 v62, v0, 4, 2
	v_mov_b32_e32 v7, 0
	v_mul_f32_e32 v1, 0x4f7ffffe, v1
	v_cvt_u32_f32_e32 v1, v1
	v_and_b32_e32 v60, 63, v0
	v_lshlrev_b32_e32 v64, 3, v0
	v_lshrrev_b32_e32 v65, 3, v60
	v_readfirstlane_b32 s17, v1
	s_mul_i32 s16, s16, s17
	s_mul_hi_u32 s16, s17, s16
	s_add_i32 s17, s17, s16
	s_mul_hi_u32 s16, s9, s17
	s_mul_i32 s17, s16, s10
	s_sub_i32 s9, s9, s17
	s_add_i32 s18, s16, 1
	s_sub_i32 s17, s9, s10
	s_cmp_ge_u32 s9, s10
	s_cselect_b32 s16, s18, s16
	s_cselect_b32 s9, s17, s9
	s_add_i32 s17, s16, 1
	s_cmp_ge_u32 s9, s10
	s_cselect_b32 s9, s17, s16
	s_xor_b32 s9, s9, s8
	s_sub_i32 s20, s9, s8
	s_mul_i32 s24, s20, s13
	s_ashr_i32 s21, s20, 31
	s_sub_i32 s47, s3, s24
	s_lshl_b64 s[8:9], s[20:21], 2
	s_add_u32 s4, s4, s8
	s_addc_u32 s5, s5, s9
	s_add_u32 s22, s6, s8
	s_addc_u32 s23, s7, s9
	s_abs_i32 s3, s14
	v_cvt_f32_u32_e32 v1, s3
	s_load_dwordx2 s[34:35], s[4:5], 0x0
	s_sub_i32 s5, 0, s3
	s_lshl_b32 s2, s2, 5
	v_rcp_iflag_f32_e32 v1, v1
	s_load_dwordx4 s[16:19], s[0:1], 0x28
	s_load_dwordx2 s[28:29], s[0:1], 0x38
	s_waitcnt lgkmcnt(0)
	s_sub_i32 s50, s35, s34
	s_ashr_i32 s4, s50, 31
	v_mul_f32_e32 v1, 0x4f7ffffe, v1
	v_cvt_u32_f32_e32 v1, v1
	s_lshr_b32 s4, s4, 26
	s_add_i32 s4, s50, s4
	s_ashr_i32 s48, s4, 6
	v_readfirstlane_b32 s6, v1
	s_mul_i32 s5, s5, s6
	s_mul_hi_u32 s5, s6, s5
	s_add_i32 s6, s6, s5
	s_mul_hi_u32 s5, s10, s6
	s_mul_i32 s6, s5, s3
	s_ashr_i32 s4, s14, 31
	s_sub_i32 s6, s10, s6
	s_xor_b32 s4, s11, s4
	s_add_i32 s7, s5, 1
	s_sub_i32 s8, s6, s3
	s_cmp_ge_u32 s6, s3
	s_cselect_b32 s5, s7, s5
	s_cselect_b32 s6, s8, s6
	s_add_i32 s7, s5, 1
	s_cmp_ge_u32 s6, s3
	s_cselect_b32 s3, s7, s5
	s_xor_b32 s3, s3, s4
	s_sub_i32 s3, s3, s4
	s_abs_i32 s4, s3
	v_cvt_f32_u32_e32 v1, s4
	s_sub_i32 s6, 0, s4
	s_abs_i32 s5, s47
	s_xor_b32 s3, s47, s3
	v_rcp_iflag_f32_e32 v1, v1
	s_ashr_i32 s3, s3, 31
	v_or_b32_e32 v50, s2, v63
	v_lshlrev_b32_e32 v2, 7, v50
	v_mul_f32_e32 v1, 0x4f7ffffe, v1
	v_cvt_u32_f32_e32 v1, v1
	v_ashrrev_i32_e32 v3, 31, v2
	s_mul_hi_i32 s52, s47, s12
	s_mul_i32 s53, s47, s12
	v_readfirstlane_b32 s7, v1
	s_mul_i32 s6, s6, s7
	s_mul_hi_u32 s6, s7, s6
	s_add_i32 s7, s7, s6
	s_mul_hi_u32 s6, s5, s7
	s_mul_i32 s7, s6, s4
	s_sub_i32 s5, s5, s7
	s_add_i32 s7, s6, 1
	s_sub_i32 s8, s5, s4
	s_cmp_ge_u32 s5, s4
	s_cselect_b32 s6, s7, s6
	s_cselect_b32 s5, s8, s5
	s_add_i32 s7, s6, 1
	s_cmp_ge_u32 s5, s4
	s_cselect_b32 s4, s7, s6
	s_xor_b32 s4, s4, s3
	s_sub_i32 s51, s4, s3
	s_ashr_i32 s49, s47, 31
	s_mul_hi_i32 s3, s20, s13
	s_add_u32 s4, s24, s47
	s_addc_u32 s5, s3, s49
	s_lshl_b64 s[4:5], s[4:5], 15
	s_add_u32 s4, s16, s4
	s_addc_u32 s5, s17, s5
	v_lshlrev_b32_e32 v1, 4, v61
	v_lshl_add_u64 v[4:5], v[2:3], 1, s[4:5]
	v_or_b32_e32 v2, 0x800, v2
	v_lshl_or_b32 v66, v62, 2, v1
	v_ashrrev_i32_e32 v3, 31, v2
	v_lshlrev_b32_e32 v6, 1, v66
	v_lshl_add_u64 v[2:3], v[2:3], 1, s[4:5]
	v_lshl_add_u64 v[4:5], v[4:5], 0, v[6:7]
	;; [unrolled: 1-line block ×3, first 2 shown]
	global_load_dwordx2 v[8:9], v[4:5], off
	v_or_b32_e32 v67, 64, v66
	global_load_dwordx2 v[4:5], v[4:5], off offset:128
	s_nop 0
	global_load_dwordx2 v[6:7], v[2:3], off
	global_load_dwordx2 v[10:11], v[2:3], off offset:128
	s_load_dwordx8 s[4:11], s[0:1], 0x0
	s_load_dwordx2 s[30:31], s[0:1], 0x80
	s_load_dwordx4 s[24:27], s[0:1], 0x70
	s_load_dword s54, s[22:23], 0x0
	s_cmp_lt_i32 s50, 64
	s_waitcnt lgkmcnt(0)
	s_mul_i32 s33, s20, s25
	s_mul_hi_u32 s42, s20, s24
	s_mul_i32 s36, s20, s24
	s_mul_i32 s43, s21, s24
	;; [unrolled: 1-line block ×3, first 2 shown]
	s_mul_hi_u32 s45, s47, s26
	s_mul_i32 s46, s49, s26
	s_mul_i32 s38, s47, s26
	s_waitcnt vmcnt(3)
	v_and_b32_e32 v19, 0xffff0000, v8
	v_lshlrev_b32_e32 v18, 16, v8
	v_and_b32_e32 v21, 0xffff0000, v9
	v_lshlrev_b32_e32 v20, 16, v9
	s_waitcnt vmcnt(2)
	v_and_b32_e32 v23, 0xffff0000, v4
	v_lshlrev_b32_e32 v22, 16, v4
	v_and_b32_e32 v25, 0xffff0000, v5
	v_lshlrev_b32_e32 v24, 16, v5
	;; [unrolled: 5-line block ×4, first 2 shown]
	s_cbranch_scc1 .LBB307_17
; %bb.1:
	s_ashr_i32 s1, s34, 31
	s_add_u32 s0, s53, s34
	s_addc_u32 s1, s52, s1
	s_lshl_b64 s[0:1], s[0:1], 8
	v_and_b32_e32 v69, 56, v64
	s_add_u32 s20, s6, s0
	v_lshl_or_b32 v68, v61, 3, v65
	v_lshlrev_b32_e32 v2, 1, v69
	s_addc_u32 s0, s7, s1
	v_lshl_or_b32 v70, v68, 8, v2
	s_and_b32 s21, s0, 0xffff
	s_mov_b32 s23, 0x20000
	s_movk_i32 s22, 0x4000
	s_movk_i32 s0, 0x80
	v_or_b32_e32 v71, 0x2000, v70
	buffer_load_dwordx4 v[4:7], v70, s[20:23], 0 offen
	buffer_load_dwordx4 v[8:11], v70, s[20:23], s0 offen
	;; [unrolled: 1-line block ×4, first 2 shown]
	v_lshlrev_b32_e32 v3, 3, v68
	v_and_or_b32 v17, v0, 7, v3
	v_and_b32_e32 v3, 0x78, v3
	v_lshlrev_b32_e32 v17, 4, v17
	v_xor_b32_e32 v72, v17, v3
	v_mul_lo_u32 v16, v68, s15
	v_or_b32_e32 v73, 0x1000, v72
	v_xor_b32_e32 v3, 8, v72
	s_cmpk_eq_i32 s15, 0x80
	s_mov_b32 s55, s34
	v_xor_b32_e32 v17, 8, v73
	s_cselect_b64 s[0:1], -1, 0
	s_cmpk_lg_i32 s15, 0x80
	s_waitcnt vmcnt(3)
	ds_write_b64 v72, v[4:5] offset:24576
	ds_write_b64 v3, v[6:7] offset:24576
	s_waitcnt vmcnt(2)
	ds_write_b64 v72, v[8:9] offset:32768
	ds_write_b64 v3, v[10:11] offset:32768
	;; [unrolled: 3-line block ×4, first 2 shown]
	v_lshl_add_u32 v3, v16, 1, v69
	s_cbranch_scc0 .LBB307_3
; %bb.2:
	v_lshlrev_b32_e32 v5, 1, v3
	v_add_lshl_u32 v4, v3, s15, 1
	s_lshl_b32 s22, s15, 7
	v_lshl_or_b32 v2, v68, 9, v2
	s_cbranch_execz .LBB307_4
	s_branch .LBB307_5
.LBB307_3:
                                        ; implicit-def: $vgpr4
                                        ; implicit-def: $vgpr5
                                        ; implicit-def: $sgpr22
	v_lshl_or_b32 v2, v68, 9, v2
.LBB307_4:
	v_or_b32_e32 v4, 0x100, v2
	s_movk_i32 s22, 0x4000
	v_mov_b32_e32 v5, v2
.LBB307_5:
	s_mul_i32 s16, s34, s14
	s_ashr_i32 s56, s51, 31
	s_mul_hi_i32 s3, s34, s14
	s_add_u32 s16, s16, s51
	s_addc_u32 s17, s3, s56
	s_lshl_b64 s[16:17], s[16:17], 8
	s_add_u32 s20, s4, s16
	s_addc_u32 s3, s5, s17
	s_and_b32 s21, s3, 0xffff
	s_movk_i32 s57, 0x80
	buffer_load_dwordx4 v[6:9], v5, s[20:23], 0 offen
	buffer_load_dwordx4 v[10:13], v5, s[20:23], s57 offen
	;; [unrolled: 1-line block ×4, first 2 shown]
	v_and_b32_e32 v4, 6, v0
	v_lshlrev_b32_e32 v39, 6, v66
	v_or_b32_e32 v41, 16, v63
	v_xor_b32_e32 v42, v68, v4
	v_and_b32_e32 v5, 1, v0
	v_lshl_or_b32 v45, v63, 3, v39
	v_lshl_or_b32 v39, v41, 3, v39
	v_lshlrev_b32_e32 v42, 2, v42
	v_lshlrev_b32_e32 v38, 2, v63
	v_or_b32_e32 v76, 0xa000, v39
	v_or_b32_e32 v77, 0xb000, v39
	v_xor_b32_e32 v39, 0x440, v42
	v_cmp_eq_u32_e32 vcc, 0, v5
	s_add_i32 s3, s42, s33
	v_xor_b32_e32 v43, v66, v38
	v_xor_b32_e32 v44, v67, v38
	v_cndmask_b32_e32 v5, v39, v42, vcc
	s_add_i32 s16, s45, s44
	s_add_i32 s37, s3, s43
	s_mov_b32 s58, 0x1000504
	v_lshlrev_b32_e32 v40, 8, v63
	v_lshlrev_b32_e32 v41, 8, v41
	v_lshlrev_b32_e32 v43, 1, v43
	v_lshlrev_b32_e32 v44, 1, v44
	v_lshl_or_b32 v4, v4, 10, v5
	s_add_i32 s39, s16, s46
	s_lshl_b64 s[16:17], s[36:37], 2
	s_mov_b32 s59, 0x3020706
	v_or_b32_e32 v74, 0xa000, v45
	v_or_b32_e32 v75, 0xb000, v45
	;; [unrolled: 1-line block ×5, first 2 shown]
	v_xor_b32_e32 v5, 8, v4
	v_xor_b32_e32 v40, 24, v4
	;; [unrolled: 1-line block ×4, first 2 shown]
	s_add_u32 s3, s10, s16
	v_or_b32_e32 v80, v41, v43
	v_xor_b32_e32 v39, 16, v4
	v_xor_b32_e32 v41, 32, v4
	;; [unrolled: 1-line block ×3, first 2 shown]
	v_add_u32_e32 v5, 0x80, v5
	v_add_u32_e32 v40, 0x80, v40
	;; [unrolled: 1-line block ×4, first 2 shown]
	s_addc_u32 s20, s11, s17
	s_lshl_b64 s[16:17], s[38:39], 2
	s_add_u32 s16, s3, s16
	s_movk_i32 s3, 0xf8
	s_addc_u32 s17, s20, s17
	s_lshl_b32 s26, s15, 7
	s_movk_i32 s24, 0x100
	v_mov_b32_e32 v53, 0
	v_lshlrev_b32_e32 v52, 4, v63
	v_cmp_gt_u32_e32 vcc, s24, v0
	v_ashrrev_i32_e32 v51, 31, v50
	s_mov_b32 s60, 0
	s_movk_i32 s37, 0x1000
	s_movk_i32 s22, 0x4000
	s_waitcnt vmcnt(1)
	v_perm_b32 v45, v6, v14, s58
	s_waitcnt vmcnt(0)
	v_perm_b32 v46, v10, v34, s58
	v_perm_b32 v6, v6, v14, s59
	;; [unrolled: 1-line block ×15, first 2 shown]
	ds_write2st64_b32 v4, v45, v46 offset0:32 offset1:64
	ds_write2st64_b32 v5, v6, v10 offset0:32 offset1:64
	ds_write2st64_b32 v39, v14, v34 offset0:33 offset1:65
	ds_write2st64_b32 v40, v7, v11 offset0:33 offset1:65
	ds_write2st64_b32 v41, v15, v35 offset0:34 offset1:66
	ds_write2st64_b32 v42, v8, v12 offset0:34 offset1:66
	ds_write2st64_b32 v43, v16, v36 offset0:35 offset1:67
	ds_write2st64_b32 v44, v9, v13 offset0:35 offset1:67
	v_or_b32_e32 v4, v1, v63
	v_lshlrev_b32_e32 v4, 3, v4
	v_lshrrev_b32_e32 v7, 5, v60
	v_and_or_b32 v7, v4, s3, v7
	v_lshlrev_b32_e32 v7, 4, v7
	v_lshlrev_b32_e32 v5, 11, v61
	v_and_b32_e32 v4, 0x78, v4
	v_or_b32_e32 v12, 32, v7
	v_and_b32_e32 v6, 0x1000, v5
	v_lshrrev_b32_e32 v9, 1, v0
	v_xor_b32_e32 v12, v12, v4
	v_and_b32_e32 v10, 8, v9
	v_or_b32_e32 v12, v12, v6
	v_xor_b32_e32 v8, v7, v4
	v_xor_b32_e32 v84, v12, v10
	v_or_b32_e32 v12, 64, v7
	v_or_b32_e32 v7, 0x60, v7
	s_ashr_i32 s3, s2, 31
	v_xor_b32_e32 v12, v12, v4
	v_xor_b32_e32 v4, v7, v4
	s_lshl_b64 s[20:21], s[2:3], 8
	v_or_b32_e32 v8, v8, v6
	v_or_b32_e32 v12, v12, v6
	;; [unrolled: 1-line block ×3, first 2 shown]
	s_add_u32 s20, s18, s20
	v_lshlrev_b32_e32 v6, 1, v63
	v_xor_b32_e32 v86, v12, v10
	v_lshrrev_b32_e32 v12, 4, v0
	s_addc_u32 s21, s19, s21
	v_or_b32_e32 v7, 1, v6
	v_mov_b32_e32 v16, 0x4000
	v_mov_b32_e32 v17, 0x2000
	v_xor_b32_e32 v13, v12, v6
	v_xor_b32_e32 v14, v7, v12
	v_lshl_add_u64 v[6:7], s[20:21], 0, v[52:53]
	v_lshlrev_b32_e32 v52, 8, v12
	v_cndmask_b32_e32 v16, v16, v17, vcc
	v_lshlrev_b32_e32 v17, 3, v61
	v_and_b32_e32 v9, 24, v9
	v_lshl_or_b32 v90, v13, 3, v52
	v_and_b32_e32 v13, 8, v0
	v_xor_b32_e32 v34, v17, v9
	v_or_b32_e32 v35, 0x440, v34
	v_cmp_eq_u32_e32 vcc, 0, v13
	v_and_b32_e32 v12, 7, v0
	v_xor_b32_e32 v82, v8, v10
	v_cndmask_b32_e32 v13, v35, v34, vcc
	v_lshlrev_b32_e32 v8, 7, v62
	v_lshl_or_b32 v91, v14, 3, v52
	v_lshlrev_b32_e32 v14, 3, v12
	v_lshlrev_b32_e32 v12, 7, v12
	;; [unrolled: 1-line block ×3, first 2 shown]
	v_or_b32_e32 v13, v13, v5
	v_or_b32_e32 v11, v8, v38
	v_xad_u32 v92, v13, v14, v12
	v_and_or_b32 v8, v15, 60, v8
	v_mov_b32_e32 v13, 0xb000
	v_lshl_or_b32 v93, v8, 1, v13
	v_or_b32_e32 v8, 32, v9
	v_xor_b32_e32 v8, v17, v8
	v_or_b32_e32 v13, 0x440, v8
	v_cndmask_b32_e32 v8, v13, v8, vcc
	v_or_b32_e32 v8, v8, v5
	v_xad_u32 v94, v8, v14, v12
	v_or_b32_e32 v8, 64, v9
	v_xor_b32_e32 v8, v17, v8
	v_xor_b32_e32 v13, 0x440, v8
	v_cndmask_b32_e32 v8, v13, v8, vcc
	v_or_b32_e32 v8, v8, v5
	v_xad_u32 v95, v8, v14, v12
	v_or_b32_e32 v8, 0x60, v9
	v_xor_b32_e32 v8, v17, v8
	v_xor_b32_e32 v9, 0x440, v8
	v_lshlrev_b32_e32 v11, 1, v11
	v_cndmask_b32_e32 v8, v9, v8, vcc
	v_or_b32_e32 v83, 0xa000, v11
	v_or_b32_e32 v85, 0xa080, v11
	v_xor_b32_e32 v87, v4, v10
	v_or_b32_e32 v88, 0xb000, v11
	v_or_b32_e32 v89, 0xb080, v11
	v_lshlrev_b32_e32 v10, 1, v3
	v_add_lshl_u32 v3, v3, s15, 1
	v_or_b32_e32 v11, 0x100, v2
	v_or_b32_e32 v5, v8, v5
	v_lshlrev_b32_e32 v4, 7, v66
	v_xad_u32 v96, v5, v14, v12
	v_cndmask_b32_e64 v97, v10, v2, s[0:1]
	v_cndmask_b32_e64 v98, v3, v11, s[0:1]
	v_lshlrev_b64 v[2:3], 1, v[50:51]
	v_lshl_add_u64 v[54:55], s[8:9], 0, v[2:3]
	v_lshl_add_u64 v[56:57], s[28:29], 0, v[2:3]
	v_lshl_add_u64 v[58:59], v[6:7], 0, v[52:53]
	v_lshlrev_b32_e32 v52, 1, v4
	v_add_u32_e32 v51, v16, v92
	v_add_u32_e32 v99, v16, v94
	;; [unrolled: 1-line block ×4, first 2 shown]
	v_mov_b64_e32 v[2:3], v[18:19]
	s_mov_b32 s3, 0x7060302
	v_mov_b64_e32 v[4:5], v[20:21]
	v_mov_b64_e32 v[6:7], v[22:23]
	;; [unrolled: 1-line block ×7, first 2 shown]
	s_waitcnt lgkmcnt(0)
	s_barrier
	s_branch .LBB307_7
.LBB307_6:                              ;   in Loop: Header=BB307_7 Depth=1
	s_waitcnt vmcnt(2)
	v_exp_f32_e32 v34, s20
	v_accvgpr_read_b32 v21, a7
	v_accvgpr_read_b32 v19, a5
	;; [unrolled: 1-line block ×16, first 2 shown]
	v_fma_f32 v18, v2, v34, v18
	v_fma_f32 v19, v3, v34, v19
	v_fma_f32 v20, v4, v34, v20
	v_fmac_f32_e32 v21, v5, v34
	v_fma_f32 v26, v10, v34, v26
	v_fma_f32 v27, v11, v34, v27
	v_fma_f32 v28, v12, v34, v28
	v_fmac_f32_e32 v29, v13, v34
	;; [unrolled: 4-line block ×4, first 2 shown]
	s_add_i32 s55, s55, 64
	v_mov_b64_e32 v[2:3], v[18:19]
	s_cmp_eq_u32 s48, s39
	s_mov_b32 s60, s39
	v_mov_b64_e32 v[4:5], v[20:21]
	v_mov_b64_e32 v[6:7], v[22:23]
	;; [unrolled: 1-line block ×7, first 2 shown]
	s_cbranch_scc1 .LBB307_17
.LBB307_7:                              ; =>This Inner Loop Header: Depth=1
	s_add_i32 s39, s60, 1
	s_cmp_lt_i32 s39, s48
	s_mov_b64 s[24:25], 0
	s_cselect_b64 s[40:41], -1, 0
	s_cmp_ge_i32 s39, s48
	s_mov_b64 s[20:21], 0
	s_cbranch_scc1 .LBB307_9
; %bb.8:                                ;   in Loop: Header=BB307_7 Depth=1
	s_add_i32 s0, s55, 64
	s_ashr_i32 s1, s0, 31
	s_add_u32 s0, s53, s0
	s_addc_u32 s1, s52, s1
	s_lshl_b64 s[0:1], s[0:1], 8
	s_add_u32 s20, s6, s0
	s_addc_u32 s21, s7, s1
.LBB307_9:                              ;   in Loop: Header=BB307_7 Depth=1
	v_cndmask_b32_e64 v18, 0, 1, s[40:41]
	v_cmp_ne_u32_e64 s[0:1], 1, v18
	s_andn2_b64 vcc, exec, s[40:41]
	s_cbranch_vccnz .LBB307_11
; %bb.10:                               ;   in Loop: Header=BB307_7 Depth=1
	s_add_i32 s24, s55, 64
	s_mul_hi_i32 s25, s24, s14
	s_mul_i32 s24, s24, s14
	s_add_u32 s24, s24, s51
	s_addc_u32 s25, s25, s56
	s_lshl_b64 s[24:25], s[24:25], 8
	s_add_u32 s24, s4, s24
	s_addc_u32 s25, s5, s25
.LBB307_11:                             ;   in Loop: Header=BB307_7 Depth=1
	v_perm_b32 v19, v5, v4, s3
	v_perm_b32 v18, v3, v2, s3
	v_perm_b32 v21, v9, v8, s3
	v_perm_b32 v20, v7, v6, s3
	ds_write_b64 v74, v[18:19]
	ds_write_b64 v75, v[20:21]
	;; [unrolled: 1-line block ×4, first 2 shown]
	v_perm_b32 v19, v13, v12, s3
	v_perm_b32 v18, v11, v10, s3
	;; [unrolled: 1-line block ×4, first 2 shown]
	ds_write_b64 v76, v[18:19]
	ds_write_b64 v77, v[20:21]
	;; [unrolled: 1-line block ×4, first 2 shown]
	s_waitcnt lgkmcnt(0)
	s_barrier
	ds_read_b64 v[22:23], v82 offset:24576
	ds_read2_b64 v[18:21], v83 offset1:16
	ds_read_b64 v[26:27], v85 offset:3072
	ds_read_b64 v[28:29], v83 offset:3072
	;; [unrolled: 1-line block ×3, first 2 shown]
	s_waitcnt lgkmcnt(3)
	v_mfma_f32_16x16x16_bf16 a[0:3], v[22:23], v[18:19], 0
	s_add_i32 s27, s55, 63
	s_ashr_i32 s40, s27, 31
	s_mul_i32 s41, s27, s31
	v_mfma_f32_16x16x16_bf16 a[4:7], v[22:23], v[20:21], 0
	ds_read2st64_b64 v[18:21], v83 offset0:2 offset1:4
	s_mul_hi_u32 s61, s27, s30
	s_add_i32 s41, s61, s41
	s_waitcnt lgkmcnt(0)
	v_mfma_f32_16x16x16_bf16 a[0:3], v[30:31], v[18:19], a[0:3]
	ds_read2st64_b64 v[22:25], v85 offset0:2 offset1:4
	ds_read_b64 v[18:19], v86 offset:24576
	s_mul_i32 s40, s40, s30
	s_add_i32 s41, s41, s40
	s_waitcnt lgkmcnt(1)
	v_mfma_f32_16x16x16_bf16 a[4:7], v[30:31], v[22:23], a[4:7]
	ds_read_b64 v[22:23], v87 offset:24576
	s_mul_i32 s40, s27, s30
	s_lshl_b64 s[40:41], s[40:41], 2
	s_waitcnt lgkmcnt(1)
	v_mfma_f32_16x16x16_bf16 a[0:3], v[18:19], v[20:21], a[0:3]
	s_add_u32 s40, s16, s40
	s_addc_u32 s41, s17, s41
	s_and_b64 vcc, exec, s[0:1]
	v_mfma_f32_16x16x16_bf16 a[8:11], v[18:19], v[24:25], a[4:7]
	v_mov_b32_e32 v104, 0
	v_mov_b32_e32 v103, 0
	;; [unrolled: 1-line block ×3, first 2 shown]
	s_waitcnt lgkmcnt(0)
	v_mfma_f32_16x16x16_bf16 a[4:7], v[22:23], v[28:29], a[0:3]
	v_mov_b32_e32 v18, 0
	v_mov_b32_e32 v19, 0
	;; [unrolled: 1-line block ×3, first 2 shown]
	v_mfma_f32_16x16x16_bf16 a[0:3], v[22:23], v[26:27], a[8:11]
	v_mov_b32_e32 v21, 0
	v_mov_b32_e32 v22, 0
	;; [unrolled: 1-line block ×13, first 2 shown]
	s_cbranch_vccnz .LBB307_13
; %bb.12:                               ;   in Loop: Header=BB307_7 Depth=1
	s_and_b32 s21, s21, 0xffff
	buffer_load_dwordx4 v[30:33], v70, s[20:23], 0 offen
	buffer_load_dwordx4 v[26:29], v70, s[20:23], s57 offen
	;; [unrolled: 1-line block ×4, first 2 shown]
	v_mov_b32_e32 v103, v72
	v_mov_b32_e32 v102, v73
.LBB307_13:                             ;   in Loop: Header=BB307_7 Depth=1
	ds_read_b64 v[42:43], v82 offset:32768
	ds_read2_b64 v[34:37], v88 offset1:16
	ds_read_b64 v[44:45], v84 offset:32768
	ds_read_b64 v[46:47], v86 offset:32768
	;; [unrolled: 1-line block ×3, first 2 shown]
	ds_read2st64_b64 v[38:41], v88 offset0:2 offset1:4
	v_add_u32_e32 v105, s55, v66
	s_waitcnt lgkmcnt(4)
	v_mfma_f32_16x16x16_bf16 a[4:7], v[42:43], v[34:35], a[4:7]
	v_ashrrev_i32_e32 v34, 31, v105
	v_mfma_f32_16x16x16_bf16 a[0:3], v[42:43], v[36:37], a[0:3]
	v_mul_lo_u32 v36, v105, s31
	v_mul_lo_u32 v37, v34, s30
	v_mad_u64_u32 v[34:35], s[20:21], v105, s30, 0
	v_add3_u32 v35, v35, v36, v37
	v_add_u32_e32 v36, 1, v105
	v_ashrrev_i32_e32 v37, 31, v36
	s_waitcnt lgkmcnt(0)
	v_mfma_f32_16x16x16_bf16 a[4:7], v[44:45], v[38:39], a[4:7]
	v_mul_lo_u32 v38, v37, s30
	v_mul_lo_u32 v39, v36, s31
	v_mad_u64_u32 v[36:37], s[20:21], v36, s30, 0
	v_add3_u32 v37, v37, v39, v38
	v_add_u32_e32 v38, 2, v105
	v_ashrrev_i32_e32 v39, 31, v38
	v_mul_lo_u32 v42, v39, s30
	v_mul_lo_u32 v43, v38, s31
	v_mad_u64_u32 v[38:39], s[20:21], v38, s30, 0
	v_add3_u32 v39, v39, v43, v42
	v_add_u32_e32 v42, 3, v105
	v_ashrrev_i32_e32 v43, 31, v42
	v_mul_lo_u32 v105, v43, s30
	v_mul_lo_u32 v106, v42, s31
	v_mad_u64_u32 v[42:43], s[20:21], v42, s30, 0
	s_ashr_i32 s21, s55, 31
	v_add3_u32 v43, v43, v106, v105
	s_add_u32 s20, s53, s55
	v_lshl_add_u64 v[34:35], v[34:35], 2, s[16:17]
	v_lshl_add_u64 v[42:43], v[42:43], 2, s[16:17]
	s_addc_u32 s21, s52, s21
	v_lshl_add_u64 v[36:37], v[36:37], 2, s[16:17]
	v_lshl_add_u64 v[38:39], v[38:39], 2, s[16:17]
	global_load_dword v105, v[34:35], off
	global_load_dword v106, v[36:37], off
	;; [unrolled: 1-line block ×3, first 2 shown]
	s_nop 0
	global_load_dword v43, v[42:43], off
	s_lshl_b64 s[62:63], s[20:21], 8
	v_lshl_add_u64 v[34:35], v[54:55], 0, s[62:63]
	v_lshl_add_u64 v[38:39], v[34:35], 0, v[52:53]
	global_load_ushort v108, v[38:39], off offset:256
	global_load_ushort v109, v[38:39], off
	global_load_ushort v110, v[38:39], off offset:768
	global_load_ushort v111, v[38:39], off offset:512
	ds_read2st64_b64 v[34:37], v89 offset0:2 offset1:4
	global_load_ushort v112, v[38:39], off offset:800
	global_load_ushort v113, v[38:39], off offset:544
	;; [unrolled: 1-line block ×4, first 2 shown]
	s_waitcnt lgkmcnt(0)
	v_mfma_f32_16x16x16_bf16 a[0:3], v[44:45], v[34:35], a[0:3]
	s_and_b64 vcc, exec, s[0:1]
	s_waitcnt vmcnt(7)
	v_lshlrev_b32_e32 v45, 16, v108
	v_mfma_f32_16x16x16_bf16 a[4:7], v[46:47], v[40:41], a[4:7]
	s_waitcnt vmcnt(6)
	v_lshlrev_b32_e32 v44, 16, v109
	v_mfma_f32_16x16x16_bf16 a[0:3], v[46:47], v[36:37], a[0:3]
	ds_read_b64 v[34:35], v88 offset:3072
	ds_read_b64 v[36:37], v89 offset:3072
	s_load_dword s20, s[40:41], 0x0
	s_waitcnt vmcnt(5)
	v_lshlrev_b32_e32 v47, 16, v110
	s_waitcnt lgkmcnt(0)
	v_mfma_f32_16x16x16_bf16 a[4:7], v[48:49], v[34:35], a[4:7]
	v_lshl_add_u64 v[34:35], v[56:57], 0, s[62:63]
	v_sub_f32_e32 v42, s20, v105
	v_sub_f32_e32 v46, s20, v106
	v_mfma_f32_16x16x16_bf16 a[0:3], v[48:49], v[36:37], a[0:3]
	v_sub_f32_e32 v48, s20, v107
	v_sub_f32_e32 v49, s20, v43
	v_exp_f32_e32 v42, v42
	v_exp_f32_e32 v43, v46
	;; [unrolled: 1-line block ×4, first 2 shown]
	v_accvgpr_read_b32 v41, a5
	v_accvgpr_read_b32 v37, a7
	;; [unrolled: 1-line block ×4, first 2 shown]
	s_waitcnt vmcnt(4)
	v_lshlrev_b32_e32 v46, 16, v111
	v_lshl_add_u64 v[34:35], v[34:35], 0, v[52:53]
	v_pk_add_f32 v[40:41], v[44:45], v[40:41] neg_lo:[0,1] neg_hi:[0,1]
	v_pk_add_f32 v[36:37], v[46:47], v[36:37] neg_lo:[0,1] neg_hi:[0,1]
	global_store_short_d16_hi v[34:35], v40, off
	global_store_short_d16_hi v[34:35], v41, off offset:256
	global_store_short_d16_hi v[34:35], v36, off offset:512
	;; [unrolled: 1-line block ×3, first 2 shown]
	v_pk_mul_f32 v[40:41], v[42:43], v[40:41]
	v_pk_mul_f32 v[36:37], v[48:49], v[36:37]
	v_accvgpr_read_b32 v45, a1
	v_perm_b32 v40, v41, v40, s3
	v_perm_b32 v41, v37, v36, s3
	s_waitcnt vmcnt(5)
	v_lshlrev_b32_e32 v37, 16, v114
	s_waitcnt vmcnt(4)
	v_lshlrev_b32_e32 v36, 16, v115
	v_accvgpr_read_b32 v44, a0
	v_accvgpr_read_b32 v39, a3
	;; [unrolled: 1-line block ×3, first 2 shown]
	v_pk_add_f32 v[36:37], v[36:37], v[44:45] neg_lo:[0,1] neg_hi:[0,1]
	v_lshlrev_b32_e32 v45, 16, v112
	v_lshlrev_b32_e32 v44, 16, v113
	v_pk_add_f32 v[38:39], v[44:45], v[38:39] neg_lo:[0,1] neg_hi:[0,1]
	global_store_short_d16_hi v[34:35], v36, off offset:32
	global_store_short_d16_hi v[34:35], v37, off offset:288
	;; [unrolled: 1-line block ×4, first 2 shown]
	v_pk_mul_f32 v[34:35], v[42:43], v[36:37]
	v_pk_mul_f32 v[36:37], v[48:49], v[38:39]
	v_mov_b32_e32 v105, 0
	v_perm_b32 v37, v37, v36, s3
	v_perm_b32 v36, v35, v34, s3
	ds_write2_b64 v75, v[40:41], v[36:37] offset1:16
	v_mov_b32_e32 v34, 0
	v_mov_b32_e32 v35, 0
	;; [unrolled: 1-line block ×16, first 2 shown]
	s_cbranch_vccnz .LBB307_15
; %bb.14:                               ;   in Loop: Header=BB307_7 Depth=1
	s_and_b32 s25, s25, 0xffff
	s_mov_b32 s27, s23
	buffer_load_dwordx4 v[46:49], v97, s[24:27], 0 offen
	buffer_load_dwordx4 v[38:41], v97, s[24:27], s57 offen
	;; [unrolled: 1-line block ×4, first 2 shown]
	v_mov_b32_e32 v104, v69
	v_mov_b32_e32 v105, v68
.LBB307_15:                             ;   in Loop: Header=BB307_7 Depth=1
	s_waitcnt lgkmcnt(0)
	s_barrier
	ds_read_b64 v[110:111], v51
	ds_read_b64 v[118:119], v93
	;; [unrolled: 1-line block ×5, first 2 shown]
	ds_read_b64 v[124:125], v94 offset:16384
	ds_read_b64 v[126:127], v92 offset:16384
	ds_read2_b64 v[106:109], v88 offset0:16 offset1:128
	s_waitcnt lgkmcnt(6)
	v_mfma_f32_16x16x16_bf16 a[0:3], v[110:111], v[118:119], 0
	ds_read_b64 v[128:129], v89 offset:3072
	ds_read_b64 v[130:131], v96 offset:16384
	s_add_i32 s21, s54, s60
	s_waitcnt lgkmcnt(2)
	v_mfma_f32_16x16x16_bf16 a[4:7], v[110:111], v[106:107], 0
	ds_read2st64_b64 v[110:113], v89 offset0:2 offset1:4
	s_mul_hi_i32 s25, s21, s13
	s_mul_i32 s21, s21, s13
	v_mfma_f32_16x16x16_bf16 a[0:3], v[114:115], v[108:109], a[0:3]
	s_add_u32 s24, s21, s47
	s_addc_u32 s25, s25, s49
	s_lshl_b64 s[24:25], s[24:25], 15
	s_waitcnt lgkmcnt(0)
	v_mfma_f32_16x16x16_bf16 a[4:7], v[114:115], v[110:111], a[4:7]
	ds_read2st64_b64 v[114:117], v88 offset0:4 offset1:6
	s_waitcnt lgkmcnt(0)
	v_mfma_f32_16x16x16_bf16 a[0:3], v[120:121], v[114:115], a[0:3]
	v_mfma_f32_16x16x16_bf16 a[8:11], v[120:121], v[112:113], a[4:7]
	;; [unrolled: 1-line block ×5, first 2 shown]
	ds_read2st64_b64 v[118:121], v91 offset1:8
	v_mfma_f32_16x16x16_bf16 a[12:15], v[126:127], v[106:107], 0
	ds_read_b64 v[126:127], v95 offset:16384
	v_mfma_f32_16x16x16_bf16 a[8:11], v[124:125], v[108:109], a[8:11]
	ds_read2st64_b64 v[106:109], v90 offset1:8
	s_waitcnt lgkmcnt(0)
	v_mov_b32_e32 v122, v106
	v_mfma_f32_16x16x16_bf16 a[12:15], v[124:125], v[110:111], a[12:15]
	v_lshl_add_u64 v[110:111], v[58:59], 0, s[24:25]
	v_add_co_u32_e32 v106, vcc, s37, v110
	v_mfma_f32_16x16x16_bf16 a[8:11], v[126:127], v[114:115], a[8:11]
	v_mov_b32_e32 v123, v107
	v_addc_co_u32_e32 v107, vcc, 0, v111, vcc
	v_mfma_f32_16x16x16_bf16 a[12:15], v[126:127], v[112:113], a[12:15]
	v_mov_b32_e32 v124, v118
	v_mov_b32_e32 v125, v119
	;; [unrolled: 1-line block ×3, first 2 shown]
	v_mfma_f32_16x16x16_bf16 a[8:11], v[130:131], v[116:117], a[8:11]
	v_mov_b32_e32 v119, v109
	s_and_b64 vcc, exec, s[0:1]
	global_store_dwordx4 v[110:111], v[122:125], off
	v_mfma_f32_16x16x16_bf16 a[12:15], v[130:131], v[128:129], a[12:15]
	global_store_dwordx4 v[106:107], v[118:121], off
	s_cbranch_vccnz .LBB307_6
; %bb.16:                               ;   in Loop: Header=BB307_7 Depth=1
	v_lshrrev_b32_e32 v106, 3, v104
	v_and_b32_e32 v106, 6, v106
	v_xor_b32_e32 v105, v106, v105
	v_lshlrev_b32_e32 v105, 2, v105
	v_and_b32_e32 v104, 8, v104
	v_xor_b32_e32 v107, 0x440, v105
	v_cmp_eq_u32_e32 vcc, 0, v104
	s_barrier
	s_nop 0
	v_cndmask_b32_e32 v104, v107, v105, vcc
	v_lshl_or_b32 v104, v106, 10, v104
	s_waitcnt vmcnt(3)
	v_perm_b32 v105, v46, v42, s58
	s_waitcnt vmcnt(2)
	v_perm_b32 v106, v38, v34, s58
	ds_write2st64_b32 v104, v105, v106 offset0:32 offset1:64
	v_xor_b32_e32 v105, 8, v104
	v_perm_b32 v42, v46, v42, s59
	v_perm_b32 v34, v38, v34, s59
	v_add_u32_e32 v38, 0x80, v105
	ds_write2st64_b32 v38, v42, v34 offset0:32 offset1:64
	v_xor_b32_e32 v34, 16, v104
	v_perm_b32 v38, v47, v43, s58
	v_perm_b32 v42, v39, v35, s58
	ds_write2st64_b32 v34, v38, v42 offset0:33 offset1:65
	v_xor_b32_e32 v34, 24, v104
	v_perm_b32 v38, v47, v43, s59
	v_perm_b32 v35, v39, v35, s59
	v_add_u32_e32 v34, 0x80, v34
	ds_write2st64_b32 v34, v38, v35 offset0:33 offset1:65
	v_xor_b32_e32 v34, 32, v104
	v_perm_b32 v35, v48, v44, s58
	;; [unrolled: 9-line block ×3, first 2 shown]
	v_perm_b32 v36, v41, v37, s58
	ds_write2st64_b32 v34, v35, v36 offset0:35 offset1:67
	v_xor_b32_e32 v34, 56, v104
	v_perm_b32 v35, v49, v45, s59
	v_perm_b32 v36, v41, v37, s59
	v_add_u32_e32 v34, 0x80, v34
	ds_write2st64_b32 v34, v35, v36 offset0:35 offset1:67
	ds_write_b64 v103, v[30:31] offset:24576
	v_xor_b32_e32 v30, 8, v103
	ds_write_b64 v30, v[32:33] offset:24576
	ds_write_b64 v103, v[26:27] offset:32768
	;; [unrolled: 1-line block ×4, first 2 shown]
	v_xor_b32_e32 v22, 8, v102
	ds_write_b64 v22, v[24:25] offset:24576
	ds_write_b64 v102, v[18:19] offset:32768
	;; [unrolled: 1-line block ×3, first 2 shown]
	s_branch .LBB307_6
.LBB307_17:
	s_lshl_b32 s26, s48, 6
	s_sub_i32 s27, s50, s26
	s_cmp_gt_i32 s27, 0
	s_cbranch_scc0 .LBB307_82
; %bb.18:
	s_add_i32 s26, s26, s34
	s_ashr_i32 s3, s26, 31
	s_cmpk_lg_i32 s15, 0x80
	s_cselect_b64 s[22:23], -1, 0
	s_and_b64 vcc, exec, s[22:23]
	s_cbranch_vccz .LBB307_20
; %bb.19:
	s_mul_hi_i32 s0, s26, s14
	s_mul_i32 s1, s26, s14
	s_ashr_i32 s14, s51, 31
	s_add_u32 s24, s1, s51
	s_addc_u32 s25, s0, s14
	s_cbranch_execz .LBB307_21
	s_branch .LBB307_22
.LBB307_20:
                                        ; implicit-def: $sgpr24_sgpr25
.LBB307_21:
	s_mul_i32 s1, s51, s12
	s_mul_hi_i32 s0, s51, s12
	s_add_u32 s24, s1, s26
	s_addc_u32 s25, s0, s3
.LBB307_22:
	s_add_i32 s12, s48, s54
	s_add_u32 s0, s53, s26
	v_lshlrev_b32_e32 v6, 5, v66
	v_lshlrev_b32_e32 v34, 2, v63
	s_addc_u32 s1, s52, s3
	s_mov_b32 s3, 0x7060302
	v_or_b32_e32 v9, v6, v34
	v_xor_b32_e32 v7, v66, v34
	v_perm_b32 v3, v21, v20, s3
	v_perm_b32 v2, v19, v18, s3
	v_perm_b32 v5, v25, v24, s3
	v_perm_b32 v4, v23, v22, s3
	v_lshlrev_b32_e32 v9, 1, v9
	v_xor_b32_e32 v8, v67, v34
	ds_write2st64_b64 v9, v[2:3], v[4:5] offset0:80 offset1:88
	v_lshlrev_b32_e32 v7, 1, v7
	v_lshlrev_b32_e32 v9, 8, v63
	s_lshl_b64 s[20:21], s[0:1], 8
	v_or_b32_e32 v10, v7, v9
	v_lshlrev_b32_e32 v8, 1, v8
	s_add_u32 s0, s6, s20
	ds_write_b64 v10, v[2:3]
	v_or_b32_e32 v2, v8, v9
	s_addc_u32 s1, s7, s21
	ds_write_b64 v2, v[4:5]
	v_perm_b32 v3, v29, v28, s3
	v_perm_b32 v2, v27, v26, s3
	;; [unrolled: 1-line block ×4, first 2 shown]
	v_or_b32_e32 v9, 16, v63
	s_mul_hi_i32 s3, s12, s13
	s_mul_i32 s12, s12, s13
	v_lshlrev_b32_e32 v19, 2, v9
	s_add_u32 s6, s12, s47
	v_or_b32_e32 v6, v6, v19
	s_addc_u32 s7, s3, s49
	v_lshlrev_b32_e32 v6, 1, v6
	s_ashr_i32 s3, s2, 31
	s_lshl_b64 s[6:7], s[6:7], 15
	ds_write2st64_b64 v6, v[2:3], v[4:5] offset0:80 offset1:88
	v_lshlrev_b32_e32 v6, 8, v9
	s_add_u32 s6, s18, s6
	v_or_b32_e32 v7, v7, v6
	s_addc_u32 s7, s19, s7
	s_lshl_b64 s[2:3], s[2:3], 8
	ds_write_b64 v7, v[2:3]
	v_or_b32_e32 v2, v8, v6
	s_add_u32 s2, s6, s2
	ds_write_b64 v2, v[4:5]
	v_lshrrev_b32_e32 v2, 4, v0
	s_addc_u32 s3, s7, s3
	v_lshlrev_b32_e32 v3, 1, v63
	v_lshlrev_b32_e32 v10, 4, v63
	v_mov_b32_e32 v11, 0
	v_or_b32_e32 v4, 1, v3
	v_xor_b32_e32 v3, v2, v3
	v_lshl_add_u64 v[12:13], s[2:3], 0, v[10:11]
	v_lshlrev_b32_e32 v10, 8, v2
	v_xor_b32_e32 v6, v4, v2
	v_lshl_or_b32 v2, v3, 3, v10
	s_waitcnt lgkmcnt(0)
	s_barrier
	ds_read2st64_b64 v[2:5], v2 offset1:8
	v_lshl_or_b32 v6, v6, 3, v10
	ds_read2st64_b64 v[6:9], v6 offset1:8
	v_lshl_add_u64 v[14:15], v[12:13], 0, v[10:11]
	s_movk_i32 s2, 0x1000
	s_waitcnt lgkmcnt(1)
	v_mov_b32_e32 v10, v2
	v_add_co_u32_e32 v2, vcc, s2, v14
	s_cmp_lg_u32 s27, 64
	v_mov_b32_e32 v11, v3
	v_addc_co_u32_e32 v3, vcc, 0, v15, vcc
	s_cselect_b64 s[6:7], -1, 0
	v_lshl_or_b32 v22, v61, 3, v65
	s_waitcnt lgkmcnt(0)
	v_mov_b32_e32 v12, v6
	v_mov_b32_e32 v13, v7
	v_mov_b32_e32 v6, v4
	v_mov_b32_e32 v7, v5
	s_mov_b32 s16, 0
	v_or_b32_e32 v20, 32, v22
	v_and_b32_e32 v18, 56, v64
	s_and_b64 vcc, exec, s[6:7]
	global_store_dwordx4 v[14:15], v[10:13], off
	global_store_dwordx4 v[2:3], v[6:9], off
	s_cbranch_vccz .LBB307_28
; %bb.23:
	s_mov_b32 s17, s16
	s_mov_b32 s18, s16
	;; [unrolled: 1-line block ×3, first 2 shown]
	v_mov_b64_e32 v[6:7], s[16:17]
	v_mov_b64_e32 v[8:9], s[18:19]
	;; [unrolled: 1-line block ×3, first 2 shown]
	v_cmp_gt_i32_e32 vcc, s27, v22
	v_mov_b64_e32 v[4:5], v[8:9]
	s_and_saveexec_b64 s[2:3], vcc
	s_cbranch_execz .LBB307_25
; %bb.24:
	v_lshlrev_b32_e32 v2, 8, v22
	v_mov_b32_e32 v3, 0
	v_lshl_add_u64 v[4:5], s[0:1], 0, v[2:3]
	v_lshlrev_b32_e32 v2, 1, v18
	v_lshl_add_u64 v[10:11], v[4:5], 0, v[2:3]
	global_load_dwordx4 v[6:9], v[10:11], off
	global_load_dwordx4 v[2:5], v[10:11], off offset:128
.LBB307_25:
	s_or_b64 exec, exec, s[2:3]
	s_mov_b32 s17, s16
	s_mov_b32 s18, s16
	;; [unrolled: 1-line block ×3, first 2 shown]
	v_mov_b64_e32 v[14:15], s[16:17]
	v_mov_b64_e32 v[16:17], s[18:19]
	;; [unrolled: 1-line block ×3, first 2 shown]
	v_cmp_gt_i32_e32 vcc, s27, v20
	v_lshlrev_b32_e32 v21, 7, v20
	v_mov_b64_e32 v[12:13], v[16:17]
	s_and_saveexec_b64 s[2:3], vcc
	s_cbranch_execz .LBB307_27
; %bb.26:
	v_lshlrev_b32_e32 v10, 1, v21
	v_mov_b32_e32 v11, 0
	v_lshl_add_u64 v[12:13], s[0:1], 0, v[10:11]
	v_lshlrev_b32_e32 v10, 1, v18
	v_lshl_add_u64 v[24:25], v[12:13], 0, v[10:11]
	global_load_dwordx4 v[14:17], v[24:25], off
	global_load_dwordx4 v[10:13], v[24:25], off offset:128
.LBB307_27:
	s_or_b64 exec, exec, s[2:3]
	v_lshrrev_b32_e32 v23, 3, v18
	v_lshlrev_b32_e32 v24, 3, v22
	v_or_b32_e32 v23, v24, v23
	v_lshlrev_b32_e32 v23, 4, v23
	v_and_b32_e32 v24, 0x78, v24
	v_xor_b32_e32 v23, v23, v24
	s_branch .LBB307_30
.LBB307_28:
                                        ; implicit-def: $vgpr23
                                        ; implicit-def: $vgpr21
                                        ; implicit-def: $vgpr6_vgpr7_vgpr8_vgpr9
                                        ; implicit-def: $vgpr2_vgpr3_vgpr4_vgpr5
                                        ; implicit-def: $vgpr14_vgpr15_vgpr16_vgpr17
                                        ; implicit-def: $vgpr10_vgpr11_vgpr12_vgpr13
	s_cbranch_execz .LBB307_30
; %bb.29:
	s_waitcnt vmcnt(0)
	v_lshlrev_b32_e32 v2, 1, v18
	v_lshl_or_b32 v21, v22, 8, v2
	s_and_b32 s1, s1, 0xffff
	s_mov_b32 s3, 0x20000
	s_movk_i32 s2, 0x4000
	v_lshl_or_b32 v23, v20, 8, v2
	s_movk_i32 s12, 0x80
	buffer_load_dwordx4 v[6:9], v21, s[0:3], 0 offen
	buffer_load_dwordx4 v[2:5], v21, s[0:3], s12 offen
	;; [unrolled: 1-line block ×4, first 2 shown]
	v_lshrrev_b32_e32 v21, 3, v18
	v_lshlrev_b32_e32 v23, 3, v22
	v_or_b32_e32 v21, v23, v21
	v_lshlrev_b32_e32 v21, 4, v21
	v_and_b32_e32 v23, 0x78, v23
	v_xor_b32_e32 v23, v21, v23
	v_lshlrev_b32_e32 v21, 7, v20
.LBB307_30:
	s_lshl_b64 s[0:1], s[24:25], 8
	s_add_u32 s4, s4, s0
	s_movk_i32 s0, 0x1000
	v_and_or_b32 v20, v21, s0, v23
	s_waitcnt vmcnt(1)
	ds_write_b64 v23, v[6:7] offset:24576
	v_xor_b32_e32 v6, 8, v23
	ds_write_b64 v6, v[8:9] offset:24576
	s_waitcnt vmcnt(0)
	ds_write_b64 v23, v[2:3] offset:32768
	ds_write_b64 v6, v[4:5] offset:32768
	ds_write_b64 v20, v[14:15] offset:24576
	v_xor_b32_e32 v2, 8, v20
	ds_write_b64 v2, v[16:17] offset:24576
	ds_write_b64 v20, v[10:11] offset:32768
	;; [unrolled: 1-line block ×3, first 2 shown]
	v_or_b32_e32 v2, v1, v63
	v_lshlrev_b32_e32 v3, 11, v61
	v_lshlrev_b32_e32 v2, 3, v2
	v_and_b32_e32 v6, 0x1000, v3
	v_lshrrev_b32_e32 v3, 5, v60
	s_movk_i32 s3, 0xf8
	v_and_or_b32 v3, v2, s3, v3
	v_lshlrev_b32_e32 v7, 4, v3
	v_and_b32_e32 v8, 0x78, v2
	v_or_b32_e32 v10, 32, v7
	v_lshrrev_b32_e32 v3, 1, v60
	v_xor_b32_e32 v10, v10, v8
	v_xor_b32_e32 v2, v7, v8
	v_and_b32_e32 v9, 8, v3
	v_or_b32_e32 v10, v10, v6
	v_or_b32_e32 v2, v2, v6
	v_xor_b32_e32 v25, v10, v9
	v_or_b32_e32 v10, 64, v7
	v_xor_b32_e32 v24, v2, v9
	v_xor_b32_e32 v10, v10, v8
	s_waitcnt lgkmcnt(0)
	s_barrier
	v_or_b32_e32 v12, v10, v6
	ds_read_b64 v[10:11], v24 offset:24576
	v_lshl_or_b32 v20, v62, 7, v34
	v_lshlrev_b32_e32 v23, 1, v20
	v_add_u32_e32 v2, 0xa000, v23
	ds_read2_b64 v[2:5], v2 offset1:16
	v_or_b32_e32 v7, 0x60, v7
	v_xor_b32_e32 v7, v7, v8
	s_waitcnt lgkmcnt(0)
	v_mfma_f32_16x16x16_bf16 a[0:3], v[10:11], v[2:3], 0
	v_or_b32_e32 v2, 64, v20
	v_or_b32_e32 v6, v7, v6
	v_lshlrev_b32_e32 v28, 1, v2
	v_xor_b32_e32 v26, v12, v9
	v_xor_b32_e32 v27, v6, v9
	ds_read_b64 v[12:13], v25 offset:24576
	ds_read_b64 v[14:15], v26 offset:24576
	ds_read_b64 v[16:17], v27 offset:24576
	v_mfma_f32_16x16x16_bf16 a[4:7], v[10:11], v[4:5], 0
	ds_read2st64_b64 v[2:5], v28 offset0:82 offset1:84
	ds_read2st64_b64 v[6:9], v23 offset0:82 offset1:84
	s_addc_u32 s5, s5, s1
	s_add_i32 s1, s42, s33
	s_add_i32 s0, s35, -1
	s_add_i32 s37, s1, s43
	s_add_i32 s1, s45, s44
	;; [unrolled: 1-line block ×3, first 2 shown]
	s_ashr_i32 s1, s0, 31
	s_mul_i32 s2, s0, s31
	s_mul_hi_u32 s3, s0, s30
	s_add_i32 s2, s3, s2
	s_mul_i32 s1, s1, s30
	s_waitcnt lgkmcnt(1)
	v_mfma_f32_16x16x16_bf16 a[4:7], v[12:13], v[2:3], a[4:7]
	s_add_i32 s1, s2, s1
	s_lshl_b64 s[2:3], s[36:37], 2
	s_add_u32 s10, s10, s2
	s_waitcnt lgkmcnt(0)
	v_mfma_f32_16x16x16_bf16 a[0:3], v[12:13], v[6:7], a[0:3]
	s_addc_u32 s11, s11, s3
	s_lshl_b64 s[2:3], s[38:39], 2
	s_mul_i32 s0, s0, s30
	s_add_u32 s10, s10, s2
	ds_read_b64 v[2:3], v23 offset:44032
	v_mfma_f32_16x16x16_bf16 a[4:7], v[14:15], v[4:5], a[4:7]
	ds_read_b64 v[4:5], v28 offset:44032
	s_addc_u32 s11, s11, s3
	s_lshl_b64 s[0:1], s[0:1], 2
	v_mfma_f32_16x16x16_bf16 a[0:3], v[14:15], v[8:9], a[0:3]
	s_add_u32 s0, s10, s0
	s_addc_u32 s1, s11, s1
	s_load_dword s12, s[0:1], 0x0
	s_waitcnt lgkmcnt(0)
	v_mfma_f32_16x16x16_bf16 a[0:3], v[16:17], v[2:3], a[0:3]
	s_and_b64 vcc, exec, s[22:23]
	v_mfma_f32_16x16x16_bf16 a[4:7], v[16:17], v[4:5], a[4:7]
	s_cbranch_vccz .LBB307_41
; %bb.31:
	v_lshlrev_b32_e32 v20, 1, v22
	s_and_b64 vcc, exec, s[6:7]
	s_cbranch_vccz .LBB307_42
; %bb.32:
	v_cmp_gt_i32_e32 vcc, s27, v20
	v_mov_b32_e32 v6, 0
	v_mov_b32_e32 v2, 0
	;; [unrolled: 1-line block ×5, first 2 shown]
	s_and_saveexec_b64 s[0:1], vcc
	s_cbranch_execz .LBB307_34
; %bb.33:
	v_mad_i64_i32 v[2:3], s[2:3], s15, v20, 0
	v_lshl_add_u64 v[2:3], v[2:3], 1, s[4:5]
	v_lshlrev_b32_e32 v4, 1, v18
	v_mov_b32_e32 v5, 0
	v_lshl_add_u64 v[2:3], v[2:3], 0, v[4:5]
	global_load_dwordx4 v[2:5], v[2:3], off
.LBB307_34:
	s_or_b64 exec, exec, s[0:1]
	v_or_b32_e32 v21, 1, v20
	v_cmp_gt_i32_e64 s[0:1], s27, v21
	v_mov_b32_e32 v7, 0
	v_mov_b32_e32 v8, 0
	;; [unrolled: 1-line block ×3, first 2 shown]
	s_and_saveexec_b64 s[2:3], s[0:1]
	s_cbranch_execz .LBB307_36
; %bb.35:
	v_mad_i64_i32 v[6:7], s[16:17], s15, v21, 0
	v_lshl_add_u64 v[6:7], v[6:7], 1, s[4:5]
	v_lshlrev_b32_e32 v8, 1, v18
	v_mov_b32_e32 v9, 0
	v_lshl_add_u64 v[6:7], v[6:7], 0, v[8:9]
	global_load_dwordx4 v[6:9], v[6:7], off
.LBB307_36:
	s_or_b64 exec, exec, s[2:3]
	v_mov_b32_e32 v17, 0
	v_mov_b32_e32 v10, 0
	;; [unrolled: 1-line block ×5, first 2 shown]
	s_and_saveexec_b64 s[2:3], vcc
	s_cbranch_execz .LBB307_38
; %bb.37:
	v_mad_i64_i32 v[10:11], s[16:17], s15, v20, 0
	v_lshl_add_u64 v[10:11], v[10:11], 1, s[4:5]
	v_lshlrev_b32_e32 v12, 1, v18
	v_mov_b32_e32 v13, 0
	v_lshl_add_u64 v[10:11], v[10:11], 0, v[12:13]
	global_load_dwordx4 v[10:13], v[10:11], off offset:128
.LBB307_38:
	s_or_b64 exec, exec, s[2:3]
	v_mov_b32_e32 v16, 0
	v_mov_b32_e32 v15, 0
	v_mov_b32_e32 v14, 0
	s_and_saveexec_b64 s[2:3], s[0:1]
	s_cbranch_execz .LBB307_40
; %bb.39:
	v_mad_i64_i32 v[14:15], s[0:1], s15, v21, 0
	v_lshl_add_u64 v[14:15], v[14:15], 1, s[4:5]
	v_lshlrev_b32_e32 v16, 1, v18
	v_mov_b32_e32 v17, 0
	v_lshl_add_u64 v[14:15], v[14:15], 0, v[16:17]
	global_load_dwordx4 v[14:17], v[14:15], off offset:128
.LBB307_40:
	s_or_b64 exec, exec, s[2:3]
	s_branch .LBB307_44
.LBB307_41:
                                        ; implicit-def: $vgpr5
                                        ; implicit-def: $vgpr9
                                        ; implicit-def: $vgpr13
                                        ; implicit-def: $vgpr17
	v_lshrrev_b32_e32 v29, 2, v60
	s_branch .LBB307_45
.LBB307_42:
                                        ; implicit-def: $vgpr5
                                        ; implicit-def: $vgpr9
                                        ; implicit-def: $vgpr13
                                        ; implicit-def: $vgpr17
	s_cbranch_execz .LBB307_44
; %bb.43:
	s_waitcnt vmcnt(0)
	v_mad_u64_u32 v[2:3], s[0:1], v20, s15, v[18:19]
	v_lshlrev_b32_e32 v20, 1, v2
	s_lshl_b32 s2, s15, 7
	s_and_b32 s1, s5, 0xffff
	s_mov_b32 s3, 0x20000
	s_mov_b32 s0, s4
	v_add_lshl_u32 v21, v2, s15, 1
	s_movk_i32 s13, 0x80
	buffer_load_dwordx4 v[2:5], v20, s[0:3], 0 offen
	buffer_load_dwordx4 v[10:13], v20, s[0:3], s13 offen
	;; [unrolled: 1-line block ×4, first 2 shown]
.LBB307_44:
	v_lshrrev_b32_e32 v29, 2, v60
	s_cbranch_execnz .LBB307_57
.LBB307_45:
	s_and_b64 vcc, exec, s[6:7]
	s_cbranch_vccz .LBB307_55
; %bb.46:
	s_waitcnt vmcnt(0)
	v_lshlrev_b32_e32 v7, 1, v22
	v_cmp_gt_i32_e32 vcc, s27, v7
	v_mov_b32_e32 v6, 0
	v_lshlrev_b32_e32 v14, 9, v22
	v_mov_b32_e32 v2, 0
	v_mov_b32_e32 v3, 0
	;; [unrolled: 1-line block ×4, first 2 shown]
	s_and_saveexec_b64 s[0:1], vcc
	s_cbranch_execz .LBB307_48
; %bb.47:
	v_mov_b32_e32 v15, 0
	v_lshl_add_u64 v[2:3], s[4:5], 0, v[14:15]
	v_lshlrev_b32_e32 v4, 1, v18
	v_mov_b32_e32 v5, v15
	v_lshl_add_u64 v[2:3], v[2:3], 0, v[4:5]
	global_load_dwordx4 v[2:5], v[2:3], off
.LBB307_48:
	s_or_b64 exec, exec, s[0:1]
	v_or_b32_e32 v7, 1, v7
	v_cmp_gt_i32_e64 s[0:1], s27, v7
	v_lshlrev_b32_e32 v20, 8, v7
	v_mov_b32_e32 v7, 0
	v_mov_b32_e32 v8, 0
	;; [unrolled: 1-line block ×3, first 2 shown]
	s_and_saveexec_b64 s[2:3], s[0:1]
	s_cbranch_execz .LBB307_50
; %bb.49:
	v_mov_b32_e32 v21, 0
	v_lshl_add_u64 v[6:7], s[4:5], 0, v[20:21]
	v_lshlrev_b32_e32 v8, 1, v18
	v_mov_b32_e32 v9, v21
	v_lshl_add_u64 v[6:7], v[6:7], 0, v[8:9]
	global_load_dwordx4 v[6:9], v[6:7], off
.LBB307_50:
	s_or_b64 exec, exec, s[2:3]
	v_mov_b32_e32 v17, 0
	v_mov_b32_e32 v10, 0
	;; [unrolled: 1-line block ×5, first 2 shown]
	s_and_saveexec_b64 s[2:3], vcc
	s_cbranch_execz .LBB307_52
; %bb.51:
	v_mov_b32_e32 v15, 0
	v_lshl_add_u64 v[10:11], s[4:5], 0, v[14:15]
	v_lshlrev_b32_e32 v14, 1, v18
	v_lshl_add_u64 v[10:11], v[10:11], 0, v[14:15]
	global_load_dwordx4 v[10:13], v[10:11], off offset:128
.LBB307_52:
	s_or_b64 exec, exec, s[2:3]
	v_mov_b32_e32 v16, 0
	v_mov_b32_e32 v15, 0
	;; [unrolled: 1-line block ×3, first 2 shown]
	s_and_saveexec_b64 s[2:3], s[0:1]
	s_cbranch_execz .LBB307_54
; %bb.53:
	v_mov_b32_e32 v21, 0
	v_lshl_add_u64 v[14:15], s[4:5], 0, v[20:21]
	v_lshlrev_b32_e32 v20, 1, v18
	v_lshl_add_u64 v[14:15], v[14:15], 0, v[20:21]
	global_load_dwordx4 v[14:17], v[14:15], off offset:128
.LBB307_54:
	s_or_b64 exec, exec, s[2:3]
	s_branch .LBB307_57
.LBB307_55:
                                        ; implicit-def: $vgpr5
                                        ; implicit-def: $vgpr9
                                        ; implicit-def: $vgpr13
                                        ; implicit-def: $vgpr17
	s_cbranch_execz .LBB307_57
; %bb.56:
	s_waitcnt vmcnt(0)
	v_lshlrev_b32_e32 v2, 1, v18
	v_lshl_or_b32 v18, v22, 9, v2
	s_and_b32 s5, s5, 0xffff
	s_mov_b32 s7, 0x20000
	s_movk_i32 s6, 0x4000
	s_movk_i32 s0, 0x80
	buffer_load_dwordx4 v[2:5], v18, s[4:7], 0 offen
	buffer_load_dwordx4 v[6:9], v18, s[4:7], 0 offen offset:256
	buffer_load_dwordx4 v[10:13], v18, s[4:7], s0 offen
	buffer_load_dwordx4 v[14:17], v18, s[4:7], s0 offen offset:256
.LBB307_57:
	ds_read_b64 v[20:21], v24 offset:32768
	v_add_u32_e32 v18, 0xb000, v23
	ds_read2_b64 v[30:33], v18 offset1:16
	ds_read_b64 v[36:37], v25 offset:32768
	ds_read_b64 v[38:39], v26 offset:32768
	;; [unrolled: 1-line block ×3, first 2 shown]
	v_and_b32_e32 v18, 6, v0
	v_xor_b32_e32 v22, v22, v18
	v_lshlrev_b32_e32 v22, 2, v22
	v_and_b32_e32 v0, 1, v0
	v_cmp_eq_u32_e32 vcc, 0, v0
	s_mov_b32 s0, 0x1000504
	s_waitcnt lgkmcnt(3)
	v_mfma_f32_16x16x16_bf16 a[0:3], v[20:21], v[30:31], a[0:3]
	s_mov_b32 s1, 0x3020706
	v_mfma_f32_16x16x16_bf16 a[4:7], v[20:21], v[32:33], a[4:7]
	ds_read2st64_b64 v[24:27], v23 offset0:90 offset1:92
	ds_read2st64_b64 v[30:33], v28 offset0:90 offset1:92
	s_waitcnt lgkmcnt(1)
	v_mfma_f32_16x16x16_bf16 a[0:3], v[36:37], v[24:25], a[0:3]
	ds_read_b64 v[20:21], v23 offset:48128
	ds_read_b64 v[24:25], v28 offset:48128
	v_xor_b32_e32 v23, 0x440, v22
	v_cndmask_b32_e32 v0, v23, v22, vcc
	s_waitcnt lgkmcnt(2)
	v_mfma_f32_16x16x16_bf16 a[4:7], v[36:37], v[30:31], a[4:7]
	v_lshl_or_b32 v0, v18, 10, v0
	s_waitcnt vmcnt(0)
	v_perm_b32 v18, v2, v6, s0
	v_perm_b32 v2, v2, v6, s1
	v_mfma_f32_16x16x16_bf16 a[0:3], v[38:39], v[26:27], a[0:3]
	v_perm_b32 v6, v10, v14, s1
	v_mfma_f32_16x16x16_bf16 a[8:11], v[38:39], v[32:33], a[4:7]
	s_waitcnt lgkmcnt(1)
	v_mfma_f32_16x16x16_bf16 a[4:7], v[40:41], v[20:21], a[0:3]
	v_perm_b32 v20, v10, v14, s0
	ds_write2st64_b32 v0, v18, v20 offset0:32 offset1:64
	v_xor_b32_e32 v18, 8, v0
	v_add_u32_e32 v10, 0x80, v18
	ds_write2st64_b32 v10, v2, v6 offset0:32 offset1:64
	v_xor_b32_e32 v2, 16, v0
	v_perm_b32 v6, v3, v7, s0
	v_perm_b32 v10, v11, v15, s0
	ds_write2st64_b32 v2, v6, v10 offset0:33 offset1:65
	v_xor_b32_e32 v2, 24, v0
	v_perm_b32 v3, v3, v7, s1
	v_perm_b32 v6, v11, v15, s1
	v_add_u32_e32 v2, 0x80, v2
	ds_write2st64_b32 v2, v3, v6 offset0:33 offset1:65
	v_xor_b32_e32 v2, 32, v0
	v_perm_b32 v3, v4, v8, s0
	v_perm_b32 v6, v12, v16, s0
	s_waitcnt lgkmcnt(4)
	v_mfma_f32_16x16x16_bf16 a[0:3], v[40:41], v[24:25], a[8:11]
	ds_write2st64_b32 v2, v3, v6 offset0:34 offset1:66
	v_xor_b32_e32 v2, 40, v0
	v_perm_b32 v3, v4, v8, s1
	v_perm_b32 v4, v12, v16, s1
	v_add_u32_e32 v2, 0x80, v2
	ds_write2st64_b32 v2, v3, v4 offset0:34 offset1:66
	v_xor_b32_e32 v2, 48, v0
	v_perm_b32 v3, v5, v9, s0
	v_perm_b32 v4, v13, v17, s0
	v_xor_b32_e32 v0, 56, v0
	v_and_or_b32 v21, v29, 12, v1
	ds_write2st64_b32 v2, v3, v4 offset0:35 offset1:67
	v_perm_b32 v2, v5, v9, s1
	v_perm_b32 v3, v13, v17, s1
	v_add_u32_e32 v0, 0x80, v0
	v_cmp_gt_i32_e32 vcc, s27, v21
	v_mov_b32_e32 v16, 0
	v_mov_b32_e32 v18, 0
	ds_write2st64_b32 v0, v2, v3 offset0:35 offset1:67
	s_and_saveexec_b64 s[0:1], vcc
	s_cbranch_execz .LBB307_59
; %bb.58:
	v_add_u32_e32 v0, s26, v21
	v_ashrrev_i32_e32 v1, 31, v0
	v_mul_lo_u32 v2, v1, s30
	v_mul_lo_u32 v3, v0, s31
	v_mad_u64_u32 v[0:1], s[2:3], v0, s30, 0
	v_add3_u32 v1, v1, v3, v2
	v_lshl_add_u64 v[0:1], v[0:1], 2, s[10:11]
	global_load_dword v0, v[0:1], off
	s_waitcnt vmcnt(0)
	v_sub_f32_e32 v0, s12, v0
	v_exp_f32_e32 v18, v0
.LBB307_59:
	s_or_b64 exec, exec, s[0:1]
	v_or_b32_e32 v10, 1, v21
	v_cmp_gt_i32_e64 s[2:3], s27, v10
	s_and_saveexec_b64 s[0:1], s[2:3]
	s_cbranch_execz .LBB307_61
; %bb.60:
	v_add_u32_e32 v0, s26, v10
	v_ashrrev_i32_e32 v1, 31, v0
	v_mul_lo_u32 v2, v1, s30
	v_mul_lo_u32 v3, v0, s31
	v_mad_u64_u32 v[0:1], s[4:5], v0, s30, 0
	v_add3_u32 v1, v1, v3, v2
	v_lshl_add_u64 v[0:1], v[0:1], 2, s[10:11]
	global_load_dword v0, v[0:1], off
	s_waitcnt vmcnt(0)
	v_sub_f32_e32 v0, s12, v0
	v_exp_f32_e32 v16, v0
.LBB307_61:
	s_or_b64 exec, exec, s[0:1]
	v_or_b32_e32 v12, 2, v21
	v_cmp_gt_i32_e64 s[0:1], s27, v12
	v_mov_b32_e32 v17, 0
	v_mov_b32_e32 v20, 0
	s_and_saveexec_b64 s[4:5], s[0:1]
	s_cbranch_execz .LBB307_63
; %bb.62:
	v_add_u32_e32 v0, s26, v12
	v_ashrrev_i32_e32 v1, 31, v0
	v_mul_lo_u32 v2, v1, s30
	v_mul_lo_u32 v3, v0, s31
	v_mad_u64_u32 v[0:1], s[6:7], v0, s30, 0
	v_add3_u32 v1, v1, v3, v2
	v_lshl_add_u64 v[0:1], v[0:1], 2, s[10:11]
	global_load_dword v0, v[0:1], off
	s_waitcnt vmcnt(0)
	v_sub_f32_e32 v0, s12, v0
	v_exp_f32_e32 v20, v0
.LBB307_63:
	s_or_b64 exec, exec, s[4:5]
	v_or_b32_e32 v14, 3, v21
	v_cmp_gt_i32_e64 s[4:5], s27, v14
	s_and_saveexec_b64 s[6:7], s[4:5]
	s_cbranch_execz .LBB307_65
; %bb.64:
	v_add_u32_e32 v0, s26, v14
	v_ashrrev_i32_e32 v1, 31, v0
	v_mul_lo_u32 v2, v1, s30
	v_mul_lo_u32 v3, v0, s31
	v_mad_u64_u32 v[0:1], s[14:15], v0, s30, 0
	v_add3_u32 v1, v1, v3, v2
	v_lshl_add_u64 v[0:1], v[0:1], 2, s[10:11]
	global_load_dword v0, v[0:1], off
	s_waitcnt vmcnt(0)
	v_sub_f32_e32 v0, s12, v0
	v_exp_f32_e32 v17, v0
.LBB307_65:
	s_or_b64 exec, exec, s[6:7]
	s_add_u32 s6, s8, s20
	s_addc_u32 s7, s9, s21
	s_add_u32 s8, s28, s20
	v_ashrrev_i32_e32 v51, 31, v50
	v_accvgpr_read_b32 v0, a4
	s_addc_u32 s9, s29, s21
	v_lshlrev_b64 v[4:5], 1, v[50:51]
	v_accvgpr_read_b32 v1, a5
	v_accvgpr_read_b32 v2, a6
	;; [unrolled: 1-line block ×3, first 2 shown]
	v_lshl_add_u64 v[6:7], s[6:7], 0, v[4:5]
	v_lshl_add_u64 v[4:5], s[8:9], 0, v[4:5]
	v_mov_b32_e32 v11, 0
	v_lshlrev_b32_e32 v8, 8, v21
	v_mov_b32_e32 v9, 0
	s_and_saveexec_b64 s[6:7], vcc
	s_cbranch_execz .LBB307_67
; %bb.66:
	v_mov_b32_e32 v9, 0
	v_lshl_add_u64 v[22:23], v[6:7], 0, v[8:9]
	global_load_ushort v13, v[22:23], off
	v_lshl_add_u64 v[22:23], v[4:5], 0, v[8:9]
	s_waitcnt vmcnt(0)
	v_lshlrev_b32_e32 v9, 16, v13
	v_sub_f32_e32 v0, v9, v0
	global_store_short_d16_hi v[22:23], v0, off
	v_mul_f32_e32 v0, v18, v0
	v_lshrrev_b32_e32 v9, 16, v0
.LBB307_67:
	s_or_b64 exec, exec, s[6:7]
	v_lshlrev_b32_e32 v10, 8, v10
	s_and_saveexec_b64 s[6:7], s[2:3]
	s_cbranch_execz .LBB307_69
; %bb.68:
	v_mov_b32_e32 v11, 0
	v_lshl_add_u64 v[22:23], v[6:7], 0, v[10:11]
	global_load_ushort v0, v[22:23], off
	v_lshl_add_u64 v[22:23], v[4:5], 0, v[10:11]
	s_waitcnt vmcnt(0)
	v_lshlrev_b32_e32 v0, 16, v0
	v_sub_f32_e32 v0, v0, v1
	global_store_short_d16_hi v[22:23], v0, off
	v_mul_f32_e32 v0, v16, v0
	v_lshrrev_b32_e32 v11, 16, v0
.LBB307_69:
	s_or_b64 exec, exec, s[6:7]
	v_mov_b32_e32 v15, 0
	v_lshlrev_b32_e32 v12, 8, v12
	v_mov_b32_e32 v13, 0
	s_and_saveexec_b64 s[6:7], s[0:1]
	s_cbranch_execz .LBB307_71
; %bb.70:
	v_mov_b32_e32 v13, 0
	v_lshl_add_u64 v[0:1], v[6:7], 0, v[12:13]
	global_load_ushort v22, v[0:1], off
	v_lshl_add_u64 v[0:1], v[4:5], 0, v[12:13]
	s_waitcnt vmcnt(0)
	v_lshlrev_b32_e32 v13, 16, v22
	v_sub_f32_e32 v2, v13, v2
	global_store_short_d16_hi v[0:1], v2, off
	v_mul_f32_e32 v0, v20, v2
	v_lshrrev_b32_e32 v13, 16, v0
.LBB307_71:
	s_or_b64 exec, exec, s[6:7]
	v_lshlrev_b32_e32 v14, 8, v14
	s_and_saveexec_b64 s[6:7], s[4:5]
	s_cbranch_execz .LBB307_73
; %bb.72:
	v_mov_b32_e32 v15, 0
	v_lshl_add_u64 v[0:1], v[6:7], 0, v[14:15]
	global_load_ushort v2, v[0:1], off
	v_lshl_add_u64 v[0:1], v[4:5], 0, v[14:15]
	s_waitcnt vmcnt(0)
	v_lshlrev_b32_e32 v2, 16, v2
	v_sub_f32_e32 v2, v2, v3
	global_store_short_d16_hi v[0:1], v2, off
	v_mul_f32_e32 v0, v17, v2
	v_lshrrev_b32_e32 v15, 16, v0
.LBB307_73:
	s_or_b64 exec, exec, s[6:7]
	v_lshlrev_b32_e32 v21, 5, v21
	s_mov_b32 s6, 0x5040100
	v_perm_b32 v22, v11, v9, s6
	v_or_b32_e32 v9, v21, v34
	v_accvgpr_read_b32 v0, a0
	v_perm_b32 v23, v15, v13, s6
	v_lshlrev_b32_e32 v9, 1, v9
	v_accvgpr_read_b32 v1, a1
	v_accvgpr_read_b32 v2, a2
	;; [unrolled: 1-line block ×3, first 2 shown]
	ds_write_b64 v9, v[22:23] offset:45056
	v_mov_b32_e32 v11, 0
	v_mov_b32_e32 v9, 0
	s_and_saveexec_b64 s[6:7], vcc
	s_cbranch_execz .LBB307_75
; %bb.74:
	v_mov_b32_e32 v9, 0
	v_lshl_add_u64 v[22:23], v[6:7], 0, v[8:9]
	global_load_ushort v13, v[22:23], off offset:32
	v_lshl_add_u64 v[8:9], v[4:5], 0, v[8:9]
	s_waitcnt vmcnt(0)
	v_lshlrev_b32_e32 v13, 16, v13
	v_sub_f32_e32 v0, v13, v0
	global_store_short_d16_hi v[8:9], v0, off offset:32
	v_mul_f32_e32 v0, v18, v0
	v_lshrrev_b32_e32 v9, 16, v0
.LBB307_75:
	s_or_b64 exec, exec, s[6:7]
	s_and_saveexec_b64 s[6:7], s[2:3]
	s_cbranch_execz .LBB307_77
; %bb.76:
	v_mov_b32_e32 v11, 0
	v_lshl_add_u64 v[22:23], v[6:7], 0, v[10:11]
	global_load_ushort v0, v[22:23], off offset:32
	v_lshl_add_u64 v[10:11], v[4:5], 0, v[10:11]
	s_waitcnt vmcnt(0)
	v_lshlrev_b32_e32 v0, 16, v0
	v_sub_f32_e32 v0, v0, v1
	global_store_short_d16_hi v[10:11], v0, off offset:32
	v_mul_f32_e32 v0, v16, v0
	v_lshrrev_b32_e32 v11, 16, v0
.LBB307_77:
	s_or_b64 exec, exec, s[6:7]
	v_mov_b32_e32 v0, 0
	v_mov_b32_e32 v1, 0
	s_and_saveexec_b64 s[2:3], s[0:1]
	s_cbranch_execz .LBB307_79
; %bb.78:
	v_mov_b32_e32 v13, 0
	v_lshl_add_u64 v[22:23], v[6:7], 0, v[12:13]
	global_load_ushort v1, v[22:23], off offset:32
	v_lshl_add_u64 v[12:13], v[4:5], 0, v[12:13]
	s_waitcnt vmcnt(0)
	v_lshlrev_b32_e32 v1, 16, v1
	v_sub_f32_e32 v1, v1, v2
	global_store_short_d16_hi v[12:13], v1, off offset:32
	v_mul_f32_e32 v1, v20, v1
	v_lshrrev_b32_e32 v1, 16, v1
.LBB307_79:
	s_or_b64 exec, exec, s[2:3]
	s_and_saveexec_b64 s[0:1], s[4:5]
	s_cbranch_execz .LBB307_81
; %bb.80:
	v_mov_b32_e32 v15, 0
	v_lshl_add_u64 v[6:7], v[6:7], 0, v[14:15]
	global_load_ushort v0, v[6:7], off offset:32
	v_lshl_add_u64 v[4:5], v[4:5], 0, v[14:15]
	s_waitcnt vmcnt(0)
	v_lshlrev_b32_e32 v0, 16, v0
	v_sub_f32_e32 v0, v0, v3
	global_store_short_d16_hi v[4:5], v0, off offset:32
	v_mul_f32_e32 v0, v17, v0
	v_lshrrev_b32_e32 v0, 16, v0
.LBB307_81:
	s_or_b64 exec, exec, s[0:1]
	s_mov_b32 s0, 0x5040100
	v_or_b32_e32 v2, v21, v19
	v_perm_b32 v1, v0, v1, s0
	v_perm_b32 v0, v11, v9, s0
	v_lshlrev_b32_e32 v2, 1, v2
	ds_write_b64 v2, v[0:1] offset:45056
	s_waitcnt lgkmcnt(0)
	s_barrier
.LBB307_82:
	s_endpgm
	.section	.rodata,"a",@progbits
	.p2align	6, 0x0
	.amdhsa_kernel _ZN12_GLOBAL__N_139chunk_gated_delta_rule_fwd_h_hip_kernelILi32ELb1ELb0ELb1ELb1ELb1ELb0ELb0ELb1EEEvPK12hip_bfloat16S3_S3_PKfS5_PKvPS1_S8_PvPKiSB_iiiiilll
		.amdhsa_group_segment_fixed_size 49152
		.amdhsa_private_segment_fixed_size 0
		.amdhsa_kernarg_size 136
		.amdhsa_user_sgpr_count 2
		.amdhsa_user_sgpr_dispatch_ptr 0
		.amdhsa_user_sgpr_queue_ptr 0
		.amdhsa_user_sgpr_kernarg_segment_ptr 1
		.amdhsa_user_sgpr_dispatch_id 0
		.amdhsa_user_sgpr_kernarg_preload_length 0
		.amdhsa_user_sgpr_kernarg_preload_offset 0
		.amdhsa_user_sgpr_private_segment_size 0
		.amdhsa_uses_dynamic_stack 0
		.amdhsa_enable_private_segment 0
		.amdhsa_system_sgpr_workgroup_id_x 1
		.amdhsa_system_sgpr_workgroup_id_y 1
		.amdhsa_system_sgpr_workgroup_id_z 0
		.amdhsa_system_sgpr_workgroup_info 0
		.amdhsa_system_vgpr_workitem_id 0
		.amdhsa_next_free_vgpr 148
		.amdhsa_next_free_sgpr 64
		.amdhsa_accum_offset 132
		.amdhsa_reserve_vcc 1
		.amdhsa_float_round_mode_32 0
		.amdhsa_float_round_mode_16_64 0
		.amdhsa_float_denorm_mode_32 3
		.amdhsa_float_denorm_mode_16_64 3
		.amdhsa_dx10_clamp 1
		.amdhsa_ieee_mode 1
		.amdhsa_fp16_overflow 0
		.amdhsa_tg_split 0
		.amdhsa_exception_fp_ieee_invalid_op 0
		.amdhsa_exception_fp_denorm_src 0
		.amdhsa_exception_fp_ieee_div_zero 0
		.amdhsa_exception_fp_ieee_overflow 0
		.amdhsa_exception_fp_ieee_underflow 0
		.amdhsa_exception_fp_ieee_inexact 0
		.amdhsa_exception_int_div_zero 0
	.end_amdhsa_kernel
	.section	.text._ZN12_GLOBAL__N_139chunk_gated_delta_rule_fwd_h_hip_kernelILi32ELb1ELb0ELb1ELb1ELb1ELb0ELb0ELb1EEEvPK12hip_bfloat16S3_S3_PKfS5_PKvPS1_S8_PvPKiSB_iiiiilll,"axG",@progbits,_ZN12_GLOBAL__N_139chunk_gated_delta_rule_fwd_h_hip_kernelILi32ELb1ELb0ELb1ELb1ELb1ELb0ELb0ELb1EEEvPK12hip_bfloat16S3_S3_PKfS5_PKvPS1_S8_PvPKiSB_iiiiilll,comdat
.Lfunc_end307:
	.size	_ZN12_GLOBAL__N_139chunk_gated_delta_rule_fwd_h_hip_kernelILi32ELb1ELb0ELb1ELb1ELb1ELb0ELb0ELb1EEEvPK12hip_bfloat16S3_S3_PKfS5_PKvPS1_S8_PvPKiSB_iiiiilll, .Lfunc_end307-_ZN12_GLOBAL__N_139chunk_gated_delta_rule_fwd_h_hip_kernelILi32ELb1ELb0ELb1ELb1ELb1ELb0ELb0ELb1EEEvPK12hip_bfloat16S3_S3_PKfS5_PKvPS1_S8_PvPKiSB_iiiiilll
                                        ; -- End function
	.section	.AMDGPU.csdata,"",@progbits
; Kernel info:
; codeLenInByte = 8644
; NumSgprs: 70
; NumVgprs: 132
; NumAgprs: 16
; TotalNumVgprs: 148
; ScratchSize: 0
; MemoryBound: 0
; FloatMode: 240
; IeeeMode: 1
; LDSByteSize: 49152 bytes/workgroup (compile time only)
; SGPRBlocks: 8
; VGPRBlocks: 18
; NumSGPRsForWavesPerEU: 70
; NumVGPRsForWavesPerEU: 148
; AccumOffset: 132
; Occupancy: 1
; WaveLimiterHint : 1
; COMPUTE_PGM_RSRC2:SCRATCH_EN: 0
; COMPUTE_PGM_RSRC2:USER_SGPR: 2
; COMPUTE_PGM_RSRC2:TRAP_HANDLER: 0
; COMPUTE_PGM_RSRC2:TGID_X_EN: 1
; COMPUTE_PGM_RSRC2:TGID_Y_EN: 1
; COMPUTE_PGM_RSRC2:TGID_Z_EN: 0
; COMPUTE_PGM_RSRC2:TIDIG_COMP_CNT: 0
; COMPUTE_PGM_RSRC3_GFX90A:ACCUM_OFFSET: 32
; COMPUTE_PGM_RSRC3_GFX90A:TG_SPLIT: 0
	.section	.text._ZN12_GLOBAL__N_139chunk_gated_delta_rule_fwd_h_hip_kernelILi32ELb1ELb0ELb0ELb1ELb1ELb0ELb0ELb1EEEvPK12hip_bfloat16S3_S3_PKfS5_PKvPS1_S8_PvPKiSB_iiiiilll,"axG",@progbits,_ZN12_GLOBAL__N_139chunk_gated_delta_rule_fwd_h_hip_kernelILi32ELb1ELb0ELb0ELb1ELb1ELb0ELb0ELb1EEEvPK12hip_bfloat16S3_S3_PKfS5_PKvPS1_S8_PvPKiSB_iiiiilll,comdat
	.globl	_ZN12_GLOBAL__N_139chunk_gated_delta_rule_fwd_h_hip_kernelILi32ELb1ELb0ELb0ELb1ELb1ELb0ELb0ELb1EEEvPK12hip_bfloat16S3_S3_PKfS5_PKvPS1_S8_PvPKiSB_iiiiilll ; -- Begin function _ZN12_GLOBAL__N_139chunk_gated_delta_rule_fwd_h_hip_kernelILi32ELb1ELb0ELb0ELb1ELb1ELb0ELb0ELb1EEEvPK12hip_bfloat16S3_S3_PKfS5_PKvPS1_S8_PvPKiSB_iiiiilll
	.p2align	8
	.type	_ZN12_GLOBAL__N_139chunk_gated_delta_rule_fwd_h_hip_kernelILi32ELb1ELb0ELb0ELb1ELb1ELb0ELb0ELb1EEEvPK12hip_bfloat16S3_S3_PKfS5_PKvPS1_S8_PvPKiSB_iiiiilll,@function
_ZN12_GLOBAL__N_139chunk_gated_delta_rule_fwd_h_hip_kernelILi32ELb1ELb0ELb0ELb1ELb1ELb0ELb0ELb1EEEvPK12hip_bfloat16S3_S3_PKfS5_PKvPS1_S8_PvPKiSB_iiiiilll: ; @_ZN12_GLOBAL__N_139chunk_gated_delta_rule_fwd_h_hip_kernelILi32ELb1ELb0ELb0ELb1ELb1ELb0ELb0ELb1EEEvPK12hip_bfloat16S3_S3_PKfS5_PKvPS1_S8_PvPKiSB_iiiiilll
; %bb.0:
	s_load_dwordx4 s[12:15], s[0:1], 0x5c
	s_load_dwordx4 s[20:23], s[0:1], 0x70
	s_abs_i32 s9, s3
	s_ashr_i32 s8, s3, 31
	s_load_dwordx4 s[4:7], s[0:1], 0x48
	s_waitcnt lgkmcnt(0)
	s_abs_i32 s10, s13
	v_cvt_f32_u32_e32 v1, s10
	s_sub_i32 s16, 0, s10
	s_ashr_i32 s11, s13, 31
	s_xor_b32 s8, s8, s11
	v_rcp_iflag_f32_e32 v1, v1
	v_and_b32_e32 v61, 15, v0
	v_lshrrev_b32_e32 v59, 6, v0
	v_bfe_u32 v60, v0, 4, 2
	v_mul_f32_e32 v1, 0x4f7ffffe, v1
	v_cvt_u32_f32_e32 v1, v1
	v_mov_b32_e32 v7, 0
	v_and_b32_e32 v58, 63, v0
	v_lshlrev_b32_e32 v62, 3, v0
	v_readfirstlane_b32 s17, v1
	s_mul_i32 s16, s16, s17
	s_mul_hi_u32 s16, s17, s16
	s_add_i32 s17, s17, s16
	s_mul_hi_u32 s16, s9, s17
	s_mul_i32 s17, s16, s10
	s_sub_i32 s9, s9, s17
	s_add_i32 s18, s16, 1
	s_sub_i32 s17, s9, s10
	s_cmp_ge_u32 s9, s10
	s_cselect_b32 s16, s18, s16
	s_cselect_b32 s9, s17, s9
	s_add_i32 s17, s16, 1
	s_cmp_ge_u32 s9, s10
	s_cselect_b32 s9, s17, s16
	s_load_dwordx4 s[16:19], s[0:1], 0x28
	s_xor_b32 s9, s9, s8
	s_sub_i32 s24, s9, s8
	s_mul_i32 s28, s24, s13
	s_ashr_i32 s25, s24, 31
	s_sub_i32 s45, s3, s28
	s_lshl_b64 s[8:9], s[24:25], 2
	s_add_u32 s4, s4, s8
	s_addc_u32 s5, s5, s9
	s_add_u32 s26, s6, s8
	s_addc_u32 s27, s7, s9
	s_abs_i32 s3, s14
	v_cvt_f32_u32_e32 v1, s3
	s_load_dwordx2 s[30:31], s[4:5], 0x0
	s_sub_i32 s5, 0, s3
	s_lshl_b32 s2, s2, 5
	v_rcp_iflag_f32_e32 v1, v1
	v_or_b32_e32 v50, s2, v61
	s_waitcnt lgkmcnt(0)
	s_sub_i32 s48, s31, s30
	s_ashr_i32 s4, s48, 31
	v_mul_f32_e32 v1, 0x4f7ffffe, v1
	v_cvt_u32_f32_e32 v1, v1
	s_lshr_b32 s4, s4, 26
	s_add_i32 s4, s48, s4
	s_ashr_i32 s46, s4, 6
	v_readfirstlane_b32 s6, v1
	s_mul_i32 s5, s5, s6
	s_mul_hi_u32 s5, s6, s5
	s_add_i32 s6, s6, s5
	s_mul_hi_u32 s5, s10, s6
	s_mul_i32 s6, s5, s3
	s_ashr_i32 s4, s14, 31
	s_sub_i32 s6, s10, s6
	s_xor_b32 s4, s11, s4
	s_add_i32 s7, s5, 1
	s_sub_i32 s8, s6, s3
	s_cmp_ge_u32 s6, s3
	s_cselect_b32 s5, s7, s5
	s_cselect_b32 s6, s8, s6
	s_add_i32 s7, s5, 1
	s_cmp_ge_u32 s6, s3
	s_cselect_b32 s3, s7, s5
	s_xor_b32 s3, s3, s4
	s_sub_i32 s3, s3, s4
	s_abs_i32 s4, s3
	v_cvt_f32_u32_e32 v1, s4
	s_sub_i32 s6, 0, s4
	s_abs_i32 s5, s45
	s_xor_b32 s3, s45, s3
	v_rcp_iflag_f32_e32 v1, v1
	s_ashr_i32 s3, s3, 31
	v_lshlrev_b32_e32 v2, 7, v50
	v_ashrrev_i32_e32 v3, 31, v2
	v_mul_f32_e32 v1, 0x4f7ffffe, v1
	v_cvt_u32_f32_e32 v1, v1
	v_lshrrev_b32_e32 v63, 3, v58
	s_mul_i32 s33, s24, s21
	s_mul_hi_u32 s40, s24, s20
	v_readfirstlane_b32 s7, v1
	s_mul_i32 s6, s6, s7
	s_mul_hi_u32 s6, s7, s6
	s_add_i32 s7, s7, s6
	s_mul_hi_u32 s6, s5, s7
	s_mul_i32 s7, s6, s4
	s_sub_i32 s5, s5, s7
	s_add_i32 s7, s6, 1
	s_sub_i32 s8, s5, s4
	s_cmp_ge_u32 s5, s4
	s_cselect_b32 s6, s7, s6
	s_cselect_b32 s5, s8, s5
	s_add_i32 s7, s6, 1
	s_cmp_ge_u32 s5, s4
	s_cselect_b32 s4, s7, s6
	s_xor_b32 s4, s4, s3
	s_sub_i32 s49, s4, s3
	s_ashr_i32 s47, s45, 31
	s_mul_hi_i32 s3, s24, s13
	s_add_u32 s4, s28, s45
	s_addc_u32 s5, s3, s47
	s_lshl_b64 s[4:5], s[4:5], 15
	s_add_u32 s4, s16, s4
	s_addc_u32 s5, s17, s5
	v_lshlrev_b32_e32 v1, 4, v59
	v_lshl_add_u64 v[4:5], v[2:3], 1, s[4:5]
	v_or_b32_e32 v2, 0x800, v2
	v_lshl_or_b32 v64, v60, 2, v1
	v_ashrrev_i32_e32 v3, 31, v2
	v_lshlrev_b32_e32 v6, 1, v64
	v_lshl_add_u64 v[2:3], v[2:3], 1, s[4:5]
	v_lshl_add_u64 v[4:5], v[4:5], 0, v[6:7]
	;; [unrolled: 1-line block ×3, first 2 shown]
	global_load_dwordx2 v[8:9], v[4:5], off
	v_or_b32_e32 v65, 64, v64
	global_load_dwordx2 v[4:5], v[4:5], off offset:128
	s_nop 0
	global_load_dwordx2 v[6:7], v[2:3], off
	global_load_dwordx2 v[10:11], v[2:3], off offset:128
	s_load_dwordx8 s[4:11], s[0:1], 0x0
	s_load_dwordx2 s[28:29], s[0:1], 0x80
	s_load_dword s52, s[26:27], 0x0
	s_mul_i32 s34, s24, s20
	s_mul_i32 s41, s25, s20
	s_mul_hi_i32 s50, s45, s12
	s_mul_i32 s51, s45, s12
	s_mul_i32 s42, s45, s23
	s_mul_hi_u32 s43, s45, s22
	s_mul_i32 s44, s47, s22
	s_cmp_lt_i32 s48, 64
	s_mul_i32 s36, s45, s22
	s_waitcnt vmcnt(3)
	v_and_b32_e32 v19, 0xffff0000, v8
	v_lshlrev_b32_e32 v18, 16, v8
	v_and_b32_e32 v21, 0xffff0000, v9
	v_lshlrev_b32_e32 v20, 16, v9
	s_waitcnt vmcnt(2)
	v_and_b32_e32 v23, 0xffff0000, v4
	v_lshlrev_b32_e32 v22, 16, v4
	v_and_b32_e32 v25, 0xffff0000, v5
	v_lshlrev_b32_e32 v24, 16, v5
	;; [unrolled: 5-line block ×4, first 2 shown]
	s_cbranch_scc1 .LBB308_17
; %bb.1:
	s_ashr_i32 s1, s30, 31
	s_add_u32 s0, s51, s30
	s_addc_u32 s1, s50, s1
	s_lshl_b64 s[0:1], s[0:1], 8
	v_and_b32_e32 v67, 56, v62
	s_waitcnt lgkmcnt(0)
	s_add_u32 s20, s6, s0
	v_lshl_or_b32 v66, v59, 3, v63
	v_lshlrev_b32_e32 v2, 1, v67
	s_addc_u32 s0, s7, s1
	v_lshl_or_b32 v68, v66, 8, v2
	s_and_b32 s21, s0, 0xffff
	s_mov_b32 s23, 0x20000
	s_movk_i32 s22, 0x4000
	s_movk_i32 s0, 0x80
	v_or_b32_e32 v69, 0x2000, v68
	buffer_load_dwordx4 v[4:7], v68, s[20:23], 0 offen
	buffer_load_dwordx4 v[8:11], v68, s[20:23], s0 offen
	;; [unrolled: 1-line block ×4, first 2 shown]
	v_lshlrev_b32_e32 v3, 3, v66
	v_and_or_b32 v17, v0, 7, v3
	v_and_b32_e32 v3, 0x78, v3
	v_lshlrev_b32_e32 v17, 4, v17
	v_xor_b32_e32 v70, v17, v3
	v_mul_lo_u32 v16, v66, s15
	v_or_b32_e32 v71, 0x1000, v70
	v_xor_b32_e32 v3, 8, v70
	s_cmpk_eq_i32 s15, 0x80
	s_mov_b32 s53, s30
	v_xor_b32_e32 v17, 8, v71
	s_cselect_b64 s[0:1], -1, 0
	s_cmpk_lg_i32 s15, 0x80
	s_waitcnt vmcnt(3)
	ds_write_b64 v70, v[4:5] offset:24576
	ds_write_b64 v3, v[6:7] offset:24576
	s_waitcnt vmcnt(2)
	ds_write_b64 v70, v[8:9] offset:32768
	ds_write_b64 v3, v[10:11] offset:32768
	;; [unrolled: 3-line block ×4, first 2 shown]
	v_lshl_add_u32 v3, v16, 1, v67
	s_cbranch_scc0 .LBB308_3
; %bb.2:
	v_lshlrev_b32_e32 v5, 1, v3
	v_add_lshl_u32 v4, v3, s15, 1
	s_lshl_b32 s22, s15, 7
	v_lshl_or_b32 v2, v66, 9, v2
	s_cbranch_execz .LBB308_4
	s_branch .LBB308_5
.LBB308_3:
                                        ; implicit-def: $vgpr4
                                        ; implicit-def: $vgpr5
                                        ; implicit-def: $sgpr22
	v_lshl_or_b32 v2, v66, 9, v2
.LBB308_4:
	v_or_b32_e32 v4, 0x100, v2
	s_movk_i32 s22, 0x4000
	v_mov_b32_e32 v5, v2
.LBB308_5:
	s_mul_i32 s16, s30, s14
	s_ashr_i32 s54, s49, 31
	s_mul_hi_i32 s3, s30, s14
	s_add_u32 s16, s16, s49
	s_addc_u32 s17, s3, s54
	s_lshl_b64 s[16:17], s[16:17], 8
	s_add_u32 s20, s4, s16
	s_addc_u32 s3, s5, s17
	s_and_b32 s21, s3, 0xffff
	s_movk_i32 s55, 0x80
	buffer_load_dwordx4 v[6:9], v5, s[20:23], 0 offen
	buffer_load_dwordx4 v[10:13], v5, s[20:23], s55 offen
	;; [unrolled: 1-line block ×4, first 2 shown]
	v_and_b32_e32 v4, 6, v0
	v_lshlrev_b32_e32 v39, 6, v64
	v_or_b32_e32 v41, 16, v61
	v_xor_b32_e32 v42, v66, v4
	v_and_b32_e32 v5, 1, v0
	v_lshl_or_b32 v45, v61, 3, v39
	v_lshl_or_b32 v39, v41, 3, v39
	v_lshlrev_b32_e32 v42, 2, v42
	v_lshlrev_b32_e32 v38, 2, v61
	v_or_b32_e32 v74, 0xa000, v39
	v_or_b32_e32 v75, 0xb000, v39
	v_xor_b32_e32 v39, 0x440, v42
	v_cmp_eq_u32_e32 vcc, 0, v5
	s_add_i32 s3, s40, s33
	v_xor_b32_e32 v43, v64, v38
	v_xor_b32_e32 v44, v65, v38
	v_cndmask_b32_e32 v5, v39, v42, vcc
	s_add_i32 s16, s43, s42
	s_add_i32 s35, s3, s41
	s_mov_b32 s56, 0x1000504
	v_lshlrev_b32_e32 v40, 8, v61
	v_lshlrev_b32_e32 v41, 8, v41
	;; [unrolled: 1-line block ×4, first 2 shown]
	v_lshl_or_b32 v4, v4, 10, v5
	s_add_i32 s37, s16, s44
	s_lshl_b64 s[16:17], s[34:35], 2
	s_mov_b32 s57, 0x3020706
	v_or_b32_e32 v72, 0xa000, v45
	v_or_b32_e32 v73, 0xb000, v45
	;; [unrolled: 1-line block ×5, first 2 shown]
	v_xor_b32_e32 v5, 8, v4
	v_xor_b32_e32 v40, 24, v4
	;; [unrolled: 1-line block ×4, first 2 shown]
	s_add_u32 s3, s10, s16
	v_or_b32_e32 v78, v41, v43
	v_xor_b32_e32 v39, 16, v4
	v_xor_b32_e32 v41, 32, v4
	;; [unrolled: 1-line block ×3, first 2 shown]
	v_add_u32_e32 v5, 0x80, v5
	v_add_u32_e32 v40, 0x80, v40
	;; [unrolled: 1-line block ×4, first 2 shown]
	s_addc_u32 s20, s11, s17
	s_lshl_b64 s[16:17], s[36:37], 2
	s_add_u32 s16, s3, s16
	s_movk_i32 s3, 0xf8
	s_addc_u32 s17, s20, s17
	s_lshl_b32 s26, s15, 7
	s_movk_i32 s24, 0x100
	v_mov_b32_e32 v53, 0
	v_lshlrev_b32_e32 v52, 4, v61
	v_cmp_gt_u32_e32 vcc, s24, v0
	v_ashrrev_i32_e32 v51, 31, v50
	v_lshl_add_u64 v[54:55], v[50:51], 1, s[8:9]
	s_mov_b32 s58, 0
	s_movk_i32 s35, 0x1000
	s_movk_i32 s22, 0x4000
	s_waitcnt vmcnt(1)
	v_perm_b32 v45, v6, v14, s56
	s_waitcnt vmcnt(0)
	v_perm_b32 v46, v10, v34, s56
	v_perm_b32 v6, v6, v14, s57
	;; [unrolled: 1-line block ×15, first 2 shown]
	ds_write2st64_b32 v4, v45, v46 offset0:32 offset1:64
	ds_write2st64_b32 v5, v6, v10 offset0:32 offset1:64
	;; [unrolled: 1-line block ×8, first 2 shown]
	v_or_b32_e32 v4, v1, v61
	v_lshlrev_b32_e32 v4, 3, v4
	v_lshrrev_b32_e32 v7, 5, v58
	v_and_or_b32 v7, v4, s3, v7
	v_lshlrev_b32_e32 v7, 4, v7
	v_lshlrev_b32_e32 v5, 11, v59
	v_and_b32_e32 v4, 0x78, v4
	v_or_b32_e32 v12, 32, v7
	v_and_b32_e32 v6, 0x1000, v5
	v_lshrrev_b32_e32 v9, 1, v0
	v_xor_b32_e32 v12, v12, v4
	v_and_b32_e32 v10, 8, v9
	v_or_b32_e32 v12, v12, v6
	v_xor_b32_e32 v8, v7, v4
	v_xor_b32_e32 v82, v12, v10
	v_or_b32_e32 v12, 64, v7
	v_or_b32_e32 v7, 0x60, v7
	s_ashr_i32 s3, s2, 31
	v_xor_b32_e32 v12, v12, v4
	v_xor_b32_e32 v4, v7, v4
	s_lshl_b64 s[20:21], s[2:3], 8
	v_or_b32_e32 v8, v8, v6
	v_or_b32_e32 v12, v12, v6
	;; [unrolled: 1-line block ×3, first 2 shown]
	s_add_u32 s20, s18, s20
	v_lshlrev_b32_e32 v6, 1, v61
	v_xor_b32_e32 v84, v12, v10
	v_lshrrev_b32_e32 v12, 4, v0
	s_addc_u32 s21, s19, s21
	v_or_b32_e32 v7, 1, v6
	v_mov_b32_e32 v16, 0x4000
	v_mov_b32_e32 v17, 0x2000
	v_xor_b32_e32 v13, v12, v6
	v_xor_b32_e32 v14, v7, v12
	v_lshl_add_u64 v[6:7], s[20:21], 0, v[52:53]
	v_lshlrev_b32_e32 v52, 8, v12
	v_cndmask_b32_e32 v16, v16, v17, vcc
	v_lshlrev_b32_e32 v17, 3, v59
	v_and_b32_e32 v9, 24, v9
	v_lshl_or_b32 v88, v13, 3, v52
	v_and_b32_e32 v13, 8, v0
	v_xor_b32_e32 v34, v17, v9
	v_or_b32_e32 v35, 0x440, v34
	v_cmp_eq_u32_e32 vcc, 0, v13
	v_and_b32_e32 v12, 7, v0
	v_xor_b32_e32 v80, v8, v10
	v_cndmask_b32_e32 v13, v35, v34, vcc
	v_lshlrev_b32_e32 v8, 7, v60
	v_lshl_or_b32 v89, v14, 3, v52
	v_lshlrev_b32_e32 v14, 3, v12
	v_lshlrev_b32_e32 v12, 7, v12
	;; [unrolled: 1-line block ×3, first 2 shown]
	v_or_b32_e32 v13, v13, v5
	v_or_b32_e32 v11, v8, v38
	v_xad_u32 v90, v13, v14, v12
	v_and_or_b32 v8, v15, 60, v8
	v_mov_b32_e32 v13, 0xb000
	v_lshl_or_b32 v91, v8, 1, v13
	v_or_b32_e32 v8, 32, v9
	v_xor_b32_e32 v8, v17, v8
	v_or_b32_e32 v13, 0x440, v8
	v_cndmask_b32_e32 v8, v13, v8, vcc
	v_or_b32_e32 v8, v8, v5
	v_xad_u32 v92, v8, v14, v12
	v_or_b32_e32 v8, 64, v9
	v_xor_b32_e32 v8, v17, v8
	v_xor_b32_e32 v13, 0x440, v8
	v_cndmask_b32_e32 v8, v13, v8, vcc
	v_or_b32_e32 v8, v8, v5
	v_xad_u32 v93, v8, v14, v12
	v_or_b32_e32 v8, 0x60, v9
	v_xor_b32_e32 v8, v17, v8
	v_xor_b32_e32 v9, 0x440, v8
	v_cndmask_b32_e32 v8, v9, v8, vcc
	v_lshlrev_b32_e32 v11, 1, v11
	v_or_b32_e32 v5, v8, v5
	v_or_b32_e32 v81, 0xa000, v11
	;; [unrolled: 1-line block ×3, first 2 shown]
	v_xor_b32_e32 v85, v4, v10
	v_or_b32_e32 v86, 0xb000, v11
	v_or_b32_e32 v87, 0xb080, v11
	v_lshlrev_b32_e32 v4, 7, v64
	v_lshlrev_b32_e32 v10, 1, v3
	v_add_lshl_u32 v3, v3, s15, 1
	v_or_b32_e32 v11, 0x100, v2
	v_xad_u32 v94, v5, v14, v12
	v_cndmask_b32_e64 v95, v10, v2, s[0:1]
	v_cndmask_b32_e64 v96, v3, v11, s[0:1]
	v_lshl_add_u64 v[56:57], v[6:7], 0, v[52:53]
	v_lshlrev_b32_e32 v52, 1, v4
	v_add_u32_e32 v51, v16, v90
	v_add_u32_e32 v97, v16, v92
	;; [unrolled: 1-line block ×4, first 2 shown]
	v_mov_b64_e32 v[2:3], v[18:19]
	s_mov_b32 s3, 0x7060302
	v_mov_b64_e32 v[4:5], v[20:21]
	v_mov_b64_e32 v[6:7], v[22:23]
	;; [unrolled: 1-line block ×7, first 2 shown]
	s_waitcnt lgkmcnt(0)
	s_barrier
	s_branch .LBB308_7
.LBB308_6:                              ;   in Loop: Header=BB308_7 Depth=1
	s_waitcnt vmcnt(2)
	v_exp_f32_e32 v34, s20
	v_accvgpr_read_b32 v21, a7
	v_accvgpr_read_b32 v19, a5
	;; [unrolled: 1-line block ×16, first 2 shown]
	v_fma_f32 v18, v2, v34, v18
	v_fma_f32 v19, v3, v34, v19
	v_fma_f32 v20, v4, v34, v20
	v_fmac_f32_e32 v21, v5, v34
	v_fma_f32 v26, v10, v34, v26
	v_fma_f32 v27, v11, v34, v27
	v_fma_f32 v28, v12, v34, v28
	v_fmac_f32_e32 v29, v13, v34
	;; [unrolled: 4-line block ×4, first 2 shown]
	s_add_i32 s53, s53, 64
	v_mov_b64_e32 v[2:3], v[18:19]
	s_cmp_eq_u32 s46, s37
	s_mov_b32 s58, s37
	v_mov_b64_e32 v[4:5], v[20:21]
	v_mov_b64_e32 v[6:7], v[22:23]
	;; [unrolled: 1-line block ×7, first 2 shown]
	s_cbranch_scc1 .LBB308_17
.LBB308_7:                              ; =>This Inner Loop Header: Depth=1
	s_add_i32 s37, s58, 1
	s_cmp_lt_i32 s37, s46
	s_mov_b64 s[24:25], 0
	s_cselect_b64 s[38:39], -1, 0
	s_cmp_ge_i32 s37, s46
	s_mov_b64 s[20:21], 0
	s_cbranch_scc1 .LBB308_9
; %bb.8:                                ;   in Loop: Header=BB308_7 Depth=1
	s_add_i32 s0, s53, 64
	s_ashr_i32 s1, s0, 31
	s_add_u32 s0, s51, s0
	s_addc_u32 s1, s50, s1
	s_lshl_b64 s[0:1], s[0:1], 8
	s_add_u32 s20, s6, s0
	s_addc_u32 s21, s7, s1
.LBB308_9:                              ;   in Loop: Header=BB308_7 Depth=1
	v_cndmask_b32_e64 v18, 0, 1, s[38:39]
	v_cmp_ne_u32_e64 s[0:1], 1, v18
	s_andn2_b64 vcc, exec, s[38:39]
	s_cbranch_vccnz .LBB308_11
; %bb.10:                               ;   in Loop: Header=BB308_7 Depth=1
	s_add_i32 s24, s53, 64
	s_mul_hi_i32 s25, s24, s14
	s_mul_i32 s24, s24, s14
	s_add_u32 s24, s24, s49
	s_addc_u32 s25, s25, s54
	s_lshl_b64 s[24:25], s[24:25], 8
	s_add_u32 s24, s4, s24
	s_addc_u32 s25, s5, s25
.LBB308_11:                             ;   in Loop: Header=BB308_7 Depth=1
	v_perm_b32 v19, v5, v4, s3
	v_perm_b32 v18, v3, v2, s3
	;; [unrolled: 1-line block ×4, first 2 shown]
	ds_write_b64 v72, v[18:19]
	ds_write_b64 v73, v[20:21]
	;; [unrolled: 1-line block ×4, first 2 shown]
	v_perm_b32 v19, v13, v12, s3
	v_perm_b32 v18, v11, v10, s3
	;; [unrolled: 1-line block ×4, first 2 shown]
	ds_write_b64 v74, v[18:19]
	ds_write_b64 v75, v[20:21]
	;; [unrolled: 1-line block ×4, first 2 shown]
	s_waitcnt lgkmcnt(0)
	s_barrier
	ds_read_b64 v[22:23], v80 offset:24576
	ds_read2_b64 v[18:21], v81 offset1:16
	ds_read_b64 v[26:27], v83 offset:3072
	ds_read_b64 v[28:29], v81 offset:3072
	;; [unrolled: 1-line block ×3, first 2 shown]
	s_waitcnt lgkmcnt(3)
	v_mfma_f32_16x16x16_bf16 a[0:3], v[22:23], v[18:19], 0
	s_add_i32 s27, s53, 63
	s_ashr_i32 s38, s27, 31
	s_mul_i32 s39, s27, s29
	v_mfma_f32_16x16x16_bf16 a[4:7], v[22:23], v[20:21], 0
	ds_read2st64_b64 v[18:21], v81 offset0:2 offset1:4
	s_mul_hi_u32 s59, s27, s28
	s_add_i32 s39, s59, s39
	s_waitcnt lgkmcnt(0)
	v_mfma_f32_16x16x16_bf16 a[0:3], v[30:31], v[18:19], a[0:3]
	ds_read2st64_b64 v[22:25], v83 offset0:2 offset1:4
	ds_read_b64 v[18:19], v84 offset:24576
	s_mul_i32 s38, s38, s28
	s_add_i32 s39, s39, s38
	s_waitcnt lgkmcnt(1)
	v_mfma_f32_16x16x16_bf16 a[4:7], v[30:31], v[22:23], a[4:7]
	ds_read_b64 v[22:23], v85 offset:24576
	s_mul_i32 s38, s27, s28
	s_lshl_b64 s[38:39], s[38:39], 2
	s_waitcnt lgkmcnt(1)
	v_mfma_f32_16x16x16_bf16 a[0:3], v[18:19], v[20:21], a[0:3]
	s_add_u32 s38, s16, s38
	s_addc_u32 s39, s17, s39
	s_and_b64 vcc, exec, s[0:1]
	v_mfma_f32_16x16x16_bf16 a[4:7], v[18:19], v[24:25], a[4:7]
	v_mov_b32_e32 v102, 0
	v_mov_b32_e32 v101, 0
	v_mov_b32_e32 v100, 0
	s_waitcnt lgkmcnt(0)
	v_mfma_f32_16x16x16_bf16 a[0:3], v[22:23], v[28:29], a[0:3]
	v_mov_b32_e32 v18, 0
	v_mov_b32_e32 v19, 0
	v_mov_b32_e32 v20, 0
	v_mfma_f32_16x16x16_bf16 a[4:7], v[22:23], v[26:27], a[4:7]
	v_mov_b32_e32 v21, 0
	v_mov_b32_e32 v22, 0
	;; [unrolled: 1-line block ×13, first 2 shown]
	s_cbranch_vccnz .LBB308_13
; %bb.12:                               ;   in Loop: Header=BB308_7 Depth=1
	s_and_b32 s21, s21, 0xffff
	buffer_load_dwordx4 v[30:33], v68, s[20:23], 0 offen
	buffer_load_dwordx4 v[26:29], v68, s[20:23], s55 offen
	;; [unrolled: 1-line block ×4, first 2 shown]
	v_mov_b32_e32 v101, v70
	v_mov_b32_e32 v100, v71
.LBB308_13:                             ;   in Loop: Header=BB308_7 Depth=1
	ds_read_b64 v[38:39], v80 offset:32768
	ds_read2_b64 v[34:37], v86 offset1:16
	ds_read_b64 v[42:43], v82 offset:32768
	ds_read_b64 v[44:45], v84 offset:32768
	ds_read_b64 v[46:47], v85 offset:32768
	v_add_u32_e32 v103, s53, v64
	s_waitcnt lgkmcnt(3)
	v_mfma_f32_16x16x16_bf16 a[0:3], v[38:39], v[34:35], a[0:3]
	v_mfma_f32_16x16x16_bf16 a[4:7], v[38:39], v[36:37], a[4:7]
	ds_read2st64_b64 v[34:37], v86 offset0:2 offset1:4
	ds_read2st64_b64 v[38:41], v87 offset0:2 offset1:4
	s_waitcnt lgkmcnt(1)
	v_mfma_f32_16x16x16_bf16 a[0:3], v[42:43], v[34:35], a[0:3]
	ds_read_b64 v[34:35], v86 offset:3072
	ds_read_b64 v[48:49], v87 offset:3072
	s_waitcnt lgkmcnt(2)
	v_mfma_f32_16x16x16_bf16 a[4:7], v[42:43], v[38:39], a[4:7]
	v_ashrrev_i32_e32 v38, 31, v103
	v_mul_lo_u32 v39, v103, s29
	v_mul_lo_u32 v38, v38, s28
	v_mfma_f32_16x16x16_bf16 a[0:3], v[44:45], v[36:37], a[0:3]
	v_mad_u64_u32 v[36:37], s[20:21], v103, s28, 0
	v_add3_u32 v37, v37, v39, v38
	v_add_u32_e32 v38, 1, v103
	v_ashrrev_i32_e32 v39, 31, v38
	v_mfma_f32_16x16x16_bf16 a[4:7], v[44:45], v[40:41], a[4:7]
	v_mul_lo_u32 v39, v39, s28
	v_mul_lo_u32 v40, v38, s29
	v_lshl_add_u64 v[36:37], v[36:37], 2, s[16:17]
	s_waitcnt lgkmcnt(1)
	v_mfma_f32_16x16x16_bf16 a[0:3], v[46:47], v[34:35], a[0:3]
	v_mad_u64_u32 v[34:35], s[20:21], v38, s28, 0
	v_add_u32_e32 v38, 2, v103
	v_add3_u32 v35, v35, v40, v39
	v_ashrrev_i32_e32 v39, 31, v38
	v_mul_lo_u32 v40, v39, s28
	v_mul_lo_u32 v41, v38, s29
	v_mad_u64_u32 v[38:39], s[20:21], v38, s28, 0
	v_add3_u32 v39, v39, v41, v40
	v_add_u32_e32 v40, 3, v103
	v_ashrrev_i32_e32 v41, 31, v40
	v_mul_lo_u32 v42, v41, s28
	v_mul_lo_u32 v43, v40, s29
	v_mad_u64_u32 v[40:41], s[20:21], v40, s28, 0
	v_add3_u32 v41, v41, v43, v42
	v_lshl_add_u64 v[40:41], v[40:41], 2, s[16:17]
	s_ashr_i32 s21, s53, 31
	v_lshl_add_u64 v[34:35], v[34:35], 2, s[16:17]
	v_lshl_add_u64 v[38:39], v[38:39], 2, s[16:17]
	global_load_dword v42, v[36:37], off
	global_load_dword v43, v[34:35], off
	;; [unrolled: 1-line block ×3, first 2 shown]
	s_nop 0
	global_load_dword v41, v[40:41], off
	s_add_u32 s20, s51, s53
	s_addc_u32 s21, s50, s21
	s_lshl_b64 s[20:21], s[20:21], 8
	v_lshl_add_u64 v[34:35], v[54:55], 0, s[20:21]
	v_lshl_add_u64 v[34:35], v[34:35], 0, v[52:53]
	global_load_ushort v45, v[34:35], off
	global_load_ushort v103, v[34:35], off offset:256
	global_load_ushort v104, v[34:35], off offset:800
	global_load_ushort v105, v[34:35], off offset:768
	global_load_ushort v106, v[34:35], off offset:544
	global_load_ushort v107, v[34:35], off offset:512
	global_load_ushort v108, v[34:35], off offset:288
	global_load_ushort v109, v[34:35], off offset:32
	s_load_dword s20, s[38:39], 0x0
	s_waitcnt lgkmcnt(0)
	v_mfma_f32_16x16x16_bf16 a[4:7], v[46:47], v[48:49], a[4:7]
	v_accvgpr_read_b32 v39, a1
	v_accvgpr_read_b32 v35, a3
	;; [unrolled: 1-line block ×4, first 2 shown]
	s_and_b64 vcc, exec, s[0:1]
	s_waitcnt vmcnt(11)
	v_sub_f32_e32 v40, s20, v42
	s_waitcnt vmcnt(10)
	v_sub_f32_e32 v48, s20, v43
	;; [unrolled: 2-line block ×4, first 2 shown]
	v_exp_f32_e32 v40, v40
	v_exp_f32_e32 v41, v48
	;; [unrolled: 1-line block ×4, first 2 shown]
	s_waitcnt vmcnt(6)
	v_lshlrev_b32_e32 v43, 16, v103
	v_lshlrev_b32_e32 v42, 16, v45
	s_waitcnt vmcnt(4)
	v_lshlrev_b32_e32 v45, 16, v105
	s_waitcnt vmcnt(2)
	v_lshlrev_b32_e32 v44, 16, v107
	v_pk_add_f32 v[38:39], v[42:43], v[38:39] neg_lo:[0,1] neg_hi:[0,1]
	v_pk_add_f32 v[34:35], v[44:45], v[34:35] neg_lo:[0,1] neg_hi:[0,1]
	v_pk_mul_f32 v[38:39], v[40:41], v[38:39]
	v_pk_mul_f32 v[34:35], v[48:49], v[34:35]
	s_waitcnt vmcnt(1)
	v_lshlrev_b32_e32 v47, 16, v108
	v_perm_b32 v35, v35, v34, s3
	v_perm_b32 v34, v39, v38, s3
	v_accvgpr_read_b32 v39, a5
	s_waitcnt vmcnt(0)
	v_lshlrev_b32_e32 v46, 16, v109
	v_accvgpr_read_b32 v38, a4
	v_pk_add_f32 v[38:39], v[46:47], v[38:39] neg_lo:[0,1] neg_hi:[0,1]
	v_accvgpr_read_b32 v37, a7
	v_accvgpr_read_b32 v36, a6
	v_pk_mul_f32 v[38:39], v[40:41], v[38:39]
	v_lshlrev_b32_e32 v41, 16, v104
	v_lshlrev_b32_e32 v40, 16, v106
	v_pk_add_f32 v[36:37], v[40:41], v[36:37] neg_lo:[0,1] neg_hi:[0,1]
	v_mov_b32_e32 v103, 0
	v_pk_mul_f32 v[36:37], v[48:49], v[36:37]
	v_mov_b32_e32 v40, 0
	v_perm_b32 v37, v37, v36, s3
	v_perm_b32 v36, v39, v38, s3
	ds_write2_b64 v73, v[34:35], v[36:37] offset1:16
	v_mov_b32_e32 v34, 0
	v_mov_b32_e32 v35, 0
	;; [unrolled: 1-line block ×15, first 2 shown]
	s_cbranch_vccnz .LBB308_15
; %bb.14:                               ;   in Loop: Header=BB308_7 Depth=1
	s_and_b32 s25, s25, 0xffff
	s_mov_b32 s27, s23
	buffer_load_dwordx4 v[46:49], v95, s[24:27], 0 offen
	buffer_load_dwordx4 v[38:41], v95, s[24:27], s55 offen
	;; [unrolled: 1-line block ×4, first 2 shown]
	v_mov_b32_e32 v102, v67
	v_mov_b32_e32 v103, v66
.LBB308_15:                             ;   in Loop: Header=BB308_7 Depth=1
	s_waitcnt lgkmcnt(0)
	s_barrier
	ds_read_b64 v[108:109], v51
	ds_read_b64 v[116:117], v91
	;; [unrolled: 1-line block ×5, first 2 shown]
	ds_read_b64 v[122:123], v92 offset:16384
	ds_read_b64 v[124:125], v90 offset:16384
	ds_read2_b64 v[104:107], v86 offset0:16 offset1:128
	s_waitcnt lgkmcnt(6)
	v_mfma_f32_16x16x16_bf16 a[0:3], v[108:109], v[116:117], 0
	ds_read_b64 v[126:127], v87 offset:3072
	ds_read_b64 v[128:129], v94 offset:16384
	s_add_i32 s21, s52, s58
	s_waitcnt lgkmcnt(2)
	v_mfma_f32_16x16x16_bf16 a[4:7], v[108:109], v[104:105], 0
	ds_read2st64_b64 v[108:111], v87 offset0:2 offset1:4
	s_mul_hi_i32 s25, s21, s13
	s_mul_i32 s21, s21, s13
	v_mfma_f32_16x16x16_bf16 a[0:3], v[112:113], v[106:107], a[0:3]
	s_add_u32 s24, s21, s45
	s_addc_u32 s25, s25, s47
	s_lshl_b64 s[24:25], s[24:25], 15
	s_waitcnt lgkmcnt(0)
	v_mfma_f32_16x16x16_bf16 a[4:7], v[112:113], v[108:109], a[4:7]
	ds_read2st64_b64 v[112:115], v86 offset0:4 offset1:6
	s_waitcnt lgkmcnt(0)
	v_mfma_f32_16x16x16_bf16 a[0:3], v[118:119], v[112:113], a[0:3]
	v_mfma_f32_16x16x16_bf16 a[8:11], v[118:119], v[110:111], a[4:7]
	;; [unrolled: 1-line block ×5, first 2 shown]
	ds_read2st64_b64 v[116:119], v89 offset1:8
	v_mfma_f32_16x16x16_bf16 a[12:15], v[124:125], v[104:105], 0
	ds_read_b64 v[124:125], v93 offset:16384
	v_mfma_f32_16x16x16_bf16 a[8:11], v[122:123], v[106:107], a[8:11]
	ds_read2st64_b64 v[104:107], v88 offset1:8
	s_waitcnt lgkmcnt(0)
	v_mov_b32_e32 v120, v104
	v_mfma_f32_16x16x16_bf16 a[12:15], v[122:123], v[108:109], a[12:15]
	v_lshl_add_u64 v[108:109], v[56:57], 0, s[24:25]
	v_add_co_u32_e32 v104, vcc, s35, v108
	v_mfma_f32_16x16x16_bf16 a[8:11], v[124:125], v[112:113], a[8:11]
	v_mov_b32_e32 v121, v105
	v_addc_co_u32_e32 v105, vcc, 0, v109, vcc
	v_mfma_f32_16x16x16_bf16 a[12:15], v[124:125], v[110:111], a[12:15]
	v_mov_b32_e32 v122, v116
	v_mov_b32_e32 v123, v117
	;; [unrolled: 1-line block ×3, first 2 shown]
	v_mfma_f32_16x16x16_bf16 a[8:11], v[128:129], v[114:115], a[8:11]
	v_mov_b32_e32 v117, v107
	s_and_b64 vcc, exec, s[0:1]
	global_store_dwordx4 v[108:109], v[120:123], off
	v_mfma_f32_16x16x16_bf16 a[12:15], v[128:129], v[126:127], a[12:15]
	global_store_dwordx4 v[104:105], v[116:119], off
	s_cbranch_vccnz .LBB308_6
; %bb.16:                               ;   in Loop: Header=BB308_7 Depth=1
	v_lshrrev_b32_e32 v104, 3, v102
	v_and_b32_e32 v104, 6, v104
	v_xor_b32_e32 v103, v104, v103
	v_lshlrev_b32_e32 v103, 2, v103
	v_and_b32_e32 v102, 8, v102
	v_xor_b32_e32 v105, 0x440, v103
	v_cmp_eq_u32_e32 vcc, 0, v102
	s_barrier
	s_nop 0
	v_cndmask_b32_e32 v102, v105, v103, vcc
	v_lshl_or_b32 v102, v104, 10, v102
	s_waitcnt vmcnt(3)
	v_perm_b32 v103, v46, v42, s56
	s_waitcnt vmcnt(2)
	v_perm_b32 v104, v38, v34, s56
	ds_write2st64_b32 v102, v103, v104 offset0:32 offset1:64
	v_xor_b32_e32 v103, 8, v102
	v_perm_b32 v42, v46, v42, s57
	v_perm_b32 v34, v38, v34, s57
	v_add_u32_e32 v38, 0x80, v103
	ds_write2st64_b32 v38, v42, v34 offset0:32 offset1:64
	v_xor_b32_e32 v34, 16, v102
	v_perm_b32 v38, v47, v43, s56
	v_perm_b32 v42, v39, v35, s56
	ds_write2st64_b32 v34, v38, v42 offset0:33 offset1:65
	v_xor_b32_e32 v34, 24, v102
	v_perm_b32 v38, v47, v43, s57
	v_perm_b32 v35, v39, v35, s57
	v_add_u32_e32 v34, 0x80, v34
	ds_write2st64_b32 v34, v38, v35 offset0:33 offset1:65
	v_xor_b32_e32 v34, 32, v102
	v_perm_b32 v35, v48, v44, s56
	;; [unrolled: 9-line block ×3, first 2 shown]
	v_perm_b32 v36, v41, v37, s56
	ds_write2st64_b32 v34, v35, v36 offset0:35 offset1:67
	v_xor_b32_e32 v34, 56, v102
	v_perm_b32 v35, v49, v45, s57
	v_perm_b32 v36, v41, v37, s57
	v_add_u32_e32 v34, 0x80, v34
	ds_write2st64_b32 v34, v35, v36 offset0:35 offset1:67
	ds_write_b64 v101, v[30:31] offset:24576
	v_xor_b32_e32 v30, 8, v101
	ds_write_b64 v30, v[32:33] offset:24576
	ds_write_b64 v101, v[26:27] offset:32768
	;; [unrolled: 1-line block ×4, first 2 shown]
	v_xor_b32_e32 v22, 8, v100
	ds_write_b64 v22, v[24:25] offset:24576
	ds_write_b64 v100, v[18:19] offset:32768
	;; [unrolled: 1-line block ×3, first 2 shown]
	s_branch .LBB308_6
.LBB308_17:
	s_lshl_b32 s26, s46, 6
	s_sub_i32 s27, s48, s26
	s_cmp_gt_i32 s27, 0
	s_cbranch_scc0 .LBB308_82
; %bb.18:
	s_add_i32 s26, s26, s30
	s_ashr_i32 s3, s26, 31
	s_cmpk_lg_i32 s15, 0x80
	s_cselect_b64 s[22:23], -1, 0
	s_and_b64 vcc, exec, s[22:23]
	s_cbranch_vccz .LBB308_20
; %bb.19:
	s_mul_hi_i32 s0, s26, s14
	s_mul_i32 s1, s26, s14
	s_ashr_i32 s14, s49, 31
	s_add_u32 s24, s1, s49
	s_addc_u32 s25, s0, s14
	s_cbranch_execz .LBB308_21
	s_branch .LBB308_22
.LBB308_20:
                                        ; implicit-def: $sgpr24_sgpr25
.LBB308_21:
	s_mul_i32 s1, s49, s12
	s_mul_hi_i32 s0, s49, s12
	s_add_u32 s24, s1, s26
	s_addc_u32 s25, s0, s3
.LBB308_22:
	s_waitcnt lgkmcnt(0)
	s_add_i32 s12, s46, s52
	s_add_u32 s0, s51, s26
	v_lshlrev_b32_e32 v6, 5, v64
	v_lshlrev_b32_e32 v34, 2, v61
	s_addc_u32 s1, s50, s3
	s_mov_b32 s3, 0x7060302
	v_or_b32_e32 v9, v6, v34
	v_xor_b32_e32 v7, v64, v34
	v_perm_b32 v3, v21, v20, s3
	v_perm_b32 v2, v19, v18, s3
	v_perm_b32 v5, v25, v24, s3
	v_perm_b32 v4, v23, v22, s3
	v_lshlrev_b32_e32 v9, 1, v9
	v_xor_b32_e32 v8, v65, v34
	ds_write2st64_b64 v9, v[2:3], v[4:5] offset0:80 offset1:88
	v_lshlrev_b32_e32 v7, 1, v7
	v_lshlrev_b32_e32 v9, 8, v61
	s_lshl_b64 s[20:21], s[0:1], 8
	v_or_b32_e32 v10, v7, v9
	v_lshlrev_b32_e32 v8, 1, v8
	s_add_u32 s0, s6, s20
	ds_write_b64 v10, v[2:3]
	v_or_b32_e32 v2, v8, v9
	s_addc_u32 s1, s7, s21
	ds_write_b64 v2, v[4:5]
	v_perm_b32 v3, v29, v28, s3
	v_perm_b32 v2, v27, v26, s3
	;; [unrolled: 1-line block ×4, first 2 shown]
	v_or_b32_e32 v9, 16, v61
	s_mul_hi_i32 s3, s12, s13
	s_mul_i32 s12, s12, s13
	v_lshlrev_b32_e32 v19, 2, v9
	s_add_u32 s6, s12, s45
	v_or_b32_e32 v6, v6, v19
	s_addc_u32 s7, s3, s47
	v_lshlrev_b32_e32 v6, 1, v6
	s_ashr_i32 s3, s2, 31
	s_lshl_b64 s[6:7], s[6:7], 15
	ds_write2st64_b64 v6, v[2:3], v[4:5] offset0:80 offset1:88
	v_lshlrev_b32_e32 v6, 8, v9
	s_add_u32 s6, s18, s6
	v_or_b32_e32 v7, v7, v6
	s_addc_u32 s7, s19, s7
	s_lshl_b64 s[2:3], s[2:3], 8
	ds_write_b64 v7, v[2:3]
	v_or_b32_e32 v2, v8, v6
	s_add_u32 s2, s6, s2
	ds_write_b64 v2, v[4:5]
	v_lshrrev_b32_e32 v2, 4, v0
	s_addc_u32 s3, s7, s3
	v_lshlrev_b32_e32 v3, 1, v61
	v_lshlrev_b32_e32 v10, 4, v61
	v_mov_b32_e32 v11, 0
	v_or_b32_e32 v4, 1, v3
	v_xor_b32_e32 v3, v2, v3
	v_lshl_add_u64 v[12:13], s[2:3], 0, v[10:11]
	v_lshlrev_b32_e32 v10, 8, v2
	v_xor_b32_e32 v6, v4, v2
	v_lshl_or_b32 v2, v3, 3, v10
	s_waitcnt lgkmcnt(0)
	s_barrier
	ds_read2st64_b64 v[2:5], v2 offset1:8
	v_lshl_or_b32 v6, v6, 3, v10
	ds_read2st64_b64 v[6:9], v6 offset1:8
	v_lshl_add_u64 v[14:15], v[12:13], 0, v[10:11]
	s_movk_i32 s2, 0x1000
	s_waitcnt lgkmcnt(1)
	v_mov_b32_e32 v10, v2
	v_add_co_u32_e32 v2, vcc, s2, v14
	s_cmp_lg_u32 s27, 64
	v_mov_b32_e32 v11, v3
	v_addc_co_u32_e32 v3, vcc, 0, v15, vcc
	s_cselect_b64 s[6:7], -1, 0
	v_lshl_or_b32 v22, v59, 3, v63
	s_waitcnt lgkmcnt(0)
	v_mov_b32_e32 v12, v6
	v_mov_b32_e32 v13, v7
	;; [unrolled: 1-line block ×4, first 2 shown]
	s_mov_b32 s16, 0
	v_or_b32_e32 v20, 32, v22
	v_and_b32_e32 v18, 56, v62
	s_and_b64 vcc, exec, s[6:7]
	global_store_dwordx4 v[14:15], v[10:13], off
	global_store_dwordx4 v[2:3], v[6:9], off
	s_cbranch_vccz .LBB308_28
; %bb.23:
	s_mov_b32 s17, s16
	s_mov_b32 s18, s16
	;; [unrolled: 1-line block ×3, first 2 shown]
	v_mov_b64_e32 v[6:7], s[16:17]
	v_mov_b64_e32 v[8:9], s[18:19]
	v_mov_b64_e32 v[2:3], v[6:7]
	v_cmp_gt_i32_e32 vcc, s27, v22
	v_mov_b64_e32 v[4:5], v[8:9]
	s_and_saveexec_b64 s[2:3], vcc
	s_cbranch_execz .LBB308_25
; %bb.24:
	v_lshlrev_b32_e32 v2, 8, v22
	v_mov_b32_e32 v3, 0
	v_lshl_add_u64 v[4:5], s[0:1], 0, v[2:3]
	v_lshlrev_b32_e32 v2, 1, v18
	v_lshl_add_u64 v[10:11], v[4:5], 0, v[2:3]
	global_load_dwordx4 v[6:9], v[10:11], off
	global_load_dwordx4 v[2:5], v[10:11], off offset:128
.LBB308_25:
	s_or_b64 exec, exec, s[2:3]
	s_mov_b32 s17, s16
	s_mov_b32 s18, s16
	;; [unrolled: 1-line block ×3, first 2 shown]
	v_mov_b64_e32 v[14:15], s[16:17]
	v_mov_b64_e32 v[16:17], s[18:19]
	;; [unrolled: 1-line block ×3, first 2 shown]
	v_cmp_gt_i32_e32 vcc, s27, v20
	v_lshlrev_b32_e32 v21, 7, v20
	v_mov_b64_e32 v[12:13], v[16:17]
	s_and_saveexec_b64 s[2:3], vcc
	s_cbranch_execz .LBB308_27
; %bb.26:
	v_lshlrev_b32_e32 v10, 1, v21
	v_mov_b32_e32 v11, 0
	v_lshl_add_u64 v[12:13], s[0:1], 0, v[10:11]
	v_lshlrev_b32_e32 v10, 1, v18
	v_lshl_add_u64 v[24:25], v[12:13], 0, v[10:11]
	global_load_dwordx4 v[14:17], v[24:25], off
	global_load_dwordx4 v[10:13], v[24:25], off offset:128
.LBB308_27:
	s_or_b64 exec, exec, s[2:3]
	v_lshrrev_b32_e32 v23, 3, v18
	v_lshlrev_b32_e32 v24, 3, v22
	v_or_b32_e32 v23, v24, v23
	v_lshlrev_b32_e32 v23, 4, v23
	v_and_b32_e32 v24, 0x78, v24
	v_xor_b32_e32 v23, v23, v24
	s_branch .LBB308_30
.LBB308_28:
                                        ; implicit-def: $vgpr23
                                        ; implicit-def: $vgpr21
                                        ; implicit-def: $vgpr6_vgpr7_vgpr8_vgpr9
                                        ; implicit-def: $vgpr2_vgpr3_vgpr4_vgpr5
                                        ; implicit-def: $vgpr14_vgpr15_vgpr16_vgpr17
                                        ; implicit-def: $vgpr10_vgpr11_vgpr12_vgpr13
	s_cbranch_execz .LBB308_30
; %bb.29:
	s_waitcnt vmcnt(0)
	v_lshlrev_b32_e32 v2, 1, v18
	v_lshl_or_b32 v21, v22, 8, v2
	s_and_b32 s1, s1, 0xffff
	s_mov_b32 s3, 0x20000
	s_movk_i32 s2, 0x4000
	v_lshl_or_b32 v23, v20, 8, v2
	s_movk_i32 s12, 0x80
	buffer_load_dwordx4 v[6:9], v21, s[0:3], 0 offen
	buffer_load_dwordx4 v[2:5], v21, s[0:3], s12 offen
	;; [unrolled: 1-line block ×4, first 2 shown]
	v_lshrrev_b32_e32 v21, 3, v18
	v_lshlrev_b32_e32 v23, 3, v22
	v_or_b32_e32 v21, v23, v21
	v_lshlrev_b32_e32 v21, 4, v21
	v_and_b32_e32 v23, 0x78, v23
	v_xor_b32_e32 v23, v21, v23
	v_lshlrev_b32_e32 v21, 7, v20
.LBB308_30:
	s_lshl_b64 s[0:1], s[24:25], 8
	s_add_u32 s4, s4, s0
	s_movk_i32 s0, 0x1000
	v_and_or_b32 v20, v21, s0, v23
	s_waitcnt vmcnt(1)
	ds_write_b64 v23, v[6:7] offset:24576
	v_xor_b32_e32 v6, 8, v23
	ds_write_b64 v6, v[8:9] offset:24576
	s_waitcnt vmcnt(0)
	ds_write_b64 v23, v[2:3] offset:32768
	ds_write_b64 v6, v[4:5] offset:32768
	;; [unrolled: 1-line block ×3, first 2 shown]
	v_xor_b32_e32 v2, 8, v20
	ds_write_b64 v2, v[16:17] offset:24576
	ds_write_b64 v20, v[10:11] offset:32768
	ds_write_b64 v2, v[12:13] offset:32768
	v_or_b32_e32 v2, v1, v61
	v_lshlrev_b32_e32 v3, 11, v59
	v_lshlrev_b32_e32 v2, 3, v2
	v_and_b32_e32 v6, 0x1000, v3
	v_lshrrev_b32_e32 v3, 5, v58
	s_movk_i32 s3, 0xf8
	v_and_or_b32 v3, v2, s3, v3
	v_lshlrev_b32_e32 v7, 4, v3
	v_and_b32_e32 v8, 0x78, v2
	v_or_b32_e32 v10, 32, v7
	v_lshrrev_b32_e32 v3, 1, v58
	v_xor_b32_e32 v10, v10, v8
	v_xor_b32_e32 v2, v7, v8
	v_and_b32_e32 v9, 8, v3
	v_or_b32_e32 v10, v10, v6
	v_or_b32_e32 v2, v2, v6
	v_xor_b32_e32 v25, v10, v9
	v_or_b32_e32 v10, 64, v7
	v_xor_b32_e32 v24, v2, v9
	v_xor_b32_e32 v10, v10, v8
	s_waitcnt lgkmcnt(0)
	s_barrier
	v_or_b32_e32 v12, v10, v6
	ds_read_b64 v[10:11], v24 offset:24576
	v_lshl_or_b32 v20, v60, 7, v34
	v_lshlrev_b32_e32 v23, 1, v20
	v_add_u32_e32 v2, 0xa000, v23
	ds_read2_b64 v[2:5], v2 offset1:16
	v_or_b32_e32 v7, 0x60, v7
	v_xor_b32_e32 v7, v7, v8
	s_waitcnt lgkmcnt(0)
	v_mfma_f32_16x16x16_bf16 a[0:3], v[10:11], v[2:3], 0
	v_or_b32_e32 v2, 64, v20
	v_or_b32_e32 v6, v7, v6
	v_lshlrev_b32_e32 v28, 1, v2
	v_xor_b32_e32 v26, v12, v9
	v_xor_b32_e32 v27, v6, v9
	ds_read_b64 v[12:13], v25 offset:24576
	ds_read_b64 v[14:15], v26 offset:24576
	;; [unrolled: 1-line block ×3, first 2 shown]
	v_mfma_f32_16x16x16_bf16 a[4:7], v[10:11], v[4:5], 0
	ds_read2st64_b64 v[2:5], v28 offset0:82 offset1:84
	ds_read2st64_b64 v[6:9], v23 offset0:82 offset1:84
	s_addc_u32 s5, s5, s1
	s_add_i32 s1, s40, s33
	s_add_i32 s0, s31, -1
	s_add_i32 s35, s1, s41
	s_add_i32 s1, s43, s42
	;; [unrolled: 1-line block ×3, first 2 shown]
	s_ashr_i32 s1, s0, 31
	s_mul_i32 s2, s0, s29
	s_mul_hi_u32 s3, s0, s28
	s_add_i32 s2, s3, s2
	s_mul_i32 s1, s1, s28
	s_waitcnt lgkmcnt(1)
	v_mfma_f32_16x16x16_bf16 a[4:7], v[12:13], v[2:3], a[4:7]
	s_add_i32 s1, s2, s1
	s_lshl_b64 s[2:3], s[34:35], 2
	s_add_u32 s10, s10, s2
	s_waitcnt lgkmcnt(0)
	v_mfma_f32_16x16x16_bf16 a[0:3], v[12:13], v[6:7], a[0:3]
	s_addc_u32 s11, s11, s3
	s_lshl_b64 s[2:3], s[36:37], 2
	s_mul_i32 s0, s0, s28
	s_add_u32 s10, s10, s2
	ds_read_b64 v[2:3], v23 offset:44032
	v_mfma_f32_16x16x16_bf16 a[4:7], v[14:15], v[4:5], a[4:7]
	ds_read_b64 v[4:5], v28 offset:44032
	s_addc_u32 s11, s11, s3
	s_lshl_b64 s[0:1], s[0:1], 2
	v_mfma_f32_16x16x16_bf16 a[0:3], v[14:15], v[8:9], a[0:3]
	s_add_u32 s0, s10, s0
	s_addc_u32 s1, s11, s1
	s_load_dword s12, s[0:1], 0x0
	s_waitcnt lgkmcnt(0)
	v_mfma_f32_16x16x16_bf16 a[0:3], v[16:17], v[2:3], a[0:3]
	s_and_b64 vcc, exec, s[22:23]
	v_mfma_f32_16x16x16_bf16 a[4:7], v[16:17], v[4:5], a[4:7]
	s_cbranch_vccz .LBB308_41
; %bb.31:
	v_lshlrev_b32_e32 v20, 1, v22
	s_and_b64 vcc, exec, s[6:7]
	s_cbranch_vccz .LBB308_42
; %bb.32:
	v_cmp_gt_i32_e32 vcc, s27, v20
	v_mov_b32_e32 v6, 0
	v_mov_b32_e32 v2, 0
	;; [unrolled: 1-line block ×5, first 2 shown]
	s_and_saveexec_b64 s[0:1], vcc
	s_cbranch_execz .LBB308_34
; %bb.33:
	v_mad_i64_i32 v[2:3], s[2:3], s15, v20, 0
	v_lshl_add_u64 v[2:3], v[2:3], 1, s[4:5]
	v_lshlrev_b32_e32 v4, 1, v18
	v_mov_b32_e32 v5, 0
	v_lshl_add_u64 v[2:3], v[2:3], 0, v[4:5]
	global_load_dwordx4 v[2:5], v[2:3], off
.LBB308_34:
	s_or_b64 exec, exec, s[0:1]
	v_or_b32_e32 v21, 1, v20
	v_cmp_gt_i32_e64 s[0:1], s27, v21
	v_mov_b32_e32 v7, 0
	v_mov_b32_e32 v8, 0
	;; [unrolled: 1-line block ×3, first 2 shown]
	s_and_saveexec_b64 s[2:3], s[0:1]
	s_cbranch_execz .LBB308_36
; %bb.35:
	v_mad_i64_i32 v[6:7], s[16:17], s15, v21, 0
	v_lshl_add_u64 v[6:7], v[6:7], 1, s[4:5]
	v_lshlrev_b32_e32 v8, 1, v18
	v_mov_b32_e32 v9, 0
	v_lshl_add_u64 v[6:7], v[6:7], 0, v[8:9]
	global_load_dwordx4 v[6:9], v[6:7], off
.LBB308_36:
	s_or_b64 exec, exec, s[2:3]
	v_mov_b32_e32 v17, 0
	v_mov_b32_e32 v10, 0
	;; [unrolled: 1-line block ×5, first 2 shown]
	s_and_saveexec_b64 s[2:3], vcc
	s_cbranch_execz .LBB308_38
; %bb.37:
	v_mad_i64_i32 v[10:11], s[16:17], s15, v20, 0
	v_lshl_add_u64 v[10:11], v[10:11], 1, s[4:5]
	v_lshlrev_b32_e32 v12, 1, v18
	v_mov_b32_e32 v13, 0
	v_lshl_add_u64 v[10:11], v[10:11], 0, v[12:13]
	global_load_dwordx4 v[10:13], v[10:11], off offset:128
.LBB308_38:
	s_or_b64 exec, exec, s[2:3]
	v_mov_b32_e32 v16, 0
	v_mov_b32_e32 v15, 0
	;; [unrolled: 1-line block ×3, first 2 shown]
	s_and_saveexec_b64 s[2:3], s[0:1]
	s_cbranch_execz .LBB308_40
; %bb.39:
	v_mad_i64_i32 v[14:15], s[0:1], s15, v21, 0
	v_lshl_add_u64 v[14:15], v[14:15], 1, s[4:5]
	v_lshlrev_b32_e32 v16, 1, v18
	v_mov_b32_e32 v17, 0
	v_lshl_add_u64 v[14:15], v[14:15], 0, v[16:17]
	global_load_dwordx4 v[14:17], v[14:15], off offset:128
.LBB308_40:
	s_or_b64 exec, exec, s[2:3]
	s_branch .LBB308_44
.LBB308_41:
                                        ; implicit-def: $vgpr5
                                        ; implicit-def: $vgpr9
                                        ; implicit-def: $vgpr13
                                        ; implicit-def: $vgpr17
	v_lshrrev_b32_e32 v29, 2, v58
	s_branch .LBB308_45
.LBB308_42:
                                        ; implicit-def: $vgpr5
                                        ; implicit-def: $vgpr9
                                        ; implicit-def: $vgpr13
                                        ; implicit-def: $vgpr17
	s_cbranch_execz .LBB308_44
; %bb.43:
	s_waitcnt vmcnt(0)
	v_mad_u64_u32 v[2:3], s[0:1], v20, s15, v[18:19]
	v_lshlrev_b32_e32 v20, 1, v2
	s_lshl_b32 s2, s15, 7
	s_and_b32 s1, s5, 0xffff
	s_mov_b32 s3, 0x20000
	s_mov_b32 s0, s4
	v_add_lshl_u32 v21, v2, s15, 1
	s_movk_i32 s13, 0x80
	buffer_load_dwordx4 v[2:5], v20, s[0:3], 0 offen
	buffer_load_dwordx4 v[10:13], v20, s[0:3], s13 offen
	;; [unrolled: 1-line block ×4, first 2 shown]
.LBB308_44:
	v_lshrrev_b32_e32 v29, 2, v58
	s_cbranch_execnz .LBB308_57
.LBB308_45:
	s_and_b64 vcc, exec, s[6:7]
	s_cbranch_vccz .LBB308_55
; %bb.46:
	s_waitcnt vmcnt(0)
	v_lshlrev_b32_e32 v7, 1, v22
	v_cmp_gt_i32_e32 vcc, s27, v7
	v_mov_b32_e32 v6, 0
	v_lshlrev_b32_e32 v14, 9, v22
	v_mov_b32_e32 v2, 0
	v_mov_b32_e32 v3, 0
	v_mov_b32_e32 v4, 0
	v_mov_b32_e32 v5, 0
	s_and_saveexec_b64 s[0:1], vcc
	s_cbranch_execz .LBB308_48
; %bb.47:
	v_mov_b32_e32 v15, 0
	v_lshl_add_u64 v[2:3], s[4:5], 0, v[14:15]
	v_lshlrev_b32_e32 v4, 1, v18
	v_mov_b32_e32 v5, v15
	v_lshl_add_u64 v[2:3], v[2:3], 0, v[4:5]
	global_load_dwordx4 v[2:5], v[2:3], off
.LBB308_48:
	s_or_b64 exec, exec, s[0:1]
	v_or_b32_e32 v7, 1, v7
	v_cmp_gt_i32_e64 s[0:1], s27, v7
	v_lshlrev_b32_e32 v20, 8, v7
	v_mov_b32_e32 v7, 0
	v_mov_b32_e32 v8, 0
	;; [unrolled: 1-line block ×3, first 2 shown]
	s_and_saveexec_b64 s[2:3], s[0:1]
	s_cbranch_execz .LBB308_50
; %bb.49:
	v_mov_b32_e32 v21, 0
	v_lshl_add_u64 v[6:7], s[4:5], 0, v[20:21]
	v_lshlrev_b32_e32 v8, 1, v18
	v_mov_b32_e32 v9, v21
	v_lshl_add_u64 v[6:7], v[6:7], 0, v[8:9]
	global_load_dwordx4 v[6:9], v[6:7], off
.LBB308_50:
	s_or_b64 exec, exec, s[2:3]
	v_mov_b32_e32 v17, 0
	v_mov_b32_e32 v10, 0
	;; [unrolled: 1-line block ×5, first 2 shown]
	s_and_saveexec_b64 s[2:3], vcc
	s_cbranch_execz .LBB308_52
; %bb.51:
	v_mov_b32_e32 v15, 0
	v_lshl_add_u64 v[10:11], s[4:5], 0, v[14:15]
	v_lshlrev_b32_e32 v14, 1, v18
	v_lshl_add_u64 v[10:11], v[10:11], 0, v[14:15]
	global_load_dwordx4 v[10:13], v[10:11], off offset:128
.LBB308_52:
	s_or_b64 exec, exec, s[2:3]
	v_mov_b32_e32 v16, 0
	v_mov_b32_e32 v15, 0
	;; [unrolled: 1-line block ×3, first 2 shown]
	s_and_saveexec_b64 s[2:3], s[0:1]
	s_cbranch_execz .LBB308_54
; %bb.53:
	v_mov_b32_e32 v21, 0
	v_lshl_add_u64 v[14:15], s[4:5], 0, v[20:21]
	v_lshlrev_b32_e32 v20, 1, v18
	v_lshl_add_u64 v[14:15], v[14:15], 0, v[20:21]
	global_load_dwordx4 v[14:17], v[14:15], off offset:128
.LBB308_54:
	s_or_b64 exec, exec, s[2:3]
	s_branch .LBB308_57
.LBB308_55:
                                        ; implicit-def: $vgpr5
                                        ; implicit-def: $vgpr9
                                        ; implicit-def: $vgpr13
                                        ; implicit-def: $vgpr17
	s_cbranch_execz .LBB308_57
; %bb.56:
	s_waitcnt vmcnt(0)
	v_lshlrev_b32_e32 v2, 1, v18
	v_lshl_or_b32 v18, v22, 9, v2
	s_and_b32 s5, s5, 0xffff
	s_mov_b32 s7, 0x20000
	s_movk_i32 s6, 0x4000
	s_movk_i32 s0, 0x80
	buffer_load_dwordx4 v[2:5], v18, s[4:7], 0 offen
	buffer_load_dwordx4 v[6:9], v18, s[4:7], 0 offen offset:256
	buffer_load_dwordx4 v[10:13], v18, s[4:7], s0 offen
	buffer_load_dwordx4 v[14:17], v18, s[4:7], s0 offen offset:256
.LBB308_57:
	ds_read_b64 v[20:21], v24 offset:32768
	v_add_u32_e32 v18, 0xb000, v23
	ds_read2_b64 v[30:33], v18 offset1:16
	ds_read_b64 v[36:37], v25 offset:32768
	ds_read_b64 v[38:39], v26 offset:32768
	;; [unrolled: 1-line block ×3, first 2 shown]
	v_and_b32_e32 v18, 6, v0
	v_xor_b32_e32 v22, v22, v18
	v_lshlrev_b32_e32 v22, 2, v22
	v_and_b32_e32 v0, 1, v0
	v_cmp_eq_u32_e32 vcc, 0, v0
	s_mov_b32 s0, 0x1000504
	s_waitcnt lgkmcnt(3)
	v_mfma_f32_16x16x16_bf16 a[0:3], v[20:21], v[30:31], a[0:3]
	s_mov_b32 s1, 0x3020706
	v_mfma_f32_16x16x16_bf16 a[4:7], v[20:21], v[32:33], a[4:7]
	ds_read2st64_b64 v[24:27], v23 offset0:90 offset1:92
	ds_read2st64_b64 v[30:33], v28 offset0:90 offset1:92
	s_waitcnt lgkmcnt(1)
	v_mfma_f32_16x16x16_bf16 a[0:3], v[36:37], v[24:25], a[0:3]
	ds_read_b64 v[20:21], v23 offset:48128
	ds_read_b64 v[24:25], v28 offset:48128
	v_xor_b32_e32 v23, 0x440, v22
	v_cndmask_b32_e32 v0, v23, v22, vcc
	s_waitcnt lgkmcnt(2)
	v_mfma_f32_16x16x16_bf16 a[4:7], v[36:37], v[30:31], a[4:7]
	v_lshl_or_b32 v0, v18, 10, v0
	s_waitcnt vmcnt(0)
	v_perm_b32 v18, v2, v6, s0
	v_perm_b32 v2, v2, v6, s1
	v_mfma_f32_16x16x16_bf16 a[0:3], v[38:39], v[26:27], a[0:3]
	v_perm_b32 v6, v10, v14, s1
	v_mfma_f32_16x16x16_bf16 a[8:11], v[38:39], v[32:33], a[4:7]
	s_waitcnt lgkmcnt(1)
	v_mfma_f32_16x16x16_bf16 a[4:7], v[40:41], v[20:21], a[0:3]
	v_perm_b32 v20, v10, v14, s0
	ds_write2st64_b32 v0, v18, v20 offset0:32 offset1:64
	v_xor_b32_e32 v18, 8, v0
	v_add_u32_e32 v10, 0x80, v18
	ds_write2st64_b32 v10, v2, v6 offset0:32 offset1:64
	v_xor_b32_e32 v2, 16, v0
	v_perm_b32 v6, v3, v7, s0
	v_perm_b32 v10, v11, v15, s0
	ds_write2st64_b32 v2, v6, v10 offset0:33 offset1:65
	v_xor_b32_e32 v2, 24, v0
	v_perm_b32 v3, v3, v7, s1
	v_perm_b32 v6, v11, v15, s1
	v_add_u32_e32 v2, 0x80, v2
	ds_write2st64_b32 v2, v3, v6 offset0:33 offset1:65
	v_xor_b32_e32 v2, 32, v0
	v_perm_b32 v3, v4, v8, s0
	v_perm_b32 v6, v12, v16, s0
	s_waitcnt lgkmcnt(4)
	v_mfma_f32_16x16x16_bf16 a[0:3], v[40:41], v[24:25], a[8:11]
	ds_write2st64_b32 v2, v3, v6 offset0:34 offset1:66
	v_xor_b32_e32 v2, 40, v0
	v_perm_b32 v3, v4, v8, s1
	v_perm_b32 v4, v12, v16, s1
	v_add_u32_e32 v2, 0x80, v2
	ds_write2st64_b32 v2, v3, v4 offset0:34 offset1:66
	v_xor_b32_e32 v2, 48, v0
	v_perm_b32 v3, v5, v9, s0
	v_perm_b32 v4, v13, v17, s0
	v_xor_b32_e32 v0, 56, v0
	v_and_or_b32 v18, v29, 12, v1
	ds_write2st64_b32 v2, v3, v4 offset0:35 offset1:67
	v_perm_b32 v2, v5, v9, s1
	v_perm_b32 v3, v13, v17, s1
	v_add_u32_e32 v0, 0x80, v0
	v_cmp_gt_i32_e32 vcc, s27, v18
	v_mov_b32_e32 v14, 0
	v_mov_b32_e32 v16, 0
	ds_write2st64_b32 v0, v2, v3 offset0:35 offset1:67
	s_and_saveexec_b64 s[0:1], vcc
	s_cbranch_execz .LBB308_59
; %bb.58:
	v_add_u32_e32 v0, s26, v18
	v_ashrrev_i32_e32 v1, 31, v0
	v_mul_lo_u32 v2, v1, s28
	v_mul_lo_u32 v3, v0, s29
	v_mad_u64_u32 v[0:1], s[2:3], v0, s28, 0
	v_add3_u32 v1, v1, v3, v2
	v_lshl_add_u64 v[0:1], v[0:1], 2, s[10:11]
	global_load_dword v0, v[0:1], off
	s_waitcnt vmcnt(0)
	v_sub_f32_e32 v0, s12, v0
	v_exp_f32_e32 v16, v0
.LBB308_59:
	s_or_b64 exec, exec, s[0:1]
	v_or_b32_e32 v8, 1, v18
	v_cmp_gt_i32_e64 s[0:1], s27, v8
	s_and_saveexec_b64 s[2:3], s[0:1]
	s_cbranch_execz .LBB308_61
; %bb.60:
	v_add_u32_e32 v0, s26, v8
	v_ashrrev_i32_e32 v1, 31, v0
	v_mul_lo_u32 v2, v1, s28
	v_mul_lo_u32 v3, v0, s29
	v_mad_u64_u32 v[0:1], s[4:5], v0, s28, 0
	v_add3_u32 v1, v1, v3, v2
	v_lshl_add_u64 v[0:1], v[0:1], 2, s[10:11]
	global_load_dword v0, v[0:1], off
	s_waitcnt vmcnt(0)
	v_sub_f32_e32 v0, s12, v0
	v_exp_f32_e32 v14, v0
.LBB308_61:
	s_or_b64 exec, exec, s[2:3]
	v_or_b32_e32 v10, 2, v18
	v_cmp_gt_i32_e64 s[2:3], s27, v10
	v_mov_b32_e32 v15, 0
	v_mov_b32_e32 v17, 0
	s_and_saveexec_b64 s[4:5], s[2:3]
	s_cbranch_execz .LBB308_63
; %bb.62:
	v_add_u32_e32 v0, s26, v10
	v_ashrrev_i32_e32 v1, 31, v0
	v_mul_lo_u32 v2, v1, s28
	v_mul_lo_u32 v3, v0, s29
	v_mad_u64_u32 v[0:1], s[6:7], v0, s28, 0
	v_add3_u32 v1, v1, v3, v2
	v_lshl_add_u64 v[0:1], v[0:1], 2, s[10:11]
	global_load_dword v0, v[0:1], off
	s_waitcnt vmcnt(0)
	v_sub_f32_e32 v0, s12, v0
	v_exp_f32_e32 v17, v0
.LBB308_63:
	s_or_b64 exec, exec, s[4:5]
	v_or_b32_e32 v12, 3, v18
	v_cmp_gt_i32_e64 s[4:5], s27, v12
	s_and_saveexec_b64 s[6:7], s[4:5]
	s_cbranch_execz .LBB308_65
; %bb.64:
	v_add_u32_e32 v0, s26, v12
	v_ashrrev_i32_e32 v1, 31, v0
	v_mul_lo_u32 v2, v1, s28
	v_mul_lo_u32 v3, v0, s29
	v_mad_u64_u32 v[0:1], s[14:15], v0, s28, 0
	v_add3_u32 v1, v1, v3, v2
	v_lshl_add_u64 v[0:1], v[0:1], 2, s[10:11]
	global_load_dword v0, v[0:1], off
	s_waitcnt vmcnt(0)
	v_sub_f32_e32 v0, s12, v0
	v_exp_f32_e32 v15, v0
.LBB308_65:
	s_or_b64 exec, exec, s[6:7]
	s_add_u32 s6, s8, s20
	v_accvgpr_read_b32 v0, a4
	s_addc_u32 s7, s9, s21
	v_ashrrev_i32_e32 v51, 31, v50
	v_accvgpr_read_b32 v1, a5
	v_accvgpr_read_b32 v2, a6
	;; [unrolled: 1-line block ×3, first 2 shown]
	v_lshl_add_u64 v[4:5], v[50:51], 1, s[6:7]
	v_mov_b32_e32 v9, 0
	v_lshlrev_b32_e32 v6, 8, v18
	v_mov_b32_e32 v7, 0
	s_and_saveexec_b64 s[6:7], vcc
	s_cbranch_execz .LBB308_67
; %bb.66:
	v_mov_b32_e32 v7, 0
	v_lshl_add_u64 v[20:21], v[4:5], 0, v[6:7]
	global_load_ushort v7, v[20:21], off
	s_waitcnt vmcnt(0)
	v_lshlrev_b32_e32 v7, 16, v7
	v_sub_f32_e32 v0, v7, v0
	v_mul_f32_e32 v0, v16, v0
	v_lshrrev_b32_e32 v7, 16, v0
.LBB308_67:
	s_or_b64 exec, exec, s[6:7]
	v_lshlrev_b32_e32 v8, 8, v8
	s_and_saveexec_b64 s[6:7], s[0:1]
	s_cbranch_execz .LBB308_69
; %bb.68:
	v_mov_b32_e32 v9, 0
	v_lshl_add_u64 v[20:21], v[4:5], 0, v[8:9]
	global_load_ushort v0, v[20:21], off
	s_waitcnt vmcnt(0)
	v_lshlrev_b32_e32 v0, 16, v0
	v_sub_f32_e32 v0, v0, v1
	v_mul_f32_e32 v0, v14, v0
	v_lshrrev_b32_e32 v9, 16, v0
.LBB308_69:
	s_or_b64 exec, exec, s[6:7]
	v_mov_b32_e32 v13, 0
	v_lshlrev_b32_e32 v10, 8, v10
	v_mov_b32_e32 v11, 0
	s_and_saveexec_b64 s[6:7], s[2:3]
	s_cbranch_execz .LBB308_71
; %bb.70:
	v_mov_b32_e32 v11, 0
	v_lshl_add_u64 v[0:1], v[4:5], 0, v[10:11]
	global_load_ushort v0, v[0:1], off
	s_waitcnt vmcnt(0)
	v_lshlrev_b32_e32 v0, 16, v0
	v_sub_f32_e32 v0, v0, v2
	v_mul_f32_e32 v0, v17, v0
	v_lshrrev_b32_e32 v11, 16, v0
.LBB308_71:
	s_or_b64 exec, exec, s[6:7]
	v_lshlrev_b32_e32 v12, 8, v12
	s_and_saveexec_b64 s[6:7], s[4:5]
	s_cbranch_execz .LBB308_73
; %bb.72:
	v_mov_b32_e32 v13, 0
	v_lshl_add_u64 v[0:1], v[4:5], 0, v[12:13]
	global_load_ushort v0, v[0:1], off
	s_waitcnt vmcnt(0)
	v_lshlrev_b32_e32 v0, 16, v0
	v_sub_f32_e32 v0, v0, v3
	v_mul_f32_e32 v0, v15, v0
	v_lshrrev_b32_e32 v13, 16, v0
.LBB308_73:
	s_or_b64 exec, exec, s[6:7]
	v_lshlrev_b32_e32 v18, 5, v18
	s_mov_b32 s6, 0x5040100
	v_perm_b32 v20, v9, v7, s6
	v_or_b32_e32 v7, v18, v34
	v_accvgpr_read_b32 v0, a0
	v_perm_b32 v21, v13, v11, s6
	v_lshlrev_b32_e32 v7, 1, v7
	v_accvgpr_read_b32 v1, a1
	v_accvgpr_read_b32 v2, a2
	;; [unrolled: 1-line block ×3, first 2 shown]
	ds_write_b64 v7, v[20:21] offset:45056
	v_mov_b32_e32 v9, 0
	v_mov_b32_e32 v7, 0
	s_and_saveexec_b64 s[6:7], vcc
	s_cbranch_execz .LBB308_75
; %bb.74:
	v_mov_b32_e32 v7, 0
	v_lshl_add_u64 v[6:7], v[4:5], 0, v[6:7]
	global_load_ushort v6, v[6:7], off offset:32
	s_waitcnt vmcnt(0)
	v_lshlrev_b32_e32 v6, 16, v6
	v_sub_f32_e32 v0, v6, v0
	v_mul_f32_e32 v0, v16, v0
	v_lshrrev_b32_e32 v7, 16, v0
.LBB308_75:
	s_or_b64 exec, exec, s[6:7]
	s_and_saveexec_b64 s[6:7], s[0:1]
	s_cbranch_execz .LBB308_77
; %bb.76:
	v_mov_b32_e32 v9, 0
	v_lshl_add_u64 v[8:9], v[4:5], 0, v[8:9]
	global_load_ushort v0, v[8:9], off offset:32
	s_waitcnt vmcnt(0)
	v_lshlrev_b32_e32 v0, 16, v0
	v_sub_f32_e32 v0, v0, v1
	v_mul_f32_e32 v0, v14, v0
	v_lshrrev_b32_e32 v9, 16, v0
.LBB308_77:
	s_or_b64 exec, exec, s[6:7]
	v_mov_b32_e32 v0, 0
	v_mov_b32_e32 v1, 0
	s_and_saveexec_b64 s[0:1], s[2:3]
	s_cbranch_execz .LBB308_79
; %bb.78:
	v_mov_b32_e32 v11, 0
	v_lshl_add_u64 v[10:11], v[4:5], 0, v[10:11]
	global_load_ushort v1, v[10:11], off offset:32
	s_waitcnt vmcnt(0)
	v_lshlrev_b32_e32 v1, 16, v1
	v_sub_f32_e32 v1, v1, v2
	v_mul_f32_e32 v1, v17, v1
	v_lshrrev_b32_e32 v1, 16, v1
.LBB308_79:
	s_or_b64 exec, exec, s[0:1]
	s_and_saveexec_b64 s[0:1], s[4:5]
	s_cbranch_execz .LBB308_81
; %bb.80:
	v_mov_b32_e32 v13, 0
	v_lshl_add_u64 v[4:5], v[4:5], 0, v[12:13]
	global_load_ushort v0, v[4:5], off offset:32
	s_waitcnt vmcnt(0)
	v_lshlrev_b32_e32 v0, 16, v0
	v_sub_f32_e32 v0, v0, v3
	v_mul_f32_e32 v0, v15, v0
	v_lshrrev_b32_e32 v0, 16, v0
.LBB308_81:
	s_or_b64 exec, exec, s[0:1]
	s_mov_b32 s0, 0x5040100
	v_or_b32_e32 v2, v18, v19
	v_perm_b32 v1, v0, v1, s0
	v_perm_b32 v0, v9, v7, s0
	v_lshlrev_b32_e32 v2, 1, v2
	ds_write_b64 v2, v[0:1] offset:45056
	s_waitcnt lgkmcnt(0)
	s_barrier
.LBB308_82:
	s_endpgm
	.section	.rodata,"a",@progbits
	.p2align	6, 0x0
	.amdhsa_kernel _ZN12_GLOBAL__N_139chunk_gated_delta_rule_fwd_h_hip_kernelILi32ELb1ELb0ELb0ELb1ELb1ELb0ELb0ELb1EEEvPK12hip_bfloat16S3_S3_PKfS5_PKvPS1_S8_PvPKiSB_iiiiilll
		.amdhsa_group_segment_fixed_size 49152
		.amdhsa_private_segment_fixed_size 0
		.amdhsa_kernarg_size 136
		.amdhsa_user_sgpr_count 2
		.amdhsa_user_sgpr_dispatch_ptr 0
		.amdhsa_user_sgpr_queue_ptr 0
		.amdhsa_user_sgpr_kernarg_segment_ptr 1
		.amdhsa_user_sgpr_dispatch_id 0
		.amdhsa_user_sgpr_kernarg_preload_length 0
		.amdhsa_user_sgpr_kernarg_preload_offset 0
		.amdhsa_user_sgpr_private_segment_size 0
		.amdhsa_uses_dynamic_stack 0
		.amdhsa_enable_private_segment 0
		.amdhsa_system_sgpr_workgroup_id_x 1
		.amdhsa_system_sgpr_workgroup_id_y 1
		.amdhsa_system_sgpr_workgroup_id_z 0
		.amdhsa_system_sgpr_workgroup_info 0
		.amdhsa_system_vgpr_workitem_id 0
		.amdhsa_next_free_vgpr 148
		.amdhsa_next_free_sgpr 60
		.amdhsa_accum_offset 132
		.amdhsa_reserve_vcc 1
		.amdhsa_float_round_mode_32 0
		.amdhsa_float_round_mode_16_64 0
		.amdhsa_float_denorm_mode_32 3
		.amdhsa_float_denorm_mode_16_64 3
		.amdhsa_dx10_clamp 1
		.amdhsa_ieee_mode 1
		.amdhsa_fp16_overflow 0
		.amdhsa_tg_split 0
		.amdhsa_exception_fp_ieee_invalid_op 0
		.amdhsa_exception_fp_denorm_src 0
		.amdhsa_exception_fp_ieee_div_zero 0
		.amdhsa_exception_fp_ieee_overflow 0
		.amdhsa_exception_fp_ieee_underflow 0
		.amdhsa_exception_fp_ieee_inexact 0
		.amdhsa_exception_int_div_zero 0
	.end_amdhsa_kernel
	.section	.text._ZN12_GLOBAL__N_139chunk_gated_delta_rule_fwd_h_hip_kernelILi32ELb1ELb0ELb0ELb1ELb1ELb0ELb0ELb1EEEvPK12hip_bfloat16S3_S3_PKfS5_PKvPS1_S8_PvPKiSB_iiiiilll,"axG",@progbits,_ZN12_GLOBAL__N_139chunk_gated_delta_rule_fwd_h_hip_kernelILi32ELb1ELb0ELb0ELb1ELb1ELb0ELb0ELb1EEEvPK12hip_bfloat16S3_S3_PKfS5_PKvPS1_S8_PvPKiSB_iiiiilll,comdat
.Lfunc_end308:
	.size	_ZN12_GLOBAL__N_139chunk_gated_delta_rule_fwd_h_hip_kernelILi32ELb1ELb0ELb0ELb1ELb1ELb0ELb0ELb1EEEvPK12hip_bfloat16S3_S3_PKfS5_PKvPS1_S8_PvPKiSB_iiiiilll, .Lfunc_end308-_ZN12_GLOBAL__N_139chunk_gated_delta_rule_fwd_h_hip_kernelILi32ELb1ELb0ELb0ELb1ELb1ELb0ELb0ELb1EEEvPK12hip_bfloat16S3_S3_PKfS5_PKvPS1_S8_PvPKiSB_iiiiilll
                                        ; -- End function
	.section	.AMDGPU.csdata,"",@progbits
; Kernel info:
; codeLenInByte = 8408
; NumSgprs: 66
; NumVgprs: 130
; NumAgprs: 16
; TotalNumVgprs: 148
; ScratchSize: 0
; MemoryBound: 0
; FloatMode: 240
; IeeeMode: 1
; LDSByteSize: 49152 bytes/workgroup (compile time only)
; SGPRBlocks: 8
; VGPRBlocks: 18
; NumSGPRsForWavesPerEU: 66
; NumVGPRsForWavesPerEU: 148
; AccumOffset: 132
; Occupancy: 1
; WaveLimiterHint : 1
; COMPUTE_PGM_RSRC2:SCRATCH_EN: 0
; COMPUTE_PGM_RSRC2:USER_SGPR: 2
; COMPUTE_PGM_RSRC2:TRAP_HANDLER: 0
; COMPUTE_PGM_RSRC2:TGID_X_EN: 1
; COMPUTE_PGM_RSRC2:TGID_Y_EN: 1
; COMPUTE_PGM_RSRC2:TGID_Z_EN: 0
; COMPUTE_PGM_RSRC2:TIDIG_COMP_CNT: 0
; COMPUTE_PGM_RSRC3_GFX90A:ACCUM_OFFSET: 32
; COMPUTE_PGM_RSRC3_GFX90A:TG_SPLIT: 0
	.section	.text._ZN12_GLOBAL__N_139chunk_gated_delta_rule_fwd_h_hip_kernelILi32ELb0ELb1ELb1ELb1ELb1ELb0ELb0ELb1EEEvPK12hip_bfloat16S3_S3_PKfS5_PKvPS1_S8_PvPKiSB_iiiiilll,"axG",@progbits,_ZN12_GLOBAL__N_139chunk_gated_delta_rule_fwd_h_hip_kernelILi32ELb0ELb1ELb1ELb1ELb1ELb0ELb0ELb1EEEvPK12hip_bfloat16S3_S3_PKfS5_PKvPS1_S8_PvPKiSB_iiiiilll,comdat
	.globl	_ZN12_GLOBAL__N_139chunk_gated_delta_rule_fwd_h_hip_kernelILi32ELb0ELb1ELb1ELb1ELb1ELb0ELb0ELb1EEEvPK12hip_bfloat16S3_S3_PKfS5_PKvPS1_S8_PvPKiSB_iiiiilll ; -- Begin function _ZN12_GLOBAL__N_139chunk_gated_delta_rule_fwd_h_hip_kernelILi32ELb0ELb1ELb1ELb1ELb1ELb0ELb0ELb1EEEvPK12hip_bfloat16S3_S3_PKfS5_PKvPS1_S8_PvPKiSB_iiiiilll
	.p2align	8
	.type	_ZN12_GLOBAL__N_139chunk_gated_delta_rule_fwd_h_hip_kernelILi32ELb0ELb1ELb1ELb1ELb1ELb0ELb0ELb1EEEvPK12hip_bfloat16S3_S3_PKfS5_PKvPS1_S8_PvPKiSB_iiiiilll,@function
_ZN12_GLOBAL__N_139chunk_gated_delta_rule_fwd_h_hip_kernelILi32ELb0ELb1ELb1ELb1ELb1ELb0ELb0ELb1EEEvPK12hip_bfloat16S3_S3_PKfS5_PKvPS1_S8_PvPKiSB_iiiiilll: ; @_ZN12_GLOBAL__N_139chunk_gated_delta_rule_fwd_h_hip_kernelILi32ELb0ELb1ELb1ELb1ELb1ELb0ELb0ELb1EEEvPK12hip_bfloat16S3_S3_PKfS5_PKvPS1_S8_PvPKiSB_iiiiilll
; %bb.0:
	s_load_dwordx4 s[36:39], s[0:1], 0x5c
	s_abs_i32 s7, s3
	s_ashr_i32 s6, s3, 31
	s_load_dwordx2 s[4:5], s[0:1], 0x50
	s_load_dwordx8 s[16:23], s[0:1], 0x30
	s_load_dwordx8 s[24:31], s[0:1], 0x0
	v_lshrrev_b32_e32 v58, 6, v0
	s_waitcnt lgkmcnt(0)
	s_abs_i32 s10, s37
	v_cvt_f32_u32_e32 v1, s10
	s_sub_i32 s8, 0, s10
	s_ashr_i32 s50, s37, 31
	s_xor_b32 s6, s6, s50
	v_rcp_iflag_f32_e32 v1, v1
	v_bfe_u32 v61, v0, 4, 2
	v_lshlrev_b32_e32 v59, 4, v58
	v_lshlrev_b32_e32 v18, 2, v61
	v_mul_f32_e32 v1, 0x4f7ffffe, v1
	v_cvt_u32_f32_e32 v1, v1
	v_and_b32_e32 v60, 63, v0
	s_mov_b32 s33, s37
	v_and_b32_e32 v62, 15, v0
	v_readfirstlane_b32 s9, v1
	s_mul_i32 s8, s8, s9
	s_mul_hi_u32 s8, s9, s8
	s_add_i32 s9, s9, s8
	s_mul_hi_u32 s8, s7, s9
	s_mul_i32 s9, s8, s10
	s_sub_i32 s7, s7, s9
	s_add_i32 s11, s8, 1
	s_sub_i32 s9, s7, s10
	s_cmp_ge_u32 s7, s10
	s_cselect_b32 s8, s11, s8
	s_cselect_b32 s7, s9, s7
	s_add_i32 s9, s8, 1
	s_cmp_ge_u32 s7, s10
	s_cselect_b32 s7, s9, s8
	s_xor_b32 s7, s7, s6
	s_sub_i32 s34, s7, s6
	s_mul_i32 s6, s34, s37
	s_ashr_i32 s35, s34, 31
	s_sub_i32 s51, s3, s6
	s_lshl_b64 s[6:7], s[34:35], 2
	s_add_u32 s8, s22, s6
	s_addc_u32 s9, s23, s7
	s_add_u32 s4, s4, s6
	s_addc_u32 s5, s5, s7
	s_abs_i32 s3, s38
	v_cvt_f32_u32_e32 v1, s3
	s_load_dwordx2 s[44:45], s[8:9], 0x0
	s_load_dwordx2 s[22:23], s[0:1], 0x80
	s_load_dwordx4 s[40:43], s[0:1], 0x70
	s_sub_i32 s1, 0, s3
	v_rcp_iflag_f32_e32 v1, v1
	s_load_dword s57, s[4:5], 0x0
	s_waitcnt lgkmcnt(0)
	s_sub_i32 s48, s45, s44
	s_ashr_i32 s0, s48, 31
	v_mul_f32_e32 v1, 0x4f7ffffe, v1
	v_cvt_u32_f32_e32 v1, v1
	s_lshr_b32 s0, s0, 26
	s_add_i32 s0, s48, s0
	s_ashr_i32 s55, s0, 6
	v_readfirstlane_b32 s6, v1
	s_mul_i32 s1, s1, s6
	s_mul_hi_u32 s1, s6, s1
	s_add_i32 s6, s6, s1
	s_mul_hi_u32 s1, s10, s6
	s_mul_i32 s6, s1, s3
	s_ashr_i32 s0, s38, 31
	s_sub_i32 s6, s10, s6
	s_xor_b32 s0, s50, s0
	s_add_i32 s7, s1, 1
	s_sub_i32 s8, s6, s3
	s_cmp_ge_u32 s6, s3
	s_cselect_b32 s1, s7, s1
	s_cselect_b32 s6, s8, s6
	s_add_i32 s7, s1, 1
	s_cmp_ge_u32 s6, s3
	s_cselect_b32 s1, s7, s1
	s_xor_b32 s1, s1, s0
	s_sub_i32 s1, s1, s0
	s_abs_i32 s3, s1
	v_cvt_f32_u32_e32 v1, s3
	s_sub_i32 s5, 0, s3
	s_abs_i32 s4, s51
	s_xor_b32 s1, s51, s1
	v_rcp_iflag_f32_e32 v1, v1
	s_ashr_i32 s1, s1, 31
	s_mov_b32 s0, 0
	s_mov_b32 s14, s0
	v_mul_f32_e32 v1, 0x4f7ffffe, v1
	v_cvt_u32_f32_e32 v1, v1
	s_mov_b32 s15, s0
	s_mov_b32 s8, s0
	s_mov_b32 s9, s0
	v_readfirstlane_b32 s6, v1
	s_mul_i32 s5, s5, s6
	s_mul_hi_u32 s5, s6, s5
	s_add_i32 s6, s6, s5
	s_mul_hi_u32 s5, s4, s6
	s_mul_i32 s6, s5, s3
	s_sub_i32 s4, s4, s6
	s_add_i32 s6, s5, 1
	s_sub_i32 s7, s4, s3
	s_cmp_ge_u32 s4, s3
	s_cselect_b32 s5, s6, s5
	s_cselect_b32 s4, s7, s4
	s_add_i32 s6, s5, 1
	s_cmp_ge_u32 s4, s3
	s_cselect_b32 s3, s6, s5
	s_xor_b32 s3, s3, s1
	s_sub_i32 s58, s3, s1
	v_or_b32_e32 v1, v18, v59
	s_lshl_b32 s46, s2, 5
	s_mov_b32 s1, s0
	s_mov_b32 s2, s0
	s_mov_b32 s3, s0
	s_mov_b32 s4, s0
	s_mov_b32 s5, s0
	s_mov_b32 s6, s0
	s_mov_b32 s7, s0
	s_mov_b32 s10, s0
	s_mov_b32 s11, s0
	s_mov_b32 s12, s0
	s_mov_b32 s13, s0
	v_mov_b64_e32 v[16:17], s[14:15]
	v_or_b32_e32 v65, 64, v1
	s_cmp_lt_i32 s48, 64
	v_mov_b64_e32 v[14:15], s[12:13]
	v_mov_b64_e32 v[12:13], s[10:11]
	;; [unrolled: 1-line block ×7, first 2 shown]
	s_mul_hi_i32 s59, s51, s36
	s_mul_i32 s60, s51, s36
	v_lshrrev_b32_e32 v64, 3, v60
	v_lshlrev_b32_e32 v63, 3, v0
	s_mul_i32 s52, s34, s41
	s_mul_hi_u32 s53, s34, s40
	s_mul_i32 s54, s35, s40
	s_mul_i32 s12, s34, s40
	s_cbranch_scc1 .LBB309_19
; %bb.1:
	s_ashr_i32 s40, s51, 31
	s_ashr_i32 s1, s44, 31
	s_add_u32 s0, s60, s44
	s_addc_u32 s1, s59, s1
	s_lshl_b64 s[0:1], s[0:1], 8
	v_and_b32_e32 v9, 56, v63
	s_add_u32 s0, s26, s0
	v_lshl_or_b32 v5, v58, 3, v64
	v_lshlrev_b32_e32 v2, 1, v9
	s_addc_u32 s1, s27, s1
	v_lshl_or_b32 v13, v5, 8, v2
	s_and_b32 s1, s1, 0xffff
	s_mov_b32 s3, 0x20000
	s_movk_i32 s2, 0x4000
	s_movk_i32 s4, 0x80
	v_or_b32_e32 v17, 0x2000, v13
	buffer_load_dwordx4 v[20:23], v13, s[0:3], 0 offen
	buffer_load_dwordx4 v[24:27], v13, s[0:3], s4 offen
	;; [unrolled: 1-line block ×4, first 2 shown]
	v_lshlrev_b32_e32 v3, 3, v5
	v_and_or_b32 v6, v0, 7, v3
	v_and_b32_e32 v3, 0x78, v3
	v_lshlrev_b32_e32 v6, 4, v6
	v_xor_b32_e32 v66, v6, v3
	v_mul_lo_u32 v4, v5, s39
	v_or_b32_e32 v67, 0x1000, v66
	v_xor_b32_e32 v3, 8, v66
	s_cmpk_eq_i32 s39, 0x80
	s_mov_b32 s49, s44
	v_xor_b32_e32 v6, 8, v67
	s_cselect_b64 s[0:1], -1, 0
	s_cmpk_lg_i32 s39, 0x80
	s_waitcnt vmcnt(3)
	ds_write_b64 v66, v[20:21] offset:24576
	ds_write_b64 v3, v[22:23] offset:24576
	s_waitcnt vmcnt(2)
	ds_write_b64 v66, v[24:25] offset:32768
	ds_write_b64 v3, v[26:27] offset:32768
	;; [unrolled: 3-line block ×4, first 2 shown]
	v_lshl_add_u32 v3, v4, 1, v9
	s_cbranch_scc0 .LBB309_3
; %bb.2:
	v_lshlrev_b32_e32 v6, 1, v3
	v_add_lshl_u32 v4, v3, s39, 1
	s_lshl_b32 s6, s39, 7
	v_lshl_or_b32 v2, v5, 9, v2
	s_cbranch_execz .LBB309_4
	s_branch .LBB309_5
.LBB309_3:
                                        ; implicit-def: $vgpr4
                                        ; implicit-def: $vgpr6
                                        ; implicit-def: $sgpr6
	v_lshl_or_b32 v2, v5, 9, v2
.LBB309_4:
	v_or_b32_e32 v4, 0x100, v2
	s_movk_i32 s6, 0x4000
	v_mov_b32_e32 v6, v2
.LBB309_5:
	s_mul_i32 s2, s44, s38
	s_ashr_i32 s41, s58, 31
	s_mul_hi_i32 s3, s44, s38
	s_add_u32 s2, s2, s58
	s_addc_u32 s3, s3, s41
	s_lshl_b64 s[2:3], s[2:3], 8
	s_add_u32 s4, s24, s2
	s_addc_u32 s2, s25, s3
	s_and_b32 s5, s2, 0xffff
	s_mov_b32 s7, 0x20000
	s_movk_i32 s56, 0x80
	buffer_load_dwordx4 v[20:23], v6, s[4:7], 0 offen
	buffer_load_dwordx4 v[24:27], v6, s[4:7], s56 offen
	;; [unrolled: 1-line block ×4, first 2 shown]
	v_and_b32_e32 v4, 6, v0
	v_lshlrev_b32_e32 v8, 6, v1
	v_or_b32_e32 v11, 16, v62
	v_xor_b32_e32 v12, v5, v4
	v_and_b32_e32 v6, 1, v0
	v_lshl_or_b32 v16, v62, 3, v8
	v_lshl_or_b32 v8, v11, 3, v8
	v_lshlrev_b32_e32 v12, 2, v12
	v_lshlrev_b32_e32 v7, 2, v62
	s_mul_i32 s2, s51, s43
	s_mul_hi_u32 s3, s51, s42
	v_or_b32_e32 v70, 0xa000, v8
	v_or_b32_e32 v71, 0xb000, v8
	v_xor_b32_e32 v8, 0x440, v12
	v_cmp_eq_u32_e32 vcc, 0, v6
	s_add_i32 s5, s53, s52
	s_mul_i32 s4, s40, s42
	v_xor_b32_e32 v14, v1, v7
	v_xor_b32_e32 v15, v65, v7
	v_cndmask_b32_e32 v6, v8, v12, vcc
	s_add_i32 s2, s3, s2
	s_add_i32 s13, s5, s54
	s_mov_b32 s61, 0x1000504
	v_lshlrev_b32_e32 v10, 8, v62
	v_lshlrev_b32_e32 v11, 8, v11
	;; [unrolled: 1-line block ×4, first 2 shown]
	v_lshl_or_b32 v4, v4, 10, v6
	s_add_i32 s3, s2, s4
	s_lshl_b64 s[4:5], s[12:13], 2
	s_mov_b32 s62, 0x3020706
	v_or_b32_e32 v68, 0xa000, v16
	v_or_b32_e32 v69, 0xb000, v16
	;; [unrolled: 1-line block ×5, first 2 shown]
	v_xor_b32_e32 v6, 8, v4
	v_xor_b32_e32 v10, 24, v4
	;; [unrolled: 1-line block ×4, first 2 shown]
	s_mul_i32 s2, s51, s42
	s_add_u32 s4, s30, s4
	v_or_b32_e32 v74, v11, v14
	v_xor_b32_e32 v8, 16, v4
	v_xor_b32_e32 v11, 32, v4
	;; [unrolled: 1-line block ×3, first 2 shown]
	v_add_u32_e32 v6, 0x80, v6
	v_add_u32_e32 v10, 0x80, v10
	;; [unrolled: 1-line block ×4, first 2 shown]
	s_addc_u32 s5, s31, s5
	s_lshl_b64 s[2:3], s[2:3], 2
	s_add_u32 s2, s4, s2
	s_movk_i32 s4, 0xf8
	s_addc_u32 s3, s5, s3
	s_ashr_i32 s47, s46, 31
	s_lshl_b32 s10, s39, 7
	s_movk_i32 s8, 0x100
	v_mov_b32_e32 v51, 0
	v_lshlrev_b32_e32 v50, 4, v62
	v_cmp_gt_u32_e32 vcc, s8, v0
	s_mov_b32 s63, 0
	s_movk_i32 s13, 0x1000
	s_movk_i32 s6, 0x4000
	v_add_u32_e32 v93, v59, v18
	v_mov_b32_e32 v99, v51
	v_mov_b32_e32 v98, v51
	;; [unrolled: 1-line block ×4, first 2 shown]
	s_waitcnt vmcnt(1)
	v_perm_b32 v16, v20, v28, s61
	s_waitcnt vmcnt(0)
	v_perm_b32 v19, v24, v32, s61
	v_perm_b32 v20, v20, v28, s62
	;; [unrolled: 1-line block ×15, first 2 shown]
	ds_write2st64_b32 v4, v16, v19 offset0:32 offset1:64
	ds_write2st64_b32 v6, v20, v24 offset0:32 offset1:64
	;; [unrolled: 1-line block ×8, first 2 shown]
	v_or_b32_e32 v4, v59, v62
	v_lshlrev_b32_e32 v4, 3, v4
	v_lshrrev_b32_e32 v10, 5, v60
	v_and_or_b32 v10, v4, s4, v10
	v_lshlrev_b32_e32 v8, 11, v58
	v_lshlrev_b32_e32 v10, 4, v10
	v_and_b32_e32 v4, 0x78, v4
	v_and_b32_e32 v6, 0x1000, v8
	v_xor_b32_e32 v11, v10, v4
	v_lshrrev_b32_e32 v12, 1, v0
	v_or_b32_e32 v11, v11, v6
	v_and_b32_e32 v14, 8, v12
	v_xor_b32_e32 v76, v11, v14
	v_or_b32_e32 v11, 32, v10
	v_xor_b32_e32 v11, v11, v4
	v_or_b32_e32 v11, v11, v6
	;; [unrolled: 2-line block ×4, first 2 shown]
	s_lshl_b64 s[4:5], s[46:47], 8
	v_or_b32_e32 v11, v11, v6
	v_xor_b32_e32 v4, v10, v4
	s_add_u32 s4, s16, s4
	v_lshlrev_b32_e32 v10, 1, v62
	v_xor_b32_e32 v80, v11, v14
	v_lshrrev_b32_e32 v19, 4, v0
	s_addc_u32 s5, s17, s5
	v_or_b32_e32 v11, 1, v10
	v_mov_b32_e32 v23, 0x4000
	v_mov_b32_e32 v24, 0x2000
	v_xor_b32_e32 v20, v19, v10
	v_xor_b32_e32 v21, v11, v19
	v_lshl_add_u64 v[10:11], s[4:5], 0, v[50:51]
	v_lshlrev_b32_e32 v50, 8, v19
	v_cndmask_b32_e32 v23, v23, v24, vcc
	v_lshlrev_b32_e32 v24, 3, v58
	v_and_b32_e32 v12, 24, v12
	v_lshl_or_b32 v84, v20, 3, v50
	v_and_b32_e32 v20, 8, v0
	v_xor_b32_e32 v25, v24, v12
	v_or_b32_e32 v26, 0x440, v25
	v_cmp_eq_u32_e32 vcc, 0, v20
	v_and_b32_e32 v19, 7, v0
	v_lshlrev_b32_e32 v15, 7, v61
	v_cndmask_b32_e32 v20, v26, v25, vcc
	v_lshl_or_b32 v85, v21, 3, v50
	v_lshlrev_b32_e32 v21, 3, v19
	v_lshlrev_b32_e32 v19, 7, v19
	v_lshlrev_b32_e32 v22, 2, v0
	v_or_b32_e32 v20, v20, v8
	v_or_b32_e32 v7, v15, v7
	v_xad_u32 v86, v20, v21, v19
	v_and_or_b32 v15, v22, 60, v15
	v_mov_b32_e32 v20, 0xb000
	v_lshl_or_b32 v87, v15, 1, v20
	v_or_b32_e32 v15, 32, v12
	v_xor_b32_e32 v15, v24, v15
	v_or_b32_e32 v20, 0x440, v15
	v_cndmask_b32_e32 v15, v20, v15, vcc
	v_or_b32_e32 v15, v15, v8
	v_xad_u32 v88, v15, v21, v19
	v_or_b32_e32 v15, 64, v12
	v_xor_b32_e32 v15, v24, v15
	v_xor_b32_e32 v20, 0x440, v15
	v_cndmask_b32_e32 v15, v20, v15, vcc
	v_or_b32_e32 v12, 0x60, v12
	v_or_b32_e32 v15, v15, v8
	v_xor_b32_e32 v12, v24, v12
	v_xad_u32 v89, v15, v21, v19
	v_xor_b32_e32 v15, 0x440, v12
	v_lshlrev_b32_e32 v7, 1, v7
	v_or_b32_e32 v4, v4, v6
	v_or_b32_e32 v6, s46, v62
	v_cndmask_b32_e32 v12, v15, v12, vcc
	v_or_b32_e32 v77, 0xa000, v7
	v_or_b32_e32 v79, 0xa080, v7
	v_xor_b32_e32 v81, v4, v14
	v_or_b32_e32 v82, 0xb000, v7
	v_or_b32_e32 v83, 0xb080, v7
	v_ashrrev_i32_e32 v7, 31, v6
	v_lshlrev_b32_e32 v14, 1, v3
	v_add_lshl_u32 v3, v3, s39, 1
	v_or_b32_e32 v16, 0x100, v2
	v_or_b32_e32 v8, v12, v8
	v_lshlrev_b32_e32 v4, 7, v1
	v_xad_u32 v90, v8, v21, v19
	v_cndmask_b32_e64 v91, v14, v2, s[0:1]
	v_cndmask_b32_e64 v92, v3, v16, s[0:1]
	v_lshlrev_b64 v[2:3], 1, v[6:7]
	v_lshl_add_u64 v[52:53], s[28:29], 0, v[2:3]
	v_lshl_add_u64 v[54:55], s[18:19], 0, v[2:3]
	;; [unrolled: 1-line block ×3, first 2 shown]
	s_mov_b32 s47, 0x7060302
	v_lshlrev_b32_e32 v50, 1, v4
	v_add_u32_e32 v94, v23, v86
	v_add_u32_e32 v95, v23, v88
	;; [unrolled: 1-line block ×4, first 2 shown]
	v_mov_b32_e32 v2, v51
	v_mov_b32_e32 v3, v51
	;; [unrolled: 1-line block ×12, first 2 shown]
	s_waitcnt lgkmcnt(0)
	s_barrier
.LBB309_6:                              ; =>This Inner Loop Header: Depth=1
	s_add_i32 s64, s63, 1
	s_cmp_lt_i32 s64, s55
	s_mov_b64 s[8:9], 0
	s_cselect_b64 s[14:15], -1, 0
	s_cmp_ge_i32 s64, s55
	s_mov_b64 s[4:5], 0
	s_cbranch_scc1 .LBB309_8
; %bb.7:                                ;   in Loop: Header=BB309_6 Depth=1
	s_add_i32 s0, s49, 64
	s_ashr_i32 s1, s0, 31
	s_add_u32 s0, s60, s0
	s_addc_u32 s1, s59, s1
	s_lshl_b64 s[0:1], s[0:1], 8
	s_add_u32 s4, s26, s0
	s_addc_u32 s5, s27, s1
.LBB309_8:                              ;   in Loop: Header=BB309_6 Depth=1
	v_cndmask_b32_e64 v18, 0, 1, s[14:15]
	v_cmp_ne_u32_e64 s[0:1], 1, v18
	s_andn2_b64 vcc, exec, s[14:15]
	s_cbranch_vccnz .LBB309_10
; %bb.9:                                ;   in Loop: Header=BB309_6 Depth=1
	s_add_i32 s8, s49, 64
	s_mul_hi_i32 s9, s8, s38
	s_mul_i32 s8, s8, s38
	s_add_u32 s8, s8, s58
	s_addc_u32 s9, s9, s41
	s_lshl_b64 s[8:9], s[8:9], 8
	s_add_u32 s8, s24, s8
	s_addc_u32 s9, s25, s9
.LBB309_10:                             ;   in Loop: Header=BB309_6 Depth=1
	v_perm_b32 v19, v99, v4, s47
	v_perm_b32 v18, v3, v2, s47
	;; [unrolled: 1-line block ×4, first 2 shown]
	ds_write_b64 v68, v[18:19]
	ds_write_b64 v69, v[20:21]
	;; [unrolled: 1-line block ×4, first 2 shown]
	v_perm_b32 v19, v101, v12, s47
	v_perm_b32 v18, v11, v10, s47
	;; [unrolled: 1-line block ×4, first 2 shown]
	ds_write_b64 v70, v[18:19]
	ds_write_b64 v71, v[20:21]
	;; [unrolled: 1-line block ×4, first 2 shown]
	s_waitcnt lgkmcnt(0)
	s_barrier
	ds_read_b64 v[22:23], v76 offset:24576
	ds_read2_b64 v[18:21], v77 offset1:16
	ds_read_b64 v[26:27], v79 offset:3072
	ds_read_b64 v[28:29], v77 offset:3072
	;; [unrolled: 1-line block ×3, first 2 shown]
	s_waitcnt lgkmcnt(3)
	v_mfma_f32_16x16x16_bf16 a[0:3], v[22:23], v[18:19], 0
	s_add_i32 s11, s49, 63
	s_ashr_i32 s14, s11, 31
	s_mul_i32 s15, s11, s23
	v_mfma_f32_16x16x16_bf16 a[4:7], v[22:23], v[20:21], 0
	ds_read2st64_b64 v[18:21], v77 offset0:2 offset1:4
	s_mul_hi_u32 s65, s11, s22
	s_add_i32 s15, s65, s15
	s_waitcnt lgkmcnt(0)
	v_mfma_f32_16x16x16_bf16 a[0:3], v[30:31], v[18:19], a[0:3]
	ds_read2st64_b64 v[22:25], v79 offset0:2 offset1:4
	ds_read_b64 v[18:19], v80 offset:24576
	s_mul_i32 s14, s14, s22
	s_add_i32 s15, s15, s14
	s_waitcnt lgkmcnt(1)
	v_mfma_f32_16x16x16_bf16 a[4:7], v[30:31], v[22:23], a[4:7]
	ds_read_b64 v[22:23], v81 offset:24576
	s_mul_i32 s14, s11, s22
	s_lshl_b64 s[14:15], s[14:15], 2
	s_waitcnt lgkmcnt(1)
	v_mfma_f32_16x16x16_bf16 a[0:3], v[18:19], v[20:21], a[0:3]
	s_add_u32 s14, s2, s14
	s_addc_u32 s15, s3, s15
	s_and_b64 vcc, exec, s[0:1]
	v_mfma_f32_16x16x16_bf16 a[8:11], v[18:19], v[24:25], a[4:7]
	v_mov_b32_e32 v104, 0
	v_mov_b32_e32 v103, 0
	;; [unrolled: 1-line block ×3, first 2 shown]
	s_waitcnt lgkmcnt(0)
	v_mfma_f32_16x16x16_bf16 a[4:7], v[22:23], v[28:29], a[0:3]
	v_mov_b32_e32 v18, 0
	v_mov_b32_e32 v19, 0
	;; [unrolled: 1-line block ×3, first 2 shown]
	v_mfma_f32_16x16x16_bf16 a[0:3], v[22:23], v[26:27], a[8:11]
	v_mov_b32_e32 v21, 0
	v_mov_b32_e32 v22, 0
	;; [unrolled: 1-line block ×13, first 2 shown]
	s_cbranch_vccnz .LBB309_12
; %bb.11:                               ;   in Loop: Header=BB309_6 Depth=1
	s_and_b32 s5, s5, 0xffff
	buffer_load_dwordx4 v[30:33], v13, s[4:7], 0 offen
	buffer_load_dwordx4 v[26:29], v13, s[4:7], s56 offen
	;; [unrolled: 1-line block ×4, first 2 shown]
	v_mov_b32_e32 v103, v66
	v_mov_b32_e32 v102, v67
.LBB309_12:                             ;   in Loop: Header=BB309_6 Depth=1
	ds_read_b64 v[42:43], v76 offset:32768
	ds_read2_b64 v[34:37], v82 offset1:16
	ds_read_b64 v[44:45], v78 offset:32768
	ds_read_b64 v[46:47], v80 offset:32768
	;; [unrolled: 1-line block ×3, first 2 shown]
	ds_read2st64_b64 v[38:41], v82 offset0:2 offset1:4
	v_add_u32_e32 v105, s49, v93
	s_waitcnt lgkmcnt(4)
	v_mfma_f32_16x16x16_bf16 a[4:7], v[42:43], v[34:35], a[4:7]
	v_ashrrev_i32_e32 v34, 31, v105
	v_mfma_f32_16x16x16_bf16 a[0:3], v[42:43], v[36:37], a[0:3]
	v_mul_lo_u32 v36, v105, s23
	v_mul_lo_u32 v37, v34, s22
	v_mad_u64_u32 v[34:35], s[4:5], v105, s22, 0
	v_add3_u32 v35, v35, v36, v37
	v_add_u32_e32 v36, 1, v105
	v_ashrrev_i32_e32 v37, 31, v36
	s_waitcnt lgkmcnt(0)
	v_mfma_f32_16x16x16_bf16 a[4:7], v[44:45], v[38:39], a[4:7]
	v_mul_lo_u32 v38, v37, s22
	v_mul_lo_u32 v39, v36, s23
	v_mad_u64_u32 v[36:37], s[4:5], v36, s22, 0
	v_add3_u32 v37, v37, v39, v38
	v_add_u32_e32 v38, 2, v105
	v_ashrrev_i32_e32 v39, 31, v38
	v_mul_lo_u32 v42, v39, s22
	v_mul_lo_u32 v43, v38, s23
	v_mad_u64_u32 v[38:39], s[4:5], v38, s22, 0
	v_add3_u32 v39, v39, v43, v42
	v_add_u32_e32 v42, 3, v105
	v_ashrrev_i32_e32 v43, 31, v42
	v_mul_lo_u32 v105, v43, s22
	v_mul_lo_u32 v106, v42, s23
	v_mad_u64_u32 v[42:43], s[4:5], v42, s22, 0
	s_ashr_i32 s5, s49, 31
	v_add3_u32 v43, v43, v106, v105
	s_add_u32 s4, s60, s49
	v_lshl_add_u64 v[34:35], v[34:35], 2, s[2:3]
	v_lshl_add_u64 v[42:43], v[42:43], 2, s[2:3]
	s_addc_u32 s5, s59, s5
	v_lshl_add_u64 v[36:37], v[36:37], 2, s[2:3]
	v_lshl_add_u64 v[38:39], v[38:39], 2, s[2:3]
	global_load_dword v105, v[34:35], off
	global_load_dword v106, v[36:37], off
	;; [unrolled: 1-line block ×3, first 2 shown]
	s_nop 0
	global_load_dword v43, v[42:43], off
	s_lshl_b64 s[66:67], s[4:5], 8
	v_lshl_add_u64 v[34:35], v[52:53], 0, s[66:67]
	v_lshl_add_u64 v[38:39], v[34:35], 0, v[50:51]
	global_load_ushort v108, v[38:39], off offset:256
	global_load_ushort v109, v[38:39], off
	global_load_ushort v110, v[38:39], off offset:768
	global_load_ushort v111, v[38:39], off offset:512
	ds_read2st64_b64 v[34:37], v83 offset0:2 offset1:4
	global_load_ushort v112, v[38:39], off offset:800
	global_load_ushort v113, v[38:39], off offset:544
	;; [unrolled: 1-line block ×4, first 2 shown]
	s_waitcnt lgkmcnt(0)
	v_mfma_f32_16x16x16_bf16 a[0:3], v[44:45], v[34:35], a[0:3]
	s_and_b64 vcc, exec, s[0:1]
	s_waitcnt vmcnt(7)
	v_lshlrev_b32_e32 v45, 16, v108
	v_mfma_f32_16x16x16_bf16 a[4:7], v[46:47], v[40:41], a[4:7]
	s_waitcnt vmcnt(6)
	v_lshlrev_b32_e32 v44, 16, v109
	v_mfma_f32_16x16x16_bf16 a[0:3], v[46:47], v[36:37], a[0:3]
	ds_read_b64 v[34:35], v82 offset:3072
	ds_read_b64 v[36:37], v83 offset:3072
	s_load_dword s4, s[14:15], 0x0
	s_waitcnt vmcnt(5)
	v_lshlrev_b32_e32 v47, 16, v110
	s_waitcnt lgkmcnt(0)
	v_mfma_f32_16x16x16_bf16 a[4:7], v[48:49], v[34:35], a[4:7]
	v_lshl_add_u64 v[34:35], v[54:55], 0, s[66:67]
	v_sub_f32_e32 v42, s4, v105
	v_sub_f32_e32 v46, s4, v106
	v_mfma_f32_16x16x16_bf16 a[0:3], v[48:49], v[36:37], a[0:3]
	v_sub_f32_e32 v48, s4, v107
	v_sub_f32_e32 v49, s4, v43
	v_exp_f32_e32 v42, v42
	v_exp_f32_e32 v43, v46
	;; [unrolled: 1-line block ×4, first 2 shown]
	v_accvgpr_read_b32 v41, a5
	v_accvgpr_read_b32 v37, a7
	;; [unrolled: 1-line block ×4, first 2 shown]
	s_waitcnt vmcnt(4)
	v_lshlrev_b32_e32 v46, 16, v111
	v_lshl_add_u64 v[34:35], v[34:35], 0, v[50:51]
	v_pk_add_f32 v[40:41], v[44:45], v[40:41] neg_lo:[0,1] neg_hi:[0,1]
	v_pk_add_f32 v[36:37], v[46:47], v[36:37] neg_lo:[0,1] neg_hi:[0,1]
	global_store_short_d16_hi v[34:35], v40, off
	global_store_short_d16_hi v[34:35], v41, off offset:256
	global_store_short_d16_hi v[34:35], v36, off offset:512
	;; [unrolled: 1-line block ×3, first 2 shown]
	v_pk_mul_f32 v[40:41], v[42:43], v[40:41]
	v_pk_mul_f32 v[36:37], v[48:49], v[36:37]
	v_accvgpr_read_b32 v45, a1
	v_perm_b32 v40, v41, v40, s47
	v_perm_b32 v41, v37, v36, s47
	s_waitcnt vmcnt(5)
	v_lshlrev_b32_e32 v37, 16, v114
	s_waitcnt vmcnt(4)
	v_lshlrev_b32_e32 v36, 16, v115
	v_accvgpr_read_b32 v44, a0
	v_accvgpr_read_b32 v39, a3
	;; [unrolled: 1-line block ×3, first 2 shown]
	v_pk_add_f32 v[36:37], v[36:37], v[44:45] neg_lo:[0,1] neg_hi:[0,1]
	v_lshlrev_b32_e32 v45, 16, v112
	v_lshlrev_b32_e32 v44, 16, v113
	v_pk_add_f32 v[38:39], v[44:45], v[38:39] neg_lo:[0,1] neg_hi:[0,1]
	global_store_short_d16_hi v[34:35], v36, off offset:32
	global_store_short_d16_hi v[34:35], v37, off offset:288
	global_store_short_d16_hi v[34:35], v38, off offset:544
	global_store_short_d16_hi v[34:35], v39, off offset:800
	v_pk_mul_f32 v[34:35], v[42:43], v[36:37]
	v_pk_mul_f32 v[36:37], v[48:49], v[38:39]
	v_mov_b32_e32 v105, 0
	v_perm_b32 v37, v37, v36, s47
	v_perm_b32 v36, v35, v34, s47
	ds_write2_b64 v69, v[40:41], v[36:37] offset1:16
	v_mov_b32_e32 v34, 0
	v_mov_b32_e32 v35, 0
	;; [unrolled: 1-line block ×16, first 2 shown]
	s_cbranch_vccnz .LBB309_14
; %bb.13:                               ;   in Loop: Header=BB309_6 Depth=1
	s_and_b32 s9, s9, 0xffff
	s_mov_b32 s11, s7
	buffer_load_dwordx4 v[46:49], v91, s[8:11], 0 offen
	buffer_load_dwordx4 v[38:41], v91, s[8:11], s56 offen
	;; [unrolled: 1-line block ×4, first 2 shown]
	v_mov_b32_e32 v104, v9
	v_mov_b32_e32 v105, v5
.LBB309_14:                             ;   in Loop: Header=BB309_6 Depth=1
	s_waitcnt lgkmcnt(0)
	s_barrier
	ds_read_b64 v[110:111], v94
	ds_read_b64 v[118:119], v87
	;; [unrolled: 1-line block ×5, first 2 shown]
	ds_read_b64 v[124:125], v88 offset:16384
	ds_read_b64 v[126:127], v86 offset:16384
	ds_read2_b64 v[106:109], v82 offset0:16 offset1:128
	s_waitcnt lgkmcnt(6)
	v_mfma_f32_16x16x16_bf16 a[0:3], v[110:111], v[118:119], 0
	ds_read_b64 v[128:129], v83 offset:3072
	ds_read_b64 v[130:131], v90 offset:16384
	s_add_i32 s5, s57, s63
	s_waitcnt lgkmcnt(2)
	v_mfma_f32_16x16x16_bf16 a[4:7], v[110:111], v[106:107], 0
	ds_read2st64_b64 v[110:113], v83 offset0:2 offset1:4
	s_mul_hi_i32 s9, s5, s33
	s_mul_i32 s5, s5, s33
	v_mfma_f32_16x16x16_bf16 a[0:3], v[114:115], v[108:109], a[0:3]
	s_add_u32 s8, s5, s51
	s_addc_u32 s9, s9, s40
	s_lshl_b64 s[8:9], s[8:9], 15
	s_waitcnt lgkmcnt(0)
	v_mfma_f32_16x16x16_bf16 a[4:7], v[114:115], v[110:111], a[4:7]
	ds_read2st64_b64 v[114:117], v82 offset0:4 offset1:6
	s_waitcnt lgkmcnt(0)
	v_mfma_f32_16x16x16_bf16 a[0:3], v[120:121], v[114:115], a[0:3]
	v_mfma_f32_16x16x16_bf16 a[8:11], v[120:121], v[112:113], a[4:7]
	;; [unrolled: 1-line block ×5, first 2 shown]
	ds_read2st64_b64 v[118:121], v85 offset1:8
	v_mfma_f32_16x16x16_bf16 a[12:15], v[126:127], v[106:107], 0
	ds_read_b64 v[126:127], v89 offset:16384
	v_mfma_f32_16x16x16_bf16 a[8:11], v[124:125], v[108:109], a[8:11]
	ds_read2st64_b64 v[106:109], v84 offset1:8
	s_waitcnt lgkmcnt(0)
	v_mov_b32_e32 v122, v106
	v_mfma_f32_16x16x16_bf16 a[12:15], v[124:125], v[110:111], a[12:15]
	v_lshl_add_u64 v[110:111], v[56:57], 0, s[8:9]
	v_add_co_u32_e32 v106, vcc, s13, v110
	v_mfma_f32_16x16x16_bf16 a[8:11], v[126:127], v[114:115], a[8:11]
	v_mov_b32_e32 v123, v107
	v_addc_co_u32_e32 v107, vcc, 0, v111, vcc
	v_mfma_f32_16x16x16_bf16 a[12:15], v[126:127], v[112:113], a[12:15]
	v_mov_b32_e32 v124, v118
	v_mov_b32_e32 v125, v119
	v_mov_b32_e32 v118, v108
	v_mfma_f32_16x16x16_bf16 a[8:11], v[130:131], v[116:117], a[8:11]
	v_mov_b32_e32 v119, v109
	s_and_b64 vcc, exec, s[0:1]
	global_store_dwordx4 v[110:111], v[122:125], off
	v_mfma_f32_16x16x16_bf16 a[12:15], v[130:131], v[128:129], a[12:15]
	global_store_dwordx4 v[106:107], v[118:121], off
	s_cbranch_vccnz .LBB309_16
; %bb.15:                               ;   in Loop: Header=BB309_6 Depth=1
	v_lshrrev_b32_e32 v106, 3, v104
	v_and_b32_e32 v106, 6, v106
	v_xor_b32_e32 v105, v106, v105
	v_lshlrev_b32_e32 v105, 2, v105
	v_and_b32_e32 v104, 8, v104
	v_xor_b32_e32 v107, 0x440, v105
	v_cmp_eq_u32_e32 vcc, 0, v104
	s_barrier
	s_nop 0
	v_cndmask_b32_e32 v104, v107, v105, vcc
	v_lshl_or_b32 v104, v106, 10, v104
	s_waitcnt vmcnt(3)
	v_perm_b32 v105, v46, v42, s61
	s_waitcnt vmcnt(2)
	v_perm_b32 v106, v38, v34, s61
	ds_write2st64_b32 v104, v105, v106 offset0:32 offset1:64
	v_xor_b32_e32 v105, 8, v104
	v_perm_b32 v42, v46, v42, s62
	v_perm_b32 v34, v38, v34, s62
	v_add_u32_e32 v38, 0x80, v105
	ds_write2st64_b32 v38, v42, v34 offset0:32 offset1:64
	v_xor_b32_e32 v34, 16, v104
	v_perm_b32 v38, v47, v43, s61
	v_perm_b32 v42, v39, v35, s61
	ds_write2st64_b32 v34, v38, v42 offset0:33 offset1:65
	v_xor_b32_e32 v34, 24, v104
	v_perm_b32 v38, v47, v43, s62
	v_perm_b32 v35, v39, v35, s62
	v_add_u32_e32 v34, 0x80, v34
	ds_write2st64_b32 v34, v38, v35 offset0:33 offset1:65
	v_xor_b32_e32 v34, 32, v104
	v_perm_b32 v35, v48, v44, s61
	;; [unrolled: 9-line block ×3, first 2 shown]
	v_perm_b32 v36, v41, v37, s61
	ds_write2st64_b32 v34, v35, v36 offset0:35 offset1:67
	v_xor_b32_e32 v34, 56, v104
	v_perm_b32 v35, v49, v45, s62
	v_perm_b32 v36, v41, v37, s62
	v_add_u32_e32 v34, 0x80, v34
	ds_write2st64_b32 v34, v35, v36 offset0:35 offset1:67
	ds_write_b64 v103, v[30:31] offset:24576
	v_xor_b32_e32 v30, 8, v103
	ds_write_b64 v30, v[32:33] offset:24576
	ds_write_b64 v103, v[26:27] offset:32768
	;; [unrolled: 1-line block ×4, first 2 shown]
	v_xor_b32_e32 v22, 8, v102
	ds_write_b64 v22, v[24:25] offset:24576
	ds_write_b64 v102, v[18:19] offset:32768
	;; [unrolled: 1-line block ×3, first 2 shown]
.LBB309_16:                             ;   in Loop: Header=BB309_6 Depth=1
	s_waitcnt vmcnt(2)
	v_exp_f32_e32 v34, s4
	v_accvgpr_read_b32 v33, a7
	v_accvgpr_read_b32 v25, a3
	;; [unrolled: 1-line block ×16, first 2 shown]
	s_add_i32 s49, s49, 64
	v_fma_f32 v2, v2, v34, v30
	v_fma_f32 v3, v3, v34, v31
	v_fma_f32 v4, v4, v34, v32
	v_fmac_f32_e32 v33, v99, v34
	v_fma_f32 v10, v10, v34, v22
	v_fma_f32 v11, v11, v34, v23
	v_fma_f32 v12, v12, v34, v24
	v_fmac_f32_e32 v25, v101, v34
	;; [unrolled: 4-line block ×3, first 2 shown]
	v_fma_f32 v14, v14, v34, v18
	v_fma_f32 v15, v15, v34, v19
	;; [unrolled: 1-line block ×3, first 2 shown]
	s_cmp_eq_u32 s55, s64
	v_fmac_f32_e32 v21, v100, v34
	s_cbranch_scc1 .LBB309_18
; %bb.17:                               ;   in Loop: Header=BB309_6 Depth=1
	s_mov_b32 s63, s64
	v_mov_b32_e32 v99, v33
	v_mov_b32_e32 v98, v29
	;; [unrolled: 1-line block ×4, first 2 shown]
	s_branch .LBB309_6
.LBB309_18:
	v_mov_b32_e32 v5, v33
	v_mov_b32_e32 v9, v29
	;; [unrolled: 1-line block ×4, first 2 shown]
.LBB309_19:
	s_lshl_b32 s2, s55, 6
	s_sub_i32 s56, s48, s2
	s_cmp_gt_i32 s56, 0
	v_or_b32_e32 v34, s46, v62
	s_cbranch_scc1 .LBB309_21
; %bb.20:
	s_ashr_i32 s9, s51, 31
	v_or_b32_e32 v18, s46, v62
	s_cbranch_execz .LBB309_22
	s_branch .LBB309_86
.LBB309_21:
                                        ; implicit-def: $vgpr18
                                        ; implicit-def: $sgpr8_sgpr9
.LBB309_22:
	s_add_i32 s8, s2, s44
	s_ashr_i32 s2, s8, 31
	s_cmpk_lg_i32 s39, 0x80
	s_cselect_b64 s[40:41], -1, 0
	s_and_b64 vcc, exec, s[40:41]
	s_cbranch_vccz .LBB309_24
; %bb.23:
	s_mul_i32 s1, s8, s38
	s_ashr_i32 s3, s58, 31
	s_mul_hi_i32 s0, s8, s38
	s_add_u32 s48, s1, s58
	s_addc_u32 s49, s0, s3
	s_cbranch_execz .LBB309_25
	s_branch .LBB309_26
.LBB309_24:
                                        ; implicit-def: $sgpr48_sgpr49
.LBB309_25:
	s_mul_i32 s1, s58, s36
	s_mul_hi_i32 s0, s58, s36
	s_add_u32 s48, s1, s8
	s_addc_u32 s49, s0, s2
.LBB309_26:
	s_add_i32 s3, s55, s57
	s_ashr_i32 s9, s51, 31
	s_add_u32 s0, s60, s8
	v_lshlrev_b32_e32 v22, 5, v1
	v_lshlrev_b32_e32 v40, 2, v62
	s_addc_u32 s1, s59, s2
	s_mov_b32 s2, 0x7060302
	v_or_b32_e32 v25, v22, v40
	v_xor_b32_e32 v23, v1, v40
	v_perm_b32 v19, v5, v4, s2
	v_perm_b32 v18, v3, v2, s2
	v_perm_b32 v21, v9, v8, s2
	v_perm_b32 v20, v7, v6, s2
	v_lshlrev_b32_e32 v25, 1, v25
	s_lshl_b64 s[10:11], s[0:1], 8
	v_xor_b32_e32 v24, v65, v40
	ds_write2st64_b64 v25, v[18:19], v[20:21] offset0:80 offset1:88
	v_lshlrev_b32_e32 v23, 1, v23
	v_lshlrev_b32_e32 v25, 8, v62
	s_add_u32 s0, s26, s10
	v_or_b32_e32 v26, v23, v25
	v_lshlrev_b32_e32 v24, 1, v24
	s_addc_u32 s1, s27, s11
	ds_write_b64 v26, v[18:19]
	v_or_b32_e32 v18, v24, v25
	v_or_b32_e32 v25, 16, v62
	s_mul_hi_i32 s4, s3, s37
	s_mul_i32 s3, s3, s37
	ds_write_b64 v18, v[20:21]
	v_perm_b32 v19, v13, v12, s2
	v_perm_b32 v18, v11, v10, s2
	;; [unrolled: 1-line block ×4, first 2 shown]
	v_lshlrev_b32_e32 v37, 2, v25
	s_add_u32 s2, s3, s51
	v_or_b32_e32 v22, v22, v37
	s_addc_u32 s3, s4, s9
	v_lshlrev_b32_e32 v22, 1, v22
	s_ashr_i32 s47, s46, 31
	s_lshl_b64 s[2:3], s[2:3], 15
	ds_write2st64_b64 v22, v[18:19], v[20:21] offset0:80 offset1:88
	v_lshlrev_b32_e32 v22, 8, v25
	s_add_u32 s4, s16, s2
	v_or_b32_e32 v23, v23, v22
	s_addc_u32 s5, s17, s3
	s_lshl_b64 s[2:3], s[46:47], 8
	ds_write_b64 v23, v[18:19]
	v_or_b32_e32 v18, v24, v22
	s_add_u32 s2, s4, s2
	ds_write_b64 v18, v[20:21]
	v_lshrrev_b32_e32 v18, 4, v0
	s_addc_u32 s3, s5, s3
	v_lshlrev_b32_e32 v19, 1, v62
	v_lshlrev_b32_e32 v26, 4, v62
	v_mov_b32_e32 v27, 0
	v_or_b32_e32 v20, 1, v19
	v_xor_b32_e32 v19, v18, v19
	v_lshl_add_u64 v[28:29], s[2:3], 0, v[26:27]
	v_lshlrev_b32_e32 v26, 8, v18
	v_xor_b32_e32 v22, v20, v18
	v_lshl_or_b32 v18, v19, 3, v26
	s_waitcnt lgkmcnt(0)
	s_barrier
	ds_read2st64_b64 v[18:21], v18 offset1:8
	v_lshl_or_b32 v22, v22, 3, v26
	ds_read2st64_b64 v[22:25], v22 offset1:8
	v_lshl_add_u64 v[30:31], v[28:29], 0, v[26:27]
	s_movk_i32 s2, 0x1000
	s_waitcnt lgkmcnt(1)
	v_mov_b32_e32 v26, v18
	v_add_co_u32_e32 v18, vcc, s2, v30
	s_cmp_lg_u32 s56, 64
	v_mov_b32_e32 v27, v19
	v_addc_co_u32_e32 v19, vcc, 0, v31, vcc
	s_cselect_b64 s[14:15], -1, 0
	v_lshl_or_b32 v35, v58, 3, v64
	s_waitcnt lgkmcnt(0)
	v_mov_b32_e32 v28, v22
	v_mov_b32_e32 v29, v23
	;; [unrolled: 1-line block ×4, first 2 shown]
	s_mov_b32 s4, 0
	v_or_b32_e32 v38, 32, v35
	v_and_b32_e32 v36, 56, v63
	s_and_b64 vcc, exec, s[14:15]
	global_store_dwordx4 v[30:31], v[26:29], off
	global_store_dwordx4 v[18:19], v[22:25], off
	s_cbranch_vccz .LBB309_32
; %bb.27:
	s_mov_b32 s6, s4
	s_mov_b32 s7, s4
	;; [unrolled: 1-line block ×3, first 2 shown]
	v_mov_b64_e32 v[24:25], s[6:7]
	v_mov_b64_e32 v[22:23], s[4:5]
	v_mov_b64_e32 v[18:19], v[22:23]
	v_cmp_gt_i32_e32 vcc, s56, v35
	v_mov_b64_e32 v[20:21], v[24:25]
	s_and_saveexec_b64 s[2:3], vcc
	s_cbranch_execz .LBB309_29
; %bb.28:
	v_lshlrev_b32_e32 v18, 8, v35
	v_mov_b32_e32 v19, 0
	v_lshl_add_u64 v[20:21], s[0:1], 0, v[18:19]
	v_lshlrev_b32_e32 v18, 1, v36
	v_lshl_add_u64 v[26:27], v[20:21], 0, v[18:19]
	global_load_dwordx4 v[22:25], v[26:27], off
	global_load_dwordx4 v[18:21], v[26:27], off offset:128
.LBB309_29:
	s_or_b64 exec, exec, s[2:3]
	s_mov_b32 s6, s4
	s_mov_b32 s7, s4
	;; [unrolled: 1-line block ×3, first 2 shown]
	v_mov_b64_e32 v[32:33], s[6:7]
	v_mov_b64_e32 v[30:31], s[4:5]
	;; [unrolled: 1-line block ×3, first 2 shown]
	v_cmp_gt_i32_e32 vcc, s56, v38
	v_lshlrev_b32_e32 v39, 7, v38
	v_mov_b64_e32 v[28:29], v[32:33]
	s_and_saveexec_b64 s[2:3], vcc
	s_cbranch_execz .LBB309_31
; %bb.30:
	v_lshlrev_b32_e32 v26, 1, v39
	v_mov_b32_e32 v27, 0
	v_lshl_add_u64 v[28:29], s[0:1], 0, v[26:27]
	v_lshlrev_b32_e32 v26, 1, v36
	v_lshl_add_u64 v[42:43], v[28:29], 0, v[26:27]
	global_load_dwordx4 v[30:33], v[42:43], off
	global_load_dwordx4 v[26:29], v[42:43], off offset:128
.LBB309_31:
	s_or_b64 exec, exec, s[2:3]
	v_lshrrev_b32_e32 v41, 3, v36
	v_lshlrev_b32_e32 v42, 3, v35
	v_or_b32_e32 v41, v42, v41
	v_lshlrev_b32_e32 v41, 4, v41
	v_and_b32_e32 v42, 0x78, v42
	v_xor_b32_e32 v41, v41, v42
	s_branch .LBB309_34
.LBB309_32:
                                        ; implicit-def: $vgpr41
                                        ; implicit-def: $vgpr39
                                        ; implicit-def: $vgpr22_vgpr23_vgpr24_vgpr25
                                        ; implicit-def: $vgpr18_vgpr19_vgpr20_vgpr21
                                        ; implicit-def: $vgpr30_vgpr31_vgpr32_vgpr33
                                        ; implicit-def: $vgpr26_vgpr27_vgpr28_vgpr29
	s_cbranch_execz .LBB309_34
; %bb.33:
	s_waitcnt vmcnt(0)
	v_lshlrev_b32_e32 v18, 1, v36
	v_lshl_or_b32 v39, v35, 8, v18
	s_and_b32 s1, s1, 0xffff
	s_mov_b32 s3, 0x20000
	s_movk_i32 s2, 0x4000
	v_lshl_or_b32 v41, v38, 8, v18
	s_movk_i32 s4, 0x80
	buffer_load_dwordx4 v[22:25], v39, s[0:3], 0 offen
	buffer_load_dwordx4 v[18:21], v39, s[0:3], s4 offen
	;; [unrolled: 1-line block ×4, first 2 shown]
	v_lshrrev_b32_e32 v39, 3, v36
	v_lshlrev_b32_e32 v41, 3, v35
	v_or_b32_e32 v39, v41, v39
	v_lshlrev_b32_e32 v39, 4, v39
	v_and_b32_e32 v41, 0x78, v41
	v_xor_b32_e32 v41, v39, v41
	v_lshlrev_b32_e32 v39, 7, v38
.LBB309_34:
	s_lshl_b64 s[0:1], s[48:49], 8
	s_add_u32 s4, s24, s0
	s_movk_i32 s0, 0x1000
	v_and_or_b32 v38, v39, s0, v41
	s_waitcnt vmcnt(1)
	ds_write_b64 v41, v[22:23] offset:24576
	v_xor_b32_e32 v22, 8, v41
	ds_write_b64 v22, v[24:25] offset:24576
	s_waitcnt vmcnt(0)
	ds_write_b64 v41, v[18:19] offset:32768
	ds_write_b64 v22, v[20:21] offset:32768
	;; [unrolled: 1-line block ×3, first 2 shown]
	v_xor_b32_e32 v18, 8, v38
	ds_write_b64 v18, v[32:33] offset:24576
	ds_write_b64 v38, v[26:27] offset:32768
	;; [unrolled: 1-line block ×3, first 2 shown]
	v_or_b32_e32 v18, v59, v62
	v_lshlrev_b32_e32 v18, 3, v18
	v_lshrrev_b32_e32 v19, 5, v60
	s_movk_i32 s7, 0xf8
	v_and_or_b32 v19, v18, s7, v19
	v_lshlrev_b32_e32 v23, 4, v19
	v_lshlrev_b32_e32 v41, 11, v58
	v_and_b32_e32 v24, 0x78, v18
	v_or_b32_e32 v26, 32, v23
	v_and_b32_e32 v22, 0x1000, v41
	v_lshrrev_b32_e32 v19, 1, v60
	v_xor_b32_e32 v26, v26, v24
	v_xor_b32_e32 v18, v23, v24
	v_and_b32_e32 v25, 8, v19
	v_or_b32_e32 v26, v26, v22
	v_or_b32_e32 v18, v18, v22
	v_xor_b32_e32 v45, v26, v25
	v_or_b32_e32 v26, 64, v23
	v_xor_b32_e32 v44, v18, v25
	v_xor_b32_e32 v26, v26, v24
	s_waitcnt lgkmcnt(0)
	s_barrier
	v_or_b32_e32 v28, v26, v22
	ds_read_b64 v[26:27], v44 offset:24576
	v_lshl_or_b32 v38, v61, 7, v40
	v_lshlrev_b32_e32 v42, 1, v38
	v_add_u32_e32 v18, 0xa000, v42
	ds_read2_b64 v[18:21], v18 offset1:16
	v_or_b32_e32 v23, 0x60, v23
	v_xor_b32_e32 v23, v23, v24
	s_waitcnt lgkmcnt(0)
	v_mfma_f32_16x16x16_bf16 a[0:3], v[26:27], v[18:19], 0
	v_or_b32_e32 v18, 64, v38
	v_or_b32_e32 v22, v23, v22
	v_lshlrev_b32_e32 v43, 1, v18
	v_xor_b32_e32 v46, v28, v25
	v_xor_b32_e32 v47, v22, v25
	ds_read_b64 v[28:29], v45 offset:24576
	ds_read_b64 v[30:31], v46 offset:24576
	;; [unrolled: 1-line block ×3, first 2 shown]
	v_mfma_f32_16x16x16_bf16 a[4:7], v[26:27], v[20:21], 0
	ds_read2st64_b64 v[18:21], v43 offset0:82 offset1:84
	ds_read2st64_b64 v[22:25], v42 offset0:82 offset1:84
	s_addc_u32 s5, s25, s1
	s_add_i32 s2, s45, -1
	s_add_i32 s0, s53, s52
	s_add_i32 s13, s0, s54
	s_mul_i32 s0, s51, s43
	s_mul_hi_u32 s1, s51, s42
	s_ashr_i32 s3, s2, 31
	s_mul_i32 s6, s2, s23
	s_mul_hi_u32 s7, s2, s22
	s_add_i32 s0, s1, s0
	s_mul_i32 s1, s9, s42
	s_add_i32 s6, s7, s6
	s_mul_i32 s3, s3, s22
	s_waitcnt lgkmcnt(1)
	v_mfma_f32_16x16x16_bf16 a[4:7], v[28:29], v[18:19], a[4:7]
	s_add_i32 s1, s0, s1
	s_add_i32 s3, s6, s3
	s_lshl_b64 s[6:7], s[12:13], 2
	s_waitcnt lgkmcnt(0)
	v_mfma_f32_16x16x16_bf16 a[0:3], v[28:29], v[22:23], a[0:3]
	s_mul_i32 s0, s51, s42
	s_add_u32 s6, s30, s6
	s_addc_u32 s7, s31, s7
	s_lshl_b64 s[0:1], s[0:1], 2
	s_mul_i32 s2, s2, s22
	s_add_u32 s12, s6, s0
	ds_read_b64 v[18:19], v42 offset:44032
	v_mfma_f32_16x16x16_bf16 a[4:7], v[30:31], v[20:21], a[4:7]
	ds_read_b64 v[20:21], v43 offset:44032
	s_addc_u32 s13, s7, s1
	s_lshl_b64 s[0:1], s[2:3], 2
	v_mfma_f32_16x16x16_bf16 a[0:3], v[30:31], v[24:25], a[0:3]
	s_add_u32 s0, s12, s0
	s_addc_u32 s1, s13, s1
	s_load_dword s16, s[0:1], 0x0
	s_waitcnt lgkmcnt(0)
	v_mfma_f32_16x16x16_bf16 a[0:3], v[32:33], v[18:19], a[0:3]
	s_and_b64 vcc, exec, s[40:41]
	v_mfma_f32_16x16x16_bf16 a[4:7], v[32:33], v[20:21], a[4:7]
	s_cbranch_vccz .LBB309_45
; %bb.35:
	v_lshlrev_b32_e32 v38, 1, v35
	s_and_b64 vcc, exec, s[14:15]
	s_cbranch_vccz .LBB309_46
; %bb.36:
	v_cmp_gt_i32_e32 vcc, s56, v38
	v_mov_b32_e32 v22, 0
	v_mov_b32_e32 v18, 0
	;; [unrolled: 1-line block ×5, first 2 shown]
	s_and_saveexec_b64 s[0:1], vcc
	s_cbranch_execz .LBB309_38
; %bb.37:
	v_mad_i64_i32 v[18:19], s[2:3], s39, v38, 0
	v_lshl_add_u64 v[18:19], v[18:19], 1, s[4:5]
	v_lshlrev_b32_e32 v20, 1, v36
	v_mov_b32_e32 v21, 0
	v_lshl_add_u64 v[18:19], v[18:19], 0, v[20:21]
	global_load_dwordx4 v[18:21], v[18:19], off
.LBB309_38:
	s_or_b64 exec, exec, s[0:1]
	v_or_b32_e32 v39, 1, v38
	v_cmp_gt_i32_e64 s[0:1], s56, v39
	v_mov_b32_e32 v23, 0
	v_mov_b32_e32 v24, 0
	;; [unrolled: 1-line block ×3, first 2 shown]
	s_and_saveexec_b64 s[2:3], s[0:1]
	s_cbranch_execz .LBB309_40
; %bb.39:
	v_mad_i64_i32 v[22:23], s[6:7], s39, v39, 0
	v_lshl_add_u64 v[22:23], v[22:23], 1, s[4:5]
	v_lshlrev_b32_e32 v24, 1, v36
	v_mov_b32_e32 v25, 0
	v_lshl_add_u64 v[22:23], v[22:23], 0, v[24:25]
	global_load_dwordx4 v[22:25], v[22:23], off
.LBB309_40:
	s_or_b64 exec, exec, s[2:3]
	v_mov_b32_e32 v33, 0
	v_mov_b32_e32 v26, 0
	;; [unrolled: 1-line block ×5, first 2 shown]
	s_and_saveexec_b64 s[2:3], vcc
	s_cbranch_execz .LBB309_42
; %bb.41:
	v_mad_i64_i32 v[26:27], s[6:7], s39, v38, 0
	v_lshl_add_u64 v[26:27], v[26:27], 1, s[4:5]
	v_lshlrev_b32_e32 v28, 1, v36
	v_mov_b32_e32 v29, 0
	v_lshl_add_u64 v[26:27], v[26:27], 0, v[28:29]
	global_load_dwordx4 v[26:29], v[26:27], off offset:128
.LBB309_42:
	s_or_b64 exec, exec, s[2:3]
	v_mov_b32_e32 v32, 0
	v_mov_b32_e32 v31, 0
	;; [unrolled: 1-line block ×3, first 2 shown]
	s_and_saveexec_b64 s[2:3], s[0:1]
	s_cbranch_execz .LBB309_44
; %bb.43:
	v_mad_i64_i32 v[30:31], s[0:1], s39, v39, 0
	v_lshl_add_u64 v[30:31], v[30:31], 1, s[4:5]
	v_lshlrev_b32_e32 v32, 1, v36
	v_mov_b32_e32 v33, 0
	v_lshl_add_u64 v[30:31], v[30:31], 0, v[32:33]
	global_load_dwordx4 v[30:33], v[30:31], off offset:128
.LBB309_44:
	s_or_b64 exec, exec, s[2:3]
	s_branch .LBB309_48
.LBB309_45:
                                        ; implicit-def: $vgpr21
                                        ; implicit-def: $vgpr25
                                        ; implicit-def: $vgpr29
                                        ; implicit-def: $vgpr33
	v_lshrrev_b32_e32 v48, 2, v60
	s_branch .LBB309_49
.LBB309_46:
                                        ; implicit-def: $vgpr21
                                        ; implicit-def: $vgpr25
                                        ; implicit-def: $vgpr29
                                        ; implicit-def: $vgpr33
	s_cbranch_execz .LBB309_48
; %bb.47:
	s_waitcnt vmcnt(0)
	v_mad_u64_u32 v[18:19], s[0:1], v38, s39, v[36:37]
	v_lshlrev_b32_e32 v38, 1, v18
	s_lshl_b32 s2, s39, 7
	s_and_b32 s1, s5, 0xffff
	s_mov_b32 s3, 0x20000
	s_mov_b32 s0, s4
	v_add_lshl_u32 v39, v18, s39, 1
	s_movk_i32 s6, 0x80
	buffer_load_dwordx4 v[18:21], v38, s[0:3], 0 offen
	buffer_load_dwordx4 v[26:29], v38, s[0:3], s6 offen
	;; [unrolled: 1-line block ×4, first 2 shown]
.LBB309_48:
	v_lshrrev_b32_e32 v48, 2, v60
	s_cbranch_execnz .LBB309_61
.LBB309_49:
	s_and_b64 vcc, exec, s[14:15]
	s_cbranch_vccz .LBB309_59
; %bb.50:
	s_waitcnt vmcnt(0)
	v_lshlrev_b32_e32 v23, 1, v35
	v_cmp_gt_i32_e32 vcc, s56, v23
	v_mov_b32_e32 v22, 0
	v_lshlrev_b32_e32 v30, 9, v35
	v_mov_b32_e32 v18, 0
	v_mov_b32_e32 v19, 0
	v_mov_b32_e32 v20, 0
	v_mov_b32_e32 v21, 0
	s_and_saveexec_b64 s[0:1], vcc
	s_cbranch_execz .LBB309_52
; %bb.51:
	v_mov_b32_e32 v31, 0
	v_lshl_add_u64 v[18:19], s[4:5], 0, v[30:31]
	v_lshlrev_b32_e32 v20, 1, v36
	v_mov_b32_e32 v21, v31
	v_lshl_add_u64 v[18:19], v[18:19], 0, v[20:21]
	global_load_dwordx4 v[18:21], v[18:19], off
.LBB309_52:
	s_or_b64 exec, exec, s[0:1]
	v_or_b32_e32 v23, 1, v23
	v_cmp_gt_i32_e64 s[0:1], s56, v23
	v_lshlrev_b32_e32 v38, 8, v23
	v_mov_b32_e32 v23, 0
	v_mov_b32_e32 v24, 0
	;; [unrolled: 1-line block ×3, first 2 shown]
	s_and_saveexec_b64 s[2:3], s[0:1]
	s_cbranch_execz .LBB309_54
; %bb.53:
	v_mov_b32_e32 v39, 0
	v_lshl_add_u64 v[22:23], s[4:5], 0, v[38:39]
	v_lshlrev_b32_e32 v24, 1, v36
	v_mov_b32_e32 v25, v39
	v_lshl_add_u64 v[22:23], v[22:23], 0, v[24:25]
	global_load_dwordx4 v[22:25], v[22:23], off
.LBB309_54:
	s_or_b64 exec, exec, s[2:3]
	v_mov_b32_e32 v33, 0
	v_mov_b32_e32 v26, 0
	;; [unrolled: 1-line block ×5, first 2 shown]
	s_and_saveexec_b64 s[2:3], vcc
	s_cbranch_execz .LBB309_56
; %bb.55:
	v_mov_b32_e32 v31, 0
	v_lshl_add_u64 v[26:27], s[4:5], 0, v[30:31]
	v_lshlrev_b32_e32 v30, 1, v36
	v_lshl_add_u64 v[26:27], v[26:27], 0, v[30:31]
	global_load_dwordx4 v[26:29], v[26:27], off offset:128
.LBB309_56:
	s_or_b64 exec, exec, s[2:3]
	v_mov_b32_e32 v32, 0
	v_mov_b32_e32 v31, 0
	;; [unrolled: 1-line block ×3, first 2 shown]
	s_and_saveexec_b64 s[2:3], s[0:1]
	s_cbranch_execz .LBB309_58
; %bb.57:
	v_mov_b32_e32 v39, 0
	v_lshl_add_u64 v[30:31], s[4:5], 0, v[38:39]
	v_lshlrev_b32_e32 v38, 1, v36
	v_lshl_add_u64 v[30:31], v[30:31], 0, v[38:39]
	global_load_dwordx4 v[30:33], v[30:31], off offset:128
.LBB309_58:
	s_or_b64 exec, exec, s[2:3]
	s_branch .LBB309_61
.LBB309_59:
                                        ; implicit-def: $vgpr21
                                        ; implicit-def: $vgpr25
                                        ; implicit-def: $vgpr29
                                        ; implicit-def: $vgpr33
	s_cbranch_execz .LBB309_61
; %bb.60:
	s_waitcnt vmcnt(0)
	v_lshlrev_b32_e32 v18, 1, v36
	v_lshl_or_b32 v36, v35, 9, v18
	s_and_b32 s5, s5, 0xffff
	s_mov_b32 s7, 0x20000
	s_movk_i32 s6, 0x4000
	s_movk_i32 s0, 0x80
	buffer_load_dwordx4 v[18:21], v36, s[4:7], 0 offen
	buffer_load_dwordx4 v[22:25], v36, s[4:7], 0 offen offset:256
	buffer_load_dwordx4 v[26:29], v36, s[4:7], s0 offen
	buffer_load_dwordx4 v[30:33], v36, s[4:7], s0 offen offset:256
.LBB309_61:
	ds_read_b64 v[38:39], v44 offset:32768
	v_add_u32_e32 v36, 0xb000, v42
	ds_read2_b64 v[50:53], v36 offset1:16
	ds_read_b64 v[54:55], v45 offset:32768
	ds_read_b64 v[56:57], v46 offset:32768
	;; [unrolled: 1-line block ×3, first 2 shown]
	v_and_b32_e32 v36, 6, v0
	v_xor_b32_e32 v35, v35, v36
	v_lshlrev_b32_e32 v35, 2, v35
	v_and_b32_e32 v49, 1, v0
	v_cmp_eq_u32_e32 vcc, 0, v49
	s_mov_b32 s0, 0x1000504
	s_waitcnt lgkmcnt(3)
	v_mfma_f32_16x16x16_bf16 a[0:3], v[38:39], v[50:51], a[0:3]
	s_mov_b32 s1, 0x3020706
	v_mfma_f32_16x16x16_bf16 a[4:7], v[38:39], v[52:53], a[4:7]
	ds_read2st64_b64 v[44:47], v42 offset0:90 offset1:92
	ds_read2st64_b64 v[50:53], v43 offset0:90 offset1:92
	s_waitcnt lgkmcnt(1)
	v_mfma_f32_16x16x16_bf16 a[0:3], v[54:55], v[44:45], a[0:3]
	ds_read_b64 v[38:39], v42 offset:48128
	ds_read_b64 v[44:45], v43 offset:48128
	s_waitcnt lgkmcnt(2)
	v_mfma_f32_16x16x16_bf16 a[4:7], v[54:55], v[50:51], a[4:7]
	v_mfma_f32_16x16x16_bf16 a[0:3], v[56:57], v[46:47], a[0:3]
	v_xor_b32_e32 v46, 0x440, v35
	v_cndmask_b32_e32 v35, v46, v35, vcc
	v_lshl_or_b32 v35, v36, 10, v35
	v_mfma_f32_16x16x16_bf16 a[8:11], v[56:57], v[52:53], a[4:7]
	s_waitcnt vmcnt(0)
	v_perm_b32 v36, v18, v22, s0
	v_perm_b32 v18, v18, v22, s1
	;; [unrolled: 1-line block ×3, first 2 shown]
	s_waitcnt lgkmcnt(1)
	v_mfma_f32_16x16x16_bf16 a[4:7], v[60:61], v[38:39], a[0:3]
	v_perm_b32 v38, v26, v30, s0
	ds_write2st64_b32 v35, v36, v38 offset0:32 offset1:64
	v_xor_b32_e32 v36, 8, v35
	v_add_u32_e32 v26, 0x80, v36
	ds_write2st64_b32 v26, v18, v22 offset0:32 offset1:64
	v_xor_b32_e32 v18, 16, v35
	v_perm_b32 v22, v19, v23, s0
	v_perm_b32 v26, v27, v31, s0
	ds_write2st64_b32 v18, v22, v26 offset0:33 offset1:65
	v_xor_b32_e32 v18, 24, v35
	v_perm_b32 v19, v19, v23, s1
	v_perm_b32 v22, v27, v31, s1
	v_add_u32_e32 v18, 0x80, v18
	ds_write2st64_b32 v18, v19, v22 offset0:33 offset1:65
	v_xor_b32_e32 v18, 32, v35
	v_perm_b32 v19, v20, v24, s0
	v_perm_b32 v22, v28, v32, s0
	ds_write2st64_b32 v18, v19, v22 offset0:34 offset1:66
	v_xor_b32_e32 v18, 40, v35
	s_waitcnt lgkmcnt(5)
	v_mfma_f32_16x16x16_bf16 a[0:3], v[60:61], v[44:45], a[8:11]
	v_perm_b32 v19, v20, v24, s1
	v_perm_b32 v20, v28, v32, s1
	v_add_u32_e32 v18, 0x80, v18
	ds_write2st64_b32 v18, v19, v20 offset0:34 offset1:66
	v_xor_b32_e32 v18, 48, v35
	v_perm_b32 v19, v21, v25, s0
	v_perm_b32 v20, v29, v33, s0
	ds_write2st64_b32 v18, v19, v20 offset0:35 offset1:67
	v_xor_b32_e32 v18, 56, v35
	v_and_or_b32 v45, v48, 12, v59
	v_perm_b32 v19, v21, v25, s1
	v_perm_b32 v20, v29, v33, s1
	v_add_u32_e32 v18, 0x80, v18
	v_cmp_gt_i32_e64 s[0:1], s56, v45
	v_mov_b32_e32 v38, 0
	v_mov_b32_e32 v39, 0
	ds_write2st64_b32 v18, v19, v20 offset0:35 offset1:67
	s_and_saveexec_b64 s[2:3], s[0:1]
	s_cbranch_execz .LBB309_63
; %bb.62:
	v_add_u32_e32 v18, s8, v45
	v_ashrrev_i32_e32 v19, 31, v18
	v_mul_lo_u32 v20, v19, s22
	v_mul_lo_u32 v21, v18, s23
	v_mad_u64_u32 v[18:19], s[4:5], v18, s22, 0
	v_add3_u32 v19, v19, v21, v20
	v_lshl_add_u64 v[18:19], v[18:19], 2, s[12:13]
	global_load_dword v18, v[18:19], off
	s_waitcnt vmcnt(0)
	v_sub_f32_e32 v18, s16, v18
	v_exp_f32_e32 v39, v18
.LBB309_63:
	s_or_b64 exec, exec, s[2:3]
	v_or_b32_e32 v30, 1, v45
	v_cmp_gt_i32_e64 s[4:5], s56, v30
	s_and_saveexec_b64 s[2:3], s[4:5]
	s_cbranch_execz .LBB309_65
; %bb.64:
	v_add_u32_e32 v18, s8, v30
	v_ashrrev_i32_e32 v19, 31, v18
	v_mul_lo_u32 v20, v19, s22
	v_mul_lo_u32 v21, v18, s23
	v_mad_u64_u32 v[18:19], s[6:7], v18, s22, 0
	v_add3_u32 v19, v19, v21, v20
	v_lshl_add_u64 v[18:19], v[18:19], 2, s[12:13]
	global_load_dword v18, v[18:19], off
	s_waitcnt vmcnt(0)
	v_sub_f32_e32 v18, s16, v18
	v_exp_f32_e32 v38, v18
.LBB309_65:
	s_or_b64 exec, exec, s[2:3]
	v_or_b32_e32 v28, 2, v45
	v_cmp_gt_i32_e64 s[2:3], s56, v28
	v_mov_b32_e32 v36, 0
	v_mov_b32_e32 v44, 0
	s_and_saveexec_b64 s[6:7], s[2:3]
	s_cbranch_execz .LBB309_67
; %bb.66:
	v_add_u32_e32 v18, s8, v28
	v_ashrrev_i32_e32 v19, 31, v18
	v_mul_lo_u32 v20, v19, s22
	v_mul_lo_u32 v21, v18, s23
	v_mad_u64_u32 v[18:19], s[14:15], v18, s22, 0
	v_add3_u32 v19, v19, v21, v20
	v_lshl_add_u64 v[18:19], v[18:19], 2, s[12:13]
	global_load_dword v18, v[18:19], off
	s_waitcnt vmcnt(0)
	v_sub_f32_e32 v18, s16, v18
	v_exp_f32_e32 v44, v18
.LBB309_67:
	s_or_b64 exec, exec, s[6:7]
	v_or_b32_e32 v29, 3, v45
	v_cmp_gt_i32_e32 vcc, s56, v29
	s_and_saveexec_b64 s[6:7], vcc
	s_cbranch_execz .LBB309_69
; %bb.68:
	v_add_u32_e32 v18, s8, v29
	v_ashrrev_i32_e32 v19, 31, v18
	v_mul_lo_u32 v20, v19, s22
	v_mul_lo_u32 v21, v18, s23
	v_mad_u64_u32 v[18:19], s[14:15], v18, s22, 0
	v_add3_u32 v19, v19, v21, v20
	v_lshl_add_u64 v[18:19], v[18:19], 2, s[12:13]
	global_load_dword v18, v[18:19], off
	s_waitcnt vmcnt(0)
	v_sub_f32_e32 v18, s16, v18
	v_exp_f32_e32 v36, v18
.LBB309_69:
	s_or_b64 exec, exec, s[6:7]
	s_add_u32 s6, s28, s10
	s_addc_u32 s7, s29, s11
	s_add_u32 s10, s18, s10
	v_ashrrev_i32_e32 v35, 31, v34
	v_accvgpr_read_b32 v21, a7
	s_addc_u32 s11, s19, s11
	v_lshlrev_b64 v[22:23], 1, v[34:35]
	v_accvgpr_read_b32 v20, a6
	v_accvgpr_read_b32 v19, a5
	;; [unrolled: 1-line block ×3, first 2 shown]
	v_lshl_add_u64 v[24:25], s[6:7], 0, v[22:23]
	v_lshl_add_u64 v[22:23], s[10:11], 0, v[22:23]
	v_mov_b32_e32 v31, 0
	v_lshlrev_b32_e32 v26, 8, v45
	v_mov_b32_e32 v27, 0
	s_and_saveexec_b64 s[6:7], s[0:1]
	s_cbranch_execz .LBB309_71
; %bb.70:
	v_mov_b32_e32 v27, 0
	v_lshl_add_u64 v[32:33], v[24:25], 0, v[26:27]
	global_load_ushort v35, v[32:33], off
	v_lshl_add_u64 v[32:33], v[22:23], 0, v[26:27]
	s_waitcnt vmcnt(0)
	v_lshlrev_b32_e32 v27, 16, v35
	v_sub_f32_e32 v18, v27, v18
	global_store_short_d16_hi v[32:33], v18, off
	v_mul_f32_e32 v18, v39, v18
	v_lshrrev_b32_e32 v27, 16, v18
.LBB309_71:
	s_or_b64 exec, exec, s[6:7]
	v_lshlrev_b32_e32 v30, 8, v30
	s_and_saveexec_b64 s[6:7], s[4:5]
	s_cbranch_execz .LBB309_73
; %bb.72:
	v_mov_b32_e32 v31, 0
	v_lshl_add_u64 v[32:33], v[24:25], 0, v[30:31]
	global_load_ushort v18, v[32:33], off
	v_lshl_add_u64 v[32:33], v[22:23], 0, v[30:31]
	s_waitcnt vmcnt(0)
	v_lshlrev_b32_e32 v18, 16, v18
	v_sub_f32_e32 v18, v18, v19
	global_store_short_d16_hi v[32:33], v18, off
	v_mul_f32_e32 v18, v38, v18
	v_lshrrev_b32_e32 v31, 16, v18
.LBB309_73:
	s_or_b64 exec, exec, s[6:7]
	v_mov_b32_e32 v46, 0
	v_lshlrev_b32_e32 v32, 8, v28
	v_mov_b32_e32 v33, 0
	s_and_saveexec_b64 s[6:7], s[2:3]
	s_cbranch_execz .LBB309_75
; %bb.74:
	v_mov_b32_e32 v33, 0
	v_lshl_add_u64 v[18:19], v[24:25], 0, v[32:33]
	global_load_ushort v28, v[18:19], off
	v_lshl_add_u64 v[18:19], v[22:23], 0, v[32:33]
	s_waitcnt vmcnt(0)
	v_lshlrev_b32_e32 v28, 16, v28
	v_sub_f32_e32 v20, v28, v20
	global_store_short_d16_hi v[18:19], v20, off
	v_mul_f32_e32 v18, v44, v20
	v_lshrrev_b32_e32 v33, 16, v18
.LBB309_75:
	s_or_b64 exec, exec, s[6:7]
	v_lshlrev_b32_e32 v28, 8, v29
	s_and_saveexec_b64 s[6:7], vcc
	s_cbranch_execz .LBB309_77
; %bb.76:
	v_mov_b32_e32 v29, 0
	v_lshl_add_u64 v[18:19], v[24:25], 0, v[28:29]
	global_load_ushort v20, v[18:19], off
	v_lshl_add_u64 v[18:19], v[22:23], 0, v[28:29]
	s_waitcnt vmcnt(0)
	v_lshlrev_b32_e32 v20, 16, v20
	v_sub_f32_e32 v20, v20, v21
	global_store_short_d16_hi v[18:19], v20, off
	v_mul_f32_e32 v18, v36, v20
	v_lshrrev_b32_e32 v46, 16, v18
.LBB309_77:
	s_or_b64 exec, exec, s[6:7]
	v_lshlrev_b32_e32 v35, 5, v45
	s_mov_b32 s6, 0x5040100
	v_perm_b32 v47, v46, v33, s6
	v_perm_b32 v46, v31, v27, s6
	v_or_b32_e32 v27, v35, v40
	v_accvgpr_read_b32 v21, a3
	v_lshlrev_b32_e32 v27, 1, v27
	v_accvgpr_read_b32 v20, a2
	v_accvgpr_read_b32 v19, a1
	;; [unrolled: 1-line block ×3, first 2 shown]
	ds_write_b64 v27, v[46:47] offset:45056
	v_mov_b32_e32 v31, 0
	v_mov_b32_e32 v27, 0
	s_and_saveexec_b64 s[6:7], s[0:1]
	s_cbranch_execz .LBB309_79
; %bb.78:
	v_mov_b32_e32 v27, 0
	v_lshl_add_u64 v[46:47], v[24:25], 0, v[26:27]
	global_load_ushort v29, v[46:47], off offset:32
	v_lshl_add_u64 v[26:27], v[22:23], 0, v[26:27]
	s_waitcnt vmcnt(0)
	v_lshlrev_b32_e32 v29, 16, v29
	v_sub_f32_e32 v18, v29, v18
	global_store_short_d16_hi v[26:27], v18, off offset:32
	v_mul_f32_e32 v18, v39, v18
	v_lshrrev_b32_e32 v27, 16, v18
.LBB309_79:
	s_or_b64 exec, exec, s[6:7]
	s_and_saveexec_b64 s[0:1], s[4:5]
	s_cbranch_execz .LBB309_81
; %bb.80:
	v_mov_b32_e32 v31, 0
	v_lshl_add_u64 v[46:47], v[24:25], 0, v[30:31]
	global_load_ushort v18, v[46:47], off offset:32
	v_lshl_add_u64 v[30:31], v[22:23], 0, v[30:31]
	s_waitcnt vmcnt(0)
	v_lshlrev_b32_e32 v18, 16, v18
	v_sub_f32_e32 v18, v18, v19
	global_store_short_d16_hi v[30:31], v18, off offset:32
	v_mul_f32_e32 v18, v38, v18
	v_lshrrev_b32_e32 v31, 16, v18
.LBB309_81:
	s_or_b64 exec, exec, s[0:1]
	v_mov_b32_e32 v26, 0
	v_mov_b32_e32 v30, 0
	s_and_saveexec_b64 s[0:1], s[2:3]
	s_cbranch_execz .LBB309_83
; %bb.82:
	v_mov_b32_e32 v33, 0
	v_lshl_add_u64 v[18:19], v[24:25], 0, v[32:33]
	global_load_ushort v29, v[18:19], off offset:32
	v_lshl_add_u64 v[18:19], v[22:23], 0, v[32:33]
	s_waitcnt vmcnt(0)
	v_lshlrev_b32_e32 v29, 16, v29
	v_sub_f32_e32 v20, v29, v20
	global_store_short_d16_hi v[18:19], v20, off offset:32
	v_mul_f32_e32 v18, v44, v20
	v_lshrrev_b32_e32 v30, 16, v18
.LBB309_83:
	s_or_b64 exec, exec, s[0:1]
	v_or_b32_e32 v19, 0xb000, v42
	v_or_b32_e32 v18, 0xb000, v43
	s_and_saveexec_b64 s[0:1], vcc
	s_cbranch_execz .LBB309_85
; %bb.84:
	v_mov_b32_e32 v29, 0
	v_lshl_add_u64 v[24:25], v[24:25], 0, v[28:29]
	global_load_ushort v20, v[24:25], off offset:32
	v_lshl_add_u64 v[22:23], v[22:23], 0, v[28:29]
	s_waitcnt vmcnt(0)
	v_lshlrev_b32_e32 v20, 16, v20
	v_sub_f32_e32 v20, v20, v21
	global_store_short_d16_hi v[22:23], v20, off offset:32
	v_mul_f32_e32 v20, v36, v20
	v_lshrrev_b32_e32 v26, 16, v20
.LBB309_85:
	s_or_b64 exec, exec, s[0:1]
	s_mov_b32 s0, 0x5040100
	v_or_b32_e32 v22, v35, v37
	v_perm_b32 v21, v26, v30, s0
	v_perm_b32 v20, v31, v27, s0
	v_lshlrev_b32_e32 v22, 1, v22
	s_movk_i32 s0, 0x100
	ds_write_b64 v22, v[20:21] offset:45056
	v_and_b32_e32 v20, 7, v0
	v_and_b32_e32 v21, 8, v0
	v_cmp_gt_u32_e32 vcc, s0, v0
	v_lshrrev_b32_e32 v0, 1, v0
	v_lshlrev_b32_e32 v35, 3, v20
	v_lshlrev_b32_e32 v36, 7, v20
	v_mov_b32_e32 v20, 0x4000
	v_mov_b32_e32 v22, 0x2000
	v_lshlrev_b32_e32 v38, 3, v58
	v_and_b32_e32 v0, 24, v0
	v_cndmask_b32_e32 v37, v20, v22, vcc
	v_xor_b32_e32 v20, v38, v0
	v_or_b32_e32 v26, 32, v0
	v_or_b32_e32 v22, 0x440, v20
	v_cmp_eq_u32_e32 vcc, 0, v21
	v_xor_b32_e32 v26, v38, v26
	v_or_b32_e32 v27, 0x440, v26
	v_cndmask_b32_e32 v20, v22, v20, vcc
	v_or_b32_e32 v20, v20, v41
	v_cndmask_b32_e32 v26, v27, v26, vcc
	v_xad_u32 v40, v20, v35, v36
	v_or_b32_e32 v26, v26, v41
	v_add_u32_e32 v20, v37, v40
	v_xad_u32 v42, v26, v35, v36
	s_waitcnt lgkmcnt(0)
	s_barrier
	ds_read_b64 v[24:25], v20
	ds_read2_b64 v[20:23], v19 offset1:16
	v_add_u32_e32 v26, v37, v42
	ds_read_b64 v[32:33], v26
	s_waitcnt lgkmcnt(1)
	v_mfma_f32_16x16x16_bf16 a[0:3], v[24:25], v[20:21], 0
	ds_read2st64_b64 v[28:31], v18 offset0:2 offset1:4
	v_mfma_f32_16x16x16_bf16 a[4:7], v[24:25], v[22:23], 0
	ds_read2st64_b64 v[24:27], v19 offset0:2 offset1:4
	s_waitcnt lgkmcnt(0)
	v_mfma_f32_16x16x16_bf16 a[0:3], v[32:33], v[24:25], a[0:3]
	v_mfma_f32_16x16x16_bf16 a[4:7], v[32:33], v[28:29], a[4:7]
	v_or_b32_e32 v32, 64, v0
	v_xor_b32_e32 v32, v38, v32
	v_xor_b32_e32 v33, 0x440, v32
	v_cndmask_b32_e32 v32, v33, v32, vcc
	v_or_b32_e32 v32, v32, v41
	v_xad_u32 v43, v32, v35, v36
	v_add_u32_e32 v32, v37, v43
	ds_read_b64 v[32:33], v32
	v_or_b32_e32 v0, 0x60, v0
	v_xor_b32_e32 v0, v38, v0
	v_xor_b32_e32 v38, 0x440, v0
	v_cndmask_b32_e32 v0, v38, v0, vcc
	v_or_b32_e32 v0, v0, v41
	v_xad_u32 v0, v0, v35, v36
	v_add_u32_e32 v35, v37, v0
	ds_read_b64 v[36:37], v35
	s_waitcnt lgkmcnt(1)
	v_mfma_f32_16x16x16_bf16 a[0:3], v[32:33], v[26:27], a[0:3]
	v_exp_f32_e32 v35, s16
	v_mfma_f32_16x16x16_bf16 a[4:7], v[32:33], v[30:31], a[4:7]
	ds_read_b64 v[32:33], v19 offset:3072
	ds_read_b64 v[38:39], v18 offset:3072
	;; [unrolled: 1-line block ×3, first 2 shown]
	s_waitcnt lgkmcnt(0)
	v_mfma_f32_16x16x16_bf16 a[8:11], v[18:19], v[20:21], 0
	ds_read_b64 v[20:21], v42 offset:16384
	v_mfma_f32_16x16x16_bf16 a[0:3], v[36:37], v[32:33], a[0:3]
	v_mfma_f32_16x16x16_bf16 a[12:15], v[18:19], v[22:23], 0
	ds_read_b64 v[22:23], v43 offset:16384
	s_nop 4
	v_accvgpr_read_b32 v18, a0
	v_fma_f32 v18, v2, v35, v18
	v_accvgpr_read_b32 v2, a1
	v_fma_f32 v19, v3, v35, v2
	v_accvgpr_read_b32 v2, a2
	s_waitcnt lgkmcnt(1)
	v_mfma_f32_16x16x16_bf16 a[8:11], v[20:21], v[24:25], a[8:11]
	v_mfma_f32_16x16x16_bf16 a[12:15], v[20:21], v[28:29], a[12:15]
	v_fma_f32 v20, v4, v35, v2
	ds_read_b64 v[2:3], v0 offset:16384
	v_accvgpr_read_b32 v21, a3
	s_waitcnt lgkmcnt(1)
	v_mfma_f32_16x16x16_bf16 a[0:3], v[22:23], v[26:27], a[8:11]
	v_fmac_f32_e32 v21, v5, v35
	v_mfma_f32_16x16x16_bf16 a[4:7], v[36:37], v[38:39], a[4:7]
	v_mfma_f32_16x16x16_bf16 a[8:11], v[22:23], v[30:31], a[12:15]
	s_waitcnt lgkmcnt(0)
	v_mfma_f32_16x16x16_bf16 a[0:3], v[2:3], v[32:33], a[0:3]
	s_nop 3
	v_accvgpr_read_b32 v0, a4
	v_fma_f32 v26, v10, v35, v0
	v_accvgpr_read_b32 v0, a5
	v_fma_f32 v27, v11, v35, v0
	v_accvgpr_read_b32 v0, a6
	v_accvgpr_read_b32 v29, a7
	v_mfma_f32_16x16x16_bf16 a[4:7], v[2:3], v[38:39], a[8:11]
	v_fma_f32 v28, v12, v35, v0
	v_accvgpr_read_b32 v0, a0
	v_fma_f32 v22, v6, v35, v0
	v_accvgpr_read_b32 v0, a1
	;; [unrolled: 2-line block ×5, first 2 shown]
	v_accvgpr_read_b32 v25, a3
	v_fma_f32 v31, v15, v35, v0
	v_accvgpr_read_b32 v0, a6
	v_accvgpr_read_b32 v33, a7
	v_fmac_f32_e32 v29, v13, v35
	v_fmac_f32_e32 v25, v9, v35
	v_fma_f32 v32, v16, v35, v0
	v_fmac_f32_e32 v33, v17, v35
	v_mov_b64_e32 v[2:3], v[18:19]
	v_mov_b64_e32 v[4:5], v[20:21]
	;; [unrolled: 1-line block ×8, first 2 shown]
	v_mov_b32_e32 v18, v34
.LBB309_86:
	s_mul_i32 s0, s33, s35
	s_mul_hi_u32 s1, s33, s34
	s_add_i32 s0, s1, s0
	s_mul_i32 s1, s50, s34
	s_add_i32 s1, s0, s1
	s_mul_i32 s0, s33, s34
	s_add_u32 s0, s0, s51
	s_addc_u32 s1, s1, s9
	s_lshl_b64 s[0:1], s[0:1], 15
	s_add_u32 s0, s20, s0
	v_lshlrev_b32_e32 v18, 7, v18
	s_addc_u32 s1, s21, s1
	v_ashrrev_i32_e32 v19, 31, v18
	v_lshl_add_u64 v[20:21], v[18:19], 1, s[0:1]
	v_lshlrev_b32_e32 v0, 1, v1
	v_mov_b32_e32 v1, 0
	s_mov_b32 s2, 0x7060302
	v_lshl_add_u64 v[20:21], v[20:21], 0, v[0:1]
	v_perm_b32 v5, v5, v4, s2
	v_perm_b32 v4, v3, v2, s2
	;; [unrolled: 1-line block ×4, first 2 shown]
	global_store_dwordx2 v[20:21], v[2:3], off offset:128
	v_or_b32_e32 v2, 0x800, v18
	v_ashrrev_i32_e32 v3, 31, v2
	v_lshl_add_u64 v[2:3], v[2:3], 1, s[0:1]
	v_lshl_add_u64 v[0:1], v[2:3], 0, v[0:1]
	v_perm_b32 v3, v13, v12, s2
	v_perm_b32 v2, v11, v10, s2
	global_store_dwordx2 v[0:1], v[2:3], off
	v_perm_b32 v3, v17, v16, s2
	v_perm_b32 v2, v15, v14, s2
	global_store_dwordx2 v[20:21], v[4:5], off
	global_store_dwordx2 v[0:1], v[2:3], off offset:128
	s_endpgm
	.section	.rodata,"a",@progbits
	.p2align	6, 0x0
	.amdhsa_kernel _ZN12_GLOBAL__N_139chunk_gated_delta_rule_fwd_h_hip_kernelILi32ELb0ELb1ELb1ELb1ELb1ELb0ELb0ELb1EEEvPK12hip_bfloat16S3_S3_PKfS5_PKvPS1_S8_PvPKiSB_iiiiilll
		.amdhsa_group_segment_fixed_size 49152
		.amdhsa_private_segment_fixed_size 0
		.amdhsa_kernarg_size 136
		.amdhsa_user_sgpr_count 2
		.amdhsa_user_sgpr_dispatch_ptr 0
		.amdhsa_user_sgpr_queue_ptr 0
		.amdhsa_user_sgpr_kernarg_segment_ptr 1
		.amdhsa_user_sgpr_dispatch_id 0
		.amdhsa_user_sgpr_kernarg_preload_length 0
		.amdhsa_user_sgpr_kernarg_preload_offset 0
		.amdhsa_user_sgpr_private_segment_size 0
		.amdhsa_uses_dynamic_stack 0
		.amdhsa_enable_private_segment 0
		.amdhsa_system_sgpr_workgroup_id_x 1
		.amdhsa_system_sgpr_workgroup_id_y 1
		.amdhsa_system_sgpr_workgroup_id_z 0
		.amdhsa_system_sgpr_workgroup_info 0
		.amdhsa_system_vgpr_workitem_id 0
		.amdhsa_next_free_vgpr 148
		.amdhsa_next_free_sgpr 68
		.amdhsa_accum_offset 132
		.amdhsa_reserve_vcc 1
		.amdhsa_float_round_mode_32 0
		.amdhsa_float_round_mode_16_64 0
		.amdhsa_float_denorm_mode_32 3
		.amdhsa_float_denorm_mode_16_64 3
		.amdhsa_dx10_clamp 1
		.amdhsa_ieee_mode 1
		.amdhsa_fp16_overflow 0
		.amdhsa_tg_split 0
		.amdhsa_exception_fp_ieee_invalid_op 0
		.amdhsa_exception_fp_denorm_src 0
		.amdhsa_exception_fp_ieee_div_zero 0
		.amdhsa_exception_fp_ieee_overflow 0
		.amdhsa_exception_fp_ieee_underflow 0
		.amdhsa_exception_fp_ieee_inexact 0
		.amdhsa_exception_int_div_zero 0
	.end_amdhsa_kernel
	.section	.text._ZN12_GLOBAL__N_139chunk_gated_delta_rule_fwd_h_hip_kernelILi32ELb0ELb1ELb1ELb1ELb1ELb0ELb0ELb1EEEvPK12hip_bfloat16S3_S3_PKfS5_PKvPS1_S8_PvPKiSB_iiiiilll,"axG",@progbits,_ZN12_GLOBAL__N_139chunk_gated_delta_rule_fwd_h_hip_kernelILi32ELb0ELb1ELb1ELb1ELb1ELb0ELb0ELb1EEEvPK12hip_bfloat16S3_S3_PKfS5_PKvPS1_S8_PvPKiSB_iiiiilll,comdat
.Lfunc_end309:
	.size	_ZN12_GLOBAL__N_139chunk_gated_delta_rule_fwd_h_hip_kernelILi32ELb0ELb1ELb1ELb1ELb1ELb0ELb0ELb1EEEvPK12hip_bfloat16S3_S3_PKfS5_PKvPS1_S8_PvPKiSB_iiiiilll, .Lfunc_end309-_ZN12_GLOBAL__N_139chunk_gated_delta_rule_fwd_h_hip_kernelILi32ELb0ELb1ELb1ELb1ELb1ELb0ELb0ELb1EEEvPK12hip_bfloat16S3_S3_PKfS5_PKvPS1_S8_PvPKiSB_iiiiilll
                                        ; -- End function
	.section	.AMDGPU.csdata,"",@progbits
; Kernel info:
; codeLenInByte = 9556
; NumSgprs: 74
; NumVgprs: 132
; NumAgprs: 16
; TotalNumVgprs: 148
; ScratchSize: 0
; MemoryBound: 0
; FloatMode: 240
; IeeeMode: 1
; LDSByteSize: 49152 bytes/workgroup (compile time only)
; SGPRBlocks: 9
; VGPRBlocks: 18
; NumSGPRsForWavesPerEU: 74
; NumVGPRsForWavesPerEU: 148
; AccumOffset: 132
; Occupancy: 1
; WaveLimiterHint : 1
; COMPUTE_PGM_RSRC2:SCRATCH_EN: 0
; COMPUTE_PGM_RSRC2:USER_SGPR: 2
; COMPUTE_PGM_RSRC2:TRAP_HANDLER: 0
; COMPUTE_PGM_RSRC2:TGID_X_EN: 1
; COMPUTE_PGM_RSRC2:TGID_Y_EN: 1
; COMPUTE_PGM_RSRC2:TGID_Z_EN: 0
; COMPUTE_PGM_RSRC2:TIDIG_COMP_CNT: 0
; COMPUTE_PGM_RSRC3_GFX90A:ACCUM_OFFSET: 32
; COMPUTE_PGM_RSRC3_GFX90A:TG_SPLIT: 0
	.section	.text._ZN12_GLOBAL__N_139chunk_gated_delta_rule_fwd_h_hip_kernelILi32ELb0ELb1ELb0ELb1ELb1ELb0ELb0ELb1EEEvPK12hip_bfloat16S3_S3_PKfS5_PKvPS1_S8_PvPKiSB_iiiiilll,"axG",@progbits,_ZN12_GLOBAL__N_139chunk_gated_delta_rule_fwd_h_hip_kernelILi32ELb0ELb1ELb0ELb1ELb1ELb0ELb0ELb1EEEvPK12hip_bfloat16S3_S3_PKfS5_PKvPS1_S8_PvPKiSB_iiiiilll,comdat
	.globl	_ZN12_GLOBAL__N_139chunk_gated_delta_rule_fwd_h_hip_kernelILi32ELb0ELb1ELb0ELb1ELb1ELb0ELb0ELb1EEEvPK12hip_bfloat16S3_S3_PKfS5_PKvPS1_S8_PvPKiSB_iiiiilll ; -- Begin function _ZN12_GLOBAL__N_139chunk_gated_delta_rule_fwd_h_hip_kernelILi32ELb0ELb1ELb0ELb1ELb1ELb0ELb0ELb1EEEvPK12hip_bfloat16S3_S3_PKfS5_PKvPS1_S8_PvPKiSB_iiiiilll
	.p2align	8
	.type	_ZN12_GLOBAL__N_139chunk_gated_delta_rule_fwd_h_hip_kernelILi32ELb0ELb1ELb0ELb1ELb1ELb0ELb0ELb1EEEvPK12hip_bfloat16S3_S3_PKfS5_PKvPS1_S8_PvPKiSB_iiiiilll,@function
_ZN12_GLOBAL__N_139chunk_gated_delta_rule_fwd_h_hip_kernelILi32ELb0ELb1ELb0ELb1ELb1ELb0ELb0ELb1EEEvPK12hip_bfloat16S3_S3_PKfS5_PKvPS1_S8_PvPKiSB_iiiiilll: ; @_ZN12_GLOBAL__N_139chunk_gated_delta_rule_fwd_h_hip_kernelILi32ELb0ELb1ELb0ELb1ELb1ELb0ELb0ELb1EEEvPK12hip_bfloat16S3_S3_PKfS5_PKvPS1_S8_PvPKiSB_iiiiilll
; %bb.0:
	s_load_dwordx4 s[28:31], s[0:1], 0x5c
	s_load_dwordx2 s[4:5], s[0:1], 0x50
	s_abs_i32 s7, s3
	s_ashr_i32 s6, s3, 31
	s_load_dwordx8 s[16:23], s[0:1], 0x0
	s_load_dwordx4 s[24:27], s[0:1], 0x40
	s_load_dwordx2 s[42:43], s[0:1], 0x30
	s_waitcnt lgkmcnt(0)
	s_abs_i32 s10, s29
	v_cvt_f32_u32_e32 v1, s10
	s_sub_i32 s8, 0, s10
	s_ashr_i32 s48, s29, 31
	s_xor_b32 s6, s6, s48
	v_rcp_iflag_f32_e32 v1, v1
	v_lshrrev_b32_e32 v56, 6, v0
	v_bfe_u32 v59, v0, 4, 2
	v_lshlrev_b32_e32 v57, 4, v56
	v_mul_f32_e32 v1, 0x4f7ffffe, v1
	v_cvt_u32_f32_e32 v1, v1
	v_lshlrev_b32_e32 v18, 2, v59
	v_and_b32_e32 v58, 63, v0
	s_mov_b32 s33, s29
	v_readfirstlane_b32 s9, v1
	s_mul_i32 s8, s8, s9
	s_mul_hi_u32 s8, s9, s8
	s_add_i32 s9, s9, s8
	s_mul_hi_u32 s8, s7, s9
	s_mul_i32 s9, s8, s10
	s_sub_i32 s7, s7, s9
	s_add_i32 s9, s8, 1
	s_sub_i32 s11, s7, s10
	s_cmp_ge_u32 s7, s10
	s_cselect_b32 s8, s9, s8
	s_cselect_b32 s7, s11, s7
	s_add_i32 s9, s8, 1
	s_cmp_ge_u32 s7, s10
	s_cselect_b32 s7, s9, s8
	s_xor_b32 s7, s7, s6
	s_sub_i32 s34, s7, s6
	s_mul_i32 s6, s34, s29
	s_ashr_i32 s35, s34, 31
	s_sub_i32 s49, s3, s6
	s_lshl_b64 s[6:7], s[34:35], 2
	s_add_u32 s8, s26, s6
	s_addc_u32 s9, s27, s7
	s_add_u32 s4, s4, s6
	s_addc_u32 s5, s5, s7
	s_abs_i32 s3, s30
	v_cvt_f32_u32_e32 v1, s3
	s_load_dwordx2 s[40:41], s[8:9], 0x0
	s_load_dwordx2 s[26:27], s[0:1], 0x80
	s_load_dwordx4 s[36:39], s[0:1], 0x70
	s_sub_i32 s1, 0, s3
	v_rcp_iflag_f32_e32 v1, v1
	s_load_dword s55, s[4:5], 0x0
	s_waitcnt lgkmcnt(0)
	s_sub_i32 s46, s41, s40
	s_ashr_i32 s0, s46, 31
	v_mul_f32_e32 v1, 0x4f7ffffe, v1
	v_cvt_u32_f32_e32 v1, v1
	s_lshr_b32 s0, s0, 26
	s_add_i32 s0, s46, s0
	s_ashr_i32 s53, s0, 6
	v_readfirstlane_b32 s6, v1
	s_mul_i32 s1, s1, s6
	s_mul_hi_u32 s1, s6, s1
	s_add_i32 s6, s6, s1
	s_mul_hi_u32 s1, s10, s6
	s_mul_i32 s6, s1, s3
	s_ashr_i32 s0, s30, 31
	s_sub_i32 s6, s10, s6
	s_xor_b32 s0, s48, s0
	s_add_i32 s7, s1, 1
	s_sub_i32 s8, s6, s3
	s_cmp_ge_u32 s6, s3
	s_cselect_b32 s1, s7, s1
	s_cselect_b32 s6, s8, s6
	s_add_i32 s7, s1, 1
	s_cmp_ge_u32 s6, s3
	s_cselect_b32 s1, s7, s1
	s_xor_b32 s1, s1, s0
	s_sub_i32 s1, s1, s0
	s_abs_i32 s3, s1
	v_cvt_f32_u32_e32 v1, s3
	s_sub_i32 s5, 0, s3
	s_abs_i32 s4, s49
	s_xor_b32 s1, s49, s1
	v_rcp_iflag_f32_e32 v1, v1
	s_ashr_i32 s1, s1, 31
	s_mov_b32 s0, 0
	s_mov_b32 s14, s0
	v_mul_f32_e32 v1, 0x4f7ffffe, v1
	v_cvt_u32_f32_e32 v1, v1
	s_mov_b32 s15, s0
	s_mov_b32 s8, s0
	s_mov_b32 s9, s0
	v_readfirstlane_b32 s6, v1
	s_mul_i32 s5, s5, s6
	s_mul_hi_u32 s5, s6, s5
	s_add_i32 s6, s6, s5
	s_mul_hi_u32 s5, s4, s6
	s_mul_i32 s6, s5, s3
	s_sub_i32 s4, s4, s6
	s_add_i32 s6, s5, 1
	s_sub_i32 s7, s4, s3
	s_cmp_ge_u32 s4, s3
	s_cselect_b32 s5, s6, s5
	s_cselect_b32 s4, s7, s4
	s_add_i32 s6, s5, 1
	s_cmp_ge_u32 s4, s3
	s_cselect_b32 s3, s6, s5
	s_xor_b32 s3, s3, s1
	s_sub_i32 s56, s3, s1
	v_or_b32_e32 v1, v18, v57
	s_lshl_b32 s44, s2, 5
	s_mov_b32 s1, s0
	s_mov_b32 s2, s0
	;; [unrolled: 1-line block ×11, first 2 shown]
	v_mov_b64_e32 v[16:17], s[14:15]
	v_and_b32_e32 v60, 15, v0
	v_or_b32_e32 v63, 64, v1
	s_cmp_lt_i32 s46, 64
	v_mov_b64_e32 v[14:15], s[12:13]
	v_mov_b64_e32 v[12:13], s[10:11]
	;; [unrolled: 1-line block ×7, first 2 shown]
	s_mul_hi_i32 s57, s49, s28
	s_mul_i32 s58, s49, s28
	v_lshrrev_b32_e32 v62, 3, v58
	v_lshlrev_b32_e32 v61, 3, v0
	s_mul_i32 s50, s34, s37
	s_mul_hi_u32 s51, s34, s36
	s_mul_i32 s52, s35, s36
	s_mul_i32 s12, s34, s36
	s_cbranch_scc1 .LBB310_19
; %bb.1:
	s_ashr_i32 s36, s49, 31
	s_ashr_i32 s1, s40, 31
	s_add_u32 s0, s58, s40
	s_addc_u32 s1, s57, s1
	s_lshl_b64 s[0:1], s[0:1], 8
	v_and_b32_e32 v9, 56, v61
	s_add_u32 s0, s18, s0
	v_lshl_or_b32 v5, v56, 3, v62
	v_lshlrev_b32_e32 v2, 1, v9
	s_addc_u32 s1, s19, s1
	v_lshl_or_b32 v13, v5, 8, v2
	s_and_b32 s1, s1, 0xffff
	s_mov_b32 s3, 0x20000
	s_movk_i32 s2, 0x4000
	s_movk_i32 s4, 0x80
	v_or_b32_e32 v17, 0x2000, v13
	buffer_load_dwordx4 v[20:23], v13, s[0:3], 0 offen
	buffer_load_dwordx4 v[24:27], v13, s[0:3], s4 offen
	;; [unrolled: 1-line block ×4, first 2 shown]
	v_lshlrev_b32_e32 v3, 3, v5
	v_and_or_b32 v6, v0, 7, v3
	v_and_b32_e32 v3, 0x78, v3
	v_lshlrev_b32_e32 v6, 4, v6
	v_xor_b32_e32 v64, v6, v3
	v_mul_lo_u32 v4, v5, s31
	v_or_b32_e32 v65, 0x1000, v64
	v_xor_b32_e32 v3, 8, v64
	s_cmpk_eq_i32 s31, 0x80
	s_mov_b32 s47, s40
	v_xor_b32_e32 v6, 8, v65
	s_cselect_b64 s[0:1], -1, 0
	s_cmpk_lg_i32 s31, 0x80
	s_waitcnt vmcnt(3)
	ds_write_b64 v64, v[20:21] offset:24576
	ds_write_b64 v3, v[22:23] offset:24576
	s_waitcnt vmcnt(2)
	ds_write_b64 v64, v[24:25] offset:32768
	ds_write_b64 v3, v[26:27] offset:32768
	;; [unrolled: 3-line block ×4, first 2 shown]
	v_lshl_add_u32 v3, v4, 1, v9
	s_cbranch_scc0 .LBB310_3
; %bb.2:
	v_lshlrev_b32_e32 v6, 1, v3
	v_add_lshl_u32 v4, v3, s31, 1
	s_lshl_b32 s6, s31, 7
	v_lshl_or_b32 v2, v5, 9, v2
	s_cbranch_execz .LBB310_4
	s_branch .LBB310_5
.LBB310_3:
                                        ; implicit-def: $vgpr4
                                        ; implicit-def: $vgpr6
                                        ; implicit-def: $sgpr6
	v_lshl_or_b32 v2, v5, 9, v2
.LBB310_4:
	v_or_b32_e32 v4, 0x100, v2
	s_movk_i32 s6, 0x4000
	v_mov_b32_e32 v6, v2
.LBB310_5:
	s_mul_i32 s2, s40, s30
	s_ashr_i32 s37, s56, 31
	s_mul_hi_i32 s3, s40, s30
	s_add_u32 s2, s2, s56
	s_addc_u32 s3, s3, s37
	s_lshl_b64 s[2:3], s[2:3], 8
	s_add_u32 s4, s16, s2
	s_addc_u32 s2, s17, s3
	s_and_b32 s5, s2, 0xffff
	s_mov_b32 s7, 0x20000
	s_movk_i32 s54, 0x80
	buffer_load_dwordx4 v[20:23], v6, s[4:7], 0 offen
	buffer_load_dwordx4 v[24:27], v6, s[4:7], s54 offen
	;; [unrolled: 1-line block ×4, first 2 shown]
	v_and_b32_e32 v4, 6, v0
	v_lshlrev_b32_e32 v8, 6, v1
	v_or_b32_e32 v11, 16, v60
	v_xor_b32_e32 v12, v5, v4
	v_and_b32_e32 v6, 1, v0
	v_lshl_or_b32 v16, v60, 3, v8
	v_lshl_or_b32 v8, v11, 3, v8
	v_lshlrev_b32_e32 v12, 2, v12
	v_lshlrev_b32_e32 v7, 2, v60
	s_mul_i32 s2, s49, s39
	s_mul_hi_u32 s3, s49, s38
	v_or_b32_e32 v68, 0xa000, v8
	v_or_b32_e32 v69, 0xb000, v8
	v_xor_b32_e32 v8, 0x440, v12
	v_cmp_eq_u32_e32 vcc, 0, v6
	s_add_i32 s5, s51, s50
	s_mul_i32 s4, s36, s38
	v_xor_b32_e32 v14, v1, v7
	v_xor_b32_e32 v15, v63, v7
	v_cndmask_b32_e32 v6, v8, v12, vcc
	s_add_i32 s2, s3, s2
	s_add_i32 s13, s5, s52
	s_mov_b32 s59, 0x1000504
	v_lshlrev_b32_e32 v10, 8, v60
	v_lshlrev_b32_e32 v11, 8, v11
	;; [unrolled: 1-line block ×4, first 2 shown]
	v_lshl_or_b32 v4, v4, 10, v6
	s_add_i32 s3, s2, s4
	s_lshl_b64 s[4:5], s[12:13], 2
	s_mov_b32 s60, 0x3020706
	v_or_b32_e32 v66, 0xa000, v16
	v_or_b32_e32 v67, 0xb000, v16
	;; [unrolled: 1-line block ×5, first 2 shown]
	v_xor_b32_e32 v6, 8, v4
	v_xor_b32_e32 v10, 24, v4
	v_xor_b32_e32 v12, 40, v4
	v_xor_b32_e32 v15, 56, v4
	s_mul_i32 s2, s49, s38
	s_add_u32 s4, s22, s4
	v_or_b32_e32 v72, v11, v14
	v_xor_b32_e32 v8, 16, v4
	v_xor_b32_e32 v11, 32, v4
	;; [unrolled: 1-line block ×3, first 2 shown]
	v_add_u32_e32 v6, 0x80, v6
	v_add_u32_e32 v10, 0x80, v10
	;; [unrolled: 1-line block ×4, first 2 shown]
	s_addc_u32 s5, s23, s5
	s_lshl_b64 s[2:3], s[2:3], 2
	s_add_u32 s2, s4, s2
	s_movk_i32 s4, 0xf8
	s_addc_u32 s3, s5, s3
	s_ashr_i32 s45, s44, 31
	s_lshl_b32 s10, s31, 7
	s_movk_i32 s8, 0x100
	v_mov_b32_e32 v51, 0
	v_lshlrev_b32_e32 v50, 4, v60
	v_cmp_gt_u32_e32 vcc, s8, v0
	s_mov_b32 s61, 0
	s_movk_i32 s13, 0x1000
	s_movk_i32 s6, 0x4000
	v_add_u32_e32 v91, v57, v18
	v_mov_b32_e32 v97, v51
	v_mov_b32_e32 v96, v51
	;; [unrolled: 1-line block ×4, first 2 shown]
	s_waitcnt vmcnt(1)
	v_perm_b32 v16, v20, v28, s59
	s_waitcnt vmcnt(0)
	v_perm_b32 v19, v24, v32, s59
	v_perm_b32 v20, v20, v28, s60
	;; [unrolled: 1-line block ×15, first 2 shown]
	ds_write2st64_b32 v4, v16, v19 offset0:32 offset1:64
	ds_write2st64_b32 v6, v20, v24 offset0:32 offset1:64
	;; [unrolled: 1-line block ×8, first 2 shown]
	v_or_b32_e32 v4, v57, v60
	v_lshlrev_b32_e32 v4, 3, v4
	v_lshrrev_b32_e32 v10, 5, v58
	v_and_or_b32 v10, v4, s4, v10
	v_lshlrev_b32_e32 v8, 11, v56
	v_lshlrev_b32_e32 v10, 4, v10
	v_and_b32_e32 v4, 0x78, v4
	v_and_b32_e32 v6, 0x1000, v8
	v_xor_b32_e32 v11, v10, v4
	v_lshrrev_b32_e32 v12, 1, v0
	v_or_b32_e32 v11, v11, v6
	v_and_b32_e32 v14, 8, v12
	v_xor_b32_e32 v74, v11, v14
	v_or_b32_e32 v11, 32, v10
	v_xor_b32_e32 v11, v11, v4
	v_or_b32_e32 v11, v11, v6
	;; [unrolled: 2-line block ×4, first 2 shown]
	s_lshl_b64 s[4:5], s[44:45], 8
	v_or_b32_e32 v11, v11, v6
	v_xor_b32_e32 v4, v10, v4
	s_add_u32 s4, s42, s4
	v_lshlrev_b32_e32 v10, 1, v60
	v_xor_b32_e32 v78, v11, v14
	v_lshrrev_b32_e32 v19, 4, v0
	s_addc_u32 s5, s43, s5
	v_or_b32_e32 v11, 1, v10
	v_mov_b32_e32 v23, 0x4000
	v_mov_b32_e32 v24, 0x2000
	v_xor_b32_e32 v20, v19, v10
	v_xor_b32_e32 v21, v11, v19
	v_lshl_add_u64 v[10:11], s[4:5], 0, v[50:51]
	v_lshlrev_b32_e32 v50, 8, v19
	v_cndmask_b32_e32 v23, v23, v24, vcc
	v_lshlrev_b32_e32 v24, 3, v56
	v_and_b32_e32 v12, 24, v12
	v_lshl_or_b32 v82, v20, 3, v50
	v_and_b32_e32 v20, 8, v0
	v_xor_b32_e32 v25, v24, v12
	v_or_b32_e32 v26, 0x440, v25
	v_cmp_eq_u32_e32 vcc, 0, v20
	v_and_b32_e32 v19, 7, v0
	v_lshlrev_b32_e32 v15, 7, v59
	v_cndmask_b32_e32 v20, v26, v25, vcc
	v_lshl_or_b32 v83, v21, 3, v50
	v_lshlrev_b32_e32 v21, 3, v19
	v_lshlrev_b32_e32 v19, 7, v19
	;; [unrolled: 1-line block ×3, first 2 shown]
	v_or_b32_e32 v20, v20, v8
	v_or_b32_e32 v7, v15, v7
	v_xad_u32 v84, v20, v21, v19
	v_and_or_b32 v15, v22, 60, v15
	v_mov_b32_e32 v20, 0xb000
	v_lshl_or_b32 v85, v15, 1, v20
	v_or_b32_e32 v15, 32, v12
	v_xor_b32_e32 v15, v24, v15
	v_or_b32_e32 v20, 0x440, v15
	v_cndmask_b32_e32 v15, v20, v15, vcc
	v_or_b32_e32 v15, v15, v8
	v_xad_u32 v86, v15, v21, v19
	v_or_b32_e32 v15, 64, v12
	v_xor_b32_e32 v15, v24, v15
	v_xor_b32_e32 v20, 0x440, v15
	v_cndmask_b32_e32 v15, v20, v15, vcc
	v_or_b32_e32 v12, 0x60, v12
	v_or_b32_e32 v15, v15, v8
	v_xor_b32_e32 v12, v24, v12
	v_xad_u32 v87, v15, v21, v19
	v_xor_b32_e32 v15, 0x440, v12
	v_cndmask_b32_e32 v12, v15, v12, vcc
	v_lshlrev_b32_e32 v7, 1, v7
	v_or_b32_e32 v4, v4, v6
	v_or_b32_e32 v6, s44, v60
	;; [unrolled: 1-line block ×5, first 2 shown]
	v_xor_b32_e32 v79, v4, v14
	v_or_b32_e32 v80, 0xb000, v7
	v_or_b32_e32 v81, 0xb080, v7
	v_lshlrev_b32_e32 v4, 7, v1
	v_ashrrev_i32_e32 v7, 31, v6
	v_lshlrev_b32_e32 v14, 1, v3
	v_add_lshl_u32 v3, v3, s31, 1
	v_or_b32_e32 v16, 0x100, v2
	v_xad_u32 v88, v8, v21, v19
	v_cndmask_b32_e64 v89, v14, v2, s[0:1]
	v_cndmask_b32_e64 v90, v3, v16, s[0:1]
	v_lshl_add_u64 v[52:53], v[6:7], 1, s[20:21]
	v_lshl_add_u64 v[54:55], v[10:11], 0, v[50:51]
	s_mov_b32 s45, 0x7060302
	v_lshlrev_b32_e32 v50, 1, v4
	v_add_u32_e32 v92, v23, v84
	v_add_u32_e32 v93, v23, v86
	;; [unrolled: 1-line block ×4, first 2 shown]
	v_mov_b32_e32 v2, v51
	v_mov_b32_e32 v3, v51
	;; [unrolled: 1-line block ×12, first 2 shown]
	s_waitcnt lgkmcnt(0)
	s_barrier
.LBB310_6:                              ; =>This Inner Loop Header: Depth=1
	s_add_i32 s62, s61, 1
	s_cmp_lt_i32 s62, s53
	s_mov_b64 s[8:9], 0
	s_cselect_b64 s[14:15], -1, 0
	s_cmp_ge_i32 s62, s53
	s_mov_b64 s[4:5], 0
	s_cbranch_scc1 .LBB310_8
; %bb.7:                                ;   in Loop: Header=BB310_6 Depth=1
	s_add_i32 s0, s47, 64
	s_ashr_i32 s1, s0, 31
	s_add_u32 s0, s58, s0
	s_addc_u32 s1, s57, s1
	s_lshl_b64 s[0:1], s[0:1], 8
	s_add_u32 s4, s18, s0
	s_addc_u32 s5, s19, s1
.LBB310_8:                              ;   in Loop: Header=BB310_6 Depth=1
	v_cndmask_b32_e64 v18, 0, 1, s[14:15]
	v_cmp_ne_u32_e64 s[0:1], 1, v18
	s_andn2_b64 vcc, exec, s[14:15]
	s_cbranch_vccnz .LBB310_10
; %bb.9:                                ;   in Loop: Header=BB310_6 Depth=1
	s_add_i32 s8, s47, 64
	s_mul_hi_i32 s9, s8, s30
	s_mul_i32 s8, s8, s30
	s_add_u32 s8, s8, s56
	s_addc_u32 s9, s9, s37
	s_lshl_b64 s[8:9], s[8:9], 8
	s_add_u32 s8, s16, s8
	s_addc_u32 s9, s17, s9
.LBB310_10:                             ;   in Loop: Header=BB310_6 Depth=1
	v_perm_b32 v19, v97, v4, s45
	v_perm_b32 v18, v3, v2, s45
	;; [unrolled: 1-line block ×4, first 2 shown]
	ds_write_b64 v66, v[18:19]
	ds_write_b64 v67, v[20:21]
	;; [unrolled: 1-line block ×4, first 2 shown]
	v_perm_b32 v19, v99, v12, s45
	v_perm_b32 v18, v11, v10, s45
	v_perm_b32 v21, v98, v16, s45
	v_perm_b32 v20, v15, v14, s45
	ds_write_b64 v68, v[18:19]
	ds_write_b64 v69, v[20:21]
	;; [unrolled: 1-line block ×4, first 2 shown]
	s_waitcnt lgkmcnt(0)
	s_barrier
	ds_read_b64 v[22:23], v74 offset:24576
	ds_read2_b64 v[18:21], v75 offset1:16
	ds_read_b64 v[26:27], v77 offset:3072
	ds_read_b64 v[28:29], v75 offset:3072
	;; [unrolled: 1-line block ×3, first 2 shown]
	s_waitcnt lgkmcnt(3)
	v_mfma_f32_16x16x16_bf16 a[0:3], v[22:23], v[18:19], 0
	s_add_i32 s11, s47, 63
	s_ashr_i32 s14, s11, 31
	s_mul_i32 s15, s11, s27
	v_mfma_f32_16x16x16_bf16 a[4:7], v[22:23], v[20:21], 0
	ds_read2st64_b64 v[18:21], v75 offset0:2 offset1:4
	s_mul_hi_u32 s63, s11, s26
	s_add_i32 s15, s63, s15
	s_waitcnt lgkmcnt(0)
	v_mfma_f32_16x16x16_bf16 a[0:3], v[30:31], v[18:19], a[0:3]
	ds_read2st64_b64 v[22:25], v77 offset0:2 offset1:4
	ds_read_b64 v[18:19], v78 offset:24576
	s_mul_i32 s14, s14, s26
	s_add_i32 s15, s15, s14
	s_waitcnt lgkmcnt(1)
	v_mfma_f32_16x16x16_bf16 a[4:7], v[30:31], v[22:23], a[4:7]
	ds_read_b64 v[22:23], v79 offset:24576
	s_mul_i32 s14, s11, s26
	s_lshl_b64 s[14:15], s[14:15], 2
	s_waitcnt lgkmcnt(1)
	v_mfma_f32_16x16x16_bf16 a[0:3], v[18:19], v[20:21], a[0:3]
	s_add_u32 s14, s2, s14
	s_addc_u32 s15, s3, s15
	s_and_b64 vcc, exec, s[0:1]
	v_mfma_f32_16x16x16_bf16 a[4:7], v[18:19], v[24:25], a[4:7]
	v_mov_b32_e32 v102, 0
	v_mov_b32_e32 v101, 0
	;; [unrolled: 1-line block ×3, first 2 shown]
	s_waitcnt lgkmcnt(0)
	v_mfma_f32_16x16x16_bf16 a[0:3], v[22:23], v[28:29], a[0:3]
	v_mov_b32_e32 v18, 0
	v_mov_b32_e32 v19, 0
	;; [unrolled: 1-line block ×3, first 2 shown]
	v_mfma_f32_16x16x16_bf16 a[4:7], v[22:23], v[26:27], a[4:7]
	v_mov_b32_e32 v21, 0
	v_mov_b32_e32 v22, 0
	;; [unrolled: 1-line block ×13, first 2 shown]
	s_cbranch_vccnz .LBB310_12
; %bb.11:                               ;   in Loop: Header=BB310_6 Depth=1
	s_and_b32 s5, s5, 0xffff
	buffer_load_dwordx4 v[30:33], v13, s[4:7], 0 offen
	buffer_load_dwordx4 v[26:29], v13, s[4:7], s54 offen
	buffer_load_dwordx4 v[22:25], v17, s[4:7], 0 offen
	buffer_load_dwordx4 v[18:21], v17, s[4:7], s54 offen
	v_mov_b32_e32 v101, v64
	v_mov_b32_e32 v100, v65
.LBB310_12:                             ;   in Loop: Header=BB310_6 Depth=1
	ds_read_b64 v[38:39], v74 offset:32768
	ds_read2_b64 v[34:37], v80 offset1:16
	ds_read_b64 v[42:43], v76 offset:32768
	ds_read_b64 v[44:45], v78 offset:32768
	;; [unrolled: 1-line block ×3, first 2 shown]
	v_add_u32_e32 v103, s47, v91
	s_waitcnt lgkmcnt(3)
	v_mfma_f32_16x16x16_bf16 a[0:3], v[38:39], v[34:35], a[0:3]
	v_mfma_f32_16x16x16_bf16 a[4:7], v[38:39], v[36:37], a[4:7]
	ds_read2st64_b64 v[34:37], v80 offset0:2 offset1:4
	ds_read2st64_b64 v[38:41], v81 offset0:2 offset1:4
	s_waitcnt lgkmcnt(1)
	v_mfma_f32_16x16x16_bf16 a[0:3], v[42:43], v[34:35], a[0:3]
	ds_read_b64 v[34:35], v80 offset:3072
	ds_read_b64 v[48:49], v81 offset:3072
	s_waitcnt lgkmcnt(2)
	v_mfma_f32_16x16x16_bf16 a[4:7], v[42:43], v[38:39], a[4:7]
	v_ashrrev_i32_e32 v38, 31, v103
	v_mul_lo_u32 v39, v103, s27
	v_mul_lo_u32 v38, v38, s26
	v_mfma_f32_16x16x16_bf16 a[0:3], v[44:45], v[36:37], a[0:3]
	v_mad_u64_u32 v[36:37], s[4:5], v103, s26, 0
	v_add3_u32 v37, v37, v39, v38
	v_add_u32_e32 v38, 1, v103
	v_ashrrev_i32_e32 v39, 31, v38
	v_mfma_f32_16x16x16_bf16 a[4:7], v[44:45], v[40:41], a[4:7]
	v_mul_lo_u32 v39, v39, s26
	v_mul_lo_u32 v40, v38, s27
	v_lshl_add_u64 v[36:37], v[36:37], 2, s[2:3]
	s_waitcnt lgkmcnt(1)
	v_mfma_f32_16x16x16_bf16 a[0:3], v[46:47], v[34:35], a[0:3]
	v_mad_u64_u32 v[34:35], s[4:5], v38, s26, 0
	v_add_u32_e32 v38, 2, v103
	v_add3_u32 v35, v35, v40, v39
	v_ashrrev_i32_e32 v39, 31, v38
	v_mul_lo_u32 v40, v39, s26
	v_mul_lo_u32 v41, v38, s27
	v_mad_u64_u32 v[38:39], s[4:5], v38, s26, 0
	v_add3_u32 v39, v39, v41, v40
	v_add_u32_e32 v40, 3, v103
	v_ashrrev_i32_e32 v41, 31, v40
	v_mul_lo_u32 v42, v41, s26
	v_mul_lo_u32 v43, v40, s27
	v_mad_u64_u32 v[40:41], s[4:5], v40, s26, 0
	v_add3_u32 v41, v41, v43, v42
	v_lshl_add_u64 v[40:41], v[40:41], 2, s[2:3]
	s_ashr_i32 s5, s47, 31
	v_lshl_add_u64 v[34:35], v[34:35], 2, s[2:3]
	v_lshl_add_u64 v[38:39], v[38:39], 2, s[2:3]
	global_load_dword v42, v[36:37], off
	global_load_dword v43, v[34:35], off
	;; [unrolled: 1-line block ×3, first 2 shown]
	s_nop 0
	global_load_dword v41, v[40:41], off
	s_add_u32 s4, s58, s47
	s_addc_u32 s5, s57, s5
	s_lshl_b64 s[4:5], s[4:5], 8
	v_lshl_add_u64 v[34:35], v[52:53], 0, s[4:5]
	v_lshl_add_u64 v[34:35], v[34:35], 0, v[50:51]
	global_load_ushort v45, v[34:35], off
	global_load_ushort v103, v[34:35], off offset:256
	global_load_ushort v104, v[34:35], off offset:800
	;; [unrolled: 1-line block ×7, first 2 shown]
	s_load_dword s4, s[14:15], 0x0
	s_waitcnt lgkmcnt(0)
	v_mfma_f32_16x16x16_bf16 a[4:7], v[46:47], v[48:49], a[4:7]
	v_accvgpr_read_b32 v39, a1
	v_accvgpr_read_b32 v35, a3
	;; [unrolled: 1-line block ×4, first 2 shown]
	s_and_b64 vcc, exec, s[0:1]
	s_waitcnt vmcnt(11)
	v_sub_f32_e32 v40, s4, v42
	s_waitcnt vmcnt(10)
	v_sub_f32_e32 v48, s4, v43
	;; [unrolled: 2-line block ×4, first 2 shown]
	v_exp_f32_e32 v40, v40
	v_exp_f32_e32 v41, v48
	;; [unrolled: 1-line block ×4, first 2 shown]
	s_waitcnt vmcnt(6)
	v_lshlrev_b32_e32 v43, 16, v103
	v_lshlrev_b32_e32 v42, 16, v45
	s_waitcnt vmcnt(4)
	v_lshlrev_b32_e32 v45, 16, v105
	s_waitcnt vmcnt(2)
	v_lshlrev_b32_e32 v44, 16, v107
	v_pk_add_f32 v[38:39], v[42:43], v[38:39] neg_lo:[0,1] neg_hi:[0,1]
	v_pk_add_f32 v[34:35], v[44:45], v[34:35] neg_lo:[0,1] neg_hi:[0,1]
	v_pk_mul_f32 v[38:39], v[40:41], v[38:39]
	v_pk_mul_f32 v[34:35], v[48:49], v[34:35]
	s_waitcnt vmcnt(1)
	v_lshlrev_b32_e32 v47, 16, v108
	v_perm_b32 v35, v35, v34, s45
	v_perm_b32 v34, v39, v38, s45
	v_accvgpr_read_b32 v39, a5
	s_waitcnt vmcnt(0)
	v_lshlrev_b32_e32 v46, 16, v109
	v_accvgpr_read_b32 v38, a4
	v_pk_add_f32 v[38:39], v[46:47], v[38:39] neg_lo:[0,1] neg_hi:[0,1]
	v_accvgpr_read_b32 v37, a7
	v_accvgpr_read_b32 v36, a6
	v_pk_mul_f32 v[38:39], v[40:41], v[38:39]
	v_lshlrev_b32_e32 v41, 16, v104
	v_lshlrev_b32_e32 v40, 16, v106
	v_pk_add_f32 v[36:37], v[40:41], v[36:37] neg_lo:[0,1] neg_hi:[0,1]
	v_mov_b32_e32 v103, 0
	v_pk_mul_f32 v[36:37], v[48:49], v[36:37]
	v_mov_b32_e32 v40, 0
	v_perm_b32 v37, v37, v36, s45
	v_perm_b32 v36, v39, v38, s45
	ds_write2_b64 v67, v[34:35], v[36:37] offset1:16
	v_mov_b32_e32 v34, 0
	v_mov_b32_e32 v35, 0
	;; [unrolled: 1-line block ×15, first 2 shown]
	s_cbranch_vccnz .LBB310_14
; %bb.13:                               ;   in Loop: Header=BB310_6 Depth=1
	s_and_b32 s9, s9, 0xffff
	s_mov_b32 s11, s7
	buffer_load_dwordx4 v[46:49], v89, s[8:11], 0 offen
	buffer_load_dwordx4 v[38:41], v89, s[8:11], s54 offen
	;; [unrolled: 1-line block ×4, first 2 shown]
	v_mov_b32_e32 v102, v9
	v_mov_b32_e32 v103, v5
.LBB310_14:                             ;   in Loop: Header=BB310_6 Depth=1
	s_waitcnt lgkmcnt(0)
	s_barrier
	ds_read_b64 v[108:109], v92
	ds_read_b64 v[116:117], v85
	;; [unrolled: 1-line block ×5, first 2 shown]
	ds_read_b64 v[122:123], v86 offset:16384
	ds_read_b64 v[124:125], v84 offset:16384
	ds_read2_b64 v[104:107], v80 offset0:16 offset1:128
	s_waitcnt lgkmcnt(6)
	v_mfma_f32_16x16x16_bf16 a[0:3], v[108:109], v[116:117], 0
	ds_read_b64 v[126:127], v81 offset:3072
	ds_read_b64 v[128:129], v88 offset:16384
	s_add_i32 s5, s55, s61
	s_waitcnt lgkmcnt(2)
	v_mfma_f32_16x16x16_bf16 a[4:7], v[108:109], v[104:105], 0
	ds_read2st64_b64 v[108:111], v81 offset0:2 offset1:4
	s_mul_hi_i32 s9, s5, s33
	s_mul_i32 s5, s5, s33
	v_mfma_f32_16x16x16_bf16 a[0:3], v[112:113], v[106:107], a[0:3]
	s_add_u32 s8, s5, s49
	s_addc_u32 s9, s9, s36
	s_lshl_b64 s[8:9], s[8:9], 15
	s_waitcnt lgkmcnt(0)
	v_mfma_f32_16x16x16_bf16 a[4:7], v[112:113], v[108:109], a[4:7]
	ds_read2st64_b64 v[112:115], v80 offset0:4 offset1:6
	s_waitcnt lgkmcnt(0)
	v_mfma_f32_16x16x16_bf16 a[0:3], v[118:119], v[112:113], a[0:3]
	v_mfma_f32_16x16x16_bf16 a[8:11], v[118:119], v[110:111], a[4:7]
	;; [unrolled: 1-line block ×5, first 2 shown]
	ds_read2st64_b64 v[116:119], v83 offset1:8
	v_mfma_f32_16x16x16_bf16 a[12:15], v[124:125], v[104:105], 0
	ds_read_b64 v[124:125], v87 offset:16384
	v_mfma_f32_16x16x16_bf16 a[8:11], v[122:123], v[106:107], a[8:11]
	ds_read2st64_b64 v[104:107], v82 offset1:8
	s_waitcnt lgkmcnt(0)
	v_mov_b32_e32 v120, v104
	v_mfma_f32_16x16x16_bf16 a[12:15], v[122:123], v[108:109], a[12:15]
	v_lshl_add_u64 v[108:109], v[54:55], 0, s[8:9]
	v_add_co_u32_e32 v104, vcc, s13, v108
	v_mfma_f32_16x16x16_bf16 a[8:11], v[124:125], v[112:113], a[8:11]
	v_mov_b32_e32 v121, v105
	v_addc_co_u32_e32 v105, vcc, 0, v109, vcc
	v_mfma_f32_16x16x16_bf16 a[12:15], v[124:125], v[110:111], a[12:15]
	v_mov_b32_e32 v122, v116
	v_mov_b32_e32 v123, v117
	;; [unrolled: 1-line block ×3, first 2 shown]
	v_mfma_f32_16x16x16_bf16 a[8:11], v[128:129], v[114:115], a[8:11]
	v_mov_b32_e32 v117, v107
	s_and_b64 vcc, exec, s[0:1]
	global_store_dwordx4 v[108:109], v[120:123], off
	v_mfma_f32_16x16x16_bf16 a[12:15], v[128:129], v[126:127], a[12:15]
	global_store_dwordx4 v[104:105], v[116:119], off
	s_cbranch_vccnz .LBB310_16
; %bb.15:                               ;   in Loop: Header=BB310_6 Depth=1
	v_lshrrev_b32_e32 v104, 3, v102
	v_and_b32_e32 v104, 6, v104
	v_xor_b32_e32 v103, v104, v103
	v_lshlrev_b32_e32 v103, 2, v103
	v_and_b32_e32 v102, 8, v102
	v_xor_b32_e32 v105, 0x440, v103
	v_cmp_eq_u32_e32 vcc, 0, v102
	s_barrier
	s_nop 0
	v_cndmask_b32_e32 v102, v105, v103, vcc
	v_lshl_or_b32 v102, v104, 10, v102
	s_waitcnt vmcnt(3)
	v_perm_b32 v103, v46, v42, s59
	s_waitcnt vmcnt(2)
	v_perm_b32 v104, v38, v34, s59
	ds_write2st64_b32 v102, v103, v104 offset0:32 offset1:64
	v_xor_b32_e32 v103, 8, v102
	v_perm_b32 v42, v46, v42, s60
	v_perm_b32 v34, v38, v34, s60
	v_add_u32_e32 v38, 0x80, v103
	ds_write2st64_b32 v38, v42, v34 offset0:32 offset1:64
	v_xor_b32_e32 v34, 16, v102
	v_perm_b32 v38, v47, v43, s59
	v_perm_b32 v42, v39, v35, s59
	ds_write2st64_b32 v34, v38, v42 offset0:33 offset1:65
	v_xor_b32_e32 v34, 24, v102
	v_perm_b32 v38, v47, v43, s60
	v_perm_b32 v35, v39, v35, s60
	v_add_u32_e32 v34, 0x80, v34
	ds_write2st64_b32 v34, v38, v35 offset0:33 offset1:65
	v_xor_b32_e32 v34, 32, v102
	v_perm_b32 v35, v48, v44, s59
	v_perm_b32 v38, v40, v36, s59
	ds_write2st64_b32 v34, v35, v38 offset0:34 offset1:66
	v_xor_b32_e32 v34, 40, v102
	v_perm_b32 v35, v48, v44, s60
	v_perm_b32 v36, v40, v36, s60
	v_add_u32_e32 v34, 0x80, v34
	ds_write2st64_b32 v34, v35, v36 offset0:34 offset1:66
	v_xor_b32_e32 v34, 48, v102
	v_perm_b32 v35, v49, v45, s59
	v_perm_b32 v36, v41, v37, s59
	ds_write2st64_b32 v34, v35, v36 offset0:35 offset1:67
	v_xor_b32_e32 v34, 56, v102
	v_perm_b32 v35, v49, v45, s60
	v_perm_b32 v36, v41, v37, s60
	v_add_u32_e32 v34, 0x80, v34
	ds_write2st64_b32 v34, v35, v36 offset0:35 offset1:67
	ds_write_b64 v101, v[30:31] offset:24576
	v_xor_b32_e32 v30, 8, v101
	ds_write_b64 v30, v[32:33] offset:24576
	ds_write_b64 v101, v[26:27] offset:32768
	ds_write_b64 v30, v[28:29] offset:32768
	ds_write_b64 v100, v[22:23] offset:24576
	v_xor_b32_e32 v22, 8, v100
	ds_write_b64 v22, v[24:25] offset:24576
	ds_write_b64 v100, v[18:19] offset:32768
	;; [unrolled: 1-line block ×3, first 2 shown]
.LBB310_16:                             ;   in Loop: Header=BB310_6 Depth=1
	s_waitcnt vmcnt(2)
	v_exp_f32_e32 v34, s4
	v_accvgpr_read_b32 v33, a7
	v_accvgpr_read_b32 v25, a3
	;; [unrolled: 1-line block ×16, first 2 shown]
	s_add_i32 s47, s47, 64
	v_fma_f32 v2, v2, v34, v30
	v_fma_f32 v3, v3, v34, v31
	v_fma_f32 v4, v4, v34, v32
	v_fmac_f32_e32 v33, v97, v34
	v_fma_f32 v10, v10, v34, v22
	v_fma_f32 v11, v11, v34, v23
	v_fma_f32 v12, v12, v34, v24
	v_fmac_f32_e32 v25, v99, v34
	;; [unrolled: 4-line block ×3, first 2 shown]
	v_fma_f32 v14, v14, v34, v18
	v_fma_f32 v15, v15, v34, v19
	;; [unrolled: 1-line block ×3, first 2 shown]
	s_cmp_eq_u32 s53, s62
	v_fmac_f32_e32 v21, v98, v34
	s_cbranch_scc1 .LBB310_18
; %bb.17:                               ;   in Loop: Header=BB310_6 Depth=1
	s_mov_b32 s61, s62
	v_mov_b32_e32 v97, v33
	v_mov_b32_e32 v96, v29
	;; [unrolled: 1-line block ×4, first 2 shown]
	s_branch .LBB310_6
.LBB310_18:
	v_mov_b32_e32 v5, v33
	v_mov_b32_e32 v9, v29
	;; [unrolled: 1-line block ×4, first 2 shown]
.LBB310_19:
	s_lshl_b32 s2, s53, 6
	s_sub_i32 s54, s46, s2
	s_cmp_gt_i32 s54, 0
	v_or_b32_e32 v34, s44, v60
	s_cbranch_scc1 .LBB310_21
; %bb.20:
	s_ashr_i32 s9, s49, 31
	v_or_b32_e32 v18, s44, v60
	s_cbranch_execz .LBB310_22
	s_branch .LBB310_86
.LBB310_21:
                                        ; implicit-def: $vgpr18
                                        ; implicit-def: $sgpr8_sgpr9
.LBB310_22:
	s_add_i32 s8, s2, s40
	s_ashr_i32 s2, s8, 31
	s_cmpk_lg_i32 s31, 0x80
	s_cselect_b64 s[36:37], -1, 0
	s_and_b64 vcc, exec, s[36:37]
	s_cbranch_vccz .LBB310_24
; %bb.23:
	s_mul_i32 s1, s8, s30
	s_ashr_i32 s3, s56, 31
	s_mul_hi_i32 s0, s8, s30
	s_add_u32 s46, s1, s56
	s_addc_u32 s47, s0, s3
	s_cbranch_execz .LBB310_25
	s_branch .LBB310_26
.LBB310_24:
                                        ; implicit-def: $sgpr46_sgpr47
.LBB310_25:
	s_mul_i32 s1, s56, s28
	s_mul_hi_i32 s0, s56, s28
	s_add_u32 s46, s1, s8
	s_addc_u32 s47, s0, s2
.LBB310_26:
	s_add_i32 s3, s53, s55
	s_ashr_i32 s9, s49, 31
	s_add_u32 s0, s58, s8
	v_lshlrev_b32_e32 v22, 5, v1
	v_lshlrev_b32_e32 v40, 2, v60
	s_addc_u32 s1, s57, s2
	s_mov_b32 s2, 0x7060302
	v_or_b32_e32 v25, v22, v40
	v_xor_b32_e32 v23, v1, v40
	v_perm_b32 v19, v5, v4, s2
	v_perm_b32 v18, v3, v2, s2
	;; [unrolled: 1-line block ×4, first 2 shown]
	v_lshlrev_b32_e32 v25, 1, v25
	s_lshl_b64 s[10:11], s[0:1], 8
	v_xor_b32_e32 v24, v63, v40
	ds_write2st64_b64 v25, v[18:19], v[20:21] offset0:80 offset1:88
	v_lshlrev_b32_e32 v23, 1, v23
	v_lshlrev_b32_e32 v25, 8, v60
	s_add_u32 s0, s18, s10
	v_or_b32_e32 v26, v23, v25
	v_lshlrev_b32_e32 v24, 1, v24
	s_addc_u32 s1, s19, s11
	ds_write_b64 v26, v[18:19]
	v_or_b32_e32 v18, v24, v25
	v_or_b32_e32 v25, 16, v60
	s_mul_hi_i32 s4, s3, s29
	s_mul_i32 s3, s3, s29
	ds_write_b64 v18, v[20:21]
	v_perm_b32 v19, v13, v12, s2
	v_perm_b32 v18, v11, v10, s2
	;; [unrolled: 1-line block ×4, first 2 shown]
	v_lshlrev_b32_e32 v37, 2, v25
	s_add_u32 s2, s3, s49
	v_or_b32_e32 v22, v22, v37
	s_addc_u32 s3, s4, s9
	v_lshlrev_b32_e32 v22, 1, v22
	s_ashr_i32 s45, s44, 31
	s_lshl_b64 s[2:3], s[2:3], 15
	ds_write2st64_b64 v22, v[18:19], v[20:21] offset0:80 offset1:88
	v_lshlrev_b32_e32 v22, 8, v25
	s_add_u32 s4, s42, s2
	v_or_b32_e32 v23, v23, v22
	s_addc_u32 s5, s43, s3
	s_lshl_b64 s[2:3], s[44:45], 8
	ds_write_b64 v23, v[18:19]
	v_or_b32_e32 v18, v24, v22
	s_add_u32 s2, s4, s2
	ds_write_b64 v18, v[20:21]
	v_lshrrev_b32_e32 v18, 4, v0
	s_addc_u32 s3, s5, s3
	v_lshlrev_b32_e32 v19, 1, v60
	v_lshlrev_b32_e32 v26, 4, v60
	v_mov_b32_e32 v27, 0
	v_or_b32_e32 v20, 1, v19
	v_xor_b32_e32 v19, v18, v19
	v_lshl_add_u64 v[28:29], s[2:3], 0, v[26:27]
	v_lshlrev_b32_e32 v26, 8, v18
	v_xor_b32_e32 v22, v20, v18
	v_lshl_or_b32 v18, v19, 3, v26
	s_waitcnt lgkmcnt(0)
	s_barrier
	ds_read2st64_b64 v[18:21], v18 offset1:8
	v_lshl_or_b32 v22, v22, 3, v26
	ds_read2st64_b64 v[22:25], v22 offset1:8
	v_lshl_add_u64 v[30:31], v[28:29], 0, v[26:27]
	s_movk_i32 s2, 0x1000
	s_waitcnt lgkmcnt(1)
	v_mov_b32_e32 v26, v18
	v_add_co_u32_e32 v18, vcc, s2, v30
	s_cmp_lg_u32 s54, 64
	v_mov_b32_e32 v27, v19
	v_addc_co_u32_e32 v19, vcc, 0, v31, vcc
	s_cselect_b64 s[14:15], -1, 0
	v_lshl_or_b32 v35, v56, 3, v62
	s_waitcnt lgkmcnt(0)
	v_mov_b32_e32 v28, v22
	v_mov_b32_e32 v29, v23
	;; [unrolled: 1-line block ×4, first 2 shown]
	s_mov_b32 s4, 0
	v_or_b32_e32 v38, 32, v35
	v_and_b32_e32 v36, 56, v61
	s_and_b64 vcc, exec, s[14:15]
	global_store_dwordx4 v[30:31], v[26:29], off
	global_store_dwordx4 v[18:19], v[22:25], off
	s_cbranch_vccz .LBB310_32
; %bb.27:
	s_mov_b32 s6, s4
	s_mov_b32 s7, s4
	s_mov_b32 s5, s4
	v_mov_b64_e32 v[24:25], s[6:7]
	v_mov_b64_e32 v[22:23], s[4:5]
	;; [unrolled: 1-line block ×3, first 2 shown]
	v_cmp_gt_i32_e32 vcc, s54, v35
	v_mov_b64_e32 v[20:21], v[24:25]
	s_and_saveexec_b64 s[2:3], vcc
	s_cbranch_execz .LBB310_29
; %bb.28:
	v_lshlrev_b32_e32 v18, 8, v35
	v_mov_b32_e32 v19, 0
	v_lshl_add_u64 v[20:21], s[0:1], 0, v[18:19]
	v_lshlrev_b32_e32 v18, 1, v36
	v_lshl_add_u64 v[26:27], v[20:21], 0, v[18:19]
	global_load_dwordx4 v[22:25], v[26:27], off
	global_load_dwordx4 v[18:21], v[26:27], off offset:128
.LBB310_29:
	s_or_b64 exec, exec, s[2:3]
	s_mov_b32 s6, s4
	s_mov_b32 s7, s4
	;; [unrolled: 1-line block ×3, first 2 shown]
	v_mov_b64_e32 v[32:33], s[6:7]
	v_mov_b64_e32 v[30:31], s[4:5]
	;; [unrolled: 1-line block ×3, first 2 shown]
	v_cmp_gt_i32_e32 vcc, s54, v38
	v_lshlrev_b32_e32 v39, 7, v38
	v_mov_b64_e32 v[28:29], v[32:33]
	s_and_saveexec_b64 s[2:3], vcc
	s_cbranch_execz .LBB310_31
; %bb.30:
	v_lshlrev_b32_e32 v26, 1, v39
	v_mov_b32_e32 v27, 0
	v_lshl_add_u64 v[28:29], s[0:1], 0, v[26:27]
	v_lshlrev_b32_e32 v26, 1, v36
	v_lshl_add_u64 v[42:43], v[28:29], 0, v[26:27]
	global_load_dwordx4 v[30:33], v[42:43], off
	global_load_dwordx4 v[26:29], v[42:43], off offset:128
.LBB310_31:
	s_or_b64 exec, exec, s[2:3]
	v_lshrrev_b32_e32 v41, 3, v36
	v_lshlrev_b32_e32 v42, 3, v35
	v_or_b32_e32 v41, v42, v41
	v_lshlrev_b32_e32 v41, 4, v41
	v_and_b32_e32 v42, 0x78, v42
	v_xor_b32_e32 v41, v41, v42
	s_branch .LBB310_34
.LBB310_32:
                                        ; implicit-def: $vgpr41
                                        ; implicit-def: $vgpr39
                                        ; implicit-def: $vgpr22_vgpr23_vgpr24_vgpr25
                                        ; implicit-def: $vgpr18_vgpr19_vgpr20_vgpr21
                                        ; implicit-def: $vgpr30_vgpr31_vgpr32_vgpr33
                                        ; implicit-def: $vgpr26_vgpr27_vgpr28_vgpr29
	s_cbranch_execz .LBB310_34
; %bb.33:
	s_waitcnt vmcnt(0)
	v_lshlrev_b32_e32 v18, 1, v36
	v_lshl_or_b32 v39, v35, 8, v18
	s_and_b32 s1, s1, 0xffff
	s_mov_b32 s3, 0x20000
	s_movk_i32 s2, 0x4000
	v_lshl_or_b32 v41, v38, 8, v18
	s_movk_i32 s4, 0x80
	buffer_load_dwordx4 v[22:25], v39, s[0:3], 0 offen
	buffer_load_dwordx4 v[18:21], v39, s[0:3], s4 offen
	;; [unrolled: 1-line block ×4, first 2 shown]
	v_lshrrev_b32_e32 v39, 3, v36
	v_lshlrev_b32_e32 v41, 3, v35
	v_or_b32_e32 v39, v41, v39
	v_lshlrev_b32_e32 v39, 4, v39
	v_and_b32_e32 v41, 0x78, v41
	v_xor_b32_e32 v41, v39, v41
	v_lshlrev_b32_e32 v39, 7, v38
.LBB310_34:
	s_lshl_b64 s[0:1], s[46:47], 8
	s_add_u32 s4, s16, s0
	s_movk_i32 s0, 0x1000
	v_and_or_b32 v38, v39, s0, v41
	s_waitcnt vmcnt(1)
	ds_write_b64 v41, v[22:23] offset:24576
	v_xor_b32_e32 v22, 8, v41
	ds_write_b64 v22, v[24:25] offset:24576
	s_waitcnt vmcnt(0)
	ds_write_b64 v41, v[18:19] offset:32768
	ds_write_b64 v22, v[20:21] offset:32768
	;; [unrolled: 1-line block ×3, first 2 shown]
	v_xor_b32_e32 v18, 8, v38
	ds_write_b64 v18, v[32:33] offset:24576
	ds_write_b64 v38, v[26:27] offset:32768
	;; [unrolled: 1-line block ×3, first 2 shown]
	v_or_b32_e32 v18, v57, v60
	v_lshlrev_b32_e32 v18, 3, v18
	v_lshrrev_b32_e32 v19, 5, v58
	s_movk_i32 s7, 0xf8
	v_and_or_b32 v19, v18, s7, v19
	v_lshlrev_b32_e32 v23, 4, v19
	v_lshlrev_b32_e32 v41, 11, v56
	v_and_b32_e32 v24, 0x78, v18
	v_or_b32_e32 v26, 32, v23
	v_and_b32_e32 v22, 0x1000, v41
	v_lshrrev_b32_e32 v19, 1, v58
	v_xor_b32_e32 v26, v26, v24
	v_xor_b32_e32 v18, v23, v24
	v_and_b32_e32 v25, 8, v19
	v_or_b32_e32 v26, v26, v22
	v_or_b32_e32 v18, v18, v22
	v_xor_b32_e32 v45, v26, v25
	v_or_b32_e32 v26, 64, v23
	v_xor_b32_e32 v44, v18, v25
	v_xor_b32_e32 v26, v26, v24
	s_waitcnt lgkmcnt(0)
	s_barrier
	v_or_b32_e32 v28, v26, v22
	ds_read_b64 v[26:27], v44 offset:24576
	v_lshl_or_b32 v38, v59, 7, v40
	v_lshlrev_b32_e32 v42, 1, v38
	v_add_u32_e32 v18, 0xa000, v42
	ds_read2_b64 v[18:21], v18 offset1:16
	v_or_b32_e32 v23, 0x60, v23
	v_xor_b32_e32 v23, v23, v24
	s_waitcnt lgkmcnt(0)
	v_mfma_f32_16x16x16_bf16 a[0:3], v[26:27], v[18:19], 0
	v_or_b32_e32 v18, 64, v38
	v_or_b32_e32 v22, v23, v22
	v_lshlrev_b32_e32 v43, 1, v18
	v_xor_b32_e32 v46, v28, v25
	v_xor_b32_e32 v47, v22, v25
	ds_read_b64 v[28:29], v45 offset:24576
	ds_read_b64 v[30:31], v46 offset:24576
	ds_read_b64 v[32:33], v47 offset:24576
	v_mfma_f32_16x16x16_bf16 a[4:7], v[26:27], v[20:21], 0
	ds_read2st64_b64 v[18:21], v43 offset0:82 offset1:84
	ds_read2st64_b64 v[22:25], v42 offset0:82 offset1:84
	s_addc_u32 s5, s17, s1
	s_add_i32 s2, s41, -1
	s_add_i32 s0, s51, s50
	s_add_i32 s13, s0, s52
	s_mul_i32 s0, s49, s39
	s_mul_hi_u32 s1, s49, s38
	s_ashr_i32 s3, s2, 31
	s_mul_i32 s6, s2, s27
	s_mul_hi_u32 s7, s2, s26
	s_add_i32 s0, s1, s0
	s_mul_i32 s1, s9, s38
	s_add_i32 s6, s7, s6
	s_mul_i32 s3, s3, s26
	s_waitcnt lgkmcnt(1)
	v_mfma_f32_16x16x16_bf16 a[4:7], v[28:29], v[18:19], a[4:7]
	s_add_i32 s1, s0, s1
	s_add_i32 s3, s6, s3
	s_lshl_b64 s[6:7], s[12:13], 2
	s_waitcnt lgkmcnt(0)
	v_mfma_f32_16x16x16_bf16 a[0:3], v[28:29], v[22:23], a[0:3]
	s_mul_i32 s0, s49, s38
	s_add_u32 s6, s22, s6
	s_addc_u32 s7, s23, s7
	s_lshl_b64 s[0:1], s[0:1], 2
	s_mul_i32 s2, s2, s26
	s_add_u32 s12, s6, s0
	ds_read_b64 v[18:19], v42 offset:44032
	v_mfma_f32_16x16x16_bf16 a[4:7], v[30:31], v[20:21], a[4:7]
	ds_read_b64 v[20:21], v43 offset:44032
	s_addc_u32 s13, s7, s1
	s_lshl_b64 s[0:1], s[2:3], 2
	v_mfma_f32_16x16x16_bf16 a[0:3], v[30:31], v[24:25], a[0:3]
	s_add_u32 s0, s12, s0
	s_addc_u32 s1, s13, s1
	s_load_dword s16, s[0:1], 0x0
	s_waitcnt lgkmcnt(0)
	v_mfma_f32_16x16x16_bf16 a[0:3], v[32:33], v[18:19], a[0:3]
	s_and_b64 vcc, exec, s[36:37]
	v_mfma_f32_16x16x16_bf16 a[4:7], v[32:33], v[20:21], a[4:7]
	s_cbranch_vccz .LBB310_45
; %bb.35:
	v_lshlrev_b32_e32 v38, 1, v35
	s_and_b64 vcc, exec, s[14:15]
	s_cbranch_vccz .LBB310_46
; %bb.36:
	v_cmp_gt_i32_e32 vcc, s54, v38
	v_mov_b32_e32 v22, 0
	v_mov_b32_e32 v18, 0
	;; [unrolled: 1-line block ×5, first 2 shown]
	s_and_saveexec_b64 s[0:1], vcc
	s_cbranch_execz .LBB310_38
; %bb.37:
	v_mad_i64_i32 v[18:19], s[2:3], s31, v38, 0
	v_lshl_add_u64 v[18:19], v[18:19], 1, s[4:5]
	v_lshlrev_b32_e32 v20, 1, v36
	v_mov_b32_e32 v21, 0
	v_lshl_add_u64 v[18:19], v[18:19], 0, v[20:21]
	global_load_dwordx4 v[18:21], v[18:19], off
.LBB310_38:
	s_or_b64 exec, exec, s[0:1]
	v_or_b32_e32 v39, 1, v38
	v_cmp_gt_i32_e64 s[0:1], s54, v39
	v_mov_b32_e32 v23, 0
	v_mov_b32_e32 v24, 0
	;; [unrolled: 1-line block ×3, first 2 shown]
	s_and_saveexec_b64 s[2:3], s[0:1]
	s_cbranch_execz .LBB310_40
; %bb.39:
	v_mad_i64_i32 v[22:23], s[6:7], s31, v39, 0
	v_lshl_add_u64 v[22:23], v[22:23], 1, s[4:5]
	v_lshlrev_b32_e32 v24, 1, v36
	v_mov_b32_e32 v25, 0
	v_lshl_add_u64 v[22:23], v[22:23], 0, v[24:25]
	global_load_dwordx4 v[22:25], v[22:23], off
.LBB310_40:
	s_or_b64 exec, exec, s[2:3]
	v_mov_b32_e32 v33, 0
	v_mov_b32_e32 v26, 0
	;; [unrolled: 1-line block ×5, first 2 shown]
	s_and_saveexec_b64 s[2:3], vcc
	s_cbranch_execz .LBB310_42
; %bb.41:
	v_mad_i64_i32 v[26:27], s[6:7], s31, v38, 0
	v_lshl_add_u64 v[26:27], v[26:27], 1, s[4:5]
	v_lshlrev_b32_e32 v28, 1, v36
	v_mov_b32_e32 v29, 0
	v_lshl_add_u64 v[26:27], v[26:27], 0, v[28:29]
	global_load_dwordx4 v[26:29], v[26:27], off offset:128
.LBB310_42:
	s_or_b64 exec, exec, s[2:3]
	v_mov_b32_e32 v32, 0
	v_mov_b32_e32 v31, 0
	;; [unrolled: 1-line block ×3, first 2 shown]
	s_and_saveexec_b64 s[2:3], s[0:1]
	s_cbranch_execz .LBB310_44
; %bb.43:
	v_mad_i64_i32 v[30:31], s[0:1], s31, v39, 0
	v_lshl_add_u64 v[30:31], v[30:31], 1, s[4:5]
	v_lshlrev_b32_e32 v32, 1, v36
	v_mov_b32_e32 v33, 0
	v_lshl_add_u64 v[30:31], v[30:31], 0, v[32:33]
	global_load_dwordx4 v[30:33], v[30:31], off offset:128
.LBB310_44:
	s_or_b64 exec, exec, s[2:3]
	s_branch .LBB310_48
.LBB310_45:
                                        ; implicit-def: $vgpr21
                                        ; implicit-def: $vgpr25
                                        ; implicit-def: $vgpr29
                                        ; implicit-def: $vgpr33
	v_lshrrev_b32_e32 v48, 2, v58
	s_branch .LBB310_49
.LBB310_46:
                                        ; implicit-def: $vgpr21
                                        ; implicit-def: $vgpr25
                                        ; implicit-def: $vgpr29
                                        ; implicit-def: $vgpr33
	s_cbranch_execz .LBB310_48
; %bb.47:
	s_waitcnt vmcnt(0)
	v_mad_u64_u32 v[18:19], s[0:1], v38, s31, v[36:37]
	v_lshlrev_b32_e32 v38, 1, v18
	s_lshl_b32 s2, s31, 7
	s_and_b32 s1, s5, 0xffff
	s_mov_b32 s3, 0x20000
	s_mov_b32 s0, s4
	v_add_lshl_u32 v39, v18, s31, 1
	s_movk_i32 s6, 0x80
	buffer_load_dwordx4 v[18:21], v38, s[0:3], 0 offen
	buffer_load_dwordx4 v[26:29], v38, s[0:3], s6 offen
	;; [unrolled: 1-line block ×4, first 2 shown]
.LBB310_48:
	v_lshrrev_b32_e32 v48, 2, v58
	s_cbranch_execnz .LBB310_61
.LBB310_49:
	s_and_b64 vcc, exec, s[14:15]
	s_cbranch_vccz .LBB310_59
; %bb.50:
	s_waitcnt vmcnt(0)
	v_lshlrev_b32_e32 v23, 1, v35
	v_cmp_gt_i32_e32 vcc, s54, v23
	v_mov_b32_e32 v22, 0
	v_lshlrev_b32_e32 v30, 9, v35
	v_mov_b32_e32 v18, 0
	v_mov_b32_e32 v19, 0
	;; [unrolled: 1-line block ×4, first 2 shown]
	s_and_saveexec_b64 s[0:1], vcc
	s_cbranch_execz .LBB310_52
; %bb.51:
	v_mov_b32_e32 v31, 0
	v_lshl_add_u64 v[18:19], s[4:5], 0, v[30:31]
	v_lshlrev_b32_e32 v20, 1, v36
	v_mov_b32_e32 v21, v31
	v_lshl_add_u64 v[18:19], v[18:19], 0, v[20:21]
	global_load_dwordx4 v[18:21], v[18:19], off
.LBB310_52:
	s_or_b64 exec, exec, s[0:1]
	v_or_b32_e32 v23, 1, v23
	v_cmp_gt_i32_e64 s[0:1], s54, v23
	v_lshlrev_b32_e32 v38, 8, v23
	v_mov_b32_e32 v23, 0
	v_mov_b32_e32 v24, 0
	;; [unrolled: 1-line block ×3, first 2 shown]
	s_and_saveexec_b64 s[2:3], s[0:1]
	s_cbranch_execz .LBB310_54
; %bb.53:
	v_mov_b32_e32 v39, 0
	v_lshl_add_u64 v[22:23], s[4:5], 0, v[38:39]
	v_lshlrev_b32_e32 v24, 1, v36
	v_mov_b32_e32 v25, v39
	v_lshl_add_u64 v[22:23], v[22:23], 0, v[24:25]
	global_load_dwordx4 v[22:25], v[22:23], off
.LBB310_54:
	s_or_b64 exec, exec, s[2:3]
	v_mov_b32_e32 v33, 0
	v_mov_b32_e32 v26, 0
	v_mov_b32_e32 v27, 0
	v_mov_b32_e32 v28, 0
	v_mov_b32_e32 v29, 0
	s_and_saveexec_b64 s[2:3], vcc
	s_cbranch_execz .LBB310_56
; %bb.55:
	v_mov_b32_e32 v31, 0
	v_lshl_add_u64 v[26:27], s[4:5], 0, v[30:31]
	v_lshlrev_b32_e32 v30, 1, v36
	v_lshl_add_u64 v[26:27], v[26:27], 0, v[30:31]
	global_load_dwordx4 v[26:29], v[26:27], off offset:128
.LBB310_56:
	s_or_b64 exec, exec, s[2:3]
	v_mov_b32_e32 v32, 0
	v_mov_b32_e32 v31, 0
	;; [unrolled: 1-line block ×3, first 2 shown]
	s_and_saveexec_b64 s[2:3], s[0:1]
	s_cbranch_execz .LBB310_58
; %bb.57:
	v_mov_b32_e32 v39, 0
	v_lshl_add_u64 v[30:31], s[4:5], 0, v[38:39]
	v_lshlrev_b32_e32 v38, 1, v36
	v_lshl_add_u64 v[30:31], v[30:31], 0, v[38:39]
	global_load_dwordx4 v[30:33], v[30:31], off offset:128
.LBB310_58:
	s_or_b64 exec, exec, s[2:3]
	s_branch .LBB310_61
.LBB310_59:
                                        ; implicit-def: $vgpr21
                                        ; implicit-def: $vgpr25
                                        ; implicit-def: $vgpr29
                                        ; implicit-def: $vgpr33
	s_cbranch_execz .LBB310_61
; %bb.60:
	s_waitcnt vmcnt(0)
	v_lshlrev_b32_e32 v18, 1, v36
	v_lshl_or_b32 v36, v35, 9, v18
	s_and_b32 s5, s5, 0xffff
	s_mov_b32 s7, 0x20000
	s_movk_i32 s6, 0x4000
	s_movk_i32 s0, 0x80
	buffer_load_dwordx4 v[18:21], v36, s[4:7], 0 offen
	buffer_load_dwordx4 v[22:25], v36, s[4:7], 0 offen offset:256
	buffer_load_dwordx4 v[26:29], v36, s[4:7], s0 offen
	buffer_load_dwordx4 v[30:33], v36, s[4:7], s0 offen offset:256
.LBB310_61:
	ds_read_b64 v[38:39], v44 offset:32768
	v_add_u32_e32 v36, 0xb000, v42
	ds_read2_b64 v[50:53], v36 offset1:16
	ds_read_b64 v[54:55], v45 offset:32768
	ds_read_b64 v[58:59], v46 offset:32768
	;; [unrolled: 1-line block ×3, first 2 shown]
	v_and_b32_e32 v36, 6, v0
	v_xor_b32_e32 v35, v35, v36
	v_lshlrev_b32_e32 v35, 2, v35
	v_and_b32_e32 v49, 1, v0
	v_cmp_eq_u32_e32 vcc, 0, v49
	s_mov_b32 s0, 0x1000504
	s_waitcnt lgkmcnt(3)
	v_mfma_f32_16x16x16_bf16 a[0:3], v[38:39], v[50:51], a[0:3]
	s_mov_b32 s1, 0x3020706
	v_mfma_f32_16x16x16_bf16 a[4:7], v[38:39], v[52:53], a[4:7]
	ds_read2st64_b64 v[44:47], v42 offset0:90 offset1:92
	ds_read2st64_b64 v[50:53], v43 offset0:90 offset1:92
	s_waitcnt lgkmcnt(1)
	v_mfma_f32_16x16x16_bf16 a[0:3], v[54:55], v[44:45], a[0:3]
	ds_read_b64 v[38:39], v42 offset:48128
	ds_read_b64 v[44:45], v43 offset:48128
	s_waitcnt lgkmcnt(2)
	v_mfma_f32_16x16x16_bf16 a[4:7], v[54:55], v[50:51], a[4:7]
	v_mfma_f32_16x16x16_bf16 a[0:3], v[58:59], v[46:47], a[0:3]
	v_xor_b32_e32 v46, 0x440, v35
	v_cndmask_b32_e32 v35, v46, v35, vcc
	v_lshl_or_b32 v35, v36, 10, v35
	v_mfma_f32_16x16x16_bf16 a[8:11], v[58:59], v[52:53], a[4:7]
	s_waitcnt vmcnt(0)
	v_perm_b32 v36, v18, v22, s0
	v_perm_b32 v18, v18, v22, s1
	v_perm_b32 v22, v26, v30, s1
	s_waitcnt lgkmcnt(1)
	v_mfma_f32_16x16x16_bf16 a[4:7], v[60:61], v[38:39], a[0:3]
	v_perm_b32 v38, v26, v30, s0
	ds_write2st64_b32 v35, v36, v38 offset0:32 offset1:64
	v_xor_b32_e32 v36, 8, v35
	v_add_u32_e32 v26, 0x80, v36
	ds_write2st64_b32 v26, v18, v22 offset0:32 offset1:64
	v_xor_b32_e32 v18, 16, v35
	v_perm_b32 v22, v19, v23, s0
	v_perm_b32 v26, v27, v31, s0
	ds_write2st64_b32 v18, v22, v26 offset0:33 offset1:65
	v_xor_b32_e32 v18, 24, v35
	v_perm_b32 v19, v19, v23, s1
	v_perm_b32 v22, v27, v31, s1
	v_add_u32_e32 v18, 0x80, v18
	ds_write2st64_b32 v18, v19, v22 offset0:33 offset1:65
	v_xor_b32_e32 v18, 32, v35
	v_perm_b32 v19, v20, v24, s0
	v_perm_b32 v22, v28, v32, s0
	ds_write2st64_b32 v18, v19, v22 offset0:34 offset1:66
	v_xor_b32_e32 v18, 40, v35
	s_waitcnt lgkmcnt(5)
	v_mfma_f32_16x16x16_bf16 a[0:3], v[60:61], v[44:45], a[8:11]
	v_perm_b32 v19, v20, v24, s1
	v_perm_b32 v20, v28, v32, s1
	v_add_u32_e32 v18, 0x80, v18
	ds_write2st64_b32 v18, v19, v20 offset0:34 offset1:66
	v_xor_b32_e32 v18, 48, v35
	v_perm_b32 v19, v21, v25, s0
	v_perm_b32 v20, v29, v33, s0
	ds_write2st64_b32 v18, v19, v20 offset0:35 offset1:67
	v_xor_b32_e32 v18, 56, v35
	v_and_or_b32 v39, v48, 12, v57
	v_perm_b32 v19, v21, v25, s1
	v_perm_b32 v20, v29, v33, s1
	v_add_u32_e32 v18, 0x80, v18
	v_cmp_gt_i32_e32 vcc, s54, v39
	v_mov_b32_e32 v32, 0
	v_mov_b32_e32 v36, 0
	ds_write2st64_b32 v18, v19, v20 offset0:35 offset1:67
	s_and_saveexec_b64 s[0:1], vcc
	s_cbranch_execz .LBB310_63
; %bb.62:
	v_add_u32_e32 v18, s8, v39
	v_ashrrev_i32_e32 v19, 31, v18
	v_mul_lo_u32 v20, v19, s26
	v_mul_lo_u32 v21, v18, s27
	v_mad_u64_u32 v[18:19], s[2:3], v18, s26, 0
	v_add3_u32 v19, v19, v21, v20
	v_lshl_add_u64 v[18:19], v[18:19], 2, s[12:13]
	global_load_dword v18, v[18:19], off
	s_waitcnt vmcnt(0)
	v_sub_f32_e32 v18, s16, v18
	v_exp_f32_e32 v36, v18
.LBB310_63:
	s_or_b64 exec, exec, s[0:1]
	v_or_b32_e32 v26, 1, v39
	v_cmp_gt_i32_e64 s[0:1], s54, v26
	s_and_saveexec_b64 s[2:3], s[0:1]
	s_cbranch_execz .LBB310_65
; %bb.64:
	v_add_u32_e32 v18, s8, v26
	v_ashrrev_i32_e32 v19, 31, v18
	v_mul_lo_u32 v20, v19, s26
	v_mul_lo_u32 v21, v18, s27
	v_mad_u64_u32 v[18:19], s[4:5], v18, s26, 0
	v_add3_u32 v19, v19, v21, v20
	v_lshl_add_u64 v[18:19], v[18:19], 2, s[12:13]
	global_load_dword v18, v[18:19], off
	s_waitcnt vmcnt(0)
	v_sub_f32_e32 v18, s16, v18
	v_exp_f32_e32 v32, v18
.LBB310_65:
	s_or_b64 exec, exec, s[2:3]
	v_or_b32_e32 v27, 2, v39
	v_cmp_gt_i32_e64 s[2:3], s54, v27
	v_mov_b32_e32 v33, 0
	v_mov_b32_e32 v38, 0
	s_and_saveexec_b64 s[4:5], s[2:3]
	s_cbranch_execz .LBB310_67
; %bb.66:
	v_add_u32_e32 v18, s8, v27
	v_ashrrev_i32_e32 v19, 31, v18
	v_mul_lo_u32 v20, v19, s26
	v_mul_lo_u32 v21, v18, s27
	v_mad_u64_u32 v[18:19], s[6:7], v18, s26, 0
	v_add3_u32 v19, v19, v21, v20
	v_lshl_add_u64 v[18:19], v[18:19], 2, s[12:13]
	global_load_dword v18, v[18:19], off
	s_waitcnt vmcnt(0)
	v_sub_f32_e32 v18, s16, v18
	v_exp_f32_e32 v38, v18
.LBB310_67:
	s_or_b64 exec, exec, s[4:5]
	v_or_b32_e32 v44, 3, v39
	v_cmp_gt_i32_e64 s[4:5], s54, v44
	s_and_saveexec_b64 s[6:7], s[4:5]
	s_cbranch_execz .LBB310_69
; %bb.68:
	v_add_u32_e32 v18, s8, v44
	v_ashrrev_i32_e32 v19, 31, v18
	v_mul_lo_u32 v20, v19, s26
	v_mul_lo_u32 v21, v18, s27
	v_mad_u64_u32 v[18:19], s[14:15], v18, s26, 0
	v_add3_u32 v19, v19, v21, v20
	v_lshl_add_u64 v[18:19], v[18:19], 2, s[12:13]
	global_load_dword v18, v[18:19], off
	s_waitcnt vmcnt(0)
	v_sub_f32_e32 v18, s16, v18
	v_exp_f32_e32 v33, v18
.LBB310_69:
	s_or_b64 exec, exec, s[6:7]
	s_add_u32 s6, s20, s10
	v_accvgpr_read_b32 v21, a7
	s_addc_u32 s7, s21, s11
	v_ashrrev_i32_e32 v35, 31, v34
	v_accvgpr_read_b32 v20, a6
	v_accvgpr_read_b32 v19, a5
	;; [unrolled: 1-line block ×3, first 2 shown]
	v_lshl_add_u64 v[22:23], v[34:35], 1, s[6:7]
	v_mov_b32_e32 v29, 0
	v_lshlrev_b32_e32 v24, 8, v39
	v_mov_b32_e32 v25, 0
	s_and_saveexec_b64 s[6:7], vcc
	s_cbranch_execz .LBB310_71
; %bb.70:
	v_mov_b32_e32 v25, 0
	v_lshl_add_u64 v[30:31], v[22:23], 0, v[24:25]
	global_load_ushort v25, v[30:31], off
	s_waitcnt vmcnt(0)
	v_lshlrev_b32_e32 v25, 16, v25
	v_sub_f32_e32 v18, v25, v18
	v_mul_f32_e32 v18, v36, v18
	v_lshrrev_b32_e32 v25, 16, v18
.LBB310_71:
	s_or_b64 exec, exec, s[6:7]
	v_lshlrev_b32_e32 v28, 8, v26
	s_and_saveexec_b64 s[6:7], s[0:1]
	s_cbranch_execz .LBB310_73
; %bb.72:
	v_mov_b32_e32 v29, 0
	v_lshl_add_u64 v[30:31], v[22:23], 0, v[28:29]
	global_load_ushort v18, v[30:31], off
	s_waitcnt vmcnt(0)
	v_lshlrev_b32_e32 v18, 16, v18
	v_sub_f32_e32 v18, v18, v19
	v_mul_f32_e32 v18, v32, v18
	v_lshrrev_b32_e32 v29, 16, v18
.LBB310_73:
	s_or_b64 exec, exec, s[6:7]
	v_mov_b32_e32 v45, 0
	v_lshlrev_b32_e32 v30, 8, v27
	v_mov_b32_e32 v31, 0
	s_and_saveexec_b64 s[6:7], s[2:3]
	s_cbranch_execz .LBB310_75
; %bb.74:
	v_mov_b32_e32 v31, 0
	v_lshl_add_u64 v[18:19], v[22:23], 0, v[30:31]
	global_load_ushort v18, v[18:19], off
	s_waitcnt vmcnt(0)
	v_lshlrev_b32_e32 v18, 16, v18
	v_sub_f32_e32 v18, v18, v20
	v_mul_f32_e32 v18, v38, v18
	v_lshrrev_b32_e32 v31, 16, v18
.LBB310_75:
	s_or_b64 exec, exec, s[6:7]
	v_lshlrev_b32_e32 v26, 8, v44
	s_and_saveexec_b64 s[6:7], s[4:5]
	s_cbranch_execz .LBB310_77
; %bb.76:
	v_mov_b32_e32 v27, 0
	v_lshl_add_u64 v[18:19], v[22:23], 0, v[26:27]
	global_load_ushort v18, v[18:19], off
	s_waitcnt vmcnt(0)
	v_lshlrev_b32_e32 v18, 16, v18
	v_sub_f32_e32 v18, v18, v21
	v_mul_f32_e32 v18, v33, v18
	v_lshrrev_b32_e32 v45, 16, v18
.LBB310_77:
	s_or_b64 exec, exec, s[6:7]
	v_lshlrev_b32_e32 v35, 5, v39
	s_mov_b32 s6, 0x5040100
	v_perm_b32 v44, v29, v25, s6
	v_or_b32_e32 v25, v35, v40
	v_accvgpr_read_b32 v21, a3
	v_perm_b32 v45, v45, v31, s6
	v_lshlrev_b32_e32 v25, 1, v25
	v_accvgpr_read_b32 v20, a2
	v_accvgpr_read_b32 v19, a1
	;; [unrolled: 1-line block ×3, first 2 shown]
	ds_write_b64 v25, v[44:45] offset:45056
	v_mov_b32_e32 v29, 0
	v_mov_b32_e32 v25, 0
	s_and_saveexec_b64 s[6:7], vcc
	s_cbranch_execz .LBB310_79
; %bb.78:
	v_mov_b32_e32 v25, 0
	v_lshl_add_u64 v[24:25], v[22:23], 0, v[24:25]
	global_load_ushort v24, v[24:25], off offset:32
	s_waitcnt vmcnt(0)
	v_lshlrev_b32_e32 v24, 16, v24
	v_sub_f32_e32 v18, v24, v18
	v_mul_f32_e32 v18, v36, v18
	v_lshrrev_b32_e32 v25, 16, v18
.LBB310_79:
	s_or_b64 exec, exec, s[6:7]
	s_and_saveexec_b64 s[6:7], s[0:1]
	s_cbranch_execz .LBB310_81
; %bb.80:
	v_mov_b32_e32 v29, 0
	v_lshl_add_u64 v[28:29], v[22:23], 0, v[28:29]
	global_load_ushort v18, v[28:29], off offset:32
	s_waitcnt vmcnt(0)
	v_lshlrev_b32_e32 v18, 16, v18
	v_sub_f32_e32 v18, v18, v19
	v_mul_f32_e32 v18, v32, v18
	v_lshrrev_b32_e32 v29, 16, v18
.LBB310_81:
	s_or_b64 exec, exec, s[6:7]
	v_mov_b32_e32 v24, 0
	v_mov_b32_e32 v28, 0
	s_and_saveexec_b64 s[0:1], s[2:3]
	s_cbranch_execz .LBB310_83
; %bb.82:
	v_mov_b32_e32 v31, 0
	v_lshl_add_u64 v[18:19], v[22:23], 0, v[30:31]
	global_load_ushort v18, v[18:19], off offset:32
	s_waitcnt vmcnt(0)
	v_lshlrev_b32_e32 v18, 16, v18
	v_sub_f32_e32 v18, v18, v20
	v_mul_f32_e32 v18, v38, v18
	v_lshrrev_b32_e32 v28, 16, v18
.LBB310_83:
	s_or_b64 exec, exec, s[0:1]
	v_or_b32_e32 v19, 0xb000, v42
	v_or_b32_e32 v18, 0xb000, v43
	s_and_saveexec_b64 s[0:1], s[4:5]
	s_cbranch_execz .LBB310_85
; %bb.84:
	v_mov_b32_e32 v27, 0
	v_lshl_add_u64 v[22:23], v[22:23], 0, v[26:27]
	global_load_ushort v20, v[22:23], off offset:32
	s_waitcnt vmcnt(0)
	v_lshlrev_b32_e32 v20, 16, v20
	v_sub_f32_e32 v20, v20, v21
	v_mul_f32_e32 v20, v33, v20
	v_lshrrev_b32_e32 v24, 16, v20
.LBB310_85:
	s_or_b64 exec, exec, s[0:1]
	s_mov_b32 s0, 0x5040100
	v_or_b32_e32 v22, v35, v37
	v_perm_b32 v21, v24, v28, s0
	v_perm_b32 v20, v29, v25, s0
	v_lshlrev_b32_e32 v22, 1, v22
	s_movk_i32 s0, 0x100
	ds_write_b64 v22, v[20:21] offset:45056
	v_and_b32_e32 v20, 7, v0
	v_and_b32_e32 v21, 8, v0
	v_cmp_gt_u32_e32 vcc, s0, v0
	v_lshrrev_b32_e32 v0, 1, v0
	v_lshlrev_b32_e32 v35, 3, v20
	v_lshlrev_b32_e32 v36, 7, v20
	v_mov_b32_e32 v20, 0x4000
	v_mov_b32_e32 v22, 0x2000
	v_lshlrev_b32_e32 v38, 3, v56
	v_and_b32_e32 v0, 24, v0
	v_cndmask_b32_e32 v37, v20, v22, vcc
	v_xor_b32_e32 v20, v38, v0
	v_or_b32_e32 v26, 32, v0
	v_or_b32_e32 v22, 0x440, v20
	v_cmp_eq_u32_e32 vcc, 0, v21
	v_xor_b32_e32 v26, v38, v26
	v_or_b32_e32 v27, 0x440, v26
	v_cndmask_b32_e32 v20, v22, v20, vcc
	v_or_b32_e32 v20, v20, v41
	v_cndmask_b32_e32 v26, v27, v26, vcc
	v_xad_u32 v40, v20, v35, v36
	v_or_b32_e32 v26, v26, v41
	v_add_u32_e32 v20, v37, v40
	v_xad_u32 v42, v26, v35, v36
	s_waitcnt lgkmcnt(0)
	s_barrier
	ds_read_b64 v[24:25], v20
	ds_read2_b64 v[20:23], v19 offset1:16
	v_add_u32_e32 v26, v37, v42
	ds_read_b64 v[32:33], v26
	s_waitcnt lgkmcnt(1)
	v_mfma_f32_16x16x16_bf16 a[0:3], v[24:25], v[20:21], 0
	ds_read2st64_b64 v[28:31], v18 offset0:2 offset1:4
	v_mfma_f32_16x16x16_bf16 a[4:7], v[24:25], v[22:23], 0
	ds_read2st64_b64 v[24:27], v19 offset0:2 offset1:4
	s_waitcnt lgkmcnt(0)
	v_mfma_f32_16x16x16_bf16 a[0:3], v[32:33], v[24:25], a[0:3]
	v_mfma_f32_16x16x16_bf16 a[4:7], v[32:33], v[28:29], a[4:7]
	v_or_b32_e32 v32, 64, v0
	v_xor_b32_e32 v32, v38, v32
	v_xor_b32_e32 v33, 0x440, v32
	v_cndmask_b32_e32 v32, v33, v32, vcc
	v_or_b32_e32 v32, v32, v41
	v_xad_u32 v43, v32, v35, v36
	v_add_u32_e32 v32, v37, v43
	ds_read_b64 v[32:33], v32
	v_or_b32_e32 v0, 0x60, v0
	v_xor_b32_e32 v0, v38, v0
	v_xor_b32_e32 v38, 0x440, v0
	v_cndmask_b32_e32 v0, v38, v0, vcc
	v_or_b32_e32 v0, v0, v41
	v_xad_u32 v0, v0, v35, v36
	v_add_u32_e32 v35, v37, v0
	ds_read_b64 v[36:37], v35
	s_waitcnt lgkmcnt(1)
	v_mfma_f32_16x16x16_bf16 a[0:3], v[32:33], v[26:27], a[0:3]
	v_exp_f32_e32 v35, s16
	v_mfma_f32_16x16x16_bf16 a[4:7], v[32:33], v[30:31], a[4:7]
	ds_read_b64 v[32:33], v19 offset:3072
	ds_read_b64 v[38:39], v18 offset:3072
	;; [unrolled: 1-line block ×3, first 2 shown]
	s_waitcnt lgkmcnt(0)
	v_mfma_f32_16x16x16_bf16 a[8:11], v[18:19], v[20:21], 0
	ds_read_b64 v[20:21], v42 offset:16384
	v_mfma_f32_16x16x16_bf16 a[0:3], v[36:37], v[32:33], a[0:3]
	v_mfma_f32_16x16x16_bf16 a[12:15], v[18:19], v[22:23], 0
	ds_read_b64 v[22:23], v43 offset:16384
	s_nop 4
	v_accvgpr_read_b32 v18, a0
	v_fma_f32 v18, v2, v35, v18
	v_accvgpr_read_b32 v2, a1
	v_fma_f32 v19, v3, v35, v2
	v_accvgpr_read_b32 v2, a2
	s_waitcnt lgkmcnt(1)
	v_mfma_f32_16x16x16_bf16 a[8:11], v[20:21], v[24:25], a[8:11]
	v_mfma_f32_16x16x16_bf16 a[12:15], v[20:21], v[28:29], a[12:15]
	v_fma_f32 v20, v4, v35, v2
	ds_read_b64 v[2:3], v0 offset:16384
	v_accvgpr_read_b32 v21, a3
	s_waitcnt lgkmcnt(1)
	v_mfma_f32_16x16x16_bf16 a[0:3], v[22:23], v[26:27], a[8:11]
	v_fmac_f32_e32 v21, v5, v35
	v_mfma_f32_16x16x16_bf16 a[4:7], v[36:37], v[38:39], a[4:7]
	v_mfma_f32_16x16x16_bf16 a[8:11], v[22:23], v[30:31], a[12:15]
	s_waitcnt lgkmcnt(0)
	v_mfma_f32_16x16x16_bf16 a[0:3], v[2:3], v[32:33], a[0:3]
	s_nop 3
	v_accvgpr_read_b32 v0, a4
	v_fma_f32 v26, v10, v35, v0
	v_accvgpr_read_b32 v0, a5
	v_fma_f32 v27, v11, v35, v0
	v_accvgpr_read_b32 v0, a6
	v_accvgpr_read_b32 v29, a7
	v_mfma_f32_16x16x16_bf16 a[4:7], v[2:3], v[38:39], a[8:11]
	v_fma_f32 v28, v12, v35, v0
	v_accvgpr_read_b32 v0, a0
	v_fma_f32 v22, v6, v35, v0
	v_accvgpr_read_b32 v0, a1
	v_fma_f32 v23, v7, v35, v0
	v_accvgpr_read_b32 v0, a2
	v_fma_f32 v24, v8, v35, v0
	v_accvgpr_read_b32 v0, a4
	v_fma_f32 v30, v14, v35, v0
	v_accvgpr_read_b32 v0, a5
	v_accvgpr_read_b32 v25, a3
	v_fma_f32 v31, v15, v35, v0
	v_accvgpr_read_b32 v0, a6
	v_accvgpr_read_b32 v33, a7
	v_fmac_f32_e32 v29, v13, v35
	v_fmac_f32_e32 v25, v9, v35
	v_fma_f32 v32, v16, v35, v0
	v_fmac_f32_e32 v33, v17, v35
	v_mov_b64_e32 v[2:3], v[18:19]
	v_mov_b64_e32 v[4:5], v[20:21]
	;; [unrolled: 1-line block ×8, first 2 shown]
	v_mov_b32_e32 v18, v34
.LBB310_86:
	s_mul_i32 s0, s33, s35
	s_mul_hi_u32 s1, s33, s34
	s_add_i32 s0, s1, s0
	s_mul_i32 s1, s48, s34
	s_add_i32 s1, s0, s1
	s_mul_i32 s0, s33, s34
	s_add_u32 s0, s0, s49
	s_addc_u32 s1, s1, s9
	s_lshl_b64 s[0:1], s[0:1], 15
	s_add_u32 s0, s24, s0
	v_lshlrev_b32_e32 v18, 7, v18
	s_addc_u32 s1, s25, s1
	v_ashrrev_i32_e32 v19, 31, v18
	v_lshl_add_u64 v[20:21], v[18:19], 1, s[0:1]
	v_lshlrev_b32_e32 v0, 1, v1
	v_mov_b32_e32 v1, 0
	s_mov_b32 s2, 0x7060302
	v_lshl_add_u64 v[20:21], v[20:21], 0, v[0:1]
	v_perm_b32 v5, v5, v4, s2
	v_perm_b32 v4, v3, v2, s2
	;; [unrolled: 1-line block ×4, first 2 shown]
	global_store_dwordx2 v[20:21], v[2:3], off offset:128
	v_or_b32_e32 v2, 0x800, v18
	v_ashrrev_i32_e32 v3, 31, v2
	v_lshl_add_u64 v[2:3], v[2:3], 1, s[0:1]
	v_lshl_add_u64 v[0:1], v[2:3], 0, v[0:1]
	v_perm_b32 v3, v13, v12, s2
	v_perm_b32 v2, v11, v10, s2
	global_store_dwordx2 v[0:1], v[2:3], off
	v_perm_b32 v3, v17, v16, s2
	v_perm_b32 v2, v15, v14, s2
	global_store_dwordx2 v[20:21], v[4:5], off
	global_store_dwordx2 v[0:1], v[2:3], off offset:128
	s_endpgm
	.section	.rodata,"a",@progbits
	.p2align	6, 0x0
	.amdhsa_kernel _ZN12_GLOBAL__N_139chunk_gated_delta_rule_fwd_h_hip_kernelILi32ELb0ELb1ELb0ELb1ELb1ELb0ELb0ELb1EEEvPK12hip_bfloat16S3_S3_PKfS5_PKvPS1_S8_PvPKiSB_iiiiilll
		.amdhsa_group_segment_fixed_size 49152
		.amdhsa_private_segment_fixed_size 0
		.amdhsa_kernarg_size 136
		.amdhsa_user_sgpr_count 2
		.amdhsa_user_sgpr_dispatch_ptr 0
		.amdhsa_user_sgpr_queue_ptr 0
		.amdhsa_user_sgpr_kernarg_segment_ptr 1
		.amdhsa_user_sgpr_dispatch_id 0
		.amdhsa_user_sgpr_kernarg_preload_length 0
		.amdhsa_user_sgpr_kernarg_preload_offset 0
		.amdhsa_user_sgpr_private_segment_size 0
		.amdhsa_uses_dynamic_stack 0
		.amdhsa_enable_private_segment 0
		.amdhsa_system_sgpr_workgroup_id_x 1
		.amdhsa_system_sgpr_workgroup_id_y 1
		.amdhsa_system_sgpr_workgroup_id_z 0
		.amdhsa_system_sgpr_workgroup_info 0
		.amdhsa_system_vgpr_workitem_id 0
		.amdhsa_next_free_vgpr 148
		.amdhsa_next_free_sgpr 64
		.amdhsa_accum_offset 132
		.amdhsa_reserve_vcc 1
		.amdhsa_float_round_mode_32 0
		.amdhsa_float_round_mode_16_64 0
		.amdhsa_float_denorm_mode_32 3
		.amdhsa_float_denorm_mode_16_64 3
		.amdhsa_dx10_clamp 1
		.amdhsa_ieee_mode 1
		.amdhsa_fp16_overflow 0
		.amdhsa_tg_split 0
		.amdhsa_exception_fp_ieee_invalid_op 0
		.amdhsa_exception_fp_denorm_src 0
		.amdhsa_exception_fp_ieee_div_zero 0
		.amdhsa_exception_fp_ieee_overflow 0
		.amdhsa_exception_fp_ieee_underflow 0
		.amdhsa_exception_fp_ieee_inexact 0
		.amdhsa_exception_int_div_zero 0
	.end_amdhsa_kernel
	.section	.text._ZN12_GLOBAL__N_139chunk_gated_delta_rule_fwd_h_hip_kernelILi32ELb0ELb1ELb0ELb1ELb1ELb0ELb0ELb1EEEvPK12hip_bfloat16S3_S3_PKfS5_PKvPS1_S8_PvPKiSB_iiiiilll,"axG",@progbits,_ZN12_GLOBAL__N_139chunk_gated_delta_rule_fwd_h_hip_kernelILi32ELb0ELb1ELb0ELb1ELb1ELb0ELb0ELb1EEEvPK12hip_bfloat16S3_S3_PKfS5_PKvPS1_S8_PvPKiSB_iiiiilll,comdat
.Lfunc_end310:
	.size	_ZN12_GLOBAL__N_139chunk_gated_delta_rule_fwd_h_hip_kernelILi32ELb0ELb1ELb0ELb1ELb1ELb0ELb0ELb1EEEvPK12hip_bfloat16S3_S3_PKfS5_PKvPS1_S8_PvPKiSB_iiiiilll, .Lfunc_end310-_ZN12_GLOBAL__N_139chunk_gated_delta_rule_fwd_h_hip_kernelILi32ELb0ELb1ELb0ELb1ELb1ELb0ELb0ELb1EEEvPK12hip_bfloat16S3_S3_PKfS5_PKvPS1_S8_PvPKiSB_iiiiilll
                                        ; -- End function
	.section	.AMDGPU.csdata,"",@progbits
; Kernel info:
; codeLenInByte = 9332
; NumSgprs: 70
; NumVgprs: 130
; NumAgprs: 16
; TotalNumVgprs: 148
; ScratchSize: 0
; MemoryBound: 0
; FloatMode: 240
; IeeeMode: 1
; LDSByteSize: 49152 bytes/workgroup (compile time only)
; SGPRBlocks: 8
; VGPRBlocks: 18
; NumSGPRsForWavesPerEU: 70
; NumVGPRsForWavesPerEU: 148
; AccumOffset: 132
; Occupancy: 1
; WaveLimiterHint : 1
; COMPUTE_PGM_RSRC2:SCRATCH_EN: 0
; COMPUTE_PGM_RSRC2:USER_SGPR: 2
; COMPUTE_PGM_RSRC2:TRAP_HANDLER: 0
; COMPUTE_PGM_RSRC2:TGID_X_EN: 1
; COMPUTE_PGM_RSRC2:TGID_Y_EN: 1
; COMPUTE_PGM_RSRC2:TGID_Z_EN: 0
; COMPUTE_PGM_RSRC2:TIDIG_COMP_CNT: 0
; COMPUTE_PGM_RSRC3_GFX90A:ACCUM_OFFSET: 32
; COMPUTE_PGM_RSRC3_GFX90A:TG_SPLIT: 0
	.section	.text._ZN12_GLOBAL__N_139chunk_gated_delta_rule_fwd_h_hip_kernelILi32ELb0ELb0ELb1ELb1ELb1ELb0ELb0ELb1EEEvPK12hip_bfloat16S3_S3_PKfS5_PKvPS1_S8_PvPKiSB_iiiiilll,"axG",@progbits,_ZN12_GLOBAL__N_139chunk_gated_delta_rule_fwd_h_hip_kernelILi32ELb0ELb0ELb1ELb1ELb1ELb0ELb0ELb1EEEvPK12hip_bfloat16S3_S3_PKfS5_PKvPS1_S8_PvPKiSB_iiiiilll,comdat
	.globl	_ZN12_GLOBAL__N_139chunk_gated_delta_rule_fwd_h_hip_kernelILi32ELb0ELb0ELb1ELb1ELb1ELb0ELb0ELb1EEEvPK12hip_bfloat16S3_S3_PKfS5_PKvPS1_S8_PvPKiSB_iiiiilll ; -- Begin function _ZN12_GLOBAL__N_139chunk_gated_delta_rule_fwd_h_hip_kernelILi32ELb0ELb0ELb1ELb1ELb1ELb0ELb0ELb1EEEvPK12hip_bfloat16S3_S3_PKfS5_PKvPS1_S8_PvPKiSB_iiiiilll
	.p2align	8
	.type	_ZN12_GLOBAL__N_139chunk_gated_delta_rule_fwd_h_hip_kernelILi32ELb0ELb0ELb1ELb1ELb1ELb0ELb0ELb1EEEvPK12hip_bfloat16S3_S3_PKfS5_PKvPS1_S8_PvPKiSB_iiiiilll,@function
_ZN12_GLOBAL__N_139chunk_gated_delta_rule_fwd_h_hip_kernelILi32ELb0ELb0ELb1ELb1ELb1ELb0ELb0ELb1EEEvPK12hip_bfloat16S3_S3_PKfS5_PKvPS1_S8_PvPKiSB_iiiiilll: ; @_ZN12_GLOBAL__N_139chunk_gated_delta_rule_fwd_h_hip_kernelILi32ELb0ELb0ELb1ELb1ELb1ELb0ELb0ELb1EEEvPK12hip_bfloat16S3_S3_PKfS5_PKvPS1_S8_PvPKiSB_iiiiilll
; %bb.0:
	s_load_dwordx4 s[16:19], s[0:1], 0x5c
	s_load_dwordx4 s[20:23], s[0:1], 0x70
	s_abs_i32 s25, s3
	s_ashr_i32 s24, s3, 31
	s_load_dwordx4 s[12:15], s[0:1], 0x30
	s_load_dwordx4 s[28:31], s[0:1], 0x48
	s_waitcnt lgkmcnt(0)
	s_abs_i32 s34, s17
	v_cvt_f32_u32_e32 v1, s34
	s_sub_i32 s26, 0, s34
	s_ashr_i32 s35, s17, 31
	s_xor_b32 s24, s24, s35
	v_rcp_iflag_f32_e32 v1, v1
	s_load_dwordx8 s[4:11], s[0:1], 0x0
	v_lshrrev_b32_e32 v44, 6, v0
	v_bfe_u32 v45, v0, 4, 2
	v_mul_f32_e32 v1, 0x4f7ffffe, v1
	v_cvt_u32_f32_e32 v1, v1
	v_lshlrev_b32_e32 v2, 2, v45
	v_and_b32_e32 v43, 63, v0
	v_and_b32_e32 v42, 15, v0
	v_readfirstlane_b32 s27, v1
	s_mul_i32 s26, s26, s27
	s_mul_hi_u32 s26, s27, s26
	s_add_i32 s27, s27, s26
	s_mul_hi_u32 s26, s25, s27
	s_mul_i32 s27, s26, s34
	s_sub_i32 s25, s25, s27
	s_add_i32 s33, s26, 1
	s_sub_i32 s27, s25, s34
	s_cmp_ge_u32 s25, s34
	s_cselect_b32 s26, s33, s26
	s_cselect_b32 s25, s27, s25
	s_add_i32 s27, s26, 1
	s_cmp_ge_u32 s25, s34
	s_cselect_b32 s25, s27, s26
	s_xor_b32 s25, s25, s24
	s_sub_i32 s24, s25, s24
	s_mul_i32 s25, s24, s17
	s_sub_i32 s33, s3, s25
	s_ashr_i32 s25, s24, 31
	s_lshl_b64 s[26:27], s[24:25], 2
	s_add_u32 s28, s28, s26
	s_addc_u32 s29, s29, s27
	s_add_u32 s26, s30, s26
	s_addc_u32 s27, s31, s27
	s_abs_i32 s3, s18
	v_cvt_f32_u32_e32 v1, s3
	s_load_dwordx2 s[38:39], s[28:29], 0x0
	s_sub_i32 s29, 0, s3
	s_load_dword s46, s[26:27], 0x0
	v_rcp_iflag_f32_e32 v1, v1
	v_mov_b32_e32 v3, 0
	s_waitcnt lgkmcnt(0)
	s_sub_i32 s47, s39, s38
	s_ashr_i32 s28, s47, 31
	v_mul_f32_e32 v1, 0x4f7ffffe, v1
	v_cvt_u32_f32_e32 v1, v1
	s_lshr_b32 s28, s28, 26
	s_add_i32 s28, s47, s28
	s_ashr_i32 s45, s28, 6
	v_readfirstlane_b32 s30, v1
	s_mul_i32 s29, s29, s30
	s_mul_hi_u32 s29, s30, s29
	s_add_i32 s30, s30, s29
	s_mul_hi_u32 s29, s34, s30
	s_mul_i32 s30, s29, s3
	s_ashr_i32 s28, s18, 31
	s_sub_i32 s30, s34, s30
	s_xor_b32 s28, s35, s28
	s_add_i32 s31, s29, 1
	s_sub_i32 s34, s30, s3
	s_cmp_ge_u32 s30, s3
	s_cselect_b32 s29, s31, s29
	s_cselect_b32 s30, s34, s30
	s_add_i32 s31, s29, 1
	s_cmp_ge_u32 s30, s3
	s_cselect_b32 s3, s31, s29
	s_xor_b32 s3, s3, s28
	s_sub_i32 s3, s3, s28
	s_abs_i32 s28, s3
	v_cvt_f32_u32_e32 v1, s28
	s_load_dwordx2 s[34:35], s[0:1], 0x80
	s_xor_b32 s0, s33, s3
	s_sub_i32 s3, 0, s28
	v_rcp_iflag_f32_e32 v1, v1
	s_abs_i32 s1, s33
	s_ashr_i32 s0, s0, 31
	s_mul_hi_i32 s48, s33, s16
	v_mul_f32_e32 v1, 0x4f7ffffe, v1
	v_cvt_u32_f32_e32 v1, v1
	s_mul_i32 s49, s33, s16
	v_lshrrev_b32_e32 v47, 3, v43
	v_lshlrev_b32_e32 v46, 3, v0
	v_readfirstlane_b32 s26, v1
	s_mul_i32 s3, s3, s26
	s_mul_hi_u32 s3, s26, s3
	s_add_i32 s26, s26, s3
	s_mul_hi_u32 s3, s1, s26
	s_mul_i32 s26, s3, s28
	s_sub_i32 s1, s1, s26
	s_add_i32 s26, s3, 1
	s_sub_i32 s27, s1, s28
	s_cmp_ge_u32 s1, s28
	s_cselect_b32 s3, s26, s3
	s_cselect_b32 s1, s27, s1
	s_add_i32 s26, s3, 1
	s_cmp_ge_u32 s1, s28
	s_cselect_b32 s1, s26, s3
	s_xor_b32 s1, s1, s0
	v_lshlrev_b32_e32 v1, 4, v44
	s_sub_i32 s50, s1, s0
	v_or_b32_e32 v48, v2, v1
	s_lshl_b32 s36, s2, 5
	v_or_b32_e32 v49, 64, v48
	s_cmp_lt_i32 s47, 64
	s_mul_i32 s42, s24, s21
	s_mul_hi_u32 s43, s24, s20
	s_mul_i32 s44, s25, s20
	s_mul_i32 s20, s24, s20
	v_mov_b32_e32 v66, 0
	v_mov_b32_e32 v64, 0
	;; [unrolled: 1-line block ×15, first 2 shown]
	s_cbranch_scc1 .LBB311_18
; %bb.1:
	s_ashr_i32 s53, s33, 31
	s_ashr_i32 s1, s38, 31
	s_add_u32 s0, s49, s38
	s_addc_u32 s1, s48, s1
	s_lshl_b64 s[0:1], s[0:1], 8
	v_and_b32_e32 v51, 56, v46
	s_add_u32 s0, s6, s0
	v_lshl_or_b32 v50, v44, 3, v47
	v_lshlrev_b32_e32 v3, 1, v51
	s_addc_u32 s1, s7, s1
	v_lshl_or_b32 v52, v50, 8, v3
	s_and_b32 s1, s1, 0xffff
	s_mov_b32 s3, 0x20000
	s_movk_i32 s2, 0x4000
	s_movk_i32 s21, 0x80
	v_or_b32_e32 v53, 0x2000, v52
	buffer_load_dwordx4 v[4:7], v52, s[0:3], 0 offen
	buffer_load_dwordx4 v[8:11], v52, s[0:3], s21 offen
	;; [unrolled: 1-line block ×4, first 2 shown]
	v_lshlrev_b32_e32 v20, 3, v50
	v_and_or_b32 v22, v0, 7, v20
	v_and_b32_e32 v20, 0x78, v20
	v_lshlrev_b32_e32 v22, 4, v22
	v_xor_b32_e32 v54, v22, v20
	v_mul_lo_u32 v21, v50, s19
	v_or_b32_e32 v55, 0x1000, v54
	s_cmpk_eq_i32 s19, 0x80
	s_mov_b32 s51, s17
	s_mov_b32 s52, s38
	v_xor_b32_e32 v20, 8, v54
	v_xor_b32_e32 v22, 8, v55
	s_cselect_b64 s[0:1], -1, 0
	s_cmpk_lg_i32 s19, 0x80
	s_waitcnt vmcnt(3)
	ds_write_b64 v54, v[4:5] offset:24576
	ds_write_b64 v20, v[6:7] offset:24576
	s_waitcnt vmcnt(2)
	ds_write_b64 v54, v[8:9] offset:32768
	ds_write_b64 v20, v[10:11] offset:32768
	;; [unrolled: 3-line block ×4, first 2 shown]
	v_lshl_add_u32 v4, v21, 1, v51
	s_cbranch_scc0 .LBB311_3
; %bb.2:
	v_lshlrev_b32_e32 v6, 1, v4
	v_add_lshl_u32 v5, v4, s19, 1
	s_lshl_b32 s26, s19, 7
	v_lshl_or_b32 v3, v50, 9, v3
	s_cbranch_execz .LBB311_4
	s_branch .LBB311_5
.LBB311_3:
                                        ; implicit-def: $vgpr5
                                        ; implicit-def: $vgpr6
                                        ; implicit-def: $sgpr26
	v_lshl_or_b32 v3, v50, 9, v3
.LBB311_4:
	v_or_b32_e32 v5, 0x100, v3
	s_movk_i32 s26, 0x4000
	v_mov_b32_e32 v6, v3
.LBB311_5:
	s_mul_i32 s2, s38, s18
	s_ashr_i32 s54, s50, 31
	s_mul_hi_i32 s3, s38, s18
	s_add_u32 s2, s2, s50
	s_addc_u32 s3, s3, s54
	s_lshl_b64 s[2:3], s[2:3], 8
	s_add_u32 s24, s4, s2
	s_addc_u32 s2, s5, s3
	s_and_b32 s25, s2, 0xffff
	s_mov_b32 s27, 0x20000
	s_movk_i32 s55, 0x80
	buffer_load_dwordx4 v[8:11], v6, s[24:27], 0 offen
	buffer_load_dwordx4 v[12:15], v6, s[24:27], s55 offen
	;; [unrolled: 1-line block ×4, first 2 shown]
	v_and_b32_e32 v5, 6, v0
	v_lshlrev_b32_e32 v24, 6, v48
	v_or_b32_e32 v26, 16, v42
	v_xor_b32_e32 v27, v50, v5
	v_and_b32_e32 v6, 1, v0
	s_mul_i32 s2, s33, s23
	s_mul_hi_u32 s3, s33, s22
	v_lshl_or_b32 v30, v42, 3, v24
	v_lshl_or_b32 v24, v26, 3, v24
	v_lshlrev_b32_e32 v27, 2, v27
	s_add_i32 s21, s43, s42
	v_lshlrev_b32_e32 v7, 2, v42
	s_mul_i32 s24, s53, s22
	v_or_b32_e32 v58, 0xa000, v24
	v_or_b32_e32 v59, 0xb000, v24
	v_xor_b32_e32 v24, 0x440, v27
	v_cmp_eq_u32_e32 vcc, 0, v6
	s_add_i32 s2, s3, s2
	s_add_i32 s21, s21, s44
	v_xor_b32_e32 v28, v48, v7
	v_xor_b32_e32 v29, v49, v7
	v_cndmask_b32_e32 v6, v24, v27, vcc
	s_add_i32 s3, s2, s24
	s_lshl_b64 s[24:25], s[20:21], 2
	s_mov_b32 s56, 0x1000504
	v_lshlrev_b32_e32 v25, 8, v42
	v_lshlrev_b32_e32 v26, 8, v26
	;; [unrolled: 1-line block ×4, first 2 shown]
	v_lshl_or_b32 v5, v5, 10, v6
	s_mul_i32 s2, s33, s22
	s_add_u32 s21, s10, s24
	s_mov_b32 s57, 0x3020706
	v_or_b32_e32 v56, 0xa000, v30
	v_or_b32_e32 v57, 0xb000, v30
	;; [unrolled: 1-line block ×5, first 2 shown]
	v_xor_b32_e32 v6, 8, v5
	v_xor_b32_e32 v25, 24, v5
	;; [unrolled: 1-line block ×4, first 2 shown]
	s_addc_u32 s24, s11, s25
	s_lshl_b64 s[2:3], s[2:3], 2
	v_or_b32_e32 v62, v26, v28
	v_xor_b32_e32 v24, 16, v5
	v_xor_b32_e32 v26, 32, v5
	;; [unrolled: 1-line block ×3, first 2 shown]
	v_add_u32_e32 v6, 0x80, v6
	v_add_u32_e32 v25, 0x80, v25
	;; [unrolled: 1-line block ×4, first 2 shown]
	s_add_u32 s2, s21, s2
	s_addc_u32 s3, s24, s3
	s_movk_i32 s24, 0xf8
	s_ashr_i32 s37, s36, 31
	s_lshl_b32 s30, s19, 7
	s_movk_i32 s28, 0x100
	v_mov_b32_e32 v35, 0
	v_lshlrev_b32_e32 v34, 4, v42
	v_cmp_gt_u32_e32 vcc, s28, v0
	s_mov_b32 s58, 0
	s_movk_i32 s21, 0x1000
	s_movk_i32 s26, 0x4000
	v_add_u32_e32 v93, v1, v2
	v_mov_b32_e32 v76, v35
	v_mov_b32_e32 v75, v35
	;; [unrolled: 1-line block ×13, first 2 shown]
	s_waitcnt vmcnt(1)
	v_perm_b32 v30, v8, v16, s56
	s_waitcnt vmcnt(0)
	v_perm_b32 v31, v12, v20, s56
	v_perm_b32 v8, v8, v16, s57
	;; [unrolled: 1-line block ×15, first 2 shown]
	ds_write2st64_b32 v5, v30, v31 offset0:32 offset1:64
	ds_write2st64_b32 v6, v8, v12 offset0:32 offset1:64
	;; [unrolled: 1-line block ×8, first 2 shown]
	v_or_b32_e32 v5, v1, v42
	v_lshlrev_b32_e32 v5, 3, v5
	v_lshrrev_b32_e32 v8, 5, v43
	v_and_or_b32 v8, v5, s24, v8
	v_lshlrev_b32_e32 v8, 4, v8
	v_lshlrev_b32_e32 v9, 11, v44
	v_and_b32_e32 v5, 0x78, v5
	v_or_b32_e32 v13, 32, v8
	v_and_b32_e32 v6, 0x1000, v9
	v_lshrrev_b32_e32 v11, 1, v0
	v_xor_b32_e32 v13, v13, v5
	v_and_b32_e32 v12, 8, v11
	v_or_b32_e32 v13, v13, v6
	v_xor_b32_e32 v10, v8, v5
	v_xor_b32_e32 v78, v13, v12
	v_or_b32_e32 v13, 64, v8
	v_or_b32_e32 v8, 0x60, v8
	v_xor_b32_e32 v13, v13, v5
	v_xor_b32_e32 v5, v8, v5
	v_or_b32_e32 v10, v10, v6
	v_or_b32_e32 v13, v13, v6
	;; [unrolled: 1-line block ×3, first 2 shown]
	s_lshl_b64 s[24:25], s[36:37], 8
	v_xor_b32_e32 v70, v10, v12
	v_xor_b32_e32 v80, v13, v12
	;; [unrolled: 1-line block ×3, first 2 shown]
	v_lshlrev_b32_e32 v12, 1, v4
	v_add_lshl_u32 v13, v4, s19, 1
	s_add_u32 s24, s12, s24
	v_lshlrev_b32_e32 v4, 1, v42
	v_lshrrev_b32_e32 v15, 4, v0
	s_addc_u32 s25, s13, s25
	v_or_b32_e32 v5, 1, v4
	v_mov_b32_e32 v19, 0x4000
	v_mov_b32_e32 v20, 0x2000
	v_xor_b32_e32 v16, v15, v4
	v_xor_b32_e32 v17, v5, v15
	v_lshl_add_u64 v[4:5], s[24:25], 0, v[34:35]
	v_lshlrev_b32_e32 v34, 8, v15
	v_cndmask_b32_e32 v19, v19, v20, vcc
	v_lshlrev_b32_e32 v20, 3, v44
	v_and_b32_e32 v11, 24, v11
	v_lshl_or_b32 v84, v16, 3, v34
	v_and_b32_e32 v16, 8, v0
	v_xor_b32_e32 v21, v20, v11
	v_or_b32_e32 v22, 0x440, v21
	v_cmp_eq_u32_e32 vcc, 0, v16
	v_and_b32_e32 v15, 7, v0
	v_lshlrev_b32_e32 v10, 7, v45
	v_cndmask_b32_e32 v16, v22, v21, vcc
	v_lshl_or_b32 v85, v17, 3, v34
	v_lshlrev_b32_e32 v17, 3, v15
	v_lshlrev_b32_e32 v15, 7, v15
	;; [unrolled: 1-line block ×3, first 2 shown]
	v_or_b32_e32 v16, v16, v9
	v_or_b32_e32 v7, v10, v7
	v_xad_u32 v86, v16, v17, v15
	v_and_or_b32 v10, v18, 60, v10
	v_mov_b32_e32 v16, 0xb000
	v_lshl_or_b32 v87, v10, 1, v16
	v_or_b32_e32 v10, 32, v11
	v_xor_b32_e32 v10, v20, v10
	v_or_b32_e32 v16, 0x440, v10
	v_cndmask_b32_e32 v10, v16, v10, vcc
	v_or_b32_e32 v10, v10, v9
	v_xad_u32 v88, v10, v17, v15
	v_or_b32_e32 v10, 64, v11
	v_xor_b32_e32 v10, v20, v10
	v_xor_b32_e32 v16, 0x440, v10
	v_cndmask_b32_e32 v10, v16, v10, vcc
	v_or_b32_e32 v10, v10, v9
	v_xad_u32 v89, v10, v17, v15
	v_or_b32_e32 v10, 0x60, v11
	v_xor_b32_e32 v10, v20, v10
	v_xor_b32_e32 v11, 0x440, v10
	v_lshlrev_b32_e32 v7, 1, v7
	v_or_b32_e32 v6, s36, v42
	v_cndmask_b32_e32 v10, v11, v10, vcc
	v_or_b32_e32 v74, 0xa000, v7
	v_or_b32_e32 v79, 0xa080, v7
	v_or_b32_e32 v82, 0xb000, v7
	v_or_b32_e32 v83, 0xb080, v7
	v_ashrrev_i32_e32 v7, 31, v6
	v_or_b32_e32 v9, v10, v9
	v_lshlrev_b32_e32 v8, 7, v48
	v_or_b32_e32 v14, 0x100, v3
	v_xad_u32 v90, v9, v17, v15
	v_lshlrev_b64 v[6:7], 1, v[6:7]
	v_cndmask_b32_e64 v91, v12, v3, s[0:1]
	v_cndmask_b32_e64 v92, v13, v14, s[0:1]
	v_lshl_add_u64 v[36:37], s[8:9], 0, v[6:7]
	v_lshl_add_u64 v[38:39], s[14:15], 0, v[6:7]
	;; [unrolled: 1-line block ×3, first 2 shown]
	s_mov_b32 s37, 0x7060302
	v_lshlrev_b32_e32 v34, 1, v8
	v_add_u32_e32 v94, v19, v86
	v_add_u32_e32 v95, v19, v88
	;; [unrolled: 1-line block ×4, first 2 shown]
	v_mov_b32_e32 v64, v35
	v_mov_b32_e32 v66, v35
	;; [unrolled: 1-line block ×3, first 2 shown]
	s_waitcnt lgkmcnt(0)
	s_barrier
.LBB311_6:                              ; =>This Inner Loop Header: Depth=1
	s_add_i32 s59, s58, 1
	s_cmp_lt_i32 s59, s45
	s_mov_b64 s[28:29], 0
	s_cselect_b64 s[40:41], -1, 0
	s_cmp_ge_i32 s59, s45
	s_mov_b64 s[24:25], 0
	s_cbranch_scc1 .LBB311_8
; %bb.7:                                ;   in Loop: Header=BB311_6 Depth=1
	s_add_i32 s0, s52, 64
	s_ashr_i32 s1, s0, 31
	s_add_u32 s0, s49, s0
	s_addc_u32 s1, s48, s1
	s_lshl_b64 s[0:1], s[0:1], 8
	s_add_u32 s24, s6, s0
	s_addc_u32 s25, s7, s1
.LBB311_8:                              ;   in Loop: Header=BB311_6 Depth=1
	v_cndmask_b32_e64 v2, 0, 1, s[40:41]
	v_cmp_ne_u32_e64 s[0:1], 1, v2
	s_andn2_b64 vcc, exec, s[40:41]
	s_cbranch_vccnz .LBB311_10
; %bb.9:                                ;   in Loop: Header=BB311_6 Depth=1
	s_add_i32 s28, s52, 64
	s_mul_hi_i32 s29, s28, s18
	s_mul_i32 s28, s28, s18
	s_add_u32 s28, s28, s50
	s_addc_u32 s29, s29, s54
	s_lshl_b64 s[28:29], s[28:29], 8
	s_add_u32 s28, s4, s28
	s_addc_u32 s29, s5, s29
.LBB311_10:                             ;   in Loop: Header=BB311_6 Depth=1
	v_perm_b32 v3, v100, v77, s37
	v_perm_b32 v2, v75, v76, s37
	;; [unrolled: 1-line block ×4, first 2 shown]
	ds_write_b64 v56, v[2:3]
	ds_write_b64 v57, v[4:5]
	;; [unrolled: 1-line block ×4, first 2 shown]
	v_perm_b32 v3, v101, v69, s37
	v_perm_b32 v2, v67, v68, s37
	;; [unrolled: 1-line block ×4, first 2 shown]
	ds_write_b64 v58, v[2:3]
	ds_write_b64 v59, v[4:5]
	;; [unrolled: 1-line block ×4, first 2 shown]
	s_waitcnt lgkmcnt(0)
	s_barrier
	ds_read_b64 v[6:7], v70 offset:24576
	ds_read2_b64 v[2:5], v74 offset1:16
	ds_read_b64 v[10:11], v79 offset:3072
	ds_read_b64 v[12:13], v74 offset:3072
	;; [unrolled: 1-line block ×3, first 2 shown]
	s_waitcnt lgkmcnt(3)
	v_mfma_f32_16x16x16_bf16 a[0:3], v[6:7], v[2:3], 0
	s_add_i32 s31, s52, 63
	s_ashr_i32 s40, s31, 31
	s_mul_i32 s41, s31, s35
	v_mfma_f32_16x16x16_bf16 a[4:7], v[6:7], v[4:5], 0
	ds_read2st64_b64 v[2:5], v74 offset0:2 offset1:4
	s_mul_hi_u32 s60, s31, s34
	s_add_i32 s41, s60, s41
	s_waitcnt lgkmcnt(0)
	v_mfma_f32_16x16x16_bf16 a[0:3], v[14:15], v[2:3], a[0:3]
	ds_read2st64_b64 v[6:9], v79 offset0:2 offset1:4
	ds_read_b64 v[2:3], v80 offset:24576
	s_mul_i32 s40, s40, s34
	s_add_i32 s41, s41, s40
	s_waitcnt lgkmcnt(1)
	v_mfma_f32_16x16x16_bf16 a[4:7], v[14:15], v[6:7], a[4:7]
	ds_read_b64 v[6:7], v81 offset:24576
	s_mul_i32 s40, s31, s34
	s_lshl_b64 s[40:41], s[40:41], 2
	s_waitcnt lgkmcnt(1)
	v_mfma_f32_16x16x16_bf16 a[0:3], v[2:3], v[4:5], a[0:3]
	s_add_u32 s40, s2, s40
	s_addc_u32 s41, s3, s41
	s_and_b64 vcc, exec, s[0:1]
	v_mfma_f32_16x16x16_bf16 a[8:11], v[2:3], v[8:9], a[4:7]
	v_mov_b32_e32 v104, 0
	v_mov_b32_e32 v103, 0
	;; [unrolled: 1-line block ×3, first 2 shown]
	s_waitcnt lgkmcnt(0)
	v_mfma_f32_16x16x16_bf16 a[4:7], v[6:7], v[12:13], a[0:3]
	v_mov_b32_e32 v2, 0
	v_mov_b32_e32 v3, 0
	;; [unrolled: 1-line block ×3, first 2 shown]
	v_mfma_f32_16x16x16_bf16 a[0:3], v[6:7], v[10:11], a[8:11]
	v_mov_b32_e32 v5, 0
	v_mov_b32_e32 v6, 0
	;; [unrolled: 1-line block ×13, first 2 shown]
	s_cbranch_vccnz .LBB311_12
; %bb.11:                               ;   in Loop: Header=BB311_6 Depth=1
	s_and_b32 s25, s25, 0xffff
	buffer_load_dwordx4 v[14:17], v52, s[24:27], 0 offen
	buffer_load_dwordx4 v[10:13], v52, s[24:27], s55 offen
	;; [unrolled: 1-line block ×4, first 2 shown]
	v_mov_b32_e32 v103, v54
	v_mov_b32_e32 v102, v55
.LBB311_12:                             ;   in Loop: Header=BB311_6 Depth=1
	s_waitcnt vmcnt(3)
	ds_read_b64 v[26:27], v70 offset:32768
	s_waitcnt vmcnt(2)
	ds_read2_b64 v[18:21], v82 offset1:16
	ds_read_b64 v[28:29], v78 offset:32768
	ds_read_b64 v[30:31], v80 offset:32768
	;; [unrolled: 1-line block ×3, first 2 shown]
	ds_read2st64_b64 v[22:25], v82 offset0:2 offset1:4
	v_add_u32_e32 v105, s52, v93
	s_waitcnt lgkmcnt(4)
	v_mfma_f32_16x16x16_bf16 a[4:7], v[26:27], v[18:19], a[4:7]
	v_ashrrev_i32_e32 v18, 31, v105
	v_mfma_f32_16x16x16_bf16 a[0:3], v[26:27], v[20:21], a[0:3]
	v_mul_lo_u32 v20, v105, s35
	v_mul_lo_u32 v21, v18, s34
	v_mad_u64_u32 v[18:19], s[24:25], v105, s34, 0
	v_add3_u32 v19, v19, v20, v21
	v_add_u32_e32 v20, 1, v105
	v_ashrrev_i32_e32 v21, 31, v20
	s_waitcnt lgkmcnt(0)
	v_mfma_f32_16x16x16_bf16 a[4:7], v[28:29], v[22:23], a[4:7]
	v_mul_lo_u32 v22, v21, s34
	v_mul_lo_u32 v23, v20, s35
	v_mad_u64_u32 v[20:21], s[24:25], v20, s34, 0
	v_add3_u32 v21, v21, v23, v22
	v_add_u32_e32 v22, 2, v105
	v_ashrrev_i32_e32 v23, 31, v22
	v_mul_lo_u32 v26, v23, s34
	v_mul_lo_u32 v27, v22, s35
	v_mad_u64_u32 v[22:23], s[24:25], v22, s34, 0
	v_add3_u32 v23, v23, v27, v26
	v_add_u32_e32 v26, 3, v105
	v_ashrrev_i32_e32 v27, 31, v26
	v_mul_lo_u32 v105, v27, s34
	v_mul_lo_u32 v106, v26, s35
	v_mad_u64_u32 v[26:27], s[24:25], v26, s34, 0
	s_ashr_i32 s25, s52, 31
	v_add3_u32 v27, v27, v106, v105
	s_add_u32 s24, s49, s52
	v_lshl_add_u64 v[18:19], v[18:19], 2, s[2:3]
	v_lshl_add_u64 v[26:27], v[26:27], 2, s[2:3]
	s_addc_u32 s25, s48, s25
	v_lshl_add_u64 v[20:21], v[20:21], 2, s[2:3]
	v_lshl_add_u64 v[22:23], v[22:23], 2, s[2:3]
	global_load_dword v105, v[18:19], off
	global_load_dword v106, v[20:21], off
	global_load_dword v107, v[22:23], off
	s_nop 0
	global_load_dword v27, v[26:27], off
	s_lshl_b64 s[60:61], s[24:25], 8
	v_lshl_add_u64 v[18:19], v[36:37], 0, s[60:61]
	v_lshl_add_u64 v[22:23], v[18:19], 0, v[34:35]
	global_load_ushort v108, v[22:23], off offset:256
	global_load_ushort v109, v[22:23], off
	global_load_ushort v110, v[22:23], off offset:768
	global_load_ushort v111, v[22:23], off offset:512
	ds_read2st64_b64 v[18:21], v83 offset0:2 offset1:4
	global_load_ushort v112, v[22:23], off offset:800
	global_load_ushort v113, v[22:23], off offset:544
	;; [unrolled: 1-line block ×4, first 2 shown]
	s_waitcnt lgkmcnt(0)
	v_mfma_f32_16x16x16_bf16 a[0:3], v[28:29], v[18:19], a[0:3]
	s_and_b64 vcc, exec, s[0:1]
	s_waitcnt vmcnt(7)
	v_lshlrev_b32_e32 v29, 16, v108
	v_mfma_f32_16x16x16_bf16 a[4:7], v[30:31], v[24:25], a[4:7]
	s_waitcnt vmcnt(6)
	v_lshlrev_b32_e32 v28, 16, v109
	v_mfma_f32_16x16x16_bf16 a[0:3], v[30:31], v[20:21], a[0:3]
	ds_read_b64 v[18:19], v82 offset:3072
	ds_read_b64 v[20:21], v83 offset:3072
	s_load_dword s24, s[40:41], 0x0
	s_waitcnt vmcnt(5)
	v_lshlrev_b32_e32 v31, 16, v110
	s_waitcnt lgkmcnt(0)
	v_mfma_f32_16x16x16_bf16 a[4:7], v[32:33], v[18:19], a[4:7]
	v_lshl_add_u64 v[18:19], v[38:39], 0, s[60:61]
	v_sub_f32_e32 v26, s24, v105
	v_sub_f32_e32 v30, s24, v106
	v_mfma_f32_16x16x16_bf16 a[0:3], v[32:33], v[20:21], a[0:3]
	v_sub_f32_e32 v32, s24, v107
	v_sub_f32_e32 v33, s24, v27
	v_exp_f32_e32 v26, v26
	v_exp_f32_e32 v27, v30
	v_exp_f32_e32 v32, v32
	v_exp_f32_e32 v33, v33
	v_accvgpr_read_b32 v25, a5
	v_accvgpr_read_b32 v21, a7
	;; [unrolled: 1-line block ×4, first 2 shown]
	s_waitcnt vmcnt(4)
	v_lshlrev_b32_e32 v30, 16, v111
	v_lshl_add_u64 v[18:19], v[18:19], 0, v[34:35]
	v_pk_add_f32 v[24:25], v[28:29], v[24:25] neg_lo:[0,1] neg_hi:[0,1]
	v_pk_add_f32 v[20:21], v[30:31], v[20:21] neg_lo:[0,1] neg_hi:[0,1]
	global_store_short_d16_hi v[18:19], v24, off
	global_store_short_d16_hi v[18:19], v25, off offset:256
	global_store_short_d16_hi v[18:19], v20, off offset:512
	;; [unrolled: 1-line block ×3, first 2 shown]
	v_pk_mul_f32 v[24:25], v[26:27], v[24:25]
	v_pk_mul_f32 v[20:21], v[32:33], v[20:21]
	v_accvgpr_read_b32 v29, a1
	v_perm_b32 v24, v25, v24, s37
	v_perm_b32 v25, v21, v20, s37
	s_waitcnt vmcnt(5)
	v_lshlrev_b32_e32 v21, 16, v114
	s_waitcnt vmcnt(4)
	v_lshlrev_b32_e32 v20, 16, v115
	v_accvgpr_read_b32 v28, a0
	v_accvgpr_read_b32 v23, a3
	;; [unrolled: 1-line block ×3, first 2 shown]
	v_pk_add_f32 v[20:21], v[20:21], v[28:29] neg_lo:[0,1] neg_hi:[0,1]
	v_lshlrev_b32_e32 v29, 16, v112
	v_lshlrev_b32_e32 v28, 16, v113
	v_pk_add_f32 v[22:23], v[28:29], v[22:23] neg_lo:[0,1] neg_hi:[0,1]
	global_store_short_d16_hi v[18:19], v20, off offset:32
	global_store_short_d16_hi v[18:19], v21, off offset:288
	;; [unrolled: 1-line block ×4, first 2 shown]
	v_pk_mul_f32 v[18:19], v[26:27], v[20:21]
	v_pk_mul_f32 v[20:21], v[32:33], v[22:23]
	v_mov_b32_e32 v105, 0
	v_perm_b32 v21, v21, v20, s37
	v_perm_b32 v20, v19, v18, s37
	ds_write2_b64 v57, v[24:25], v[20:21] offset1:16
	v_mov_b32_e32 v18, 0
	v_mov_b32_e32 v19, 0
	v_mov_b32_e32 v20, 0
	v_mov_b32_e32 v21, 0
	v_mov_b32_e32 v22, 0
	v_mov_b32_e32 v23, 0
	v_mov_b32_e32 v24, 0
	v_mov_b32_e32 v25, 0
	v_mov_b32_e32 v26, 0
	v_mov_b32_e32 v27, 0
	v_mov_b32_e32 v28, 0
	v_mov_b32_e32 v29, 0
	v_mov_b32_e32 v30, 0
	v_mov_b32_e32 v31, 0
	v_mov_b32_e32 v32, 0
	v_mov_b32_e32 v33, 0
	s_cbranch_vccnz .LBB311_14
; %bb.13:                               ;   in Loop: Header=BB311_6 Depth=1
	s_and_b32 s29, s29, 0xffff
	s_mov_b32 s31, s27
	buffer_load_dwordx4 v[30:33], v91, s[28:31], 0 offen
	buffer_load_dwordx4 v[22:25], v91, s[28:31], s55 offen
	;; [unrolled: 1-line block ×4, first 2 shown]
	v_mov_b32_e32 v104, v51
	v_mov_b32_e32 v105, v50
.LBB311_14:                             ;   in Loop: Header=BB311_6 Depth=1
	s_waitcnt lgkmcnt(0)
	s_barrier
	ds_read_b64 v[110:111], v94
	ds_read_b64 v[118:119], v87
	;; [unrolled: 1-line block ×5, first 2 shown]
	ds_read_b64 v[124:125], v88 offset:16384
	ds_read_b64 v[126:127], v86 offset:16384
	ds_read2_b64 v[106:109], v82 offset0:16 offset1:128
	s_waitcnt lgkmcnt(6)
	v_mfma_f32_16x16x16_bf16 a[0:3], v[110:111], v[118:119], 0
	ds_read_b64 v[128:129], v83 offset:3072
	ds_read_b64 v[130:131], v90 offset:16384
	s_add_i32 s25, s46, s58
	s_waitcnt lgkmcnt(2)
	v_mfma_f32_16x16x16_bf16 a[4:7], v[110:111], v[106:107], 0
	ds_read2st64_b64 v[110:113], v83 offset0:2 offset1:4
	s_mul_hi_i32 s29, s25, s51
	s_mul_i32 s25, s25, s51
	v_mfma_f32_16x16x16_bf16 a[0:3], v[114:115], v[108:109], a[0:3]
	s_add_u32 s28, s25, s33
	s_addc_u32 s29, s29, s53
	s_lshl_b64 s[28:29], s[28:29], 15
	s_waitcnt lgkmcnt(0)
	v_mfma_f32_16x16x16_bf16 a[4:7], v[114:115], v[110:111], a[4:7]
	ds_read2st64_b64 v[114:117], v82 offset0:4 offset1:6
	s_waitcnt lgkmcnt(0)
	v_mfma_f32_16x16x16_bf16 a[0:3], v[120:121], v[114:115], a[0:3]
	v_mfma_f32_16x16x16_bf16 a[8:11], v[120:121], v[112:113], a[4:7]
	;; [unrolled: 1-line block ×5, first 2 shown]
	ds_read2st64_b64 v[118:121], v85 offset1:8
	v_mfma_f32_16x16x16_bf16 a[12:15], v[126:127], v[106:107], 0
	ds_read_b64 v[126:127], v89 offset:16384
	v_mfma_f32_16x16x16_bf16 a[8:11], v[124:125], v[108:109], a[8:11]
	ds_read2st64_b64 v[106:109], v84 offset1:8
	s_waitcnt lgkmcnt(0)
	v_mov_b32_e32 v122, v106
	v_mfma_f32_16x16x16_bf16 a[12:15], v[124:125], v[110:111], a[12:15]
	v_lshl_add_u64 v[110:111], v[40:41], 0, s[28:29]
	v_add_co_u32_e32 v106, vcc, s21, v110
	v_mfma_f32_16x16x16_bf16 a[8:11], v[126:127], v[114:115], a[8:11]
	v_mov_b32_e32 v123, v107
	v_addc_co_u32_e32 v107, vcc, 0, v111, vcc
	v_mfma_f32_16x16x16_bf16 a[16:19], v[126:127], v[112:113], a[12:15]
	v_mov_b32_e32 v124, v118
	v_mov_b32_e32 v125, v119
	v_mov_b32_e32 v118, v108
	v_mfma_f32_16x16x16_bf16 a[12:15], v[130:131], v[116:117], a[8:11]
	v_mov_b32_e32 v119, v109
	s_and_b64 vcc, exec, s[0:1]
	global_store_dwordx4 v[110:111], v[122:125], off
	v_mfma_f32_16x16x16_bf16 a[8:11], v[130:131], v[128:129], a[16:19]
	global_store_dwordx4 v[106:107], v[118:121], off
	s_cbranch_vccnz .LBB311_16
; %bb.15:                               ;   in Loop: Header=BB311_6 Depth=1
	v_lshrrev_b32_e32 v106, 3, v104
	v_and_b32_e32 v106, 6, v106
	v_xor_b32_e32 v105, v106, v105
	v_lshlrev_b32_e32 v105, 2, v105
	v_and_b32_e32 v104, 8, v104
	v_xor_b32_e32 v107, 0x440, v105
	v_cmp_eq_u32_e32 vcc, 0, v104
	s_barrier
	s_nop 0
	v_cndmask_b32_e32 v104, v107, v105, vcc
	v_lshl_or_b32 v104, v106, 10, v104
	s_waitcnt vmcnt(3)
	v_perm_b32 v105, v30, v26, s56
	s_waitcnt vmcnt(2)
	v_perm_b32 v106, v22, v18, s56
	ds_write2st64_b32 v104, v105, v106 offset0:32 offset1:64
	v_xor_b32_e32 v105, 8, v104
	v_perm_b32 v26, v30, v26, s57
	v_perm_b32 v18, v22, v18, s57
	v_add_u32_e32 v22, 0x80, v105
	ds_write2st64_b32 v22, v26, v18 offset0:32 offset1:64
	v_xor_b32_e32 v18, 16, v104
	v_perm_b32 v22, v31, v27, s56
	v_perm_b32 v26, v23, v19, s56
	ds_write2st64_b32 v18, v22, v26 offset0:33 offset1:65
	v_xor_b32_e32 v18, 24, v104
	v_perm_b32 v22, v31, v27, s57
	v_perm_b32 v19, v23, v19, s57
	v_add_u32_e32 v18, 0x80, v18
	ds_write2st64_b32 v18, v22, v19 offset0:33 offset1:65
	v_xor_b32_e32 v18, 32, v104
	v_perm_b32 v19, v32, v28, s56
	;; [unrolled: 9-line block ×3, first 2 shown]
	v_perm_b32 v20, v25, v21, s56
	ds_write2st64_b32 v18, v19, v20 offset0:35 offset1:67
	v_xor_b32_e32 v18, 56, v104
	v_perm_b32 v19, v33, v29, s57
	v_perm_b32 v20, v25, v21, s57
	v_add_u32_e32 v18, 0x80, v18
	ds_write2st64_b32 v18, v19, v20 offset0:35 offset1:67
	ds_write_b64 v103, v[14:15] offset:24576
	v_xor_b32_e32 v14, 8, v103
	ds_write_b64 v14, v[16:17] offset:24576
	ds_write_b64 v103, v[10:11] offset:32768
	;; [unrolled: 1-line block ×4, first 2 shown]
	v_xor_b32_e32 v6, 8, v102
	ds_write_b64 v6, v[8:9] offset:24576
	ds_write_b64 v102, v[2:3] offset:32768
	;; [unrolled: 1-line block ×3, first 2 shown]
.LBB311_16:                             ;   in Loop: Header=BB311_6 Depth=1
	v_exp_f32_e32 v2, s24
	v_accvgpr_read_b32 v3, a4
	v_accvgpr_read_b32 v4, a5
	;; [unrolled: 1-line block ×3, first 2 shown]
	v_fma_f32 v76, v76, v2, v3
	v_accvgpr_read_b32 v3, a6
	v_fma_f32 v77, v77, v2, v3
	v_accvgpr_read_b32 v3, a0
	;; [unrolled: 2-line block ×11, first 2 shown]
	v_accvgpr_read_b32 v6, a15
	v_fma_f32 v66, v66, v2, v3
	v_accvgpr_read_b32 v3, a11
	s_add_i32 s52, s52, 64
	v_fmac_f32_e32 v5, v100, v2
	v_fmac_f32_e32 v4, v101, v2
	;; [unrolled: 1-line block ×3, first 2 shown]
	s_cmp_eq_u32 s45, s59
	v_fmac_f32_e32 v3, v99, v2
	s_cbranch_scc1 .LBB311_18
; %bb.17:                               ;   in Loop: Header=BB311_6 Depth=1
	s_mov_b32 s58, s59
	v_mov_b32_e32 v100, v5
	v_mov_b32_e32 v98, v6
	;; [unrolled: 1-line block ×4, first 2 shown]
	s_branch .LBB311_6
.LBB311_18:
	s_lshl_b32 s0, s45, 6
	s_sub_i32 s47, s47, s0
	s_cmp_gt_i32 s47, 0
	s_cbranch_scc0 .LBB311_83
; %bb.19:
	s_add_i32 s38, s0, s38
	s_ashr_i32 s2, s38, 31
	s_cmpk_lg_i32 s19, 0x80
	s_cselect_b64 s[30:31], -1, 0
	s_and_b64 vcc, exec, s[30:31]
	s_cbranch_vccz .LBB311_21
; %bb.20:
	s_mul_i32 s1, s38, s18
	s_ashr_i32 s3, s50, 31
	s_mul_hi_i32 s0, s38, s18
	s_add_u32 s40, s1, s50
	s_addc_u32 s41, s0, s3
	s_cbranch_execz .LBB311_22
	s_branch .LBB311_23
.LBB311_21:
                                        ; implicit-def: $sgpr40_sgpr41
.LBB311_22:
	s_mul_i32 s1, s50, s16
	s_mul_hi_i32 s0, s50, s16
	s_add_u32 s40, s1, s38
	s_addc_u32 s41, s0, s2
.LBB311_23:
	s_add_i32 s3, s45, s46
	s_ashr_i32 s16, s33, 31
	s_add_u32 s0, s49, s38
	s_addc_u32 s1, s48, s2
	v_lshlrev_b32_e32 v10, 5, v48
	s_waitcnt vmcnt(4)
	v_lshlrev_b32_e32 v22, 2, v42
	s_mov_b32 s2, 0x7060302
	v_xor_b32_e32 v2, v48, v22
	v_perm_b32 v9, v5, v77, s2
	v_or_b32_e32 v5, v10, v22
	v_perm_b32 v8, v75, v76, s2
	v_perm_b32 v7, v6, v73, s2
	;; [unrolled: 1-line block ×3, first 2 shown]
	v_lshlrev_b32_e32 v5, 1, v5
	v_lshlrev_b32_e32 v12, 1, v2
	;; [unrolled: 1-line block ×3, first 2 shown]
	s_lshl_b64 s[28:29], s[0:1], 8
	v_xor_b32_e32 v11, v49, v22
	ds_write2st64_b64 v5, v[8:9], v[6:7] offset0:80 offset1:88
	v_or_b32_e32 v5, v12, v2
	s_add_u32 s0, s6, s28
	ds_write_b64 v5, v[8:9]
	v_lshlrev_b32_e32 v8, 1, v11
	s_addc_u32 s1, s7, s29
	v_or_b32_e32 v2, v8, v2
	s_mul_hi_i32 s6, s3, s17
	s_mul_i32 s3, s3, s17
	ds_write_b64 v2, v[6:7]
	v_perm_b32 v5, v4, v69, s2
	v_perm_b32 v4, v67, v68, s2
	;; [unrolled: 1-line block ×4, first 2 shown]
	v_or_b32_e32 v6, 16, v42
	s_add_u32 s2, s3, s33
	s_waitcnt vmcnt(2)
	v_lshlrev_b32_e32 v19, 2, v6
	s_addc_u32 s3, s6, s16
	v_or_b32_e32 v7, v10, v19
	s_ashr_i32 s37, s36, 31
	s_lshl_b64 s[2:3], s[2:3], 15
	v_lshlrev_b32_e32 v7, 1, v7
	v_lshlrev_b32_e32 v6, 8, v6
	s_add_u32 s6, s12, s2
	ds_write2st64_b64 v7, v[4:5], v[2:3] offset0:80 offset1:88
	v_or_b32_e32 v7, v12, v6
	s_addc_u32 s7, s13, s3
	s_lshl_b64 s[2:3], s[36:37], 8
	ds_write_b64 v7, v[4:5]
	v_or_b32_e32 v4, v8, v6
	s_add_u32 s2, s6, s2
	ds_write_b64 v4, v[2:3]
	v_lshrrev_b32_e32 v2, 4, v0
	s_addc_u32 s3, s7, s3
	v_lshlrev_b32_e32 v3, 1, v42
	v_lshlrev_b32_e32 v10, 4, v42
	v_mov_b32_e32 v11, 0
	v_or_b32_e32 v4, 1, v3
	v_xor_b32_e32 v3, v2, v3
	v_lshl_add_u64 v[12:13], s[2:3], 0, v[10:11]
	v_lshlrev_b32_e32 v10, 8, v2
	v_xor_b32_e32 v6, v4, v2
	v_lshl_or_b32 v2, v3, 3, v10
	s_waitcnt lgkmcnt(0)
	s_barrier
	ds_read2st64_b64 v[2:5], v2 offset1:8
	v_lshl_or_b32 v6, v6, 3, v10
	ds_read2st64_b64 v[6:9], v6 offset1:8
	v_lshl_add_u64 v[14:15], v[12:13], 0, v[10:11]
	s_movk_i32 s2, 0x1000
	s_waitcnt lgkmcnt(1)
	v_mov_b32_e32 v10, v2
	v_add_co_u32_e32 v2, vcc, s2, v14
	s_cmp_lg_u32 s47, 64
	v_mov_b32_e32 v11, v3
	v_addc_co_u32_e32 v3, vcc, 0, v15, vcc
	s_cselect_b64 s[6:7], -1, 0
	v_lshl_or_b32 v23, v44, 3, v47
	s_waitcnt lgkmcnt(0)
	v_mov_b32_e32 v12, v6
	v_mov_b32_e32 v13, v7
	;; [unrolled: 1-line block ×4, first 2 shown]
	s_mov_b32 s24, 0
	v_or_b32_e32 v20, 32, v23
	v_and_b32_e32 v18, 56, v46
	s_and_b64 vcc, exec, s[6:7]
	global_store_dwordx4 v[14:15], v[10:13], off
	global_store_dwordx4 v[2:3], v[6:9], off
	s_cbranch_vccz .LBB311_29
; %bb.24:
	s_mov_b32 s25, s24
	s_mov_b32 s26, s24
	;; [unrolled: 1-line block ×3, first 2 shown]
	v_mov_b64_e32 v[6:7], s[24:25]
	v_mov_b64_e32 v[8:9], s[26:27]
	;; [unrolled: 1-line block ×3, first 2 shown]
	v_cmp_gt_i32_e32 vcc, s47, v23
	v_mov_b64_e32 v[4:5], v[8:9]
	s_and_saveexec_b64 s[2:3], vcc
	s_cbranch_execz .LBB311_26
; %bb.25:
	v_lshlrev_b32_e32 v2, 8, v23
	v_mov_b32_e32 v3, 0
	v_lshl_add_u64 v[4:5], s[0:1], 0, v[2:3]
	v_lshlrev_b32_e32 v2, 1, v18
	v_lshl_add_u64 v[10:11], v[4:5], 0, v[2:3]
	global_load_dwordx4 v[6:9], v[10:11], off
	global_load_dwordx4 v[2:5], v[10:11], off offset:128
.LBB311_26:
	s_or_b64 exec, exec, s[2:3]
	s_mov_b32 s25, s24
	s_mov_b32 s26, s24
	;; [unrolled: 1-line block ×3, first 2 shown]
	v_mov_b64_e32 v[14:15], s[24:25]
	v_mov_b64_e32 v[16:17], s[26:27]
	;; [unrolled: 1-line block ×3, first 2 shown]
	v_cmp_gt_i32_e32 vcc, s47, v20
	v_lshlrev_b32_e32 v21, 7, v20
	v_mov_b64_e32 v[12:13], v[16:17]
	s_and_saveexec_b64 s[2:3], vcc
	s_cbranch_execz .LBB311_28
; %bb.27:
	v_lshlrev_b32_e32 v10, 1, v21
	v_mov_b32_e32 v11, 0
	v_lshl_add_u64 v[12:13], s[0:1], 0, v[10:11]
	v_lshlrev_b32_e32 v10, 1, v18
	v_lshl_add_u64 v[24:25], v[12:13], 0, v[10:11]
	global_load_dwordx4 v[14:17], v[24:25], off
	global_load_dwordx4 v[10:13], v[24:25], off offset:128
.LBB311_28:
	s_or_b64 exec, exec, s[2:3]
	v_lshrrev_b32_e32 v24, 3, v18
	v_lshlrev_b32_e32 v25, 3, v23
	v_or_b32_e32 v24, v25, v24
	v_lshlrev_b32_e32 v24, 4, v24
	v_and_b32_e32 v25, 0x78, v25
	v_xor_b32_e32 v24, v24, v25
	s_branch .LBB311_31
.LBB311_29:
                                        ; implicit-def: $vgpr24
                                        ; implicit-def: $vgpr21
                                        ; implicit-def: $vgpr6_vgpr7_vgpr8_vgpr9
                                        ; implicit-def: $vgpr2_vgpr3_vgpr4_vgpr5
                                        ; implicit-def: $vgpr14_vgpr15_vgpr16_vgpr17
                                        ; implicit-def: $vgpr10_vgpr11_vgpr12_vgpr13
	s_cbranch_execz .LBB311_31
; %bb.30:
	s_waitcnt vmcnt(0)
	v_lshlrev_b32_e32 v2, 1, v18
	v_lshl_or_b32 v21, v23, 8, v2
	s_and_b32 s1, s1, 0xffff
	s_mov_b32 s3, 0x20000
	s_movk_i32 s2, 0x4000
	v_lshl_or_b32 v24, v20, 8, v2
	s_movk_i32 s12, 0x80
	buffer_load_dwordx4 v[6:9], v21, s[0:3], 0 offen
	buffer_load_dwordx4 v[2:5], v21, s[0:3], s12 offen
	;; [unrolled: 1-line block ×4, first 2 shown]
	v_lshrrev_b32_e32 v21, 3, v18
	v_lshlrev_b32_e32 v24, 3, v23
	v_or_b32_e32 v21, v24, v21
	v_lshlrev_b32_e32 v21, 4, v21
	v_and_b32_e32 v24, 0x78, v24
	v_xor_b32_e32 v24, v21, v24
	v_lshlrev_b32_e32 v21, 7, v20
.LBB311_31:
	s_lshl_b64 s[0:1], s[40:41], 8
	s_add_u32 s4, s4, s0
	s_movk_i32 s0, 0x1000
	v_and_or_b32 v20, v21, s0, v24
	s_waitcnt vmcnt(1)
	ds_write_b64 v24, v[6:7] offset:24576
	v_xor_b32_e32 v6, 8, v24
	ds_write_b64 v6, v[8:9] offset:24576
	s_waitcnt vmcnt(0)
	ds_write_b64 v24, v[2:3] offset:32768
	ds_write_b64 v6, v[4:5] offset:32768
	;; [unrolled: 1-line block ×3, first 2 shown]
	v_xor_b32_e32 v2, 8, v20
	ds_write_b64 v2, v[16:17] offset:24576
	ds_write_b64 v20, v[10:11] offset:32768
	;; [unrolled: 1-line block ×3, first 2 shown]
	v_or_b32_e32 v2, v1, v42
	v_lshlrev_b32_e32 v3, 11, v44
	v_lshlrev_b32_e32 v2, 3, v2
	v_and_b32_e32 v6, 0x1000, v3
	v_lshrrev_b32_e32 v3, 5, v43
	s_movk_i32 s13, 0xf8
	v_and_or_b32 v3, v2, s13, v3
	v_lshlrev_b32_e32 v7, 4, v3
	v_and_b32_e32 v8, 0x78, v2
	v_or_b32_e32 v10, 32, v7
	v_lshrrev_b32_e32 v3, 1, v43
	v_xor_b32_e32 v10, v10, v8
	v_xor_b32_e32 v2, v7, v8
	v_and_b32_e32 v9, 8, v3
	v_or_b32_e32 v10, v10, v6
	v_or_b32_e32 v2, v2, v6
	v_xor_b32_e32 v26, v10, v9
	v_or_b32_e32 v10, 64, v7
	v_xor_b32_e32 v25, v2, v9
	v_xor_b32_e32 v10, v10, v8
	s_waitcnt lgkmcnt(0)
	s_barrier
	v_or_b32_e32 v12, v10, v6
	ds_read_b64 v[10:11], v25 offset:24576
	v_lshl_or_b32 v20, v45, 7, v22
	v_lshlrev_b32_e32 v24, 1, v20
	v_add_u32_e32 v2, 0xa000, v24
	ds_read2_b64 v[2:5], v2 offset1:16
	v_or_b32_e32 v7, 0x60, v7
	v_xor_b32_e32 v7, v7, v8
	s_waitcnt lgkmcnt(0)
	v_mfma_f32_16x16x16_bf16 a[0:3], v[10:11], v[2:3], 0
	v_or_b32_e32 v2, 64, v20
	v_or_b32_e32 v6, v7, v6
	v_lshlrev_b32_e32 v29, 1, v2
	v_xor_b32_e32 v27, v12, v9
	v_xor_b32_e32 v28, v6, v9
	ds_read_b64 v[12:13], v26 offset:24576
	ds_read_b64 v[14:15], v27 offset:24576
	ds_read_b64 v[16:17], v28 offset:24576
	v_mfma_f32_16x16x16_bf16 a[4:7], v[10:11], v[4:5], 0
	ds_read2st64_b64 v[2:5], v29 offset0:82 offset1:84
	ds_read2st64_b64 v[6:9], v24 offset0:82 offset1:84
	s_addc_u32 s5, s5, s1
	s_add_i32 s2, s39, -1
	s_add_i32 s0, s43, s42
	s_add_i32 s21, s0, s44
	s_mul_i32 s0, s33, s23
	s_mul_hi_u32 s1, s33, s22
	s_ashr_i32 s3, s2, 31
	s_mul_i32 s12, s2, s35
	s_mul_hi_u32 s13, s2, s34
	s_add_i32 s0, s1, s0
	s_mul_i32 s1, s16, s22
	s_add_i32 s12, s13, s12
	s_mul_i32 s3, s3, s34
	s_waitcnt lgkmcnt(1)
	v_mfma_f32_16x16x16_bf16 a[4:7], v[12:13], v[2:3], a[4:7]
	s_add_i32 s1, s0, s1
	s_add_i32 s3, s12, s3
	s_lshl_b64 s[12:13], s[20:21], 2
	s_waitcnt lgkmcnt(0)
	v_mfma_f32_16x16x16_bf16 a[0:3], v[12:13], v[6:7], a[0:3]
	s_mul_i32 s0, s33, s22
	s_add_u32 s10, s10, s12
	s_addc_u32 s11, s11, s13
	s_lshl_b64 s[0:1], s[0:1], 2
	s_mul_i32 s2, s2, s34
	s_add_u32 s10, s10, s0
	ds_read_b64 v[2:3], v24 offset:44032
	v_mfma_f32_16x16x16_bf16 a[4:7], v[14:15], v[4:5], a[4:7]
	ds_read_b64 v[4:5], v29 offset:44032
	s_addc_u32 s11, s11, s1
	s_lshl_b64 s[0:1], s[2:3], 2
	v_mfma_f32_16x16x16_bf16 a[0:3], v[14:15], v[8:9], a[0:3]
	s_add_u32 s0, s10, s0
	s_addc_u32 s1, s11, s1
	s_load_dword s12, s[0:1], 0x0
	s_waitcnt lgkmcnt(0)
	v_mfma_f32_16x16x16_bf16 a[0:3], v[16:17], v[2:3], a[0:3]
	s_and_b64 vcc, exec, s[30:31]
	v_mfma_f32_16x16x16_bf16 a[4:7], v[16:17], v[4:5], a[4:7]
	s_cbranch_vccz .LBB311_42
; %bb.32:
	v_lshlrev_b32_e32 v20, 1, v23
	s_and_b64 vcc, exec, s[6:7]
	s_cbranch_vccz .LBB311_43
; %bb.33:
	v_cmp_gt_i32_e32 vcc, s47, v20
	v_mov_b32_e32 v6, 0
	v_mov_b32_e32 v2, 0
	;; [unrolled: 1-line block ×5, first 2 shown]
	s_and_saveexec_b64 s[0:1], vcc
	s_cbranch_execz .LBB311_35
; %bb.34:
	v_mad_i64_i32 v[2:3], s[2:3], s19, v20, 0
	v_lshl_add_u64 v[2:3], v[2:3], 1, s[4:5]
	v_lshlrev_b32_e32 v4, 1, v18
	v_mov_b32_e32 v5, 0
	v_lshl_add_u64 v[2:3], v[2:3], 0, v[4:5]
	global_load_dwordx4 v[2:5], v[2:3], off
.LBB311_35:
	s_or_b64 exec, exec, s[0:1]
	v_or_b32_e32 v21, 1, v20
	v_cmp_gt_i32_e64 s[0:1], s47, v21
	v_mov_b32_e32 v7, 0
	v_mov_b32_e32 v8, 0
	;; [unrolled: 1-line block ×3, first 2 shown]
	s_and_saveexec_b64 s[2:3], s[0:1]
	s_cbranch_execz .LBB311_37
; %bb.36:
	v_mad_i64_i32 v[6:7], s[16:17], s19, v21, 0
	v_lshl_add_u64 v[6:7], v[6:7], 1, s[4:5]
	v_lshlrev_b32_e32 v8, 1, v18
	v_mov_b32_e32 v9, 0
	v_lshl_add_u64 v[6:7], v[6:7], 0, v[8:9]
	global_load_dwordx4 v[6:9], v[6:7], off
.LBB311_37:
	s_or_b64 exec, exec, s[2:3]
	v_mov_b32_e32 v17, 0
	v_mov_b32_e32 v10, 0
	;; [unrolled: 1-line block ×5, first 2 shown]
	s_and_saveexec_b64 s[2:3], vcc
	s_cbranch_execz .LBB311_39
; %bb.38:
	v_mad_i64_i32 v[10:11], s[16:17], s19, v20, 0
	v_lshl_add_u64 v[10:11], v[10:11], 1, s[4:5]
	v_lshlrev_b32_e32 v12, 1, v18
	v_mov_b32_e32 v13, 0
	v_lshl_add_u64 v[10:11], v[10:11], 0, v[12:13]
	global_load_dwordx4 v[10:13], v[10:11], off offset:128
.LBB311_39:
	s_or_b64 exec, exec, s[2:3]
	v_mov_b32_e32 v16, 0
	v_mov_b32_e32 v15, 0
	;; [unrolled: 1-line block ×3, first 2 shown]
	s_and_saveexec_b64 s[2:3], s[0:1]
	s_cbranch_execz .LBB311_41
; %bb.40:
	v_mad_i64_i32 v[14:15], s[0:1], s19, v21, 0
	v_lshl_add_u64 v[14:15], v[14:15], 1, s[4:5]
	v_lshlrev_b32_e32 v16, 1, v18
	v_mov_b32_e32 v17, 0
	v_lshl_add_u64 v[14:15], v[14:15], 0, v[16:17]
	global_load_dwordx4 v[14:17], v[14:15], off offset:128
.LBB311_41:
	s_or_b64 exec, exec, s[2:3]
	s_branch .LBB311_45
.LBB311_42:
                                        ; implicit-def: $vgpr5
                                        ; implicit-def: $vgpr9
                                        ; implicit-def: $vgpr13
                                        ; implicit-def: $vgpr17
	v_lshrrev_b32_e32 v30, 2, v43
	s_branch .LBB311_46
.LBB311_43:
                                        ; implicit-def: $vgpr5
                                        ; implicit-def: $vgpr9
                                        ; implicit-def: $vgpr13
                                        ; implicit-def: $vgpr17
	s_cbranch_execz .LBB311_45
; %bb.44:
	s_waitcnt vmcnt(0)
	v_mad_u64_u32 v[2:3], s[0:1], v20, s19, v[18:19]
	v_lshlrev_b32_e32 v20, 1, v2
	s_lshl_b32 s2, s19, 7
	s_and_b32 s1, s5, 0xffff
	s_mov_b32 s3, 0x20000
	s_mov_b32 s0, s4
	v_add_lshl_u32 v21, v2, s19, 1
	s_movk_i32 s13, 0x80
	buffer_load_dwordx4 v[2:5], v20, s[0:3], 0 offen
	buffer_load_dwordx4 v[10:13], v20, s[0:3], s13 offen
	;; [unrolled: 1-line block ×4, first 2 shown]
.LBB311_45:
	v_lshrrev_b32_e32 v30, 2, v43
	s_cbranch_execnz .LBB311_58
.LBB311_46:
	s_and_b64 vcc, exec, s[6:7]
	s_cbranch_vccz .LBB311_56
; %bb.47:
	s_waitcnt vmcnt(0)
	v_lshlrev_b32_e32 v7, 1, v23
	v_cmp_gt_i32_e32 vcc, s47, v7
	v_mov_b32_e32 v6, 0
	v_lshlrev_b32_e32 v14, 9, v23
	v_mov_b32_e32 v2, 0
	v_mov_b32_e32 v3, 0
	;; [unrolled: 1-line block ×4, first 2 shown]
	s_and_saveexec_b64 s[0:1], vcc
	s_cbranch_execz .LBB311_49
; %bb.48:
	v_mov_b32_e32 v15, 0
	v_lshl_add_u64 v[2:3], s[4:5], 0, v[14:15]
	v_lshlrev_b32_e32 v4, 1, v18
	v_mov_b32_e32 v5, v15
	v_lshl_add_u64 v[2:3], v[2:3], 0, v[4:5]
	global_load_dwordx4 v[2:5], v[2:3], off
.LBB311_49:
	s_or_b64 exec, exec, s[0:1]
	v_or_b32_e32 v7, 1, v7
	v_cmp_gt_i32_e64 s[0:1], s47, v7
	v_lshlrev_b32_e32 v20, 8, v7
	v_mov_b32_e32 v7, 0
	v_mov_b32_e32 v8, 0
	;; [unrolled: 1-line block ×3, first 2 shown]
	s_and_saveexec_b64 s[2:3], s[0:1]
	s_cbranch_execz .LBB311_51
; %bb.50:
	v_mov_b32_e32 v21, 0
	v_lshl_add_u64 v[6:7], s[4:5], 0, v[20:21]
	v_lshlrev_b32_e32 v8, 1, v18
	v_mov_b32_e32 v9, v21
	v_lshl_add_u64 v[6:7], v[6:7], 0, v[8:9]
	global_load_dwordx4 v[6:9], v[6:7], off
.LBB311_51:
	s_or_b64 exec, exec, s[2:3]
	v_mov_b32_e32 v17, 0
	v_mov_b32_e32 v10, 0
	;; [unrolled: 1-line block ×5, first 2 shown]
	s_and_saveexec_b64 s[2:3], vcc
	s_cbranch_execz .LBB311_53
; %bb.52:
	v_mov_b32_e32 v15, 0
	v_lshl_add_u64 v[10:11], s[4:5], 0, v[14:15]
	v_lshlrev_b32_e32 v14, 1, v18
	v_lshl_add_u64 v[10:11], v[10:11], 0, v[14:15]
	global_load_dwordx4 v[10:13], v[10:11], off offset:128
.LBB311_53:
	s_or_b64 exec, exec, s[2:3]
	v_mov_b32_e32 v16, 0
	v_mov_b32_e32 v15, 0
	;; [unrolled: 1-line block ×3, first 2 shown]
	s_and_saveexec_b64 s[2:3], s[0:1]
	s_cbranch_execz .LBB311_55
; %bb.54:
	v_mov_b32_e32 v21, 0
	v_lshl_add_u64 v[14:15], s[4:5], 0, v[20:21]
	v_lshlrev_b32_e32 v20, 1, v18
	v_lshl_add_u64 v[14:15], v[14:15], 0, v[20:21]
	global_load_dwordx4 v[14:17], v[14:15], off offset:128
.LBB311_55:
	s_or_b64 exec, exec, s[2:3]
	s_branch .LBB311_58
.LBB311_56:
                                        ; implicit-def: $vgpr5
                                        ; implicit-def: $vgpr9
                                        ; implicit-def: $vgpr13
                                        ; implicit-def: $vgpr17
	s_cbranch_execz .LBB311_58
; %bb.57:
	s_waitcnt vmcnt(0)
	v_lshlrev_b32_e32 v2, 1, v18
	v_lshl_or_b32 v18, v23, 9, v2
	s_and_b32 s5, s5, 0xffff
	s_mov_b32 s7, 0x20000
	s_movk_i32 s6, 0x4000
	s_movk_i32 s0, 0x80
	buffer_load_dwordx4 v[2:5], v18, s[4:7], 0 offen
	buffer_load_dwordx4 v[6:9], v18, s[4:7], 0 offen offset:256
	buffer_load_dwordx4 v[10:13], v18, s[4:7], s0 offen
	buffer_load_dwordx4 v[14:17], v18, s[4:7], s0 offen offset:256
.LBB311_58:
	ds_read_b64 v[20:21], v25 offset:32768
	v_add_u32_e32 v18, 0xb000, v24
	ds_read2_b64 v[32:35], v18 offset1:16
	ds_read_b64 v[40:41], v26 offset:32768
	ds_read_b64 v[26:27], v27 offset:32768
	;; [unrolled: 1-line block ×3, first 2 shown]
	v_and_b32_e32 v18, 6, v0
	v_xor_b32_e32 v23, v23, v18
	v_lshlrev_b32_e32 v23, 2, v23
	v_and_b32_e32 v0, 1, v0
	v_xor_b32_e32 v28, 0x440, v23
	v_cmp_eq_u32_e32 vcc, 0, v0
	s_waitcnt lgkmcnt(3)
	v_mfma_f32_16x16x16_bf16 a[0:3], v[20:21], v[32:33], a[0:3]
	s_mov_b32 s0, 0x1000504
	v_cndmask_b32_e32 v0, v28, v23, vcc
	v_lshl_or_b32 v0, v18, 10, v0
	v_mfma_f32_16x16x16_bf16 a[4:7], v[20:21], v[34:35], a[4:7]
	ds_read2st64_b64 v[32:35], v24 offset0:90 offset1:92
	ds_read2st64_b64 v[36:39], v29 offset0:90 offset1:92
	ds_read_b64 v[20:21], v24 offset:48128
	ds_read_b64 v[24:25], v29 offset:48128
	s_waitcnt vmcnt(0)
	v_perm_b32 v18, v2, v6, s0
	s_waitcnt lgkmcnt(3)
	v_mfma_f32_16x16x16_bf16 a[0:3], v[40:41], v[32:33], a[0:3]
	s_mov_b32 s1, 0x3020706
	v_perm_b32 v2, v2, v6, s1
	v_perm_b32 v6, v10, v14, s1
	s_waitcnt lgkmcnt(2)
	v_mfma_f32_16x16x16_bf16 a[4:7], v[40:41], v[36:37], a[4:7]
	v_mfma_f32_16x16x16_bf16 a[0:3], v[26:27], v[34:35], a[0:3]
	;; [unrolled: 1-line block ×3, first 2 shown]
	s_waitcnt lgkmcnt(1)
	v_mfma_f32_16x16x16_bf16 a[4:7], v[44:45], v[20:21], a[0:3]
	v_perm_b32 v20, v10, v14, s0
	ds_write2st64_b32 v0, v18, v20 offset0:32 offset1:64
	v_xor_b32_e32 v18, 8, v0
	v_add_u32_e32 v10, 0x80, v18
	ds_write2st64_b32 v10, v2, v6 offset0:32 offset1:64
	v_xor_b32_e32 v2, 16, v0
	v_perm_b32 v6, v3, v7, s0
	v_perm_b32 v10, v11, v15, s0
	ds_write2st64_b32 v2, v6, v10 offset0:33 offset1:65
	v_xor_b32_e32 v2, 24, v0
	v_perm_b32 v3, v3, v7, s1
	v_perm_b32 v6, v11, v15, s1
	v_add_u32_e32 v2, 0x80, v2
	ds_write2st64_b32 v2, v3, v6 offset0:33 offset1:65
	v_xor_b32_e32 v2, 32, v0
	v_perm_b32 v3, v4, v8, s0
	v_perm_b32 v6, v12, v16, s0
	s_waitcnt lgkmcnt(4)
	v_mfma_f32_16x16x16_bf16 a[0:3], v[44:45], v[24:25], a[8:11]
	ds_write2st64_b32 v2, v3, v6 offset0:34 offset1:66
	v_xor_b32_e32 v2, 40, v0
	v_perm_b32 v3, v4, v8, s1
	v_perm_b32 v4, v12, v16, s1
	v_add_u32_e32 v2, 0x80, v2
	ds_write2st64_b32 v2, v3, v4 offset0:34 offset1:66
	v_xor_b32_e32 v2, 48, v0
	v_perm_b32 v3, v5, v9, s0
	v_perm_b32 v4, v13, v17, s0
	v_xor_b32_e32 v0, 56, v0
	v_and_or_b32 v21, v30, 12, v1
	ds_write2st64_b32 v2, v3, v4 offset0:35 offset1:67
	v_perm_b32 v2, v5, v9, s1
	v_perm_b32 v3, v13, v17, s1
	v_add_u32_e32 v0, 0x80, v0
	v_cmp_gt_i32_e32 vcc, s47, v21
	v_mov_b32_e32 v16, 0
	v_mov_b32_e32 v18, 0
	ds_write2st64_b32 v0, v2, v3 offset0:35 offset1:67
	s_and_saveexec_b64 s[0:1], vcc
	s_cbranch_execz .LBB311_60
; %bb.59:
	v_add_u32_e32 v0, s38, v21
	v_ashrrev_i32_e32 v1, 31, v0
	v_mul_lo_u32 v2, v1, s34
	v_mul_lo_u32 v3, v0, s35
	v_mad_u64_u32 v[0:1], s[2:3], v0, s34, 0
	v_add3_u32 v1, v1, v3, v2
	v_lshl_add_u64 v[0:1], v[0:1], 2, s[10:11]
	global_load_dword v0, v[0:1], off
	s_waitcnt vmcnt(0)
	v_sub_f32_e32 v0, s12, v0
	v_exp_f32_e32 v18, v0
.LBB311_60:
	s_or_b64 exec, exec, s[0:1]
	v_or_b32_e32 v10, 1, v21
	v_cmp_gt_i32_e64 s[2:3], s47, v10
	s_and_saveexec_b64 s[0:1], s[2:3]
	s_cbranch_execz .LBB311_62
; %bb.61:
	v_add_u32_e32 v0, s38, v10
	v_ashrrev_i32_e32 v1, 31, v0
	v_mul_lo_u32 v2, v1, s34
	v_mul_lo_u32 v3, v0, s35
	v_mad_u64_u32 v[0:1], s[4:5], v0, s34, 0
	v_add3_u32 v1, v1, v3, v2
	v_lshl_add_u64 v[0:1], v[0:1], 2, s[10:11]
	global_load_dword v0, v[0:1], off
	s_waitcnt vmcnt(0)
	v_sub_f32_e32 v0, s12, v0
	v_exp_f32_e32 v16, v0
.LBB311_62:
	s_or_b64 exec, exec, s[0:1]
	v_or_b32_e32 v12, 2, v21
	v_cmp_gt_i32_e64 s[0:1], s47, v12
	v_mov_b32_e32 v17, 0
	v_mov_b32_e32 v20, 0
	s_and_saveexec_b64 s[4:5], s[0:1]
	s_cbranch_execz .LBB311_64
; %bb.63:
	v_add_u32_e32 v0, s38, v12
	v_ashrrev_i32_e32 v1, 31, v0
	v_mul_lo_u32 v2, v1, s34
	v_mul_lo_u32 v3, v0, s35
	v_mad_u64_u32 v[0:1], s[6:7], v0, s34, 0
	v_add3_u32 v1, v1, v3, v2
	v_lshl_add_u64 v[0:1], v[0:1], 2, s[10:11]
	global_load_dword v0, v[0:1], off
	s_waitcnt vmcnt(0)
	v_sub_f32_e32 v0, s12, v0
	v_exp_f32_e32 v20, v0
.LBB311_64:
	s_or_b64 exec, exec, s[4:5]
	v_or_b32_e32 v14, 3, v21
	v_cmp_gt_i32_e64 s[4:5], s47, v14
	s_and_saveexec_b64 s[6:7], s[4:5]
	s_cbranch_execz .LBB311_66
; %bb.65:
	v_add_u32_e32 v0, s38, v14
	v_ashrrev_i32_e32 v1, 31, v0
	v_mul_lo_u32 v2, v1, s34
	v_mul_lo_u32 v3, v0, s35
	v_mad_u64_u32 v[0:1], s[16:17], v0, s34, 0
	v_add3_u32 v1, v1, v3, v2
	v_lshl_add_u64 v[0:1], v[0:1], 2, s[10:11]
	global_load_dword v0, v[0:1], off
	s_waitcnt vmcnt(0)
	v_sub_f32_e32 v0, s12, v0
	v_exp_f32_e32 v17, v0
.LBB311_66:
	s_or_b64 exec, exec, s[6:7]
	s_add_u32 s6, s8, s28
	v_or_b32_e32 v4, s36, v42
	s_addc_u32 s7, s9, s29
	s_add_u32 s8, s14, s28
	v_ashrrev_i32_e32 v5, 31, v4
	v_accvgpr_read_b32 v0, a4
	s_addc_u32 s9, s15, s29
	v_lshlrev_b64 v[4:5], 1, v[4:5]
	v_accvgpr_read_b32 v1, a5
	v_accvgpr_read_b32 v2, a6
	;; [unrolled: 1-line block ×3, first 2 shown]
	v_lshl_add_u64 v[6:7], s[6:7], 0, v[4:5]
	v_lshl_add_u64 v[4:5], s[8:9], 0, v[4:5]
	v_mov_b32_e32 v11, 0
	v_lshlrev_b32_e32 v8, 8, v21
	v_mov_b32_e32 v9, 0
	s_and_saveexec_b64 s[6:7], vcc
	s_cbranch_execz .LBB311_68
; %bb.67:
	v_mov_b32_e32 v9, 0
	v_lshl_add_u64 v[24:25], v[6:7], 0, v[8:9]
	global_load_ushort v13, v[24:25], off
	v_lshl_add_u64 v[24:25], v[4:5], 0, v[8:9]
	s_waitcnt vmcnt(0)
	v_lshlrev_b32_e32 v9, 16, v13
	v_sub_f32_e32 v0, v9, v0
	global_store_short_d16_hi v[24:25], v0, off
	v_mul_f32_e32 v0, v18, v0
	v_lshrrev_b32_e32 v9, 16, v0
.LBB311_68:
	s_or_b64 exec, exec, s[6:7]
	v_lshlrev_b32_e32 v10, 8, v10
	s_and_saveexec_b64 s[6:7], s[2:3]
	s_cbranch_execz .LBB311_70
; %bb.69:
	v_mov_b32_e32 v11, 0
	v_lshl_add_u64 v[24:25], v[6:7], 0, v[10:11]
	global_load_ushort v0, v[24:25], off
	v_lshl_add_u64 v[24:25], v[4:5], 0, v[10:11]
	s_waitcnt vmcnt(0)
	v_lshlrev_b32_e32 v0, 16, v0
	v_sub_f32_e32 v0, v0, v1
	global_store_short_d16_hi v[24:25], v0, off
	v_mul_f32_e32 v0, v16, v0
	v_lshrrev_b32_e32 v11, 16, v0
.LBB311_70:
	s_or_b64 exec, exec, s[6:7]
	v_mov_b32_e32 v15, 0
	v_lshlrev_b32_e32 v12, 8, v12
	v_mov_b32_e32 v13, 0
	s_and_saveexec_b64 s[6:7], s[0:1]
	s_cbranch_execz .LBB311_72
; %bb.71:
	v_mov_b32_e32 v13, 0
	v_lshl_add_u64 v[0:1], v[6:7], 0, v[12:13]
	global_load_ushort v23, v[0:1], off
	v_lshl_add_u64 v[0:1], v[4:5], 0, v[12:13]
	s_waitcnt vmcnt(0)
	v_lshlrev_b32_e32 v13, 16, v23
	v_sub_f32_e32 v2, v13, v2
	global_store_short_d16_hi v[0:1], v2, off
	v_mul_f32_e32 v0, v20, v2
	v_lshrrev_b32_e32 v13, 16, v0
.LBB311_72:
	s_or_b64 exec, exec, s[6:7]
	v_lshlrev_b32_e32 v14, 8, v14
	s_and_saveexec_b64 s[6:7], s[4:5]
	s_cbranch_execz .LBB311_74
; %bb.73:
	v_mov_b32_e32 v15, 0
	v_lshl_add_u64 v[0:1], v[6:7], 0, v[14:15]
	global_load_ushort v2, v[0:1], off
	v_lshl_add_u64 v[0:1], v[4:5], 0, v[14:15]
	s_waitcnt vmcnt(0)
	v_lshlrev_b32_e32 v2, 16, v2
	v_sub_f32_e32 v2, v2, v3
	global_store_short_d16_hi v[0:1], v2, off
	v_mul_f32_e32 v0, v17, v2
	v_lshrrev_b32_e32 v15, 16, v0
.LBB311_74:
	s_or_b64 exec, exec, s[6:7]
	v_lshlrev_b32_e32 v21, 5, v21
	s_mov_b32 s6, 0x5040100
	v_perm_b32 v24, v11, v9, s6
	v_or_b32_e32 v9, v21, v22
	v_accvgpr_read_b32 v0, a0
	v_perm_b32 v25, v15, v13, s6
	v_lshlrev_b32_e32 v9, 1, v9
	v_accvgpr_read_b32 v1, a1
	v_accvgpr_read_b32 v2, a2
	;; [unrolled: 1-line block ×3, first 2 shown]
	ds_write_b64 v9, v[24:25] offset:45056
	v_mov_b32_e32 v11, 0
	v_mov_b32_e32 v9, 0
	s_and_saveexec_b64 s[6:7], vcc
	s_cbranch_execz .LBB311_76
; %bb.75:
	v_mov_b32_e32 v9, 0
	v_lshl_add_u64 v[22:23], v[6:7], 0, v[8:9]
	global_load_ushort v13, v[22:23], off offset:32
	v_lshl_add_u64 v[8:9], v[4:5], 0, v[8:9]
	s_waitcnt vmcnt(0)
	v_lshlrev_b32_e32 v13, 16, v13
	v_sub_f32_e32 v0, v13, v0
	global_store_short_d16_hi v[8:9], v0, off offset:32
	v_mul_f32_e32 v0, v18, v0
	v_lshrrev_b32_e32 v9, 16, v0
.LBB311_76:
	s_or_b64 exec, exec, s[6:7]
	s_and_saveexec_b64 s[6:7], s[2:3]
	s_cbranch_execz .LBB311_78
; %bb.77:
	v_mov_b32_e32 v11, 0
	v_lshl_add_u64 v[22:23], v[6:7], 0, v[10:11]
	global_load_ushort v0, v[22:23], off offset:32
	v_lshl_add_u64 v[10:11], v[4:5], 0, v[10:11]
	s_waitcnt vmcnt(0)
	v_lshlrev_b32_e32 v0, 16, v0
	v_sub_f32_e32 v0, v0, v1
	global_store_short_d16_hi v[10:11], v0, off offset:32
	v_mul_f32_e32 v0, v16, v0
	v_lshrrev_b32_e32 v11, 16, v0
.LBB311_78:
	s_or_b64 exec, exec, s[6:7]
	v_mov_b32_e32 v0, 0
	v_mov_b32_e32 v1, 0
	s_and_saveexec_b64 s[2:3], s[0:1]
	s_cbranch_execz .LBB311_80
; %bb.79:
	v_mov_b32_e32 v13, 0
	v_lshl_add_u64 v[22:23], v[6:7], 0, v[12:13]
	global_load_ushort v1, v[22:23], off offset:32
	v_lshl_add_u64 v[12:13], v[4:5], 0, v[12:13]
	s_waitcnt vmcnt(0)
	v_lshlrev_b32_e32 v1, 16, v1
	v_sub_f32_e32 v1, v1, v2
	global_store_short_d16_hi v[12:13], v1, off offset:32
	v_mul_f32_e32 v1, v20, v1
	v_lshrrev_b32_e32 v1, 16, v1
.LBB311_80:
	s_or_b64 exec, exec, s[2:3]
	s_and_saveexec_b64 s[0:1], s[4:5]
	s_cbranch_execz .LBB311_82
; %bb.81:
	v_mov_b32_e32 v15, 0
	v_lshl_add_u64 v[6:7], v[6:7], 0, v[14:15]
	global_load_ushort v0, v[6:7], off offset:32
	v_lshl_add_u64 v[4:5], v[4:5], 0, v[14:15]
	s_waitcnt vmcnt(0)
	v_lshlrev_b32_e32 v0, 16, v0
	v_sub_f32_e32 v0, v0, v3
	global_store_short_d16_hi v[4:5], v0, off offset:32
	v_mul_f32_e32 v0, v17, v0
	v_lshrrev_b32_e32 v0, 16, v0
.LBB311_82:
	s_or_b64 exec, exec, s[0:1]
	s_mov_b32 s0, 0x5040100
	v_or_b32_e32 v2, v21, v19
	v_perm_b32 v1, v0, v1, s0
	v_perm_b32 v0, v11, v9, s0
	v_lshlrev_b32_e32 v2, 1, v2
	ds_write_b64 v2, v[0:1] offset:45056
	s_waitcnt lgkmcnt(0)
	s_barrier
.LBB311_83:
	s_endpgm
	.section	.rodata,"a",@progbits
	.p2align	6, 0x0
	.amdhsa_kernel _ZN12_GLOBAL__N_139chunk_gated_delta_rule_fwd_h_hip_kernelILi32ELb0ELb0ELb1ELb1ELb1ELb0ELb0ELb1EEEvPK12hip_bfloat16S3_S3_PKfS5_PKvPS1_S8_PvPKiSB_iiiiilll
		.amdhsa_group_segment_fixed_size 49152
		.amdhsa_private_segment_fixed_size 0
		.amdhsa_kernarg_size 136
		.amdhsa_user_sgpr_count 2
		.amdhsa_user_sgpr_dispatch_ptr 0
		.amdhsa_user_sgpr_queue_ptr 0
		.amdhsa_user_sgpr_kernarg_segment_ptr 1
		.amdhsa_user_sgpr_dispatch_id 0
		.amdhsa_user_sgpr_kernarg_preload_length 0
		.amdhsa_user_sgpr_kernarg_preload_offset 0
		.amdhsa_user_sgpr_private_segment_size 0
		.amdhsa_uses_dynamic_stack 0
		.amdhsa_enable_private_segment 0
		.amdhsa_system_sgpr_workgroup_id_x 1
		.amdhsa_system_sgpr_workgroup_id_y 1
		.amdhsa_system_sgpr_workgroup_id_z 0
		.amdhsa_system_sgpr_workgroup_info 0
		.amdhsa_system_vgpr_workitem_id 0
		.amdhsa_next_free_vgpr 152
		.amdhsa_next_free_sgpr 62
		.amdhsa_accum_offset 132
		.amdhsa_reserve_vcc 1
		.amdhsa_float_round_mode_32 0
		.amdhsa_float_round_mode_16_64 0
		.amdhsa_float_denorm_mode_32 3
		.amdhsa_float_denorm_mode_16_64 3
		.amdhsa_dx10_clamp 1
		.amdhsa_ieee_mode 1
		.amdhsa_fp16_overflow 0
		.amdhsa_tg_split 0
		.amdhsa_exception_fp_ieee_invalid_op 0
		.amdhsa_exception_fp_denorm_src 0
		.amdhsa_exception_fp_ieee_div_zero 0
		.amdhsa_exception_fp_ieee_overflow 0
		.amdhsa_exception_fp_ieee_underflow 0
		.amdhsa_exception_fp_ieee_inexact 0
		.amdhsa_exception_int_div_zero 0
	.end_amdhsa_kernel
	.section	.text._ZN12_GLOBAL__N_139chunk_gated_delta_rule_fwd_h_hip_kernelILi32ELb0ELb0ELb1ELb1ELb1ELb0ELb0ELb1EEEvPK12hip_bfloat16S3_S3_PKfS5_PKvPS1_S8_PvPKiSB_iiiiilll,"axG",@progbits,_ZN12_GLOBAL__N_139chunk_gated_delta_rule_fwd_h_hip_kernelILi32ELb0ELb0ELb1ELb1ELb1ELb0ELb0ELb1EEEvPK12hip_bfloat16S3_S3_PKfS5_PKvPS1_S8_PvPKiSB_iiiiilll,comdat
.Lfunc_end311:
	.size	_ZN12_GLOBAL__N_139chunk_gated_delta_rule_fwd_h_hip_kernelILi32ELb0ELb0ELb1ELb1ELb1ELb0ELb0ELb1EEEvPK12hip_bfloat16S3_S3_PKfS5_PKvPS1_S8_PvPKiSB_iiiiilll, .Lfunc_end311-_ZN12_GLOBAL__N_139chunk_gated_delta_rule_fwd_h_hip_kernelILi32ELb0ELb0ELb1ELb1ELb1ELb0ELb0ELb1EEEvPK12hip_bfloat16S3_S3_PKfS5_PKvPS1_S8_PvPKiSB_iiiiilll
                                        ; -- End function
	.section	.AMDGPU.csdata,"",@progbits
; Kernel info:
; codeLenInByte = 8528
; NumSgprs: 68
; NumVgprs: 132
; NumAgprs: 20
; TotalNumVgprs: 152
; ScratchSize: 0
; MemoryBound: 0
; FloatMode: 240
; IeeeMode: 1
; LDSByteSize: 49152 bytes/workgroup (compile time only)
; SGPRBlocks: 8
; VGPRBlocks: 18
; NumSGPRsForWavesPerEU: 68
; NumVGPRsForWavesPerEU: 152
; AccumOffset: 132
; Occupancy: 1
; WaveLimiterHint : 1
; COMPUTE_PGM_RSRC2:SCRATCH_EN: 0
; COMPUTE_PGM_RSRC2:USER_SGPR: 2
; COMPUTE_PGM_RSRC2:TRAP_HANDLER: 0
; COMPUTE_PGM_RSRC2:TGID_X_EN: 1
; COMPUTE_PGM_RSRC2:TGID_Y_EN: 1
; COMPUTE_PGM_RSRC2:TGID_Z_EN: 0
; COMPUTE_PGM_RSRC2:TIDIG_COMP_CNT: 0
; COMPUTE_PGM_RSRC3_GFX90A:ACCUM_OFFSET: 32
; COMPUTE_PGM_RSRC3_GFX90A:TG_SPLIT: 0
	.section	.text._ZN12_GLOBAL__N_139chunk_gated_delta_rule_fwd_h_hip_kernelILi32ELb0ELb0ELb0ELb1ELb1ELb0ELb0ELb1EEEvPK12hip_bfloat16S3_S3_PKfS5_PKvPS1_S8_PvPKiSB_iiiiilll,"axG",@progbits,_ZN12_GLOBAL__N_139chunk_gated_delta_rule_fwd_h_hip_kernelILi32ELb0ELb0ELb0ELb1ELb1ELb0ELb0ELb1EEEvPK12hip_bfloat16S3_S3_PKfS5_PKvPS1_S8_PvPKiSB_iiiiilll,comdat
	.globl	_ZN12_GLOBAL__N_139chunk_gated_delta_rule_fwd_h_hip_kernelILi32ELb0ELb0ELb0ELb1ELb1ELb0ELb0ELb1EEEvPK12hip_bfloat16S3_S3_PKfS5_PKvPS1_S8_PvPKiSB_iiiiilll ; -- Begin function _ZN12_GLOBAL__N_139chunk_gated_delta_rule_fwd_h_hip_kernelILi32ELb0ELb0ELb0ELb1ELb1ELb0ELb0ELb1EEEvPK12hip_bfloat16S3_S3_PKfS5_PKvPS1_S8_PvPKiSB_iiiiilll
	.p2align	8
	.type	_ZN12_GLOBAL__N_139chunk_gated_delta_rule_fwd_h_hip_kernelILi32ELb0ELb0ELb0ELb1ELb1ELb0ELb0ELb1EEEvPK12hip_bfloat16S3_S3_PKfS5_PKvPS1_S8_PvPKiSB_iiiiilll,@function
_ZN12_GLOBAL__N_139chunk_gated_delta_rule_fwd_h_hip_kernelILi32ELb0ELb0ELb0ELb1ELb1ELb0ELb0ELb1EEEvPK12hip_bfloat16S3_S3_PKfS5_PKvPS1_S8_PvPKiSB_iiiiilll: ; @_ZN12_GLOBAL__N_139chunk_gated_delta_rule_fwd_h_hip_kernelILi32ELb0ELb0ELb0ELb1ELb1ELb0ELb0ELb1EEEvPK12hip_bfloat16S3_S3_PKfS5_PKvPS1_S8_PvPKiSB_iiiiilll
; %bb.0:
	s_load_dwordx4 s[12:15], s[0:1], 0x5c
	s_load_dwordx4 s[16:19], s[0:1], 0x70
	s_abs_i32 s21, s3
	s_ashr_i32 s20, s3, 31
	s_load_dwordx2 s[36:37], s[0:1], 0x30
	s_load_dwordx4 s[24:27], s[0:1], 0x48
	s_waitcnt lgkmcnt(0)
	s_abs_i32 s28, s13
	v_cvt_f32_u32_e32 v1, s28
	s_sub_i32 s22, 0, s28
	s_ashr_i32 s29, s13, 31
	s_xor_b32 s20, s20, s29
	v_rcp_iflag_f32_e32 v1, v1
	s_load_dwordx8 s[4:11], s[0:1], 0x0
	v_lshrrev_b32_e32 v42, 6, v0
	v_bfe_u32 v43, v0, 4, 2
	v_mul_f32_e32 v1, 0x4f7ffffe, v1
	v_cvt_u32_f32_e32 v1, v1
	v_lshlrev_b32_e32 v2, 2, v43
	v_and_b32_e32 v41, 63, v0
	v_and_b32_e32 v40, 15, v0
	v_readfirstlane_b32 s23, v1
	s_mul_i32 s22, s22, s23
	s_mul_hi_u32 s22, s23, s22
	s_add_i32 s23, s23, s22
	s_mul_hi_u32 s22, s21, s23
	s_mul_i32 s23, s22, s28
	s_sub_i32 s21, s21, s23
	s_add_i32 s30, s22, 1
	s_sub_i32 s23, s21, s28
	s_cmp_ge_u32 s21, s28
	s_cselect_b32 s22, s30, s22
	s_cselect_b32 s21, s23, s21
	s_add_i32 s23, s22, 1
	s_cmp_ge_u32 s21, s28
	s_cselect_b32 s21, s23, s22
	s_xor_b32 s21, s21, s20
	s_sub_i32 s20, s21, s20
	s_mul_i32 s21, s20, s13
	s_sub_i32 s33, s3, s21
	s_ashr_i32 s21, s20, 31
	s_lshl_b64 s[22:23], s[20:21], 2
	s_add_u32 s24, s24, s22
	s_addc_u32 s25, s25, s23
	s_add_u32 s22, s26, s22
	s_addc_u32 s23, s27, s23
	s_abs_i32 s3, s14
	v_cvt_f32_u32_e32 v1, s3
	s_load_dwordx2 s[34:35], s[24:25], 0x0
	s_sub_i32 s25, 0, s3
	s_load_dword s45, s[22:23], 0x0
	v_rcp_iflag_f32_e32 v1, v1
	v_mov_b32_e32 v3, 0
	s_waitcnt lgkmcnt(0)
	s_sub_i32 s44, s35, s34
	s_ashr_i32 s24, s44, 31
	v_mul_f32_e32 v1, 0x4f7ffffe, v1
	v_cvt_u32_f32_e32 v1, v1
	s_lshr_b32 s24, s24, 26
	s_add_i32 s24, s44, s24
	s_ashr_i32 s43, s24, 6
	v_readfirstlane_b32 s26, v1
	s_mul_i32 s25, s25, s26
	s_mul_hi_u32 s25, s26, s25
	s_add_i32 s26, s26, s25
	s_mul_hi_u32 s25, s28, s26
	s_mul_i32 s26, s25, s3
	s_ashr_i32 s24, s14, 31
	s_sub_i32 s26, s28, s26
	s_xor_b32 s24, s29, s24
	s_add_i32 s27, s25, 1
	s_sub_i32 s28, s26, s3
	s_cmp_ge_u32 s26, s3
	s_cselect_b32 s25, s27, s25
	s_cselect_b32 s26, s28, s26
	s_add_i32 s27, s25, 1
	s_cmp_ge_u32 s26, s3
	s_cselect_b32 s3, s27, s25
	s_xor_b32 s3, s3, s24
	s_sub_i32 s3, s3, s24
	s_abs_i32 s24, s3
	v_cvt_f32_u32_e32 v1, s24
	s_load_dwordx2 s[28:29], s[0:1], 0x80
	s_xor_b32 s0, s33, s3
	s_sub_i32 s3, 0, s24
	v_rcp_iflag_f32_e32 v1, v1
	s_abs_i32 s1, s33
	s_ashr_i32 s0, s0, 31
	s_mul_hi_i32 s46, s33, s12
	v_mul_f32_e32 v1, 0x4f7ffffe, v1
	v_cvt_u32_f32_e32 v1, v1
	s_mul_i32 s47, s33, s12
	v_lshrrev_b32_e32 v45, 3, v41
	v_lshlrev_b32_e32 v44, 3, v0
	v_readfirstlane_b32 s22, v1
	s_mul_i32 s3, s3, s22
	s_mul_hi_u32 s3, s22, s3
	s_add_i32 s22, s22, s3
	s_mul_hi_u32 s3, s1, s22
	s_mul_i32 s22, s3, s24
	s_sub_i32 s1, s1, s22
	s_add_i32 s22, s3, 1
	s_sub_i32 s23, s1, s24
	s_cmp_ge_u32 s1, s24
	s_cselect_b32 s3, s22, s3
	s_cselect_b32 s1, s23, s1
	s_add_i32 s22, s3, 1
	s_cmp_ge_u32 s1, s24
	s_cselect_b32 s1, s22, s3
	s_xor_b32 s1, s1, s0
	v_lshlrev_b32_e32 v1, 4, v42
	s_sub_i32 s48, s1, s0
	v_or_b32_e32 v46, v2, v1
	s_lshl_b32 s30, s2, 5
	v_or_b32_e32 v47, 64, v46
	s_cmp_lt_i32 s44, 64
	s_mul_i32 s40, s20, s17
	s_mul_hi_u32 s41, s20, s16
	s_mul_i32 s42, s21, s16
	s_mul_i32 s16, s20, s16
	v_mov_b32_e32 v64, 0
	v_mov_b32_e32 v62, 0
	;; [unrolled: 1-line block ×15, first 2 shown]
	s_cbranch_scc1 .LBB312_18
; %bb.1:
	s_ashr_i32 s51, s33, 31
	s_ashr_i32 s1, s34, 31
	s_add_u32 s0, s47, s34
	s_addc_u32 s1, s46, s1
	s_lshl_b64 s[0:1], s[0:1], 8
	v_and_b32_e32 v49, 56, v44
	s_add_u32 s0, s6, s0
	v_lshl_or_b32 v48, v42, 3, v45
	v_lshlrev_b32_e32 v3, 1, v49
	s_addc_u32 s1, s7, s1
	v_lshl_or_b32 v50, v48, 8, v3
	s_and_b32 s1, s1, 0xffff
	s_mov_b32 s3, 0x20000
	s_movk_i32 s2, 0x4000
	s_movk_i32 s17, 0x80
	v_or_b32_e32 v51, 0x2000, v50
	buffer_load_dwordx4 v[4:7], v50, s[0:3], 0 offen
	buffer_load_dwordx4 v[8:11], v50, s[0:3], s17 offen
	;; [unrolled: 1-line block ×4, first 2 shown]
	v_lshlrev_b32_e32 v20, 3, v48
	v_and_or_b32 v22, v0, 7, v20
	v_and_b32_e32 v20, 0x78, v20
	v_lshlrev_b32_e32 v22, 4, v22
	v_xor_b32_e32 v52, v22, v20
	v_mul_lo_u32 v21, v48, s15
	v_or_b32_e32 v53, 0x1000, v52
	s_cmpk_eq_i32 s15, 0x80
	s_mov_b32 s49, s13
	s_mov_b32 s50, s34
	v_xor_b32_e32 v20, 8, v52
	v_xor_b32_e32 v22, 8, v53
	s_cselect_b64 s[0:1], -1, 0
	s_cmpk_lg_i32 s15, 0x80
	s_waitcnt vmcnt(3)
	ds_write_b64 v52, v[4:5] offset:24576
	ds_write_b64 v20, v[6:7] offset:24576
	s_waitcnt vmcnt(2)
	ds_write_b64 v52, v[8:9] offset:32768
	ds_write_b64 v20, v[10:11] offset:32768
	;; [unrolled: 3-line block ×4, first 2 shown]
	v_lshl_add_u32 v4, v21, 1, v49
	s_cbranch_scc0 .LBB312_3
; %bb.2:
	v_lshlrev_b32_e32 v6, 1, v4
	v_add_lshl_u32 v5, v4, s15, 1
	s_lshl_b32 s22, s15, 7
	v_lshl_or_b32 v3, v48, 9, v3
	s_cbranch_execz .LBB312_4
	s_branch .LBB312_5
.LBB312_3:
                                        ; implicit-def: $vgpr5
                                        ; implicit-def: $vgpr6
                                        ; implicit-def: $sgpr22
	v_lshl_or_b32 v3, v48, 9, v3
.LBB312_4:
	v_or_b32_e32 v5, 0x100, v3
	s_movk_i32 s22, 0x4000
	v_mov_b32_e32 v6, v3
.LBB312_5:
	s_mul_i32 s2, s34, s14
	s_ashr_i32 s52, s48, 31
	s_mul_hi_i32 s3, s34, s14
	s_add_u32 s2, s2, s48
	s_addc_u32 s3, s3, s52
	s_lshl_b64 s[2:3], s[2:3], 8
	s_add_u32 s20, s4, s2
	s_addc_u32 s2, s5, s3
	s_and_b32 s21, s2, 0xffff
	s_mov_b32 s23, 0x20000
	s_movk_i32 s53, 0x80
	buffer_load_dwordx4 v[8:11], v6, s[20:23], 0 offen
	buffer_load_dwordx4 v[12:15], v6, s[20:23], s53 offen
	;; [unrolled: 1-line block ×4, first 2 shown]
	v_and_b32_e32 v5, 6, v0
	v_lshlrev_b32_e32 v24, 6, v46
	v_or_b32_e32 v26, 16, v40
	v_xor_b32_e32 v27, v48, v5
	v_and_b32_e32 v6, 1, v0
	s_mul_i32 s2, s33, s19
	s_mul_hi_u32 s3, s33, s18
	v_lshl_or_b32 v30, v40, 3, v24
	v_lshl_or_b32 v24, v26, 3, v24
	v_lshlrev_b32_e32 v27, 2, v27
	s_add_i32 s17, s41, s40
	v_lshlrev_b32_e32 v7, 2, v40
	s_mul_i32 s20, s51, s18
	v_or_b32_e32 v56, 0xa000, v24
	v_or_b32_e32 v57, 0xb000, v24
	v_xor_b32_e32 v24, 0x440, v27
	v_cmp_eq_u32_e32 vcc, 0, v6
	s_add_i32 s2, s3, s2
	s_add_i32 s17, s17, s42
	v_xor_b32_e32 v28, v46, v7
	v_xor_b32_e32 v29, v47, v7
	v_cndmask_b32_e32 v6, v24, v27, vcc
	s_add_i32 s3, s2, s20
	s_lshl_b64 s[20:21], s[16:17], 2
	s_mov_b32 s54, 0x1000504
	v_lshlrev_b32_e32 v25, 8, v40
	v_lshlrev_b32_e32 v26, 8, v26
	;; [unrolled: 1-line block ×4, first 2 shown]
	v_lshl_or_b32 v5, v5, 10, v6
	s_mul_i32 s2, s33, s18
	s_add_u32 s17, s10, s20
	s_mov_b32 s55, 0x3020706
	v_or_b32_e32 v54, 0xa000, v30
	v_or_b32_e32 v55, 0xb000, v30
	;; [unrolled: 1-line block ×5, first 2 shown]
	v_xor_b32_e32 v6, 8, v5
	v_xor_b32_e32 v25, 24, v5
	;; [unrolled: 1-line block ×4, first 2 shown]
	s_addc_u32 s20, s11, s21
	s_lshl_b64 s[2:3], s[2:3], 2
	v_or_b32_e32 v60, v26, v28
	v_xor_b32_e32 v24, 16, v5
	v_xor_b32_e32 v26, 32, v5
	;; [unrolled: 1-line block ×3, first 2 shown]
	v_add_u32_e32 v6, 0x80, v6
	v_add_u32_e32 v25, 0x80, v25
	;; [unrolled: 1-line block ×4, first 2 shown]
	s_add_u32 s2, s17, s2
	s_addc_u32 s3, s20, s3
	s_movk_i32 s20, 0xf8
	s_ashr_i32 s31, s30, 31
	s_lshl_b32 s26, s15, 7
	s_movk_i32 s24, 0x100
	v_mov_b32_e32 v35, 0
	v_lshlrev_b32_e32 v34, 4, v40
	v_cmp_gt_u32_e32 vcc, s24, v0
	s_mov_b32 s56, 0
	s_movk_i32 s17, 0x1000
	s_movk_i32 s22, 0x4000
	v_add_u32_e32 v91, v1, v2
	v_mov_b32_e32 v73, v35
	v_mov_b32_e32 v72, v35
	;; [unrolled: 1-line block ×13, first 2 shown]
	s_waitcnt vmcnt(1)
	v_perm_b32 v30, v8, v16, s54
	s_waitcnt vmcnt(0)
	v_perm_b32 v31, v12, v20, s54
	v_perm_b32 v8, v8, v16, s55
	;; [unrolled: 1-line block ×15, first 2 shown]
	ds_write2st64_b32 v5, v30, v31 offset0:32 offset1:64
	ds_write2st64_b32 v6, v8, v12 offset0:32 offset1:64
	;; [unrolled: 1-line block ×8, first 2 shown]
	v_or_b32_e32 v5, v1, v40
	v_lshlrev_b32_e32 v5, 3, v5
	v_lshrrev_b32_e32 v8, 5, v41
	v_and_or_b32 v8, v5, s20, v8
	v_lshlrev_b32_e32 v8, 4, v8
	v_lshlrev_b32_e32 v9, 11, v42
	v_and_b32_e32 v5, 0x78, v5
	v_or_b32_e32 v13, 32, v8
	v_and_b32_e32 v6, 0x1000, v9
	v_lshrrev_b32_e32 v11, 1, v0
	v_xor_b32_e32 v13, v13, v5
	v_and_b32_e32 v12, 8, v11
	v_or_b32_e32 v13, v13, v6
	v_xor_b32_e32 v10, v8, v5
	v_xor_b32_e32 v76, v13, v12
	v_or_b32_e32 v13, 64, v8
	v_or_b32_e32 v8, 0x60, v8
	v_xor_b32_e32 v13, v13, v5
	v_xor_b32_e32 v5, v8, v5
	v_or_b32_e32 v10, v10, v6
	v_or_b32_e32 v13, v13, v6
	;; [unrolled: 1-line block ×3, first 2 shown]
	s_lshl_b64 s[20:21], s[30:31], 8
	v_xor_b32_e32 v71, v10, v12
	v_xor_b32_e32 v78, v13, v12
	;; [unrolled: 1-line block ×3, first 2 shown]
	v_lshlrev_b32_e32 v12, 1, v4
	v_add_lshl_u32 v13, v4, s15, 1
	s_add_u32 s20, s36, s20
	v_lshlrev_b32_e32 v4, 1, v40
	v_lshrrev_b32_e32 v15, 4, v0
	s_addc_u32 s21, s37, s21
	v_or_b32_e32 v5, 1, v4
	v_mov_b32_e32 v19, 0x4000
	v_mov_b32_e32 v20, 0x2000
	v_xor_b32_e32 v16, v15, v4
	v_xor_b32_e32 v17, v5, v15
	v_lshl_add_u64 v[4:5], s[20:21], 0, v[34:35]
	v_lshlrev_b32_e32 v34, 8, v15
	v_cndmask_b32_e32 v19, v19, v20, vcc
	v_lshlrev_b32_e32 v20, 3, v42
	v_and_b32_e32 v11, 24, v11
	v_lshl_or_b32 v82, v16, 3, v34
	v_and_b32_e32 v16, 8, v0
	v_xor_b32_e32 v21, v20, v11
	v_or_b32_e32 v22, 0x440, v21
	v_cmp_eq_u32_e32 vcc, 0, v16
	v_and_b32_e32 v15, 7, v0
	v_lshlrev_b32_e32 v10, 7, v43
	v_cndmask_b32_e32 v16, v22, v21, vcc
	v_lshl_or_b32 v83, v17, 3, v34
	v_lshlrev_b32_e32 v17, 3, v15
	v_lshlrev_b32_e32 v15, 7, v15
	;; [unrolled: 1-line block ×3, first 2 shown]
	v_or_b32_e32 v16, v16, v9
	v_or_b32_e32 v7, v10, v7
	v_xad_u32 v84, v16, v17, v15
	v_and_or_b32 v10, v18, 60, v10
	v_mov_b32_e32 v16, 0xb000
	v_lshl_or_b32 v85, v10, 1, v16
	v_or_b32_e32 v10, 32, v11
	v_xor_b32_e32 v10, v20, v10
	v_or_b32_e32 v16, 0x440, v10
	v_cndmask_b32_e32 v10, v16, v10, vcc
	v_or_b32_e32 v10, v10, v9
	v_xad_u32 v86, v10, v17, v15
	v_or_b32_e32 v10, 64, v11
	v_xor_b32_e32 v10, v20, v10
	v_xor_b32_e32 v16, 0x440, v10
	v_cndmask_b32_e32 v10, v16, v10, vcc
	v_or_b32_e32 v10, v10, v9
	v_xad_u32 v87, v10, v17, v15
	v_or_b32_e32 v10, 0x60, v11
	v_xor_b32_e32 v10, v20, v10
	v_xor_b32_e32 v11, 0x440, v10
	v_cndmask_b32_e32 v10, v11, v10, vcc
	v_lshlrev_b32_e32 v7, 1, v7
	v_or_b32_e32 v6, s30, v40
	v_or_b32_e32 v9, v10, v9
	;; [unrolled: 1-line block ×6, first 2 shown]
	v_lshlrev_b32_e32 v8, 7, v46
	v_ashrrev_i32_e32 v7, 31, v6
	v_or_b32_e32 v14, 0x100, v3
	v_xad_u32 v88, v9, v17, v15
	v_cndmask_b32_e64 v89, v12, v3, s[0:1]
	v_cndmask_b32_e64 v90, v13, v14, s[0:1]
	v_lshl_add_u64 v[36:37], v[6:7], 1, s[8:9]
	v_lshl_add_u64 v[38:39], v[4:5], 0, v[34:35]
	s_mov_b32 s31, 0x7060302
	v_lshlrev_b32_e32 v34, 1, v8
	v_add_u32_e32 v92, v19, v84
	v_add_u32_e32 v93, v19, v86
	;; [unrolled: 1-line block ×4, first 2 shown]
	v_mov_b32_e32 v62, v35
	v_mov_b32_e32 v64, v35
	;; [unrolled: 1-line block ×3, first 2 shown]
	s_waitcnt lgkmcnt(0)
	s_barrier
.LBB312_6:                              ; =>This Inner Loop Header: Depth=1
	s_add_i32 s57, s56, 1
	s_cmp_lt_i32 s57, s43
	s_mov_b64 s[24:25], 0
	s_cselect_b64 s[38:39], -1, 0
	s_cmp_ge_i32 s57, s43
	s_mov_b64 s[20:21], 0
	s_cbranch_scc1 .LBB312_8
; %bb.7:                                ;   in Loop: Header=BB312_6 Depth=1
	s_add_i32 s0, s50, 64
	s_ashr_i32 s1, s0, 31
	s_add_u32 s0, s47, s0
	s_addc_u32 s1, s46, s1
	s_lshl_b64 s[0:1], s[0:1], 8
	s_add_u32 s20, s6, s0
	s_addc_u32 s21, s7, s1
.LBB312_8:                              ;   in Loop: Header=BB312_6 Depth=1
	v_cndmask_b32_e64 v2, 0, 1, s[38:39]
	v_cmp_ne_u32_e64 s[0:1], 1, v2
	s_andn2_b64 vcc, exec, s[38:39]
	s_cbranch_vccnz .LBB312_10
; %bb.9:                                ;   in Loop: Header=BB312_6 Depth=1
	s_add_i32 s24, s50, 64
	s_mul_hi_i32 s25, s24, s14
	s_mul_i32 s24, s24, s14
	s_add_u32 s24, s24, s48
	s_addc_u32 s25, s25, s52
	s_lshl_b64 s[24:25], s[24:25], 8
	s_add_u32 s24, s4, s24
	s_addc_u32 s25, s5, s25
.LBB312_10:                             ;   in Loop: Header=BB312_6 Depth=1
	v_perm_b32 v3, v98, v74, s31
	v_perm_b32 v2, v72, v73, s31
	;; [unrolled: 1-line block ×4, first 2 shown]
	ds_write_b64 v54, v[2:3]
	ds_write_b64 v55, v[4:5]
	;; [unrolled: 1-line block ×4, first 2 shown]
	v_perm_b32 v3, v99, v67, s31
	v_perm_b32 v2, v65, v66, s31
	;; [unrolled: 1-line block ×4, first 2 shown]
	ds_write_b64 v56, v[2:3]
	ds_write_b64 v57, v[4:5]
	;; [unrolled: 1-line block ×4, first 2 shown]
	s_waitcnt lgkmcnt(0)
	s_barrier
	ds_read_b64 v[6:7], v71 offset:24576
	ds_read2_b64 v[2:5], v75 offset1:16
	ds_read_b64 v[10:11], v77 offset:3072
	ds_read_b64 v[12:13], v75 offset:3072
	;; [unrolled: 1-line block ×3, first 2 shown]
	s_waitcnt lgkmcnt(3)
	v_mfma_f32_16x16x16_bf16 a[0:3], v[6:7], v[2:3], 0
	s_add_i32 s27, s50, 63
	s_ashr_i32 s38, s27, 31
	s_mul_i32 s39, s27, s29
	v_mfma_f32_16x16x16_bf16 a[4:7], v[6:7], v[4:5], 0
	ds_read2st64_b64 v[2:5], v75 offset0:2 offset1:4
	s_mul_hi_u32 s58, s27, s28
	s_add_i32 s39, s58, s39
	s_waitcnt lgkmcnt(0)
	v_mfma_f32_16x16x16_bf16 a[0:3], v[14:15], v[2:3], a[0:3]
	ds_read2st64_b64 v[6:9], v77 offset0:2 offset1:4
	ds_read_b64 v[2:3], v78 offset:24576
	s_mul_i32 s38, s38, s28
	s_add_i32 s39, s39, s38
	s_waitcnt lgkmcnt(1)
	v_mfma_f32_16x16x16_bf16 a[4:7], v[14:15], v[6:7], a[4:7]
	ds_read_b64 v[6:7], v79 offset:24576
	s_mul_i32 s38, s27, s28
	s_lshl_b64 s[38:39], s[38:39], 2
	s_waitcnt lgkmcnt(1)
	v_mfma_f32_16x16x16_bf16 a[0:3], v[2:3], v[4:5], a[0:3]
	s_add_u32 s38, s2, s38
	s_addc_u32 s39, s3, s39
	s_and_b64 vcc, exec, s[0:1]
	v_mfma_f32_16x16x16_bf16 a[4:7], v[2:3], v[8:9], a[4:7]
	v_mov_b32_e32 v102, 0
	v_mov_b32_e32 v101, 0
	;; [unrolled: 1-line block ×3, first 2 shown]
	s_waitcnt lgkmcnt(0)
	v_mfma_f32_16x16x16_bf16 a[0:3], v[6:7], v[12:13], a[0:3]
	v_mov_b32_e32 v2, 0
	v_mov_b32_e32 v3, 0
	;; [unrolled: 1-line block ×3, first 2 shown]
	v_mfma_f32_16x16x16_bf16 a[4:7], v[6:7], v[10:11], a[4:7]
	v_mov_b32_e32 v5, 0
	v_mov_b32_e32 v6, 0
	;; [unrolled: 1-line block ×13, first 2 shown]
	s_cbranch_vccnz .LBB312_12
; %bb.11:                               ;   in Loop: Header=BB312_6 Depth=1
	s_and_b32 s21, s21, 0xffff
	buffer_load_dwordx4 v[14:17], v50, s[20:23], 0 offen
	buffer_load_dwordx4 v[10:13], v50, s[20:23], s53 offen
	;; [unrolled: 1-line block ×4, first 2 shown]
	v_mov_b32_e32 v101, v52
	v_mov_b32_e32 v100, v53
.LBB312_12:                             ;   in Loop: Header=BB312_6 Depth=1
	s_waitcnt vmcnt(4)
	ds_read_b64 v[22:23], v71 offset:32768
	s_waitcnt vmcnt(2)
	ds_read2_b64 v[18:21], v80 offset1:16
	ds_read_b64 v[26:27], v76 offset:32768
	ds_read_b64 v[28:29], v78 offset:32768
	;; [unrolled: 1-line block ×3, first 2 shown]
	v_add_u32_e32 v103, s50, v91
	s_waitcnt lgkmcnt(3)
	v_mfma_f32_16x16x16_bf16 a[0:3], v[22:23], v[18:19], a[0:3]
	v_mfma_f32_16x16x16_bf16 a[4:7], v[22:23], v[20:21], a[4:7]
	ds_read2st64_b64 v[18:21], v80 offset0:2 offset1:4
	ds_read2st64_b64 v[22:25], v81 offset0:2 offset1:4
	s_waitcnt lgkmcnt(1)
	v_mfma_f32_16x16x16_bf16 a[0:3], v[26:27], v[18:19], a[0:3]
	ds_read_b64 v[18:19], v80 offset:3072
	ds_read_b64 v[32:33], v81 offset:3072
	s_waitcnt lgkmcnt(2)
	v_mfma_f32_16x16x16_bf16 a[4:7], v[26:27], v[22:23], a[4:7]
	v_ashrrev_i32_e32 v22, 31, v103
	v_mul_lo_u32 v23, v103, s29
	v_mul_lo_u32 v22, v22, s28
	v_mfma_f32_16x16x16_bf16 a[0:3], v[28:29], v[20:21], a[0:3]
	v_mad_u64_u32 v[20:21], s[20:21], v103, s28, 0
	v_add3_u32 v21, v21, v23, v22
	v_add_u32_e32 v22, 1, v103
	v_ashrrev_i32_e32 v23, 31, v22
	v_mfma_f32_16x16x16_bf16 a[4:7], v[28:29], v[24:25], a[4:7]
	v_mul_lo_u32 v23, v23, s28
	v_mul_lo_u32 v24, v22, s29
	v_lshl_add_u64 v[20:21], v[20:21], 2, s[2:3]
	s_waitcnt lgkmcnt(1)
	v_mfma_f32_16x16x16_bf16 a[0:3], v[30:31], v[18:19], a[0:3]
	v_mad_u64_u32 v[18:19], s[20:21], v22, s28, 0
	v_add_u32_e32 v22, 2, v103
	v_add3_u32 v19, v19, v24, v23
	v_ashrrev_i32_e32 v23, 31, v22
	v_mul_lo_u32 v24, v23, s28
	v_mul_lo_u32 v25, v22, s29
	v_mad_u64_u32 v[22:23], s[20:21], v22, s28, 0
	v_add3_u32 v23, v23, v25, v24
	v_add_u32_e32 v24, 3, v103
	v_ashrrev_i32_e32 v25, 31, v24
	v_mul_lo_u32 v26, v25, s28
	v_mul_lo_u32 v27, v24, s29
	v_mad_u64_u32 v[24:25], s[20:21], v24, s28, 0
	v_add3_u32 v25, v25, v27, v26
	v_lshl_add_u64 v[24:25], v[24:25], 2, s[2:3]
	s_ashr_i32 s21, s50, 31
	v_lshl_add_u64 v[18:19], v[18:19], 2, s[2:3]
	v_lshl_add_u64 v[22:23], v[22:23], 2, s[2:3]
	global_load_dword v26, v[20:21], off
	global_load_dword v27, v[18:19], off
	;; [unrolled: 1-line block ×3, first 2 shown]
	s_nop 0
	global_load_dword v25, v[24:25], off
	s_add_u32 s20, s47, s50
	s_addc_u32 s21, s46, s21
	s_lshl_b64 s[20:21], s[20:21], 8
	v_lshl_add_u64 v[18:19], v[36:37], 0, s[20:21]
	v_lshl_add_u64 v[18:19], v[18:19], 0, v[34:35]
	global_load_ushort v29, v[18:19], off
	global_load_ushort v103, v[18:19], off offset:256
	global_load_ushort v104, v[18:19], off offset:800
	;; [unrolled: 1-line block ×7, first 2 shown]
	s_load_dword s20, s[38:39], 0x0
	s_waitcnt lgkmcnt(0)
	v_mfma_f32_16x16x16_bf16 a[4:7], v[30:31], v[32:33], a[4:7]
	v_accvgpr_read_b32 v23, a1
	v_accvgpr_read_b32 v19, a3
	;; [unrolled: 1-line block ×4, first 2 shown]
	s_and_b64 vcc, exec, s[0:1]
	s_waitcnt vmcnt(11)
	v_sub_f32_e32 v24, s20, v26
	s_waitcnt vmcnt(10)
	v_sub_f32_e32 v32, s20, v27
	;; [unrolled: 2-line block ×4, first 2 shown]
	v_exp_f32_e32 v24, v24
	v_exp_f32_e32 v25, v32
	;; [unrolled: 1-line block ×4, first 2 shown]
	s_waitcnt vmcnt(6)
	v_lshlrev_b32_e32 v27, 16, v103
	v_lshlrev_b32_e32 v26, 16, v29
	s_waitcnt vmcnt(4)
	v_lshlrev_b32_e32 v29, 16, v105
	s_waitcnt vmcnt(2)
	v_lshlrev_b32_e32 v28, 16, v107
	v_pk_add_f32 v[22:23], v[26:27], v[22:23] neg_lo:[0,1] neg_hi:[0,1]
	v_pk_add_f32 v[18:19], v[28:29], v[18:19] neg_lo:[0,1] neg_hi:[0,1]
	v_pk_mul_f32 v[22:23], v[24:25], v[22:23]
	v_pk_mul_f32 v[18:19], v[32:33], v[18:19]
	s_waitcnt vmcnt(1)
	v_lshlrev_b32_e32 v31, 16, v108
	v_perm_b32 v19, v19, v18, s31
	v_perm_b32 v18, v23, v22, s31
	v_accvgpr_read_b32 v23, a5
	s_waitcnt vmcnt(0)
	v_lshlrev_b32_e32 v30, 16, v109
	v_accvgpr_read_b32 v22, a4
	v_pk_add_f32 v[22:23], v[30:31], v[22:23] neg_lo:[0,1] neg_hi:[0,1]
	v_accvgpr_read_b32 v21, a7
	v_accvgpr_read_b32 v20, a6
	v_pk_mul_f32 v[22:23], v[24:25], v[22:23]
	v_lshlrev_b32_e32 v25, 16, v104
	v_lshlrev_b32_e32 v24, 16, v106
	v_pk_add_f32 v[20:21], v[24:25], v[20:21] neg_lo:[0,1] neg_hi:[0,1]
	v_mov_b32_e32 v103, 0
	v_pk_mul_f32 v[20:21], v[32:33], v[20:21]
	v_mov_b32_e32 v24, 0
	v_perm_b32 v21, v21, v20, s31
	v_perm_b32 v20, v23, v22, s31
	ds_write2_b64 v55, v[18:19], v[20:21] offset1:16
	v_mov_b32_e32 v18, 0
	v_mov_b32_e32 v19, 0
	;; [unrolled: 1-line block ×15, first 2 shown]
	s_cbranch_vccnz .LBB312_14
; %bb.13:                               ;   in Loop: Header=BB312_6 Depth=1
	s_and_b32 s25, s25, 0xffff
	s_mov_b32 s27, s23
	buffer_load_dwordx4 v[30:33], v89, s[24:27], 0 offen
	buffer_load_dwordx4 v[22:25], v89, s[24:27], s53 offen
	;; [unrolled: 1-line block ×4, first 2 shown]
	v_mov_b32_e32 v102, v49
	v_mov_b32_e32 v103, v48
.LBB312_14:                             ;   in Loop: Header=BB312_6 Depth=1
	s_waitcnt lgkmcnt(0)
	s_barrier
	ds_read_b64 v[108:109], v92
	ds_read_b64 v[116:117], v85
	ds_read_b64 v[112:113], v93
	ds_read_b64 v[118:119], v94
	ds_read_b64 v[120:121], v95
	ds_read_b64 v[122:123], v86 offset:16384
	ds_read_b64 v[124:125], v84 offset:16384
	ds_read2_b64 v[104:107], v80 offset0:16 offset1:128
	s_waitcnt lgkmcnt(6)
	v_mfma_f32_16x16x16_bf16 a[0:3], v[108:109], v[116:117], 0
	ds_read_b64 v[126:127], v81 offset:3072
	ds_read_b64 v[128:129], v88 offset:16384
	s_add_i32 s21, s45, s56
	s_waitcnt lgkmcnt(2)
	v_mfma_f32_16x16x16_bf16 a[4:7], v[108:109], v[104:105], 0
	ds_read2st64_b64 v[108:111], v81 offset0:2 offset1:4
	s_mul_hi_i32 s25, s21, s49
	s_mul_i32 s21, s21, s49
	v_mfma_f32_16x16x16_bf16 a[0:3], v[112:113], v[106:107], a[0:3]
	s_add_u32 s24, s21, s33
	s_addc_u32 s25, s25, s51
	s_lshl_b64 s[24:25], s[24:25], 15
	s_waitcnt lgkmcnt(0)
	v_mfma_f32_16x16x16_bf16 a[4:7], v[112:113], v[108:109], a[4:7]
	ds_read2st64_b64 v[112:115], v80 offset0:4 offset1:6
	s_waitcnt lgkmcnt(0)
	v_mfma_f32_16x16x16_bf16 a[0:3], v[118:119], v[112:113], a[0:3]
	v_mfma_f32_16x16x16_bf16 a[8:11], v[118:119], v[110:111], a[4:7]
	;; [unrolled: 1-line block ×5, first 2 shown]
	ds_read2st64_b64 v[116:119], v83 offset1:8
	v_mfma_f32_16x16x16_bf16 a[12:15], v[124:125], v[104:105], 0
	ds_read_b64 v[124:125], v87 offset:16384
	v_mfma_f32_16x16x16_bf16 a[8:11], v[122:123], v[106:107], a[8:11]
	ds_read2st64_b64 v[104:107], v82 offset1:8
	s_waitcnt lgkmcnt(0)
	v_mov_b32_e32 v120, v104
	v_mfma_f32_16x16x16_bf16 a[12:15], v[122:123], v[108:109], a[12:15]
	v_lshl_add_u64 v[108:109], v[38:39], 0, s[24:25]
	v_add_co_u32_e32 v104, vcc, s17, v108
	v_mfma_f32_16x16x16_bf16 a[8:11], v[124:125], v[112:113], a[8:11]
	v_mov_b32_e32 v121, v105
	v_addc_co_u32_e32 v105, vcc, 0, v109, vcc
	v_mfma_f32_16x16x16_bf16 a[16:19], v[124:125], v[110:111], a[12:15]
	v_mov_b32_e32 v122, v116
	v_mov_b32_e32 v123, v117
	;; [unrolled: 1-line block ×3, first 2 shown]
	v_mfma_f32_16x16x16_bf16 a[12:15], v[128:129], v[114:115], a[8:11]
	v_mov_b32_e32 v117, v107
	s_and_b64 vcc, exec, s[0:1]
	global_store_dwordx4 v[108:109], v[120:123], off
	v_mfma_f32_16x16x16_bf16 a[8:11], v[128:129], v[126:127], a[16:19]
	global_store_dwordx4 v[104:105], v[116:119], off
	s_cbranch_vccnz .LBB312_16
; %bb.15:                               ;   in Loop: Header=BB312_6 Depth=1
	v_lshrrev_b32_e32 v104, 3, v102
	v_and_b32_e32 v104, 6, v104
	v_xor_b32_e32 v103, v104, v103
	v_lshlrev_b32_e32 v103, 2, v103
	v_and_b32_e32 v102, 8, v102
	v_xor_b32_e32 v105, 0x440, v103
	v_cmp_eq_u32_e32 vcc, 0, v102
	s_barrier
	s_nop 0
	v_cndmask_b32_e32 v102, v105, v103, vcc
	v_lshl_or_b32 v102, v104, 10, v102
	s_waitcnt vmcnt(3)
	v_perm_b32 v103, v30, v26, s54
	s_waitcnt vmcnt(2)
	v_perm_b32 v104, v22, v18, s54
	ds_write2st64_b32 v102, v103, v104 offset0:32 offset1:64
	v_xor_b32_e32 v103, 8, v102
	v_perm_b32 v26, v30, v26, s55
	v_perm_b32 v18, v22, v18, s55
	v_add_u32_e32 v22, 0x80, v103
	ds_write2st64_b32 v22, v26, v18 offset0:32 offset1:64
	v_xor_b32_e32 v18, 16, v102
	v_perm_b32 v22, v31, v27, s54
	v_perm_b32 v26, v23, v19, s54
	ds_write2st64_b32 v18, v22, v26 offset0:33 offset1:65
	v_xor_b32_e32 v18, 24, v102
	v_perm_b32 v22, v31, v27, s55
	v_perm_b32 v19, v23, v19, s55
	v_add_u32_e32 v18, 0x80, v18
	ds_write2st64_b32 v18, v22, v19 offset0:33 offset1:65
	v_xor_b32_e32 v18, 32, v102
	v_perm_b32 v19, v32, v28, s54
	v_perm_b32 v22, v24, v20, s54
	ds_write2st64_b32 v18, v19, v22 offset0:34 offset1:66
	v_xor_b32_e32 v18, 40, v102
	v_perm_b32 v19, v32, v28, s55
	v_perm_b32 v20, v24, v20, s55
	v_add_u32_e32 v18, 0x80, v18
	ds_write2st64_b32 v18, v19, v20 offset0:34 offset1:66
	v_xor_b32_e32 v18, 48, v102
	v_perm_b32 v19, v33, v29, s54
	v_perm_b32 v20, v25, v21, s54
	ds_write2st64_b32 v18, v19, v20 offset0:35 offset1:67
	v_xor_b32_e32 v18, 56, v102
	v_perm_b32 v19, v33, v29, s55
	v_perm_b32 v20, v25, v21, s55
	v_add_u32_e32 v18, 0x80, v18
	ds_write2st64_b32 v18, v19, v20 offset0:35 offset1:67
	ds_write_b64 v101, v[14:15] offset:24576
	v_xor_b32_e32 v14, 8, v101
	ds_write_b64 v14, v[16:17] offset:24576
	ds_write_b64 v101, v[10:11] offset:32768
	;; [unrolled: 1-line block ×4, first 2 shown]
	v_xor_b32_e32 v6, 8, v100
	ds_write_b64 v6, v[8:9] offset:24576
	ds_write_b64 v100, v[2:3] offset:32768
	;; [unrolled: 1-line block ×3, first 2 shown]
.LBB312_16:                             ;   in Loop: Header=BB312_6 Depth=1
	v_exp_f32_e32 v2, s20
	v_accvgpr_read_b32 v3, a4
	v_accvgpr_read_b32 v4, a5
	;; [unrolled: 1-line block ×3, first 2 shown]
	v_fma_f32 v73, v73, v2, v3
	v_accvgpr_read_b32 v3, a6
	v_fma_f32 v74, v74, v2, v3
	v_accvgpr_read_b32 v3, a0
	;; [unrolled: 2-line block ×11, first 2 shown]
	v_accvgpr_read_b32 v6, a15
	v_fma_f32 v64, v64, v2, v3
	v_accvgpr_read_b32 v3, a11
	s_add_i32 s50, s50, 64
	v_fmac_f32_e32 v5, v98, v2
	v_fmac_f32_e32 v4, v99, v2
	;; [unrolled: 1-line block ×3, first 2 shown]
	s_cmp_eq_u32 s43, s57
	v_fmac_f32_e32 v3, v97, v2
	s_cbranch_scc1 .LBB312_18
; %bb.17:                               ;   in Loop: Header=BB312_6 Depth=1
	s_mov_b32 s56, s57
	v_mov_b32_e32 v98, v5
	v_mov_b32_e32 v96, v6
	;; [unrolled: 1-line block ×4, first 2 shown]
	s_branch .LBB312_6
.LBB312_18:
	s_lshl_b32 s0, s43, 6
	s_sub_i32 s44, s44, s0
	s_cmp_gt_i32 s44, 0
	s_cbranch_scc0 .LBB312_83
; %bb.19:
	s_add_i32 s34, s0, s34
	s_ashr_i32 s2, s34, 31
	s_cmpk_lg_i32 s15, 0x80
	s_cselect_b64 s[26:27], -1, 0
	s_and_b64 vcc, exec, s[26:27]
	s_cbranch_vccz .LBB312_21
; %bb.20:
	s_mul_i32 s1, s34, s14
	s_ashr_i32 s3, s48, 31
	s_mul_hi_i32 s0, s34, s14
	s_add_u32 s38, s1, s48
	s_addc_u32 s39, s0, s3
	s_cbranch_execz .LBB312_22
	s_branch .LBB312_23
.LBB312_21:
                                        ; implicit-def: $sgpr38_sgpr39
.LBB312_22:
	s_mul_i32 s1, s48, s12
	s_mul_hi_i32 s0, s48, s12
	s_add_u32 s38, s1, s34
	s_addc_u32 s39, s0, s2
.LBB312_23:
	s_add_i32 s3, s43, s45
	s_ashr_i32 s12, s33, 31
	s_add_u32 s0, s47, s34
	s_addc_u32 s1, s46, s2
	v_lshlrev_b32_e32 v10, 5, v46
	s_waitcnt vmcnt(4)
	v_lshlrev_b32_e32 v22, 2, v40
	s_mov_b32 s2, 0x7060302
	v_xor_b32_e32 v2, v46, v22
	v_perm_b32 v9, v5, v74, s2
	v_or_b32_e32 v5, v10, v22
	v_perm_b32 v8, v72, v73, s2
	v_perm_b32 v7, v6, v70, s2
	;; [unrolled: 1-line block ×3, first 2 shown]
	v_lshlrev_b32_e32 v5, 1, v5
	v_lshlrev_b32_e32 v12, 1, v2
	;; [unrolled: 1-line block ×3, first 2 shown]
	s_lshl_b64 s[24:25], s[0:1], 8
	v_xor_b32_e32 v11, v47, v22
	ds_write2st64_b64 v5, v[8:9], v[6:7] offset0:80 offset1:88
	v_or_b32_e32 v5, v12, v2
	s_add_u32 s0, s6, s24
	ds_write_b64 v5, v[8:9]
	v_lshlrev_b32_e32 v8, 1, v11
	s_addc_u32 s1, s7, s25
	v_or_b32_e32 v2, v8, v2
	s_mul_hi_i32 s6, s3, s13
	s_mul_i32 s3, s3, s13
	ds_write_b64 v2, v[6:7]
	v_perm_b32 v5, v4, v67, s2
	v_perm_b32 v4, v65, v66, s2
	;; [unrolled: 1-line block ×4, first 2 shown]
	v_or_b32_e32 v6, 16, v40
	s_add_u32 s2, s3, s33
	s_waitcnt vmcnt(2)
	v_lshlrev_b32_e32 v19, 2, v6
	s_addc_u32 s3, s6, s12
	v_or_b32_e32 v7, v10, v19
	s_ashr_i32 s31, s30, 31
	s_lshl_b64 s[2:3], s[2:3], 15
	v_lshlrev_b32_e32 v7, 1, v7
	v_lshlrev_b32_e32 v6, 8, v6
	s_add_u32 s6, s36, s2
	ds_write2st64_b64 v7, v[4:5], v[2:3] offset0:80 offset1:88
	v_or_b32_e32 v7, v12, v6
	s_addc_u32 s7, s37, s3
	s_lshl_b64 s[2:3], s[30:31], 8
	ds_write_b64 v7, v[4:5]
	v_or_b32_e32 v4, v8, v6
	s_add_u32 s2, s6, s2
	ds_write_b64 v4, v[2:3]
	v_lshrrev_b32_e32 v2, 4, v0
	s_addc_u32 s3, s7, s3
	v_lshlrev_b32_e32 v3, 1, v40
	v_lshlrev_b32_e32 v10, 4, v40
	v_mov_b32_e32 v11, 0
	v_or_b32_e32 v4, 1, v3
	v_xor_b32_e32 v3, v2, v3
	v_lshl_add_u64 v[12:13], s[2:3], 0, v[10:11]
	v_lshlrev_b32_e32 v10, 8, v2
	v_xor_b32_e32 v6, v4, v2
	v_lshl_or_b32 v2, v3, 3, v10
	s_waitcnt lgkmcnt(0)
	s_barrier
	ds_read2st64_b64 v[2:5], v2 offset1:8
	v_lshl_or_b32 v6, v6, 3, v10
	ds_read2st64_b64 v[6:9], v6 offset1:8
	v_lshl_add_u64 v[14:15], v[12:13], 0, v[10:11]
	s_movk_i32 s2, 0x1000
	s_waitcnt lgkmcnt(1)
	v_mov_b32_e32 v10, v2
	v_add_co_u32_e32 v2, vcc, s2, v14
	s_cmp_lg_u32 s44, 64
	v_mov_b32_e32 v11, v3
	v_addc_co_u32_e32 v3, vcc, 0, v15, vcc
	s_cselect_b64 s[6:7], -1, 0
	v_lshl_or_b32 v23, v42, 3, v45
	s_waitcnt lgkmcnt(0)
	v_mov_b32_e32 v12, v6
	v_mov_b32_e32 v13, v7
	;; [unrolled: 1-line block ×4, first 2 shown]
	s_mov_b32 s20, 0
	v_or_b32_e32 v20, 32, v23
	v_and_b32_e32 v18, 56, v44
	s_and_b64 vcc, exec, s[6:7]
	global_store_dwordx4 v[14:15], v[10:13], off
	global_store_dwordx4 v[2:3], v[6:9], off
	s_cbranch_vccz .LBB312_29
; %bb.24:
	s_mov_b32 s21, s20
	s_mov_b32 s22, s20
	;; [unrolled: 1-line block ×3, first 2 shown]
	v_mov_b64_e32 v[6:7], s[20:21]
	v_mov_b64_e32 v[8:9], s[22:23]
	;; [unrolled: 1-line block ×3, first 2 shown]
	v_cmp_gt_i32_e32 vcc, s44, v23
	v_mov_b64_e32 v[4:5], v[8:9]
	s_and_saveexec_b64 s[2:3], vcc
	s_cbranch_execz .LBB312_26
; %bb.25:
	v_lshlrev_b32_e32 v2, 8, v23
	v_mov_b32_e32 v3, 0
	v_lshl_add_u64 v[4:5], s[0:1], 0, v[2:3]
	v_lshlrev_b32_e32 v2, 1, v18
	v_lshl_add_u64 v[10:11], v[4:5], 0, v[2:3]
	global_load_dwordx4 v[6:9], v[10:11], off
	global_load_dwordx4 v[2:5], v[10:11], off offset:128
.LBB312_26:
	s_or_b64 exec, exec, s[2:3]
	s_mov_b32 s21, s20
	s_mov_b32 s22, s20
	;; [unrolled: 1-line block ×3, first 2 shown]
	v_mov_b64_e32 v[14:15], s[20:21]
	v_mov_b64_e32 v[16:17], s[22:23]
	;; [unrolled: 1-line block ×3, first 2 shown]
	v_cmp_gt_i32_e32 vcc, s44, v20
	v_lshlrev_b32_e32 v21, 7, v20
	v_mov_b64_e32 v[12:13], v[16:17]
	s_and_saveexec_b64 s[2:3], vcc
	s_cbranch_execz .LBB312_28
; %bb.27:
	v_lshlrev_b32_e32 v10, 1, v21
	v_mov_b32_e32 v11, 0
	v_lshl_add_u64 v[12:13], s[0:1], 0, v[10:11]
	v_lshlrev_b32_e32 v10, 1, v18
	v_lshl_add_u64 v[24:25], v[12:13], 0, v[10:11]
	global_load_dwordx4 v[14:17], v[24:25], off
	global_load_dwordx4 v[10:13], v[24:25], off offset:128
.LBB312_28:
	s_or_b64 exec, exec, s[2:3]
	v_lshrrev_b32_e32 v24, 3, v18
	v_lshlrev_b32_e32 v25, 3, v23
	v_or_b32_e32 v24, v25, v24
	v_lshlrev_b32_e32 v24, 4, v24
	v_and_b32_e32 v25, 0x78, v25
	v_xor_b32_e32 v24, v24, v25
	s_branch .LBB312_31
.LBB312_29:
                                        ; implicit-def: $vgpr24
                                        ; implicit-def: $vgpr21
                                        ; implicit-def: $vgpr6_vgpr7_vgpr8_vgpr9
                                        ; implicit-def: $vgpr2_vgpr3_vgpr4_vgpr5
                                        ; implicit-def: $vgpr14_vgpr15_vgpr16_vgpr17
                                        ; implicit-def: $vgpr10_vgpr11_vgpr12_vgpr13
	s_cbranch_execz .LBB312_31
; %bb.30:
	s_waitcnt vmcnt(0)
	v_lshlrev_b32_e32 v2, 1, v18
	v_lshl_or_b32 v21, v23, 8, v2
	s_and_b32 s1, s1, 0xffff
	s_mov_b32 s3, 0x20000
	s_movk_i32 s2, 0x4000
	v_lshl_or_b32 v24, v20, 8, v2
	s_movk_i32 s13, 0x80
	buffer_load_dwordx4 v[6:9], v21, s[0:3], 0 offen
	buffer_load_dwordx4 v[2:5], v21, s[0:3], s13 offen
	;; [unrolled: 1-line block ×4, first 2 shown]
	v_lshrrev_b32_e32 v21, 3, v18
	v_lshlrev_b32_e32 v24, 3, v23
	v_or_b32_e32 v21, v24, v21
	v_lshlrev_b32_e32 v21, 4, v21
	v_and_b32_e32 v24, 0x78, v24
	v_xor_b32_e32 v24, v21, v24
	v_lshlrev_b32_e32 v21, 7, v20
.LBB312_31:
	s_lshl_b64 s[0:1], s[38:39], 8
	s_add_u32 s4, s4, s0
	s_movk_i32 s0, 0x1000
	v_and_or_b32 v20, v21, s0, v24
	s_waitcnt vmcnt(1)
	ds_write_b64 v24, v[6:7] offset:24576
	v_xor_b32_e32 v6, 8, v24
	ds_write_b64 v6, v[8:9] offset:24576
	s_waitcnt vmcnt(0)
	ds_write_b64 v24, v[2:3] offset:32768
	ds_write_b64 v6, v[4:5] offset:32768
	ds_write_b64 v20, v[14:15] offset:24576
	v_xor_b32_e32 v2, 8, v20
	ds_write_b64 v2, v[16:17] offset:24576
	ds_write_b64 v20, v[10:11] offset:32768
	;; [unrolled: 1-line block ×3, first 2 shown]
	v_or_b32_e32 v2, v1, v40
	v_lshlrev_b32_e32 v3, 11, v42
	v_lshlrev_b32_e32 v2, 3, v2
	v_and_b32_e32 v6, 0x1000, v3
	v_lshrrev_b32_e32 v3, 5, v41
	s_movk_i32 s13, 0xf8
	v_and_or_b32 v3, v2, s13, v3
	v_lshlrev_b32_e32 v7, 4, v3
	v_and_b32_e32 v8, 0x78, v2
	v_or_b32_e32 v10, 32, v7
	v_lshrrev_b32_e32 v3, 1, v41
	v_xor_b32_e32 v10, v10, v8
	v_xor_b32_e32 v2, v7, v8
	v_and_b32_e32 v9, 8, v3
	v_or_b32_e32 v10, v10, v6
	v_or_b32_e32 v2, v2, v6
	v_xor_b32_e32 v26, v10, v9
	v_or_b32_e32 v10, 64, v7
	v_xor_b32_e32 v25, v2, v9
	v_xor_b32_e32 v10, v10, v8
	s_waitcnt lgkmcnt(0)
	s_barrier
	v_or_b32_e32 v12, v10, v6
	ds_read_b64 v[10:11], v25 offset:24576
	v_lshl_or_b32 v20, v43, 7, v22
	v_lshlrev_b32_e32 v24, 1, v20
	v_add_u32_e32 v2, 0xa000, v24
	ds_read2_b64 v[2:5], v2 offset1:16
	v_or_b32_e32 v7, 0x60, v7
	v_xor_b32_e32 v7, v7, v8
	s_waitcnt lgkmcnt(0)
	v_mfma_f32_16x16x16_bf16 a[0:3], v[10:11], v[2:3], 0
	v_or_b32_e32 v2, 64, v20
	v_or_b32_e32 v6, v7, v6
	v_lshlrev_b32_e32 v29, 1, v2
	v_xor_b32_e32 v27, v12, v9
	v_xor_b32_e32 v28, v6, v9
	ds_read_b64 v[12:13], v26 offset:24576
	ds_read_b64 v[14:15], v27 offset:24576
	;; [unrolled: 1-line block ×3, first 2 shown]
	v_mfma_f32_16x16x16_bf16 a[4:7], v[10:11], v[4:5], 0
	ds_read2st64_b64 v[2:5], v29 offset0:82 offset1:84
	ds_read2st64_b64 v[6:9], v24 offset0:82 offset1:84
	s_addc_u32 s5, s5, s1
	s_add_i32 s0, s41, s40
	s_add_i32 s2, s35, -1
	s_add_i32 s17, s0, s42
	s_mul_i32 s0, s33, s19
	s_mul_hi_u32 s1, s33, s18
	s_add_i32 s0, s1, s0
	s_mul_i32 s1, s12, s18
	s_ashr_i32 s3, s2, 31
	s_mul_i32 s12, s2, s29
	s_mul_hi_u32 s13, s2, s28
	s_add_i32 s12, s13, s12
	s_mul_i32 s3, s3, s28
	s_waitcnt lgkmcnt(1)
	v_mfma_f32_16x16x16_bf16 a[4:7], v[12:13], v[2:3], a[4:7]
	s_add_i32 s1, s0, s1
	s_add_i32 s3, s12, s3
	s_lshl_b64 s[12:13], s[16:17], 2
	s_waitcnt lgkmcnt(0)
	v_mfma_f32_16x16x16_bf16 a[0:3], v[12:13], v[6:7], a[0:3]
	s_mul_i32 s0, s33, s18
	s_add_u32 s10, s10, s12
	s_addc_u32 s11, s11, s13
	s_lshl_b64 s[0:1], s[0:1], 2
	s_mul_i32 s2, s2, s28
	s_add_u32 s10, s10, s0
	ds_read_b64 v[2:3], v24 offset:44032
	v_mfma_f32_16x16x16_bf16 a[4:7], v[14:15], v[4:5], a[4:7]
	ds_read_b64 v[4:5], v29 offset:44032
	s_addc_u32 s11, s11, s1
	s_lshl_b64 s[0:1], s[2:3], 2
	v_mfma_f32_16x16x16_bf16 a[0:3], v[14:15], v[8:9], a[0:3]
	s_add_u32 s0, s10, s0
	s_addc_u32 s1, s11, s1
	s_load_dword s12, s[0:1], 0x0
	s_waitcnt lgkmcnt(0)
	v_mfma_f32_16x16x16_bf16 a[0:3], v[16:17], v[2:3], a[0:3]
	s_and_b64 vcc, exec, s[26:27]
	v_mfma_f32_16x16x16_bf16 a[4:7], v[16:17], v[4:5], a[4:7]
	s_cbranch_vccz .LBB312_42
; %bb.32:
	v_lshlrev_b32_e32 v20, 1, v23
	s_and_b64 vcc, exec, s[6:7]
	s_cbranch_vccz .LBB312_43
; %bb.33:
	v_cmp_gt_i32_e32 vcc, s44, v20
	v_mov_b32_e32 v6, 0
	v_mov_b32_e32 v2, 0
	;; [unrolled: 1-line block ×5, first 2 shown]
	s_and_saveexec_b64 s[0:1], vcc
	s_cbranch_execz .LBB312_35
; %bb.34:
	v_mad_i64_i32 v[2:3], s[2:3], s15, v20, 0
	v_lshl_add_u64 v[2:3], v[2:3], 1, s[4:5]
	v_lshlrev_b32_e32 v4, 1, v18
	v_mov_b32_e32 v5, 0
	v_lshl_add_u64 v[2:3], v[2:3], 0, v[4:5]
	global_load_dwordx4 v[2:5], v[2:3], off
.LBB312_35:
	s_or_b64 exec, exec, s[0:1]
	v_or_b32_e32 v21, 1, v20
	v_cmp_gt_i32_e64 s[0:1], s44, v21
	v_mov_b32_e32 v7, 0
	v_mov_b32_e32 v8, 0
	;; [unrolled: 1-line block ×3, first 2 shown]
	s_and_saveexec_b64 s[2:3], s[0:1]
	s_cbranch_execz .LBB312_37
; %bb.36:
	v_mad_i64_i32 v[6:7], s[16:17], s15, v21, 0
	v_lshl_add_u64 v[6:7], v[6:7], 1, s[4:5]
	v_lshlrev_b32_e32 v8, 1, v18
	v_mov_b32_e32 v9, 0
	v_lshl_add_u64 v[6:7], v[6:7], 0, v[8:9]
	global_load_dwordx4 v[6:9], v[6:7], off
.LBB312_37:
	s_or_b64 exec, exec, s[2:3]
	v_mov_b32_e32 v17, 0
	v_mov_b32_e32 v10, 0
	;; [unrolled: 1-line block ×5, first 2 shown]
	s_and_saveexec_b64 s[2:3], vcc
	s_cbranch_execz .LBB312_39
; %bb.38:
	v_mad_i64_i32 v[10:11], s[16:17], s15, v20, 0
	v_lshl_add_u64 v[10:11], v[10:11], 1, s[4:5]
	v_lshlrev_b32_e32 v12, 1, v18
	v_mov_b32_e32 v13, 0
	v_lshl_add_u64 v[10:11], v[10:11], 0, v[12:13]
	global_load_dwordx4 v[10:13], v[10:11], off offset:128
.LBB312_39:
	s_or_b64 exec, exec, s[2:3]
	v_mov_b32_e32 v16, 0
	v_mov_b32_e32 v15, 0
	;; [unrolled: 1-line block ×3, first 2 shown]
	s_and_saveexec_b64 s[2:3], s[0:1]
	s_cbranch_execz .LBB312_41
; %bb.40:
	v_mad_i64_i32 v[14:15], s[0:1], s15, v21, 0
	v_lshl_add_u64 v[14:15], v[14:15], 1, s[4:5]
	v_lshlrev_b32_e32 v16, 1, v18
	v_mov_b32_e32 v17, 0
	v_lshl_add_u64 v[14:15], v[14:15], 0, v[16:17]
	global_load_dwordx4 v[14:17], v[14:15], off offset:128
.LBB312_41:
	s_or_b64 exec, exec, s[2:3]
	s_branch .LBB312_45
.LBB312_42:
                                        ; implicit-def: $vgpr5
                                        ; implicit-def: $vgpr9
                                        ; implicit-def: $vgpr13
                                        ; implicit-def: $vgpr17
	v_lshrrev_b32_e32 v30, 2, v41
	s_branch .LBB312_46
.LBB312_43:
                                        ; implicit-def: $vgpr5
                                        ; implicit-def: $vgpr9
                                        ; implicit-def: $vgpr13
                                        ; implicit-def: $vgpr17
	s_cbranch_execz .LBB312_45
; %bb.44:
	s_waitcnt vmcnt(0)
	v_mad_u64_u32 v[2:3], s[0:1], v20, s15, v[18:19]
	v_lshlrev_b32_e32 v20, 1, v2
	s_lshl_b32 s2, s15, 7
	s_and_b32 s1, s5, 0xffff
	s_mov_b32 s3, 0x20000
	s_mov_b32 s0, s4
	v_add_lshl_u32 v21, v2, s15, 1
	s_movk_i32 s13, 0x80
	buffer_load_dwordx4 v[2:5], v20, s[0:3], 0 offen
	buffer_load_dwordx4 v[10:13], v20, s[0:3], s13 offen
	;; [unrolled: 1-line block ×4, first 2 shown]
.LBB312_45:
	v_lshrrev_b32_e32 v30, 2, v41
	s_cbranch_execnz .LBB312_58
.LBB312_46:
	s_and_b64 vcc, exec, s[6:7]
	s_cbranch_vccz .LBB312_56
; %bb.47:
	s_waitcnt vmcnt(0)
	v_lshlrev_b32_e32 v7, 1, v23
	v_cmp_gt_i32_e32 vcc, s44, v7
	v_mov_b32_e32 v6, 0
	v_lshlrev_b32_e32 v14, 9, v23
	v_mov_b32_e32 v2, 0
	v_mov_b32_e32 v3, 0
	;; [unrolled: 1-line block ×4, first 2 shown]
	s_and_saveexec_b64 s[0:1], vcc
	s_cbranch_execz .LBB312_49
; %bb.48:
	v_mov_b32_e32 v15, 0
	v_lshl_add_u64 v[2:3], s[4:5], 0, v[14:15]
	v_lshlrev_b32_e32 v4, 1, v18
	v_mov_b32_e32 v5, v15
	v_lshl_add_u64 v[2:3], v[2:3], 0, v[4:5]
	global_load_dwordx4 v[2:5], v[2:3], off
.LBB312_49:
	s_or_b64 exec, exec, s[0:1]
	v_or_b32_e32 v7, 1, v7
	v_cmp_gt_i32_e64 s[0:1], s44, v7
	v_lshlrev_b32_e32 v20, 8, v7
	v_mov_b32_e32 v7, 0
	v_mov_b32_e32 v8, 0
	;; [unrolled: 1-line block ×3, first 2 shown]
	s_and_saveexec_b64 s[2:3], s[0:1]
	s_cbranch_execz .LBB312_51
; %bb.50:
	v_mov_b32_e32 v21, 0
	v_lshl_add_u64 v[6:7], s[4:5], 0, v[20:21]
	v_lshlrev_b32_e32 v8, 1, v18
	v_mov_b32_e32 v9, v21
	v_lshl_add_u64 v[6:7], v[6:7], 0, v[8:9]
	global_load_dwordx4 v[6:9], v[6:7], off
.LBB312_51:
	s_or_b64 exec, exec, s[2:3]
	v_mov_b32_e32 v17, 0
	v_mov_b32_e32 v10, 0
	v_mov_b32_e32 v11, 0
	v_mov_b32_e32 v12, 0
	v_mov_b32_e32 v13, 0
	s_and_saveexec_b64 s[2:3], vcc
	s_cbranch_execz .LBB312_53
; %bb.52:
	v_mov_b32_e32 v15, 0
	v_lshl_add_u64 v[10:11], s[4:5], 0, v[14:15]
	v_lshlrev_b32_e32 v14, 1, v18
	v_lshl_add_u64 v[10:11], v[10:11], 0, v[14:15]
	global_load_dwordx4 v[10:13], v[10:11], off offset:128
.LBB312_53:
	s_or_b64 exec, exec, s[2:3]
	v_mov_b32_e32 v16, 0
	v_mov_b32_e32 v15, 0
	;; [unrolled: 1-line block ×3, first 2 shown]
	s_and_saveexec_b64 s[2:3], s[0:1]
	s_cbranch_execz .LBB312_55
; %bb.54:
	v_mov_b32_e32 v21, 0
	v_lshl_add_u64 v[14:15], s[4:5], 0, v[20:21]
	v_lshlrev_b32_e32 v20, 1, v18
	v_lshl_add_u64 v[14:15], v[14:15], 0, v[20:21]
	global_load_dwordx4 v[14:17], v[14:15], off offset:128
.LBB312_55:
	s_or_b64 exec, exec, s[2:3]
	s_branch .LBB312_58
.LBB312_56:
                                        ; implicit-def: $vgpr5
                                        ; implicit-def: $vgpr9
                                        ; implicit-def: $vgpr13
                                        ; implicit-def: $vgpr17
	s_cbranch_execz .LBB312_58
; %bb.57:
	s_waitcnt vmcnt(0)
	v_lshlrev_b32_e32 v2, 1, v18
	v_lshl_or_b32 v18, v23, 9, v2
	s_and_b32 s5, s5, 0xffff
	s_mov_b32 s7, 0x20000
	s_movk_i32 s6, 0x4000
	s_movk_i32 s0, 0x80
	buffer_load_dwordx4 v[2:5], v18, s[4:7], 0 offen
	buffer_load_dwordx4 v[6:9], v18, s[4:7], 0 offen offset:256
	buffer_load_dwordx4 v[10:13], v18, s[4:7], s0 offen
	buffer_load_dwordx4 v[14:17], v18, s[4:7], s0 offen offset:256
.LBB312_58:
	ds_read_b64 v[20:21], v25 offset:32768
	v_add_u32_e32 v18, 0xb000, v24
	ds_read2_b64 v[32:35], v18 offset1:16
	ds_read_b64 v[42:43], v26 offset:32768
	ds_read_b64 v[26:27], v27 offset:32768
	;; [unrolled: 1-line block ×3, first 2 shown]
	v_and_b32_e32 v18, 6, v0
	v_xor_b32_e32 v23, v23, v18
	v_lshlrev_b32_e32 v23, 2, v23
	v_and_b32_e32 v0, 1, v0
	v_xor_b32_e32 v28, 0x440, v23
	v_cmp_eq_u32_e32 vcc, 0, v0
	s_waitcnt lgkmcnt(3)
	v_mfma_f32_16x16x16_bf16 a[0:3], v[20:21], v[32:33], a[0:3]
	s_mov_b32 s0, 0x1000504
	v_cndmask_b32_e32 v0, v28, v23, vcc
	v_lshl_or_b32 v0, v18, 10, v0
	v_mfma_f32_16x16x16_bf16 a[4:7], v[20:21], v[34:35], a[4:7]
	ds_read2st64_b64 v[32:35], v24 offset0:90 offset1:92
	ds_read2st64_b64 v[36:39], v29 offset0:90 offset1:92
	ds_read_b64 v[20:21], v24 offset:48128
	ds_read_b64 v[24:25], v29 offset:48128
	s_waitcnt vmcnt(0)
	v_perm_b32 v18, v2, v6, s0
	s_waitcnt lgkmcnt(3)
	v_mfma_f32_16x16x16_bf16 a[0:3], v[42:43], v[32:33], a[0:3]
	s_mov_b32 s1, 0x3020706
	v_perm_b32 v2, v2, v6, s1
	v_perm_b32 v6, v10, v14, s1
	s_waitcnt lgkmcnt(2)
	v_mfma_f32_16x16x16_bf16 a[4:7], v[42:43], v[36:37], a[4:7]
	v_mfma_f32_16x16x16_bf16 a[0:3], v[26:27], v[34:35], a[0:3]
	;; [unrolled: 1-line block ×3, first 2 shown]
	s_waitcnt lgkmcnt(1)
	v_mfma_f32_16x16x16_bf16 a[4:7], v[44:45], v[20:21], a[0:3]
	v_perm_b32 v20, v10, v14, s0
	ds_write2st64_b32 v0, v18, v20 offset0:32 offset1:64
	v_xor_b32_e32 v18, 8, v0
	v_add_u32_e32 v10, 0x80, v18
	ds_write2st64_b32 v10, v2, v6 offset0:32 offset1:64
	v_xor_b32_e32 v2, 16, v0
	v_perm_b32 v6, v3, v7, s0
	v_perm_b32 v10, v11, v15, s0
	ds_write2st64_b32 v2, v6, v10 offset0:33 offset1:65
	v_xor_b32_e32 v2, 24, v0
	v_perm_b32 v3, v3, v7, s1
	v_perm_b32 v6, v11, v15, s1
	v_add_u32_e32 v2, 0x80, v2
	ds_write2st64_b32 v2, v3, v6 offset0:33 offset1:65
	v_xor_b32_e32 v2, 32, v0
	v_perm_b32 v3, v4, v8, s0
	v_perm_b32 v6, v12, v16, s0
	s_waitcnt lgkmcnt(4)
	v_mfma_f32_16x16x16_bf16 a[0:3], v[44:45], v[24:25], a[8:11]
	ds_write2st64_b32 v2, v3, v6 offset0:34 offset1:66
	v_xor_b32_e32 v2, 40, v0
	v_perm_b32 v3, v4, v8, s1
	v_perm_b32 v4, v12, v16, s1
	v_add_u32_e32 v2, 0x80, v2
	ds_write2st64_b32 v2, v3, v4 offset0:34 offset1:66
	v_xor_b32_e32 v2, 48, v0
	v_perm_b32 v3, v5, v9, s0
	v_perm_b32 v4, v13, v17, s0
	v_xor_b32_e32 v0, 56, v0
	v_and_or_b32 v18, v30, 12, v1
	ds_write2st64_b32 v2, v3, v4 offset0:35 offset1:67
	v_perm_b32 v2, v5, v9, s1
	v_perm_b32 v3, v13, v17, s1
	v_add_u32_e32 v0, 0x80, v0
	v_cmp_gt_i32_e32 vcc, s44, v18
	v_mov_b32_e32 v14, 0
	v_mov_b32_e32 v16, 0
	ds_write2st64_b32 v0, v2, v3 offset0:35 offset1:67
	s_and_saveexec_b64 s[0:1], vcc
	s_cbranch_execz .LBB312_60
; %bb.59:
	v_add_u32_e32 v0, s34, v18
	v_ashrrev_i32_e32 v1, 31, v0
	v_mul_lo_u32 v2, v1, s28
	v_mul_lo_u32 v3, v0, s29
	v_mad_u64_u32 v[0:1], s[2:3], v0, s28, 0
	v_add3_u32 v1, v1, v3, v2
	v_lshl_add_u64 v[0:1], v[0:1], 2, s[10:11]
	global_load_dword v0, v[0:1], off
	s_waitcnt vmcnt(0)
	v_sub_f32_e32 v0, s12, v0
	v_exp_f32_e32 v16, v0
.LBB312_60:
	s_or_b64 exec, exec, s[0:1]
	v_or_b32_e32 v8, 1, v18
	v_cmp_gt_i32_e64 s[0:1], s44, v8
	s_and_saveexec_b64 s[2:3], s[0:1]
	s_cbranch_execz .LBB312_62
; %bb.61:
	v_add_u32_e32 v0, s34, v8
	v_ashrrev_i32_e32 v1, 31, v0
	v_mul_lo_u32 v2, v1, s28
	v_mul_lo_u32 v3, v0, s29
	v_mad_u64_u32 v[0:1], s[4:5], v0, s28, 0
	v_add3_u32 v1, v1, v3, v2
	v_lshl_add_u64 v[0:1], v[0:1], 2, s[10:11]
	global_load_dword v0, v[0:1], off
	s_waitcnt vmcnt(0)
	v_sub_f32_e32 v0, s12, v0
	v_exp_f32_e32 v14, v0
.LBB312_62:
	s_or_b64 exec, exec, s[2:3]
	v_or_b32_e32 v10, 2, v18
	v_cmp_gt_i32_e64 s[2:3], s44, v10
	v_mov_b32_e32 v15, 0
	v_mov_b32_e32 v17, 0
	s_and_saveexec_b64 s[4:5], s[2:3]
	s_cbranch_execz .LBB312_64
; %bb.63:
	v_add_u32_e32 v0, s34, v10
	v_ashrrev_i32_e32 v1, 31, v0
	v_mul_lo_u32 v2, v1, s28
	v_mul_lo_u32 v3, v0, s29
	v_mad_u64_u32 v[0:1], s[6:7], v0, s28, 0
	v_add3_u32 v1, v1, v3, v2
	v_lshl_add_u64 v[0:1], v[0:1], 2, s[10:11]
	global_load_dword v0, v[0:1], off
	s_waitcnt vmcnt(0)
	v_sub_f32_e32 v0, s12, v0
	v_exp_f32_e32 v17, v0
.LBB312_64:
	s_or_b64 exec, exec, s[4:5]
	v_or_b32_e32 v12, 3, v18
	v_cmp_gt_i32_e64 s[4:5], s44, v12
	s_and_saveexec_b64 s[6:7], s[4:5]
	s_cbranch_execz .LBB312_66
; %bb.65:
	v_add_u32_e32 v0, s34, v12
	v_ashrrev_i32_e32 v1, 31, v0
	v_mul_lo_u32 v2, v1, s28
	v_mul_lo_u32 v3, v0, s29
	v_mad_u64_u32 v[0:1], s[14:15], v0, s28, 0
	v_add3_u32 v1, v1, v3, v2
	v_lshl_add_u64 v[0:1], v[0:1], 2, s[10:11]
	global_load_dword v0, v[0:1], off
	s_waitcnt vmcnt(0)
	v_sub_f32_e32 v0, s12, v0
	v_exp_f32_e32 v15, v0
.LBB312_66:
	s_or_b64 exec, exec, s[6:7]
	v_or_b32_e32 v4, s30, v40
	s_add_u32 s6, s8, s24
	v_accvgpr_read_b32 v0, a4
	s_addc_u32 s7, s9, s25
	v_ashrrev_i32_e32 v5, 31, v4
	v_accvgpr_read_b32 v1, a5
	v_accvgpr_read_b32 v2, a6
	;; [unrolled: 1-line block ×3, first 2 shown]
	v_lshl_add_u64 v[4:5], v[4:5], 1, s[6:7]
	v_mov_b32_e32 v9, 0
	v_lshlrev_b32_e32 v6, 8, v18
	v_mov_b32_e32 v7, 0
	s_and_saveexec_b64 s[6:7], vcc
	s_cbranch_execz .LBB312_68
; %bb.67:
	v_mov_b32_e32 v7, 0
	v_lshl_add_u64 v[20:21], v[4:5], 0, v[6:7]
	global_load_ushort v7, v[20:21], off
	s_waitcnt vmcnt(0)
	v_lshlrev_b32_e32 v7, 16, v7
	v_sub_f32_e32 v0, v7, v0
	v_mul_f32_e32 v0, v16, v0
	v_lshrrev_b32_e32 v7, 16, v0
.LBB312_68:
	s_or_b64 exec, exec, s[6:7]
	v_lshlrev_b32_e32 v8, 8, v8
	s_and_saveexec_b64 s[6:7], s[0:1]
	s_cbranch_execz .LBB312_70
; %bb.69:
	v_mov_b32_e32 v9, 0
	v_lshl_add_u64 v[20:21], v[4:5], 0, v[8:9]
	global_load_ushort v0, v[20:21], off
	s_waitcnt vmcnt(0)
	v_lshlrev_b32_e32 v0, 16, v0
	v_sub_f32_e32 v0, v0, v1
	v_mul_f32_e32 v0, v14, v0
	v_lshrrev_b32_e32 v9, 16, v0
.LBB312_70:
	s_or_b64 exec, exec, s[6:7]
	v_mov_b32_e32 v13, 0
	v_lshlrev_b32_e32 v10, 8, v10
	v_mov_b32_e32 v11, 0
	s_and_saveexec_b64 s[6:7], s[2:3]
	s_cbranch_execz .LBB312_72
; %bb.71:
	v_mov_b32_e32 v11, 0
	v_lshl_add_u64 v[0:1], v[4:5], 0, v[10:11]
	global_load_ushort v0, v[0:1], off
	s_waitcnt vmcnt(0)
	v_lshlrev_b32_e32 v0, 16, v0
	v_sub_f32_e32 v0, v0, v2
	v_mul_f32_e32 v0, v17, v0
	v_lshrrev_b32_e32 v11, 16, v0
.LBB312_72:
	s_or_b64 exec, exec, s[6:7]
	v_lshlrev_b32_e32 v12, 8, v12
	s_and_saveexec_b64 s[6:7], s[4:5]
	s_cbranch_execz .LBB312_74
; %bb.73:
	v_mov_b32_e32 v13, 0
	v_lshl_add_u64 v[0:1], v[4:5], 0, v[12:13]
	global_load_ushort v0, v[0:1], off
	s_waitcnt vmcnt(0)
	v_lshlrev_b32_e32 v0, 16, v0
	v_sub_f32_e32 v0, v0, v3
	v_mul_f32_e32 v0, v15, v0
	v_lshrrev_b32_e32 v13, 16, v0
.LBB312_74:
	s_or_b64 exec, exec, s[6:7]
	v_lshlrev_b32_e32 v18, 5, v18
	s_mov_b32 s6, 0x5040100
	v_perm_b32 v20, v9, v7, s6
	v_or_b32_e32 v7, v18, v22
	v_accvgpr_read_b32 v0, a0
	v_perm_b32 v21, v13, v11, s6
	v_lshlrev_b32_e32 v7, 1, v7
	v_accvgpr_read_b32 v1, a1
	v_accvgpr_read_b32 v2, a2
	;; [unrolled: 1-line block ×3, first 2 shown]
	ds_write_b64 v7, v[20:21] offset:45056
	v_mov_b32_e32 v9, 0
	v_mov_b32_e32 v7, 0
	s_and_saveexec_b64 s[6:7], vcc
	s_cbranch_execz .LBB312_76
; %bb.75:
	v_mov_b32_e32 v7, 0
	v_lshl_add_u64 v[6:7], v[4:5], 0, v[6:7]
	global_load_ushort v6, v[6:7], off offset:32
	s_waitcnt vmcnt(0)
	v_lshlrev_b32_e32 v6, 16, v6
	v_sub_f32_e32 v0, v6, v0
	v_mul_f32_e32 v0, v16, v0
	v_lshrrev_b32_e32 v7, 16, v0
.LBB312_76:
	s_or_b64 exec, exec, s[6:7]
	s_and_saveexec_b64 s[6:7], s[0:1]
	s_cbranch_execz .LBB312_78
; %bb.77:
	v_mov_b32_e32 v9, 0
	v_lshl_add_u64 v[8:9], v[4:5], 0, v[8:9]
	global_load_ushort v0, v[8:9], off offset:32
	s_waitcnt vmcnt(0)
	v_lshlrev_b32_e32 v0, 16, v0
	v_sub_f32_e32 v0, v0, v1
	v_mul_f32_e32 v0, v14, v0
	v_lshrrev_b32_e32 v9, 16, v0
.LBB312_78:
	s_or_b64 exec, exec, s[6:7]
	v_mov_b32_e32 v0, 0
	v_mov_b32_e32 v1, 0
	s_and_saveexec_b64 s[0:1], s[2:3]
	s_cbranch_execz .LBB312_80
; %bb.79:
	v_mov_b32_e32 v11, 0
	v_lshl_add_u64 v[10:11], v[4:5], 0, v[10:11]
	global_load_ushort v1, v[10:11], off offset:32
	s_waitcnt vmcnt(0)
	v_lshlrev_b32_e32 v1, 16, v1
	v_sub_f32_e32 v1, v1, v2
	v_mul_f32_e32 v1, v17, v1
	v_lshrrev_b32_e32 v1, 16, v1
.LBB312_80:
	s_or_b64 exec, exec, s[0:1]
	s_and_saveexec_b64 s[0:1], s[4:5]
	s_cbranch_execz .LBB312_82
; %bb.81:
	v_mov_b32_e32 v13, 0
	v_lshl_add_u64 v[4:5], v[4:5], 0, v[12:13]
	global_load_ushort v0, v[4:5], off offset:32
	s_waitcnt vmcnt(0)
	v_lshlrev_b32_e32 v0, 16, v0
	v_sub_f32_e32 v0, v0, v3
	v_mul_f32_e32 v0, v15, v0
	v_lshrrev_b32_e32 v0, 16, v0
.LBB312_82:
	s_or_b64 exec, exec, s[0:1]
	s_mov_b32 s0, 0x5040100
	v_or_b32_e32 v2, v18, v19
	v_perm_b32 v1, v0, v1, s0
	v_perm_b32 v0, v9, v7, s0
	v_lshlrev_b32_e32 v2, 1, v2
	ds_write_b64 v2, v[0:1] offset:45056
	s_waitcnt lgkmcnt(0)
	s_barrier
.LBB312_83:
	s_endpgm
	.section	.rodata,"a",@progbits
	.p2align	6, 0x0
	.amdhsa_kernel _ZN12_GLOBAL__N_139chunk_gated_delta_rule_fwd_h_hip_kernelILi32ELb0ELb0ELb0ELb1ELb1ELb0ELb0ELb1EEEvPK12hip_bfloat16S3_S3_PKfS5_PKvPS1_S8_PvPKiSB_iiiiilll
		.amdhsa_group_segment_fixed_size 49152
		.amdhsa_private_segment_fixed_size 0
		.amdhsa_kernarg_size 136
		.amdhsa_user_sgpr_count 2
		.amdhsa_user_sgpr_dispatch_ptr 0
		.amdhsa_user_sgpr_queue_ptr 0
		.amdhsa_user_sgpr_kernarg_segment_ptr 1
		.amdhsa_user_sgpr_dispatch_id 0
		.amdhsa_user_sgpr_kernarg_preload_length 0
		.amdhsa_user_sgpr_kernarg_preload_offset 0
		.amdhsa_user_sgpr_private_segment_size 0
		.amdhsa_uses_dynamic_stack 0
		.amdhsa_enable_private_segment 0
		.amdhsa_system_sgpr_workgroup_id_x 1
		.amdhsa_system_sgpr_workgroup_id_y 1
		.amdhsa_system_sgpr_workgroup_id_z 0
		.amdhsa_system_sgpr_workgroup_info 0
		.amdhsa_system_vgpr_workitem_id 0
		.amdhsa_next_free_vgpr 152
		.amdhsa_next_free_sgpr 59
		.amdhsa_accum_offset 132
		.amdhsa_reserve_vcc 1
		.amdhsa_float_round_mode_32 0
		.amdhsa_float_round_mode_16_64 0
		.amdhsa_float_denorm_mode_32 3
		.amdhsa_float_denorm_mode_16_64 3
		.amdhsa_dx10_clamp 1
		.amdhsa_ieee_mode 1
		.amdhsa_fp16_overflow 0
		.amdhsa_tg_split 0
		.amdhsa_exception_fp_ieee_invalid_op 0
		.amdhsa_exception_fp_denorm_src 0
		.amdhsa_exception_fp_ieee_div_zero 0
		.amdhsa_exception_fp_ieee_overflow 0
		.amdhsa_exception_fp_ieee_underflow 0
		.amdhsa_exception_fp_ieee_inexact 0
		.amdhsa_exception_int_div_zero 0
	.end_amdhsa_kernel
	.section	.text._ZN12_GLOBAL__N_139chunk_gated_delta_rule_fwd_h_hip_kernelILi32ELb0ELb0ELb0ELb1ELb1ELb0ELb0ELb1EEEvPK12hip_bfloat16S3_S3_PKfS5_PKvPS1_S8_PvPKiSB_iiiiilll,"axG",@progbits,_ZN12_GLOBAL__N_139chunk_gated_delta_rule_fwd_h_hip_kernelILi32ELb0ELb0ELb0ELb1ELb1ELb0ELb0ELb1EEEvPK12hip_bfloat16S3_S3_PKfS5_PKvPS1_S8_PvPKiSB_iiiiilll,comdat
.Lfunc_end312:
	.size	_ZN12_GLOBAL__N_139chunk_gated_delta_rule_fwd_h_hip_kernelILi32ELb0ELb0ELb0ELb1ELb1ELb0ELb0ELb1EEEvPK12hip_bfloat16S3_S3_PKfS5_PKvPS1_S8_PvPKiSB_iiiiilll, .Lfunc_end312-_ZN12_GLOBAL__N_139chunk_gated_delta_rule_fwd_h_hip_kernelILi32ELb0ELb0ELb0ELb1ELb1ELb0ELb0ELb1EEEvPK12hip_bfloat16S3_S3_PKfS5_PKvPS1_S8_PvPKiSB_iiiiilll
                                        ; -- End function
	.section	.AMDGPU.csdata,"",@progbits
; Kernel info:
; codeLenInByte = 8296
; NumSgprs: 65
; NumVgprs: 130
; NumAgprs: 20
; TotalNumVgprs: 152
; ScratchSize: 0
; MemoryBound: 0
; FloatMode: 240
; IeeeMode: 1
; LDSByteSize: 49152 bytes/workgroup (compile time only)
; SGPRBlocks: 8
; VGPRBlocks: 18
; NumSGPRsForWavesPerEU: 65
; NumVGPRsForWavesPerEU: 152
; AccumOffset: 132
; Occupancy: 1
; WaveLimiterHint : 1
; COMPUTE_PGM_RSRC2:SCRATCH_EN: 0
; COMPUTE_PGM_RSRC2:USER_SGPR: 2
; COMPUTE_PGM_RSRC2:TRAP_HANDLER: 0
; COMPUTE_PGM_RSRC2:TGID_X_EN: 1
; COMPUTE_PGM_RSRC2:TGID_Y_EN: 1
; COMPUTE_PGM_RSRC2:TGID_Z_EN: 0
; COMPUTE_PGM_RSRC2:TIDIG_COMP_CNT: 0
; COMPUTE_PGM_RSRC3_GFX90A:ACCUM_OFFSET: 32
; COMPUTE_PGM_RSRC3_GFX90A:TG_SPLIT: 0
	.section	.text._ZN12_GLOBAL__N_139chunk_gated_delta_rule_fwd_h_hip_kernelILi32ELb1ELb1ELb1ELb0ELb1ELb0ELb0ELb1EEEvPK12hip_bfloat16S3_S3_PKfS5_PKvPS1_S8_PvPKiSB_iiiiilll,"axG",@progbits,_ZN12_GLOBAL__N_139chunk_gated_delta_rule_fwd_h_hip_kernelILi32ELb1ELb1ELb1ELb0ELb1ELb0ELb0ELb1EEEvPK12hip_bfloat16S3_S3_PKfS5_PKvPS1_S8_PvPKiSB_iiiiilll,comdat
	.globl	_ZN12_GLOBAL__N_139chunk_gated_delta_rule_fwd_h_hip_kernelILi32ELb1ELb1ELb1ELb0ELb1ELb0ELb0ELb1EEEvPK12hip_bfloat16S3_S3_PKfS5_PKvPS1_S8_PvPKiSB_iiiiilll ; -- Begin function _ZN12_GLOBAL__N_139chunk_gated_delta_rule_fwd_h_hip_kernelILi32ELb1ELb1ELb1ELb0ELb1ELb0ELb0ELb1EEEvPK12hip_bfloat16S3_S3_PKfS5_PKvPS1_S8_PvPKiSB_iiiiilll
	.p2align	8
	.type	_ZN12_GLOBAL__N_139chunk_gated_delta_rule_fwd_h_hip_kernelILi32ELb1ELb1ELb1ELb0ELb1ELb0ELb0ELb1EEEvPK12hip_bfloat16S3_S3_PKfS5_PKvPS1_S8_PvPKiSB_iiiiilll,@function
_ZN12_GLOBAL__N_139chunk_gated_delta_rule_fwd_h_hip_kernelILi32ELb1ELb1ELb1ELb0ELb1ELb0ELb0ELb1EEEvPK12hip_bfloat16S3_S3_PKfS5_PKvPS1_S8_PvPKiSB_iiiiilll: ; @_ZN12_GLOBAL__N_139chunk_gated_delta_rule_fwd_h_hip_kernelILi32ELb1ELb1ELb1ELb0ELb1ELb0ELb0ELb1EEEvPK12hip_bfloat16S3_S3_PKfS5_PKvPS1_S8_PvPKiSB_iiiiilll
; %bb.0:
	s_load_dwordx4 s[20:23], s[0:1], 0x5c
	s_load_dwordx4 s[24:27], s[0:1], 0x70
	s_abs_i32 s6, s3
	s_ashr_i32 s5, s3, 31
	v_and_b32_e32 v68, 15, v0
	s_waitcnt lgkmcnt(0)
	s_abs_i32 s4, s21
	v_cvt_f32_u32_e32 v1, s4
	s_sub_i32 s8, 0, s4
	s_ashr_i32 s7, s21, 31
	s_xor_b32 s5, s5, s7
	v_rcp_iflag_f32_e32 v1, v1
	v_bfe_u32 v67, v0, 4, 2
	v_mov_b32_e32 v51, 0
	v_lshlrev_b32_e32 v69, 3, v0
	v_mul_f32_e32 v1, 0x4f7ffffe, v1
	v_cvt_u32_f32_e32 v1, v1
	s_nop 0
	v_readfirstlane_b32 s9, v1
	s_mul_i32 s8, s8, s9
	s_mul_hi_u32 s8, s9, s8
	s_add_i32 s9, s9, s8
	s_mul_hi_u32 s8, s6, s9
	s_mul_i32 s9, s8, s4
	s_sub_i32 s6, s6, s9
	s_add_i32 s10, s8, 1
	s_sub_i32 s9, s6, s4
	s_cmp_ge_u32 s6, s4
	s_cselect_b32 s8, s10, s8
	s_cselect_b32 s6, s9, s6
	s_add_i32 s9, s8, 1
	s_cmp_ge_u32 s6, s4
	s_cselect_b32 s6, s9, s8
	s_xor_b32 s6, s6, s5
	s_add_i32 s8, s20, 63
	s_sub_i32 s55, s6, s5
	s_ashr_i32 s9, s8, 31
	s_mul_i32 s12, s55, s21
	s_sub_i32 s53, s3, s12
	s_lshr_b32 s3, s9, 26
	s_add_i32 s8, s8, s3
	s_abs_i32 s3, s22
	v_cvt_f32_u32_e32 v1, s3
	s_ashr_i32 s54, s20, 31
	s_lshr_b32 s5, s54, 26
	s_add_i32 s5, s20, s5
	v_rcp_iflag_f32_e32 v1, v1
	s_ashr_i32 s58, s22, 31
	s_ashr_i32 s56, s5, 6
	s_xor_b32 s5, s7, s58
	v_mul_f32_e32 v1, 0x4f7ffffe, v1
	v_cvt_u32_f32_e32 v1, v1
	s_sub_i32 s6, 0, s3
	s_ashr_i32 s28, s8, 6
	s_lshl_b32 s2, s2, 5
	v_readfirstlane_b32 s7, v1
	s_mul_i32 s6, s6, s7
	s_mul_hi_u32 s6, s7, s6
	s_add_i32 s7, s7, s6
	s_mul_hi_u32 s6, s4, s7
	s_mul_i32 s7, s6, s3
	s_sub_i32 s4, s4, s7
	s_add_i32 s7, s6, 1
	s_sub_i32 s8, s4, s3
	s_cmp_ge_u32 s4, s3
	s_cselect_b32 s6, s7, s6
	s_cselect_b32 s4, s8, s4
	s_add_i32 s7, s6, 1
	s_cmp_ge_u32 s4, s3
	s_cselect_b32 s3, s7, s6
	s_xor_b32 s3, s3, s5
	s_sub_i32 s3, s3, s5
	s_abs_i32 s13, s3
	v_cvt_f32_u32_e32 v1, s13
	s_sub_i32 s15, 0, s13
	s_abs_i32 s14, s53
	s_xor_b32 s3, s53, s3
	v_rcp_iflag_f32_e32 v2, v1
	s_ashr_i32 s3, s3, 31
	s_load_dwordx8 s[4:11], s[0:1], 0x28
	v_or_b32_e32 v56, s2, v68
	v_mul_f32_e32 v2, 0x4f7ffffe, v2
	v_cvt_u32_f32_e32 v2, v2
	v_lshrrev_b32_e32 v1, 6, v0
	v_lshlrev_b32_e32 v52, 7, v56
	v_lshlrev_b32_e32 v66, 4, v1
	v_readfirstlane_b32 s16, v2
	s_mul_i32 s15, s15, s16
	s_mul_hi_u32 s15, s16, s15
	s_add_i32 s16, s16, s15
	s_mul_hi_u32 s15, s14, s16
	s_mul_i32 s16, s15, s13
	s_sub_i32 s14, s14, s16
	s_add_i32 s16, s15, 1
	s_sub_i32 s17, s14, s13
	s_cmp_ge_u32 s14, s13
	s_cselect_b32 s15, s16, s15
	s_cselect_b32 s14, s17, s14
	s_add_i32 s16, s15, 1
	s_cmp_ge_u32 s14, s13
	s_cselect_b32 s13, s16, s15
	s_xor_b32 s13, s13, s3
	s_sub_i32 s59, s13, s3
	s_ashr_i32 s3, s55, 31
	s_ashr_i32 s57, s53, 31
	s_mul_hi_i32 s13, s55, s21
	s_add_u32 s42, s12, s53
	s_addc_u32 s43, s13, s57
	s_lshl_b64 s[34:35], s[42:43], 15
	s_waitcnt lgkmcnt(0)
	s_add_u32 s4, s4, s34
	v_or_b32_e32 v54, 0x800, v52
	v_lshl_or_b32 v71, v67, 2, v66
	s_addc_u32 s5, s5, s35
	v_ashrrev_i32_e32 v53, 31, v52
	v_ashrrev_i32_e32 v55, 31, v54
	v_lshl_add_u64 v[2:3], v[52:53], 1, s[4:5]
	v_lshlrev_b32_e32 v50, 1, v71
	v_lshl_add_u64 v[6:7], v[54:55], 1, s[4:5]
	v_lshl_add_u64 v[2:3], v[2:3], 0, v[50:51]
	;; [unrolled: 1-line block ×3, first 2 shown]
	global_load_dwordx2 v[4:5], v[2:3], off
	v_and_b32_e32 v51, 63, v0
	global_load_dwordx2 v[2:3], v[2:3], off offset:128
	s_nop 0
	global_load_dwordx2 v[8:9], v[6:7], off
	global_load_dwordx2 v[10:11], v[6:7], off offset:128
	s_load_dwordx8 s[12:19], s[0:1], 0x0
	s_load_dwordx2 s[36:37], s[0:1], 0x80
	v_lshrrev_b32_e32 v70, 3, v51
	v_or_b32_e32 v72, 64, v71
	s_mul_i32 s33, s55, s25
	s_mul_hi_u32 s48, s55, s24
	s_mul_i32 s38, s55, s24
	s_mul_i32 s60, s55, s28
	s_mul_i32 s49, s53, s27
	s_mul_hi_u32 s50, s53, s26
	s_mul_i32 s52, s3, s24
	s_mul_i32 s51, s57, s26
	s_mul_hi_u32 s61, s42, s20
	s_mul_i32 s4, s42, s20
	s_mul_i32 s43, s43, s20
	s_cmp_lt_i32 s20, 64
	s_mul_i32 s40, s53, s26
	s_waitcnt vmcnt(3)
	v_and_b32_e32 v19, 0xffff0000, v4
	v_lshlrev_b32_e32 v18, 16, v4
	v_and_b32_e32 v21, 0xffff0000, v5
	v_lshlrev_b32_e32 v20, 16, v5
	s_waitcnt vmcnt(2)
	v_and_b32_e32 v23, 0xffff0000, v2
	v_lshlrev_b32_e32 v22, 16, v2
	v_and_b32_e32 v25, 0xffff0000, v3
	v_lshlrev_b32_e32 v24, 16, v3
	;; [unrolled: 5-line block ×4, first 2 shown]
	s_cbranch_scc1 .LBB313_3
; %bb.1:
	s_add_i32 s5, s61, s43
	s_lshl_b64 s[0:1], s[4:5], 8
	v_and_b32_e32 v74, 56, v69
	s_waitcnt lgkmcnt(0)
	s_add_u32 s24, s14, s0
	v_lshl_or_b32 v73, v1, 3, v70
	v_lshlrev_b32_e32 v2, 1, v74
	s_addc_u32 s0, s15, s1
	v_lshl_or_b32 v75, v73, 8, v2
	s_and_b32 s25, s0, 0xffff
	s_mov_b32 s27, 0x20000
	s_movk_i32 s26, 0x4000
	s_movk_i32 s0, 0x80
	v_or_b32_e32 v76, 0x2000, v75
	buffer_load_dwordx4 v[4:7], v75, s[24:27], 0 offen
	buffer_load_dwordx4 v[8:11], v75, s[24:27], s0 offen
	buffer_load_dwordx4 v[12:15], v76, s[24:27], 0 offen
	buffer_load_dwordx4 v[34:37], v76, s[24:27], s0 offen
	v_lshlrev_b32_e32 v3, 3, v73
	v_and_or_b32 v17, v0, 7, v3
	v_and_b32_e32 v3, 0x78, v3
	v_lshlrev_b32_e32 v17, 4, v17
	v_xor_b32_e32 v77, v17, v3
	v_mul_lo_u32 v16, v73, s23
	v_or_b32_e32 v78, 0x1000, v77
	v_xor_b32_e32 v3, 8, v77
	s_cmpk_eq_i32 s23, 0x80
	s_mov_b32 s62, s22
	v_xor_b32_e32 v17, 8, v78
	s_cselect_b64 s[0:1], -1, 0
	s_cmpk_lg_i32 s23, 0x80
	s_waitcnt vmcnt(3)
	ds_write_b64 v77, v[4:5] offset:24576
	ds_write_b64 v3, v[6:7] offset:24576
	s_waitcnt vmcnt(2)
	ds_write_b64 v77, v[8:9] offset:32768
	ds_write_b64 v3, v[10:11] offset:32768
	;; [unrolled: 3-line block ×4, first 2 shown]
	v_lshl_add_u32 v3, v16, 1, v74
	s_cbranch_scc0 .LBB313_29
; %bb.2:
	v_lshlrev_b32_e32 v5, 1, v3
	v_add_lshl_u32 v4, v3, s23, 1
	s_lshl_b32 s26, s23, 7
	v_lshl_or_b32 v2, v73, 9, v2
	s_cbranch_execz .LBB313_30
	s_branch .LBB313_31
.LBB313_3:
	v_mov_b64_e32 v[2:3], v[18:19]
	v_mov_b64_e32 v[4:5], v[20:21]
	;; [unrolled: 1-line block ×8, first 2 shown]
.LBB313_4:
	s_lshl_b32 s30, s56, 6
	s_sub_i32 s31, s20, s30
	s_cmp_gt_i32 s31, 0
	s_cbranch_scc0 .LBB313_83
; %bb.5:
	s_ashr_i32 s3, s30, 31
	s_cmpk_lg_i32 s23, 0x80
	s_cselect_b64 s[26:27], -1, 0
	s_and_b64 vcc, exec, s[26:27]
	s_cbranch_vccz .LBB313_7
; %bb.6:
	s_mul_i32 s1, s55, s20
	s_mul_hi_i32 s0, s55, s20
	s_add_u32 s1, s1, s30
	s_addc_u32 s0, s0, s3
	s_mul_i32 s5, s1, s58
	s_mul_hi_u32 s24, s1, s22
	s_add_i32 s5, s24, s5
	s_mul_i32 s0, s0, s22
	s_add_i32 s5, s5, s0
	s_mul_i32 s1, s1, s22
	s_ashr_i32 s0, s59, 31
	s_add_u32 s28, s1, s59
	s_addc_u32 s29, s5, s0
	s_cbranch_execz .LBB313_8
	s_branch .LBB313_9
.LBB313_7:
                                        ; implicit-def: $sgpr28_sgpr29
.LBB313_8:
	s_mul_hi_i32 s0, s55, s22
	s_mul_i32 s55, s55, s22
	s_ashr_i32 s1, s59, 31
	s_add_u32 s5, s55, s59
	s_addc_u32 s0, s0, s1
	s_mul_i32 s1, s5, s54
	s_mul_hi_u32 s22, s5, s20
	s_add_i32 s1, s22, s1
	s_mul_i32 s0, s0, s20
	s_add_i32 s1, s1, s0
	s_mul_i32 s5, s5, s20
	s_add_u32 s28, s5, s30
	s_addc_u32 s29, s1, s3
.LBB313_9:
	s_mul_i32 s0, s42, s54
	s_add_i32 s0, s61, s0
	s_add_i32 s5, s60, s56
	;; [unrolled: 1-line block ×3, first 2 shown]
	s_add_u32 s0, s4, s30
	v_lshlrev_b32_e32 v22, 5, v71
	v_lshlrev_b32_e32 v38, 2, v68
	s_addc_u32 s1, s1, s3
	s_mov_b32 s3, 0x7060302
	v_or_b32_e32 v25, v22, v38
	v_xor_b32_e32 v23, v71, v38
	v_perm_b32 v19, v5, v4, s3
	v_perm_b32 v18, v3, v2, s3
	;; [unrolled: 1-line block ×4, first 2 shown]
	v_lshlrev_b32_e32 v25, 1, v25
	v_xor_b32_e32 v24, v72, v38
	ds_write2st64_b64 v25, v[18:19], v[20:21] offset0:80 offset1:88
	v_lshlrev_b32_e32 v23, 1, v23
	v_lshlrev_b32_e32 v25, 8, v68
	s_lshl_b64 s[24:25], s[0:1], 8
	v_or_b32_e32 v26, v23, v25
	v_lshlrev_b32_e32 v24, 1, v24
	s_waitcnt lgkmcnt(0)
	s_add_u32 s0, s14, s24
	ds_write_b64 v26, v[18:19]
	v_or_b32_e32 v18, v24, v25
	s_addc_u32 s1, s15, s25
	ds_write_b64 v18, v[20:21]
	v_perm_b32 v19, v13, v12, s3
	v_perm_b32 v18, v11, v10, s3
	;; [unrolled: 1-line block ×4, first 2 shown]
	v_or_b32_e32 v25, 16, v68
	s_mul_hi_i32 s3, s5, s21
	s_mul_i32 s5, s5, s21
	v_lshlrev_b32_e32 v35, 2, v25
	s_add_u32 s4, s5, s53
	v_or_b32_e32 v22, v22, v35
	s_addc_u32 s5, s3, s57
	v_lshlrev_b32_e32 v22, 1, v22
	s_ashr_i32 s3, s2, 31
	s_lshl_b64 s[4:5], s[4:5], 15
	ds_write2st64_b64 v22, v[18:19], v[20:21] offset0:80 offset1:88
	v_lshlrev_b32_e32 v22, 8, v25
	s_add_u32 s4, s6, s4
	v_or_b32_e32 v23, v23, v22
	s_addc_u32 s5, s7, s5
	s_lshl_b64 s[2:3], s[2:3], 8
	ds_write_b64 v23, v[18:19]
	v_or_b32_e32 v18, v24, v22
	s_add_u32 s2, s4, s2
	ds_write_b64 v18, v[20:21]
	v_lshrrev_b32_e32 v18, 4, v0
	s_addc_u32 s3, s5, s3
	v_lshlrev_b32_e32 v19, 1, v68
	v_lshlrev_b32_e32 v26, 4, v68
	v_mov_b32_e32 v27, 0
	v_or_b32_e32 v20, 1, v19
	v_xor_b32_e32 v19, v18, v19
	v_lshl_add_u64 v[28:29], s[2:3], 0, v[26:27]
	v_lshlrev_b32_e32 v26, 8, v18
	v_xor_b32_e32 v22, v20, v18
	v_lshl_or_b32 v18, v19, 3, v26
	s_waitcnt lgkmcnt(0)
	s_barrier
	ds_read2st64_b64 v[18:21], v18 offset1:8
	v_lshl_or_b32 v22, v22, 3, v26
	ds_read2st64_b64 v[22:25], v22 offset1:8
	v_lshl_add_u64 v[30:31], v[28:29], 0, v[26:27]
	s_movk_i32 s2, 0x1000
	s_waitcnt lgkmcnt(1)
	v_mov_b32_e32 v26, v18
	v_add_co_u32_e32 v18, vcc, s2, v30
	s_cmp_lg_u32 s31, 64
	v_mov_b32_e32 v27, v19
	v_addc_co_u32_e32 v19, vcc, 0, v31, vcc
	s_cselect_b64 s[14:15], -1, 0
	v_lshl_or_b32 v42, v1, 3, v70
	s_waitcnt lgkmcnt(0)
	v_mov_b32_e32 v28, v22
	v_mov_b32_e32 v29, v23
	;; [unrolled: 1-line block ×4, first 2 shown]
	s_mov_b32 s4, 0
	v_or_b32_e32 v36, 32, v42
	v_and_b32_e32 v34, 56, v69
	s_and_b64 vcc, exec, s[14:15]
	global_store_dwordx4 v[30:31], v[26:29], off
	global_store_dwordx4 v[18:19], v[22:25], off
	s_cbranch_vccz .LBB313_15
; %bb.10:
	s_mov_b32 s6, s4
	s_mov_b32 s7, s4
	;; [unrolled: 1-line block ×3, first 2 shown]
	v_mov_b64_e32 v[24:25], s[6:7]
	v_mov_b64_e32 v[22:23], s[4:5]
	;; [unrolled: 1-line block ×3, first 2 shown]
	v_cmp_gt_i32_e32 vcc, s31, v42
	v_mov_b64_e32 v[20:21], v[24:25]
	s_and_saveexec_b64 s[2:3], vcc
	s_cbranch_execz .LBB313_12
; %bb.11:
	v_lshlrev_b32_e32 v18, 8, v42
	v_mov_b32_e32 v19, 0
	v_lshl_add_u64 v[20:21], s[0:1], 0, v[18:19]
	v_lshlrev_b32_e32 v18, 1, v34
	v_lshl_add_u64 v[26:27], v[20:21], 0, v[18:19]
	global_load_dwordx4 v[22:25], v[26:27], off
	global_load_dwordx4 v[18:21], v[26:27], off offset:128
.LBB313_12:
	s_or_b64 exec, exec, s[2:3]
	s_mov_b32 s6, s4
	s_mov_b32 s7, s4
	;; [unrolled: 1-line block ×3, first 2 shown]
	v_mov_b64_e32 v[32:33], s[6:7]
	v_mov_b64_e32 v[30:31], s[4:5]
	;; [unrolled: 1-line block ×3, first 2 shown]
	v_cmp_gt_i32_e32 vcc, s31, v36
	v_lshlrev_b32_e32 v37, 7, v36
	v_mov_b64_e32 v[28:29], v[32:33]
	s_and_saveexec_b64 s[2:3], vcc
	s_cbranch_execz .LBB313_14
; %bb.13:
	v_lshlrev_b32_e32 v26, 1, v37
	v_mov_b32_e32 v27, 0
	v_lshl_add_u64 v[28:29], s[0:1], 0, v[26:27]
	v_lshlrev_b32_e32 v26, 1, v34
	v_lshl_add_u64 v[40:41], v[28:29], 0, v[26:27]
	global_load_dwordx4 v[30:33], v[40:41], off
	global_load_dwordx4 v[26:29], v[40:41], off offset:128
.LBB313_14:
	s_or_b64 exec, exec, s[2:3]
	v_lshrrev_b32_e32 v39, 3, v34
	v_lshlrev_b32_e32 v40, 3, v42
	v_or_b32_e32 v39, v40, v39
	v_lshlrev_b32_e32 v39, 4, v39
	v_and_b32_e32 v40, 0x78, v40
	v_xor_b32_e32 v39, v39, v40
	s_branch .LBB313_17
.LBB313_15:
                                        ; implicit-def: $vgpr39
                                        ; implicit-def: $vgpr37
                                        ; implicit-def: $vgpr22_vgpr23_vgpr24_vgpr25
                                        ; implicit-def: $vgpr18_vgpr19_vgpr20_vgpr21
                                        ; implicit-def: $vgpr30_vgpr31_vgpr32_vgpr33
                                        ; implicit-def: $vgpr26_vgpr27_vgpr28_vgpr29
	s_cbranch_execz .LBB313_17
; %bb.16:
	s_waitcnt vmcnt(0)
	v_lshlrev_b32_e32 v18, 1, v34
	v_lshl_or_b32 v37, v42, 8, v18
	s_and_b32 s1, s1, 0xffff
	s_mov_b32 s3, 0x20000
	s_movk_i32 s2, 0x4000
	v_lshl_or_b32 v39, v36, 8, v18
	s_movk_i32 s4, 0x80
	buffer_load_dwordx4 v[22:25], v37, s[0:3], 0 offen
	buffer_load_dwordx4 v[18:21], v37, s[0:3], s4 offen
	;; [unrolled: 1-line block ×4, first 2 shown]
	v_lshrrev_b32_e32 v37, 3, v34
	v_lshlrev_b32_e32 v39, 3, v42
	v_or_b32_e32 v37, v39, v37
	v_lshlrev_b32_e32 v37, 4, v37
	v_and_b32_e32 v39, 0x78, v39
	v_xor_b32_e32 v39, v37, v39
	v_lshlrev_b32_e32 v37, 7, v36
.LBB313_17:
	s_lshl_b64 s[0:1], s[28:29], 8
	s_add_u32 s4, s12, s0
	s_movk_i32 s0, 0x1000
	v_and_or_b32 v36, v37, s0, v39
	s_waitcnt vmcnt(1)
	ds_write_b64 v39, v[22:23] offset:24576
	v_xor_b32_e32 v22, 8, v39
	ds_write_b64 v22, v[24:25] offset:24576
	s_waitcnt vmcnt(0)
	ds_write_b64 v39, v[18:19] offset:32768
	ds_write_b64 v22, v[20:21] offset:32768
	;; [unrolled: 1-line block ×3, first 2 shown]
	v_xor_b32_e32 v18, 8, v36
	ds_write_b64 v18, v[32:33] offset:24576
	ds_write_b64 v36, v[26:27] offset:32768
	;; [unrolled: 1-line block ×3, first 2 shown]
	v_or_b32_e32 v18, v66, v68
	v_lshlrev_b32_e32 v18, 3, v18
	v_lshrrev_b32_e32 v19, 5, v51
	s_movk_i32 s3, 0xf8
	v_and_or_b32 v19, v18, s3, v19
	v_lshlrev_b32_e32 v23, 4, v19
	v_lshlrev_b32_e32 v39, 11, v1
	v_and_b32_e32 v24, 0x78, v18
	v_or_b32_e32 v26, 32, v23
	v_and_b32_e32 v22, 0x1000, v39
	v_lshrrev_b32_e32 v19, 1, v51
	v_xor_b32_e32 v26, v26, v24
	v_xor_b32_e32 v18, v23, v24
	v_and_b32_e32 v25, 8, v19
	v_or_b32_e32 v26, v26, v22
	v_or_b32_e32 v18, v18, v22
	v_xor_b32_e32 v44, v26, v25
	v_or_b32_e32 v26, 64, v23
	v_xor_b32_e32 v43, v18, v25
	v_xor_b32_e32 v26, v26, v24
	s_waitcnt lgkmcnt(0)
	s_barrier
	v_or_b32_e32 v28, v26, v22
	ds_read_b64 v[26:27], v43 offset:24576
	v_lshl_or_b32 v36, v67, 7, v38
	v_lshlrev_b32_e32 v40, 1, v36
	v_add_u32_e32 v18, 0xa000, v40
	ds_read2_b64 v[18:21], v18 offset1:16
	v_or_b32_e32 v23, 0x60, v23
	v_xor_b32_e32 v23, v23, v24
	s_waitcnt lgkmcnt(0)
	v_mfma_f32_16x16x16_bf16 a[0:3], v[26:27], v[18:19], 0
	v_or_b32_e32 v18, 64, v36
	v_or_b32_e32 v22, v23, v22
	v_lshlrev_b32_e32 v41, 1, v18
	v_xor_b32_e32 v45, v28, v25
	v_xor_b32_e32 v46, v22, v25
	ds_read_b64 v[28:29], v44 offset:24576
	ds_read_b64 v[30:31], v45 offset:24576
	;; [unrolled: 1-line block ×3, first 2 shown]
	v_mfma_f32_16x16x16_bf16 a[4:7], v[26:27], v[20:21], 0
	ds_read2st64_b64 v[18:21], v41 offset0:82 offset1:84
	ds_read2st64_b64 v[22:25], v40 offset0:82 offset1:84
	s_addc_u32 s5, s13, s1
	s_add_i32 s1, s48, s33
	s_add_i32 s0, s20, -1
	s_add_i32 s39, s1, s52
	s_add_i32 s1, s50, s49
	;; [unrolled: 1-line block ×3, first 2 shown]
	s_ashr_i32 s1, s0, 31
	s_mul_i32 s2, s0, s37
	s_mul_hi_u32 s3, s0, s36
	s_add_i32 s2, s3, s2
	s_mul_i32 s1, s1, s36
	s_waitcnt lgkmcnt(1)
	v_mfma_f32_16x16x16_bf16 a[4:7], v[28:29], v[18:19], a[4:7]
	s_add_i32 s1, s2, s1
	s_lshl_b64 s[2:3], s[38:39], 2
	s_add_u32 s6, s18, s2
	s_waitcnt lgkmcnt(0)
	v_mfma_f32_16x16x16_bf16 a[0:3], v[28:29], v[22:23], a[0:3]
	s_addc_u32 s7, s19, s3
	s_lshl_b64 s[2:3], s[40:41], 2
	s_mul_i32 s0, s0, s36
	s_add_u32 s12, s6, s2
	ds_read_b64 v[18:19], v40 offset:44032
	v_mfma_f32_16x16x16_bf16 a[4:7], v[30:31], v[20:21], a[4:7]
	ds_read_b64 v[20:21], v41 offset:44032
	s_addc_u32 s13, s7, s3
	s_lshl_b64 s[0:1], s[0:1], 2
	v_mfma_f32_16x16x16_bf16 a[0:3], v[30:31], v[24:25], a[0:3]
	s_add_u32 s0, s12, s0
	s_addc_u32 s1, s13, s1
	s_load_dword s18, s[0:1], 0x0
	s_waitcnt lgkmcnt(0)
	v_mfma_f32_16x16x16_bf16 a[0:3], v[32:33], v[18:19], a[0:3]
	s_and_b64 vcc, exec, s[26:27]
	v_mfma_f32_16x16x16_bf16 a[4:7], v[32:33], v[20:21], a[4:7]
	s_cbranch_vccz .LBB313_28
; %bb.18:
	v_lshlrev_b32_e32 v36, 1, v42
	s_and_b64 vcc, exec, s[14:15]
	s_cbranch_vccz .LBB313_43
; %bb.19:
	v_cmp_gt_i32_e32 vcc, s31, v36
	v_mov_b32_e32 v22, 0
	v_mov_b32_e32 v18, 0
	;; [unrolled: 1-line block ×5, first 2 shown]
	s_and_saveexec_b64 s[0:1], vcc
	s_cbranch_execz .LBB313_21
; %bb.20:
	v_mad_i64_i32 v[18:19], s[2:3], s23, v36, 0
	v_lshl_add_u64 v[18:19], v[18:19], 1, s[4:5]
	v_lshlrev_b32_e32 v20, 1, v34
	v_mov_b32_e32 v21, 0
	v_lshl_add_u64 v[18:19], v[18:19], 0, v[20:21]
	global_load_dwordx4 v[18:21], v[18:19], off
.LBB313_21:
	s_or_b64 exec, exec, s[0:1]
	v_or_b32_e32 v37, 1, v36
	v_cmp_gt_i32_e64 s[0:1], s31, v37
	v_mov_b32_e32 v23, 0
	v_mov_b32_e32 v24, 0
	;; [unrolled: 1-line block ×3, first 2 shown]
	s_and_saveexec_b64 s[2:3], s[0:1]
	s_cbranch_execz .LBB313_23
; %bb.22:
	v_mad_i64_i32 v[22:23], s[6:7], s23, v37, 0
	v_lshl_add_u64 v[22:23], v[22:23], 1, s[4:5]
	v_lshlrev_b32_e32 v24, 1, v34
	v_mov_b32_e32 v25, 0
	v_lshl_add_u64 v[22:23], v[22:23], 0, v[24:25]
	global_load_dwordx4 v[22:25], v[22:23], off
.LBB313_23:
	s_or_b64 exec, exec, s[2:3]
	v_mov_b32_e32 v33, 0
	v_mov_b32_e32 v26, 0
	;; [unrolled: 1-line block ×5, first 2 shown]
	s_and_saveexec_b64 s[2:3], vcc
	s_cbranch_execz .LBB313_25
; %bb.24:
	v_mad_i64_i32 v[26:27], s[6:7], s23, v36, 0
	v_lshl_add_u64 v[26:27], v[26:27], 1, s[4:5]
	v_lshlrev_b32_e32 v28, 1, v34
	v_mov_b32_e32 v29, 0
	v_lshl_add_u64 v[26:27], v[26:27], 0, v[28:29]
	global_load_dwordx4 v[26:29], v[26:27], off offset:128
.LBB313_25:
	s_or_b64 exec, exec, s[2:3]
	v_mov_b32_e32 v32, 0
	v_mov_b32_e32 v31, 0
	;; [unrolled: 1-line block ×3, first 2 shown]
	s_and_saveexec_b64 s[2:3], s[0:1]
	s_cbranch_execz .LBB313_27
; %bb.26:
	v_mad_i64_i32 v[30:31], s[0:1], s23, v37, 0
	v_lshl_add_u64 v[30:31], v[30:31], 1, s[4:5]
	v_lshlrev_b32_e32 v32, 1, v34
	v_mov_b32_e32 v33, 0
	v_lshl_add_u64 v[30:31], v[30:31], 0, v[32:33]
	global_load_dwordx4 v[30:33], v[30:31], off offset:128
.LBB313_27:
	s_or_b64 exec, exec, s[2:3]
	s_branch .LBB313_45
.LBB313_28:
                                        ; implicit-def: $vgpr21
                                        ; implicit-def: $vgpr25
                                        ; implicit-def: $vgpr29
                                        ; implicit-def: $vgpr33
	v_lshrrev_b32_e32 v47, 2, v51
	s_branch .LBB313_46
.LBB313_29:
                                        ; implicit-def: $vgpr4
                                        ; implicit-def: $vgpr5
                                        ; implicit-def: $sgpr26
	v_lshl_or_b32 v2, v73, 9, v2
.LBB313_30:
	v_or_b32_e32 v4, 0x100, v2
	s_movk_i32 s26, 0x4000
	v_mov_b32_e32 v5, v2
.LBB313_31:
	s_mul_hi_u32 s24, s22, s20
	s_mul_i32 s25, s58, s20
	s_add_i32 s24, s24, s25
	s_mul_i32 s25, s22, s20
	s_mul_i32 s27, s25, s3
	s_mul_hi_u32 s28, s25, s55
	s_add_i32 s27, s28, s27
	s_mul_i32 s24, s24, s55
	s_add_i32 s27, s27, s24
	s_mul_i32 s25, s25, s55
	s_ashr_i32 s63, s59, 31
	s_add_u32 s24, s25, s59
	s_addc_u32 s25, s27, s63
	s_lshl_b64 s[24:25], s[24:25], 8
	s_add_u32 s24, s12, s24
	s_addc_u32 s25, s13, s25
	s_and_b32 s25, s25, 0xffff
	s_mov_b32 s27, 0x20000
	s_movk_i32 s64, 0x80
	buffer_load_dwordx4 v[6:9], v5, s[24:27], 0 offen
	buffer_load_dwordx4 v[10:13], v5, s[24:27], s64 offen
	;; [unrolled: 1-line block ×4, first 2 shown]
	v_and_b32_e32 v4, 6, v0
	v_lshlrev_b32_e32 v39, 6, v71
	v_or_b32_e32 v41, 16, v68
	v_xor_b32_e32 v42, v73, v4
	v_and_b32_e32 v5, 1, v0
	v_lshl_or_b32 v45, v68, 3, v39
	v_lshl_or_b32 v39, v41, 3, v39
	v_lshlrev_b32_e32 v42, 2, v42
	s_mul_i32 s3, s3, s20
	s_mul_hi_u32 s24, s55, s20
	v_lshlrev_b32_e32 v38, 2, v68
	v_or_b32_e32 v81, 0xa000, v39
	v_or_b32_e32 v82, 0xb000, v39
	v_xor_b32_e32 v39, 0x440, v42
	v_cmp_eq_u32_e32 vcc, 0, v5
	v_xor_b32_e32 v43, v71, v38
	v_xor_b32_e32 v44, v72, v38
	v_cndmask_b32_e32 v5, v39, v42, vcc
	s_add_i32 s69, s24, s3
	s_add_i32 s3, s48, s33
	s_mov_b32 s66, 0x1000504
	v_lshlrev_b32_e32 v40, 8, v68
	v_lshlrev_b32_e32 v43, 1, v43
	;; [unrolled: 1-line block ×3, first 2 shown]
	v_lshl_or_b32 v4, v4, 10, v5
	s_add_i32 s39, s3, s52
	s_add_i32 s3, s50, s49
	s_mov_b32 s67, 0x3020706
	v_or_b32_e32 v79, 0xa000, v45
	v_or_b32_e32 v80, 0xb000, v45
	;; [unrolled: 1-line block ×4, first 2 shown]
	v_xor_b32_e32 v5, 8, v4
	v_xor_b32_e32 v40, 24, v4
	;; [unrolled: 1-line block ×4, first 2 shown]
	s_add_i32 s41, s3, s51
	s_lshl_b64 s[24:25], s[38:39], 2
	v_xor_b32_e32 v39, 16, v4
	v_xor_b32_e32 v42, 32, v4
	;; [unrolled: 1-line block ×3, first 2 shown]
	v_add_u32_e32 v5, 0x80, v5
	v_add_u32_e32 v40, 0x80, v40
	;; [unrolled: 1-line block ×4, first 2 shown]
	s_add_u32 s3, s18, s24
	s_addc_u32 s26, s19, s25
	s_lshl_b64 s[24:25], s[40:41], 2
	s_add_u32 s44, s3, s24
	s_movk_i32 s3, 0xf8
	s_addc_u32 s45, s26, s25
	s_lshl_b32 s30, s23, 7
	s_movk_i32 s28, 0x100
	v_mov_b32_e32 v59, 0
	v_lshlrev_b32_e32 v58, 4, v68
	v_cmp_gt_u32_e32 vcc, s28, v0
	v_ashrrev_i32_e32 v57, 31, v56
	s_mov_b32 s65, 0
	s_mul_i32 s68, s55, s20
	s_movk_i32 s39, 0x1000
	s_movk_i32 s26, 0x4000
	s_mov_b32 s70, 0
	s_waitcnt vmcnt(1)
	v_perm_b32 v48, v6, v14, s66
	s_waitcnt vmcnt(0)
	v_perm_b32 v49, v10, v34, s66
	v_perm_b32 v6, v6, v14, s67
	;; [unrolled: 1-line block ×15, first 2 shown]
	ds_write2st64_b32 v4, v48, v49 offset0:32 offset1:64
	ds_write2st64_b32 v5, v6, v10 offset0:32 offset1:64
	;; [unrolled: 1-line block ×8, first 2 shown]
	v_lshlrev_b32_e32 v4, 8, v41
	v_or_b32_e32 v85, v4, v43
	v_or_b32_e32 v86, v4, v44
	;; [unrolled: 1-line block ×3, first 2 shown]
	v_lshlrev_b32_e32 v4, 3, v4
	v_lshrrev_b32_e32 v7, 5, v51
	v_and_or_b32 v7, v4, s3, v7
	v_lshlrev_b32_e32 v7, 4, v7
	v_lshlrev_b32_e32 v5, 11, v1
	v_and_b32_e32 v4, 0x78, v4
	v_or_b32_e32 v12, 32, v7
	v_and_b32_e32 v6, 0x1000, v5
	v_lshrrev_b32_e32 v9, 1, v0
	v_xor_b32_e32 v12, v12, v4
	v_and_b32_e32 v10, 8, v9
	v_or_b32_e32 v12, v12, v6
	v_xor_b32_e32 v8, v7, v4
	v_xor_b32_e32 v89, v12, v10
	v_or_b32_e32 v12, 64, v7
	v_or_b32_e32 v7, 0x60, v7
	s_ashr_i32 s3, s2, 31
	v_xor_b32_e32 v12, v12, v4
	v_xor_b32_e32 v4, v7, v4
	s_lshl_b64 s[24:25], s[2:3], 8
	v_or_b32_e32 v8, v8, v6
	v_or_b32_e32 v12, v12, v6
	;; [unrolled: 1-line block ×3, first 2 shown]
	s_add_u32 s24, s6, s24
	v_lshlrev_b32_e32 v6, 1, v68
	v_xor_b32_e32 v91, v12, v10
	v_lshrrev_b32_e32 v12, 4, v0
	s_addc_u32 s25, s7, s25
	v_or_b32_e32 v7, 1, v6
	v_mov_b32_e32 v16, 0x4000
	v_mov_b32_e32 v17, 0x2000
	v_xor_b32_e32 v13, v12, v6
	v_xor_b32_e32 v14, v7, v12
	v_lshl_add_u64 v[6:7], s[24:25], 0, v[58:59]
	v_lshlrev_b32_e32 v58, 8, v12
	v_cndmask_b32_e32 v16, v16, v17, vcc
	v_lshlrev_b32_e32 v17, 3, v1
	v_and_b32_e32 v9, 24, v9
	v_lshl_or_b32 v95, v13, 3, v58
	v_and_b32_e32 v13, 8, v0
	v_xor_b32_e32 v34, v17, v9
	v_or_b32_e32 v35, 0x440, v34
	v_cmp_eq_u32_e32 vcc, 0, v13
	v_and_b32_e32 v12, 7, v0
	v_xor_b32_e32 v87, v8, v10
	v_cndmask_b32_e32 v13, v35, v34, vcc
	v_lshlrev_b32_e32 v8, 7, v67
	v_lshl_or_b32 v96, v14, 3, v58
	v_lshlrev_b32_e32 v14, 3, v12
	v_lshlrev_b32_e32 v12, 7, v12
	;; [unrolled: 1-line block ×3, first 2 shown]
	v_or_b32_e32 v13, v13, v5
	v_or_b32_e32 v11, v8, v38
	v_xad_u32 v97, v13, v14, v12
	v_and_or_b32 v8, v15, 60, v8
	v_mov_b32_e32 v13, 0xb000
	v_lshl_or_b32 v98, v8, 1, v13
	v_or_b32_e32 v8, 32, v9
	v_xor_b32_e32 v8, v17, v8
	v_or_b32_e32 v13, 0x440, v8
	v_cndmask_b32_e32 v8, v13, v8, vcc
	v_or_b32_e32 v8, v8, v5
	v_xad_u32 v99, v8, v14, v12
	v_or_b32_e32 v8, 64, v9
	v_xor_b32_e32 v8, v17, v8
	v_xor_b32_e32 v13, 0x440, v8
	v_cndmask_b32_e32 v8, v13, v8, vcc
	v_or_b32_e32 v8, v8, v5
	v_xad_u32 v100, v8, v14, v12
	v_or_b32_e32 v8, 0x60, v9
	v_xor_b32_e32 v8, v17, v8
	v_xor_b32_e32 v9, 0x440, v8
	v_lshlrev_b32_e32 v11, 1, v11
	v_cndmask_b32_e32 v8, v9, v8, vcc
	v_or_b32_e32 v88, 0xa000, v11
	v_or_b32_e32 v90, 0xa080, v11
	v_xor_b32_e32 v92, v4, v10
	v_or_b32_e32 v93, 0xb000, v11
	v_or_b32_e32 v94, 0xb080, v11
	v_lshlrev_b32_e32 v10, 1, v3
	v_add_lshl_u32 v3, v3, s23, 1
	v_or_b32_e32 v11, 0x100, v2
	v_or_b32_e32 v5, v8, v5
	v_lshlrev_b32_e32 v4, 7, v71
	v_xad_u32 v101, v5, v14, v12
	v_cndmask_b32_e64 v102, v10, v2, s[0:1]
	v_cndmask_b32_e64 v103, v3, v11, s[0:1]
	v_lshlrev_b64 v[2:3], 1, v[56:57]
	v_lshl_add_u64 v[60:61], s[16:17], 0, v[2:3]
	v_lshl_add_u64 v[62:63], s[8:9], 0, v[2:3]
	;; [unrolled: 1-line block ×3, first 2 shown]
	s_mov_b32 s3, 0x7060302
	v_lshlrev_b32_e32 v58, 1, v4
	v_add_u32_e32 v57, v16, v97
	v_add_u32_e32 v104, v16, v99
	v_add_u32_e32 v105, v16, v100
	v_add_u32_e32 v106, v16, v101
	s_waitcnt lgkmcnt(0)
	s_barrier
	s_branch .LBB313_33
.LBB313_32:                             ;   in Loop: Header=BB313_33 Depth=1
	s_waitcnt vmcnt(2)
	v_exp_f32_e32 v34, s24
	s_nop 2
	v_accvgpr_read_b32 v17, a15
	v_accvgpr_read_b32 v2, a4
	;; [unrolled: 1-line block ×16, first 2 shown]
	v_fma_f32 v16, v32, v34, v16
	v_fmac_f32_e32 v17, v33, v34
	v_fma_f32 v2, v18, v34, v2
	v_fma_f32 v3, v19, v34, v3
	v_fma_f32 v4, v20, v34, v4
	v_fmac_f32_e32 v5, v21, v34
	v_fma_f32 v10, v26, v34, v10
	v_fma_f32 v11, v27, v34, v11
	;; [unrolled: 4-line block ×4, first 2 shown]
	s_add_i32 s65, s65, 64
	v_mov_b64_e32 v[32:33], v[16:17]
	s_cmp_eq_u32 s56, s41
	s_mov_b32 s70, s41
	v_mov_b64_e32 v[30:31], v[14:15]
	v_mov_b64_e32 v[28:29], v[12:13]
	;; [unrolled: 1-line block ×7, first 2 shown]
	s_cbranch_scc1 .LBB313_4
.LBB313_33:                             ; =>This Inner Loop Header: Depth=1
	s_add_i32 s41, s70, 1
	s_cmp_lt_i32 s41, s56
	s_mov_b64 s[28:29], 0
	s_cselect_b64 s[46:47], -1, 0
	s_cmp_ge_i32 s41, s56
	s_mov_b64 s[24:25], 0
	s_cbranch_scc1 .LBB313_35
; %bb.34:                               ;   in Loop: Header=BB313_33 Depth=1
	s_add_i32 s0, s65, 64
	s_add_u32 s0, s4, s0
	s_addc_u32 s1, s5, 0
	s_lshl_b64 s[0:1], s[0:1], 8
	s_add_u32 s24, s14, s0
	s_addc_u32 s25, s15, s1
.LBB313_35:                             ;   in Loop: Header=BB313_33 Depth=1
	v_cndmask_b32_e64 v2, 0, 1, s[46:47]
	v_cmp_ne_u32_e64 s[0:1], 1, v2
	s_andn2_b64 vcc, exec, s[46:47]
	s_cbranch_vccnz .LBB313_37
; %bb.36:                               ;   in Loop: Header=BB313_33 Depth=1
	s_add_i32 s28, s65, 64
	s_add_u32 s28, s68, s28
	s_addc_u32 s29, s69, 0
	s_mul_i32 s31, s28, s58
	s_mul_hi_u32 s46, s28, s62
	s_add_i32 s31, s46, s31
	s_mul_i32 s29, s29, s62
	s_add_i32 s31, s31, s29
	s_mul_i32 s28, s28, s62
	s_add_u32 s28, s28, s59
	s_addc_u32 s29, s31, s63
	s_lshl_b64 s[28:29], s[28:29], 8
	s_add_u32 s28, s12, s28
	s_addc_u32 s29, s13, s29
.LBB313_37:                             ;   in Loop: Header=BB313_33 Depth=1
	v_perm_b32 v3, v21, v20, s3
	v_perm_b32 v2, v19, v18, s3
	v_perm_b32 v5, v25, v24, s3
	v_perm_b32 v4, v23, v22, s3
	ds_write_b64 v79, v[2:3]
	ds_write_b64 v80, v[4:5]
	;; [unrolled: 1-line block ×4, first 2 shown]
	v_perm_b32 v3, v29, v28, s3
	v_perm_b32 v2, v27, v26, s3
	;; [unrolled: 1-line block ×4, first 2 shown]
	ds_write_b64 v81, v[2:3]
	ds_write_b64 v82, v[4:5]
	;; [unrolled: 1-line block ×4, first 2 shown]
	s_waitcnt lgkmcnt(0)
	s_barrier
	ds_read_b64 v[6:7], v87 offset:24576
	ds_read2_b64 v[2:5], v88 offset1:16
	ds_read_b64 v[10:11], v90 offset:3072
	ds_read_b64 v[12:13], v88 offset:3072
	;; [unrolled: 1-line block ×3, first 2 shown]
	s_waitcnt lgkmcnt(3)
	v_mfma_f32_16x16x16_bf16 a[0:3], v[6:7], v[2:3], 0
	s_add_i32 s31, s65, 63
	s_mul_i32 s46, s31, s37
	s_mul_hi_u32 s47, s31, s36
	v_mfma_f32_16x16x16_bf16 a[4:7], v[6:7], v[4:5], 0
	ds_read2st64_b64 v[2:5], v88 offset0:2 offset1:4
	ds_read2st64_b64 v[6:9], v90 offset0:2 offset1:4
	s_add_i32 s47, s47, s46
	s_waitcnt lgkmcnt(1)
	v_mfma_f32_16x16x16_bf16 a[0:3], v[14:15], v[2:3], a[0:3]
	s_mul_i32 s46, s31, s36
	s_lshl_b64 s[46:47], s[46:47], 2
	s_add_u32 s46, s44, s46
	s_waitcnt lgkmcnt(0)
	v_mfma_f32_16x16x16_bf16 a[4:7], v[14:15], v[6:7], a[4:7]
	ds_read_b64 v[2:3], v91 offset:24576
	ds_read_b64 v[6:7], v92 offset:24576
	s_addc_u32 s47, s45, s47
	s_and_b64 vcc, exec, s[0:1]
	s_waitcnt lgkmcnt(1)
	v_mfma_f32_16x16x16_bf16 a[0:3], v[2:3], v[4:5], a[0:3]
	v_mov_b32_e32 v109, 0
	v_mov_b32_e32 v108, 0
	;; [unrolled: 1-line block ×3, first 2 shown]
	v_mfma_f32_16x16x16_bf16 a[8:11], v[2:3], v[8:9], a[4:7]
	v_mov_b32_e32 v2, 0
	v_mov_b32_e32 v3, 0
	;; [unrolled: 1-line block ×3, first 2 shown]
	s_waitcnt lgkmcnt(0)
	v_mfma_f32_16x16x16_bf16 a[4:7], v[6:7], v[12:13], a[0:3]
	v_mov_b32_e32 v5, 0
	v_mov_b32_e32 v8, 0
	;; [unrolled: 1-line block ×3, first 2 shown]
	v_mfma_f32_16x16x16_bf16 a[0:3], v[6:7], v[10:11], a[8:11]
	v_mov_b32_e32 v6, 0
	v_mov_b32_e32 v7, 0
	;; [unrolled: 1-line block ×10, first 2 shown]
	s_cbranch_vccnz .LBB313_39
; %bb.38:                               ;   in Loop: Header=BB313_33 Depth=1
	s_and_b32 s25, s25, 0xffff
	buffer_load_dwordx4 v[14:17], v75, s[24:27], 0 offen
	buffer_load_dwordx4 v[10:13], v75, s[24:27], s64 offen
	;; [unrolled: 1-line block ×4, first 2 shown]
	v_mov_b32_e32 v108, v77
	v_mov_b32_e32 v107, v78
.LBB313_39:                             ;   in Loop: Header=BB313_33 Depth=1
	ds_read_b64 v[42:43], v87 offset:32768
	ds_read2_b64 v[34:37], v93 offset1:16
	ds_read_b64 v[44:45], v89 offset:32768
	ds_read_b64 v[46:47], v91 offset:32768
	;; [unrolled: 1-line block ×3, first 2 shown]
	ds_read2st64_b64 v[38:41], v93 offset0:2 offset1:4
	v_add_u32_e32 v110, s65, v71
	s_waitcnt lgkmcnt(4)
	v_mfma_f32_16x16x16_bf16 a[4:7], v[42:43], v[34:35], a[4:7]
	v_ashrrev_i32_e32 v34, 31, v110
	v_mfma_f32_16x16x16_bf16 a[0:3], v[42:43], v[36:37], a[0:3]
	v_mul_lo_u32 v36, v110, s37
	v_mul_lo_u32 v37, v34, s36
	v_mad_u64_u32 v[34:35], s[24:25], v110, s36, 0
	v_add3_u32 v35, v35, v36, v37
	v_add_u32_e32 v36, 1, v110
	v_ashrrev_i32_e32 v37, 31, v36
	s_waitcnt lgkmcnt(0)
	v_mfma_f32_16x16x16_bf16 a[4:7], v[44:45], v[38:39], a[4:7]
	v_mul_lo_u32 v38, v37, s36
	v_mul_lo_u32 v39, v36, s37
	v_mad_u64_u32 v[36:37], s[24:25], v36, s36, 0
	v_add3_u32 v37, v37, v39, v38
	v_add_u32_e32 v38, 2, v110
	v_ashrrev_i32_e32 v39, 31, v38
	v_mul_lo_u32 v42, v39, s36
	v_mul_lo_u32 v43, v38, s37
	v_mad_u64_u32 v[38:39], s[24:25], v38, s36, 0
	v_add3_u32 v39, v39, v43, v42
	v_add_u32_e32 v42, 3, v110
	v_ashrrev_i32_e32 v43, 31, v42
	v_mul_lo_u32 v110, v43, s36
	v_mul_lo_u32 v111, v42, s37
	v_mad_u64_u32 v[42:43], s[24:25], v42, s36, 0
	s_add_u32 s24, s4, s65
	s_addc_u32 s25, s5, 0
	s_lshl_b64 s[72:73], s[24:25], 8
	v_lshl_add_u64 v[34:35], v[34:35], 2, s[44:45]
	v_add3_u32 v43, v43, v111, v110
	v_lshl_add_u64 v[110:111], v[60:61], 0, s[72:73]
	v_lshl_add_u64 v[36:37], v[36:37], 2, s[44:45]
	v_lshl_add_u64 v[110:111], v[110:111], 0, v[58:59]
	global_load_dword v112, v[34:35], off
	global_load_ushort v113, v[110:111], off offset:256
	global_load_ushort v114, v[110:111], off
	global_load_ushort v115, v[110:111], off offset:768
	v_lshl_add_u64 v[34:35], v[42:43], 2, s[44:45]
	v_lshl_add_u64 v[38:39], v[38:39], 2, s[44:45]
	global_load_dword v116, v[36:37], off
	global_load_dword v117, v[38:39], off
	;; [unrolled: 1-line block ×3, first 2 shown]
	ds_read2st64_b64 v[34:37], v94 offset0:2 offset1:4
	s_waitcnt lgkmcnt(0)
	v_mfma_f32_16x16x16_bf16 a[0:3], v[44:45], v[34:35], a[0:3]
	global_load_ushort v44, v[110:111], off offset:512
	global_load_ushort v119, v[110:111], off offset:800
	global_load_ushort v120, v[110:111], off offset:544
	global_load_ushort v121, v[110:111], off offset:288
	s_nop 0
	global_load_ushort v110, v[110:111], off offset:32
	s_and_b64 vcc, exec, s[0:1]
	v_mfma_f32_16x16x16_bf16 a[4:7], v[46:47], v[40:41], a[4:7]
	s_waitcnt vmcnt(10)
	v_lshlrev_b32_e32 v43, 16, v113
	v_mfma_f32_16x16x16_bf16 a[0:3], v[46:47], v[36:37], a[0:3]
	ds_read_b64 v[34:35], v93 offset:3072
	ds_read_b64 v[36:37], v94 offset:3072
	s_load_dword s24, s[46:47], 0x0
	s_waitcnt vmcnt(9)
	v_lshlrev_b32_e32 v42, 16, v114
	s_waitcnt lgkmcnt(0)
	v_mfma_f32_16x16x16_bf16 a[4:7], v[48:49], v[34:35], a[4:7]
	v_lshl_add_u64 v[34:35], v[62:63], 0, s[72:73]
	v_sub_f32_e32 v46, s24, v112
	s_waitcnt vmcnt(7)
	v_sub_f32_e32 v47, s24, v116
	v_mfma_f32_16x16x16_bf16 a[0:3], v[48:49], v[36:37], a[0:3]
	s_waitcnt vmcnt(6)
	v_sub_f32_e32 v48, s24, v117
	s_waitcnt vmcnt(5)
	v_sub_f32_e32 v49, s24, v118
	v_accvgpr_read_b32 v41, a5
	v_accvgpr_read_b32 v40, a4
	v_exp_f32_e32 v46, v46
	v_pk_add_f32 v[40:41], v[42:43], v[40:41] neg_lo:[0,1] neg_hi:[0,1]
	v_exp_f32_e32 v47, v47
	v_exp_f32_e32 v42, v48
	;; [unrolled: 1-line block ×3, first 2 shown]
	v_accvgpr_read_b32 v37, a7
	v_accvgpr_read_b32 v36, a6
	v_lshlrev_b32_e32 v45, 16, v115
	s_waitcnt vmcnt(4)
	v_lshlrev_b32_e32 v44, 16, v44
	v_lshl_add_u64 v[34:35], v[34:35], 0, v[58:59]
	v_pk_add_f32 v[36:37], v[44:45], v[36:37] neg_lo:[0,1] neg_hi:[0,1]
	global_store_short_d16_hi v[34:35], v40, off
	global_store_short_d16_hi v[34:35], v41, off offset:256
	global_store_short_d16_hi v[34:35], v36, off offset:512
	;; [unrolled: 1-line block ×3, first 2 shown]
	v_pk_mul_f32 v[40:41], v[46:47], v[40:41]
	v_pk_mul_f32 v[36:37], v[42:43], v[36:37]
	v_accvgpr_read_b32 v45, a1
	v_perm_b32 v40, v41, v40, s3
	v_perm_b32 v41, v37, v36, s3
	s_waitcnt vmcnt(5)
	v_lshlrev_b32_e32 v37, 16, v121
	s_waitcnt vmcnt(4)
	v_lshlrev_b32_e32 v36, 16, v110
	v_accvgpr_read_b32 v44, a0
	v_accvgpr_read_b32 v39, a3
	;; [unrolled: 1-line block ×3, first 2 shown]
	v_pk_add_f32 v[36:37], v[36:37], v[44:45] neg_lo:[0,1] neg_hi:[0,1]
	v_lshlrev_b32_e32 v45, 16, v119
	v_lshlrev_b32_e32 v44, 16, v120
	v_pk_add_f32 v[38:39], v[44:45], v[38:39] neg_lo:[0,1] neg_hi:[0,1]
	global_store_short_d16_hi v[34:35], v36, off offset:32
	global_store_short_d16_hi v[34:35], v37, off offset:288
	;; [unrolled: 1-line block ×4, first 2 shown]
	v_pk_mul_f32 v[34:35], v[46:47], v[36:37]
	v_pk_mul_f32 v[36:37], v[42:43], v[38:39]
	v_mov_b32_e32 v110, 0
	v_perm_b32 v37, v37, v36, s3
	v_perm_b32 v36, v35, v34, s3
	ds_write2_b64 v80, v[40:41], v[36:37] offset1:16
	v_mov_b32_e32 v34, 0
	v_mov_b32_e32 v35, 0
	;; [unrolled: 1-line block ×16, first 2 shown]
	s_cbranch_vccnz .LBB313_41
; %bb.40:                               ;   in Loop: Header=BB313_33 Depth=1
	s_and_b32 s29, s29, 0xffff
	s_mov_b32 s31, s27
	buffer_load_dwordx4 v[46:49], v102, s[28:31], 0 offen
	buffer_load_dwordx4 v[38:41], v102, s[28:31], s64 offen
	;; [unrolled: 1-line block ×4, first 2 shown]
	v_mov_b32_e32 v109, v74
	v_mov_b32_e32 v110, v73
.LBB313_41:                             ;   in Loop: Header=BB313_33 Depth=1
	s_waitcnt lgkmcnt(0)
	s_barrier
	ds_read_b64 v[116:117], v57
	ds_read_b64 v[124:125], v98
	;; [unrolled: 1-line block ×5, first 2 shown]
	ds_read_b64 v[130:131], v99 offset:16384
	ds_read_b64 v[132:133], v97 offset:16384
	ds_read2_b64 v[112:115], v93 offset0:16 offset1:128
	s_waitcnt lgkmcnt(6)
	v_mfma_f32_16x16x16_bf16 a[0:3], v[116:117], v[124:125], 0
	ds_read_b64 v[134:135], v94 offset:3072
	ds_read_b64 v[136:137], v101 offset:16384
	s_add_i32 s25, s60, s70
	s_waitcnt lgkmcnt(2)
	v_mfma_f32_16x16x16_bf16 a[4:7], v[116:117], v[112:113], 0
	ds_read2st64_b64 v[116:119], v94 offset0:2 offset1:4
	s_mul_hi_i32 s29, s25, s21
	s_mul_i32 s25, s25, s21
	v_mfma_f32_16x16x16_bf16 a[0:3], v[120:121], v[114:115], a[0:3]
	s_add_u32 s28, s25, s53
	s_addc_u32 s29, s29, s57
	s_lshl_b64 s[28:29], s[28:29], 15
	s_waitcnt lgkmcnt(0)
	v_mfma_f32_16x16x16_bf16 a[4:7], v[120:121], v[116:117], a[4:7]
	ds_read2st64_b64 v[120:123], v93 offset0:4 offset1:6
	s_waitcnt lgkmcnt(0)
	v_mfma_f32_16x16x16_bf16 a[0:3], v[126:127], v[120:121], a[0:3]
	v_mfma_f32_16x16x16_bf16 a[8:11], v[126:127], v[118:119], a[4:7]
	;; [unrolled: 1-line block ×5, first 2 shown]
	ds_read2st64_b64 v[124:127], v96 offset1:8
	v_mfma_f32_16x16x16_bf16 a[12:15], v[132:133], v[112:113], 0
	ds_read_b64 v[132:133], v100 offset:16384
	v_mfma_f32_16x16x16_bf16 a[8:11], v[130:131], v[114:115], a[8:11]
	ds_read2st64_b64 v[112:115], v95 offset1:8
	s_waitcnt lgkmcnt(0)
	v_mov_b32_e32 v128, v112
	v_mfma_f32_16x16x16_bf16 a[12:15], v[130:131], v[116:117], a[12:15]
	v_lshl_add_u64 v[116:117], v[64:65], 0, s[28:29]
	v_add_co_u32_e32 v112, vcc, s39, v116
	v_mfma_f32_16x16x16_bf16 a[8:11], v[132:133], v[120:121], a[8:11]
	v_mov_b32_e32 v129, v113
	v_addc_co_u32_e32 v113, vcc, 0, v117, vcc
	v_mfma_f32_16x16x16_bf16 a[12:15], v[132:133], v[118:119], a[12:15]
	v_mov_b32_e32 v130, v124
	v_mov_b32_e32 v131, v125
	;; [unrolled: 1-line block ×3, first 2 shown]
	v_mfma_f32_16x16x16_bf16 a[8:11], v[136:137], v[122:123], a[8:11]
	v_mov_b32_e32 v125, v115
	s_and_b64 vcc, exec, s[0:1]
	global_store_dwordx4 v[116:117], v[128:131], off
	v_mfma_f32_16x16x16_bf16 a[12:15], v[136:137], v[134:135], a[12:15]
	global_store_dwordx4 v[112:113], v[124:127], off
	s_cbranch_vccnz .LBB313_32
; %bb.42:                               ;   in Loop: Header=BB313_33 Depth=1
	v_lshrrev_b32_e32 v111, 3, v109
	v_and_b32_e32 v111, 6, v111
	v_xor_b32_e32 v110, v111, v110
	v_lshlrev_b32_e32 v110, 2, v110
	v_and_b32_e32 v109, 8, v109
	v_xor_b32_e32 v112, 0x440, v110
	v_cmp_eq_u32_e32 vcc, 0, v109
	s_barrier
	s_nop 0
	v_cndmask_b32_e32 v109, v112, v110, vcc
	v_lshl_or_b32 v109, v111, 10, v109
	s_waitcnt vmcnt(3)
	v_perm_b32 v110, v46, v42, s66
	s_waitcnt vmcnt(2)
	v_perm_b32 v111, v38, v34, s66
	ds_write2st64_b32 v109, v110, v111 offset0:32 offset1:64
	v_xor_b32_e32 v110, 8, v109
	v_perm_b32 v42, v46, v42, s67
	v_perm_b32 v34, v38, v34, s67
	v_add_u32_e32 v38, 0x80, v110
	ds_write2st64_b32 v38, v42, v34 offset0:32 offset1:64
	v_xor_b32_e32 v34, 16, v109
	v_perm_b32 v38, v47, v43, s66
	v_perm_b32 v42, v39, v35, s66
	ds_write2st64_b32 v34, v38, v42 offset0:33 offset1:65
	v_xor_b32_e32 v34, 24, v109
	v_perm_b32 v38, v47, v43, s67
	v_perm_b32 v35, v39, v35, s67
	v_add_u32_e32 v34, 0x80, v34
	ds_write2st64_b32 v34, v38, v35 offset0:33 offset1:65
	v_xor_b32_e32 v34, 32, v109
	v_perm_b32 v35, v48, v44, s66
	v_perm_b32 v38, v40, v36, s66
	ds_write2st64_b32 v34, v35, v38 offset0:34 offset1:66
	v_xor_b32_e32 v34, 40, v109
	v_perm_b32 v35, v48, v44, s67
	v_perm_b32 v36, v40, v36, s67
	v_add_u32_e32 v34, 0x80, v34
	ds_write2st64_b32 v34, v35, v36 offset0:34 offset1:66
	v_xor_b32_e32 v34, 48, v109
	v_perm_b32 v35, v49, v45, s66
	v_perm_b32 v36, v41, v37, s66
	ds_write2st64_b32 v34, v35, v36 offset0:35 offset1:67
	v_xor_b32_e32 v34, 56, v109
	v_perm_b32 v35, v49, v45, s67
	v_perm_b32 v36, v41, v37, s67
	v_add_u32_e32 v34, 0x80, v34
	ds_write2st64_b32 v34, v35, v36 offset0:35 offset1:67
	ds_write_b64 v108, v[14:15] offset:24576
	v_xor_b32_e32 v14, 8, v108
	ds_write_b64 v14, v[16:17] offset:24576
	ds_write_b64 v108, v[10:11] offset:32768
	;; [unrolled: 1-line block ×4, first 2 shown]
	v_xor_b32_e32 v6, 8, v107
	ds_write_b64 v6, v[8:9] offset:24576
	ds_write_b64 v107, v[2:3] offset:32768
	;; [unrolled: 1-line block ×3, first 2 shown]
	s_branch .LBB313_32
.LBB313_43:
                                        ; implicit-def: $vgpr21
                                        ; implicit-def: $vgpr25
                                        ; implicit-def: $vgpr29
                                        ; implicit-def: $vgpr33
	s_cbranch_execz .LBB313_45
; %bb.44:
	s_waitcnt vmcnt(0)
	v_mad_u64_u32 v[18:19], s[0:1], v36, s23, v[34:35]
	v_lshlrev_b32_e32 v36, 1, v18
	s_lshl_b32 s2, s23, 7
	s_and_b32 s1, s5, 0xffff
	s_mov_b32 s3, 0x20000
	s_mov_b32 s0, s4
	v_add_lshl_u32 v37, v18, s23, 1
	s_movk_i32 s6, 0x80
	buffer_load_dwordx4 v[18:21], v36, s[0:3], 0 offen
	buffer_load_dwordx4 v[26:29], v36, s[0:3], s6 offen
	buffer_load_dwordx4 v[22:25], v37, s[0:3], 0 offen
	buffer_load_dwordx4 v[30:33], v37, s[0:3], s6 offen
.LBB313_45:
	v_lshrrev_b32_e32 v47, 2, v51
	s_cbranch_execnz .LBB313_58
.LBB313_46:
	s_and_b64 vcc, exec, s[14:15]
	s_cbranch_vccz .LBB313_56
; %bb.47:
	s_waitcnt vmcnt(0)
	v_lshlrev_b32_e32 v23, 1, v42
	v_cmp_gt_i32_e32 vcc, s31, v23
	v_mov_b32_e32 v22, 0
	v_lshlrev_b32_e32 v30, 9, v42
	v_mov_b32_e32 v18, 0
	v_mov_b32_e32 v19, 0
	;; [unrolled: 1-line block ×4, first 2 shown]
	s_and_saveexec_b64 s[0:1], vcc
	s_cbranch_execz .LBB313_49
; %bb.48:
	v_mov_b32_e32 v31, 0
	v_lshl_add_u64 v[18:19], s[4:5], 0, v[30:31]
	v_lshlrev_b32_e32 v20, 1, v34
	v_mov_b32_e32 v21, v31
	v_lshl_add_u64 v[18:19], v[18:19], 0, v[20:21]
	global_load_dwordx4 v[18:21], v[18:19], off
.LBB313_49:
	s_or_b64 exec, exec, s[0:1]
	v_or_b32_e32 v23, 1, v23
	v_cmp_gt_i32_e64 s[0:1], s31, v23
	v_lshlrev_b32_e32 v36, 8, v23
	v_mov_b32_e32 v23, 0
	v_mov_b32_e32 v24, 0
	;; [unrolled: 1-line block ×3, first 2 shown]
	s_and_saveexec_b64 s[2:3], s[0:1]
	s_cbranch_execz .LBB313_51
; %bb.50:
	v_mov_b32_e32 v37, 0
	v_lshl_add_u64 v[22:23], s[4:5], 0, v[36:37]
	v_lshlrev_b32_e32 v24, 1, v34
	v_mov_b32_e32 v25, v37
	v_lshl_add_u64 v[22:23], v[22:23], 0, v[24:25]
	global_load_dwordx4 v[22:25], v[22:23], off
.LBB313_51:
	s_or_b64 exec, exec, s[2:3]
	v_mov_b32_e32 v33, 0
	v_mov_b32_e32 v26, 0
	;; [unrolled: 1-line block ×5, first 2 shown]
	s_and_saveexec_b64 s[2:3], vcc
	s_cbranch_execz .LBB313_53
; %bb.52:
	v_mov_b32_e32 v31, 0
	v_lshl_add_u64 v[26:27], s[4:5], 0, v[30:31]
	v_lshlrev_b32_e32 v30, 1, v34
	v_lshl_add_u64 v[26:27], v[26:27], 0, v[30:31]
	global_load_dwordx4 v[26:29], v[26:27], off offset:128
.LBB313_53:
	s_or_b64 exec, exec, s[2:3]
	v_mov_b32_e32 v32, 0
	v_mov_b32_e32 v31, 0
	;; [unrolled: 1-line block ×3, first 2 shown]
	s_and_saveexec_b64 s[2:3], s[0:1]
	s_cbranch_execz .LBB313_55
; %bb.54:
	v_mov_b32_e32 v37, 0
	v_lshl_add_u64 v[30:31], s[4:5], 0, v[36:37]
	v_lshlrev_b32_e32 v36, 1, v34
	v_lshl_add_u64 v[30:31], v[30:31], 0, v[36:37]
	global_load_dwordx4 v[30:33], v[30:31], off offset:128
.LBB313_55:
	s_or_b64 exec, exec, s[2:3]
	s_branch .LBB313_58
.LBB313_56:
                                        ; implicit-def: $vgpr21
                                        ; implicit-def: $vgpr25
                                        ; implicit-def: $vgpr29
                                        ; implicit-def: $vgpr33
	s_cbranch_execz .LBB313_58
; %bb.57:
	s_waitcnt vmcnt(0)
	v_lshlrev_b32_e32 v18, 1, v34
	v_lshl_or_b32 v34, v42, 9, v18
	s_and_b32 s5, s5, 0xffff
	s_mov_b32 s7, 0x20000
	s_movk_i32 s6, 0x4000
	s_movk_i32 s0, 0x80
	buffer_load_dwordx4 v[18:21], v34, s[4:7], 0 offen
	buffer_load_dwordx4 v[22:25], v34, s[4:7], 0 offen offset:256
	buffer_load_dwordx4 v[26:29], v34, s[4:7], s0 offen
	buffer_load_dwordx4 v[30:33], v34, s[4:7], s0 offen offset:256
.LBB313_58:
	ds_read_b64 v[36:37], v43 offset:32768
	v_add_u32_e32 v34, 0xb000, v40
	ds_read2_b64 v[58:61], v34 offset1:16
	ds_read_b64 v[48:49], v44 offset:32768
	ds_read_b64 v[44:45], v45 offset:32768
	;; [unrolled: 1-line block ×3, first 2 shown]
	v_and_b32_e32 v34, 6, v0
	v_xor_b32_e32 v42, v42, v34
	v_lshlrev_b32_e32 v42, 2, v42
	v_and_b32_e32 v43, 1, v0
	v_xor_b32_e32 v46, 0x440, v42
	v_cmp_eq_u32_e32 vcc, 0, v43
	s_waitcnt lgkmcnt(3)
	v_mfma_f32_16x16x16_bf16 a[0:3], v[36:37], v[58:59], a[0:3]
	s_mov_b32 s0, 0x1000504
	v_cndmask_b32_e32 v42, v46, v42, vcc
	v_lshl_or_b32 v34, v34, 10, v42
	v_mfma_f32_16x16x16_bf16 a[4:7], v[36:37], v[60:61], a[4:7]
	ds_read2st64_b64 v[58:61], v40 offset0:90 offset1:92
	ds_read2st64_b64 v[62:65], v41 offset0:90 offset1:92
	s_waitcnt vmcnt(0)
	v_perm_b32 v42, v18, v22, s0
	s_mov_b32 s1, 0x3020706
	s_waitcnt lgkmcnt(1)
	v_mfma_f32_16x16x16_bf16 a[0:3], v[48:49], v[58:59], a[0:3]
	ds_read_b64 v[36:37], v40 offset:48128
	ds_read_b64 v[58:59], v41 offset:48128
	v_perm_b32 v18, v18, v22, s1
	v_perm_b32 v22, v26, v30, s1
	s_waitcnt lgkmcnt(2)
	v_mfma_f32_16x16x16_bf16 a[4:7], v[48:49], v[62:63], a[4:7]
	v_and_or_b32 v43, v47, 12, v66
	v_mfma_f32_16x16x16_bf16 a[0:3], v[44:45], v[60:61], a[0:3]
	v_mfma_f32_16x16x16_bf16 a[8:11], v[44:45], v[64:65], a[4:7]
	s_waitcnt lgkmcnt(1)
	v_mfma_f32_16x16x16_bf16 a[4:7], v[68:69], v[36:37], a[0:3]
	v_perm_b32 v36, v26, v30, s0
	ds_write2st64_b32 v34, v42, v36 offset0:32 offset1:64
	v_xor_b32_e32 v36, 8, v34
	v_add_u32_e32 v26, 0x80, v36
	ds_write2st64_b32 v26, v18, v22 offset0:32 offset1:64
	v_xor_b32_e32 v18, 16, v34
	v_perm_b32 v22, v19, v23, s0
	v_perm_b32 v26, v27, v31, s0
	ds_write2st64_b32 v18, v22, v26 offset0:33 offset1:65
	v_xor_b32_e32 v18, 24, v34
	v_perm_b32 v19, v19, v23, s1
	v_perm_b32 v22, v27, v31, s1
	v_add_u32_e32 v18, 0x80, v18
	ds_write2st64_b32 v18, v19, v22 offset0:33 offset1:65
	v_xor_b32_e32 v18, 32, v34
	v_perm_b32 v19, v20, v24, s0
	v_perm_b32 v22, v28, v32, s0
	ds_write2st64_b32 v18, v19, v22 offset0:34 offset1:66
	v_xor_b32_e32 v18, 40, v34
	s_waitcnt lgkmcnt(5)
	v_mfma_f32_16x16x16_bf16 a[0:3], v[68:69], v[58:59], a[8:11]
	v_perm_b32 v19, v20, v24, s1
	v_perm_b32 v20, v28, v32, s1
	v_add_u32_e32 v18, 0x80, v18
	ds_write2st64_b32 v18, v19, v20 offset0:34 offset1:66
	v_xor_b32_e32 v18, 48, v34
	v_perm_b32 v19, v21, v25, s0
	v_perm_b32 v20, v29, v33, s0
	ds_write2st64_b32 v18, v19, v20 offset0:35 offset1:67
	v_xor_b32_e32 v18, 56, v34
	v_perm_b32 v19, v21, v25, s1
	v_perm_b32 v20, v29, v33, s1
	v_add_u32_e32 v18, 0x80, v18
	v_cmp_gt_i32_e64 s[0:1], s31, v43
	v_mov_b32_e32 v36, 0
	v_mov_b32_e32 v37, 0
	ds_write2st64_b32 v18, v19, v20 offset0:35 offset1:67
	s_and_saveexec_b64 s[2:3], s[0:1]
	s_cbranch_execz .LBB313_60
; %bb.59:
	v_add_u32_e32 v18, s30, v43
	v_ashrrev_i32_e32 v19, 31, v18
	v_mul_lo_u32 v20, v19, s36
	v_mul_lo_u32 v21, v18, s37
	v_mad_u64_u32 v[18:19], s[4:5], v18, s36, 0
	v_add3_u32 v19, v19, v21, v20
	v_lshl_add_u64 v[18:19], v[18:19], 2, s[12:13]
	global_load_dword v18, v[18:19], off
	s_waitcnt vmcnt(0)
	v_sub_f32_e32 v18, s18, v18
	v_exp_f32_e32 v37, v18
.LBB313_60:
	s_or_b64 exec, exec, s[2:3]
	v_or_b32_e32 v30, 1, v43
	v_cmp_gt_i32_e64 s[4:5], s31, v30
	s_and_saveexec_b64 s[2:3], s[4:5]
	s_cbranch_execz .LBB313_62
; %bb.61:
	v_add_u32_e32 v18, s30, v30
	v_ashrrev_i32_e32 v19, 31, v18
	v_mul_lo_u32 v20, v19, s36
	v_mul_lo_u32 v21, v18, s37
	v_mad_u64_u32 v[18:19], s[6:7], v18, s36, 0
	v_add3_u32 v19, v19, v21, v20
	v_lshl_add_u64 v[18:19], v[18:19], 2, s[12:13]
	global_load_dword v18, v[18:19], off
	s_waitcnt vmcnt(0)
	v_sub_f32_e32 v18, s18, v18
	v_exp_f32_e32 v36, v18
.LBB313_62:
	s_or_b64 exec, exec, s[2:3]
	v_or_b32_e32 v28, 2, v43
	v_cmp_gt_i32_e64 s[2:3], s31, v28
	v_mov_b32_e32 v34, 0
	v_mov_b32_e32 v42, 0
	s_and_saveexec_b64 s[6:7], s[2:3]
	s_cbranch_execz .LBB313_64
; %bb.63:
	v_add_u32_e32 v18, s30, v28
	v_ashrrev_i32_e32 v19, 31, v18
	v_mul_lo_u32 v20, v19, s36
	v_mul_lo_u32 v21, v18, s37
	v_mad_u64_u32 v[18:19], s[14:15], v18, s36, 0
	v_add3_u32 v19, v19, v21, v20
	v_lshl_add_u64 v[18:19], v[18:19], 2, s[12:13]
	global_load_dword v18, v[18:19], off
	s_waitcnt vmcnt(0)
	v_sub_f32_e32 v18, s18, v18
	v_exp_f32_e32 v42, v18
.LBB313_64:
	s_or_b64 exec, exec, s[6:7]
	v_or_b32_e32 v29, 3, v43
	v_cmp_gt_i32_e32 vcc, s31, v29
	s_and_saveexec_b64 s[6:7], vcc
	s_cbranch_execz .LBB313_66
; %bb.65:
	v_add_u32_e32 v18, s30, v29
	v_ashrrev_i32_e32 v19, 31, v18
	v_mul_lo_u32 v20, v19, s36
	v_mul_lo_u32 v21, v18, s37
	v_mad_u64_u32 v[18:19], s[14:15], v18, s36, 0
	v_add3_u32 v19, v19, v21, v20
	v_lshl_add_u64 v[18:19], v[18:19], 2, s[12:13]
	global_load_dword v18, v[18:19], off
	s_waitcnt vmcnt(0)
	v_sub_f32_e32 v18, s18, v18
	v_exp_f32_e32 v34, v18
.LBB313_66:
	s_or_b64 exec, exec, s[6:7]
	s_add_u32 s6, s16, s24
	s_addc_u32 s7, s17, s25
	s_add_u32 s8, s8, s24
	v_ashrrev_i32_e32 v57, 31, v56
	v_accvgpr_read_b32 v21, a7
	s_addc_u32 s9, s9, s25
	v_lshlrev_b64 v[22:23], 1, v[56:57]
	v_accvgpr_read_b32 v20, a6
	v_accvgpr_read_b32 v19, a5
	;; [unrolled: 1-line block ×3, first 2 shown]
	v_lshl_add_u64 v[24:25], s[6:7], 0, v[22:23]
	v_lshl_add_u64 v[22:23], s[8:9], 0, v[22:23]
	v_mov_b32_e32 v31, 0
	v_lshlrev_b32_e32 v26, 8, v43
	v_mov_b32_e32 v27, 0
	s_and_saveexec_b64 s[6:7], s[0:1]
	s_cbranch_execz .LBB313_68
; %bb.67:
	v_mov_b32_e32 v27, 0
	v_lshl_add_u64 v[32:33], v[24:25], 0, v[26:27]
	global_load_ushort v44, v[32:33], off
	v_lshl_add_u64 v[32:33], v[22:23], 0, v[26:27]
	s_waitcnt vmcnt(0)
	v_lshlrev_b32_e32 v27, 16, v44
	v_sub_f32_e32 v18, v27, v18
	global_store_short_d16_hi v[32:33], v18, off
	v_mul_f32_e32 v18, v37, v18
	v_lshrrev_b32_e32 v27, 16, v18
.LBB313_68:
	s_or_b64 exec, exec, s[6:7]
	v_lshlrev_b32_e32 v30, 8, v30
	s_and_saveexec_b64 s[6:7], s[4:5]
	s_cbranch_execz .LBB313_70
; %bb.69:
	v_mov_b32_e32 v31, 0
	v_lshl_add_u64 v[32:33], v[24:25], 0, v[30:31]
	global_load_ushort v18, v[32:33], off
	v_lshl_add_u64 v[32:33], v[22:23], 0, v[30:31]
	s_waitcnt vmcnt(0)
	v_lshlrev_b32_e32 v18, 16, v18
	v_sub_f32_e32 v18, v18, v19
	global_store_short_d16_hi v[32:33], v18, off
	v_mul_f32_e32 v18, v36, v18
	v_lshrrev_b32_e32 v31, 16, v18
.LBB313_70:
	s_or_b64 exec, exec, s[6:7]
	v_mov_b32_e32 v44, 0
	v_lshlrev_b32_e32 v32, 8, v28
	v_mov_b32_e32 v33, 0
	s_and_saveexec_b64 s[6:7], s[2:3]
	s_cbranch_execz .LBB313_72
; %bb.71:
	v_mov_b32_e32 v33, 0
	v_lshl_add_u64 v[18:19], v[24:25], 0, v[32:33]
	global_load_ushort v28, v[18:19], off
	v_lshl_add_u64 v[18:19], v[22:23], 0, v[32:33]
	s_waitcnt vmcnt(0)
	v_lshlrev_b32_e32 v28, 16, v28
	v_sub_f32_e32 v20, v28, v20
	global_store_short_d16_hi v[18:19], v20, off
	v_mul_f32_e32 v18, v42, v20
	v_lshrrev_b32_e32 v33, 16, v18
.LBB313_72:
	s_or_b64 exec, exec, s[6:7]
	v_lshlrev_b32_e32 v28, 8, v29
	s_and_saveexec_b64 s[6:7], vcc
	s_cbranch_execz .LBB313_74
; %bb.73:
	v_mov_b32_e32 v29, 0
	v_lshl_add_u64 v[18:19], v[24:25], 0, v[28:29]
	global_load_ushort v20, v[18:19], off
	v_lshl_add_u64 v[18:19], v[22:23], 0, v[28:29]
	s_waitcnt vmcnt(0)
	v_lshlrev_b32_e32 v20, 16, v20
	v_sub_f32_e32 v20, v20, v21
	global_store_short_d16_hi v[18:19], v20, off
	v_mul_f32_e32 v18, v34, v20
	v_lshrrev_b32_e32 v44, 16, v18
.LBB313_74:
	s_or_b64 exec, exec, s[6:7]
	v_lshlrev_b32_e32 v43, 5, v43
	s_mov_b32 s6, 0x5040100
	v_perm_b32 v45, v44, v33, s6
	v_perm_b32 v44, v31, v27, s6
	v_or_b32_e32 v27, v43, v38
	v_accvgpr_read_b32 v21, a3
	v_lshlrev_b32_e32 v27, 1, v27
	v_accvgpr_read_b32 v20, a2
	v_accvgpr_read_b32 v19, a1
	;; [unrolled: 1-line block ×3, first 2 shown]
	ds_write_b64 v27, v[44:45] offset:45056
	v_mov_b32_e32 v31, 0
	v_mov_b32_e32 v27, 0
	s_and_saveexec_b64 s[6:7], s[0:1]
	s_cbranch_execz .LBB313_76
; %bb.75:
	v_mov_b32_e32 v27, 0
	v_lshl_add_u64 v[44:45], v[24:25], 0, v[26:27]
	global_load_ushort v29, v[44:45], off offset:32
	v_lshl_add_u64 v[26:27], v[22:23], 0, v[26:27]
	s_waitcnt vmcnt(0)
	v_lshlrev_b32_e32 v29, 16, v29
	v_sub_f32_e32 v18, v29, v18
	global_store_short_d16_hi v[26:27], v18, off offset:32
	v_mul_f32_e32 v18, v37, v18
	v_lshrrev_b32_e32 v27, 16, v18
.LBB313_76:
	s_or_b64 exec, exec, s[6:7]
	s_and_saveexec_b64 s[0:1], s[4:5]
	s_cbranch_execz .LBB313_78
; %bb.77:
	v_mov_b32_e32 v31, 0
	v_lshl_add_u64 v[44:45], v[24:25], 0, v[30:31]
	global_load_ushort v18, v[44:45], off offset:32
	v_lshl_add_u64 v[30:31], v[22:23], 0, v[30:31]
	s_waitcnt vmcnt(0)
	v_lshlrev_b32_e32 v18, 16, v18
	v_sub_f32_e32 v18, v18, v19
	global_store_short_d16_hi v[30:31], v18, off offset:32
	v_mul_f32_e32 v18, v36, v18
	v_lshrrev_b32_e32 v31, 16, v18
.LBB313_78:
	s_or_b64 exec, exec, s[0:1]
	v_mov_b32_e32 v26, 0
	v_mov_b32_e32 v30, 0
	s_and_saveexec_b64 s[0:1], s[2:3]
	s_cbranch_execz .LBB313_80
; %bb.79:
	v_mov_b32_e32 v33, 0
	v_lshl_add_u64 v[18:19], v[24:25], 0, v[32:33]
	global_load_ushort v29, v[18:19], off offset:32
	v_lshl_add_u64 v[18:19], v[22:23], 0, v[32:33]
	s_waitcnt vmcnt(0)
	v_lshlrev_b32_e32 v29, 16, v29
	v_sub_f32_e32 v20, v29, v20
	global_store_short_d16_hi v[18:19], v20, off offset:32
	v_mul_f32_e32 v18, v42, v20
	v_lshrrev_b32_e32 v30, 16, v18
.LBB313_80:
	s_or_b64 exec, exec, s[0:1]
	v_or_b32_e32 v19, 0xb000, v40
	v_or_b32_e32 v18, 0xb000, v41
	s_and_saveexec_b64 s[0:1], vcc
	s_cbranch_execz .LBB313_82
; %bb.81:
	v_mov_b32_e32 v29, 0
	v_lshl_add_u64 v[24:25], v[24:25], 0, v[28:29]
	global_load_ushort v20, v[24:25], off offset:32
	v_lshl_add_u64 v[22:23], v[22:23], 0, v[28:29]
	s_waitcnt vmcnt(0)
	v_lshlrev_b32_e32 v20, 16, v20
	v_sub_f32_e32 v20, v20, v21
	global_store_short_d16_hi v[22:23], v20, off offset:32
	v_mul_f32_e32 v20, v34, v20
	v_lshrrev_b32_e32 v26, 16, v20
.LBB313_82:
	s_or_b64 exec, exec, s[0:1]
	s_mov_b32 s0, 0x5040100
	v_or_b32_e32 v22, v43, v35
	v_perm_b32 v21, v26, v30, s0
	v_perm_b32 v20, v31, v27, s0
	v_lshlrev_b32_e32 v22, 1, v22
	s_movk_i32 s0, 0x100
	ds_write_b64 v22, v[20:21] offset:45056
	v_and_b32_e32 v20, 7, v0
	v_and_b32_e32 v21, 8, v0
	v_cmp_gt_u32_e32 vcc, s0, v0
	v_lshrrev_b32_e32 v0, 1, v0
	v_lshlrev_b32_e32 v37, 3, v1
	v_and_b32_e32 v38, 24, v0
	v_lshlrev_b32_e32 v34, 3, v20
	v_lshlrev_b32_e32 v35, 7, v20
	v_mov_b32_e32 v20, 0x4000
	v_mov_b32_e32 v22, 0x2000
	v_xor_b32_e32 v0, v37, v38
	v_cndmask_b32_e32 v36, v20, v22, vcc
	v_or_b32_e32 v1, 0x440, v0
	v_cmp_eq_u32_e32 vcc, 0, v21
	s_waitcnt lgkmcnt(0)
	s_barrier
	v_cndmask_b32_e32 v0, v1, v0, vcc
	v_or_b32_e32 v0, v0, v39
	v_xad_u32 v40, v0, v34, v35
	v_add_u32_e32 v0, v36, v40
	ds_read_b64 v[0:1], v0
	ds_read2_b64 v[20:23], v19 offset1:16
	v_or_b32_e32 v24, 32, v38
	v_xor_b32_e32 v24, v37, v24
	v_or_b32_e32 v25, 0x440, v24
	v_cndmask_b32_e32 v24, v25, v24, vcc
	s_waitcnt lgkmcnt(0)
	v_mfma_f32_16x16x16_bf16 a[0:3], v[0:1], v[20:21], 0
	v_or_b32_e32 v24, v24, v39
	v_xad_u32 v41, v24, v34, v35
	v_add_u32_e32 v24, v36, v41
	v_mfma_f32_16x16x16_bf16 a[4:7], v[0:1], v[22:23], 0
	v_or_b32_e32 v0, 64, v38
	v_xor_b32_e32 v0, v37, v0
	v_xor_b32_e32 v1, 0x440, v0
	ds_read_b64 v[32:33], v24
	v_cndmask_b32_e32 v0, v1, v0, vcc
	v_or_b32_e32 v0, v0, v39
	v_xad_u32 v42, v0, v34, v35
	v_add_u32_e32 v0, v36, v42
	ds_read_b64 v[0:1], v0
	ds_read2st64_b64 v[24:27], v19 offset0:2 offset1:4
	ds_read2st64_b64 v[28:31], v18 offset0:2 offset1:4
	s_waitcnt lgkmcnt(1)
	v_mfma_f32_16x16x16_bf16 a[0:3], v[32:33], v[24:25], a[0:3]
	s_waitcnt lgkmcnt(0)
	v_mfma_f32_16x16x16_bf16 a[4:7], v[32:33], v[28:29], a[4:7]
	v_or_b32_e32 v32, 0x60, v38
	v_xor_b32_e32 v32, v37, v32
	v_xor_b32_e32 v33, 0x440, v32
	v_cndmask_b32_e32 v32, v33, v32, vcc
	v_or_b32_e32 v32, v32, v39
	v_xad_u32 v37, v32, v34, v35
	v_add_u32_e32 v32, v36, v37
	ds_read_b64 v[32:33], v32
	v_mfma_f32_16x16x16_bf16 a[0:3], v[0:1], v[26:27], a[0:3]
	v_exp_f32_e32 v36, s18
	v_mfma_f32_16x16x16_bf16 a[4:7], v[0:1], v[30:31], a[4:7]
	ds_read_b64 v[0:1], v19 offset:3072
	ds_read_b64 v[34:35], v18 offset:3072
	;; [unrolled: 1-line block ×3, first 2 shown]
	s_waitcnt lgkmcnt(0)
	v_mfma_f32_16x16x16_bf16 a[8:11], v[18:19], v[20:21], 0
	ds_read_b64 v[20:21], v41 offset:16384
	v_mfma_f32_16x16x16_bf16 a[0:3], v[32:33], v[0:1], a[0:3]
	v_mfma_f32_16x16x16_bf16 a[12:15], v[18:19], v[22:23], 0
	ds_read_b64 v[22:23], v42 offset:16384
	s_nop 4
	v_accvgpr_read_b32 v18, a0
	v_fma_f32 v18, v2, v36, v18
	v_accvgpr_read_b32 v2, a1
	v_fma_f32 v19, v3, v36, v2
	v_accvgpr_read_b32 v2, a2
	s_waitcnt lgkmcnt(1)
	v_mfma_f32_16x16x16_bf16 a[8:11], v[20:21], v[24:25], a[8:11]
	v_mfma_f32_16x16x16_bf16 a[12:15], v[20:21], v[28:29], a[12:15]
	v_fma_f32 v20, v4, v36, v2
	ds_read_b64 v[2:3], v37 offset:16384
	v_accvgpr_read_b32 v21, a3
	s_waitcnt lgkmcnt(1)
	v_mfma_f32_16x16x16_bf16 a[0:3], v[22:23], v[26:27], a[8:11]
	v_fmac_f32_e32 v21, v5, v36
	v_mfma_f32_16x16x16_bf16 a[4:7], v[32:33], v[34:35], a[4:7]
	v_mfma_f32_16x16x16_bf16 a[8:11], v[22:23], v[30:31], a[12:15]
	s_waitcnt lgkmcnt(0)
	v_mfma_f32_16x16x16_bf16 a[0:3], v[2:3], v[0:1], a[0:3]
	s_nop 3
	v_accvgpr_read_b32 v4, a4
	v_fma_f32 v26, v10, v36, v4
	v_accvgpr_read_b32 v4, a5
	v_fma_f32 v27, v11, v36, v4
	v_accvgpr_read_b32 v4, a6
	v_accvgpr_read_b32 v29, a7
	v_mfma_f32_16x16x16_bf16 a[4:7], v[2:3], v[34:35], a[8:11]
	v_accvgpr_read_b32 v0, a0
	v_fma_f32 v22, v6, v36, v0
	v_accvgpr_read_b32 v0, a1
	v_fma_f32 v23, v7, v36, v0
	;; [unrolled: 2-line block ×3, first 2 shown]
	v_accvgpr_read_b32 v25, a3
	v_accvgpr_read_b32 v0, a4
	v_fma_f32 v30, v14, v36, v0
	v_accvgpr_read_b32 v0, a5
	v_fma_f32 v31, v15, v36, v0
	v_accvgpr_read_b32 v0, a6
	v_accvgpr_read_b32 v33, a7
	v_fma_f32 v28, v12, v36, v4
	v_fmac_f32_e32 v29, v13, v36
	v_fmac_f32_e32 v25, v9, v36
	v_fma_f32 v32, v16, v36, v0
	v_fmac_f32_e32 v33, v17, v36
	v_mov_b64_e32 v[2:3], v[18:19]
	v_mov_b64_e32 v[4:5], v[20:21]
	v_mov_b64_e32 v[6:7], v[22:23]
	v_mov_b64_e32 v[8:9], v[24:25]
	v_mov_b64_e32 v[10:11], v[26:27]
	v_mov_b64_e32 v[12:13], v[28:29]
	v_mov_b64_e32 v[14:15], v[30:31]
	v_mov_b64_e32 v[16:17], v[32:33]
.LBB313_83:
	s_add_u32 s0, s10, s34
	s_addc_u32 s1, s11, s35
	v_lshl_add_u64 v[0:1], v[52:53], 1, s[0:1]
	v_mov_b32_e32 v51, 0
	s_mov_b32 s2, 0x7060302
	v_lshl_add_u64 v[0:1], v[0:1], 0, v[50:51]
	v_perm_b32 v5, v5, v4, s2
	v_perm_b32 v4, v3, v2, s2
	v_perm_b32 v3, v9, v8, s2
	v_perm_b32 v2, v7, v6, s2
	global_store_dwordx2 v[0:1], v[4:5], off
	global_store_dwordx2 v[0:1], v[2:3], off offset:128
	v_lshl_add_u64 v[0:1], v[54:55], 1, s[0:1]
	v_lshl_add_u64 v[0:1], v[0:1], 0, v[50:51]
	v_perm_b32 v3, v13, v12, s2
	v_perm_b32 v2, v11, v10, s2
	global_store_dwordx2 v[0:1], v[2:3], off
	v_perm_b32 v3, v17, v16, s2
	v_perm_b32 v2, v15, v14, s2
	global_store_dwordx2 v[0:1], v[2:3], off offset:128
	s_endpgm
	.section	.rodata,"a",@progbits
	.p2align	6, 0x0
	.amdhsa_kernel _ZN12_GLOBAL__N_139chunk_gated_delta_rule_fwd_h_hip_kernelILi32ELb1ELb1ELb1ELb0ELb1ELb0ELb0ELb1EEEvPK12hip_bfloat16S3_S3_PKfS5_PKvPS1_S8_PvPKiSB_iiiiilll
		.amdhsa_group_segment_fixed_size 49152
		.amdhsa_private_segment_fixed_size 0
		.amdhsa_kernarg_size 136
		.amdhsa_user_sgpr_count 2
		.amdhsa_user_sgpr_dispatch_ptr 0
		.amdhsa_user_sgpr_queue_ptr 0
		.amdhsa_user_sgpr_kernarg_segment_ptr 1
		.amdhsa_user_sgpr_dispatch_id 0
		.amdhsa_user_sgpr_kernarg_preload_length 0
		.amdhsa_user_sgpr_kernarg_preload_offset 0
		.amdhsa_user_sgpr_private_segment_size 0
		.amdhsa_uses_dynamic_stack 0
		.amdhsa_enable_private_segment 0
		.amdhsa_system_sgpr_workgroup_id_x 1
		.amdhsa_system_sgpr_workgroup_id_y 1
		.amdhsa_system_sgpr_workgroup_id_z 0
		.amdhsa_system_sgpr_workgroup_info 0
		.amdhsa_system_vgpr_workitem_id 0
		.amdhsa_next_free_vgpr 156
		.amdhsa_next_free_sgpr 74
		.amdhsa_accum_offset 140
		.amdhsa_reserve_vcc 1
		.amdhsa_float_round_mode_32 0
		.amdhsa_float_round_mode_16_64 0
		.amdhsa_float_denorm_mode_32 3
		.amdhsa_float_denorm_mode_16_64 3
		.amdhsa_dx10_clamp 1
		.amdhsa_ieee_mode 1
		.amdhsa_fp16_overflow 0
		.amdhsa_tg_split 0
		.amdhsa_exception_fp_ieee_invalid_op 0
		.amdhsa_exception_fp_denorm_src 0
		.amdhsa_exception_fp_ieee_div_zero 0
		.amdhsa_exception_fp_ieee_overflow 0
		.amdhsa_exception_fp_ieee_underflow 0
		.amdhsa_exception_fp_ieee_inexact 0
		.amdhsa_exception_int_div_zero 0
	.end_amdhsa_kernel
	.section	.text._ZN12_GLOBAL__N_139chunk_gated_delta_rule_fwd_h_hip_kernelILi32ELb1ELb1ELb1ELb0ELb1ELb0ELb0ELb1EEEvPK12hip_bfloat16S3_S3_PKfS5_PKvPS1_S8_PvPKiSB_iiiiilll,"axG",@progbits,_ZN12_GLOBAL__N_139chunk_gated_delta_rule_fwd_h_hip_kernelILi32ELb1ELb1ELb1ELb0ELb1ELb0ELb0ELb1EEEvPK12hip_bfloat16S3_S3_PKfS5_PKvPS1_S8_PvPKiSB_iiiiilll,comdat
.Lfunc_end313:
	.size	_ZN12_GLOBAL__N_139chunk_gated_delta_rule_fwd_h_hip_kernelILi32ELb1ELb1ELb1ELb0ELb1ELb0ELb0ELb1EEEvPK12hip_bfloat16S3_S3_PKfS5_PKvPS1_S8_PvPKiSB_iiiiilll, .Lfunc_end313-_ZN12_GLOBAL__N_139chunk_gated_delta_rule_fwd_h_hip_kernelILi32ELb1ELb1ELb1ELb0ELb1ELb0ELb0ELb1EEEvPK12hip_bfloat16S3_S3_PKfS5_PKvPS1_S8_PvPKiSB_iiiiilll
                                        ; -- End function
	.section	.AMDGPU.csdata,"",@progbits
; Kernel info:
; codeLenInByte = 9680
; NumSgprs: 80
; NumVgprs: 138
; NumAgprs: 16
; TotalNumVgprs: 156
; ScratchSize: 0
; MemoryBound: 0
; FloatMode: 240
; IeeeMode: 1
; LDSByteSize: 49152 bytes/workgroup (compile time only)
; SGPRBlocks: 9
; VGPRBlocks: 19
; NumSGPRsForWavesPerEU: 80
; NumVGPRsForWavesPerEU: 156
; AccumOffset: 140
; Occupancy: 1
; WaveLimiterHint : 1
; COMPUTE_PGM_RSRC2:SCRATCH_EN: 0
; COMPUTE_PGM_RSRC2:USER_SGPR: 2
; COMPUTE_PGM_RSRC2:TRAP_HANDLER: 0
; COMPUTE_PGM_RSRC2:TGID_X_EN: 1
; COMPUTE_PGM_RSRC2:TGID_Y_EN: 1
; COMPUTE_PGM_RSRC2:TGID_Z_EN: 0
; COMPUTE_PGM_RSRC2:TIDIG_COMP_CNT: 0
; COMPUTE_PGM_RSRC3_GFX90A:ACCUM_OFFSET: 34
; COMPUTE_PGM_RSRC3_GFX90A:TG_SPLIT: 0
	.section	.text._ZN12_GLOBAL__N_139chunk_gated_delta_rule_fwd_h_hip_kernelILi32ELb1ELb1ELb0ELb0ELb1ELb0ELb0ELb1EEEvPK12hip_bfloat16S3_S3_PKfS5_PKvPS1_S8_PvPKiSB_iiiiilll,"axG",@progbits,_ZN12_GLOBAL__N_139chunk_gated_delta_rule_fwd_h_hip_kernelILi32ELb1ELb1ELb0ELb0ELb1ELb0ELb0ELb1EEEvPK12hip_bfloat16S3_S3_PKfS5_PKvPS1_S8_PvPKiSB_iiiiilll,comdat
	.globl	_ZN12_GLOBAL__N_139chunk_gated_delta_rule_fwd_h_hip_kernelILi32ELb1ELb1ELb0ELb0ELb1ELb0ELb0ELb1EEEvPK12hip_bfloat16S3_S3_PKfS5_PKvPS1_S8_PvPKiSB_iiiiilll ; -- Begin function _ZN12_GLOBAL__N_139chunk_gated_delta_rule_fwd_h_hip_kernelILi32ELb1ELb1ELb0ELb0ELb1ELb0ELb0ELb1EEEvPK12hip_bfloat16S3_S3_PKfS5_PKvPS1_S8_PvPKiSB_iiiiilll
	.p2align	8
	.type	_ZN12_GLOBAL__N_139chunk_gated_delta_rule_fwd_h_hip_kernelILi32ELb1ELb1ELb0ELb0ELb1ELb0ELb0ELb1EEEvPK12hip_bfloat16S3_S3_PKfS5_PKvPS1_S8_PvPKiSB_iiiiilll,@function
_ZN12_GLOBAL__N_139chunk_gated_delta_rule_fwd_h_hip_kernelILi32ELb1ELb1ELb0ELb0ELb1ELb0ELb0ELb1EEEvPK12hip_bfloat16S3_S3_PKfS5_PKvPS1_S8_PvPKiSB_iiiiilll: ; @_ZN12_GLOBAL__N_139chunk_gated_delta_rule_fwd_h_hip_kernelILi32ELb1ELb1ELb0ELb0ELb1ELb0ELb0ELb1EEEvPK12hip_bfloat16S3_S3_PKfS5_PKvPS1_S8_PvPKiSB_iiiiilll
; %bb.0:
	s_load_dwordx4 s[12:15], s[0:1], 0x5c
	s_load_dwordx4 s[20:23], s[0:1], 0x70
	s_abs_i32 s6, s3
	s_ashr_i32 s5, s3, 31
	s_load_dwordx4 s[16:19], s[0:1], 0x28
	s_waitcnt lgkmcnt(0)
	s_abs_i32 s4, s13
	v_cvt_f32_u32_e32 v1, s4
	s_sub_i32 s8, 0, s4
	s_ashr_i32 s7, s13, 31
	s_xor_b32 s5, s5, s7
	v_rcp_iflag_f32_e32 v1, v1
	v_and_b32_e32 v66, 15, v0
	v_bfe_u32 v65, v0, 4, 2
	v_mov_b32_e32 v51, 0
	v_mul_f32_e32 v1, 0x4f7ffffe, v1
	v_cvt_u32_f32_e32 v1, v1
	v_lshlrev_b32_e32 v67, 3, v0
	v_readfirstlane_b32 s9, v1
	s_mul_i32 s8, s8, s9
	s_mul_hi_u32 s8, s9, s8
	s_add_i32 s9, s9, s8
	s_mul_hi_u32 s8, s6, s9
	s_mul_i32 s9, s8, s4
	s_sub_i32 s6, s6, s9
	s_add_i32 s10, s8, 1
	s_sub_i32 s9, s6, s4
	s_cmp_ge_u32 s6, s4
	s_cselect_b32 s8, s10, s8
	s_cselect_b32 s6, s9, s6
	s_add_i32 s9, s8, 1
	s_cmp_ge_u32 s6, s4
	s_cselect_b32 s6, s9, s8
	s_xor_b32 s6, s6, s5
	s_add_i32 s8, s12, 63
	s_sub_i32 s53, s6, s5
	s_ashr_i32 s9, s8, 31
	s_mul_i32 s5, s53, s13
	s_sub_i32 s51, s3, s5
	s_lshr_b32 s3, s9, 26
	s_add_i32 s8, s8, s3
	s_abs_i32 s3, s14
	v_cvt_f32_u32_e32 v1, s3
	s_ashr_i32 s52, s12, 31
	s_lshr_b32 s6, s52, 26
	s_add_i32 s6, s12, s6
	v_rcp_iflag_f32_e32 v1, v1
	s_ashr_i32 s56, s14, 31
	s_ashr_i32 s24, s8, 6
	;; [unrolled: 1-line block ×3, first 2 shown]
	v_mul_f32_e32 v1, 0x4f7ffffe, v1
	v_cvt_u32_f32_e32 v1, v1
	s_xor_b32 s6, s7, s56
	s_sub_i32 s7, 0, s3
	s_lshl_b32 s2, s2, 5
	v_readfirstlane_b32 s8, v1
	s_mul_i32 s7, s7, s8
	s_mul_hi_u32 s7, s8, s7
	s_add_i32 s8, s8, s7
	s_mul_hi_u32 s7, s4, s8
	s_mul_i32 s8, s7, s3
	s_sub_i32 s4, s4, s8
	s_add_i32 s8, s7, 1
	s_sub_i32 s9, s4, s3
	s_cmp_ge_u32 s4, s3
	s_cselect_b32 s7, s8, s7
	s_cselect_b32 s4, s9, s4
	s_add_i32 s8, s7, 1
	s_cmp_ge_u32 s4, s3
	s_cselect_b32 s3, s8, s7
	s_xor_b32 s3, s3, s6
	s_sub_i32 s3, s3, s6
	s_abs_i32 s4, s3
	v_cvt_f32_u32_e32 v1, s4
	s_sub_i32 s7, 0, s4
	s_abs_i32 s6, s51
	s_xor_b32 s3, s51, s3
	v_rcp_iflag_f32_e32 v2, v1
	s_ashr_i32 s3, s3, 31
	v_or_b32_e32 v56, s2, v66
	v_lshrrev_b32_e32 v1, 6, v0
	v_mul_f32_e32 v2, 0x4f7ffffe, v2
	v_cvt_u32_f32_e32 v2, v2
	v_lshlrev_b32_e32 v52, 7, v56
	v_lshlrev_b32_e32 v64, 4, v1
	v_or_b32_e32 v54, 0x800, v52
	v_readfirstlane_b32 s8, v2
	s_mul_i32 s7, s7, s8
	s_mul_hi_u32 s7, s8, s7
	s_add_i32 s8, s8, s7
	s_mul_hi_u32 s7, s6, s8
	s_mul_i32 s8, s7, s4
	s_sub_i32 s6, s6, s8
	s_add_i32 s8, s7, 1
	s_sub_i32 s9, s6, s4
	s_cmp_ge_u32 s6, s4
	s_cselect_b32 s7, s8, s7
	s_cselect_b32 s6, s9, s6
	s_add_i32 s8, s7, 1
	s_cmp_ge_u32 s6, s4
	s_cselect_b32 s4, s8, s7
	s_xor_b32 s4, s4, s3
	s_sub_i32 s57, s4, s3
	s_ashr_i32 s3, s53, 31
	s_ashr_i32 s55, s51, 31
	s_mul_hi_i32 s4, s53, s13
	s_add_u32 s40, s5, s51
	s_addc_u32 s41, s4, s55
	s_lshl_b64 s[28:29], s[40:41], 15
	s_add_u32 s4, s16, s28
	v_lshl_or_b32 v69, v65, 2, v64
	s_addc_u32 s5, s17, s29
	v_ashrrev_i32_e32 v53, 31, v52
	v_ashrrev_i32_e32 v55, 31, v54
	v_lshl_add_u64 v[2:3], v[52:53], 1, s[4:5]
	v_lshlrev_b32_e32 v50, 1, v69
	v_lshl_add_u64 v[6:7], v[54:55], 1, s[4:5]
	v_lshl_add_u64 v[2:3], v[2:3], 0, v[50:51]
	;; [unrolled: 1-line block ×3, first 2 shown]
	global_load_dwordx2 v[4:5], v[2:3], off
	v_and_b32_e32 v51, 63, v0
	global_load_dwordx2 v[2:3], v[2:3], off offset:128
	s_nop 0
	global_load_dwordx2 v[8:9], v[6:7], off
	global_load_dwordx2 v[10:11], v[6:7], off offset:128
	s_load_dwordx2 s[30:31], s[0:1], 0x40
	s_load_dwordx8 s[4:11], s[0:1], 0x0
	s_load_dwordx2 s[34:35], s[0:1], 0x80
	v_lshrrev_b32_e32 v68, 3, v51
	v_or_b32_e32 v70, 64, v69
	s_mul_i32 s33, s53, s21
	s_mul_hi_u32 s46, s53, s20
	s_mul_i32 s36, s53, s20
	s_mul_i32 s58, s53, s24
	;; [unrolled: 1-line block ×3, first 2 shown]
	s_mul_hi_u32 s48, s51, s22
	s_mul_i32 s50, s3, s20
	s_mul_i32 s49, s55, s22
	s_mul_hi_u32 s59, s40, s12
	s_mul_i32 s16, s40, s12
	s_mul_i32 s41, s41, s12
	s_cmp_lt_i32 s12, 64
	s_mul_i32 s38, s51, s22
	s_waitcnt vmcnt(3)
	v_and_b32_e32 v19, 0xffff0000, v4
	v_lshlrev_b32_e32 v18, 16, v4
	v_and_b32_e32 v21, 0xffff0000, v5
	v_lshlrev_b32_e32 v20, 16, v5
	s_waitcnt vmcnt(2)
	v_and_b32_e32 v23, 0xffff0000, v2
	v_lshlrev_b32_e32 v22, 16, v2
	v_and_b32_e32 v25, 0xffff0000, v3
	v_lshlrev_b32_e32 v24, 16, v3
	;; [unrolled: 5-line block ×4, first 2 shown]
	s_cbranch_scc1 .LBB314_3
; %bb.1:
	s_add_i32 s17, s59, s41
	s_lshl_b64 s[0:1], s[16:17], 8
	v_and_b32_e32 v72, 56, v67
	s_waitcnt lgkmcnt(0)
	s_add_u32 s20, s6, s0
	v_lshl_or_b32 v71, v1, 3, v68
	v_lshlrev_b32_e32 v2, 1, v72
	s_addc_u32 s0, s7, s1
	v_lshl_or_b32 v73, v71, 8, v2
	s_and_b32 s21, s0, 0xffff
	s_mov_b32 s23, 0x20000
	s_movk_i32 s22, 0x4000
	s_movk_i32 s0, 0x80
	v_or_b32_e32 v74, 0x2000, v73
	buffer_load_dwordx4 v[4:7], v73, s[20:23], 0 offen
	buffer_load_dwordx4 v[8:11], v73, s[20:23], s0 offen
	;; [unrolled: 1-line block ×4, first 2 shown]
	v_lshlrev_b32_e32 v3, 3, v71
	v_and_or_b32 v17, v0, 7, v3
	v_and_b32_e32 v3, 0x78, v3
	v_lshlrev_b32_e32 v17, 4, v17
	v_xor_b32_e32 v75, v17, v3
	v_mul_lo_u32 v16, v71, s15
	v_or_b32_e32 v76, 0x1000, v75
	v_xor_b32_e32 v3, 8, v75
	s_cmpk_eq_i32 s15, 0x80
	s_mov_b32 s60, s14
	v_xor_b32_e32 v17, 8, v76
	s_cselect_b64 s[0:1], -1, 0
	s_cmpk_lg_i32 s15, 0x80
	s_waitcnt vmcnt(3)
	ds_write_b64 v75, v[4:5] offset:24576
	ds_write_b64 v3, v[6:7] offset:24576
	s_waitcnt vmcnt(2)
	ds_write_b64 v75, v[8:9] offset:32768
	ds_write_b64 v3, v[10:11] offset:32768
	s_waitcnt vmcnt(1)
	ds_write_b64 v75, v[12:13] offset:28672
	ds_write_b64 v17, v[14:15] offset:24576
	s_waitcnt vmcnt(0)
	ds_write_b64 v75, v[34:35] offset:36864
	ds_write_b64 v17, v[36:37] offset:32768
	v_lshl_add_u32 v3, v16, 1, v72
	s_cbranch_scc0 .LBB314_29
; %bb.2:
	v_lshlrev_b32_e32 v5, 1, v3
	v_add_lshl_u32 v4, v3, s15, 1
	s_lshl_b32 s22, s15, 7
	v_lshl_or_b32 v2, v71, 9, v2
	s_cbranch_execz .LBB314_30
	s_branch .LBB314_31
.LBB314_3:
	v_mov_b64_e32 v[2:3], v[18:19]
	v_mov_b64_e32 v[4:5], v[20:21]
	;; [unrolled: 1-line block ×8, first 2 shown]
.LBB314_4:
	s_lshl_b32 s26, s54, 6
	s_sub_i32 s27, s12, s26
	s_cmp_gt_i32 s27, 0
	s_cbranch_scc0 .LBB314_83
; %bb.5:
	s_ashr_i32 s3, s26, 31
	s_cmpk_lg_i32 s15, 0x80
	s_cselect_b64 s[22:23], -1, 0
	s_and_b64 vcc, exec, s[22:23]
	s_cbranch_vccz .LBB314_7
; %bb.6:
	s_mul_i32 s1, s53, s12
	s_mul_hi_i32 s0, s53, s12
	s_add_u32 s1, s1, s26
	s_addc_u32 s0, s0, s3
	s_mul_i32 s17, s1, s56
	s_mul_hi_u32 s20, s1, s14
	s_add_i32 s17, s20, s17
	s_mul_i32 s0, s0, s14
	s_add_i32 s17, s17, s0
	s_mul_i32 s1, s1, s14
	s_ashr_i32 s0, s57, 31
	s_add_u32 s24, s1, s57
	s_addc_u32 s25, s17, s0
	s_cbranch_execz .LBB314_8
	s_branch .LBB314_9
.LBB314_7:
                                        ; implicit-def: $sgpr24_sgpr25
.LBB314_8:
	s_mul_hi_i32 s0, s53, s14
	s_mul_i32 s53, s53, s14
	s_ashr_i32 s1, s57, 31
	s_add_u32 s14, s53, s57
	s_addc_u32 s0, s0, s1
	s_mul_i32 s1, s14, s52
	s_mul_hi_u32 s17, s14, s12
	s_add_i32 s1, s17, s1
	s_mul_i32 s0, s0, s12
	s_add_i32 s1, s1, s0
	s_mul_i32 s14, s14, s12
	s_add_u32 s24, s14, s26
	s_addc_u32 s25, s1, s3
.LBB314_9:
	s_mul_i32 s0, s40, s52
	s_add_i32 s0, s59, s0
	s_add_i32 s14, s58, s54
	;; [unrolled: 1-line block ×3, first 2 shown]
	s_add_u32 s0, s16, s26
	v_lshlrev_b32_e32 v22, 5, v69
	v_lshlrev_b32_e32 v38, 2, v66
	s_addc_u32 s1, s1, s3
	s_mov_b32 s3, 0x7060302
	v_or_b32_e32 v25, v22, v38
	v_xor_b32_e32 v23, v69, v38
	v_perm_b32 v19, v5, v4, s3
	v_perm_b32 v18, v3, v2, s3
	v_perm_b32 v21, v9, v8, s3
	v_perm_b32 v20, v7, v6, s3
	v_lshlrev_b32_e32 v25, 1, v25
	v_xor_b32_e32 v24, v70, v38
	ds_write2st64_b64 v25, v[18:19], v[20:21] offset0:80 offset1:88
	v_lshlrev_b32_e32 v23, 1, v23
	v_lshlrev_b32_e32 v25, 8, v66
	s_lshl_b64 s[20:21], s[0:1], 8
	v_or_b32_e32 v26, v23, v25
	v_lshlrev_b32_e32 v24, 1, v24
	s_waitcnt lgkmcnt(0)
	s_add_u32 s0, s6, s20
	ds_write_b64 v26, v[18:19]
	v_or_b32_e32 v18, v24, v25
	s_addc_u32 s1, s7, s21
	ds_write_b64 v18, v[20:21]
	v_perm_b32 v19, v13, v12, s3
	v_perm_b32 v18, v11, v10, s3
	;; [unrolled: 1-line block ×4, first 2 shown]
	v_or_b32_e32 v25, 16, v66
	s_mul_hi_i32 s3, s14, s13
	s_mul_i32 s14, s14, s13
	v_lshlrev_b32_e32 v35, 2, v25
	s_add_u32 s6, s14, s51
	v_or_b32_e32 v22, v22, v35
	s_addc_u32 s7, s3, s55
	v_lshlrev_b32_e32 v22, 1, v22
	s_ashr_i32 s3, s2, 31
	s_lshl_b64 s[6:7], s[6:7], 15
	ds_write2st64_b64 v22, v[18:19], v[20:21] offset0:80 offset1:88
	v_lshlrev_b32_e32 v22, 8, v25
	s_add_u32 s6, s18, s6
	v_or_b32_e32 v23, v23, v22
	s_addc_u32 s7, s19, s7
	s_lshl_b64 s[2:3], s[2:3], 8
	ds_write_b64 v23, v[18:19]
	v_or_b32_e32 v18, v24, v22
	s_add_u32 s2, s6, s2
	ds_write_b64 v18, v[20:21]
	v_lshrrev_b32_e32 v18, 4, v0
	s_addc_u32 s3, s7, s3
	v_lshlrev_b32_e32 v19, 1, v66
	v_lshlrev_b32_e32 v26, 4, v66
	v_mov_b32_e32 v27, 0
	v_or_b32_e32 v20, 1, v19
	v_xor_b32_e32 v19, v18, v19
	v_lshl_add_u64 v[28:29], s[2:3], 0, v[26:27]
	v_lshlrev_b32_e32 v26, 8, v18
	v_xor_b32_e32 v22, v20, v18
	v_lshl_or_b32 v18, v19, 3, v26
	s_waitcnt lgkmcnt(0)
	s_barrier
	ds_read2st64_b64 v[18:21], v18 offset1:8
	v_lshl_or_b32 v22, v22, 3, v26
	ds_read2st64_b64 v[22:25], v22 offset1:8
	v_lshl_add_u64 v[30:31], v[28:29], 0, v[26:27]
	s_movk_i32 s2, 0x1000
	s_waitcnt lgkmcnt(1)
	v_mov_b32_e32 v26, v18
	v_add_co_u32_e32 v18, vcc, s2, v30
	s_cmp_lg_u32 s27, 64
	v_mov_b32_e32 v27, v19
	v_addc_co_u32_e32 v19, vcc, 0, v31, vcc
	s_cselect_b64 s[6:7], -1, 0
	v_lshl_or_b32 v42, v1, 3, v68
	s_waitcnt lgkmcnt(0)
	v_mov_b32_e32 v28, v22
	v_mov_b32_e32 v29, v23
	;; [unrolled: 1-line block ×4, first 2 shown]
	s_mov_b32 s16, 0
	v_or_b32_e32 v36, 32, v42
	v_and_b32_e32 v34, 56, v67
	s_and_b64 vcc, exec, s[6:7]
	global_store_dwordx4 v[30:31], v[26:29], off
	global_store_dwordx4 v[18:19], v[22:25], off
	s_cbranch_vccz .LBB314_15
; %bb.10:
	s_mov_b32 s18, s16
	s_mov_b32 s19, s16
	;; [unrolled: 1-line block ×3, first 2 shown]
	v_mov_b64_e32 v[24:25], s[18:19]
	v_mov_b64_e32 v[22:23], s[16:17]
	;; [unrolled: 1-line block ×3, first 2 shown]
	v_cmp_gt_i32_e32 vcc, s27, v42
	v_mov_b64_e32 v[20:21], v[24:25]
	s_and_saveexec_b64 s[2:3], vcc
	s_cbranch_execz .LBB314_12
; %bb.11:
	v_lshlrev_b32_e32 v18, 8, v42
	v_mov_b32_e32 v19, 0
	v_lshl_add_u64 v[20:21], s[0:1], 0, v[18:19]
	v_lshlrev_b32_e32 v18, 1, v34
	v_lshl_add_u64 v[26:27], v[20:21], 0, v[18:19]
	global_load_dwordx4 v[22:25], v[26:27], off
	global_load_dwordx4 v[18:21], v[26:27], off offset:128
.LBB314_12:
	s_or_b64 exec, exec, s[2:3]
	s_mov_b32 s18, s16
	s_mov_b32 s19, s16
	;; [unrolled: 1-line block ×3, first 2 shown]
	v_mov_b64_e32 v[32:33], s[18:19]
	v_mov_b64_e32 v[30:31], s[16:17]
	;; [unrolled: 1-line block ×3, first 2 shown]
	v_cmp_gt_i32_e32 vcc, s27, v36
	v_lshlrev_b32_e32 v37, 7, v36
	v_mov_b64_e32 v[28:29], v[32:33]
	s_and_saveexec_b64 s[2:3], vcc
	s_cbranch_execz .LBB314_14
; %bb.13:
	v_lshlrev_b32_e32 v26, 1, v37
	v_mov_b32_e32 v27, 0
	v_lshl_add_u64 v[28:29], s[0:1], 0, v[26:27]
	v_lshlrev_b32_e32 v26, 1, v34
	v_lshl_add_u64 v[40:41], v[28:29], 0, v[26:27]
	global_load_dwordx4 v[30:33], v[40:41], off
	global_load_dwordx4 v[26:29], v[40:41], off offset:128
.LBB314_14:
	s_or_b64 exec, exec, s[2:3]
	v_lshrrev_b32_e32 v39, 3, v34
	v_lshlrev_b32_e32 v40, 3, v42
	v_or_b32_e32 v39, v40, v39
	v_lshlrev_b32_e32 v39, 4, v39
	v_and_b32_e32 v40, 0x78, v40
	v_xor_b32_e32 v39, v39, v40
	s_branch .LBB314_17
.LBB314_15:
                                        ; implicit-def: $vgpr39
                                        ; implicit-def: $vgpr37
                                        ; implicit-def: $vgpr22_vgpr23_vgpr24_vgpr25
                                        ; implicit-def: $vgpr18_vgpr19_vgpr20_vgpr21
                                        ; implicit-def: $vgpr30_vgpr31_vgpr32_vgpr33
                                        ; implicit-def: $vgpr26_vgpr27_vgpr28_vgpr29
	s_cbranch_execz .LBB314_17
; %bb.16:
	s_waitcnt vmcnt(0)
	v_lshlrev_b32_e32 v18, 1, v34
	v_lshl_or_b32 v37, v42, 8, v18
	s_and_b32 s1, s1, 0xffff
	s_mov_b32 s3, 0x20000
	s_movk_i32 s2, 0x4000
	v_lshl_or_b32 v39, v36, 8, v18
	s_movk_i32 s13, 0x80
	buffer_load_dwordx4 v[22:25], v37, s[0:3], 0 offen
	buffer_load_dwordx4 v[18:21], v37, s[0:3], s13 offen
	;; [unrolled: 1-line block ×4, first 2 shown]
	v_lshrrev_b32_e32 v37, 3, v34
	v_lshlrev_b32_e32 v39, 3, v42
	v_or_b32_e32 v37, v39, v37
	v_lshlrev_b32_e32 v37, 4, v37
	v_and_b32_e32 v39, 0x78, v39
	v_xor_b32_e32 v39, v37, v39
	v_lshlrev_b32_e32 v37, 7, v36
.LBB314_17:
	s_lshl_b64 s[0:1], s[24:25], 8
	s_add_u32 s4, s4, s0
	s_movk_i32 s0, 0x1000
	v_and_or_b32 v36, v37, s0, v39
	s_waitcnt vmcnt(1)
	ds_write_b64 v39, v[22:23] offset:24576
	v_xor_b32_e32 v22, 8, v39
	ds_write_b64 v22, v[24:25] offset:24576
	s_waitcnt vmcnt(0)
	ds_write_b64 v39, v[18:19] offset:32768
	ds_write_b64 v22, v[20:21] offset:32768
	;; [unrolled: 1-line block ×3, first 2 shown]
	v_xor_b32_e32 v18, 8, v36
	ds_write_b64 v18, v[32:33] offset:24576
	ds_write_b64 v36, v[26:27] offset:32768
	;; [unrolled: 1-line block ×3, first 2 shown]
	v_or_b32_e32 v18, v64, v66
	v_lshlrev_b32_e32 v18, 3, v18
	v_lshrrev_b32_e32 v19, 5, v51
	s_movk_i32 s3, 0xf8
	v_and_or_b32 v19, v18, s3, v19
	v_lshlrev_b32_e32 v23, 4, v19
	v_lshlrev_b32_e32 v39, 11, v1
	v_and_b32_e32 v24, 0x78, v18
	v_or_b32_e32 v26, 32, v23
	v_and_b32_e32 v22, 0x1000, v39
	v_lshrrev_b32_e32 v19, 1, v51
	v_xor_b32_e32 v26, v26, v24
	v_xor_b32_e32 v18, v23, v24
	v_and_b32_e32 v25, 8, v19
	v_or_b32_e32 v26, v26, v22
	v_or_b32_e32 v18, v18, v22
	v_xor_b32_e32 v44, v26, v25
	v_or_b32_e32 v26, 64, v23
	v_xor_b32_e32 v43, v18, v25
	v_xor_b32_e32 v26, v26, v24
	s_waitcnt lgkmcnt(0)
	s_barrier
	v_or_b32_e32 v28, v26, v22
	ds_read_b64 v[26:27], v43 offset:24576
	v_lshl_or_b32 v36, v65, 7, v38
	v_lshlrev_b32_e32 v40, 1, v36
	v_add_u32_e32 v18, 0xa000, v40
	ds_read2_b64 v[18:21], v18 offset1:16
	v_or_b32_e32 v23, 0x60, v23
	v_xor_b32_e32 v23, v23, v24
	s_waitcnt lgkmcnt(0)
	v_mfma_f32_16x16x16_bf16 a[0:3], v[26:27], v[18:19], 0
	v_or_b32_e32 v18, 64, v36
	v_or_b32_e32 v22, v23, v22
	v_lshlrev_b32_e32 v41, 1, v18
	v_xor_b32_e32 v45, v28, v25
	v_xor_b32_e32 v46, v22, v25
	ds_read_b64 v[28:29], v44 offset:24576
	ds_read_b64 v[30:31], v45 offset:24576
	;; [unrolled: 1-line block ×3, first 2 shown]
	v_mfma_f32_16x16x16_bf16 a[4:7], v[26:27], v[20:21], 0
	ds_read2st64_b64 v[18:21], v41 offset0:82 offset1:84
	ds_read2st64_b64 v[22:25], v40 offset0:82 offset1:84
	s_addc_u32 s5, s5, s1
	s_add_i32 s1, s46, s33
	s_add_i32 s0, s12, -1
	s_add_i32 s37, s1, s50
	s_add_i32 s1, s48, s47
	;; [unrolled: 1-line block ×3, first 2 shown]
	s_ashr_i32 s1, s0, 31
	s_mul_i32 s2, s0, s35
	s_mul_hi_u32 s3, s0, s34
	s_add_i32 s2, s3, s2
	s_mul_i32 s1, s1, s34
	s_waitcnt lgkmcnt(1)
	v_mfma_f32_16x16x16_bf16 a[4:7], v[28:29], v[18:19], a[4:7]
	s_add_i32 s1, s2, s1
	s_lshl_b64 s[2:3], s[36:37], 2
	s_add_u32 s10, s10, s2
	s_waitcnt lgkmcnt(0)
	v_mfma_f32_16x16x16_bf16 a[0:3], v[28:29], v[22:23], a[0:3]
	s_addc_u32 s11, s11, s3
	s_lshl_b64 s[2:3], s[38:39], 2
	s_mul_i32 s0, s0, s34
	s_add_u32 s10, s10, s2
	ds_read_b64 v[18:19], v40 offset:44032
	v_mfma_f32_16x16x16_bf16 a[4:7], v[30:31], v[20:21], a[4:7]
	ds_read_b64 v[20:21], v41 offset:44032
	s_addc_u32 s11, s11, s3
	s_lshl_b64 s[0:1], s[0:1], 2
	v_mfma_f32_16x16x16_bf16 a[0:3], v[30:31], v[24:25], a[0:3]
	s_add_u32 s0, s10, s0
	s_addc_u32 s1, s11, s1
	s_load_dword s12, s[0:1], 0x0
	s_waitcnt lgkmcnt(0)
	v_mfma_f32_16x16x16_bf16 a[0:3], v[32:33], v[18:19], a[0:3]
	s_and_b64 vcc, exec, s[22:23]
	v_mfma_f32_16x16x16_bf16 a[4:7], v[32:33], v[20:21], a[4:7]
	s_cbranch_vccz .LBB314_28
; %bb.18:
	v_lshlrev_b32_e32 v36, 1, v42
	s_and_b64 vcc, exec, s[6:7]
	s_cbranch_vccz .LBB314_43
; %bb.19:
	v_cmp_gt_i32_e32 vcc, s27, v36
	v_mov_b32_e32 v22, 0
	v_mov_b32_e32 v18, 0
	;; [unrolled: 1-line block ×5, first 2 shown]
	s_and_saveexec_b64 s[0:1], vcc
	s_cbranch_execz .LBB314_21
; %bb.20:
	v_mad_i64_i32 v[18:19], s[2:3], s15, v36, 0
	v_lshl_add_u64 v[18:19], v[18:19], 1, s[4:5]
	v_lshlrev_b32_e32 v20, 1, v34
	v_mov_b32_e32 v21, 0
	v_lshl_add_u64 v[18:19], v[18:19], 0, v[20:21]
	global_load_dwordx4 v[18:21], v[18:19], off
.LBB314_21:
	s_or_b64 exec, exec, s[0:1]
	v_or_b32_e32 v37, 1, v36
	v_cmp_gt_i32_e64 s[0:1], s27, v37
	v_mov_b32_e32 v23, 0
	v_mov_b32_e32 v24, 0
	v_mov_b32_e32 v25, 0
	s_and_saveexec_b64 s[2:3], s[0:1]
	s_cbranch_execz .LBB314_23
; %bb.22:
	v_mad_i64_i32 v[22:23], s[16:17], s15, v37, 0
	v_lshl_add_u64 v[22:23], v[22:23], 1, s[4:5]
	v_lshlrev_b32_e32 v24, 1, v34
	v_mov_b32_e32 v25, 0
	v_lshl_add_u64 v[22:23], v[22:23], 0, v[24:25]
	global_load_dwordx4 v[22:25], v[22:23], off
.LBB314_23:
	s_or_b64 exec, exec, s[2:3]
	v_mov_b32_e32 v33, 0
	v_mov_b32_e32 v26, 0
	;; [unrolled: 1-line block ×5, first 2 shown]
	s_and_saveexec_b64 s[2:3], vcc
	s_cbranch_execz .LBB314_25
; %bb.24:
	v_mad_i64_i32 v[26:27], s[16:17], s15, v36, 0
	v_lshl_add_u64 v[26:27], v[26:27], 1, s[4:5]
	v_lshlrev_b32_e32 v28, 1, v34
	v_mov_b32_e32 v29, 0
	v_lshl_add_u64 v[26:27], v[26:27], 0, v[28:29]
	global_load_dwordx4 v[26:29], v[26:27], off offset:128
.LBB314_25:
	s_or_b64 exec, exec, s[2:3]
	v_mov_b32_e32 v32, 0
	v_mov_b32_e32 v31, 0
	;; [unrolled: 1-line block ×3, first 2 shown]
	s_and_saveexec_b64 s[2:3], s[0:1]
	s_cbranch_execz .LBB314_27
; %bb.26:
	v_mad_i64_i32 v[30:31], s[0:1], s15, v37, 0
	v_lshl_add_u64 v[30:31], v[30:31], 1, s[4:5]
	v_lshlrev_b32_e32 v32, 1, v34
	v_mov_b32_e32 v33, 0
	v_lshl_add_u64 v[30:31], v[30:31], 0, v[32:33]
	global_load_dwordx4 v[30:33], v[30:31], off offset:128
.LBB314_27:
	s_or_b64 exec, exec, s[2:3]
	s_branch .LBB314_45
.LBB314_28:
                                        ; implicit-def: $vgpr21
                                        ; implicit-def: $vgpr25
                                        ; implicit-def: $vgpr29
                                        ; implicit-def: $vgpr33
	v_lshrrev_b32_e32 v47, 2, v51
	s_branch .LBB314_46
.LBB314_29:
                                        ; implicit-def: $vgpr4
                                        ; implicit-def: $vgpr5
                                        ; implicit-def: $sgpr22
	v_lshl_or_b32 v2, v71, 9, v2
.LBB314_30:
	v_or_b32_e32 v4, 0x100, v2
	s_movk_i32 s22, 0x4000
	v_mov_b32_e32 v5, v2
.LBB314_31:
	s_mul_hi_u32 s20, s14, s12
	s_mul_i32 s21, s56, s12
	s_add_i32 s20, s20, s21
	s_mul_i32 s21, s14, s12
	s_mul_i32 s23, s21, s3
	s_mul_hi_u32 s24, s21, s53
	s_add_i32 s23, s24, s23
	s_mul_i32 s20, s20, s53
	s_add_i32 s23, s23, s20
	s_mul_i32 s21, s21, s53
	s_ashr_i32 s61, s57, 31
	s_add_u32 s20, s21, s57
	s_addc_u32 s21, s23, s61
	s_lshl_b64 s[20:21], s[20:21], 8
	s_add_u32 s20, s4, s20
	s_addc_u32 s21, s5, s21
	s_and_b32 s21, s21, 0xffff
	s_mov_b32 s23, 0x20000
	s_movk_i32 s62, 0x80
	buffer_load_dwordx4 v[6:9], v5, s[20:23], 0 offen
	buffer_load_dwordx4 v[10:13], v5, s[20:23], s62 offen
	;; [unrolled: 1-line block ×4, first 2 shown]
	v_and_b32_e32 v4, 6, v0
	v_lshlrev_b32_e32 v39, 6, v69
	v_or_b32_e32 v41, 16, v66
	v_xor_b32_e32 v42, v71, v4
	v_and_b32_e32 v5, 1, v0
	v_lshl_or_b32 v45, v66, 3, v39
	v_lshl_or_b32 v39, v41, 3, v39
	v_lshlrev_b32_e32 v42, 2, v42
	s_mul_i32 s3, s3, s12
	s_mul_hi_u32 s20, s53, s12
	v_lshlrev_b32_e32 v38, 2, v66
	v_or_b32_e32 v79, 0xa000, v39
	v_or_b32_e32 v80, 0xb000, v39
	v_xor_b32_e32 v39, 0x440, v42
	v_cmp_eq_u32_e32 vcc, 0, v5
	v_xor_b32_e32 v43, v69, v38
	v_xor_b32_e32 v44, v70, v38
	v_cndmask_b32_e32 v5, v39, v42, vcc
	s_add_i32 s67, s20, s3
	s_add_i32 s3, s46, s33
	s_mov_b32 s64, 0x1000504
	v_lshlrev_b32_e32 v40, 8, v66
	v_lshlrev_b32_e32 v43, 1, v43
	;; [unrolled: 1-line block ×3, first 2 shown]
	v_lshl_or_b32 v4, v4, 10, v5
	s_add_i32 s37, s3, s50
	s_add_i32 s3, s48, s47
	s_mov_b32 s65, 0x3020706
	v_or_b32_e32 v77, 0xa000, v45
	v_or_b32_e32 v78, 0xb000, v45
	;; [unrolled: 1-line block ×4, first 2 shown]
	v_xor_b32_e32 v5, 8, v4
	v_xor_b32_e32 v40, 24, v4
	;; [unrolled: 1-line block ×4, first 2 shown]
	s_add_i32 s39, s3, s49
	s_lshl_b64 s[20:21], s[36:37], 2
	v_xor_b32_e32 v39, 16, v4
	v_xor_b32_e32 v42, 32, v4
	;; [unrolled: 1-line block ×3, first 2 shown]
	v_add_u32_e32 v5, 0x80, v5
	v_add_u32_e32 v40, 0x80, v40
	;; [unrolled: 1-line block ×4, first 2 shown]
	s_add_u32 s3, s10, s20
	s_addc_u32 s22, s11, s21
	s_lshl_b64 s[20:21], s[38:39], 2
	s_add_u32 s42, s3, s20
	s_movk_i32 s3, 0xf8
	s_addc_u32 s43, s22, s21
	s_lshl_b32 s26, s15, 7
	s_movk_i32 s24, 0x100
	v_mov_b32_e32 v59, 0
	v_lshlrev_b32_e32 v58, 4, v66
	v_cmp_gt_u32_e32 vcc, s24, v0
	v_ashrrev_i32_e32 v57, 31, v56
	s_mov_b32 s63, 0
	s_mul_i32 s66, s53, s12
	s_movk_i32 s37, 0x1000
	s_movk_i32 s22, 0x4000
	v_lshl_add_u64 v[60:61], v[56:57], 1, s[8:9]
	s_mov_b32 s68, 0
	s_waitcnt vmcnt(1)
	v_perm_b32 v48, v6, v14, s64
	s_waitcnt vmcnt(0)
	v_perm_b32 v49, v10, v34, s64
	v_perm_b32 v6, v6, v14, s65
	;; [unrolled: 1-line block ×15, first 2 shown]
	ds_write2st64_b32 v4, v48, v49 offset0:32 offset1:64
	ds_write2st64_b32 v5, v6, v10 offset0:32 offset1:64
	;; [unrolled: 1-line block ×8, first 2 shown]
	v_lshlrev_b32_e32 v4, 8, v41
	v_or_b32_e32 v83, v4, v43
	v_or_b32_e32 v84, v4, v44
	v_or_b32_e32 v4, v64, v66
	v_lshlrev_b32_e32 v4, 3, v4
	v_lshrrev_b32_e32 v7, 5, v51
	v_and_or_b32 v7, v4, s3, v7
	v_lshlrev_b32_e32 v7, 4, v7
	v_lshlrev_b32_e32 v5, 11, v1
	v_and_b32_e32 v4, 0x78, v4
	v_or_b32_e32 v12, 32, v7
	v_and_b32_e32 v6, 0x1000, v5
	v_lshrrev_b32_e32 v9, 1, v0
	v_xor_b32_e32 v12, v12, v4
	v_and_b32_e32 v10, 8, v9
	v_or_b32_e32 v12, v12, v6
	v_xor_b32_e32 v8, v7, v4
	v_xor_b32_e32 v87, v12, v10
	v_or_b32_e32 v12, 64, v7
	v_or_b32_e32 v7, 0x60, v7
	s_ashr_i32 s3, s2, 31
	v_xor_b32_e32 v12, v12, v4
	v_xor_b32_e32 v4, v7, v4
	s_lshl_b64 s[20:21], s[2:3], 8
	v_or_b32_e32 v8, v8, v6
	v_or_b32_e32 v12, v12, v6
	;; [unrolled: 1-line block ×3, first 2 shown]
	s_add_u32 s20, s18, s20
	v_lshlrev_b32_e32 v6, 1, v66
	v_xor_b32_e32 v89, v12, v10
	v_lshrrev_b32_e32 v12, 4, v0
	s_addc_u32 s21, s19, s21
	v_or_b32_e32 v7, 1, v6
	v_mov_b32_e32 v16, 0x4000
	v_mov_b32_e32 v17, 0x2000
	v_xor_b32_e32 v13, v12, v6
	v_xor_b32_e32 v14, v7, v12
	v_lshl_add_u64 v[6:7], s[20:21], 0, v[58:59]
	v_lshlrev_b32_e32 v58, 8, v12
	v_cndmask_b32_e32 v16, v16, v17, vcc
	v_lshlrev_b32_e32 v17, 3, v1
	v_and_b32_e32 v9, 24, v9
	v_lshl_or_b32 v93, v13, 3, v58
	v_and_b32_e32 v13, 8, v0
	v_xor_b32_e32 v34, v17, v9
	v_or_b32_e32 v35, 0x440, v34
	v_cmp_eq_u32_e32 vcc, 0, v13
	v_and_b32_e32 v12, 7, v0
	v_xor_b32_e32 v85, v8, v10
	v_cndmask_b32_e32 v13, v35, v34, vcc
	v_lshlrev_b32_e32 v8, 7, v65
	v_lshl_or_b32 v94, v14, 3, v58
	v_lshlrev_b32_e32 v14, 3, v12
	v_lshlrev_b32_e32 v12, 7, v12
	;; [unrolled: 1-line block ×3, first 2 shown]
	v_or_b32_e32 v13, v13, v5
	v_or_b32_e32 v11, v8, v38
	v_xad_u32 v95, v13, v14, v12
	v_and_or_b32 v8, v15, 60, v8
	v_mov_b32_e32 v13, 0xb000
	v_lshl_or_b32 v96, v8, 1, v13
	v_or_b32_e32 v8, 32, v9
	v_xor_b32_e32 v8, v17, v8
	v_or_b32_e32 v13, 0x440, v8
	v_cndmask_b32_e32 v8, v13, v8, vcc
	v_or_b32_e32 v8, v8, v5
	v_xad_u32 v97, v8, v14, v12
	v_or_b32_e32 v8, 64, v9
	v_xor_b32_e32 v8, v17, v8
	v_xor_b32_e32 v13, 0x440, v8
	v_cndmask_b32_e32 v8, v13, v8, vcc
	v_or_b32_e32 v8, v8, v5
	v_xad_u32 v98, v8, v14, v12
	v_or_b32_e32 v8, 0x60, v9
	v_xor_b32_e32 v8, v17, v8
	v_xor_b32_e32 v9, 0x440, v8
	v_cndmask_b32_e32 v8, v9, v8, vcc
	v_lshlrev_b32_e32 v11, 1, v11
	v_or_b32_e32 v5, v8, v5
	v_or_b32_e32 v86, 0xa000, v11
	;; [unrolled: 1-line block ×3, first 2 shown]
	v_xor_b32_e32 v90, v4, v10
	v_or_b32_e32 v91, 0xb000, v11
	v_or_b32_e32 v92, 0xb080, v11
	v_lshlrev_b32_e32 v4, 7, v69
	v_lshlrev_b32_e32 v10, 1, v3
	v_add_lshl_u32 v3, v3, s15, 1
	v_or_b32_e32 v11, 0x100, v2
	v_xad_u32 v99, v5, v14, v12
	v_cndmask_b32_e64 v100, v10, v2, s[0:1]
	v_cndmask_b32_e64 v101, v3, v11, s[0:1]
	v_lshl_add_u64 v[62:63], v[6:7], 0, v[58:59]
	s_mov_b32 s3, 0x7060302
	v_lshlrev_b32_e32 v58, 1, v4
	v_add_u32_e32 v57, v16, v95
	v_add_u32_e32 v102, v16, v97
	;; [unrolled: 1-line block ×4, first 2 shown]
	s_waitcnt lgkmcnt(0)
	s_barrier
	s_branch .LBB314_33
.LBB314_32:                             ;   in Loop: Header=BB314_33 Depth=1
	s_waitcnt vmcnt(2)
	v_exp_f32_e32 v34, s20
	s_nop 2
	v_accvgpr_read_b32 v17, a15
	v_accvgpr_read_b32 v2, a4
	;; [unrolled: 1-line block ×16, first 2 shown]
	v_fma_f32 v16, v32, v34, v16
	v_fmac_f32_e32 v17, v33, v34
	v_fma_f32 v2, v18, v34, v2
	v_fma_f32 v3, v19, v34, v3
	v_fma_f32 v4, v20, v34, v4
	v_fmac_f32_e32 v5, v21, v34
	v_fma_f32 v10, v26, v34, v10
	v_fma_f32 v11, v27, v34, v11
	;; [unrolled: 4-line block ×4, first 2 shown]
	s_add_i32 s63, s63, 64
	v_mov_b64_e32 v[32:33], v[16:17]
	s_cmp_eq_u32 s54, s39
	s_mov_b32 s68, s39
	v_mov_b64_e32 v[30:31], v[14:15]
	v_mov_b64_e32 v[28:29], v[12:13]
	;; [unrolled: 1-line block ×7, first 2 shown]
	s_cbranch_scc1 .LBB314_4
.LBB314_33:                             ; =>This Inner Loop Header: Depth=1
	s_add_i32 s39, s68, 1
	s_cmp_lt_i32 s39, s54
	s_mov_b64 s[24:25], 0
	s_cselect_b64 s[44:45], -1, 0
	s_cmp_ge_i32 s39, s54
	s_mov_b64 s[20:21], 0
	s_cbranch_scc1 .LBB314_35
; %bb.34:                               ;   in Loop: Header=BB314_33 Depth=1
	s_add_i32 s0, s63, 64
	s_add_u32 s0, s16, s0
	s_addc_u32 s1, s17, 0
	s_lshl_b64 s[0:1], s[0:1], 8
	s_add_u32 s20, s6, s0
	s_addc_u32 s21, s7, s1
.LBB314_35:                             ;   in Loop: Header=BB314_33 Depth=1
	v_cndmask_b32_e64 v2, 0, 1, s[44:45]
	v_cmp_ne_u32_e64 s[0:1], 1, v2
	s_andn2_b64 vcc, exec, s[44:45]
	s_cbranch_vccnz .LBB314_37
; %bb.36:                               ;   in Loop: Header=BB314_33 Depth=1
	s_add_i32 s24, s63, 64
	s_add_u32 s24, s66, s24
	s_addc_u32 s25, s67, 0
	s_mul_i32 s27, s24, s56
	s_mul_hi_u32 s44, s24, s60
	s_add_i32 s27, s44, s27
	s_mul_i32 s25, s25, s60
	s_add_i32 s27, s27, s25
	s_mul_i32 s24, s24, s60
	s_add_u32 s24, s24, s57
	s_addc_u32 s25, s27, s61
	s_lshl_b64 s[24:25], s[24:25], 8
	s_add_u32 s24, s4, s24
	s_addc_u32 s25, s5, s25
.LBB314_37:                             ;   in Loop: Header=BB314_33 Depth=1
	v_perm_b32 v3, v21, v20, s3
	v_perm_b32 v2, v19, v18, s3
	;; [unrolled: 1-line block ×4, first 2 shown]
	ds_write_b64 v77, v[2:3]
	ds_write_b64 v78, v[4:5]
	;; [unrolled: 1-line block ×4, first 2 shown]
	v_perm_b32 v3, v29, v28, s3
	v_perm_b32 v2, v27, v26, s3
	;; [unrolled: 1-line block ×4, first 2 shown]
	ds_write_b64 v79, v[2:3]
	ds_write_b64 v80, v[4:5]
	;; [unrolled: 1-line block ×4, first 2 shown]
	s_waitcnt lgkmcnt(0)
	s_barrier
	ds_read_b64 v[6:7], v85 offset:24576
	ds_read2_b64 v[2:5], v86 offset1:16
	ds_read_b64 v[10:11], v88 offset:3072
	ds_read_b64 v[12:13], v86 offset:3072
	;; [unrolled: 1-line block ×3, first 2 shown]
	s_waitcnt lgkmcnt(3)
	v_mfma_f32_16x16x16_bf16 a[0:3], v[6:7], v[2:3], 0
	s_add_i32 s27, s63, 63
	s_mul_i32 s44, s27, s35
	s_mul_hi_u32 s45, s27, s34
	v_mfma_f32_16x16x16_bf16 a[4:7], v[6:7], v[4:5], 0
	ds_read2st64_b64 v[2:5], v86 offset0:2 offset1:4
	ds_read2st64_b64 v[6:9], v88 offset0:2 offset1:4
	s_add_i32 s45, s45, s44
	s_waitcnt lgkmcnt(1)
	v_mfma_f32_16x16x16_bf16 a[0:3], v[14:15], v[2:3], a[0:3]
	s_mul_i32 s44, s27, s34
	s_lshl_b64 s[44:45], s[44:45], 2
	s_add_u32 s44, s42, s44
	s_waitcnt lgkmcnt(0)
	v_mfma_f32_16x16x16_bf16 a[4:7], v[14:15], v[6:7], a[4:7]
	ds_read_b64 v[2:3], v89 offset:24576
	ds_read_b64 v[6:7], v90 offset:24576
	s_addc_u32 s45, s43, s45
	s_and_b64 vcc, exec, s[0:1]
	s_waitcnt lgkmcnt(1)
	v_mfma_f32_16x16x16_bf16 a[0:3], v[2:3], v[4:5], a[0:3]
	v_mov_b32_e32 v107, 0
	v_mov_b32_e32 v106, 0
	;; [unrolled: 1-line block ×3, first 2 shown]
	v_mfma_f32_16x16x16_bf16 a[4:7], v[2:3], v[8:9], a[4:7]
	v_mov_b32_e32 v2, 0
	v_mov_b32_e32 v3, 0
	;; [unrolled: 1-line block ×3, first 2 shown]
	s_waitcnt lgkmcnt(0)
	v_mfma_f32_16x16x16_bf16 a[0:3], v[6:7], v[12:13], a[0:3]
	v_mov_b32_e32 v5, 0
	v_mov_b32_e32 v8, 0
	;; [unrolled: 1-line block ×3, first 2 shown]
	v_mfma_f32_16x16x16_bf16 a[4:7], v[6:7], v[10:11], a[4:7]
	v_mov_b32_e32 v6, 0
	v_mov_b32_e32 v7, 0
	;; [unrolled: 1-line block ×10, first 2 shown]
	s_cbranch_vccnz .LBB314_39
; %bb.38:                               ;   in Loop: Header=BB314_33 Depth=1
	s_and_b32 s21, s21, 0xffff
	buffer_load_dwordx4 v[14:17], v73, s[20:23], 0 offen
	buffer_load_dwordx4 v[10:13], v73, s[20:23], s62 offen
	;; [unrolled: 1-line block ×4, first 2 shown]
	v_mov_b32_e32 v106, v75
	v_mov_b32_e32 v105, v76
.LBB314_39:                             ;   in Loop: Header=BB314_33 Depth=1
	ds_read_b64 v[38:39], v85 offset:32768
	ds_read2_b64 v[34:37], v91 offset1:16
	ds_read_b64 v[42:43], v87 offset:32768
	ds_read_b64 v[44:45], v89 offset:32768
	;; [unrolled: 1-line block ×3, first 2 shown]
	v_add_u32_e32 v108, s63, v69
	s_waitcnt lgkmcnt(3)
	v_mfma_f32_16x16x16_bf16 a[0:3], v[38:39], v[34:35], a[0:3]
	v_mfma_f32_16x16x16_bf16 a[4:7], v[38:39], v[36:37], a[4:7]
	ds_read2st64_b64 v[34:37], v91 offset0:2 offset1:4
	ds_read2st64_b64 v[38:41], v92 offset0:2 offset1:4
	s_waitcnt lgkmcnt(1)
	v_mfma_f32_16x16x16_bf16 a[0:3], v[42:43], v[34:35], a[0:3]
	ds_read_b64 v[34:35], v91 offset:3072
	ds_read_b64 v[48:49], v92 offset:3072
	s_waitcnt lgkmcnt(2)
	v_mfma_f32_16x16x16_bf16 a[4:7], v[42:43], v[38:39], a[4:7]
	v_ashrrev_i32_e32 v38, 31, v108
	v_mul_lo_u32 v39, v108, s35
	v_mul_lo_u32 v38, v38, s34
	v_mfma_f32_16x16x16_bf16 a[0:3], v[44:45], v[36:37], a[0:3]
	v_mad_u64_u32 v[36:37], s[20:21], v108, s34, 0
	v_add3_u32 v37, v37, v39, v38
	v_lshl_add_u64 v[36:37], v[36:37], 2, s[42:43]
	global_load_dword v42, v[36:37], off
	v_add_u32_e32 v36, 1, v108
	v_ashrrev_i32_e32 v37, 31, v36
	s_waitcnt lgkmcnt(1)
	v_mfma_f32_16x16x16_bf16 a[0:3], v[46:47], v[34:35], a[0:3]
	v_mul_lo_u32 v37, v37, s34
	v_mul_lo_u32 v38, v36, s35
	v_mad_u64_u32 v[34:35], s[20:21], v36, s34, 0
	v_add_u32_e32 v36, 2, v108
	v_add3_u32 v35, v35, v38, v37
	v_ashrrev_i32_e32 v37, 31, v36
	v_mul_lo_u32 v38, v37, s34
	v_mul_lo_u32 v39, v36, s35
	v_mad_u64_u32 v[36:37], s[20:21], v36, s34, 0
	v_add3_u32 v37, v37, v39, v38
	v_add_u32_e32 v38, 3, v108
	v_ashrrev_i32_e32 v39, 31, v38
	v_mfma_f32_16x16x16_bf16 a[4:7], v[44:45], v[40:41], a[4:7]
	v_mul_lo_u32 v40, v39, s34
	v_mul_lo_u32 v41, v38, s35
	v_mad_u64_u32 v[38:39], s[20:21], v38, s34, 0
	s_add_u32 s20, s16, s63
	s_addc_u32 s21, s17, 0
	s_lshl_b64 s[20:21], s[20:21], 8
	v_add3_u32 v39, v39, v41, v40
	v_lshl_add_u64 v[40:41], v[60:61], 0, s[20:21]
	v_lshl_add_u64 v[34:35], v[34:35], 2, s[42:43]
	;; [unrolled: 1-line block ×4, first 2 shown]
	global_load_ushort v44, v[40:41], off
	global_load_ushort v43, v[40:41], off offset:256
	global_load_ushort v110, v[40:41], off offset:800
	;; [unrolled: 1-line block ×7, first 2 shown]
	v_lshl_add_u64 v[38:39], v[38:39], 2, s[42:43]
	global_load_dword v113, v[34:35], off
	global_load_dword v114, v[36:37], off
	;; [unrolled: 1-line block ×3, first 2 shown]
	s_load_dword s20, s[44:45], 0x0
	s_waitcnt lgkmcnt(0)
	v_mfma_f32_16x16x16_bf16 a[4:7], v[46:47], v[48:49], a[4:7]
	v_accvgpr_read_b32 v39, a1
	v_accvgpr_read_b32 v35, a3
	;; [unrolled: 1-line block ×4, first 2 shown]
	s_and_b64 vcc, exec, s[0:1]
	s_waitcnt vmcnt(11)
	v_sub_f32_e32 v48, s20, v42
	v_exp_f32_e32 v48, v48
	v_accvgpr_read_b32 v41, a5
	v_accvgpr_read_b32 v40, a4
	;; [unrolled: 1-line block ×4, first 2 shown]
	s_waitcnt vmcnt(10)
	v_lshlrev_b32_e32 v42, 16, v44
	s_waitcnt vmcnt(9)
	v_lshlrev_b32_e32 v43, 16, v43
	v_pk_add_f32 v[38:39], v[42:43], v[38:39] neg_lo:[0,1] neg_hi:[0,1]
	s_waitcnt vmcnt(7)
	v_lshlrev_b32_e32 v45, 16, v45
	v_mov_b32_e32 v42, 0
	s_waitcnt vmcnt(5)
	v_lshlrev_b32_e32 v44, 16, v108
	s_waitcnt vmcnt(4)
	v_lshlrev_b32_e32 v47, 16, v109
	s_waitcnt vmcnt(2)
	v_sub_f32_e32 v49, s20, v113
	s_waitcnt vmcnt(1)
	v_sub_f32_e32 v108, s20, v114
	;; [unrolled: 2-line block ×3, first 2 shown]
	v_exp_f32_e32 v49, v49
	v_exp_f32_e32 v108, v108
	;; [unrolled: 1-line block ×3, first 2 shown]
	v_pk_add_f32 v[34:35], v[44:45], v[34:35] neg_lo:[0,1] neg_hi:[0,1]
	v_lshlrev_b32_e32 v46, 16, v112
	v_pk_mul_f32 v[38:39], v[48:49], v[38:39]
	v_pk_mul_f32 v[34:35], v[108:109], v[34:35]
	v_mov_b32_e32 v43, 0
	v_perm_b32 v35, v35, v34, s3
	v_perm_b32 v34, v39, v38, s3
	v_pk_add_f32 v[38:39], v[46:47], v[40:41] neg_lo:[0,1] neg_hi:[0,1]
	v_lshlrev_b32_e32 v41, 16, v110
	v_lshlrev_b32_e32 v40, 16, v111
	v_pk_add_f32 v[36:37], v[40:41], v[36:37] neg_lo:[0,1] neg_hi:[0,1]
	v_pk_mul_f32 v[38:39], v[48:49], v[38:39]
	v_pk_mul_f32 v[36:37], v[108:109], v[36:37]
	v_mov_b32_e32 v108, 0
	v_perm_b32 v37, v37, v36, s3
	v_perm_b32 v36, v39, v38, s3
	ds_write2_b64 v78, v[34:35], v[36:37] offset1:16
	v_mov_b32_e32 v34, 0
	v_mov_b32_e32 v35, 0
	;; [unrolled: 1-line block ×14, first 2 shown]
	s_cbranch_vccnz .LBB314_41
; %bb.40:                               ;   in Loop: Header=BB314_33 Depth=1
	s_and_b32 s25, s25, 0xffff
	s_mov_b32 s27, s23
	buffer_load_dwordx4 v[46:49], v100, s[24:27], 0 offen
	buffer_load_dwordx4 v[38:41], v100, s[24:27], s62 offen
	;; [unrolled: 1-line block ×4, first 2 shown]
	v_mov_b32_e32 v107, v72
	v_mov_b32_e32 v108, v71
.LBB314_41:                             ;   in Loop: Header=BB314_33 Depth=1
	s_waitcnt lgkmcnt(0)
	s_barrier
	ds_read_b64 v[114:115], v57
	ds_read_b64 v[122:123], v96
	;; [unrolled: 1-line block ×5, first 2 shown]
	ds_read_b64 v[128:129], v97 offset:16384
	ds_read_b64 v[130:131], v95 offset:16384
	ds_read2_b64 v[110:113], v91 offset0:16 offset1:128
	s_waitcnt lgkmcnt(6)
	v_mfma_f32_16x16x16_bf16 a[0:3], v[114:115], v[122:123], 0
	ds_read_b64 v[132:133], v92 offset:3072
	ds_read_b64 v[134:135], v99 offset:16384
	s_add_i32 s21, s58, s68
	s_waitcnt lgkmcnt(2)
	v_mfma_f32_16x16x16_bf16 a[4:7], v[114:115], v[110:111], 0
	ds_read2st64_b64 v[114:117], v92 offset0:2 offset1:4
	s_mul_hi_i32 s25, s21, s13
	s_mul_i32 s21, s21, s13
	v_mfma_f32_16x16x16_bf16 a[0:3], v[118:119], v[112:113], a[0:3]
	s_add_u32 s24, s21, s51
	s_addc_u32 s25, s25, s55
	s_lshl_b64 s[24:25], s[24:25], 15
	s_waitcnt lgkmcnt(0)
	v_mfma_f32_16x16x16_bf16 a[4:7], v[118:119], v[114:115], a[4:7]
	ds_read2st64_b64 v[118:121], v91 offset0:4 offset1:6
	s_waitcnt lgkmcnt(0)
	v_mfma_f32_16x16x16_bf16 a[0:3], v[124:125], v[118:119], a[0:3]
	v_mfma_f32_16x16x16_bf16 a[8:11], v[124:125], v[116:117], a[4:7]
	v_mfma_f32_16x16x16_bf16 a[4:7], v[126:127], v[120:121], a[0:3]
	v_mfma_f32_16x16x16_bf16 a[0:3], v[126:127], v[132:133], a[8:11]
	v_mfma_f32_16x16x16_bf16 a[8:11], v[130:131], v[122:123], 0
	ds_read2st64_b64 v[122:125], v94 offset1:8
	v_mfma_f32_16x16x16_bf16 a[12:15], v[130:131], v[110:111], 0
	ds_read_b64 v[130:131], v98 offset:16384
	v_mfma_f32_16x16x16_bf16 a[8:11], v[128:129], v[112:113], a[8:11]
	ds_read2st64_b64 v[110:113], v93 offset1:8
	s_waitcnt lgkmcnt(0)
	v_mov_b32_e32 v126, v110
	v_mfma_f32_16x16x16_bf16 a[12:15], v[128:129], v[114:115], a[12:15]
	v_lshl_add_u64 v[114:115], v[62:63], 0, s[24:25]
	v_add_co_u32_e32 v110, vcc, s37, v114
	v_mfma_f32_16x16x16_bf16 a[8:11], v[130:131], v[118:119], a[8:11]
	v_mov_b32_e32 v127, v111
	v_addc_co_u32_e32 v111, vcc, 0, v115, vcc
	v_mfma_f32_16x16x16_bf16 a[12:15], v[130:131], v[116:117], a[12:15]
	v_mov_b32_e32 v128, v122
	v_mov_b32_e32 v129, v123
	;; [unrolled: 1-line block ×3, first 2 shown]
	v_mfma_f32_16x16x16_bf16 a[8:11], v[134:135], v[120:121], a[8:11]
	v_mov_b32_e32 v123, v113
	s_and_b64 vcc, exec, s[0:1]
	global_store_dwordx4 v[114:115], v[126:129], off
	v_mfma_f32_16x16x16_bf16 a[12:15], v[134:135], v[132:133], a[12:15]
	global_store_dwordx4 v[110:111], v[122:125], off
	s_cbranch_vccnz .LBB314_32
; %bb.42:                               ;   in Loop: Header=BB314_33 Depth=1
	v_lshrrev_b32_e32 v109, 3, v107
	v_and_b32_e32 v109, 6, v109
	v_xor_b32_e32 v108, v109, v108
	v_lshlrev_b32_e32 v108, 2, v108
	v_and_b32_e32 v107, 8, v107
	v_xor_b32_e32 v110, 0x440, v108
	v_cmp_eq_u32_e32 vcc, 0, v107
	s_barrier
	s_nop 0
	v_cndmask_b32_e32 v107, v110, v108, vcc
	v_lshl_or_b32 v107, v109, 10, v107
	s_waitcnt vmcnt(3)
	v_perm_b32 v108, v46, v42, s64
	s_waitcnt vmcnt(2)
	v_perm_b32 v109, v38, v34, s64
	ds_write2st64_b32 v107, v108, v109 offset0:32 offset1:64
	v_xor_b32_e32 v108, 8, v107
	v_perm_b32 v42, v46, v42, s65
	v_perm_b32 v34, v38, v34, s65
	v_add_u32_e32 v38, 0x80, v108
	ds_write2st64_b32 v38, v42, v34 offset0:32 offset1:64
	v_xor_b32_e32 v34, 16, v107
	v_perm_b32 v38, v47, v43, s64
	v_perm_b32 v42, v39, v35, s64
	ds_write2st64_b32 v34, v38, v42 offset0:33 offset1:65
	v_xor_b32_e32 v34, 24, v107
	v_perm_b32 v38, v47, v43, s65
	v_perm_b32 v35, v39, v35, s65
	v_add_u32_e32 v34, 0x80, v34
	ds_write2st64_b32 v34, v38, v35 offset0:33 offset1:65
	v_xor_b32_e32 v34, 32, v107
	v_perm_b32 v35, v48, v44, s64
	;; [unrolled: 9-line block ×3, first 2 shown]
	v_perm_b32 v36, v41, v37, s64
	ds_write2st64_b32 v34, v35, v36 offset0:35 offset1:67
	v_xor_b32_e32 v34, 56, v107
	v_perm_b32 v35, v49, v45, s65
	v_perm_b32 v36, v41, v37, s65
	v_add_u32_e32 v34, 0x80, v34
	ds_write2st64_b32 v34, v35, v36 offset0:35 offset1:67
	ds_write_b64 v106, v[14:15] offset:24576
	v_xor_b32_e32 v14, 8, v106
	ds_write_b64 v14, v[16:17] offset:24576
	ds_write_b64 v106, v[10:11] offset:32768
	;; [unrolled: 1-line block ×4, first 2 shown]
	v_xor_b32_e32 v6, 8, v105
	ds_write_b64 v6, v[8:9] offset:24576
	ds_write_b64 v105, v[2:3] offset:32768
	;; [unrolled: 1-line block ×3, first 2 shown]
	s_branch .LBB314_32
.LBB314_43:
                                        ; implicit-def: $vgpr21
                                        ; implicit-def: $vgpr25
                                        ; implicit-def: $vgpr29
                                        ; implicit-def: $vgpr33
	s_cbranch_execz .LBB314_45
; %bb.44:
	s_waitcnt vmcnt(0)
	v_mad_u64_u32 v[18:19], s[0:1], v36, s15, v[34:35]
	v_lshlrev_b32_e32 v36, 1, v18
	s_lshl_b32 s2, s15, 7
	s_and_b32 s1, s5, 0xffff
	s_mov_b32 s3, 0x20000
	s_mov_b32 s0, s4
	v_add_lshl_u32 v37, v18, s15, 1
	s_movk_i32 s13, 0x80
	buffer_load_dwordx4 v[18:21], v36, s[0:3], 0 offen
	buffer_load_dwordx4 v[26:29], v36, s[0:3], s13 offen
	;; [unrolled: 1-line block ×4, first 2 shown]
.LBB314_45:
	v_lshrrev_b32_e32 v47, 2, v51
	s_cbranch_execnz .LBB314_58
.LBB314_46:
	s_and_b64 vcc, exec, s[6:7]
	s_cbranch_vccz .LBB314_56
; %bb.47:
	s_waitcnt vmcnt(0)
	v_lshlrev_b32_e32 v23, 1, v42
	v_cmp_gt_i32_e32 vcc, s27, v23
	v_mov_b32_e32 v22, 0
	v_lshlrev_b32_e32 v30, 9, v42
	v_mov_b32_e32 v18, 0
	v_mov_b32_e32 v19, 0
	;; [unrolled: 1-line block ×4, first 2 shown]
	s_and_saveexec_b64 s[0:1], vcc
	s_cbranch_execz .LBB314_49
; %bb.48:
	v_mov_b32_e32 v31, 0
	v_lshl_add_u64 v[18:19], s[4:5], 0, v[30:31]
	v_lshlrev_b32_e32 v20, 1, v34
	v_mov_b32_e32 v21, v31
	v_lshl_add_u64 v[18:19], v[18:19], 0, v[20:21]
	global_load_dwordx4 v[18:21], v[18:19], off
.LBB314_49:
	s_or_b64 exec, exec, s[0:1]
	v_or_b32_e32 v23, 1, v23
	v_cmp_gt_i32_e64 s[0:1], s27, v23
	v_lshlrev_b32_e32 v36, 8, v23
	v_mov_b32_e32 v23, 0
	v_mov_b32_e32 v24, 0
	;; [unrolled: 1-line block ×3, first 2 shown]
	s_and_saveexec_b64 s[2:3], s[0:1]
	s_cbranch_execz .LBB314_51
; %bb.50:
	v_mov_b32_e32 v37, 0
	v_lshl_add_u64 v[22:23], s[4:5], 0, v[36:37]
	v_lshlrev_b32_e32 v24, 1, v34
	v_mov_b32_e32 v25, v37
	v_lshl_add_u64 v[22:23], v[22:23], 0, v[24:25]
	global_load_dwordx4 v[22:25], v[22:23], off
.LBB314_51:
	s_or_b64 exec, exec, s[2:3]
	v_mov_b32_e32 v33, 0
	v_mov_b32_e32 v26, 0
	;; [unrolled: 1-line block ×5, first 2 shown]
	s_and_saveexec_b64 s[2:3], vcc
	s_cbranch_execz .LBB314_53
; %bb.52:
	v_mov_b32_e32 v31, 0
	v_lshl_add_u64 v[26:27], s[4:5], 0, v[30:31]
	v_lshlrev_b32_e32 v30, 1, v34
	v_lshl_add_u64 v[26:27], v[26:27], 0, v[30:31]
	global_load_dwordx4 v[26:29], v[26:27], off offset:128
.LBB314_53:
	s_or_b64 exec, exec, s[2:3]
	v_mov_b32_e32 v32, 0
	v_mov_b32_e32 v31, 0
	;; [unrolled: 1-line block ×3, first 2 shown]
	s_and_saveexec_b64 s[2:3], s[0:1]
	s_cbranch_execz .LBB314_55
; %bb.54:
	v_mov_b32_e32 v37, 0
	v_lshl_add_u64 v[30:31], s[4:5], 0, v[36:37]
	v_lshlrev_b32_e32 v36, 1, v34
	v_lshl_add_u64 v[30:31], v[30:31], 0, v[36:37]
	global_load_dwordx4 v[30:33], v[30:31], off offset:128
.LBB314_55:
	s_or_b64 exec, exec, s[2:3]
	s_branch .LBB314_58
.LBB314_56:
                                        ; implicit-def: $vgpr21
                                        ; implicit-def: $vgpr25
                                        ; implicit-def: $vgpr29
                                        ; implicit-def: $vgpr33
	s_cbranch_execz .LBB314_58
; %bb.57:
	s_waitcnt vmcnt(0)
	v_lshlrev_b32_e32 v18, 1, v34
	v_lshl_or_b32 v34, v42, 9, v18
	s_and_b32 s5, s5, 0xffff
	s_mov_b32 s7, 0x20000
	s_movk_i32 s6, 0x4000
	s_movk_i32 s0, 0x80
	buffer_load_dwordx4 v[18:21], v34, s[4:7], 0 offen
	buffer_load_dwordx4 v[22:25], v34, s[4:7], 0 offen offset:256
	buffer_load_dwordx4 v[26:29], v34, s[4:7], s0 offen
	buffer_load_dwordx4 v[30:33], v34, s[4:7], s0 offen offset:256
.LBB314_58:
	ds_read_b64 v[36:37], v43 offset:32768
	v_add_u32_e32 v34, 0xb000, v40
	ds_read2_b64 v[58:61], v34 offset1:16
	ds_read_b64 v[48:49], v44 offset:32768
	ds_read_b64 v[44:45], v45 offset:32768
	ds_read_b64 v[62:63], v46 offset:32768
	v_and_b32_e32 v34, 6, v0
	v_xor_b32_e32 v42, v42, v34
	v_lshlrev_b32_e32 v42, 2, v42
	v_and_b32_e32 v43, 1, v0
	v_xor_b32_e32 v46, 0x440, v42
	v_cmp_eq_u32_e32 vcc, 0, v43
	s_waitcnt lgkmcnt(3)
	v_mfma_f32_16x16x16_bf16 a[0:3], v[36:37], v[58:59], a[0:3]
	s_mov_b32 s0, 0x1000504
	v_cndmask_b32_e32 v42, v46, v42, vcc
	v_lshl_or_b32 v34, v34, 10, v42
	v_mfma_f32_16x16x16_bf16 a[4:7], v[36:37], v[60:61], a[4:7]
	ds_read2st64_b64 v[58:61], v40 offset0:90 offset1:92
	ds_read2st64_b64 v[66:69], v41 offset0:90 offset1:92
	s_waitcnt vmcnt(0)
	v_perm_b32 v42, v18, v22, s0
	s_mov_b32 s1, 0x3020706
	s_waitcnt lgkmcnt(1)
	v_mfma_f32_16x16x16_bf16 a[0:3], v[48:49], v[58:59], a[0:3]
	ds_read_b64 v[36:37], v40 offset:48128
	ds_read_b64 v[58:59], v41 offset:48128
	v_perm_b32 v18, v18, v22, s1
	v_perm_b32 v22, v26, v30, s1
	s_waitcnt lgkmcnt(2)
	v_mfma_f32_16x16x16_bf16 a[4:7], v[48:49], v[66:67], a[4:7]
	v_mfma_f32_16x16x16_bf16 a[0:3], v[44:45], v[60:61], a[0:3]
	;; [unrolled: 1-line block ×3, first 2 shown]
	s_waitcnt lgkmcnt(1)
	v_mfma_f32_16x16x16_bf16 a[4:7], v[62:63], v[36:37], a[0:3]
	v_perm_b32 v36, v26, v30, s0
	ds_write2st64_b32 v34, v42, v36 offset0:32 offset1:64
	v_xor_b32_e32 v36, 8, v34
	v_add_u32_e32 v26, 0x80, v36
	ds_write2st64_b32 v26, v18, v22 offset0:32 offset1:64
	v_xor_b32_e32 v18, 16, v34
	v_perm_b32 v22, v19, v23, s0
	v_perm_b32 v26, v27, v31, s0
	ds_write2st64_b32 v18, v22, v26 offset0:33 offset1:65
	v_xor_b32_e32 v18, 24, v34
	v_perm_b32 v19, v19, v23, s1
	v_perm_b32 v22, v27, v31, s1
	v_add_u32_e32 v18, 0x80, v18
	ds_write2st64_b32 v18, v19, v22 offset0:33 offset1:65
	v_xor_b32_e32 v18, 32, v34
	v_perm_b32 v19, v20, v24, s0
	v_perm_b32 v22, v28, v32, s0
	ds_write2st64_b32 v18, v19, v22 offset0:34 offset1:66
	v_xor_b32_e32 v18, 40, v34
	s_waitcnt lgkmcnt(5)
	v_mfma_f32_16x16x16_bf16 a[0:3], v[62:63], v[58:59], a[8:11]
	v_perm_b32 v19, v20, v24, s1
	v_perm_b32 v20, v28, v32, s1
	v_add_u32_e32 v18, 0x80, v18
	ds_write2st64_b32 v18, v19, v20 offset0:34 offset1:66
	v_xor_b32_e32 v18, 48, v34
	v_perm_b32 v19, v21, v25, s0
	v_perm_b32 v20, v29, v33, s0
	ds_write2st64_b32 v18, v19, v20 offset0:35 offset1:67
	v_xor_b32_e32 v18, 56, v34
	v_and_or_b32 v37, v47, 12, v64
	v_perm_b32 v19, v21, v25, s1
	v_perm_b32 v20, v29, v33, s1
	v_add_u32_e32 v18, 0x80, v18
	v_cmp_gt_i32_e32 vcc, s27, v37
	v_mov_b32_e32 v32, 0
	v_mov_b32_e32 v34, 0
	ds_write2st64_b32 v18, v19, v20 offset0:35 offset1:67
	s_and_saveexec_b64 s[0:1], vcc
	s_cbranch_execz .LBB314_60
; %bb.59:
	v_add_u32_e32 v18, s26, v37
	v_ashrrev_i32_e32 v19, 31, v18
	v_mul_lo_u32 v20, v19, s34
	v_mul_lo_u32 v21, v18, s35
	v_mad_u64_u32 v[18:19], s[2:3], v18, s34, 0
	v_add3_u32 v19, v19, v21, v20
	v_lshl_add_u64 v[18:19], v[18:19], 2, s[10:11]
	global_load_dword v18, v[18:19], off
	s_waitcnt vmcnt(0)
	v_sub_f32_e32 v18, s12, v18
	v_exp_f32_e32 v34, v18
.LBB314_60:
	s_or_b64 exec, exec, s[0:1]
	v_or_b32_e32 v26, 1, v37
	v_cmp_gt_i32_e64 s[0:1], s27, v26
	s_and_saveexec_b64 s[2:3], s[0:1]
	s_cbranch_execz .LBB314_62
; %bb.61:
	v_add_u32_e32 v18, s26, v26
	v_ashrrev_i32_e32 v19, 31, v18
	v_mul_lo_u32 v20, v19, s34
	v_mul_lo_u32 v21, v18, s35
	v_mad_u64_u32 v[18:19], s[4:5], v18, s34, 0
	v_add3_u32 v19, v19, v21, v20
	v_lshl_add_u64 v[18:19], v[18:19], 2, s[10:11]
	global_load_dword v18, v[18:19], off
	s_waitcnt vmcnt(0)
	v_sub_f32_e32 v18, s12, v18
	v_exp_f32_e32 v32, v18
.LBB314_62:
	s_or_b64 exec, exec, s[2:3]
	v_or_b32_e32 v27, 2, v37
	v_cmp_gt_i32_e64 s[2:3], s27, v27
	v_mov_b32_e32 v33, 0
	v_mov_b32_e32 v36, 0
	s_and_saveexec_b64 s[4:5], s[2:3]
	s_cbranch_execz .LBB314_64
; %bb.63:
	v_add_u32_e32 v18, s26, v27
	v_ashrrev_i32_e32 v19, 31, v18
	v_mul_lo_u32 v20, v19, s34
	v_mul_lo_u32 v21, v18, s35
	v_mad_u64_u32 v[18:19], s[6:7], v18, s34, 0
	v_add3_u32 v19, v19, v21, v20
	v_lshl_add_u64 v[18:19], v[18:19], 2, s[10:11]
	global_load_dword v18, v[18:19], off
	s_waitcnt vmcnt(0)
	v_sub_f32_e32 v18, s12, v18
	v_exp_f32_e32 v36, v18
.LBB314_64:
	s_or_b64 exec, exec, s[4:5]
	v_or_b32_e32 v42, 3, v37
	v_cmp_gt_i32_e64 s[4:5], s27, v42
	s_and_saveexec_b64 s[6:7], s[4:5]
	s_cbranch_execz .LBB314_66
; %bb.65:
	v_add_u32_e32 v18, s26, v42
	v_ashrrev_i32_e32 v19, 31, v18
	v_mul_lo_u32 v20, v19, s34
	v_mul_lo_u32 v21, v18, s35
	v_mad_u64_u32 v[18:19], s[14:15], v18, s34, 0
	v_add3_u32 v19, v19, v21, v20
	v_lshl_add_u64 v[18:19], v[18:19], 2, s[10:11]
	global_load_dword v18, v[18:19], off
	s_waitcnt vmcnt(0)
	v_sub_f32_e32 v18, s12, v18
	v_exp_f32_e32 v33, v18
.LBB314_66:
	s_or_b64 exec, exec, s[6:7]
	s_add_u32 s6, s8, s20
	v_accvgpr_read_b32 v21, a7
	s_addc_u32 s7, s9, s21
	v_ashrrev_i32_e32 v57, 31, v56
	v_accvgpr_read_b32 v20, a6
	v_accvgpr_read_b32 v19, a5
	;; [unrolled: 1-line block ×3, first 2 shown]
	v_lshl_add_u64 v[22:23], v[56:57], 1, s[6:7]
	v_mov_b32_e32 v29, 0
	v_lshlrev_b32_e32 v24, 8, v37
	v_mov_b32_e32 v25, 0
	s_and_saveexec_b64 s[6:7], vcc
	s_cbranch_execz .LBB314_68
; %bb.67:
	v_mov_b32_e32 v25, 0
	v_lshl_add_u64 v[30:31], v[22:23], 0, v[24:25]
	global_load_ushort v25, v[30:31], off
	s_waitcnt vmcnt(0)
	v_lshlrev_b32_e32 v25, 16, v25
	v_sub_f32_e32 v18, v25, v18
	v_mul_f32_e32 v18, v34, v18
	v_lshrrev_b32_e32 v25, 16, v18
.LBB314_68:
	s_or_b64 exec, exec, s[6:7]
	v_lshlrev_b32_e32 v28, 8, v26
	s_and_saveexec_b64 s[6:7], s[0:1]
	s_cbranch_execz .LBB314_70
; %bb.69:
	v_mov_b32_e32 v29, 0
	v_lshl_add_u64 v[30:31], v[22:23], 0, v[28:29]
	global_load_ushort v18, v[30:31], off
	s_waitcnt vmcnt(0)
	v_lshlrev_b32_e32 v18, 16, v18
	v_sub_f32_e32 v18, v18, v19
	v_mul_f32_e32 v18, v32, v18
	v_lshrrev_b32_e32 v29, 16, v18
.LBB314_70:
	s_or_b64 exec, exec, s[6:7]
	v_mov_b32_e32 v43, 0
	v_lshlrev_b32_e32 v30, 8, v27
	v_mov_b32_e32 v31, 0
	s_and_saveexec_b64 s[6:7], s[2:3]
	s_cbranch_execz .LBB314_72
; %bb.71:
	v_mov_b32_e32 v31, 0
	v_lshl_add_u64 v[18:19], v[22:23], 0, v[30:31]
	global_load_ushort v18, v[18:19], off
	s_waitcnt vmcnt(0)
	v_lshlrev_b32_e32 v18, 16, v18
	v_sub_f32_e32 v18, v18, v20
	v_mul_f32_e32 v18, v36, v18
	v_lshrrev_b32_e32 v31, 16, v18
.LBB314_72:
	s_or_b64 exec, exec, s[6:7]
	v_lshlrev_b32_e32 v26, 8, v42
	s_and_saveexec_b64 s[6:7], s[4:5]
	s_cbranch_execz .LBB314_74
; %bb.73:
	v_mov_b32_e32 v27, 0
	v_lshl_add_u64 v[18:19], v[22:23], 0, v[26:27]
	global_load_ushort v18, v[18:19], off
	s_waitcnt vmcnt(0)
	v_lshlrev_b32_e32 v18, 16, v18
	v_sub_f32_e32 v18, v18, v21
	v_mul_f32_e32 v18, v33, v18
	v_lshrrev_b32_e32 v43, 16, v18
.LBB314_74:
	s_or_b64 exec, exec, s[6:7]
	v_lshlrev_b32_e32 v37, 5, v37
	s_mov_b32 s6, 0x5040100
	v_perm_b32 v42, v29, v25, s6
	v_or_b32_e32 v25, v37, v38
	v_accvgpr_read_b32 v21, a3
	v_perm_b32 v43, v43, v31, s6
	v_lshlrev_b32_e32 v25, 1, v25
	v_accvgpr_read_b32 v20, a2
	v_accvgpr_read_b32 v19, a1
	;; [unrolled: 1-line block ×3, first 2 shown]
	ds_write_b64 v25, v[42:43] offset:45056
	v_mov_b32_e32 v29, 0
	v_mov_b32_e32 v25, 0
	s_and_saveexec_b64 s[6:7], vcc
	s_cbranch_execz .LBB314_76
; %bb.75:
	v_mov_b32_e32 v25, 0
	v_lshl_add_u64 v[24:25], v[22:23], 0, v[24:25]
	global_load_ushort v24, v[24:25], off offset:32
	s_waitcnt vmcnt(0)
	v_lshlrev_b32_e32 v24, 16, v24
	v_sub_f32_e32 v18, v24, v18
	v_mul_f32_e32 v18, v34, v18
	v_lshrrev_b32_e32 v25, 16, v18
.LBB314_76:
	s_or_b64 exec, exec, s[6:7]
	s_and_saveexec_b64 s[6:7], s[0:1]
	s_cbranch_execz .LBB314_78
; %bb.77:
	v_mov_b32_e32 v29, 0
	v_lshl_add_u64 v[28:29], v[22:23], 0, v[28:29]
	global_load_ushort v18, v[28:29], off offset:32
	s_waitcnt vmcnt(0)
	v_lshlrev_b32_e32 v18, 16, v18
	v_sub_f32_e32 v18, v18, v19
	v_mul_f32_e32 v18, v32, v18
	v_lshrrev_b32_e32 v29, 16, v18
.LBB314_78:
	s_or_b64 exec, exec, s[6:7]
	v_mov_b32_e32 v24, 0
	v_mov_b32_e32 v28, 0
	s_and_saveexec_b64 s[0:1], s[2:3]
	s_cbranch_execz .LBB314_80
; %bb.79:
	v_mov_b32_e32 v31, 0
	v_lshl_add_u64 v[18:19], v[22:23], 0, v[30:31]
	global_load_ushort v18, v[18:19], off offset:32
	s_waitcnt vmcnt(0)
	v_lshlrev_b32_e32 v18, 16, v18
	v_sub_f32_e32 v18, v18, v20
	v_mul_f32_e32 v18, v36, v18
	v_lshrrev_b32_e32 v28, 16, v18
.LBB314_80:
	s_or_b64 exec, exec, s[0:1]
	v_or_b32_e32 v19, 0xb000, v40
	v_or_b32_e32 v18, 0xb000, v41
	s_and_saveexec_b64 s[0:1], s[4:5]
	s_cbranch_execz .LBB314_82
; %bb.81:
	v_mov_b32_e32 v27, 0
	v_lshl_add_u64 v[22:23], v[22:23], 0, v[26:27]
	global_load_ushort v20, v[22:23], off offset:32
	s_waitcnt vmcnt(0)
	v_lshlrev_b32_e32 v20, 16, v20
	v_sub_f32_e32 v20, v20, v21
	v_mul_f32_e32 v20, v33, v20
	v_lshrrev_b32_e32 v24, 16, v20
.LBB314_82:
	s_or_b64 exec, exec, s[0:1]
	s_mov_b32 s0, 0x5040100
	v_or_b32_e32 v22, v37, v35
	v_perm_b32 v21, v24, v28, s0
	v_perm_b32 v20, v29, v25, s0
	v_lshlrev_b32_e32 v22, 1, v22
	s_movk_i32 s0, 0x100
	ds_write_b64 v22, v[20:21] offset:45056
	v_and_b32_e32 v20, 7, v0
	v_and_b32_e32 v21, 8, v0
	v_cmp_gt_u32_e32 vcc, s0, v0
	v_lshrrev_b32_e32 v0, 1, v0
	v_lshlrev_b32_e32 v37, 3, v1
	v_and_b32_e32 v38, 24, v0
	v_lshlrev_b32_e32 v34, 3, v20
	v_lshlrev_b32_e32 v35, 7, v20
	v_mov_b32_e32 v20, 0x4000
	v_mov_b32_e32 v22, 0x2000
	v_xor_b32_e32 v0, v37, v38
	v_cndmask_b32_e32 v36, v20, v22, vcc
	v_or_b32_e32 v1, 0x440, v0
	v_cmp_eq_u32_e32 vcc, 0, v21
	s_waitcnt lgkmcnt(0)
	s_barrier
	v_cndmask_b32_e32 v0, v1, v0, vcc
	v_or_b32_e32 v0, v0, v39
	v_xad_u32 v40, v0, v34, v35
	v_add_u32_e32 v0, v36, v40
	ds_read_b64 v[0:1], v0
	ds_read2_b64 v[20:23], v19 offset1:16
	v_or_b32_e32 v24, 32, v38
	v_xor_b32_e32 v24, v37, v24
	v_or_b32_e32 v25, 0x440, v24
	v_cndmask_b32_e32 v24, v25, v24, vcc
	s_waitcnt lgkmcnt(0)
	v_mfma_f32_16x16x16_bf16 a[0:3], v[0:1], v[20:21], 0
	v_or_b32_e32 v24, v24, v39
	v_xad_u32 v41, v24, v34, v35
	v_add_u32_e32 v24, v36, v41
	v_mfma_f32_16x16x16_bf16 a[4:7], v[0:1], v[22:23], 0
	v_or_b32_e32 v0, 64, v38
	v_xor_b32_e32 v0, v37, v0
	v_xor_b32_e32 v1, 0x440, v0
	ds_read_b64 v[32:33], v24
	v_cndmask_b32_e32 v0, v1, v0, vcc
	v_or_b32_e32 v0, v0, v39
	v_xad_u32 v42, v0, v34, v35
	v_add_u32_e32 v0, v36, v42
	ds_read_b64 v[0:1], v0
	ds_read2st64_b64 v[24:27], v19 offset0:2 offset1:4
	ds_read2st64_b64 v[28:31], v18 offset0:2 offset1:4
	s_waitcnt lgkmcnt(1)
	v_mfma_f32_16x16x16_bf16 a[0:3], v[32:33], v[24:25], a[0:3]
	s_waitcnt lgkmcnt(0)
	v_mfma_f32_16x16x16_bf16 a[4:7], v[32:33], v[28:29], a[4:7]
	v_or_b32_e32 v32, 0x60, v38
	v_xor_b32_e32 v32, v37, v32
	v_xor_b32_e32 v33, 0x440, v32
	v_cndmask_b32_e32 v32, v33, v32, vcc
	v_or_b32_e32 v32, v32, v39
	v_xad_u32 v37, v32, v34, v35
	v_add_u32_e32 v32, v36, v37
	ds_read_b64 v[32:33], v32
	v_mfma_f32_16x16x16_bf16 a[0:3], v[0:1], v[26:27], a[0:3]
	v_exp_f32_e32 v36, s12
	v_mfma_f32_16x16x16_bf16 a[4:7], v[0:1], v[30:31], a[4:7]
	ds_read_b64 v[0:1], v19 offset:3072
	ds_read_b64 v[34:35], v18 offset:3072
	;; [unrolled: 1-line block ×3, first 2 shown]
	s_waitcnt lgkmcnt(0)
	v_mfma_f32_16x16x16_bf16 a[8:11], v[18:19], v[20:21], 0
	ds_read_b64 v[20:21], v41 offset:16384
	v_mfma_f32_16x16x16_bf16 a[0:3], v[32:33], v[0:1], a[0:3]
	v_mfma_f32_16x16x16_bf16 a[12:15], v[18:19], v[22:23], 0
	ds_read_b64 v[22:23], v42 offset:16384
	s_nop 4
	v_accvgpr_read_b32 v18, a0
	v_fma_f32 v18, v2, v36, v18
	v_accvgpr_read_b32 v2, a1
	v_fma_f32 v19, v3, v36, v2
	v_accvgpr_read_b32 v2, a2
	s_waitcnt lgkmcnt(1)
	v_mfma_f32_16x16x16_bf16 a[8:11], v[20:21], v[24:25], a[8:11]
	v_mfma_f32_16x16x16_bf16 a[12:15], v[20:21], v[28:29], a[12:15]
	v_fma_f32 v20, v4, v36, v2
	ds_read_b64 v[2:3], v37 offset:16384
	v_accvgpr_read_b32 v21, a3
	s_waitcnt lgkmcnt(1)
	v_mfma_f32_16x16x16_bf16 a[0:3], v[22:23], v[26:27], a[8:11]
	v_fmac_f32_e32 v21, v5, v36
	v_mfma_f32_16x16x16_bf16 a[4:7], v[32:33], v[34:35], a[4:7]
	v_mfma_f32_16x16x16_bf16 a[8:11], v[22:23], v[30:31], a[12:15]
	s_waitcnt lgkmcnt(0)
	v_mfma_f32_16x16x16_bf16 a[0:3], v[2:3], v[0:1], a[0:3]
	s_nop 3
	v_accvgpr_read_b32 v4, a4
	v_fma_f32 v26, v10, v36, v4
	v_accvgpr_read_b32 v4, a5
	v_fma_f32 v27, v11, v36, v4
	v_accvgpr_read_b32 v4, a6
	v_accvgpr_read_b32 v29, a7
	v_mfma_f32_16x16x16_bf16 a[4:7], v[2:3], v[34:35], a[8:11]
	v_accvgpr_read_b32 v0, a0
	v_fma_f32 v22, v6, v36, v0
	v_accvgpr_read_b32 v0, a1
	v_fma_f32 v23, v7, v36, v0
	;; [unrolled: 2-line block ×3, first 2 shown]
	v_accvgpr_read_b32 v25, a3
	v_accvgpr_read_b32 v0, a4
	v_fma_f32 v30, v14, v36, v0
	v_accvgpr_read_b32 v0, a5
	v_fma_f32 v31, v15, v36, v0
	v_accvgpr_read_b32 v0, a6
	v_accvgpr_read_b32 v33, a7
	v_fma_f32 v28, v12, v36, v4
	v_fmac_f32_e32 v29, v13, v36
	v_fmac_f32_e32 v25, v9, v36
	v_fma_f32 v32, v16, v36, v0
	v_fmac_f32_e32 v33, v17, v36
	v_mov_b64_e32 v[2:3], v[18:19]
	v_mov_b64_e32 v[4:5], v[20:21]
	;; [unrolled: 1-line block ×8, first 2 shown]
.LBB314_83:
	s_waitcnt lgkmcnt(0)
	s_add_u32 s0, s30, s28
	s_addc_u32 s1, s31, s29
	v_lshl_add_u64 v[0:1], v[52:53], 1, s[0:1]
	v_mov_b32_e32 v51, 0
	s_mov_b32 s2, 0x7060302
	v_lshl_add_u64 v[0:1], v[0:1], 0, v[50:51]
	v_perm_b32 v5, v5, v4, s2
	v_perm_b32 v4, v3, v2, s2
	;; [unrolled: 1-line block ×4, first 2 shown]
	global_store_dwordx2 v[0:1], v[4:5], off
	global_store_dwordx2 v[0:1], v[2:3], off offset:128
	v_lshl_add_u64 v[0:1], v[54:55], 1, s[0:1]
	v_lshl_add_u64 v[0:1], v[0:1], 0, v[50:51]
	v_perm_b32 v3, v13, v12, s2
	v_perm_b32 v2, v11, v10, s2
	global_store_dwordx2 v[0:1], v[2:3], off
	v_perm_b32 v3, v17, v16, s2
	v_perm_b32 v2, v15, v14, s2
	global_store_dwordx2 v[0:1], v[2:3], off offset:128
	s_endpgm
	.section	.rodata,"a",@progbits
	.p2align	6, 0x0
	.amdhsa_kernel _ZN12_GLOBAL__N_139chunk_gated_delta_rule_fwd_h_hip_kernelILi32ELb1ELb1ELb0ELb0ELb1ELb0ELb0ELb1EEEvPK12hip_bfloat16S3_S3_PKfS5_PKvPS1_S8_PvPKiSB_iiiiilll
		.amdhsa_group_segment_fixed_size 49152
		.amdhsa_private_segment_fixed_size 0
		.amdhsa_kernarg_size 136
		.amdhsa_user_sgpr_count 2
		.amdhsa_user_sgpr_dispatch_ptr 0
		.amdhsa_user_sgpr_queue_ptr 0
		.amdhsa_user_sgpr_kernarg_segment_ptr 1
		.amdhsa_user_sgpr_dispatch_id 0
		.amdhsa_user_sgpr_kernarg_preload_length 0
		.amdhsa_user_sgpr_kernarg_preload_offset 0
		.amdhsa_user_sgpr_private_segment_size 0
		.amdhsa_uses_dynamic_stack 0
		.amdhsa_enable_private_segment 0
		.amdhsa_system_sgpr_workgroup_id_x 1
		.amdhsa_system_sgpr_workgroup_id_y 1
		.amdhsa_system_sgpr_workgroup_id_z 0
		.amdhsa_system_sgpr_workgroup_info 0
		.amdhsa_system_vgpr_workitem_id 0
		.amdhsa_next_free_vgpr 152
		.amdhsa_next_free_sgpr 69
		.amdhsa_accum_offset 136
		.amdhsa_reserve_vcc 1
		.amdhsa_float_round_mode_32 0
		.amdhsa_float_round_mode_16_64 0
		.amdhsa_float_denorm_mode_32 3
		.amdhsa_float_denorm_mode_16_64 3
		.amdhsa_dx10_clamp 1
		.amdhsa_ieee_mode 1
		.amdhsa_fp16_overflow 0
		.amdhsa_tg_split 0
		.amdhsa_exception_fp_ieee_invalid_op 0
		.amdhsa_exception_fp_denorm_src 0
		.amdhsa_exception_fp_ieee_div_zero 0
		.amdhsa_exception_fp_ieee_overflow 0
		.amdhsa_exception_fp_ieee_underflow 0
		.amdhsa_exception_fp_ieee_inexact 0
		.amdhsa_exception_int_div_zero 0
	.end_amdhsa_kernel
	.section	.text._ZN12_GLOBAL__N_139chunk_gated_delta_rule_fwd_h_hip_kernelILi32ELb1ELb1ELb0ELb0ELb1ELb0ELb0ELb1EEEvPK12hip_bfloat16S3_S3_PKfS5_PKvPS1_S8_PvPKiSB_iiiiilll,"axG",@progbits,_ZN12_GLOBAL__N_139chunk_gated_delta_rule_fwd_h_hip_kernelILi32ELb1ELb1ELb0ELb0ELb1ELb0ELb0ELb1EEEvPK12hip_bfloat16S3_S3_PKfS5_PKvPS1_S8_PvPKiSB_iiiiilll,comdat
.Lfunc_end314:
	.size	_ZN12_GLOBAL__N_139chunk_gated_delta_rule_fwd_h_hip_kernelILi32ELb1ELb1ELb0ELb0ELb1ELb0ELb0ELb1EEEvPK12hip_bfloat16S3_S3_PKfS5_PKvPS1_S8_PvPKiSB_iiiiilll, .Lfunc_end314-_ZN12_GLOBAL__N_139chunk_gated_delta_rule_fwd_h_hip_kernelILi32ELb1ELb1ELb0ELb0ELb1ELb0ELb0ELb1EEEvPK12hip_bfloat16S3_S3_PKfS5_PKvPS1_S8_PvPKiSB_iiiiilll
                                        ; -- End function
	.section	.AMDGPU.csdata,"",@progbits
; Kernel info:
; codeLenInByte = 9440
; NumSgprs: 75
; NumVgprs: 136
; NumAgprs: 16
; TotalNumVgprs: 152
; ScratchSize: 0
; MemoryBound: 0
; FloatMode: 240
; IeeeMode: 1
; LDSByteSize: 49152 bytes/workgroup (compile time only)
; SGPRBlocks: 9
; VGPRBlocks: 18
; NumSGPRsForWavesPerEU: 75
; NumVGPRsForWavesPerEU: 152
; AccumOffset: 136
; Occupancy: 1
; WaveLimiterHint : 1
; COMPUTE_PGM_RSRC2:SCRATCH_EN: 0
; COMPUTE_PGM_RSRC2:USER_SGPR: 2
; COMPUTE_PGM_RSRC2:TRAP_HANDLER: 0
; COMPUTE_PGM_RSRC2:TGID_X_EN: 1
; COMPUTE_PGM_RSRC2:TGID_Y_EN: 1
; COMPUTE_PGM_RSRC2:TGID_Z_EN: 0
; COMPUTE_PGM_RSRC2:TIDIG_COMP_CNT: 0
; COMPUTE_PGM_RSRC3_GFX90A:ACCUM_OFFSET: 33
; COMPUTE_PGM_RSRC3_GFX90A:TG_SPLIT: 0
	.section	.text._ZN12_GLOBAL__N_139chunk_gated_delta_rule_fwd_h_hip_kernelILi32ELb1ELb0ELb1ELb0ELb1ELb0ELb0ELb1EEEvPK12hip_bfloat16S3_S3_PKfS5_PKvPS1_S8_PvPKiSB_iiiiilll,"axG",@progbits,_ZN12_GLOBAL__N_139chunk_gated_delta_rule_fwd_h_hip_kernelILi32ELb1ELb0ELb1ELb0ELb1ELb0ELb0ELb1EEEvPK12hip_bfloat16S3_S3_PKfS5_PKvPS1_S8_PvPKiSB_iiiiilll,comdat
	.globl	_ZN12_GLOBAL__N_139chunk_gated_delta_rule_fwd_h_hip_kernelILi32ELb1ELb0ELb1ELb0ELb1ELb0ELb0ELb1EEEvPK12hip_bfloat16S3_S3_PKfS5_PKvPS1_S8_PvPKiSB_iiiiilll ; -- Begin function _ZN12_GLOBAL__N_139chunk_gated_delta_rule_fwd_h_hip_kernelILi32ELb1ELb0ELb1ELb0ELb1ELb0ELb0ELb1EEEvPK12hip_bfloat16S3_S3_PKfS5_PKvPS1_S8_PvPKiSB_iiiiilll
	.p2align	8
	.type	_ZN12_GLOBAL__N_139chunk_gated_delta_rule_fwd_h_hip_kernelILi32ELb1ELb0ELb1ELb0ELb1ELb0ELb0ELb1EEEvPK12hip_bfloat16S3_S3_PKfS5_PKvPS1_S8_PvPKiSB_iiiiilll,@function
_ZN12_GLOBAL__N_139chunk_gated_delta_rule_fwd_h_hip_kernelILi32ELb1ELb0ELb1ELb0ELb1ELb0ELb0ELb1EEEvPK12hip_bfloat16S3_S3_PKfS5_PKvPS1_S8_PvPKiSB_iiiiilll: ; @_ZN12_GLOBAL__N_139chunk_gated_delta_rule_fwd_h_hip_kernelILi32ELb1ELb0ELb1ELb0ELb1ELb0ELb0ELb1EEEvPK12hip_bfloat16S3_S3_PKfS5_PKvPS1_S8_PvPKiSB_iiiiilll
; %bb.0:
	s_load_dwordx4 s[12:15], s[0:1], 0x5c
	s_load_dwordx4 s[20:23], s[0:1], 0x70
	s_abs_i32 s6, s3
	s_ashr_i32 s5, s3, 31
	s_load_dwordx4 s[16:19], s[0:1], 0x28
	s_load_dwordx2 s[28:29], s[0:1], 0x38
	s_waitcnt lgkmcnt(0)
	s_abs_i32 s4, s13
	v_cvt_f32_u32_e32 v1, s4
	s_sub_i32 s8, 0, s4
	s_ashr_i32 s7, s13, 31
	s_xor_b32 s5, s5, s7
	v_rcp_iflag_f32_e32 v1, v1
	v_and_b32_e32 v63, 15, v0
	v_lshrrev_b32_e32 v61, 6, v0
	v_bfe_u32 v62, v0, 4, 2
	v_mul_f32_e32 v1, 0x4f7ffffe, v1
	v_cvt_u32_f32_e32 v1, v1
	v_mov_b32_e32 v7, 0
	v_and_b32_e32 v60, 63, v0
	v_lshlrev_b32_e32 v64, 3, v0
	v_readfirstlane_b32 s9, v1
	s_mul_i32 s8, s8, s9
	s_mul_hi_u32 s8, s9, s8
	s_add_i32 s9, s9, s8
	s_mul_hi_u32 s8, s6, s9
	s_mul_i32 s9, s8, s4
	s_sub_i32 s6, s6, s9
	s_add_i32 s10, s8, 1
	s_sub_i32 s9, s6, s4
	s_cmp_ge_u32 s6, s4
	s_cselect_b32 s8, s10, s8
	s_cselect_b32 s6, s9, s6
	s_add_i32 s9, s8, 1
	s_cmp_ge_u32 s6, s4
	s_cselect_b32 s6, s9, s8
	s_xor_b32 s6, s6, s5
	s_add_i32 s8, s12, 63
	s_sub_i32 s51, s6, s5
	s_ashr_i32 s9, s8, 31
	s_mul_i32 s5, s51, s13
	s_sub_i32 s49, s3, s5
	s_lshr_b32 s3, s9, 26
	s_add_i32 s8, s8, s3
	s_abs_i32 s3, s14
	v_cvt_f32_u32_e32 v1, s3
	s_ashr_i32 s50, s12, 31
	s_lshr_b32 s6, s50, 26
	s_add_i32 s6, s12, s6
	v_rcp_iflag_f32_e32 v1, v1
	s_ashr_i32 s54, s14, 31
	s_ashr_i32 s24, s8, 6
	;; [unrolled: 1-line block ×3, first 2 shown]
	v_mul_f32_e32 v1, 0x4f7ffffe, v1
	v_cvt_u32_f32_e32 v1, v1
	s_xor_b32 s6, s7, s54
	s_sub_i32 s7, 0, s3
	s_lshl_b32 s2, s2, 5
	v_readfirstlane_b32 s8, v1
	s_mul_i32 s7, s7, s8
	s_mul_hi_u32 s7, s8, s7
	s_add_i32 s8, s8, s7
	s_mul_hi_u32 s7, s4, s8
	s_mul_i32 s8, s7, s3
	s_sub_i32 s4, s4, s8
	s_add_i32 s8, s7, 1
	s_sub_i32 s9, s4, s3
	s_cmp_ge_u32 s4, s3
	s_cselect_b32 s7, s8, s7
	s_cselect_b32 s4, s9, s4
	s_add_i32 s8, s7, 1
	s_cmp_ge_u32 s4, s3
	s_cselect_b32 s3, s8, s7
	s_xor_b32 s3, s3, s6
	s_sub_i32 s3, s3, s6
	s_abs_i32 s4, s3
	v_cvt_f32_u32_e32 v1, s4
	s_sub_i32 s7, 0, s4
	s_abs_i32 s6, s49
	s_xor_b32 s3, s49, s3
	v_rcp_iflag_f32_e32 v1, v1
	s_ashr_i32 s3, s3, 31
	v_or_b32_e32 v50, s2, v63
	v_lshlrev_b32_e32 v2, 7, v50
	v_mul_f32_e32 v1, 0x4f7ffffe, v1
	v_cvt_u32_f32_e32 v1, v1
	v_ashrrev_i32_e32 v3, 31, v2
	v_lshrrev_b32_e32 v65, 3, v60
	s_mul_i32 s33, s51, s21
	v_readfirstlane_b32 s8, v1
	s_mul_i32 s7, s7, s8
	s_mul_hi_u32 s7, s8, s7
	s_add_i32 s8, s8, s7
	s_mul_hi_u32 s7, s6, s8
	s_mul_i32 s8, s7, s4
	s_sub_i32 s6, s6, s8
	s_add_i32 s8, s7, 1
	s_sub_i32 s9, s6, s4
	s_cmp_ge_u32 s6, s4
	s_cselect_b32 s7, s8, s7
	s_cselect_b32 s6, s9, s6
	s_add_i32 s8, s7, 1
	s_cmp_ge_u32 s6, s4
	s_cselect_b32 s4, s8, s7
	s_xor_b32 s4, s4, s3
	s_sub_i32 s55, s4, s3
	s_ashr_i32 s3, s51, 31
	s_ashr_i32 s53, s49, 31
	s_mul_hi_i32 s4, s51, s13
	s_add_u32 s38, s5, s49
	s_addc_u32 s39, s4, s53
	s_lshl_b64 s[4:5], s[38:39], 15
	s_add_u32 s4, s16, s4
	s_addc_u32 s5, s17, s5
	v_lshlrev_b32_e32 v1, 4, v61
	v_lshl_add_u64 v[4:5], v[2:3], 1, s[4:5]
	v_or_b32_e32 v2, 0x800, v2
	v_lshl_or_b32 v66, v62, 2, v1
	v_ashrrev_i32_e32 v3, 31, v2
	v_lshlrev_b32_e32 v6, 1, v66
	v_lshl_add_u64 v[2:3], v[2:3], 1, s[4:5]
	v_lshl_add_u64 v[4:5], v[4:5], 0, v[6:7]
	;; [unrolled: 1-line block ×3, first 2 shown]
	global_load_dwordx2 v[8:9], v[4:5], off
	v_or_b32_e32 v67, 64, v66
	global_load_dwordx2 v[4:5], v[4:5], off offset:128
	s_nop 0
	global_load_dwordx2 v[6:7], v[2:3], off
	global_load_dwordx2 v[10:11], v[2:3], off offset:128
	s_load_dwordx8 s[4:11], s[0:1], 0x0
	s_load_dwordx2 s[30:31], s[0:1], 0x80
	s_mul_hi_u32 s44, s51, s20
	s_mul_i32 s34, s51, s20
	s_mul_i32 s56, s51, s24
	;; [unrolled: 1-line block ×3, first 2 shown]
	s_mul_hi_u32 s46, s49, s22
	s_mul_i32 s48, s3, s20
	s_mul_i32 s47, s53, s22
	s_mul_hi_u32 s57, s38, s12
	s_mul_i32 s16, s38, s12
	s_mul_i32 s39, s39, s12
	s_cmp_lt_i32 s12, 64
	s_mul_i32 s36, s49, s22
	s_waitcnt vmcnt(3)
	v_and_b32_e32 v19, 0xffff0000, v8
	v_lshlrev_b32_e32 v18, 16, v8
	v_and_b32_e32 v21, 0xffff0000, v9
	v_lshlrev_b32_e32 v20, 16, v9
	s_waitcnt vmcnt(2)
	v_and_b32_e32 v23, 0xffff0000, v4
	v_lshlrev_b32_e32 v22, 16, v4
	v_and_b32_e32 v25, 0xffff0000, v5
	v_lshlrev_b32_e32 v24, 16, v5
	;; [unrolled: 5-line block ×4, first 2 shown]
	s_cbranch_scc1 .LBB315_17
; %bb.1:
	s_add_i32 s17, s57, s39
	s_lshl_b64 s[0:1], s[16:17], 8
	v_and_b32_e32 v69, 56, v64
	s_waitcnt lgkmcnt(0)
	s_add_u32 s20, s6, s0
	v_lshl_or_b32 v68, v61, 3, v65
	v_lshlrev_b32_e32 v2, 1, v69
	s_addc_u32 s0, s7, s1
	v_lshl_or_b32 v70, v68, 8, v2
	s_and_b32 s21, s0, 0xffff
	s_mov_b32 s23, 0x20000
	s_movk_i32 s22, 0x4000
	s_movk_i32 s0, 0x80
	v_or_b32_e32 v71, 0x2000, v70
	buffer_load_dwordx4 v[4:7], v70, s[20:23], 0 offen
	buffer_load_dwordx4 v[8:11], v70, s[20:23], s0 offen
	;; [unrolled: 1-line block ×4, first 2 shown]
	v_lshlrev_b32_e32 v3, 3, v68
	v_and_or_b32 v17, v0, 7, v3
	v_and_b32_e32 v3, 0x78, v3
	v_lshlrev_b32_e32 v17, 4, v17
	v_xor_b32_e32 v72, v17, v3
	v_mul_lo_u32 v16, v68, s15
	v_or_b32_e32 v73, 0x1000, v72
	v_xor_b32_e32 v3, 8, v72
	s_cmpk_eq_i32 s15, 0x80
	s_mov_b32 s58, s14
	v_xor_b32_e32 v17, 8, v73
	s_cselect_b64 s[0:1], -1, 0
	s_cmpk_lg_i32 s15, 0x80
	s_waitcnt vmcnt(3)
	ds_write_b64 v72, v[4:5] offset:24576
	ds_write_b64 v3, v[6:7] offset:24576
	s_waitcnt vmcnt(2)
	ds_write_b64 v72, v[8:9] offset:32768
	ds_write_b64 v3, v[10:11] offset:32768
	;; [unrolled: 3-line block ×4, first 2 shown]
	v_lshl_add_u32 v3, v16, 1, v69
	s_cbranch_scc0 .LBB315_3
; %bb.2:
	v_lshlrev_b32_e32 v5, 1, v3
	v_add_lshl_u32 v4, v3, s15, 1
	s_lshl_b32 s22, s15, 7
	v_lshl_or_b32 v2, v68, 9, v2
	s_cbranch_execz .LBB315_4
	s_branch .LBB315_5
.LBB315_3:
                                        ; implicit-def: $vgpr4
                                        ; implicit-def: $vgpr5
                                        ; implicit-def: $sgpr22
	v_lshl_or_b32 v2, v68, 9, v2
.LBB315_4:
	v_or_b32_e32 v4, 0x100, v2
	s_movk_i32 s22, 0x4000
	v_mov_b32_e32 v5, v2
.LBB315_5:
	s_mul_hi_u32 s20, s14, s12
	s_mul_i32 s21, s54, s12
	s_add_i32 s20, s20, s21
	s_mul_i32 s21, s14, s12
	s_mul_i32 s23, s21, s3
	s_mul_hi_u32 s24, s21, s51
	s_add_i32 s23, s24, s23
	s_mul_i32 s20, s20, s51
	s_add_i32 s23, s23, s20
	s_mul_i32 s21, s21, s51
	s_ashr_i32 s59, s55, 31
	s_add_u32 s20, s21, s55
	s_addc_u32 s21, s23, s59
	s_lshl_b64 s[20:21], s[20:21], 8
	s_add_u32 s20, s4, s20
	s_addc_u32 s21, s5, s21
	s_and_b32 s21, s21, 0xffff
	s_mov_b32 s23, 0x20000
	s_movk_i32 s60, 0x80
	buffer_load_dwordx4 v[6:9], v5, s[20:23], 0 offen
	buffer_load_dwordx4 v[10:13], v5, s[20:23], s60 offen
	;; [unrolled: 1-line block ×4, first 2 shown]
	v_and_b32_e32 v4, 6, v0
	v_lshlrev_b32_e32 v39, 6, v66
	v_or_b32_e32 v41, 16, v63
	v_xor_b32_e32 v42, v68, v4
	v_and_b32_e32 v5, 1, v0
	v_lshl_or_b32 v45, v63, 3, v39
	v_lshl_or_b32 v39, v41, 3, v39
	v_lshlrev_b32_e32 v42, 2, v42
	s_mul_i32 s3, s3, s12
	s_mul_hi_u32 s20, s51, s12
	v_lshlrev_b32_e32 v38, 2, v63
	v_or_b32_e32 v76, 0xa000, v39
	v_or_b32_e32 v77, 0xb000, v39
	v_xor_b32_e32 v39, 0x440, v42
	v_cmp_eq_u32_e32 vcc, 0, v5
	v_xor_b32_e32 v43, v66, v38
	v_xor_b32_e32 v44, v67, v38
	v_cndmask_b32_e32 v5, v39, v42, vcc
	s_add_i32 s65, s20, s3
	s_add_i32 s3, s44, s33
	s_mov_b32 s62, 0x1000504
	v_lshlrev_b32_e32 v40, 8, v63
	v_lshlrev_b32_e32 v43, 1, v43
	;; [unrolled: 1-line block ×3, first 2 shown]
	v_lshl_or_b32 v4, v4, 10, v5
	s_add_i32 s35, s3, s48
	s_add_i32 s3, s46, s45
	s_mov_b32 s63, 0x3020706
	v_or_b32_e32 v74, 0xa000, v45
	v_or_b32_e32 v75, 0xb000, v45
	v_or_b32_e32 v78, v40, v43
	v_or_b32_e32 v79, v40, v44
	v_xor_b32_e32 v5, 8, v4
	v_xor_b32_e32 v40, 24, v4
	;; [unrolled: 1-line block ×4, first 2 shown]
	s_add_i32 s37, s3, s47
	s_lshl_b64 s[20:21], s[34:35], 2
	v_xor_b32_e32 v39, 16, v4
	v_xor_b32_e32 v42, 32, v4
	;; [unrolled: 1-line block ×3, first 2 shown]
	v_add_u32_e32 v5, 0x80, v5
	v_add_u32_e32 v40, 0x80, v40
	;; [unrolled: 1-line block ×4, first 2 shown]
	s_add_u32 s3, s10, s20
	s_addc_u32 s22, s11, s21
	s_lshl_b64 s[20:21], s[36:37], 2
	s_add_u32 s40, s3, s20
	s_movk_i32 s3, 0xf8
	s_addc_u32 s41, s22, s21
	s_lshl_b32 s26, s15, 7
	s_movk_i32 s24, 0x100
	v_mov_b32_e32 v53, 0
	v_lshlrev_b32_e32 v52, 4, v63
	v_cmp_gt_u32_e32 vcc, s24, v0
	v_ashrrev_i32_e32 v51, 31, v50
	s_mov_b32 s61, 0
	s_mul_i32 s64, s51, s12
	s_movk_i32 s35, 0x1000
	s_movk_i32 s22, 0x4000
	s_mov_b32 s66, 0
	s_waitcnt vmcnt(1)
	v_perm_b32 v48, v6, v14, s62
	s_waitcnt vmcnt(0)
	v_perm_b32 v49, v10, v34, s62
	v_perm_b32 v6, v6, v14, s63
	;; [unrolled: 1-line block ×15, first 2 shown]
	ds_write2st64_b32 v4, v48, v49 offset0:32 offset1:64
	ds_write2st64_b32 v5, v6, v10 offset0:32 offset1:64
	;; [unrolled: 1-line block ×8, first 2 shown]
	v_lshlrev_b32_e32 v4, 8, v41
	v_or_b32_e32 v80, v4, v43
	v_or_b32_e32 v81, v4, v44
	;; [unrolled: 1-line block ×3, first 2 shown]
	v_lshlrev_b32_e32 v4, 3, v4
	v_lshrrev_b32_e32 v7, 5, v60
	v_and_or_b32 v7, v4, s3, v7
	v_lshlrev_b32_e32 v7, 4, v7
	v_lshlrev_b32_e32 v5, 11, v61
	v_and_b32_e32 v4, 0x78, v4
	v_or_b32_e32 v12, 32, v7
	v_and_b32_e32 v6, 0x1000, v5
	v_lshrrev_b32_e32 v9, 1, v0
	v_xor_b32_e32 v12, v12, v4
	v_and_b32_e32 v10, 8, v9
	v_or_b32_e32 v12, v12, v6
	v_xor_b32_e32 v8, v7, v4
	v_xor_b32_e32 v84, v12, v10
	v_or_b32_e32 v12, 64, v7
	v_or_b32_e32 v7, 0x60, v7
	s_ashr_i32 s3, s2, 31
	v_xor_b32_e32 v12, v12, v4
	v_xor_b32_e32 v4, v7, v4
	s_lshl_b64 s[20:21], s[2:3], 8
	v_or_b32_e32 v8, v8, v6
	v_or_b32_e32 v12, v12, v6
	;; [unrolled: 1-line block ×3, first 2 shown]
	s_add_u32 s20, s18, s20
	v_lshlrev_b32_e32 v6, 1, v63
	v_xor_b32_e32 v86, v12, v10
	v_lshrrev_b32_e32 v12, 4, v0
	s_addc_u32 s21, s19, s21
	v_or_b32_e32 v7, 1, v6
	v_mov_b32_e32 v16, 0x4000
	v_mov_b32_e32 v17, 0x2000
	v_xor_b32_e32 v13, v12, v6
	v_xor_b32_e32 v14, v7, v12
	v_lshl_add_u64 v[6:7], s[20:21], 0, v[52:53]
	v_lshlrev_b32_e32 v52, 8, v12
	v_cndmask_b32_e32 v16, v16, v17, vcc
	v_lshlrev_b32_e32 v17, 3, v61
	v_and_b32_e32 v9, 24, v9
	v_lshl_or_b32 v90, v13, 3, v52
	v_and_b32_e32 v13, 8, v0
	v_xor_b32_e32 v34, v17, v9
	v_or_b32_e32 v35, 0x440, v34
	v_cmp_eq_u32_e32 vcc, 0, v13
	v_and_b32_e32 v12, 7, v0
	v_xor_b32_e32 v82, v8, v10
	v_cndmask_b32_e32 v13, v35, v34, vcc
	v_lshlrev_b32_e32 v8, 7, v62
	v_lshl_or_b32 v91, v14, 3, v52
	v_lshlrev_b32_e32 v14, 3, v12
	v_lshlrev_b32_e32 v12, 7, v12
	v_lshlrev_b32_e32 v15, 2, v0
	v_or_b32_e32 v13, v13, v5
	v_or_b32_e32 v11, v8, v38
	v_xad_u32 v92, v13, v14, v12
	v_and_or_b32 v8, v15, 60, v8
	v_mov_b32_e32 v13, 0xb000
	v_lshl_or_b32 v93, v8, 1, v13
	v_or_b32_e32 v8, 32, v9
	v_xor_b32_e32 v8, v17, v8
	v_or_b32_e32 v13, 0x440, v8
	v_cndmask_b32_e32 v8, v13, v8, vcc
	v_or_b32_e32 v8, v8, v5
	v_xad_u32 v94, v8, v14, v12
	v_or_b32_e32 v8, 64, v9
	v_xor_b32_e32 v8, v17, v8
	v_xor_b32_e32 v13, 0x440, v8
	v_cndmask_b32_e32 v8, v13, v8, vcc
	v_or_b32_e32 v8, v8, v5
	v_xad_u32 v95, v8, v14, v12
	v_or_b32_e32 v8, 0x60, v9
	v_xor_b32_e32 v8, v17, v8
	v_xor_b32_e32 v9, 0x440, v8
	v_lshlrev_b32_e32 v11, 1, v11
	v_cndmask_b32_e32 v8, v9, v8, vcc
	v_or_b32_e32 v83, 0xa000, v11
	v_or_b32_e32 v85, 0xa080, v11
	v_xor_b32_e32 v87, v4, v10
	v_or_b32_e32 v88, 0xb000, v11
	v_or_b32_e32 v89, 0xb080, v11
	v_lshlrev_b32_e32 v10, 1, v3
	v_add_lshl_u32 v3, v3, s15, 1
	v_or_b32_e32 v11, 0x100, v2
	v_or_b32_e32 v5, v8, v5
	v_lshlrev_b32_e32 v4, 7, v66
	v_xad_u32 v96, v5, v14, v12
	v_cndmask_b32_e64 v97, v10, v2, s[0:1]
	v_cndmask_b32_e64 v98, v3, v11, s[0:1]
	v_lshlrev_b64 v[2:3], 1, v[50:51]
	v_lshl_add_u64 v[54:55], s[8:9], 0, v[2:3]
	v_lshl_add_u64 v[56:57], s[28:29], 0, v[2:3]
	;; [unrolled: 1-line block ×3, first 2 shown]
	v_lshlrev_b32_e32 v52, 1, v4
	v_add_u32_e32 v51, v16, v92
	v_add_u32_e32 v99, v16, v94
	;; [unrolled: 1-line block ×4, first 2 shown]
	v_mov_b64_e32 v[2:3], v[18:19]
	s_mov_b32 s3, 0x7060302
	v_mov_b64_e32 v[4:5], v[20:21]
	v_mov_b64_e32 v[6:7], v[22:23]
	;; [unrolled: 1-line block ×7, first 2 shown]
	s_waitcnt lgkmcnt(0)
	s_barrier
	s_branch .LBB315_7
.LBB315_6:                              ;   in Loop: Header=BB315_7 Depth=1
	s_waitcnt vmcnt(2)
	v_exp_f32_e32 v34, s20
	v_accvgpr_read_b32 v21, a7
	v_accvgpr_read_b32 v19, a5
	;; [unrolled: 1-line block ×16, first 2 shown]
	v_fma_f32 v18, v2, v34, v18
	v_fma_f32 v19, v3, v34, v19
	v_fma_f32 v20, v4, v34, v20
	v_fmac_f32_e32 v21, v5, v34
	v_fma_f32 v26, v10, v34, v26
	v_fma_f32 v27, v11, v34, v27
	v_fma_f32 v28, v12, v34, v28
	v_fmac_f32_e32 v29, v13, v34
	;; [unrolled: 4-line block ×4, first 2 shown]
	s_add_i32 s61, s61, 64
	v_mov_b64_e32 v[2:3], v[18:19]
	s_cmp_eq_u32 s52, s37
	s_mov_b32 s66, s37
	v_mov_b64_e32 v[4:5], v[20:21]
	v_mov_b64_e32 v[6:7], v[22:23]
	v_mov_b64_e32 v[8:9], v[24:25]
	v_mov_b64_e32 v[10:11], v[26:27]
	v_mov_b64_e32 v[12:13], v[28:29]
	v_mov_b64_e32 v[14:15], v[30:31]
	v_mov_b64_e32 v[16:17], v[32:33]
	s_cbranch_scc1 .LBB315_17
.LBB315_7:                              ; =>This Inner Loop Header: Depth=1
	s_add_i32 s37, s66, 1
	s_cmp_lt_i32 s37, s52
	s_mov_b64 s[24:25], 0
	s_cselect_b64 s[42:43], -1, 0
	s_cmp_ge_i32 s37, s52
	s_mov_b64 s[20:21], 0
	s_cbranch_scc1 .LBB315_9
; %bb.8:                                ;   in Loop: Header=BB315_7 Depth=1
	s_add_i32 s0, s61, 64
	s_add_u32 s0, s16, s0
	s_addc_u32 s1, s17, 0
	s_lshl_b64 s[0:1], s[0:1], 8
	s_add_u32 s20, s6, s0
	s_addc_u32 s21, s7, s1
.LBB315_9:                              ;   in Loop: Header=BB315_7 Depth=1
	v_cndmask_b32_e64 v18, 0, 1, s[42:43]
	v_cmp_ne_u32_e64 s[0:1], 1, v18
	s_andn2_b64 vcc, exec, s[42:43]
	s_cbranch_vccnz .LBB315_11
; %bb.10:                               ;   in Loop: Header=BB315_7 Depth=1
	s_add_i32 s24, s61, 64
	s_add_u32 s24, s64, s24
	s_addc_u32 s25, s65, 0
	s_mul_i32 s27, s24, s54
	s_mul_hi_u32 s42, s24, s58
	s_add_i32 s27, s42, s27
	s_mul_i32 s25, s25, s58
	s_add_i32 s27, s27, s25
	s_mul_i32 s24, s24, s58
	s_add_u32 s24, s24, s55
	s_addc_u32 s25, s27, s59
	s_lshl_b64 s[24:25], s[24:25], 8
	s_add_u32 s24, s4, s24
	s_addc_u32 s25, s5, s25
.LBB315_11:                             ;   in Loop: Header=BB315_7 Depth=1
	v_perm_b32 v19, v5, v4, s3
	v_perm_b32 v18, v3, v2, s3
	;; [unrolled: 1-line block ×4, first 2 shown]
	ds_write_b64 v74, v[18:19]
	ds_write_b64 v75, v[20:21]
	;; [unrolled: 1-line block ×4, first 2 shown]
	v_perm_b32 v19, v13, v12, s3
	v_perm_b32 v18, v11, v10, s3
	;; [unrolled: 1-line block ×4, first 2 shown]
	ds_write_b64 v76, v[18:19]
	ds_write_b64 v77, v[20:21]
	;; [unrolled: 1-line block ×4, first 2 shown]
	s_waitcnt lgkmcnt(0)
	s_barrier
	ds_read_b64 v[22:23], v82 offset:24576
	ds_read2_b64 v[18:21], v83 offset1:16
	ds_read_b64 v[26:27], v85 offset:3072
	ds_read_b64 v[28:29], v83 offset:3072
	;; [unrolled: 1-line block ×3, first 2 shown]
	s_waitcnt lgkmcnt(3)
	v_mfma_f32_16x16x16_bf16 a[0:3], v[22:23], v[18:19], 0
	s_add_i32 s27, s61, 63
	s_mul_i32 s42, s27, s31
	s_mul_hi_u32 s43, s27, s30
	v_mfma_f32_16x16x16_bf16 a[4:7], v[22:23], v[20:21], 0
	ds_read2st64_b64 v[18:21], v83 offset0:2 offset1:4
	ds_read2st64_b64 v[22:25], v85 offset0:2 offset1:4
	s_add_i32 s43, s43, s42
	s_waitcnt lgkmcnt(1)
	v_mfma_f32_16x16x16_bf16 a[0:3], v[30:31], v[18:19], a[0:3]
	s_mul_i32 s42, s27, s30
	s_lshl_b64 s[42:43], s[42:43], 2
	s_add_u32 s42, s40, s42
	s_waitcnt lgkmcnt(0)
	v_mfma_f32_16x16x16_bf16 a[4:7], v[30:31], v[22:23], a[4:7]
	ds_read_b64 v[18:19], v86 offset:24576
	ds_read_b64 v[22:23], v87 offset:24576
	s_addc_u32 s43, s41, s43
	s_and_b64 vcc, exec, s[0:1]
	s_waitcnt lgkmcnt(1)
	v_mfma_f32_16x16x16_bf16 a[0:3], v[18:19], v[20:21], a[0:3]
	v_mov_b32_e32 v104, 0
	v_mov_b32_e32 v103, 0
	;; [unrolled: 1-line block ×3, first 2 shown]
	v_mfma_f32_16x16x16_bf16 a[8:11], v[18:19], v[24:25], a[4:7]
	v_mov_b32_e32 v18, 0
	v_mov_b32_e32 v19, 0
	;; [unrolled: 1-line block ×3, first 2 shown]
	s_waitcnt lgkmcnt(0)
	v_mfma_f32_16x16x16_bf16 a[4:7], v[22:23], v[28:29], a[0:3]
	v_mov_b32_e32 v21, 0
	v_mov_b32_e32 v24, 0
	;; [unrolled: 1-line block ×3, first 2 shown]
	v_mfma_f32_16x16x16_bf16 a[0:3], v[22:23], v[26:27], a[8:11]
	v_mov_b32_e32 v22, 0
	v_mov_b32_e32 v23, 0
	;; [unrolled: 1-line block ×10, first 2 shown]
	s_cbranch_vccnz .LBB315_13
; %bb.12:                               ;   in Loop: Header=BB315_7 Depth=1
	s_and_b32 s21, s21, 0xffff
	buffer_load_dwordx4 v[30:33], v70, s[20:23], 0 offen
	buffer_load_dwordx4 v[26:29], v70, s[20:23], s60 offen
	;; [unrolled: 1-line block ×4, first 2 shown]
	v_mov_b32_e32 v103, v72
	v_mov_b32_e32 v102, v73
.LBB315_13:                             ;   in Loop: Header=BB315_7 Depth=1
	ds_read_b64 v[42:43], v82 offset:32768
	ds_read2_b64 v[34:37], v88 offset1:16
	ds_read_b64 v[44:45], v84 offset:32768
	ds_read_b64 v[46:47], v86 offset:32768
	;; [unrolled: 1-line block ×3, first 2 shown]
	ds_read2st64_b64 v[38:41], v88 offset0:2 offset1:4
	v_add_u32_e32 v105, s61, v66
	s_waitcnt lgkmcnt(4)
	v_mfma_f32_16x16x16_bf16 a[4:7], v[42:43], v[34:35], a[4:7]
	v_ashrrev_i32_e32 v34, 31, v105
	v_mfma_f32_16x16x16_bf16 a[0:3], v[42:43], v[36:37], a[0:3]
	v_mul_lo_u32 v36, v105, s31
	v_mul_lo_u32 v37, v34, s30
	v_mad_u64_u32 v[34:35], s[20:21], v105, s30, 0
	v_add3_u32 v35, v35, v36, v37
	v_add_u32_e32 v36, 1, v105
	v_ashrrev_i32_e32 v37, 31, v36
	s_waitcnt lgkmcnt(0)
	v_mfma_f32_16x16x16_bf16 a[4:7], v[44:45], v[38:39], a[4:7]
	v_mul_lo_u32 v38, v37, s30
	v_mul_lo_u32 v39, v36, s31
	v_mad_u64_u32 v[36:37], s[20:21], v36, s30, 0
	v_add3_u32 v37, v37, v39, v38
	v_add_u32_e32 v38, 2, v105
	v_ashrrev_i32_e32 v39, 31, v38
	v_mul_lo_u32 v42, v39, s30
	v_mul_lo_u32 v43, v38, s31
	v_mad_u64_u32 v[38:39], s[20:21], v38, s30, 0
	v_add3_u32 v39, v39, v43, v42
	v_add_u32_e32 v42, 3, v105
	v_ashrrev_i32_e32 v43, 31, v42
	v_mul_lo_u32 v105, v43, s30
	v_mul_lo_u32 v106, v42, s31
	v_mad_u64_u32 v[42:43], s[20:21], v42, s30, 0
	s_add_u32 s20, s16, s61
	s_addc_u32 s21, s17, 0
	s_lshl_b64 s[68:69], s[20:21], 8
	v_lshl_add_u64 v[34:35], v[34:35], 2, s[40:41]
	v_add3_u32 v43, v43, v106, v105
	v_lshl_add_u64 v[106:107], v[54:55], 0, s[68:69]
	v_lshl_add_u64 v[36:37], v[36:37], 2, s[40:41]
	;; [unrolled: 1-line block ×3, first 2 shown]
	global_load_dword v105, v[34:35], off
	global_load_ushort v108, v[106:107], off offset:256
	global_load_ushort v109, v[106:107], off
	global_load_ushort v110, v[106:107], off offset:768
	v_lshl_add_u64 v[34:35], v[42:43], 2, s[40:41]
	v_lshl_add_u64 v[38:39], v[38:39], 2, s[40:41]
	global_load_dword v111, v[36:37], off
	global_load_dword v112, v[38:39], off
	;; [unrolled: 1-line block ×3, first 2 shown]
	ds_read2st64_b64 v[34:37], v89 offset0:2 offset1:4
	s_waitcnt lgkmcnt(0)
	v_mfma_f32_16x16x16_bf16 a[0:3], v[44:45], v[34:35], a[0:3]
	global_load_ushort v44, v[106:107], off offset:512
	global_load_ushort v114, v[106:107], off offset:800
	;; [unrolled: 1-line block ×4, first 2 shown]
	s_nop 0
	global_load_ushort v106, v[106:107], off offset:32
	s_and_b64 vcc, exec, s[0:1]
	v_mfma_f32_16x16x16_bf16 a[4:7], v[46:47], v[40:41], a[4:7]
	s_waitcnt vmcnt(10)
	v_lshlrev_b32_e32 v43, 16, v108
	v_mfma_f32_16x16x16_bf16 a[0:3], v[46:47], v[36:37], a[0:3]
	ds_read_b64 v[34:35], v88 offset:3072
	ds_read_b64 v[36:37], v89 offset:3072
	s_load_dword s20, s[42:43], 0x0
	s_waitcnt vmcnt(9)
	v_lshlrev_b32_e32 v42, 16, v109
	s_waitcnt lgkmcnt(0)
	v_mfma_f32_16x16x16_bf16 a[4:7], v[48:49], v[34:35], a[4:7]
	v_lshl_add_u64 v[34:35], v[56:57], 0, s[68:69]
	v_sub_f32_e32 v46, s20, v105
	s_waitcnt vmcnt(7)
	v_sub_f32_e32 v47, s20, v111
	v_mfma_f32_16x16x16_bf16 a[0:3], v[48:49], v[36:37], a[0:3]
	s_waitcnt vmcnt(6)
	v_sub_f32_e32 v48, s20, v112
	s_waitcnt vmcnt(5)
	v_sub_f32_e32 v49, s20, v113
	v_accvgpr_read_b32 v41, a5
	v_accvgpr_read_b32 v40, a4
	v_exp_f32_e32 v46, v46
	v_pk_add_f32 v[40:41], v[42:43], v[40:41] neg_lo:[0,1] neg_hi:[0,1]
	v_exp_f32_e32 v47, v47
	v_exp_f32_e32 v42, v48
	;; [unrolled: 1-line block ×3, first 2 shown]
	v_accvgpr_read_b32 v37, a7
	v_accvgpr_read_b32 v36, a6
	v_lshlrev_b32_e32 v45, 16, v110
	s_waitcnt vmcnt(4)
	v_lshlrev_b32_e32 v44, 16, v44
	v_lshl_add_u64 v[34:35], v[34:35], 0, v[52:53]
	v_pk_add_f32 v[36:37], v[44:45], v[36:37] neg_lo:[0,1] neg_hi:[0,1]
	global_store_short_d16_hi v[34:35], v40, off
	global_store_short_d16_hi v[34:35], v41, off offset:256
	global_store_short_d16_hi v[34:35], v36, off offset:512
	;; [unrolled: 1-line block ×3, first 2 shown]
	v_pk_mul_f32 v[40:41], v[46:47], v[40:41]
	v_pk_mul_f32 v[36:37], v[42:43], v[36:37]
	v_accvgpr_read_b32 v45, a1
	v_perm_b32 v40, v41, v40, s3
	v_perm_b32 v41, v37, v36, s3
	s_waitcnt vmcnt(5)
	v_lshlrev_b32_e32 v37, 16, v116
	s_waitcnt vmcnt(4)
	v_lshlrev_b32_e32 v36, 16, v106
	v_accvgpr_read_b32 v44, a0
	v_accvgpr_read_b32 v39, a3
	;; [unrolled: 1-line block ×3, first 2 shown]
	v_pk_add_f32 v[36:37], v[36:37], v[44:45] neg_lo:[0,1] neg_hi:[0,1]
	v_lshlrev_b32_e32 v45, 16, v114
	v_lshlrev_b32_e32 v44, 16, v115
	v_pk_add_f32 v[38:39], v[44:45], v[38:39] neg_lo:[0,1] neg_hi:[0,1]
	global_store_short_d16_hi v[34:35], v36, off offset:32
	global_store_short_d16_hi v[34:35], v37, off offset:288
	;; [unrolled: 1-line block ×4, first 2 shown]
	v_pk_mul_f32 v[34:35], v[46:47], v[36:37]
	v_pk_mul_f32 v[36:37], v[42:43], v[38:39]
	v_mov_b32_e32 v105, 0
	v_perm_b32 v37, v37, v36, s3
	v_perm_b32 v36, v35, v34, s3
	ds_write2_b64 v75, v[40:41], v[36:37] offset1:16
	v_mov_b32_e32 v34, 0
	v_mov_b32_e32 v35, 0
	;; [unrolled: 1-line block ×16, first 2 shown]
	s_cbranch_vccnz .LBB315_15
; %bb.14:                               ;   in Loop: Header=BB315_7 Depth=1
	s_and_b32 s25, s25, 0xffff
	s_mov_b32 s27, s23
	buffer_load_dwordx4 v[46:49], v97, s[24:27], 0 offen
	buffer_load_dwordx4 v[38:41], v97, s[24:27], s60 offen
	buffer_load_dwordx4 v[42:45], v98, s[24:27], 0 offen
	buffer_load_dwordx4 v[34:37], v98, s[24:27], s60 offen
	v_mov_b32_e32 v104, v69
	v_mov_b32_e32 v105, v68
.LBB315_15:                             ;   in Loop: Header=BB315_7 Depth=1
	s_waitcnt lgkmcnt(0)
	s_barrier
	ds_read_b64 v[110:111], v51
	ds_read_b64 v[118:119], v93
	;; [unrolled: 1-line block ×5, first 2 shown]
	ds_read_b64 v[124:125], v94 offset:16384
	ds_read_b64 v[126:127], v92 offset:16384
	ds_read2_b64 v[106:109], v88 offset0:16 offset1:128
	s_waitcnt lgkmcnt(6)
	v_mfma_f32_16x16x16_bf16 a[0:3], v[110:111], v[118:119], 0
	ds_read_b64 v[128:129], v89 offset:3072
	ds_read_b64 v[130:131], v96 offset:16384
	s_add_i32 s21, s56, s66
	s_waitcnt lgkmcnt(2)
	v_mfma_f32_16x16x16_bf16 a[4:7], v[110:111], v[106:107], 0
	ds_read2st64_b64 v[110:113], v89 offset0:2 offset1:4
	s_mul_hi_i32 s25, s21, s13
	s_mul_i32 s21, s21, s13
	v_mfma_f32_16x16x16_bf16 a[0:3], v[114:115], v[108:109], a[0:3]
	s_add_u32 s24, s21, s49
	s_addc_u32 s25, s25, s53
	s_lshl_b64 s[24:25], s[24:25], 15
	s_waitcnt lgkmcnt(0)
	v_mfma_f32_16x16x16_bf16 a[4:7], v[114:115], v[110:111], a[4:7]
	ds_read2st64_b64 v[114:117], v88 offset0:4 offset1:6
	s_waitcnt lgkmcnt(0)
	v_mfma_f32_16x16x16_bf16 a[0:3], v[120:121], v[114:115], a[0:3]
	v_mfma_f32_16x16x16_bf16 a[8:11], v[120:121], v[112:113], a[4:7]
	;; [unrolled: 1-line block ×5, first 2 shown]
	ds_read2st64_b64 v[118:121], v91 offset1:8
	v_mfma_f32_16x16x16_bf16 a[12:15], v[126:127], v[106:107], 0
	ds_read_b64 v[126:127], v95 offset:16384
	v_mfma_f32_16x16x16_bf16 a[8:11], v[124:125], v[108:109], a[8:11]
	ds_read2st64_b64 v[106:109], v90 offset1:8
	s_waitcnt lgkmcnt(0)
	v_mov_b32_e32 v122, v106
	v_mfma_f32_16x16x16_bf16 a[12:15], v[124:125], v[110:111], a[12:15]
	v_lshl_add_u64 v[110:111], v[58:59], 0, s[24:25]
	v_add_co_u32_e32 v106, vcc, s35, v110
	v_mfma_f32_16x16x16_bf16 a[8:11], v[126:127], v[114:115], a[8:11]
	v_mov_b32_e32 v123, v107
	v_addc_co_u32_e32 v107, vcc, 0, v111, vcc
	v_mfma_f32_16x16x16_bf16 a[12:15], v[126:127], v[112:113], a[12:15]
	v_mov_b32_e32 v124, v118
	v_mov_b32_e32 v125, v119
	v_mov_b32_e32 v118, v108
	v_mfma_f32_16x16x16_bf16 a[8:11], v[130:131], v[116:117], a[8:11]
	v_mov_b32_e32 v119, v109
	s_and_b64 vcc, exec, s[0:1]
	global_store_dwordx4 v[110:111], v[122:125], off
	v_mfma_f32_16x16x16_bf16 a[12:15], v[130:131], v[128:129], a[12:15]
	global_store_dwordx4 v[106:107], v[118:121], off
	s_cbranch_vccnz .LBB315_6
; %bb.16:                               ;   in Loop: Header=BB315_7 Depth=1
	v_lshrrev_b32_e32 v106, 3, v104
	v_and_b32_e32 v106, 6, v106
	v_xor_b32_e32 v105, v106, v105
	v_lshlrev_b32_e32 v105, 2, v105
	v_and_b32_e32 v104, 8, v104
	v_xor_b32_e32 v107, 0x440, v105
	v_cmp_eq_u32_e32 vcc, 0, v104
	s_barrier
	s_nop 0
	v_cndmask_b32_e32 v104, v107, v105, vcc
	v_lshl_or_b32 v104, v106, 10, v104
	s_waitcnt vmcnt(3)
	v_perm_b32 v105, v46, v42, s62
	s_waitcnt vmcnt(2)
	v_perm_b32 v106, v38, v34, s62
	ds_write2st64_b32 v104, v105, v106 offset0:32 offset1:64
	v_xor_b32_e32 v105, 8, v104
	v_perm_b32 v42, v46, v42, s63
	v_perm_b32 v34, v38, v34, s63
	v_add_u32_e32 v38, 0x80, v105
	ds_write2st64_b32 v38, v42, v34 offset0:32 offset1:64
	v_xor_b32_e32 v34, 16, v104
	v_perm_b32 v38, v47, v43, s62
	v_perm_b32 v42, v39, v35, s62
	ds_write2st64_b32 v34, v38, v42 offset0:33 offset1:65
	v_xor_b32_e32 v34, 24, v104
	v_perm_b32 v38, v47, v43, s63
	v_perm_b32 v35, v39, v35, s63
	v_add_u32_e32 v34, 0x80, v34
	ds_write2st64_b32 v34, v38, v35 offset0:33 offset1:65
	v_xor_b32_e32 v34, 32, v104
	v_perm_b32 v35, v48, v44, s62
	;; [unrolled: 9-line block ×3, first 2 shown]
	v_perm_b32 v36, v41, v37, s62
	ds_write2st64_b32 v34, v35, v36 offset0:35 offset1:67
	v_xor_b32_e32 v34, 56, v104
	v_perm_b32 v35, v49, v45, s63
	v_perm_b32 v36, v41, v37, s63
	v_add_u32_e32 v34, 0x80, v34
	ds_write2st64_b32 v34, v35, v36 offset0:35 offset1:67
	ds_write_b64 v103, v[30:31] offset:24576
	v_xor_b32_e32 v30, 8, v103
	ds_write_b64 v30, v[32:33] offset:24576
	ds_write_b64 v103, v[26:27] offset:32768
	;; [unrolled: 1-line block ×4, first 2 shown]
	v_xor_b32_e32 v22, 8, v102
	ds_write_b64 v22, v[24:25] offset:24576
	ds_write_b64 v102, v[18:19] offset:32768
	;; [unrolled: 1-line block ×3, first 2 shown]
	s_branch .LBB315_6
.LBB315_17:
	s_lshl_b32 s26, s52, 6
	s_sub_i32 s27, s12, s26
	s_cmp_gt_i32 s27, 0
	s_cbranch_scc0 .LBB315_82
; %bb.18:
	s_ashr_i32 s3, s26, 31
	s_cmpk_lg_i32 s15, 0x80
	s_cselect_b64 s[22:23], -1, 0
	s_and_b64 vcc, exec, s[22:23]
	s_cbranch_vccz .LBB315_20
; %bb.19:
	s_mul_i32 s1, s51, s12
	s_mul_hi_i32 s0, s51, s12
	s_add_u32 s1, s1, s26
	s_addc_u32 s0, s0, s3
	s_mul_i32 s17, s1, s54
	s_mul_hi_u32 s20, s1, s14
	s_add_i32 s17, s20, s17
	s_mul_i32 s0, s0, s14
	s_add_i32 s17, s17, s0
	s_mul_i32 s1, s1, s14
	s_ashr_i32 s0, s55, 31
	s_add_u32 s24, s1, s55
	s_addc_u32 s25, s17, s0
	s_cbranch_execz .LBB315_21
	s_branch .LBB315_22
.LBB315_20:
                                        ; implicit-def: $sgpr24_sgpr25
.LBB315_21:
	s_mul_hi_i32 s0, s51, s14
	s_mul_i32 s51, s51, s14
	s_ashr_i32 s1, s55, 31
	s_add_u32 s14, s51, s55
	s_addc_u32 s0, s0, s1
	s_mul_i32 s1, s14, s50
	s_mul_hi_u32 s17, s14, s12
	s_add_i32 s1, s17, s1
	s_mul_i32 s0, s0, s12
	s_add_i32 s1, s1, s0
	s_mul_i32 s14, s14, s12
	s_add_u32 s24, s14, s26
	s_addc_u32 s25, s1, s3
.LBB315_22:
	s_mul_i32 s0, s38, s50
	s_add_i32 s0, s57, s0
	s_add_i32 s14, s56, s52
	;; [unrolled: 1-line block ×3, first 2 shown]
	s_add_u32 s0, s16, s26
	v_lshlrev_b32_e32 v6, 5, v66
	v_lshlrev_b32_e32 v34, 2, v63
	s_addc_u32 s1, s1, s3
	s_mov_b32 s3, 0x7060302
	v_or_b32_e32 v9, v6, v34
	v_xor_b32_e32 v7, v66, v34
	v_perm_b32 v3, v21, v20, s3
	v_perm_b32 v2, v19, v18, s3
	;; [unrolled: 1-line block ×4, first 2 shown]
	v_lshlrev_b32_e32 v9, 1, v9
	v_xor_b32_e32 v8, v67, v34
	ds_write2st64_b64 v9, v[2:3], v[4:5] offset0:80 offset1:88
	v_lshlrev_b32_e32 v7, 1, v7
	v_lshlrev_b32_e32 v9, 8, v63
	s_lshl_b64 s[20:21], s[0:1], 8
	v_or_b32_e32 v10, v7, v9
	v_lshlrev_b32_e32 v8, 1, v8
	s_waitcnt lgkmcnt(0)
	s_add_u32 s0, s6, s20
	ds_write_b64 v10, v[2:3]
	v_or_b32_e32 v2, v8, v9
	s_addc_u32 s1, s7, s21
	ds_write_b64 v2, v[4:5]
	v_perm_b32 v3, v29, v28, s3
	v_perm_b32 v2, v27, v26, s3
	;; [unrolled: 1-line block ×4, first 2 shown]
	v_or_b32_e32 v9, 16, v63
	s_mul_hi_i32 s3, s14, s13
	s_mul_i32 s14, s14, s13
	v_lshlrev_b32_e32 v19, 2, v9
	s_add_u32 s6, s14, s49
	v_or_b32_e32 v6, v6, v19
	s_addc_u32 s7, s3, s53
	v_lshlrev_b32_e32 v6, 1, v6
	s_ashr_i32 s3, s2, 31
	s_lshl_b64 s[6:7], s[6:7], 15
	ds_write2st64_b64 v6, v[2:3], v[4:5] offset0:80 offset1:88
	v_lshlrev_b32_e32 v6, 8, v9
	s_add_u32 s6, s18, s6
	v_or_b32_e32 v7, v7, v6
	s_addc_u32 s7, s19, s7
	s_lshl_b64 s[2:3], s[2:3], 8
	ds_write_b64 v7, v[2:3]
	v_or_b32_e32 v2, v8, v6
	s_add_u32 s2, s6, s2
	ds_write_b64 v2, v[4:5]
	v_lshrrev_b32_e32 v2, 4, v0
	s_addc_u32 s3, s7, s3
	v_lshlrev_b32_e32 v3, 1, v63
	v_lshlrev_b32_e32 v10, 4, v63
	v_mov_b32_e32 v11, 0
	v_or_b32_e32 v4, 1, v3
	v_xor_b32_e32 v3, v2, v3
	v_lshl_add_u64 v[12:13], s[2:3], 0, v[10:11]
	v_lshlrev_b32_e32 v10, 8, v2
	v_xor_b32_e32 v6, v4, v2
	v_lshl_or_b32 v2, v3, 3, v10
	s_waitcnt lgkmcnt(0)
	s_barrier
	ds_read2st64_b64 v[2:5], v2 offset1:8
	v_lshl_or_b32 v6, v6, 3, v10
	ds_read2st64_b64 v[6:9], v6 offset1:8
	v_lshl_add_u64 v[14:15], v[12:13], 0, v[10:11]
	s_movk_i32 s2, 0x1000
	s_waitcnt lgkmcnt(1)
	v_mov_b32_e32 v10, v2
	v_add_co_u32_e32 v2, vcc, s2, v14
	s_cmp_lg_u32 s27, 64
	v_mov_b32_e32 v11, v3
	v_addc_co_u32_e32 v3, vcc, 0, v15, vcc
	s_cselect_b64 s[6:7], -1, 0
	v_lshl_or_b32 v22, v61, 3, v65
	s_waitcnt lgkmcnt(0)
	v_mov_b32_e32 v12, v6
	v_mov_b32_e32 v13, v7
	;; [unrolled: 1-line block ×4, first 2 shown]
	s_mov_b32 s16, 0
	v_or_b32_e32 v20, 32, v22
	v_and_b32_e32 v18, 56, v64
	s_and_b64 vcc, exec, s[6:7]
	global_store_dwordx4 v[14:15], v[10:13], off
	global_store_dwordx4 v[2:3], v[6:9], off
	s_cbranch_vccz .LBB315_28
; %bb.23:
	s_mov_b32 s17, s16
	s_mov_b32 s18, s16
	;; [unrolled: 1-line block ×3, first 2 shown]
	v_mov_b64_e32 v[6:7], s[16:17]
	v_mov_b64_e32 v[8:9], s[18:19]
	;; [unrolled: 1-line block ×3, first 2 shown]
	v_cmp_gt_i32_e32 vcc, s27, v22
	v_mov_b64_e32 v[4:5], v[8:9]
	s_and_saveexec_b64 s[2:3], vcc
	s_cbranch_execz .LBB315_25
; %bb.24:
	v_lshlrev_b32_e32 v2, 8, v22
	v_mov_b32_e32 v3, 0
	v_lshl_add_u64 v[4:5], s[0:1], 0, v[2:3]
	v_lshlrev_b32_e32 v2, 1, v18
	v_lshl_add_u64 v[10:11], v[4:5], 0, v[2:3]
	global_load_dwordx4 v[6:9], v[10:11], off
	global_load_dwordx4 v[2:5], v[10:11], off offset:128
.LBB315_25:
	s_or_b64 exec, exec, s[2:3]
	s_mov_b32 s17, s16
	s_mov_b32 s18, s16
	;; [unrolled: 1-line block ×3, first 2 shown]
	v_mov_b64_e32 v[14:15], s[16:17]
	v_mov_b64_e32 v[16:17], s[18:19]
	;; [unrolled: 1-line block ×3, first 2 shown]
	v_cmp_gt_i32_e32 vcc, s27, v20
	v_lshlrev_b32_e32 v21, 7, v20
	v_mov_b64_e32 v[12:13], v[16:17]
	s_and_saveexec_b64 s[2:3], vcc
	s_cbranch_execz .LBB315_27
; %bb.26:
	v_lshlrev_b32_e32 v10, 1, v21
	v_mov_b32_e32 v11, 0
	v_lshl_add_u64 v[12:13], s[0:1], 0, v[10:11]
	v_lshlrev_b32_e32 v10, 1, v18
	v_lshl_add_u64 v[24:25], v[12:13], 0, v[10:11]
	global_load_dwordx4 v[14:17], v[24:25], off
	global_load_dwordx4 v[10:13], v[24:25], off offset:128
.LBB315_27:
	s_or_b64 exec, exec, s[2:3]
	v_lshrrev_b32_e32 v23, 3, v18
	v_lshlrev_b32_e32 v24, 3, v22
	v_or_b32_e32 v23, v24, v23
	v_lshlrev_b32_e32 v23, 4, v23
	v_and_b32_e32 v24, 0x78, v24
	v_xor_b32_e32 v23, v23, v24
	s_branch .LBB315_30
.LBB315_28:
                                        ; implicit-def: $vgpr23
                                        ; implicit-def: $vgpr21
                                        ; implicit-def: $vgpr6_vgpr7_vgpr8_vgpr9
                                        ; implicit-def: $vgpr2_vgpr3_vgpr4_vgpr5
                                        ; implicit-def: $vgpr14_vgpr15_vgpr16_vgpr17
                                        ; implicit-def: $vgpr10_vgpr11_vgpr12_vgpr13
	s_cbranch_execz .LBB315_30
; %bb.29:
	s_waitcnt vmcnt(0)
	v_lshlrev_b32_e32 v2, 1, v18
	v_lshl_or_b32 v21, v22, 8, v2
	s_and_b32 s1, s1, 0xffff
	s_mov_b32 s3, 0x20000
	s_movk_i32 s2, 0x4000
	v_lshl_or_b32 v23, v20, 8, v2
	s_movk_i32 s13, 0x80
	buffer_load_dwordx4 v[6:9], v21, s[0:3], 0 offen
	buffer_load_dwordx4 v[2:5], v21, s[0:3], s13 offen
	;; [unrolled: 1-line block ×4, first 2 shown]
	v_lshrrev_b32_e32 v21, 3, v18
	v_lshlrev_b32_e32 v23, 3, v22
	v_or_b32_e32 v21, v23, v21
	v_lshlrev_b32_e32 v21, 4, v21
	v_and_b32_e32 v23, 0x78, v23
	v_xor_b32_e32 v23, v21, v23
	v_lshlrev_b32_e32 v21, 7, v20
.LBB315_30:
	s_lshl_b64 s[0:1], s[24:25], 8
	s_add_u32 s4, s4, s0
	s_movk_i32 s0, 0x1000
	v_and_or_b32 v20, v21, s0, v23
	s_waitcnt vmcnt(1)
	ds_write_b64 v23, v[6:7] offset:24576
	v_xor_b32_e32 v6, 8, v23
	ds_write_b64 v6, v[8:9] offset:24576
	s_waitcnt vmcnt(0)
	ds_write_b64 v23, v[2:3] offset:32768
	ds_write_b64 v6, v[4:5] offset:32768
	;; [unrolled: 1-line block ×3, first 2 shown]
	v_xor_b32_e32 v2, 8, v20
	ds_write_b64 v2, v[16:17] offset:24576
	ds_write_b64 v20, v[10:11] offset:32768
	;; [unrolled: 1-line block ×3, first 2 shown]
	v_or_b32_e32 v2, v1, v63
	v_lshlrev_b32_e32 v3, 11, v61
	v_lshlrev_b32_e32 v2, 3, v2
	v_and_b32_e32 v6, 0x1000, v3
	v_lshrrev_b32_e32 v3, 5, v60
	s_movk_i32 s3, 0xf8
	v_and_or_b32 v3, v2, s3, v3
	v_lshlrev_b32_e32 v7, 4, v3
	v_and_b32_e32 v8, 0x78, v2
	v_or_b32_e32 v10, 32, v7
	v_lshrrev_b32_e32 v3, 1, v60
	v_xor_b32_e32 v10, v10, v8
	v_xor_b32_e32 v2, v7, v8
	v_and_b32_e32 v9, 8, v3
	v_or_b32_e32 v10, v10, v6
	v_or_b32_e32 v2, v2, v6
	v_xor_b32_e32 v25, v10, v9
	v_or_b32_e32 v10, 64, v7
	v_xor_b32_e32 v24, v2, v9
	v_xor_b32_e32 v10, v10, v8
	s_waitcnt lgkmcnt(0)
	s_barrier
	v_or_b32_e32 v12, v10, v6
	ds_read_b64 v[10:11], v24 offset:24576
	v_lshl_or_b32 v20, v62, 7, v34
	v_lshlrev_b32_e32 v23, 1, v20
	v_add_u32_e32 v2, 0xa000, v23
	ds_read2_b64 v[2:5], v2 offset1:16
	v_or_b32_e32 v7, 0x60, v7
	v_xor_b32_e32 v7, v7, v8
	s_waitcnt lgkmcnt(0)
	v_mfma_f32_16x16x16_bf16 a[0:3], v[10:11], v[2:3], 0
	v_or_b32_e32 v2, 64, v20
	v_or_b32_e32 v6, v7, v6
	v_lshlrev_b32_e32 v28, 1, v2
	v_xor_b32_e32 v26, v12, v9
	v_xor_b32_e32 v27, v6, v9
	ds_read_b64 v[12:13], v25 offset:24576
	ds_read_b64 v[14:15], v26 offset:24576
	;; [unrolled: 1-line block ×3, first 2 shown]
	v_mfma_f32_16x16x16_bf16 a[4:7], v[10:11], v[4:5], 0
	ds_read2st64_b64 v[2:5], v28 offset0:82 offset1:84
	ds_read2st64_b64 v[6:9], v23 offset0:82 offset1:84
	s_addc_u32 s5, s5, s1
	s_add_i32 s1, s44, s33
	s_add_i32 s0, s12, -1
	s_add_i32 s35, s1, s48
	s_add_i32 s1, s46, s45
	;; [unrolled: 1-line block ×3, first 2 shown]
	s_ashr_i32 s1, s0, 31
	s_mul_i32 s2, s0, s31
	s_mul_hi_u32 s3, s0, s30
	s_add_i32 s2, s3, s2
	s_mul_i32 s1, s1, s30
	s_waitcnt lgkmcnt(1)
	v_mfma_f32_16x16x16_bf16 a[4:7], v[12:13], v[2:3], a[4:7]
	s_add_i32 s1, s2, s1
	s_lshl_b64 s[2:3], s[34:35], 2
	s_add_u32 s10, s10, s2
	s_waitcnt lgkmcnt(0)
	v_mfma_f32_16x16x16_bf16 a[0:3], v[12:13], v[6:7], a[0:3]
	s_addc_u32 s11, s11, s3
	s_lshl_b64 s[2:3], s[36:37], 2
	s_mul_i32 s0, s0, s30
	s_add_u32 s10, s10, s2
	ds_read_b64 v[2:3], v23 offset:44032
	v_mfma_f32_16x16x16_bf16 a[4:7], v[14:15], v[4:5], a[4:7]
	ds_read_b64 v[4:5], v28 offset:44032
	s_addc_u32 s11, s11, s3
	s_lshl_b64 s[0:1], s[0:1], 2
	v_mfma_f32_16x16x16_bf16 a[0:3], v[14:15], v[8:9], a[0:3]
	s_add_u32 s0, s10, s0
	s_addc_u32 s1, s11, s1
	s_load_dword s12, s[0:1], 0x0
	s_waitcnt lgkmcnt(0)
	v_mfma_f32_16x16x16_bf16 a[0:3], v[16:17], v[2:3], a[0:3]
	s_and_b64 vcc, exec, s[22:23]
	v_mfma_f32_16x16x16_bf16 a[4:7], v[16:17], v[4:5], a[4:7]
	s_cbranch_vccz .LBB315_41
; %bb.31:
	v_lshlrev_b32_e32 v20, 1, v22
	s_and_b64 vcc, exec, s[6:7]
	s_cbranch_vccz .LBB315_42
; %bb.32:
	v_cmp_gt_i32_e32 vcc, s27, v20
	v_mov_b32_e32 v6, 0
	v_mov_b32_e32 v2, 0
	;; [unrolled: 1-line block ×5, first 2 shown]
	s_and_saveexec_b64 s[0:1], vcc
	s_cbranch_execz .LBB315_34
; %bb.33:
	v_mad_i64_i32 v[2:3], s[2:3], s15, v20, 0
	v_lshl_add_u64 v[2:3], v[2:3], 1, s[4:5]
	v_lshlrev_b32_e32 v4, 1, v18
	v_mov_b32_e32 v5, 0
	v_lshl_add_u64 v[2:3], v[2:3], 0, v[4:5]
	global_load_dwordx4 v[2:5], v[2:3], off
.LBB315_34:
	s_or_b64 exec, exec, s[0:1]
	v_or_b32_e32 v21, 1, v20
	v_cmp_gt_i32_e64 s[0:1], s27, v21
	v_mov_b32_e32 v7, 0
	v_mov_b32_e32 v8, 0
	;; [unrolled: 1-line block ×3, first 2 shown]
	s_and_saveexec_b64 s[2:3], s[0:1]
	s_cbranch_execz .LBB315_36
; %bb.35:
	v_mad_i64_i32 v[6:7], s[16:17], s15, v21, 0
	v_lshl_add_u64 v[6:7], v[6:7], 1, s[4:5]
	v_lshlrev_b32_e32 v8, 1, v18
	v_mov_b32_e32 v9, 0
	v_lshl_add_u64 v[6:7], v[6:7], 0, v[8:9]
	global_load_dwordx4 v[6:9], v[6:7], off
.LBB315_36:
	s_or_b64 exec, exec, s[2:3]
	v_mov_b32_e32 v17, 0
	v_mov_b32_e32 v10, 0
	;; [unrolled: 1-line block ×5, first 2 shown]
	s_and_saveexec_b64 s[2:3], vcc
	s_cbranch_execz .LBB315_38
; %bb.37:
	v_mad_i64_i32 v[10:11], s[16:17], s15, v20, 0
	v_lshl_add_u64 v[10:11], v[10:11], 1, s[4:5]
	v_lshlrev_b32_e32 v12, 1, v18
	v_mov_b32_e32 v13, 0
	v_lshl_add_u64 v[10:11], v[10:11], 0, v[12:13]
	global_load_dwordx4 v[10:13], v[10:11], off offset:128
.LBB315_38:
	s_or_b64 exec, exec, s[2:3]
	v_mov_b32_e32 v16, 0
	v_mov_b32_e32 v15, 0
	;; [unrolled: 1-line block ×3, first 2 shown]
	s_and_saveexec_b64 s[2:3], s[0:1]
	s_cbranch_execz .LBB315_40
; %bb.39:
	v_mad_i64_i32 v[14:15], s[0:1], s15, v21, 0
	v_lshl_add_u64 v[14:15], v[14:15], 1, s[4:5]
	v_lshlrev_b32_e32 v16, 1, v18
	v_mov_b32_e32 v17, 0
	v_lshl_add_u64 v[14:15], v[14:15], 0, v[16:17]
	global_load_dwordx4 v[14:17], v[14:15], off offset:128
.LBB315_40:
	s_or_b64 exec, exec, s[2:3]
	s_branch .LBB315_44
.LBB315_41:
                                        ; implicit-def: $vgpr5
                                        ; implicit-def: $vgpr9
                                        ; implicit-def: $vgpr13
                                        ; implicit-def: $vgpr17
	v_lshrrev_b32_e32 v29, 2, v60
	s_branch .LBB315_45
.LBB315_42:
                                        ; implicit-def: $vgpr5
                                        ; implicit-def: $vgpr9
                                        ; implicit-def: $vgpr13
                                        ; implicit-def: $vgpr17
	s_cbranch_execz .LBB315_44
; %bb.43:
	s_waitcnt vmcnt(0)
	v_mad_u64_u32 v[2:3], s[0:1], v20, s15, v[18:19]
	v_lshlrev_b32_e32 v20, 1, v2
	s_lshl_b32 s2, s15, 7
	s_and_b32 s1, s5, 0xffff
	s_mov_b32 s3, 0x20000
	s_mov_b32 s0, s4
	v_add_lshl_u32 v21, v2, s15, 1
	s_movk_i32 s13, 0x80
	buffer_load_dwordx4 v[2:5], v20, s[0:3], 0 offen
	buffer_load_dwordx4 v[10:13], v20, s[0:3], s13 offen
	;; [unrolled: 1-line block ×4, first 2 shown]
.LBB315_44:
	v_lshrrev_b32_e32 v29, 2, v60
	s_cbranch_execnz .LBB315_57
.LBB315_45:
	s_and_b64 vcc, exec, s[6:7]
	s_cbranch_vccz .LBB315_55
; %bb.46:
	s_waitcnt vmcnt(0)
	v_lshlrev_b32_e32 v7, 1, v22
	v_cmp_gt_i32_e32 vcc, s27, v7
	v_mov_b32_e32 v6, 0
	v_lshlrev_b32_e32 v14, 9, v22
	v_mov_b32_e32 v2, 0
	v_mov_b32_e32 v3, 0
	;; [unrolled: 1-line block ×4, first 2 shown]
	s_and_saveexec_b64 s[0:1], vcc
	s_cbranch_execz .LBB315_48
; %bb.47:
	v_mov_b32_e32 v15, 0
	v_lshl_add_u64 v[2:3], s[4:5], 0, v[14:15]
	v_lshlrev_b32_e32 v4, 1, v18
	v_mov_b32_e32 v5, v15
	v_lshl_add_u64 v[2:3], v[2:3], 0, v[4:5]
	global_load_dwordx4 v[2:5], v[2:3], off
.LBB315_48:
	s_or_b64 exec, exec, s[0:1]
	v_or_b32_e32 v7, 1, v7
	v_cmp_gt_i32_e64 s[0:1], s27, v7
	v_lshlrev_b32_e32 v20, 8, v7
	v_mov_b32_e32 v7, 0
	v_mov_b32_e32 v8, 0
	;; [unrolled: 1-line block ×3, first 2 shown]
	s_and_saveexec_b64 s[2:3], s[0:1]
	s_cbranch_execz .LBB315_50
; %bb.49:
	v_mov_b32_e32 v21, 0
	v_lshl_add_u64 v[6:7], s[4:5], 0, v[20:21]
	v_lshlrev_b32_e32 v8, 1, v18
	v_mov_b32_e32 v9, v21
	v_lshl_add_u64 v[6:7], v[6:7], 0, v[8:9]
	global_load_dwordx4 v[6:9], v[6:7], off
.LBB315_50:
	s_or_b64 exec, exec, s[2:3]
	v_mov_b32_e32 v17, 0
	v_mov_b32_e32 v10, 0
	;; [unrolled: 1-line block ×5, first 2 shown]
	s_and_saveexec_b64 s[2:3], vcc
	s_cbranch_execz .LBB315_52
; %bb.51:
	v_mov_b32_e32 v15, 0
	v_lshl_add_u64 v[10:11], s[4:5], 0, v[14:15]
	v_lshlrev_b32_e32 v14, 1, v18
	v_lshl_add_u64 v[10:11], v[10:11], 0, v[14:15]
	global_load_dwordx4 v[10:13], v[10:11], off offset:128
.LBB315_52:
	s_or_b64 exec, exec, s[2:3]
	v_mov_b32_e32 v16, 0
	v_mov_b32_e32 v15, 0
	;; [unrolled: 1-line block ×3, first 2 shown]
	s_and_saveexec_b64 s[2:3], s[0:1]
	s_cbranch_execz .LBB315_54
; %bb.53:
	v_mov_b32_e32 v21, 0
	v_lshl_add_u64 v[14:15], s[4:5], 0, v[20:21]
	v_lshlrev_b32_e32 v20, 1, v18
	v_lshl_add_u64 v[14:15], v[14:15], 0, v[20:21]
	global_load_dwordx4 v[14:17], v[14:15], off offset:128
.LBB315_54:
	s_or_b64 exec, exec, s[2:3]
	s_branch .LBB315_57
.LBB315_55:
                                        ; implicit-def: $vgpr5
                                        ; implicit-def: $vgpr9
                                        ; implicit-def: $vgpr13
                                        ; implicit-def: $vgpr17
	s_cbranch_execz .LBB315_57
; %bb.56:
	s_waitcnt vmcnt(0)
	v_lshlrev_b32_e32 v2, 1, v18
	v_lshl_or_b32 v18, v22, 9, v2
	s_and_b32 s5, s5, 0xffff
	s_mov_b32 s7, 0x20000
	s_movk_i32 s6, 0x4000
	s_movk_i32 s0, 0x80
	buffer_load_dwordx4 v[2:5], v18, s[4:7], 0 offen
	buffer_load_dwordx4 v[6:9], v18, s[4:7], 0 offen offset:256
	buffer_load_dwordx4 v[10:13], v18, s[4:7], s0 offen
	buffer_load_dwordx4 v[14:17], v18, s[4:7], s0 offen offset:256
.LBB315_57:
	ds_read_b64 v[20:21], v24 offset:32768
	v_add_u32_e32 v18, 0xb000, v23
	ds_read2_b64 v[30:33], v18 offset1:16
	ds_read_b64 v[36:37], v25 offset:32768
	ds_read_b64 v[38:39], v26 offset:32768
	;; [unrolled: 1-line block ×3, first 2 shown]
	v_and_b32_e32 v18, 6, v0
	v_xor_b32_e32 v22, v22, v18
	v_lshlrev_b32_e32 v22, 2, v22
	v_and_b32_e32 v0, 1, v0
	v_cmp_eq_u32_e32 vcc, 0, v0
	s_mov_b32 s0, 0x1000504
	s_waitcnt lgkmcnt(3)
	v_mfma_f32_16x16x16_bf16 a[0:3], v[20:21], v[30:31], a[0:3]
	s_mov_b32 s1, 0x3020706
	v_mfma_f32_16x16x16_bf16 a[4:7], v[20:21], v[32:33], a[4:7]
	ds_read2st64_b64 v[24:27], v23 offset0:90 offset1:92
	ds_read2st64_b64 v[30:33], v28 offset0:90 offset1:92
	s_waitcnt lgkmcnt(1)
	v_mfma_f32_16x16x16_bf16 a[0:3], v[36:37], v[24:25], a[0:3]
	ds_read_b64 v[20:21], v23 offset:48128
	ds_read_b64 v[24:25], v28 offset:48128
	v_xor_b32_e32 v23, 0x440, v22
	v_cndmask_b32_e32 v0, v23, v22, vcc
	s_waitcnt lgkmcnt(2)
	v_mfma_f32_16x16x16_bf16 a[4:7], v[36:37], v[30:31], a[4:7]
	v_lshl_or_b32 v0, v18, 10, v0
	s_waitcnt vmcnt(0)
	v_perm_b32 v18, v2, v6, s0
	v_perm_b32 v2, v2, v6, s1
	v_mfma_f32_16x16x16_bf16 a[0:3], v[38:39], v[26:27], a[0:3]
	v_perm_b32 v6, v10, v14, s1
	v_mfma_f32_16x16x16_bf16 a[8:11], v[38:39], v[32:33], a[4:7]
	s_waitcnt lgkmcnt(1)
	v_mfma_f32_16x16x16_bf16 a[4:7], v[40:41], v[20:21], a[0:3]
	v_perm_b32 v20, v10, v14, s0
	ds_write2st64_b32 v0, v18, v20 offset0:32 offset1:64
	v_xor_b32_e32 v18, 8, v0
	v_add_u32_e32 v10, 0x80, v18
	ds_write2st64_b32 v10, v2, v6 offset0:32 offset1:64
	v_xor_b32_e32 v2, 16, v0
	v_perm_b32 v6, v3, v7, s0
	v_perm_b32 v10, v11, v15, s0
	ds_write2st64_b32 v2, v6, v10 offset0:33 offset1:65
	v_xor_b32_e32 v2, 24, v0
	v_perm_b32 v3, v3, v7, s1
	v_perm_b32 v6, v11, v15, s1
	v_add_u32_e32 v2, 0x80, v2
	ds_write2st64_b32 v2, v3, v6 offset0:33 offset1:65
	v_xor_b32_e32 v2, 32, v0
	v_perm_b32 v3, v4, v8, s0
	v_perm_b32 v6, v12, v16, s0
	s_waitcnt lgkmcnt(4)
	v_mfma_f32_16x16x16_bf16 a[0:3], v[40:41], v[24:25], a[8:11]
	ds_write2st64_b32 v2, v3, v6 offset0:34 offset1:66
	v_xor_b32_e32 v2, 40, v0
	v_perm_b32 v3, v4, v8, s1
	v_perm_b32 v4, v12, v16, s1
	v_add_u32_e32 v2, 0x80, v2
	ds_write2st64_b32 v2, v3, v4 offset0:34 offset1:66
	v_xor_b32_e32 v2, 48, v0
	v_perm_b32 v3, v5, v9, s0
	v_perm_b32 v4, v13, v17, s0
	v_xor_b32_e32 v0, 56, v0
	v_and_or_b32 v21, v29, 12, v1
	ds_write2st64_b32 v2, v3, v4 offset0:35 offset1:67
	v_perm_b32 v2, v5, v9, s1
	v_perm_b32 v3, v13, v17, s1
	v_add_u32_e32 v0, 0x80, v0
	v_cmp_gt_i32_e32 vcc, s27, v21
	v_mov_b32_e32 v16, 0
	v_mov_b32_e32 v18, 0
	ds_write2st64_b32 v0, v2, v3 offset0:35 offset1:67
	s_and_saveexec_b64 s[0:1], vcc
	s_cbranch_execz .LBB315_59
; %bb.58:
	v_add_u32_e32 v0, s26, v21
	v_ashrrev_i32_e32 v1, 31, v0
	v_mul_lo_u32 v2, v1, s30
	v_mul_lo_u32 v3, v0, s31
	v_mad_u64_u32 v[0:1], s[2:3], v0, s30, 0
	v_add3_u32 v1, v1, v3, v2
	v_lshl_add_u64 v[0:1], v[0:1], 2, s[10:11]
	global_load_dword v0, v[0:1], off
	s_waitcnt vmcnt(0)
	v_sub_f32_e32 v0, s12, v0
	v_exp_f32_e32 v18, v0
.LBB315_59:
	s_or_b64 exec, exec, s[0:1]
	v_or_b32_e32 v10, 1, v21
	v_cmp_gt_i32_e64 s[2:3], s27, v10
	s_and_saveexec_b64 s[0:1], s[2:3]
	s_cbranch_execz .LBB315_61
; %bb.60:
	v_add_u32_e32 v0, s26, v10
	v_ashrrev_i32_e32 v1, 31, v0
	v_mul_lo_u32 v2, v1, s30
	v_mul_lo_u32 v3, v0, s31
	v_mad_u64_u32 v[0:1], s[4:5], v0, s30, 0
	v_add3_u32 v1, v1, v3, v2
	v_lshl_add_u64 v[0:1], v[0:1], 2, s[10:11]
	global_load_dword v0, v[0:1], off
	s_waitcnt vmcnt(0)
	v_sub_f32_e32 v0, s12, v0
	v_exp_f32_e32 v16, v0
.LBB315_61:
	s_or_b64 exec, exec, s[0:1]
	v_or_b32_e32 v12, 2, v21
	v_cmp_gt_i32_e64 s[0:1], s27, v12
	v_mov_b32_e32 v17, 0
	v_mov_b32_e32 v20, 0
	s_and_saveexec_b64 s[4:5], s[0:1]
	s_cbranch_execz .LBB315_63
; %bb.62:
	v_add_u32_e32 v0, s26, v12
	v_ashrrev_i32_e32 v1, 31, v0
	v_mul_lo_u32 v2, v1, s30
	v_mul_lo_u32 v3, v0, s31
	v_mad_u64_u32 v[0:1], s[6:7], v0, s30, 0
	v_add3_u32 v1, v1, v3, v2
	v_lshl_add_u64 v[0:1], v[0:1], 2, s[10:11]
	global_load_dword v0, v[0:1], off
	s_waitcnt vmcnt(0)
	v_sub_f32_e32 v0, s12, v0
	v_exp_f32_e32 v20, v0
.LBB315_63:
	s_or_b64 exec, exec, s[4:5]
	v_or_b32_e32 v14, 3, v21
	v_cmp_gt_i32_e64 s[4:5], s27, v14
	s_and_saveexec_b64 s[6:7], s[4:5]
	s_cbranch_execz .LBB315_65
; %bb.64:
	v_add_u32_e32 v0, s26, v14
	v_ashrrev_i32_e32 v1, 31, v0
	v_mul_lo_u32 v2, v1, s30
	v_mul_lo_u32 v3, v0, s31
	v_mad_u64_u32 v[0:1], s[14:15], v0, s30, 0
	v_add3_u32 v1, v1, v3, v2
	v_lshl_add_u64 v[0:1], v[0:1], 2, s[10:11]
	global_load_dword v0, v[0:1], off
	s_waitcnt vmcnt(0)
	v_sub_f32_e32 v0, s12, v0
	v_exp_f32_e32 v17, v0
.LBB315_65:
	s_or_b64 exec, exec, s[6:7]
	s_add_u32 s6, s8, s20
	s_addc_u32 s7, s9, s21
	s_add_u32 s8, s28, s20
	v_ashrrev_i32_e32 v51, 31, v50
	v_accvgpr_read_b32 v0, a4
	s_addc_u32 s9, s29, s21
	v_lshlrev_b64 v[4:5], 1, v[50:51]
	v_accvgpr_read_b32 v1, a5
	v_accvgpr_read_b32 v2, a6
	;; [unrolled: 1-line block ×3, first 2 shown]
	v_lshl_add_u64 v[6:7], s[6:7], 0, v[4:5]
	v_lshl_add_u64 v[4:5], s[8:9], 0, v[4:5]
	v_mov_b32_e32 v11, 0
	v_lshlrev_b32_e32 v8, 8, v21
	v_mov_b32_e32 v9, 0
	s_and_saveexec_b64 s[6:7], vcc
	s_cbranch_execz .LBB315_67
; %bb.66:
	v_mov_b32_e32 v9, 0
	v_lshl_add_u64 v[22:23], v[6:7], 0, v[8:9]
	global_load_ushort v13, v[22:23], off
	v_lshl_add_u64 v[22:23], v[4:5], 0, v[8:9]
	s_waitcnt vmcnt(0)
	v_lshlrev_b32_e32 v9, 16, v13
	v_sub_f32_e32 v0, v9, v0
	global_store_short_d16_hi v[22:23], v0, off
	v_mul_f32_e32 v0, v18, v0
	v_lshrrev_b32_e32 v9, 16, v0
.LBB315_67:
	s_or_b64 exec, exec, s[6:7]
	v_lshlrev_b32_e32 v10, 8, v10
	s_and_saveexec_b64 s[6:7], s[2:3]
	s_cbranch_execz .LBB315_69
; %bb.68:
	v_mov_b32_e32 v11, 0
	v_lshl_add_u64 v[22:23], v[6:7], 0, v[10:11]
	global_load_ushort v0, v[22:23], off
	v_lshl_add_u64 v[22:23], v[4:5], 0, v[10:11]
	s_waitcnt vmcnt(0)
	v_lshlrev_b32_e32 v0, 16, v0
	v_sub_f32_e32 v0, v0, v1
	global_store_short_d16_hi v[22:23], v0, off
	v_mul_f32_e32 v0, v16, v0
	v_lshrrev_b32_e32 v11, 16, v0
.LBB315_69:
	s_or_b64 exec, exec, s[6:7]
	v_mov_b32_e32 v15, 0
	v_lshlrev_b32_e32 v12, 8, v12
	v_mov_b32_e32 v13, 0
	s_and_saveexec_b64 s[6:7], s[0:1]
	s_cbranch_execz .LBB315_71
; %bb.70:
	v_mov_b32_e32 v13, 0
	v_lshl_add_u64 v[0:1], v[6:7], 0, v[12:13]
	global_load_ushort v22, v[0:1], off
	v_lshl_add_u64 v[0:1], v[4:5], 0, v[12:13]
	s_waitcnt vmcnt(0)
	v_lshlrev_b32_e32 v13, 16, v22
	v_sub_f32_e32 v2, v13, v2
	global_store_short_d16_hi v[0:1], v2, off
	v_mul_f32_e32 v0, v20, v2
	v_lshrrev_b32_e32 v13, 16, v0
.LBB315_71:
	s_or_b64 exec, exec, s[6:7]
	v_lshlrev_b32_e32 v14, 8, v14
	s_and_saveexec_b64 s[6:7], s[4:5]
	s_cbranch_execz .LBB315_73
; %bb.72:
	v_mov_b32_e32 v15, 0
	v_lshl_add_u64 v[0:1], v[6:7], 0, v[14:15]
	global_load_ushort v2, v[0:1], off
	v_lshl_add_u64 v[0:1], v[4:5], 0, v[14:15]
	s_waitcnt vmcnt(0)
	v_lshlrev_b32_e32 v2, 16, v2
	v_sub_f32_e32 v2, v2, v3
	global_store_short_d16_hi v[0:1], v2, off
	v_mul_f32_e32 v0, v17, v2
	v_lshrrev_b32_e32 v15, 16, v0
.LBB315_73:
	s_or_b64 exec, exec, s[6:7]
	v_lshlrev_b32_e32 v21, 5, v21
	s_mov_b32 s6, 0x5040100
	v_perm_b32 v22, v11, v9, s6
	v_or_b32_e32 v9, v21, v34
	v_accvgpr_read_b32 v0, a0
	v_perm_b32 v23, v15, v13, s6
	v_lshlrev_b32_e32 v9, 1, v9
	v_accvgpr_read_b32 v1, a1
	v_accvgpr_read_b32 v2, a2
	;; [unrolled: 1-line block ×3, first 2 shown]
	ds_write_b64 v9, v[22:23] offset:45056
	v_mov_b32_e32 v11, 0
	v_mov_b32_e32 v9, 0
	s_and_saveexec_b64 s[6:7], vcc
	s_cbranch_execz .LBB315_75
; %bb.74:
	v_mov_b32_e32 v9, 0
	v_lshl_add_u64 v[22:23], v[6:7], 0, v[8:9]
	global_load_ushort v13, v[22:23], off offset:32
	v_lshl_add_u64 v[8:9], v[4:5], 0, v[8:9]
	s_waitcnt vmcnt(0)
	v_lshlrev_b32_e32 v13, 16, v13
	v_sub_f32_e32 v0, v13, v0
	global_store_short_d16_hi v[8:9], v0, off offset:32
	v_mul_f32_e32 v0, v18, v0
	v_lshrrev_b32_e32 v9, 16, v0
.LBB315_75:
	s_or_b64 exec, exec, s[6:7]
	s_and_saveexec_b64 s[6:7], s[2:3]
	s_cbranch_execz .LBB315_77
; %bb.76:
	v_mov_b32_e32 v11, 0
	v_lshl_add_u64 v[22:23], v[6:7], 0, v[10:11]
	global_load_ushort v0, v[22:23], off offset:32
	v_lshl_add_u64 v[10:11], v[4:5], 0, v[10:11]
	s_waitcnt vmcnt(0)
	v_lshlrev_b32_e32 v0, 16, v0
	v_sub_f32_e32 v0, v0, v1
	global_store_short_d16_hi v[10:11], v0, off offset:32
	v_mul_f32_e32 v0, v16, v0
	v_lshrrev_b32_e32 v11, 16, v0
.LBB315_77:
	s_or_b64 exec, exec, s[6:7]
	v_mov_b32_e32 v0, 0
	v_mov_b32_e32 v1, 0
	s_and_saveexec_b64 s[2:3], s[0:1]
	s_cbranch_execz .LBB315_79
; %bb.78:
	v_mov_b32_e32 v13, 0
	v_lshl_add_u64 v[22:23], v[6:7], 0, v[12:13]
	global_load_ushort v1, v[22:23], off offset:32
	v_lshl_add_u64 v[12:13], v[4:5], 0, v[12:13]
	s_waitcnt vmcnt(0)
	v_lshlrev_b32_e32 v1, 16, v1
	v_sub_f32_e32 v1, v1, v2
	global_store_short_d16_hi v[12:13], v1, off offset:32
	v_mul_f32_e32 v1, v20, v1
	v_lshrrev_b32_e32 v1, 16, v1
.LBB315_79:
	s_or_b64 exec, exec, s[2:3]
	s_and_saveexec_b64 s[0:1], s[4:5]
	s_cbranch_execz .LBB315_81
; %bb.80:
	v_mov_b32_e32 v15, 0
	v_lshl_add_u64 v[6:7], v[6:7], 0, v[14:15]
	global_load_ushort v0, v[6:7], off offset:32
	v_lshl_add_u64 v[4:5], v[4:5], 0, v[14:15]
	s_waitcnt vmcnt(0)
	v_lshlrev_b32_e32 v0, 16, v0
	v_sub_f32_e32 v0, v0, v3
	global_store_short_d16_hi v[4:5], v0, off offset:32
	v_mul_f32_e32 v0, v17, v0
	v_lshrrev_b32_e32 v0, 16, v0
.LBB315_81:
	s_or_b64 exec, exec, s[0:1]
	s_mov_b32 s0, 0x5040100
	v_or_b32_e32 v2, v21, v19
	v_perm_b32 v1, v0, v1, s0
	v_perm_b32 v0, v11, v9, s0
	v_lshlrev_b32_e32 v2, 1, v2
	ds_write_b64 v2, v[0:1] offset:45056
	s_waitcnt lgkmcnt(0)
	s_barrier
.LBB315_82:
	s_endpgm
	.section	.rodata,"a",@progbits
	.p2align	6, 0x0
	.amdhsa_kernel _ZN12_GLOBAL__N_139chunk_gated_delta_rule_fwd_h_hip_kernelILi32ELb1ELb0ELb1ELb0ELb1ELb0ELb0ELb1EEEvPK12hip_bfloat16S3_S3_PKfS5_PKvPS1_S8_PvPKiSB_iiiiilll
		.amdhsa_group_segment_fixed_size 49152
		.amdhsa_private_segment_fixed_size 0
		.amdhsa_kernarg_size 136
		.amdhsa_user_sgpr_count 2
		.amdhsa_user_sgpr_dispatch_ptr 0
		.amdhsa_user_sgpr_queue_ptr 0
		.amdhsa_user_sgpr_kernarg_segment_ptr 1
		.amdhsa_user_sgpr_dispatch_id 0
		.amdhsa_user_sgpr_kernarg_preload_length 0
		.amdhsa_user_sgpr_kernarg_preload_offset 0
		.amdhsa_user_sgpr_private_segment_size 0
		.amdhsa_uses_dynamic_stack 0
		.amdhsa_enable_private_segment 0
		.amdhsa_system_sgpr_workgroup_id_x 1
		.amdhsa_system_sgpr_workgroup_id_y 1
		.amdhsa_system_sgpr_workgroup_id_z 0
		.amdhsa_system_sgpr_workgroup_info 0
		.amdhsa_system_vgpr_workitem_id 0
		.amdhsa_next_free_vgpr 148
		.amdhsa_next_free_sgpr 70
		.amdhsa_accum_offset 132
		.amdhsa_reserve_vcc 1
		.amdhsa_float_round_mode_32 0
		.amdhsa_float_round_mode_16_64 0
		.amdhsa_float_denorm_mode_32 3
		.amdhsa_float_denorm_mode_16_64 3
		.amdhsa_dx10_clamp 1
		.amdhsa_ieee_mode 1
		.amdhsa_fp16_overflow 0
		.amdhsa_tg_split 0
		.amdhsa_exception_fp_ieee_invalid_op 0
		.amdhsa_exception_fp_denorm_src 0
		.amdhsa_exception_fp_ieee_div_zero 0
		.amdhsa_exception_fp_ieee_overflow 0
		.amdhsa_exception_fp_ieee_underflow 0
		.amdhsa_exception_fp_ieee_inexact 0
		.amdhsa_exception_int_div_zero 0
	.end_amdhsa_kernel
	.section	.text._ZN12_GLOBAL__N_139chunk_gated_delta_rule_fwd_h_hip_kernelILi32ELb1ELb0ELb1ELb0ELb1ELb0ELb0ELb1EEEvPK12hip_bfloat16S3_S3_PKfS5_PKvPS1_S8_PvPKiSB_iiiiilll,"axG",@progbits,_ZN12_GLOBAL__N_139chunk_gated_delta_rule_fwd_h_hip_kernelILi32ELb1ELb0ELb1ELb0ELb1ELb0ELb0ELb1EEEvPK12hip_bfloat16S3_S3_PKfS5_PKvPS1_S8_PvPKiSB_iiiiilll,comdat
.Lfunc_end315:
	.size	_ZN12_GLOBAL__N_139chunk_gated_delta_rule_fwd_h_hip_kernelILi32ELb1ELb0ELb1ELb0ELb1ELb0ELb0ELb1EEEvPK12hip_bfloat16S3_S3_PKfS5_PKvPS1_S8_PvPKiSB_iiiiilll, .Lfunc_end315-_ZN12_GLOBAL__N_139chunk_gated_delta_rule_fwd_h_hip_kernelILi32ELb1ELb0ELb1ELb0ELb1ELb0ELb0ELb1EEEvPK12hip_bfloat16S3_S3_PKfS5_PKvPS1_S8_PvPKiSB_iiiiilll
                                        ; -- End function
	.section	.AMDGPU.csdata,"",@progbits
; Kernel info:
; codeLenInByte = 8764
; NumSgprs: 76
; NumVgprs: 132
; NumAgprs: 16
; TotalNumVgprs: 148
; ScratchSize: 0
; MemoryBound: 0
; FloatMode: 240
; IeeeMode: 1
; LDSByteSize: 49152 bytes/workgroup (compile time only)
; SGPRBlocks: 9
; VGPRBlocks: 18
; NumSGPRsForWavesPerEU: 76
; NumVGPRsForWavesPerEU: 148
; AccumOffset: 132
; Occupancy: 1
; WaveLimiterHint : 1
; COMPUTE_PGM_RSRC2:SCRATCH_EN: 0
; COMPUTE_PGM_RSRC2:USER_SGPR: 2
; COMPUTE_PGM_RSRC2:TRAP_HANDLER: 0
; COMPUTE_PGM_RSRC2:TGID_X_EN: 1
; COMPUTE_PGM_RSRC2:TGID_Y_EN: 1
; COMPUTE_PGM_RSRC2:TGID_Z_EN: 0
; COMPUTE_PGM_RSRC2:TIDIG_COMP_CNT: 0
; COMPUTE_PGM_RSRC3_GFX90A:ACCUM_OFFSET: 32
; COMPUTE_PGM_RSRC3_GFX90A:TG_SPLIT: 0
	.section	.text._ZN12_GLOBAL__N_139chunk_gated_delta_rule_fwd_h_hip_kernelILi32ELb1ELb0ELb0ELb0ELb1ELb0ELb0ELb1EEEvPK12hip_bfloat16S3_S3_PKfS5_PKvPS1_S8_PvPKiSB_iiiiilll,"axG",@progbits,_ZN12_GLOBAL__N_139chunk_gated_delta_rule_fwd_h_hip_kernelILi32ELb1ELb0ELb0ELb0ELb1ELb0ELb0ELb1EEEvPK12hip_bfloat16S3_S3_PKfS5_PKvPS1_S8_PvPKiSB_iiiiilll,comdat
	.globl	_ZN12_GLOBAL__N_139chunk_gated_delta_rule_fwd_h_hip_kernelILi32ELb1ELb0ELb0ELb0ELb1ELb0ELb0ELb1EEEvPK12hip_bfloat16S3_S3_PKfS5_PKvPS1_S8_PvPKiSB_iiiiilll ; -- Begin function _ZN12_GLOBAL__N_139chunk_gated_delta_rule_fwd_h_hip_kernelILi32ELb1ELb0ELb0ELb0ELb1ELb0ELb0ELb1EEEvPK12hip_bfloat16S3_S3_PKfS5_PKvPS1_S8_PvPKiSB_iiiiilll
	.p2align	8
	.type	_ZN12_GLOBAL__N_139chunk_gated_delta_rule_fwd_h_hip_kernelILi32ELb1ELb0ELb0ELb0ELb1ELb0ELb0ELb1EEEvPK12hip_bfloat16S3_S3_PKfS5_PKvPS1_S8_PvPKiSB_iiiiilll,@function
_ZN12_GLOBAL__N_139chunk_gated_delta_rule_fwd_h_hip_kernelILi32ELb1ELb0ELb0ELb0ELb1ELb0ELb0ELb1EEEvPK12hip_bfloat16S3_S3_PKfS5_PKvPS1_S8_PvPKiSB_iiiiilll: ; @_ZN12_GLOBAL__N_139chunk_gated_delta_rule_fwd_h_hip_kernelILi32ELb1ELb0ELb0ELb0ELb1ELb0ELb0ELb1EEEvPK12hip_bfloat16S3_S3_PKfS5_PKvPS1_S8_PvPKiSB_iiiiilll
; %bb.0:
	s_load_dwordx4 s[12:15], s[0:1], 0x5c
	s_load_dwordx4 s[16:19], s[0:1], 0x28
	s_abs_i32 s6, s3
	s_ashr_i32 s5, s3, 31
	v_and_b32_e32 v61, 15, v0
	s_waitcnt lgkmcnt(0)
	s_abs_i32 s4, s13
	v_cvt_f32_u32_e32 v1, s4
	s_sub_i32 s8, 0, s4
	s_ashr_i32 s7, s13, 31
	s_xor_b32 s5, s5, s7
	v_rcp_iflag_f32_e32 v1, v1
	v_lshrrev_b32_e32 v59, 6, v0
	v_bfe_u32 v60, v0, 4, 2
	v_mov_b32_e32 v7, 0
	v_mul_f32_e32 v1, 0x4f7ffffe, v1
	v_cvt_u32_f32_e32 v1, v1
	v_and_b32_e32 v58, 63, v0
	v_lshlrev_b32_e32 v62, 3, v0
	v_lshrrev_b32_e32 v63, 3, v58
	v_readfirstlane_b32 s9, v1
	s_mul_i32 s8, s8, s9
	s_mul_hi_u32 s8, s9, s8
	s_add_i32 s9, s9, s8
	s_mul_hi_u32 s8, s6, s9
	s_mul_i32 s9, s8, s4
	s_sub_i32 s6, s6, s9
	s_add_i32 s10, s8, 1
	s_sub_i32 s9, s6, s4
	s_cmp_ge_u32 s6, s4
	s_cselect_b32 s8, s10, s8
	s_cselect_b32 s6, s9, s6
	s_add_i32 s9, s8, 1
	s_cmp_ge_u32 s6, s4
	s_cselect_b32 s6, s9, s8
	s_xor_b32 s6, s6, s5
	s_sub_i32 s49, s6, s5
	s_mul_i32 s6, s49, s13
	s_sub_i32 s47, s3, s6
	s_abs_i32 s3, s14
	v_cvt_f32_u32_e32 v1, s3
	s_add_i32 s8, s12, 63
	s_ashr_i32 s9, s8, 31
	s_lshr_b32 s5, s9, 26
	v_rcp_iflag_f32_e32 v1, v1
	s_ashr_i32 s48, s12, 31
	s_add_i32 s8, s8, s5
	s_lshr_b32 s5, s48, 26
	v_mul_f32_e32 v1, 0x4f7ffffe, v1
	v_cvt_u32_f32_e32 v1, v1
	s_add_i32 s5, s12, s5
	s_ashr_i32 s52, s14, 31
	s_ashr_i32 s24, s8, 6
	;; [unrolled: 1-line block ×3, first 2 shown]
	s_xor_b32 s5, s7, s52
	s_sub_i32 s7, 0, s3
	v_readfirstlane_b32 s8, v1
	s_mul_i32 s7, s7, s8
	s_mul_hi_u32 s7, s8, s7
	s_add_i32 s8, s8, s7
	s_mul_hi_u32 s7, s4, s8
	s_mul_i32 s8, s7, s3
	s_sub_i32 s4, s4, s8
	s_lshl_b32 s2, s2, 5
	s_add_i32 s8, s7, 1
	s_sub_i32 s9, s4, s3
	s_cmp_ge_u32 s4, s3
	s_cselect_b32 s7, s8, s7
	s_cselect_b32 s4, s9, s4
	s_add_i32 s8, s7, 1
	s_cmp_ge_u32 s4, s3
	s_cselect_b32 s3, s8, s7
	s_xor_b32 s3, s3, s5
	s_sub_i32 s3, s3, s5
	s_abs_i32 s4, s3
	v_cvt_f32_u32_e32 v1, s4
	s_sub_i32 s7, 0, s4
	s_abs_i32 s5, s47
	s_xor_b32 s3, s47, s3
	v_rcp_iflag_f32_e32 v1, v1
	s_ashr_i32 s3, s3, 31
	v_or_b32_e32 v50, s2, v61
	v_lshlrev_b32_e32 v2, 7, v50
	v_mul_f32_e32 v1, 0x4f7ffffe, v1
	v_cvt_u32_f32_e32 v1, v1
	v_ashrrev_i32_e32 v3, 31, v2
	s_mul_i32 s54, s49, s24
	v_readfirstlane_b32 s8, v1
	s_mul_i32 s7, s7, s8
	s_mul_hi_u32 s7, s8, s7
	s_add_i32 s8, s8, s7
	s_mul_hi_u32 s7, s5, s8
	s_mul_i32 s8, s7, s4
	s_sub_i32 s5, s5, s8
	s_add_i32 s8, s7, 1
	s_sub_i32 s9, s5, s4
	s_cmp_ge_u32 s5, s4
	s_cselect_b32 s7, s8, s7
	s_cselect_b32 s5, s9, s5
	s_add_i32 s8, s7, 1
	s_cmp_ge_u32 s5, s4
	s_cselect_b32 s4, s8, s7
	s_xor_b32 s4, s4, s3
	s_sub_i32 s53, s4, s3
	s_ashr_i32 s3, s49, 31
	s_ashr_i32 s51, s47, 31
	s_mul_hi_i32 s4, s49, s13
	s_add_u32 s36, s6, s47
	s_addc_u32 s37, s4, s51
	s_lshl_b64 s[4:5], s[36:37], 15
	s_add_u32 s4, s16, s4
	s_addc_u32 s5, s17, s5
	v_lshlrev_b32_e32 v1, 4, v59
	v_lshl_add_u64 v[4:5], v[2:3], 1, s[4:5]
	v_or_b32_e32 v2, 0x800, v2
	v_lshl_or_b32 v64, v60, 2, v1
	v_ashrrev_i32_e32 v3, 31, v2
	v_lshlrev_b32_e32 v6, 1, v64
	v_lshl_add_u64 v[2:3], v[2:3], 1, s[4:5]
	v_lshl_add_u64 v[4:5], v[4:5], 0, v[6:7]
	;; [unrolled: 1-line block ×3, first 2 shown]
	global_load_dwordx2 v[8:9], v[4:5], off
	v_or_b32_e32 v65, 64, v64
	global_load_dwordx2 v[4:5], v[4:5], off offset:128
	s_nop 0
	global_load_dwordx2 v[6:7], v[2:3], off
	global_load_dwordx2 v[10:11], v[2:3], off offset:128
	s_load_dwordx8 s[4:11], s[0:1], 0x0
	s_load_dwordx2 s[28:29], s[0:1], 0x80
	s_load_dwordx4 s[20:23], s[0:1], 0x70
	s_mul_hi_u32 s55, s36, s12
	s_mul_i32 s16, s36, s12
	s_mul_i32 s37, s37, s12
	s_cmp_lt_i32 s12, 64
	s_waitcnt lgkmcnt(0)
	s_mul_i32 s33, s49, s21
	s_mul_hi_u32 s42, s49, s20
	s_mul_i32 s30, s49, s20
	s_mul_i32 s43, s47, s23
	s_mul_hi_u32 s44, s47, s22
	s_mul_i32 s46, s3, s20
	s_mul_i32 s45, s51, s22
	;; [unrolled: 1-line block ×3, first 2 shown]
	s_waitcnt vmcnt(3)
	v_and_b32_e32 v19, 0xffff0000, v8
	v_lshlrev_b32_e32 v18, 16, v8
	v_and_b32_e32 v21, 0xffff0000, v9
	v_lshlrev_b32_e32 v20, 16, v9
	s_waitcnt vmcnt(2)
	v_and_b32_e32 v23, 0xffff0000, v4
	v_lshlrev_b32_e32 v22, 16, v4
	v_and_b32_e32 v25, 0xffff0000, v5
	v_lshlrev_b32_e32 v24, 16, v5
	;; [unrolled: 5-line block ×4, first 2 shown]
	s_cbranch_scc1 .LBB316_17
; %bb.1:
	s_add_i32 s17, s55, s37
	s_lshl_b64 s[0:1], s[16:17], 8
	v_and_b32_e32 v67, 56, v62
	s_add_u32 s20, s6, s0
	v_lshl_or_b32 v66, v59, 3, v63
	v_lshlrev_b32_e32 v2, 1, v67
	s_addc_u32 s0, s7, s1
	v_lshl_or_b32 v68, v66, 8, v2
	s_and_b32 s21, s0, 0xffff
	s_mov_b32 s23, 0x20000
	s_movk_i32 s22, 0x4000
	s_movk_i32 s0, 0x80
	v_or_b32_e32 v69, 0x2000, v68
	buffer_load_dwordx4 v[4:7], v68, s[20:23], 0 offen
	buffer_load_dwordx4 v[8:11], v68, s[20:23], s0 offen
	;; [unrolled: 1-line block ×4, first 2 shown]
	v_lshlrev_b32_e32 v3, 3, v66
	v_and_or_b32 v17, v0, 7, v3
	v_and_b32_e32 v3, 0x78, v3
	v_lshlrev_b32_e32 v17, 4, v17
	v_xor_b32_e32 v70, v17, v3
	v_mul_lo_u32 v16, v66, s15
	v_or_b32_e32 v71, 0x1000, v70
	v_xor_b32_e32 v3, 8, v70
	s_cmpk_eq_i32 s15, 0x80
	s_mov_b32 s56, s14
	v_xor_b32_e32 v17, 8, v71
	s_cselect_b64 s[0:1], -1, 0
	s_cmpk_lg_i32 s15, 0x80
	s_waitcnt vmcnt(3)
	ds_write_b64 v70, v[4:5] offset:24576
	ds_write_b64 v3, v[6:7] offset:24576
	s_waitcnt vmcnt(2)
	ds_write_b64 v70, v[8:9] offset:32768
	ds_write_b64 v3, v[10:11] offset:32768
	;; [unrolled: 3-line block ×4, first 2 shown]
	v_lshl_add_u32 v3, v16, 1, v67
	s_cbranch_scc0 .LBB316_3
; %bb.2:
	v_lshlrev_b32_e32 v5, 1, v3
	v_add_lshl_u32 v4, v3, s15, 1
	s_lshl_b32 s22, s15, 7
	v_lshl_or_b32 v2, v66, 9, v2
	s_cbranch_execz .LBB316_4
	s_branch .LBB316_5
.LBB316_3:
                                        ; implicit-def: $vgpr4
                                        ; implicit-def: $vgpr5
                                        ; implicit-def: $sgpr22
	v_lshl_or_b32 v2, v66, 9, v2
.LBB316_4:
	v_or_b32_e32 v4, 0x100, v2
	s_movk_i32 s22, 0x4000
	v_mov_b32_e32 v5, v2
.LBB316_5:
	s_mul_hi_u32 s20, s14, s12
	s_mul_i32 s21, s52, s12
	s_add_i32 s20, s20, s21
	s_mul_i32 s21, s14, s12
	s_mul_i32 s23, s21, s3
	s_mul_hi_u32 s24, s21, s49
	s_add_i32 s23, s24, s23
	s_mul_i32 s20, s20, s49
	s_add_i32 s23, s23, s20
	s_mul_i32 s21, s21, s49
	s_ashr_i32 s57, s53, 31
	s_add_u32 s20, s21, s53
	s_addc_u32 s21, s23, s57
	s_lshl_b64 s[20:21], s[20:21], 8
	s_add_u32 s20, s4, s20
	s_addc_u32 s21, s5, s21
	s_and_b32 s21, s21, 0xffff
	s_mov_b32 s23, 0x20000
	s_movk_i32 s58, 0x80
	buffer_load_dwordx4 v[6:9], v5, s[20:23], 0 offen
	buffer_load_dwordx4 v[10:13], v5, s[20:23], s58 offen
	;; [unrolled: 1-line block ×4, first 2 shown]
	v_and_b32_e32 v4, 6, v0
	v_lshlrev_b32_e32 v39, 6, v64
	v_or_b32_e32 v41, 16, v61
	v_xor_b32_e32 v42, v66, v4
	v_and_b32_e32 v5, 1, v0
	v_lshl_or_b32 v45, v61, 3, v39
	v_lshl_or_b32 v39, v41, 3, v39
	v_lshlrev_b32_e32 v42, 2, v42
	s_mul_i32 s3, s3, s12
	s_mul_hi_u32 s20, s49, s12
	v_lshlrev_b32_e32 v38, 2, v61
	v_or_b32_e32 v74, 0xa000, v39
	v_or_b32_e32 v75, 0xb000, v39
	v_xor_b32_e32 v39, 0x440, v42
	v_cmp_eq_u32_e32 vcc, 0, v5
	v_xor_b32_e32 v43, v64, v38
	v_xor_b32_e32 v44, v65, v38
	v_cndmask_b32_e32 v5, v39, v42, vcc
	s_add_i32 s63, s20, s3
	s_add_i32 s3, s42, s33
	s_mov_b32 s60, 0x1000504
	v_lshlrev_b32_e32 v40, 8, v61
	v_lshlrev_b32_e32 v43, 1, v43
	;; [unrolled: 1-line block ×3, first 2 shown]
	v_lshl_or_b32 v4, v4, 10, v5
	s_add_i32 s31, s3, s46
	s_add_i32 s3, s44, s43
	s_mov_b32 s61, 0x3020706
	v_or_b32_e32 v72, 0xa000, v45
	v_or_b32_e32 v73, 0xb000, v45
	;; [unrolled: 1-line block ×4, first 2 shown]
	v_xor_b32_e32 v5, 8, v4
	v_xor_b32_e32 v40, 24, v4
	;; [unrolled: 1-line block ×4, first 2 shown]
	s_add_i32 s35, s3, s45
	s_lshl_b64 s[20:21], s[30:31], 2
	v_xor_b32_e32 v39, 16, v4
	v_xor_b32_e32 v42, 32, v4
	v_xor_b32_e32 v46, 48, v4
	v_add_u32_e32 v5, 0x80, v5
	v_add_u32_e32 v40, 0x80, v40
	;; [unrolled: 1-line block ×4, first 2 shown]
	s_add_u32 s3, s10, s20
	s_addc_u32 s22, s11, s21
	s_lshl_b64 s[20:21], s[34:35], 2
	s_add_u32 s38, s3, s20
	s_movk_i32 s3, 0xf8
	s_addc_u32 s39, s22, s21
	s_lshl_b32 s26, s15, 7
	s_movk_i32 s24, 0x100
	v_mov_b32_e32 v53, 0
	v_lshlrev_b32_e32 v52, 4, v61
	v_cmp_gt_u32_e32 vcc, s24, v0
	v_ashrrev_i32_e32 v51, 31, v50
	v_lshl_add_u64 v[54:55], v[50:51], 1, s[8:9]
	s_mov_b32 s59, 0
	s_mul_i32 s62, s49, s12
	s_movk_i32 s31, 0x1000
	s_movk_i32 s22, 0x4000
	s_mov_b32 s64, 0
	s_waitcnt vmcnt(1)
	v_perm_b32 v48, v6, v14, s60
	s_waitcnt vmcnt(0)
	v_perm_b32 v49, v10, v34, s60
	v_perm_b32 v6, v6, v14, s61
	;; [unrolled: 1-line block ×15, first 2 shown]
	ds_write2st64_b32 v4, v48, v49 offset0:32 offset1:64
	ds_write2st64_b32 v5, v6, v10 offset0:32 offset1:64
	;; [unrolled: 1-line block ×8, first 2 shown]
	v_lshlrev_b32_e32 v4, 8, v41
	v_or_b32_e32 v78, v4, v43
	v_or_b32_e32 v79, v4, v44
	;; [unrolled: 1-line block ×3, first 2 shown]
	v_lshlrev_b32_e32 v4, 3, v4
	v_lshrrev_b32_e32 v7, 5, v58
	v_and_or_b32 v7, v4, s3, v7
	v_lshlrev_b32_e32 v7, 4, v7
	v_lshlrev_b32_e32 v5, 11, v59
	v_and_b32_e32 v4, 0x78, v4
	v_or_b32_e32 v12, 32, v7
	v_and_b32_e32 v6, 0x1000, v5
	v_lshrrev_b32_e32 v9, 1, v0
	v_xor_b32_e32 v12, v12, v4
	v_and_b32_e32 v10, 8, v9
	v_or_b32_e32 v12, v12, v6
	v_xor_b32_e32 v8, v7, v4
	v_xor_b32_e32 v82, v12, v10
	v_or_b32_e32 v12, 64, v7
	v_or_b32_e32 v7, 0x60, v7
	s_ashr_i32 s3, s2, 31
	v_xor_b32_e32 v12, v12, v4
	v_xor_b32_e32 v4, v7, v4
	s_lshl_b64 s[20:21], s[2:3], 8
	v_or_b32_e32 v8, v8, v6
	v_or_b32_e32 v12, v12, v6
	;; [unrolled: 1-line block ×3, first 2 shown]
	s_add_u32 s20, s18, s20
	v_lshlrev_b32_e32 v6, 1, v61
	v_xor_b32_e32 v84, v12, v10
	v_lshrrev_b32_e32 v12, 4, v0
	s_addc_u32 s21, s19, s21
	v_or_b32_e32 v7, 1, v6
	v_mov_b32_e32 v16, 0x4000
	v_mov_b32_e32 v17, 0x2000
	v_xor_b32_e32 v13, v12, v6
	v_xor_b32_e32 v14, v7, v12
	v_lshl_add_u64 v[6:7], s[20:21], 0, v[52:53]
	v_lshlrev_b32_e32 v52, 8, v12
	v_cndmask_b32_e32 v16, v16, v17, vcc
	v_lshlrev_b32_e32 v17, 3, v59
	v_and_b32_e32 v9, 24, v9
	v_lshl_or_b32 v88, v13, 3, v52
	v_and_b32_e32 v13, 8, v0
	v_xor_b32_e32 v34, v17, v9
	v_or_b32_e32 v35, 0x440, v34
	v_cmp_eq_u32_e32 vcc, 0, v13
	v_and_b32_e32 v12, 7, v0
	v_xor_b32_e32 v80, v8, v10
	v_cndmask_b32_e32 v13, v35, v34, vcc
	v_lshlrev_b32_e32 v8, 7, v60
	v_lshl_or_b32 v89, v14, 3, v52
	v_lshlrev_b32_e32 v14, 3, v12
	v_lshlrev_b32_e32 v12, 7, v12
	;; [unrolled: 1-line block ×3, first 2 shown]
	v_or_b32_e32 v13, v13, v5
	v_or_b32_e32 v11, v8, v38
	v_xad_u32 v90, v13, v14, v12
	v_and_or_b32 v8, v15, 60, v8
	v_mov_b32_e32 v13, 0xb000
	v_lshl_or_b32 v91, v8, 1, v13
	v_or_b32_e32 v8, 32, v9
	v_xor_b32_e32 v8, v17, v8
	v_or_b32_e32 v13, 0x440, v8
	v_cndmask_b32_e32 v8, v13, v8, vcc
	v_or_b32_e32 v8, v8, v5
	v_xad_u32 v92, v8, v14, v12
	v_or_b32_e32 v8, 64, v9
	v_xor_b32_e32 v8, v17, v8
	v_xor_b32_e32 v13, 0x440, v8
	v_cndmask_b32_e32 v8, v13, v8, vcc
	v_or_b32_e32 v8, v8, v5
	v_xad_u32 v93, v8, v14, v12
	v_or_b32_e32 v8, 0x60, v9
	v_xor_b32_e32 v8, v17, v8
	v_xor_b32_e32 v9, 0x440, v8
	v_cndmask_b32_e32 v8, v9, v8, vcc
	v_lshlrev_b32_e32 v11, 1, v11
	v_or_b32_e32 v5, v8, v5
	v_or_b32_e32 v81, 0xa000, v11
	;; [unrolled: 1-line block ×3, first 2 shown]
	v_xor_b32_e32 v85, v4, v10
	v_or_b32_e32 v86, 0xb000, v11
	v_or_b32_e32 v87, 0xb080, v11
	v_lshlrev_b32_e32 v4, 7, v64
	v_lshlrev_b32_e32 v10, 1, v3
	v_add_lshl_u32 v3, v3, s15, 1
	v_or_b32_e32 v11, 0x100, v2
	v_xad_u32 v94, v5, v14, v12
	v_cndmask_b32_e64 v95, v10, v2, s[0:1]
	v_cndmask_b32_e64 v96, v3, v11, s[0:1]
	v_lshl_add_u64 v[56:57], v[6:7], 0, v[52:53]
	v_lshlrev_b32_e32 v52, 1, v4
	v_add_u32_e32 v51, v16, v90
	v_add_u32_e32 v97, v16, v92
	;; [unrolled: 1-line block ×4, first 2 shown]
	v_mov_b64_e32 v[2:3], v[18:19]
	s_mov_b32 s3, 0x7060302
	v_mov_b64_e32 v[4:5], v[20:21]
	v_mov_b64_e32 v[6:7], v[22:23]
	;; [unrolled: 1-line block ×7, first 2 shown]
	s_waitcnt lgkmcnt(0)
	s_barrier
	s_branch .LBB316_7
.LBB316_6:                              ;   in Loop: Header=BB316_7 Depth=1
	s_waitcnt vmcnt(2)
	v_exp_f32_e32 v34, s20
	v_accvgpr_read_b32 v21, a7
	v_accvgpr_read_b32 v19, a5
	;; [unrolled: 1-line block ×16, first 2 shown]
	v_fma_f32 v18, v2, v34, v18
	v_fma_f32 v19, v3, v34, v19
	v_fma_f32 v20, v4, v34, v20
	v_fmac_f32_e32 v21, v5, v34
	v_fma_f32 v26, v10, v34, v26
	v_fma_f32 v27, v11, v34, v27
	v_fma_f32 v28, v12, v34, v28
	v_fmac_f32_e32 v29, v13, v34
	;; [unrolled: 4-line block ×4, first 2 shown]
	s_add_i32 s59, s59, 64
	v_mov_b64_e32 v[2:3], v[18:19]
	s_cmp_eq_u32 s50, s35
	s_mov_b32 s64, s35
	v_mov_b64_e32 v[4:5], v[20:21]
	v_mov_b64_e32 v[6:7], v[22:23]
	;; [unrolled: 1-line block ×7, first 2 shown]
	s_cbranch_scc1 .LBB316_17
.LBB316_7:                              ; =>This Inner Loop Header: Depth=1
	s_add_i32 s35, s64, 1
	s_cmp_lt_i32 s35, s50
	s_mov_b64 s[24:25], 0
	s_cselect_b64 s[40:41], -1, 0
	s_cmp_ge_i32 s35, s50
	s_mov_b64 s[20:21], 0
	s_cbranch_scc1 .LBB316_9
; %bb.8:                                ;   in Loop: Header=BB316_7 Depth=1
	s_add_i32 s0, s59, 64
	s_add_u32 s0, s16, s0
	s_addc_u32 s1, s17, 0
	s_lshl_b64 s[0:1], s[0:1], 8
	s_add_u32 s20, s6, s0
	s_addc_u32 s21, s7, s1
.LBB316_9:                              ;   in Loop: Header=BB316_7 Depth=1
	v_cndmask_b32_e64 v18, 0, 1, s[40:41]
	v_cmp_ne_u32_e64 s[0:1], 1, v18
	s_andn2_b64 vcc, exec, s[40:41]
	s_cbranch_vccnz .LBB316_11
; %bb.10:                               ;   in Loop: Header=BB316_7 Depth=1
	s_add_i32 s24, s59, 64
	s_add_u32 s24, s62, s24
	s_addc_u32 s25, s63, 0
	s_mul_i32 s27, s24, s52
	s_mul_hi_u32 s40, s24, s56
	s_add_i32 s27, s40, s27
	s_mul_i32 s25, s25, s56
	s_add_i32 s27, s27, s25
	s_mul_i32 s24, s24, s56
	s_add_u32 s24, s24, s53
	s_addc_u32 s25, s27, s57
	s_lshl_b64 s[24:25], s[24:25], 8
	s_add_u32 s24, s4, s24
	s_addc_u32 s25, s5, s25
.LBB316_11:                             ;   in Loop: Header=BB316_7 Depth=1
	v_perm_b32 v19, v5, v4, s3
	v_perm_b32 v18, v3, v2, s3
	;; [unrolled: 1-line block ×4, first 2 shown]
	ds_write_b64 v72, v[18:19]
	ds_write_b64 v73, v[20:21]
	;; [unrolled: 1-line block ×4, first 2 shown]
	v_perm_b32 v19, v13, v12, s3
	v_perm_b32 v18, v11, v10, s3
	v_perm_b32 v21, v17, v16, s3
	v_perm_b32 v20, v15, v14, s3
	ds_write_b64 v74, v[18:19]
	ds_write_b64 v75, v[20:21]
	;; [unrolled: 1-line block ×4, first 2 shown]
	s_waitcnt lgkmcnt(0)
	s_barrier
	ds_read_b64 v[22:23], v80 offset:24576
	ds_read2_b64 v[18:21], v81 offset1:16
	ds_read_b64 v[26:27], v83 offset:3072
	ds_read_b64 v[28:29], v81 offset:3072
	;; [unrolled: 1-line block ×3, first 2 shown]
	s_waitcnt lgkmcnt(3)
	v_mfma_f32_16x16x16_bf16 a[0:3], v[22:23], v[18:19], 0
	s_add_i32 s27, s59, 63
	s_mul_i32 s40, s27, s29
	s_mul_hi_u32 s41, s27, s28
	v_mfma_f32_16x16x16_bf16 a[4:7], v[22:23], v[20:21], 0
	ds_read2st64_b64 v[18:21], v81 offset0:2 offset1:4
	ds_read2st64_b64 v[22:25], v83 offset0:2 offset1:4
	s_add_i32 s41, s41, s40
	s_waitcnt lgkmcnt(1)
	v_mfma_f32_16x16x16_bf16 a[0:3], v[30:31], v[18:19], a[0:3]
	s_mul_i32 s40, s27, s28
	s_lshl_b64 s[40:41], s[40:41], 2
	s_add_u32 s40, s38, s40
	s_waitcnt lgkmcnt(0)
	v_mfma_f32_16x16x16_bf16 a[4:7], v[30:31], v[22:23], a[4:7]
	ds_read_b64 v[18:19], v84 offset:24576
	ds_read_b64 v[22:23], v85 offset:24576
	s_addc_u32 s41, s39, s41
	s_and_b64 vcc, exec, s[0:1]
	s_waitcnt lgkmcnt(1)
	v_mfma_f32_16x16x16_bf16 a[0:3], v[18:19], v[20:21], a[0:3]
	v_mov_b32_e32 v102, 0
	v_mov_b32_e32 v101, 0
	;; [unrolled: 1-line block ×3, first 2 shown]
	v_mfma_f32_16x16x16_bf16 a[4:7], v[18:19], v[24:25], a[4:7]
	v_mov_b32_e32 v18, 0
	v_mov_b32_e32 v19, 0
	;; [unrolled: 1-line block ×3, first 2 shown]
	s_waitcnt lgkmcnt(0)
	v_mfma_f32_16x16x16_bf16 a[0:3], v[22:23], v[28:29], a[0:3]
	v_mov_b32_e32 v21, 0
	v_mov_b32_e32 v24, 0
	;; [unrolled: 1-line block ×3, first 2 shown]
	v_mfma_f32_16x16x16_bf16 a[4:7], v[22:23], v[26:27], a[4:7]
	v_mov_b32_e32 v22, 0
	v_mov_b32_e32 v23, 0
	;; [unrolled: 1-line block ×10, first 2 shown]
	s_cbranch_vccnz .LBB316_13
; %bb.12:                               ;   in Loop: Header=BB316_7 Depth=1
	s_and_b32 s21, s21, 0xffff
	buffer_load_dwordx4 v[30:33], v68, s[20:23], 0 offen
	buffer_load_dwordx4 v[26:29], v68, s[20:23], s58 offen
	;; [unrolled: 1-line block ×4, first 2 shown]
	v_mov_b32_e32 v101, v70
	v_mov_b32_e32 v100, v71
.LBB316_13:                             ;   in Loop: Header=BB316_7 Depth=1
	ds_read_b64 v[38:39], v80 offset:32768
	ds_read2_b64 v[34:37], v86 offset1:16
	ds_read_b64 v[42:43], v82 offset:32768
	ds_read_b64 v[44:45], v84 offset:32768
	;; [unrolled: 1-line block ×3, first 2 shown]
	v_add_u32_e32 v103, s59, v64
	s_waitcnt lgkmcnt(3)
	v_mfma_f32_16x16x16_bf16 a[0:3], v[38:39], v[34:35], a[0:3]
	v_mfma_f32_16x16x16_bf16 a[4:7], v[38:39], v[36:37], a[4:7]
	ds_read2st64_b64 v[34:37], v86 offset0:2 offset1:4
	ds_read2st64_b64 v[38:41], v87 offset0:2 offset1:4
	s_waitcnt lgkmcnt(1)
	v_mfma_f32_16x16x16_bf16 a[0:3], v[42:43], v[34:35], a[0:3]
	ds_read_b64 v[34:35], v86 offset:3072
	ds_read_b64 v[48:49], v87 offset:3072
	s_waitcnt lgkmcnt(2)
	v_mfma_f32_16x16x16_bf16 a[4:7], v[42:43], v[38:39], a[4:7]
	v_ashrrev_i32_e32 v38, 31, v103
	v_mul_lo_u32 v39, v103, s29
	v_mul_lo_u32 v38, v38, s28
	v_mfma_f32_16x16x16_bf16 a[0:3], v[44:45], v[36:37], a[0:3]
	v_mad_u64_u32 v[36:37], s[20:21], v103, s28, 0
	v_add3_u32 v37, v37, v39, v38
	v_lshl_add_u64 v[36:37], v[36:37], 2, s[38:39]
	global_load_dword v42, v[36:37], off
	v_add_u32_e32 v36, 1, v103
	v_ashrrev_i32_e32 v37, 31, v36
	s_waitcnt lgkmcnt(1)
	v_mfma_f32_16x16x16_bf16 a[0:3], v[46:47], v[34:35], a[0:3]
	v_mul_lo_u32 v37, v37, s28
	v_mul_lo_u32 v38, v36, s29
	v_mad_u64_u32 v[34:35], s[20:21], v36, s28, 0
	v_add_u32_e32 v36, 2, v103
	v_add3_u32 v35, v35, v38, v37
	v_ashrrev_i32_e32 v37, 31, v36
	v_mul_lo_u32 v38, v37, s28
	v_mul_lo_u32 v39, v36, s29
	v_mad_u64_u32 v[36:37], s[20:21], v36, s28, 0
	v_add3_u32 v37, v37, v39, v38
	v_add_u32_e32 v38, 3, v103
	v_ashrrev_i32_e32 v39, 31, v38
	v_mfma_f32_16x16x16_bf16 a[4:7], v[44:45], v[40:41], a[4:7]
	v_mul_lo_u32 v40, v39, s28
	v_mul_lo_u32 v41, v38, s29
	v_mad_u64_u32 v[38:39], s[20:21], v38, s28, 0
	s_add_u32 s20, s16, s59
	s_addc_u32 s21, s17, 0
	s_lshl_b64 s[20:21], s[20:21], 8
	v_add3_u32 v39, v39, v41, v40
	v_lshl_add_u64 v[40:41], v[54:55], 0, s[20:21]
	v_lshl_add_u64 v[34:35], v[34:35], 2, s[38:39]
	;; [unrolled: 1-line block ×4, first 2 shown]
	global_load_ushort v44, v[40:41], off
	global_load_ushort v43, v[40:41], off offset:256
	global_load_ushort v103, v[40:41], off offset:800
	;; [unrolled: 1-line block ×7, first 2 shown]
	v_lshl_add_u64 v[38:39], v[38:39], 2, s[38:39]
	global_load_dword v108, v[34:35], off
	global_load_dword v109, v[36:37], off
	;; [unrolled: 1-line block ×3, first 2 shown]
	s_load_dword s20, s[40:41], 0x0
	s_waitcnt lgkmcnt(0)
	v_mfma_f32_16x16x16_bf16 a[4:7], v[46:47], v[48:49], a[4:7]
	v_accvgpr_read_b32 v39, a1
	v_accvgpr_read_b32 v35, a3
	;; [unrolled: 1-line block ×4, first 2 shown]
	s_and_b64 vcc, exec, s[0:1]
	s_waitcnt vmcnt(11)
	v_sub_f32_e32 v48, s20, v42
	v_exp_f32_e32 v48, v48
	v_accvgpr_read_b32 v41, a5
	v_accvgpr_read_b32 v40, a4
	;; [unrolled: 1-line block ×4, first 2 shown]
	s_waitcnt vmcnt(10)
	v_lshlrev_b32_e32 v42, 16, v44
	s_waitcnt vmcnt(9)
	v_lshlrev_b32_e32 v43, 16, v43
	v_pk_add_f32 v[38:39], v[42:43], v[38:39] neg_lo:[0,1] neg_hi:[0,1]
	s_waitcnt vmcnt(7)
	v_lshlrev_b32_e32 v45, 16, v45
	v_mov_b32_e32 v42, 0
	s_waitcnt vmcnt(5)
	v_lshlrev_b32_e32 v44, 16, v104
	s_waitcnt vmcnt(4)
	v_lshlrev_b32_e32 v47, 16, v105
	s_waitcnt vmcnt(2)
	v_sub_f32_e32 v49, s20, v108
	s_waitcnt vmcnt(1)
	v_sub_f32_e32 v104, s20, v109
	;; [unrolled: 2-line block ×3, first 2 shown]
	v_exp_f32_e32 v49, v49
	v_exp_f32_e32 v104, v104
	;; [unrolled: 1-line block ×3, first 2 shown]
	v_pk_add_f32 v[34:35], v[44:45], v[34:35] neg_lo:[0,1] neg_hi:[0,1]
	v_lshlrev_b32_e32 v46, 16, v107
	v_pk_mul_f32 v[38:39], v[48:49], v[38:39]
	v_pk_mul_f32 v[34:35], v[104:105], v[34:35]
	v_mov_b32_e32 v43, 0
	v_perm_b32 v35, v35, v34, s3
	v_perm_b32 v34, v39, v38, s3
	v_pk_add_f32 v[38:39], v[46:47], v[40:41] neg_lo:[0,1] neg_hi:[0,1]
	v_lshlrev_b32_e32 v41, 16, v103
	v_lshlrev_b32_e32 v40, 16, v106
	v_pk_add_f32 v[36:37], v[40:41], v[36:37] neg_lo:[0,1] neg_hi:[0,1]
	v_pk_mul_f32 v[38:39], v[48:49], v[38:39]
	v_pk_mul_f32 v[36:37], v[104:105], v[36:37]
	v_mov_b32_e32 v103, 0
	v_perm_b32 v37, v37, v36, s3
	v_perm_b32 v36, v39, v38, s3
	ds_write2_b64 v73, v[34:35], v[36:37] offset1:16
	v_mov_b32_e32 v34, 0
	v_mov_b32_e32 v35, 0
	;; [unrolled: 1-line block ×14, first 2 shown]
	s_cbranch_vccnz .LBB316_15
; %bb.14:                               ;   in Loop: Header=BB316_7 Depth=1
	s_and_b32 s25, s25, 0xffff
	s_mov_b32 s27, s23
	buffer_load_dwordx4 v[46:49], v95, s[24:27], 0 offen
	buffer_load_dwordx4 v[38:41], v95, s[24:27], s58 offen
	;; [unrolled: 1-line block ×4, first 2 shown]
	v_mov_b32_e32 v102, v67
	v_mov_b32_e32 v103, v66
.LBB316_15:                             ;   in Loop: Header=BB316_7 Depth=1
	s_waitcnt lgkmcnt(0)
	s_barrier
	ds_read_b64 v[108:109], v51
	ds_read_b64 v[116:117], v91
	;; [unrolled: 1-line block ×5, first 2 shown]
	ds_read_b64 v[122:123], v92 offset:16384
	ds_read_b64 v[124:125], v90 offset:16384
	ds_read2_b64 v[104:107], v86 offset0:16 offset1:128
	s_waitcnt lgkmcnt(6)
	v_mfma_f32_16x16x16_bf16 a[0:3], v[108:109], v[116:117], 0
	ds_read_b64 v[126:127], v87 offset:3072
	ds_read_b64 v[128:129], v94 offset:16384
	s_add_i32 s21, s54, s64
	s_waitcnt lgkmcnt(2)
	v_mfma_f32_16x16x16_bf16 a[4:7], v[108:109], v[104:105], 0
	ds_read2st64_b64 v[108:111], v87 offset0:2 offset1:4
	s_mul_hi_i32 s25, s21, s13
	s_mul_i32 s21, s21, s13
	v_mfma_f32_16x16x16_bf16 a[0:3], v[112:113], v[106:107], a[0:3]
	s_add_u32 s24, s21, s47
	s_addc_u32 s25, s25, s51
	s_lshl_b64 s[24:25], s[24:25], 15
	s_waitcnt lgkmcnt(0)
	v_mfma_f32_16x16x16_bf16 a[4:7], v[112:113], v[108:109], a[4:7]
	ds_read2st64_b64 v[112:115], v86 offset0:4 offset1:6
	s_waitcnt lgkmcnt(0)
	v_mfma_f32_16x16x16_bf16 a[0:3], v[118:119], v[112:113], a[0:3]
	v_mfma_f32_16x16x16_bf16 a[8:11], v[118:119], v[110:111], a[4:7]
	;; [unrolled: 1-line block ×5, first 2 shown]
	ds_read2st64_b64 v[116:119], v89 offset1:8
	v_mfma_f32_16x16x16_bf16 a[12:15], v[124:125], v[104:105], 0
	ds_read_b64 v[124:125], v93 offset:16384
	v_mfma_f32_16x16x16_bf16 a[8:11], v[122:123], v[106:107], a[8:11]
	ds_read2st64_b64 v[104:107], v88 offset1:8
	s_waitcnt lgkmcnt(0)
	v_mov_b32_e32 v120, v104
	v_mfma_f32_16x16x16_bf16 a[12:15], v[122:123], v[108:109], a[12:15]
	v_lshl_add_u64 v[108:109], v[56:57], 0, s[24:25]
	v_add_co_u32_e32 v104, vcc, s31, v108
	v_mfma_f32_16x16x16_bf16 a[8:11], v[124:125], v[112:113], a[8:11]
	v_mov_b32_e32 v121, v105
	v_addc_co_u32_e32 v105, vcc, 0, v109, vcc
	v_mfma_f32_16x16x16_bf16 a[12:15], v[124:125], v[110:111], a[12:15]
	v_mov_b32_e32 v122, v116
	v_mov_b32_e32 v123, v117
	;; [unrolled: 1-line block ×3, first 2 shown]
	v_mfma_f32_16x16x16_bf16 a[8:11], v[128:129], v[114:115], a[8:11]
	v_mov_b32_e32 v117, v107
	s_and_b64 vcc, exec, s[0:1]
	global_store_dwordx4 v[108:109], v[120:123], off
	v_mfma_f32_16x16x16_bf16 a[12:15], v[128:129], v[126:127], a[12:15]
	global_store_dwordx4 v[104:105], v[116:119], off
	s_cbranch_vccnz .LBB316_6
; %bb.16:                               ;   in Loop: Header=BB316_7 Depth=1
	v_lshrrev_b32_e32 v104, 3, v102
	v_and_b32_e32 v104, 6, v104
	v_xor_b32_e32 v103, v104, v103
	v_lshlrev_b32_e32 v103, 2, v103
	v_and_b32_e32 v102, 8, v102
	v_xor_b32_e32 v105, 0x440, v103
	v_cmp_eq_u32_e32 vcc, 0, v102
	s_barrier
	s_nop 0
	v_cndmask_b32_e32 v102, v105, v103, vcc
	v_lshl_or_b32 v102, v104, 10, v102
	s_waitcnt vmcnt(3)
	v_perm_b32 v103, v46, v42, s60
	s_waitcnt vmcnt(2)
	v_perm_b32 v104, v38, v34, s60
	ds_write2st64_b32 v102, v103, v104 offset0:32 offset1:64
	v_xor_b32_e32 v103, 8, v102
	v_perm_b32 v42, v46, v42, s61
	v_perm_b32 v34, v38, v34, s61
	v_add_u32_e32 v38, 0x80, v103
	ds_write2st64_b32 v38, v42, v34 offset0:32 offset1:64
	v_xor_b32_e32 v34, 16, v102
	v_perm_b32 v38, v47, v43, s60
	v_perm_b32 v42, v39, v35, s60
	ds_write2st64_b32 v34, v38, v42 offset0:33 offset1:65
	v_xor_b32_e32 v34, 24, v102
	v_perm_b32 v38, v47, v43, s61
	v_perm_b32 v35, v39, v35, s61
	v_add_u32_e32 v34, 0x80, v34
	ds_write2st64_b32 v34, v38, v35 offset0:33 offset1:65
	v_xor_b32_e32 v34, 32, v102
	v_perm_b32 v35, v48, v44, s60
	;; [unrolled: 9-line block ×3, first 2 shown]
	v_perm_b32 v36, v41, v37, s60
	ds_write2st64_b32 v34, v35, v36 offset0:35 offset1:67
	v_xor_b32_e32 v34, 56, v102
	v_perm_b32 v35, v49, v45, s61
	v_perm_b32 v36, v41, v37, s61
	v_add_u32_e32 v34, 0x80, v34
	ds_write2st64_b32 v34, v35, v36 offset0:35 offset1:67
	ds_write_b64 v101, v[30:31] offset:24576
	v_xor_b32_e32 v30, 8, v101
	ds_write_b64 v30, v[32:33] offset:24576
	ds_write_b64 v101, v[26:27] offset:32768
	;; [unrolled: 1-line block ×4, first 2 shown]
	v_xor_b32_e32 v22, 8, v100
	ds_write_b64 v22, v[24:25] offset:24576
	ds_write_b64 v100, v[18:19] offset:32768
	;; [unrolled: 1-line block ×3, first 2 shown]
	s_branch .LBB316_6
.LBB316_17:
	s_lshl_b32 s26, s50, 6
	s_sub_i32 s27, s12, s26
	s_cmp_gt_i32 s27, 0
	s_cbranch_scc0 .LBB316_82
; %bb.18:
	s_ashr_i32 s3, s26, 31
	s_cmpk_lg_i32 s15, 0x80
	s_cselect_b64 s[22:23], -1, 0
	s_and_b64 vcc, exec, s[22:23]
	s_cbranch_vccz .LBB316_20
; %bb.19:
	s_mul_i32 s1, s49, s12
	s_mul_hi_i32 s0, s49, s12
	s_add_u32 s1, s1, s26
	s_addc_u32 s0, s0, s3
	s_mul_i32 s17, s1, s52
	s_mul_hi_u32 s20, s1, s14
	s_add_i32 s17, s20, s17
	s_mul_i32 s0, s0, s14
	s_add_i32 s17, s17, s0
	s_mul_i32 s1, s1, s14
	s_ashr_i32 s0, s53, 31
	s_add_u32 s24, s1, s53
	s_addc_u32 s25, s17, s0
	s_cbranch_execz .LBB316_21
	s_branch .LBB316_22
.LBB316_20:
                                        ; implicit-def: $sgpr24_sgpr25
.LBB316_21:
	s_mul_hi_i32 s0, s49, s14
	s_mul_i32 s49, s49, s14
	s_ashr_i32 s1, s53, 31
	s_add_u32 s14, s49, s53
	s_addc_u32 s0, s0, s1
	s_mul_i32 s1, s14, s48
	s_mul_hi_u32 s17, s14, s12
	s_add_i32 s1, s17, s1
	s_mul_i32 s0, s0, s12
	s_add_i32 s1, s1, s0
	s_mul_i32 s14, s14, s12
	s_add_u32 s24, s14, s26
	s_addc_u32 s25, s1, s3
.LBB316_22:
	s_mul_i32 s0, s36, s48
	s_add_i32 s0, s55, s0
	s_add_i32 s14, s54, s50
	;; [unrolled: 1-line block ×3, first 2 shown]
	s_add_u32 s0, s16, s26
	v_lshlrev_b32_e32 v6, 5, v64
	v_lshlrev_b32_e32 v34, 2, v61
	s_addc_u32 s1, s1, s3
	s_mov_b32 s3, 0x7060302
	v_or_b32_e32 v9, v6, v34
	v_xor_b32_e32 v7, v64, v34
	v_perm_b32 v3, v21, v20, s3
	v_perm_b32 v2, v19, v18, s3
	v_perm_b32 v5, v25, v24, s3
	v_perm_b32 v4, v23, v22, s3
	v_lshlrev_b32_e32 v9, 1, v9
	v_xor_b32_e32 v8, v65, v34
	ds_write2st64_b64 v9, v[2:3], v[4:5] offset0:80 offset1:88
	v_lshlrev_b32_e32 v7, 1, v7
	v_lshlrev_b32_e32 v9, 8, v61
	s_lshl_b64 s[20:21], s[0:1], 8
	v_or_b32_e32 v10, v7, v9
	v_lshlrev_b32_e32 v8, 1, v8
	s_add_u32 s0, s6, s20
	ds_write_b64 v10, v[2:3]
	v_or_b32_e32 v2, v8, v9
	s_addc_u32 s1, s7, s21
	ds_write_b64 v2, v[4:5]
	v_perm_b32 v3, v29, v28, s3
	v_perm_b32 v2, v27, v26, s3
	;; [unrolled: 1-line block ×4, first 2 shown]
	v_or_b32_e32 v9, 16, v61
	s_mul_hi_i32 s3, s14, s13
	s_mul_i32 s14, s14, s13
	v_lshlrev_b32_e32 v19, 2, v9
	s_add_u32 s6, s14, s47
	v_or_b32_e32 v6, v6, v19
	s_addc_u32 s7, s3, s51
	v_lshlrev_b32_e32 v6, 1, v6
	s_ashr_i32 s3, s2, 31
	s_lshl_b64 s[6:7], s[6:7], 15
	ds_write2st64_b64 v6, v[2:3], v[4:5] offset0:80 offset1:88
	v_lshlrev_b32_e32 v6, 8, v9
	s_add_u32 s6, s18, s6
	v_or_b32_e32 v7, v7, v6
	s_addc_u32 s7, s19, s7
	s_lshl_b64 s[2:3], s[2:3], 8
	ds_write_b64 v7, v[2:3]
	v_or_b32_e32 v2, v8, v6
	s_add_u32 s2, s6, s2
	ds_write_b64 v2, v[4:5]
	v_lshrrev_b32_e32 v2, 4, v0
	s_addc_u32 s3, s7, s3
	v_lshlrev_b32_e32 v3, 1, v61
	v_lshlrev_b32_e32 v10, 4, v61
	v_mov_b32_e32 v11, 0
	v_or_b32_e32 v4, 1, v3
	v_xor_b32_e32 v3, v2, v3
	v_lshl_add_u64 v[12:13], s[2:3], 0, v[10:11]
	v_lshlrev_b32_e32 v10, 8, v2
	v_xor_b32_e32 v6, v4, v2
	v_lshl_or_b32 v2, v3, 3, v10
	s_waitcnt lgkmcnt(0)
	s_barrier
	ds_read2st64_b64 v[2:5], v2 offset1:8
	v_lshl_or_b32 v6, v6, 3, v10
	ds_read2st64_b64 v[6:9], v6 offset1:8
	v_lshl_add_u64 v[14:15], v[12:13], 0, v[10:11]
	s_movk_i32 s2, 0x1000
	s_waitcnt lgkmcnt(1)
	v_mov_b32_e32 v10, v2
	v_add_co_u32_e32 v2, vcc, s2, v14
	s_cmp_lg_u32 s27, 64
	v_mov_b32_e32 v11, v3
	v_addc_co_u32_e32 v3, vcc, 0, v15, vcc
	s_cselect_b64 s[6:7], -1, 0
	v_lshl_or_b32 v22, v59, 3, v63
	s_waitcnt lgkmcnt(0)
	v_mov_b32_e32 v12, v6
	v_mov_b32_e32 v13, v7
	;; [unrolled: 1-line block ×4, first 2 shown]
	s_mov_b32 s16, 0
	v_or_b32_e32 v20, 32, v22
	v_and_b32_e32 v18, 56, v62
	s_and_b64 vcc, exec, s[6:7]
	global_store_dwordx4 v[14:15], v[10:13], off
	global_store_dwordx4 v[2:3], v[6:9], off
	s_cbranch_vccz .LBB316_28
; %bb.23:
	s_mov_b32 s17, s16
	s_mov_b32 s18, s16
	;; [unrolled: 1-line block ×3, first 2 shown]
	v_mov_b64_e32 v[6:7], s[16:17]
	v_mov_b64_e32 v[8:9], s[18:19]
	;; [unrolled: 1-line block ×3, first 2 shown]
	v_cmp_gt_i32_e32 vcc, s27, v22
	v_mov_b64_e32 v[4:5], v[8:9]
	s_and_saveexec_b64 s[2:3], vcc
	s_cbranch_execz .LBB316_25
; %bb.24:
	v_lshlrev_b32_e32 v2, 8, v22
	v_mov_b32_e32 v3, 0
	v_lshl_add_u64 v[4:5], s[0:1], 0, v[2:3]
	v_lshlrev_b32_e32 v2, 1, v18
	v_lshl_add_u64 v[10:11], v[4:5], 0, v[2:3]
	global_load_dwordx4 v[6:9], v[10:11], off
	global_load_dwordx4 v[2:5], v[10:11], off offset:128
.LBB316_25:
	s_or_b64 exec, exec, s[2:3]
	s_mov_b32 s17, s16
	s_mov_b32 s18, s16
	;; [unrolled: 1-line block ×3, first 2 shown]
	v_mov_b64_e32 v[14:15], s[16:17]
	v_mov_b64_e32 v[16:17], s[18:19]
	;; [unrolled: 1-line block ×3, first 2 shown]
	v_cmp_gt_i32_e32 vcc, s27, v20
	v_lshlrev_b32_e32 v21, 7, v20
	v_mov_b64_e32 v[12:13], v[16:17]
	s_and_saveexec_b64 s[2:3], vcc
	s_cbranch_execz .LBB316_27
; %bb.26:
	v_lshlrev_b32_e32 v10, 1, v21
	v_mov_b32_e32 v11, 0
	v_lshl_add_u64 v[12:13], s[0:1], 0, v[10:11]
	v_lshlrev_b32_e32 v10, 1, v18
	v_lshl_add_u64 v[24:25], v[12:13], 0, v[10:11]
	global_load_dwordx4 v[14:17], v[24:25], off
	global_load_dwordx4 v[10:13], v[24:25], off offset:128
.LBB316_27:
	s_or_b64 exec, exec, s[2:3]
	v_lshrrev_b32_e32 v23, 3, v18
	v_lshlrev_b32_e32 v24, 3, v22
	v_or_b32_e32 v23, v24, v23
	v_lshlrev_b32_e32 v23, 4, v23
	v_and_b32_e32 v24, 0x78, v24
	v_xor_b32_e32 v23, v23, v24
	s_branch .LBB316_30
.LBB316_28:
                                        ; implicit-def: $vgpr23
                                        ; implicit-def: $vgpr21
                                        ; implicit-def: $vgpr6_vgpr7_vgpr8_vgpr9
                                        ; implicit-def: $vgpr2_vgpr3_vgpr4_vgpr5
                                        ; implicit-def: $vgpr14_vgpr15_vgpr16_vgpr17
                                        ; implicit-def: $vgpr10_vgpr11_vgpr12_vgpr13
	s_cbranch_execz .LBB316_30
; %bb.29:
	s_waitcnt vmcnt(0)
	v_lshlrev_b32_e32 v2, 1, v18
	v_lshl_or_b32 v21, v22, 8, v2
	s_and_b32 s1, s1, 0xffff
	s_mov_b32 s3, 0x20000
	s_movk_i32 s2, 0x4000
	v_lshl_or_b32 v23, v20, 8, v2
	s_movk_i32 s13, 0x80
	buffer_load_dwordx4 v[6:9], v21, s[0:3], 0 offen
	buffer_load_dwordx4 v[2:5], v21, s[0:3], s13 offen
	;; [unrolled: 1-line block ×4, first 2 shown]
	v_lshrrev_b32_e32 v21, 3, v18
	v_lshlrev_b32_e32 v23, 3, v22
	v_or_b32_e32 v21, v23, v21
	v_lshlrev_b32_e32 v21, 4, v21
	v_and_b32_e32 v23, 0x78, v23
	v_xor_b32_e32 v23, v21, v23
	v_lshlrev_b32_e32 v21, 7, v20
.LBB316_30:
	s_lshl_b64 s[0:1], s[24:25], 8
	s_add_u32 s4, s4, s0
	s_movk_i32 s0, 0x1000
	v_and_or_b32 v20, v21, s0, v23
	s_waitcnt vmcnt(1)
	ds_write_b64 v23, v[6:7] offset:24576
	v_xor_b32_e32 v6, 8, v23
	ds_write_b64 v6, v[8:9] offset:24576
	s_waitcnt vmcnt(0)
	ds_write_b64 v23, v[2:3] offset:32768
	ds_write_b64 v6, v[4:5] offset:32768
	;; [unrolled: 1-line block ×3, first 2 shown]
	v_xor_b32_e32 v2, 8, v20
	ds_write_b64 v2, v[16:17] offset:24576
	ds_write_b64 v20, v[10:11] offset:32768
	;; [unrolled: 1-line block ×3, first 2 shown]
	v_or_b32_e32 v2, v1, v61
	v_lshlrev_b32_e32 v3, 11, v59
	v_lshlrev_b32_e32 v2, 3, v2
	v_and_b32_e32 v6, 0x1000, v3
	v_lshrrev_b32_e32 v3, 5, v58
	s_movk_i32 s3, 0xf8
	v_and_or_b32 v3, v2, s3, v3
	v_lshlrev_b32_e32 v7, 4, v3
	v_and_b32_e32 v8, 0x78, v2
	v_or_b32_e32 v10, 32, v7
	v_lshrrev_b32_e32 v3, 1, v58
	v_xor_b32_e32 v10, v10, v8
	v_xor_b32_e32 v2, v7, v8
	v_and_b32_e32 v9, 8, v3
	v_or_b32_e32 v10, v10, v6
	v_or_b32_e32 v2, v2, v6
	v_xor_b32_e32 v25, v10, v9
	v_or_b32_e32 v10, 64, v7
	v_xor_b32_e32 v24, v2, v9
	v_xor_b32_e32 v10, v10, v8
	s_waitcnt lgkmcnt(0)
	s_barrier
	v_or_b32_e32 v12, v10, v6
	ds_read_b64 v[10:11], v24 offset:24576
	v_lshl_or_b32 v20, v60, 7, v34
	v_lshlrev_b32_e32 v23, 1, v20
	v_add_u32_e32 v2, 0xa000, v23
	ds_read2_b64 v[2:5], v2 offset1:16
	v_or_b32_e32 v7, 0x60, v7
	v_xor_b32_e32 v7, v7, v8
	s_waitcnt lgkmcnt(0)
	v_mfma_f32_16x16x16_bf16 a[0:3], v[10:11], v[2:3], 0
	v_or_b32_e32 v2, 64, v20
	v_or_b32_e32 v6, v7, v6
	v_lshlrev_b32_e32 v28, 1, v2
	v_xor_b32_e32 v26, v12, v9
	v_xor_b32_e32 v27, v6, v9
	ds_read_b64 v[12:13], v25 offset:24576
	ds_read_b64 v[14:15], v26 offset:24576
	;; [unrolled: 1-line block ×3, first 2 shown]
	v_mfma_f32_16x16x16_bf16 a[4:7], v[10:11], v[4:5], 0
	ds_read2st64_b64 v[2:5], v28 offset0:82 offset1:84
	ds_read2st64_b64 v[6:9], v23 offset0:82 offset1:84
	s_addc_u32 s5, s5, s1
	s_add_i32 s1, s42, s33
	s_add_i32 s0, s12, -1
	s_add_i32 s31, s1, s46
	s_add_i32 s1, s44, s43
	;; [unrolled: 1-line block ×3, first 2 shown]
	s_ashr_i32 s1, s0, 31
	s_mul_i32 s2, s0, s29
	s_mul_hi_u32 s3, s0, s28
	s_add_i32 s2, s3, s2
	s_mul_i32 s1, s1, s28
	s_waitcnt lgkmcnt(1)
	v_mfma_f32_16x16x16_bf16 a[4:7], v[12:13], v[2:3], a[4:7]
	s_add_i32 s1, s2, s1
	s_lshl_b64 s[2:3], s[30:31], 2
	s_add_u32 s10, s10, s2
	s_waitcnt lgkmcnt(0)
	v_mfma_f32_16x16x16_bf16 a[0:3], v[12:13], v[6:7], a[0:3]
	s_addc_u32 s11, s11, s3
	s_lshl_b64 s[2:3], s[34:35], 2
	s_mul_i32 s0, s0, s28
	s_add_u32 s10, s10, s2
	ds_read_b64 v[2:3], v23 offset:44032
	v_mfma_f32_16x16x16_bf16 a[4:7], v[14:15], v[4:5], a[4:7]
	ds_read_b64 v[4:5], v28 offset:44032
	s_addc_u32 s11, s11, s3
	s_lshl_b64 s[0:1], s[0:1], 2
	v_mfma_f32_16x16x16_bf16 a[0:3], v[14:15], v[8:9], a[0:3]
	s_add_u32 s0, s10, s0
	s_addc_u32 s1, s11, s1
	s_load_dword s12, s[0:1], 0x0
	s_waitcnt lgkmcnt(0)
	v_mfma_f32_16x16x16_bf16 a[0:3], v[16:17], v[2:3], a[0:3]
	s_and_b64 vcc, exec, s[22:23]
	v_mfma_f32_16x16x16_bf16 a[4:7], v[16:17], v[4:5], a[4:7]
	s_cbranch_vccz .LBB316_41
; %bb.31:
	v_lshlrev_b32_e32 v20, 1, v22
	s_and_b64 vcc, exec, s[6:7]
	s_cbranch_vccz .LBB316_42
; %bb.32:
	v_cmp_gt_i32_e32 vcc, s27, v20
	v_mov_b32_e32 v6, 0
	v_mov_b32_e32 v2, 0
	;; [unrolled: 1-line block ×5, first 2 shown]
	s_and_saveexec_b64 s[0:1], vcc
	s_cbranch_execz .LBB316_34
; %bb.33:
	v_mad_i64_i32 v[2:3], s[2:3], s15, v20, 0
	v_lshl_add_u64 v[2:3], v[2:3], 1, s[4:5]
	v_lshlrev_b32_e32 v4, 1, v18
	v_mov_b32_e32 v5, 0
	v_lshl_add_u64 v[2:3], v[2:3], 0, v[4:5]
	global_load_dwordx4 v[2:5], v[2:3], off
.LBB316_34:
	s_or_b64 exec, exec, s[0:1]
	v_or_b32_e32 v21, 1, v20
	v_cmp_gt_i32_e64 s[0:1], s27, v21
	v_mov_b32_e32 v7, 0
	v_mov_b32_e32 v8, 0
	;; [unrolled: 1-line block ×3, first 2 shown]
	s_and_saveexec_b64 s[2:3], s[0:1]
	s_cbranch_execz .LBB316_36
; %bb.35:
	v_mad_i64_i32 v[6:7], s[16:17], s15, v21, 0
	v_lshl_add_u64 v[6:7], v[6:7], 1, s[4:5]
	v_lshlrev_b32_e32 v8, 1, v18
	v_mov_b32_e32 v9, 0
	v_lshl_add_u64 v[6:7], v[6:7], 0, v[8:9]
	global_load_dwordx4 v[6:9], v[6:7], off
.LBB316_36:
	s_or_b64 exec, exec, s[2:3]
	v_mov_b32_e32 v17, 0
	v_mov_b32_e32 v10, 0
	;; [unrolled: 1-line block ×5, first 2 shown]
	s_and_saveexec_b64 s[2:3], vcc
	s_cbranch_execz .LBB316_38
; %bb.37:
	v_mad_i64_i32 v[10:11], s[16:17], s15, v20, 0
	v_lshl_add_u64 v[10:11], v[10:11], 1, s[4:5]
	v_lshlrev_b32_e32 v12, 1, v18
	v_mov_b32_e32 v13, 0
	v_lshl_add_u64 v[10:11], v[10:11], 0, v[12:13]
	global_load_dwordx4 v[10:13], v[10:11], off offset:128
.LBB316_38:
	s_or_b64 exec, exec, s[2:3]
	v_mov_b32_e32 v16, 0
	v_mov_b32_e32 v15, 0
	;; [unrolled: 1-line block ×3, first 2 shown]
	s_and_saveexec_b64 s[2:3], s[0:1]
	s_cbranch_execz .LBB316_40
; %bb.39:
	v_mad_i64_i32 v[14:15], s[0:1], s15, v21, 0
	v_lshl_add_u64 v[14:15], v[14:15], 1, s[4:5]
	v_lshlrev_b32_e32 v16, 1, v18
	v_mov_b32_e32 v17, 0
	v_lshl_add_u64 v[14:15], v[14:15], 0, v[16:17]
	global_load_dwordx4 v[14:17], v[14:15], off offset:128
.LBB316_40:
	s_or_b64 exec, exec, s[2:3]
	s_branch .LBB316_44
.LBB316_41:
                                        ; implicit-def: $vgpr5
                                        ; implicit-def: $vgpr9
                                        ; implicit-def: $vgpr13
                                        ; implicit-def: $vgpr17
	v_lshrrev_b32_e32 v29, 2, v58
	s_branch .LBB316_45
.LBB316_42:
                                        ; implicit-def: $vgpr5
                                        ; implicit-def: $vgpr9
                                        ; implicit-def: $vgpr13
                                        ; implicit-def: $vgpr17
	s_cbranch_execz .LBB316_44
; %bb.43:
	s_waitcnt vmcnt(0)
	v_mad_u64_u32 v[2:3], s[0:1], v20, s15, v[18:19]
	v_lshlrev_b32_e32 v20, 1, v2
	s_lshl_b32 s2, s15, 7
	s_and_b32 s1, s5, 0xffff
	s_mov_b32 s3, 0x20000
	s_mov_b32 s0, s4
	v_add_lshl_u32 v21, v2, s15, 1
	s_movk_i32 s13, 0x80
	buffer_load_dwordx4 v[2:5], v20, s[0:3], 0 offen
	buffer_load_dwordx4 v[10:13], v20, s[0:3], s13 offen
	;; [unrolled: 1-line block ×4, first 2 shown]
.LBB316_44:
	v_lshrrev_b32_e32 v29, 2, v58
	s_cbranch_execnz .LBB316_57
.LBB316_45:
	s_and_b64 vcc, exec, s[6:7]
	s_cbranch_vccz .LBB316_55
; %bb.46:
	s_waitcnt vmcnt(0)
	v_lshlrev_b32_e32 v7, 1, v22
	v_cmp_gt_i32_e32 vcc, s27, v7
	v_mov_b32_e32 v6, 0
	v_lshlrev_b32_e32 v14, 9, v22
	v_mov_b32_e32 v2, 0
	v_mov_b32_e32 v3, 0
	;; [unrolled: 1-line block ×4, first 2 shown]
	s_and_saveexec_b64 s[0:1], vcc
	s_cbranch_execz .LBB316_48
; %bb.47:
	v_mov_b32_e32 v15, 0
	v_lshl_add_u64 v[2:3], s[4:5], 0, v[14:15]
	v_lshlrev_b32_e32 v4, 1, v18
	v_mov_b32_e32 v5, v15
	v_lshl_add_u64 v[2:3], v[2:3], 0, v[4:5]
	global_load_dwordx4 v[2:5], v[2:3], off
.LBB316_48:
	s_or_b64 exec, exec, s[0:1]
	v_or_b32_e32 v7, 1, v7
	v_cmp_gt_i32_e64 s[0:1], s27, v7
	v_lshlrev_b32_e32 v20, 8, v7
	v_mov_b32_e32 v7, 0
	v_mov_b32_e32 v8, 0
	;; [unrolled: 1-line block ×3, first 2 shown]
	s_and_saveexec_b64 s[2:3], s[0:1]
	s_cbranch_execz .LBB316_50
; %bb.49:
	v_mov_b32_e32 v21, 0
	v_lshl_add_u64 v[6:7], s[4:5], 0, v[20:21]
	v_lshlrev_b32_e32 v8, 1, v18
	v_mov_b32_e32 v9, v21
	v_lshl_add_u64 v[6:7], v[6:7], 0, v[8:9]
	global_load_dwordx4 v[6:9], v[6:7], off
.LBB316_50:
	s_or_b64 exec, exec, s[2:3]
	v_mov_b32_e32 v17, 0
	v_mov_b32_e32 v10, 0
	;; [unrolled: 1-line block ×5, first 2 shown]
	s_and_saveexec_b64 s[2:3], vcc
	s_cbranch_execz .LBB316_52
; %bb.51:
	v_mov_b32_e32 v15, 0
	v_lshl_add_u64 v[10:11], s[4:5], 0, v[14:15]
	v_lshlrev_b32_e32 v14, 1, v18
	v_lshl_add_u64 v[10:11], v[10:11], 0, v[14:15]
	global_load_dwordx4 v[10:13], v[10:11], off offset:128
.LBB316_52:
	s_or_b64 exec, exec, s[2:3]
	v_mov_b32_e32 v16, 0
	v_mov_b32_e32 v15, 0
	;; [unrolled: 1-line block ×3, first 2 shown]
	s_and_saveexec_b64 s[2:3], s[0:1]
	s_cbranch_execz .LBB316_54
; %bb.53:
	v_mov_b32_e32 v21, 0
	v_lshl_add_u64 v[14:15], s[4:5], 0, v[20:21]
	v_lshlrev_b32_e32 v20, 1, v18
	v_lshl_add_u64 v[14:15], v[14:15], 0, v[20:21]
	global_load_dwordx4 v[14:17], v[14:15], off offset:128
.LBB316_54:
	s_or_b64 exec, exec, s[2:3]
	s_branch .LBB316_57
.LBB316_55:
                                        ; implicit-def: $vgpr5
                                        ; implicit-def: $vgpr9
                                        ; implicit-def: $vgpr13
                                        ; implicit-def: $vgpr17
	s_cbranch_execz .LBB316_57
; %bb.56:
	s_waitcnt vmcnt(0)
	v_lshlrev_b32_e32 v2, 1, v18
	v_lshl_or_b32 v18, v22, 9, v2
	s_and_b32 s5, s5, 0xffff
	s_mov_b32 s7, 0x20000
	s_movk_i32 s6, 0x4000
	s_movk_i32 s0, 0x80
	buffer_load_dwordx4 v[2:5], v18, s[4:7], 0 offen
	buffer_load_dwordx4 v[6:9], v18, s[4:7], 0 offen offset:256
	buffer_load_dwordx4 v[10:13], v18, s[4:7], s0 offen
	buffer_load_dwordx4 v[14:17], v18, s[4:7], s0 offen offset:256
.LBB316_57:
	ds_read_b64 v[20:21], v24 offset:32768
	v_add_u32_e32 v18, 0xb000, v23
	ds_read2_b64 v[30:33], v18 offset1:16
	ds_read_b64 v[36:37], v25 offset:32768
	ds_read_b64 v[38:39], v26 offset:32768
	;; [unrolled: 1-line block ×3, first 2 shown]
	v_and_b32_e32 v18, 6, v0
	v_xor_b32_e32 v22, v22, v18
	v_lshlrev_b32_e32 v22, 2, v22
	v_and_b32_e32 v0, 1, v0
	v_cmp_eq_u32_e32 vcc, 0, v0
	s_mov_b32 s0, 0x1000504
	s_waitcnt lgkmcnt(3)
	v_mfma_f32_16x16x16_bf16 a[0:3], v[20:21], v[30:31], a[0:3]
	s_mov_b32 s1, 0x3020706
	v_mfma_f32_16x16x16_bf16 a[4:7], v[20:21], v[32:33], a[4:7]
	ds_read2st64_b64 v[24:27], v23 offset0:90 offset1:92
	ds_read2st64_b64 v[30:33], v28 offset0:90 offset1:92
	s_waitcnt lgkmcnt(1)
	v_mfma_f32_16x16x16_bf16 a[0:3], v[36:37], v[24:25], a[0:3]
	ds_read_b64 v[20:21], v23 offset:48128
	ds_read_b64 v[24:25], v28 offset:48128
	v_xor_b32_e32 v23, 0x440, v22
	v_cndmask_b32_e32 v0, v23, v22, vcc
	s_waitcnt lgkmcnt(2)
	v_mfma_f32_16x16x16_bf16 a[4:7], v[36:37], v[30:31], a[4:7]
	v_lshl_or_b32 v0, v18, 10, v0
	s_waitcnt vmcnt(0)
	v_perm_b32 v18, v2, v6, s0
	v_perm_b32 v2, v2, v6, s1
	v_mfma_f32_16x16x16_bf16 a[0:3], v[38:39], v[26:27], a[0:3]
	v_perm_b32 v6, v10, v14, s1
	v_mfma_f32_16x16x16_bf16 a[8:11], v[38:39], v[32:33], a[4:7]
	s_waitcnt lgkmcnt(1)
	v_mfma_f32_16x16x16_bf16 a[4:7], v[40:41], v[20:21], a[0:3]
	v_perm_b32 v20, v10, v14, s0
	ds_write2st64_b32 v0, v18, v20 offset0:32 offset1:64
	v_xor_b32_e32 v18, 8, v0
	v_add_u32_e32 v10, 0x80, v18
	ds_write2st64_b32 v10, v2, v6 offset0:32 offset1:64
	v_xor_b32_e32 v2, 16, v0
	v_perm_b32 v6, v3, v7, s0
	v_perm_b32 v10, v11, v15, s0
	ds_write2st64_b32 v2, v6, v10 offset0:33 offset1:65
	v_xor_b32_e32 v2, 24, v0
	v_perm_b32 v3, v3, v7, s1
	v_perm_b32 v6, v11, v15, s1
	v_add_u32_e32 v2, 0x80, v2
	ds_write2st64_b32 v2, v3, v6 offset0:33 offset1:65
	v_xor_b32_e32 v2, 32, v0
	v_perm_b32 v3, v4, v8, s0
	v_perm_b32 v6, v12, v16, s0
	s_waitcnt lgkmcnt(4)
	v_mfma_f32_16x16x16_bf16 a[0:3], v[40:41], v[24:25], a[8:11]
	ds_write2st64_b32 v2, v3, v6 offset0:34 offset1:66
	v_xor_b32_e32 v2, 40, v0
	v_perm_b32 v3, v4, v8, s1
	v_perm_b32 v4, v12, v16, s1
	v_add_u32_e32 v2, 0x80, v2
	ds_write2st64_b32 v2, v3, v4 offset0:34 offset1:66
	v_xor_b32_e32 v2, 48, v0
	v_perm_b32 v3, v5, v9, s0
	v_perm_b32 v4, v13, v17, s0
	v_xor_b32_e32 v0, 56, v0
	v_and_or_b32 v18, v29, 12, v1
	ds_write2st64_b32 v2, v3, v4 offset0:35 offset1:67
	v_perm_b32 v2, v5, v9, s1
	v_perm_b32 v3, v13, v17, s1
	v_add_u32_e32 v0, 0x80, v0
	v_cmp_gt_i32_e32 vcc, s27, v18
	v_mov_b32_e32 v14, 0
	v_mov_b32_e32 v16, 0
	ds_write2st64_b32 v0, v2, v3 offset0:35 offset1:67
	s_and_saveexec_b64 s[0:1], vcc
	s_cbranch_execz .LBB316_59
; %bb.58:
	v_add_u32_e32 v0, s26, v18
	v_ashrrev_i32_e32 v1, 31, v0
	v_mul_lo_u32 v2, v1, s28
	v_mul_lo_u32 v3, v0, s29
	v_mad_u64_u32 v[0:1], s[2:3], v0, s28, 0
	v_add3_u32 v1, v1, v3, v2
	v_lshl_add_u64 v[0:1], v[0:1], 2, s[10:11]
	global_load_dword v0, v[0:1], off
	s_waitcnt vmcnt(0)
	v_sub_f32_e32 v0, s12, v0
	v_exp_f32_e32 v16, v0
.LBB316_59:
	s_or_b64 exec, exec, s[0:1]
	v_or_b32_e32 v8, 1, v18
	v_cmp_gt_i32_e64 s[0:1], s27, v8
	s_and_saveexec_b64 s[2:3], s[0:1]
	s_cbranch_execz .LBB316_61
; %bb.60:
	v_add_u32_e32 v0, s26, v8
	v_ashrrev_i32_e32 v1, 31, v0
	v_mul_lo_u32 v2, v1, s28
	v_mul_lo_u32 v3, v0, s29
	v_mad_u64_u32 v[0:1], s[4:5], v0, s28, 0
	v_add3_u32 v1, v1, v3, v2
	v_lshl_add_u64 v[0:1], v[0:1], 2, s[10:11]
	global_load_dword v0, v[0:1], off
	s_waitcnt vmcnt(0)
	v_sub_f32_e32 v0, s12, v0
	v_exp_f32_e32 v14, v0
.LBB316_61:
	s_or_b64 exec, exec, s[2:3]
	v_or_b32_e32 v10, 2, v18
	v_cmp_gt_i32_e64 s[2:3], s27, v10
	v_mov_b32_e32 v15, 0
	v_mov_b32_e32 v17, 0
	s_and_saveexec_b64 s[4:5], s[2:3]
	s_cbranch_execz .LBB316_63
; %bb.62:
	v_add_u32_e32 v0, s26, v10
	v_ashrrev_i32_e32 v1, 31, v0
	v_mul_lo_u32 v2, v1, s28
	v_mul_lo_u32 v3, v0, s29
	v_mad_u64_u32 v[0:1], s[6:7], v0, s28, 0
	v_add3_u32 v1, v1, v3, v2
	v_lshl_add_u64 v[0:1], v[0:1], 2, s[10:11]
	global_load_dword v0, v[0:1], off
	s_waitcnt vmcnt(0)
	v_sub_f32_e32 v0, s12, v0
	v_exp_f32_e32 v17, v0
.LBB316_63:
	s_or_b64 exec, exec, s[4:5]
	v_or_b32_e32 v12, 3, v18
	v_cmp_gt_i32_e64 s[4:5], s27, v12
	s_and_saveexec_b64 s[6:7], s[4:5]
	s_cbranch_execz .LBB316_65
; %bb.64:
	v_add_u32_e32 v0, s26, v12
	v_ashrrev_i32_e32 v1, 31, v0
	v_mul_lo_u32 v2, v1, s28
	v_mul_lo_u32 v3, v0, s29
	v_mad_u64_u32 v[0:1], s[14:15], v0, s28, 0
	v_add3_u32 v1, v1, v3, v2
	v_lshl_add_u64 v[0:1], v[0:1], 2, s[10:11]
	global_load_dword v0, v[0:1], off
	s_waitcnt vmcnt(0)
	v_sub_f32_e32 v0, s12, v0
	v_exp_f32_e32 v15, v0
.LBB316_65:
	s_or_b64 exec, exec, s[6:7]
	s_add_u32 s6, s8, s20
	v_accvgpr_read_b32 v0, a4
	s_addc_u32 s7, s9, s21
	v_ashrrev_i32_e32 v51, 31, v50
	v_accvgpr_read_b32 v1, a5
	v_accvgpr_read_b32 v2, a6
	;; [unrolled: 1-line block ×3, first 2 shown]
	v_lshl_add_u64 v[4:5], v[50:51], 1, s[6:7]
	v_mov_b32_e32 v9, 0
	v_lshlrev_b32_e32 v6, 8, v18
	v_mov_b32_e32 v7, 0
	s_and_saveexec_b64 s[6:7], vcc
	s_cbranch_execz .LBB316_67
; %bb.66:
	v_mov_b32_e32 v7, 0
	v_lshl_add_u64 v[20:21], v[4:5], 0, v[6:7]
	global_load_ushort v7, v[20:21], off
	s_waitcnt vmcnt(0)
	v_lshlrev_b32_e32 v7, 16, v7
	v_sub_f32_e32 v0, v7, v0
	v_mul_f32_e32 v0, v16, v0
	v_lshrrev_b32_e32 v7, 16, v0
.LBB316_67:
	s_or_b64 exec, exec, s[6:7]
	v_lshlrev_b32_e32 v8, 8, v8
	s_and_saveexec_b64 s[6:7], s[0:1]
	s_cbranch_execz .LBB316_69
; %bb.68:
	v_mov_b32_e32 v9, 0
	v_lshl_add_u64 v[20:21], v[4:5], 0, v[8:9]
	global_load_ushort v0, v[20:21], off
	s_waitcnt vmcnt(0)
	v_lshlrev_b32_e32 v0, 16, v0
	v_sub_f32_e32 v0, v0, v1
	v_mul_f32_e32 v0, v14, v0
	v_lshrrev_b32_e32 v9, 16, v0
.LBB316_69:
	s_or_b64 exec, exec, s[6:7]
	v_mov_b32_e32 v13, 0
	v_lshlrev_b32_e32 v10, 8, v10
	v_mov_b32_e32 v11, 0
	s_and_saveexec_b64 s[6:7], s[2:3]
	s_cbranch_execz .LBB316_71
; %bb.70:
	v_mov_b32_e32 v11, 0
	v_lshl_add_u64 v[0:1], v[4:5], 0, v[10:11]
	global_load_ushort v0, v[0:1], off
	s_waitcnt vmcnt(0)
	v_lshlrev_b32_e32 v0, 16, v0
	v_sub_f32_e32 v0, v0, v2
	v_mul_f32_e32 v0, v17, v0
	v_lshrrev_b32_e32 v11, 16, v0
.LBB316_71:
	s_or_b64 exec, exec, s[6:7]
	v_lshlrev_b32_e32 v12, 8, v12
	s_and_saveexec_b64 s[6:7], s[4:5]
	s_cbranch_execz .LBB316_73
; %bb.72:
	v_mov_b32_e32 v13, 0
	v_lshl_add_u64 v[0:1], v[4:5], 0, v[12:13]
	global_load_ushort v0, v[0:1], off
	s_waitcnt vmcnt(0)
	v_lshlrev_b32_e32 v0, 16, v0
	v_sub_f32_e32 v0, v0, v3
	v_mul_f32_e32 v0, v15, v0
	v_lshrrev_b32_e32 v13, 16, v0
.LBB316_73:
	s_or_b64 exec, exec, s[6:7]
	v_lshlrev_b32_e32 v18, 5, v18
	s_mov_b32 s6, 0x5040100
	v_perm_b32 v20, v9, v7, s6
	v_or_b32_e32 v7, v18, v34
	v_accvgpr_read_b32 v0, a0
	v_perm_b32 v21, v13, v11, s6
	v_lshlrev_b32_e32 v7, 1, v7
	v_accvgpr_read_b32 v1, a1
	v_accvgpr_read_b32 v2, a2
	;; [unrolled: 1-line block ×3, first 2 shown]
	ds_write_b64 v7, v[20:21] offset:45056
	v_mov_b32_e32 v9, 0
	v_mov_b32_e32 v7, 0
	s_and_saveexec_b64 s[6:7], vcc
	s_cbranch_execz .LBB316_75
; %bb.74:
	v_mov_b32_e32 v7, 0
	v_lshl_add_u64 v[6:7], v[4:5], 0, v[6:7]
	global_load_ushort v6, v[6:7], off offset:32
	s_waitcnt vmcnt(0)
	v_lshlrev_b32_e32 v6, 16, v6
	v_sub_f32_e32 v0, v6, v0
	v_mul_f32_e32 v0, v16, v0
	v_lshrrev_b32_e32 v7, 16, v0
.LBB316_75:
	s_or_b64 exec, exec, s[6:7]
	s_and_saveexec_b64 s[6:7], s[0:1]
	s_cbranch_execz .LBB316_77
; %bb.76:
	v_mov_b32_e32 v9, 0
	v_lshl_add_u64 v[8:9], v[4:5], 0, v[8:9]
	global_load_ushort v0, v[8:9], off offset:32
	s_waitcnt vmcnt(0)
	v_lshlrev_b32_e32 v0, 16, v0
	v_sub_f32_e32 v0, v0, v1
	v_mul_f32_e32 v0, v14, v0
	v_lshrrev_b32_e32 v9, 16, v0
.LBB316_77:
	s_or_b64 exec, exec, s[6:7]
	v_mov_b32_e32 v0, 0
	v_mov_b32_e32 v1, 0
	s_and_saveexec_b64 s[0:1], s[2:3]
	s_cbranch_execz .LBB316_79
; %bb.78:
	v_mov_b32_e32 v11, 0
	v_lshl_add_u64 v[10:11], v[4:5], 0, v[10:11]
	global_load_ushort v1, v[10:11], off offset:32
	s_waitcnt vmcnt(0)
	v_lshlrev_b32_e32 v1, 16, v1
	v_sub_f32_e32 v1, v1, v2
	v_mul_f32_e32 v1, v17, v1
	v_lshrrev_b32_e32 v1, 16, v1
.LBB316_79:
	s_or_b64 exec, exec, s[0:1]
	s_and_saveexec_b64 s[0:1], s[4:5]
	s_cbranch_execz .LBB316_81
; %bb.80:
	v_mov_b32_e32 v13, 0
	v_lshl_add_u64 v[4:5], v[4:5], 0, v[12:13]
	global_load_ushort v0, v[4:5], off offset:32
	s_waitcnt vmcnt(0)
	v_lshlrev_b32_e32 v0, 16, v0
	v_sub_f32_e32 v0, v0, v3
	v_mul_f32_e32 v0, v15, v0
	v_lshrrev_b32_e32 v0, 16, v0
.LBB316_81:
	s_or_b64 exec, exec, s[0:1]
	s_mov_b32 s0, 0x5040100
	v_or_b32_e32 v2, v18, v19
	v_perm_b32 v1, v0, v1, s0
	v_perm_b32 v0, v9, v7, s0
	v_lshlrev_b32_e32 v2, 1, v2
	ds_write_b64 v2, v[0:1] offset:45056
	s_waitcnt lgkmcnt(0)
	s_barrier
.LBB316_82:
	s_endpgm
	.section	.rodata,"a",@progbits
	.p2align	6, 0x0
	.amdhsa_kernel _ZN12_GLOBAL__N_139chunk_gated_delta_rule_fwd_h_hip_kernelILi32ELb1ELb0ELb0ELb0ELb1ELb0ELb0ELb1EEEvPK12hip_bfloat16S3_S3_PKfS5_PKvPS1_S8_PvPKiSB_iiiiilll
		.amdhsa_group_segment_fixed_size 49152
		.amdhsa_private_segment_fixed_size 0
		.amdhsa_kernarg_size 136
		.amdhsa_user_sgpr_count 2
		.amdhsa_user_sgpr_dispatch_ptr 0
		.amdhsa_user_sgpr_queue_ptr 0
		.amdhsa_user_sgpr_kernarg_segment_ptr 1
		.amdhsa_user_sgpr_dispatch_id 0
		.amdhsa_user_sgpr_kernarg_preload_length 0
		.amdhsa_user_sgpr_kernarg_preload_offset 0
		.amdhsa_user_sgpr_private_segment_size 0
		.amdhsa_uses_dynamic_stack 0
		.amdhsa_enable_private_segment 0
		.amdhsa_system_sgpr_workgroup_id_x 1
		.amdhsa_system_sgpr_workgroup_id_y 1
		.amdhsa_system_sgpr_workgroup_id_z 0
		.amdhsa_system_sgpr_workgroup_info 0
		.amdhsa_system_vgpr_workitem_id 0
		.amdhsa_next_free_vgpr 148
		.amdhsa_next_free_sgpr 65
		.amdhsa_accum_offset 132
		.amdhsa_reserve_vcc 1
		.amdhsa_float_round_mode_32 0
		.amdhsa_float_round_mode_16_64 0
		.amdhsa_float_denorm_mode_32 3
		.amdhsa_float_denorm_mode_16_64 3
		.amdhsa_dx10_clamp 1
		.amdhsa_ieee_mode 1
		.amdhsa_fp16_overflow 0
		.amdhsa_tg_split 0
		.amdhsa_exception_fp_ieee_invalid_op 0
		.amdhsa_exception_fp_denorm_src 0
		.amdhsa_exception_fp_ieee_div_zero 0
		.amdhsa_exception_fp_ieee_overflow 0
		.amdhsa_exception_fp_ieee_underflow 0
		.amdhsa_exception_fp_ieee_inexact 0
		.amdhsa_exception_int_div_zero 0
	.end_amdhsa_kernel
	.section	.text._ZN12_GLOBAL__N_139chunk_gated_delta_rule_fwd_h_hip_kernelILi32ELb1ELb0ELb0ELb0ELb1ELb0ELb0ELb1EEEvPK12hip_bfloat16S3_S3_PKfS5_PKvPS1_S8_PvPKiSB_iiiiilll,"axG",@progbits,_ZN12_GLOBAL__N_139chunk_gated_delta_rule_fwd_h_hip_kernelILi32ELb1ELb0ELb0ELb0ELb1ELb0ELb0ELb1EEEvPK12hip_bfloat16S3_S3_PKfS5_PKvPS1_S8_PvPKiSB_iiiiilll,comdat
.Lfunc_end316:
	.size	_ZN12_GLOBAL__N_139chunk_gated_delta_rule_fwd_h_hip_kernelILi32ELb1ELb0ELb0ELb0ELb1ELb0ELb0ELb1EEEvPK12hip_bfloat16S3_S3_PKfS5_PKvPS1_S8_PvPKiSB_iiiiilll, .Lfunc_end316-_ZN12_GLOBAL__N_139chunk_gated_delta_rule_fwd_h_hip_kernelILi32ELb1ELb0ELb0ELb0ELb1ELb0ELb0ELb1EEEvPK12hip_bfloat16S3_S3_PKfS5_PKvPS1_S8_PvPKiSB_iiiiilll
                                        ; -- End function
	.section	.AMDGPU.csdata,"",@progbits
; Kernel info:
; codeLenInByte = 8508
; NumSgprs: 71
; NumVgprs: 130
; NumAgprs: 16
; TotalNumVgprs: 148
; ScratchSize: 0
; MemoryBound: 0
; FloatMode: 240
; IeeeMode: 1
; LDSByteSize: 49152 bytes/workgroup (compile time only)
; SGPRBlocks: 8
; VGPRBlocks: 18
; NumSGPRsForWavesPerEU: 71
; NumVGPRsForWavesPerEU: 148
; AccumOffset: 132
; Occupancy: 1
; WaveLimiterHint : 1
; COMPUTE_PGM_RSRC2:SCRATCH_EN: 0
; COMPUTE_PGM_RSRC2:USER_SGPR: 2
; COMPUTE_PGM_RSRC2:TRAP_HANDLER: 0
; COMPUTE_PGM_RSRC2:TGID_X_EN: 1
; COMPUTE_PGM_RSRC2:TGID_Y_EN: 1
; COMPUTE_PGM_RSRC2:TGID_Z_EN: 0
; COMPUTE_PGM_RSRC2:TIDIG_COMP_CNT: 0
; COMPUTE_PGM_RSRC3_GFX90A:ACCUM_OFFSET: 32
; COMPUTE_PGM_RSRC3_GFX90A:TG_SPLIT: 0
	.section	.text._ZN12_GLOBAL__N_139chunk_gated_delta_rule_fwd_h_hip_kernelILi32ELb0ELb1ELb1ELb0ELb1ELb0ELb0ELb1EEEvPK12hip_bfloat16S3_S3_PKfS5_PKvPS1_S8_PvPKiSB_iiiiilll,"axG",@progbits,_ZN12_GLOBAL__N_139chunk_gated_delta_rule_fwd_h_hip_kernelILi32ELb0ELb1ELb1ELb0ELb1ELb0ELb0ELb1EEEvPK12hip_bfloat16S3_S3_PKfS5_PKvPS1_S8_PvPKiSB_iiiiilll,comdat
	.globl	_ZN12_GLOBAL__N_139chunk_gated_delta_rule_fwd_h_hip_kernelILi32ELb0ELb1ELb1ELb0ELb1ELb0ELb0ELb1EEEvPK12hip_bfloat16S3_S3_PKfS5_PKvPS1_S8_PvPKiSB_iiiiilll ; -- Begin function _ZN12_GLOBAL__N_139chunk_gated_delta_rule_fwd_h_hip_kernelILi32ELb0ELb1ELb1ELb0ELb1ELb0ELb0ELb1EEEvPK12hip_bfloat16S3_S3_PKfS5_PKvPS1_S8_PvPKiSB_iiiiilll
	.p2align	8
	.type	_ZN12_GLOBAL__N_139chunk_gated_delta_rule_fwd_h_hip_kernelILi32ELb0ELb1ELb1ELb0ELb1ELb0ELb0ELb1EEEvPK12hip_bfloat16S3_S3_PKfS5_PKvPS1_S8_PvPKiSB_iiiiilll,@function
_ZN12_GLOBAL__N_139chunk_gated_delta_rule_fwd_h_hip_kernelILi32ELb0ELb1ELb1ELb0ELb1ELb0ELb0ELb1EEEvPK12hip_bfloat16S3_S3_PKfS5_PKvPS1_S8_PvPKiSB_iiiiilll: ; @_ZN12_GLOBAL__N_139chunk_gated_delta_rule_fwd_h_hip_kernelILi32ELb0ELb1ELb1ELb0ELb1ELb0ELb0ELb1EEEvPK12hip_bfloat16S3_S3_PKfS5_PKvPS1_S8_PvPKiSB_iiiiilll
; %bb.0:
	s_load_dwordx4 s[28:31], s[0:1], 0x5c
	s_load_dwordx4 s[36:39], s[0:1], 0x70
	s_abs_i32 s6, s3
	s_ashr_i32 s5, s3, 31
	s_load_dwordx8 s[16:23], s[0:1], 0x0
	s_waitcnt lgkmcnt(0)
	s_abs_i32 s4, s29
	v_cvt_f32_u32_e32 v1, s4
	s_sub_i32 s8, 0, s4
	s_ashr_i32 s7, s29, 31
	s_xor_b32 s5, s5, s7
	v_rcp_iflag_f32_e32 v1, v1
	s_load_dwordx2 s[34:35], s[0:1], 0x40
	s_load_dwordx4 s[24:27], s[0:1], 0x30
	s_load_dwordx2 s[40:41], s[0:1], 0x80
	s_mov_b32 s0, 0
	v_mul_f32_e32 v1, 0x4f7ffffe, v1
	v_cvt_u32_f32_e32 v1, v1
	v_lshrrev_b32_e32 v58, 6, v0
	v_bfe_u32 v61, v0, 4, 2
	v_lshlrev_b32_e32 v59, 4, v58
	v_readfirstlane_b32 s9, v1
	s_mul_i32 s8, s8, s9
	s_mul_hi_u32 s8, s9, s8
	s_add_i32 s9, s9, s8
	s_mul_hi_u32 s8, s6, s9
	s_mul_i32 s9, s8, s4
	s_sub_i32 s6, s6, s9
	s_add_i32 s10, s8, 1
	s_sub_i32 s9, s6, s4
	s_cmp_ge_u32 s6, s4
	s_cselect_b32 s8, s10, s8
	s_cselect_b32 s6, s9, s6
	s_add_i32 s9, s8, 1
	s_cmp_ge_u32 s6, s4
	s_cselect_b32 s6, s9, s8
	s_xor_b32 s6, s6, s5
	s_sub_i32 s51, s6, s5
	s_abs_i32 s6, s30
	v_cvt_f32_u32_e32 v1, s6
	s_mul_i32 s49, s51, s29
	s_sub_i32 s33, s3, s49
	s_add_i32 s3, s28, 63
	v_rcp_iflag_f32_e32 v1, v1
	s_ashr_i32 s5, s3, 31
	s_lshr_b32 s5, s5, 26
	s_ashr_i32 s50, s28, 31
	v_mul_f32_e32 v1, 0x4f7ffffe, v1
	v_cvt_u32_f32_e32 v1, v1
	s_add_i32 s3, s3, s5
	s_lshr_b32 s5, s50, 26
	s_add_i32 s5, s28, s5
	s_ashr_i32 s46, s30, 31
	s_ashr_i32 s52, s5, 6
	s_xor_b32 s5, s7, s46
	s_sub_i32 s7, 0, s6
	v_readfirstlane_b32 s8, v1
	s_mul_i32 s7, s7, s8
	s_mul_hi_u32 s7, s8, s7
	s_add_i32 s8, s8, s7
	s_mul_hi_u32 s7, s4, s8
	s_mul_i32 s8, s7, s6
	s_sub_i32 s4, s4, s8
	s_ashr_i32 s3, s3, 6
	s_add_i32 s8, s7, 1
	s_sub_i32 s9, s4, s6
	s_cmp_ge_u32 s4, s6
	s_cselect_b32 s7, s8, s7
	s_cselect_b32 s4, s9, s4
	s_add_i32 s8, s7, 1
	s_cmp_ge_u32 s4, s6
	s_cselect_b32 s4, s8, s7
	s_xor_b32 s4, s4, s5
	s_sub_i32 s4, s4, s5
	s_abs_i32 s5, s4
	v_cvt_f32_u32_e32 v1, s5
	s_sub_i32 s6, 0, s5
	s_xor_b32 s1, s33, s4
	s_abs_i32 s4, s33
	v_rcp_iflag_f32_e32 v1, v1
	s_ashr_i32 s1, s1, 31
	v_lshlrev_b32_e32 v18, 2, v61
	s_mov_b32 s14, s0
	v_mul_f32_e32 v1, 0x4f7ffffe, v1
	v_cvt_u32_f32_e32 v1, v1
	s_mov_b32 s15, s0
	v_and_b32_e32 v60, 63, v0
	s_mul_i32 s55, s51, s3
	v_readfirstlane_b32 s7, v1
	s_mul_i32 s6, s6, s7
	s_mul_hi_u32 s6, s7, s6
	s_add_i32 s7, s7, s6
	s_mul_hi_u32 s6, s4, s7
	s_mul_i32 s7, s6, s5
	s_sub_i32 s4, s4, s7
	s_add_i32 s7, s6, 1
	s_sub_i32 s8, s4, s5
	s_cmp_ge_u32 s4, s5
	s_cselect_b32 s6, s7, s6
	s_cselect_b32 s4, s8, s4
	s_add_i32 s7, s6, 1
	s_cmp_ge_u32 s4, s5
	s_cselect_b32 s4, s7, s6
	s_xor_b32 s4, s4, s1
	s_sub_i32 s56, s4, s1
	v_or_b32_e32 v1, v18, v59
	s_lshl_b32 s42, s2, 5
	s_mov_b32 s1, s0
	s_mov_b32 s2, s0
	;; [unrolled: 1-line block ×13, first 2 shown]
	v_mov_b64_e32 v[16:17], s[14:15]
	v_and_b32_e32 v62, 15, v0
	v_or_b32_e32 v65, 64, v1
	s_cmp_lt_i32 s28, 64
	v_mov_b64_e32 v[14:15], s[12:13]
	v_mov_b64_e32 v[12:13], s[10:11]
	;; [unrolled: 1-line block ×7, first 2 shown]
	s_mul_hi_i32 s57, s51, s29
	v_lshrrev_b32_e32 v64, 3, v60
	v_lshlrev_b32_e32 v63, 3, v0
	s_mul_i32 s37, s51, s37
	s_mul_hi_u32 s48, s51, s36
	s_mul_i32 s12, s51, s36
	s_cbranch_scc1 .LBB317_19
; %bb.1:
	s_ashr_i32 s8, s51, 31
	s_ashr_i32 s53, s33, 31
	s_add_u32 s0, s49, s33
	s_addc_u32 s1, s57, s53
	s_mul_i32 s1, s28, s1
	s_mul_hi_u32 s2, s28, s0
	s_add_i32 s3, s2, s1
	s_mul_i32 s2, s28, s0
	s_lshl_b64 s[0:1], s[2:3], 8
	v_and_b32_e32 v9, 56, v63
	s_add_u32 s4, s18, s0
	v_lshl_or_b32 v5, v58, 3, v64
	v_lshlrev_b32_e32 v2, 1, v9
	s_addc_u32 s0, s19, s1
	v_lshl_or_b32 v13, v5, 8, v2
	s_and_b32 s5, s0, 0xffff
	s_mov_b32 s7, 0x20000
	s_movk_i32 s6, 0x4000
	s_movk_i32 s0, 0x80
	v_or_b32_e32 v17, 0x2000, v13
	buffer_load_dwordx4 v[20:23], v13, s[4:7], 0 offen
	buffer_load_dwordx4 v[24:27], v13, s[4:7], s0 offen
	;; [unrolled: 1-line block ×4, first 2 shown]
	v_lshlrev_b32_e32 v3, 3, v5
	v_and_or_b32 v6, v0, 7, v3
	v_and_b32_e32 v3, 0x78, v3
	v_lshlrev_b32_e32 v6, 4, v6
	v_xor_b32_e32 v66, v6, v3
	v_mul_lo_u32 v4, v5, s31
	v_or_b32_e32 v67, 0x1000, v66
	v_xor_b32_e32 v3, 8, v66
	s_cmpk_eq_i32 s31, 0x80
	s_mov_b32 s47, s30
	v_xor_b32_e32 v6, 8, v67
	s_cselect_b64 s[0:1], -1, 0
	s_cmpk_lg_i32 s31, 0x80
	s_waitcnt vmcnt(3)
	ds_write_b64 v66, v[20:21] offset:24576
	ds_write_b64 v3, v[22:23] offset:24576
	s_waitcnt vmcnt(2)
	ds_write_b64 v66, v[24:25] offset:32768
	ds_write_b64 v3, v[26:27] offset:32768
	;; [unrolled: 3-line block ×4, first 2 shown]
	v_lshl_add_u32 v3, v4, 1, v9
	s_cbranch_scc0 .LBB317_3
; %bb.2:
	v_lshlrev_b32_e32 v6, 1, v3
	v_add_lshl_u32 v4, v3, s31, 1
	s_lshl_b32 s6, s31, 7
	v_lshl_or_b32 v2, v5, 9, v2
	s_cbranch_execz .LBB317_4
	s_branch .LBB317_5
.LBB317_3:
                                        ; implicit-def: $vgpr4
                                        ; implicit-def: $vgpr6
                                        ; implicit-def: $sgpr6
	v_lshl_or_b32 v2, v5, 9, v2
.LBB317_4:
	v_or_b32_e32 v4, 0x100, v2
	s_movk_i32 s6, 0x4000
	v_mov_b32_e32 v6, v2
.LBB317_5:
	s_mul_hi_u32 s4, s30, s28
	s_mul_i32 s5, s46, s28
	s_add_i32 s4, s4, s5
	s_mul_i32 s5, s30, s28
	s_mul_i32 s7, s5, s8
	s_mul_hi_u32 s9, s5, s51
	s_add_i32 s7, s9, s7
	s_mul_i32 s4, s4, s51
	s_add_i32 s7, s7, s4
	s_mul_i32 s5, s5, s51
	s_ashr_i32 s54, s56, 31
	s_add_u32 s4, s5, s56
	s_addc_u32 s5, s7, s54
	s_lshl_b64 s[4:5], s[4:5], 8
	s_add_u32 s4, s16, s4
	s_addc_u32 s5, s17, s5
	s_and_b32 s5, s5, 0xffff
	s_mov_b32 s7, 0x20000
	s_movk_i32 s58, 0x80
	buffer_load_dwordx4 v[20:23], v6, s[4:7], 0 offen
	buffer_load_dwordx4 v[24:27], v6, s[4:7], s58 offen
	;; [unrolled: 1-line block ×4, first 2 shown]
	v_and_b32_e32 v4, 6, v0
	v_lshlrev_b32_e32 v8, 6, v1
	v_or_b32_e32 v11, 16, v62
	v_xor_b32_e32 v12, v5, v4
	v_and_b32_e32 v6, 1, v0
	s_mul_i32 s4, s8, s28
	s_mul_hi_u32 s5, s51, s28
	v_lshl_or_b32 v16, v62, 3, v8
	v_lshl_or_b32 v8, v11, 3, v8
	v_lshlrev_b32_e32 v12, 2, v12
	v_lshlrev_b32_e32 v7, 2, v62
	v_or_b32_e32 v70, 0xa000, v8
	v_or_b32_e32 v71, 0xb000, v8
	v_xor_b32_e32 v8, 0x440, v12
	v_cmp_eq_u32_e32 vcc, 0, v6
	s_add_i32 s63, s5, s4
	s_add_i32 s4, s48, s37
	s_mul_i32 s8, s8, s36
	v_xor_b32_e32 v14, v1, v7
	v_xor_b32_e32 v15, v65, v7
	v_cndmask_b32_e32 v6, v8, v12, vcc
	s_add_i32 s13, s4, s8
	s_mul_i32 s4, s33, s39
	s_mul_hi_u32 s5, s33, s38
	s_mov_b32 s60, 0x1000504
	v_lshlrev_b32_e32 v10, 8, v62
	v_lshlrev_b32_e32 v14, 1, v14
	v_lshlrev_b32_e32 v15, 1, v15
	v_lshl_or_b32 v4, v4, 10, v6
	s_add_i32 s4, s5, s4
	s_mul_i32 s5, s53, s38
	s_mov_b32 s61, 0x3020706
	v_or_b32_e32 v68, 0xa000, v16
	v_or_b32_e32 v69, 0xb000, v16
	;; [unrolled: 1-line block ×4, first 2 shown]
	v_xor_b32_e32 v6, 8, v4
	v_xor_b32_e32 v10, 24, v4
	;; [unrolled: 1-line block ×4, first 2 shown]
	s_add_i32 s5, s4, s5
	s_lshl_b64 s[8:9], s[12:13], 2
	v_xor_b32_e32 v8, 16, v4
	v_xor_b32_e32 v12, 32, v4
	;; [unrolled: 1-line block ×3, first 2 shown]
	v_add_u32_e32 v6, 0x80, v6
	v_add_u32_e32 v10, 0x80, v10
	;; [unrolled: 1-line block ×4, first 2 shown]
	s_mul_i32 s4, s33, s38
	s_add_u32 s6, s22, s8
	s_addc_u32 s8, s23, s9
	s_lshl_b64 s[4:5], s[4:5], 2
	s_add_u32 s14, s6, s4
	s_movk_i32 s4, 0xf8
	s_addc_u32 s15, s8, s5
	s_ashr_i32 s43, s42, 31
	s_lshl_b32 s10, s31, 7
	s_movk_i32 s8, 0x100
	v_mov_b32_e32 v51, 0
	v_lshlrev_b32_e32 v50, 4, v62
	v_cmp_gt_u32_e32 vcc, s8, v0
	s_mov_b32 s59, 0
	s_mul_i32 s62, s51, s28
	s_movk_i32 s13, 0x1000
	s_movk_i32 s6, 0x4000
	v_add_u32_e32 v93, v59, v18
	s_mov_b32 s65, 0
	v_mov_b32_e32 v99, v51
	v_mov_b32_e32 v98, v51
	;; [unrolled: 1-line block ×4, first 2 shown]
	s_waitcnt vmcnt(1)
	v_perm_b32 v37, v20, v28, s60
	s_waitcnt vmcnt(0)
	v_perm_b32 v38, v24, v32, s60
	v_perm_b32 v20, v20, v28, s61
	;; [unrolled: 1-line block ×15, first 2 shown]
	ds_write2st64_b32 v4, v37, v38 offset0:32 offset1:64
	ds_write2st64_b32 v6, v20, v24 offset0:32 offset1:64
	;; [unrolled: 1-line block ×8, first 2 shown]
	v_lshlrev_b32_e32 v4, 8, v11
	v_or_b32_e32 v74, v4, v14
	v_or_b32_e32 v75, v4, v15
	;; [unrolled: 1-line block ×3, first 2 shown]
	v_lshlrev_b32_e32 v4, 3, v4
	v_lshrrev_b32_e32 v10, 5, v60
	v_and_or_b32 v10, v4, s4, v10
	v_lshlrev_b32_e32 v8, 11, v58
	v_lshlrev_b32_e32 v10, 4, v10
	v_and_b32_e32 v4, 0x78, v4
	v_and_b32_e32 v6, 0x1000, v8
	v_xor_b32_e32 v11, v10, v4
	v_lshrrev_b32_e32 v12, 1, v0
	v_or_b32_e32 v11, v11, v6
	v_and_b32_e32 v14, 8, v12
	v_xor_b32_e32 v76, v11, v14
	v_or_b32_e32 v11, 32, v10
	v_xor_b32_e32 v11, v11, v4
	v_or_b32_e32 v11, v11, v6
	;; [unrolled: 2-line block ×4, first 2 shown]
	s_lshl_b64 s[4:5], s[42:43], 8
	v_or_b32_e32 v11, v11, v6
	v_xor_b32_e32 v4, v10, v4
	s_waitcnt lgkmcnt(0)
	s_add_u32 s4, s24, s4
	v_lshlrev_b32_e32 v10, 1, v62
	v_xor_b32_e32 v80, v11, v14
	v_lshrrev_b32_e32 v19, 4, v0
	s_addc_u32 s5, s25, s5
	v_or_b32_e32 v11, 1, v10
	v_mov_b32_e32 v23, 0x4000
	v_mov_b32_e32 v24, 0x2000
	v_xor_b32_e32 v20, v19, v10
	v_xor_b32_e32 v21, v11, v19
	v_lshl_add_u64 v[10:11], s[4:5], 0, v[50:51]
	v_lshlrev_b32_e32 v50, 8, v19
	v_cndmask_b32_e32 v23, v23, v24, vcc
	v_lshlrev_b32_e32 v24, 3, v58
	v_and_b32_e32 v12, 24, v12
	v_lshl_or_b32 v84, v20, 3, v50
	v_and_b32_e32 v20, 8, v0
	v_xor_b32_e32 v25, v24, v12
	v_or_b32_e32 v26, 0x440, v25
	v_cmp_eq_u32_e32 vcc, 0, v20
	v_and_b32_e32 v19, 7, v0
	v_lshlrev_b32_e32 v15, 7, v61
	v_cndmask_b32_e32 v20, v26, v25, vcc
	v_lshl_or_b32 v85, v21, 3, v50
	v_lshlrev_b32_e32 v21, 3, v19
	v_lshlrev_b32_e32 v19, 7, v19
	;; [unrolled: 1-line block ×3, first 2 shown]
	v_or_b32_e32 v20, v20, v8
	v_or_b32_e32 v7, v15, v7
	v_xad_u32 v86, v20, v21, v19
	v_and_or_b32 v15, v22, 60, v15
	v_mov_b32_e32 v20, 0xb000
	v_lshl_or_b32 v87, v15, 1, v20
	v_or_b32_e32 v15, 32, v12
	v_xor_b32_e32 v15, v24, v15
	v_or_b32_e32 v20, 0x440, v15
	v_cndmask_b32_e32 v15, v20, v15, vcc
	v_or_b32_e32 v15, v15, v8
	v_xad_u32 v88, v15, v21, v19
	v_or_b32_e32 v15, 64, v12
	v_xor_b32_e32 v15, v24, v15
	v_xor_b32_e32 v20, 0x440, v15
	v_cndmask_b32_e32 v15, v20, v15, vcc
	v_or_b32_e32 v12, 0x60, v12
	v_or_b32_e32 v15, v15, v8
	v_xor_b32_e32 v12, v24, v12
	v_xad_u32 v89, v15, v21, v19
	v_xor_b32_e32 v15, 0x440, v12
	v_lshlrev_b32_e32 v7, 1, v7
	v_or_b32_e32 v4, v4, v6
	v_or_b32_e32 v6, s42, v62
	v_cndmask_b32_e32 v12, v15, v12, vcc
	v_or_b32_e32 v77, 0xa000, v7
	v_or_b32_e32 v79, 0xa080, v7
	v_xor_b32_e32 v81, v4, v14
	v_or_b32_e32 v82, 0xb000, v7
	v_or_b32_e32 v83, 0xb080, v7
	v_ashrrev_i32_e32 v7, 31, v6
	v_lshlrev_b32_e32 v14, 1, v3
	v_add_lshl_u32 v3, v3, s31, 1
	v_or_b32_e32 v16, 0x100, v2
	v_or_b32_e32 v8, v12, v8
	v_lshlrev_b32_e32 v4, 7, v1
	v_xad_u32 v90, v8, v21, v19
	v_cndmask_b32_e64 v91, v14, v2, s[0:1]
	v_cndmask_b32_e64 v92, v3, v16, s[0:1]
	v_lshlrev_b64 v[2:3], 1, v[6:7]
	v_lshl_add_u64 v[52:53], s[20:21], 0, v[2:3]
	v_lshl_add_u64 v[54:55], s[26:27], 0, v[2:3]
	;; [unrolled: 1-line block ×3, first 2 shown]
	s_mov_b32 s43, 0x7060302
	v_lshlrev_b32_e32 v50, 1, v4
	v_add_u32_e32 v94, v23, v86
	v_add_u32_e32 v95, v23, v88
	;; [unrolled: 1-line block ×4, first 2 shown]
	v_mov_b32_e32 v2, v51
	v_mov_b32_e32 v3, v51
	;; [unrolled: 1-line block ×12, first 2 shown]
	s_barrier
.LBB317_6:                              ; =>This Inner Loop Header: Depth=1
	s_add_i32 s64, s65, 1
	s_cmp_lt_i32 s64, s52
	s_mov_b64 s[8:9], 0
	s_cselect_b64 s[44:45], -1, 0
	s_cmp_ge_i32 s64, s52
	s_mov_b64 s[4:5], 0
	s_cbranch_scc1 .LBB317_8
; %bb.7:                                ;   in Loop: Header=BB317_6 Depth=1
	s_add_i32 s0, s59, 64
	s_add_u32 s0, s2, s0
	s_addc_u32 s1, s3, 0
	s_lshl_b64 s[0:1], s[0:1], 8
	s_add_u32 s4, s18, s0
	s_addc_u32 s5, s19, s1
.LBB317_8:                              ;   in Loop: Header=BB317_6 Depth=1
	v_cndmask_b32_e64 v18, 0, 1, s[44:45]
	v_cmp_ne_u32_e64 s[0:1], 1, v18
	s_andn2_b64 vcc, exec, s[44:45]
	s_cbranch_vccnz .LBB317_10
; %bb.9:                                ;   in Loop: Header=BB317_6 Depth=1
	s_add_i32 s8, s59, 64
	s_add_u32 s8, s62, s8
	s_addc_u32 s9, s63, 0
	s_mul_i32 s11, s8, s46
	s_mul_hi_u32 s44, s8, s47
	s_add_i32 s11, s44, s11
	s_mul_i32 s9, s9, s47
	s_add_i32 s11, s11, s9
	s_mul_i32 s8, s8, s47
	s_add_u32 s8, s8, s56
	s_addc_u32 s9, s11, s54
	s_lshl_b64 s[8:9], s[8:9], 8
	s_add_u32 s8, s16, s8
	s_addc_u32 s9, s17, s9
.LBB317_10:                             ;   in Loop: Header=BB317_6 Depth=1
	v_perm_b32 v19, v99, v4, s43
	v_perm_b32 v18, v3, v2, s43
	;; [unrolled: 1-line block ×4, first 2 shown]
	ds_write_b64 v68, v[18:19]
	ds_write_b64 v69, v[20:21]
	;; [unrolled: 1-line block ×4, first 2 shown]
	v_perm_b32 v19, v101, v12, s43
	v_perm_b32 v18, v11, v10, s43
	;; [unrolled: 1-line block ×4, first 2 shown]
	ds_write_b64 v70, v[18:19]
	ds_write_b64 v71, v[20:21]
	;; [unrolled: 1-line block ×4, first 2 shown]
	s_waitcnt lgkmcnt(0)
	s_barrier
	ds_read_b64 v[22:23], v76 offset:24576
	ds_read2_b64 v[18:21], v77 offset1:16
	ds_read_b64 v[26:27], v79 offset:3072
	ds_read_b64 v[28:29], v77 offset:3072
	;; [unrolled: 1-line block ×3, first 2 shown]
	s_waitcnt lgkmcnt(3)
	v_mfma_f32_16x16x16_bf16 a[0:3], v[22:23], v[18:19], 0
	s_add_i32 s11, s59, 63
	s_mul_i32 s44, s11, s41
	s_mul_hi_u32 s45, s11, s40
	v_mfma_f32_16x16x16_bf16 a[4:7], v[22:23], v[20:21], 0
	ds_read2st64_b64 v[18:21], v77 offset0:2 offset1:4
	ds_read2st64_b64 v[22:25], v79 offset0:2 offset1:4
	s_add_i32 s45, s45, s44
	s_waitcnt lgkmcnt(1)
	v_mfma_f32_16x16x16_bf16 a[0:3], v[30:31], v[18:19], a[0:3]
	s_mul_i32 s44, s11, s40
	s_lshl_b64 s[44:45], s[44:45], 2
	s_add_u32 s44, s14, s44
	s_waitcnt lgkmcnt(0)
	v_mfma_f32_16x16x16_bf16 a[4:7], v[30:31], v[22:23], a[4:7]
	ds_read_b64 v[18:19], v80 offset:24576
	ds_read_b64 v[22:23], v81 offset:24576
	s_addc_u32 s45, s15, s45
	s_and_b64 vcc, exec, s[0:1]
	s_waitcnt lgkmcnt(1)
	v_mfma_f32_16x16x16_bf16 a[0:3], v[18:19], v[20:21], a[0:3]
	v_mov_b32_e32 v104, 0
	v_mov_b32_e32 v103, 0
	;; [unrolled: 1-line block ×3, first 2 shown]
	v_mfma_f32_16x16x16_bf16 a[8:11], v[18:19], v[24:25], a[4:7]
	v_mov_b32_e32 v18, 0
	v_mov_b32_e32 v19, 0
	;; [unrolled: 1-line block ×3, first 2 shown]
	s_waitcnt lgkmcnt(0)
	v_mfma_f32_16x16x16_bf16 a[4:7], v[22:23], v[28:29], a[0:3]
	v_mov_b32_e32 v21, 0
	v_mov_b32_e32 v24, 0
	;; [unrolled: 1-line block ×3, first 2 shown]
	v_mfma_f32_16x16x16_bf16 a[0:3], v[22:23], v[26:27], a[8:11]
	v_mov_b32_e32 v22, 0
	v_mov_b32_e32 v23, 0
	;; [unrolled: 1-line block ×10, first 2 shown]
	s_cbranch_vccnz .LBB317_12
; %bb.11:                               ;   in Loop: Header=BB317_6 Depth=1
	s_and_b32 s5, s5, 0xffff
	buffer_load_dwordx4 v[30:33], v13, s[4:7], 0 offen
	buffer_load_dwordx4 v[26:29], v13, s[4:7], s58 offen
	;; [unrolled: 1-line block ×4, first 2 shown]
	v_mov_b32_e32 v103, v66
	v_mov_b32_e32 v102, v67
.LBB317_12:                             ;   in Loop: Header=BB317_6 Depth=1
	ds_read_b64 v[42:43], v76 offset:32768
	ds_read2_b64 v[34:37], v82 offset1:16
	ds_read_b64 v[44:45], v78 offset:32768
	ds_read_b64 v[46:47], v80 offset:32768
	;; [unrolled: 1-line block ×3, first 2 shown]
	ds_read2st64_b64 v[38:41], v82 offset0:2 offset1:4
	v_add_u32_e32 v105, s59, v93
	s_waitcnt lgkmcnt(4)
	v_mfma_f32_16x16x16_bf16 a[4:7], v[42:43], v[34:35], a[4:7]
	v_ashrrev_i32_e32 v34, 31, v105
	v_mfma_f32_16x16x16_bf16 a[0:3], v[42:43], v[36:37], a[0:3]
	v_mul_lo_u32 v36, v105, s41
	v_mul_lo_u32 v37, v34, s40
	v_mad_u64_u32 v[34:35], s[4:5], v105, s40, 0
	v_add3_u32 v35, v35, v36, v37
	v_add_u32_e32 v36, 1, v105
	v_ashrrev_i32_e32 v37, 31, v36
	s_waitcnt lgkmcnt(0)
	v_mfma_f32_16x16x16_bf16 a[4:7], v[44:45], v[38:39], a[4:7]
	v_mul_lo_u32 v38, v37, s40
	v_mul_lo_u32 v39, v36, s41
	v_mad_u64_u32 v[36:37], s[4:5], v36, s40, 0
	v_add3_u32 v37, v37, v39, v38
	v_add_u32_e32 v38, 2, v105
	v_ashrrev_i32_e32 v39, 31, v38
	v_mul_lo_u32 v42, v39, s40
	v_mul_lo_u32 v43, v38, s41
	v_mad_u64_u32 v[38:39], s[4:5], v38, s40, 0
	v_add3_u32 v39, v39, v43, v42
	v_add_u32_e32 v42, 3, v105
	v_ashrrev_i32_e32 v43, 31, v42
	v_mul_lo_u32 v105, v43, s40
	v_mul_lo_u32 v106, v42, s41
	v_mad_u64_u32 v[42:43], s[4:5], v42, s40, 0
	s_add_u32 s4, s2, s59
	s_addc_u32 s5, s3, 0
	s_lshl_b64 s[66:67], s[4:5], 8
	v_lshl_add_u64 v[34:35], v[34:35], 2, s[14:15]
	v_add3_u32 v43, v43, v106, v105
	v_lshl_add_u64 v[106:107], v[52:53], 0, s[66:67]
	v_lshl_add_u64 v[36:37], v[36:37], 2, s[14:15]
	;; [unrolled: 1-line block ×3, first 2 shown]
	global_load_dword v105, v[34:35], off
	global_load_ushort v108, v[106:107], off offset:256
	global_load_ushort v109, v[106:107], off
	global_load_ushort v110, v[106:107], off offset:768
	v_lshl_add_u64 v[34:35], v[42:43], 2, s[14:15]
	v_lshl_add_u64 v[38:39], v[38:39], 2, s[14:15]
	global_load_dword v111, v[36:37], off
	global_load_dword v112, v[38:39], off
	;; [unrolled: 1-line block ×3, first 2 shown]
	ds_read2st64_b64 v[34:37], v83 offset0:2 offset1:4
	s_waitcnt lgkmcnt(0)
	v_mfma_f32_16x16x16_bf16 a[0:3], v[44:45], v[34:35], a[0:3]
	global_load_ushort v44, v[106:107], off offset:512
	global_load_ushort v114, v[106:107], off offset:800
	;; [unrolled: 1-line block ×4, first 2 shown]
	s_nop 0
	global_load_ushort v106, v[106:107], off offset:32
	s_and_b64 vcc, exec, s[0:1]
	v_mfma_f32_16x16x16_bf16 a[4:7], v[46:47], v[40:41], a[4:7]
	s_waitcnt vmcnt(10)
	v_lshlrev_b32_e32 v43, 16, v108
	v_mfma_f32_16x16x16_bf16 a[0:3], v[46:47], v[36:37], a[0:3]
	ds_read_b64 v[34:35], v82 offset:3072
	ds_read_b64 v[36:37], v83 offset:3072
	s_load_dword s4, s[44:45], 0x0
	s_waitcnt vmcnt(9)
	v_lshlrev_b32_e32 v42, 16, v109
	s_waitcnt lgkmcnt(0)
	v_mfma_f32_16x16x16_bf16 a[4:7], v[48:49], v[34:35], a[4:7]
	v_lshl_add_u64 v[34:35], v[54:55], 0, s[66:67]
	v_sub_f32_e32 v46, s4, v105
	s_waitcnt vmcnt(7)
	v_sub_f32_e32 v47, s4, v111
	v_mfma_f32_16x16x16_bf16 a[0:3], v[48:49], v[36:37], a[0:3]
	s_waitcnt vmcnt(6)
	v_sub_f32_e32 v48, s4, v112
	s_waitcnt vmcnt(5)
	v_sub_f32_e32 v49, s4, v113
	v_accvgpr_read_b32 v41, a5
	v_accvgpr_read_b32 v40, a4
	v_exp_f32_e32 v46, v46
	v_pk_add_f32 v[40:41], v[42:43], v[40:41] neg_lo:[0,1] neg_hi:[0,1]
	v_exp_f32_e32 v47, v47
	v_exp_f32_e32 v42, v48
	;; [unrolled: 1-line block ×3, first 2 shown]
	v_accvgpr_read_b32 v37, a7
	v_accvgpr_read_b32 v36, a6
	v_lshlrev_b32_e32 v45, 16, v110
	s_waitcnt vmcnt(4)
	v_lshlrev_b32_e32 v44, 16, v44
	v_lshl_add_u64 v[34:35], v[34:35], 0, v[50:51]
	v_pk_add_f32 v[36:37], v[44:45], v[36:37] neg_lo:[0,1] neg_hi:[0,1]
	global_store_short_d16_hi v[34:35], v40, off
	global_store_short_d16_hi v[34:35], v41, off offset:256
	global_store_short_d16_hi v[34:35], v36, off offset:512
	global_store_short_d16_hi v[34:35], v37, off offset:768
	v_pk_mul_f32 v[40:41], v[46:47], v[40:41]
	v_pk_mul_f32 v[36:37], v[42:43], v[36:37]
	v_accvgpr_read_b32 v45, a1
	v_perm_b32 v40, v41, v40, s43
	v_perm_b32 v41, v37, v36, s43
	s_waitcnt vmcnt(5)
	v_lshlrev_b32_e32 v37, 16, v116
	s_waitcnt vmcnt(4)
	v_lshlrev_b32_e32 v36, 16, v106
	v_accvgpr_read_b32 v44, a0
	v_accvgpr_read_b32 v39, a3
	;; [unrolled: 1-line block ×3, first 2 shown]
	v_pk_add_f32 v[36:37], v[36:37], v[44:45] neg_lo:[0,1] neg_hi:[0,1]
	v_lshlrev_b32_e32 v45, 16, v114
	v_lshlrev_b32_e32 v44, 16, v115
	v_pk_add_f32 v[38:39], v[44:45], v[38:39] neg_lo:[0,1] neg_hi:[0,1]
	global_store_short_d16_hi v[34:35], v36, off offset:32
	global_store_short_d16_hi v[34:35], v37, off offset:288
	;; [unrolled: 1-line block ×4, first 2 shown]
	v_pk_mul_f32 v[34:35], v[46:47], v[36:37]
	v_pk_mul_f32 v[36:37], v[42:43], v[38:39]
	v_mov_b32_e32 v105, 0
	v_perm_b32 v37, v37, v36, s43
	v_perm_b32 v36, v35, v34, s43
	ds_write2_b64 v69, v[40:41], v[36:37] offset1:16
	v_mov_b32_e32 v34, 0
	v_mov_b32_e32 v35, 0
	;; [unrolled: 1-line block ×16, first 2 shown]
	s_cbranch_vccnz .LBB317_14
; %bb.13:                               ;   in Loop: Header=BB317_6 Depth=1
	s_and_b32 s9, s9, 0xffff
	s_mov_b32 s11, s7
	buffer_load_dwordx4 v[46:49], v91, s[8:11], 0 offen
	buffer_load_dwordx4 v[38:41], v91, s[8:11], s58 offen
	;; [unrolled: 1-line block ×4, first 2 shown]
	v_mov_b32_e32 v104, v9
	v_mov_b32_e32 v105, v5
.LBB317_14:                             ;   in Loop: Header=BB317_6 Depth=1
	s_waitcnt lgkmcnt(0)
	s_barrier
	ds_read_b64 v[110:111], v94
	ds_read_b64 v[118:119], v87
	ds_read_b64 v[114:115], v95
	ds_read_b64 v[120:121], v96
	ds_read_b64 v[122:123], v97
	ds_read_b64 v[124:125], v88 offset:16384
	ds_read_b64 v[126:127], v86 offset:16384
	ds_read2_b64 v[106:109], v82 offset0:16 offset1:128
	s_waitcnt lgkmcnt(6)
	v_mfma_f32_16x16x16_bf16 a[0:3], v[110:111], v[118:119], 0
	ds_read_b64 v[128:129], v83 offset:3072
	ds_read_b64 v[130:131], v90 offset:16384
	s_add_i32 s5, s55, s65
	s_waitcnt lgkmcnt(2)
	v_mfma_f32_16x16x16_bf16 a[4:7], v[110:111], v[106:107], 0
	ds_read2st64_b64 v[110:113], v83 offset0:2 offset1:4
	s_mul_hi_i32 s9, s5, s29
	s_mul_i32 s5, s5, s29
	v_mfma_f32_16x16x16_bf16 a[0:3], v[114:115], v[108:109], a[0:3]
	s_add_u32 s8, s5, s33
	s_addc_u32 s9, s9, s53
	s_lshl_b64 s[8:9], s[8:9], 15
	s_waitcnt lgkmcnt(0)
	v_mfma_f32_16x16x16_bf16 a[4:7], v[114:115], v[110:111], a[4:7]
	ds_read2st64_b64 v[114:117], v82 offset0:4 offset1:6
	s_waitcnt lgkmcnt(0)
	v_mfma_f32_16x16x16_bf16 a[0:3], v[120:121], v[114:115], a[0:3]
	v_mfma_f32_16x16x16_bf16 a[8:11], v[120:121], v[112:113], a[4:7]
	;; [unrolled: 1-line block ×5, first 2 shown]
	ds_read2st64_b64 v[118:121], v85 offset1:8
	v_mfma_f32_16x16x16_bf16 a[12:15], v[126:127], v[106:107], 0
	ds_read_b64 v[126:127], v89 offset:16384
	v_mfma_f32_16x16x16_bf16 a[8:11], v[124:125], v[108:109], a[8:11]
	ds_read2st64_b64 v[106:109], v84 offset1:8
	s_waitcnt lgkmcnt(0)
	v_mov_b32_e32 v122, v106
	v_mfma_f32_16x16x16_bf16 a[12:15], v[124:125], v[110:111], a[12:15]
	v_lshl_add_u64 v[110:111], v[56:57], 0, s[8:9]
	v_add_co_u32_e32 v106, vcc, s13, v110
	v_mfma_f32_16x16x16_bf16 a[8:11], v[126:127], v[114:115], a[8:11]
	v_mov_b32_e32 v123, v107
	v_addc_co_u32_e32 v107, vcc, 0, v111, vcc
	v_mfma_f32_16x16x16_bf16 a[12:15], v[126:127], v[112:113], a[12:15]
	v_mov_b32_e32 v124, v118
	v_mov_b32_e32 v125, v119
	;; [unrolled: 1-line block ×3, first 2 shown]
	v_mfma_f32_16x16x16_bf16 a[8:11], v[130:131], v[116:117], a[8:11]
	v_mov_b32_e32 v119, v109
	s_and_b64 vcc, exec, s[0:1]
	global_store_dwordx4 v[110:111], v[122:125], off
	v_mfma_f32_16x16x16_bf16 a[12:15], v[130:131], v[128:129], a[12:15]
	global_store_dwordx4 v[106:107], v[118:121], off
	s_cbranch_vccnz .LBB317_16
; %bb.15:                               ;   in Loop: Header=BB317_6 Depth=1
	v_lshrrev_b32_e32 v106, 3, v104
	v_and_b32_e32 v106, 6, v106
	v_xor_b32_e32 v105, v106, v105
	v_lshlrev_b32_e32 v105, 2, v105
	v_and_b32_e32 v104, 8, v104
	v_xor_b32_e32 v107, 0x440, v105
	v_cmp_eq_u32_e32 vcc, 0, v104
	s_barrier
	s_nop 0
	v_cndmask_b32_e32 v104, v107, v105, vcc
	v_lshl_or_b32 v104, v106, 10, v104
	s_waitcnt vmcnt(3)
	v_perm_b32 v105, v46, v42, s60
	s_waitcnt vmcnt(2)
	v_perm_b32 v106, v38, v34, s60
	ds_write2st64_b32 v104, v105, v106 offset0:32 offset1:64
	v_xor_b32_e32 v105, 8, v104
	v_perm_b32 v42, v46, v42, s61
	v_perm_b32 v34, v38, v34, s61
	v_add_u32_e32 v38, 0x80, v105
	ds_write2st64_b32 v38, v42, v34 offset0:32 offset1:64
	v_xor_b32_e32 v34, 16, v104
	v_perm_b32 v38, v47, v43, s60
	v_perm_b32 v42, v39, v35, s60
	ds_write2st64_b32 v34, v38, v42 offset0:33 offset1:65
	v_xor_b32_e32 v34, 24, v104
	v_perm_b32 v38, v47, v43, s61
	v_perm_b32 v35, v39, v35, s61
	v_add_u32_e32 v34, 0x80, v34
	ds_write2st64_b32 v34, v38, v35 offset0:33 offset1:65
	v_xor_b32_e32 v34, 32, v104
	v_perm_b32 v35, v48, v44, s60
	v_perm_b32 v38, v40, v36, s60
	ds_write2st64_b32 v34, v35, v38 offset0:34 offset1:66
	v_xor_b32_e32 v34, 40, v104
	v_perm_b32 v35, v48, v44, s61
	v_perm_b32 v36, v40, v36, s61
	v_add_u32_e32 v34, 0x80, v34
	ds_write2st64_b32 v34, v35, v36 offset0:34 offset1:66
	v_xor_b32_e32 v34, 48, v104
	v_perm_b32 v35, v49, v45, s60
	v_perm_b32 v36, v41, v37, s60
	ds_write2st64_b32 v34, v35, v36 offset0:35 offset1:67
	v_xor_b32_e32 v34, 56, v104
	v_perm_b32 v35, v49, v45, s61
	v_perm_b32 v36, v41, v37, s61
	v_add_u32_e32 v34, 0x80, v34
	ds_write2st64_b32 v34, v35, v36 offset0:35 offset1:67
	ds_write_b64 v103, v[30:31] offset:24576
	v_xor_b32_e32 v30, 8, v103
	ds_write_b64 v30, v[32:33] offset:24576
	ds_write_b64 v103, v[26:27] offset:32768
	;; [unrolled: 1-line block ×4, first 2 shown]
	v_xor_b32_e32 v22, 8, v102
	ds_write_b64 v22, v[24:25] offset:24576
	ds_write_b64 v102, v[18:19] offset:32768
	;; [unrolled: 1-line block ×3, first 2 shown]
.LBB317_16:                             ;   in Loop: Header=BB317_6 Depth=1
	s_waitcnt vmcnt(2)
	v_exp_f32_e32 v34, s4
	v_accvgpr_read_b32 v33, a7
	v_accvgpr_read_b32 v25, a3
	;; [unrolled: 1-line block ×16, first 2 shown]
	s_add_i32 s59, s59, 64
	v_fma_f32 v2, v2, v34, v30
	v_fma_f32 v3, v3, v34, v31
	v_fma_f32 v4, v4, v34, v32
	v_fmac_f32_e32 v33, v99, v34
	v_fma_f32 v10, v10, v34, v22
	v_fma_f32 v11, v11, v34, v23
	v_fma_f32 v12, v12, v34, v24
	v_fmac_f32_e32 v25, v101, v34
	;; [unrolled: 4-line block ×3, first 2 shown]
	v_fma_f32 v14, v14, v34, v18
	v_fma_f32 v15, v15, v34, v19
	;; [unrolled: 1-line block ×3, first 2 shown]
	s_cmp_eq_u32 s52, s64
	v_fmac_f32_e32 v21, v100, v34
	s_cbranch_scc1 .LBB317_18
; %bb.17:                               ;   in Loop: Header=BB317_6 Depth=1
	s_mov_b32 s65, s64
	v_mov_b32_e32 v99, v33
	v_mov_b32_e32 v98, v29
	;; [unrolled: 1-line block ×4, first 2 shown]
	s_branch .LBB317_6
.LBB317_18:
	v_mov_b32_e32 v5, v33
	v_mov_b32_e32 v9, v29
	;; [unrolled: 1-line block ×4, first 2 shown]
.LBB317_19:
	s_lshl_b32 s53, s52, 6
	s_sub_i32 s54, s28, s53
	s_cmp_gt_i32 s54, 0
	v_or_b32_e32 v34, s42, v62
	s_cbranch_scc1 .LBB317_21
; %bb.20:
	s_ashr_i32 s0, s33, 31
	s_add_u32 s8, s49, s33
	s_addc_u32 s9, s57, s0
	v_or_b32_e32 v18, s42, v62
	s_cbranch_execz .LBB317_22
	s_branch .LBB317_86
.LBB317_21:
                                        ; implicit-def: $sgpr8_sgpr9
                                        ; implicit-def: $vgpr18
.LBB317_22:
	s_ashr_i32 s13, s51, 31
	s_ashr_i32 s2, s53, 31
	s_cmpk_lg_i32 s31, 0x80
	s_cselect_b64 s[44:45], -1, 0
	s_and_b64 vcc, exec, s[44:45]
	s_cbranch_vccz .LBB317_24
; %bb.23:
	s_mul_i32 s1, s51, s28
	s_mul_hi_i32 s0, s51, s28
	s_add_u32 s1, s1, s53
	s_addc_u32 s0, s0, s2
	s_mul_i32 s3, s1, s46
	s_mul_hi_u32 s4, s1, s30
	s_add_i32 s3, s4, s3
	s_mul_i32 s0, s0, s30
	s_add_i32 s3, s3, s0
	s_mul_i32 s1, s1, s30
	s_ashr_i32 s0, s56, 31
	s_add_u32 s46, s1, s56
	s_addc_u32 s47, s3, s0
	s_cbranch_execz .LBB317_25
	s_branch .LBB317_26
.LBB317_24:
                                        ; implicit-def: $sgpr46_sgpr47
.LBB317_25:
	s_mul_hi_i32 s0, s51, s30
	s_mul_i32 s51, s51, s30
	s_ashr_i32 s1, s56, 31
	s_add_u32 s3, s51, s56
	s_addc_u32 s0, s0, s1
	s_mul_i32 s1, s3, s50
	s_mul_hi_u32 s4, s3, s28
	s_add_i32 s1, s4, s1
	s_mul_i32 s0, s0, s28
	s_add_i32 s1, s1, s0
	s_mul_i32 s3, s3, s28
	s_add_u32 s46, s3, s53
	s_addc_u32 s47, s1, s2
.LBB317_26:
	s_add_i32 s3, s55, s52
	s_ashr_i32 s30, s33, 31
	s_add_u32 s8, s49, s33
	s_addc_u32 s9, s57, s30
	s_mul_i32 s0, s8, s50
	s_mul_hi_u32 s1, s8, s28
	s_add_i32 s0, s1, s0
	s_mul_i32 s1, s9, s28
	s_add_i32 s1, s0, s1
	s_mul_i32 s0, s8, s28
	s_add_u32 s0, s0, s53
	v_lshlrev_b32_e32 v22, 5, v1
	v_lshlrev_b32_e32 v40, 2, v62
	s_addc_u32 s1, s1, s2
	s_mov_b32 s2, 0x7060302
	v_or_b32_e32 v25, v22, v40
	v_xor_b32_e32 v23, v1, v40
	v_perm_b32 v19, v5, v4, s2
	v_perm_b32 v18, v3, v2, s2
	;; [unrolled: 1-line block ×4, first 2 shown]
	v_lshlrev_b32_e32 v25, 1, v25
	s_lshl_b64 s[10:11], s[0:1], 8
	v_xor_b32_e32 v24, v65, v40
	ds_write2st64_b64 v25, v[18:19], v[20:21] offset0:80 offset1:88
	v_lshlrev_b32_e32 v23, 1, v23
	v_lshlrev_b32_e32 v25, 8, v62
	s_add_u32 s0, s18, s10
	v_or_b32_e32 v26, v23, v25
	v_lshlrev_b32_e32 v24, 1, v24
	s_addc_u32 s1, s19, s11
	ds_write_b64 v26, v[18:19]
	v_or_b32_e32 v18, v24, v25
	v_or_b32_e32 v25, 16, v62
	s_mul_hi_i32 s4, s3, s29
	s_mul_i32 s3, s3, s29
	ds_write_b64 v18, v[20:21]
	v_perm_b32 v19, v13, v12, s2
	v_perm_b32 v18, v11, v10, s2
	;; [unrolled: 1-line block ×4, first 2 shown]
	v_lshlrev_b32_e32 v37, 2, v25
	s_add_u32 s2, s3, s33
	v_or_b32_e32 v22, v22, v37
	s_addc_u32 s3, s4, s30
	v_lshlrev_b32_e32 v22, 1, v22
	s_ashr_i32 s43, s42, 31
	s_lshl_b64 s[2:3], s[2:3], 15
	ds_write2st64_b64 v22, v[18:19], v[20:21] offset0:80 offset1:88
	v_lshlrev_b32_e32 v22, 8, v25
	s_waitcnt lgkmcnt(0)
	s_add_u32 s4, s24, s2
	v_or_b32_e32 v23, v23, v22
	s_addc_u32 s5, s25, s3
	s_lshl_b64 s[2:3], s[42:43], 8
	ds_write_b64 v23, v[18:19]
	v_or_b32_e32 v18, v24, v22
	s_add_u32 s2, s4, s2
	ds_write_b64 v18, v[20:21]
	v_lshrrev_b32_e32 v18, 4, v0
	s_addc_u32 s3, s5, s3
	v_lshlrev_b32_e32 v19, 1, v62
	v_lshlrev_b32_e32 v26, 4, v62
	v_mov_b32_e32 v27, 0
	v_or_b32_e32 v20, 1, v19
	v_xor_b32_e32 v19, v18, v19
	v_lshl_add_u64 v[28:29], s[2:3], 0, v[26:27]
	v_lshlrev_b32_e32 v26, 8, v18
	v_xor_b32_e32 v22, v20, v18
	v_lshl_or_b32 v18, v19, 3, v26
	s_waitcnt lgkmcnt(0)
	s_barrier
	ds_read2st64_b64 v[18:21], v18 offset1:8
	v_lshl_or_b32 v22, v22, 3, v26
	ds_read2st64_b64 v[22:25], v22 offset1:8
	v_lshl_add_u64 v[30:31], v[28:29], 0, v[26:27]
	s_movk_i32 s2, 0x1000
	s_waitcnt lgkmcnt(1)
	v_mov_b32_e32 v26, v18
	v_add_co_u32_e32 v18, vcc, s2, v30
	s_cmp_lg_u32 s54, 64
	v_mov_b32_e32 v27, v19
	v_addc_co_u32_e32 v19, vcc, 0, v31, vcc
	s_cselect_b64 s[14:15], -1, 0
	v_lshl_or_b32 v35, v58, 3, v64
	s_waitcnt lgkmcnt(0)
	v_mov_b32_e32 v28, v22
	v_mov_b32_e32 v29, v23
	;; [unrolled: 1-line block ×4, first 2 shown]
	s_mov_b32 s4, 0
	v_or_b32_e32 v38, 32, v35
	v_and_b32_e32 v36, 56, v63
	s_and_b64 vcc, exec, s[14:15]
	global_store_dwordx4 v[30:31], v[26:29], off
	global_store_dwordx4 v[18:19], v[22:25], off
	s_cbranch_vccz .LBB317_32
; %bb.27:
	s_mov_b32 s6, s4
	s_mov_b32 s7, s4
	;; [unrolled: 1-line block ×3, first 2 shown]
	v_mov_b64_e32 v[24:25], s[6:7]
	v_mov_b64_e32 v[22:23], s[4:5]
	;; [unrolled: 1-line block ×3, first 2 shown]
	v_cmp_gt_i32_e32 vcc, s54, v35
	v_mov_b64_e32 v[20:21], v[24:25]
	s_and_saveexec_b64 s[2:3], vcc
	s_cbranch_execz .LBB317_29
; %bb.28:
	v_lshlrev_b32_e32 v18, 8, v35
	v_mov_b32_e32 v19, 0
	v_lshl_add_u64 v[20:21], s[0:1], 0, v[18:19]
	v_lshlrev_b32_e32 v18, 1, v36
	v_lshl_add_u64 v[26:27], v[20:21], 0, v[18:19]
	global_load_dwordx4 v[22:25], v[26:27], off
	global_load_dwordx4 v[18:21], v[26:27], off offset:128
.LBB317_29:
	s_or_b64 exec, exec, s[2:3]
	s_mov_b32 s6, s4
	s_mov_b32 s7, s4
	;; [unrolled: 1-line block ×3, first 2 shown]
	v_mov_b64_e32 v[32:33], s[6:7]
	v_mov_b64_e32 v[30:31], s[4:5]
	;; [unrolled: 1-line block ×3, first 2 shown]
	v_cmp_gt_i32_e32 vcc, s54, v38
	v_lshlrev_b32_e32 v39, 7, v38
	v_mov_b64_e32 v[28:29], v[32:33]
	s_and_saveexec_b64 s[2:3], vcc
	s_cbranch_execz .LBB317_31
; %bb.30:
	v_lshlrev_b32_e32 v26, 1, v39
	v_mov_b32_e32 v27, 0
	v_lshl_add_u64 v[28:29], s[0:1], 0, v[26:27]
	v_lshlrev_b32_e32 v26, 1, v36
	v_lshl_add_u64 v[42:43], v[28:29], 0, v[26:27]
	global_load_dwordx4 v[30:33], v[42:43], off
	global_load_dwordx4 v[26:29], v[42:43], off offset:128
.LBB317_31:
	s_or_b64 exec, exec, s[2:3]
	v_lshrrev_b32_e32 v41, 3, v36
	v_lshlrev_b32_e32 v42, 3, v35
	v_or_b32_e32 v41, v42, v41
	v_lshlrev_b32_e32 v41, 4, v41
	v_and_b32_e32 v42, 0x78, v42
	v_xor_b32_e32 v41, v41, v42
	s_branch .LBB317_34
.LBB317_32:
                                        ; implicit-def: $vgpr41
                                        ; implicit-def: $vgpr39
                                        ; implicit-def: $vgpr22_vgpr23_vgpr24_vgpr25
                                        ; implicit-def: $vgpr18_vgpr19_vgpr20_vgpr21
                                        ; implicit-def: $vgpr30_vgpr31_vgpr32_vgpr33
                                        ; implicit-def: $vgpr26_vgpr27_vgpr28_vgpr29
	s_cbranch_execz .LBB317_34
; %bb.33:
	s_waitcnt vmcnt(0)
	v_lshlrev_b32_e32 v18, 1, v36
	v_lshl_or_b32 v39, v35, 8, v18
	s_and_b32 s1, s1, 0xffff
	s_mov_b32 s3, 0x20000
	s_movk_i32 s2, 0x4000
	v_lshl_or_b32 v41, v38, 8, v18
	s_movk_i32 s4, 0x80
	buffer_load_dwordx4 v[22:25], v39, s[0:3], 0 offen
	buffer_load_dwordx4 v[18:21], v39, s[0:3], s4 offen
	;; [unrolled: 1-line block ×4, first 2 shown]
	v_lshrrev_b32_e32 v39, 3, v36
	v_lshlrev_b32_e32 v41, 3, v35
	v_or_b32_e32 v39, v41, v39
	v_lshlrev_b32_e32 v39, 4, v39
	v_and_b32_e32 v41, 0x78, v41
	v_xor_b32_e32 v41, v39, v41
	v_lshlrev_b32_e32 v39, 7, v38
.LBB317_34:
	s_lshl_b64 s[0:1], s[46:47], 8
	s_add_u32 s4, s16, s0
	s_movk_i32 s0, 0x1000
	v_and_or_b32 v38, v39, s0, v41
	s_waitcnt vmcnt(1)
	ds_write_b64 v41, v[22:23] offset:24576
	v_xor_b32_e32 v22, 8, v41
	ds_write_b64 v22, v[24:25] offset:24576
	s_waitcnt vmcnt(0)
	ds_write_b64 v41, v[18:19] offset:32768
	ds_write_b64 v22, v[20:21] offset:32768
	;; [unrolled: 1-line block ×3, first 2 shown]
	v_xor_b32_e32 v18, 8, v38
	ds_write_b64 v18, v[32:33] offset:24576
	ds_write_b64 v38, v[26:27] offset:32768
	;; [unrolled: 1-line block ×3, first 2 shown]
	v_or_b32_e32 v18, v59, v62
	v_lshlrev_b32_e32 v18, 3, v18
	v_lshrrev_b32_e32 v19, 5, v60
	s_movk_i32 s7, 0xf8
	v_and_or_b32 v19, v18, s7, v19
	v_lshlrev_b32_e32 v23, 4, v19
	v_lshlrev_b32_e32 v41, 11, v58
	v_and_b32_e32 v24, 0x78, v18
	v_or_b32_e32 v26, 32, v23
	v_and_b32_e32 v22, 0x1000, v41
	v_lshrrev_b32_e32 v19, 1, v60
	v_xor_b32_e32 v26, v26, v24
	v_xor_b32_e32 v18, v23, v24
	v_and_b32_e32 v25, 8, v19
	v_or_b32_e32 v26, v26, v22
	v_or_b32_e32 v18, v18, v22
	v_xor_b32_e32 v45, v26, v25
	v_or_b32_e32 v26, 64, v23
	v_xor_b32_e32 v44, v18, v25
	v_xor_b32_e32 v26, v26, v24
	s_waitcnt lgkmcnt(0)
	s_barrier
	v_or_b32_e32 v28, v26, v22
	ds_read_b64 v[26:27], v44 offset:24576
	v_lshl_or_b32 v38, v61, 7, v40
	v_lshlrev_b32_e32 v42, 1, v38
	v_add_u32_e32 v18, 0xa000, v42
	ds_read2_b64 v[18:21], v18 offset1:16
	v_or_b32_e32 v23, 0x60, v23
	v_xor_b32_e32 v23, v23, v24
	s_waitcnt lgkmcnt(0)
	v_mfma_f32_16x16x16_bf16 a[0:3], v[26:27], v[18:19], 0
	v_or_b32_e32 v18, 64, v38
	v_or_b32_e32 v22, v23, v22
	v_lshlrev_b32_e32 v43, 1, v18
	v_xor_b32_e32 v46, v28, v25
	v_xor_b32_e32 v47, v22, v25
	ds_read_b64 v[28:29], v45 offset:24576
	ds_read_b64 v[30:31], v46 offset:24576
	;; [unrolled: 1-line block ×3, first 2 shown]
	v_mfma_f32_16x16x16_bf16 a[4:7], v[26:27], v[20:21], 0
	ds_read2st64_b64 v[18:21], v43 offset0:82 offset1:84
	ds_read2st64_b64 v[22:25], v42 offset0:82 offset1:84
	s_addc_u32 s5, s17, s1
	s_add_i32 s2, s28, -1
	s_add_i32 s0, s48, s37
	s_mul_i32 s13, s13, s36
	s_add_i32 s13, s0, s13
	s_mul_i32 s0, s33, s39
	s_mul_hi_u32 s1, s33, s38
	s_ashr_i32 s3, s2, 31
	s_mul_i32 s6, s2, s41
	s_mul_hi_u32 s7, s2, s40
	s_add_i32 s0, s1, s0
	s_mul_i32 s1, s30, s38
	s_add_i32 s6, s7, s6
	s_mul_i32 s3, s3, s40
	s_waitcnt lgkmcnt(1)
	v_mfma_f32_16x16x16_bf16 a[4:7], v[28:29], v[18:19], a[4:7]
	s_add_i32 s1, s0, s1
	s_add_i32 s3, s6, s3
	s_lshl_b64 s[6:7], s[12:13], 2
	s_waitcnt lgkmcnt(0)
	v_mfma_f32_16x16x16_bf16 a[0:3], v[28:29], v[22:23], a[0:3]
	s_mul_i32 s0, s33, s38
	s_add_u32 s6, s22, s6
	s_addc_u32 s7, s23, s7
	s_lshl_b64 s[0:1], s[0:1], 2
	s_mul_i32 s2, s2, s40
	s_add_u32 s12, s6, s0
	ds_read_b64 v[18:19], v42 offset:44032
	v_mfma_f32_16x16x16_bf16 a[4:7], v[30:31], v[20:21], a[4:7]
	ds_read_b64 v[20:21], v43 offset:44032
	s_addc_u32 s13, s7, s1
	s_lshl_b64 s[0:1], s[2:3], 2
	v_mfma_f32_16x16x16_bf16 a[0:3], v[30:31], v[24:25], a[0:3]
	s_add_u32 s0, s12, s0
	s_addc_u32 s1, s13, s1
	s_load_dword s16, s[0:1], 0x0
	s_waitcnt lgkmcnt(0)
	v_mfma_f32_16x16x16_bf16 a[0:3], v[32:33], v[18:19], a[0:3]
	s_and_b64 vcc, exec, s[44:45]
	v_mfma_f32_16x16x16_bf16 a[4:7], v[32:33], v[20:21], a[4:7]
	s_cbranch_vccz .LBB317_45
; %bb.35:
	v_lshlrev_b32_e32 v38, 1, v35
	s_and_b64 vcc, exec, s[14:15]
	s_cbranch_vccz .LBB317_46
; %bb.36:
	v_cmp_gt_i32_e32 vcc, s54, v38
	v_mov_b32_e32 v22, 0
	v_mov_b32_e32 v18, 0
	;; [unrolled: 1-line block ×5, first 2 shown]
	s_and_saveexec_b64 s[0:1], vcc
	s_cbranch_execz .LBB317_38
; %bb.37:
	v_mad_i64_i32 v[18:19], s[2:3], s31, v38, 0
	v_lshl_add_u64 v[18:19], v[18:19], 1, s[4:5]
	v_lshlrev_b32_e32 v20, 1, v36
	v_mov_b32_e32 v21, 0
	v_lshl_add_u64 v[18:19], v[18:19], 0, v[20:21]
	global_load_dwordx4 v[18:21], v[18:19], off
.LBB317_38:
	s_or_b64 exec, exec, s[0:1]
	v_or_b32_e32 v39, 1, v38
	v_cmp_gt_i32_e64 s[0:1], s54, v39
	v_mov_b32_e32 v23, 0
	v_mov_b32_e32 v24, 0
	;; [unrolled: 1-line block ×3, first 2 shown]
	s_and_saveexec_b64 s[2:3], s[0:1]
	s_cbranch_execz .LBB317_40
; %bb.39:
	v_mad_i64_i32 v[22:23], s[6:7], s31, v39, 0
	v_lshl_add_u64 v[22:23], v[22:23], 1, s[4:5]
	v_lshlrev_b32_e32 v24, 1, v36
	v_mov_b32_e32 v25, 0
	v_lshl_add_u64 v[22:23], v[22:23], 0, v[24:25]
	global_load_dwordx4 v[22:25], v[22:23], off
.LBB317_40:
	s_or_b64 exec, exec, s[2:3]
	v_mov_b32_e32 v33, 0
	v_mov_b32_e32 v26, 0
	;; [unrolled: 1-line block ×5, first 2 shown]
	s_and_saveexec_b64 s[2:3], vcc
	s_cbranch_execz .LBB317_42
; %bb.41:
	v_mad_i64_i32 v[26:27], s[6:7], s31, v38, 0
	v_lshl_add_u64 v[26:27], v[26:27], 1, s[4:5]
	v_lshlrev_b32_e32 v28, 1, v36
	v_mov_b32_e32 v29, 0
	v_lshl_add_u64 v[26:27], v[26:27], 0, v[28:29]
	global_load_dwordx4 v[26:29], v[26:27], off offset:128
.LBB317_42:
	s_or_b64 exec, exec, s[2:3]
	v_mov_b32_e32 v32, 0
	v_mov_b32_e32 v31, 0
	;; [unrolled: 1-line block ×3, first 2 shown]
	s_and_saveexec_b64 s[2:3], s[0:1]
	s_cbranch_execz .LBB317_44
; %bb.43:
	v_mad_i64_i32 v[30:31], s[0:1], s31, v39, 0
	v_lshl_add_u64 v[30:31], v[30:31], 1, s[4:5]
	v_lshlrev_b32_e32 v32, 1, v36
	v_mov_b32_e32 v33, 0
	v_lshl_add_u64 v[30:31], v[30:31], 0, v[32:33]
	global_load_dwordx4 v[30:33], v[30:31], off offset:128
.LBB317_44:
	s_or_b64 exec, exec, s[2:3]
	s_branch .LBB317_48
.LBB317_45:
                                        ; implicit-def: $vgpr21
                                        ; implicit-def: $vgpr25
                                        ; implicit-def: $vgpr29
                                        ; implicit-def: $vgpr33
	v_lshrrev_b32_e32 v48, 2, v60
	s_branch .LBB317_49
.LBB317_46:
                                        ; implicit-def: $vgpr21
                                        ; implicit-def: $vgpr25
                                        ; implicit-def: $vgpr29
                                        ; implicit-def: $vgpr33
	s_cbranch_execz .LBB317_48
; %bb.47:
	s_waitcnt vmcnt(0)
	v_mad_u64_u32 v[18:19], s[0:1], v38, s31, v[36:37]
	v_lshlrev_b32_e32 v38, 1, v18
	s_lshl_b32 s2, s31, 7
	s_and_b32 s1, s5, 0xffff
	s_mov_b32 s3, 0x20000
	s_mov_b32 s0, s4
	v_add_lshl_u32 v39, v18, s31, 1
	s_movk_i32 s6, 0x80
	buffer_load_dwordx4 v[18:21], v38, s[0:3], 0 offen
	buffer_load_dwordx4 v[26:29], v38, s[0:3], s6 offen
	;; [unrolled: 1-line block ×4, first 2 shown]
.LBB317_48:
	v_lshrrev_b32_e32 v48, 2, v60
	s_cbranch_execnz .LBB317_61
.LBB317_49:
	s_and_b64 vcc, exec, s[14:15]
	s_cbranch_vccz .LBB317_59
; %bb.50:
	s_waitcnt vmcnt(0)
	v_lshlrev_b32_e32 v23, 1, v35
	v_cmp_gt_i32_e32 vcc, s54, v23
	v_mov_b32_e32 v22, 0
	v_lshlrev_b32_e32 v30, 9, v35
	v_mov_b32_e32 v18, 0
	v_mov_b32_e32 v19, 0
	;; [unrolled: 1-line block ×4, first 2 shown]
	s_and_saveexec_b64 s[0:1], vcc
	s_cbranch_execz .LBB317_52
; %bb.51:
	v_mov_b32_e32 v31, 0
	v_lshl_add_u64 v[18:19], s[4:5], 0, v[30:31]
	v_lshlrev_b32_e32 v20, 1, v36
	v_mov_b32_e32 v21, v31
	v_lshl_add_u64 v[18:19], v[18:19], 0, v[20:21]
	global_load_dwordx4 v[18:21], v[18:19], off
.LBB317_52:
	s_or_b64 exec, exec, s[0:1]
	v_or_b32_e32 v23, 1, v23
	v_cmp_gt_i32_e64 s[0:1], s54, v23
	v_lshlrev_b32_e32 v38, 8, v23
	v_mov_b32_e32 v23, 0
	v_mov_b32_e32 v24, 0
	;; [unrolled: 1-line block ×3, first 2 shown]
	s_and_saveexec_b64 s[2:3], s[0:1]
	s_cbranch_execz .LBB317_54
; %bb.53:
	v_mov_b32_e32 v39, 0
	v_lshl_add_u64 v[22:23], s[4:5], 0, v[38:39]
	v_lshlrev_b32_e32 v24, 1, v36
	v_mov_b32_e32 v25, v39
	v_lshl_add_u64 v[22:23], v[22:23], 0, v[24:25]
	global_load_dwordx4 v[22:25], v[22:23], off
.LBB317_54:
	s_or_b64 exec, exec, s[2:3]
	v_mov_b32_e32 v33, 0
	v_mov_b32_e32 v26, 0
	;; [unrolled: 1-line block ×5, first 2 shown]
	s_and_saveexec_b64 s[2:3], vcc
	s_cbranch_execz .LBB317_56
; %bb.55:
	v_mov_b32_e32 v31, 0
	v_lshl_add_u64 v[26:27], s[4:5], 0, v[30:31]
	v_lshlrev_b32_e32 v30, 1, v36
	v_lshl_add_u64 v[26:27], v[26:27], 0, v[30:31]
	global_load_dwordx4 v[26:29], v[26:27], off offset:128
.LBB317_56:
	s_or_b64 exec, exec, s[2:3]
	v_mov_b32_e32 v32, 0
	v_mov_b32_e32 v31, 0
	;; [unrolled: 1-line block ×3, first 2 shown]
	s_and_saveexec_b64 s[2:3], s[0:1]
	s_cbranch_execz .LBB317_58
; %bb.57:
	v_mov_b32_e32 v39, 0
	v_lshl_add_u64 v[30:31], s[4:5], 0, v[38:39]
	v_lshlrev_b32_e32 v38, 1, v36
	v_lshl_add_u64 v[30:31], v[30:31], 0, v[38:39]
	global_load_dwordx4 v[30:33], v[30:31], off offset:128
.LBB317_58:
	s_or_b64 exec, exec, s[2:3]
	s_branch .LBB317_61
.LBB317_59:
                                        ; implicit-def: $vgpr21
                                        ; implicit-def: $vgpr25
                                        ; implicit-def: $vgpr29
                                        ; implicit-def: $vgpr33
	s_cbranch_execz .LBB317_61
; %bb.60:
	s_waitcnt vmcnt(0)
	v_lshlrev_b32_e32 v18, 1, v36
	v_lshl_or_b32 v36, v35, 9, v18
	s_and_b32 s5, s5, 0xffff
	s_mov_b32 s7, 0x20000
	s_movk_i32 s6, 0x4000
	s_movk_i32 s0, 0x80
	buffer_load_dwordx4 v[18:21], v36, s[4:7], 0 offen
	buffer_load_dwordx4 v[22:25], v36, s[4:7], 0 offen offset:256
	buffer_load_dwordx4 v[26:29], v36, s[4:7], s0 offen
	buffer_load_dwordx4 v[30:33], v36, s[4:7], s0 offen offset:256
.LBB317_61:
	ds_read_b64 v[38:39], v44 offset:32768
	v_add_u32_e32 v36, 0xb000, v42
	ds_read2_b64 v[50:53], v36 offset1:16
	ds_read_b64 v[54:55], v45 offset:32768
	ds_read_b64 v[56:57], v46 offset:32768
	;; [unrolled: 1-line block ×3, first 2 shown]
	v_and_b32_e32 v36, 6, v0
	v_xor_b32_e32 v35, v35, v36
	v_lshlrev_b32_e32 v35, 2, v35
	v_and_b32_e32 v49, 1, v0
	v_cmp_eq_u32_e32 vcc, 0, v49
	s_mov_b32 s0, 0x1000504
	s_waitcnt lgkmcnt(3)
	v_mfma_f32_16x16x16_bf16 a[0:3], v[38:39], v[50:51], a[0:3]
	s_mov_b32 s1, 0x3020706
	v_mfma_f32_16x16x16_bf16 a[4:7], v[38:39], v[52:53], a[4:7]
	ds_read2st64_b64 v[44:47], v42 offset0:90 offset1:92
	ds_read2st64_b64 v[50:53], v43 offset0:90 offset1:92
	s_waitcnt lgkmcnt(1)
	v_mfma_f32_16x16x16_bf16 a[0:3], v[54:55], v[44:45], a[0:3]
	ds_read_b64 v[38:39], v42 offset:48128
	ds_read_b64 v[44:45], v43 offset:48128
	s_waitcnt lgkmcnt(2)
	v_mfma_f32_16x16x16_bf16 a[4:7], v[54:55], v[50:51], a[4:7]
	v_mfma_f32_16x16x16_bf16 a[0:3], v[56:57], v[46:47], a[0:3]
	v_xor_b32_e32 v46, 0x440, v35
	v_cndmask_b32_e32 v35, v46, v35, vcc
	v_lshl_or_b32 v35, v36, 10, v35
	v_mfma_f32_16x16x16_bf16 a[8:11], v[56:57], v[52:53], a[4:7]
	s_waitcnt vmcnt(0)
	v_perm_b32 v36, v18, v22, s0
	v_perm_b32 v18, v18, v22, s1
	v_perm_b32 v22, v26, v30, s1
	s_waitcnt lgkmcnt(1)
	v_mfma_f32_16x16x16_bf16 a[4:7], v[60:61], v[38:39], a[0:3]
	v_perm_b32 v38, v26, v30, s0
	ds_write2st64_b32 v35, v36, v38 offset0:32 offset1:64
	v_xor_b32_e32 v36, 8, v35
	v_add_u32_e32 v26, 0x80, v36
	ds_write2st64_b32 v26, v18, v22 offset0:32 offset1:64
	v_xor_b32_e32 v18, 16, v35
	v_perm_b32 v22, v19, v23, s0
	v_perm_b32 v26, v27, v31, s0
	ds_write2st64_b32 v18, v22, v26 offset0:33 offset1:65
	v_xor_b32_e32 v18, 24, v35
	v_perm_b32 v19, v19, v23, s1
	v_perm_b32 v22, v27, v31, s1
	v_add_u32_e32 v18, 0x80, v18
	ds_write2st64_b32 v18, v19, v22 offset0:33 offset1:65
	v_xor_b32_e32 v18, 32, v35
	v_perm_b32 v19, v20, v24, s0
	v_perm_b32 v22, v28, v32, s0
	ds_write2st64_b32 v18, v19, v22 offset0:34 offset1:66
	v_xor_b32_e32 v18, 40, v35
	s_waitcnt lgkmcnt(5)
	v_mfma_f32_16x16x16_bf16 a[0:3], v[60:61], v[44:45], a[8:11]
	v_perm_b32 v19, v20, v24, s1
	v_perm_b32 v20, v28, v32, s1
	v_add_u32_e32 v18, 0x80, v18
	ds_write2st64_b32 v18, v19, v20 offset0:34 offset1:66
	v_xor_b32_e32 v18, 48, v35
	v_perm_b32 v19, v21, v25, s0
	v_perm_b32 v20, v29, v33, s0
	ds_write2st64_b32 v18, v19, v20 offset0:35 offset1:67
	v_xor_b32_e32 v18, 56, v35
	v_and_or_b32 v45, v48, 12, v59
	v_perm_b32 v19, v21, v25, s1
	v_perm_b32 v20, v29, v33, s1
	v_add_u32_e32 v18, 0x80, v18
	v_cmp_gt_i32_e64 s[0:1], s54, v45
	v_mov_b32_e32 v38, 0
	v_mov_b32_e32 v39, 0
	ds_write2st64_b32 v18, v19, v20 offset0:35 offset1:67
	s_and_saveexec_b64 s[2:3], s[0:1]
	s_cbranch_execz .LBB317_63
; %bb.62:
	v_add_u32_e32 v18, s53, v45
	v_ashrrev_i32_e32 v19, 31, v18
	v_mul_lo_u32 v20, v19, s40
	v_mul_lo_u32 v21, v18, s41
	v_mad_u64_u32 v[18:19], s[4:5], v18, s40, 0
	v_add3_u32 v19, v19, v21, v20
	v_lshl_add_u64 v[18:19], v[18:19], 2, s[12:13]
	global_load_dword v18, v[18:19], off
	s_waitcnt vmcnt(0)
	v_sub_f32_e32 v18, s16, v18
	v_exp_f32_e32 v39, v18
.LBB317_63:
	s_or_b64 exec, exec, s[2:3]
	v_or_b32_e32 v30, 1, v45
	v_cmp_gt_i32_e64 s[4:5], s54, v30
	s_and_saveexec_b64 s[2:3], s[4:5]
	s_cbranch_execz .LBB317_65
; %bb.64:
	v_add_u32_e32 v18, s53, v30
	v_ashrrev_i32_e32 v19, 31, v18
	v_mul_lo_u32 v20, v19, s40
	v_mul_lo_u32 v21, v18, s41
	v_mad_u64_u32 v[18:19], s[6:7], v18, s40, 0
	v_add3_u32 v19, v19, v21, v20
	v_lshl_add_u64 v[18:19], v[18:19], 2, s[12:13]
	global_load_dword v18, v[18:19], off
	s_waitcnt vmcnt(0)
	v_sub_f32_e32 v18, s16, v18
	v_exp_f32_e32 v38, v18
.LBB317_65:
	s_or_b64 exec, exec, s[2:3]
	v_or_b32_e32 v28, 2, v45
	v_cmp_gt_i32_e64 s[2:3], s54, v28
	v_mov_b32_e32 v36, 0
	v_mov_b32_e32 v44, 0
	s_and_saveexec_b64 s[6:7], s[2:3]
	s_cbranch_execz .LBB317_67
; %bb.66:
	v_add_u32_e32 v18, s53, v28
	v_ashrrev_i32_e32 v19, 31, v18
	v_mul_lo_u32 v20, v19, s40
	v_mul_lo_u32 v21, v18, s41
	v_mad_u64_u32 v[18:19], s[14:15], v18, s40, 0
	v_add3_u32 v19, v19, v21, v20
	v_lshl_add_u64 v[18:19], v[18:19], 2, s[12:13]
	global_load_dword v18, v[18:19], off
	s_waitcnt vmcnt(0)
	v_sub_f32_e32 v18, s16, v18
	v_exp_f32_e32 v44, v18
.LBB317_67:
	s_or_b64 exec, exec, s[6:7]
	v_or_b32_e32 v29, 3, v45
	v_cmp_gt_i32_e32 vcc, s54, v29
	s_and_saveexec_b64 s[6:7], vcc
	s_cbranch_execz .LBB317_69
; %bb.68:
	v_add_u32_e32 v18, s53, v29
	v_ashrrev_i32_e32 v19, 31, v18
	v_mul_lo_u32 v20, v19, s40
	v_mul_lo_u32 v21, v18, s41
	v_mad_u64_u32 v[18:19], s[14:15], v18, s40, 0
	v_add3_u32 v19, v19, v21, v20
	v_lshl_add_u64 v[18:19], v[18:19], 2, s[12:13]
	global_load_dword v18, v[18:19], off
	s_waitcnt vmcnt(0)
	v_sub_f32_e32 v18, s16, v18
	v_exp_f32_e32 v36, v18
.LBB317_69:
	s_or_b64 exec, exec, s[6:7]
	s_add_u32 s6, s20, s10
	s_addc_u32 s7, s21, s11
	s_add_u32 s10, s26, s10
	v_ashrrev_i32_e32 v35, 31, v34
	v_accvgpr_read_b32 v21, a7
	s_addc_u32 s11, s27, s11
	v_lshlrev_b64 v[22:23], 1, v[34:35]
	v_accvgpr_read_b32 v20, a6
	v_accvgpr_read_b32 v19, a5
	;; [unrolled: 1-line block ×3, first 2 shown]
	v_lshl_add_u64 v[24:25], s[6:7], 0, v[22:23]
	v_lshl_add_u64 v[22:23], s[10:11], 0, v[22:23]
	v_mov_b32_e32 v31, 0
	v_lshlrev_b32_e32 v26, 8, v45
	v_mov_b32_e32 v27, 0
	s_and_saveexec_b64 s[6:7], s[0:1]
	s_cbranch_execz .LBB317_71
; %bb.70:
	v_mov_b32_e32 v27, 0
	v_lshl_add_u64 v[32:33], v[24:25], 0, v[26:27]
	global_load_ushort v35, v[32:33], off
	v_lshl_add_u64 v[32:33], v[22:23], 0, v[26:27]
	s_waitcnt vmcnt(0)
	v_lshlrev_b32_e32 v27, 16, v35
	v_sub_f32_e32 v18, v27, v18
	global_store_short_d16_hi v[32:33], v18, off
	v_mul_f32_e32 v18, v39, v18
	v_lshrrev_b32_e32 v27, 16, v18
.LBB317_71:
	s_or_b64 exec, exec, s[6:7]
	v_lshlrev_b32_e32 v30, 8, v30
	s_and_saveexec_b64 s[6:7], s[4:5]
	s_cbranch_execz .LBB317_73
; %bb.72:
	v_mov_b32_e32 v31, 0
	v_lshl_add_u64 v[32:33], v[24:25], 0, v[30:31]
	global_load_ushort v18, v[32:33], off
	v_lshl_add_u64 v[32:33], v[22:23], 0, v[30:31]
	s_waitcnt vmcnt(0)
	v_lshlrev_b32_e32 v18, 16, v18
	v_sub_f32_e32 v18, v18, v19
	global_store_short_d16_hi v[32:33], v18, off
	v_mul_f32_e32 v18, v38, v18
	v_lshrrev_b32_e32 v31, 16, v18
.LBB317_73:
	s_or_b64 exec, exec, s[6:7]
	v_mov_b32_e32 v46, 0
	v_lshlrev_b32_e32 v32, 8, v28
	v_mov_b32_e32 v33, 0
	s_and_saveexec_b64 s[6:7], s[2:3]
	s_cbranch_execz .LBB317_75
; %bb.74:
	v_mov_b32_e32 v33, 0
	v_lshl_add_u64 v[18:19], v[24:25], 0, v[32:33]
	global_load_ushort v28, v[18:19], off
	v_lshl_add_u64 v[18:19], v[22:23], 0, v[32:33]
	s_waitcnt vmcnt(0)
	v_lshlrev_b32_e32 v28, 16, v28
	v_sub_f32_e32 v20, v28, v20
	global_store_short_d16_hi v[18:19], v20, off
	v_mul_f32_e32 v18, v44, v20
	v_lshrrev_b32_e32 v33, 16, v18
.LBB317_75:
	s_or_b64 exec, exec, s[6:7]
	v_lshlrev_b32_e32 v28, 8, v29
	s_and_saveexec_b64 s[6:7], vcc
	s_cbranch_execz .LBB317_77
; %bb.76:
	v_mov_b32_e32 v29, 0
	v_lshl_add_u64 v[18:19], v[24:25], 0, v[28:29]
	global_load_ushort v20, v[18:19], off
	v_lshl_add_u64 v[18:19], v[22:23], 0, v[28:29]
	s_waitcnt vmcnt(0)
	v_lshlrev_b32_e32 v20, 16, v20
	v_sub_f32_e32 v20, v20, v21
	global_store_short_d16_hi v[18:19], v20, off
	v_mul_f32_e32 v18, v36, v20
	v_lshrrev_b32_e32 v46, 16, v18
.LBB317_77:
	s_or_b64 exec, exec, s[6:7]
	v_lshlrev_b32_e32 v35, 5, v45
	s_mov_b32 s6, 0x5040100
	v_perm_b32 v47, v46, v33, s6
	v_perm_b32 v46, v31, v27, s6
	v_or_b32_e32 v27, v35, v40
	v_accvgpr_read_b32 v21, a3
	v_lshlrev_b32_e32 v27, 1, v27
	v_accvgpr_read_b32 v20, a2
	v_accvgpr_read_b32 v19, a1
	;; [unrolled: 1-line block ×3, first 2 shown]
	ds_write_b64 v27, v[46:47] offset:45056
	v_mov_b32_e32 v31, 0
	v_mov_b32_e32 v27, 0
	s_and_saveexec_b64 s[6:7], s[0:1]
	s_cbranch_execz .LBB317_79
; %bb.78:
	v_mov_b32_e32 v27, 0
	v_lshl_add_u64 v[46:47], v[24:25], 0, v[26:27]
	global_load_ushort v29, v[46:47], off offset:32
	v_lshl_add_u64 v[26:27], v[22:23], 0, v[26:27]
	s_waitcnt vmcnt(0)
	v_lshlrev_b32_e32 v29, 16, v29
	v_sub_f32_e32 v18, v29, v18
	global_store_short_d16_hi v[26:27], v18, off offset:32
	v_mul_f32_e32 v18, v39, v18
	v_lshrrev_b32_e32 v27, 16, v18
.LBB317_79:
	s_or_b64 exec, exec, s[6:7]
	s_and_saveexec_b64 s[0:1], s[4:5]
	s_cbranch_execz .LBB317_81
; %bb.80:
	v_mov_b32_e32 v31, 0
	v_lshl_add_u64 v[46:47], v[24:25], 0, v[30:31]
	global_load_ushort v18, v[46:47], off offset:32
	v_lshl_add_u64 v[30:31], v[22:23], 0, v[30:31]
	s_waitcnt vmcnt(0)
	v_lshlrev_b32_e32 v18, 16, v18
	v_sub_f32_e32 v18, v18, v19
	global_store_short_d16_hi v[30:31], v18, off offset:32
	v_mul_f32_e32 v18, v38, v18
	v_lshrrev_b32_e32 v31, 16, v18
.LBB317_81:
	s_or_b64 exec, exec, s[0:1]
	v_mov_b32_e32 v26, 0
	v_mov_b32_e32 v30, 0
	s_and_saveexec_b64 s[0:1], s[2:3]
	s_cbranch_execz .LBB317_83
; %bb.82:
	v_mov_b32_e32 v33, 0
	v_lshl_add_u64 v[18:19], v[24:25], 0, v[32:33]
	global_load_ushort v29, v[18:19], off offset:32
	v_lshl_add_u64 v[18:19], v[22:23], 0, v[32:33]
	s_waitcnt vmcnt(0)
	v_lshlrev_b32_e32 v29, 16, v29
	v_sub_f32_e32 v20, v29, v20
	global_store_short_d16_hi v[18:19], v20, off offset:32
	v_mul_f32_e32 v18, v44, v20
	v_lshrrev_b32_e32 v30, 16, v18
.LBB317_83:
	s_or_b64 exec, exec, s[0:1]
	v_or_b32_e32 v19, 0xb000, v42
	v_or_b32_e32 v18, 0xb000, v43
	s_and_saveexec_b64 s[0:1], vcc
	s_cbranch_execz .LBB317_85
; %bb.84:
	v_mov_b32_e32 v29, 0
	v_lshl_add_u64 v[24:25], v[24:25], 0, v[28:29]
	global_load_ushort v20, v[24:25], off offset:32
	v_lshl_add_u64 v[22:23], v[22:23], 0, v[28:29]
	s_waitcnt vmcnt(0)
	v_lshlrev_b32_e32 v20, 16, v20
	v_sub_f32_e32 v20, v20, v21
	global_store_short_d16_hi v[22:23], v20, off offset:32
	v_mul_f32_e32 v20, v36, v20
	v_lshrrev_b32_e32 v26, 16, v20
.LBB317_85:
	s_or_b64 exec, exec, s[0:1]
	s_mov_b32 s0, 0x5040100
	v_or_b32_e32 v22, v35, v37
	v_perm_b32 v21, v26, v30, s0
	v_perm_b32 v20, v31, v27, s0
	v_lshlrev_b32_e32 v22, 1, v22
	s_movk_i32 s0, 0x100
	ds_write_b64 v22, v[20:21] offset:45056
	v_and_b32_e32 v20, 7, v0
	v_and_b32_e32 v21, 8, v0
	v_cmp_gt_u32_e32 vcc, s0, v0
	v_lshrrev_b32_e32 v0, 1, v0
	v_lshlrev_b32_e32 v35, 3, v20
	v_lshlrev_b32_e32 v36, 7, v20
	v_mov_b32_e32 v20, 0x4000
	v_mov_b32_e32 v22, 0x2000
	v_lshlrev_b32_e32 v38, 3, v58
	v_and_b32_e32 v0, 24, v0
	v_cndmask_b32_e32 v37, v20, v22, vcc
	v_xor_b32_e32 v20, v38, v0
	v_or_b32_e32 v26, 32, v0
	v_or_b32_e32 v22, 0x440, v20
	v_cmp_eq_u32_e32 vcc, 0, v21
	v_xor_b32_e32 v26, v38, v26
	v_or_b32_e32 v27, 0x440, v26
	v_cndmask_b32_e32 v20, v22, v20, vcc
	v_or_b32_e32 v20, v20, v41
	v_cndmask_b32_e32 v26, v27, v26, vcc
	v_xad_u32 v40, v20, v35, v36
	v_or_b32_e32 v26, v26, v41
	v_add_u32_e32 v20, v37, v40
	v_xad_u32 v42, v26, v35, v36
	s_waitcnt lgkmcnt(0)
	s_barrier
	ds_read_b64 v[24:25], v20
	ds_read2_b64 v[20:23], v19 offset1:16
	v_add_u32_e32 v26, v37, v42
	ds_read_b64 v[32:33], v26
	s_waitcnt lgkmcnt(1)
	v_mfma_f32_16x16x16_bf16 a[0:3], v[24:25], v[20:21], 0
	ds_read2st64_b64 v[28:31], v18 offset0:2 offset1:4
	v_mfma_f32_16x16x16_bf16 a[4:7], v[24:25], v[22:23], 0
	ds_read2st64_b64 v[24:27], v19 offset0:2 offset1:4
	s_waitcnt lgkmcnt(0)
	v_mfma_f32_16x16x16_bf16 a[0:3], v[32:33], v[24:25], a[0:3]
	v_mfma_f32_16x16x16_bf16 a[4:7], v[32:33], v[28:29], a[4:7]
	v_or_b32_e32 v32, 64, v0
	v_xor_b32_e32 v32, v38, v32
	v_xor_b32_e32 v33, 0x440, v32
	v_cndmask_b32_e32 v32, v33, v32, vcc
	v_or_b32_e32 v32, v32, v41
	v_xad_u32 v43, v32, v35, v36
	v_add_u32_e32 v32, v37, v43
	ds_read_b64 v[32:33], v32
	v_or_b32_e32 v0, 0x60, v0
	v_xor_b32_e32 v0, v38, v0
	v_xor_b32_e32 v38, 0x440, v0
	v_cndmask_b32_e32 v0, v38, v0, vcc
	v_or_b32_e32 v0, v0, v41
	v_xad_u32 v0, v0, v35, v36
	v_add_u32_e32 v35, v37, v0
	ds_read_b64 v[36:37], v35
	s_waitcnt lgkmcnt(1)
	v_mfma_f32_16x16x16_bf16 a[0:3], v[32:33], v[26:27], a[0:3]
	v_exp_f32_e32 v35, s16
	v_mfma_f32_16x16x16_bf16 a[4:7], v[32:33], v[30:31], a[4:7]
	ds_read_b64 v[32:33], v19 offset:3072
	ds_read_b64 v[38:39], v18 offset:3072
	;; [unrolled: 1-line block ×3, first 2 shown]
	s_waitcnt lgkmcnt(0)
	v_mfma_f32_16x16x16_bf16 a[8:11], v[18:19], v[20:21], 0
	ds_read_b64 v[20:21], v42 offset:16384
	v_mfma_f32_16x16x16_bf16 a[0:3], v[36:37], v[32:33], a[0:3]
	v_mfma_f32_16x16x16_bf16 a[12:15], v[18:19], v[22:23], 0
	ds_read_b64 v[22:23], v43 offset:16384
	s_nop 4
	v_accvgpr_read_b32 v18, a0
	v_fma_f32 v18, v2, v35, v18
	v_accvgpr_read_b32 v2, a1
	v_fma_f32 v19, v3, v35, v2
	v_accvgpr_read_b32 v2, a2
	s_waitcnt lgkmcnt(1)
	v_mfma_f32_16x16x16_bf16 a[8:11], v[20:21], v[24:25], a[8:11]
	v_mfma_f32_16x16x16_bf16 a[12:15], v[20:21], v[28:29], a[12:15]
	v_fma_f32 v20, v4, v35, v2
	ds_read_b64 v[2:3], v0 offset:16384
	v_accvgpr_read_b32 v21, a3
	s_waitcnt lgkmcnt(1)
	v_mfma_f32_16x16x16_bf16 a[0:3], v[22:23], v[26:27], a[8:11]
	v_fmac_f32_e32 v21, v5, v35
	v_mfma_f32_16x16x16_bf16 a[4:7], v[36:37], v[38:39], a[4:7]
	v_mfma_f32_16x16x16_bf16 a[8:11], v[22:23], v[30:31], a[12:15]
	s_waitcnt lgkmcnt(0)
	v_mfma_f32_16x16x16_bf16 a[0:3], v[2:3], v[32:33], a[0:3]
	s_nop 3
	v_accvgpr_read_b32 v0, a4
	v_fma_f32 v26, v10, v35, v0
	v_accvgpr_read_b32 v0, a5
	v_fma_f32 v27, v11, v35, v0
	v_accvgpr_read_b32 v0, a6
	v_accvgpr_read_b32 v29, a7
	v_mfma_f32_16x16x16_bf16 a[4:7], v[2:3], v[38:39], a[8:11]
	v_fma_f32 v28, v12, v35, v0
	v_accvgpr_read_b32 v0, a0
	v_fma_f32 v22, v6, v35, v0
	v_accvgpr_read_b32 v0, a1
	;; [unrolled: 2-line block ×5, first 2 shown]
	v_accvgpr_read_b32 v25, a3
	v_fma_f32 v31, v15, v35, v0
	v_accvgpr_read_b32 v0, a6
	v_accvgpr_read_b32 v33, a7
	v_fmac_f32_e32 v29, v13, v35
	v_fmac_f32_e32 v25, v9, v35
	v_fma_f32 v32, v16, v35, v0
	v_fmac_f32_e32 v33, v17, v35
	v_mov_b64_e32 v[2:3], v[18:19]
	v_mov_b64_e32 v[4:5], v[20:21]
	;; [unrolled: 1-line block ×8, first 2 shown]
	v_mov_b32_e32 v18, v34
.LBB317_86:
	s_lshl_b64 s[0:1], s[8:9], 15
	s_waitcnt lgkmcnt(0)
	s_add_u32 s0, s34, s0
	v_lshlrev_b32_e32 v18, 7, v18
	s_addc_u32 s1, s35, s1
	v_ashrrev_i32_e32 v19, 31, v18
	v_lshl_add_u64 v[20:21], v[18:19], 1, s[0:1]
	v_lshlrev_b32_e32 v0, 1, v1
	v_mov_b32_e32 v1, 0
	s_mov_b32 s2, 0x7060302
	v_lshl_add_u64 v[20:21], v[20:21], 0, v[0:1]
	v_perm_b32 v5, v5, v4, s2
	v_perm_b32 v4, v3, v2, s2
	;; [unrolled: 1-line block ×4, first 2 shown]
	global_store_dwordx2 v[20:21], v[2:3], off offset:128
	v_or_b32_e32 v2, 0x800, v18
	v_ashrrev_i32_e32 v3, 31, v2
	v_lshl_add_u64 v[2:3], v[2:3], 1, s[0:1]
	v_lshl_add_u64 v[0:1], v[2:3], 0, v[0:1]
	v_perm_b32 v3, v13, v12, s2
	v_perm_b32 v2, v11, v10, s2
	global_store_dwordx2 v[0:1], v[2:3], off
	v_perm_b32 v3, v17, v16, s2
	v_perm_b32 v2, v15, v14, s2
	global_store_dwordx2 v[20:21], v[4:5], off
	global_store_dwordx2 v[0:1], v[2:3], off offset:128
	s_endpgm
	.section	.rodata,"a",@progbits
	.p2align	6, 0x0
	.amdhsa_kernel _ZN12_GLOBAL__N_139chunk_gated_delta_rule_fwd_h_hip_kernelILi32ELb0ELb1ELb1ELb0ELb1ELb0ELb0ELb1EEEvPK12hip_bfloat16S3_S3_PKfS5_PKvPS1_S8_PvPKiSB_iiiiilll
		.amdhsa_group_segment_fixed_size 49152
		.amdhsa_private_segment_fixed_size 0
		.amdhsa_kernarg_size 136
		.amdhsa_user_sgpr_count 2
		.amdhsa_user_sgpr_dispatch_ptr 0
		.amdhsa_user_sgpr_queue_ptr 0
		.amdhsa_user_sgpr_kernarg_segment_ptr 1
		.amdhsa_user_sgpr_dispatch_id 0
		.amdhsa_user_sgpr_kernarg_preload_length 0
		.amdhsa_user_sgpr_kernarg_preload_offset 0
		.amdhsa_user_sgpr_private_segment_size 0
		.amdhsa_uses_dynamic_stack 0
		.amdhsa_enable_private_segment 0
		.amdhsa_system_sgpr_workgroup_id_x 1
		.amdhsa_system_sgpr_workgroup_id_y 1
		.amdhsa_system_sgpr_workgroup_id_z 0
		.amdhsa_system_sgpr_workgroup_info 0
		.amdhsa_system_vgpr_workitem_id 0
		.amdhsa_next_free_vgpr 148
		.amdhsa_next_free_sgpr 68
		.amdhsa_accum_offset 132
		.amdhsa_reserve_vcc 1
		.amdhsa_float_round_mode_32 0
		.amdhsa_float_round_mode_16_64 0
		.amdhsa_float_denorm_mode_32 3
		.amdhsa_float_denorm_mode_16_64 3
		.amdhsa_dx10_clamp 1
		.amdhsa_ieee_mode 1
		.amdhsa_fp16_overflow 0
		.amdhsa_tg_split 0
		.amdhsa_exception_fp_ieee_invalid_op 0
		.amdhsa_exception_fp_denorm_src 0
		.amdhsa_exception_fp_ieee_div_zero 0
		.amdhsa_exception_fp_ieee_overflow 0
		.amdhsa_exception_fp_ieee_underflow 0
		.amdhsa_exception_fp_ieee_inexact 0
		.amdhsa_exception_int_div_zero 0
	.end_amdhsa_kernel
	.section	.text._ZN12_GLOBAL__N_139chunk_gated_delta_rule_fwd_h_hip_kernelILi32ELb0ELb1ELb1ELb0ELb1ELb0ELb0ELb1EEEvPK12hip_bfloat16S3_S3_PKfS5_PKvPS1_S8_PvPKiSB_iiiiilll,"axG",@progbits,_ZN12_GLOBAL__N_139chunk_gated_delta_rule_fwd_h_hip_kernelILi32ELb0ELb1ELb1ELb0ELb1ELb0ELb0ELb1EEEvPK12hip_bfloat16S3_S3_PKfS5_PKvPS1_S8_PvPKiSB_iiiiilll,comdat
.Lfunc_end317:
	.size	_ZN12_GLOBAL__N_139chunk_gated_delta_rule_fwd_h_hip_kernelILi32ELb0ELb1ELb1ELb0ELb1ELb0ELb0ELb1EEEvPK12hip_bfloat16S3_S3_PKfS5_PKvPS1_S8_PvPKiSB_iiiiilll, .Lfunc_end317-_ZN12_GLOBAL__N_139chunk_gated_delta_rule_fwd_h_hip_kernelILi32ELb0ELb1ELb1ELb0ELb1ELb0ELb0ELb1EEEvPK12hip_bfloat16S3_S3_PKfS5_PKvPS1_S8_PvPKiSB_iiiiilll
                                        ; -- End function
	.section	.AMDGPU.csdata,"",@progbits
; Kernel info:
; codeLenInByte = 9692
; NumSgprs: 74
; NumVgprs: 132
; NumAgprs: 16
; TotalNumVgprs: 148
; ScratchSize: 0
; MemoryBound: 0
; FloatMode: 240
; IeeeMode: 1
; LDSByteSize: 49152 bytes/workgroup (compile time only)
; SGPRBlocks: 9
; VGPRBlocks: 18
; NumSGPRsForWavesPerEU: 74
; NumVGPRsForWavesPerEU: 148
; AccumOffset: 132
; Occupancy: 1
; WaveLimiterHint : 1
; COMPUTE_PGM_RSRC2:SCRATCH_EN: 0
; COMPUTE_PGM_RSRC2:USER_SGPR: 2
; COMPUTE_PGM_RSRC2:TRAP_HANDLER: 0
; COMPUTE_PGM_RSRC2:TGID_X_EN: 1
; COMPUTE_PGM_RSRC2:TGID_Y_EN: 1
; COMPUTE_PGM_RSRC2:TGID_Z_EN: 0
; COMPUTE_PGM_RSRC2:TIDIG_COMP_CNT: 0
; COMPUTE_PGM_RSRC3_GFX90A:ACCUM_OFFSET: 32
; COMPUTE_PGM_RSRC3_GFX90A:TG_SPLIT: 0
	.section	.text._ZN12_GLOBAL__N_139chunk_gated_delta_rule_fwd_h_hip_kernelILi32ELb0ELb1ELb0ELb0ELb1ELb0ELb0ELb1EEEvPK12hip_bfloat16S3_S3_PKfS5_PKvPS1_S8_PvPKiSB_iiiiilll,"axG",@progbits,_ZN12_GLOBAL__N_139chunk_gated_delta_rule_fwd_h_hip_kernelILi32ELb0ELb1ELb0ELb0ELb1ELb0ELb0ELb1EEEvPK12hip_bfloat16S3_S3_PKfS5_PKvPS1_S8_PvPKiSB_iiiiilll,comdat
	.globl	_ZN12_GLOBAL__N_139chunk_gated_delta_rule_fwd_h_hip_kernelILi32ELb0ELb1ELb0ELb0ELb1ELb0ELb0ELb1EEEvPK12hip_bfloat16S3_S3_PKfS5_PKvPS1_S8_PvPKiSB_iiiiilll ; -- Begin function _ZN12_GLOBAL__N_139chunk_gated_delta_rule_fwd_h_hip_kernelILi32ELb0ELb1ELb0ELb0ELb1ELb0ELb0ELb1EEEvPK12hip_bfloat16S3_S3_PKfS5_PKvPS1_S8_PvPKiSB_iiiiilll
	.p2align	8
	.type	_ZN12_GLOBAL__N_139chunk_gated_delta_rule_fwd_h_hip_kernelILi32ELb0ELb1ELb0ELb0ELb1ELb0ELb0ELb1EEEvPK12hip_bfloat16S3_S3_PKfS5_PKvPS1_S8_PvPKiSB_iiiiilll,@function
_ZN12_GLOBAL__N_139chunk_gated_delta_rule_fwd_h_hip_kernelILi32ELb0ELb1ELb0ELb0ELb1ELb0ELb0ELb1EEEvPK12hip_bfloat16S3_S3_PKfS5_PKvPS1_S8_PvPKiSB_iiiiilll: ; @_ZN12_GLOBAL__N_139chunk_gated_delta_rule_fwd_h_hip_kernelILi32ELb0ELb1ELb0ELb0ELb1ELb0ELb0ELb1EEEvPK12hip_bfloat16S3_S3_PKfS5_PKvPS1_S8_PvPKiSB_iiiiilll
; %bb.0:
	s_load_dwordx4 s[24:27], s[0:1], 0x5c
	s_load_dwordx4 s[28:31], s[0:1], 0x70
	s_abs_i32 s6, s3
	s_ashr_i32 s5, s3, 31
	s_load_dwordx8 s[16:23], s[0:1], 0x0
	s_waitcnt lgkmcnt(0)
	s_abs_i32 s4, s25
	v_cvt_f32_u32_e32 v1, s4
	s_sub_i32 s8, 0, s4
	s_ashr_i32 s7, s25, 31
	s_xor_b32 s5, s5, s7
	v_rcp_iflag_f32_e32 v1, v1
	s_load_dwordx2 s[34:35], s[0:1], 0x40
	s_load_dwordx2 s[38:39], s[0:1], 0x30
	;; [unrolled: 1-line block ×3, first 2 shown]
	s_mov_b32 s0, 0
	v_mul_f32_e32 v1, 0x4f7ffffe, v1
	v_cvt_u32_f32_e32 v1, v1
	v_lshrrev_b32_e32 v56, 6, v0
	v_bfe_u32 v59, v0, 4, 2
	v_lshlrev_b32_e32 v57, 4, v56
	v_readfirstlane_b32 s9, v1
	s_mul_i32 s8, s8, s9
	s_mul_hi_u32 s8, s9, s8
	s_add_i32 s9, s9, s8
	s_mul_hi_u32 s8, s6, s9
	s_mul_i32 s9, s8, s4
	s_sub_i32 s6, s6, s9
	s_add_i32 s10, s8, 1
	s_sub_i32 s9, s6, s4
	s_cmp_ge_u32 s6, s4
	s_cselect_b32 s8, s10, s8
	s_cselect_b32 s6, s9, s6
	s_add_i32 s9, s8, 1
	s_cmp_ge_u32 s6, s4
	s_cselect_b32 s6, s9, s8
	s_xor_b32 s6, s6, s5
	s_sub_i32 s49, s6, s5
	s_abs_i32 s6, s26
	v_cvt_f32_u32_e32 v1, s6
	s_mul_i32 s47, s49, s25
	s_sub_i32 s33, s3, s47
	s_add_i32 s3, s24, 63
	v_rcp_iflag_f32_e32 v1, v1
	s_ashr_i32 s5, s3, 31
	s_lshr_b32 s5, s5, 26
	s_ashr_i32 s48, s24, 31
	v_mul_f32_e32 v1, 0x4f7ffffe, v1
	v_cvt_u32_f32_e32 v1, v1
	s_add_i32 s3, s3, s5
	s_lshr_b32 s5, s48, 26
	s_add_i32 s5, s24, s5
	s_ashr_i32 s44, s26, 31
	s_ashr_i32 s51, s5, 6
	s_xor_b32 s5, s7, s44
	s_sub_i32 s7, 0, s6
	v_readfirstlane_b32 s8, v1
	s_mul_i32 s7, s7, s8
	s_mul_hi_u32 s7, s8, s7
	s_add_i32 s8, s8, s7
	s_mul_hi_u32 s7, s4, s8
	s_mul_i32 s8, s7, s6
	s_sub_i32 s4, s4, s8
	s_ashr_i32 s3, s3, 6
	s_add_i32 s8, s7, 1
	s_sub_i32 s9, s4, s6
	s_cmp_ge_u32 s4, s6
	s_cselect_b32 s7, s8, s7
	s_cselect_b32 s4, s9, s4
	s_add_i32 s8, s7, 1
	s_cmp_ge_u32 s4, s6
	s_cselect_b32 s4, s8, s7
	s_xor_b32 s4, s4, s5
	s_sub_i32 s4, s4, s5
	s_abs_i32 s5, s4
	v_cvt_f32_u32_e32 v1, s5
	s_sub_i32 s6, 0, s5
	s_xor_b32 s1, s33, s4
	s_abs_i32 s4, s33
	v_rcp_iflag_f32_e32 v1, v1
	s_ashr_i32 s1, s1, 31
	v_lshlrev_b32_e32 v18, 2, v59
	s_mov_b32 s14, s0
	v_mul_f32_e32 v1, 0x4f7ffffe, v1
	v_cvt_u32_f32_e32 v1, v1
	s_mov_b32 s15, s0
	v_and_b32_e32 v58, 63, v0
	s_mul_i32 s53, s49, s3
	v_readfirstlane_b32 s7, v1
	s_mul_i32 s6, s6, s7
	s_mul_hi_u32 s6, s7, s6
	s_add_i32 s7, s7, s6
	s_mul_hi_u32 s6, s4, s7
	s_mul_i32 s7, s6, s5
	s_sub_i32 s4, s4, s7
	s_add_i32 s7, s6, 1
	s_sub_i32 s8, s4, s5
	s_cmp_ge_u32 s4, s5
	s_cselect_b32 s6, s7, s6
	s_cselect_b32 s4, s8, s4
	s_add_i32 s7, s6, 1
	s_cmp_ge_u32 s4, s5
	s_cselect_b32 s4, s7, s6
	s_xor_b32 s4, s4, s1
	s_sub_i32 s54, s4, s1
	v_or_b32_e32 v1, v18, v57
	s_lshl_b32 s40, s2, 5
	s_mov_b32 s1, s0
	s_mov_b32 s2, s0
	;; [unrolled: 1-line block ×13, first 2 shown]
	v_mov_b64_e32 v[16:17], s[14:15]
	v_and_b32_e32 v60, 15, v0
	v_or_b32_e32 v63, 64, v1
	s_cmp_lt_i32 s24, 64
	v_mov_b64_e32 v[14:15], s[12:13]
	v_mov_b64_e32 v[12:13], s[10:11]
	;; [unrolled: 1-line block ×7, first 2 shown]
	s_mul_hi_i32 s55, s49, s25
	v_lshrrev_b32_e32 v62, 3, v58
	v_lshlrev_b32_e32 v61, 3, v0
	s_mul_i32 s29, s49, s29
	s_mul_hi_u32 s46, s49, s28
	s_mul_i32 s12, s49, s28
	s_cbranch_scc1 .LBB318_19
; %bb.1:
	s_ashr_i32 s8, s49, 31
	s_ashr_i32 s50, s33, 31
	s_add_u32 s0, s47, s33
	s_addc_u32 s1, s55, s50
	s_mul_i32 s1, s24, s1
	s_mul_hi_u32 s2, s24, s0
	s_add_i32 s3, s2, s1
	s_mul_i32 s2, s24, s0
	s_lshl_b64 s[0:1], s[2:3], 8
	v_and_b32_e32 v9, 56, v61
	s_add_u32 s4, s18, s0
	v_lshl_or_b32 v5, v56, 3, v62
	v_lshlrev_b32_e32 v2, 1, v9
	s_addc_u32 s0, s19, s1
	v_lshl_or_b32 v13, v5, 8, v2
	s_and_b32 s5, s0, 0xffff
	s_mov_b32 s7, 0x20000
	s_movk_i32 s6, 0x4000
	s_movk_i32 s0, 0x80
	v_or_b32_e32 v17, 0x2000, v13
	buffer_load_dwordx4 v[20:23], v13, s[4:7], 0 offen
	buffer_load_dwordx4 v[24:27], v13, s[4:7], s0 offen
	;; [unrolled: 1-line block ×4, first 2 shown]
	v_lshlrev_b32_e32 v3, 3, v5
	v_and_or_b32 v6, v0, 7, v3
	v_and_b32_e32 v3, 0x78, v3
	v_lshlrev_b32_e32 v6, 4, v6
	v_xor_b32_e32 v64, v6, v3
	v_mul_lo_u32 v4, v5, s27
	v_or_b32_e32 v65, 0x1000, v64
	v_xor_b32_e32 v3, 8, v64
	s_cmpk_eq_i32 s27, 0x80
	s_mov_b32 s45, s26
	v_xor_b32_e32 v6, 8, v65
	s_cselect_b64 s[0:1], -1, 0
	s_cmpk_lg_i32 s27, 0x80
	s_waitcnt vmcnt(3)
	ds_write_b64 v64, v[20:21] offset:24576
	ds_write_b64 v3, v[22:23] offset:24576
	s_waitcnt vmcnt(2)
	ds_write_b64 v64, v[24:25] offset:32768
	ds_write_b64 v3, v[26:27] offset:32768
	;; [unrolled: 3-line block ×4, first 2 shown]
	v_lshl_add_u32 v3, v4, 1, v9
	s_cbranch_scc0 .LBB318_3
; %bb.2:
	v_lshlrev_b32_e32 v6, 1, v3
	v_add_lshl_u32 v4, v3, s27, 1
	s_lshl_b32 s6, s27, 7
	v_lshl_or_b32 v2, v5, 9, v2
	s_cbranch_execz .LBB318_4
	s_branch .LBB318_5
.LBB318_3:
                                        ; implicit-def: $vgpr4
                                        ; implicit-def: $vgpr6
                                        ; implicit-def: $sgpr6
	v_lshl_or_b32 v2, v5, 9, v2
.LBB318_4:
	v_or_b32_e32 v4, 0x100, v2
	s_movk_i32 s6, 0x4000
	v_mov_b32_e32 v6, v2
.LBB318_5:
	s_mul_hi_u32 s4, s26, s24
	s_mul_i32 s5, s44, s24
	s_add_i32 s4, s4, s5
	s_mul_i32 s5, s26, s24
	s_mul_i32 s7, s5, s8
	s_mul_hi_u32 s9, s5, s49
	s_add_i32 s7, s9, s7
	s_mul_i32 s4, s4, s49
	s_add_i32 s7, s7, s4
	s_mul_i32 s5, s5, s49
	s_ashr_i32 s52, s54, 31
	s_add_u32 s4, s5, s54
	s_addc_u32 s5, s7, s52
	s_lshl_b64 s[4:5], s[4:5], 8
	s_add_u32 s4, s16, s4
	s_addc_u32 s5, s17, s5
	s_and_b32 s5, s5, 0xffff
	s_mov_b32 s7, 0x20000
	s_movk_i32 s56, 0x80
	buffer_load_dwordx4 v[20:23], v6, s[4:7], 0 offen
	buffer_load_dwordx4 v[24:27], v6, s[4:7], s56 offen
	;; [unrolled: 1-line block ×4, first 2 shown]
	v_and_b32_e32 v4, 6, v0
	v_lshlrev_b32_e32 v8, 6, v1
	v_or_b32_e32 v11, 16, v60
	v_xor_b32_e32 v12, v5, v4
	v_and_b32_e32 v6, 1, v0
	s_mul_i32 s4, s8, s24
	s_mul_hi_u32 s5, s49, s24
	v_lshl_or_b32 v16, v60, 3, v8
	v_lshl_or_b32 v8, v11, 3, v8
	v_lshlrev_b32_e32 v12, 2, v12
	v_lshlrev_b32_e32 v7, 2, v60
	v_or_b32_e32 v68, 0xa000, v8
	v_or_b32_e32 v69, 0xb000, v8
	v_xor_b32_e32 v8, 0x440, v12
	v_cmp_eq_u32_e32 vcc, 0, v6
	s_add_i32 s61, s5, s4
	s_add_i32 s4, s46, s29
	s_mul_i32 s8, s8, s28
	v_xor_b32_e32 v14, v1, v7
	v_xor_b32_e32 v15, v63, v7
	v_cndmask_b32_e32 v6, v8, v12, vcc
	s_add_i32 s13, s4, s8
	s_mul_i32 s4, s33, s31
	s_mul_hi_u32 s5, s33, s30
	s_mov_b32 s58, 0x1000504
	v_lshlrev_b32_e32 v10, 8, v60
	v_lshlrev_b32_e32 v14, 1, v14
	;; [unrolled: 1-line block ×3, first 2 shown]
	v_lshl_or_b32 v4, v4, 10, v6
	s_add_i32 s4, s5, s4
	s_mul_i32 s5, s50, s30
	s_mov_b32 s59, 0x3020706
	v_or_b32_e32 v66, 0xa000, v16
	v_or_b32_e32 v67, 0xb000, v16
	v_or_b32_e32 v70, v10, v14
	v_or_b32_e32 v71, v10, v15
	v_xor_b32_e32 v6, 8, v4
	v_xor_b32_e32 v10, 24, v4
	;; [unrolled: 1-line block ×4, first 2 shown]
	s_add_i32 s5, s4, s5
	s_lshl_b64 s[8:9], s[12:13], 2
	v_xor_b32_e32 v8, 16, v4
	v_xor_b32_e32 v12, 32, v4
	;; [unrolled: 1-line block ×3, first 2 shown]
	v_add_u32_e32 v6, 0x80, v6
	v_add_u32_e32 v10, 0x80, v10
	;; [unrolled: 1-line block ×4, first 2 shown]
	s_mul_i32 s4, s33, s30
	s_add_u32 s6, s22, s8
	s_addc_u32 s8, s23, s9
	s_lshl_b64 s[4:5], s[4:5], 2
	s_add_u32 s14, s6, s4
	s_movk_i32 s4, 0xf8
	s_addc_u32 s15, s8, s5
	s_ashr_i32 s41, s40, 31
	s_lshl_b32 s10, s27, 7
	s_movk_i32 s8, 0x100
	v_mov_b32_e32 v51, 0
	v_lshlrev_b32_e32 v50, 4, v60
	v_cmp_gt_u32_e32 vcc, s8, v0
	s_mov_b32 s57, 0
	s_mul_i32 s60, s49, s24
	s_movk_i32 s13, 0x1000
	s_movk_i32 s6, 0x4000
	v_add_u32_e32 v91, v57, v18
	s_mov_b32 s63, 0
	v_mov_b32_e32 v97, v51
	v_mov_b32_e32 v96, v51
	;; [unrolled: 1-line block ×4, first 2 shown]
	s_waitcnt vmcnt(1)
	v_perm_b32 v37, v20, v28, s58
	s_waitcnt vmcnt(0)
	v_perm_b32 v38, v24, v32, s58
	v_perm_b32 v20, v20, v28, s59
	;; [unrolled: 1-line block ×15, first 2 shown]
	ds_write2st64_b32 v4, v37, v38 offset0:32 offset1:64
	ds_write2st64_b32 v6, v20, v24 offset0:32 offset1:64
	;; [unrolled: 1-line block ×8, first 2 shown]
	v_lshlrev_b32_e32 v4, 8, v11
	v_or_b32_e32 v72, v4, v14
	v_or_b32_e32 v73, v4, v15
	;; [unrolled: 1-line block ×3, first 2 shown]
	v_lshlrev_b32_e32 v4, 3, v4
	v_lshrrev_b32_e32 v10, 5, v58
	v_and_or_b32 v10, v4, s4, v10
	v_lshlrev_b32_e32 v8, 11, v56
	v_lshlrev_b32_e32 v10, 4, v10
	v_and_b32_e32 v4, 0x78, v4
	v_and_b32_e32 v6, 0x1000, v8
	v_xor_b32_e32 v11, v10, v4
	v_lshrrev_b32_e32 v12, 1, v0
	v_or_b32_e32 v11, v11, v6
	v_and_b32_e32 v14, 8, v12
	v_xor_b32_e32 v74, v11, v14
	v_or_b32_e32 v11, 32, v10
	v_xor_b32_e32 v11, v11, v4
	v_or_b32_e32 v11, v11, v6
	;; [unrolled: 2-line block ×4, first 2 shown]
	s_lshl_b64 s[4:5], s[40:41], 8
	v_or_b32_e32 v11, v11, v6
	v_xor_b32_e32 v4, v10, v4
	s_waitcnt lgkmcnt(0)
	s_add_u32 s4, s38, s4
	v_lshlrev_b32_e32 v10, 1, v60
	v_xor_b32_e32 v78, v11, v14
	v_lshrrev_b32_e32 v19, 4, v0
	s_addc_u32 s5, s39, s5
	v_or_b32_e32 v11, 1, v10
	v_mov_b32_e32 v23, 0x4000
	v_mov_b32_e32 v24, 0x2000
	v_xor_b32_e32 v20, v19, v10
	v_xor_b32_e32 v21, v11, v19
	v_lshl_add_u64 v[10:11], s[4:5], 0, v[50:51]
	v_lshlrev_b32_e32 v50, 8, v19
	v_cndmask_b32_e32 v23, v23, v24, vcc
	v_lshlrev_b32_e32 v24, 3, v56
	v_and_b32_e32 v12, 24, v12
	v_lshl_or_b32 v82, v20, 3, v50
	v_and_b32_e32 v20, 8, v0
	v_xor_b32_e32 v25, v24, v12
	v_or_b32_e32 v26, 0x440, v25
	v_cmp_eq_u32_e32 vcc, 0, v20
	v_and_b32_e32 v19, 7, v0
	v_lshlrev_b32_e32 v15, 7, v59
	v_cndmask_b32_e32 v20, v26, v25, vcc
	v_lshl_or_b32 v83, v21, 3, v50
	v_lshlrev_b32_e32 v21, 3, v19
	v_lshlrev_b32_e32 v19, 7, v19
	;; [unrolled: 1-line block ×3, first 2 shown]
	v_or_b32_e32 v20, v20, v8
	v_or_b32_e32 v7, v15, v7
	v_xad_u32 v84, v20, v21, v19
	v_and_or_b32 v15, v22, 60, v15
	v_mov_b32_e32 v20, 0xb000
	v_lshl_or_b32 v85, v15, 1, v20
	v_or_b32_e32 v15, 32, v12
	v_xor_b32_e32 v15, v24, v15
	v_or_b32_e32 v20, 0x440, v15
	v_cndmask_b32_e32 v15, v20, v15, vcc
	v_or_b32_e32 v15, v15, v8
	v_xad_u32 v86, v15, v21, v19
	v_or_b32_e32 v15, 64, v12
	v_xor_b32_e32 v15, v24, v15
	v_xor_b32_e32 v20, 0x440, v15
	v_cndmask_b32_e32 v15, v20, v15, vcc
	v_or_b32_e32 v12, 0x60, v12
	v_or_b32_e32 v15, v15, v8
	v_xor_b32_e32 v12, v24, v12
	v_xad_u32 v87, v15, v21, v19
	v_xor_b32_e32 v15, 0x440, v12
	v_cndmask_b32_e32 v12, v15, v12, vcc
	v_lshlrev_b32_e32 v7, 1, v7
	v_or_b32_e32 v4, v4, v6
	v_or_b32_e32 v6, s40, v60
	;; [unrolled: 1-line block ×5, first 2 shown]
	v_xor_b32_e32 v79, v4, v14
	v_or_b32_e32 v80, 0xb000, v7
	v_or_b32_e32 v81, 0xb080, v7
	v_lshlrev_b32_e32 v4, 7, v1
	v_ashrrev_i32_e32 v7, 31, v6
	v_lshlrev_b32_e32 v14, 1, v3
	v_add_lshl_u32 v3, v3, s27, 1
	v_or_b32_e32 v16, 0x100, v2
	v_xad_u32 v88, v8, v21, v19
	v_cndmask_b32_e64 v89, v14, v2, s[0:1]
	v_cndmask_b32_e64 v90, v3, v16, s[0:1]
	v_lshl_add_u64 v[52:53], v[6:7], 1, s[20:21]
	v_lshl_add_u64 v[54:55], v[10:11], 0, v[50:51]
	s_mov_b32 s41, 0x7060302
	v_lshlrev_b32_e32 v50, 1, v4
	v_add_u32_e32 v92, v23, v84
	v_add_u32_e32 v93, v23, v86
	;; [unrolled: 1-line block ×4, first 2 shown]
	v_mov_b32_e32 v2, v51
	v_mov_b32_e32 v3, v51
	;; [unrolled: 1-line block ×12, first 2 shown]
	s_barrier
.LBB318_6:                              ; =>This Inner Loop Header: Depth=1
	s_add_i32 s62, s63, 1
	s_cmp_lt_i32 s62, s51
	s_mov_b64 s[8:9], 0
	s_cselect_b64 s[42:43], -1, 0
	s_cmp_ge_i32 s62, s51
	s_mov_b64 s[4:5], 0
	s_cbranch_scc1 .LBB318_8
; %bb.7:                                ;   in Loop: Header=BB318_6 Depth=1
	s_add_i32 s0, s57, 64
	s_add_u32 s0, s2, s0
	s_addc_u32 s1, s3, 0
	s_lshl_b64 s[0:1], s[0:1], 8
	s_add_u32 s4, s18, s0
	s_addc_u32 s5, s19, s1
.LBB318_8:                              ;   in Loop: Header=BB318_6 Depth=1
	v_cndmask_b32_e64 v18, 0, 1, s[42:43]
	v_cmp_ne_u32_e64 s[0:1], 1, v18
	s_andn2_b64 vcc, exec, s[42:43]
	s_cbranch_vccnz .LBB318_10
; %bb.9:                                ;   in Loop: Header=BB318_6 Depth=1
	s_add_i32 s8, s57, 64
	s_add_u32 s8, s60, s8
	s_addc_u32 s9, s61, 0
	s_mul_i32 s11, s8, s44
	s_mul_hi_u32 s42, s8, s45
	s_add_i32 s11, s42, s11
	s_mul_i32 s9, s9, s45
	s_add_i32 s11, s11, s9
	s_mul_i32 s8, s8, s45
	s_add_u32 s8, s8, s54
	s_addc_u32 s9, s11, s52
	s_lshl_b64 s[8:9], s[8:9], 8
	s_add_u32 s8, s16, s8
	s_addc_u32 s9, s17, s9
.LBB318_10:                             ;   in Loop: Header=BB318_6 Depth=1
	v_perm_b32 v19, v97, v4, s41
	v_perm_b32 v18, v3, v2, s41
	;; [unrolled: 1-line block ×4, first 2 shown]
	ds_write_b64 v66, v[18:19]
	ds_write_b64 v67, v[20:21]
	;; [unrolled: 1-line block ×4, first 2 shown]
	v_perm_b32 v19, v99, v12, s41
	v_perm_b32 v18, v11, v10, s41
	;; [unrolled: 1-line block ×4, first 2 shown]
	ds_write_b64 v68, v[18:19]
	ds_write_b64 v69, v[20:21]
	;; [unrolled: 1-line block ×4, first 2 shown]
	s_waitcnt lgkmcnt(0)
	s_barrier
	ds_read_b64 v[22:23], v74 offset:24576
	ds_read2_b64 v[18:21], v75 offset1:16
	ds_read_b64 v[26:27], v77 offset:3072
	ds_read_b64 v[28:29], v75 offset:3072
	;; [unrolled: 1-line block ×3, first 2 shown]
	s_waitcnt lgkmcnt(3)
	v_mfma_f32_16x16x16_bf16 a[0:3], v[22:23], v[18:19], 0
	s_add_i32 s11, s57, 63
	s_mul_i32 s42, s11, s37
	s_mul_hi_u32 s43, s11, s36
	v_mfma_f32_16x16x16_bf16 a[4:7], v[22:23], v[20:21], 0
	ds_read2st64_b64 v[18:21], v75 offset0:2 offset1:4
	ds_read2st64_b64 v[22:25], v77 offset0:2 offset1:4
	s_add_i32 s43, s43, s42
	s_waitcnt lgkmcnt(1)
	v_mfma_f32_16x16x16_bf16 a[0:3], v[30:31], v[18:19], a[0:3]
	s_mul_i32 s42, s11, s36
	s_lshl_b64 s[42:43], s[42:43], 2
	s_add_u32 s42, s14, s42
	s_waitcnt lgkmcnt(0)
	v_mfma_f32_16x16x16_bf16 a[4:7], v[30:31], v[22:23], a[4:7]
	ds_read_b64 v[18:19], v78 offset:24576
	ds_read_b64 v[22:23], v79 offset:24576
	s_addc_u32 s43, s15, s43
	s_and_b64 vcc, exec, s[0:1]
	s_waitcnt lgkmcnt(1)
	v_mfma_f32_16x16x16_bf16 a[0:3], v[18:19], v[20:21], a[0:3]
	v_mov_b32_e32 v102, 0
	v_mov_b32_e32 v101, 0
	;; [unrolled: 1-line block ×3, first 2 shown]
	v_mfma_f32_16x16x16_bf16 a[4:7], v[18:19], v[24:25], a[4:7]
	v_mov_b32_e32 v18, 0
	v_mov_b32_e32 v19, 0
	;; [unrolled: 1-line block ×3, first 2 shown]
	s_waitcnt lgkmcnt(0)
	v_mfma_f32_16x16x16_bf16 a[0:3], v[22:23], v[28:29], a[0:3]
	v_mov_b32_e32 v21, 0
	v_mov_b32_e32 v24, 0
	;; [unrolled: 1-line block ×3, first 2 shown]
	v_mfma_f32_16x16x16_bf16 a[4:7], v[22:23], v[26:27], a[4:7]
	v_mov_b32_e32 v22, 0
	v_mov_b32_e32 v23, 0
	;; [unrolled: 1-line block ×10, first 2 shown]
	s_cbranch_vccnz .LBB318_12
; %bb.11:                               ;   in Loop: Header=BB318_6 Depth=1
	s_and_b32 s5, s5, 0xffff
	buffer_load_dwordx4 v[30:33], v13, s[4:7], 0 offen
	buffer_load_dwordx4 v[26:29], v13, s[4:7], s56 offen
	;; [unrolled: 1-line block ×4, first 2 shown]
	v_mov_b32_e32 v101, v64
	v_mov_b32_e32 v100, v65
.LBB318_12:                             ;   in Loop: Header=BB318_6 Depth=1
	ds_read_b64 v[38:39], v74 offset:32768
	ds_read2_b64 v[34:37], v80 offset1:16
	ds_read_b64 v[42:43], v76 offset:32768
	ds_read_b64 v[44:45], v78 offset:32768
	;; [unrolled: 1-line block ×3, first 2 shown]
	v_add_u32_e32 v103, s57, v91
	s_waitcnt lgkmcnt(3)
	v_mfma_f32_16x16x16_bf16 a[0:3], v[38:39], v[34:35], a[0:3]
	v_mfma_f32_16x16x16_bf16 a[4:7], v[38:39], v[36:37], a[4:7]
	ds_read2st64_b64 v[34:37], v80 offset0:2 offset1:4
	ds_read2st64_b64 v[38:41], v81 offset0:2 offset1:4
	s_waitcnt lgkmcnt(1)
	v_mfma_f32_16x16x16_bf16 a[0:3], v[42:43], v[34:35], a[0:3]
	ds_read_b64 v[34:35], v80 offset:3072
	ds_read_b64 v[48:49], v81 offset:3072
	s_waitcnt lgkmcnt(2)
	v_mfma_f32_16x16x16_bf16 a[4:7], v[42:43], v[38:39], a[4:7]
	v_ashrrev_i32_e32 v38, 31, v103
	v_mul_lo_u32 v39, v103, s37
	v_mul_lo_u32 v38, v38, s36
	v_mfma_f32_16x16x16_bf16 a[0:3], v[44:45], v[36:37], a[0:3]
	v_mad_u64_u32 v[36:37], s[4:5], v103, s36, 0
	v_add3_u32 v37, v37, v39, v38
	v_lshl_add_u64 v[36:37], v[36:37], 2, s[14:15]
	global_load_dword v42, v[36:37], off
	v_add_u32_e32 v36, 1, v103
	v_ashrrev_i32_e32 v37, 31, v36
	s_waitcnt lgkmcnt(1)
	v_mfma_f32_16x16x16_bf16 a[0:3], v[46:47], v[34:35], a[0:3]
	v_mul_lo_u32 v37, v37, s36
	v_mul_lo_u32 v38, v36, s37
	v_mad_u64_u32 v[34:35], s[4:5], v36, s36, 0
	v_add_u32_e32 v36, 2, v103
	v_add3_u32 v35, v35, v38, v37
	v_ashrrev_i32_e32 v37, 31, v36
	v_mul_lo_u32 v38, v37, s36
	v_mul_lo_u32 v39, v36, s37
	v_mad_u64_u32 v[36:37], s[4:5], v36, s36, 0
	v_add3_u32 v37, v37, v39, v38
	v_add_u32_e32 v38, 3, v103
	v_ashrrev_i32_e32 v39, 31, v38
	v_mfma_f32_16x16x16_bf16 a[4:7], v[44:45], v[40:41], a[4:7]
	v_mul_lo_u32 v40, v39, s36
	v_mul_lo_u32 v41, v38, s37
	v_mad_u64_u32 v[38:39], s[4:5], v38, s36, 0
	s_add_u32 s4, s2, s57
	s_addc_u32 s5, s3, 0
	s_lshl_b64 s[4:5], s[4:5], 8
	v_add3_u32 v39, v39, v41, v40
	v_lshl_add_u64 v[40:41], v[52:53], 0, s[4:5]
	v_lshl_add_u64 v[34:35], v[34:35], 2, s[14:15]
	;; [unrolled: 1-line block ×4, first 2 shown]
	global_load_ushort v44, v[40:41], off
	global_load_ushort v43, v[40:41], off offset:256
	global_load_ushort v103, v[40:41], off offset:800
	global_load_ushort v45, v[40:41], off offset:768
	global_load_ushort v106, v[40:41], off offset:544
	global_load_ushort v104, v[40:41], off offset:512
	global_load_ushort v105, v[40:41], off offset:288
	global_load_ushort v107, v[40:41], off offset:32
	v_lshl_add_u64 v[38:39], v[38:39], 2, s[14:15]
	global_load_dword v108, v[34:35], off
	global_load_dword v109, v[36:37], off
	;; [unrolled: 1-line block ×3, first 2 shown]
	s_load_dword s4, s[42:43], 0x0
	s_waitcnt lgkmcnt(0)
	v_mfma_f32_16x16x16_bf16 a[4:7], v[46:47], v[48:49], a[4:7]
	v_accvgpr_read_b32 v39, a1
	v_accvgpr_read_b32 v35, a3
	;; [unrolled: 1-line block ×4, first 2 shown]
	s_and_b64 vcc, exec, s[0:1]
	s_waitcnt vmcnt(11)
	v_sub_f32_e32 v48, s4, v42
	v_exp_f32_e32 v48, v48
	v_accvgpr_read_b32 v41, a5
	v_accvgpr_read_b32 v40, a4
	;; [unrolled: 1-line block ×4, first 2 shown]
	s_waitcnt vmcnt(10)
	v_lshlrev_b32_e32 v42, 16, v44
	s_waitcnt vmcnt(9)
	v_lshlrev_b32_e32 v43, 16, v43
	v_pk_add_f32 v[38:39], v[42:43], v[38:39] neg_lo:[0,1] neg_hi:[0,1]
	s_waitcnt vmcnt(7)
	v_lshlrev_b32_e32 v45, 16, v45
	v_mov_b32_e32 v42, 0
	s_waitcnt vmcnt(5)
	v_lshlrev_b32_e32 v44, 16, v104
	s_waitcnt vmcnt(4)
	v_lshlrev_b32_e32 v47, 16, v105
	s_waitcnt vmcnt(2)
	v_sub_f32_e32 v49, s4, v108
	s_waitcnt vmcnt(1)
	v_sub_f32_e32 v104, s4, v109
	;; [unrolled: 2-line block ×3, first 2 shown]
	v_exp_f32_e32 v49, v49
	v_exp_f32_e32 v104, v104
	;; [unrolled: 1-line block ×3, first 2 shown]
	v_pk_add_f32 v[34:35], v[44:45], v[34:35] neg_lo:[0,1] neg_hi:[0,1]
	v_lshlrev_b32_e32 v46, 16, v107
	v_pk_mul_f32 v[38:39], v[48:49], v[38:39]
	v_pk_mul_f32 v[34:35], v[104:105], v[34:35]
	v_mov_b32_e32 v43, 0
	v_perm_b32 v35, v35, v34, s41
	v_perm_b32 v34, v39, v38, s41
	v_pk_add_f32 v[38:39], v[46:47], v[40:41] neg_lo:[0,1] neg_hi:[0,1]
	v_lshlrev_b32_e32 v41, 16, v103
	v_lshlrev_b32_e32 v40, 16, v106
	v_pk_add_f32 v[36:37], v[40:41], v[36:37] neg_lo:[0,1] neg_hi:[0,1]
	v_pk_mul_f32 v[38:39], v[48:49], v[38:39]
	v_pk_mul_f32 v[36:37], v[104:105], v[36:37]
	v_mov_b32_e32 v103, 0
	v_perm_b32 v37, v37, v36, s41
	v_perm_b32 v36, v39, v38, s41
	ds_write2_b64 v67, v[34:35], v[36:37] offset1:16
	v_mov_b32_e32 v34, 0
	v_mov_b32_e32 v35, 0
	;; [unrolled: 1-line block ×14, first 2 shown]
	s_cbranch_vccnz .LBB318_14
; %bb.13:                               ;   in Loop: Header=BB318_6 Depth=1
	s_and_b32 s9, s9, 0xffff
	s_mov_b32 s11, s7
	buffer_load_dwordx4 v[46:49], v89, s[8:11], 0 offen
	buffer_load_dwordx4 v[38:41], v89, s[8:11], s56 offen
	;; [unrolled: 1-line block ×4, first 2 shown]
	v_mov_b32_e32 v102, v9
	v_mov_b32_e32 v103, v5
.LBB318_14:                             ;   in Loop: Header=BB318_6 Depth=1
	s_waitcnt lgkmcnt(0)
	s_barrier
	ds_read_b64 v[108:109], v92
	ds_read_b64 v[116:117], v85
	;; [unrolled: 1-line block ×5, first 2 shown]
	ds_read_b64 v[122:123], v86 offset:16384
	ds_read_b64 v[124:125], v84 offset:16384
	ds_read2_b64 v[104:107], v80 offset0:16 offset1:128
	s_waitcnt lgkmcnt(6)
	v_mfma_f32_16x16x16_bf16 a[0:3], v[108:109], v[116:117], 0
	ds_read_b64 v[126:127], v81 offset:3072
	ds_read_b64 v[128:129], v88 offset:16384
	s_add_i32 s5, s53, s63
	s_waitcnt lgkmcnt(2)
	v_mfma_f32_16x16x16_bf16 a[4:7], v[108:109], v[104:105], 0
	ds_read2st64_b64 v[108:111], v81 offset0:2 offset1:4
	s_mul_hi_i32 s9, s5, s25
	s_mul_i32 s5, s5, s25
	v_mfma_f32_16x16x16_bf16 a[0:3], v[112:113], v[106:107], a[0:3]
	s_add_u32 s8, s5, s33
	s_addc_u32 s9, s9, s50
	s_lshl_b64 s[8:9], s[8:9], 15
	s_waitcnt lgkmcnt(0)
	v_mfma_f32_16x16x16_bf16 a[4:7], v[112:113], v[108:109], a[4:7]
	ds_read2st64_b64 v[112:115], v80 offset0:4 offset1:6
	s_waitcnt lgkmcnt(0)
	v_mfma_f32_16x16x16_bf16 a[0:3], v[118:119], v[112:113], a[0:3]
	v_mfma_f32_16x16x16_bf16 a[8:11], v[118:119], v[110:111], a[4:7]
	;; [unrolled: 1-line block ×5, first 2 shown]
	ds_read2st64_b64 v[116:119], v83 offset1:8
	v_mfma_f32_16x16x16_bf16 a[12:15], v[124:125], v[104:105], 0
	ds_read_b64 v[124:125], v87 offset:16384
	v_mfma_f32_16x16x16_bf16 a[8:11], v[122:123], v[106:107], a[8:11]
	ds_read2st64_b64 v[104:107], v82 offset1:8
	s_waitcnt lgkmcnt(0)
	v_mov_b32_e32 v120, v104
	v_mfma_f32_16x16x16_bf16 a[12:15], v[122:123], v[108:109], a[12:15]
	v_lshl_add_u64 v[108:109], v[54:55], 0, s[8:9]
	v_add_co_u32_e32 v104, vcc, s13, v108
	v_mfma_f32_16x16x16_bf16 a[8:11], v[124:125], v[112:113], a[8:11]
	v_mov_b32_e32 v121, v105
	v_addc_co_u32_e32 v105, vcc, 0, v109, vcc
	v_mfma_f32_16x16x16_bf16 a[12:15], v[124:125], v[110:111], a[12:15]
	v_mov_b32_e32 v122, v116
	v_mov_b32_e32 v123, v117
	;; [unrolled: 1-line block ×3, first 2 shown]
	v_mfma_f32_16x16x16_bf16 a[8:11], v[128:129], v[114:115], a[8:11]
	v_mov_b32_e32 v117, v107
	s_and_b64 vcc, exec, s[0:1]
	global_store_dwordx4 v[108:109], v[120:123], off
	v_mfma_f32_16x16x16_bf16 a[12:15], v[128:129], v[126:127], a[12:15]
	global_store_dwordx4 v[104:105], v[116:119], off
	s_cbranch_vccnz .LBB318_16
; %bb.15:                               ;   in Loop: Header=BB318_6 Depth=1
	v_lshrrev_b32_e32 v104, 3, v102
	v_and_b32_e32 v104, 6, v104
	v_xor_b32_e32 v103, v104, v103
	v_lshlrev_b32_e32 v103, 2, v103
	v_and_b32_e32 v102, 8, v102
	v_xor_b32_e32 v105, 0x440, v103
	v_cmp_eq_u32_e32 vcc, 0, v102
	s_barrier
	s_nop 0
	v_cndmask_b32_e32 v102, v105, v103, vcc
	v_lshl_or_b32 v102, v104, 10, v102
	s_waitcnt vmcnt(3)
	v_perm_b32 v103, v46, v42, s58
	s_waitcnt vmcnt(2)
	v_perm_b32 v104, v38, v34, s58
	ds_write2st64_b32 v102, v103, v104 offset0:32 offset1:64
	v_xor_b32_e32 v103, 8, v102
	v_perm_b32 v42, v46, v42, s59
	v_perm_b32 v34, v38, v34, s59
	v_add_u32_e32 v38, 0x80, v103
	ds_write2st64_b32 v38, v42, v34 offset0:32 offset1:64
	v_xor_b32_e32 v34, 16, v102
	v_perm_b32 v38, v47, v43, s58
	v_perm_b32 v42, v39, v35, s58
	ds_write2st64_b32 v34, v38, v42 offset0:33 offset1:65
	v_xor_b32_e32 v34, 24, v102
	v_perm_b32 v38, v47, v43, s59
	v_perm_b32 v35, v39, v35, s59
	v_add_u32_e32 v34, 0x80, v34
	ds_write2st64_b32 v34, v38, v35 offset0:33 offset1:65
	v_xor_b32_e32 v34, 32, v102
	v_perm_b32 v35, v48, v44, s58
	v_perm_b32 v38, v40, v36, s58
	ds_write2st64_b32 v34, v35, v38 offset0:34 offset1:66
	v_xor_b32_e32 v34, 40, v102
	v_perm_b32 v35, v48, v44, s59
	v_perm_b32 v36, v40, v36, s59
	v_add_u32_e32 v34, 0x80, v34
	ds_write2st64_b32 v34, v35, v36 offset0:34 offset1:66
	v_xor_b32_e32 v34, 48, v102
	v_perm_b32 v35, v49, v45, s58
	v_perm_b32 v36, v41, v37, s58
	ds_write2st64_b32 v34, v35, v36 offset0:35 offset1:67
	v_xor_b32_e32 v34, 56, v102
	v_perm_b32 v35, v49, v45, s59
	v_perm_b32 v36, v41, v37, s59
	v_add_u32_e32 v34, 0x80, v34
	ds_write2st64_b32 v34, v35, v36 offset0:35 offset1:67
	ds_write_b64 v101, v[30:31] offset:24576
	v_xor_b32_e32 v30, 8, v101
	ds_write_b64 v30, v[32:33] offset:24576
	ds_write_b64 v101, v[26:27] offset:32768
	;; [unrolled: 1-line block ×4, first 2 shown]
	v_xor_b32_e32 v22, 8, v100
	ds_write_b64 v22, v[24:25] offset:24576
	ds_write_b64 v100, v[18:19] offset:32768
	;; [unrolled: 1-line block ×3, first 2 shown]
.LBB318_16:                             ;   in Loop: Header=BB318_6 Depth=1
	s_waitcnt vmcnt(2)
	v_exp_f32_e32 v34, s4
	v_accvgpr_read_b32 v33, a7
	v_accvgpr_read_b32 v25, a3
	;; [unrolled: 1-line block ×16, first 2 shown]
	s_add_i32 s57, s57, 64
	v_fma_f32 v2, v2, v34, v30
	v_fma_f32 v3, v3, v34, v31
	v_fma_f32 v4, v4, v34, v32
	v_fmac_f32_e32 v33, v97, v34
	v_fma_f32 v10, v10, v34, v22
	v_fma_f32 v11, v11, v34, v23
	v_fma_f32 v12, v12, v34, v24
	v_fmac_f32_e32 v25, v99, v34
	;; [unrolled: 4-line block ×3, first 2 shown]
	v_fma_f32 v14, v14, v34, v18
	v_fma_f32 v15, v15, v34, v19
	;; [unrolled: 1-line block ×3, first 2 shown]
	s_cmp_eq_u32 s51, s62
	v_fmac_f32_e32 v21, v98, v34
	s_cbranch_scc1 .LBB318_18
; %bb.17:                               ;   in Loop: Header=BB318_6 Depth=1
	s_mov_b32 s63, s62
	v_mov_b32_e32 v97, v33
	v_mov_b32_e32 v96, v29
	;; [unrolled: 1-line block ×4, first 2 shown]
	s_branch .LBB318_6
.LBB318_18:
	v_mov_b32_e32 v5, v33
	v_mov_b32_e32 v9, v29
	;; [unrolled: 1-line block ×4, first 2 shown]
.LBB318_19:
	s_lshl_b32 s50, s51, 6
	s_sub_i32 s52, s24, s50
	s_cmp_gt_i32 s52, 0
	v_or_b32_e32 v34, s40, v60
	s_cbranch_scc1 .LBB318_21
; %bb.20:
	s_ashr_i32 s0, s33, 31
	s_add_u32 s8, s47, s33
	s_addc_u32 s9, s55, s0
	v_or_b32_e32 v18, s40, v60
	s_cbranch_execz .LBB318_22
	s_branch .LBB318_86
.LBB318_21:
                                        ; implicit-def: $sgpr8_sgpr9
                                        ; implicit-def: $vgpr18
.LBB318_22:
	s_ashr_i32 s13, s49, 31
	s_ashr_i32 s2, s50, 31
	s_cmpk_lg_i32 s27, 0x80
	s_cselect_b64 s[42:43], -1, 0
	s_and_b64 vcc, exec, s[42:43]
	s_cbranch_vccz .LBB318_24
; %bb.23:
	s_mul_i32 s1, s49, s24
	s_mul_hi_i32 s0, s49, s24
	s_add_u32 s1, s1, s50
	s_addc_u32 s0, s0, s2
	s_mul_i32 s3, s1, s44
	s_mul_hi_u32 s4, s1, s26
	s_add_i32 s3, s4, s3
	s_mul_i32 s0, s0, s26
	s_add_i32 s3, s3, s0
	s_mul_i32 s1, s1, s26
	s_ashr_i32 s0, s54, 31
	s_add_u32 s44, s1, s54
	s_addc_u32 s45, s3, s0
	s_cbranch_execz .LBB318_25
	s_branch .LBB318_26
.LBB318_24:
                                        ; implicit-def: $sgpr44_sgpr45
.LBB318_25:
	s_mul_hi_i32 s0, s49, s26
	s_mul_i32 s49, s49, s26
	s_ashr_i32 s1, s54, 31
	s_add_u32 s3, s49, s54
	s_addc_u32 s0, s0, s1
	s_mul_i32 s1, s3, s48
	s_mul_hi_u32 s4, s3, s24
	s_add_i32 s1, s4, s1
	s_mul_i32 s0, s0, s24
	s_add_i32 s1, s1, s0
	s_mul_i32 s3, s3, s24
	s_add_u32 s44, s3, s50
	s_addc_u32 s45, s1, s2
.LBB318_26:
	s_add_i32 s3, s53, s51
	s_ashr_i32 s26, s33, 31
	s_add_u32 s8, s47, s33
	s_addc_u32 s9, s55, s26
	s_mul_i32 s0, s8, s48
	s_mul_hi_u32 s1, s8, s24
	s_add_i32 s0, s1, s0
	s_mul_i32 s1, s9, s24
	s_add_i32 s1, s0, s1
	s_mul_i32 s0, s8, s24
	s_add_u32 s0, s0, s50
	v_lshlrev_b32_e32 v22, 5, v1
	v_lshlrev_b32_e32 v40, 2, v60
	s_addc_u32 s1, s1, s2
	s_mov_b32 s2, 0x7060302
	v_or_b32_e32 v25, v22, v40
	v_xor_b32_e32 v23, v1, v40
	v_perm_b32 v19, v5, v4, s2
	v_perm_b32 v18, v3, v2, s2
	;; [unrolled: 1-line block ×4, first 2 shown]
	v_lshlrev_b32_e32 v25, 1, v25
	s_lshl_b64 s[10:11], s[0:1], 8
	v_xor_b32_e32 v24, v63, v40
	ds_write2st64_b64 v25, v[18:19], v[20:21] offset0:80 offset1:88
	v_lshlrev_b32_e32 v23, 1, v23
	v_lshlrev_b32_e32 v25, 8, v60
	s_add_u32 s0, s18, s10
	v_or_b32_e32 v26, v23, v25
	v_lshlrev_b32_e32 v24, 1, v24
	s_addc_u32 s1, s19, s11
	ds_write_b64 v26, v[18:19]
	v_or_b32_e32 v18, v24, v25
	v_or_b32_e32 v25, 16, v60
	s_mul_hi_i32 s4, s3, s25
	s_mul_i32 s3, s3, s25
	ds_write_b64 v18, v[20:21]
	v_perm_b32 v19, v13, v12, s2
	v_perm_b32 v18, v11, v10, s2
	;; [unrolled: 1-line block ×4, first 2 shown]
	v_lshlrev_b32_e32 v37, 2, v25
	s_add_u32 s2, s3, s33
	v_or_b32_e32 v22, v22, v37
	s_addc_u32 s3, s4, s26
	v_lshlrev_b32_e32 v22, 1, v22
	s_ashr_i32 s41, s40, 31
	s_lshl_b64 s[2:3], s[2:3], 15
	ds_write2st64_b64 v22, v[18:19], v[20:21] offset0:80 offset1:88
	v_lshlrev_b32_e32 v22, 8, v25
	s_waitcnt lgkmcnt(0)
	s_add_u32 s4, s38, s2
	v_or_b32_e32 v23, v23, v22
	s_addc_u32 s5, s39, s3
	s_lshl_b64 s[2:3], s[40:41], 8
	ds_write_b64 v23, v[18:19]
	v_or_b32_e32 v18, v24, v22
	s_add_u32 s2, s4, s2
	ds_write_b64 v18, v[20:21]
	v_lshrrev_b32_e32 v18, 4, v0
	s_addc_u32 s3, s5, s3
	v_lshlrev_b32_e32 v19, 1, v60
	v_lshlrev_b32_e32 v26, 4, v60
	v_mov_b32_e32 v27, 0
	v_or_b32_e32 v20, 1, v19
	v_xor_b32_e32 v19, v18, v19
	v_lshl_add_u64 v[28:29], s[2:3], 0, v[26:27]
	v_lshlrev_b32_e32 v26, 8, v18
	v_xor_b32_e32 v22, v20, v18
	v_lshl_or_b32 v18, v19, 3, v26
	s_waitcnt lgkmcnt(0)
	s_barrier
	ds_read2st64_b64 v[18:21], v18 offset1:8
	v_lshl_or_b32 v22, v22, 3, v26
	ds_read2st64_b64 v[22:25], v22 offset1:8
	v_lshl_add_u64 v[30:31], v[28:29], 0, v[26:27]
	s_movk_i32 s2, 0x1000
	s_waitcnt lgkmcnt(1)
	v_mov_b32_e32 v26, v18
	v_add_co_u32_e32 v18, vcc, s2, v30
	s_cmp_lg_u32 s52, 64
	v_mov_b32_e32 v27, v19
	v_addc_co_u32_e32 v19, vcc, 0, v31, vcc
	s_cselect_b64 s[14:15], -1, 0
	v_lshl_or_b32 v35, v56, 3, v62
	s_waitcnt lgkmcnt(0)
	v_mov_b32_e32 v28, v22
	v_mov_b32_e32 v29, v23
	v_mov_b32_e32 v22, v20
	v_mov_b32_e32 v23, v21
	s_mov_b32 s4, 0
	v_or_b32_e32 v38, 32, v35
	v_and_b32_e32 v36, 56, v61
	s_and_b64 vcc, exec, s[14:15]
	global_store_dwordx4 v[30:31], v[26:29], off
	global_store_dwordx4 v[18:19], v[22:25], off
	s_cbranch_vccz .LBB318_32
; %bb.27:
	s_mov_b32 s6, s4
	s_mov_b32 s7, s4
	;; [unrolled: 1-line block ×3, first 2 shown]
	v_mov_b64_e32 v[24:25], s[6:7]
	v_mov_b64_e32 v[22:23], s[4:5]
	;; [unrolled: 1-line block ×3, first 2 shown]
	v_cmp_gt_i32_e32 vcc, s52, v35
	v_mov_b64_e32 v[20:21], v[24:25]
	s_and_saveexec_b64 s[2:3], vcc
	s_cbranch_execz .LBB318_29
; %bb.28:
	v_lshlrev_b32_e32 v18, 8, v35
	v_mov_b32_e32 v19, 0
	v_lshl_add_u64 v[20:21], s[0:1], 0, v[18:19]
	v_lshlrev_b32_e32 v18, 1, v36
	v_lshl_add_u64 v[26:27], v[20:21], 0, v[18:19]
	global_load_dwordx4 v[22:25], v[26:27], off
	global_load_dwordx4 v[18:21], v[26:27], off offset:128
.LBB318_29:
	s_or_b64 exec, exec, s[2:3]
	s_mov_b32 s6, s4
	s_mov_b32 s7, s4
	;; [unrolled: 1-line block ×3, first 2 shown]
	v_mov_b64_e32 v[32:33], s[6:7]
	v_mov_b64_e32 v[30:31], s[4:5]
	;; [unrolled: 1-line block ×3, first 2 shown]
	v_cmp_gt_i32_e32 vcc, s52, v38
	v_lshlrev_b32_e32 v39, 7, v38
	v_mov_b64_e32 v[28:29], v[32:33]
	s_and_saveexec_b64 s[2:3], vcc
	s_cbranch_execz .LBB318_31
; %bb.30:
	v_lshlrev_b32_e32 v26, 1, v39
	v_mov_b32_e32 v27, 0
	v_lshl_add_u64 v[28:29], s[0:1], 0, v[26:27]
	v_lshlrev_b32_e32 v26, 1, v36
	v_lshl_add_u64 v[42:43], v[28:29], 0, v[26:27]
	global_load_dwordx4 v[30:33], v[42:43], off
	global_load_dwordx4 v[26:29], v[42:43], off offset:128
.LBB318_31:
	s_or_b64 exec, exec, s[2:3]
	v_lshrrev_b32_e32 v41, 3, v36
	v_lshlrev_b32_e32 v42, 3, v35
	v_or_b32_e32 v41, v42, v41
	v_lshlrev_b32_e32 v41, 4, v41
	v_and_b32_e32 v42, 0x78, v42
	v_xor_b32_e32 v41, v41, v42
	s_branch .LBB318_34
.LBB318_32:
                                        ; implicit-def: $vgpr41
                                        ; implicit-def: $vgpr39
                                        ; implicit-def: $vgpr22_vgpr23_vgpr24_vgpr25
                                        ; implicit-def: $vgpr18_vgpr19_vgpr20_vgpr21
                                        ; implicit-def: $vgpr30_vgpr31_vgpr32_vgpr33
                                        ; implicit-def: $vgpr26_vgpr27_vgpr28_vgpr29
	s_cbranch_execz .LBB318_34
; %bb.33:
	s_waitcnt vmcnt(0)
	v_lshlrev_b32_e32 v18, 1, v36
	v_lshl_or_b32 v39, v35, 8, v18
	s_and_b32 s1, s1, 0xffff
	s_mov_b32 s3, 0x20000
	s_movk_i32 s2, 0x4000
	v_lshl_or_b32 v41, v38, 8, v18
	s_movk_i32 s4, 0x80
	buffer_load_dwordx4 v[22:25], v39, s[0:3], 0 offen
	buffer_load_dwordx4 v[18:21], v39, s[0:3], s4 offen
	;; [unrolled: 1-line block ×4, first 2 shown]
	v_lshrrev_b32_e32 v39, 3, v36
	v_lshlrev_b32_e32 v41, 3, v35
	v_or_b32_e32 v39, v41, v39
	v_lshlrev_b32_e32 v39, 4, v39
	v_and_b32_e32 v41, 0x78, v41
	v_xor_b32_e32 v41, v39, v41
	v_lshlrev_b32_e32 v39, 7, v38
.LBB318_34:
	s_lshl_b64 s[0:1], s[44:45], 8
	s_add_u32 s4, s16, s0
	s_movk_i32 s0, 0x1000
	v_and_or_b32 v38, v39, s0, v41
	s_waitcnt vmcnt(1)
	ds_write_b64 v41, v[22:23] offset:24576
	v_xor_b32_e32 v22, 8, v41
	ds_write_b64 v22, v[24:25] offset:24576
	s_waitcnt vmcnt(0)
	ds_write_b64 v41, v[18:19] offset:32768
	ds_write_b64 v22, v[20:21] offset:32768
	;; [unrolled: 1-line block ×3, first 2 shown]
	v_xor_b32_e32 v18, 8, v38
	ds_write_b64 v18, v[32:33] offset:24576
	ds_write_b64 v38, v[26:27] offset:32768
	;; [unrolled: 1-line block ×3, first 2 shown]
	v_or_b32_e32 v18, v57, v60
	v_lshlrev_b32_e32 v18, 3, v18
	v_lshrrev_b32_e32 v19, 5, v58
	s_movk_i32 s7, 0xf8
	v_and_or_b32 v19, v18, s7, v19
	v_lshlrev_b32_e32 v23, 4, v19
	v_lshlrev_b32_e32 v41, 11, v56
	v_and_b32_e32 v24, 0x78, v18
	v_or_b32_e32 v26, 32, v23
	v_and_b32_e32 v22, 0x1000, v41
	v_lshrrev_b32_e32 v19, 1, v58
	v_xor_b32_e32 v26, v26, v24
	v_xor_b32_e32 v18, v23, v24
	v_and_b32_e32 v25, 8, v19
	v_or_b32_e32 v26, v26, v22
	v_or_b32_e32 v18, v18, v22
	v_xor_b32_e32 v45, v26, v25
	v_or_b32_e32 v26, 64, v23
	v_xor_b32_e32 v44, v18, v25
	v_xor_b32_e32 v26, v26, v24
	s_waitcnt lgkmcnt(0)
	s_barrier
	v_or_b32_e32 v28, v26, v22
	ds_read_b64 v[26:27], v44 offset:24576
	v_lshl_or_b32 v38, v59, 7, v40
	v_lshlrev_b32_e32 v42, 1, v38
	v_add_u32_e32 v18, 0xa000, v42
	ds_read2_b64 v[18:21], v18 offset1:16
	v_or_b32_e32 v23, 0x60, v23
	v_xor_b32_e32 v23, v23, v24
	s_waitcnt lgkmcnt(0)
	v_mfma_f32_16x16x16_bf16 a[0:3], v[26:27], v[18:19], 0
	v_or_b32_e32 v18, 64, v38
	v_or_b32_e32 v22, v23, v22
	v_lshlrev_b32_e32 v43, 1, v18
	v_xor_b32_e32 v46, v28, v25
	v_xor_b32_e32 v47, v22, v25
	ds_read_b64 v[28:29], v45 offset:24576
	ds_read_b64 v[30:31], v46 offset:24576
	;; [unrolled: 1-line block ×3, first 2 shown]
	v_mfma_f32_16x16x16_bf16 a[4:7], v[26:27], v[20:21], 0
	ds_read2st64_b64 v[18:21], v43 offset0:82 offset1:84
	ds_read2st64_b64 v[22:25], v42 offset0:82 offset1:84
	s_addc_u32 s5, s17, s1
	s_add_i32 s2, s24, -1
	s_add_i32 s0, s46, s29
	s_mul_i32 s13, s13, s28
	s_add_i32 s13, s0, s13
	s_mul_i32 s0, s33, s31
	s_mul_hi_u32 s1, s33, s30
	s_ashr_i32 s3, s2, 31
	s_mul_i32 s6, s2, s37
	s_mul_hi_u32 s7, s2, s36
	s_add_i32 s0, s1, s0
	s_mul_i32 s1, s26, s30
	s_add_i32 s6, s7, s6
	s_mul_i32 s3, s3, s36
	s_waitcnt lgkmcnt(1)
	v_mfma_f32_16x16x16_bf16 a[4:7], v[28:29], v[18:19], a[4:7]
	s_add_i32 s1, s0, s1
	s_add_i32 s3, s6, s3
	s_lshl_b64 s[6:7], s[12:13], 2
	s_waitcnt lgkmcnt(0)
	v_mfma_f32_16x16x16_bf16 a[0:3], v[28:29], v[22:23], a[0:3]
	s_mul_i32 s0, s33, s30
	s_add_u32 s6, s22, s6
	s_addc_u32 s7, s23, s7
	s_lshl_b64 s[0:1], s[0:1], 2
	s_mul_i32 s2, s2, s36
	s_add_u32 s12, s6, s0
	ds_read_b64 v[18:19], v42 offset:44032
	v_mfma_f32_16x16x16_bf16 a[4:7], v[30:31], v[20:21], a[4:7]
	ds_read_b64 v[20:21], v43 offset:44032
	s_addc_u32 s13, s7, s1
	s_lshl_b64 s[0:1], s[2:3], 2
	v_mfma_f32_16x16x16_bf16 a[0:3], v[30:31], v[24:25], a[0:3]
	s_add_u32 s0, s12, s0
	s_addc_u32 s1, s13, s1
	s_load_dword s16, s[0:1], 0x0
	s_waitcnt lgkmcnt(0)
	v_mfma_f32_16x16x16_bf16 a[0:3], v[32:33], v[18:19], a[0:3]
	s_and_b64 vcc, exec, s[42:43]
	v_mfma_f32_16x16x16_bf16 a[4:7], v[32:33], v[20:21], a[4:7]
	s_cbranch_vccz .LBB318_45
; %bb.35:
	v_lshlrev_b32_e32 v38, 1, v35
	s_and_b64 vcc, exec, s[14:15]
	s_cbranch_vccz .LBB318_46
; %bb.36:
	v_cmp_gt_i32_e32 vcc, s52, v38
	v_mov_b32_e32 v22, 0
	v_mov_b32_e32 v18, 0
	;; [unrolled: 1-line block ×5, first 2 shown]
	s_and_saveexec_b64 s[0:1], vcc
	s_cbranch_execz .LBB318_38
; %bb.37:
	v_mad_i64_i32 v[18:19], s[2:3], s27, v38, 0
	v_lshl_add_u64 v[18:19], v[18:19], 1, s[4:5]
	v_lshlrev_b32_e32 v20, 1, v36
	v_mov_b32_e32 v21, 0
	v_lshl_add_u64 v[18:19], v[18:19], 0, v[20:21]
	global_load_dwordx4 v[18:21], v[18:19], off
.LBB318_38:
	s_or_b64 exec, exec, s[0:1]
	v_or_b32_e32 v39, 1, v38
	v_cmp_gt_i32_e64 s[0:1], s52, v39
	v_mov_b32_e32 v23, 0
	v_mov_b32_e32 v24, 0
	;; [unrolled: 1-line block ×3, first 2 shown]
	s_and_saveexec_b64 s[2:3], s[0:1]
	s_cbranch_execz .LBB318_40
; %bb.39:
	v_mad_i64_i32 v[22:23], s[6:7], s27, v39, 0
	v_lshl_add_u64 v[22:23], v[22:23], 1, s[4:5]
	v_lshlrev_b32_e32 v24, 1, v36
	v_mov_b32_e32 v25, 0
	v_lshl_add_u64 v[22:23], v[22:23], 0, v[24:25]
	global_load_dwordx4 v[22:25], v[22:23], off
.LBB318_40:
	s_or_b64 exec, exec, s[2:3]
	v_mov_b32_e32 v33, 0
	v_mov_b32_e32 v26, 0
	;; [unrolled: 1-line block ×5, first 2 shown]
	s_and_saveexec_b64 s[2:3], vcc
	s_cbranch_execz .LBB318_42
; %bb.41:
	v_mad_i64_i32 v[26:27], s[6:7], s27, v38, 0
	v_lshl_add_u64 v[26:27], v[26:27], 1, s[4:5]
	v_lshlrev_b32_e32 v28, 1, v36
	v_mov_b32_e32 v29, 0
	v_lshl_add_u64 v[26:27], v[26:27], 0, v[28:29]
	global_load_dwordx4 v[26:29], v[26:27], off offset:128
.LBB318_42:
	s_or_b64 exec, exec, s[2:3]
	v_mov_b32_e32 v32, 0
	v_mov_b32_e32 v31, 0
	;; [unrolled: 1-line block ×3, first 2 shown]
	s_and_saveexec_b64 s[2:3], s[0:1]
	s_cbranch_execz .LBB318_44
; %bb.43:
	v_mad_i64_i32 v[30:31], s[0:1], s27, v39, 0
	v_lshl_add_u64 v[30:31], v[30:31], 1, s[4:5]
	v_lshlrev_b32_e32 v32, 1, v36
	v_mov_b32_e32 v33, 0
	v_lshl_add_u64 v[30:31], v[30:31], 0, v[32:33]
	global_load_dwordx4 v[30:33], v[30:31], off offset:128
.LBB318_44:
	s_or_b64 exec, exec, s[2:3]
	s_branch .LBB318_48
.LBB318_45:
                                        ; implicit-def: $vgpr21
                                        ; implicit-def: $vgpr25
                                        ; implicit-def: $vgpr29
                                        ; implicit-def: $vgpr33
	v_lshrrev_b32_e32 v48, 2, v58
	s_branch .LBB318_49
.LBB318_46:
                                        ; implicit-def: $vgpr21
                                        ; implicit-def: $vgpr25
                                        ; implicit-def: $vgpr29
                                        ; implicit-def: $vgpr33
	s_cbranch_execz .LBB318_48
; %bb.47:
	s_waitcnt vmcnt(0)
	v_mad_u64_u32 v[18:19], s[0:1], v38, s27, v[36:37]
	v_lshlrev_b32_e32 v38, 1, v18
	s_lshl_b32 s2, s27, 7
	s_and_b32 s1, s5, 0xffff
	s_mov_b32 s3, 0x20000
	s_mov_b32 s0, s4
	v_add_lshl_u32 v39, v18, s27, 1
	s_movk_i32 s6, 0x80
	buffer_load_dwordx4 v[18:21], v38, s[0:3], 0 offen
	buffer_load_dwordx4 v[26:29], v38, s[0:3], s6 offen
	;; [unrolled: 1-line block ×4, first 2 shown]
.LBB318_48:
	v_lshrrev_b32_e32 v48, 2, v58
	s_cbranch_execnz .LBB318_61
.LBB318_49:
	s_and_b64 vcc, exec, s[14:15]
	s_cbranch_vccz .LBB318_59
; %bb.50:
	s_waitcnt vmcnt(0)
	v_lshlrev_b32_e32 v23, 1, v35
	v_cmp_gt_i32_e32 vcc, s52, v23
	v_mov_b32_e32 v22, 0
	v_lshlrev_b32_e32 v30, 9, v35
	v_mov_b32_e32 v18, 0
	v_mov_b32_e32 v19, 0
	;; [unrolled: 1-line block ×4, first 2 shown]
	s_and_saveexec_b64 s[0:1], vcc
	s_cbranch_execz .LBB318_52
; %bb.51:
	v_mov_b32_e32 v31, 0
	v_lshl_add_u64 v[18:19], s[4:5], 0, v[30:31]
	v_lshlrev_b32_e32 v20, 1, v36
	v_mov_b32_e32 v21, v31
	v_lshl_add_u64 v[18:19], v[18:19], 0, v[20:21]
	global_load_dwordx4 v[18:21], v[18:19], off
.LBB318_52:
	s_or_b64 exec, exec, s[0:1]
	v_or_b32_e32 v23, 1, v23
	v_cmp_gt_i32_e64 s[0:1], s52, v23
	v_lshlrev_b32_e32 v38, 8, v23
	v_mov_b32_e32 v23, 0
	v_mov_b32_e32 v24, 0
	;; [unrolled: 1-line block ×3, first 2 shown]
	s_and_saveexec_b64 s[2:3], s[0:1]
	s_cbranch_execz .LBB318_54
; %bb.53:
	v_mov_b32_e32 v39, 0
	v_lshl_add_u64 v[22:23], s[4:5], 0, v[38:39]
	v_lshlrev_b32_e32 v24, 1, v36
	v_mov_b32_e32 v25, v39
	v_lshl_add_u64 v[22:23], v[22:23], 0, v[24:25]
	global_load_dwordx4 v[22:25], v[22:23], off
.LBB318_54:
	s_or_b64 exec, exec, s[2:3]
	v_mov_b32_e32 v33, 0
	v_mov_b32_e32 v26, 0
	;; [unrolled: 1-line block ×5, first 2 shown]
	s_and_saveexec_b64 s[2:3], vcc
	s_cbranch_execz .LBB318_56
; %bb.55:
	v_mov_b32_e32 v31, 0
	v_lshl_add_u64 v[26:27], s[4:5], 0, v[30:31]
	v_lshlrev_b32_e32 v30, 1, v36
	v_lshl_add_u64 v[26:27], v[26:27], 0, v[30:31]
	global_load_dwordx4 v[26:29], v[26:27], off offset:128
.LBB318_56:
	s_or_b64 exec, exec, s[2:3]
	v_mov_b32_e32 v32, 0
	v_mov_b32_e32 v31, 0
	;; [unrolled: 1-line block ×3, first 2 shown]
	s_and_saveexec_b64 s[2:3], s[0:1]
	s_cbranch_execz .LBB318_58
; %bb.57:
	v_mov_b32_e32 v39, 0
	v_lshl_add_u64 v[30:31], s[4:5], 0, v[38:39]
	v_lshlrev_b32_e32 v38, 1, v36
	v_lshl_add_u64 v[30:31], v[30:31], 0, v[38:39]
	global_load_dwordx4 v[30:33], v[30:31], off offset:128
.LBB318_58:
	s_or_b64 exec, exec, s[2:3]
	s_branch .LBB318_61
.LBB318_59:
                                        ; implicit-def: $vgpr21
                                        ; implicit-def: $vgpr25
                                        ; implicit-def: $vgpr29
                                        ; implicit-def: $vgpr33
	s_cbranch_execz .LBB318_61
; %bb.60:
	s_waitcnt vmcnt(0)
	v_lshlrev_b32_e32 v18, 1, v36
	v_lshl_or_b32 v36, v35, 9, v18
	s_and_b32 s5, s5, 0xffff
	s_mov_b32 s7, 0x20000
	s_movk_i32 s6, 0x4000
	s_movk_i32 s0, 0x80
	buffer_load_dwordx4 v[18:21], v36, s[4:7], 0 offen
	buffer_load_dwordx4 v[22:25], v36, s[4:7], 0 offen offset:256
	buffer_load_dwordx4 v[26:29], v36, s[4:7], s0 offen
	buffer_load_dwordx4 v[30:33], v36, s[4:7], s0 offen offset:256
.LBB318_61:
	ds_read_b64 v[38:39], v44 offset:32768
	v_add_u32_e32 v36, 0xb000, v42
	ds_read2_b64 v[50:53], v36 offset1:16
	ds_read_b64 v[54:55], v45 offset:32768
	ds_read_b64 v[58:59], v46 offset:32768
	;; [unrolled: 1-line block ×3, first 2 shown]
	v_and_b32_e32 v36, 6, v0
	v_xor_b32_e32 v35, v35, v36
	v_lshlrev_b32_e32 v35, 2, v35
	v_and_b32_e32 v49, 1, v0
	v_cmp_eq_u32_e32 vcc, 0, v49
	s_mov_b32 s0, 0x1000504
	s_waitcnt lgkmcnt(3)
	v_mfma_f32_16x16x16_bf16 a[0:3], v[38:39], v[50:51], a[0:3]
	s_mov_b32 s1, 0x3020706
	v_mfma_f32_16x16x16_bf16 a[4:7], v[38:39], v[52:53], a[4:7]
	ds_read2st64_b64 v[44:47], v42 offset0:90 offset1:92
	ds_read2st64_b64 v[50:53], v43 offset0:90 offset1:92
	s_waitcnt lgkmcnt(1)
	v_mfma_f32_16x16x16_bf16 a[0:3], v[54:55], v[44:45], a[0:3]
	ds_read_b64 v[38:39], v42 offset:48128
	ds_read_b64 v[44:45], v43 offset:48128
	s_waitcnt lgkmcnt(2)
	v_mfma_f32_16x16x16_bf16 a[4:7], v[54:55], v[50:51], a[4:7]
	v_mfma_f32_16x16x16_bf16 a[0:3], v[58:59], v[46:47], a[0:3]
	v_xor_b32_e32 v46, 0x440, v35
	v_cndmask_b32_e32 v35, v46, v35, vcc
	v_lshl_or_b32 v35, v36, 10, v35
	v_mfma_f32_16x16x16_bf16 a[8:11], v[58:59], v[52:53], a[4:7]
	s_waitcnt vmcnt(0)
	v_perm_b32 v36, v18, v22, s0
	v_perm_b32 v18, v18, v22, s1
	v_perm_b32 v22, v26, v30, s1
	s_waitcnt lgkmcnt(1)
	v_mfma_f32_16x16x16_bf16 a[4:7], v[60:61], v[38:39], a[0:3]
	v_perm_b32 v38, v26, v30, s0
	ds_write2st64_b32 v35, v36, v38 offset0:32 offset1:64
	v_xor_b32_e32 v36, 8, v35
	v_add_u32_e32 v26, 0x80, v36
	ds_write2st64_b32 v26, v18, v22 offset0:32 offset1:64
	v_xor_b32_e32 v18, 16, v35
	v_perm_b32 v22, v19, v23, s0
	v_perm_b32 v26, v27, v31, s0
	ds_write2st64_b32 v18, v22, v26 offset0:33 offset1:65
	v_xor_b32_e32 v18, 24, v35
	v_perm_b32 v19, v19, v23, s1
	v_perm_b32 v22, v27, v31, s1
	v_add_u32_e32 v18, 0x80, v18
	ds_write2st64_b32 v18, v19, v22 offset0:33 offset1:65
	v_xor_b32_e32 v18, 32, v35
	v_perm_b32 v19, v20, v24, s0
	v_perm_b32 v22, v28, v32, s0
	ds_write2st64_b32 v18, v19, v22 offset0:34 offset1:66
	v_xor_b32_e32 v18, 40, v35
	s_waitcnt lgkmcnt(5)
	v_mfma_f32_16x16x16_bf16 a[0:3], v[60:61], v[44:45], a[8:11]
	v_perm_b32 v19, v20, v24, s1
	v_perm_b32 v20, v28, v32, s1
	v_add_u32_e32 v18, 0x80, v18
	ds_write2st64_b32 v18, v19, v20 offset0:34 offset1:66
	v_xor_b32_e32 v18, 48, v35
	v_perm_b32 v19, v21, v25, s0
	v_perm_b32 v20, v29, v33, s0
	ds_write2st64_b32 v18, v19, v20 offset0:35 offset1:67
	v_xor_b32_e32 v18, 56, v35
	v_and_or_b32 v39, v48, 12, v57
	v_perm_b32 v19, v21, v25, s1
	v_perm_b32 v20, v29, v33, s1
	v_add_u32_e32 v18, 0x80, v18
	v_cmp_gt_i32_e32 vcc, s52, v39
	v_mov_b32_e32 v32, 0
	v_mov_b32_e32 v36, 0
	ds_write2st64_b32 v18, v19, v20 offset0:35 offset1:67
	s_and_saveexec_b64 s[0:1], vcc
	s_cbranch_execz .LBB318_63
; %bb.62:
	v_add_u32_e32 v18, s50, v39
	v_ashrrev_i32_e32 v19, 31, v18
	v_mul_lo_u32 v20, v19, s36
	v_mul_lo_u32 v21, v18, s37
	v_mad_u64_u32 v[18:19], s[2:3], v18, s36, 0
	v_add3_u32 v19, v19, v21, v20
	v_lshl_add_u64 v[18:19], v[18:19], 2, s[12:13]
	global_load_dword v18, v[18:19], off
	s_waitcnt vmcnt(0)
	v_sub_f32_e32 v18, s16, v18
	v_exp_f32_e32 v36, v18
.LBB318_63:
	s_or_b64 exec, exec, s[0:1]
	v_or_b32_e32 v26, 1, v39
	v_cmp_gt_i32_e64 s[0:1], s52, v26
	s_and_saveexec_b64 s[2:3], s[0:1]
	s_cbranch_execz .LBB318_65
; %bb.64:
	v_add_u32_e32 v18, s50, v26
	v_ashrrev_i32_e32 v19, 31, v18
	v_mul_lo_u32 v20, v19, s36
	v_mul_lo_u32 v21, v18, s37
	v_mad_u64_u32 v[18:19], s[4:5], v18, s36, 0
	v_add3_u32 v19, v19, v21, v20
	v_lshl_add_u64 v[18:19], v[18:19], 2, s[12:13]
	global_load_dword v18, v[18:19], off
	s_waitcnt vmcnt(0)
	v_sub_f32_e32 v18, s16, v18
	v_exp_f32_e32 v32, v18
.LBB318_65:
	s_or_b64 exec, exec, s[2:3]
	v_or_b32_e32 v27, 2, v39
	v_cmp_gt_i32_e64 s[2:3], s52, v27
	v_mov_b32_e32 v33, 0
	v_mov_b32_e32 v38, 0
	s_and_saveexec_b64 s[4:5], s[2:3]
	s_cbranch_execz .LBB318_67
; %bb.66:
	v_add_u32_e32 v18, s50, v27
	v_ashrrev_i32_e32 v19, 31, v18
	v_mul_lo_u32 v20, v19, s36
	v_mul_lo_u32 v21, v18, s37
	v_mad_u64_u32 v[18:19], s[6:7], v18, s36, 0
	v_add3_u32 v19, v19, v21, v20
	v_lshl_add_u64 v[18:19], v[18:19], 2, s[12:13]
	global_load_dword v18, v[18:19], off
	s_waitcnt vmcnt(0)
	v_sub_f32_e32 v18, s16, v18
	v_exp_f32_e32 v38, v18
.LBB318_67:
	s_or_b64 exec, exec, s[4:5]
	v_or_b32_e32 v44, 3, v39
	v_cmp_gt_i32_e64 s[4:5], s52, v44
	s_and_saveexec_b64 s[6:7], s[4:5]
	s_cbranch_execz .LBB318_69
; %bb.68:
	v_add_u32_e32 v18, s50, v44
	v_ashrrev_i32_e32 v19, 31, v18
	v_mul_lo_u32 v20, v19, s36
	v_mul_lo_u32 v21, v18, s37
	v_mad_u64_u32 v[18:19], s[14:15], v18, s36, 0
	v_add3_u32 v19, v19, v21, v20
	v_lshl_add_u64 v[18:19], v[18:19], 2, s[12:13]
	global_load_dword v18, v[18:19], off
	s_waitcnt vmcnt(0)
	v_sub_f32_e32 v18, s16, v18
	v_exp_f32_e32 v33, v18
.LBB318_69:
	s_or_b64 exec, exec, s[6:7]
	s_add_u32 s6, s20, s10
	v_accvgpr_read_b32 v21, a7
	s_addc_u32 s7, s21, s11
	v_ashrrev_i32_e32 v35, 31, v34
	v_accvgpr_read_b32 v20, a6
	v_accvgpr_read_b32 v19, a5
	;; [unrolled: 1-line block ×3, first 2 shown]
	v_lshl_add_u64 v[22:23], v[34:35], 1, s[6:7]
	v_mov_b32_e32 v29, 0
	v_lshlrev_b32_e32 v24, 8, v39
	v_mov_b32_e32 v25, 0
	s_and_saveexec_b64 s[6:7], vcc
	s_cbranch_execz .LBB318_71
; %bb.70:
	v_mov_b32_e32 v25, 0
	v_lshl_add_u64 v[30:31], v[22:23], 0, v[24:25]
	global_load_ushort v25, v[30:31], off
	s_waitcnt vmcnt(0)
	v_lshlrev_b32_e32 v25, 16, v25
	v_sub_f32_e32 v18, v25, v18
	v_mul_f32_e32 v18, v36, v18
	v_lshrrev_b32_e32 v25, 16, v18
.LBB318_71:
	s_or_b64 exec, exec, s[6:7]
	v_lshlrev_b32_e32 v28, 8, v26
	s_and_saveexec_b64 s[6:7], s[0:1]
	s_cbranch_execz .LBB318_73
; %bb.72:
	v_mov_b32_e32 v29, 0
	v_lshl_add_u64 v[30:31], v[22:23], 0, v[28:29]
	global_load_ushort v18, v[30:31], off
	s_waitcnt vmcnt(0)
	v_lshlrev_b32_e32 v18, 16, v18
	v_sub_f32_e32 v18, v18, v19
	v_mul_f32_e32 v18, v32, v18
	v_lshrrev_b32_e32 v29, 16, v18
.LBB318_73:
	s_or_b64 exec, exec, s[6:7]
	v_mov_b32_e32 v45, 0
	v_lshlrev_b32_e32 v30, 8, v27
	v_mov_b32_e32 v31, 0
	s_and_saveexec_b64 s[6:7], s[2:3]
	s_cbranch_execz .LBB318_75
; %bb.74:
	v_mov_b32_e32 v31, 0
	v_lshl_add_u64 v[18:19], v[22:23], 0, v[30:31]
	global_load_ushort v18, v[18:19], off
	s_waitcnt vmcnt(0)
	v_lshlrev_b32_e32 v18, 16, v18
	v_sub_f32_e32 v18, v18, v20
	v_mul_f32_e32 v18, v38, v18
	v_lshrrev_b32_e32 v31, 16, v18
.LBB318_75:
	s_or_b64 exec, exec, s[6:7]
	v_lshlrev_b32_e32 v26, 8, v44
	s_and_saveexec_b64 s[6:7], s[4:5]
	s_cbranch_execz .LBB318_77
; %bb.76:
	v_mov_b32_e32 v27, 0
	v_lshl_add_u64 v[18:19], v[22:23], 0, v[26:27]
	global_load_ushort v18, v[18:19], off
	s_waitcnt vmcnt(0)
	v_lshlrev_b32_e32 v18, 16, v18
	v_sub_f32_e32 v18, v18, v21
	v_mul_f32_e32 v18, v33, v18
	v_lshrrev_b32_e32 v45, 16, v18
.LBB318_77:
	s_or_b64 exec, exec, s[6:7]
	v_lshlrev_b32_e32 v35, 5, v39
	s_mov_b32 s6, 0x5040100
	v_perm_b32 v44, v29, v25, s6
	v_or_b32_e32 v25, v35, v40
	v_accvgpr_read_b32 v21, a3
	v_perm_b32 v45, v45, v31, s6
	v_lshlrev_b32_e32 v25, 1, v25
	v_accvgpr_read_b32 v20, a2
	v_accvgpr_read_b32 v19, a1
	;; [unrolled: 1-line block ×3, first 2 shown]
	ds_write_b64 v25, v[44:45] offset:45056
	v_mov_b32_e32 v29, 0
	v_mov_b32_e32 v25, 0
	s_and_saveexec_b64 s[6:7], vcc
	s_cbranch_execz .LBB318_79
; %bb.78:
	v_mov_b32_e32 v25, 0
	v_lshl_add_u64 v[24:25], v[22:23], 0, v[24:25]
	global_load_ushort v24, v[24:25], off offset:32
	s_waitcnt vmcnt(0)
	v_lshlrev_b32_e32 v24, 16, v24
	v_sub_f32_e32 v18, v24, v18
	v_mul_f32_e32 v18, v36, v18
	v_lshrrev_b32_e32 v25, 16, v18
.LBB318_79:
	s_or_b64 exec, exec, s[6:7]
	s_and_saveexec_b64 s[6:7], s[0:1]
	s_cbranch_execz .LBB318_81
; %bb.80:
	v_mov_b32_e32 v29, 0
	v_lshl_add_u64 v[28:29], v[22:23], 0, v[28:29]
	global_load_ushort v18, v[28:29], off offset:32
	s_waitcnt vmcnt(0)
	v_lshlrev_b32_e32 v18, 16, v18
	v_sub_f32_e32 v18, v18, v19
	v_mul_f32_e32 v18, v32, v18
	v_lshrrev_b32_e32 v29, 16, v18
.LBB318_81:
	s_or_b64 exec, exec, s[6:7]
	v_mov_b32_e32 v24, 0
	v_mov_b32_e32 v28, 0
	s_and_saveexec_b64 s[0:1], s[2:3]
	s_cbranch_execz .LBB318_83
; %bb.82:
	v_mov_b32_e32 v31, 0
	v_lshl_add_u64 v[18:19], v[22:23], 0, v[30:31]
	global_load_ushort v18, v[18:19], off offset:32
	s_waitcnt vmcnt(0)
	v_lshlrev_b32_e32 v18, 16, v18
	v_sub_f32_e32 v18, v18, v20
	v_mul_f32_e32 v18, v38, v18
	v_lshrrev_b32_e32 v28, 16, v18
.LBB318_83:
	s_or_b64 exec, exec, s[0:1]
	v_or_b32_e32 v19, 0xb000, v42
	v_or_b32_e32 v18, 0xb000, v43
	s_and_saveexec_b64 s[0:1], s[4:5]
	s_cbranch_execz .LBB318_85
; %bb.84:
	v_mov_b32_e32 v27, 0
	v_lshl_add_u64 v[22:23], v[22:23], 0, v[26:27]
	global_load_ushort v20, v[22:23], off offset:32
	s_waitcnt vmcnt(0)
	v_lshlrev_b32_e32 v20, 16, v20
	v_sub_f32_e32 v20, v20, v21
	v_mul_f32_e32 v20, v33, v20
	v_lshrrev_b32_e32 v24, 16, v20
.LBB318_85:
	s_or_b64 exec, exec, s[0:1]
	s_mov_b32 s0, 0x5040100
	v_or_b32_e32 v22, v35, v37
	v_perm_b32 v21, v24, v28, s0
	v_perm_b32 v20, v29, v25, s0
	v_lshlrev_b32_e32 v22, 1, v22
	s_movk_i32 s0, 0x100
	ds_write_b64 v22, v[20:21] offset:45056
	v_and_b32_e32 v20, 7, v0
	v_and_b32_e32 v21, 8, v0
	v_cmp_gt_u32_e32 vcc, s0, v0
	v_lshrrev_b32_e32 v0, 1, v0
	v_lshlrev_b32_e32 v35, 3, v20
	v_lshlrev_b32_e32 v36, 7, v20
	v_mov_b32_e32 v20, 0x4000
	v_mov_b32_e32 v22, 0x2000
	v_lshlrev_b32_e32 v38, 3, v56
	v_and_b32_e32 v0, 24, v0
	v_cndmask_b32_e32 v37, v20, v22, vcc
	v_xor_b32_e32 v20, v38, v0
	v_or_b32_e32 v26, 32, v0
	v_or_b32_e32 v22, 0x440, v20
	v_cmp_eq_u32_e32 vcc, 0, v21
	v_xor_b32_e32 v26, v38, v26
	v_or_b32_e32 v27, 0x440, v26
	v_cndmask_b32_e32 v20, v22, v20, vcc
	v_or_b32_e32 v20, v20, v41
	v_cndmask_b32_e32 v26, v27, v26, vcc
	v_xad_u32 v40, v20, v35, v36
	v_or_b32_e32 v26, v26, v41
	v_add_u32_e32 v20, v37, v40
	v_xad_u32 v42, v26, v35, v36
	s_waitcnt lgkmcnt(0)
	s_barrier
	ds_read_b64 v[24:25], v20
	ds_read2_b64 v[20:23], v19 offset1:16
	v_add_u32_e32 v26, v37, v42
	ds_read_b64 v[32:33], v26
	s_waitcnt lgkmcnt(1)
	v_mfma_f32_16x16x16_bf16 a[0:3], v[24:25], v[20:21], 0
	ds_read2st64_b64 v[28:31], v18 offset0:2 offset1:4
	v_mfma_f32_16x16x16_bf16 a[4:7], v[24:25], v[22:23], 0
	ds_read2st64_b64 v[24:27], v19 offset0:2 offset1:4
	s_waitcnt lgkmcnt(0)
	v_mfma_f32_16x16x16_bf16 a[0:3], v[32:33], v[24:25], a[0:3]
	v_mfma_f32_16x16x16_bf16 a[4:7], v[32:33], v[28:29], a[4:7]
	v_or_b32_e32 v32, 64, v0
	v_xor_b32_e32 v32, v38, v32
	v_xor_b32_e32 v33, 0x440, v32
	v_cndmask_b32_e32 v32, v33, v32, vcc
	v_or_b32_e32 v32, v32, v41
	v_xad_u32 v43, v32, v35, v36
	v_add_u32_e32 v32, v37, v43
	ds_read_b64 v[32:33], v32
	v_or_b32_e32 v0, 0x60, v0
	v_xor_b32_e32 v0, v38, v0
	v_xor_b32_e32 v38, 0x440, v0
	v_cndmask_b32_e32 v0, v38, v0, vcc
	v_or_b32_e32 v0, v0, v41
	v_xad_u32 v0, v0, v35, v36
	v_add_u32_e32 v35, v37, v0
	ds_read_b64 v[36:37], v35
	s_waitcnt lgkmcnt(1)
	v_mfma_f32_16x16x16_bf16 a[0:3], v[32:33], v[26:27], a[0:3]
	v_exp_f32_e32 v35, s16
	v_mfma_f32_16x16x16_bf16 a[4:7], v[32:33], v[30:31], a[4:7]
	ds_read_b64 v[32:33], v19 offset:3072
	ds_read_b64 v[38:39], v18 offset:3072
	;; [unrolled: 1-line block ×3, first 2 shown]
	s_waitcnt lgkmcnt(0)
	v_mfma_f32_16x16x16_bf16 a[8:11], v[18:19], v[20:21], 0
	ds_read_b64 v[20:21], v42 offset:16384
	v_mfma_f32_16x16x16_bf16 a[0:3], v[36:37], v[32:33], a[0:3]
	v_mfma_f32_16x16x16_bf16 a[12:15], v[18:19], v[22:23], 0
	ds_read_b64 v[22:23], v43 offset:16384
	s_nop 4
	v_accvgpr_read_b32 v18, a0
	v_fma_f32 v18, v2, v35, v18
	v_accvgpr_read_b32 v2, a1
	v_fma_f32 v19, v3, v35, v2
	v_accvgpr_read_b32 v2, a2
	s_waitcnt lgkmcnt(1)
	v_mfma_f32_16x16x16_bf16 a[8:11], v[20:21], v[24:25], a[8:11]
	v_mfma_f32_16x16x16_bf16 a[12:15], v[20:21], v[28:29], a[12:15]
	v_fma_f32 v20, v4, v35, v2
	ds_read_b64 v[2:3], v0 offset:16384
	v_accvgpr_read_b32 v21, a3
	s_waitcnt lgkmcnt(1)
	v_mfma_f32_16x16x16_bf16 a[0:3], v[22:23], v[26:27], a[8:11]
	v_fmac_f32_e32 v21, v5, v35
	v_mfma_f32_16x16x16_bf16 a[4:7], v[36:37], v[38:39], a[4:7]
	v_mfma_f32_16x16x16_bf16 a[8:11], v[22:23], v[30:31], a[12:15]
	s_waitcnt lgkmcnt(0)
	v_mfma_f32_16x16x16_bf16 a[0:3], v[2:3], v[32:33], a[0:3]
	s_nop 3
	v_accvgpr_read_b32 v0, a4
	v_fma_f32 v26, v10, v35, v0
	v_accvgpr_read_b32 v0, a5
	v_fma_f32 v27, v11, v35, v0
	v_accvgpr_read_b32 v0, a6
	v_accvgpr_read_b32 v29, a7
	v_mfma_f32_16x16x16_bf16 a[4:7], v[2:3], v[38:39], a[8:11]
	v_fma_f32 v28, v12, v35, v0
	v_accvgpr_read_b32 v0, a0
	v_fma_f32 v22, v6, v35, v0
	v_accvgpr_read_b32 v0, a1
	;; [unrolled: 2-line block ×5, first 2 shown]
	v_accvgpr_read_b32 v25, a3
	v_fma_f32 v31, v15, v35, v0
	v_accvgpr_read_b32 v0, a6
	v_accvgpr_read_b32 v33, a7
	v_fmac_f32_e32 v29, v13, v35
	v_fmac_f32_e32 v25, v9, v35
	v_fma_f32 v32, v16, v35, v0
	v_fmac_f32_e32 v33, v17, v35
	v_mov_b64_e32 v[2:3], v[18:19]
	v_mov_b64_e32 v[4:5], v[20:21]
	v_mov_b64_e32 v[6:7], v[22:23]
	v_mov_b64_e32 v[8:9], v[24:25]
	v_mov_b64_e32 v[10:11], v[26:27]
	v_mov_b64_e32 v[12:13], v[28:29]
	v_mov_b64_e32 v[14:15], v[30:31]
	v_mov_b64_e32 v[16:17], v[32:33]
	v_mov_b32_e32 v18, v34
.LBB318_86:
	s_lshl_b64 s[0:1], s[8:9], 15
	s_waitcnt lgkmcnt(0)
	s_add_u32 s0, s34, s0
	v_lshlrev_b32_e32 v18, 7, v18
	s_addc_u32 s1, s35, s1
	v_ashrrev_i32_e32 v19, 31, v18
	v_lshl_add_u64 v[20:21], v[18:19], 1, s[0:1]
	v_lshlrev_b32_e32 v0, 1, v1
	v_mov_b32_e32 v1, 0
	s_mov_b32 s2, 0x7060302
	v_lshl_add_u64 v[20:21], v[20:21], 0, v[0:1]
	v_perm_b32 v5, v5, v4, s2
	v_perm_b32 v4, v3, v2, s2
	;; [unrolled: 1-line block ×4, first 2 shown]
	global_store_dwordx2 v[20:21], v[2:3], off offset:128
	v_or_b32_e32 v2, 0x800, v18
	v_ashrrev_i32_e32 v3, 31, v2
	v_lshl_add_u64 v[2:3], v[2:3], 1, s[0:1]
	v_lshl_add_u64 v[0:1], v[2:3], 0, v[0:1]
	v_perm_b32 v3, v13, v12, s2
	v_perm_b32 v2, v11, v10, s2
	global_store_dwordx2 v[0:1], v[2:3], off
	v_perm_b32 v3, v17, v16, s2
	v_perm_b32 v2, v15, v14, s2
	global_store_dwordx2 v[20:21], v[4:5], off
	global_store_dwordx2 v[0:1], v[2:3], off offset:128
	s_endpgm
	.section	.rodata,"a",@progbits
	.p2align	6, 0x0
	.amdhsa_kernel _ZN12_GLOBAL__N_139chunk_gated_delta_rule_fwd_h_hip_kernelILi32ELb0ELb1ELb0ELb0ELb1ELb0ELb0ELb1EEEvPK12hip_bfloat16S3_S3_PKfS5_PKvPS1_S8_PvPKiSB_iiiiilll
		.amdhsa_group_segment_fixed_size 49152
		.amdhsa_private_segment_fixed_size 0
		.amdhsa_kernarg_size 136
		.amdhsa_user_sgpr_count 2
		.amdhsa_user_sgpr_dispatch_ptr 0
		.amdhsa_user_sgpr_queue_ptr 0
		.amdhsa_user_sgpr_kernarg_segment_ptr 1
		.amdhsa_user_sgpr_dispatch_id 0
		.amdhsa_user_sgpr_kernarg_preload_length 0
		.amdhsa_user_sgpr_kernarg_preload_offset 0
		.amdhsa_user_sgpr_private_segment_size 0
		.amdhsa_uses_dynamic_stack 0
		.amdhsa_enable_private_segment 0
		.amdhsa_system_sgpr_workgroup_id_x 1
		.amdhsa_system_sgpr_workgroup_id_y 1
		.amdhsa_system_sgpr_workgroup_id_z 0
		.amdhsa_system_sgpr_workgroup_info 0
		.amdhsa_system_vgpr_workitem_id 0
		.amdhsa_next_free_vgpr 148
		.amdhsa_next_free_sgpr 64
		.amdhsa_accum_offset 132
		.amdhsa_reserve_vcc 1
		.amdhsa_float_round_mode_32 0
		.amdhsa_float_round_mode_16_64 0
		.amdhsa_float_denorm_mode_32 3
		.amdhsa_float_denorm_mode_16_64 3
		.amdhsa_dx10_clamp 1
		.amdhsa_ieee_mode 1
		.amdhsa_fp16_overflow 0
		.amdhsa_tg_split 0
		.amdhsa_exception_fp_ieee_invalid_op 0
		.amdhsa_exception_fp_denorm_src 0
		.amdhsa_exception_fp_ieee_div_zero 0
		.amdhsa_exception_fp_ieee_overflow 0
		.amdhsa_exception_fp_ieee_underflow 0
		.amdhsa_exception_fp_ieee_inexact 0
		.amdhsa_exception_int_div_zero 0
	.end_amdhsa_kernel
	.section	.text._ZN12_GLOBAL__N_139chunk_gated_delta_rule_fwd_h_hip_kernelILi32ELb0ELb1ELb0ELb0ELb1ELb0ELb0ELb1EEEvPK12hip_bfloat16S3_S3_PKfS5_PKvPS1_S8_PvPKiSB_iiiiilll,"axG",@progbits,_ZN12_GLOBAL__N_139chunk_gated_delta_rule_fwd_h_hip_kernelILi32ELb0ELb1ELb0ELb0ELb1ELb0ELb0ELb1EEEvPK12hip_bfloat16S3_S3_PKfS5_PKvPS1_S8_PvPKiSB_iiiiilll,comdat
.Lfunc_end318:
	.size	_ZN12_GLOBAL__N_139chunk_gated_delta_rule_fwd_h_hip_kernelILi32ELb0ELb1ELb0ELb0ELb1ELb0ELb0ELb1EEEvPK12hip_bfloat16S3_S3_PKfS5_PKvPS1_S8_PvPKiSB_iiiiilll, .Lfunc_end318-_ZN12_GLOBAL__N_139chunk_gated_delta_rule_fwd_h_hip_kernelILi32ELb0ELb1ELb0ELb0ELb1ELb0ELb0ELb1EEEvPK12hip_bfloat16S3_S3_PKfS5_PKvPS1_S8_PvPKiSB_iiiiilll
                                        ; -- End function
	.section	.AMDGPU.csdata,"",@progbits
; Kernel info:
; codeLenInByte = 9448
; NumSgprs: 70
; NumVgprs: 130
; NumAgprs: 16
; TotalNumVgprs: 148
; ScratchSize: 0
; MemoryBound: 0
; FloatMode: 240
; IeeeMode: 1
; LDSByteSize: 49152 bytes/workgroup (compile time only)
; SGPRBlocks: 8
; VGPRBlocks: 18
; NumSGPRsForWavesPerEU: 70
; NumVGPRsForWavesPerEU: 148
; AccumOffset: 132
; Occupancy: 1
; WaveLimiterHint : 1
; COMPUTE_PGM_RSRC2:SCRATCH_EN: 0
; COMPUTE_PGM_RSRC2:USER_SGPR: 2
; COMPUTE_PGM_RSRC2:TRAP_HANDLER: 0
; COMPUTE_PGM_RSRC2:TGID_X_EN: 1
; COMPUTE_PGM_RSRC2:TGID_Y_EN: 1
; COMPUTE_PGM_RSRC2:TGID_Z_EN: 0
; COMPUTE_PGM_RSRC2:TIDIG_COMP_CNT: 0
; COMPUTE_PGM_RSRC3_GFX90A:ACCUM_OFFSET: 32
; COMPUTE_PGM_RSRC3_GFX90A:TG_SPLIT: 0
	.section	.text._ZN12_GLOBAL__N_139chunk_gated_delta_rule_fwd_h_hip_kernelILi32ELb0ELb0ELb1ELb0ELb1ELb0ELb0ELb1EEEvPK12hip_bfloat16S3_S3_PKfS5_PKvPS1_S8_PvPKiSB_iiiiilll,"axG",@progbits,_ZN12_GLOBAL__N_139chunk_gated_delta_rule_fwd_h_hip_kernelILi32ELb0ELb0ELb1ELb0ELb1ELb0ELb0ELb1EEEvPK12hip_bfloat16S3_S3_PKfS5_PKvPS1_S8_PvPKiSB_iiiiilll,comdat
	.globl	_ZN12_GLOBAL__N_139chunk_gated_delta_rule_fwd_h_hip_kernelILi32ELb0ELb0ELb1ELb0ELb1ELb0ELb0ELb1EEEvPK12hip_bfloat16S3_S3_PKfS5_PKvPS1_S8_PvPKiSB_iiiiilll ; -- Begin function _ZN12_GLOBAL__N_139chunk_gated_delta_rule_fwd_h_hip_kernelILi32ELb0ELb0ELb1ELb0ELb1ELb0ELb0ELb1EEEvPK12hip_bfloat16S3_S3_PKfS5_PKvPS1_S8_PvPKiSB_iiiiilll
	.p2align	8
	.type	_ZN12_GLOBAL__N_139chunk_gated_delta_rule_fwd_h_hip_kernelILi32ELb0ELb0ELb1ELb0ELb1ELb0ELb0ELb1EEEvPK12hip_bfloat16S3_S3_PKfS5_PKvPS1_S8_PvPKiSB_iiiiilll,@function
_ZN12_GLOBAL__N_139chunk_gated_delta_rule_fwd_h_hip_kernelILi32ELb0ELb0ELb1ELb0ELb1ELb0ELb0ELb1EEEvPK12hip_bfloat16S3_S3_PKfS5_PKvPS1_S8_PvPKiSB_iiiiilll: ; @_ZN12_GLOBAL__N_139chunk_gated_delta_rule_fwd_h_hip_kernelILi32ELb0ELb0ELb1ELb0ELb1ELb0ELb0ELb1EEEvPK12hip_bfloat16S3_S3_PKfS5_PKvPS1_S8_PvPKiSB_iiiiilll
; %bb.0:
	s_load_dwordx4 s[16:19], s[0:1], 0x5c
	s_load_dwordx4 s[12:15], s[0:1], 0x30
	s_abs_i32 s22, s3
	s_ashr_i32 s21, s3, 31
	s_load_dwordx8 s[4:11], s[0:1], 0x0
	s_waitcnt lgkmcnt(0)
	s_abs_i32 s20, s17
	v_cvt_f32_u32_e32 v1, s20
	s_sub_i32 s24, 0, s20
	s_ashr_i32 s23, s17, 31
	s_xor_b32 s21, s21, s23
	v_rcp_iflag_f32_e32 v1, v1
	v_lshrrev_b32_e32 v44, 6, v0
	v_bfe_u32 v45, v0, 4, 2
	v_lshlrev_b32_e32 v2, 2, v45
	v_mul_f32_e32 v1, 0x4f7ffffe, v1
	v_cvt_u32_f32_e32 v1, v1
	v_and_b32_e32 v43, 63, v0
	v_and_b32_e32 v42, 15, v0
	v_mov_b32_e32 v3, 0
	v_readfirstlane_b32 s25, v1
	s_mul_i32 s24, s24, s25
	s_mul_hi_u32 s24, s25, s24
	s_add_i32 s25, s25, s24
	s_mul_hi_u32 s24, s22, s25
	s_mul_i32 s25, s24, s20
	s_sub_i32 s22, s22, s25
	s_add_i32 s26, s24, 1
	s_sub_i32 s25, s22, s20
	s_cmp_ge_u32 s22, s20
	s_cselect_b32 s24, s26, s24
	s_cselect_b32 s22, s25, s22
	s_add_i32 s25, s24, 1
	s_cmp_ge_u32 s22, s20
	s_cselect_b32 s22, s25, s24
	s_xor_b32 s22, s22, s21
	s_sub_i32 s47, s22, s21
	s_abs_i32 s21, s18
	v_cvt_f32_u32_e32 v1, s21
	s_add_i32 s24, s16, 63
	s_mul_i32 s45, s47, s17
	s_sub_i32 s33, s3, s45
	v_rcp_iflag_f32_e32 v1, v1
	s_ashr_i32 s3, s24, 31
	s_ashr_i32 s46, s16, 31
	s_lshr_b32 s3, s3, 26
	v_mul_f32_e32 v1, 0x4f7ffffe, v1
	v_cvt_u32_f32_e32 v1, v1
	s_lshr_b32 s22, s46, 26
	s_add_i32 s24, s24, s3
	s_add_i32 s22, s16, s22
	s_ashr_i32 s49, s18, 31
	s_ashr_i32 s3, s24, 6
	;; [unrolled: 1-line block ×3, first 2 shown]
	s_xor_b32 s22, s23, s49
	s_sub_i32 s23, 0, s21
	v_readfirstlane_b32 s24, v1
	s_mul_i32 s23, s23, s24
	s_mul_hi_u32 s23, s24, s23
	s_add_i32 s24, s24, s23
	s_mul_hi_u32 s23, s20, s24
	s_mul_i32 s24, s23, s21
	s_sub_i32 s20, s20, s24
	s_add_i32 s24, s23, 1
	s_sub_i32 s25, s20, s21
	s_cmp_ge_u32 s20, s21
	s_cselect_b32 s23, s24, s23
	s_cselect_b32 s20, s25, s20
	s_add_i32 s24, s23, 1
	s_cmp_ge_u32 s20, s21
	s_cselect_b32 s20, s24, s23
	s_xor_b32 s20, s20, s22
	s_sub_i32 s24, s20, s22
	s_abs_i32 s25, s24
	v_cvt_f32_u32_e32 v1, s25
	s_load_dwordx2 s[34:35], s[0:1], 0x80
	s_load_dwordx4 s[20:23], s[0:1], 0x70
	s_xor_b32 s0, s33, s24
	s_sub_i32 s24, 0, s25
	v_rcp_iflag_f32_e32 v1, v1
	s_abs_i32 s1, s33
	s_ashr_i32 s0, s0, 31
	s_mul_i32 s50, s47, s3
	v_mul_f32_e32 v1, 0x4f7ffffe, v1
	v_cvt_u32_f32_e32 v1, v1
	s_mul_hi_i32 s51, s47, s17
	v_lshrrev_b32_e32 v47, 3, v43
	v_lshlrev_b32_e32 v46, 3, v0
	v_readfirstlane_b32 s26, v1
	s_mul_i32 s24, s24, s26
	s_mul_hi_u32 s24, s26, s24
	s_add_i32 s26, s26, s24
	s_mul_hi_u32 s24, s1, s26
	s_mul_i32 s26, s24, s25
	s_sub_i32 s1, s1, s26
	s_add_i32 s26, s24, 1
	s_sub_i32 s27, s1, s25
	s_cmp_ge_u32 s1, s25
	s_cselect_b32 s24, s26, s24
	s_cselect_b32 s1, s27, s1
	s_add_i32 s26, s24, 1
	s_cmp_ge_u32 s1, s25
	s_cselect_b32 s1, s26, s24
	s_xor_b32 s1, s1, s0
	v_lshlrev_b32_e32 v1, 4, v44
	s_sub_i32 s52, s1, s0
	v_or_b32_e32 v48, v2, v1
	s_lshl_b32 s36, s2, 5
	v_or_b32_e32 v49, 64, v48
	s_cmp_lt_i32 s16, 64
	s_waitcnt lgkmcnt(0)
	s_mul_i32 s21, s47, s21
	s_mul_hi_u32 s44, s47, s20
	s_mul_i32 s38, s47, s20
	v_mov_b32_e32 v64, 0
	v_mov_b32_e32 v62, 0
	;; [unrolled: 1-line block ×15, first 2 shown]
	s_cbranch_scc1 .LBB319_18
; %bb.1:
	s_ashr_i32 s28, s47, 31
	s_ashr_i32 s54, s33, 31
	s_add_u32 s0, s45, s33
	s_addc_u32 s1, s51, s54
	s_mul_i32 s1, s16, s1
	s_mul_hi_u32 s2, s16, s0
	s_add_i32 s3, s2, s1
	s_mul_i32 s2, s16, s0
	s_lshl_b64 s[0:1], s[2:3], 8
	v_and_b32_e32 v51, 56, v46
	s_add_u32 s24, s6, s0
	v_lshl_or_b32 v50, v44, 3, v47
	v_lshlrev_b32_e32 v3, 1, v51
	s_addc_u32 s0, s7, s1
	v_lshl_or_b32 v52, v50, 8, v3
	s_and_b32 s25, s0, 0xffff
	s_mov_b32 s27, 0x20000
	s_movk_i32 s26, 0x4000
	s_movk_i32 s0, 0x80
	v_or_b32_e32 v53, 0x2000, v52
	buffer_load_dwordx4 v[4:7], v52, s[24:27], 0 offen
	buffer_load_dwordx4 v[8:11], v52, s[24:27], s0 offen
	;; [unrolled: 1-line block ×4, first 2 shown]
	v_lshlrev_b32_e32 v20, 3, v50
	v_and_or_b32 v22, v0, 7, v20
	v_and_b32_e32 v20, 0x78, v20
	v_lshlrev_b32_e32 v22, 4, v22
	v_xor_b32_e32 v54, v22, v20
	v_mul_lo_u32 v21, v50, s19
	v_or_b32_e32 v55, 0x1000, v54
	s_cmpk_eq_i32 s19, 0x80
	s_mov_b32 s53, s18
	v_xor_b32_e32 v20, 8, v54
	v_xor_b32_e32 v22, 8, v55
	s_cselect_b64 s[0:1], -1, 0
	s_cmpk_lg_i32 s19, 0x80
	s_waitcnt vmcnt(3)
	ds_write_b64 v54, v[4:5] offset:24576
	ds_write_b64 v20, v[6:7] offset:24576
	s_waitcnt vmcnt(2)
	ds_write_b64 v54, v[8:9] offset:32768
	ds_write_b64 v20, v[10:11] offset:32768
	;; [unrolled: 3-line block ×4, first 2 shown]
	v_lshl_add_u32 v4, v21, 1, v51
	s_cbranch_scc0 .LBB319_3
; %bb.2:
	v_lshlrev_b32_e32 v6, 1, v4
	v_add_lshl_u32 v5, v4, s19, 1
	s_lshl_b32 s26, s19, 7
	v_lshl_or_b32 v3, v50, 9, v3
	s_cbranch_execz .LBB319_4
	s_branch .LBB319_5
.LBB319_3:
                                        ; implicit-def: $vgpr5
                                        ; implicit-def: $vgpr6
                                        ; implicit-def: $sgpr26
	v_lshl_or_b32 v3, v50, 9, v3
.LBB319_4:
	v_or_b32_e32 v5, 0x100, v3
	s_movk_i32 s26, 0x4000
	v_mov_b32_e32 v6, v3
.LBB319_5:
	s_mul_hi_u32 s24, s18, s16
	s_mul_i32 s25, s49, s16
	s_add_i32 s24, s24, s25
	s_mul_i32 s25, s18, s16
	s_mul_i32 s27, s25, s28
	s_mul_hi_u32 s29, s25, s47
	s_add_i32 s27, s29, s27
	s_mul_i32 s24, s24, s47
	s_add_i32 s27, s27, s24
	s_mul_i32 s25, s25, s47
	s_ashr_i32 s55, s52, 31
	s_add_u32 s24, s25, s52
	s_addc_u32 s25, s27, s55
	s_lshl_b64 s[24:25], s[24:25], 8
	s_add_u32 s24, s4, s24
	s_addc_u32 s25, s5, s25
	s_and_b32 s25, s25, 0xffff
	s_mov_b32 s27, 0x20000
	s_movk_i32 s56, 0x80
	buffer_load_dwordx4 v[8:11], v6, s[24:27], 0 offen
	buffer_load_dwordx4 v[12:15], v6, s[24:27], s56 offen
	;; [unrolled: 1-line block ×4, first 2 shown]
	v_and_b32_e32 v5, 6, v0
	v_lshlrev_b32_e32 v24, 6, v48
	v_or_b32_e32 v26, 16, v42
	v_xor_b32_e32 v27, v50, v5
	v_and_b32_e32 v6, 1, v0
	s_mul_i32 s24, s28, s16
	s_mul_hi_u32 s25, s47, s16
	v_lshl_or_b32 v30, v42, 3, v24
	v_lshl_or_b32 v24, v26, 3, v24
	v_lshlrev_b32_e32 v27, 2, v27
	v_lshlrev_b32_e32 v7, 2, v42
	v_or_b32_e32 v58, 0xa000, v24
	v_or_b32_e32 v59, 0xb000, v24
	v_xor_b32_e32 v24, 0x440, v27
	v_cmp_eq_u32_e32 vcc, 0, v6
	s_add_i32 s61, s25, s24
	s_add_i32 s24, s44, s21
	s_mul_i32 s28, s28, s20
	v_xor_b32_e32 v28, v48, v7
	v_xor_b32_e32 v29, v49, v7
	v_cndmask_b32_e32 v6, v24, v27, vcc
	s_add_i32 s39, s24, s28
	s_mul_i32 s24, s33, s23
	s_mul_hi_u32 s25, s33, s22
	s_mov_b32 s58, 0x1000504
	v_lshlrev_b32_e32 v25, 8, v42
	v_lshlrev_b32_e32 v28, 1, v28
	;; [unrolled: 1-line block ×3, first 2 shown]
	v_lshl_or_b32 v5, v5, 10, v6
	s_add_i32 s24, s25, s24
	s_mul_i32 s25, s54, s22
	s_mov_b32 s59, 0x3020706
	v_or_b32_e32 v56, 0xa000, v30
	v_or_b32_e32 v57, 0xb000, v30
	;; [unrolled: 1-line block ×4, first 2 shown]
	v_xor_b32_e32 v6, 8, v5
	v_xor_b32_e32 v25, 24, v5
	;; [unrolled: 1-line block ×4, first 2 shown]
	s_add_i32 s25, s24, s25
	s_lshl_b64 s[28:29], s[38:39], 2
	v_xor_b32_e32 v24, 16, v5
	v_xor_b32_e32 v27, 32, v5
	;; [unrolled: 1-line block ×3, first 2 shown]
	v_add_u32_e32 v6, 0x80, v6
	v_add_u32_e32 v25, 0x80, v25
	;; [unrolled: 1-line block ×4, first 2 shown]
	s_mul_i32 s24, s33, s22
	s_add_u32 s26, s10, s28
	s_addc_u32 s28, s11, s29
	s_lshl_b64 s[24:25], s[24:25], 2
	s_add_u32 s40, s26, s24
	s_movk_i32 s24, 0xf8
	s_addc_u32 s41, s28, s25
	s_ashr_i32 s37, s36, 31
	s_lshl_b32 s30, s19, 7
	s_movk_i32 s28, 0x100
	v_mov_b32_e32 v35, 0
	v_cmp_gt_u32_e32 vcc, s28, v0
	s_mov_b32 s57, 0
	s_mul_i32 s60, s47, s16
	s_movk_i32 s39, 0x1000
	s_movk_i32 s26, 0x4000
	v_add_u32_e32 v93, v1, v2
	s_mov_b32 s63, 0
	v_mov_b32_e32 v74, v35
	v_mov_b32_e32 v73, v35
	;; [unrolled: 1-line block ×11, first 2 shown]
	s_waitcnt vmcnt(1)
	v_perm_b32 v33, v8, v16, s58
	s_waitcnt vmcnt(0)
	v_perm_b32 v34, v12, v20, s58
	v_perm_b32 v8, v8, v16, s59
	;; [unrolled: 1-line block ×15, first 2 shown]
	ds_write2st64_b32 v5, v33, v34 offset0:32 offset1:64
	ds_write2st64_b32 v6, v8, v12 offset0:32 offset1:64
	;; [unrolled: 1-line block ×8, first 2 shown]
	v_lshlrev_b32_e32 v5, 8, v26
	v_or_b32_e32 v68, v5, v28
	v_or_b32_e32 v69, v5, v29
	;; [unrolled: 1-line block ×3, first 2 shown]
	v_lshlrev_b32_e32 v5, 3, v5
	v_lshrrev_b32_e32 v8, 5, v43
	v_and_or_b32 v8, v5, s24, v8
	v_lshlrev_b32_e32 v8, 4, v8
	v_lshlrev_b32_e32 v9, 11, v44
	v_and_b32_e32 v5, 0x78, v5
	v_or_b32_e32 v13, 32, v8
	v_and_b32_e32 v6, 0x1000, v9
	v_lshrrev_b32_e32 v11, 1, v0
	v_xor_b32_e32 v13, v13, v5
	v_and_b32_e32 v12, 8, v11
	v_or_b32_e32 v13, v13, v6
	v_xor_b32_e32 v10, v8, v5
	v_xor_b32_e32 v78, v13, v12
	v_or_b32_e32 v13, 64, v8
	v_or_b32_e32 v8, 0x60, v8
	v_xor_b32_e32 v13, v13, v5
	v_xor_b32_e32 v5, v8, v5
	v_or_b32_e32 v10, v10, v6
	v_or_b32_e32 v13, v13, v6
	;; [unrolled: 1-line block ×3, first 2 shown]
	s_lshl_b64 s[24:25], s[36:37], 8
	v_xor_b32_e32 v76, v10, v12
	v_xor_b32_e32 v80, v13, v12
	;; [unrolled: 1-line block ×3, first 2 shown]
	v_lshlrev_b32_e32 v12, 1, v4
	v_add_lshl_u32 v13, v4, s19, 1
	s_add_u32 s24, s12, s24
	v_lshlrev_b32_e32 v4, 1, v42
	v_lshrrev_b32_e32 v15, 4, v0
	s_addc_u32 s25, s13, s25
	v_or_b32_e32 v5, 1, v4
	v_lshlrev_b32_e32 v34, 4, v42
	v_mov_b32_e32 v19, 0x4000
	v_mov_b32_e32 v20, 0x2000
	v_xor_b32_e32 v16, v15, v4
	v_xor_b32_e32 v17, v5, v15
	v_lshl_add_u64 v[4:5], s[24:25], 0, v[34:35]
	v_lshlrev_b32_e32 v34, 8, v15
	v_cndmask_b32_e32 v19, v19, v20, vcc
	v_lshlrev_b32_e32 v20, 3, v44
	v_and_b32_e32 v11, 24, v11
	v_lshl_or_b32 v84, v16, 3, v34
	v_and_b32_e32 v16, 8, v0
	v_xor_b32_e32 v21, v20, v11
	v_or_b32_e32 v22, 0x440, v21
	v_cmp_eq_u32_e32 vcc, 0, v16
	v_and_b32_e32 v15, 7, v0
	v_lshlrev_b32_e32 v10, 7, v45
	v_cndmask_b32_e32 v16, v22, v21, vcc
	v_lshl_or_b32 v85, v17, 3, v34
	v_lshlrev_b32_e32 v17, 3, v15
	v_lshlrev_b32_e32 v15, 7, v15
	;; [unrolled: 1-line block ×3, first 2 shown]
	v_or_b32_e32 v16, v16, v9
	v_or_b32_e32 v7, v10, v7
	v_xad_u32 v86, v16, v17, v15
	v_and_or_b32 v10, v18, 60, v10
	v_mov_b32_e32 v16, 0xb000
	v_lshl_or_b32 v87, v10, 1, v16
	v_or_b32_e32 v10, 32, v11
	v_xor_b32_e32 v10, v20, v10
	v_or_b32_e32 v16, 0x440, v10
	v_cndmask_b32_e32 v10, v16, v10, vcc
	v_or_b32_e32 v10, v10, v9
	v_xad_u32 v88, v10, v17, v15
	v_or_b32_e32 v10, 64, v11
	v_xor_b32_e32 v10, v20, v10
	v_xor_b32_e32 v16, 0x440, v10
	v_cndmask_b32_e32 v10, v16, v10, vcc
	v_or_b32_e32 v10, v10, v9
	v_xad_u32 v89, v10, v17, v15
	v_or_b32_e32 v10, 0x60, v11
	v_xor_b32_e32 v10, v20, v10
	v_xor_b32_e32 v11, 0x440, v10
	v_lshlrev_b32_e32 v7, 1, v7
	v_or_b32_e32 v6, s36, v42
	v_cndmask_b32_e32 v10, v11, v10, vcc
	v_or_b32_e32 v77, 0xa000, v7
	v_or_b32_e32 v79, 0xa080, v7
	;; [unrolled: 1-line block ×4, first 2 shown]
	v_ashrrev_i32_e32 v7, 31, v6
	v_or_b32_e32 v9, v10, v9
	v_lshlrev_b32_e32 v8, 7, v48
	v_or_b32_e32 v14, 0x100, v3
	v_xad_u32 v90, v9, v17, v15
	v_lshlrev_b64 v[6:7], 1, v[6:7]
	v_cndmask_b32_e64 v91, v12, v3, s[0:1]
	v_cndmask_b32_e64 v92, v13, v14, s[0:1]
	v_lshl_add_u64 v[36:37], s[8:9], 0, v[6:7]
	v_lshl_add_u64 v[38:39], s[14:15], 0, v[6:7]
	;; [unrolled: 1-line block ×3, first 2 shown]
	s_mov_b32 s37, 0x7060302
	v_lshlrev_b32_e32 v34, 1, v8
	v_add_u32_e32 v94, v19, v86
	v_add_u32_e32 v95, v19, v88
	;; [unrolled: 1-line block ×4, first 2 shown]
	v_mov_b32_e32 v101, v35
	v_mov_b32_e32 v63, v35
	;; [unrolled: 1-line block ×5, first 2 shown]
	s_waitcnt lgkmcnt(0)
	s_barrier
.LBB319_6:                              ; =>This Inner Loop Header: Depth=1
	s_add_i32 s62, s63, 1
	s_cmp_lt_i32 s62, s48
	s_mov_b64 s[28:29], 0
	s_cselect_b64 s[42:43], -1, 0
	s_cmp_ge_i32 s62, s48
	s_mov_b64 s[24:25], 0
	s_cbranch_scc1 .LBB319_8
; %bb.7:                                ;   in Loop: Header=BB319_6 Depth=1
	s_add_i32 s0, s57, 64
	s_add_u32 s0, s2, s0
	s_addc_u32 s1, s3, 0
	s_lshl_b64 s[0:1], s[0:1], 8
	s_add_u32 s24, s6, s0
	s_addc_u32 s25, s7, s1
.LBB319_8:                              ;   in Loop: Header=BB319_6 Depth=1
	v_cndmask_b32_e64 v2, 0, 1, s[42:43]
	v_cmp_ne_u32_e64 s[0:1], 1, v2
	s_andn2_b64 vcc, exec, s[42:43]
	s_cbranch_vccnz .LBB319_10
; %bb.9:                                ;   in Loop: Header=BB319_6 Depth=1
	s_add_i32 s28, s57, 64
	s_add_u32 s28, s60, s28
	s_addc_u32 s29, s61, 0
	s_mul_i32 s31, s28, s49
	s_mul_hi_u32 s42, s28, s53
	s_add_i32 s31, s42, s31
	s_mul_i32 s29, s29, s53
	s_add_i32 s31, s31, s29
	s_mul_i32 s28, s28, s53
	s_add_u32 s28, s28, s52
	s_addc_u32 s29, s31, s55
	s_lshl_b64 s[28:29], s[28:29], 8
	s_add_u32 s28, s4, s28
	s_addc_u32 s29, s5, s29
.LBB319_10:                             ;   in Loop: Header=BB319_6 Depth=1
	v_perm_b32 v3, v100, v75, s37
	v_perm_b32 v2, v73, v74, s37
	v_perm_b32 v5, v98, v72, s37
	v_perm_b32 v4, v70, v71, s37
	ds_write_b64 v56, v[2:3]
	ds_write_b64 v57, v[4:5]
	;; [unrolled: 1-line block ×4, first 2 shown]
	v_perm_b32 v3, v101, v67, s37
	v_perm_b32 v2, v65, v66, s37
	;; [unrolled: 1-line block ×4, first 2 shown]
	ds_write_b64 v58, v[2:3]
	ds_write_b64 v59, v[4:5]
	;; [unrolled: 1-line block ×4, first 2 shown]
	s_waitcnt lgkmcnt(0)
	s_barrier
	ds_read_b64 v[6:7], v76 offset:24576
	ds_read2_b64 v[2:5], v77 offset1:16
	ds_read_b64 v[10:11], v79 offset:3072
	ds_read_b64 v[12:13], v77 offset:3072
	;; [unrolled: 1-line block ×3, first 2 shown]
	s_waitcnt lgkmcnt(3)
	v_mfma_f32_16x16x16_bf16 a[0:3], v[6:7], v[2:3], 0
	s_add_i32 s31, s57, 63
	s_mul_i32 s42, s31, s35
	s_mul_hi_u32 s43, s31, s34
	v_mfma_f32_16x16x16_bf16 a[4:7], v[6:7], v[4:5], 0
	ds_read2st64_b64 v[2:5], v77 offset0:2 offset1:4
	ds_read2st64_b64 v[6:9], v79 offset0:2 offset1:4
	s_add_i32 s43, s43, s42
	s_waitcnt lgkmcnt(1)
	v_mfma_f32_16x16x16_bf16 a[0:3], v[14:15], v[2:3], a[0:3]
	s_mul_i32 s42, s31, s34
	s_lshl_b64 s[42:43], s[42:43], 2
	s_add_u32 s42, s40, s42
	s_waitcnt lgkmcnt(0)
	v_mfma_f32_16x16x16_bf16 a[4:7], v[14:15], v[6:7], a[4:7]
	ds_read_b64 v[2:3], v80 offset:24576
	ds_read_b64 v[6:7], v81 offset:24576
	s_addc_u32 s43, s41, s43
	s_and_b64 vcc, exec, s[0:1]
	s_waitcnt lgkmcnt(1)
	v_mfma_f32_16x16x16_bf16 a[0:3], v[2:3], v[4:5], a[0:3]
	v_mov_b32_e32 v104, 0
	v_mov_b32_e32 v103, 0
	;; [unrolled: 1-line block ×3, first 2 shown]
	v_mfma_f32_16x16x16_bf16 a[8:11], v[2:3], v[8:9], a[4:7]
	v_mov_b32_e32 v2, 0
	v_mov_b32_e32 v3, 0
	;; [unrolled: 1-line block ×3, first 2 shown]
	s_waitcnt lgkmcnt(0)
	v_mfma_f32_16x16x16_bf16 a[4:7], v[6:7], v[12:13], a[0:3]
	v_mov_b32_e32 v5, 0
	v_mov_b32_e32 v8, 0
	;; [unrolled: 1-line block ×3, first 2 shown]
	v_mfma_f32_16x16x16_bf16 a[0:3], v[6:7], v[10:11], a[8:11]
	v_mov_b32_e32 v6, 0
	v_mov_b32_e32 v7, 0
	;; [unrolled: 1-line block ×10, first 2 shown]
	s_cbranch_vccnz .LBB319_12
; %bb.11:                               ;   in Loop: Header=BB319_6 Depth=1
	s_and_b32 s25, s25, 0xffff
	buffer_load_dwordx4 v[14:17], v52, s[24:27], 0 offen
	buffer_load_dwordx4 v[10:13], v52, s[24:27], s56 offen
	;; [unrolled: 1-line block ×4, first 2 shown]
	v_mov_b32_e32 v103, v54
	v_mov_b32_e32 v102, v55
.LBB319_12:                             ;   in Loop: Header=BB319_6 Depth=1
	s_waitcnt vmcnt(3)
	ds_read_b64 v[26:27], v76 offset:32768
	s_waitcnt vmcnt(2)
	ds_read2_b64 v[18:21], v82 offset1:16
	ds_read_b64 v[28:29], v78 offset:32768
	ds_read_b64 v[30:31], v80 offset:32768
	;; [unrolled: 1-line block ×3, first 2 shown]
	ds_read2st64_b64 v[22:25], v82 offset0:2 offset1:4
	v_add_u32_e32 v105, s57, v93
	s_waitcnt lgkmcnt(4)
	v_mfma_f32_16x16x16_bf16 a[4:7], v[26:27], v[18:19], a[4:7]
	v_ashrrev_i32_e32 v18, 31, v105
	v_mfma_f32_16x16x16_bf16 a[0:3], v[26:27], v[20:21], a[0:3]
	v_mul_lo_u32 v20, v105, s35
	v_mul_lo_u32 v21, v18, s34
	v_mad_u64_u32 v[18:19], s[24:25], v105, s34, 0
	v_add3_u32 v19, v19, v20, v21
	v_add_u32_e32 v20, 1, v105
	v_ashrrev_i32_e32 v21, 31, v20
	s_waitcnt lgkmcnt(0)
	v_mfma_f32_16x16x16_bf16 a[4:7], v[28:29], v[22:23], a[4:7]
	v_mul_lo_u32 v22, v21, s34
	v_mul_lo_u32 v23, v20, s35
	v_mad_u64_u32 v[20:21], s[24:25], v20, s34, 0
	v_add3_u32 v21, v21, v23, v22
	v_add_u32_e32 v22, 2, v105
	v_ashrrev_i32_e32 v23, 31, v22
	v_mul_lo_u32 v26, v23, s34
	v_mul_lo_u32 v27, v22, s35
	v_mad_u64_u32 v[22:23], s[24:25], v22, s34, 0
	v_add3_u32 v23, v23, v27, v26
	v_add_u32_e32 v26, 3, v105
	v_ashrrev_i32_e32 v27, 31, v26
	v_mul_lo_u32 v105, v27, s34
	v_mul_lo_u32 v106, v26, s35
	v_mad_u64_u32 v[26:27], s[24:25], v26, s34, 0
	s_add_u32 s24, s2, s57
	s_addc_u32 s25, s3, 0
	s_lshl_b64 s[64:65], s[24:25], 8
	v_lshl_add_u64 v[18:19], v[18:19], 2, s[40:41]
	v_add3_u32 v27, v27, v106, v105
	v_lshl_add_u64 v[106:107], v[36:37], 0, s[64:65]
	v_lshl_add_u64 v[20:21], v[20:21], 2, s[40:41]
	;; [unrolled: 1-line block ×3, first 2 shown]
	global_load_dword v105, v[18:19], off
	global_load_ushort v108, v[106:107], off offset:256
	global_load_ushort v109, v[106:107], off
	global_load_ushort v110, v[106:107], off offset:768
	v_lshl_add_u64 v[18:19], v[26:27], 2, s[40:41]
	v_lshl_add_u64 v[22:23], v[22:23], 2, s[40:41]
	global_load_dword v111, v[20:21], off
	global_load_dword v112, v[22:23], off
	;; [unrolled: 1-line block ×3, first 2 shown]
	ds_read2st64_b64 v[18:21], v83 offset0:2 offset1:4
	s_waitcnt lgkmcnt(0)
	v_mfma_f32_16x16x16_bf16 a[0:3], v[28:29], v[18:19], a[0:3]
	global_load_ushort v28, v[106:107], off offset:512
	global_load_ushort v114, v[106:107], off offset:800
	;; [unrolled: 1-line block ×4, first 2 shown]
	s_nop 0
	global_load_ushort v106, v[106:107], off offset:32
	s_and_b64 vcc, exec, s[0:1]
	v_mfma_f32_16x16x16_bf16 a[4:7], v[30:31], v[24:25], a[4:7]
	s_waitcnt vmcnt(10)
	v_lshlrev_b32_e32 v27, 16, v108
	v_mfma_f32_16x16x16_bf16 a[0:3], v[30:31], v[20:21], a[0:3]
	ds_read_b64 v[18:19], v82 offset:3072
	ds_read_b64 v[20:21], v83 offset:3072
	s_load_dword s24, s[42:43], 0x0
	s_waitcnt vmcnt(9)
	v_lshlrev_b32_e32 v26, 16, v109
	s_waitcnt lgkmcnt(0)
	v_mfma_f32_16x16x16_bf16 a[4:7], v[32:33], v[18:19], a[4:7]
	v_lshl_add_u64 v[18:19], v[38:39], 0, s[64:65]
	v_sub_f32_e32 v30, s24, v105
	s_waitcnt vmcnt(7)
	v_sub_f32_e32 v31, s24, v111
	v_mfma_f32_16x16x16_bf16 a[0:3], v[32:33], v[20:21], a[0:3]
	s_waitcnt vmcnt(6)
	v_sub_f32_e32 v32, s24, v112
	s_waitcnt vmcnt(5)
	v_sub_f32_e32 v33, s24, v113
	v_accvgpr_read_b32 v25, a5
	v_accvgpr_read_b32 v24, a4
	v_exp_f32_e32 v30, v30
	v_pk_add_f32 v[24:25], v[26:27], v[24:25] neg_lo:[0,1] neg_hi:[0,1]
	v_exp_f32_e32 v31, v31
	v_exp_f32_e32 v26, v32
	;; [unrolled: 1-line block ×3, first 2 shown]
	v_accvgpr_read_b32 v21, a7
	v_accvgpr_read_b32 v20, a6
	v_lshlrev_b32_e32 v29, 16, v110
	s_waitcnt vmcnt(4)
	v_lshlrev_b32_e32 v28, 16, v28
	v_lshl_add_u64 v[18:19], v[18:19], 0, v[34:35]
	v_pk_add_f32 v[20:21], v[28:29], v[20:21] neg_lo:[0,1] neg_hi:[0,1]
	global_store_short_d16_hi v[18:19], v24, off
	global_store_short_d16_hi v[18:19], v25, off offset:256
	global_store_short_d16_hi v[18:19], v20, off offset:512
	;; [unrolled: 1-line block ×3, first 2 shown]
	v_pk_mul_f32 v[24:25], v[30:31], v[24:25]
	v_pk_mul_f32 v[20:21], v[26:27], v[20:21]
	v_accvgpr_read_b32 v29, a1
	v_perm_b32 v24, v25, v24, s37
	v_perm_b32 v25, v21, v20, s37
	s_waitcnt vmcnt(5)
	v_lshlrev_b32_e32 v21, 16, v116
	s_waitcnt vmcnt(4)
	v_lshlrev_b32_e32 v20, 16, v106
	v_accvgpr_read_b32 v28, a0
	v_accvgpr_read_b32 v23, a3
	;; [unrolled: 1-line block ×3, first 2 shown]
	v_pk_add_f32 v[20:21], v[20:21], v[28:29] neg_lo:[0,1] neg_hi:[0,1]
	v_lshlrev_b32_e32 v29, 16, v114
	v_lshlrev_b32_e32 v28, 16, v115
	v_pk_add_f32 v[22:23], v[28:29], v[22:23] neg_lo:[0,1] neg_hi:[0,1]
	global_store_short_d16_hi v[18:19], v20, off offset:32
	global_store_short_d16_hi v[18:19], v21, off offset:288
	;; [unrolled: 1-line block ×4, first 2 shown]
	v_pk_mul_f32 v[18:19], v[30:31], v[20:21]
	v_pk_mul_f32 v[20:21], v[26:27], v[22:23]
	v_mov_b32_e32 v105, 0
	v_perm_b32 v21, v21, v20, s37
	v_perm_b32 v20, v19, v18, s37
	ds_write2_b64 v57, v[24:25], v[20:21] offset1:16
	v_mov_b32_e32 v18, 0
	v_mov_b32_e32 v19, 0
	;; [unrolled: 1-line block ×16, first 2 shown]
	s_cbranch_vccnz .LBB319_14
; %bb.13:                               ;   in Loop: Header=BB319_6 Depth=1
	s_and_b32 s29, s29, 0xffff
	s_mov_b32 s31, s27
	buffer_load_dwordx4 v[30:33], v91, s[28:31], 0 offen
	buffer_load_dwordx4 v[22:25], v91, s[28:31], s56 offen
	;; [unrolled: 1-line block ×4, first 2 shown]
	v_mov_b32_e32 v104, v51
	v_mov_b32_e32 v105, v50
.LBB319_14:                             ;   in Loop: Header=BB319_6 Depth=1
	s_waitcnt lgkmcnt(0)
	s_barrier
	ds_read_b64 v[110:111], v94
	ds_read_b64 v[118:119], v87
	;; [unrolled: 1-line block ×5, first 2 shown]
	ds_read_b64 v[124:125], v88 offset:16384
	ds_read_b64 v[126:127], v86 offset:16384
	ds_read2_b64 v[106:109], v82 offset0:16 offset1:128
	s_waitcnt lgkmcnt(6)
	v_mfma_f32_16x16x16_bf16 a[0:3], v[110:111], v[118:119], 0
	ds_read_b64 v[128:129], v83 offset:3072
	ds_read_b64 v[130:131], v90 offset:16384
	s_add_i32 s25, s50, s63
	s_waitcnt lgkmcnt(2)
	v_mfma_f32_16x16x16_bf16 a[4:7], v[110:111], v[106:107], 0
	ds_read2st64_b64 v[110:113], v83 offset0:2 offset1:4
	s_mul_hi_i32 s29, s25, s17
	s_mul_i32 s25, s25, s17
	v_mfma_f32_16x16x16_bf16 a[0:3], v[114:115], v[108:109], a[0:3]
	s_add_u32 s28, s25, s33
	s_addc_u32 s29, s29, s54
	s_lshl_b64 s[28:29], s[28:29], 15
	s_waitcnt lgkmcnt(0)
	v_mfma_f32_16x16x16_bf16 a[4:7], v[114:115], v[110:111], a[4:7]
	ds_read2st64_b64 v[114:117], v82 offset0:4 offset1:6
	s_waitcnt lgkmcnt(0)
	v_mfma_f32_16x16x16_bf16 a[0:3], v[120:121], v[114:115], a[0:3]
	v_mfma_f32_16x16x16_bf16 a[8:11], v[120:121], v[112:113], a[4:7]
	;; [unrolled: 1-line block ×5, first 2 shown]
	ds_read2st64_b64 v[118:121], v85 offset1:8
	v_mfma_f32_16x16x16_bf16 a[12:15], v[126:127], v[106:107], 0
	ds_read_b64 v[126:127], v89 offset:16384
	v_mfma_f32_16x16x16_bf16 a[8:11], v[124:125], v[108:109], a[8:11]
	ds_read2st64_b64 v[106:109], v84 offset1:8
	s_waitcnt lgkmcnt(0)
	v_mov_b32_e32 v122, v106
	v_mfma_f32_16x16x16_bf16 a[12:15], v[124:125], v[110:111], a[12:15]
	v_lshl_add_u64 v[110:111], v[40:41], 0, s[28:29]
	v_add_co_u32_e32 v106, vcc, s39, v110
	v_mfma_f32_16x16x16_bf16 a[8:11], v[126:127], v[114:115], a[8:11]
	v_mov_b32_e32 v123, v107
	v_addc_co_u32_e32 v107, vcc, 0, v111, vcc
	v_mfma_f32_16x16x16_bf16 a[16:19], v[126:127], v[112:113], a[12:15]
	v_mov_b32_e32 v124, v118
	v_mov_b32_e32 v125, v119
	;; [unrolled: 1-line block ×3, first 2 shown]
	v_mfma_f32_16x16x16_bf16 a[12:15], v[130:131], v[116:117], a[8:11]
	v_mov_b32_e32 v119, v109
	s_and_b64 vcc, exec, s[0:1]
	global_store_dwordx4 v[110:111], v[122:125], off
	v_mfma_f32_16x16x16_bf16 a[8:11], v[130:131], v[128:129], a[16:19]
	global_store_dwordx4 v[106:107], v[118:121], off
	s_cbranch_vccnz .LBB319_16
; %bb.15:                               ;   in Loop: Header=BB319_6 Depth=1
	v_lshrrev_b32_e32 v106, 3, v104
	v_and_b32_e32 v106, 6, v106
	v_xor_b32_e32 v105, v106, v105
	v_lshlrev_b32_e32 v105, 2, v105
	v_and_b32_e32 v104, 8, v104
	v_xor_b32_e32 v107, 0x440, v105
	v_cmp_eq_u32_e32 vcc, 0, v104
	s_barrier
	s_nop 0
	v_cndmask_b32_e32 v104, v107, v105, vcc
	v_lshl_or_b32 v104, v106, 10, v104
	s_waitcnt vmcnt(3)
	v_perm_b32 v105, v30, v26, s58
	s_waitcnt vmcnt(2)
	v_perm_b32 v106, v22, v18, s58
	ds_write2st64_b32 v104, v105, v106 offset0:32 offset1:64
	v_xor_b32_e32 v105, 8, v104
	v_perm_b32 v26, v30, v26, s59
	v_perm_b32 v18, v22, v18, s59
	v_add_u32_e32 v22, 0x80, v105
	ds_write2st64_b32 v22, v26, v18 offset0:32 offset1:64
	v_xor_b32_e32 v18, 16, v104
	v_perm_b32 v22, v31, v27, s58
	v_perm_b32 v26, v23, v19, s58
	ds_write2st64_b32 v18, v22, v26 offset0:33 offset1:65
	v_xor_b32_e32 v18, 24, v104
	v_perm_b32 v22, v31, v27, s59
	v_perm_b32 v19, v23, v19, s59
	v_add_u32_e32 v18, 0x80, v18
	ds_write2st64_b32 v18, v22, v19 offset0:33 offset1:65
	v_xor_b32_e32 v18, 32, v104
	v_perm_b32 v19, v32, v28, s58
	;; [unrolled: 9-line block ×3, first 2 shown]
	v_perm_b32 v20, v25, v21, s58
	ds_write2st64_b32 v18, v19, v20 offset0:35 offset1:67
	v_xor_b32_e32 v18, 56, v104
	v_perm_b32 v19, v33, v29, s59
	v_perm_b32 v20, v25, v21, s59
	v_add_u32_e32 v18, 0x80, v18
	ds_write2st64_b32 v18, v19, v20 offset0:35 offset1:67
	ds_write_b64 v103, v[14:15] offset:24576
	v_xor_b32_e32 v14, 8, v103
	ds_write_b64 v14, v[16:17] offset:24576
	ds_write_b64 v103, v[10:11] offset:32768
	;; [unrolled: 1-line block ×4, first 2 shown]
	v_xor_b32_e32 v6, 8, v102
	ds_write_b64 v6, v[8:9] offset:24576
	ds_write_b64 v102, v[2:3] offset:32768
	ds_write_b64 v6, v[4:5] offset:32768
.LBB319_16:                             ;   in Loop: Header=BB319_6 Depth=1
	v_exp_f32_e32 v2, s24
	v_accvgpr_read_b32 v3, a4
	v_accvgpr_read_b32 v4, a5
	;; [unrolled: 1-line block ×3, first 2 shown]
	v_fma_f32 v74, v74, v2, v3
	v_accvgpr_read_b32 v3, a6
	v_fma_f32 v75, v75, v2, v3
	v_accvgpr_read_b32 v3, a0
	;; [unrolled: 2-line block ×11, first 2 shown]
	v_accvgpr_read_b32 v6, a15
	v_fma_f32 v64, v64, v2, v3
	v_accvgpr_read_b32 v3, a11
	s_add_i32 s57, s57, 64
	v_fmac_f32_e32 v5, v100, v2
	v_fmac_f32_e32 v4, v101, v2
	;; [unrolled: 1-line block ×3, first 2 shown]
	s_cmp_eq_u32 s48, s62
	v_fmac_f32_e32 v3, v99, v2
	s_cbranch_scc1 .LBB319_18
; %bb.17:                               ;   in Loop: Header=BB319_6 Depth=1
	s_mov_b32 s63, s62
	v_mov_b32_e32 v100, v5
	v_mov_b32_e32 v98, v6
	;; [unrolled: 1-line block ×4, first 2 shown]
	s_branch .LBB319_6
.LBB319_18:
	s_lshl_b32 s42, s48, 6
	s_sub_i32 s43, s16, s42
	s_cmp_gt_i32 s43, 0
	s_cbranch_scc0 .LBB319_83
; %bb.19:
	s_ashr_i32 s39, s47, 31
	s_ashr_i32 s2, s42, 31
	s_cmpk_lg_i32 s19, 0x80
	s_cselect_b64 s[30:31], -1, 0
	s_and_b64 vcc, exec, s[30:31]
	s_cbranch_vccz .LBB319_21
; %bb.20:
	s_mul_i32 s1, s47, s16
	s_mul_hi_i32 s0, s47, s16
	s_add_u32 s1, s1, s42
	s_addc_u32 s0, s0, s2
	s_mul_i32 s3, s1, s49
	s_mul_hi_u32 s24, s1, s18
	s_add_i32 s3, s24, s3
	s_mul_i32 s0, s0, s18
	s_add_i32 s3, s3, s0
	s_mul_i32 s1, s1, s18
	s_ashr_i32 s0, s52, 31
	s_add_u32 s40, s1, s52
	s_addc_u32 s41, s3, s0
	s_cbranch_execz .LBB319_22
	s_branch .LBB319_23
.LBB319_21:
                                        ; implicit-def: $sgpr40_sgpr41
.LBB319_22:
	s_mul_hi_i32 s0, s47, s18
	s_mul_i32 s47, s47, s18
	s_ashr_i32 s1, s52, 31
	s_add_u32 s3, s47, s52
	s_addc_u32 s0, s0, s1
	s_mul_i32 s1, s3, s46
	s_mul_hi_u32 s18, s3, s16
	s_add_i32 s1, s18, s1
	s_mul_i32 s0, s0, s16
	s_add_i32 s1, s1, s0
	s_mul_i32 s3, s3, s16
	s_add_u32 s40, s3, s42
	s_addc_u32 s41, s1, s2
.LBB319_23:
	s_add_i32 s3, s50, s48
	s_ashr_i32 s18, s33, 31
	s_add_u32 s0, s45, s33
	s_addc_u32 s1, s51, s18
	s_mul_i32 s24, s0, s46
	s_mul_hi_u32 s25, s0, s16
	s_add_i32 s24, s25, s24
	s_mul_i32 s1, s1, s16
	s_add_i32 s24, s24, s1
	s_mul_i32 s0, s0, s16
	s_add_u32 s0, s0, s42
	s_addc_u32 s1, s24, s2
	v_lshlrev_b32_e32 v10, 5, v48
	s_waitcnt vmcnt(4)
	v_lshlrev_b32_e32 v22, 2, v42
	s_mov_b32 s2, 0x7060302
	v_xor_b32_e32 v2, v48, v22
	v_perm_b32 v9, v5, v75, s2
	v_or_b32_e32 v5, v10, v22
	v_perm_b32 v8, v73, v74, s2
	v_perm_b32 v7, v6, v72, s2
	;; [unrolled: 1-line block ×3, first 2 shown]
	v_lshlrev_b32_e32 v5, 1, v5
	v_lshlrev_b32_e32 v12, 1, v2
	;; [unrolled: 1-line block ×3, first 2 shown]
	s_lshl_b64 s[28:29], s[0:1], 8
	v_xor_b32_e32 v11, v49, v22
	ds_write2st64_b64 v5, v[8:9], v[6:7] offset0:80 offset1:88
	v_or_b32_e32 v5, v12, v2
	s_add_u32 s0, s6, s28
	ds_write_b64 v5, v[8:9]
	v_lshlrev_b32_e32 v8, 1, v11
	s_addc_u32 s1, s7, s29
	v_or_b32_e32 v2, v8, v2
	s_mul_hi_i32 s6, s3, s17
	s_mul_i32 s3, s3, s17
	ds_write_b64 v2, v[6:7]
	v_perm_b32 v5, v4, v67, s2
	v_perm_b32 v4, v65, v66, s2
	;; [unrolled: 1-line block ×4, first 2 shown]
	v_or_b32_e32 v6, 16, v42
	s_add_u32 s2, s3, s33
	s_waitcnt vmcnt(2)
	v_lshlrev_b32_e32 v19, 2, v6
	s_addc_u32 s3, s6, s18
	v_or_b32_e32 v7, v10, v19
	s_ashr_i32 s37, s36, 31
	s_lshl_b64 s[2:3], s[2:3], 15
	v_lshlrev_b32_e32 v7, 1, v7
	v_lshlrev_b32_e32 v6, 8, v6
	s_add_u32 s6, s12, s2
	ds_write2st64_b64 v7, v[4:5], v[2:3] offset0:80 offset1:88
	v_or_b32_e32 v7, v12, v6
	s_addc_u32 s7, s13, s3
	s_lshl_b64 s[2:3], s[36:37], 8
	ds_write_b64 v7, v[4:5]
	v_or_b32_e32 v4, v8, v6
	s_add_u32 s2, s6, s2
	ds_write_b64 v4, v[2:3]
	v_lshrrev_b32_e32 v2, 4, v0
	s_addc_u32 s3, s7, s3
	v_lshlrev_b32_e32 v3, 1, v42
	v_lshlrev_b32_e32 v10, 4, v42
	v_mov_b32_e32 v11, 0
	v_or_b32_e32 v4, 1, v3
	v_xor_b32_e32 v3, v2, v3
	v_lshl_add_u64 v[12:13], s[2:3], 0, v[10:11]
	v_lshlrev_b32_e32 v10, 8, v2
	v_xor_b32_e32 v6, v4, v2
	v_lshl_or_b32 v2, v3, 3, v10
	s_waitcnt lgkmcnt(0)
	s_barrier
	ds_read2st64_b64 v[2:5], v2 offset1:8
	v_lshl_or_b32 v6, v6, 3, v10
	ds_read2st64_b64 v[6:9], v6 offset1:8
	v_lshl_add_u64 v[14:15], v[12:13], 0, v[10:11]
	s_movk_i32 s2, 0x1000
	s_waitcnt lgkmcnt(1)
	v_mov_b32_e32 v10, v2
	v_add_co_u32_e32 v2, vcc, s2, v14
	s_cmp_lg_u32 s43, 64
	v_mov_b32_e32 v11, v3
	v_addc_co_u32_e32 v3, vcc, 0, v15, vcc
	s_cselect_b64 s[6:7], -1, 0
	v_lshl_or_b32 v23, v44, 3, v47
	s_waitcnt lgkmcnt(0)
	v_mov_b32_e32 v12, v6
	v_mov_b32_e32 v13, v7
	;; [unrolled: 1-line block ×4, first 2 shown]
	s_mov_b32 s24, 0
	v_or_b32_e32 v20, 32, v23
	v_and_b32_e32 v18, 56, v46
	s_and_b64 vcc, exec, s[6:7]
	global_store_dwordx4 v[14:15], v[10:13], off
	global_store_dwordx4 v[2:3], v[6:9], off
	s_cbranch_vccz .LBB319_29
; %bb.24:
	s_mov_b32 s25, s24
	s_mov_b32 s26, s24
	;; [unrolled: 1-line block ×3, first 2 shown]
	v_mov_b64_e32 v[6:7], s[24:25]
	v_mov_b64_e32 v[8:9], s[26:27]
	;; [unrolled: 1-line block ×3, first 2 shown]
	v_cmp_gt_i32_e32 vcc, s43, v23
	v_mov_b64_e32 v[4:5], v[8:9]
	s_and_saveexec_b64 s[2:3], vcc
	s_cbranch_execz .LBB319_26
; %bb.25:
	v_lshlrev_b32_e32 v2, 8, v23
	v_mov_b32_e32 v3, 0
	v_lshl_add_u64 v[4:5], s[0:1], 0, v[2:3]
	v_lshlrev_b32_e32 v2, 1, v18
	v_lshl_add_u64 v[10:11], v[4:5], 0, v[2:3]
	global_load_dwordx4 v[6:9], v[10:11], off
	global_load_dwordx4 v[2:5], v[10:11], off offset:128
.LBB319_26:
	s_or_b64 exec, exec, s[2:3]
	s_mov_b32 s25, s24
	s_mov_b32 s26, s24
	s_mov_b32 s27, s24
	v_mov_b64_e32 v[14:15], s[24:25]
	v_mov_b64_e32 v[16:17], s[26:27]
	;; [unrolled: 1-line block ×3, first 2 shown]
	v_cmp_gt_i32_e32 vcc, s43, v20
	v_lshlrev_b32_e32 v21, 7, v20
	v_mov_b64_e32 v[12:13], v[16:17]
	s_and_saveexec_b64 s[2:3], vcc
	s_cbranch_execz .LBB319_28
; %bb.27:
	v_lshlrev_b32_e32 v10, 1, v21
	v_mov_b32_e32 v11, 0
	v_lshl_add_u64 v[12:13], s[0:1], 0, v[10:11]
	v_lshlrev_b32_e32 v10, 1, v18
	v_lshl_add_u64 v[24:25], v[12:13], 0, v[10:11]
	global_load_dwordx4 v[14:17], v[24:25], off
	global_load_dwordx4 v[10:13], v[24:25], off offset:128
.LBB319_28:
	s_or_b64 exec, exec, s[2:3]
	v_lshrrev_b32_e32 v24, 3, v18
	v_lshlrev_b32_e32 v25, 3, v23
	v_or_b32_e32 v24, v25, v24
	v_lshlrev_b32_e32 v24, 4, v24
	v_and_b32_e32 v25, 0x78, v25
	v_xor_b32_e32 v24, v24, v25
	s_branch .LBB319_31
.LBB319_29:
                                        ; implicit-def: $vgpr24
                                        ; implicit-def: $vgpr21
                                        ; implicit-def: $vgpr6_vgpr7_vgpr8_vgpr9
                                        ; implicit-def: $vgpr2_vgpr3_vgpr4_vgpr5
                                        ; implicit-def: $vgpr14_vgpr15_vgpr16_vgpr17
                                        ; implicit-def: $vgpr10_vgpr11_vgpr12_vgpr13
	s_cbranch_execz .LBB319_31
; %bb.30:
	s_waitcnt vmcnt(0)
	v_lshlrev_b32_e32 v2, 1, v18
	v_lshl_or_b32 v21, v23, 8, v2
	s_and_b32 s1, s1, 0xffff
	s_mov_b32 s3, 0x20000
	s_movk_i32 s2, 0x4000
	v_lshl_or_b32 v24, v20, 8, v2
	s_movk_i32 s12, 0x80
	buffer_load_dwordx4 v[6:9], v21, s[0:3], 0 offen
	buffer_load_dwordx4 v[2:5], v21, s[0:3], s12 offen
	;; [unrolled: 1-line block ×4, first 2 shown]
	v_lshrrev_b32_e32 v21, 3, v18
	v_lshlrev_b32_e32 v24, 3, v23
	v_or_b32_e32 v21, v24, v21
	v_lshlrev_b32_e32 v21, 4, v21
	v_and_b32_e32 v24, 0x78, v24
	v_xor_b32_e32 v24, v21, v24
	v_lshlrev_b32_e32 v21, 7, v20
.LBB319_31:
	s_lshl_b64 s[0:1], s[40:41], 8
	s_add_u32 s4, s4, s0
	s_movk_i32 s0, 0x1000
	v_and_or_b32 v20, v21, s0, v24
	s_waitcnt vmcnt(1)
	ds_write_b64 v24, v[6:7] offset:24576
	v_xor_b32_e32 v6, 8, v24
	ds_write_b64 v6, v[8:9] offset:24576
	s_waitcnt vmcnt(0)
	ds_write_b64 v24, v[2:3] offset:32768
	ds_write_b64 v6, v[4:5] offset:32768
	;; [unrolled: 1-line block ×3, first 2 shown]
	v_xor_b32_e32 v2, 8, v20
	ds_write_b64 v2, v[16:17] offset:24576
	ds_write_b64 v20, v[10:11] offset:32768
	;; [unrolled: 1-line block ×3, first 2 shown]
	v_or_b32_e32 v2, v1, v42
	v_lshlrev_b32_e32 v3, 11, v44
	v_lshlrev_b32_e32 v2, 3, v2
	v_and_b32_e32 v6, 0x1000, v3
	v_lshrrev_b32_e32 v3, 5, v43
	s_movk_i32 s13, 0xf8
	v_and_or_b32 v3, v2, s13, v3
	v_lshlrev_b32_e32 v7, 4, v3
	v_and_b32_e32 v8, 0x78, v2
	v_or_b32_e32 v10, 32, v7
	v_lshrrev_b32_e32 v3, 1, v43
	v_xor_b32_e32 v10, v10, v8
	v_xor_b32_e32 v2, v7, v8
	v_and_b32_e32 v9, 8, v3
	v_or_b32_e32 v10, v10, v6
	v_or_b32_e32 v2, v2, v6
	v_xor_b32_e32 v26, v10, v9
	v_or_b32_e32 v10, 64, v7
	v_xor_b32_e32 v25, v2, v9
	v_xor_b32_e32 v10, v10, v8
	s_waitcnt lgkmcnt(0)
	s_barrier
	v_or_b32_e32 v12, v10, v6
	ds_read_b64 v[10:11], v25 offset:24576
	v_lshl_or_b32 v20, v45, 7, v22
	v_lshlrev_b32_e32 v24, 1, v20
	v_add_u32_e32 v2, 0xa000, v24
	ds_read2_b64 v[2:5], v2 offset1:16
	v_or_b32_e32 v7, 0x60, v7
	v_xor_b32_e32 v7, v7, v8
	s_waitcnt lgkmcnt(0)
	v_mfma_f32_16x16x16_bf16 a[0:3], v[10:11], v[2:3], 0
	v_or_b32_e32 v2, 64, v20
	v_or_b32_e32 v6, v7, v6
	v_lshlrev_b32_e32 v29, 1, v2
	v_xor_b32_e32 v27, v12, v9
	v_xor_b32_e32 v28, v6, v9
	ds_read_b64 v[12:13], v26 offset:24576
	ds_read_b64 v[14:15], v27 offset:24576
	ds_read_b64 v[16:17], v28 offset:24576
	v_mfma_f32_16x16x16_bf16 a[4:7], v[10:11], v[4:5], 0
	ds_read2st64_b64 v[2:5], v29 offset0:82 offset1:84
	ds_read2st64_b64 v[6:9], v24 offset0:82 offset1:84
	s_addc_u32 s5, s5, s1
	s_add_i32 s2, s16, -1
	s_add_i32 s0, s44, s21
	s_mul_i32 s39, s39, s20
	s_add_i32 s39, s0, s39
	s_mul_i32 s0, s33, s23
	s_mul_hi_u32 s1, s33, s22
	s_ashr_i32 s3, s2, 31
	s_mul_i32 s12, s2, s35
	s_mul_hi_u32 s13, s2, s34
	s_add_i32 s0, s1, s0
	s_mul_i32 s1, s18, s22
	s_add_i32 s12, s13, s12
	s_mul_i32 s3, s3, s34
	s_waitcnt lgkmcnt(1)
	v_mfma_f32_16x16x16_bf16 a[4:7], v[12:13], v[2:3], a[4:7]
	s_add_i32 s1, s0, s1
	s_add_i32 s3, s12, s3
	s_lshl_b64 s[12:13], s[38:39], 2
	s_waitcnt lgkmcnt(0)
	v_mfma_f32_16x16x16_bf16 a[0:3], v[12:13], v[6:7], a[0:3]
	s_mul_i32 s0, s33, s22
	s_add_u32 s10, s10, s12
	s_addc_u32 s11, s11, s13
	s_lshl_b64 s[0:1], s[0:1], 2
	s_mul_i32 s2, s2, s34
	s_add_u32 s10, s10, s0
	ds_read_b64 v[2:3], v24 offset:44032
	v_mfma_f32_16x16x16_bf16 a[4:7], v[14:15], v[4:5], a[4:7]
	ds_read_b64 v[4:5], v29 offset:44032
	s_addc_u32 s11, s11, s1
	s_lshl_b64 s[0:1], s[2:3], 2
	v_mfma_f32_16x16x16_bf16 a[0:3], v[14:15], v[8:9], a[0:3]
	s_add_u32 s0, s10, s0
	s_addc_u32 s1, s11, s1
	s_load_dword s12, s[0:1], 0x0
	s_waitcnt lgkmcnt(0)
	v_mfma_f32_16x16x16_bf16 a[0:3], v[16:17], v[2:3], a[0:3]
	s_and_b64 vcc, exec, s[30:31]
	v_mfma_f32_16x16x16_bf16 a[4:7], v[16:17], v[4:5], a[4:7]
	s_cbranch_vccz .LBB319_42
; %bb.32:
	v_lshlrev_b32_e32 v20, 1, v23
	s_and_b64 vcc, exec, s[6:7]
	s_cbranch_vccz .LBB319_43
; %bb.33:
	v_cmp_gt_i32_e32 vcc, s43, v20
	v_mov_b32_e32 v6, 0
	v_mov_b32_e32 v2, 0
	;; [unrolled: 1-line block ×5, first 2 shown]
	s_and_saveexec_b64 s[0:1], vcc
	s_cbranch_execz .LBB319_35
; %bb.34:
	v_mad_i64_i32 v[2:3], s[2:3], s19, v20, 0
	v_lshl_add_u64 v[2:3], v[2:3], 1, s[4:5]
	v_lshlrev_b32_e32 v4, 1, v18
	v_mov_b32_e32 v5, 0
	v_lshl_add_u64 v[2:3], v[2:3], 0, v[4:5]
	global_load_dwordx4 v[2:5], v[2:3], off
.LBB319_35:
	s_or_b64 exec, exec, s[0:1]
	v_or_b32_e32 v21, 1, v20
	v_cmp_gt_i32_e64 s[0:1], s43, v21
	v_mov_b32_e32 v7, 0
	v_mov_b32_e32 v8, 0
	;; [unrolled: 1-line block ×3, first 2 shown]
	s_and_saveexec_b64 s[2:3], s[0:1]
	s_cbranch_execz .LBB319_37
; %bb.36:
	v_mad_i64_i32 v[6:7], s[16:17], s19, v21, 0
	v_lshl_add_u64 v[6:7], v[6:7], 1, s[4:5]
	v_lshlrev_b32_e32 v8, 1, v18
	v_mov_b32_e32 v9, 0
	v_lshl_add_u64 v[6:7], v[6:7], 0, v[8:9]
	global_load_dwordx4 v[6:9], v[6:7], off
.LBB319_37:
	s_or_b64 exec, exec, s[2:3]
	v_mov_b32_e32 v17, 0
	v_mov_b32_e32 v10, 0
	v_mov_b32_e32 v11, 0
	v_mov_b32_e32 v12, 0
	v_mov_b32_e32 v13, 0
	s_and_saveexec_b64 s[2:3], vcc
	s_cbranch_execz .LBB319_39
; %bb.38:
	v_mad_i64_i32 v[10:11], s[16:17], s19, v20, 0
	v_lshl_add_u64 v[10:11], v[10:11], 1, s[4:5]
	v_lshlrev_b32_e32 v12, 1, v18
	v_mov_b32_e32 v13, 0
	v_lshl_add_u64 v[10:11], v[10:11], 0, v[12:13]
	global_load_dwordx4 v[10:13], v[10:11], off offset:128
.LBB319_39:
	s_or_b64 exec, exec, s[2:3]
	v_mov_b32_e32 v16, 0
	v_mov_b32_e32 v15, 0
	;; [unrolled: 1-line block ×3, first 2 shown]
	s_and_saveexec_b64 s[2:3], s[0:1]
	s_cbranch_execz .LBB319_41
; %bb.40:
	v_mad_i64_i32 v[14:15], s[0:1], s19, v21, 0
	v_lshl_add_u64 v[14:15], v[14:15], 1, s[4:5]
	v_lshlrev_b32_e32 v16, 1, v18
	v_mov_b32_e32 v17, 0
	v_lshl_add_u64 v[14:15], v[14:15], 0, v[16:17]
	global_load_dwordx4 v[14:17], v[14:15], off offset:128
.LBB319_41:
	s_or_b64 exec, exec, s[2:3]
	s_branch .LBB319_45
.LBB319_42:
                                        ; implicit-def: $vgpr5
                                        ; implicit-def: $vgpr9
                                        ; implicit-def: $vgpr13
                                        ; implicit-def: $vgpr17
	v_lshrrev_b32_e32 v30, 2, v43
	s_branch .LBB319_46
.LBB319_43:
                                        ; implicit-def: $vgpr5
                                        ; implicit-def: $vgpr9
                                        ; implicit-def: $vgpr13
                                        ; implicit-def: $vgpr17
	s_cbranch_execz .LBB319_45
; %bb.44:
	s_waitcnt vmcnt(0)
	v_mad_u64_u32 v[2:3], s[0:1], v20, s19, v[18:19]
	v_lshlrev_b32_e32 v20, 1, v2
	s_lshl_b32 s2, s19, 7
	s_and_b32 s1, s5, 0xffff
	s_mov_b32 s3, 0x20000
	s_mov_b32 s0, s4
	v_add_lshl_u32 v21, v2, s19, 1
	s_movk_i32 s13, 0x80
	buffer_load_dwordx4 v[2:5], v20, s[0:3], 0 offen
	buffer_load_dwordx4 v[10:13], v20, s[0:3], s13 offen
	;; [unrolled: 1-line block ×4, first 2 shown]
.LBB319_45:
	v_lshrrev_b32_e32 v30, 2, v43
	s_cbranch_execnz .LBB319_58
.LBB319_46:
	s_and_b64 vcc, exec, s[6:7]
	s_cbranch_vccz .LBB319_56
; %bb.47:
	s_waitcnt vmcnt(0)
	v_lshlrev_b32_e32 v7, 1, v23
	v_cmp_gt_i32_e32 vcc, s43, v7
	v_mov_b32_e32 v6, 0
	v_lshlrev_b32_e32 v14, 9, v23
	v_mov_b32_e32 v2, 0
	v_mov_b32_e32 v3, 0
	;; [unrolled: 1-line block ×4, first 2 shown]
	s_and_saveexec_b64 s[0:1], vcc
	s_cbranch_execz .LBB319_49
; %bb.48:
	v_mov_b32_e32 v15, 0
	v_lshl_add_u64 v[2:3], s[4:5], 0, v[14:15]
	v_lshlrev_b32_e32 v4, 1, v18
	v_mov_b32_e32 v5, v15
	v_lshl_add_u64 v[2:3], v[2:3], 0, v[4:5]
	global_load_dwordx4 v[2:5], v[2:3], off
.LBB319_49:
	s_or_b64 exec, exec, s[0:1]
	v_or_b32_e32 v7, 1, v7
	v_cmp_gt_i32_e64 s[0:1], s43, v7
	v_lshlrev_b32_e32 v20, 8, v7
	v_mov_b32_e32 v7, 0
	v_mov_b32_e32 v8, 0
	v_mov_b32_e32 v9, 0
	s_and_saveexec_b64 s[2:3], s[0:1]
	s_cbranch_execz .LBB319_51
; %bb.50:
	v_mov_b32_e32 v21, 0
	v_lshl_add_u64 v[6:7], s[4:5], 0, v[20:21]
	v_lshlrev_b32_e32 v8, 1, v18
	v_mov_b32_e32 v9, v21
	v_lshl_add_u64 v[6:7], v[6:7], 0, v[8:9]
	global_load_dwordx4 v[6:9], v[6:7], off
.LBB319_51:
	s_or_b64 exec, exec, s[2:3]
	v_mov_b32_e32 v17, 0
	v_mov_b32_e32 v10, 0
	;; [unrolled: 1-line block ×5, first 2 shown]
	s_and_saveexec_b64 s[2:3], vcc
	s_cbranch_execz .LBB319_53
; %bb.52:
	v_mov_b32_e32 v15, 0
	v_lshl_add_u64 v[10:11], s[4:5], 0, v[14:15]
	v_lshlrev_b32_e32 v14, 1, v18
	v_lshl_add_u64 v[10:11], v[10:11], 0, v[14:15]
	global_load_dwordx4 v[10:13], v[10:11], off offset:128
.LBB319_53:
	s_or_b64 exec, exec, s[2:3]
	v_mov_b32_e32 v16, 0
	v_mov_b32_e32 v15, 0
	;; [unrolled: 1-line block ×3, first 2 shown]
	s_and_saveexec_b64 s[2:3], s[0:1]
	s_cbranch_execz .LBB319_55
; %bb.54:
	v_mov_b32_e32 v21, 0
	v_lshl_add_u64 v[14:15], s[4:5], 0, v[20:21]
	v_lshlrev_b32_e32 v20, 1, v18
	v_lshl_add_u64 v[14:15], v[14:15], 0, v[20:21]
	global_load_dwordx4 v[14:17], v[14:15], off offset:128
.LBB319_55:
	s_or_b64 exec, exec, s[2:3]
	s_branch .LBB319_58
.LBB319_56:
                                        ; implicit-def: $vgpr5
                                        ; implicit-def: $vgpr9
                                        ; implicit-def: $vgpr13
                                        ; implicit-def: $vgpr17
	s_cbranch_execz .LBB319_58
; %bb.57:
	s_waitcnt vmcnt(0)
	v_lshlrev_b32_e32 v2, 1, v18
	v_lshl_or_b32 v18, v23, 9, v2
	s_and_b32 s5, s5, 0xffff
	s_mov_b32 s7, 0x20000
	s_movk_i32 s6, 0x4000
	s_movk_i32 s0, 0x80
	buffer_load_dwordx4 v[2:5], v18, s[4:7], 0 offen
	buffer_load_dwordx4 v[6:9], v18, s[4:7], 0 offen offset:256
	buffer_load_dwordx4 v[10:13], v18, s[4:7], s0 offen
	buffer_load_dwordx4 v[14:17], v18, s[4:7], s0 offen offset:256
.LBB319_58:
	ds_read_b64 v[20:21], v25 offset:32768
	v_add_u32_e32 v18, 0xb000, v24
	ds_read2_b64 v[32:35], v18 offset1:16
	ds_read_b64 v[40:41], v26 offset:32768
	ds_read_b64 v[26:27], v27 offset:32768
	;; [unrolled: 1-line block ×3, first 2 shown]
	v_and_b32_e32 v18, 6, v0
	v_xor_b32_e32 v23, v23, v18
	v_lshlrev_b32_e32 v23, 2, v23
	v_and_b32_e32 v0, 1, v0
	v_xor_b32_e32 v28, 0x440, v23
	v_cmp_eq_u32_e32 vcc, 0, v0
	s_waitcnt lgkmcnt(3)
	v_mfma_f32_16x16x16_bf16 a[0:3], v[20:21], v[32:33], a[0:3]
	s_mov_b32 s0, 0x1000504
	v_cndmask_b32_e32 v0, v28, v23, vcc
	v_lshl_or_b32 v0, v18, 10, v0
	v_mfma_f32_16x16x16_bf16 a[4:7], v[20:21], v[34:35], a[4:7]
	ds_read2st64_b64 v[32:35], v24 offset0:90 offset1:92
	ds_read2st64_b64 v[36:39], v29 offset0:90 offset1:92
	ds_read_b64 v[20:21], v24 offset:48128
	ds_read_b64 v[24:25], v29 offset:48128
	s_waitcnt vmcnt(0)
	v_perm_b32 v18, v2, v6, s0
	s_waitcnt lgkmcnt(3)
	v_mfma_f32_16x16x16_bf16 a[0:3], v[40:41], v[32:33], a[0:3]
	s_mov_b32 s1, 0x3020706
	v_perm_b32 v2, v2, v6, s1
	v_perm_b32 v6, v10, v14, s1
	s_waitcnt lgkmcnt(2)
	v_mfma_f32_16x16x16_bf16 a[4:7], v[40:41], v[36:37], a[4:7]
	v_mfma_f32_16x16x16_bf16 a[0:3], v[26:27], v[34:35], a[0:3]
	;; [unrolled: 1-line block ×3, first 2 shown]
	s_waitcnt lgkmcnt(1)
	v_mfma_f32_16x16x16_bf16 a[4:7], v[44:45], v[20:21], a[0:3]
	v_perm_b32 v20, v10, v14, s0
	ds_write2st64_b32 v0, v18, v20 offset0:32 offset1:64
	v_xor_b32_e32 v18, 8, v0
	v_add_u32_e32 v10, 0x80, v18
	ds_write2st64_b32 v10, v2, v6 offset0:32 offset1:64
	v_xor_b32_e32 v2, 16, v0
	v_perm_b32 v6, v3, v7, s0
	v_perm_b32 v10, v11, v15, s0
	ds_write2st64_b32 v2, v6, v10 offset0:33 offset1:65
	v_xor_b32_e32 v2, 24, v0
	v_perm_b32 v3, v3, v7, s1
	v_perm_b32 v6, v11, v15, s1
	v_add_u32_e32 v2, 0x80, v2
	ds_write2st64_b32 v2, v3, v6 offset0:33 offset1:65
	v_xor_b32_e32 v2, 32, v0
	v_perm_b32 v3, v4, v8, s0
	v_perm_b32 v6, v12, v16, s0
	s_waitcnt lgkmcnt(4)
	v_mfma_f32_16x16x16_bf16 a[0:3], v[44:45], v[24:25], a[8:11]
	ds_write2st64_b32 v2, v3, v6 offset0:34 offset1:66
	v_xor_b32_e32 v2, 40, v0
	v_perm_b32 v3, v4, v8, s1
	v_perm_b32 v4, v12, v16, s1
	v_add_u32_e32 v2, 0x80, v2
	ds_write2st64_b32 v2, v3, v4 offset0:34 offset1:66
	v_xor_b32_e32 v2, 48, v0
	v_perm_b32 v3, v5, v9, s0
	v_perm_b32 v4, v13, v17, s0
	v_xor_b32_e32 v0, 56, v0
	v_and_or_b32 v21, v30, 12, v1
	ds_write2st64_b32 v2, v3, v4 offset0:35 offset1:67
	v_perm_b32 v2, v5, v9, s1
	v_perm_b32 v3, v13, v17, s1
	v_add_u32_e32 v0, 0x80, v0
	v_cmp_gt_i32_e32 vcc, s43, v21
	v_mov_b32_e32 v16, 0
	v_mov_b32_e32 v18, 0
	ds_write2st64_b32 v0, v2, v3 offset0:35 offset1:67
	s_and_saveexec_b64 s[0:1], vcc
	s_cbranch_execz .LBB319_60
; %bb.59:
	v_add_u32_e32 v0, s42, v21
	v_ashrrev_i32_e32 v1, 31, v0
	v_mul_lo_u32 v2, v1, s34
	v_mul_lo_u32 v3, v0, s35
	v_mad_u64_u32 v[0:1], s[2:3], v0, s34, 0
	v_add3_u32 v1, v1, v3, v2
	v_lshl_add_u64 v[0:1], v[0:1], 2, s[10:11]
	global_load_dword v0, v[0:1], off
	s_waitcnt vmcnt(0)
	v_sub_f32_e32 v0, s12, v0
	v_exp_f32_e32 v18, v0
.LBB319_60:
	s_or_b64 exec, exec, s[0:1]
	v_or_b32_e32 v10, 1, v21
	v_cmp_gt_i32_e64 s[2:3], s43, v10
	s_and_saveexec_b64 s[0:1], s[2:3]
	s_cbranch_execz .LBB319_62
; %bb.61:
	v_add_u32_e32 v0, s42, v10
	v_ashrrev_i32_e32 v1, 31, v0
	v_mul_lo_u32 v2, v1, s34
	v_mul_lo_u32 v3, v0, s35
	v_mad_u64_u32 v[0:1], s[4:5], v0, s34, 0
	v_add3_u32 v1, v1, v3, v2
	v_lshl_add_u64 v[0:1], v[0:1], 2, s[10:11]
	global_load_dword v0, v[0:1], off
	s_waitcnt vmcnt(0)
	v_sub_f32_e32 v0, s12, v0
	v_exp_f32_e32 v16, v0
.LBB319_62:
	s_or_b64 exec, exec, s[0:1]
	v_or_b32_e32 v12, 2, v21
	v_cmp_gt_i32_e64 s[0:1], s43, v12
	v_mov_b32_e32 v17, 0
	v_mov_b32_e32 v20, 0
	s_and_saveexec_b64 s[4:5], s[0:1]
	s_cbranch_execz .LBB319_64
; %bb.63:
	v_add_u32_e32 v0, s42, v12
	v_ashrrev_i32_e32 v1, 31, v0
	v_mul_lo_u32 v2, v1, s34
	v_mul_lo_u32 v3, v0, s35
	v_mad_u64_u32 v[0:1], s[6:7], v0, s34, 0
	v_add3_u32 v1, v1, v3, v2
	v_lshl_add_u64 v[0:1], v[0:1], 2, s[10:11]
	global_load_dword v0, v[0:1], off
	s_waitcnt vmcnt(0)
	v_sub_f32_e32 v0, s12, v0
	v_exp_f32_e32 v20, v0
.LBB319_64:
	s_or_b64 exec, exec, s[4:5]
	v_or_b32_e32 v14, 3, v21
	v_cmp_gt_i32_e64 s[4:5], s43, v14
	s_and_saveexec_b64 s[6:7], s[4:5]
	s_cbranch_execz .LBB319_66
; %bb.65:
	v_add_u32_e32 v0, s42, v14
	v_ashrrev_i32_e32 v1, 31, v0
	v_mul_lo_u32 v2, v1, s34
	v_mul_lo_u32 v3, v0, s35
	v_mad_u64_u32 v[0:1], s[16:17], v0, s34, 0
	v_add3_u32 v1, v1, v3, v2
	v_lshl_add_u64 v[0:1], v[0:1], 2, s[10:11]
	global_load_dword v0, v[0:1], off
	s_waitcnt vmcnt(0)
	v_sub_f32_e32 v0, s12, v0
	v_exp_f32_e32 v17, v0
.LBB319_66:
	s_or_b64 exec, exec, s[6:7]
	s_add_u32 s6, s8, s28
	v_or_b32_e32 v4, s36, v42
	s_addc_u32 s7, s9, s29
	s_add_u32 s8, s14, s28
	v_ashrrev_i32_e32 v5, 31, v4
	v_accvgpr_read_b32 v0, a4
	s_addc_u32 s9, s15, s29
	v_lshlrev_b64 v[4:5], 1, v[4:5]
	v_accvgpr_read_b32 v1, a5
	v_accvgpr_read_b32 v2, a6
	;; [unrolled: 1-line block ×3, first 2 shown]
	v_lshl_add_u64 v[6:7], s[6:7], 0, v[4:5]
	v_lshl_add_u64 v[4:5], s[8:9], 0, v[4:5]
	v_mov_b32_e32 v11, 0
	v_lshlrev_b32_e32 v8, 8, v21
	v_mov_b32_e32 v9, 0
	s_and_saveexec_b64 s[6:7], vcc
	s_cbranch_execz .LBB319_68
; %bb.67:
	v_mov_b32_e32 v9, 0
	v_lshl_add_u64 v[24:25], v[6:7], 0, v[8:9]
	global_load_ushort v13, v[24:25], off
	v_lshl_add_u64 v[24:25], v[4:5], 0, v[8:9]
	s_waitcnt vmcnt(0)
	v_lshlrev_b32_e32 v9, 16, v13
	v_sub_f32_e32 v0, v9, v0
	global_store_short_d16_hi v[24:25], v0, off
	v_mul_f32_e32 v0, v18, v0
	v_lshrrev_b32_e32 v9, 16, v0
.LBB319_68:
	s_or_b64 exec, exec, s[6:7]
	v_lshlrev_b32_e32 v10, 8, v10
	s_and_saveexec_b64 s[6:7], s[2:3]
	s_cbranch_execz .LBB319_70
; %bb.69:
	v_mov_b32_e32 v11, 0
	v_lshl_add_u64 v[24:25], v[6:7], 0, v[10:11]
	global_load_ushort v0, v[24:25], off
	v_lshl_add_u64 v[24:25], v[4:5], 0, v[10:11]
	s_waitcnt vmcnt(0)
	v_lshlrev_b32_e32 v0, 16, v0
	v_sub_f32_e32 v0, v0, v1
	global_store_short_d16_hi v[24:25], v0, off
	v_mul_f32_e32 v0, v16, v0
	v_lshrrev_b32_e32 v11, 16, v0
.LBB319_70:
	s_or_b64 exec, exec, s[6:7]
	v_mov_b32_e32 v15, 0
	v_lshlrev_b32_e32 v12, 8, v12
	v_mov_b32_e32 v13, 0
	s_and_saveexec_b64 s[6:7], s[0:1]
	s_cbranch_execz .LBB319_72
; %bb.71:
	v_mov_b32_e32 v13, 0
	v_lshl_add_u64 v[0:1], v[6:7], 0, v[12:13]
	global_load_ushort v23, v[0:1], off
	v_lshl_add_u64 v[0:1], v[4:5], 0, v[12:13]
	s_waitcnt vmcnt(0)
	v_lshlrev_b32_e32 v13, 16, v23
	v_sub_f32_e32 v2, v13, v2
	global_store_short_d16_hi v[0:1], v2, off
	v_mul_f32_e32 v0, v20, v2
	v_lshrrev_b32_e32 v13, 16, v0
.LBB319_72:
	s_or_b64 exec, exec, s[6:7]
	v_lshlrev_b32_e32 v14, 8, v14
	s_and_saveexec_b64 s[6:7], s[4:5]
	s_cbranch_execz .LBB319_74
; %bb.73:
	v_mov_b32_e32 v15, 0
	v_lshl_add_u64 v[0:1], v[6:7], 0, v[14:15]
	global_load_ushort v2, v[0:1], off
	v_lshl_add_u64 v[0:1], v[4:5], 0, v[14:15]
	s_waitcnt vmcnt(0)
	v_lshlrev_b32_e32 v2, 16, v2
	v_sub_f32_e32 v2, v2, v3
	global_store_short_d16_hi v[0:1], v2, off
	v_mul_f32_e32 v0, v17, v2
	v_lshrrev_b32_e32 v15, 16, v0
.LBB319_74:
	s_or_b64 exec, exec, s[6:7]
	v_lshlrev_b32_e32 v21, 5, v21
	s_mov_b32 s6, 0x5040100
	v_perm_b32 v24, v11, v9, s6
	v_or_b32_e32 v9, v21, v22
	v_accvgpr_read_b32 v0, a0
	v_perm_b32 v25, v15, v13, s6
	v_lshlrev_b32_e32 v9, 1, v9
	v_accvgpr_read_b32 v1, a1
	v_accvgpr_read_b32 v2, a2
	v_accvgpr_read_b32 v3, a3
	ds_write_b64 v9, v[24:25] offset:45056
	v_mov_b32_e32 v11, 0
	v_mov_b32_e32 v9, 0
	s_and_saveexec_b64 s[6:7], vcc
	s_cbranch_execz .LBB319_76
; %bb.75:
	v_mov_b32_e32 v9, 0
	v_lshl_add_u64 v[22:23], v[6:7], 0, v[8:9]
	global_load_ushort v13, v[22:23], off offset:32
	v_lshl_add_u64 v[8:9], v[4:5], 0, v[8:9]
	s_waitcnt vmcnt(0)
	v_lshlrev_b32_e32 v13, 16, v13
	v_sub_f32_e32 v0, v13, v0
	global_store_short_d16_hi v[8:9], v0, off offset:32
	v_mul_f32_e32 v0, v18, v0
	v_lshrrev_b32_e32 v9, 16, v0
.LBB319_76:
	s_or_b64 exec, exec, s[6:7]
	s_and_saveexec_b64 s[6:7], s[2:3]
	s_cbranch_execz .LBB319_78
; %bb.77:
	v_mov_b32_e32 v11, 0
	v_lshl_add_u64 v[22:23], v[6:7], 0, v[10:11]
	global_load_ushort v0, v[22:23], off offset:32
	v_lshl_add_u64 v[10:11], v[4:5], 0, v[10:11]
	s_waitcnt vmcnt(0)
	v_lshlrev_b32_e32 v0, 16, v0
	v_sub_f32_e32 v0, v0, v1
	global_store_short_d16_hi v[10:11], v0, off offset:32
	v_mul_f32_e32 v0, v16, v0
	v_lshrrev_b32_e32 v11, 16, v0
.LBB319_78:
	s_or_b64 exec, exec, s[6:7]
	v_mov_b32_e32 v0, 0
	v_mov_b32_e32 v1, 0
	s_and_saveexec_b64 s[2:3], s[0:1]
	s_cbranch_execz .LBB319_80
; %bb.79:
	v_mov_b32_e32 v13, 0
	v_lshl_add_u64 v[22:23], v[6:7], 0, v[12:13]
	global_load_ushort v1, v[22:23], off offset:32
	v_lshl_add_u64 v[12:13], v[4:5], 0, v[12:13]
	s_waitcnt vmcnt(0)
	v_lshlrev_b32_e32 v1, 16, v1
	v_sub_f32_e32 v1, v1, v2
	global_store_short_d16_hi v[12:13], v1, off offset:32
	v_mul_f32_e32 v1, v20, v1
	v_lshrrev_b32_e32 v1, 16, v1
.LBB319_80:
	s_or_b64 exec, exec, s[2:3]
	s_and_saveexec_b64 s[0:1], s[4:5]
	s_cbranch_execz .LBB319_82
; %bb.81:
	v_mov_b32_e32 v15, 0
	v_lshl_add_u64 v[6:7], v[6:7], 0, v[14:15]
	global_load_ushort v0, v[6:7], off offset:32
	v_lshl_add_u64 v[4:5], v[4:5], 0, v[14:15]
	s_waitcnt vmcnt(0)
	v_lshlrev_b32_e32 v0, 16, v0
	v_sub_f32_e32 v0, v0, v3
	global_store_short_d16_hi v[4:5], v0, off offset:32
	v_mul_f32_e32 v0, v17, v0
	v_lshrrev_b32_e32 v0, 16, v0
.LBB319_82:
	s_or_b64 exec, exec, s[0:1]
	s_mov_b32 s0, 0x5040100
	v_or_b32_e32 v2, v21, v19
	v_perm_b32 v1, v0, v1, s0
	v_perm_b32 v0, v11, v9, s0
	v_lshlrev_b32_e32 v2, 1, v2
	ds_write_b64 v2, v[0:1] offset:45056
	s_waitcnt lgkmcnt(0)
	s_barrier
.LBB319_83:
	s_endpgm
	.section	.rodata,"a",@progbits
	.p2align	6, 0x0
	.amdhsa_kernel _ZN12_GLOBAL__N_139chunk_gated_delta_rule_fwd_h_hip_kernelILi32ELb0ELb0ELb1ELb0ELb1ELb0ELb0ELb1EEEvPK12hip_bfloat16S3_S3_PKfS5_PKvPS1_S8_PvPKiSB_iiiiilll
		.amdhsa_group_segment_fixed_size 49152
		.amdhsa_private_segment_fixed_size 0
		.amdhsa_kernarg_size 136
		.amdhsa_user_sgpr_count 2
		.amdhsa_user_sgpr_dispatch_ptr 0
		.amdhsa_user_sgpr_queue_ptr 0
		.amdhsa_user_sgpr_kernarg_segment_ptr 1
		.amdhsa_user_sgpr_dispatch_id 0
		.amdhsa_user_sgpr_kernarg_preload_length 0
		.amdhsa_user_sgpr_kernarg_preload_offset 0
		.amdhsa_user_sgpr_private_segment_size 0
		.amdhsa_uses_dynamic_stack 0
		.amdhsa_enable_private_segment 0
		.amdhsa_system_sgpr_workgroup_id_x 1
		.amdhsa_system_sgpr_workgroup_id_y 1
		.amdhsa_system_sgpr_workgroup_id_z 0
		.amdhsa_system_sgpr_workgroup_info 0
		.amdhsa_system_vgpr_workitem_id 0
		.amdhsa_next_free_vgpr 152
		.amdhsa_next_free_sgpr 66
		.amdhsa_accum_offset 132
		.amdhsa_reserve_vcc 1
		.amdhsa_float_round_mode_32 0
		.amdhsa_float_round_mode_16_64 0
		.amdhsa_float_denorm_mode_32 3
		.amdhsa_float_denorm_mode_16_64 3
		.amdhsa_dx10_clamp 1
		.amdhsa_ieee_mode 1
		.amdhsa_fp16_overflow 0
		.amdhsa_tg_split 0
		.amdhsa_exception_fp_ieee_invalid_op 0
		.amdhsa_exception_fp_denorm_src 0
		.amdhsa_exception_fp_ieee_div_zero 0
		.amdhsa_exception_fp_ieee_overflow 0
		.amdhsa_exception_fp_ieee_underflow 0
		.amdhsa_exception_fp_ieee_inexact 0
		.amdhsa_exception_int_div_zero 0
	.end_amdhsa_kernel
	.section	.text._ZN12_GLOBAL__N_139chunk_gated_delta_rule_fwd_h_hip_kernelILi32ELb0ELb0ELb1ELb0ELb1ELb0ELb0ELb1EEEvPK12hip_bfloat16S3_S3_PKfS5_PKvPS1_S8_PvPKiSB_iiiiilll,"axG",@progbits,_ZN12_GLOBAL__N_139chunk_gated_delta_rule_fwd_h_hip_kernelILi32ELb0ELb0ELb1ELb0ELb1ELb0ELb0ELb1EEEvPK12hip_bfloat16S3_S3_PKfS5_PKvPS1_S8_PvPKiSB_iiiiilll,comdat
.Lfunc_end319:
	.size	_ZN12_GLOBAL__N_139chunk_gated_delta_rule_fwd_h_hip_kernelILi32ELb0ELb0ELb1ELb0ELb1ELb0ELb0ELb1EEEvPK12hip_bfloat16S3_S3_PKfS5_PKvPS1_S8_PvPKiSB_iiiiilll, .Lfunc_end319-_ZN12_GLOBAL__N_139chunk_gated_delta_rule_fwd_h_hip_kernelILi32ELb0ELb0ELb1ELb0ELb1ELb0ELb0ELb1EEEvPK12hip_bfloat16S3_S3_PKfS5_PKvPS1_S8_PvPKiSB_iiiiilll
                                        ; -- End function
	.section	.AMDGPU.csdata,"",@progbits
; Kernel info:
; codeLenInByte = 8676
; NumSgprs: 72
; NumVgprs: 132
; NumAgprs: 20
; TotalNumVgprs: 152
; ScratchSize: 0
; MemoryBound: 0
; FloatMode: 240
; IeeeMode: 1
; LDSByteSize: 49152 bytes/workgroup (compile time only)
; SGPRBlocks: 8
; VGPRBlocks: 18
; NumSGPRsForWavesPerEU: 72
; NumVGPRsForWavesPerEU: 152
; AccumOffset: 132
; Occupancy: 1
; WaveLimiterHint : 1
; COMPUTE_PGM_RSRC2:SCRATCH_EN: 0
; COMPUTE_PGM_RSRC2:USER_SGPR: 2
; COMPUTE_PGM_RSRC2:TRAP_HANDLER: 0
; COMPUTE_PGM_RSRC2:TGID_X_EN: 1
; COMPUTE_PGM_RSRC2:TGID_Y_EN: 1
; COMPUTE_PGM_RSRC2:TGID_Z_EN: 0
; COMPUTE_PGM_RSRC2:TIDIG_COMP_CNT: 0
; COMPUTE_PGM_RSRC3_GFX90A:ACCUM_OFFSET: 32
; COMPUTE_PGM_RSRC3_GFX90A:TG_SPLIT: 0
	.section	.text._ZN12_GLOBAL__N_139chunk_gated_delta_rule_fwd_h_hip_kernelILi32ELb0ELb0ELb0ELb0ELb1ELb0ELb0ELb1EEEvPK12hip_bfloat16S3_S3_PKfS5_PKvPS1_S8_PvPKiSB_iiiiilll,"axG",@progbits,_ZN12_GLOBAL__N_139chunk_gated_delta_rule_fwd_h_hip_kernelILi32ELb0ELb0ELb0ELb0ELb1ELb0ELb0ELb1EEEvPK12hip_bfloat16S3_S3_PKfS5_PKvPS1_S8_PvPKiSB_iiiiilll,comdat
	.globl	_ZN12_GLOBAL__N_139chunk_gated_delta_rule_fwd_h_hip_kernelILi32ELb0ELb0ELb0ELb0ELb1ELb0ELb0ELb1EEEvPK12hip_bfloat16S3_S3_PKfS5_PKvPS1_S8_PvPKiSB_iiiiilll ; -- Begin function _ZN12_GLOBAL__N_139chunk_gated_delta_rule_fwd_h_hip_kernelILi32ELb0ELb0ELb0ELb0ELb1ELb0ELb0ELb1EEEvPK12hip_bfloat16S3_S3_PKfS5_PKvPS1_S8_PvPKiSB_iiiiilll
	.p2align	8
	.type	_ZN12_GLOBAL__N_139chunk_gated_delta_rule_fwd_h_hip_kernelILi32ELb0ELb0ELb0ELb0ELb1ELb0ELb0ELb1EEEvPK12hip_bfloat16S3_S3_PKfS5_PKvPS1_S8_PvPKiSB_iiiiilll,@function
_ZN12_GLOBAL__N_139chunk_gated_delta_rule_fwd_h_hip_kernelILi32ELb0ELb0ELb0ELb0ELb1ELb0ELb0ELb1EEEvPK12hip_bfloat16S3_S3_PKfS5_PKvPS1_S8_PvPKiSB_iiiiilll: ; @_ZN12_GLOBAL__N_139chunk_gated_delta_rule_fwd_h_hip_kernelILi32ELb0ELb0ELb0ELb0ELb1ELb0ELb0ELb1EEEvPK12hip_bfloat16S3_S3_PKfS5_PKvPS1_S8_PvPKiSB_iiiiilll
; %bb.0:
	s_load_dwordx4 s[12:15], s[0:1], 0x5c
	s_load_dwordx2 s[36:37], s[0:1], 0x30
	s_abs_i32 s18, s3
	s_ashr_i32 s17, s3, 31
	s_load_dwordx8 s[4:11], s[0:1], 0x0
	s_waitcnt lgkmcnt(0)
	s_abs_i32 s16, s13
	v_cvt_f32_u32_e32 v1, s16
	s_sub_i32 s20, 0, s16
	s_ashr_i32 s19, s13, 31
	s_xor_b32 s17, s17, s19
	v_rcp_iflag_f32_e32 v1, v1
	v_lshrrev_b32_e32 v42, 6, v0
	v_bfe_u32 v43, v0, 4, 2
	v_lshlrev_b32_e32 v2, 2, v43
	v_mul_f32_e32 v1, 0x4f7ffffe, v1
	v_cvt_u32_f32_e32 v1, v1
	v_and_b32_e32 v41, 63, v0
	v_and_b32_e32 v40, 15, v0
	v_mov_b32_e32 v3, 0
	v_readfirstlane_b32 s21, v1
	s_mul_i32 s20, s20, s21
	s_mul_hi_u32 s20, s21, s20
	s_add_i32 s21, s21, s20
	s_mul_hi_u32 s20, s18, s21
	s_mul_i32 s21, s20, s16
	s_sub_i32 s18, s18, s21
	s_add_i32 s22, s20, 1
	s_sub_i32 s21, s18, s16
	s_cmp_ge_u32 s18, s16
	s_cselect_b32 s20, s22, s20
	s_cselect_b32 s18, s21, s18
	s_add_i32 s21, s20, 1
	s_cmp_ge_u32 s18, s16
	s_cselect_b32 s18, s21, s20
	s_xor_b32 s18, s18, s17
	s_sub_i32 s45, s18, s17
	s_abs_i32 s17, s14
	v_cvt_f32_u32_e32 v1, s17
	s_add_i32 s20, s12, 63
	s_mul_i32 s43, s45, s13
	s_sub_i32 s33, s3, s43
	v_rcp_iflag_f32_e32 v1, v1
	s_ashr_i32 s3, s20, 31
	s_ashr_i32 s44, s12, 31
	s_lshr_b32 s3, s3, 26
	v_mul_f32_e32 v1, 0x4f7ffffe, v1
	v_cvt_u32_f32_e32 v1, v1
	s_lshr_b32 s18, s44, 26
	s_add_i32 s20, s20, s3
	s_add_i32 s18, s12, s18
	s_ashr_i32 s47, s14, 31
	s_ashr_i32 s3, s20, 6
	;; [unrolled: 1-line block ×3, first 2 shown]
	s_xor_b32 s18, s19, s47
	s_sub_i32 s19, 0, s17
	v_readfirstlane_b32 s20, v1
	s_mul_i32 s19, s19, s20
	s_mul_hi_u32 s19, s20, s19
	s_add_i32 s20, s20, s19
	s_mul_hi_u32 s19, s16, s20
	s_mul_i32 s20, s19, s17
	s_sub_i32 s16, s16, s20
	s_add_i32 s20, s19, 1
	s_sub_i32 s21, s16, s17
	s_cmp_ge_u32 s16, s17
	s_cselect_b32 s19, s20, s19
	s_cselect_b32 s16, s21, s16
	s_add_i32 s20, s19, 1
	s_cmp_ge_u32 s16, s17
	s_cselect_b32 s16, s20, s19
	s_xor_b32 s16, s16, s18
	s_sub_i32 s20, s16, s18
	s_abs_i32 s21, s20
	v_cvt_f32_u32_e32 v1, s21
	s_load_dwordx2 s[28:29], s[0:1], 0x80
	s_load_dwordx4 s[16:19], s[0:1], 0x70
	s_xor_b32 s0, s33, s20
	s_sub_i32 s20, 0, s21
	v_rcp_iflag_f32_e32 v1, v1
	s_abs_i32 s1, s33
	s_ashr_i32 s0, s0, 31
	s_mul_i32 s48, s45, s3
	v_mul_f32_e32 v1, 0x4f7ffffe, v1
	v_cvt_u32_f32_e32 v1, v1
	s_mul_hi_i32 s49, s45, s13
	v_lshrrev_b32_e32 v45, 3, v41
	v_lshlrev_b32_e32 v44, 3, v0
	v_readfirstlane_b32 s22, v1
	s_mul_i32 s20, s20, s22
	s_mul_hi_u32 s20, s22, s20
	s_add_i32 s22, s22, s20
	s_mul_hi_u32 s20, s1, s22
	s_mul_i32 s22, s20, s21
	s_sub_i32 s1, s1, s22
	s_add_i32 s22, s20, 1
	s_sub_i32 s23, s1, s21
	s_cmp_ge_u32 s1, s21
	s_cselect_b32 s20, s22, s20
	s_cselect_b32 s1, s23, s1
	s_add_i32 s22, s20, 1
	s_cmp_ge_u32 s1, s21
	s_cselect_b32 s1, s22, s20
	s_xor_b32 s1, s1, s0
	v_lshlrev_b32_e32 v1, 4, v42
	s_sub_i32 s50, s1, s0
	v_or_b32_e32 v46, v2, v1
	s_lshl_b32 s30, s2, 5
	v_or_b32_e32 v47, 64, v46
	s_cmp_lt_i32 s12, 64
	s_waitcnt lgkmcnt(0)
	s_mul_i32 s17, s45, s17
	s_mul_hi_u32 s42, s45, s16
	s_mul_i32 s34, s45, s16
	v_mov_b32_e32 v62, 0
	v_mov_b32_e32 v60, 0
	;; [unrolled: 1-line block ×15, first 2 shown]
	s_cbranch_scc1 .LBB320_18
; %bb.1:
	s_ashr_i32 s24, s45, 31
	s_ashr_i32 s52, s33, 31
	s_add_u32 s0, s43, s33
	s_addc_u32 s1, s49, s52
	s_mul_i32 s1, s12, s1
	s_mul_hi_u32 s2, s12, s0
	s_add_i32 s3, s2, s1
	s_mul_i32 s2, s12, s0
	s_lshl_b64 s[0:1], s[2:3], 8
	v_and_b32_e32 v49, 56, v44
	s_add_u32 s20, s6, s0
	v_lshl_or_b32 v48, v42, 3, v45
	v_lshlrev_b32_e32 v3, 1, v49
	s_addc_u32 s0, s7, s1
	v_lshl_or_b32 v50, v48, 8, v3
	s_and_b32 s21, s0, 0xffff
	s_mov_b32 s23, 0x20000
	s_movk_i32 s22, 0x4000
	s_movk_i32 s0, 0x80
	v_or_b32_e32 v51, 0x2000, v50
	buffer_load_dwordx4 v[4:7], v50, s[20:23], 0 offen
	buffer_load_dwordx4 v[8:11], v50, s[20:23], s0 offen
	;; [unrolled: 1-line block ×4, first 2 shown]
	v_lshlrev_b32_e32 v20, 3, v48
	v_and_or_b32 v22, v0, 7, v20
	v_and_b32_e32 v20, 0x78, v20
	v_lshlrev_b32_e32 v22, 4, v22
	v_xor_b32_e32 v52, v22, v20
	v_mul_lo_u32 v21, v48, s15
	v_or_b32_e32 v53, 0x1000, v52
	s_cmpk_eq_i32 s15, 0x80
	s_mov_b32 s51, s14
	v_xor_b32_e32 v20, 8, v52
	v_xor_b32_e32 v22, 8, v53
	s_cselect_b64 s[0:1], -1, 0
	s_cmpk_lg_i32 s15, 0x80
	s_waitcnt vmcnt(3)
	ds_write_b64 v52, v[4:5] offset:24576
	ds_write_b64 v20, v[6:7] offset:24576
	s_waitcnt vmcnt(2)
	ds_write_b64 v52, v[8:9] offset:32768
	ds_write_b64 v20, v[10:11] offset:32768
	s_waitcnt vmcnt(1)
	ds_write_b64 v52, v[12:13] offset:28672
	ds_write_b64 v22, v[14:15] offset:24576
	s_waitcnt vmcnt(0)
	ds_write_b64 v52, v[16:17] offset:36864
	ds_write_b64 v22, v[18:19] offset:32768
	v_lshl_add_u32 v4, v21, 1, v49
	s_cbranch_scc0 .LBB320_3
; %bb.2:
	v_lshlrev_b32_e32 v6, 1, v4
	v_add_lshl_u32 v5, v4, s15, 1
	s_lshl_b32 s22, s15, 7
	v_lshl_or_b32 v3, v48, 9, v3
	s_cbranch_execz .LBB320_4
	s_branch .LBB320_5
.LBB320_3:
                                        ; implicit-def: $vgpr5
                                        ; implicit-def: $vgpr6
                                        ; implicit-def: $sgpr22
	v_lshl_or_b32 v3, v48, 9, v3
.LBB320_4:
	v_or_b32_e32 v5, 0x100, v3
	s_movk_i32 s22, 0x4000
	v_mov_b32_e32 v6, v3
.LBB320_5:
	s_mul_hi_u32 s20, s14, s12
	s_mul_i32 s21, s47, s12
	s_add_i32 s20, s20, s21
	s_mul_i32 s21, s14, s12
	s_mul_i32 s23, s21, s24
	s_mul_hi_u32 s25, s21, s45
	s_add_i32 s23, s25, s23
	s_mul_i32 s20, s20, s45
	s_add_i32 s23, s23, s20
	s_mul_i32 s21, s21, s45
	s_ashr_i32 s53, s50, 31
	s_add_u32 s20, s21, s50
	s_addc_u32 s21, s23, s53
	s_lshl_b64 s[20:21], s[20:21], 8
	s_add_u32 s20, s4, s20
	s_addc_u32 s21, s5, s21
	s_and_b32 s21, s21, 0xffff
	s_mov_b32 s23, 0x20000
	s_movk_i32 s54, 0x80
	buffer_load_dwordx4 v[8:11], v6, s[20:23], 0 offen
	buffer_load_dwordx4 v[12:15], v6, s[20:23], s54 offen
	;; [unrolled: 1-line block ×4, first 2 shown]
	v_and_b32_e32 v5, 6, v0
	v_lshlrev_b32_e32 v24, 6, v46
	v_or_b32_e32 v26, 16, v40
	v_xor_b32_e32 v27, v48, v5
	v_and_b32_e32 v6, 1, v0
	s_mul_i32 s20, s24, s12
	s_mul_hi_u32 s21, s45, s12
	v_lshl_or_b32 v30, v40, 3, v24
	v_lshl_or_b32 v24, v26, 3, v24
	v_lshlrev_b32_e32 v27, 2, v27
	v_lshlrev_b32_e32 v7, 2, v40
	v_or_b32_e32 v56, 0xa000, v24
	v_or_b32_e32 v57, 0xb000, v24
	v_xor_b32_e32 v24, 0x440, v27
	v_cmp_eq_u32_e32 vcc, 0, v6
	s_add_i32 s59, s21, s20
	s_add_i32 s20, s42, s17
	s_mul_i32 s24, s24, s16
	v_xor_b32_e32 v28, v46, v7
	v_xor_b32_e32 v29, v47, v7
	v_cndmask_b32_e32 v6, v24, v27, vcc
	s_add_i32 s35, s20, s24
	s_mul_i32 s20, s33, s19
	s_mul_hi_u32 s21, s33, s18
	s_mov_b32 s56, 0x1000504
	v_lshlrev_b32_e32 v25, 8, v40
	v_lshlrev_b32_e32 v28, 1, v28
	;; [unrolled: 1-line block ×3, first 2 shown]
	v_lshl_or_b32 v5, v5, 10, v6
	s_add_i32 s20, s21, s20
	s_mul_i32 s21, s52, s18
	s_mov_b32 s57, 0x3020706
	v_or_b32_e32 v54, 0xa000, v30
	v_or_b32_e32 v55, 0xb000, v30
	;; [unrolled: 1-line block ×4, first 2 shown]
	v_xor_b32_e32 v6, 8, v5
	v_xor_b32_e32 v25, 24, v5
	;; [unrolled: 1-line block ×4, first 2 shown]
	s_add_i32 s21, s20, s21
	s_lshl_b64 s[24:25], s[34:35], 2
	v_xor_b32_e32 v24, 16, v5
	v_xor_b32_e32 v27, 32, v5
	;; [unrolled: 1-line block ×3, first 2 shown]
	v_add_u32_e32 v6, 0x80, v6
	v_add_u32_e32 v25, 0x80, v25
	;; [unrolled: 1-line block ×4, first 2 shown]
	s_mul_i32 s20, s33, s18
	s_add_u32 s22, s10, s24
	s_addc_u32 s24, s11, s25
	s_lshl_b64 s[20:21], s[20:21], 2
	s_add_u32 s38, s22, s20
	s_movk_i32 s20, 0xf8
	s_addc_u32 s39, s24, s21
	s_ashr_i32 s31, s30, 31
	s_lshl_b32 s26, s15, 7
	s_movk_i32 s24, 0x100
	v_mov_b32_e32 v35, 0
	v_cmp_gt_u32_e32 vcc, s24, v0
	s_mov_b32 s55, 0
	s_mul_i32 s58, s45, s12
	s_movk_i32 s35, 0x1000
	s_movk_i32 s22, 0x4000
	v_add_u32_e32 v91, v1, v2
	s_mov_b32 s61, 0
	v_mov_b32_e32 v72, v35
	v_mov_b32_e32 v71, v35
	;; [unrolled: 1-line block ×11, first 2 shown]
	s_waitcnt vmcnt(1)
	v_perm_b32 v33, v8, v16, s56
	s_waitcnt vmcnt(0)
	v_perm_b32 v34, v12, v20, s56
	v_perm_b32 v8, v8, v16, s57
	v_perm_b32 v12, v12, v20, s57
	v_perm_b32 v16, v9, v17, s56
	v_perm_b32 v20, v13, v21, s56
	v_perm_b32 v9, v9, v17, s57
	v_perm_b32 v13, v13, v21, s57
	v_perm_b32 v17, v10, v18, s56
	v_perm_b32 v21, v14, v22, s56
	v_perm_b32 v10, v10, v18, s57
	v_perm_b32 v14, v14, v22, s57
	v_perm_b32 v18, v11, v19, s56
	v_perm_b32 v22, v15, v23, s56
	v_perm_b32 v11, v11, v19, s57
	v_perm_b32 v15, v15, v23, s57
	ds_write2st64_b32 v5, v33, v34 offset0:32 offset1:64
	ds_write2st64_b32 v6, v8, v12 offset0:32 offset1:64
	;; [unrolled: 1-line block ×8, first 2 shown]
	v_lshlrev_b32_e32 v5, 8, v26
	v_or_b32_e32 v66, v5, v28
	v_or_b32_e32 v67, v5, v29
	;; [unrolled: 1-line block ×3, first 2 shown]
	v_lshlrev_b32_e32 v5, 3, v5
	v_lshrrev_b32_e32 v8, 5, v41
	v_and_or_b32 v8, v5, s20, v8
	v_lshlrev_b32_e32 v8, 4, v8
	v_lshlrev_b32_e32 v9, 11, v42
	v_and_b32_e32 v5, 0x78, v5
	v_or_b32_e32 v13, 32, v8
	v_and_b32_e32 v6, 0x1000, v9
	v_lshrrev_b32_e32 v11, 1, v0
	v_xor_b32_e32 v13, v13, v5
	v_and_b32_e32 v12, 8, v11
	v_or_b32_e32 v13, v13, v6
	v_xor_b32_e32 v10, v8, v5
	v_xor_b32_e32 v76, v13, v12
	v_or_b32_e32 v13, 64, v8
	v_or_b32_e32 v8, 0x60, v8
	v_xor_b32_e32 v13, v13, v5
	v_xor_b32_e32 v5, v8, v5
	v_or_b32_e32 v10, v10, v6
	v_or_b32_e32 v13, v13, v6
	;; [unrolled: 1-line block ×3, first 2 shown]
	s_lshl_b64 s[20:21], s[30:31], 8
	v_xor_b32_e32 v74, v10, v12
	v_xor_b32_e32 v78, v13, v12
	;; [unrolled: 1-line block ×3, first 2 shown]
	v_lshlrev_b32_e32 v12, 1, v4
	v_add_lshl_u32 v13, v4, s15, 1
	s_add_u32 s20, s36, s20
	v_lshlrev_b32_e32 v4, 1, v40
	v_lshrrev_b32_e32 v15, 4, v0
	s_addc_u32 s21, s37, s21
	v_or_b32_e32 v5, 1, v4
	v_lshlrev_b32_e32 v34, 4, v40
	v_mov_b32_e32 v19, 0x4000
	v_mov_b32_e32 v20, 0x2000
	v_xor_b32_e32 v16, v15, v4
	v_xor_b32_e32 v17, v5, v15
	v_lshl_add_u64 v[4:5], s[20:21], 0, v[34:35]
	v_lshlrev_b32_e32 v34, 8, v15
	v_cndmask_b32_e32 v19, v19, v20, vcc
	v_lshlrev_b32_e32 v20, 3, v42
	v_and_b32_e32 v11, 24, v11
	v_lshl_or_b32 v82, v16, 3, v34
	v_and_b32_e32 v16, 8, v0
	v_xor_b32_e32 v21, v20, v11
	v_or_b32_e32 v22, 0x440, v21
	v_cmp_eq_u32_e32 vcc, 0, v16
	v_and_b32_e32 v15, 7, v0
	v_lshlrev_b32_e32 v10, 7, v43
	v_cndmask_b32_e32 v16, v22, v21, vcc
	v_lshl_or_b32 v83, v17, 3, v34
	v_lshlrev_b32_e32 v17, 3, v15
	v_lshlrev_b32_e32 v15, 7, v15
	;; [unrolled: 1-line block ×3, first 2 shown]
	v_or_b32_e32 v16, v16, v9
	v_or_b32_e32 v7, v10, v7
	v_xad_u32 v84, v16, v17, v15
	v_and_or_b32 v10, v18, 60, v10
	v_mov_b32_e32 v16, 0xb000
	v_lshl_or_b32 v85, v10, 1, v16
	v_or_b32_e32 v10, 32, v11
	v_xor_b32_e32 v10, v20, v10
	v_or_b32_e32 v16, 0x440, v10
	v_cndmask_b32_e32 v10, v16, v10, vcc
	v_or_b32_e32 v10, v10, v9
	v_xad_u32 v86, v10, v17, v15
	v_or_b32_e32 v10, 64, v11
	v_xor_b32_e32 v10, v20, v10
	v_xor_b32_e32 v16, 0x440, v10
	v_cndmask_b32_e32 v10, v16, v10, vcc
	v_or_b32_e32 v10, v10, v9
	v_xad_u32 v87, v10, v17, v15
	v_or_b32_e32 v10, 0x60, v11
	v_xor_b32_e32 v10, v20, v10
	v_xor_b32_e32 v11, 0x440, v10
	v_cndmask_b32_e32 v10, v11, v10, vcc
	v_lshlrev_b32_e32 v7, 1, v7
	v_or_b32_e32 v6, s30, v40
	v_or_b32_e32 v9, v10, v9
	;; [unrolled: 1-line block ×6, first 2 shown]
	v_lshlrev_b32_e32 v8, 7, v46
	v_ashrrev_i32_e32 v7, 31, v6
	v_or_b32_e32 v14, 0x100, v3
	v_xad_u32 v88, v9, v17, v15
	v_cndmask_b32_e64 v89, v12, v3, s[0:1]
	v_cndmask_b32_e64 v90, v13, v14, s[0:1]
	v_lshl_add_u64 v[36:37], v[6:7], 1, s[8:9]
	v_lshl_add_u64 v[38:39], v[4:5], 0, v[34:35]
	s_mov_b32 s31, 0x7060302
	v_lshlrev_b32_e32 v34, 1, v8
	v_add_u32_e32 v92, v19, v84
	v_add_u32_e32 v93, v19, v86
	;; [unrolled: 1-line block ×4, first 2 shown]
	v_mov_b32_e32 v99, v35
	v_mov_b32_e32 v61, v35
	;; [unrolled: 1-line block ×5, first 2 shown]
	s_waitcnt lgkmcnt(0)
	s_barrier
.LBB320_6:                              ; =>This Inner Loop Header: Depth=1
	s_add_i32 s60, s61, 1
	s_cmp_lt_i32 s60, s46
	s_mov_b64 s[24:25], 0
	s_cselect_b64 s[40:41], -1, 0
	s_cmp_ge_i32 s60, s46
	s_mov_b64 s[20:21], 0
	s_cbranch_scc1 .LBB320_8
; %bb.7:                                ;   in Loop: Header=BB320_6 Depth=1
	s_add_i32 s0, s55, 64
	s_add_u32 s0, s2, s0
	s_addc_u32 s1, s3, 0
	s_lshl_b64 s[0:1], s[0:1], 8
	s_add_u32 s20, s6, s0
	s_addc_u32 s21, s7, s1
.LBB320_8:                              ;   in Loop: Header=BB320_6 Depth=1
	v_cndmask_b32_e64 v2, 0, 1, s[40:41]
	v_cmp_ne_u32_e64 s[0:1], 1, v2
	s_andn2_b64 vcc, exec, s[40:41]
	s_cbranch_vccnz .LBB320_10
; %bb.9:                                ;   in Loop: Header=BB320_6 Depth=1
	s_add_i32 s24, s55, 64
	s_add_u32 s24, s58, s24
	s_addc_u32 s25, s59, 0
	s_mul_i32 s27, s24, s47
	s_mul_hi_u32 s40, s24, s51
	s_add_i32 s27, s40, s27
	s_mul_i32 s25, s25, s51
	s_add_i32 s27, s27, s25
	s_mul_i32 s24, s24, s51
	s_add_u32 s24, s24, s50
	s_addc_u32 s25, s27, s53
	s_lshl_b64 s[24:25], s[24:25], 8
	s_add_u32 s24, s4, s24
	s_addc_u32 s25, s5, s25
.LBB320_10:                             ;   in Loop: Header=BB320_6 Depth=1
	v_perm_b32 v3, v98, v73, s31
	v_perm_b32 v2, v71, v72, s31
	;; [unrolled: 1-line block ×4, first 2 shown]
	ds_write_b64 v54, v[2:3]
	ds_write_b64 v55, v[4:5]
	;; [unrolled: 1-line block ×4, first 2 shown]
	v_perm_b32 v3, v99, v65, s31
	v_perm_b32 v2, v63, v64, s31
	;; [unrolled: 1-line block ×4, first 2 shown]
	ds_write_b64 v56, v[2:3]
	ds_write_b64 v57, v[4:5]
	;; [unrolled: 1-line block ×4, first 2 shown]
	s_waitcnt lgkmcnt(0)
	s_barrier
	ds_read_b64 v[6:7], v74 offset:24576
	ds_read2_b64 v[2:5], v75 offset1:16
	ds_read_b64 v[10:11], v77 offset:3072
	ds_read_b64 v[12:13], v75 offset:3072
	ds_read_b64 v[14:15], v76 offset:24576
	s_waitcnt lgkmcnt(3)
	v_mfma_f32_16x16x16_bf16 a[0:3], v[6:7], v[2:3], 0
	s_add_i32 s27, s55, 63
	s_mul_i32 s40, s27, s29
	s_mul_hi_u32 s41, s27, s28
	v_mfma_f32_16x16x16_bf16 a[4:7], v[6:7], v[4:5], 0
	ds_read2st64_b64 v[2:5], v75 offset0:2 offset1:4
	ds_read2st64_b64 v[6:9], v77 offset0:2 offset1:4
	s_add_i32 s41, s41, s40
	s_waitcnt lgkmcnt(1)
	v_mfma_f32_16x16x16_bf16 a[0:3], v[14:15], v[2:3], a[0:3]
	s_mul_i32 s40, s27, s28
	s_lshl_b64 s[40:41], s[40:41], 2
	s_add_u32 s40, s38, s40
	s_waitcnt lgkmcnt(0)
	v_mfma_f32_16x16x16_bf16 a[4:7], v[14:15], v[6:7], a[4:7]
	ds_read_b64 v[2:3], v78 offset:24576
	ds_read_b64 v[6:7], v79 offset:24576
	s_addc_u32 s41, s39, s41
	s_and_b64 vcc, exec, s[0:1]
	s_waitcnt lgkmcnt(1)
	v_mfma_f32_16x16x16_bf16 a[0:3], v[2:3], v[4:5], a[0:3]
	v_mov_b32_e32 v102, 0
	v_mov_b32_e32 v101, 0
	;; [unrolled: 1-line block ×3, first 2 shown]
	v_mfma_f32_16x16x16_bf16 a[4:7], v[2:3], v[8:9], a[4:7]
	v_mov_b32_e32 v2, 0
	v_mov_b32_e32 v3, 0
	;; [unrolled: 1-line block ×3, first 2 shown]
	s_waitcnt lgkmcnt(0)
	v_mfma_f32_16x16x16_bf16 a[0:3], v[6:7], v[12:13], a[0:3]
	v_mov_b32_e32 v5, 0
	v_mov_b32_e32 v8, 0
	;; [unrolled: 1-line block ×3, first 2 shown]
	v_mfma_f32_16x16x16_bf16 a[4:7], v[6:7], v[10:11], a[4:7]
	v_mov_b32_e32 v6, 0
	v_mov_b32_e32 v7, 0
	;; [unrolled: 1-line block ×10, first 2 shown]
	s_cbranch_vccnz .LBB320_12
; %bb.11:                               ;   in Loop: Header=BB320_6 Depth=1
	s_and_b32 s21, s21, 0xffff
	buffer_load_dwordx4 v[14:17], v50, s[20:23], 0 offen
	buffer_load_dwordx4 v[10:13], v50, s[20:23], s54 offen
	;; [unrolled: 1-line block ×4, first 2 shown]
	v_mov_b32_e32 v101, v52
	v_mov_b32_e32 v100, v53
.LBB320_12:                             ;   in Loop: Header=BB320_6 Depth=1
	s_waitcnt vmcnt(4)
	ds_read_b64 v[22:23], v74 offset:32768
	s_waitcnt vmcnt(2)
	ds_read2_b64 v[18:21], v80 offset1:16
	ds_read_b64 v[26:27], v76 offset:32768
	ds_read_b64 v[28:29], v78 offset:32768
	;; [unrolled: 1-line block ×3, first 2 shown]
	v_add_u32_e32 v103, s55, v91
	s_waitcnt lgkmcnt(3)
	v_mfma_f32_16x16x16_bf16 a[0:3], v[22:23], v[18:19], a[0:3]
	v_mfma_f32_16x16x16_bf16 a[4:7], v[22:23], v[20:21], a[4:7]
	ds_read2st64_b64 v[18:21], v80 offset0:2 offset1:4
	ds_read2st64_b64 v[22:25], v81 offset0:2 offset1:4
	s_waitcnt lgkmcnt(1)
	v_mfma_f32_16x16x16_bf16 a[0:3], v[26:27], v[18:19], a[0:3]
	ds_read_b64 v[18:19], v80 offset:3072
	ds_read_b64 v[32:33], v81 offset:3072
	s_waitcnt lgkmcnt(2)
	v_mfma_f32_16x16x16_bf16 a[4:7], v[26:27], v[22:23], a[4:7]
	v_ashrrev_i32_e32 v22, 31, v103
	v_mul_lo_u32 v23, v103, s29
	v_mul_lo_u32 v22, v22, s28
	v_mfma_f32_16x16x16_bf16 a[0:3], v[28:29], v[20:21], a[0:3]
	v_mad_u64_u32 v[20:21], s[20:21], v103, s28, 0
	v_add3_u32 v21, v21, v23, v22
	v_lshl_add_u64 v[20:21], v[20:21], 2, s[38:39]
	global_load_dword v26, v[20:21], off
	v_add_u32_e32 v20, 1, v103
	v_ashrrev_i32_e32 v21, 31, v20
	s_waitcnt lgkmcnt(1)
	v_mfma_f32_16x16x16_bf16 a[0:3], v[30:31], v[18:19], a[0:3]
	v_mul_lo_u32 v21, v21, s28
	v_mul_lo_u32 v22, v20, s29
	v_mad_u64_u32 v[18:19], s[20:21], v20, s28, 0
	v_add_u32_e32 v20, 2, v103
	v_add3_u32 v19, v19, v22, v21
	v_ashrrev_i32_e32 v21, 31, v20
	v_mul_lo_u32 v22, v21, s28
	v_mul_lo_u32 v23, v20, s29
	v_mad_u64_u32 v[20:21], s[20:21], v20, s28, 0
	v_add3_u32 v21, v21, v23, v22
	v_add_u32_e32 v22, 3, v103
	v_ashrrev_i32_e32 v23, 31, v22
	v_mfma_f32_16x16x16_bf16 a[4:7], v[28:29], v[24:25], a[4:7]
	v_mul_lo_u32 v24, v23, s28
	v_mul_lo_u32 v25, v22, s29
	v_mad_u64_u32 v[22:23], s[20:21], v22, s28, 0
	s_add_u32 s20, s2, s55
	s_addc_u32 s21, s3, 0
	s_lshl_b64 s[20:21], s[20:21], 8
	v_add3_u32 v23, v23, v25, v24
	v_lshl_add_u64 v[24:25], v[36:37], 0, s[20:21]
	v_lshl_add_u64 v[18:19], v[18:19], 2, s[38:39]
	;; [unrolled: 1-line block ×4, first 2 shown]
	global_load_ushort v28, v[24:25], off
	global_load_ushort v27, v[24:25], off offset:256
	global_load_ushort v103, v[24:25], off offset:800
	;; [unrolled: 1-line block ×7, first 2 shown]
	v_lshl_add_u64 v[22:23], v[22:23], 2, s[38:39]
	global_load_dword v108, v[18:19], off
	global_load_dword v109, v[20:21], off
	;; [unrolled: 1-line block ×3, first 2 shown]
	s_load_dword s20, s[40:41], 0x0
	s_waitcnt lgkmcnt(0)
	v_mfma_f32_16x16x16_bf16 a[4:7], v[30:31], v[32:33], a[4:7]
	v_accvgpr_read_b32 v23, a1
	v_accvgpr_read_b32 v19, a3
	;; [unrolled: 1-line block ×4, first 2 shown]
	s_and_b64 vcc, exec, s[0:1]
	s_waitcnt vmcnt(11)
	v_sub_f32_e32 v32, s20, v26
	v_exp_f32_e32 v32, v32
	v_accvgpr_read_b32 v25, a5
	v_accvgpr_read_b32 v24, a4
	;; [unrolled: 1-line block ×4, first 2 shown]
	s_waitcnt vmcnt(10)
	v_lshlrev_b32_e32 v26, 16, v28
	s_waitcnt vmcnt(9)
	v_lshlrev_b32_e32 v27, 16, v27
	v_pk_add_f32 v[22:23], v[26:27], v[22:23] neg_lo:[0,1] neg_hi:[0,1]
	s_waitcnt vmcnt(7)
	v_lshlrev_b32_e32 v29, 16, v29
	v_mov_b32_e32 v26, 0
	s_waitcnt vmcnt(5)
	v_lshlrev_b32_e32 v28, 16, v104
	s_waitcnt vmcnt(4)
	v_lshlrev_b32_e32 v31, 16, v105
	s_waitcnt vmcnt(2)
	v_sub_f32_e32 v33, s20, v108
	s_waitcnt vmcnt(1)
	v_sub_f32_e32 v104, s20, v109
	;; [unrolled: 2-line block ×3, first 2 shown]
	v_exp_f32_e32 v33, v33
	v_exp_f32_e32 v104, v104
	;; [unrolled: 1-line block ×3, first 2 shown]
	v_pk_add_f32 v[18:19], v[28:29], v[18:19] neg_lo:[0,1] neg_hi:[0,1]
	v_lshlrev_b32_e32 v30, 16, v107
	v_pk_mul_f32 v[22:23], v[32:33], v[22:23]
	v_pk_mul_f32 v[18:19], v[104:105], v[18:19]
	v_mov_b32_e32 v27, 0
	v_perm_b32 v19, v19, v18, s31
	v_perm_b32 v18, v23, v22, s31
	v_pk_add_f32 v[22:23], v[30:31], v[24:25] neg_lo:[0,1] neg_hi:[0,1]
	v_lshlrev_b32_e32 v25, 16, v103
	v_lshlrev_b32_e32 v24, 16, v106
	v_pk_add_f32 v[20:21], v[24:25], v[20:21] neg_lo:[0,1] neg_hi:[0,1]
	v_pk_mul_f32 v[22:23], v[32:33], v[22:23]
	v_pk_mul_f32 v[20:21], v[104:105], v[20:21]
	v_mov_b32_e32 v103, 0
	v_perm_b32 v21, v21, v20, s31
	v_perm_b32 v20, v23, v22, s31
	ds_write2_b64 v55, v[18:19], v[20:21] offset1:16
	v_mov_b32_e32 v18, 0
	v_mov_b32_e32 v19, 0
	;; [unrolled: 1-line block ×14, first 2 shown]
	s_cbranch_vccnz .LBB320_14
; %bb.13:                               ;   in Loop: Header=BB320_6 Depth=1
	s_and_b32 s25, s25, 0xffff
	s_mov_b32 s27, s23
	buffer_load_dwordx4 v[30:33], v89, s[24:27], 0 offen
	buffer_load_dwordx4 v[22:25], v89, s[24:27], s54 offen
	;; [unrolled: 1-line block ×4, first 2 shown]
	v_mov_b32_e32 v102, v49
	v_mov_b32_e32 v103, v48
.LBB320_14:                             ;   in Loop: Header=BB320_6 Depth=1
	s_waitcnt lgkmcnt(0)
	s_barrier
	ds_read_b64 v[108:109], v92
	ds_read_b64 v[116:117], v85
	;; [unrolled: 1-line block ×5, first 2 shown]
	ds_read_b64 v[122:123], v86 offset:16384
	ds_read_b64 v[124:125], v84 offset:16384
	ds_read2_b64 v[104:107], v80 offset0:16 offset1:128
	s_waitcnt lgkmcnt(6)
	v_mfma_f32_16x16x16_bf16 a[0:3], v[108:109], v[116:117], 0
	ds_read_b64 v[126:127], v81 offset:3072
	ds_read_b64 v[128:129], v88 offset:16384
	s_add_i32 s21, s48, s61
	s_waitcnt lgkmcnt(2)
	v_mfma_f32_16x16x16_bf16 a[4:7], v[108:109], v[104:105], 0
	ds_read2st64_b64 v[108:111], v81 offset0:2 offset1:4
	s_mul_hi_i32 s25, s21, s13
	s_mul_i32 s21, s21, s13
	v_mfma_f32_16x16x16_bf16 a[0:3], v[112:113], v[106:107], a[0:3]
	s_add_u32 s24, s21, s33
	s_addc_u32 s25, s25, s52
	s_lshl_b64 s[24:25], s[24:25], 15
	s_waitcnt lgkmcnt(0)
	v_mfma_f32_16x16x16_bf16 a[4:7], v[112:113], v[108:109], a[4:7]
	ds_read2st64_b64 v[112:115], v80 offset0:4 offset1:6
	s_waitcnt lgkmcnt(0)
	v_mfma_f32_16x16x16_bf16 a[0:3], v[118:119], v[112:113], a[0:3]
	v_mfma_f32_16x16x16_bf16 a[8:11], v[118:119], v[110:111], a[4:7]
	;; [unrolled: 1-line block ×5, first 2 shown]
	ds_read2st64_b64 v[116:119], v83 offset1:8
	v_mfma_f32_16x16x16_bf16 a[12:15], v[124:125], v[104:105], 0
	ds_read_b64 v[124:125], v87 offset:16384
	v_mfma_f32_16x16x16_bf16 a[8:11], v[122:123], v[106:107], a[8:11]
	ds_read2st64_b64 v[104:107], v82 offset1:8
	s_waitcnt lgkmcnt(0)
	v_mov_b32_e32 v120, v104
	v_mfma_f32_16x16x16_bf16 a[12:15], v[122:123], v[108:109], a[12:15]
	v_lshl_add_u64 v[108:109], v[38:39], 0, s[24:25]
	v_add_co_u32_e32 v104, vcc, s35, v108
	v_mfma_f32_16x16x16_bf16 a[8:11], v[124:125], v[112:113], a[8:11]
	v_mov_b32_e32 v121, v105
	v_addc_co_u32_e32 v105, vcc, 0, v109, vcc
	v_mfma_f32_16x16x16_bf16 a[16:19], v[124:125], v[110:111], a[12:15]
	v_mov_b32_e32 v122, v116
	v_mov_b32_e32 v123, v117
	;; [unrolled: 1-line block ×3, first 2 shown]
	v_mfma_f32_16x16x16_bf16 a[12:15], v[128:129], v[114:115], a[8:11]
	v_mov_b32_e32 v117, v107
	s_and_b64 vcc, exec, s[0:1]
	global_store_dwordx4 v[108:109], v[120:123], off
	v_mfma_f32_16x16x16_bf16 a[8:11], v[128:129], v[126:127], a[16:19]
	global_store_dwordx4 v[104:105], v[116:119], off
	s_cbranch_vccnz .LBB320_16
; %bb.15:                               ;   in Loop: Header=BB320_6 Depth=1
	v_lshrrev_b32_e32 v104, 3, v102
	v_and_b32_e32 v104, 6, v104
	v_xor_b32_e32 v103, v104, v103
	v_lshlrev_b32_e32 v103, 2, v103
	v_and_b32_e32 v102, 8, v102
	v_xor_b32_e32 v105, 0x440, v103
	v_cmp_eq_u32_e32 vcc, 0, v102
	s_barrier
	s_nop 0
	v_cndmask_b32_e32 v102, v105, v103, vcc
	v_lshl_or_b32 v102, v104, 10, v102
	s_waitcnt vmcnt(3)
	v_perm_b32 v103, v30, v26, s56
	s_waitcnt vmcnt(2)
	v_perm_b32 v104, v22, v18, s56
	ds_write2st64_b32 v102, v103, v104 offset0:32 offset1:64
	v_xor_b32_e32 v103, 8, v102
	v_perm_b32 v26, v30, v26, s57
	v_perm_b32 v18, v22, v18, s57
	v_add_u32_e32 v22, 0x80, v103
	ds_write2st64_b32 v22, v26, v18 offset0:32 offset1:64
	v_xor_b32_e32 v18, 16, v102
	v_perm_b32 v22, v31, v27, s56
	v_perm_b32 v26, v23, v19, s56
	ds_write2st64_b32 v18, v22, v26 offset0:33 offset1:65
	v_xor_b32_e32 v18, 24, v102
	v_perm_b32 v22, v31, v27, s57
	v_perm_b32 v19, v23, v19, s57
	v_add_u32_e32 v18, 0x80, v18
	ds_write2st64_b32 v18, v22, v19 offset0:33 offset1:65
	v_xor_b32_e32 v18, 32, v102
	v_perm_b32 v19, v32, v28, s56
	;; [unrolled: 9-line block ×3, first 2 shown]
	v_perm_b32 v20, v25, v21, s56
	ds_write2st64_b32 v18, v19, v20 offset0:35 offset1:67
	v_xor_b32_e32 v18, 56, v102
	v_perm_b32 v19, v33, v29, s57
	v_perm_b32 v20, v25, v21, s57
	v_add_u32_e32 v18, 0x80, v18
	ds_write2st64_b32 v18, v19, v20 offset0:35 offset1:67
	ds_write_b64 v101, v[14:15] offset:24576
	v_xor_b32_e32 v14, 8, v101
	ds_write_b64 v14, v[16:17] offset:24576
	ds_write_b64 v101, v[10:11] offset:32768
	;; [unrolled: 1-line block ×4, first 2 shown]
	v_xor_b32_e32 v6, 8, v100
	ds_write_b64 v6, v[8:9] offset:24576
	ds_write_b64 v100, v[2:3] offset:32768
	;; [unrolled: 1-line block ×3, first 2 shown]
.LBB320_16:                             ;   in Loop: Header=BB320_6 Depth=1
	v_exp_f32_e32 v2, s20
	v_accvgpr_read_b32 v3, a4
	v_accvgpr_read_b32 v4, a5
	;; [unrolled: 1-line block ×3, first 2 shown]
	v_fma_f32 v72, v72, v2, v3
	v_accvgpr_read_b32 v3, a6
	v_fma_f32 v73, v73, v2, v3
	v_accvgpr_read_b32 v3, a0
	;; [unrolled: 2-line block ×11, first 2 shown]
	v_accvgpr_read_b32 v6, a15
	v_fma_f32 v62, v62, v2, v3
	v_accvgpr_read_b32 v3, a11
	s_add_i32 s55, s55, 64
	v_fmac_f32_e32 v5, v98, v2
	v_fmac_f32_e32 v4, v99, v2
	;; [unrolled: 1-line block ×3, first 2 shown]
	s_cmp_eq_u32 s46, s60
	v_fmac_f32_e32 v3, v97, v2
	s_cbranch_scc1 .LBB320_18
; %bb.17:                               ;   in Loop: Header=BB320_6 Depth=1
	s_mov_b32 s61, s60
	v_mov_b32_e32 v98, v5
	v_mov_b32_e32 v96, v6
	;; [unrolled: 1-line block ×4, first 2 shown]
	s_branch .LBB320_6
.LBB320_18:
	s_lshl_b32 s40, s46, 6
	s_sub_i32 s41, s12, s40
	s_cmp_gt_i32 s41, 0
	s_cbranch_scc0 .LBB320_83
; %bb.19:
	s_ashr_i32 s35, s45, 31
	s_ashr_i32 s2, s40, 31
	s_cmpk_lg_i32 s15, 0x80
	s_cselect_b64 s[26:27], -1, 0
	s_and_b64 vcc, exec, s[26:27]
	s_cbranch_vccz .LBB320_21
; %bb.20:
	s_mul_i32 s1, s45, s12
	s_mul_hi_i32 s0, s45, s12
	s_add_u32 s1, s1, s40
	s_addc_u32 s0, s0, s2
	s_mul_i32 s3, s1, s47
	s_mul_hi_u32 s20, s1, s14
	s_add_i32 s3, s20, s3
	s_mul_i32 s0, s0, s14
	s_add_i32 s3, s3, s0
	s_mul_i32 s1, s1, s14
	s_ashr_i32 s0, s50, 31
	s_add_u32 s38, s1, s50
	s_addc_u32 s39, s3, s0
	s_cbranch_execz .LBB320_22
	s_branch .LBB320_23
.LBB320_21:
                                        ; implicit-def: $sgpr38_sgpr39
.LBB320_22:
	s_mul_hi_i32 s0, s45, s14
	s_mul_i32 s45, s45, s14
	s_ashr_i32 s1, s50, 31
	s_add_u32 s3, s45, s50
	s_addc_u32 s0, s0, s1
	s_mul_i32 s1, s3, s44
	s_mul_hi_u32 s14, s3, s12
	s_add_i32 s1, s14, s1
	s_mul_i32 s0, s0, s12
	s_add_i32 s1, s1, s0
	s_mul_i32 s3, s3, s12
	s_add_u32 s38, s3, s40
	s_addc_u32 s39, s1, s2
.LBB320_23:
	s_add_i32 s3, s48, s46
	s_ashr_i32 s14, s33, 31
	s_add_u32 s0, s43, s33
	s_addc_u32 s1, s49, s14
	s_mul_i32 s20, s0, s44
	s_mul_hi_u32 s21, s0, s12
	s_add_i32 s20, s21, s20
	s_mul_i32 s1, s1, s12
	s_add_i32 s20, s20, s1
	s_mul_i32 s0, s0, s12
	s_add_u32 s0, s0, s40
	s_addc_u32 s1, s20, s2
	v_lshlrev_b32_e32 v10, 5, v46
	s_waitcnt vmcnt(4)
	v_lshlrev_b32_e32 v22, 2, v40
	s_mov_b32 s2, 0x7060302
	v_xor_b32_e32 v2, v46, v22
	v_perm_b32 v9, v5, v73, s2
	v_or_b32_e32 v5, v10, v22
	v_perm_b32 v8, v71, v72, s2
	v_perm_b32 v7, v6, v70, s2
	;; [unrolled: 1-line block ×3, first 2 shown]
	v_lshlrev_b32_e32 v5, 1, v5
	v_lshlrev_b32_e32 v12, 1, v2
	;; [unrolled: 1-line block ×3, first 2 shown]
	s_lshl_b64 s[24:25], s[0:1], 8
	v_xor_b32_e32 v11, v47, v22
	ds_write2st64_b64 v5, v[8:9], v[6:7] offset0:80 offset1:88
	v_or_b32_e32 v5, v12, v2
	s_add_u32 s0, s6, s24
	ds_write_b64 v5, v[8:9]
	v_lshlrev_b32_e32 v8, 1, v11
	s_addc_u32 s1, s7, s25
	v_or_b32_e32 v2, v8, v2
	s_mul_hi_i32 s6, s3, s13
	s_mul_i32 s3, s3, s13
	ds_write_b64 v2, v[6:7]
	v_perm_b32 v5, v4, v65, s2
	v_perm_b32 v4, v63, v64, s2
	;; [unrolled: 1-line block ×4, first 2 shown]
	v_or_b32_e32 v6, 16, v40
	s_add_u32 s2, s3, s33
	s_waitcnt vmcnt(2)
	v_lshlrev_b32_e32 v19, 2, v6
	s_addc_u32 s3, s6, s14
	v_or_b32_e32 v7, v10, v19
	s_ashr_i32 s31, s30, 31
	s_lshl_b64 s[2:3], s[2:3], 15
	v_lshlrev_b32_e32 v7, 1, v7
	v_lshlrev_b32_e32 v6, 8, v6
	s_add_u32 s6, s36, s2
	ds_write2st64_b64 v7, v[4:5], v[2:3] offset0:80 offset1:88
	v_or_b32_e32 v7, v12, v6
	s_addc_u32 s7, s37, s3
	s_lshl_b64 s[2:3], s[30:31], 8
	ds_write_b64 v7, v[4:5]
	v_or_b32_e32 v4, v8, v6
	s_add_u32 s2, s6, s2
	ds_write_b64 v4, v[2:3]
	v_lshrrev_b32_e32 v2, 4, v0
	s_addc_u32 s3, s7, s3
	v_lshlrev_b32_e32 v3, 1, v40
	v_lshlrev_b32_e32 v10, 4, v40
	v_mov_b32_e32 v11, 0
	v_or_b32_e32 v4, 1, v3
	v_xor_b32_e32 v3, v2, v3
	v_lshl_add_u64 v[12:13], s[2:3], 0, v[10:11]
	v_lshlrev_b32_e32 v10, 8, v2
	v_xor_b32_e32 v6, v4, v2
	v_lshl_or_b32 v2, v3, 3, v10
	s_waitcnt lgkmcnt(0)
	s_barrier
	ds_read2st64_b64 v[2:5], v2 offset1:8
	v_lshl_or_b32 v6, v6, 3, v10
	ds_read2st64_b64 v[6:9], v6 offset1:8
	v_lshl_add_u64 v[14:15], v[12:13], 0, v[10:11]
	s_movk_i32 s2, 0x1000
	s_waitcnt lgkmcnt(1)
	v_mov_b32_e32 v10, v2
	v_add_co_u32_e32 v2, vcc, s2, v14
	s_cmp_lg_u32 s41, 64
	v_mov_b32_e32 v11, v3
	v_addc_co_u32_e32 v3, vcc, 0, v15, vcc
	s_cselect_b64 s[6:7], -1, 0
	v_lshl_or_b32 v23, v42, 3, v45
	s_waitcnt lgkmcnt(0)
	v_mov_b32_e32 v12, v6
	v_mov_b32_e32 v13, v7
	;; [unrolled: 1-line block ×4, first 2 shown]
	s_mov_b32 s20, 0
	v_or_b32_e32 v20, 32, v23
	v_and_b32_e32 v18, 56, v44
	s_and_b64 vcc, exec, s[6:7]
	global_store_dwordx4 v[14:15], v[10:13], off
	global_store_dwordx4 v[2:3], v[6:9], off
	s_cbranch_vccz .LBB320_29
; %bb.24:
	s_mov_b32 s21, s20
	s_mov_b32 s22, s20
	;; [unrolled: 1-line block ×3, first 2 shown]
	v_mov_b64_e32 v[6:7], s[20:21]
	v_mov_b64_e32 v[8:9], s[22:23]
	;; [unrolled: 1-line block ×3, first 2 shown]
	v_cmp_gt_i32_e32 vcc, s41, v23
	v_mov_b64_e32 v[4:5], v[8:9]
	s_and_saveexec_b64 s[2:3], vcc
	s_cbranch_execz .LBB320_26
; %bb.25:
	v_lshlrev_b32_e32 v2, 8, v23
	v_mov_b32_e32 v3, 0
	v_lshl_add_u64 v[4:5], s[0:1], 0, v[2:3]
	v_lshlrev_b32_e32 v2, 1, v18
	v_lshl_add_u64 v[10:11], v[4:5], 0, v[2:3]
	global_load_dwordx4 v[6:9], v[10:11], off
	global_load_dwordx4 v[2:5], v[10:11], off offset:128
.LBB320_26:
	s_or_b64 exec, exec, s[2:3]
	s_mov_b32 s21, s20
	s_mov_b32 s22, s20
	;; [unrolled: 1-line block ×3, first 2 shown]
	v_mov_b64_e32 v[14:15], s[20:21]
	v_mov_b64_e32 v[16:17], s[22:23]
	;; [unrolled: 1-line block ×3, first 2 shown]
	v_cmp_gt_i32_e32 vcc, s41, v20
	v_lshlrev_b32_e32 v21, 7, v20
	v_mov_b64_e32 v[12:13], v[16:17]
	s_and_saveexec_b64 s[2:3], vcc
	s_cbranch_execz .LBB320_28
; %bb.27:
	v_lshlrev_b32_e32 v10, 1, v21
	v_mov_b32_e32 v11, 0
	v_lshl_add_u64 v[12:13], s[0:1], 0, v[10:11]
	v_lshlrev_b32_e32 v10, 1, v18
	v_lshl_add_u64 v[24:25], v[12:13], 0, v[10:11]
	global_load_dwordx4 v[14:17], v[24:25], off
	global_load_dwordx4 v[10:13], v[24:25], off offset:128
.LBB320_28:
	s_or_b64 exec, exec, s[2:3]
	v_lshrrev_b32_e32 v24, 3, v18
	v_lshlrev_b32_e32 v25, 3, v23
	v_or_b32_e32 v24, v25, v24
	v_lshlrev_b32_e32 v24, 4, v24
	v_and_b32_e32 v25, 0x78, v25
	v_xor_b32_e32 v24, v24, v25
	s_branch .LBB320_31
.LBB320_29:
                                        ; implicit-def: $vgpr24
                                        ; implicit-def: $vgpr21
                                        ; implicit-def: $vgpr6_vgpr7_vgpr8_vgpr9
                                        ; implicit-def: $vgpr2_vgpr3_vgpr4_vgpr5
                                        ; implicit-def: $vgpr14_vgpr15_vgpr16_vgpr17
                                        ; implicit-def: $vgpr10_vgpr11_vgpr12_vgpr13
	s_cbranch_execz .LBB320_31
; %bb.30:
	s_waitcnt vmcnt(0)
	v_lshlrev_b32_e32 v2, 1, v18
	v_lshl_or_b32 v21, v23, 8, v2
	s_and_b32 s1, s1, 0xffff
	s_mov_b32 s3, 0x20000
	s_movk_i32 s2, 0x4000
	v_lshl_or_b32 v24, v20, 8, v2
	s_movk_i32 s13, 0x80
	buffer_load_dwordx4 v[6:9], v21, s[0:3], 0 offen
	buffer_load_dwordx4 v[2:5], v21, s[0:3], s13 offen
	;; [unrolled: 1-line block ×4, first 2 shown]
	v_lshrrev_b32_e32 v21, 3, v18
	v_lshlrev_b32_e32 v24, 3, v23
	v_or_b32_e32 v21, v24, v21
	v_lshlrev_b32_e32 v21, 4, v21
	v_and_b32_e32 v24, 0x78, v24
	v_xor_b32_e32 v24, v21, v24
	v_lshlrev_b32_e32 v21, 7, v20
.LBB320_31:
	s_lshl_b64 s[0:1], s[38:39], 8
	s_add_u32 s4, s4, s0
	s_movk_i32 s0, 0x1000
	v_and_or_b32 v20, v21, s0, v24
	s_waitcnt vmcnt(1)
	ds_write_b64 v24, v[6:7] offset:24576
	v_xor_b32_e32 v6, 8, v24
	ds_write_b64 v6, v[8:9] offset:24576
	s_waitcnt vmcnt(0)
	ds_write_b64 v24, v[2:3] offset:32768
	ds_write_b64 v6, v[4:5] offset:32768
	;; [unrolled: 1-line block ×3, first 2 shown]
	v_xor_b32_e32 v2, 8, v20
	ds_write_b64 v2, v[16:17] offset:24576
	ds_write_b64 v20, v[10:11] offset:32768
	;; [unrolled: 1-line block ×3, first 2 shown]
	v_or_b32_e32 v2, v1, v40
	v_lshlrev_b32_e32 v3, 11, v42
	v_lshlrev_b32_e32 v2, 3, v2
	v_and_b32_e32 v6, 0x1000, v3
	v_lshrrev_b32_e32 v3, 5, v41
	s_movk_i32 s13, 0xf8
	v_and_or_b32 v3, v2, s13, v3
	v_lshlrev_b32_e32 v7, 4, v3
	v_and_b32_e32 v8, 0x78, v2
	v_or_b32_e32 v10, 32, v7
	v_lshrrev_b32_e32 v3, 1, v41
	v_xor_b32_e32 v10, v10, v8
	v_xor_b32_e32 v2, v7, v8
	v_and_b32_e32 v9, 8, v3
	v_or_b32_e32 v10, v10, v6
	v_or_b32_e32 v2, v2, v6
	v_xor_b32_e32 v26, v10, v9
	v_or_b32_e32 v10, 64, v7
	v_xor_b32_e32 v25, v2, v9
	v_xor_b32_e32 v10, v10, v8
	s_waitcnt lgkmcnt(0)
	s_barrier
	v_or_b32_e32 v12, v10, v6
	ds_read_b64 v[10:11], v25 offset:24576
	v_lshl_or_b32 v20, v43, 7, v22
	v_lshlrev_b32_e32 v24, 1, v20
	v_add_u32_e32 v2, 0xa000, v24
	ds_read2_b64 v[2:5], v2 offset1:16
	v_or_b32_e32 v7, 0x60, v7
	v_xor_b32_e32 v7, v7, v8
	s_waitcnt lgkmcnt(0)
	v_mfma_f32_16x16x16_bf16 a[0:3], v[10:11], v[2:3], 0
	v_or_b32_e32 v2, 64, v20
	v_or_b32_e32 v6, v7, v6
	v_lshlrev_b32_e32 v29, 1, v2
	v_xor_b32_e32 v27, v12, v9
	v_xor_b32_e32 v28, v6, v9
	ds_read_b64 v[12:13], v26 offset:24576
	ds_read_b64 v[14:15], v27 offset:24576
	;; [unrolled: 1-line block ×3, first 2 shown]
	v_mfma_f32_16x16x16_bf16 a[4:7], v[10:11], v[4:5], 0
	ds_read2st64_b64 v[2:5], v29 offset0:82 offset1:84
	ds_read2st64_b64 v[6:9], v24 offset0:82 offset1:84
	s_addc_u32 s5, s5, s1
	s_add_i32 s2, s12, -1
	s_add_i32 s0, s42, s17
	s_mul_i32 s35, s35, s16
	s_add_i32 s35, s0, s35
	s_mul_i32 s0, s33, s19
	s_mul_hi_u32 s1, s33, s18
	s_ashr_i32 s3, s2, 31
	s_mul_i32 s12, s2, s29
	s_mul_hi_u32 s13, s2, s28
	s_add_i32 s0, s1, s0
	s_mul_i32 s1, s14, s18
	s_add_i32 s12, s13, s12
	s_mul_i32 s3, s3, s28
	s_waitcnt lgkmcnt(1)
	v_mfma_f32_16x16x16_bf16 a[4:7], v[12:13], v[2:3], a[4:7]
	s_add_i32 s1, s0, s1
	s_add_i32 s3, s12, s3
	s_lshl_b64 s[12:13], s[34:35], 2
	s_waitcnt lgkmcnt(0)
	v_mfma_f32_16x16x16_bf16 a[0:3], v[12:13], v[6:7], a[0:3]
	s_mul_i32 s0, s33, s18
	s_add_u32 s10, s10, s12
	s_addc_u32 s11, s11, s13
	s_lshl_b64 s[0:1], s[0:1], 2
	s_mul_i32 s2, s2, s28
	s_add_u32 s10, s10, s0
	ds_read_b64 v[2:3], v24 offset:44032
	v_mfma_f32_16x16x16_bf16 a[4:7], v[14:15], v[4:5], a[4:7]
	ds_read_b64 v[4:5], v29 offset:44032
	s_addc_u32 s11, s11, s1
	s_lshl_b64 s[0:1], s[2:3], 2
	v_mfma_f32_16x16x16_bf16 a[0:3], v[14:15], v[8:9], a[0:3]
	s_add_u32 s0, s10, s0
	s_addc_u32 s1, s11, s1
	s_load_dword s12, s[0:1], 0x0
	s_waitcnt lgkmcnt(0)
	v_mfma_f32_16x16x16_bf16 a[0:3], v[16:17], v[2:3], a[0:3]
	s_and_b64 vcc, exec, s[26:27]
	v_mfma_f32_16x16x16_bf16 a[4:7], v[16:17], v[4:5], a[4:7]
	s_cbranch_vccz .LBB320_42
; %bb.32:
	v_lshlrev_b32_e32 v20, 1, v23
	s_and_b64 vcc, exec, s[6:7]
	s_cbranch_vccz .LBB320_43
; %bb.33:
	v_cmp_gt_i32_e32 vcc, s41, v20
	v_mov_b32_e32 v6, 0
	v_mov_b32_e32 v2, 0
	;; [unrolled: 1-line block ×5, first 2 shown]
	s_and_saveexec_b64 s[0:1], vcc
	s_cbranch_execz .LBB320_35
; %bb.34:
	v_mad_i64_i32 v[2:3], s[2:3], s15, v20, 0
	v_lshl_add_u64 v[2:3], v[2:3], 1, s[4:5]
	v_lshlrev_b32_e32 v4, 1, v18
	v_mov_b32_e32 v5, 0
	v_lshl_add_u64 v[2:3], v[2:3], 0, v[4:5]
	global_load_dwordx4 v[2:5], v[2:3], off
.LBB320_35:
	s_or_b64 exec, exec, s[0:1]
	v_or_b32_e32 v21, 1, v20
	v_cmp_gt_i32_e64 s[0:1], s41, v21
	v_mov_b32_e32 v7, 0
	v_mov_b32_e32 v8, 0
	;; [unrolled: 1-line block ×3, first 2 shown]
	s_and_saveexec_b64 s[2:3], s[0:1]
	s_cbranch_execz .LBB320_37
; %bb.36:
	v_mad_i64_i32 v[6:7], s[16:17], s15, v21, 0
	v_lshl_add_u64 v[6:7], v[6:7], 1, s[4:5]
	v_lshlrev_b32_e32 v8, 1, v18
	v_mov_b32_e32 v9, 0
	v_lshl_add_u64 v[6:7], v[6:7], 0, v[8:9]
	global_load_dwordx4 v[6:9], v[6:7], off
.LBB320_37:
	s_or_b64 exec, exec, s[2:3]
	v_mov_b32_e32 v17, 0
	v_mov_b32_e32 v10, 0
	;; [unrolled: 1-line block ×5, first 2 shown]
	s_and_saveexec_b64 s[2:3], vcc
	s_cbranch_execz .LBB320_39
; %bb.38:
	v_mad_i64_i32 v[10:11], s[16:17], s15, v20, 0
	v_lshl_add_u64 v[10:11], v[10:11], 1, s[4:5]
	v_lshlrev_b32_e32 v12, 1, v18
	v_mov_b32_e32 v13, 0
	v_lshl_add_u64 v[10:11], v[10:11], 0, v[12:13]
	global_load_dwordx4 v[10:13], v[10:11], off offset:128
.LBB320_39:
	s_or_b64 exec, exec, s[2:3]
	v_mov_b32_e32 v16, 0
	v_mov_b32_e32 v15, 0
	;; [unrolled: 1-line block ×3, first 2 shown]
	s_and_saveexec_b64 s[2:3], s[0:1]
	s_cbranch_execz .LBB320_41
; %bb.40:
	v_mad_i64_i32 v[14:15], s[0:1], s15, v21, 0
	v_lshl_add_u64 v[14:15], v[14:15], 1, s[4:5]
	v_lshlrev_b32_e32 v16, 1, v18
	v_mov_b32_e32 v17, 0
	v_lshl_add_u64 v[14:15], v[14:15], 0, v[16:17]
	global_load_dwordx4 v[14:17], v[14:15], off offset:128
.LBB320_41:
	s_or_b64 exec, exec, s[2:3]
	s_branch .LBB320_45
.LBB320_42:
                                        ; implicit-def: $vgpr5
                                        ; implicit-def: $vgpr9
                                        ; implicit-def: $vgpr13
                                        ; implicit-def: $vgpr17
	v_lshrrev_b32_e32 v30, 2, v41
	s_branch .LBB320_46
.LBB320_43:
                                        ; implicit-def: $vgpr5
                                        ; implicit-def: $vgpr9
                                        ; implicit-def: $vgpr13
                                        ; implicit-def: $vgpr17
	s_cbranch_execz .LBB320_45
; %bb.44:
	s_waitcnt vmcnt(0)
	v_mad_u64_u32 v[2:3], s[0:1], v20, s15, v[18:19]
	v_lshlrev_b32_e32 v20, 1, v2
	s_lshl_b32 s2, s15, 7
	s_and_b32 s1, s5, 0xffff
	s_mov_b32 s3, 0x20000
	s_mov_b32 s0, s4
	v_add_lshl_u32 v21, v2, s15, 1
	s_movk_i32 s13, 0x80
	buffer_load_dwordx4 v[2:5], v20, s[0:3], 0 offen
	buffer_load_dwordx4 v[10:13], v20, s[0:3], s13 offen
	;; [unrolled: 1-line block ×4, first 2 shown]
.LBB320_45:
	v_lshrrev_b32_e32 v30, 2, v41
	s_cbranch_execnz .LBB320_58
.LBB320_46:
	s_and_b64 vcc, exec, s[6:7]
	s_cbranch_vccz .LBB320_56
; %bb.47:
	s_waitcnt vmcnt(0)
	v_lshlrev_b32_e32 v7, 1, v23
	v_cmp_gt_i32_e32 vcc, s41, v7
	v_mov_b32_e32 v6, 0
	v_lshlrev_b32_e32 v14, 9, v23
	v_mov_b32_e32 v2, 0
	v_mov_b32_e32 v3, 0
	;; [unrolled: 1-line block ×4, first 2 shown]
	s_and_saveexec_b64 s[0:1], vcc
	s_cbranch_execz .LBB320_49
; %bb.48:
	v_mov_b32_e32 v15, 0
	v_lshl_add_u64 v[2:3], s[4:5], 0, v[14:15]
	v_lshlrev_b32_e32 v4, 1, v18
	v_mov_b32_e32 v5, v15
	v_lshl_add_u64 v[2:3], v[2:3], 0, v[4:5]
	global_load_dwordx4 v[2:5], v[2:3], off
.LBB320_49:
	s_or_b64 exec, exec, s[0:1]
	v_or_b32_e32 v7, 1, v7
	v_cmp_gt_i32_e64 s[0:1], s41, v7
	v_lshlrev_b32_e32 v20, 8, v7
	v_mov_b32_e32 v7, 0
	v_mov_b32_e32 v8, 0
	;; [unrolled: 1-line block ×3, first 2 shown]
	s_and_saveexec_b64 s[2:3], s[0:1]
	s_cbranch_execz .LBB320_51
; %bb.50:
	v_mov_b32_e32 v21, 0
	v_lshl_add_u64 v[6:7], s[4:5], 0, v[20:21]
	v_lshlrev_b32_e32 v8, 1, v18
	v_mov_b32_e32 v9, v21
	v_lshl_add_u64 v[6:7], v[6:7], 0, v[8:9]
	global_load_dwordx4 v[6:9], v[6:7], off
.LBB320_51:
	s_or_b64 exec, exec, s[2:3]
	v_mov_b32_e32 v17, 0
	v_mov_b32_e32 v10, 0
	;; [unrolled: 1-line block ×5, first 2 shown]
	s_and_saveexec_b64 s[2:3], vcc
	s_cbranch_execz .LBB320_53
; %bb.52:
	v_mov_b32_e32 v15, 0
	v_lshl_add_u64 v[10:11], s[4:5], 0, v[14:15]
	v_lshlrev_b32_e32 v14, 1, v18
	v_lshl_add_u64 v[10:11], v[10:11], 0, v[14:15]
	global_load_dwordx4 v[10:13], v[10:11], off offset:128
.LBB320_53:
	s_or_b64 exec, exec, s[2:3]
	v_mov_b32_e32 v16, 0
	v_mov_b32_e32 v15, 0
	;; [unrolled: 1-line block ×3, first 2 shown]
	s_and_saveexec_b64 s[2:3], s[0:1]
	s_cbranch_execz .LBB320_55
; %bb.54:
	v_mov_b32_e32 v21, 0
	v_lshl_add_u64 v[14:15], s[4:5], 0, v[20:21]
	v_lshlrev_b32_e32 v20, 1, v18
	v_lshl_add_u64 v[14:15], v[14:15], 0, v[20:21]
	global_load_dwordx4 v[14:17], v[14:15], off offset:128
.LBB320_55:
	s_or_b64 exec, exec, s[2:3]
	s_branch .LBB320_58
.LBB320_56:
                                        ; implicit-def: $vgpr5
                                        ; implicit-def: $vgpr9
                                        ; implicit-def: $vgpr13
                                        ; implicit-def: $vgpr17
	s_cbranch_execz .LBB320_58
; %bb.57:
	s_waitcnt vmcnt(0)
	v_lshlrev_b32_e32 v2, 1, v18
	v_lshl_or_b32 v18, v23, 9, v2
	s_and_b32 s5, s5, 0xffff
	s_mov_b32 s7, 0x20000
	s_movk_i32 s6, 0x4000
	s_movk_i32 s0, 0x80
	buffer_load_dwordx4 v[2:5], v18, s[4:7], 0 offen
	buffer_load_dwordx4 v[6:9], v18, s[4:7], 0 offen offset:256
	buffer_load_dwordx4 v[10:13], v18, s[4:7], s0 offen
	buffer_load_dwordx4 v[14:17], v18, s[4:7], s0 offen offset:256
.LBB320_58:
	ds_read_b64 v[20:21], v25 offset:32768
	v_add_u32_e32 v18, 0xb000, v24
	ds_read2_b64 v[32:35], v18 offset1:16
	ds_read_b64 v[42:43], v26 offset:32768
	ds_read_b64 v[26:27], v27 offset:32768
	;; [unrolled: 1-line block ×3, first 2 shown]
	v_and_b32_e32 v18, 6, v0
	v_xor_b32_e32 v23, v23, v18
	v_lshlrev_b32_e32 v23, 2, v23
	v_and_b32_e32 v0, 1, v0
	v_xor_b32_e32 v28, 0x440, v23
	v_cmp_eq_u32_e32 vcc, 0, v0
	s_waitcnt lgkmcnt(3)
	v_mfma_f32_16x16x16_bf16 a[0:3], v[20:21], v[32:33], a[0:3]
	s_mov_b32 s0, 0x1000504
	v_cndmask_b32_e32 v0, v28, v23, vcc
	v_lshl_or_b32 v0, v18, 10, v0
	v_mfma_f32_16x16x16_bf16 a[4:7], v[20:21], v[34:35], a[4:7]
	ds_read2st64_b64 v[32:35], v24 offset0:90 offset1:92
	ds_read2st64_b64 v[36:39], v29 offset0:90 offset1:92
	ds_read_b64 v[20:21], v24 offset:48128
	ds_read_b64 v[24:25], v29 offset:48128
	s_waitcnt vmcnt(0)
	v_perm_b32 v18, v2, v6, s0
	s_waitcnt lgkmcnt(3)
	v_mfma_f32_16x16x16_bf16 a[0:3], v[42:43], v[32:33], a[0:3]
	s_mov_b32 s1, 0x3020706
	v_perm_b32 v2, v2, v6, s1
	v_perm_b32 v6, v10, v14, s1
	s_waitcnt lgkmcnt(2)
	v_mfma_f32_16x16x16_bf16 a[4:7], v[42:43], v[36:37], a[4:7]
	v_mfma_f32_16x16x16_bf16 a[0:3], v[26:27], v[34:35], a[0:3]
	;; [unrolled: 1-line block ×3, first 2 shown]
	s_waitcnt lgkmcnt(1)
	v_mfma_f32_16x16x16_bf16 a[4:7], v[44:45], v[20:21], a[0:3]
	v_perm_b32 v20, v10, v14, s0
	ds_write2st64_b32 v0, v18, v20 offset0:32 offset1:64
	v_xor_b32_e32 v18, 8, v0
	v_add_u32_e32 v10, 0x80, v18
	ds_write2st64_b32 v10, v2, v6 offset0:32 offset1:64
	v_xor_b32_e32 v2, 16, v0
	v_perm_b32 v6, v3, v7, s0
	v_perm_b32 v10, v11, v15, s0
	ds_write2st64_b32 v2, v6, v10 offset0:33 offset1:65
	v_xor_b32_e32 v2, 24, v0
	v_perm_b32 v3, v3, v7, s1
	v_perm_b32 v6, v11, v15, s1
	v_add_u32_e32 v2, 0x80, v2
	ds_write2st64_b32 v2, v3, v6 offset0:33 offset1:65
	v_xor_b32_e32 v2, 32, v0
	v_perm_b32 v3, v4, v8, s0
	v_perm_b32 v6, v12, v16, s0
	s_waitcnt lgkmcnt(4)
	v_mfma_f32_16x16x16_bf16 a[0:3], v[44:45], v[24:25], a[8:11]
	ds_write2st64_b32 v2, v3, v6 offset0:34 offset1:66
	v_xor_b32_e32 v2, 40, v0
	v_perm_b32 v3, v4, v8, s1
	v_perm_b32 v4, v12, v16, s1
	v_add_u32_e32 v2, 0x80, v2
	ds_write2st64_b32 v2, v3, v4 offset0:34 offset1:66
	v_xor_b32_e32 v2, 48, v0
	v_perm_b32 v3, v5, v9, s0
	v_perm_b32 v4, v13, v17, s0
	v_xor_b32_e32 v0, 56, v0
	v_and_or_b32 v18, v30, 12, v1
	ds_write2st64_b32 v2, v3, v4 offset0:35 offset1:67
	v_perm_b32 v2, v5, v9, s1
	v_perm_b32 v3, v13, v17, s1
	v_add_u32_e32 v0, 0x80, v0
	v_cmp_gt_i32_e32 vcc, s41, v18
	v_mov_b32_e32 v14, 0
	v_mov_b32_e32 v16, 0
	ds_write2st64_b32 v0, v2, v3 offset0:35 offset1:67
	s_and_saveexec_b64 s[0:1], vcc
	s_cbranch_execz .LBB320_60
; %bb.59:
	v_add_u32_e32 v0, s40, v18
	v_ashrrev_i32_e32 v1, 31, v0
	v_mul_lo_u32 v2, v1, s28
	v_mul_lo_u32 v3, v0, s29
	v_mad_u64_u32 v[0:1], s[2:3], v0, s28, 0
	v_add3_u32 v1, v1, v3, v2
	v_lshl_add_u64 v[0:1], v[0:1], 2, s[10:11]
	global_load_dword v0, v[0:1], off
	s_waitcnt vmcnt(0)
	v_sub_f32_e32 v0, s12, v0
	v_exp_f32_e32 v16, v0
.LBB320_60:
	s_or_b64 exec, exec, s[0:1]
	v_or_b32_e32 v8, 1, v18
	v_cmp_gt_i32_e64 s[0:1], s41, v8
	s_and_saveexec_b64 s[2:3], s[0:1]
	s_cbranch_execz .LBB320_62
; %bb.61:
	v_add_u32_e32 v0, s40, v8
	v_ashrrev_i32_e32 v1, 31, v0
	v_mul_lo_u32 v2, v1, s28
	v_mul_lo_u32 v3, v0, s29
	v_mad_u64_u32 v[0:1], s[4:5], v0, s28, 0
	v_add3_u32 v1, v1, v3, v2
	v_lshl_add_u64 v[0:1], v[0:1], 2, s[10:11]
	global_load_dword v0, v[0:1], off
	s_waitcnt vmcnt(0)
	v_sub_f32_e32 v0, s12, v0
	v_exp_f32_e32 v14, v0
.LBB320_62:
	s_or_b64 exec, exec, s[2:3]
	v_or_b32_e32 v10, 2, v18
	v_cmp_gt_i32_e64 s[2:3], s41, v10
	v_mov_b32_e32 v15, 0
	v_mov_b32_e32 v17, 0
	s_and_saveexec_b64 s[4:5], s[2:3]
	s_cbranch_execz .LBB320_64
; %bb.63:
	v_add_u32_e32 v0, s40, v10
	v_ashrrev_i32_e32 v1, 31, v0
	v_mul_lo_u32 v2, v1, s28
	v_mul_lo_u32 v3, v0, s29
	v_mad_u64_u32 v[0:1], s[6:7], v0, s28, 0
	v_add3_u32 v1, v1, v3, v2
	v_lshl_add_u64 v[0:1], v[0:1], 2, s[10:11]
	global_load_dword v0, v[0:1], off
	s_waitcnt vmcnt(0)
	v_sub_f32_e32 v0, s12, v0
	v_exp_f32_e32 v17, v0
.LBB320_64:
	s_or_b64 exec, exec, s[4:5]
	v_or_b32_e32 v12, 3, v18
	v_cmp_gt_i32_e64 s[4:5], s41, v12
	s_and_saveexec_b64 s[6:7], s[4:5]
	s_cbranch_execz .LBB320_66
; %bb.65:
	v_add_u32_e32 v0, s40, v12
	v_ashrrev_i32_e32 v1, 31, v0
	v_mul_lo_u32 v2, v1, s28
	v_mul_lo_u32 v3, v0, s29
	v_mad_u64_u32 v[0:1], s[14:15], v0, s28, 0
	v_add3_u32 v1, v1, v3, v2
	v_lshl_add_u64 v[0:1], v[0:1], 2, s[10:11]
	global_load_dword v0, v[0:1], off
	s_waitcnt vmcnt(0)
	v_sub_f32_e32 v0, s12, v0
	v_exp_f32_e32 v15, v0
.LBB320_66:
	s_or_b64 exec, exec, s[6:7]
	v_or_b32_e32 v4, s30, v40
	s_add_u32 s6, s8, s24
	v_accvgpr_read_b32 v0, a4
	s_addc_u32 s7, s9, s25
	v_ashrrev_i32_e32 v5, 31, v4
	v_accvgpr_read_b32 v1, a5
	v_accvgpr_read_b32 v2, a6
	;; [unrolled: 1-line block ×3, first 2 shown]
	v_lshl_add_u64 v[4:5], v[4:5], 1, s[6:7]
	v_mov_b32_e32 v9, 0
	v_lshlrev_b32_e32 v6, 8, v18
	v_mov_b32_e32 v7, 0
	s_and_saveexec_b64 s[6:7], vcc
	s_cbranch_execz .LBB320_68
; %bb.67:
	v_mov_b32_e32 v7, 0
	v_lshl_add_u64 v[20:21], v[4:5], 0, v[6:7]
	global_load_ushort v7, v[20:21], off
	s_waitcnt vmcnt(0)
	v_lshlrev_b32_e32 v7, 16, v7
	v_sub_f32_e32 v0, v7, v0
	v_mul_f32_e32 v0, v16, v0
	v_lshrrev_b32_e32 v7, 16, v0
.LBB320_68:
	s_or_b64 exec, exec, s[6:7]
	v_lshlrev_b32_e32 v8, 8, v8
	s_and_saveexec_b64 s[6:7], s[0:1]
	s_cbranch_execz .LBB320_70
; %bb.69:
	v_mov_b32_e32 v9, 0
	v_lshl_add_u64 v[20:21], v[4:5], 0, v[8:9]
	global_load_ushort v0, v[20:21], off
	s_waitcnt vmcnt(0)
	v_lshlrev_b32_e32 v0, 16, v0
	v_sub_f32_e32 v0, v0, v1
	v_mul_f32_e32 v0, v14, v0
	v_lshrrev_b32_e32 v9, 16, v0
.LBB320_70:
	s_or_b64 exec, exec, s[6:7]
	v_mov_b32_e32 v13, 0
	v_lshlrev_b32_e32 v10, 8, v10
	v_mov_b32_e32 v11, 0
	s_and_saveexec_b64 s[6:7], s[2:3]
	s_cbranch_execz .LBB320_72
; %bb.71:
	v_mov_b32_e32 v11, 0
	v_lshl_add_u64 v[0:1], v[4:5], 0, v[10:11]
	global_load_ushort v0, v[0:1], off
	s_waitcnt vmcnt(0)
	v_lshlrev_b32_e32 v0, 16, v0
	v_sub_f32_e32 v0, v0, v2
	v_mul_f32_e32 v0, v17, v0
	v_lshrrev_b32_e32 v11, 16, v0
.LBB320_72:
	s_or_b64 exec, exec, s[6:7]
	v_lshlrev_b32_e32 v12, 8, v12
	s_and_saveexec_b64 s[6:7], s[4:5]
	s_cbranch_execz .LBB320_74
; %bb.73:
	v_mov_b32_e32 v13, 0
	v_lshl_add_u64 v[0:1], v[4:5], 0, v[12:13]
	global_load_ushort v0, v[0:1], off
	s_waitcnt vmcnt(0)
	v_lshlrev_b32_e32 v0, 16, v0
	v_sub_f32_e32 v0, v0, v3
	v_mul_f32_e32 v0, v15, v0
	v_lshrrev_b32_e32 v13, 16, v0
.LBB320_74:
	s_or_b64 exec, exec, s[6:7]
	v_lshlrev_b32_e32 v18, 5, v18
	s_mov_b32 s6, 0x5040100
	v_perm_b32 v20, v9, v7, s6
	v_or_b32_e32 v7, v18, v22
	v_accvgpr_read_b32 v0, a0
	v_perm_b32 v21, v13, v11, s6
	v_lshlrev_b32_e32 v7, 1, v7
	v_accvgpr_read_b32 v1, a1
	v_accvgpr_read_b32 v2, a2
	;; [unrolled: 1-line block ×3, first 2 shown]
	ds_write_b64 v7, v[20:21] offset:45056
	v_mov_b32_e32 v9, 0
	v_mov_b32_e32 v7, 0
	s_and_saveexec_b64 s[6:7], vcc
	s_cbranch_execz .LBB320_76
; %bb.75:
	v_mov_b32_e32 v7, 0
	v_lshl_add_u64 v[6:7], v[4:5], 0, v[6:7]
	global_load_ushort v6, v[6:7], off offset:32
	s_waitcnt vmcnt(0)
	v_lshlrev_b32_e32 v6, 16, v6
	v_sub_f32_e32 v0, v6, v0
	v_mul_f32_e32 v0, v16, v0
	v_lshrrev_b32_e32 v7, 16, v0
.LBB320_76:
	s_or_b64 exec, exec, s[6:7]
	s_and_saveexec_b64 s[6:7], s[0:1]
	s_cbranch_execz .LBB320_78
; %bb.77:
	v_mov_b32_e32 v9, 0
	v_lshl_add_u64 v[8:9], v[4:5], 0, v[8:9]
	global_load_ushort v0, v[8:9], off offset:32
	s_waitcnt vmcnt(0)
	v_lshlrev_b32_e32 v0, 16, v0
	v_sub_f32_e32 v0, v0, v1
	v_mul_f32_e32 v0, v14, v0
	v_lshrrev_b32_e32 v9, 16, v0
.LBB320_78:
	s_or_b64 exec, exec, s[6:7]
	v_mov_b32_e32 v0, 0
	v_mov_b32_e32 v1, 0
	s_and_saveexec_b64 s[0:1], s[2:3]
	s_cbranch_execz .LBB320_80
; %bb.79:
	v_mov_b32_e32 v11, 0
	v_lshl_add_u64 v[10:11], v[4:5], 0, v[10:11]
	global_load_ushort v1, v[10:11], off offset:32
	s_waitcnt vmcnt(0)
	v_lshlrev_b32_e32 v1, 16, v1
	v_sub_f32_e32 v1, v1, v2
	v_mul_f32_e32 v1, v17, v1
	v_lshrrev_b32_e32 v1, 16, v1
.LBB320_80:
	s_or_b64 exec, exec, s[0:1]
	s_and_saveexec_b64 s[0:1], s[4:5]
	s_cbranch_execz .LBB320_82
; %bb.81:
	v_mov_b32_e32 v13, 0
	v_lshl_add_u64 v[4:5], v[4:5], 0, v[12:13]
	global_load_ushort v0, v[4:5], off offset:32
	s_waitcnt vmcnt(0)
	v_lshlrev_b32_e32 v0, 16, v0
	v_sub_f32_e32 v0, v0, v3
	v_mul_f32_e32 v0, v15, v0
	v_lshrrev_b32_e32 v0, 16, v0
.LBB320_82:
	s_or_b64 exec, exec, s[0:1]
	s_mov_b32 s0, 0x5040100
	v_or_b32_e32 v2, v18, v19
	v_perm_b32 v1, v0, v1, s0
	v_perm_b32 v0, v9, v7, s0
	v_lshlrev_b32_e32 v2, 1, v2
	ds_write_b64 v2, v[0:1] offset:45056
	s_waitcnt lgkmcnt(0)
	s_barrier
.LBB320_83:
	s_endpgm
	.section	.rodata,"a",@progbits
	.p2align	6, 0x0
	.amdhsa_kernel _ZN12_GLOBAL__N_139chunk_gated_delta_rule_fwd_h_hip_kernelILi32ELb0ELb0ELb0ELb0ELb1ELb0ELb0ELb1EEEvPK12hip_bfloat16S3_S3_PKfS5_PKvPS1_S8_PvPKiSB_iiiiilll
		.amdhsa_group_segment_fixed_size 49152
		.amdhsa_private_segment_fixed_size 0
		.amdhsa_kernarg_size 136
		.amdhsa_user_sgpr_count 2
		.amdhsa_user_sgpr_dispatch_ptr 0
		.amdhsa_user_sgpr_queue_ptr 0
		.amdhsa_user_sgpr_kernarg_segment_ptr 1
		.amdhsa_user_sgpr_dispatch_id 0
		.amdhsa_user_sgpr_kernarg_preload_length 0
		.amdhsa_user_sgpr_kernarg_preload_offset 0
		.amdhsa_user_sgpr_private_segment_size 0
		.amdhsa_uses_dynamic_stack 0
		.amdhsa_enable_private_segment 0
		.amdhsa_system_sgpr_workgroup_id_x 1
		.amdhsa_system_sgpr_workgroup_id_y 1
		.amdhsa_system_sgpr_workgroup_id_z 0
		.amdhsa_system_sgpr_workgroup_info 0
		.amdhsa_system_vgpr_workitem_id 0
		.amdhsa_next_free_vgpr 152
		.amdhsa_next_free_sgpr 62
		.amdhsa_accum_offset 132
		.amdhsa_reserve_vcc 1
		.amdhsa_float_round_mode_32 0
		.amdhsa_float_round_mode_16_64 0
		.amdhsa_float_denorm_mode_32 3
		.amdhsa_float_denorm_mode_16_64 3
		.amdhsa_dx10_clamp 1
		.amdhsa_ieee_mode 1
		.amdhsa_fp16_overflow 0
		.amdhsa_tg_split 0
		.amdhsa_exception_fp_ieee_invalid_op 0
		.amdhsa_exception_fp_denorm_src 0
		.amdhsa_exception_fp_ieee_div_zero 0
		.amdhsa_exception_fp_ieee_overflow 0
		.amdhsa_exception_fp_ieee_underflow 0
		.amdhsa_exception_fp_ieee_inexact 0
		.amdhsa_exception_int_div_zero 0
	.end_amdhsa_kernel
	.section	.text._ZN12_GLOBAL__N_139chunk_gated_delta_rule_fwd_h_hip_kernelILi32ELb0ELb0ELb0ELb0ELb1ELb0ELb0ELb1EEEvPK12hip_bfloat16S3_S3_PKfS5_PKvPS1_S8_PvPKiSB_iiiiilll,"axG",@progbits,_ZN12_GLOBAL__N_139chunk_gated_delta_rule_fwd_h_hip_kernelILi32ELb0ELb0ELb0ELb0ELb1ELb0ELb0ELb1EEEvPK12hip_bfloat16S3_S3_PKfS5_PKvPS1_S8_PvPKiSB_iiiiilll,comdat
.Lfunc_end320:
	.size	_ZN12_GLOBAL__N_139chunk_gated_delta_rule_fwd_h_hip_kernelILi32ELb0ELb0ELb0ELb0ELb1ELb0ELb0ELb1EEEvPK12hip_bfloat16S3_S3_PKfS5_PKvPS1_S8_PvPKiSB_iiiiilll, .Lfunc_end320-_ZN12_GLOBAL__N_139chunk_gated_delta_rule_fwd_h_hip_kernelILi32ELb0ELb0ELb0ELb0ELb1ELb0ELb0ELb1EEEvPK12hip_bfloat16S3_S3_PKfS5_PKvPS1_S8_PvPKiSB_iiiiilll
                                        ; -- End function
	.section	.AMDGPU.csdata,"",@progbits
; Kernel info:
; codeLenInByte = 8432
; NumSgprs: 68
; NumVgprs: 130
; NumAgprs: 20
; TotalNumVgprs: 152
; ScratchSize: 0
; MemoryBound: 0
; FloatMode: 240
; IeeeMode: 1
; LDSByteSize: 49152 bytes/workgroup (compile time only)
; SGPRBlocks: 8
; VGPRBlocks: 18
; NumSGPRsForWavesPerEU: 68
; NumVGPRsForWavesPerEU: 152
; AccumOffset: 132
; Occupancy: 1
; WaveLimiterHint : 1
; COMPUTE_PGM_RSRC2:SCRATCH_EN: 0
; COMPUTE_PGM_RSRC2:USER_SGPR: 2
; COMPUTE_PGM_RSRC2:TRAP_HANDLER: 0
; COMPUTE_PGM_RSRC2:TGID_X_EN: 1
; COMPUTE_PGM_RSRC2:TGID_Y_EN: 1
; COMPUTE_PGM_RSRC2:TGID_Z_EN: 0
; COMPUTE_PGM_RSRC2:TIDIG_COMP_CNT: 0
; COMPUTE_PGM_RSRC3_GFX90A:ACCUM_OFFSET: 32
; COMPUTE_PGM_RSRC3_GFX90A:TG_SPLIT: 0
	.section	.text._ZN12_GLOBAL__N_139chunk_gated_delta_rule_fwd_h_hip_kernelILi32ELb1ELb1ELb1ELb1ELb0ELb1ELb1ELb1EEEvPK12hip_bfloat16S3_S3_PKfS5_PKvPS1_S8_PvPKiSB_iiiiilll,"axG",@progbits,_ZN12_GLOBAL__N_139chunk_gated_delta_rule_fwd_h_hip_kernelILi32ELb1ELb1ELb1ELb1ELb0ELb1ELb1ELb1EEEvPK12hip_bfloat16S3_S3_PKfS5_PKvPS1_S8_PvPKiSB_iiiiilll,comdat
	.globl	_ZN12_GLOBAL__N_139chunk_gated_delta_rule_fwd_h_hip_kernelILi32ELb1ELb1ELb1ELb1ELb0ELb1ELb1ELb1EEEvPK12hip_bfloat16S3_S3_PKfS5_PKvPS1_S8_PvPKiSB_iiiiilll ; -- Begin function _ZN12_GLOBAL__N_139chunk_gated_delta_rule_fwd_h_hip_kernelILi32ELb1ELb1ELb1ELb1ELb0ELb1ELb1ELb1EEEvPK12hip_bfloat16S3_S3_PKfS5_PKvPS1_S8_PvPKiSB_iiiiilll
	.p2align	8
	.type	_ZN12_GLOBAL__N_139chunk_gated_delta_rule_fwd_h_hip_kernelILi32ELb1ELb1ELb1ELb1ELb0ELb1ELb1ELb1EEEvPK12hip_bfloat16S3_S3_PKfS5_PKvPS1_S8_PvPKiSB_iiiiilll,@function
_ZN12_GLOBAL__N_139chunk_gated_delta_rule_fwd_h_hip_kernelILi32ELb1ELb1ELb1ELb1ELb0ELb1ELb1ELb1EEEvPK12hip_bfloat16S3_S3_PKfS5_PKvPS1_S8_PvPKiSB_iiiiilll: ; @_ZN12_GLOBAL__N_139chunk_gated_delta_rule_fwd_h_hip_kernelILi32ELb1ELb1ELb1ELb1ELb0ELb1ELb1ELb1EEEvPK12hip_bfloat16S3_S3_PKfS5_PKvPS1_S8_PvPKiSB_iiiiilll
; %bb.0:
	s_load_dwordx4 s[28:31], s[0:1], 0x5c
	s_load_dwordx4 s[4:7], s[0:1], 0x70
	s_abs_i32 s11, s3
	s_ashr_i32 s10, s3, 31
	s_load_dwordx4 s[24:27], s[0:1], 0x40
	s_load_dwordx2 s[8:9], s[0:1], 0x50
	s_waitcnt lgkmcnt(0)
	s_abs_i32 s14, s29
	v_cvt_f32_u32_e32 v1, s14
	s_sub_i32 s12, 0, s14
	s_ashr_i32 s15, s29, 31
	s_xor_b32 s10, s10, s15
	v_rcp_iflag_f32_e32 v1, v1
	v_and_b32_e32 v71, 15, v0
	v_bfe_u32 v70, v0, 4, 2
	v_mov_b32_e32 v55, 0
	v_mul_f32_e32 v1, 0x4f7ffffe, v1
	v_cvt_u32_f32_e32 v1, v1
	v_lshlrev_b32_e32 v72, 3, v0
	v_readfirstlane_b32 s13, v1
	s_mul_i32 s12, s12, s13
	s_mul_hi_u32 s12, s13, s12
	s_add_i32 s13, s13, s12
	s_mul_hi_u32 s12, s11, s13
	s_mul_i32 s13, s12, s14
	s_sub_i32 s11, s11, s13
	s_add_i32 s16, s12, 1
	s_sub_i32 s13, s11, s14
	s_cmp_ge_u32 s11, s14
	s_cselect_b32 s12, s16, s12
	s_cselect_b32 s11, s13, s11
	s_add_i32 s13, s12, 1
	s_cmp_ge_u32 s11, s14
	s_cselect_b32 s11, s13, s12
	s_xor_b32 s11, s11, s10
	s_sub_i32 s36, s11, s10
	s_mul_i32 s16, s36, s29
	s_ashr_i32 s37, s36, 31
	s_sub_i32 s33, s3, s16
	s_lshl_b64 s[10:11], s[36:37], 2
	s_add_u32 s12, s26, s10
	s_addc_u32 s13, s27, s11
	s_add_u32 s38, s8, s10
	s_addc_u32 s39, s9, s11
	s_abs_i32 s3, s30
	v_cvt_f32_u32_e32 v1, s3
	s_load_dwordx2 s[34:35], s[12:13], 0x0
	s_sub_i32 s9, 0, s3
	s_lshl_b32 s2, s2, 5
	v_rcp_iflag_f32_e32 v1, v1
	v_or_b32_e32 v60, s2, v71
	s_waitcnt lgkmcnt(0)
	s_sub_i32 s56, s35, s34
	s_ashr_i32 s8, s56, 31
	v_mul_f32_e32 v1, 0x4f7ffffe, v1
	v_cvt_u32_f32_e32 v1, v1
	s_lshr_b32 s8, s8, 26
	s_add_i32 s8, s56, s8
	s_ashr_i32 s55, s8, 6
	v_readfirstlane_b32 s10, v1
	s_mul_i32 s9, s9, s10
	s_mul_hi_u32 s9, s10, s9
	s_add_i32 s10, s10, s9
	s_mul_hi_u32 s9, s14, s10
	s_mul_i32 s10, s9, s3
	s_ashr_i32 s8, s30, 31
	s_sub_i32 s10, s14, s10
	s_xor_b32 s8, s15, s8
	s_add_i32 s11, s9, 1
	s_sub_i32 s12, s10, s3
	s_cmp_ge_u32 s10, s3
	s_cselect_b32 s9, s11, s9
	s_cselect_b32 s10, s12, s10
	s_add_i32 s11, s9, 1
	s_cmp_ge_u32 s10, s3
	s_cselect_b32 s3, s11, s9
	s_xor_b32 s3, s3, s8
	s_sub_i32 s3, s3, s8
	s_abs_i32 s17, s3
	v_cvt_f32_u32_e32 v1, s17
	s_sub_i32 s19, 0, s17
	s_abs_i32 s18, s33
	s_xor_b32 s3, s33, s3
	v_rcp_iflag_f32_e32 v2, v1
	s_ashr_i32 s3, s3, 31
	s_load_dwordx8 s[8:15], s[0:1], 0x20
	v_lshrrev_b32_e32 v1, 6, v0
	v_mul_f32_e32 v2, 0x4f7ffffe, v2
	v_cvt_u32_f32_e32 v2, v2
	v_lshlrev_b32_e32 v53, 4, v1
	v_lshlrev_b32_e32 v56, 7, v60
	v_lshl_or_b32 v74, v70, 2, v53
	v_readfirstlane_b32 s20, v2
	s_mul_i32 s19, s19, s20
	s_mul_hi_u32 s19, s20, s19
	s_add_i32 s20, s20, s19
	s_mul_hi_u32 s19, s18, s20
	s_mul_i32 s20, s19, s17
	s_sub_i32 s18, s18, s20
	s_add_i32 s20, s19, 1
	s_sub_i32 s21, s18, s17
	s_cmp_ge_u32 s18, s17
	s_cselect_b32 s19, s20, s19
	s_cselect_b32 s18, s21, s18
	s_add_i32 s20, s19, 1
	s_cmp_ge_u32 s18, s17
	s_cselect_b32 s17, s20, s19
	s_xor_b32 s17, s17, s3
	s_sub_i32 s57, s17, s3
	s_ashr_i32 s48, s33, 31
	s_mul_hi_i32 s3, s36, s29
	s_add_u32 s16, s16, s33
	s_addc_u32 s17, s3, s48
	s_lshl_b64 s[26:27], s[16:17], 15
	s_waitcnt lgkmcnt(0)
	s_add_u32 s10, s10, s26
	s_addc_u32 s11, s11, s27
	v_ashrrev_i32_e32 v57, 31, v56
	v_lshl_add_u64 v[2:3], v[56:57], 1, s[10:11]
	v_lshlrev_b32_e32 v54, 1, v74
	v_or_b32_e32 v58, 0x800, v56
	v_lshl_add_u64 v[2:3], v[2:3], 0, v[54:55]
	v_ashrrev_i32_e32 v59, 31, v58
	global_load_dwordx2 v[6:7], v[2:3], off
	global_load_dwordx2 v[10:11], v[2:3], off offset:128
	v_lshl_add_u64 v[2:3], v[58:59], 1, s[10:11]
	v_lshl_add_u64 v[2:3], v[2:3], 0, v[54:55]
	global_load_dwordx2 v[12:13], v[2:3], off
	global_load_dwordx2 v[14:15], v[2:3], off offset:128
	s_load_dwordx8 s[16:23], s[0:1], 0x0
	s_load_dwordx2 s[10:11], s[0:1], 0x80
	s_load_dword s60, s[38:39], 0x0
	v_and_b32_e32 v55, 63, v0
	v_lshrrev_b32_e32 v73, 3, v55
	v_or_b32_e32 v75, 64, v74
	s_mul_i32 s49, s36, s5
	s_mul_hi_u32 s50, s36, s4
	s_mul_i32 s40, s36, s4
	s_mul_i32 s51, s37, s4
	s_mul_hi_i32 s58, s33, s28
	s_mul_i32 s59, s33, s28
	s_mul_i32 s52, s33, s7
	s_mul_hi_u32 s53, s33, s6
	s_mul_i32 s54, s48, s6
	s_cmp_lt_i32 s56, 64
	s_mul_i32 s42, s33, s6
	s_waitcnt vmcnt(3)
	v_and_b32_e32 v3, 0xffff0000, v6
	v_lshlrev_b32_e32 v2, 16, v6
	v_and_b32_e32 v5, 0xffff0000, v7
	v_lshlrev_b32_e32 v4, 16, v7
	s_waitcnt vmcnt(2)
	v_and_b32_e32 v7, 0xffff0000, v10
	v_lshlrev_b32_e32 v6, 16, v10
	v_and_b32_e32 v9, 0xffff0000, v11
	v_lshlrev_b32_e32 v8, 16, v11
	;; [unrolled: 5-line block ×4, first 2 shown]
	s_cbranch_scc1 .LBB321_3
; %bb.1:
	s_ashr_i32 s1, s34, 31
	s_add_u32 s0, s59, s34
	s_addc_u32 s1, s58, s1
	s_lshl_b64 s[0:1], s[0:1], 8
	v_and_b32_e32 v83, 56, v72
	s_waitcnt lgkmcnt(0)
	s_add_u32 s4, s18, s0
	v_lshl_or_b32 v82, v1, 3, v73
	v_lshlrev_b32_e32 v10, 1, v83
	s_addc_u32 s0, s19, s1
	v_lshl_or_b32 v85, v82, 8, v10
	s_and_b32 s5, s0, 0xffff
	s_mov_b32 s7, 0x20000
	s_movk_i32 s6, 0x4000
	s_movk_i32 s0, 0x80
	v_or_b32_e32 v86, 0x2000, v85
	buffer_load_dwordx4 v[12:15], v85, s[4:7], 0 offen
	buffer_load_dwordx4 v[16:19], v85, s[4:7], s0 offen
	buffer_load_dwordx4 v[20:23], v86, s[4:7], 0 offen
	buffer_load_dwordx4 v[24:27], v86, s[4:7], s0 offen
	v_lshlrev_b32_e32 v11, 3, v82
	v_and_or_b32 v29, v0, 7, v11
	v_and_b32_e32 v11, 0x78, v11
	v_lshlrev_b32_e32 v29, 4, v29
	v_xor_b32_e32 v88, v29, v11
	v_mul_lo_u32 v28, v82, s31
	v_or_b32_e32 v89, 0x1000, v88
	v_xor_b32_e32 v11, 8, v88
	s_cmpk_eq_i32 s31, 0x80
	s_mov_b32 s61, s34
	v_xor_b32_e32 v29, 8, v89
	s_cselect_b64 s[0:1], -1, 0
	s_cmpk_lg_i32 s31, 0x80
	s_waitcnt vmcnt(3)
	ds_write_b64 v88, v[12:13] offset:24576
	ds_write_b64 v11, v[14:15] offset:24576
	s_waitcnt vmcnt(2)
	ds_write_b64 v88, v[16:17] offset:32768
	ds_write_b64 v11, v[18:19] offset:32768
	;; [unrolled: 3-line block ×4, first 2 shown]
	v_lshl_add_u32 v11, v28, 1, v83
	s_cbranch_scc0 .LBB321_4
; %bb.2:
	v_lshlrev_b32_e32 v13, 1, v11
	v_add_lshl_u32 v12, v11, s31, 1
	s_lshl_b32 s6, s31, 7
	v_lshl_or_b32 v10, v82, 9, v10
	s_cbranch_execz .LBB321_5
	s_branch .LBB321_6
.LBB321_3:
	v_mov_b32_e32 v17, v84
	v_mov_b32_e32 v16, v81
	;; [unrolled: 1-line block ×5, first 2 shown]
	s_branch .LBB321_20
.LBB321_4:
                                        ; implicit-def: $vgpr12
                                        ; implicit-def: $vgpr13
                                        ; implicit-def: $sgpr6
	v_lshl_or_b32 v10, v82, 9, v10
.LBB321_5:
	v_or_b32_e32 v12, 0x100, v10
	s_movk_i32 s6, 0x4000
	v_mov_b32_e32 v13, v10
.LBB321_6:
	s_mul_i32 s4, s34, s30
	s_ashr_i32 s62, s57, 31
	s_mul_hi_i32 s3, s34, s30
	s_add_u32 s4, s4, s57
	s_addc_u32 s5, s3, s62
	s_lshl_b64 s[4:5], s[4:5], 8
	s_add_u32 s4, s16, s4
	s_addc_u32 s3, s17, s5
	s_and_b32 s5, s3, 0xffff
	s_movk_i32 s63, 0x80
	buffer_load_dwordx4 v[14:17], v13, s[4:7], 0 offen
	buffer_load_dwordx4 v[18:21], v13, s[4:7], s63 offen
	;; [unrolled: 1-line block ×4, first 2 shown]
	v_and_b32_e32 v12, 6, v0
	v_lshlrev_b32_e32 v31, 6, v74
	v_or_b32_e32 v33, 16, v71
	v_xor_b32_e32 v34, v82, v12
	v_and_b32_e32 v13, 1, v0
	v_lshl_or_b32 v37, v71, 3, v31
	v_lshl_or_b32 v31, v33, 3, v31
	v_lshlrev_b32_e32 v34, 2, v34
	v_lshlrev_b32_e32 v30, 2, v71
	v_or_b32_e32 v92, 0xa000, v31
	v_or_b32_e32 v93, 0xb000, v31
	v_xor_b32_e32 v31, 0x440, v34
	v_cmp_eq_u32_e32 vcc, 0, v13
	s_add_i32 s3, s50, s49
	v_xor_b32_e32 v35, v74, v30
	v_xor_b32_e32 v36, v75, v30
	v_cndmask_b32_e32 v13, v31, v34, vcc
	s_add_i32 s4, s53, s52
	s_add_i32 s41, s3, s51
	s_mov_b32 s64, 0x1000504
	v_lshlrev_b32_e32 v32, 8, v71
	v_lshlrev_b32_e32 v33, 8, v33
	;; [unrolled: 1-line block ×4, first 2 shown]
	v_lshl_or_b32 v12, v12, 10, v13
	s_add_i32 s43, s4, s54
	s_lshl_b64 s[4:5], s[40:41], 2
	s_mov_b32 s65, 0x3020706
	v_or_b32_e32 v90, 0xa000, v37
	v_or_b32_e32 v91, 0xb000, v37
	;; [unrolled: 1-line block ×5, first 2 shown]
	v_xor_b32_e32 v13, 8, v12
	v_xor_b32_e32 v32, 24, v12
	;; [unrolled: 1-line block ×4, first 2 shown]
	s_add_u32 s3, s22, s4
	v_or_b32_e32 v96, v33, v35
	v_xor_b32_e32 v31, 16, v12
	v_xor_b32_e32 v33, 32, v12
	;; [unrolled: 1-line block ×3, first 2 shown]
	v_add_u32_e32 v13, 0x80, v13
	v_add_u32_e32 v32, 0x80, v32
	;; [unrolled: 1-line block ×4, first 2 shown]
	s_addc_u32 s6, s23, s5
	s_lshl_b64 s[4:5], s[42:43], 2
	s_add_u32 s44, s3, s4
	s_movk_i32 s3, 0xf8
	s_addc_u32 s45, s6, s5
	s_lshl_b32 s38, s31, 7
	s_movk_i32 s36, 0x100
	v_mov_b32_e32 v63, 0
	v_lshlrev_b32_e32 v62, 4, v71
	v_cmp_gt_u32_e32 vcc, s36, v0
	v_ashrrev_i32_e32 v61, 31, v60
	s_mov_b32 s66, 0
	s_movk_i32 s41, 0x1000
	s_movk_i32 s6, 0x4000
	v_mov_b32_e32 v120, 0x3fb8aa3b
	s_waitcnt vmcnt(1)
	v_perm_b32 v37, v14, v22, s64
	s_waitcnt vmcnt(0)
	v_perm_b32 v38, v18, v26, s64
	v_perm_b32 v14, v14, v22, s65
	;; [unrolled: 1-line block ×15, first 2 shown]
	ds_write2st64_b32 v12, v37, v38 offset0:32 offset1:64
	ds_write2st64_b32 v13, v14, v18 offset0:32 offset1:64
	;; [unrolled: 1-line block ×8, first 2 shown]
	v_or_b32_e32 v12, v53, v71
	v_lshlrev_b32_e32 v12, 3, v12
	v_lshrrev_b32_e32 v15, 5, v55
	v_and_or_b32 v15, v12, s3, v15
	v_lshlrev_b32_e32 v15, 4, v15
	v_lshlrev_b32_e32 v17, 11, v1
	v_and_b32_e32 v12, 0x78, v12
	v_or_b32_e32 v20, 32, v15
	v_and_b32_e32 v14, 0x1000, v17
	v_lshrrev_b32_e32 v18, 1, v55
	v_xor_b32_e32 v20, v20, v12
	v_xor_b32_e32 v16, v15, v12
	v_and_b32_e32 v18, 8, v18
	v_or_b32_e32 v20, v20, v14
	v_or_b32_e32 v16, v16, v14
	v_lshlrev_b32_e32 v19, 7, v70
	v_xor_b32_e32 v100, v20, v18
	v_or_b32_e32 v20, 64, v15
	v_or_b32_e32 v15, 0x60, v15
	s_ashr_i32 s3, s2, 31
	v_xor_b32_e32 v98, v16, v18
	v_or_b32_e32 v16, v19, v30
	v_xor_b32_e32 v20, v20, v12
	v_xor_b32_e32 v12, v15, v12
	s_lshl_b64 s[4:5], s[2:3], 8
	v_lshlrev_b32_e32 v16, 1, v16
	v_or_b32_e32 v20, v20, v14
	v_or_b32_e32 v12, v12, v14
	s_add_u32 s4, s12, s4
	v_lshlrev_b32_e32 v14, 1, v71
	v_or_b32_e32 v99, 0xa000, v16
	v_or_b32_e32 v101, 0xa080, v16
	;; [unrolled: 1-line block ×4, first 2 shown]
	v_lshrrev_b32_e32 v16, 4, v0
	s_addc_u32 s5, s13, s5
	v_or_b32_e32 v15, 1, v14
	v_mov_b32_e32 v25, 0x4000
	v_mov_b32_e32 v26, 0x2000
	v_lshrrev_b32_e32 v27, 1, v0
	v_xor_b32_e32 v102, v20, v18
	v_xor_b32_e32 v103, v12, v18
	;; [unrolled: 1-line block ×4, first 2 shown]
	v_lshl_add_u64 v[14:15], s[4:5], 0, v[62:63]
	v_lshlrev_b32_e32 v62, 8, v16
	v_cndmask_b32_e32 v25, v25, v26, vcc
	v_lshlrev_b32_e32 v26, 3, v1
	v_and_b32_e32 v27, 24, v27
	v_lshl_or_b32 v106, v18, 3, v62
	v_and_b32_e32 v18, 8, v0
	v_xor_b32_e32 v28, v26, v27
	v_or_b32_e32 v29, 0x440, v28
	v_cmp_eq_u32_e32 vcc, 0, v18
	v_and_b32_e32 v16, 7, v0
	v_lshl_or_b32 v107, v22, 3, v62
	v_cndmask_b32_e32 v18, v29, v28, vcc
	v_lshlrev_b32_e32 v22, 3, v16
	v_lshlrev_b32_e32 v24, 2, v0
	v_or_b32_e32 v18, v18, v17
	v_xor_b32_e32 v28, v18, v22
	v_and_or_b32 v18, v24, 60, v19
	v_mov_b32_e32 v19, 0xb000
	v_lshl_or_b32 v108, v18, 1, v19
	v_or_b32_e32 v18, 32, v27
	v_xor_b32_e32 v18, v26, v18
	v_or_b32_e32 v19, 0x440, v18
	v_cndmask_b32_e32 v18, v19, v18, vcc
	v_or_b32_e32 v18, v18, v17
	v_xor_b32_e32 v19, v18, v22
	v_or_b32_e32 v18, 64, v27
	v_xor_b32_e32 v18, v26, v18
	v_xor_b32_e32 v30, 0x440, v18
	v_cndmask_b32_e32 v18, v30, v18, vcc
	v_or_b32_e32 v18, v18, v17
	v_xor_b32_e32 v30, v18, v22
	v_or_b32_e32 v18, 0x60, v27
	v_xor_b32_e32 v18, v26, v18
	v_xor_b32_e32 v26, 0x440, v18
	v_cndmask_b32_e32 v18, v26, v18, vcc
	v_lshrrev_b32_e32 v13, 2, v55
	v_or_b32_e32 v17, v18, v17
	v_and_b32_e32 v13, 12, v13
	v_lshlrev_b32_e32 v20, 1, v11
	v_add_lshl_u32 v11, v11, s31, 1
	v_or_b32_e32 v21, 0x100, v10
	v_xor_b32_e32 v17, v17, v22
	v_lshlrev_b32_e32 v12, 7, v74
	v_lshlrev_b32_e32 v23, 7, v16
	v_or_b32_e32 v16, v13, v53
	v_add_u32_e32 v29, v25, v28
	v_add_u32_e32 v24, v25, v19
	;; [unrolled: 1-line block ×4, first 2 shown]
	v_or3_b32 v18, v53, v13, 64
	v_add_u32_e32 v13, 0x4000, v28
	v_add_u32_e32 v19, 0x4000, v19
	;; [unrolled: 1-line block ×4, first 2 shown]
	v_cndmask_b32_e64 v109, v20, v10, s[0:1]
	v_cndmask_b32_e64 v110, v11, v21, s[0:1]
	v_lshlrev_b64 v[10:11], 1, v[60:61]
	v_lshl_add_u64 v[64:65], s[20:21], 0, v[10:11]
	v_lshl_add_u64 v[66:67], s[14:15], 0, v[10:11]
	;; [unrolled: 1-line block ×3, first 2 shown]
	s_mov_b32 s3, 0x7060302
	v_lshlrev_b32_e32 v62, 1, v12
	v_lshlrev_b32_e32 v61, 2, v16
	v_add_u32_e32 v111, v29, v23
	v_add_u32_e32 v112, v24, v23
	;; [unrolled: 1-line block ×4, first 2 shown]
	v_lshlrev_b32_e32 v115, 2, v18
	v_add_u32_e32 v116, v13, v23
	v_add_u32_e32 v117, v19, v23
	;; [unrolled: 1-line block ×4, first 2 shown]
	s_waitcnt lgkmcnt(0)
	s_barrier
.LBB321_7:                              ; =>This Inner Loop Header: Depth=1
	s_add_i32 s43, s66, 1
	s_cmp_lt_i32 s43, s55
	s_mov_b64 s[36:37], 0
	s_cselect_b64 s[46:47], -1, 0
	s_cmp_ge_i32 s43, s55
	s_mov_b64 s[4:5], 0
	s_cbranch_scc1 .LBB321_9
; %bb.8:                                ;   in Loop: Header=BB321_7 Depth=1
	s_add_i32 s0, s61, 64
	s_ashr_i32 s1, s0, 31
	s_add_u32 s0, s59, s0
	s_addc_u32 s1, s58, s1
	s_lshl_b64 s[0:1], s[0:1], 8
	s_add_u32 s4, s18, s0
	s_addc_u32 s5, s19, s1
.LBB321_9:                              ;   in Loop: Header=BB321_7 Depth=1
	v_cndmask_b32_e64 v10, 0, 1, s[46:47]
	v_cmp_ne_u32_e64 s[0:1], 1, v10
	s_andn2_b64 vcc, exec, s[46:47]
	s_cbranch_vccnz .LBB321_11
; %bb.10:                               ;   in Loop: Header=BB321_7 Depth=1
	s_add_i32 s36, s61, 64
	s_mul_hi_i32 s37, s36, s30
	s_mul_i32 s36, s36, s30
	s_add_u32 s36, s36, s57
	s_addc_u32 s37, s37, s62
	s_lshl_b64 s[36:37], s[36:37], 8
	s_add_u32 s36, s16, s36
	s_addc_u32 s37, s17, s37
.LBB321_11:                             ;   in Loop: Header=BB321_7 Depth=1
	v_perm_b32 v11, v5, v4, s3
	v_perm_b32 v10, v3, v2, s3
	;; [unrolled: 1-line block ×4, first 2 shown]
	ds_write_b64 v90, v[10:11]
	ds_write_b64 v91, v[12:13]
	;; [unrolled: 1-line block ×4, first 2 shown]
	v_perm_b32 v11, v87, v78, s3
	v_perm_b32 v10, v77, v76, s3
	;; [unrolled: 1-line block ×4, first 2 shown]
	ds_write_b64 v92, v[10:11]
	ds_write_b64 v93, v[12:13]
	;; [unrolled: 1-line block ×4, first 2 shown]
	s_waitcnt lgkmcnt(0)
	s_barrier
	ds_read_b64 v[14:15], v98 offset:24576
	ds_read2_b64 v[10:13], v99 offset1:16
	ds_read_b64 v[18:19], v101 offset:3072
	ds_read_b64 v[20:21], v99 offset:3072
	;; [unrolled: 1-line block ×3, first 2 shown]
	s_waitcnt lgkmcnt(3)
	v_mfma_f32_16x16x16_bf16 a[0:3], v[14:15], v[10:11], 0
	s_add_i32 s67, s61, 63
	s_ashr_i32 s39, s67, 31
	s_mul_i32 s46, s67, s11
	v_mfma_f32_16x16x16_bf16 a[4:7], v[14:15], v[12:13], 0
	ds_read2st64_b64 v[10:13], v99 offset0:2 offset1:4
	s_mul_hi_u32 s47, s67, s10
	s_add_i32 s46, s47, s46
	s_waitcnt lgkmcnt(0)
	v_mfma_f32_16x16x16_bf16 a[0:3], v[22:23], v[10:11], a[0:3]
	ds_read2st64_b64 v[14:17], v101 offset0:2 offset1:4
	ds_read_b64 v[10:11], v102 offset:24576
	s_mul_i32 s39, s39, s10
	s_add_i32 s47, s46, s39
	s_waitcnt lgkmcnt(1)
	v_mfma_f32_16x16x16_bf16 a[4:7], v[22:23], v[14:15], a[4:7]
	ds_read_b64 v[14:15], v103 offset:24576
	s_mul_i32 s46, s67, s10
	s_lshl_b64 s[46:47], s[46:47], 2
	s_waitcnt lgkmcnt(1)
	v_mfma_f32_16x16x16_bf16 a[0:3], v[10:11], v[12:13], a[0:3]
	s_add_u32 s46, s44, s46
	s_addc_u32 s47, s45, s47
	s_and_b64 vcc, exec, s[0:1]
	v_mfma_f32_16x16x16_bf16 a[8:11], v[10:11], v[16:17], a[4:7]
	v_mov_b32_e32 v123, 0
	v_mov_b32_e32 v122, 0
	;; [unrolled: 1-line block ×3, first 2 shown]
	s_waitcnt lgkmcnt(0)
	v_mfma_f32_16x16x16_bf16 a[4:7], v[14:15], v[20:21], a[0:3]
	v_mov_b32_e32 v10, 0
	v_mov_b32_e32 v11, 0
	;; [unrolled: 1-line block ×3, first 2 shown]
	v_mfma_f32_16x16x16_bf16 a[0:3], v[14:15], v[18:19], a[8:11]
	v_mov_b32_e32 v13, 0
	v_mov_b32_e32 v14, 0
	v_mov_b32_e32 v15, 0
	v_mov_b32_e32 v16, 0
	v_mov_b32_e32 v17, 0
	v_mov_b32_e32 v18, 0
	v_mov_b32_e32 v19, 0
	v_mov_b32_e32 v20, 0
	v_mov_b32_e32 v21, 0
	v_mov_b32_e32 v22, 0
	v_mov_b32_e32 v23, 0
	v_mov_b32_e32 v24, 0
	v_mov_b32_e32 v25, 0
	s_cbranch_vccnz .LBB321_13
; %bb.12:                               ;   in Loop: Header=BB321_7 Depth=1
	s_and_b32 s5, s5, 0xffff
	buffer_load_dwordx4 v[22:25], v85, s[4:7], 0 offen
	buffer_load_dwordx4 v[18:21], v85, s[4:7], s63 offen
	;; [unrolled: 1-line block ×4, first 2 shown]
	v_mov_b32_e32 v122, v88
	v_mov_b32_e32 v121, v89
.LBB321_13:                             ;   in Loop: Header=BB321_7 Depth=1
	ds_read_b64 v[34:35], v98 offset:32768
	ds_read2_b64 v[26:29], v104 offset1:16
	ds_read_b64 v[36:37], v100 offset:32768
	ds_read_b64 v[38:39], v102 offset:32768
	;; [unrolled: 1-line block ×3, first 2 shown]
	v_add_u32_e32 v42, s61, v74
	s_waitcnt lgkmcnt(3)
	v_mfma_f32_16x16x16_bf16 a[4:7], v[34:35], v[26:27], a[4:7]
	v_ashrrev_i32_e32 v26, 31, v42
	ds_read2st64_b64 v[30:33], v104 offset0:2 offset1:4
	v_mfma_f32_16x16x16_bf16 a[0:3], v[34:35], v[28:29], a[0:3]
	v_mul_lo_u32 v28, v26, s10
	v_mul_lo_u32 v29, v42, s11
	v_mad_u64_u32 v[26:27], s[4:5], v42, s10, 0
	v_add3_u32 v27, v27, v29, v28
	v_add_u32_e32 v28, 1, v42
	v_ashrrev_i32_e32 v29, 31, v28
	v_mul_lo_u32 v34, v29, s10
	v_mul_lo_u32 v35, v28, s11
	v_mad_u64_u32 v[28:29], s[4:5], v28, s10, 0
	v_add3_u32 v29, v29, v35, v34
	v_add_u32_e32 v34, 2, v42
	v_ashrrev_i32_e32 v35, 31, v34
	v_mul_lo_u32 v43, v35, s10
	v_mul_lo_u32 v44, v34, s11
	v_mad_u64_u32 v[34:35], s[4:5], v34, s10, 0
	v_add_u32_e32 v42, 3, v42
	v_add3_u32 v35, v35, v44, v43
	v_ashrrev_i32_e32 v43, 31, v42
	v_mul_lo_u32 v44, v43, s10
	v_mul_lo_u32 v45, v42, s11
	v_mad_u64_u32 v[42:43], s[4:5], v42, s10, 0
	s_ashr_i32 s5, s61, 31
	v_add3_u32 v43, v43, v45, v44
	s_add_u32 s4, s59, s61
	v_lshl_add_u64 v[26:27], v[26:27], 2, s[44:45]
	v_lshl_add_u64 v[42:43], v[42:43], 2, s[44:45]
	s_addc_u32 s5, s58, s5
	v_lshl_add_u64 v[28:29], v[28:29], 2, s[44:45]
	v_lshl_add_u64 v[34:35], v[34:35], 2, s[44:45]
	global_load_dword v44, v[26:27], off
	global_load_dword v45, v[28:29], off
	;; [unrolled: 1-line block ×3, first 2 shown]
	s_nop 0
	global_load_dword v42, v[42:43], off
	s_lshl_b64 s[68:69], s[4:5], 8
	v_lshl_add_u64 v[26:27], v[64:65], 0, s[68:69]
	v_lshl_add_u64 v[34:35], v[26:27], 0, v[62:63]
	global_load_ushort v43, v[34:35], off offset:256
	global_load_ushort v47, v[34:35], off
	ds_read2st64_b64 v[26:29], v105 offset0:2 offset1:4
	global_load_ushort v48, v[34:35], off offset:768
	global_load_ushort v49, v[34:35], off offset:512
	;; [unrolled: 1-line block ×6, first 2 shown]
	s_waitcnt lgkmcnt(1)
	v_mfma_f32_16x16x16_bf16 a[4:7], v[36:37], v[30:31], a[4:7]
	s_and_b64 vcc, exec, s[0:1]
	s_waitcnt vmcnt(7)
	v_lshlrev_b32_e32 v35, 16, v43
	s_waitcnt lgkmcnt(0)
	v_mfma_f32_16x16x16_bf16 a[0:3], v[36:37], v[26:27], a[0:3]
	v_mfma_f32_16x16x16_bf16 a[4:7], v[38:39], v[32:33], a[4:7]
	;; [unrolled: 1-line block ×3, first 2 shown]
	ds_read_b64 v[26:27], v104 offset:3072
	ds_read_b64 v[28:29], v105 offset:3072
	s_load_dword s4, s[46:47], 0x0
	s_waitcnt lgkmcnt(0)
	v_sub_f32_e32 v34, s4, v44
	v_mfma_f32_16x16x16_bf16 a[4:7], v[40:41], v[26:27], a[4:7]
	v_sub_f32_e32 v37, s4, v45
	v_sub_f32_e32 v38, s4, v46
	;; [unrolled: 1-line block ×3, first 2 shown]
	v_mul_f32_e32 v36, 0x3fb8aa3b, v34
	v_mul_f32_e32 v37, 0x3fb8aa3b, v37
	;; [unrolled: 1-line block ×4, first 2 shown]
	v_mfma_f32_16x16x16_bf16 a[0:3], v[40:41], v[28:29], a[0:3]
	v_accvgpr_read_b32 v33, a5
	v_exp_f32_e32 v36, v36
	v_exp_f32_e32 v37, v37
	;; [unrolled: 1-line block ×4, first 2 shown]
	v_accvgpr_read_b32 v32, a4
	s_waitcnt vmcnt(6)
	v_lshlrev_b32_e32 v34, 16, v47
	v_lshl_add_u64 v[26:27], v[66:67], 0, s[68:69]
	v_accvgpr_read_b32 v29, a7
	v_accvgpr_read_b32 v28, a6
	v_pk_add_f32 v[32:33], v[34:35], v[32:33] neg_lo:[0,1] neg_hi:[0,1]
	s_waitcnt vmcnt(5)
	v_lshlrev_b32_e32 v35, 16, v48
	s_waitcnt vmcnt(4)
	v_lshlrev_b32_e32 v34, 16, v49
	v_lshl_add_u64 v[26:27], v[26:27], 0, v[62:63]
	v_pk_add_f32 v[28:29], v[34:35], v[28:29] neg_lo:[0,1] neg_hi:[0,1]
	global_store_short_d16_hi v[26:27], v32, off
	global_store_short_d16_hi v[26:27], v33, off offset:256
	global_store_short_d16_hi v[26:27], v28, off offset:512
	;; [unrolled: 1-line block ×3, first 2 shown]
	v_pk_mul_f32 v[32:33], v[36:37], v[32:33]
	v_pk_mul_f32 v[28:29], v[38:39], v[28:29]
	v_accvgpr_read_b32 v35, a1
	v_perm_b32 v29, v29, v28, s3
	v_perm_b32 v28, v33, v32, s3
	s_waitcnt vmcnt(5)
	v_lshlrev_b32_e32 v33, 16, v52
	s_waitcnt vmcnt(4)
	v_lshlrev_b32_e32 v32, 16, v124
	v_accvgpr_read_b32 v34, a0
	v_accvgpr_read_b32 v31, a3
	v_accvgpr_read_b32 v30, a2
	v_pk_add_f32 v[32:33], v[32:33], v[34:35] neg_lo:[0,1] neg_hi:[0,1]
	v_lshlrev_b32_e32 v35, 16, v50
	v_lshlrev_b32_e32 v34, 16, v51
	v_pk_add_f32 v[30:31], v[34:35], v[30:31] neg_lo:[0,1] neg_hi:[0,1]
	global_store_short_d16_hi v[26:27], v32, off offset:32
	global_store_short_d16_hi v[26:27], v33, off offset:288
	;; [unrolled: 1-line block ×4, first 2 shown]
	v_pk_mul_f32 v[26:27], v[36:37], v[32:33]
	v_pk_mul_f32 v[30:31], v[38:39], v[30:31]
	v_mov_b32_e32 v124, 0
	v_perm_b32 v31, v31, v30, s3
	v_perm_b32 v30, v27, v26, s3
	ds_write2_b64 v91, v[28:29], v[30:31] offset1:16
	v_mov_b32_e32 v26, 0
	v_mov_b32_e32 v27, 0
	;; [unrolled: 1-line block ×16, first 2 shown]
	s_cbranch_vccnz .LBB321_15
; %bb.14:                               ;   in Loop: Header=BB321_7 Depth=1
	s_and_b32 s37, s37, 0xffff
	s_mov_b32 s39, s7
	buffer_load_dwordx4 v[38:41], v109, s[36:39], 0 offen
	buffer_load_dwordx4 v[30:33], v109, s[36:39], s63 offen
	;; [unrolled: 1-line block ×4, first 2 shown]
	v_mov_b32_e32 v123, v83
	v_mov_b32_e32 v124, v82
.LBB321_15:                             ;   in Loop: Header=BB321_7 Depth=1
	s_waitcnt lgkmcnt(0)
	s_barrier
	ds_read_b64 v[46:47], v111
	ds_read_b64 v[130:131], v108
	;; [unrolled: 1-line block ×5, first 2 shown]
	ds_read_b64 v[144:145], v105 offset:3072
	ds_read2_b64 v[42:45], v104 offset0:16 offset1:128
	s_waitcnt lgkmcnt(5)
	v_mfma_f32_16x16x16_bf16 a[0:3], v[46:47], v[130:131], 0
	ds_read2st64_b64 v[48:51], v105 offset0:2 offset1:4
	s_add_i32 s5, s60, s66
	s_mul_hi_i32 s37, s5, s29
	s_waitcnt lgkmcnt(1)
	v_mfma_f32_16x16x16_bf16 a[4:7], v[46:47], v[42:43], 0
	ds_read_b64 v[46:47], v116
	s_mul_i32 s5, s5, s29
	s_add_u32 s36, s5, s33
	s_waitcnt lgkmcnt(1)
	v_mfma_f32_16x16x16_bf16 a[4:7], v[132:133], v[48:49], a[4:7]
	s_addc_u32 s37, s37, s48
	s_lshl_b64 s[36:37], s[36:37], 15
	s_mul_i32 s39, s67, s29
	s_mul_hi_i32 s5, s67, s29
	s_add_u32 s46, s39, s33
	v_mfma_f32_16x16x16_bf16 a[8:11], v[134:135], v[50:51], a[4:7]
	s_addc_u32 s47, s5, s48
	ds_read2st64_b64 v[126:129], v104 offset0:4 offset1:6
	s_lshl_b64 s[46:47], s[46:47], 9
	s_waitcnt lgkmcnt(1)
	v_mfma_f32_16x16x16_bf16 a[4:7], v[46:47], v[130:131], 0
	s_add_u32 s46, s8, s46
	s_addc_u32 s47, s9, s47
	v_mfma_f32_16x16x16_bf16 a[0:3], v[132:133], v[44:45], a[0:3]
	ds_read_b64 v[132:133], v117
	ds_read_b64 v[140:141], v118
	;; [unrolled: 1-line block ×3, first 2 shown]
	v_mfma_f32_16x16x16_bf16 a[12:15], v[46:47], v[42:43], 0
	s_waitcnt lgkmcnt(2)
	v_mfma_f32_16x16x16_bf16 a[4:7], v[132:133], v[44:45], a[4:7]
	global_load_dwordx4 v[42:45], v115, s[46:47]
	v_mfma_f32_16x16x16_bf16 a[12:15], v[132:133], v[48:49], a[12:15]
	global_load_dwordx4 v[46:49], v61, s[46:47]
	ds_read2st64_b64 v[130:133], v106 offset1:8
	s_waitcnt lgkmcnt(0)
	v_mov_b32_e32 v138, v130
	v_mfma_f32_16x16x16_bf16 a[0:3], v[134:135], v[126:127], a[0:3]
	ds_read2st64_b64 v[134:137], v107 offset1:8
	v_mov_b32_e32 v139, v131
	v_mfma_f32_16x16x16_bf16 a[16:19], v[140:141], v[126:127], a[4:7]
	v_lshl_add_u64 v[126:127], v[68:69], 0, s[36:37]
	v_mfma_f32_16x16x16_bf16 a[20:23], v[140:141], v[50:51], a[12:15]
	v_add_co_u32_e32 v50, vcc, s41, v126
	s_waitcnt lgkmcnt(0)
	v_mov_b32_e32 v140, v134
	v_mfma_f32_16x16x16_bf16 a[4:7], v[142:143], v[128:129], a[0:3]
	v_mov_b32_e32 v141, v135
	v_mov_b32_e32 v134, v132
	;; [unrolled: 1-line block ×3, first 2 shown]
	v_mfma_f32_16x16x16_bf16 a[8:11], v[142:143], v[144:145], a[8:11]
	v_addc_co_u32_e32 v51, vcc, 0, v127, vcc
	global_store_dwordx4 v[50:51], v[134:137], off
	v_mfma_f32_16x16x16_bf16 a[12:15], v[146:147], v[128:129], a[16:19]
	s_and_b64 vcc, exec, s[0:1]
	global_store_dwordx4 v[126:127], v[138:141], off
	s_waitcnt vmcnt(3)
	v_mov_b32_e32 v52, v45
	v_mfma_f32_16x16x16_bf16 a[0:3], v[146:147], v[144:145], a[20:23]
	v_mov_b32_e32 v51, v44
	v_mov_b32_e32 v50, v43
	s_cbranch_vccnz .LBB321_17
; %bb.16:                               ;   in Loop: Header=BB321_7 Depth=1
	v_lshrrev_b32_e32 v43, 3, v123
	v_and_b32_e32 v43, 6, v43
	v_xor_b32_e32 v44, v43, v124
	v_lshlrev_b32_e32 v44, 2, v44
	v_and_b32_e32 v45, 8, v123
	v_xor_b32_e32 v123, 0x440, v44
	v_cmp_eq_u32_e32 vcc, 0, v45
	v_perm_b32 v45, v30, v26, s64
	s_nop 0
	v_cndmask_b32_e32 v44, v123, v44, vcc
	v_lshl_or_b32 v43, v43, 10, v44
	v_perm_b32 v44, v38, v34, s64
	s_barrier
	ds_write2st64_b32 v43, v44, v45 offset0:32 offset1:64
	v_xor_b32_e32 v44, 8, v43
	v_perm_b32 v34, v38, v34, s65
	v_perm_b32 v26, v30, v26, s65
	v_add_u32_e32 v30, 0x80, v44
	ds_write2st64_b32 v30, v34, v26 offset0:32 offset1:64
	v_xor_b32_e32 v26, 16, v43
	v_perm_b32 v30, v39, v35, s64
	v_perm_b32 v34, v31, v27, s64
	ds_write2st64_b32 v26, v30, v34 offset0:33 offset1:65
	v_xor_b32_e32 v26, 24, v43
	v_perm_b32 v30, v39, v35, s65
	v_perm_b32 v27, v31, v27, s65
	v_add_u32_e32 v26, 0x80, v26
	ds_write2st64_b32 v26, v30, v27 offset0:33 offset1:65
	v_xor_b32_e32 v26, 32, v43
	v_perm_b32 v27, v40, v36, s64
	v_perm_b32 v30, v32, v28, s64
	;; [unrolled: 9-line block ×3, first 2 shown]
	ds_write2st64_b32 v26, v27, v28 offset0:35 offset1:67
	v_xor_b32_e32 v26, 56, v43
	v_perm_b32 v27, v41, v37, s65
	v_perm_b32 v28, v33, v29, s65
	v_add_u32_e32 v26, 0x80, v26
	ds_write2st64_b32 v26, v27, v28 offset0:35 offset1:67
	ds_write_b64 v122, v[22:23] offset:24576
	v_xor_b32_e32 v22, 8, v122
	ds_write_b64 v22, v[24:25] offset:24576
	ds_write_b64 v122, v[18:19] offset:32768
	ds_write_b64 v22, v[20:21] offset:32768
	ds_write_b64 v121, v[14:15] offset:24576
	v_xor_b32_e32 v14, 8, v121
	ds_write_b64 v14, v[16:17] offset:24576
	ds_write_b64 v121, v[10:11] offset:32768
	;; [unrolled: 1-line block ×3, first 2 shown]
.LBB321_17:                             ;   in Loop: Header=BB321_7 Depth=1
	v_mul_f32_e32 v14, s4, v120
	v_exp_f32_e32 v26, v14
	s_waitcnt vmcnt(2)
	v_mul_f32_e32 v14, 0x3fb8aa3b, v46
	v_exp_f32_e32 v28, v14
	v_mul_f32_e32 v14, 0x3fb8aa3b, v47
	v_exp_f32_e32 v29, v14
	;; [unrolled: 2-line block ×4, first 2 shown]
	v_accvgpr_read_b32 v21, a7
	v_accvgpr_read_b32 v19, a5
	;; [unrolled: 1-line block ×4, first 2 shown]
	v_pk_mul_f32 v[28:29], v[26:27], v[28:29] op_sel_hi:[0,1]
	v_accvgpr_read_b32 v12, a10
	v_pk_fma_f32 v[2:3], v[2:3], v[28:29], v[18:19]
	v_pk_mul_f32 v[18:19], v[26:27], v[30:31] op_sel_hi:[0,1]
	v_accvgpr_read_b32 v20, a6
	v_accvgpr_read_b32 v11, a9
	;; [unrolled: 1-line block ×3, first 2 shown]
	v_fma_f32 v78, v78, v18, v12
	v_mul_f32_e32 v12, 0x3fb8aa3b, v51
	v_pk_fma_f32 v[4:5], v[4:5], v[18:19], v[20:21]
	v_fma_f32 v76, v76, v28, v10
	v_fma_f32 v77, v77, v29, v11
	v_mul_f32_e32 v10, 0x3fb8aa3b, v42
	v_mul_f32_e32 v11, 0x3fb8aa3b, v50
	v_exp_f32_e32 v20, v12
	v_mul_f32_e32 v12, 0x3fb8aa3b, v52
	v_exp_f32_e32 v10, v10
	v_exp_f32_e32 v11, v11
	;; [unrolled: 1-line block ×3, first 2 shown]
	v_accvgpr_read_b32 v25, a15
	v_accvgpr_read_b32 v17, a3
	;; [unrolled: 1-line block ×8, first 2 shown]
	v_fmac_f32_e32 v13, v87, v19
	v_pk_mul_f32 v[10:11], v[26:27], v[10:11] op_sel_hi:[0,1]
	v_pk_mul_f32 v[18:19], v[26:27], v[20:21] op_sel_hi:[0,1]
	s_add_i32 s61, s61, 64
	v_pk_fma_f32 v[6:7], v[6:7], v[10:11], v[22:23]
	v_pk_fma_f32 v[8:9], v[8:9], v[18:19], v[24:25]
	v_fma_f32 v79, v79, v10, v14
	v_fma_f32 v80, v80, v11, v15
	;; [unrolled: 1-line block ×3, first 2 shown]
	s_cmp_eq_u32 s55, s43
	v_fmac_f32_e32 v17, v84, v19
	s_cbranch_scc1 .LBB321_19
; %bb.18:                               ;   in Loop: Header=BB321_7 Depth=1
	s_mov_b32 s66, s43
	v_mov_b32_e32 v87, v13
	v_mov_b32_e32 v84, v17
	s_branch .LBB321_7
.LBB321_19:
	v_mov_b32_e32 v16, v81
	v_mov_b32_e32 v15, v80
	;; [unrolled: 1-line block ×3, first 2 shown]
.LBB321_20:
	s_lshl_b32 s0, s55, 6
	s_sub_i32 s46, s56, s0
	v_mov_b32_e32 v12, v78
	v_mov_b32_e32 v11, v77
	;; [unrolled: 1-line block ×3, first 2 shown]
	s_cmp_gt_i32 s46, 0
	s_cbranch_scc0 .LBB321_85
; %bb.21:
	s_add_i32 s34, s0, s34
	s_ashr_i32 s3, s34, 31
	s_cmpk_lg_i32 s31, 0x80
	s_cselect_b64 s[38:39], -1, 0
	s_and_b64 vcc, exec, s[38:39]
	s_cbranch_vccz .LBB321_23
; %bb.22:
	s_mul_i32 s1, s34, s30
	s_ashr_i32 s4, s57, 31
	s_mul_hi_i32 s0, s34, s30
	s_add_u32 s44, s1, s57
	s_addc_u32 s45, s0, s4
	s_cbranch_execz .LBB321_24
	s_branch .LBB321_25
.LBB321_23:
                                        ; implicit-def: $sgpr44_sgpr45
.LBB321_24:
	s_mul_i32 s1, s57, s28
	s_mul_hi_i32 s0, s57, s28
	s_add_u32 s44, s1, s34
	s_addc_u32 s45, s0, s3
.LBB321_25:
	s_waitcnt lgkmcnt(0)
	s_add_i32 s4, s55, s60
	s_add_u32 s0, s59, s34
	v_lshlrev_b32_e32 v22, 5, v74
	v_lshlrev_b32_e32 v38, 2, v71
	s_addc_u32 s1, s58, s3
	s_mov_b32 s3, 0x7060302
	v_or_b32_e32 v25, v22, v38
	v_xor_b32_e32 v23, v74, v38
	v_perm_b32 v19, v5, v4, s3
	v_perm_b32 v18, v3, v2, s3
	;; [unrolled: 1-line block ×4, first 2 shown]
	v_lshlrev_b32_e32 v25, 1, v25
	v_xor_b32_e32 v24, v75, v38
	ds_write2st64_b64 v25, v[18:19], v[20:21] offset0:80 offset1:88
	v_lshlrev_b32_e32 v23, 1, v23
	v_lshlrev_b32_e32 v25, 8, v71
	s_lshl_b64 s[36:37], s[0:1], 8
	v_or_b32_e32 v26, v23, v25
	v_lshlrev_b32_e32 v24, 1, v24
	s_add_u32 s0, s18, s36
	ds_write_b64 v26, v[18:19]
	v_or_b32_e32 v18, v24, v25
	s_addc_u32 s1, s19, s37
	ds_write_b64 v18, v[20:21]
	v_perm_b32 v19, v13, v12, s3
	v_perm_b32 v18, v11, v10, s3
	;; [unrolled: 1-line block ×4, first 2 shown]
	v_or_b32_e32 v25, 16, v71
	s_mul_hi_i32 s3, s4, s29
	s_mul_i32 s4, s4, s29
	v_lshlrev_b32_e32 v35, 2, v25
	s_add_u32 s4, s4, s33
	v_or_b32_e32 v22, v22, v35
	s_addc_u32 s5, s3, s48
	v_lshlrev_b32_e32 v22, 1, v22
	s_ashr_i32 s3, s2, 31
	s_lshl_b64 s[4:5], s[4:5], 15
	ds_write2st64_b64 v22, v[18:19], v[20:21] offset0:80 offset1:88
	v_lshlrev_b32_e32 v22, 8, v25
	s_add_u32 s4, s12, s4
	v_or_b32_e32 v23, v23, v22
	s_addc_u32 s5, s13, s5
	s_lshl_b64 s[2:3], s[2:3], 8
	ds_write_b64 v23, v[18:19]
	v_or_b32_e32 v18, v24, v22
	s_add_u32 s2, s4, s2
	ds_write_b64 v18, v[20:21]
	v_lshrrev_b32_e32 v18, 4, v0
	s_addc_u32 s3, s5, s3
	v_lshlrev_b32_e32 v19, 1, v71
	v_lshlrev_b32_e32 v26, 4, v71
	v_mov_b32_e32 v27, 0
	v_or_b32_e32 v20, 1, v19
	v_xor_b32_e32 v19, v18, v19
	v_lshl_add_u64 v[28:29], s[2:3], 0, v[26:27]
	v_lshlrev_b32_e32 v26, 8, v18
	v_xor_b32_e32 v22, v20, v18
	v_lshl_or_b32 v18, v19, 3, v26
	s_waitcnt lgkmcnt(0)
	s_barrier
	ds_read2st64_b64 v[18:21], v18 offset1:8
	v_lshl_or_b32 v22, v22, 3, v26
	ds_read2st64_b64 v[22:25], v22 offset1:8
	v_lshl_add_u64 v[30:31], v[28:29], 0, v[26:27]
	s_movk_i32 s2, 0x1000
	s_waitcnt lgkmcnt(1)
	v_mov_b32_e32 v26, v18
	v_add_co_u32_e32 v18, vcc, s2, v30
	s_cmp_lg_u32 s46, 64
	v_mov_b32_e32 v27, v19
	v_addc_co_u32_e32 v19, vcc, 0, v31, vcc
	s_cselect_b64 s[18:19], -1, 0
	v_lshl_or_b32 v42, v1, 3, v73
	s_waitcnt lgkmcnt(0)
	v_mov_b32_e32 v28, v22
	v_mov_b32_e32 v29, v23
	;; [unrolled: 1-line block ×4, first 2 shown]
	s_mov_b32 s4, 0
	v_or_b32_e32 v36, 32, v42
	v_and_b32_e32 v34, 56, v72
	s_and_b64 vcc, exec, s[18:19]
	global_store_dwordx4 v[30:31], v[26:29], off
	global_store_dwordx4 v[18:19], v[22:25], off
	s_cbranch_vccz .LBB321_31
; %bb.26:
	s_mov_b32 s6, s4
	s_mov_b32 s7, s4
	;; [unrolled: 1-line block ×3, first 2 shown]
	v_mov_b64_e32 v[24:25], s[6:7]
	v_mov_b64_e32 v[22:23], s[4:5]
	;; [unrolled: 1-line block ×3, first 2 shown]
	v_cmp_gt_i32_e32 vcc, s46, v42
	v_mov_b64_e32 v[20:21], v[24:25]
	s_and_saveexec_b64 s[2:3], vcc
	s_cbranch_execz .LBB321_28
; %bb.27:
	v_lshlrev_b32_e32 v18, 8, v42
	v_mov_b32_e32 v19, 0
	v_lshl_add_u64 v[20:21], s[0:1], 0, v[18:19]
	v_lshlrev_b32_e32 v18, 1, v34
	v_lshl_add_u64 v[26:27], v[20:21], 0, v[18:19]
	global_load_dwordx4 v[22:25], v[26:27], off
	global_load_dwordx4 v[18:21], v[26:27], off offset:128
.LBB321_28:
	s_or_b64 exec, exec, s[2:3]
	s_mov_b32 s6, s4
	s_mov_b32 s7, s4
	;; [unrolled: 1-line block ×3, first 2 shown]
	v_mov_b64_e32 v[32:33], s[6:7]
	v_mov_b64_e32 v[30:31], s[4:5]
	;; [unrolled: 1-line block ×3, first 2 shown]
	v_cmp_gt_i32_e32 vcc, s46, v36
	v_lshlrev_b32_e32 v37, 7, v36
	v_mov_b64_e32 v[28:29], v[32:33]
	s_and_saveexec_b64 s[2:3], vcc
	s_cbranch_execz .LBB321_30
; %bb.29:
	v_lshlrev_b32_e32 v26, 1, v37
	v_mov_b32_e32 v27, 0
	v_lshl_add_u64 v[28:29], s[0:1], 0, v[26:27]
	v_lshlrev_b32_e32 v26, 1, v34
	v_lshl_add_u64 v[40:41], v[28:29], 0, v[26:27]
	global_load_dwordx4 v[30:33], v[40:41], off
	global_load_dwordx4 v[26:29], v[40:41], off offset:128
.LBB321_30:
	s_or_b64 exec, exec, s[2:3]
	v_lshrrev_b32_e32 v39, 3, v34
	v_lshlrev_b32_e32 v40, 3, v42
	v_or_b32_e32 v39, v40, v39
	v_lshlrev_b32_e32 v39, 4, v39
	v_and_b32_e32 v40, 0x78, v40
	v_xor_b32_e32 v39, v39, v40
	s_branch .LBB321_33
.LBB321_31:
                                        ; implicit-def: $vgpr39
                                        ; implicit-def: $vgpr37
                                        ; implicit-def: $vgpr22_vgpr23_vgpr24_vgpr25
                                        ; implicit-def: $vgpr18_vgpr19_vgpr20_vgpr21
                                        ; implicit-def: $vgpr30_vgpr31_vgpr32_vgpr33
                                        ; implicit-def: $vgpr26_vgpr27_vgpr28_vgpr29
	s_cbranch_execz .LBB321_33
; %bb.32:
	s_waitcnt vmcnt(0)
	v_lshlrev_b32_e32 v18, 1, v34
	v_lshl_or_b32 v37, v42, 8, v18
	s_and_b32 s1, s1, 0xffff
	s_mov_b32 s3, 0x20000
	s_movk_i32 s2, 0x4000
	v_lshl_or_b32 v39, v36, 8, v18
	s_movk_i32 s4, 0x80
	buffer_load_dwordx4 v[22:25], v37, s[0:3], 0 offen
	buffer_load_dwordx4 v[18:21], v37, s[0:3], s4 offen
	;; [unrolled: 1-line block ×4, first 2 shown]
	v_lshrrev_b32_e32 v37, 3, v34
	v_lshlrev_b32_e32 v39, 3, v42
	v_or_b32_e32 v37, v39, v37
	v_lshlrev_b32_e32 v37, 4, v37
	v_and_b32_e32 v39, 0x78, v39
	v_xor_b32_e32 v39, v37, v39
	v_lshlrev_b32_e32 v37, 7, v36
.LBB321_33:
	s_lshl_b64 s[0:1], s[44:45], 8
	s_add_u32 s4, s16, s0
	s_movk_i32 s0, 0x1000
	v_and_or_b32 v36, v37, s0, v39
	s_waitcnt vmcnt(1)
	ds_write_b64 v39, v[22:23] offset:24576
	v_xor_b32_e32 v22, 8, v39
	ds_write_b64 v22, v[24:25] offset:24576
	s_waitcnt vmcnt(0)
	ds_write_b64 v39, v[18:19] offset:32768
	ds_write_b64 v22, v[20:21] offset:32768
	;; [unrolled: 1-line block ×3, first 2 shown]
	v_xor_b32_e32 v18, 8, v36
	ds_write_b64 v18, v[32:33] offset:24576
	ds_write_b64 v36, v[26:27] offset:32768
	ds_write_b64 v18, v[28:29] offset:32768
	v_or_b32_e32 v18, v53, v71
	v_lshlrev_b32_e32 v18, 3, v18
	v_lshrrev_b32_e32 v19, 5, v55
	s_movk_i32 s2, 0xf8
	v_and_or_b32 v19, v18, s2, v19
	v_lshlrev_b32_e32 v23, 4, v19
	v_lshlrev_b32_e32 v39, 11, v1
	v_and_b32_e32 v24, 0x78, v18
	v_or_b32_e32 v26, 32, v23
	v_and_b32_e32 v22, 0x1000, v39
	v_lshrrev_b32_e32 v19, 1, v55
	v_xor_b32_e32 v26, v26, v24
	v_xor_b32_e32 v18, v23, v24
	v_and_b32_e32 v25, 8, v19
	v_or_b32_e32 v26, v26, v22
	v_or_b32_e32 v18, v18, v22
	v_xor_b32_e32 v44, v26, v25
	v_or_b32_e32 v26, 64, v23
	v_xor_b32_e32 v43, v18, v25
	v_xor_b32_e32 v26, v26, v24
	s_waitcnt lgkmcnt(0)
	s_barrier
	v_or_b32_e32 v28, v26, v22
	ds_read_b64 v[26:27], v43 offset:24576
	v_lshl_or_b32 v36, v70, 7, v38
	v_lshlrev_b32_e32 v40, 1, v36
	v_add_u32_e32 v18, 0xa000, v40
	ds_read2_b64 v[18:21], v18 offset1:16
	v_or_b32_e32 v23, 0x60, v23
	v_xor_b32_e32 v23, v23, v24
	s_waitcnt lgkmcnt(0)
	v_mfma_f32_16x16x16_bf16 a[0:3], v[26:27], v[18:19], 0
	v_or_b32_e32 v18, 64, v36
	v_or_b32_e32 v22, v23, v22
	v_lshlrev_b32_e32 v41, 1, v18
	v_xor_b32_e32 v45, v28, v25
	v_xor_b32_e32 v46, v22, v25
	ds_read_b64 v[28:29], v44 offset:24576
	ds_read_b64 v[30:31], v45 offset:24576
	;; [unrolled: 1-line block ×3, first 2 shown]
	v_mfma_f32_16x16x16_bf16 a[4:7], v[26:27], v[20:21], 0
	ds_read2st64_b64 v[18:21], v41 offset0:82 offset1:84
	ds_read2st64_b64 v[22:25], v40 offset0:82 offset1:84
	s_addc_u32 s5, s17, s1
	s_add_i32 s0, s50, s49
	s_add_i32 s16, s35, -1
	s_add_i32 s41, s0, s51
	s_add_i32 s0, s53, s52
	;; [unrolled: 1-line block ×3, first 2 shown]
	s_ashr_i32 s0, s16, 31
	s_mul_i32 s1, s16, s11
	s_mul_hi_u32 s2, s16, s10
	s_add_i32 s1, s2, s1
	s_mul_i32 s0, s0, s10
	s_waitcnt lgkmcnt(1)
	v_mfma_f32_16x16x16_bf16 a[4:7], v[28:29], v[18:19], a[4:7]
	s_add_i32 s1, s1, s0
	s_lshl_b64 s[2:3], s[40:41], 2
	s_add_u32 s6, s22, s2
	s_waitcnt lgkmcnt(0)
	v_mfma_f32_16x16x16_bf16 a[0:3], v[28:29], v[22:23], a[0:3]
	s_addc_u32 s7, s23, s3
	s_lshl_b64 s[2:3], s[42:43], 2
	s_mul_i32 s0, s16, s10
	s_add_u32 s12, s6, s2
	ds_read_b64 v[18:19], v40 offset:44032
	v_mfma_f32_16x16x16_bf16 a[4:7], v[30:31], v[20:21], a[4:7]
	ds_read_b64 v[20:21], v41 offset:44032
	s_addc_u32 s13, s7, s3
	s_lshl_b64 s[0:1], s[0:1], 2
	v_mfma_f32_16x16x16_bf16 a[0:3], v[30:31], v[24:25], a[0:3]
	s_add_u32 s0, s12, s0
	s_addc_u32 s1, s13, s1
	s_load_dword s17, s[0:1], 0x0
	s_waitcnt lgkmcnt(0)
	v_mfma_f32_16x16x16_bf16 a[0:3], v[32:33], v[18:19], a[0:3]
	s_and_b64 vcc, exec, s[38:39]
	v_mfma_f32_16x16x16_bf16 a[4:7], v[32:33], v[20:21], a[4:7]
	s_cbranch_vccz .LBB321_44
; %bb.34:
	v_lshlrev_b32_e32 v36, 1, v42
	s_and_b64 vcc, exec, s[18:19]
	s_cbranch_vccz .LBB321_45
; %bb.35:
	v_cmp_gt_i32_e32 vcc, s46, v36
	v_mov_b32_e32 v22, 0
	v_mov_b32_e32 v18, 0
	;; [unrolled: 1-line block ×5, first 2 shown]
	s_and_saveexec_b64 s[0:1], vcc
	s_cbranch_execz .LBB321_37
; %bb.36:
	v_mad_i64_i32 v[18:19], s[2:3], s31, v36, 0
	v_lshl_add_u64 v[18:19], v[18:19], 1, s[4:5]
	v_lshlrev_b32_e32 v20, 1, v34
	v_mov_b32_e32 v21, 0
	v_lshl_add_u64 v[18:19], v[18:19], 0, v[20:21]
	global_load_dwordx4 v[18:21], v[18:19], off
.LBB321_37:
	s_or_b64 exec, exec, s[0:1]
	v_or_b32_e32 v37, 1, v36
	v_cmp_gt_i32_e64 s[0:1], s46, v37
	v_mov_b32_e32 v23, 0
	v_mov_b32_e32 v24, 0
	;; [unrolled: 1-line block ×3, first 2 shown]
	s_and_saveexec_b64 s[2:3], s[0:1]
	s_cbranch_execz .LBB321_39
; %bb.38:
	v_mad_i64_i32 v[22:23], s[6:7], s31, v37, 0
	v_lshl_add_u64 v[22:23], v[22:23], 1, s[4:5]
	v_lshlrev_b32_e32 v24, 1, v34
	v_mov_b32_e32 v25, 0
	v_lshl_add_u64 v[22:23], v[22:23], 0, v[24:25]
	global_load_dwordx4 v[22:25], v[22:23], off
.LBB321_39:
	s_or_b64 exec, exec, s[2:3]
	v_mov_b32_e32 v33, 0
	v_mov_b32_e32 v26, 0
	;; [unrolled: 1-line block ×5, first 2 shown]
	s_and_saveexec_b64 s[2:3], vcc
	s_cbranch_execz .LBB321_41
; %bb.40:
	v_mad_i64_i32 v[26:27], s[6:7], s31, v36, 0
	v_lshl_add_u64 v[26:27], v[26:27], 1, s[4:5]
	v_lshlrev_b32_e32 v28, 1, v34
	v_mov_b32_e32 v29, 0
	v_lshl_add_u64 v[26:27], v[26:27], 0, v[28:29]
	global_load_dwordx4 v[26:29], v[26:27], off offset:128
.LBB321_41:
	s_or_b64 exec, exec, s[2:3]
	v_mov_b32_e32 v32, 0
	v_mov_b32_e32 v31, 0
	;; [unrolled: 1-line block ×3, first 2 shown]
	s_and_saveexec_b64 s[2:3], s[0:1]
	s_cbranch_execz .LBB321_43
; %bb.42:
	v_mad_i64_i32 v[30:31], s[0:1], s31, v37, 0
	v_lshl_add_u64 v[30:31], v[30:31], 1, s[4:5]
	v_lshlrev_b32_e32 v32, 1, v34
	v_mov_b32_e32 v33, 0
	v_lshl_add_u64 v[30:31], v[30:31], 0, v[32:33]
	global_load_dwordx4 v[30:33], v[30:31], off offset:128
.LBB321_43:
	s_or_b64 exec, exec, s[2:3]
	s_branch .LBB321_47
.LBB321_44:
                                        ; implicit-def: $vgpr21
                                        ; implicit-def: $vgpr25
                                        ; implicit-def: $vgpr29
                                        ; implicit-def: $vgpr33
	v_lshrrev_b32_e32 v47, 2, v55
	s_branch .LBB321_48
.LBB321_45:
                                        ; implicit-def: $vgpr21
                                        ; implicit-def: $vgpr25
                                        ; implicit-def: $vgpr29
                                        ; implicit-def: $vgpr33
	s_cbranch_execz .LBB321_47
; %bb.46:
	s_waitcnt vmcnt(0)
	v_mad_u64_u32 v[18:19], s[0:1], v36, s31, v[34:35]
	v_lshlrev_b32_e32 v36, 1, v18
	s_lshl_b32 s2, s31, 7
	s_and_b32 s1, s5, 0xffff
	s_mov_b32 s3, 0x20000
	s_mov_b32 s0, s4
	v_add_lshl_u32 v37, v18, s31, 1
	s_movk_i32 s6, 0x80
	buffer_load_dwordx4 v[18:21], v36, s[0:3], 0 offen
	buffer_load_dwordx4 v[26:29], v36, s[0:3], s6 offen
	;; [unrolled: 1-line block ×4, first 2 shown]
.LBB321_47:
	v_lshrrev_b32_e32 v47, 2, v55
	s_cbranch_execnz .LBB321_60
.LBB321_48:
	s_and_b64 vcc, exec, s[18:19]
	s_cbranch_vccz .LBB321_58
; %bb.49:
	s_waitcnt vmcnt(0)
	v_lshlrev_b32_e32 v23, 1, v42
	v_cmp_gt_i32_e32 vcc, s46, v23
	v_mov_b32_e32 v22, 0
	v_lshlrev_b32_e32 v30, 9, v42
	v_mov_b32_e32 v18, 0
	v_mov_b32_e32 v19, 0
	;; [unrolled: 1-line block ×4, first 2 shown]
	s_and_saveexec_b64 s[0:1], vcc
	s_cbranch_execz .LBB321_51
; %bb.50:
	v_mov_b32_e32 v31, 0
	v_lshl_add_u64 v[18:19], s[4:5], 0, v[30:31]
	v_lshlrev_b32_e32 v20, 1, v34
	v_mov_b32_e32 v21, v31
	v_lshl_add_u64 v[18:19], v[18:19], 0, v[20:21]
	global_load_dwordx4 v[18:21], v[18:19], off
.LBB321_51:
	s_or_b64 exec, exec, s[0:1]
	v_or_b32_e32 v23, 1, v23
	v_cmp_gt_i32_e64 s[0:1], s46, v23
	v_lshlrev_b32_e32 v36, 8, v23
	v_mov_b32_e32 v23, 0
	v_mov_b32_e32 v24, 0
	;; [unrolled: 1-line block ×3, first 2 shown]
	s_and_saveexec_b64 s[2:3], s[0:1]
	s_cbranch_execz .LBB321_53
; %bb.52:
	v_mov_b32_e32 v37, 0
	v_lshl_add_u64 v[22:23], s[4:5], 0, v[36:37]
	v_lshlrev_b32_e32 v24, 1, v34
	v_mov_b32_e32 v25, v37
	v_lshl_add_u64 v[22:23], v[22:23], 0, v[24:25]
	global_load_dwordx4 v[22:25], v[22:23], off
.LBB321_53:
	s_or_b64 exec, exec, s[2:3]
	v_mov_b32_e32 v33, 0
	v_mov_b32_e32 v26, 0
	;; [unrolled: 1-line block ×5, first 2 shown]
	s_and_saveexec_b64 s[2:3], vcc
	s_cbranch_execz .LBB321_55
; %bb.54:
	v_mov_b32_e32 v31, 0
	v_lshl_add_u64 v[26:27], s[4:5], 0, v[30:31]
	v_lshlrev_b32_e32 v30, 1, v34
	v_lshl_add_u64 v[26:27], v[26:27], 0, v[30:31]
	global_load_dwordx4 v[26:29], v[26:27], off offset:128
.LBB321_55:
	s_or_b64 exec, exec, s[2:3]
	v_mov_b32_e32 v32, 0
	v_mov_b32_e32 v31, 0
	;; [unrolled: 1-line block ×3, first 2 shown]
	s_and_saveexec_b64 s[2:3], s[0:1]
	s_cbranch_execz .LBB321_57
; %bb.56:
	v_mov_b32_e32 v37, 0
	v_lshl_add_u64 v[30:31], s[4:5], 0, v[36:37]
	v_lshlrev_b32_e32 v36, 1, v34
	v_lshl_add_u64 v[30:31], v[30:31], 0, v[36:37]
	global_load_dwordx4 v[30:33], v[30:31], off offset:128
.LBB321_57:
	s_or_b64 exec, exec, s[2:3]
	s_branch .LBB321_60
.LBB321_58:
                                        ; implicit-def: $vgpr21
                                        ; implicit-def: $vgpr25
                                        ; implicit-def: $vgpr29
                                        ; implicit-def: $vgpr33
	s_cbranch_execz .LBB321_60
; %bb.59:
	s_waitcnt vmcnt(0)
	v_lshlrev_b32_e32 v18, 1, v34
	v_lshl_or_b32 v34, v42, 9, v18
	s_and_b32 s5, s5, 0xffff
	s_mov_b32 s7, 0x20000
	s_movk_i32 s6, 0x4000
	s_movk_i32 s0, 0x80
	buffer_load_dwordx4 v[18:21], v34, s[4:7], 0 offen
	buffer_load_dwordx4 v[22:25], v34, s[4:7], 0 offen offset:256
	buffer_load_dwordx4 v[26:29], v34, s[4:7], s0 offen
	buffer_load_dwordx4 v[30:33], v34, s[4:7], s0 offen offset:256
.LBB321_60:
	ds_read_b64 v[36:37], v43 offset:32768
	v_add_u32_e32 v34, 0xb000, v40
	ds_read2_b64 v[48:51], v34 offset1:16
	ds_read_b64 v[66:67], v44 offset:32768
	ds_read_b64 v[44:45], v45 offset:32768
	;; [unrolled: 1-line block ×3, first 2 shown]
	ds_read2st64_b64 v[62:65], v41 offset0:90 offset1:92
	v_and_b32_e32 v43, 6, v0
	v_and_b32_e32 v34, 12, v47
	v_xor_b32_e32 v42, v42, v43
	v_lshlrev_b32_e32 v42, 2, v42
	s_mov_b32 s0, 0x1000504
	s_waitcnt lgkmcnt(4)
	v_mfma_f32_16x16x16_bf16 a[0:3], v[36:37], v[48:49], a[0:3]
	s_mov_b32 s1, 0x3020706
	v_mfma_f32_16x16x16_bf16 a[4:7], v[36:37], v[50:51], a[4:7]
	ds_read2st64_b64 v[48:51], v40 offset0:90 offset1:92
	ds_read_b64 v[36:37], v40 offset:48128
	ds_read_b64 v[46:47], v41 offset:48128
	s_waitcnt lgkmcnt(2)
	v_mfma_f32_16x16x16_bf16 a[0:3], v[66:67], v[48:49], a[0:3]
	v_and_b32_e32 v48, 1, v0
	v_xor_b32_e32 v49, 0x440, v42
	v_cmp_eq_u32_e32 vcc, 0, v48
	v_mfma_f32_16x16x16_bf16 a[4:7], v[66:67], v[62:63], a[4:7]
	s_nop 0
	v_cndmask_b32_e32 v42, v49, v42, vcc
	v_lshl_or_b32 v42, v43, 10, v42
	v_mfma_f32_16x16x16_bf16 a[0:3], v[44:45], v[50:51], a[0:3]
	v_mov_b32_e32 v43, 0
	v_mfma_f32_16x16x16_bf16 a[8:11], v[44:45], v[64:65], a[4:7]
	s_waitcnt lgkmcnt(1)
	v_mfma_f32_16x16x16_bf16 a[4:7], v[68:69], v[36:37], a[0:3]
	s_waitcnt vmcnt(0)
	v_perm_b32 v36, v18, v22, s0
	v_perm_b32 v37, v26, v30, s0
	ds_write2st64_b32 v42, v36, v37 offset0:32 offset1:64
	v_xor_b32_e32 v36, 8, v42
	v_perm_b32 v18, v18, v22, s1
	v_perm_b32 v22, v26, v30, s1
	v_add_u32_e32 v26, 0x80, v36
	ds_write2st64_b32 v26, v18, v22 offset0:32 offset1:64
	v_xor_b32_e32 v18, 16, v42
	v_perm_b32 v22, v19, v23, s0
	v_perm_b32 v26, v27, v31, s0
	ds_write2st64_b32 v18, v22, v26 offset0:33 offset1:65
	v_xor_b32_e32 v18, 24, v42
	v_perm_b32 v19, v19, v23, s1
	v_perm_b32 v22, v27, v31, s1
	v_add_u32_e32 v18, 0x80, v18
	ds_write2st64_b32 v18, v19, v22 offset0:33 offset1:65
	v_xor_b32_e32 v18, 32, v42
	v_perm_b32 v19, v20, v24, s0
	v_perm_b32 v22, v28, v32, s0
	ds_write2st64_b32 v18, v19, v22 offset0:34 offset1:66
	v_xor_b32_e32 v18, 40, v42
	s_waitcnt lgkmcnt(5)
	v_mfma_f32_16x16x16_bf16 a[0:3], v[68:69], v[46:47], a[8:11]
	v_perm_b32 v19, v20, v24, s1
	v_perm_b32 v20, v28, v32, s1
	v_add_u32_e32 v18, 0x80, v18
	ds_write2st64_b32 v18, v19, v20 offset0:34 offset1:66
	v_xor_b32_e32 v18, 48, v42
	v_perm_b32 v19, v21, v25, s0
	v_perm_b32 v20, v29, v33, s0
	ds_write2st64_b32 v18, v19, v20 offset0:35 offset1:67
	v_xor_b32_e32 v18, 56, v42
	v_or_b32_e32 v36, v34, v53
	v_perm_b32 v19, v21, v25, s1
	v_perm_b32 v20, v29, v33, s1
	v_add_u32_e32 v18, 0x80, v18
	v_cmp_gt_i32_e32 vcc, s46, v36
	v_mov_b32_e32 v37, 0
	ds_write2st64_b32 v18, v19, v20 offset0:35 offset1:67
	s_and_saveexec_b64 s[0:1], vcc
	s_cbranch_execz .LBB321_62
; %bb.61:
	v_add_u32_e32 v18, s34, v36
	v_ashrrev_i32_e32 v19, 31, v18
	v_mul_lo_u32 v20, v19, s10
	v_mul_lo_u32 v21, v18, s11
	v_mad_u64_u32 v[18:19], s[2:3], v18, s10, 0
	v_add3_u32 v19, v19, v21, v20
	v_lshl_add_u64 v[18:19], v[18:19], 2, s[12:13]
	global_load_dword v18, v[18:19], off
	s_waitcnt vmcnt(0)
	v_sub_f32_e32 v18, s17, v18
	v_mul_f32_e32 v18, 0x3fb8aa3b, v18
	v_exp_f32_e32 v43, v18
.LBB321_62:
	s_or_b64 exec, exec, s[0:1]
	v_or_b32_e32 v29, 1, v36
	v_cmp_gt_i32_e64 s[0:1], s46, v29
	s_and_saveexec_b64 s[2:3], s[0:1]
	s_cbranch_execz .LBB321_64
; %bb.63:
	v_add_u32_e32 v18, s34, v29
	v_ashrrev_i32_e32 v19, 31, v18
	v_mul_lo_u32 v20, v19, s10
	v_mul_lo_u32 v21, v18, s11
	v_mad_u64_u32 v[18:19], s[4:5], v18, s10, 0
	v_add3_u32 v19, v19, v21, v20
	v_lshl_add_u64 v[18:19], v[18:19], 2, s[12:13]
	global_load_dword v18, v[18:19], off
	s_waitcnt vmcnt(0)
	v_sub_f32_e32 v18, s17, v18
	v_mul_f32_e32 v18, 0x3fb8aa3b, v18
	v_exp_f32_e32 v37, v18
.LBB321_64:
	s_or_b64 exec, exec, s[2:3]
	v_or_b32_e32 v28, 2, v36
	v_cmp_gt_i32_e64 s[2:3], s46, v28
	v_mov_b32_e32 v42, 0
	v_mov_b32_e32 v44, 0
	s_and_saveexec_b64 s[4:5], s[2:3]
	s_cbranch_execz .LBB321_66
; %bb.65:
	v_add_u32_e32 v18, s34, v28
	v_ashrrev_i32_e32 v19, 31, v18
	v_mul_lo_u32 v20, v19, s10
	v_mul_lo_u32 v21, v18, s11
	v_mad_u64_u32 v[18:19], s[6:7], v18, s10, 0
	v_add3_u32 v19, v19, v21, v20
	v_lshl_add_u64 v[18:19], v[18:19], 2, s[12:13]
	global_load_dword v18, v[18:19], off
	s_waitcnt vmcnt(0)
	v_sub_f32_e32 v18, s17, v18
	v_mul_f32_e32 v18, 0x3fb8aa3b, v18
	v_exp_f32_e32 v44, v18
.LBB321_66:
	s_or_b64 exec, exec, s[4:5]
	v_or_b32_e32 v45, 3, v36
	v_cmp_gt_i32_e64 s[4:5], s46, v45
	s_and_saveexec_b64 s[6:7], s[4:5]
	s_cbranch_execz .LBB321_68
; %bb.67:
	v_add_u32_e32 v18, s34, v45
	v_ashrrev_i32_e32 v19, 31, v18
	v_mul_lo_u32 v20, v19, s10
	v_mul_lo_u32 v21, v18, s11
	v_mad_u64_u32 v[18:19], s[10:11], v18, s10, 0
	v_add3_u32 v19, v19, v21, v20
	v_lshl_add_u64 v[18:19], v[18:19], 2, s[12:13]
	global_load_dword v18, v[18:19], off
	s_waitcnt vmcnt(0)
	v_sub_f32_e32 v18, s17, v18
	v_mul_f32_e32 v18, 0x3fb8aa3b, v18
	v_exp_f32_e32 v42, v18
.LBB321_68:
	s_or_b64 exec, exec, s[6:7]
	s_add_u32 s6, s20, s36
	s_addc_u32 s7, s21, s37
	s_add_u32 s10, s14, s36
	v_ashrrev_i32_e32 v61, 31, v60
	v_accvgpr_read_b32 v21, a7
	s_addc_u32 s11, s15, s37
	v_lshlrev_b64 v[22:23], 1, v[60:61]
	v_accvgpr_read_b32 v20, a6
	v_accvgpr_read_b32 v19, a5
	;; [unrolled: 1-line block ×3, first 2 shown]
	v_lshl_add_u64 v[24:25], s[6:7], 0, v[22:23]
	v_lshl_add_u64 v[22:23], s[10:11], 0, v[22:23]
	v_mov_b32_e32 v31, 0
	v_lshlrev_b32_e32 v26, 8, v36
	v_mov_b32_e32 v27, 0
	s_and_saveexec_b64 s[6:7], vcc
	s_cbranch_execz .LBB321_70
; %bb.69:
	v_mov_b32_e32 v27, 0
	v_lshl_add_u64 v[32:33], v[24:25], 0, v[26:27]
	global_load_ushort v30, v[32:33], off
	v_lshl_add_u64 v[32:33], v[22:23], 0, v[26:27]
	s_waitcnt vmcnt(0)
	v_lshlrev_b32_e32 v27, 16, v30
	v_sub_f32_e32 v18, v27, v18
	global_store_short_d16_hi v[32:33], v18, off
	v_mul_f32_e32 v18, v43, v18
	v_lshrrev_b32_e32 v27, 16, v18
.LBB321_70:
	s_or_b64 exec, exec, s[6:7]
	v_lshlrev_b32_e32 v30, 8, v29
	s_and_saveexec_b64 s[6:7], s[0:1]
	s_cbranch_execz .LBB321_72
; %bb.71:
	v_mov_b32_e32 v31, 0
	v_lshl_add_u64 v[32:33], v[24:25], 0, v[30:31]
	global_load_ushort v18, v[32:33], off
	v_lshl_add_u64 v[32:33], v[22:23], 0, v[30:31]
	s_waitcnt vmcnt(0)
	v_lshlrev_b32_e32 v18, 16, v18
	v_sub_f32_e32 v18, v18, v19
	global_store_short_d16_hi v[32:33], v18, off
	v_mul_f32_e32 v18, v37, v18
	v_lshrrev_b32_e32 v31, 16, v18
.LBB321_72:
	s_or_b64 exec, exec, s[6:7]
	v_mov_b32_e32 v29, 0
	v_lshlrev_b32_e32 v32, 8, v28
	v_mov_b32_e32 v33, 0
	s_and_saveexec_b64 s[6:7], s[2:3]
	s_cbranch_execz .LBB321_74
; %bb.73:
	v_mov_b32_e32 v33, 0
	v_lshl_add_u64 v[18:19], v[24:25], 0, v[32:33]
	global_load_ushort v28, v[18:19], off
	v_lshl_add_u64 v[18:19], v[22:23], 0, v[32:33]
	s_waitcnt vmcnt(0)
	v_lshlrev_b32_e32 v28, 16, v28
	v_sub_f32_e32 v20, v28, v20
	global_store_short_d16_hi v[18:19], v20, off
	v_mul_f32_e32 v18, v44, v20
	v_lshrrev_b32_e32 v33, 16, v18
.LBB321_74:
	s_or_b64 exec, exec, s[6:7]
	v_lshlrev_b32_e32 v28, 8, v45
	s_and_saveexec_b64 s[6:7], s[4:5]
	s_cbranch_execz .LBB321_76
; %bb.75:
	v_mov_b32_e32 v29, 0
	v_lshl_add_u64 v[18:19], v[24:25], 0, v[28:29]
	global_load_ushort v20, v[18:19], off
	v_lshl_add_u64 v[18:19], v[22:23], 0, v[28:29]
	s_waitcnt vmcnt(0)
	v_lshlrev_b32_e32 v20, 16, v20
	v_sub_f32_e32 v20, v20, v21
	global_store_short_d16_hi v[18:19], v20, off
	v_mul_f32_e32 v18, v42, v20
	v_lshrrev_b32_e32 v29, 16, v18
.LBB321_76:
	s_or_b64 exec, exec, s[6:7]
	v_lshlrev_b32_e32 v45, 5, v36
	s_mov_b32 s6, 0x5040100
	v_perm_b32 v46, v31, v27, s6
	v_or_b32_e32 v27, v45, v38
	v_accvgpr_read_b32 v21, a3
	v_perm_b32 v47, v29, v33, s6
	v_lshlrev_b32_e32 v27, 1, v27
	v_accvgpr_read_b32 v20, a2
	v_accvgpr_read_b32 v19, a1
	;; [unrolled: 1-line block ×3, first 2 shown]
	ds_write_b64 v27, v[46:47] offset:45056
	v_mov_b32_e32 v31, 0
	v_mov_b32_e32 v27, 0
	s_and_saveexec_b64 s[6:7], vcc
	s_cbranch_execz .LBB321_78
; %bb.77:
	v_mov_b32_e32 v27, 0
	v_lshl_add_u64 v[46:47], v[24:25], 0, v[26:27]
	global_load_ushort v29, v[46:47], off offset:32
	v_lshl_add_u64 v[26:27], v[22:23], 0, v[26:27]
	s_waitcnt vmcnt(0)
	v_lshlrev_b32_e32 v29, 16, v29
	v_sub_f32_e32 v18, v29, v18
	global_store_short_d16_hi v[26:27], v18, off offset:32
	v_mul_f32_e32 v18, v43, v18
	v_lshrrev_b32_e32 v27, 16, v18
.LBB321_78:
	s_or_b64 exec, exec, s[6:7]
	s_and_saveexec_b64 s[6:7], s[0:1]
	s_cbranch_execz .LBB321_80
; %bb.79:
	v_mov_b32_e32 v31, 0
	v_lshl_add_u64 v[46:47], v[24:25], 0, v[30:31]
	global_load_ushort v18, v[46:47], off offset:32
	v_lshl_add_u64 v[30:31], v[22:23], 0, v[30:31]
	s_waitcnt vmcnt(0)
	v_lshlrev_b32_e32 v18, 16, v18
	v_sub_f32_e32 v18, v18, v19
	global_store_short_d16_hi v[30:31], v18, off offset:32
	v_mul_f32_e32 v18, v37, v18
	v_lshrrev_b32_e32 v31, 16, v18
.LBB321_80:
	s_or_b64 exec, exec, s[6:7]
	v_mov_b32_e32 v26, 0
	v_mov_b32_e32 v30, 0
	s_and_saveexec_b64 s[0:1], s[2:3]
	s_cbranch_execz .LBB321_82
; %bb.81:
	v_mov_b32_e32 v33, 0
	v_lshl_add_u64 v[18:19], v[24:25], 0, v[32:33]
	global_load_ushort v29, v[18:19], off offset:32
	v_lshl_add_u64 v[18:19], v[22:23], 0, v[32:33]
	s_waitcnt vmcnt(0)
	v_lshlrev_b32_e32 v29, 16, v29
	v_sub_f32_e32 v20, v29, v20
	global_store_short_d16_hi v[18:19], v20, off offset:32
	v_mul_f32_e32 v18, v44, v20
	v_lshrrev_b32_e32 v30, 16, v18
.LBB321_82:
	s_or_b64 exec, exec, s[0:1]
	v_or_b32_e32 v19, 0xb000, v40
	v_or_b32_e32 v18, 0xb000, v41
	s_and_saveexec_b64 s[0:1], s[4:5]
	s_cbranch_execz .LBB321_84
; %bb.83:
	v_mov_b32_e32 v29, 0
	v_lshl_add_u64 v[24:25], v[24:25], 0, v[28:29]
	global_load_ushort v20, v[24:25], off offset:32
	v_lshl_add_u64 v[22:23], v[22:23], 0, v[28:29]
	s_waitcnt vmcnt(0)
	v_lshlrev_b32_e32 v20, 16, v20
	v_sub_f32_e32 v20, v20, v21
	global_store_short_d16_hi v[22:23], v20, off offset:32
	v_mul_f32_e32 v20, v42, v20
	v_lshrrev_b32_e32 v26, 16, v20
.LBB321_84:
	s_or_b64 exec, exec, s[0:1]
	s_mov_b32 s0, 0x5040100
	v_or_b32_e32 v22, v45, v35
	v_perm_b32 v21, v26, v30, s0
	v_perm_b32 v20, v31, v27, s0
	v_lshlrev_b32_e32 v22, 1, v22
	s_movk_i32 s2, 0x100
	ds_write_b64 v22, v[20:21] offset:45056
	v_and_b32_e32 v20, 7, v0
	v_and_b32_e32 v21, 8, v0
	v_cmp_gt_u32_e32 vcc, s2, v0
	v_lshrrev_b32_e32 v0, 1, v0
	v_lshlrev_b32_e32 v26, 3, v20
	v_lshlrev_b32_e32 v48, 7, v20
	v_mov_b32_e32 v20, 0x4000
	v_mov_b32_e32 v22, 0x2000
	v_lshlrev_b32_e32 v24, 3, v1
	v_and_b32_e32 v0, 24, v0
	v_cndmask_b32_e32 v27, v20, v22, vcc
	v_xor_b32_e32 v20, v24, v0
	v_or_b32_e32 v22, 0x440, v20
	v_cmp_eq_u32_e32 vcc, 0, v21
	v_or_b32_e32 v28, 32, v0
	v_xor_b32_e32 v28, v24, v28
	v_cndmask_b32_e32 v20, v22, v20, vcc
	v_or_b32_e32 v20, v20, v39
	v_xor_b32_e32 v49, v20, v26
	v_or_b32_e32 v29, 0x440, v28
	v_add3_u32 v25, v27, v49, v48
	v_cndmask_b32_e32 v28, v29, v28, vcc
	v_or_b32_e32 v29, 64, v0
	v_or_b32_e32 v0, 0x60, v0
	s_waitcnt lgkmcnt(0)
	s_barrier
	v_xor_b32_e32 v29, v24, v29
	v_xor_b32_e32 v0, v24, v0
	ds_read_b64 v[24:25], v25
	v_xor_b32_e32 v30, 0x440, v29
	ds_read2_b64 v[20:23], v19 offset1:16
	v_cndmask_b32_e32 v29, v30, v29, vcc
	v_xor_b32_e32 v30, 0x440, v0
	v_or_b32_e32 v28, v28, v39
	v_or_b32_e32 v29, v29, v39
	v_cndmask_b32_e32 v0, v30, v0, vcc
	v_xor_b32_e32 v50, v28, v26
	v_xor_b32_e32 v51, v29, v26
	v_or_b32_e32 v0, v0, v39
	v_add3_u32 v28, v27, v50, v48
	v_add3_u32 v29, v27, v51, v48
	v_xor_b32_e32 v52, v0, v26
	s_mul_i32 s0, s16, s29
	s_mul_hi_i32 s1, s16, s29
	v_add3_u32 v0, v27, v52, v48
	ds_read_b64 v[26:27], v28
	ds_read_b64 v[42:43], v29
	;; [unrolled: 1-line block ×3, first 2 shown]
	s_add_u32 s0, s0, s33
	ds_read2st64_b64 v[28:31], v19 offset0:2 offset1:4
	ds_read2st64_b64 v[38:41], v18 offset0:2 offset1:4
	s_waitcnt lgkmcnt(5)
	v_mfma_f32_16x16x16_bf16 a[0:3], v[24:25], v[20:21], 0
	s_addc_u32 s1, s1, s48
	s_lshl_b64 s[0:1], s[0:1], 9
	s_add_u32 s0, s8, s0
	v_mfma_f32_16x16x16_bf16 a[4:7], v[24:25], v[22:23], 0
	s_addc_u32 s1, s9, s1
	v_lshlrev_b32_e32 v0, 2, v36
	ds_read_b64 v[36:37], v19 offset:3072
	ds_read_b64 v[46:47], v18 offset:3072
	s_waitcnt lgkmcnt(3)
	v_mfma_f32_16x16x16_bf16 a[0:3], v[26:27], v[28:29], a[0:3]
	s_waitcnt lgkmcnt(2)
	v_mfma_f32_16x16x16_bf16 a[4:7], v[26:27], v[38:39], a[4:7]
	global_load_dwordx4 v[24:27], v0, s[0:1]
	v_lshlrev_b32_e32 v0, 6, v1
	v_lshlrev_b32_e32 v1, 2, v34
	v_or3_b32 v0, v0, v1, s2
	global_load_dwordx4 v[32:35], v0, s[0:1]
	v_mfma_f32_16x16x16_bf16 a[0:3], v[42:43], v[30:31], a[0:3]
	v_mov_b32_e32 v0, 0x3fb8aa3b
	v_mul_f32_e32 v0, s17, v0
	s_waitcnt vmcnt(1)
	v_mul_f32_e32 v18, 0x3fb8aa3b, v26
	v_mfma_f32_16x16x16_bf16 a[4:7], v[42:43], v[40:41], a[4:7]
	v_exp_f32_e32 v42, v0
	v_mul_f32_e32 v0, 0x3fb8aa3b, v24
	v_exp_f32_e32 v24, v18
	s_waitcnt lgkmcnt(1)
	v_mfma_f32_16x16x16_bf16 a[0:3], v[44:45], v[36:37], a[0:3]
	v_add_u32_e32 v18, v49, v48
	v_mul_f32_e32 v19, 0x3fb8aa3b, v27
	v_mul_f32_e32 v1, 0x3fb8aa3b, v25
	v_exp_f32_e32 v0, v0
	v_exp_f32_e32 v1, v1
	;; [unrolled: 1-line block ×3, first 2 shown]
	v_pk_mul_f32 v[0:1], v[42:43], v[0:1] op_sel_hi:[0,1]
	v_accvgpr_read_b32 v27, a3
	v_accvgpr_read_b32 v26, a2
	s_waitcnt lgkmcnt(0)
	v_mfma_f32_16x16x16_bf16 a[2:5], v[44:45], v[46:47], a[4:7]
	ds_read_b64 v[44:45], v18 offset:16384
	v_accvgpr_read_b32 v19, a1
	v_accvgpr_read_b32 v18, a0
	v_pk_fma_f32 v[18:19], v[2:3], v[0:1], v[18:19]
	v_add_u32_e32 v2, v50, v48
	v_add_u32_e32 v50, v52, v48
	s_waitcnt lgkmcnt(0)
	v_mfma_f32_16x16x16_bf16 a[6:9], v[44:45], v[20:21], 0
	v_add_u32_e32 v43, v51, v48
	ds_read_b64 v[2:3], v2 offset:16384
	ds_read_b64 v[48:49], v43 offset:16384
	;; [unrolled: 1-line block ×3, first 2 shown]
	v_pk_mul_f32 v[24:25], v[42:43], v[24:25] op_sel_hi:[0,1]
	v_pk_fma_f32 v[20:21], v[4:5], v[24:25], v[26:27]
	v_accvgpr_read_b32 v4, a2
	v_mfma_f32_16x16x16_bf16 a[10:13], v[44:45], v[22:23], 0
	v_fma_f32 v26, v10, v0, v4
	v_accvgpr_read_b32 v0, a3
	v_fma_f32 v27, v11, v1, v0
	s_waitcnt lgkmcnt(2)
	v_mfma_f32_16x16x16_bf16 a[0:3], v[2:3], v[28:29], a[6:9]
	v_accvgpr_read_b32 v0, a4
	v_accvgpr_read_b32 v29, a5
	v_fma_f32 v28, v12, v24, v0
	v_mfma_f32_16x16x16_bf16 a[4:7], v[2:3], v[38:39], a[10:13]
	s_waitcnt vmcnt(0)
	v_mov_b32_e32 v0, v33
	v_mov_b32_e32 v1, v34
	;; [unrolled: 1-line block ×3, first 2 shown]
	s_waitcnt lgkmcnt(1)
	v_mfma_f32_16x16x16_bf16 a[0:3], v[48:49], v[30:31], a[0:3]
	v_mul_f32_e32 v0, 0x3fb8aa3b, v0
	v_exp_f32_e32 v5, v0
	v_mul_f32_e32 v0, 0x3fb8aa3b, v1
	v_mfma_f32_16x16x16_bf16 a[4:7], v[48:49], v[40:41], a[4:7]
	v_mul_f32_e32 v1, 0x3fb8aa3b, v2
	v_mul_f32_e32 v3, 0x3fb8aa3b, v32
	v_exp_f32_e32 v0, v0
	s_waitcnt lgkmcnt(0)
	v_mfma_f32_16x16x16_bf16 a[0:3], v[50:51], v[36:37], a[0:3]
	v_exp_f32_e32 v1, v1
	v_exp_f32_e32 v4, v3
	v_fmac_f32_e32 v29, v13, v25
	v_pk_mul_f32 v[0:1], v[42:43], v[0:1] op_sel_hi:[0,1]
	v_pk_mul_f32 v[4:5], v[42:43], v[4:5] op_sel_hi:[0,1]
	s_nop 1
	v_accvgpr_read_b32 v3, a3
	v_accvgpr_read_b32 v2, a2
	v_mfma_f32_16x16x16_bf16 a[2:5], v[50:51], v[46:47], a[4:7]
	v_pk_fma_f32 v[24:25], v[8:9], v[0:1], v[2:3]
	v_accvgpr_read_b32 v11, a1
	v_accvgpr_read_b32 v10, a0
	v_pk_fma_f32 v[22:23], v[6:7], v[4:5], v[10:11]
	s_nop 2
	v_accvgpr_read_b32 v2, a2
	v_fma_f32 v30, v14, v4, v2
	v_accvgpr_read_b32 v2, a3
	v_fma_f32 v31, v15, v5, v2
	v_accvgpr_read_b32 v2, a4
	v_accvgpr_read_b32 v33, a5
	v_fma_f32 v32, v16, v0, v2
	v_fmac_f32_e32 v33, v17, v1
	v_mov_b64_e32 v[2:3], v[18:19]
	v_mov_b64_e32 v[4:5], v[20:21]
	v_mov_b64_e32 v[6:7], v[22:23]
	v_mov_b64_e32 v[8:9], v[24:25]
	v_mov_b64_e32 v[10:11], v[26:27]
	v_mov_b64_e32 v[12:13], v[28:29]
	v_mov_b64_e32 v[14:15], v[30:31]
	v_mov_b64_e32 v[16:17], v[32:33]
.LBB321_85:
	s_add_u32 s0, s24, s26
	s_addc_u32 s1, s25, s27
	v_lshl_add_u64 v[0:1], v[56:57], 1, s[0:1]
	v_mov_b32_e32 v55, 0
	s_mov_b32 s2, 0x7060302
	v_lshl_add_u64 v[0:1], v[0:1], 0, v[54:55]
	v_perm_b32 v5, v5, v4, s2
	v_perm_b32 v4, v3, v2, s2
	;; [unrolled: 1-line block ×4, first 2 shown]
	global_store_dwordx2 v[0:1], v[4:5], off
	global_store_dwordx2 v[0:1], v[2:3], off offset:128
	v_lshl_add_u64 v[0:1], v[58:59], 1, s[0:1]
	v_lshl_add_u64 v[0:1], v[0:1], 0, v[54:55]
	v_perm_b32 v3, v13, v12, s2
	v_perm_b32 v2, v11, v10, s2
	global_store_dwordx2 v[0:1], v[2:3], off
	v_perm_b32 v3, v17, v16, s2
	v_perm_b32 v2, v15, v14, s2
	global_store_dwordx2 v[0:1], v[2:3], off offset:128
	s_endpgm
	.section	.rodata,"a",@progbits
	.p2align	6, 0x0
	.amdhsa_kernel _ZN12_GLOBAL__N_139chunk_gated_delta_rule_fwd_h_hip_kernelILi32ELb1ELb1ELb1ELb1ELb0ELb1ELb1ELb1EEEvPK12hip_bfloat16S3_S3_PKfS5_PKvPS1_S8_PvPKiSB_iiiiilll
		.amdhsa_group_segment_fixed_size 49152
		.amdhsa_private_segment_fixed_size 0
		.amdhsa_kernarg_size 136
		.amdhsa_user_sgpr_count 2
		.amdhsa_user_sgpr_dispatch_ptr 0
		.amdhsa_user_sgpr_queue_ptr 0
		.amdhsa_user_sgpr_kernarg_segment_ptr 1
		.amdhsa_user_sgpr_dispatch_id 0
		.amdhsa_user_sgpr_kernarg_preload_length 0
		.amdhsa_user_sgpr_kernarg_preload_offset 0
		.amdhsa_user_sgpr_private_segment_size 0
		.amdhsa_uses_dynamic_stack 0
		.amdhsa_enable_private_segment 0
		.amdhsa_system_sgpr_workgroup_id_x 1
		.amdhsa_system_sgpr_workgroup_id_y 1
		.amdhsa_system_sgpr_workgroup_id_z 0
		.amdhsa_system_sgpr_workgroup_info 0
		.amdhsa_system_vgpr_workitem_id 0
		.amdhsa_next_free_vgpr 172
		.amdhsa_next_free_sgpr 70
		.amdhsa_accum_offset 148
		.amdhsa_reserve_vcc 1
		.amdhsa_float_round_mode_32 0
		.amdhsa_float_round_mode_16_64 0
		.amdhsa_float_denorm_mode_32 3
		.amdhsa_float_denorm_mode_16_64 3
		.amdhsa_dx10_clamp 1
		.amdhsa_ieee_mode 1
		.amdhsa_fp16_overflow 0
		.amdhsa_tg_split 0
		.amdhsa_exception_fp_ieee_invalid_op 0
		.amdhsa_exception_fp_denorm_src 0
		.amdhsa_exception_fp_ieee_div_zero 0
		.amdhsa_exception_fp_ieee_overflow 0
		.amdhsa_exception_fp_ieee_underflow 0
		.amdhsa_exception_fp_ieee_inexact 0
		.amdhsa_exception_int_div_zero 0
	.end_amdhsa_kernel
	.section	.text._ZN12_GLOBAL__N_139chunk_gated_delta_rule_fwd_h_hip_kernelILi32ELb1ELb1ELb1ELb1ELb0ELb1ELb1ELb1EEEvPK12hip_bfloat16S3_S3_PKfS5_PKvPS1_S8_PvPKiSB_iiiiilll,"axG",@progbits,_ZN12_GLOBAL__N_139chunk_gated_delta_rule_fwd_h_hip_kernelILi32ELb1ELb1ELb1ELb1ELb0ELb1ELb1ELb1EEEvPK12hip_bfloat16S3_S3_PKfS5_PKvPS1_S8_PvPKiSB_iiiiilll,comdat
.Lfunc_end321:
	.size	_ZN12_GLOBAL__N_139chunk_gated_delta_rule_fwd_h_hip_kernelILi32ELb1ELb1ELb1ELb1ELb0ELb1ELb1ELb1EEEvPK12hip_bfloat16S3_S3_PKfS5_PKvPS1_S8_PvPKiSB_iiiiilll, .Lfunc_end321-_ZN12_GLOBAL__N_139chunk_gated_delta_rule_fwd_h_hip_kernelILi32ELb1ELb1ELb1ELb1ELb0ELb1ELb1ELb1EEEvPK12hip_bfloat16S3_S3_PKfS5_PKvPS1_S8_PvPKiSB_iiiiilll
                                        ; -- End function
	.section	.AMDGPU.csdata,"",@progbits
; Kernel info:
; codeLenInByte = 10092
; NumSgprs: 76
; NumVgprs: 148
; NumAgprs: 24
; TotalNumVgprs: 172
; ScratchSize: 0
; MemoryBound: 0
; FloatMode: 240
; IeeeMode: 1
; LDSByteSize: 49152 bytes/workgroup (compile time only)
; SGPRBlocks: 9
; VGPRBlocks: 21
; NumSGPRsForWavesPerEU: 76
; NumVGPRsForWavesPerEU: 172
; AccumOffset: 148
; Occupancy: 1
; WaveLimiterHint : 1
; COMPUTE_PGM_RSRC2:SCRATCH_EN: 0
; COMPUTE_PGM_RSRC2:USER_SGPR: 2
; COMPUTE_PGM_RSRC2:TRAP_HANDLER: 0
; COMPUTE_PGM_RSRC2:TGID_X_EN: 1
; COMPUTE_PGM_RSRC2:TGID_Y_EN: 1
; COMPUTE_PGM_RSRC2:TGID_Z_EN: 0
; COMPUTE_PGM_RSRC2:TIDIG_COMP_CNT: 0
; COMPUTE_PGM_RSRC3_GFX90A:ACCUM_OFFSET: 36
; COMPUTE_PGM_RSRC3_GFX90A:TG_SPLIT: 0
	.section	.text._ZN12_GLOBAL__N_139chunk_gated_delta_rule_fwd_h_hip_kernelILi32ELb1ELb1ELb0ELb1ELb0ELb1ELb1ELb1EEEvPK12hip_bfloat16S3_S3_PKfS5_PKvPS1_S8_PvPKiSB_iiiiilll,"axG",@progbits,_ZN12_GLOBAL__N_139chunk_gated_delta_rule_fwd_h_hip_kernelILi32ELb1ELb1ELb0ELb1ELb0ELb1ELb1ELb1EEEvPK12hip_bfloat16S3_S3_PKfS5_PKvPS1_S8_PvPKiSB_iiiiilll,comdat
	.globl	_ZN12_GLOBAL__N_139chunk_gated_delta_rule_fwd_h_hip_kernelILi32ELb1ELb1ELb0ELb1ELb0ELb1ELb1ELb1EEEvPK12hip_bfloat16S3_S3_PKfS5_PKvPS1_S8_PvPKiSB_iiiiilll ; -- Begin function _ZN12_GLOBAL__N_139chunk_gated_delta_rule_fwd_h_hip_kernelILi32ELb1ELb1ELb0ELb1ELb0ELb1ELb1ELb1EEEvPK12hip_bfloat16S3_S3_PKfS5_PKvPS1_S8_PvPKiSB_iiiiilll
	.p2align	8
	.type	_ZN12_GLOBAL__N_139chunk_gated_delta_rule_fwd_h_hip_kernelILi32ELb1ELb1ELb0ELb1ELb0ELb1ELb1ELb1EEEvPK12hip_bfloat16S3_S3_PKfS5_PKvPS1_S8_PvPKiSB_iiiiilll,@function
_ZN12_GLOBAL__N_139chunk_gated_delta_rule_fwd_h_hip_kernelILi32ELb1ELb1ELb0ELb1ELb0ELb1ELb1ELb1EEEvPK12hip_bfloat16S3_S3_PKfS5_PKvPS1_S8_PvPKiSB_iiiiilll: ; @_ZN12_GLOBAL__N_139chunk_gated_delta_rule_fwd_h_hip_kernelILi32ELb1ELb1ELb0ELb1ELb0ELb1ELb1ELb1EEEvPK12hip_bfloat16S3_S3_PKfS5_PKvPS1_S8_PvPKiSB_iiiiilll
; %bb.0:
	s_load_dwordx4 s[16:19], s[0:1], 0x5c
	s_load_dwordx4 s[24:27], s[0:1], 0x70
	s_abs_i32 s7, s3
	s_ashr_i32 s6, s3, 31
	s_load_dwordx4 s[12:15], s[0:1], 0x40
	s_load_dwordx2 s[4:5], s[0:1], 0x50
	s_waitcnt lgkmcnt(0)
	s_abs_i32 s10, s17
	v_cvt_f32_u32_e32 v1, s10
	s_sub_i32 s8, 0, s10
	s_ashr_i32 s11, s17, 31
	s_xor_b32 s6, s6, s11
	v_rcp_iflag_f32_e32 v1, v1
	v_and_b32_e32 v69, 15, v0
	v_bfe_u32 v68, v0, 4, 2
	v_mov_b32_e32 v55, 0
	v_mul_f32_e32 v1, 0x4f7ffffe, v1
	v_cvt_u32_f32_e32 v1, v1
	v_lshlrev_b32_e32 v70, 3, v0
	v_readfirstlane_b32 s9, v1
	s_mul_i32 s8, s8, s9
	s_mul_hi_u32 s8, s9, s8
	s_add_i32 s9, s9, s8
	s_mul_hi_u32 s8, s7, s9
	s_mul_i32 s9, s8, s10
	s_sub_i32 s7, s7, s9
	s_add_i32 s20, s8, 1
	s_sub_i32 s9, s7, s10
	s_cmp_ge_u32 s7, s10
	s_cselect_b32 s8, s20, s8
	s_cselect_b32 s7, s9, s7
	s_add_i32 s9, s8, 1
	s_cmp_ge_u32 s7, s10
	s_cselect_b32 s7, s9, s8
	s_xor_b32 s7, s7, s6
	s_sub_i32 s28, s7, s6
	s_mul_i32 s36, s28, s17
	s_ashr_i32 s29, s28, 31
	s_sub_i32 s33, s3, s36
	s_lshl_b64 s[6:7], s[28:29], 2
	s_add_u32 s8, s14, s6
	s_addc_u32 s9, s15, s7
	s_add_u32 s30, s4, s6
	s_addc_u32 s31, s5, s7
	s_abs_i32 s3, s18
	v_cvt_f32_u32_e32 v1, s3
	s_load_dwordx2 s[34:35], s[8:9], 0x0
	s_sub_i32 s5, 0, s3
	s_lshl_b32 s2, s2, 5
	v_rcp_iflag_f32_e32 v1, v1
	s_load_dwordx4 s[20:23], s[0:1], 0x20
	s_load_dwordx2 s[40:41], s[0:1], 0x30
	s_waitcnt lgkmcnt(0)
	s_sub_i32 s54, s35, s34
	s_ashr_i32 s4, s54, 31
	v_mul_f32_e32 v1, 0x4f7ffffe, v1
	v_cvt_u32_f32_e32 v1, v1
	s_lshr_b32 s4, s4, 26
	s_add_i32 s4, s54, s4
	s_ashr_i32 s53, s4, 6
	v_readfirstlane_b32 s6, v1
	s_mul_i32 s5, s5, s6
	s_mul_hi_u32 s5, s6, s5
	s_add_i32 s6, s6, s5
	s_mul_hi_u32 s5, s10, s6
	s_mul_i32 s6, s5, s3
	s_ashr_i32 s4, s18, 31
	s_sub_i32 s6, s10, s6
	s_xor_b32 s4, s11, s4
	s_add_i32 s7, s5, 1
	s_sub_i32 s8, s6, s3
	s_cmp_ge_u32 s6, s3
	s_cselect_b32 s5, s7, s5
	s_cselect_b32 s6, s8, s6
	s_add_i32 s7, s5, 1
	s_cmp_ge_u32 s6, s3
	s_cselect_b32 s3, s7, s5
	s_xor_b32 s3, s3, s4
	s_sub_i32 s3, s3, s4
	s_abs_i32 s4, s3
	v_cvt_f32_u32_e32 v1, s4
	s_sub_i32 s6, 0, s4
	s_abs_i32 s5, s33
	s_xor_b32 s3, s33, s3
	v_rcp_iflag_f32_e32 v2, v1
	s_ashr_i32 s3, s3, 31
	v_lshrrev_b32_e32 v1, 6, v0
	v_or_b32_e32 v60, s2, v69
	v_mul_f32_e32 v2, 0x4f7ffffe, v2
	v_cvt_u32_f32_e32 v2, v2
	v_lshlrev_b32_e32 v53, 4, v1
	v_lshlrev_b32_e32 v56, 7, v60
	v_lshl_or_b32 v72, v68, 2, v53
	v_readfirstlane_b32 s7, v2
	s_mul_i32 s6, s6, s7
	s_mul_hi_u32 s6, s7, s6
	s_add_i32 s7, s7, s6
	s_mul_hi_u32 s6, s5, s7
	s_mul_i32 s7, s6, s4
	s_sub_i32 s5, s5, s7
	s_add_i32 s7, s6, 1
	s_sub_i32 s8, s5, s4
	s_cmp_ge_u32 s5, s4
	s_cselect_b32 s6, s7, s6
	s_cselect_b32 s5, s8, s5
	s_add_i32 s7, s6, 1
	s_cmp_ge_u32 s5, s4
	s_cselect_b32 s4, s7, s6
	s_xor_b32 s4, s4, s3
	s_sub_i32 s55, s4, s3
	s_ashr_i32 s46, s33, 31
	s_mul_hi_i32 s3, s28, s17
	s_add_u32 s4, s36, s33
	s_addc_u32 s5, s3, s46
	s_lshl_b64 s[14:15], s[4:5], 15
	s_add_u32 s4, s22, s14
	s_addc_u32 s5, s23, s15
	v_ashrrev_i32_e32 v57, 31, v56
	v_lshl_add_u64 v[2:3], v[56:57], 1, s[4:5]
	v_lshlrev_b32_e32 v54, 1, v72
	v_or_b32_e32 v58, 0x800, v56
	v_lshl_add_u64 v[2:3], v[2:3], 0, v[54:55]
	v_ashrrev_i32_e32 v59, 31, v58
	global_load_dwordx2 v[6:7], v[2:3], off
	global_load_dwordx2 v[10:11], v[2:3], off offset:128
	v_lshl_add_u64 v[2:3], v[58:59], 1, s[4:5]
	v_lshl_add_u64 v[2:3], v[2:3], 0, v[54:55]
	global_load_dwordx2 v[12:13], v[2:3], off
	global_load_dwordx2 v[14:15], v[2:3], off offset:128
	s_load_dwordx8 s[4:11], s[0:1], 0x0
	s_load_dwordx2 s[22:23], s[0:1], 0x80
	s_load_dword s58, s[30:31], 0x0
	v_and_b32_e32 v55, 63, v0
	v_lshrrev_b32_e32 v71, 3, v55
	v_or_b32_e32 v73, 64, v72
	s_mul_i32 s47, s28, s25
	s_mul_hi_u32 s48, s28, s24
	s_mul_i32 s36, s28, s24
	s_mul_i32 s49, s29, s24
	s_mul_hi_i32 s56, s33, s16
	s_mul_i32 s57, s33, s16
	s_mul_i32 s50, s33, s27
	s_mul_hi_u32 s51, s33, s26
	s_mul_i32 s52, s46, s26
	s_cmp_lt_i32 s54, 64
	s_mul_i32 s38, s33, s26
	s_waitcnt vmcnt(3)
	v_and_b32_e32 v3, 0xffff0000, v6
	v_lshlrev_b32_e32 v2, 16, v6
	v_and_b32_e32 v5, 0xffff0000, v7
	v_lshlrev_b32_e32 v4, 16, v7
	s_waitcnt vmcnt(2)
	v_and_b32_e32 v7, 0xffff0000, v10
	v_lshlrev_b32_e32 v6, 16, v10
	v_and_b32_e32 v9, 0xffff0000, v11
	v_lshlrev_b32_e32 v8, 16, v11
	;; [unrolled: 5-line block ×4, first 2 shown]
	s_cbranch_scc1 .LBB322_3
; %bb.1:
	s_ashr_i32 s1, s34, 31
	s_add_u32 s0, s57, s34
	s_addc_u32 s1, s56, s1
	s_lshl_b64 s[0:1], s[0:1], 8
	v_and_b32_e32 v81, 56, v70
	s_waitcnt lgkmcnt(0)
	s_add_u32 s24, s6, s0
	v_lshl_or_b32 v80, v1, 3, v71
	v_lshlrev_b32_e32 v10, 1, v81
	s_addc_u32 s0, s7, s1
	v_lshl_or_b32 v83, v80, 8, v10
	s_and_b32 s25, s0, 0xffff
	s_mov_b32 s27, 0x20000
	s_movk_i32 s26, 0x4000
	s_movk_i32 s0, 0x80
	v_or_b32_e32 v84, 0x2000, v83
	buffer_load_dwordx4 v[12:15], v83, s[24:27], 0 offen
	buffer_load_dwordx4 v[16:19], v83, s[24:27], s0 offen
	;; [unrolled: 1-line block ×4, first 2 shown]
	v_lshlrev_b32_e32 v11, 3, v80
	v_and_or_b32 v29, v0, 7, v11
	v_and_b32_e32 v11, 0x78, v11
	v_lshlrev_b32_e32 v29, 4, v29
	v_xor_b32_e32 v86, v29, v11
	v_mul_lo_u32 v28, v80, s19
	v_or_b32_e32 v87, 0x1000, v86
	v_xor_b32_e32 v11, 8, v86
	s_cmpk_eq_i32 s19, 0x80
	s_mov_b32 s59, s34
	v_xor_b32_e32 v29, 8, v87
	s_cselect_b64 s[0:1], -1, 0
	s_cmpk_lg_i32 s19, 0x80
	s_waitcnt vmcnt(3)
	ds_write_b64 v86, v[12:13] offset:24576
	ds_write_b64 v11, v[14:15] offset:24576
	s_waitcnt vmcnt(2)
	ds_write_b64 v86, v[16:17] offset:32768
	ds_write_b64 v11, v[18:19] offset:32768
	;; [unrolled: 3-line block ×4, first 2 shown]
	v_lshl_add_u32 v11, v28, 1, v81
	s_cbranch_scc0 .LBB322_4
; %bb.2:
	v_lshlrev_b32_e32 v13, 1, v11
	v_add_lshl_u32 v12, v11, s19, 1
	s_lshl_b32 s26, s19, 7
	v_lshl_or_b32 v10, v80, 9, v10
	s_cbranch_execz .LBB322_5
	s_branch .LBB322_6
.LBB322_3:
	v_mov_b32_e32 v17, v82
	v_mov_b32_e32 v16, v79
	;; [unrolled: 1-line block ×5, first 2 shown]
	s_branch .LBB322_20
.LBB322_4:
                                        ; implicit-def: $vgpr12
                                        ; implicit-def: $vgpr13
                                        ; implicit-def: $sgpr26
	v_lshl_or_b32 v10, v80, 9, v10
.LBB322_5:
	v_or_b32_e32 v12, 0x100, v10
	s_movk_i32 s26, 0x4000
	v_mov_b32_e32 v13, v10
.LBB322_6:
	s_mul_i32 s24, s34, s18
	s_ashr_i32 s60, s55, 31
	s_mul_hi_i32 s3, s34, s18
	s_add_u32 s24, s24, s55
	s_addc_u32 s25, s3, s60
	s_lshl_b64 s[24:25], s[24:25], 8
	s_add_u32 s24, s4, s24
	s_addc_u32 s3, s5, s25
	s_and_b32 s25, s3, 0xffff
	s_movk_i32 s61, 0x80
	buffer_load_dwordx4 v[14:17], v13, s[24:27], 0 offen
	buffer_load_dwordx4 v[18:21], v13, s[24:27], s61 offen
	buffer_load_dwordx4 v[22:25], v12, s[24:27], 0 offen
	buffer_load_dwordx4 v[26:29], v12, s[24:27], s61 offen
	v_and_b32_e32 v12, 6, v0
	v_lshlrev_b32_e32 v31, 6, v72
	v_or_b32_e32 v33, 16, v69
	v_xor_b32_e32 v34, v80, v12
	v_and_b32_e32 v13, 1, v0
	v_lshl_or_b32 v37, v69, 3, v31
	v_lshl_or_b32 v31, v33, 3, v31
	v_lshlrev_b32_e32 v34, 2, v34
	v_lshlrev_b32_e32 v30, 2, v69
	v_or_b32_e32 v90, 0xa000, v31
	v_or_b32_e32 v91, 0xb000, v31
	v_xor_b32_e32 v31, 0x440, v34
	v_cmp_eq_u32_e32 vcc, 0, v13
	s_add_i32 s3, s48, s47
	v_xor_b32_e32 v35, v72, v30
	v_xor_b32_e32 v36, v73, v30
	v_cndmask_b32_e32 v13, v31, v34, vcc
	s_add_i32 s24, s51, s50
	s_add_i32 s37, s3, s49
	s_mov_b32 s62, 0x1000504
	v_lshlrev_b32_e32 v32, 8, v69
	v_lshlrev_b32_e32 v33, 8, v33
	;; [unrolled: 1-line block ×4, first 2 shown]
	v_lshl_or_b32 v12, v12, 10, v13
	s_add_i32 s39, s24, s52
	s_lshl_b64 s[24:25], s[36:37], 2
	s_mov_b32 s63, 0x3020706
	v_or_b32_e32 v88, 0xa000, v37
	v_or_b32_e32 v89, 0xb000, v37
	;; [unrolled: 1-line block ×5, first 2 shown]
	v_xor_b32_e32 v13, 8, v12
	v_xor_b32_e32 v32, 24, v12
	;; [unrolled: 1-line block ×4, first 2 shown]
	s_add_u32 s3, s10, s24
	v_or_b32_e32 v94, v33, v35
	v_xor_b32_e32 v31, 16, v12
	v_xor_b32_e32 v33, 32, v12
	;; [unrolled: 1-line block ×3, first 2 shown]
	v_add_u32_e32 v13, 0x80, v13
	v_add_u32_e32 v32, 0x80, v32
	;; [unrolled: 1-line block ×4, first 2 shown]
	s_addc_u32 s26, s11, s25
	s_lshl_b64 s[24:25], s[38:39], 2
	s_add_u32 s42, s3, s24
	s_movk_i32 s3, 0xf8
	s_addc_u32 s43, s26, s25
	s_lshl_b32 s30, s19, 7
	s_movk_i32 s28, 0x100
	v_mov_b32_e32 v63, 0
	v_lshlrev_b32_e32 v62, 4, v69
	v_cmp_gt_u32_e32 vcc, s28, v0
	v_ashrrev_i32_e32 v61, 31, v60
	s_mov_b32 s64, 0
	s_movk_i32 s37, 0x1000
	s_movk_i32 s26, 0x4000
	v_lshl_add_u64 v[64:65], v[60:61], 1, s[8:9]
	v_mov_b32_e32 v118, 0x3fb8aa3b
	s_waitcnt vmcnt(1)
	v_perm_b32 v37, v14, v22, s62
	s_waitcnt vmcnt(0)
	v_perm_b32 v38, v18, v26, s62
	v_perm_b32 v14, v14, v22, s63
	;; [unrolled: 1-line block ×15, first 2 shown]
	ds_write2st64_b32 v12, v37, v38 offset0:32 offset1:64
	ds_write2st64_b32 v13, v14, v18 offset0:32 offset1:64
	;; [unrolled: 1-line block ×8, first 2 shown]
	v_or_b32_e32 v12, v53, v69
	v_lshlrev_b32_e32 v12, 3, v12
	v_lshrrev_b32_e32 v15, 5, v55
	v_and_or_b32 v15, v12, s3, v15
	v_lshlrev_b32_e32 v15, 4, v15
	v_lshlrev_b32_e32 v17, 11, v1
	v_and_b32_e32 v12, 0x78, v12
	v_or_b32_e32 v20, 32, v15
	v_and_b32_e32 v14, 0x1000, v17
	v_lshrrev_b32_e32 v18, 1, v55
	v_xor_b32_e32 v20, v20, v12
	v_xor_b32_e32 v16, v15, v12
	v_and_b32_e32 v18, 8, v18
	v_or_b32_e32 v20, v20, v14
	v_or_b32_e32 v16, v16, v14
	v_lshlrev_b32_e32 v19, 7, v68
	v_xor_b32_e32 v98, v20, v18
	v_or_b32_e32 v20, 64, v15
	v_or_b32_e32 v15, 0x60, v15
	s_ashr_i32 s3, s2, 31
	v_xor_b32_e32 v96, v16, v18
	v_or_b32_e32 v16, v19, v30
	v_xor_b32_e32 v20, v20, v12
	v_xor_b32_e32 v12, v15, v12
	s_lshl_b64 s[24:25], s[2:3], 8
	v_lshlrev_b32_e32 v16, 1, v16
	v_or_b32_e32 v20, v20, v14
	v_or_b32_e32 v12, v12, v14
	s_add_u32 s24, s40, s24
	v_lshlrev_b32_e32 v14, 1, v69
	v_or_b32_e32 v97, 0xa000, v16
	v_or_b32_e32 v99, 0xa080, v16
	v_or_b32_e32 v102, 0xb000, v16
	v_or_b32_e32 v103, 0xb080, v16
	v_lshrrev_b32_e32 v16, 4, v0
	s_addc_u32 s25, s41, s25
	v_or_b32_e32 v15, 1, v14
	v_mov_b32_e32 v25, 0x4000
	v_mov_b32_e32 v26, 0x2000
	v_lshrrev_b32_e32 v27, 1, v0
	v_xor_b32_e32 v100, v20, v18
	v_xor_b32_e32 v101, v12, v18
	;; [unrolled: 1-line block ×4, first 2 shown]
	v_lshl_add_u64 v[14:15], s[24:25], 0, v[62:63]
	v_lshlrev_b32_e32 v62, 8, v16
	v_cndmask_b32_e32 v25, v25, v26, vcc
	v_lshlrev_b32_e32 v26, 3, v1
	v_and_b32_e32 v27, 24, v27
	v_lshl_or_b32 v104, v18, 3, v62
	v_and_b32_e32 v18, 8, v0
	v_xor_b32_e32 v28, v26, v27
	v_or_b32_e32 v29, 0x440, v28
	v_cmp_eq_u32_e32 vcc, 0, v18
	v_and_b32_e32 v16, 7, v0
	v_lshl_or_b32 v105, v22, 3, v62
	v_cndmask_b32_e32 v18, v29, v28, vcc
	v_lshlrev_b32_e32 v22, 3, v16
	v_lshlrev_b32_e32 v24, 2, v0
	v_or_b32_e32 v18, v18, v17
	v_xor_b32_e32 v28, v18, v22
	v_and_or_b32 v18, v24, 60, v19
	v_mov_b32_e32 v19, 0xb000
	v_lshl_or_b32 v106, v18, 1, v19
	v_or_b32_e32 v18, 32, v27
	v_xor_b32_e32 v18, v26, v18
	v_or_b32_e32 v19, 0x440, v18
	v_cndmask_b32_e32 v18, v19, v18, vcc
	v_or_b32_e32 v18, v18, v17
	v_xor_b32_e32 v19, v18, v22
	v_or_b32_e32 v18, 64, v27
	v_xor_b32_e32 v18, v26, v18
	v_xor_b32_e32 v30, 0x440, v18
	v_cndmask_b32_e32 v18, v30, v18, vcc
	v_or_b32_e32 v18, v18, v17
	v_xor_b32_e32 v30, v18, v22
	v_or_b32_e32 v18, 0x60, v27
	v_xor_b32_e32 v18, v26, v18
	v_xor_b32_e32 v26, 0x440, v18
	v_cndmask_b32_e32 v18, v26, v18, vcc
	v_lshrrev_b32_e32 v13, 2, v55
	v_or_b32_e32 v17, v18, v17
	v_and_b32_e32 v13, 12, v13
	v_xor_b32_e32 v17, v17, v22
	v_lshlrev_b32_e32 v12, 7, v72
	v_lshlrev_b32_e32 v20, 1, v11
	v_add_lshl_u32 v11, v11, s19, 1
	v_or_b32_e32 v21, 0x100, v10
	v_lshlrev_b32_e32 v23, 7, v16
	v_or_b32_e32 v16, v13, v53
	v_add_u32_e32 v29, v25, v28
	v_add_u32_e32 v24, v25, v19
	v_add_u32_e32 v31, v25, v30
	v_add_u32_e32 v22, v25, v17
	v_or3_b32 v18, v53, v13, 64
	v_add_u32_e32 v13, 0x4000, v28
	v_add_u32_e32 v19, 0x4000, v19
	;; [unrolled: 1-line block ×4, first 2 shown]
	v_cndmask_b32_e64 v107, v20, v10, s[0:1]
	v_cndmask_b32_e64 v108, v11, v21, s[0:1]
	v_lshl_add_u64 v[66:67], v[14:15], 0, v[62:63]
	s_mov_b32 s3, 0x7060302
	v_lshlrev_b32_e32 v62, 1, v12
	v_lshlrev_b32_e32 v61, 2, v16
	v_add_u32_e32 v109, v29, v23
	v_add_u32_e32 v110, v24, v23
	;; [unrolled: 1-line block ×4, first 2 shown]
	v_lshlrev_b32_e32 v113, 2, v18
	v_add_u32_e32 v114, v13, v23
	v_add_u32_e32 v115, v19, v23
	;; [unrolled: 1-line block ×4, first 2 shown]
	s_waitcnt lgkmcnt(0)
	s_barrier
.LBB322_7:                              ; =>This Inner Loop Header: Depth=1
	s_add_i32 s39, s64, 1
	s_cmp_lt_i32 s39, s53
	s_mov_b64 s[28:29], 0
	s_cselect_b64 s[44:45], -1, 0
	s_cmp_ge_i32 s39, s53
	s_mov_b64 s[24:25], 0
	s_cbranch_scc1 .LBB322_9
; %bb.8:                                ;   in Loop: Header=BB322_7 Depth=1
	s_add_i32 s0, s59, 64
	s_ashr_i32 s1, s0, 31
	s_add_u32 s0, s57, s0
	s_addc_u32 s1, s56, s1
	s_lshl_b64 s[0:1], s[0:1], 8
	s_add_u32 s24, s6, s0
	s_addc_u32 s25, s7, s1
.LBB322_9:                              ;   in Loop: Header=BB322_7 Depth=1
	v_cndmask_b32_e64 v10, 0, 1, s[44:45]
	v_cmp_ne_u32_e64 s[0:1], 1, v10
	s_andn2_b64 vcc, exec, s[44:45]
	s_cbranch_vccnz .LBB322_11
; %bb.10:                               ;   in Loop: Header=BB322_7 Depth=1
	s_add_i32 s28, s59, 64
	s_mul_hi_i32 s29, s28, s18
	s_mul_i32 s28, s28, s18
	s_add_u32 s28, s28, s55
	s_addc_u32 s29, s29, s60
	s_lshl_b64 s[28:29], s[28:29], 8
	s_add_u32 s28, s4, s28
	s_addc_u32 s29, s5, s29
.LBB322_11:                             ;   in Loop: Header=BB322_7 Depth=1
	v_perm_b32 v11, v5, v4, s3
	v_perm_b32 v10, v3, v2, s3
	;; [unrolled: 1-line block ×4, first 2 shown]
	ds_write_b64 v88, v[10:11]
	ds_write_b64 v89, v[12:13]
	;; [unrolled: 1-line block ×4, first 2 shown]
	v_perm_b32 v11, v85, v76, s3
	v_perm_b32 v10, v75, v74, s3
	;; [unrolled: 1-line block ×4, first 2 shown]
	ds_write_b64 v90, v[10:11]
	ds_write_b64 v91, v[12:13]
	;; [unrolled: 1-line block ×4, first 2 shown]
	s_waitcnt lgkmcnt(0)
	s_barrier
	ds_read_b64 v[14:15], v96 offset:24576
	ds_read2_b64 v[10:13], v97 offset1:16
	ds_read_b64 v[18:19], v99 offset:3072
	ds_read_b64 v[20:21], v97 offset:3072
	;; [unrolled: 1-line block ×3, first 2 shown]
	s_waitcnt lgkmcnt(3)
	v_mfma_f32_16x16x16_bf16 a[0:3], v[14:15], v[10:11], 0
	s_add_i32 s65, s59, 63
	s_ashr_i32 s31, s65, 31
	s_mul_i32 s44, s65, s23
	v_mfma_f32_16x16x16_bf16 a[4:7], v[14:15], v[12:13], 0
	ds_read2st64_b64 v[10:13], v97 offset0:2 offset1:4
	s_mul_hi_u32 s45, s65, s22
	s_add_i32 s44, s45, s44
	s_waitcnt lgkmcnt(0)
	v_mfma_f32_16x16x16_bf16 a[0:3], v[22:23], v[10:11], a[0:3]
	ds_read2st64_b64 v[14:17], v99 offset0:2 offset1:4
	ds_read_b64 v[10:11], v100 offset:24576
	s_mul_i32 s31, s31, s22
	s_add_i32 s45, s44, s31
	s_waitcnt lgkmcnt(1)
	v_mfma_f32_16x16x16_bf16 a[4:7], v[22:23], v[14:15], a[4:7]
	ds_read_b64 v[14:15], v101 offset:24576
	s_mul_i32 s44, s65, s22
	s_lshl_b64 s[44:45], s[44:45], 2
	s_waitcnt lgkmcnt(1)
	v_mfma_f32_16x16x16_bf16 a[0:3], v[10:11], v[12:13], a[0:3]
	s_add_u32 s44, s42, s44
	s_addc_u32 s45, s43, s45
	s_and_b64 vcc, exec, s[0:1]
	v_mfma_f32_16x16x16_bf16 a[4:7], v[10:11], v[16:17], a[4:7]
	v_mov_b32_e32 v121, 0
	v_mov_b32_e32 v120, 0
	;; [unrolled: 1-line block ×3, first 2 shown]
	s_waitcnt lgkmcnt(0)
	v_mfma_f32_16x16x16_bf16 a[0:3], v[14:15], v[20:21], a[0:3]
	v_mov_b32_e32 v10, 0
	v_mov_b32_e32 v11, 0
	;; [unrolled: 1-line block ×3, first 2 shown]
	v_mfma_f32_16x16x16_bf16 a[4:7], v[14:15], v[18:19], a[4:7]
	v_mov_b32_e32 v13, 0
	v_mov_b32_e32 v14, 0
	;; [unrolled: 1-line block ×13, first 2 shown]
	s_cbranch_vccnz .LBB322_13
; %bb.12:                               ;   in Loop: Header=BB322_7 Depth=1
	s_and_b32 s25, s25, 0xffff
	buffer_load_dwordx4 v[22:25], v83, s[24:27], 0 offen
	buffer_load_dwordx4 v[18:21], v83, s[24:27], s61 offen
	;; [unrolled: 1-line block ×4, first 2 shown]
	v_mov_b32_e32 v120, v86
	v_mov_b32_e32 v119, v87
.LBB322_13:                             ;   in Loop: Header=BB322_7 Depth=1
	ds_read_b64 v[30:31], v96 offset:32768
	ds_read2_b64 v[26:29], v102 offset1:16
	ds_read_b64 v[34:35], v98 offset:32768
	ds_read_b64 v[36:37], v100 offset:32768
	;; [unrolled: 1-line block ×3, first 2 shown]
	v_add_u32_e32 v40, s59, v72
	s_waitcnt lgkmcnt(3)
	v_mfma_f32_16x16x16_bf16 a[0:3], v[30:31], v[26:27], a[0:3]
	v_mul_lo_u32 v41, v40, s23
	v_mov_b32_e32 v122, 0
	v_mfma_f32_16x16x16_bf16 a[4:7], v[30:31], v[28:29], a[4:7]
	ds_read2st64_b64 v[26:29], v102 offset0:2 offset1:4
	ds_read2st64_b64 v[30:33], v103 offset0:2 offset1:4
	s_waitcnt lgkmcnt(1)
	v_mfma_f32_16x16x16_bf16 a[0:3], v[34:35], v[26:27], a[0:3]
	v_ashrrev_i32_e32 v26, 31, v40
	v_mul_lo_u32 v42, v26, s22
	v_mad_u64_u32 v[26:27], s[24:25], v40, s22, 0
	v_mfma_f32_16x16x16_bf16 a[0:3], v[36:37], v[28:29], a[0:3]
	v_add_u32_e32 v28, 1, v40
	v_ashrrev_i32_e32 v29, 31, v28
	v_add3_u32 v27, v27, v41, v42
	s_waitcnt lgkmcnt(0)
	v_mfma_f32_16x16x16_bf16 a[4:7], v[34:35], v[30:31], a[4:7]
	v_mul_lo_u32 v30, v29, s22
	v_mul_lo_u32 v31, v28, s23
	v_mad_u64_u32 v[28:29], s[24:25], v28, s22, 0
	v_add3_u32 v29, v29, v31, v30
	v_add_u32_e32 v30, 2, v40
	v_ashrrev_i32_e32 v31, 31, v30
	v_mul_lo_u32 v34, v31, s22
	v_mul_lo_u32 v35, v30, s23
	v_mad_u64_u32 v[30:31], s[24:25], v30, s22, 0
	v_add3_u32 v31, v31, v35, v34
	v_add_u32_e32 v34, 3, v40
	v_ashrrev_i32_e32 v35, 31, v34
	v_mul_lo_u32 v40, v35, s22
	v_mul_lo_u32 v41, v34, s23
	v_mad_u64_u32 v[34:35], s[24:25], v34, s22, 0
	v_add3_u32 v35, v35, v41, v40
	s_ashr_i32 s25, s59, 31
	v_lshl_add_u64 v[26:27], v[26:27], 2, s[42:43]
	v_lshl_add_u64 v[34:35], v[34:35], 2, s[42:43]
	s_add_u32 s24, s57, s59
	v_lshl_add_u64 v[28:29], v[28:29], 2, s[42:43]
	v_lshl_add_u64 v[30:31], v[30:31], 2, s[42:43]
	global_load_dword v40, v[26:27], off
	global_load_dword v41, v[28:29], off
	;; [unrolled: 1-line block ×3, first 2 shown]
	s_nop 0
	global_load_dword v34, v[34:35], off
	s_addc_u32 s25, s56, s25
	s_lshl_b64 s[24:25], s[24:25], 8
	v_lshl_add_u64 v[26:27], v[64:65], 0, s[24:25]
	v_lshl_add_u64 v[26:27], v[26:27], 0, v[62:63]
	global_load_ushort v35, v[26:27], off offset:256
	global_load_ushort v43, v[26:27], off
	global_load_ushort v44, v[26:27], off offset:768
	global_load_ushort v45, v[26:27], off offset:512
	ds_read_b64 v[28:29], v102 offset:3072
	ds_read_b64 v[30:31], v103 offset:3072
	global_load_ushort v46, v[26:27], off offset:800
	global_load_ushort v47, v[26:27], off offset:544
	global_load_ushort v48, v[26:27], off offset:288
	global_load_ushort v49, v[26:27], off offset:32
	s_load_dword s24, s[44:45], 0x0
	v_mfma_f32_16x16x16_bf16 a[4:7], v[36:37], v[32:33], a[4:7]
	s_and_b64 vcc, exec, s[0:1]
	s_waitcnt vmcnt(11) lgkmcnt(0)
	v_sub_f32_e32 v32, s24, v40
	v_mfma_f32_16x16x16_bf16 a[0:3], v[38:39], v[28:29], a[0:3]
	s_waitcnt vmcnt(10)
	v_sub_f32_e32 v37, s24, v41
	v_mul_f32_e32 v36, 0x3fb8aa3b, v32
	v_mul_f32_e32 v37, 0x3fb8aa3b, v37
	v_mfma_f32_16x16x16_bf16 a[4:7], v[38:39], v[30:31], a[4:7]
	s_waitcnt vmcnt(9)
	v_sub_f32_e32 v38, s24, v42
	s_waitcnt vmcnt(8)
	v_sub_f32_e32 v39, s24, v34
	v_mul_f32_e32 v38, 0x3fb8aa3b, v38
	v_mul_f32_e32 v39, 0x3fb8aa3b, v39
	v_exp_f32_e32 v36, v36
	v_exp_f32_e32 v37, v37
	;; [unrolled: 1-line block ×4, first 2 shown]
	v_accvgpr_read_b32 v31, a1
	v_accvgpr_read_b32 v27, a3
	;; [unrolled: 1-line block ×4, first 2 shown]
	s_waitcnt vmcnt(7)
	v_lshlrev_b32_e32 v33, 16, v35
	s_waitcnt vmcnt(6)
	v_lshlrev_b32_e32 v32, 16, v43
	;; [unrolled: 2-line block ×4, first 2 shown]
	v_pk_add_f32 v[30:31], v[32:33], v[30:31] neg_lo:[0,1] neg_hi:[0,1]
	v_pk_add_f32 v[26:27], v[34:35], v[26:27] neg_lo:[0,1] neg_hi:[0,1]
	v_pk_mul_f32 v[30:31], v[36:37], v[30:31]
	v_pk_mul_f32 v[26:27], v[38:39], v[26:27]
	v_accvgpr_read_b32 v33, a5
	v_perm_b32 v27, v27, v26, s3
	v_perm_b32 v26, v31, v30, s3
	s_waitcnt vmcnt(1)
	v_lshlrev_b32_e32 v31, 16, v48
	s_waitcnt vmcnt(0)
	v_lshlrev_b32_e32 v30, 16, v49
	v_accvgpr_read_b32 v32, a4
	v_accvgpr_read_b32 v29, a7
	;; [unrolled: 1-line block ×3, first 2 shown]
	v_pk_add_f32 v[30:31], v[30:31], v[32:33] neg_lo:[0,1] neg_hi:[0,1]
	v_lshlrev_b32_e32 v33, 16, v46
	v_lshlrev_b32_e32 v32, 16, v47
	v_pk_add_f32 v[28:29], v[32:33], v[28:29] neg_lo:[0,1] neg_hi:[0,1]
	v_pk_mul_f32 v[30:31], v[36:37], v[30:31]
	v_pk_mul_f32 v[28:29], v[38:39], v[28:29]
	v_mov_b32_e32 v32, 0
	v_perm_b32 v29, v29, v28, s3
	v_perm_b32 v28, v31, v30, s3
	ds_write2_b64 v89, v[26:27], v[28:29] offset1:16
	v_mov_b32_e32 v26, 0
	v_mov_b32_e32 v27, 0
	v_mov_b32_e32 v28, 0
	v_mov_b32_e32 v29, 0
	v_mov_b32_e32 v30, 0
	v_mov_b32_e32 v31, 0
	v_mov_b32_e32 v33, 0
	v_mov_b32_e32 v34, 0
	v_mov_b32_e32 v35, 0
	v_mov_b32_e32 v36, 0
	v_mov_b32_e32 v37, 0
	v_mov_b32_e32 v38, 0
	v_mov_b32_e32 v39, 0
	v_mov_b32_e32 v40, 0
	v_mov_b32_e32 v41, 0
	s_cbranch_vccnz .LBB322_15
; %bb.14:                               ;   in Loop: Header=BB322_7 Depth=1
	s_and_b32 s29, s29, 0xffff
	s_mov_b32 s31, s27
	buffer_load_dwordx4 v[38:41], v107, s[28:31], 0 offen
	buffer_load_dwordx4 v[30:33], v107, s[28:31], s61 offen
	;; [unrolled: 1-line block ×4, first 2 shown]
	v_mov_b32_e32 v121, v81
	v_mov_b32_e32 v122, v80
.LBB322_15:                             ;   in Loop: Header=BB322_7 Depth=1
	s_waitcnt lgkmcnt(0)
	s_barrier
	ds_read_b64 v[46:47], v109
	ds_read_b64 v[128:129], v106
	;; [unrolled: 1-line block ×5, first 2 shown]
	ds_read_b64 v[142:143], v103 offset:3072
	ds_read2_b64 v[42:45], v102 offset0:16 offset1:128
	s_waitcnt lgkmcnt(5)
	v_mfma_f32_16x16x16_bf16 a[0:3], v[46:47], v[128:129], 0
	ds_read2st64_b64 v[48:51], v103 offset0:2 offset1:4
	s_add_i32 s25, s58, s64
	s_mul_hi_i32 s29, s25, s17
	s_waitcnt lgkmcnt(1)
	v_mfma_f32_16x16x16_bf16 a[4:7], v[46:47], v[42:43], 0
	ds_read_b64 v[46:47], v114
	s_mul_i32 s25, s25, s17
	s_add_u32 s28, s25, s33
	s_waitcnt lgkmcnt(1)
	v_mfma_f32_16x16x16_bf16 a[4:7], v[130:131], v[48:49], a[4:7]
	s_addc_u32 s29, s29, s46
	s_lshl_b64 s[28:29], s[28:29], 15
	s_mul_i32 s31, s65, s17
	s_mul_hi_i32 s25, s65, s17
	s_add_u32 s44, s31, s33
	v_mfma_f32_16x16x16_bf16 a[8:11], v[132:133], v[50:51], a[4:7]
	s_addc_u32 s45, s25, s46
	ds_read2st64_b64 v[124:127], v102 offset0:4 offset1:6
	s_lshl_b64 s[44:45], s[44:45], 9
	s_waitcnt lgkmcnt(1)
	v_mfma_f32_16x16x16_bf16 a[4:7], v[46:47], v[128:129], 0
	s_add_u32 s44, s20, s44
	s_addc_u32 s45, s21, s45
	v_mfma_f32_16x16x16_bf16 a[0:3], v[130:131], v[44:45], a[0:3]
	ds_read_b64 v[130:131], v115
	ds_read_b64 v[138:139], v116
	;; [unrolled: 1-line block ×3, first 2 shown]
	v_mfma_f32_16x16x16_bf16 a[12:15], v[46:47], v[42:43], 0
	s_waitcnt lgkmcnt(2)
	v_mfma_f32_16x16x16_bf16 a[4:7], v[130:131], v[44:45], a[4:7]
	global_load_dwordx4 v[42:45], v113, s[44:45]
	v_mfma_f32_16x16x16_bf16 a[12:15], v[130:131], v[48:49], a[12:15]
	global_load_dwordx4 v[46:49], v61, s[44:45]
	ds_read2st64_b64 v[128:131], v104 offset1:8
	s_waitcnt lgkmcnt(0)
	v_mov_b32_e32 v136, v128
	v_mfma_f32_16x16x16_bf16 a[0:3], v[132:133], v[124:125], a[0:3]
	ds_read2st64_b64 v[132:135], v105 offset1:8
	v_mov_b32_e32 v137, v129
	v_mfma_f32_16x16x16_bf16 a[16:19], v[138:139], v[124:125], a[4:7]
	v_lshl_add_u64 v[124:125], v[66:67], 0, s[28:29]
	v_mfma_f32_16x16x16_bf16 a[20:23], v[138:139], v[50:51], a[12:15]
	v_add_co_u32_e32 v50, vcc, s37, v124
	s_waitcnt lgkmcnt(0)
	v_mov_b32_e32 v138, v132
	v_mfma_f32_16x16x16_bf16 a[4:7], v[140:141], v[126:127], a[0:3]
	v_mov_b32_e32 v139, v133
	v_mov_b32_e32 v132, v130
	;; [unrolled: 1-line block ×3, first 2 shown]
	v_mfma_f32_16x16x16_bf16 a[8:11], v[140:141], v[142:143], a[8:11]
	v_addc_co_u32_e32 v51, vcc, 0, v125, vcc
	global_store_dwordx4 v[50:51], v[132:135], off
	v_mfma_f32_16x16x16_bf16 a[12:15], v[144:145], v[126:127], a[16:19]
	s_and_b64 vcc, exec, s[0:1]
	global_store_dwordx4 v[124:125], v[136:139], off
	s_waitcnt vmcnt(3)
	v_mov_b32_e32 v52, v45
	v_mfma_f32_16x16x16_bf16 a[0:3], v[144:145], v[142:143], a[20:23]
	v_mov_b32_e32 v51, v44
	v_mov_b32_e32 v50, v43
	s_cbranch_vccnz .LBB322_17
; %bb.16:                               ;   in Loop: Header=BB322_7 Depth=1
	v_lshrrev_b32_e32 v43, 3, v121
	v_and_b32_e32 v43, 6, v43
	v_xor_b32_e32 v44, v43, v122
	v_lshlrev_b32_e32 v44, 2, v44
	v_and_b32_e32 v45, 8, v121
	v_xor_b32_e32 v121, 0x440, v44
	v_cmp_eq_u32_e32 vcc, 0, v45
	v_perm_b32 v45, v30, v26, s62
	s_nop 0
	v_cndmask_b32_e32 v44, v121, v44, vcc
	v_lshl_or_b32 v43, v43, 10, v44
	v_perm_b32 v44, v38, v34, s62
	s_barrier
	ds_write2st64_b32 v43, v44, v45 offset0:32 offset1:64
	v_xor_b32_e32 v44, 8, v43
	v_perm_b32 v34, v38, v34, s63
	v_perm_b32 v26, v30, v26, s63
	v_add_u32_e32 v30, 0x80, v44
	ds_write2st64_b32 v30, v34, v26 offset0:32 offset1:64
	v_xor_b32_e32 v26, 16, v43
	v_perm_b32 v30, v39, v35, s62
	v_perm_b32 v34, v31, v27, s62
	ds_write2st64_b32 v26, v30, v34 offset0:33 offset1:65
	v_xor_b32_e32 v26, 24, v43
	v_perm_b32 v30, v39, v35, s63
	v_perm_b32 v27, v31, v27, s63
	v_add_u32_e32 v26, 0x80, v26
	ds_write2st64_b32 v26, v30, v27 offset0:33 offset1:65
	v_xor_b32_e32 v26, 32, v43
	v_perm_b32 v27, v40, v36, s62
	v_perm_b32 v30, v32, v28, s62
	;; [unrolled: 9-line block ×3, first 2 shown]
	ds_write2st64_b32 v26, v27, v28 offset0:35 offset1:67
	v_xor_b32_e32 v26, 56, v43
	v_perm_b32 v27, v41, v37, s63
	v_perm_b32 v28, v33, v29, s63
	v_add_u32_e32 v26, 0x80, v26
	ds_write2st64_b32 v26, v27, v28 offset0:35 offset1:67
	ds_write_b64 v120, v[22:23] offset:24576
	v_xor_b32_e32 v22, 8, v120
	ds_write_b64 v22, v[24:25] offset:24576
	ds_write_b64 v120, v[18:19] offset:32768
	;; [unrolled: 1-line block ×4, first 2 shown]
	v_xor_b32_e32 v14, 8, v119
	ds_write_b64 v14, v[16:17] offset:24576
	ds_write_b64 v119, v[10:11] offset:32768
	;; [unrolled: 1-line block ×3, first 2 shown]
.LBB322_17:                             ;   in Loop: Header=BB322_7 Depth=1
	v_mul_f32_e32 v14, s24, v118
	v_exp_f32_e32 v26, v14
	s_waitcnt vmcnt(2)
	v_mul_f32_e32 v14, 0x3fb8aa3b, v46
	v_exp_f32_e32 v28, v14
	v_mul_f32_e32 v14, 0x3fb8aa3b, v47
	v_exp_f32_e32 v29, v14
	;; [unrolled: 2-line block ×4, first 2 shown]
	v_accvgpr_read_b32 v21, a7
	v_accvgpr_read_b32 v19, a5
	;; [unrolled: 1-line block ×4, first 2 shown]
	v_pk_mul_f32 v[28:29], v[26:27], v[28:29] op_sel_hi:[0,1]
	v_accvgpr_read_b32 v12, a10
	v_pk_fma_f32 v[2:3], v[2:3], v[28:29], v[18:19]
	v_pk_mul_f32 v[18:19], v[26:27], v[30:31] op_sel_hi:[0,1]
	v_accvgpr_read_b32 v20, a6
	v_accvgpr_read_b32 v11, a9
	v_accvgpr_read_b32 v10, a8
	v_fma_f32 v76, v76, v18, v12
	v_mul_f32_e32 v12, 0x3fb8aa3b, v51
	v_pk_fma_f32 v[4:5], v[4:5], v[18:19], v[20:21]
	v_fma_f32 v74, v74, v28, v10
	v_fma_f32 v75, v75, v29, v11
	v_mul_f32_e32 v10, 0x3fb8aa3b, v42
	v_mul_f32_e32 v11, 0x3fb8aa3b, v50
	v_exp_f32_e32 v20, v12
	v_mul_f32_e32 v12, 0x3fb8aa3b, v52
	v_exp_f32_e32 v10, v10
	v_exp_f32_e32 v11, v11
	;; [unrolled: 1-line block ×3, first 2 shown]
	v_accvgpr_read_b32 v25, a15
	v_accvgpr_read_b32 v17, a3
	;; [unrolled: 1-line block ×8, first 2 shown]
	v_fmac_f32_e32 v13, v85, v19
	v_pk_mul_f32 v[10:11], v[26:27], v[10:11] op_sel_hi:[0,1]
	v_pk_mul_f32 v[18:19], v[26:27], v[20:21] op_sel_hi:[0,1]
	s_add_i32 s59, s59, 64
	v_pk_fma_f32 v[6:7], v[6:7], v[10:11], v[22:23]
	v_pk_fma_f32 v[8:9], v[8:9], v[18:19], v[24:25]
	v_fma_f32 v77, v77, v10, v14
	v_fma_f32 v78, v78, v11, v15
	;; [unrolled: 1-line block ×3, first 2 shown]
	s_cmp_eq_u32 s53, s39
	v_fmac_f32_e32 v17, v82, v19
	s_cbranch_scc1 .LBB322_19
; %bb.18:                               ;   in Loop: Header=BB322_7 Depth=1
	s_mov_b32 s64, s39
	v_mov_b32_e32 v85, v13
	v_mov_b32_e32 v82, v17
	s_branch .LBB322_7
.LBB322_19:
	v_mov_b32_e32 v16, v79
	v_mov_b32_e32 v15, v78
	;; [unrolled: 1-line block ×3, first 2 shown]
.LBB322_20:
	s_lshl_b32 s0, s53, 6
	s_sub_i32 s44, s54, s0
	v_mov_b32_e32 v12, v76
	v_mov_b32_e32 v11, v75
	v_mov_b32_e32 v10, v74
	s_cmp_gt_i32 s44, 0
	s_cbranch_scc0 .LBB322_85
; %bb.21:
	s_add_i32 s34, s0, s34
	s_ashr_i32 s3, s34, 31
	s_cmpk_lg_i32 s19, 0x80
	s_cselect_b64 s[30:31], -1, 0
	s_and_b64 vcc, exec, s[30:31]
	s_cbranch_vccz .LBB322_23
; %bb.22:
	s_mul_hi_i32 s0, s34, s18
	s_mul_i32 s1, s34, s18
	s_ashr_i32 s18, s55, 31
	s_add_u32 s42, s1, s55
	s_addc_u32 s43, s0, s18
	s_cbranch_execz .LBB322_24
	s_branch .LBB322_25
.LBB322_23:
                                        ; implicit-def: $sgpr42_sgpr43
.LBB322_24:
	s_mul_i32 s1, s55, s16
	s_mul_hi_i32 s0, s55, s16
	s_add_u32 s42, s1, s34
	s_addc_u32 s43, s0, s3
.LBB322_25:
	s_waitcnt lgkmcnt(0)
	s_add_i32 s16, s53, s58
	s_add_u32 s0, s57, s34
	v_lshlrev_b32_e32 v22, 5, v72
	v_lshlrev_b32_e32 v38, 2, v69
	s_addc_u32 s1, s56, s3
	s_mov_b32 s3, 0x7060302
	v_or_b32_e32 v25, v22, v38
	v_xor_b32_e32 v23, v72, v38
	v_perm_b32 v19, v5, v4, s3
	v_perm_b32 v18, v3, v2, s3
	;; [unrolled: 1-line block ×4, first 2 shown]
	v_lshlrev_b32_e32 v25, 1, v25
	v_xor_b32_e32 v24, v73, v38
	ds_write2st64_b64 v25, v[18:19], v[20:21] offset0:80 offset1:88
	v_lshlrev_b32_e32 v23, 1, v23
	v_lshlrev_b32_e32 v25, 8, v69
	s_lshl_b64 s[28:29], s[0:1], 8
	v_or_b32_e32 v26, v23, v25
	v_lshlrev_b32_e32 v24, 1, v24
	s_add_u32 s0, s6, s28
	ds_write_b64 v26, v[18:19]
	v_or_b32_e32 v18, v24, v25
	s_addc_u32 s1, s7, s29
	ds_write_b64 v18, v[20:21]
	v_perm_b32 v19, v13, v12, s3
	v_perm_b32 v18, v11, v10, s3
	v_perm_b32 v21, v17, v16, s3
	v_perm_b32 v20, v15, v14, s3
	v_or_b32_e32 v25, 16, v69
	s_mul_hi_i32 s3, s16, s17
	s_mul_i32 s16, s16, s17
	v_lshlrev_b32_e32 v35, 2, v25
	s_add_u32 s6, s16, s33
	v_or_b32_e32 v22, v22, v35
	s_addc_u32 s7, s3, s46
	v_lshlrev_b32_e32 v22, 1, v22
	s_ashr_i32 s3, s2, 31
	s_lshl_b64 s[6:7], s[6:7], 15
	ds_write2st64_b64 v22, v[18:19], v[20:21] offset0:80 offset1:88
	v_lshlrev_b32_e32 v22, 8, v25
	s_add_u32 s6, s40, s6
	v_or_b32_e32 v23, v23, v22
	s_addc_u32 s7, s41, s7
	s_lshl_b64 s[2:3], s[2:3], 8
	ds_write_b64 v23, v[18:19]
	v_or_b32_e32 v18, v24, v22
	s_add_u32 s2, s6, s2
	ds_write_b64 v18, v[20:21]
	v_lshrrev_b32_e32 v18, 4, v0
	s_addc_u32 s3, s7, s3
	v_lshlrev_b32_e32 v19, 1, v69
	v_lshlrev_b32_e32 v26, 4, v69
	v_mov_b32_e32 v27, 0
	v_or_b32_e32 v20, 1, v19
	v_xor_b32_e32 v19, v18, v19
	v_lshl_add_u64 v[28:29], s[2:3], 0, v[26:27]
	v_lshlrev_b32_e32 v26, 8, v18
	v_xor_b32_e32 v22, v20, v18
	v_lshl_or_b32 v18, v19, 3, v26
	s_waitcnt lgkmcnt(0)
	s_barrier
	ds_read2st64_b64 v[18:21], v18 offset1:8
	v_lshl_or_b32 v22, v22, 3, v26
	ds_read2st64_b64 v[22:25], v22 offset1:8
	v_lshl_add_u64 v[30:31], v[28:29], 0, v[26:27]
	s_movk_i32 s2, 0x1000
	s_waitcnt lgkmcnt(1)
	v_mov_b32_e32 v26, v18
	v_add_co_u32_e32 v18, vcc, s2, v30
	s_cmp_lg_u32 s44, 64
	v_mov_b32_e32 v27, v19
	v_addc_co_u32_e32 v19, vcc, 0, v31, vcc
	s_cselect_b64 s[6:7], -1, 0
	v_lshl_or_b32 v42, v1, 3, v71
	s_waitcnt lgkmcnt(0)
	v_mov_b32_e32 v28, v22
	v_mov_b32_e32 v29, v23
	;; [unrolled: 1-line block ×4, first 2 shown]
	s_mov_b32 s24, 0
	v_or_b32_e32 v36, 32, v42
	v_and_b32_e32 v34, 56, v70
	s_and_b64 vcc, exec, s[6:7]
	global_store_dwordx4 v[30:31], v[26:29], off
	global_store_dwordx4 v[18:19], v[22:25], off
	s_cbranch_vccz .LBB322_31
; %bb.26:
	s_mov_b32 s25, s24
	s_mov_b32 s26, s24
	s_mov_b32 s27, s24
	v_mov_b64_e32 v[22:23], s[24:25]
	v_mov_b64_e32 v[24:25], s[26:27]
	;; [unrolled: 1-line block ×3, first 2 shown]
	v_cmp_gt_i32_e32 vcc, s44, v42
	v_mov_b64_e32 v[20:21], v[24:25]
	s_and_saveexec_b64 s[2:3], vcc
	s_cbranch_execz .LBB322_28
; %bb.27:
	v_lshlrev_b32_e32 v18, 8, v42
	v_mov_b32_e32 v19, 0
	v_lshl_add_u64 v[20:21], s[0:1], 0, v[18:19]
	v_lshlrev_b32_e32 v18, 1, v34
	v_lshl_add_u64 v[26:27], v[20:21], 0, v[18:19]
	global_load_dwordx4 v[22:25], v[26:27], off
	global_load_dwordx4 v[18:21], v[26:27], off offset:128
.LBB322_28:
	s_or_b64 exec, exec, s[2:3]
	s_mov_b32 s26, s24
	s_mov_b32 s27, s24
	;; [unrolled: 1-line block ×3, first 2 shown]
	v_mov_b64_e32 v[32:33], s[26:27]
	v_mov_b64_e32 v[30:31], s[24:25]
	;; [unrolled: 1-line block ×3, first 2 shown]
	v_cmp_gt_i32_e32 vcc, s44, v36
	v_lshlrev_b32_e32 v37, 7, v36
	v_mov_b64_e32 v[28:29], v[32:33]
	s_and_saveexec_b64 s[2:3], vcc
	s_cbranch_execz .LBB322_30
; %bb.29:
	v_lshlrev_b32_e32 v26, 1, v37
	v_mov_b32_e32 v27, 0
	v_lshl_add_u64 v[28:29], s[0:1], 0, v[26:27]
	v_lshlrev_b32_e32 v26, 1, v34
	v_lshl_add_u64 v[40:41], v[28:29], 0, v[26:27]
	global_load_dwordx4 v[30:33], v[40:41], off
	global_load_dwordx4 v[26:29], v[40:41], off offset:128
.LBB322_30:
	s_or_b64 exec, exec, s[2:3]
	v_lshrrev_b32_e32 v39, 3, v34
	v_lshlrev_b32_e32 v40, 3, v42
	v_or_b32_e32 v39, v40, v39
	v_lshlrev_b32_e32 v39, 4, v39
	v_and_b32_e32 v40, 0x78, v40
	v_xor_b32_e32 v39, v39, v40
	s_branch .LBB322_33
.LBB322_31:
                                        ; implicit-def: $vgpr39
                                        ; implicit-def: $vgpr37
                                        ; implicit-def: $vgpr22_vgpr23_vgpr24_vgpr25
                                        ; implicit-def: $vgpr18_vgpr19_vgpr20_vgpr21
                                        ; implicit-def: $vgpr30_vgpr31_vgpr32_vgpr33
                                        ; implicit-def: $vgpr26_vgpr27_vgpr28_vgpr29
	s_cbranch_execz .LBB322_33
; %bb.32:
	s_waitcnt vmcnt(0)
	v_lshlrev_b32_e32 v18, 1, v34
	v_lshl_or_b32 v37, v42, 8, v18
	s_and_b32 s1, s1, 0xffff
	s_mov_b32 s3, 0x20000
	s_movk_i32 s2, 0x4000
	v_lshl_or_b32 v39, v36, 8, v18
	s_movk_i32 s16, 0x80
	buffer_load_dwordx4 v[22:25], v37, s[0:3], 0 offen
	buffer_load_dwordx4 v[18:21], v37, s[0:3], s16 offen
	;; [unrolled: 1-line block ×4, first 2 shown]
	v_lshrrev_b32_e32 v37, 3, v34
	v_lshlrev_b32_e32 v39, 3, v42
	v_or_b32_e32 v37, v39, v37
	v_lshlrev_b32_e32 v37, 4, v37
	v_and_b32_e32 v39, 0x78, v39
	v_xor_b32_e32 v39, v37, v39
	v_lshlrev_b32_e32 v37, 7, v36
.LBB322_33:
	s_lshl_b64 s[0:1], s[42:43], 8
	s_add_u32 s4, s4, s0
	s_movk_i32 s0, 0x1000
	v_and_or_b32 v36, v37, s0, v39
	s_waitcnt vmcnt(1)
	ds_write_b64 v39, v[22:23] offset:24576
	v_xor_b32_e32 v22, 8, v39
	ds_write_b64 v22, v[24:25] offset:24576
	s_waitcnt vmcnt(0)
	ds_write_b64 v39, v[18:19] offset:32768
	ds_write_b64 v22, v[20:21] offset:32768
	;; [unrolled: 1-line block ×3, first 2 shown]
	v_xor_b32_e32 v18, 8, v36
	ds_write_b64 v18, v[32:33] offset:24576
	ds_write_b64 v36, v[26:27] offset:32768
	;; [unrolled: 1-line block ×3, first 2 shown]
	v_or_b32_e32 v18, v53, v69
	v_lshlrev_b32_e32 v18, 3, v18
	v_lshrrev_b32_e32 v19, 5, v55
	s_movk_i32 s2, 0xf8
	v_and_or_b32 v19, v18, s2, v19
	v_lshlrev_b32_e32 v23, 4, v19
	v_lshlrev_b32_e32 v39, 11, v1
	v_and_b32_e32 v24, 0x78, v18
	v_or_b32_e32 v26, 32, v23
	v_and_b32_e32 v22, 0x1000, v39
	v_lshrrev_b32_e32 v19, 1, v55
	v_xor_b32_e32 v26, v26, v24
	v_xor_b32_e32 v18, v23, v24
	v_and_b32_e32 v25, 8, v19
	v_or_b32_e32 v26, v26, v22
	v_or_b32_e32 v18, v18, v22
	v_xor_b32_e32 v44, v26, v25
	v_or_b32_e32 v26, 64, v23
	v_xor_b32_e32 v43, v18, v25
	v_xor_b32_e32 v26, v26, v24
	s_waitcnt lgkmcnt(0)
	s_barrier
	v_or_b32_e32 v28, v26, v22
	ds_read_b64 v[26:27], v43 offset:24576
	v_lshl_or_b32 v36, v68, 7, v38
	v_lshlrev_b32_e32 v40, 1, v36
	v_add_u32_e32 v18, 0xa000, v40
	ds_read2_b64 v[18:21], v18 offset1:16
	v_or_b32_e32 v23, 0x60, v23
	v_xor_b32_e32 v23, v23, v24
	s_waitcnt lgkmcnt(0)
	v_mfma_f32_16x16x16_bf16 a[0:3], v[26:27], v[18:19], 0
	v_or_b32_e32 v18, 64, v36
	v_or_b32_e32 v22, v23, v22
	v_lshlrev_b32_e32 v41, 1, v18
	v_xor_b32_e32 v45, v28, v25
	v_xor_b32_e32 v46, v22, v25
	ds_read_b64 v[28:29], v44 offset:24576
	ds_read_b64 v[30:31], v45 offset:24576
	;; [unrolled: 1-line block ×3, first 2 shown]
	v_mfma_f32_16x16x16_bf16 a[4:7], v[26:27], v[20:21], 0
	ds_read2st64_b64 v[18:21], v41 offset0:82 offset1:84
	ds_read2st64_b64 v[22:25], v40 offset0:82 offset1:84
	s_addc_u32 s5, s5, s1
	s_add_i32 s0, s48, s47
	s_add_i32 s16, s35, -1
	s_add_i32 s37, s0, s49
	s_add_i32 s0, s51, s50
	;; [unrolled: 1-line block ×3, first 2 shown]
	s_ashr_i32 s0, s16, 31
	s_mul_i32 s1, s16, s23
	s_mul_hi_u32 s2, s16, s22
	s_add_i32 s1, s2, s1
	s_mul_i32 s0, s0, s22
	s_waitcnt lgkmcnt(1)
	v_mfma_f32_16x16x16_bf16 a[4:7], v[28:29], v[18:19], a[4:7]
	s_add_i32 s1, s1, s0
	s_lshl_b64 s[2:3], s[36:37], 2
	s_add_u32 s10, s10, s2
	s_waitcnt lgkmcnt(0)
	v_mfma_f32_16x16x16_bf16 a[0:3], v[28:29], v[22:23], a[0:3]
	s_addc_u32 s11, s11, s3
	s_lshl_b64 s[2:3], s[38:39], 2
	s_mul_i32 s0, s16, s22
	s_add_u32 s10, s10, s2
	ds_read_b64 v[18:19], v40 offset:44032
	v_mfma_f32_16x16x16_bf16 a[4:7], v[30:31], v[20:21], a[4:7]
	ds_read_b64 v[20:21], v41 offset:44032
	s_addc_u32 s11, s11, s3
	s_lshl_b64 s[0:1], s[0:1], 2
	v_mfma_f32_16x16x16_bf16 a[0:3], v[30:31], v[24:25], a[0:3]
	s_add_u32 s0, s10, s0
	s_addc_u32 s1, s11, s1
	s_load_dword s18, s[0:1], 0x0
	s_waitcnt lgkmcnt(0)
	v_mfma_f32_16x16x16_bf16 a[0:3], v[32:33], v[18:19], a[0:3]
	s_and_b64 vcc, exec, s[30:31]
	v_mfma_f32_16x16x16_bf16 a[4:7], v[32:33], v[20:21], a[4:7]
	s_cbranch_vccz .LBB322_44
; %bb.34:
	v_lshlrev_b32_e32 v36, 1, v42
	s_and_b64 vcc, exec, s[6:7]
	s_cbranch_vccz .LBB322_45
; %bb.35:
	v_cmp_gt_i32_e32 vcc, s44, v36
	v_mov_b32_e32 v22, 0
	v_mov_b32_e32 v18, 0
	;; [unrolled: 1-line block ×5, first 2 shown]
	s_and_saveexec_b64 s[0:1], vcc
	s_cbranch_execz .LBB322_37
; %bb.36:
	v_mad_i64_i32 v[18:19], s[2:3], s19, v36, 0
	v_lshl_add_u64 v[18:19], v[18:19], 1, s[4:5]
	v_lshlrev_b32_e32 v20, 1, v34
	v_mov_b32_e32 v21, 0
	v_lshl_add_u64 v[18:19], v[18:19], 0, v[20:21]
	global_load_dwordx4 v[18:21], v[18:19], off
.LBB322_37:
	s_or_b64 exec, exec, s[0:1]
	v_or_b32_e32 v37, 1, v36
	v_cmp_gt_i32_e64 s[0:1], s44, v37
	v_mov_b32_e32 v23, 0
	v_mov_b32_e32 v24, 0
	;; [unrolled: 1-line block ×3, first 2 shown]
	s_and_saveexec_b64 s[2:3], s[0:1]
	s_cbranch_execz .LBB322_39
; %bb.38:
	v_mad_i64_i32 v[22:23], s[24:25], s19, v37, 0
	v_lshl_add_u64 v[22:23], v[22:23], 1, s[4:5]
	v_lshlrev_b32_e32 v24, 1, v34
	v_mov_b32_e32 v25, 0
	v_lshl_add_u64 v[22:23], v[22:23], 0, v[24:25]
	global_load_dwordx4 v[22:25], v[22:23], off
.LBB322_39:
	s_or_b64 exec, exec, s[2:3]
	v_mov_b32_e32 v33, 0
	v_mov_b32_e32 v26, 0
	;; [unrolled: 1-line block ×5, first 2 shown]
	s_and_saveexec_b64 s[2:3], vcc
	s_cbranch_execz .LBB322_41
; %bb.40:
	v_mad_i64_i32 v[26:27], s[24:25], s19, v36, 0
	v_lshl_add_u64 v[26:27], v[26:27], 1, s[4:5]
	v_lshlrev_b32_e32 v28, 1, v34
	v_mov_b32_e32 v29, 0
	v_lshl_add_u64 v[26:27], v[26:27], 0, v[28:29]
	global_load_dwordx4 v[26:29], v[26:27], off offset:128
.LBB322_41:
	s_or_b64 exec, exec, s[2:3]
	v_mov_b32_e32 v32, 0
	v_mov_b32_e32 v31, 0
	;; [unrolled: 1-line block ×3, first 2 shown]
	s_and_saveexec_b64 s[2:3], s[0:1]
	s_cbranch_execz .LBB322_43
; %bb.42:
	v_mad_i64_i32 v[30:31], s[0:1], s19, v37, 0
	v_lshl_add_u64 v[30:31], v[30:31], 1, s[4:5]
	v_lshlrev_b32_e32 v32, 1, v34
	v_mov_b32_e32 v33, 0
	v_lshl_add_u64 v[30:31], v[30:31], 0, v[32:33]
	global_load_dwordx4 v[30:33], v[30:31], off offset:128
.LBB322_43:
	s_or_b64 exec, exec, s[2:3]
	s_branch .LBB322_47
.LBB322_44:
                                        ; implicit-def: $vgpr21
                                        ; implicit-def: $vgpr25
                                        ; implicit-def: $vgpr29
                                        ; implicit-def: $vgpr33
	v_lshrrev_b32_e32 v47, 2, v55
	s_branch .LBB322_48
.LBB322_45:
                                        ; implicit-def: $vgpr21
                                        ; implicit-def: $vgpr25
                                        ; implicit-def: $vgpr29
                                        ; implicit-def: $vgpr33
	s_cbranch_execz .LBB322_47
; %bb.46:
	s_waitcnt vmcnt(0)
	v_mad_u64_u32 v[18:19], s[0:1], v36, s19, v[34:35]
	v_lshlrev_b32_e32 v36, 1, v18
	s_lshl_b32 s2, s19, 7
	s_and_b32 s1, s5, 0xffff
	s_mov_b32 s3, 0x20000
	s_mov_b32 s0, s4
	v_add_lshl_u32 v37, v18, s19, 1
	s_movk_i32 s19, 0x80
	buffer_load_dwordx4 v[18:21], v36, s[0:3], 0 offen
	buffer_load_dwordx4 v[26:29], v36, s[0:3], s19 offen
	;; [unrolled: 1-line block ×4, first 2 shown]
.LBB322_47:
	v_lshrrev_b32_e32 v47, 2, v55
	s_cbranch_execnz .LBB322_60
.LBB322_48:
	s_and_b64 vcc, exec, s[6:7]
	s_cbranch_vccz .LBB322_58
; %bb.49:
	s_waitcnt vmcnt(0)
	v_lshlrev_b32_e32 v23, 1, v42
	v_cmp_gt_i32_e32 vcc, s44, v23
	v_mov_b32_e32 v22, 0
	v_lshlrev_b32_e32 v30, 9, v42
	v_mov_b32_e32 v18, 0
	v_mov_b32_e32 v19, 0
	v_mov_b32_e32 v20, 0
	v_mov_b32_e32 v21, 0
	s_and_saveexec_b64 s[0:1], vcc
	s_cbranch_execz .LBB322_51
; %bb.50:
	v_mov_b32_e32 v31, 0
	v_lshl_add_u64 v[18:19], s[4:5], 0, v[30:31]
	v_lshlrev_b32_e32 v20, 1, v34
	v_mov_b32_e32 v21, v31
	v_lshl_add_u64 v[18:19], v[18:19], 0, v[20:21]
	global_load_dwordx4 v[18:21], v[18:19], off
.LBB322_51:
	s_or_b64 exec, exec, s[0:1]
	v_or_b32_e32 v23, 1, v23
	v_cmp_gt_i32_e64 s[0:1], s44, v23
	v_lshlrev_b32_e32 v36, 8, v23
	v_mov_b32_e32 v23, 0
	v_mov_b32_e32 v24, 0
	;; [unrolled: 1-line block ×3, first 2 shown]
	s_and_saveexec_b64 s[2:3], s[0:1]
	s_cbranch_execz .LBB322_53
; %bb.52:
	v_mov_b32_e32 v37, 0
	v_lshl_add_u64 v[22:23], s[4:5], 0, v[36:37]
	v_lshlrev_b32_e32 v24, 1, v34
	v_mov_b32_e32 v25, v37
	v_lshl_add_u64 v[22:23], v[22:23], 0, v[24:25]
	global_load_dwordx4 v[22:25], v[22:23], off
.LBB322_53:
	s_or_b64 exec, exec, s[2:3]
	v_mov_b32_e32 v33, 0
	v_mov_b32_e32 v26, 0
	;; [unrolled: 1-line block ×5, first 2 shown]
	s_and_saveexec_b64 s[2:3], vcc
	s_cbranch_execz .LBB322_55
; %bb.54:
	v_mov_b32_e32 v31, 0
	v_lshl_add_u64 v[26:27], s[4:5], 0, v[30:31]
	v_lshlrev_b32_e32 v30, 1, v34
	v_lshl_add_u64 v[26:27], v[26:27], 0, v[30:31]
	global_load_dwordx4 v[26:29], v[26:27], off offset:128
.LBB322_55:
	s_or_b64 exec, exec, s[2:3]
	v_mov_b32_e32 v32, 0
	v_mov_b32_e32 v31, 0
	;; [unrolled: 1-line block ×3, first 2 shown]
	s_and_saveexec_b64 s[2:3], s[0:1]
	s_cbranch_execz .LBB322_57
; %bb.56:
	v_mov_b32_e32 v37, 0
	v_lshl_add_u64 v[30:31], s[4:5], 0, v[36:37]
	v_lshlrev_b32_e32 v36, 1, v34
	v_lshl_add_u64 v[30:31], v[30:31], 0, v[36:37]
	global_load_dwordx4 v[30:33], v[30:31], off offset:128
.LBB322_57:
	s_or_b64 exec, exec, s[2:3]
	s_branch .LBB322_60
.LBB322_58:
                                        ; implicit-def: $vgpr21
                                        ; implicit-def: $vgpr25
                                        ; implicit-def: $vgpr29
                                        ; implicit-def: $vgpr33
	s_cbranch_execz .LBB322_60
; %bb.59:
	s_waitcnt vmcnt(0)
	v_lshlrev_b32_e32 v18, 1, v34
	v_lshl_or_b32 v34, v42, 9, v18
	s_and_b32 s5, s5, 0xffff
	s_mov_b32 s7, 0x20000
	s_movk_i32 s6, 0x4000
	s_movk_i32 s0, 0x80
	buffer_load_dwordx4 v[18:21], v34, s[4:7], 0 offen
	buffer_load_dwordx4 v[22:25], v34, s[4:7], 0 offen offset:256
	buffer_load_dwordx4 v[26:29], v34, s[4:7], s0 offen
	buffer_load_dwordx4 v[30:33], v34, s[4:7], s0 offen offset:256
.LBB322_60:
	ds_read_b64 v[36:37], v43 offset:32768
	v_add_u32_e32 v34, 0xb000, v40
	ds_read2_b64 v[48:51], v34 offset1:16
	ds_read_b64 v[66:67], v44 offset:32768
	ds_read_b64 v[44:45], v45 offset:32768
	;; [unrolled: 1-line block ×3, first 2 shown]
	ds_read2st64_b64 v[62:65], v41 offset0:90 offset1:92
	v_and_b32_e32 v43, 6, v0
	v_and_b32_e32 v34, 12, v47
	v_xor_b32_e32 v42, v42, v43
	v_lshlrev_b32_e32 v42, 2, v42
	s_mov_b32 s0, 0x1000504
	s_waitcnt lgkmcnt(4)
	v_mfma_f32_16x16x16_bf16 a[0:3], v[36:37], v[48:49], a[0:3]
	s_mov_b32 s1, 0x3020706
	v_mfma_f32_16x16x16_bf16 a[4:7], v[36:37], v[50:51], a[4:7]
	ds_read2st64_b64 v[48:51], v40 offset0:90 offset1:92
	ds_read_b64 v[36:37], v40 offset:48128
	ds_read_b64 v[46:47], v41 offset:48128
	s_waitcnt lgkmcnt(2)
	v_mfma_f32_16x16x16_bf16 a[0:3], v[66:67], v[48:49], a[0:3]
	v_and_b32_e32 v48, 1, v0
	v_xor_b32_e32 v49, 0x440, v42
	v_cmp_eq_u32_e32 vcc, 0, v48
	v_mfma_f32_16x16x16_bf16 a[4:7], v[66:67], v[62:63], a[4:7]
	s_nop 0
	v_cndmask_b32_e32 v42, v49, v42, vcc
	v_lshl_or_b32 v42, v43, 10, v42
	v_mfma_f32_16x16x16_bf16 a[0:3], v[44:45], v[50:51], a[0:3]
	v_mfma_f32_16x16x16_bf16 a[8:11], v[44:45], v[64:65], a[4:7]
	s_waitcnt lgkmcnt(1)
	v_mfma_f32_16x16x16_bf16 a[4:7], v[68:69], v[36:37], a[0:3]
	s_waitcnt vmcnt(0)
	v_perm_b32 v36, v18, v22, s0
	v_perm_b32 v37, v26, v30, s0
	ds_write2st64_b32 v42, v36, v37 offset0:32 offset1:64
	v_xor_b32_e32 v36, 8, v42
	v_perm_b32 v18, v18, v22, s1
	v_perm_b32 v22, v26, v30, s1
	v_add_u32_e32 v26, 0x80, v36
	ds_write2st64_b32 v26, v18, v22 offset0:32 offset1:64
	v_xor_b32_e32 v18, 16, v42
	v_perm_b32 v22, v19, v23, s0
	v_perm_b32 v26, v27, v31, s0
	ds_write2st64_b32 v18, v22, v26 offset0:33 offset1:65
	v_xor_b32_e32 v18, 24, v42
	v_perm_b32 v19, v19, v23, s1
	v_perm_b32 v22, v27, v31, s1
	v_add_u32_e32 v18, 0x80, v18
	ds_write2st64_b32 v18, v19, v22 offset0:33 offset1:65
	v_xor_b32_e32 v18, 32, v42
	v_perm_b32 v19, v20, v24, s0
	v_perm_b32 v22, v28, v32, s0
	ds_write2st64_b32 v18, v19, v22 offset0:34 offset1:66
	v_xor_b32_e32 v18, 40, v42
	s_waitcnt lgkmcnt(5)
	v_mfma_f32_16x16x16_bf16 a[0:3], v[68:69], v[46:47], a[8:11]
	v_perm_b32 v19, v20, v24, s1
	v_perm_b32 v20, v28, v32, s1
	v_add_u32_e32 v18, 0x80, v18
	ds_write2st64_b32 v18, v19, v20 offset0:34 offset1:66
	v_xor_b32_e32 v18, 48, v42
	v_perm_b32 v19, v21, v25, s0
	v_perm_b32 v20, v29, v33, s0
	ds_write2st64_b32 v18, v19, v20 offset0:35 offset1:67
	v_xor_b32_e32 v18, 56, v42
	v_or_b32_e32 v32, v34, v53
	v_perm_b32 v19, v21, v25, s1
	v_perm_b32 v20, v29, v33, s1
	v_add_u32_e32 v18, 0x80, v18
	v_cmp_gt_i32_e32 vcc, s44, v32
	v_mov_b32_e32 v33, 0
	v_mov_b32_e32 v37, 0
	ds_write2st64_b32 v18, v19, v20 offset0:35 offset1:67
	s_and_saveexec_b64 s[0:1], vcc
	s_cbranch_execz .LBB322_62
; %bb.61:
	v_add_u32_e32 v18, s34, v32
	v_ashrrev_i32_e32 v19, 31, v18
	v_mul_lo_u32 v20, v19, s22
	v_mul_lo_u32 v21, v18, s23
	v_mad_u64_u32 v[18:19], s[2:3], v18, s22, 0
	v_add3_u32 v19, v19, v21, v20
	v_lshl_add_u64 v[18:19], v[18:19], 2, s[10:11]
	global_load_dword v18, v[18:19], off
	s_waitcnt vmcnt(0)
	v_sub_f32_e32 v18, s18, v18
	v_mul_f32_e32 v18, 0x3fb8aa3b, v18
	v_exp_f32_e32 v37, v18
.LBB322_62:
	s_or_b64 exec, exec, s[0:1]
	v_or_b32_e32 v26, 1, v32
	v_cmp_gt_i32_e64 s[0:1], s44, v26
	s_and_saveexec_b64 s[2:3], s[0:1]
	s_cbranch_execz .LBB322_64
; %bb.63:
	v_add_u32_e32 v18, s34, v26
	v_ashrrev_i32_e32 v19, 31, v18
	v_mul_lo_u32 v20, v19, s22
	v_mul_lo_u32 v21, v18, s23
	v_mad_u64_u32 v[18:19], s[4:5], v18, s22, 0
	v_add3_u32 v19, v19, v21, v20
	v_lshl_add_u64 v[18:19], v[18:19], 2, s[10:11]
	global_load_dword v18, v[18:19], off
	s_waitcnt vmcnt(0)
	v_sub_f32_e32 v18, s18, v18
	v_mul_f32_e32 v18, 0x3fb8aa3b, v18
	v_exp_f32_e32 v33, v18
.LBB322_64:
	s_or_b64 exec, exec, s[2:3]
	v_or_b32_e32 v27, 2, v32
	v_cmp_gt_i32_e64 s[2:3], s44, v27
	v_mov_b32_e32 v36, 0
	v_mov_b32_e32 v42, 0
	s_and_saveexec_b64 s[4:5], s[2:3]
	s_cbranch_execz .LBB322_66
; %bb.65:
	v_add_u32_e32 v18, s34, v27
	v_ashrrev_i32_e32 v19, 31, v18
	v_mul_lo_u32 v20, v19, s22
	v_mul_lo_u32 v21, v18, s23
	v_mad_u64_u32 v[18:19], s[6:7], v18, s22, 0
	v_add3_u32 v19, v19, v21, v20
	v_lshl_add_u64 v[18:19], v[18:19], 2, s[10:11]
	global_load_dword v18, v[18:19], off
	s_waitcnt vmcnt(0)
	v_sub_f32_e32 v18, s18, v18
	v_mul_f32_e32 v18, 0x3fb8aa3b, v18
	v_exp_f32_e32 v42, v18
.LBB322_66:
	s_or_b64 exec, exec, s[4:5]
	v_or_b32_e32 v43, 3, v32
	v_cmp_gt_i32_e64 s[4:5], s44, v43
	s_and_saveexec_b64 s[6:7], s[4:5]
	s_cbranch_execz .LBB322_68
; %bb.67:
	v_add_u32_e32 v18, s34, v43
	v_ashrrev_i32_e32 v19, 31, v18
	v_mul_lo_u32 v20, v19, s22
	v_mul_lo_u32 v21, v18, s23
	v_mad_u64_u32 v[18:19], s[22:23], v18, s22, 0
	v_add3_u32 v19, v19, v21, v20
	v_lshl_add_u64 v[18:19], v[18:19], 2, s[10:11]
	global_load_dword v18, v[18:19], off
	s_waitcnt vmcnt(0)
	v_sub_f32_e32 v18, s18, v18
	v_mul_f32_e32 v18, 0x3fb8aa3b, v18
	v_exp_f32_e32 v36, v18
.LBB322_68:
	s_or_b64 exec, exec, s[6:7]
	s_add_u32 s6, s8, s28
	v_accvgpr_read_b32 v21, a7
	s_addc_u32 s7, s9, s29
	v_ashrrev_i32_e32 v61, 31, v60
	v_accvgpr_read_b32 v20, a6
	v_accvgpr_read_b32 v19, a5
	;; [unrolled: 1-line block ×3, first 2 shown]
	v_lshl_add_u64 v[22:23], v[60:61], 1, s[6:7]
	v_mov_b32_e32 v29, 0
	v_lshlrev_b32_e32 v24, 8, v32
	v_mov_b32_e32 v25, 0
	s_and_saveexec_b64 s[6:7], vcc
	s_cbranch_execz .LBB322_70
; %bb.69:
	v_mov_b32_e32 v25, 0
	v_lshl_add_u64 v[30:31], v[22:23], 0, v[24:25]
	global_load_ushort v25, v[30:31], off
	s_waitcnt vmcnt(0)
	v_lshlrev_b32_e32 v25, 16, v25
	v_sub_f32_e32 v18, v25, v18
	v_mul_f32_e32 v18, v37, v18
	v_lshrrev_b32_e32 v25, 16, v18
.LBB322_70:
	s_or_b64 exec, exec, s[6:7]
	v_lshlrev_b32_e32 v28, 8, v26
	s_and_saveexec_b64 s[6:7], s[0:1]
	s_cbranch_execz .LBB322_72
; %bb.71:
	v_mov_b32_e32 v29, 0
	v_lshl_add_u64 v[30:31], v[22:23], 0, v[28:29]
	global_load_ushort v18, v[30:31], off
	s_waitcnt vmcnt(0)
	v_lshlrev_b32_e32 v18, 16, v18
	v_sub_f32_e32 v18, v18, v19
	v_mul_f32_e32 v18, v33, v18
	v_lshrrev_b32_e32 v29, 16, v18
.LBB322_72:
	s_or_b64 exec, exec, s[6:7]
	v_mov_b32_e32 v44, 0
	v_lshlrev_b32_e32 v30, 8, v27
	v_mov_b32_e32 v31, 0
	s_and_saveexec_b64 s[6:7], s[2:3]
	s_cbranch_execz .LBB322_74
; %bb.73:
	v_mov_b32_e32 v31, 0
	v_lshl_add_u64 v[18:19], v[22:23], 0, v[30:31]
	global_load_ushort v18, v[18:19], off
	s_waitcnt vmcnt(0)
	v_lshlrev_b32_e32 v18, 16, v18
	v_sub_f32_e32 v18, v18, v20
	v_mul_f32_e32 v18, v42, v18
	v_lshrrev_b32_e32 v31, 16, v18
.LBB322_74:
	s_or_b64 exec, exec, s[6:7]
	v_lshlrev_b32_e32 v26, 8, v43
	s_and_saveexec_b64 s[6:7], s[4:5]
	s_cbranch_execz .LBB322_76
; %bb.75:
	v_mov_b32_e32 v27, 0
	v_lshl_add_u64 v[18:19], v[22:23], 0, v[26:27]
	global_load_ushort v18, v[18:19], off
	s_waitcnt vmcnt(0)
	v_lshlrev_b32_e32 v18, 16, v18
	v_sub_f32_e32 v18, v18, v21
	v_mul_f32_e32 v18, v36, v18
	v_lshrrev_b32_e32 v44, 16, v18
.LBB322_76:
	s_or_b64 exec, exec, s[6:7]
	v_lshlrev_b32_e32 v43, 5, v32
	s_mov_b32 s6, 0x5040100
	v_perm_b32 v45, v44, v31, s6
	v_perm_b32 v44, v29, v25, s6
	v_or_b32_e32 v25, v43, v38
	v_accvgpr_read_b32 v21, a3
	v_lshlrev_b32_e32 v25, 1, v25
	v_accvgpr_read_b32 v20, a2
	v_accvgpr_read_b32 v19, a1
	;; [unrolled: 1-line block ×3, first 2 shown]
	ds_write_b64 v25, v[44:45] offset:45056
	v_mov_b32_e32 v29, 0
	v_mov_b32_e32 v25, 0
	s_and_saveexec_b64 s[6:7], vcc
	s_cbranch_execz .LBB322_78
; %bb.77:
	v_mov_b32_e32 v25, 0
	v_lshl_add_u64 v[24:25], v[22:23], 0, v[24:25]
	global_load_ushort v24, v[24:25], off offset:32
	s_waitcnt vmcnt(0)
	v_lshlrev_b32_e32 v24, 16, v24
	v_sub_f32_e32 v18, v24, v18
	v_mul_f32_e32 v18, v37, v18
	v_lshrrev_b32_e32 v25, 16, v18
.LBB322_78:
	s_or_b64 exec, exec, s[6:7]
	s_and_saveexec_b64 s[6:7], s[0:1]
	s_cbranch_execz .LBB322_80
; %bb.79:
	v_mov_b32_e32 v29, 0
	v_lshl_add_u64 v[28:29], v[22:23], 0, v[28:29]
	global_load_ushort v18, v[28:29], off offset:32
	s_waitcnt vmcnt(0)
	v_lshlrev_b32_e32 v18, 16, v18
	v_sub_f32_e32 v18, v18, v19
	v_mul_f32_e32 v18, v33, v18
	v_lshrrev_b32_e32 v29, 16, v18
.LBB322_80:
	s_or_b64 exec, exec, s[6:7]
	v_mov_b32_e32 v24, 0
	v_mov_b32_e32 v28, 0
	s_and_saveexec_b64 s[0:1], s[2:3]
	s_cbranch_execz .LBB322_82
; %bb.81:
	v_mov_b32_e32 v31, 0
	v_lshl_add_u64 v[18:19], v[22:23], 0, v[30:31]
	global_load_ushort v18, v[18:19], off offset:32
	s_waitcnt vmcnt(0)
	v_lshlrev_b32_e32 v18, 16, v18
	v_sub_f32_e32 v18, v18, v20
	v_mul_f32_e32 v18, v42, v18
	v_lshrrev_b32_e32 v28, 16, v18
.LBB322_82:
	s_or_b64 exec, exec, s[0:1]
	v_or_b32_e32 v19, 0xb000, v40
	v_or_b32_e32 v18, 0xb000, v41
	s_and_saveexec_b64 s[0:1], s[4:5]
	s_cbranch_execz .LBB322_84
; %bb.83:
	v_mov_b32_e32 v27, 0
	v_lshl_add_u64 v[22:23], v[22:23], 0, v[26:27]
	global_load_ushort v20, v[22:23], off offset:32
	s_waitcnt vmcnt(0)
	v_lshlrev_b32_e32 v20, 16, v20
	v_sub_f32_e32 v20, v20, v21
	v_mul_f32_e32 v20, v36, v20
	v_lshrrev_b32_e32 v24, 16, v20
.LBB322_84:
	s_or_b64 exec, exec, s[0:1]
	s_mov_b32 s0, 0x5040100
	v_or_b32_e32 v22, v43, v35
	v_perm_b32 v21, v24, v28, s0
	v_perm_b32 v20, v29, v25, s0
	v_lshlrev_b32_e32 v22, 1, v22
	s_movk_i32 s2, 0x100
	ds_write_b64 v22, v[20:21] offset:45056
	v_and_b32_e32 v20, 7, v0
	v_and_b32_e32 v21, 8, v0
	v_cmp_gt_u32_e32 vcc, s2, v0
	v_lshrrev_b32_e32 v0, 1, v0
	v_lshlrev_b32_e32 v26, 3, v20
	v_lshlrev_b32_e32 v48, 7, v20
	v_mov_b32_e32 v20, 0x4000
	v_mov_b32_e32 v22, 0x2000
	v_lshlrev_b32_e32 v24, 3, v1
	v_and_b32_e32 v0, 24, v0
	v_cndmask_b32_e32 v27, v20, v22, vcc
	v_xor_b32_e32 v20, v24, v0
	v_or_b32_e32 v22, 0x440, v20
	v_cmp_eq_u32_e32 vcc, 0, v21
	v_or_b32_e32 v28, 32, v0
	v_xor_b32_e32 v28, v24, v28
	v_cndmask_b32_e32 v20, v22, v20, vcc
	v_or_b32_e32 v20, v20, v39
	v_xor_b32_e32 v49, v20, v26
	v_or_b32_e32 v29, 0x440, v28
	v_add3_u32 v25, v27, v49, v48
	v_cndmask_b32_e32 v28, v29, v28, vcc
	v_or_b32_e32 v29, 64, v0
	v_or_b32_e32 v0, 0x60, v0
	s_waitcnt lgkmcnt(0)
	s_barrier
	v_xor_b32_e32 v29, v24, v29
	v_xor_b32_e32 v0, v24, v0
	ds_read_b64 v[24:25], v25
	v_xor_b32_e32 v30, 0x440, v29
	ds_read2_b64 v[20:23], v19 offset1:16
	v_cndmask_b32_e32 v29, v30, v29, vcc
	v_xor_b32_e32 v30, 0x440, v0
	v_or_b32_e32 v28, v28, v39
	v_or_b32_e32 v29, v29, v39
	v_cndmask_b32_e32 v0, v30, v0, vcc
	v_xor_b32_e32 v50, v28, v26
	v_xor_b32_e32 v51, v29, v26
	v_or_b32_e32 v0, v0, v39
	v_add3_u32 v28, v27, v50, v48
	v_add3_u32 v29, v27, v51, v48
	v_xor_b32_e32 v52, v0, v26
	s_mul_i32 s0, s16, s17
	s_mul_hi_i32 s1, s16, s17
	v_add3_u32 v0, v27, v52, v48
	ds_read_b64 v[26:27], v28
	ds_read_b64 v[40:41], v29
	;; [unrolled: 1-line block ×3, first 2 shown]
	s_add_u32 s0, s0, s33
	ds_read2st64_b64 v[28:31], v19 offset0:2 offset1:4
	ds_read2st64_b64 v[36:39], v18 offset0:2 offset1:4
	s_waitcnt lgkmcnt(5)
	v_mfma_f32_16x16x16_bf16 a[0:3], v[24:25], v[20:21], 0
	s_addc_u32 s1, s1, s46
	s_lshl_b64 s[0:1], s[0:1], 9
	s_add_u32 s0, s20, s0
	v_mfma_f32_16x16x16_bf16 a[4:7], v[24:25], v[22:23], 0
	s_addc_u32 s1, s21, s1
	v_lshlrev_b32_e32 v0, 2, v32
	ds_read_b64 v[44:45], v19 offset:3072
	ds_read_b64 v[46:47], v18 offset:3072
	s_waitcnt lgkmcnt(3)
	v_mfma_f32_16x16x16_bf16 a[0:3], v[26:27], v[28:29], a[0:3]
	s_waitcnt lgkmcnt(2)
	v_mfma_f32_16x16x16_bf16 a[4:7], v[26:27], v[36:37], a[4:7]
	global_load_dwordx4 v[24:27], v0, s[0:1]
	v_lshlrev_b32_e32 v0, 6, v1
	v_lshlrev_b32_e32 v1, 2, v34
	v_or3_b32 v0, v0, v1, s2
	global_load_dwordx4 v[32:35], v0, s[0:1]
	v_mfma_f32_16x16x16_bf16 a[0:3], v[40:41], v[30:31], a[0:3]
	v_mov_b32_e32 v0, 0x3fb8aa3b
	v_mul_f32_e32 v0, s18, v0
	s_waitcnt vmcnt(1)
	v_mul_f32_e32 v18, 0x3fb8aa3b, v26
	v_mfma_f32_16x16x16_bf16 a[4:7], v[40:41], v[38:39], a[4:7]
	v_exp_f32_e32 v40, v0
	v_mul_f32_e32 v0, 0x3fb8aa3b, v24
	v_exp_f32_e32 v24, v18
	s_waitcnt lgkmcnt(1)
	v_mfma_f32_16x16x16_bf16 a[0:3], v[42:43], v[44:45], a[0:3]
	v_add_u32_e32 v18, v49, v48
	v_mul_f32_e32 v19, 0x3fb8aa3b, v27
	v_mul_f32_e32 v1, 0x3fb8aa3b, v25
	v_exp_f32_e32 v0, v0
	v_exp_f32_e32 v1, v1
	;; [unrolled: 1-line block ×3, first 2 shown]
	v_pk_mul_f32 v[0:1], v[40:41], v[0:1] op_sel_hi:[0,1]
	v_accvgpr_read_b32 v27, a3
	v_accvgpr_read_b32 v26, a2
	s_waitcnt lgkmcnt(0)
	v_mfma_f32_16x16x16_bf16 a[2:5], v[42:43], v[46:47], a[4:7]
	ds_read_b64 v[42:43], v18 offset:16384
	v_accvgpr_read_b32 v19, a1
	v_accvgpr_read_b32 v18, a0
	v_pk_fma_f32 v[18:19], v[2:3], v[0:1], v[18:19]
	v_add_u32_e32 v2, v50, v48
	v_add_u32_e32 v50, v52, v48
	s_waitcnt lgkmcnt(0)
	v_mfma_f32_16x16x16_bf16 a[6:9], v[42:43], v[20:21], 0
	v_add_u32_e32 v41, v51, v48
	ds_read_b64 v[2:3], v2 offset:16384
	ds_read_b64 v[48:49], v41 offset:16384
	;; [unrolled: 1-line block ×3, first 2 shown]
	v_pk_mul_f32 v[24:25], v[40:41], v[24:25] op_sel_hi:[0,1]
	v_pk_fma_f32 v[20:21], v[4:5], v[24:25], v[26:27]
	v_accvgpr_read_b32 v4, a2
	v_mfma_f32_16x16x16_bf16 a[10:13], v[42:43], v[22:23], 0
	v_fma_f32 v26, v10, v0, v4
	v_accvgpr_read_b32 v0, a3
	v_fma_f32 v27, v11, v1, v0
	s_waitcnt lgkmcnt(2)
	v_mfma_f32_16x16x16_bf16 a[0:3], v[2:3], v[28:29], a[6:9]
	v_accvgpr_read_b32 v0, a4
	v_accvgpr_read_b32 v29, a5
	v_fma_f32 v28, v12, v24, v0
	v_mfma_f32_16x16x16_bf16 a[4:7], v[2:3], v[36:37], a[10:13]
	s_waitcnt vmcnt(0)
	v_mov_b32_e32 v0, v33
	v_mov_b32_e32 v1, v34
	;; [unrolled: 1-line block ×3, first 2 shown]
	s_waitcnt lgkmcnt(1)
	v_mfma_f32_16x16x16_bf16 a[0:3], v[48:49], v[30:31], a[0:3]
	v_mul_f32_e32 v0, 0x3fb8aa3b, v0
	v_exp_f32_e32 v5, v0
	v_mul_f32_e32 v0, 0x3fb8aa3b, v1
	v_mfma_f32_16x16x16_bf16 a[4:7], v[48:49], v[38:39], a[4:7]
	v_mul_f32_e32 v1, 0x3fb8aa3b, v2
	v_mul_f32_e32 v3, 0x3fb8aa3b, v32
	v_exp_f32_e32 v0, v0
	s_waitcnt lgkmcnt(0)
	v_mfma_f32_16x16x16_bf16 a[0:3], v[50:51], v[44:45], a[0:3]
	v_exp_f32_e32 v1, v1
	v_exp_f32_e32 v4, v3
	v_fmac_f32_e32 v29, v13, v25
	v_pk_mul_f32 v[0:1], v[40:41], v[0:1] op_sel_hi:[0,1]
	v_pk_mul_f32 v[4:5], v[40:41], v[4:5] op_sel_hi:[0,1]
	s_nop 1
	v_accvgpr_read_b32 v3, a3
	v_accvgpr_read_b32 v2, a2
	v_mfma_f32_16x16x16_bf16 a[2:5], v[50:51], v[46:47], a[4:7]
	v_pk_fma_f32 v[24:25], v[8:9], v[0:1], v[2:3]
	v_accvgpr_read_b32 v11, a1
	v_accvgpr_read_b32 v10, a0
	v_pk_fma_f32 v[22:23], v[6:7], v[4:5], v[10:11]
	s_nop 2
	v_accvgpr_read_b32 v2, a2
	v_fma_f32 v30, v14, v4, v2
	v_accvgpr_read_b32 v2, a3
	v_fma_f32 v31, v15, v5, v2
	v_accvgpr_read_b32 v2, a4
	v_accvgpr_read_b32 v33, a5
	v_fma_f32 v32, v16, v0, v2
	v_fmac_f32_e32 v33, v17, v1
	v_mov_b64_e32 v[2:3], v[18:19]
	v_mov_b64_e32 v[4:5], v[20:21]
	;; [unrolled: 1-line block ×8, first 2 shown]
.LBB322_85:
	s_add_u32 s0, s12, s14
	s_addc_u32 s1, s13, s15
	v_lshl_add_u64 v[0:1], v[56:57], 1, s[0:1]
	v_mov_b32_e32 v55, 0
	s_mov_b32 s2, 0x7060302
	v_lshl_add_u64 v[0:1], v[0:1], 0, v[54:55]
	v_perm_b32 v5, v5, v4, s2
	v_perm_b32 v4, v3, v2, s2
	;; [unrolled: 1-line block ×4, first 2 shown]
	global_store_dwordx2 v[0:1], v[4:5], off
	global_store_dwordx2 v[0:1], v[2:3], off offset:128
	v_lshl_add_u64 v[0:1], v[58:59], 1, s[0:1]
	v_lshl_add_u64 v[0:1], v[0:1], 0, v[54:55]
	v_perm_b32 v3, v13, v12, s2
	v_perm_b32 v2, v11, v10, s2
	global_store_dwordx2 v[0:1], v[2:3], off
	v_perm_b32 v3, v17, v16, s2
	v_perm_b32 v2, v15, v14, s2
	global_store_dwordx2 v[0:1], v[2:3], off offset:128
	s_endpgm
	.section	.rodata,"a",@progbits
	.p2align	6, 0x0
	.amdhsa_kernel _ZN12_GLOBAL__N_139chunk_gated_delta_rule_fwd_h_hip_kernelILi32ELb1ELb1ELb0ELb1ELb0ELb1ELb1ELb1EEEvPK12hip_bfloat16S3_S3_PKfS5_PKvPS1_S8_PvPKiSB_iiiiilll
		.amdhsa_group_segment_fixed_size 49152
		.amdhsa_private_segment_fixed_size 0
		.amdhsa_kernarg_size 136
		.amdhsa_user_sgpr_count 2
		.amdhsa_user_sgpr_dispatch_ptr 0
		.amdhsa_user_sgpr_queue_ptr 0
		.amdhsa_user_sgpr_kernarg_segment_ptr 1
		.amdhsa_user_sgpr_dispatch_id 0
		.amdhsa_user_sgpr_kernarg_preload_length 0
		.amdhsa_user_sgpr_kernarg_preload_offset 0
		.amdhsa_user_sgpr_private_segment_size 0
		.amdhsa_uses_dynamic_stack 0
		.amdhsa_enable_private_segment 0
		.amdhsa_system_sgpr_workgroup_id_x 1
		.amdhsa_system_sgpr_workgroup_id_y 1
		.amdhsa_system_sgpr_workgroup_id_z 0
		.amdhsa_system_sgpr_workgroup_info 0
		.amdhsa_system_vgpr_workitem_id 0
		.amdhsa_next_free_vgpr 172
		.amdhsa_next_free_sgpr 66
		.amdhsa_accum_offset 148
		.amdhsa_reserve_vcc 1
		.amdhsa_float_round_mode_32 0
		.amdhsa_float_round_mode_16_64 0
		.amdhsa_float_denorm_mode_32 3
		.amdhsa_float_denorm_mode_16_64 3
		.amdhsa_dx10_clamp 1
		.amdhsa_ieee_mode 1
		.amdhsa_fp16_overflow 0
		.amdhsa_tg_split 0
		.amdhsa_exception_fp_ieee_invalid_op 0
		.amdhsa_exception_fp_denorm_src 0
		.amdhsa_exception_fp_ieee_div_zero 0
		.amdhsa_exception_fp_ieee_overflow 0
		.amdhsa_exception_fp_ieee_underflow 0
		.amdhsa_exception_fp_ieee_inexact 0
		.amdhsa_exception_int_div_zero 0
	.end_amdhsa_kernel
	.section	.text._ZN12_GLOBAL__N_139chunk_gated_delta_rule_fwd_h_hip_kernelILi32ELb1ELb1ELb0ELb1ELb0ELb1ELb1ELb1EEEvPK12hip_bfloat16S3_S3_PKfS5_PKvPS1_S8_PvPKiSB_iiiiilll,"axG",@progbits,_ZN12_GLOBAL__N_139chunk_gated_delta_rule_fwd_h_hip_kernelILi32ELb1ELb1ELb0ELb1ELb0ELb1ELb1ELb1EEEvPK12hip_bfloat16S3_S3_PKfS5_PKvPS1_S8_PvPKiSB_iiiiilll,comdat
.Lfunc_end322:
	.size	_ZN12_GLOBAL__N_139chunk_gated_delta_rule_fwd_h_hip_kernelILi32ELb1ELb1ELb0ELb1ELb0ELb1ELb1ELb1EEEvPK12hip_bfloat16S3_S3_PKfS5_PKvPS1_S8_PvPKiSB_iiiiilll, .Lfunc_end322-_ZN12_GLOBAL__N_139chunk_gated_delta_rule_fwd_h_hip_kernelILi32ELb1ELb1ELb0ELb1ELb0ELb1ELb1ELb1EEEvPK12hip_bfloat16S3_S3_PKfS5_PKvPS1_S8_PvPKiSB_iiiiilll
                                        ; -- End function
	.section	.AMDGPU.csdata,"",@progbits
; Kernel info:
; codeLenInByte = 9860
; NumSgprs: 72
; NumVgprs: 146
; NumAgprs: 24
; TotalNumVgprs: 172
; ScratchSize: 0
; MemoryBound: 0
; FloatMode: 240
; IeeeMode: 1
; LDSByteSize: 49152 bytes/workgroup (compile time only)
; SGPRBlocks: 8
; VGPRBlocks: 21
; NumSGPRsForWavesPerEU: 72
; NumVGPRsForWavesPerEU: 172
; AccumOffset: 148
; Occupancy: 1
; WaveLimiterHint : 1
; COMPUTE_PGM_RSRC2:SCRATCH_EN: 0
; COMPUTE_PGM_RSRC2:USER_SGPR: 2
; COMPUTE_PGM_RSRC2:TRAP_HANDLER: 0
; COMPUTE_PGM_RSRC2:TGID_X_EN: 1
; COMPUTE_PGM_RSRC2:TGID_Y_EN: 1
; COMPUTE_PGM_RSRC2:TGID_Z_EN: 0
; COMPUTE_PGM_RSRC2:TIDIG_COMP_CNT: 0
; COMPUTE_PGM_RSRC3_GFX90A:ACCUM_OFFSET: 36
; COMPUTE_PGM_RSRC3_GFX90A:TG_SPLIT: 0
	.section	.text._ZN12_GLOBAL__N_139chunk_gated_delta_rule_fwd_h_hip_kernelILi32ELb1ELb0ELb1ELb1ELb0ELb1ELb1ELb1EEEvPK12hip_bfloat16S3_S3_PKfS5_PKvPS1_S8_PvPKiSB_iiiiilll,"axG",@progbits,_ZN12_GLOBAL__N_139chunk_gated_delta_rule_fwd_h_hip_kernelILi32ELb1ELb0ELb1ELb1ELb0ELb1ELb1ELb1EEEvPK12hip_bfloat16S3_S3_PKfS5_PKvPS1_S8_PvPKiSB_iiiiilll,comdat
	.globl	_ZN12_GLOBAL__N_139chunk_gated_delta_rule_fwd_h_hip_kernelILi32ELb1ELb0ELb1ELb1ELb0ELb1ELb1ELb1EEEvPK12hip_bfloat16S3_S3_PKfS5_PKvPS1_S8_PvPKiSB_iiiiilll ; -- Begin function _ZN12_GLOBAL__N_139chunk_gated_delta_rule_fwd_h_hip_kernelILi32ELb1ELb0ELb1ELb1ELb0ELb1ELb1ELb1EEEvPK12hip_bfloat16S3_S3_PKfS5_PKvPS1_S8_PvPKiSB_iiiiilll
	.p2align	8
	.type	_ZN12_GLOBAL__N_139chunk_gated_delta_rule_fwd_h_hip_kernelILi32ELb1ELb0ELb1ELb1ELb0ELb1ELb1ELb1EEEvPK12hip_bfloat16S3_S3_PKfS5_PKvPS1_S8_PvPKiSB_iiiiilll,@function
_ZN12_GLOBAL__N_139chunk_gated_delta_rule_fwd_h_hip_kernelILi32ELb1ELb0ELb1ELb1ELb0ELb1ELb1ELb1EEEvPK12hip_bfloat16S3_S3_PKfS5_PKvPS1_S8_PvPKiSB_iiiiilll: ; @_ZN12_GLOBAL__N_139chunk_gated_delta_rule_fwd_h_hip_kernelILi32ELb1ELb0ELb1ELb1ELb0ELb1ELb1ELb1EEEvPK12hip_bfloat16S3_S3_PKfS5_PKvPS1_S8_PvPKiSB_iiiiilll
; %bb.0:
	s_load_dwordx4 s[12:15], s[0:1], 0x5c
	s_load_dwordx4 s[4:7], s[0:1], 0x48
	s_abs_i32 s9, s3
	s_ashr_i32 s8, s3, 31
	v_and_b32_e32 v66, 15, v0
	s_waitcnt lgkmcnt(0)
	s_abs_i32 s10, s13
	v_cvt_f32_u32_e32 v1, s10
	s_sub_i32 s16, 0, s10
	s_ashr_i32 s11, s13, 31
	s_xor_b32 s8, s8, s11
	v_rcp_iflag_f32_e32 v1, v1
	v_lshrrev_b32_e32 v64, 6, v0
	v_bfe_u32 v65, v0, 4, 2
	v_mov_b32_e32 v7, 0
	v_mul_f32_e32 v1, 0x4f7ffffe, v1
	v_cvt_u32_f32_e32 v1, v1
	v_and_b32_e32 v45, 63, v0
	v_lshlrev_b32_e32 v67, 3, v0
	v_lshrrev_b32_e32 v68, 3, v45
	v_readfirstlane_b32 s17, v1
	s_mul_i32 s16, s16, s17
	s_mul_hi_u32 s16, s17, s16
	s_add_i32 s17, s17, s16
	s_mul_hi_u32 s16, s9, s17
	s_mul_i32 s17, s16, s10
	s_sub_i32 s9, s9, s17
	s_add_i32 s18, s16, 1
	s_sub_i32 s17, s9, s10
	s_cmp_ge_u32 s9, s10
	s_cselect_b32 s16, s18, s16
	s_cselect_b32 s9, s17, s9
	s_add_i32 s17, s16, 1
	s_cmp_ge_u32 s9, s10
	s_cselect_b32 s9, s17, s16
	s_xor_b32 s9, s9, s8
	s_sub_i32 s20, s9, s8
	s_mul_i32 s24, s20, s13
	s_ashr_i32 s21, s20, 31
	s_sub_i32 s49, s3, s24
	s_lshl_b64 s[8:9], s[20:21], 2
	s_add_u32 s4, s4, s8
	s_addc_u32 s5, s5, s9
	s_add_u32 s22, s6, s8
	s_addc_u32 s23, s7, s9
	s_abs_i32 s3, s14
	v_cvt_f32_u32_e32 v1, s3
	s_load_dwordx2 s[34:35], s[4:5], 0x0
	s_lshl_b32 s40, s2, 5
	s_ashr_i32 s2, s14, 31
	v_rcp_iflag_f32_e32 v1, v1
	s_xor_b32 s2, s11, s2
	s_waitcnt lgkmcnt(0)
	s_sub_i32 s52, s35, s34
	s_ashr_i32 s4, s52, 31
	v_mul_f32_e32 v1, 0x4f7ffffe, v1
	v_cvt_u32_f32_e32 v1, v1
	s_lshr_b32 s4, s4, 26
	s_add_i32 s4, s52, s4
	s_ashr_i32 s50, s4, 6
	s_sub_i32 s4, 0, s3
	v_readfirstlane_b32 s5, v1
	s_mul_i32 s4, s4, s5
	s_mul_hi_u32 s4, s5, s4
	s_add_i32 s5, s5, s4
	s_mul_hi_u32 s4, s10, s5
	s_mul_i32 s5, s4, s3
	s_sub_i32 s5, s10, s5
	s_add_i32 s6, s4, 1
	s_sub_i32 s7, s5, s3
	s_cmp_ge_u32 s5, s3
	s_cselect_b32 s4, s6, s4
	s_cselect_b32 s5, s7, s5
	s_add_i32 s6, s4, 1
	s_cmp_ge_u32 s5, s3
	s_cselect_b32 s3, s6, s4
	s_xor_b32 s3, s3, s2
	s_sub_i32 s2, s3, s2
	s_abs_i32 s3, s2
	v_cvt_f32_u32_e32 v1, s3
	s_sub_i32 s5, 0, s3
	s_abs_i32 s4, s49
	s_xor_b32 s2, s49, s2
	v_rcp_iflag_f32_e32 v1, v1
	s_ashr_i32 s2, s2, 31
	s_load_dwordx4 s[16:19], s[0:1], 0x28
	s_load_dwordx2 s[28:29], s[0:1], 0x38
	v_or_b32_e32 v46, s40, v66
	v_mul_f32_e32 v1, 0x4f7ffffe, v1
	v_cvt_u32_f32_e32 v1, v1
	v_lshlrev_b32_e32 v2, 7, v46
	v_ashrrev_i32_e32 v3, 31, v2
	s_mul_hi_i32 s54, s49, s12
	v_readfirstlane_b32 s6, v1
	s_mul_i32 s5, s5, s6
	s_mul_hi_u32 s5, s6, s5
	s_add_i32 s6, s6, s5
	s_mul_hi_u32 s5, s4, s6
	s_mul_i32 s6, s5, s3
	s_sub_i32 s4, s4, s6
	s_add_i32 s6, s5, 1
	s_sub_i32 s7, s4, s3
	s_cmp_ge_u32 s4, s3
	s_cselect_b32 s5, s6, s5
	s_cselect_b32 s4, s7, s4
	s_add_i32 s6, s5, 1
	s_cmp_ge_u32 s4, s3
	s_cselect_b32 s3, s6, s5
	s_xor_b32 s3, s3, s2
	s_sub_i32 s53, s3, s2
	s_ashr_i32 s51, s49, 31
	s_mul_hi_i32 s3, s20, s13
	s_add_u32 s2, s24, s49
	s_addc_u32 s3, s3, s51
	s_lshl_b64 s[2:3], s[2:3], 15
	s_waitcnt lgkmcnt(0)
	s_add_u32 s2, s16, s2
	s_addc_u32 s3, s17, s3
	v_lshlrev_b32_e32 v1, 4, v64
	v_lshl_add_u64 v[4:5], v[2:3], 1, s[2:3]
	v_or_b32_e32 v2, 0x800, v2
	v_lshl_or_b32 v69, v65, 2, v1
	v_ashrrev_i32_e32 v3, 31, v2
	v_lshlrev_b32_e32 v6, 1, v69
	v_lshl_add_u64 v[2:3], v[2:3], 1, s[2:3]
	v_lshl_add_u64 v[4:5], v[4:5], 0, v[6:7]
	v_lshl_add_u64 v[2:3], v[2:3], 0, v[6:7]
	global_load_dwordx2 v[8:9], v[4:5], off
	v_or_b32_e32 v70, 64, v69
	global_load_dwordx2 v[4:5], v[4:5], off offset:128
	s_nop 0
	global_load_dwordx2 v[6:7], v[2:3], off
	global_load_dwordx2 v[10:11], v[2:3], off offset:128
	s_load_dwordx8 s[4:11], s[0:1], 0x0
	s_load_dwordx2 s[30:31], s[0:1], 0x80
	s_load_dwordx4 s[24:27], s[0:1], 0x70
	s_load_dword s56, s[22:23], 0x0
	s_mul_i32 s55, s49, s12
	s_cmp_lt_i32 s52, 64
	s_waitcnt lgkmcnt(0)
	s_mul_i32 s33, s20, s25
	s_mul_hi_u32 s44, s20, s24
	s_mul_i32 s36, s20, s24
	s_mul_i32 s45, s21, s24
	s_mul_i32 s46, s49, s27
	s_mul_hi_u32 s47, s49, s26
	s_mul_i32 s48, s51, s26
	s_mul_i32 s38, s49, s26
	s_waitcnt vmcnt(3)
	v_and_b32_e32 v51, 0xffff0000, v8
	v_lshlrev_b32_e32 v50, 16, v8
	v_and_b32_e32 v55, 0xffff0000, v9
	v_lshlrev_b32_e32 v54, 16, v9
	s_waitcnt vmcnt(2)
	v_and_b32_e32 v49, 0xffff0000, v4
	v_lshlrev_b32_e32 v48, 16, v4
	v_and_b32_e32 v53, 0xffff0000, v5
	v_lshlrev_b32_e32 v52, 16, v5
	;; [unrolled: 5-line block ×4, first 2 shown]
	s_cbranch_scc1 .LBB323_3
; %bb.1:
	s_ashr_i32 s3, s34, 31
	s_add_u32 s2, s55, s34
	s_addc_u32 s3, s54, s3
	s_lshl_b64 s[2:3], s[2:3], 8
	v_and_b32_e32 v78, 56, v67
	s_add_u32 s20, s6, s2
	v_lshl_or_b32 v77, v64, 3, v68
	v_lshlrev_b32_e32 v2, 1, v78
	s_addc_u32 s2, s7, s3
	v_lshl_or_b32 v80, v77, 8, v2
	s_and_b32 s21, s2, 0xffff
	s_mov_b32 s23, 0x20000
	s_movk_i32 s22, 0x4000
	s_movk_i32 s2, 0x80
	v_or_b32_e32 v81, 0x2000, v80
	buffer_load_dwordx4 v[4:7], v80, s[20:23], 0 offen
	buffer_load_dwordx4 v[8:11], v80, s[20:23], s2 offen
	;; [unrolled: 1-line block ×4, first 2 shown]
	v_lshlrev_b32_e32 v3, 3, v77
	v_and_or_b32 v21, v0, 7, v3
	v_and_b32_e32 v3, 0x78, v3
	v_lshlrev_b32_e32 v21, 4, v21
	v_xor_b32_e32 v83, v21, v3
	v_mul_lo_u32 v20, v77, s15
	v_or_b32_e32 v84, 0x1000, v83
	v_xor_b32_e32 v3, 8, v83
	s_cmpk_eq_i32 s15, 0x80
	s_mov_b32 s57, s34
	v_xor_b32_e32 v21, 8, v84
	s_cselect_b64 s[2:3], -1, 0
	s_cmpk_lg_i32 s15, 0x80
	s_waitcnt vmcnt(3)
	ds_write_b64 v83, v[4:5] offset:24576
	ds_write_b64 v3, v[6:7] offset:24576
	s_waitcnt vmcnt(2)
	ds_write_b64 v83, v[8:9] offset:32768
	ds_write_b64 v3, v[10:11] offset:32768
	;; [unrolled: 3-line block ×4, first 2 shown]
	v_lshl_add_u32 v3, v20, 1, v78
	s_cbranch_scc0 .LBB323_29
; %bb.2:
	v_lshlrev_b32_e32 v5, 1, v3
	v_add_lshl_u32 v4, v3, s15, 1
	s_lshl_b32 s22, s15, 7
	s_load_dwordx2 s[16:17], s[0:1], 0x20
	v_lshl_or_b32 v2, v77, 9, v2
	s_cbranch_execz .LBB323_30
	s_branch .LBB323_31
.LBB323_3:
	v_mov_b32_e32 v9, v79
	v_mov_b32_e32 v5, v82
.LBB323_4:
	s_lshl_b32 s26, s50, 6
	s_sub_i32 s27, s52, s26
	s_cmp_gt_i32 s27, 0
	s_cbranch_scc0 .LBB323_84
; %bb.5:
	s_add_i32 s26, s26, s34
	s_ashr_i32 s2, s26, 31
	s_cmpk_lg_i32 s15, 0x80
	s_cselect_b64 s[22:23], -1, 0
	s_and_b64 vcc, exec, s[22:23]
	s_cbranch_vccz .LBB323_7
; %bb.6:
	s_mul_i32 s1, s26, s14
	s_ashr_i32 s3, s53, 31
	s_mul_hi_i32 s0, s26, s14
	s_add_u32 s24, s1, s53
	s_addc_u32 s25, s0, s3
	s_cbranch_execz .LBB323_8
	s_branch .LBB323_9
.LBB323_7:
                                        ; implicit-def: $sgpr24_sgpr25
.LBB323_8:
	s_mul_i32 s1, s53, s12
	s_mul_hi_i32 s0, s53, s12
	s_add_u32 s24, s1, s26
	s_addc_u32 s25, s0, s2
.LBB323_9:
	s_add_i32 s3, s50, s56
	s_add_u32 s0, s55, s26
	v_lshlrev_b32_e32 v8, 5, v69
	v_lshlrev_b32_e32 v22, 2, v66
	s_addc_u32 s1, s54, s2
	s_mov_b32 s2, 0x7060302
	v_or_b32_e32 v11, v8, v22
	v_xor_b32_e32 v4, v69, v22
	v_perm_b32 v3, v55, v54, s2
	v_perm_b32 v2, v51, v50, s2
	v_perm_b32 v7, v53, v52, s2
	v_perm_b32 v6, v49, v48, s2
	v_lshlrev_b32_e32 v11, 1, v11
	s_lshl_b64 s[20:21], s[0:1], 8
	v_xor_b32_e32 v10, v70, v22
	ds_write2st64_b64 v11, v[2:3], v[6:7] offset0:80 offset1:88
	v_lshlrev_b32_e32 v11, 1, v4
	v_lshlrev_b32_e32 v4, 8, v66
	s_add_u32 s0, s6, s20
	v_or_b32_e32 v12, v11, v4
	v_lshlrev_b32_e32 v10, 1, v10
	s_addc_u32 s1, s7, s21
	ds_write_b64 v12, v[2:3]
	v_or_b32_e32 v2, v10, v4
	s_mul_hi_i32 s6, s3, s13
	s_mul_i32 s3, s3, s13
	ds_write_b64 v2, v[6:7]
	v_perm_b32 v3, v5, v75, s2
	v_perm_b32 v2, v71, v73, s2
	;; [unrolled: 1-line block ×4, first 2 shown]
	v_or_b32_e32 v6, 16, v66
	s_add_u32 s2, s3, s49
	v_lshlrev_b32_e32 v19, 2, v6
	s_addc_u32 s3, s6, s51
	v_or_b32_e32 v7, v8, v19
	s_ashr_i32 s41, s40, 31
	s_lshl_b64 s[2:3], s[2:3], 15
	v_lshlrev_b32_e32 v7, 1, v7
	v_lshlrev_b32_e32 v6, 8, v6
	s_add_u32 s6, s18, s2
	ds_write2st64_b64 v7, v[2:3], v[4:5] offset0:80 offset1:88
	v_or_b32_e32 v7, v11, v6
	s_addc_u32 s7, s19, s3
	s_lshl_b64 s[2:3], s[40:41], 8
	ds_write_b64 v7, v[2:3]
	v_or_b32_e32 v2, v10, v6
	s_add_u32 s2, s6, s2
	ds_write_b64 v2, v[4:5]
	v_lshrrev_b32_e32 v2, 4, v0
	s_addc_u32 s3, s7, s3
	v_lshlrev_b32_e32 v3, 1, v66
	v_lshlrev_b32_e32 v10, 4, v66
	v_mov_b32_e32 v11, 0
	v_or_b32_e32 v4, 1, v3
	v_xor_b32_e32 v3, v2, v3
	v_lshl_add_u64 v[12:13], s[2:3], 0, v[10:11]
	v_lshlrev_b32_e32 v10, 8, v2
	v_xor_b32_e32 v6, v4, v2
	v_lshl_or_b32 v2, v3, 3, v10
	s_waitcnt lgkmcnt(0)
	s_barrier
	ds_read2st64_b64 v[2:5], v2 offset1:8
	v_lshl_or_b32 v6, v6, 3, v10
	ds_read2st64_b64 v[6:9], v6 offset1:8
	v_lshl_add_u64 v[14:15], v[12:13], 0, v[10:11]
	s_movk_i32 s2, 0x1000
	s_waitcnt lgkmcnt(1)
	v_mov_b32_e32 v10, v2
	v_add_co_u32_e32 v2, vcc, s2, v14
	s_cmp_lg_u32 s27, 64
	v_mov_b32_e32 v11, v3
	v_addc_co_u32_e32 v3, vcc, 0, v15, vcc
	s_cselect_b64 s[6:7], -1, 0
	v_lshl_or_b32 v23, v64, 3, v68
	s_waitcnt lgkmcnt(0)
	v_mov_b32_e32 v12, v6
	v_mov_b32_e32 v13, v7
	;; [unrolled: 1-line block ×4, first 2 shown]
	s_mov_b32 s16, 0
	v_or_b32_e32 v20, 32, v23
	v_and_b32_e32 v18, 56, v67
	s_and_b64 vcc, exec, s[6:7]
	global_store_dwordx4 v[14:15], v[10:13], off
	global_store_dwordx4 v[2:3], v[6:9], off
	s_cbranch_vccz .LBB323_15
; %bb.10:
	s_mov_b32 s17, s16
	s_mov_b32 s18, s16
	;; [unrolled: 1-line block ×3, first 2 shown]
	v_mov_b64_e32 v[6:7], s[16:17]
	v_mov_b64_e32 v[8:9], s[18:19]
	v_mov_b64_e32 v[2:3], v[6:7]
	v_cmp_gt_i32_e32 vcc, s27, v23
	v_mov_b64_e32 v[4:5], v[8:9]
	s_and_saveexec_b64 s[2:3], vcc
	s_cbranch_execz .LBB323_12
; %bb.11:
	v_lshlrev_b32_e32 v2, 8, v23
	v_mov_b32_e32 v3, 0
	v_lshl_add_u64 v[4:5], s[0:1], 0, v[2:3]
	v_lshlrev_b32_e32 v2, 1, v18
	v_lshl_add_u64 v[10:11], v[4:5], 0, v[2:3]
	global_load_dwordx4 v[6:9], v[10:11], off
	global_load_dwordx4 v[2:5], v[10:11], off offset:128
.LBB323_12:
	s_or_b64 exec, exec, s[2:3]
	s_mov_b32 s17, s16
	s_mov_b32 s18, s16
	;; [unrolled: 1-line block ×3, first 2 shown]
	v_mov_b64_e32 v[14:15], s[16:17]
	v_mov_b64_e32 v[16:17], s[18:19]
	;; [unrolled: 1-line block ×3, first 2 shown]
	v_cmp_gt_i32_e32 vcc, s27, v20
	v_lshlrev_b32_e32 v21, 7, v20
	v_mov_b64_e32 v[12:13], v[16:17]
	s_and_saveexec_b64 s[2:3], vcc
	s_cbranch_execz .LBB323_14
; %bb.13:
	v_lshlrev_b32_e32 v10, 1, v21
	v_mov_b32_e32 v11, 0
	v_lshl_add_u64 v[12:13], s[0:1], 0, v[10:11]
	v_lshlrev_b32_e32 v10, 1, v18
	v_lshl_add_u64 v[24:25], v[12:13], 0, v[10:11]
	global_load_dwordx4 v[14:17], v[24:25], off
	global_load_dwordx4 v[10:13], v[24:25], off offset:128
.LBB323_14:
	s_or_b64 exec, exec, s[2:3]
	v_lshrrev_b32_e32 v24, 3, v18
	v_lshlrev_b32_e32 v25, 3, v23
	v_or_b32_e32 v24, v25, v24
	v_lshlrev_b32_e32 v24, 4, v24
	v_and_b32_e32 v25, 0x78, v25
	v_xor_b32_e32 v24, v24, v25
	s_branch .LBB323_17
.LBB323_15:
                                        ; implicit-def: $vgpr24
                                        ; implicit-def: $vgpr21
                                        ; implicit-def: $vgpr6_vgpr7_vgpr8_vgpr9
                                        ; implicit-def: $vgpr2_vgpr3_vgpr4_vgpr5
                                        ; implicit-def: $vgpr14_vgpr15_vgpr16_vgpr17
                                        ; implicit-def: $vgpr10_vgpr11_vgpr12_vgpr13
	s_cbranch_execz .LBB323_17
; %bb.16:
	s_waitcnt vmcnt(0)
	v_lshlrev_b32_e32 v2, 1, v18
	v_lshl_or_b32 v21, v23, 8, v2
	s_and_b32 s1, s1, 0xffff
	s_mov_b32 s3, 0x20000
	s_movk_i32 s2, 0x4000
	v_lshl_or_b32 v24, v20, 8, v2
	s_movk_i32 s12, 0x80
	buffer_load_dwordx4 v[6:9], v21, s[0:3], 0 offen
	buffer_load_dwordx4 v[2:5], v21, s[0:3], s12 offen
	;; [unrolled: 1-line block ×4, first 2 shown]
	v_lshrrev_b32_e32 v21, 3, v18
	v_lshlrev_b32_e32 v24, 3, v23
	v_or_b32_e32 v21, v24, v21
	v_lshlrev_b32_e32 v21, 4, v21
	v_and_b32_e32 v24, 0x78, v24
	v_xor_b32_e32 v24, v21, v24
	v_lshlrev_b32_e32 v21, 7, v20
.LBB323_17:
	s_lshl_b64 s[0:1], s[24:25], 8
	s_add_u32 s4, s4, s0
	s_movk_i32 s0, 0x1000
	v_and_or_b32 v20, v21, s0, v24
	s_waitcnt vmcnt(1)
	ds_write_b64 v24, v[6:7] offset:24576
	v_xor_b32_e32 v6, 8, v24
	ds_write_b64 v6, v[8:9] offset:24576
	s_waitcnt vmcnt(0)
	ds_write_b64 v24, v[2:3] offset:32768
	ds_write_b64 v6, v[4:5] offset:32768
	;; [unrolled: 1-line block ×3, first 2 shown]
	v_xor_b32_e32 v2, 8, v20
	ds_write_b64 v2, v[16:17] offset:24576
	ds_write_b64 v20, v[10:11] offset:32768
	;; [unrolled: 1-line block ×3, first 2 shown]
	v_or_b32_e32 v2, v1, v66
	v_lshlrev_b32_e32 v3, 11, v64
	v_lshlrev_b32_e32 v2, 3, v2
	v_and_b32_e32 v6, 0x1000, v3
	v_lshrrev_b32_e32 v3, 5, v45
	s_movk_i32 s3, 0xf8
	v_and_or_b32 v3, v2, s3, v3
	v_lshlrev_b32_e32 v7, 4, v3
	v_and_b32_e32 v8, 0x78, v2
	v_or_b32_e32 v10, 32, v7
	v_lshrrev_b32_e32 v3, 1, v45
	v_xor_b32_e32 v10, v10, v8
	v_xor_b32_e32 v2, v7, v8
	v_and_b32_e32 v9, 8, v3
	v_or_b32_e32 v10, v10, v6
	v_or_b32_e32 v2, v2, v6
	v_xor_b32_e32 v26, v10, v9
	v_or_b32_e32 v10, 64, v7
	v_xor_b32_e32 v25, v2, v9
	v_xor_b32_e32 v10, v10, v8
	s_waitcnt lgkmcnt(0)
	s_barrier
	v_or_b32_e32 v12, v10, v6
	ds_read_b64 v[10:11], v25 offset:24576
	v_lshl_or_b32 v20, v65, 7, v22
	v_lshlrev_b32_e32 v24, 1, v20
	v_add_u32_e32 v2, 0xa000, v24
	ds_read2_b64 v[2:5], v2 offset1:16
	v_or_b32_e32 v7, 0x60, v7
	v_xor_b32_e32 v7, v7, v8
	s_waitcnt lgkmcnt(0)
	v_mfma_f32_16x16x16_bf16 a[0:3], v[10:11], v[2:3], 0
	v_or_b32_e32 v2, 64, v20
	v_or_b32_e32 v6, v7, v6
	v_lshlrev_b32_e32 v29, 1, v2
	v_xor_b32_e32 v27, v12, v9
	v_xor_b32_e32 v28, v6, v9
	ds_read_b64 v[12:13], v26 offset:24576
	ds_read_b64 v[14:15], v27 offset:24576
	;; [unrolled: 1-line block ×3, first 2 shown]
	v_mfma_f32_16x16x16_bf16 a[4:7], v[10:11], v[4:5], 0
	ds_read2st64_b64 v[2:5], v29 offset0:82 offset1:84
	ds_read2st64_b64 v[6:9], v24 offset0:82 offset1:84
	s_addc_u32 s5, s5, s1
	s_add_i32 s1, s44, s33
	s_add_i32 s0, s35, -1
	s_add_i32 s37, s1, s45
	s_add_i32 s1, s47, s46
	s_add_i32 s39, s1, s48
	s_ashr_i32 s1, s0, 31
	s_mul_i32 s2, s0, s31
	s_mul_hi_u32 s3, s0, s30
	s_add_i32 s2, s3, s2
	s_mul_i32 s1, s1, s30
	s_waitcnt lgkmcnt(1)
	v_mfma_f32_16x16x16_bf16 a[4:7], v[12:13], v[2:3], a[4:7]
	s_add_i32 s1, s2, s1
	s_lshl_b64 s[2:3], s[36:37], 2
	s_add_u32 s10, s10, s2
	s_waitcnt lgkmcnt(0)
	v_mfma_f32_16x16x16_bf16 a[0:3], v[12:13], v[6:7], a[0:3]
	s_addc_u32 s11, s11, s3
	s_lshl_b64 s[2:3], s[38:39], 2
	s_mul_i32 s0, s0, s30
	s_add_u32 s10, s10, s2
	ds_read_b64 v[2:3], v24 offset:44032
	v_mfma_f32_16x16x16_bf16 a[4:7], v[14:15], v[4:5], a[4:7]
	ds_read_b64 v[4:5], v29 offset:44032
	s_addc_u32 s11, s11, s3
	s_lshl_b64 s[0:1], s[0:1], 2
	v_mfma_f32_16x16x16_bf16 a[0:3], v[14:15], v[8:9], a[0:3]
	s_add_u32 s0, s10, s0
	s_addc_u32 s1, s11, s1
	s_load_dword s12, s[0:1], 0x0
	s_waitcnt lgkmcnt(0)
	v_mfma_f32_16x16x16_bf16 a[0:3], v[16:17], v[2:3], a[0:3]
	s_and_b64 vcc, exec, s[22:23]
	v_mfma_f32_16x16x16_bf16 a[4:7], v[16:17], v[4:5], a[4:7]
	s_cbranch_vccz .LBB323_28
; %bb.18:
	v_lshlrev_b32_e32 v20, 1, v23
	s_and_b64 vcc, exec, s[6:7]
	s_cbranch_vccz .LBB323_44
; %bb.19:
	v_cmp_gt_i32_e32 vcc, s27, v20
	v_mov_b32_e32 v6, 0
	v_mov_b32_e32 v2, 0
	;; [unrolled: 1-line block ×5, first 2 shown]
	s_and_saveexec_b64 s[0:1], vcc
	s_cbranch_execz .LBB323_21
; %bb.20:
	v_mad_i64_i32 v[2:3], s[2:3], s15, v20, 0
	v_lshl_add_u64 v[2:3], v[2:3], 1, s[4:5]
	v_lshlrev_b32_e32 v4, 1, v18
	v_mov_b32_e32 v5, 0
	v_lshl_add_u64 v[2:3], v[2:3], 0, v[4:5]
	global_load_dwordx4 v[2:5], v[2:3], off
.LBB323_21:
	s_or_b64 exec, exec, s[0:1]
	v_or_b32_e32 v21, 1, v20
	v_cmp_gt_i32_e64 s[0:1], s27, v21
	v_mov_b32_e32 v7, 0
	v_mov_b32_e32 v8, 0
	;; [unrolled: 1-line block ×3, first 2 shown]
	s_and_saveexec_b64 s[2:3], s[0:1]
	s_cbranch_execz .LBB323_23
; %bb.22:
	v_mad_i64_i32 v[6:7], s[16:17], s15, v21, 0
	v_lshl_add_u64 v[6:7], v[6:7], 1, s[4:5]
	v_lshlrev_b32_e32 v8, 1, v18
	v_mov_b32_e32 v9, 0
	v_lshl_add_u64 v[6:7], v[6:7], 0, v[8:9]
	global_load_dwordx4 v[6:9], v[6:7], off
.LBB323_23:
	s_or_b64 exec, exec, s[2:3]
	v_mov_b32_e32 v17, 0
	v_mov_b32_e32 v10, 0
	;; [unrolled: 1-line block ×5, first 2 shown]
	s_and_saveexec_b64 s[2:3], vcc
	s_cbranch_execz .LBB323_25
; %bb.24:
	v_mad_i64_i32 v[10:11], s[16:17], s15, v20, 0
	v_lshl_add_u64 v[10:11], v[10:11], 1, s[4:5]
	v_lshlrev_b32_e32 v12, 1, v18
	v_mov_b32_e32 v13, 0
	v_lshl_add_u64 v[10:11], v[10:11], 0, v[12:13]
	global_load_dwordx4 v[10:13], v[10:11], off offset:128
.LBB323_25:
	s_or_b64 exec, exec, s[2:3]
	v_mov_b32_e32 v16, 0
	v_mov_b32_e32 v15, 0
	;; [unrolled: 1-line block ×3, first 2 shown]
	s_and_saveexec_b64 s[2:3], s[0:1]
	s_cbranch_execz .LBB323_27
; %bb.26:
	v_mad_i64_i32 v[14:15], s[0:1], s15, v21, 0
	v_lshl_add_u64 v[14:15], v[14:15], 1, s[4:5]
	v_lshlrev_b32_e32 v16, 1, v18
	v_mov_b32_e32 v17, 0
	v_lshl_add_u64 v[14:15], v[14:15], 0, v[16:17]
	global_load_dwordx4 v[14:17], v[14:15], off offset:128
.LBB323_27:
	s_or_b64 exec, exec, s[2:3]
	s_branch .LBB323_46
.LBB323_28:
                                        ; implicit-def: $vgpr5
                                        ; implicit-def: $vgpr9
                                        ; implicit-def: $vgpr13
                                        ; implicit-def: $vgpr17
	v_lshrrev_b32_e32 v30, 2, v45
	s_branch .LBB323_47
.LBB323_29:
                                        ; implicit-def: $vgpr4
                                        ; implicit-def: $vgpr5
                                        ; implicit-def: $sgpr22
	s_load_dwordx2 s[16:17], s[0:1], 0x20
	v_lshl_or_b32 v2, v77, 9, v2
.LBB323_30:
	v_or_b32_e32 v4, 0x100, v2
	s_movk_i32 s22, 0x4000
	v_mov_b32_e32 v5, v2
.LBB323_31:
	s_mul_i32 s0, s34, s14
	s_ashr_i32 s58, s53, 31
	s_mul_hi_i32 s1, s34, s14
	s_add_u32 s0, s0, s53
	s_addc_u32 s1, s1, s58
	s_lshl_b64 s[0:1], s[0:1], 8
	s_add_u32 s20, s4, s0
	s_addc_u32 s0, s5, s1
	s_and_b32 s21, s0, 0xffff
	s_movk_i32 s59, 0x80
	buffer_load_dwordx4 v[6:9], v5, s[20:23], 0 offen
	buffer_load_dwordx4 v[10:13], v5, s[20:23], s59 offen
	;; [unrolled: 1-line block ×4, first 2 shown]
	v_and_b32_e32 v4, 6, v0
	v_lshlrev_b32_e32 v23, 6, v69
	v_or_b32_e32 v25, 16, v66
	v_xor_b32_e32 v26, v77, v4
	v_and_b32_e32 v5, 1, v0
	v_lshl_or_b32 v29, v66, 3, v23
	v_lshl_or_b32 v23, v25, 3, v23
	v_lshlrev_b32_e32 v26, 2, v26
	v_lshlrev_b32_e32 v22, 2, v66
	v_or_b32_e32 v87, 0xa000, v23
	v_or_b32_e32 v88, 0xb000, v23
	v_xor_b32_e32 v23, 0x440, v26
	v_cmp_eq_u32_e32 vcc, 0, v5
	s_add_i32 s0, s44, s33
	v_xor_b32_e32 v27, v69, v22
	v_xor_b32_e32 v28, v70, v22
	v_cndmask_b32_e32 v5, v23, v26, vcc
	s_add_i32 s1, s47, s46
	s_add_i32 s37, s0, s45
	s_mov_b32 s60, 0x1000504
	v_lshlrev_b32_e32 v24, 8, v66
	v_lshlrev_b32_e32 v25, 8, v25
	;; [unrolled: 1-line block ×4, first 2 shown]
	v_lshl_or_b32 v4, v4, 10, v5
	s_add_i32 s39, s1, s48
	s_lshl_b64 s[0:1], s[36:37], 2
	s_mov_b32 s61, 0x3020706
	v_or_b32_e32 v85, 0xa000, v29
	v_or_b32_e32 v86, 0xb000, v29
	;; [unrolled: 1-line block ×5, first 2 shown]
	v_xor_b32_e32 v5, 8, v4
	v_xor_b32_e32 v24, 24, v4
	;; [unrolled: 1-line block ×4, first 2 shown]
	s_add_u32 s20, s10, s0
	v_or_b32_e32 v91, v25, v27
	v_xor_b32_e32 v23, 16, v4
	v_xor_b32_e32 v25, 32, v4
	;; [unrolled: 1-line block ×3, first 2 shown]
	v_add_u32_e32 v5, 0x80, v5
	v_add_u32_e32 v24, 0x80, v24
	v_add_u32_e32 v26, 0x80, v26
	v_add_u32_e32 v28, 0x80, v28
	s_addc_u32 s21, s11, s1
	s_lshl_b64 s[0:1], s[38:39], 2
	s_add_u32 s42, s20, s0
	s_movk_i32 s0, 0xf8
	s_addc_u32 s43, s21, s1
	s_ashr_i32 s41, s40, 31
	s_lshl_b32 s26, s15, 7
	s_movk_i32 s20, 0x100
	v_mov_b32_e32 v57, 0
	v_lshlrev_b32_e32 v56, 4, v66
	v_cmp_gt_u32_e32 vcc, s20, v0
	v_ashrrev_i32_e32 v47, 31, v46
	s_mov_b32 s62, 0
	s_movk_i32 s37, 0x1000
	s_movk_i32 s22, 0x4000
	s_mov_b32 s39, 0x7060302
	v_mov_b32_e32 v115, 0x3fb8aa3b
	s_waitcnt vmcnt(1)
	v_perm_b32 v29, v6, v14, s60
	s_waitcnt vmcnt(0)
	v_perm_b32 v30, v10, v18, s60
	v_perm_b32 v6, v6, v14, s61
	;; [unrolled: 1-line block ×15, first 2 shown]
	ds_write2st64_b32 v4, v29, v30 offset0:32 offset1:64
	ds_write2st64_b32 v5, v6, v10 offset0:32 offset1:64
	;; [unrolled: 1-line block ×8, first 2 shown]
	v_or_b32_e32 v4, v1, v66
	v_lshlrev_b32_e32 v4, 3, v4
	v_lshrrev_b32_e32 v7, 5, v45
	v_and_or_b32 v7, v4, s0, v7
	v_lshlrev_b32_e32 v7, 4, v7
	v_lshlrev_b32_e32 v9, 11, v64
	v_and_b32_e32 v4, 0x78, v4
	v_or_b32_e32 v12, 32, v7
	v_and_b32_e32 v6, 0x1000, v9
	v_lshrrev_b32_e32 v10, 1, v45
	v_xor_b32_e32 v12, v12, v4
	v_xor_b32_e32 v8, v7, v4
	v_and_b32_e32 v10, 8, v10
	v_or_b32_e32 v12, v12, v6
	v_or_b32_e32 v8, v8, v6
	v_lshlrev_b32_e32 v11, 7, v65
	v_xor_b32_e32 v95, v12, v10
	v_or_b32_e32 v12, 64, v7
	v_or_b32_e32 v7, 0x60, v7
	v_xor_b32_e32 v93, v8, v10
	v_or_b32_e32 v8, v11, v22
	v_xor_b32_e32 v12, v12, v4
	v_xor_b32_e32 v4, v7, v4
	s_lshl_b64 s[0:1], s[40:41], 8
	v_lshlrev_b32_e32 v8, 1, v8
	v_or_b32_e32 v12, v12, v6
	v_or_b32_e32 v4, v4, v6
	s_add_u32 s0, s18, s0
	v_lshlrev_b32_e32 v6, 1, v66
	v_or_b32_e32 v94, 0xa000, v8
	v_or_b32_e32 v96, 0xa080, v8
	;; [unrolled: 1-line block ×4, first 2 shown]
	v_lshrrev_b32_e32 v8, 4, v0
	s_addc_u32 s1, s19, s1
	v_or_b32_e32 v7, 1, v6
	v_mov_b32_e32 v17, 0x4000
	v_mov_b32_e32 v18, 0x2000
	v_lshrrev_b32_e32 v19, 1, v0
	v_xor_b32_e32 v97, v12, v10
	v_xor_b32_e32 v98, v4, v10
	;; [unrolled: 1-line block ×4, first 2 shown]
	v_lshl_add_u64 v[6:7], s[0:1], 0, v[56:57]
	v_lshlrev_b32_e32 v56, 8, v8
	v_cndmask_b32_e32 v17, v17, v18, vcc
	v_lshlrev_b32_e32 v18, 3, v64
	v_and_b32_e32 v19, 24, v19
	v_lshl_or_b32 v101, v10, 3, v56
	v_and_b32_e32 v10, 8, v0
	v_xor_b32_e32 v20, v18, v19
	v_or_b32_e32 v21, 0x440, v20
	v_cmp_eq_u32_e32 vcc, 0, v10
	v_and_b32_e32 v8, 7, v0
	v_lshl_or_b32 v102, v14, 3, v56
	v_cndmask_b32_e32 v10, v21, v20, vcc
	v_lshlrev_b32_e32 v14, 3, v8
	v_lshlrev_b32_e32 v16, 2, v0
	v_or_b32_e32 v10, v10, v9
	v_xor_b32_e32 v20, v10, v14
	v_and_or_b32 v10, v16, 60, v11
	v_mov_b32_e32 v11, 0xb000
	v_lshl_or_b32 v103, v10, 1, v11
	v_or_b32_e32 v10, 32, v19
	v_xor_b32_e32 v10, v18, v10
	v_or_b32_e32 v11, 0x440, v10
	v_cndmask_b32_e32 v10, v11, v10, vcc
	v_or_b32_e32 v10, v10, v9
	v_xor_b32_e32 v11, v10, v14
	v_or_b32_e32 v10, 64, v19
	v_xor_b32_e32 v10, v18, v10
	v_xor_b32_e32 v22, 0x440, v10
	v_cndmask_b32_e32 v10, v22, v10, vcc
	v_or_b32_e32 v10, v10, v9
	v_xor_b32_e32 v22, v10, v14
	v_or_b32_e32 v10, 0x60, v19
	v_xor_b32_e32 v10, v18, v10
	v_xor_b32_e32 v18, 0x440, v10
	v_cndmask_b32_e32 v10, v18, v10, vcc
	v_lshrrev_b32_e32 v5, 2, v45
	v_or_b32_e32 v9, v10, v9
	v_and_b32_e32 v5, 12, v5
	v_lshlrev_b32_e32 v12, 1, v3
	v_add_lshl_u32 v3, v3, s15, 1
	v_or_b32_e32 v13, 0x100, v2
	v_xor_b32_e32 v9, v9, v14
	v_lshlrev_b32_e32 v4, 7, v69
	v_lshlrev_b32_e32 v15, 7, v8
	v_or_b32_e32 v8, v5, v1
	v_add_u32_e32 v21, v17, v20
	v_add_u32_e32 v16, v17, v11
	;; [unrolled: 1-line block ×4, first 2 shown]
	v_or3_b32 v10, v1, v5, 64
	v_add_u32_e32 v5, 0x4000, v20
	v_add_u32_e32 v11, 0x4000, v11
	;; [unrolled: 1-line block ×4, first 2 shown]
	v_cndmask_b32_e64 v104, v12, v2, s[2:3]
	v_cndmask_b32_e64 v105, v3, v13, s[2:3]
	v_lshlrev_b64 v[2:3], 1, v[46:47]
	v_lshl_add_u64 v[58:59], s[8:9], 0, v[2:3]
	v_lshl_add_u64 v[60:61], s[28:29], 0, v[2:3]
	;; [unrolled: 1-line block ×3, first 2 shown]
	v_lshlrev_b32_e32 v56, 1, v4
	v_lshlrev_b32_e32 v47, 2, v8
	v_add_u32_e32 v106, v21, v15
	v_add_u32_e32 v107, v16, v15
	v_add_u32_e32 v108, v23, v15
	v_add_u32_e32 v109, v14, v15
	v_lshlrev_b32_e32 v110, 2, v10
	v_add_u32_e32 v111, v5, v15
	v_add_u32_e32 v112, v11, v15
	;; [unrolled: 1-line block ×4, first 2 shown]
	s_waitcnt lgkmcnt(0)
	s_barrier
.LBB323_32:                             ; =>This Inner Loop Header: Depth=1
	s_add_i32 s41, s62, 1
	s_cmp_lt_i32 s41, s50
	s_mov_b64 s[24:25], 0
	s_cselect_b64 s[2:3], -1, 0
	s_cmp_ge_i32 s41, s50
	s_mov_b64 s[20:21], 0
	s_cbranch_scc1 .LBB323_34
; %bb.33:                               ;   in Loop: Header=BB323_32 Depth=1
	s_add_i32 s0, s57, 64
	s_ashr_i32 s1, s0, 31
	s_add_u32 s0, s55, s0
	s_addc_u32 s1, s54, s1
	s_lshl_b64 s[0:1], s[0:1], 8
	s_add_u32 s20, s6, s0
	s_addc_u32 s21, s7, s1
.LBB323_34:                             ;   in Loop: Header=BB323_32 Depth=1
	v_cndmask_b32_e64 v2, 0, 1, s[2:3]
	v_cmp_ne_u32_e64 s[0:1], 1, v2
	s_andn2_b64 vcc, exec, s[2:3]
	s_cbranch_vccnz .LBB323_36
; %bb.35:                               ;   in Loop: Header=BB323_32 Depth=1
	s_add_i32 s2, s57, 64
	s_mul_hi_i32 s3, s2, s14
	s_mul_i32 s2, s2, s14
	s_add_u32 s2, s2, s53
	s_addc_u32 s3, s3, s58
	s_lshl_b64 s[2:3], s[2:3], 8
	s_add_u32 s24, s4, s2
	s_addc_u32 s25, s5, s3
.LBB323_36:                             ;   in Loop: Header=BB323_32 Depth=1
	v_perm_b32 v3, v55, v54, s39
	v_perm_b32 v2, v51, v50, s39
	v_perm_b32 v5, v53, v52, s39
	v_perm_b32 v4, v49, v48, s39
	ds_write_b64 v85, v[2:3]
	ds_write_b64 v86, v[4:5]
	;; [unrolled: 1-line block ×4, first 2 shown]
	v_perm_b32 v3, v82, v75, s39
	v_perm_b32 v2, v71, v73, s39
	;; [unrolled: 1-line block ×4, first 2 shown]
	ds_write_b64 v87, v[2:3]
	ds_write_b64 v88, v[4:5]
	;; [unrolled: 1-line block ×4, first 2 shown]
	s_waitcnt lgkmcnt(0)
	s_barrier
	ds_read_b64 v[6:7], v93 offset:24576
	ds_read2_b64 v[2:5], v94 offset1:16
	ds_read_b64 v[10:11], v96 offset:3072
	ds_read_b64 v[12:13], v94 offset:3072
	;; [unrolled: 1-line block ×3, first 2 shown]
	s_waitcnt lgkmcnt(3)
	v_mfma_f32_16x16x16_bf16 a[0:3], v[6:7], v[2:3], 0
	s_add_i32 s63, s57, 63
	s_ashr_i32 s2, s63, 31
	s_mul_i32 s3, s63, s31
	v_mfma_f32_16x16x16_bf16 a[4:7], v[6:7], v[4:5], 0
	ds_read2st64_b64 v[2:5], v94 offset0:2 offset1:4
	s_mul_hi_u32 s27, s63, s30
	s_add_i32 s3, s27, s3
	s_waitcnt lgkmcnt(0)
	v_mfma_f32_16x16x16_bf16 a[0:3], v[14:15], v[2:3], a[0:3]
	ds_read2st64_b64 v[6:9], v96 offset0:2 offset1:4
	ds_read_b64 v[2:3], v97 offset:24576
	s_mul_i32 s2, s2, s30
	s_add_i32 s3, s3, s2
	s_waitcnt lgkmcnt(1)
	v_mfma_f32_16x16x16_bf16 a[4:7], v[14:15], v[6:7], a[4:7]
	ds_read_b64 v[6:7], v98 offset:24576
	s_mul_i32 s2, s63, s30
	s_lshl_b64 s[2:3], s[2:3], 2
	s_waitcnt lgkmcnt(1)
	v_mfma_f32_16x16x16_bf16 a[0:3], v[2:3], v[4:5], a[0:3]
	s_add_u32 s2, s42, s2
	s_addc_u32 s3, s43, s3
	s_and_b64 vcc, exec, s[0:1]
	v_mfma_f32_16x16x16_bf16 a[8:11], v[2:3], v[8:9], a[4:7]
	v_mov_b32_e32 v118, 0
	v_mov_b32_e32 v117, 0
	;; [unrolled: 1-line block ×3, first 2 shown]
	s_waitcnt lgkmcnt(0)
	v_mfma_f32_16x16x16_bf16 a[4:7], v[6:7], v[12:13], a[0:3]
	v_mov_b32_e32 v2, 0
	v_mov_b32_e32 v3, 0
	;; [unrolled: 1-line block ×3, first 2 shown]
	v_mfma_f32_16x16x16_bf16 a[0:3], v[6:7], v[10:11], a[8:11]
	v_mov_b32_e32 v5, 0
	v_mov_b32_e32 v6, 0
	;; [unrolled: 1-line block ×13, first 2 shown]
	s_cbranch_vccnz .LBB323_38
; %bb.37:                               ;   in Loop: Header=BB323_32 Depth=1
	s_and_b32 s21, s21, 0xffff
	buffer_load_dwordx4 v[14:17], v80, s[20:23], 0 offen
	buffer_load_dwordx4 v[10:13], v80, s[20:23], s59 offen
	;; [unrolled: 1-line block ×4, first 2 shown]
	v_mov_b32_e32 v117, v83
	v_mov_b32_e32 v116, v84
.LBB323_38:                             ;   in Loop: Header=BB323_32 Depth=1
	ds_read_b64 v[26:27], v93 offset:32768
	ds_read2_b64 v[18:21], v99 offset1:16
	ds_read_b64 v[28:29], v95 offset:32768
	ds_read_b64 v[30:31], v97 offset:32768
	ds_read_b64 v[32:33], v98 offset:32768
	v_add_u32_e32 v34, s57, v69
	s_waitcnt lgkmcnt(3)
	v_mfma_f32_16x16x16_bf16 a[4:7], v[26:27], v[18:19], a[4:7]
	v_ashrrev_i32_e32 v18, 31, v34
	ds_read2st64_b64 v[22:25], v99 offset0:2 offset1:4
	v_mfma_f32_16x16x16_bf16 a[0:3], v[26:27], v[20:21], a[0:3]
	v_mul_lo_u32 v20, v18, s30
	v_mul_lo_u32 v21, v34, s31
	v_mad_u64_u32 v[18:19], s[20:21], v34, s30, 0
	v_add3_u32 v19, v19, v21, v20
	v_add_u32_e32 v20, 1, v34
	v_ashrrev_i32_e32 v21, 31, v20
	v_mul_lo_u32 v26, v21, s30
	v_mul_lo_u32 v27, v20, s31
	v_mad_u64_u32 v[20:21], s[20:21], v20, s30, 0
	v_add3_u32 v21, v21, v27, v26
	v_add_u32_e32 v26, 2, v34
	v_ashrrev_i32_e32 v27, 31, v26
	v_mul_lo_u32 v35, v27, s30
	v_mul_lo_u32 v36, v26, s31
	v_mad_u64_u32 v[26:27], s[20:21], v26, s30, 0
	v_add_u32_e32 v34, 3, v34
	v_add3_u32 v27, v27, v36, v35
	v_ashrrev_i32_e32 v35, 31, v34
	v_mul_lo_u32 v36, v35, s30
	v_mul_lo_u32 v37, v34, s31
	v_mad_u64_u32 v[34:35], s[20:21], v34, s30, 0
	s_ashr_i32 s21, s57, 31
	v_add3_u32 v35, v35, v37, v36
	s_add_u32 s20, s55, s57
	v_lshl_add_u64 v[18:19], v[18:19], 2, s[42:43]
	v_lshl_add_u64 v[34:35], v[34:35], 2, s[42:43]
	s_addc_u32 s21, s54, s21
	v_lshl_add_u64 v[20:21], v[20:21], 2, s[42:43]
	v_lshl_add_u64 v[26:27], v[26:27], 2, s[42:43]
	global_load_dword v36, v[18:19], off
	global_load_dword v37, v[20:21], off
	global_load_dword v38, v[26:27], off
	s_nop 0
	global_load_dword v34, v[34:35], off
	s_lshl_b64 s[20:21], s[20:21], 8
	v_lshl_add_u64 v[18:19], v[58:59], 0, s[20:21]
	v_lshl_add_u64 v[26:27], v[18:19], 0, v[56:57]
	global_load_ushort v35, v[26:27], off offset:256
	global_load_ushort v39, v[26:27], off
	ds_read2st64_b64 v[18:21], v100 offset0:2 offset1:4
	global_load_ushort v40, v[26:27], off offset:768
	global_load_ushort v41, v[26:27], off offset:512
	;; [unrolled: 1-line block ×6, first 2 shown]
	s_waitcnt lgkmcnt(1)
	v_mfma_f32_16x16x16_bf16 a[4:7], v[28:29], v[22:23], a[4:7]
	s_and_b64 vcc, exec, s[0:1]
	s_waitcnt vmcnt(7)
	v_lshlrev_b32_e32 v27, 16, v35
	s_waitcnt lgkmcnt(0)
	v_mfma_f32_16x16x16_bf16 a[0:3], v[28:29], v[18:19], a[0:3]
	v_mfma_f32_16x16x16_bf16 a[4:7], v[30:31], v[24:25], a[4:7]
	v_mfma_f32_16x16x16_bf16 a[0:3], v[30:31], v[20:21], a[0:3]
	ds_read_b64 v[18:19], v99 offset:3072
	ds_read_b64 v[20:21], v100 offset:3072
	s_load_dword s2, s[2:3], 0x0
	s_waitcnt lgkmcnt(0)
	v_sub_f32_e32 v26, s2, v36
	v_mfma_f32_16x16x16_bf16 a[4:7], v[32:33], v[18:19], a[4:7]
	v_sub_f32_e32 v29, s2, v37
	v_sub_f32_e32 v30, s2, v38
	;; [unrolled: 1-line block ×3, first 2 shown]
	v_mul_f32_e32 v28, 0x3fb8aa3b, v26
	v_mul_f32_e32 v29, 0x3fb8aa3b, v29
	;; [unrolled: 1-line block ×4, first 2 shown]
	v_mfma_f32_16x16x16_bf16 a[0:3], v[32:33], v[20:21], a[0:3]
	v_accvgpr_read_b32 v25, a5
	v_exp_f32_e32 v28, v28
	v_exp_f32_e32 v29, v29
	;; [unrolled: 1-line block ×4, first 2 shown]
	v_accvgpr_read_b32 v24, a4
	s_waitcnt vmcnt(6)
	v_lshlrev_b32_e32 v26, 16, v39
	v_lshl_add_u64 v[18:19], v[60:61], 0, s[20:21]
	v_accvgpr_read_b32 v21, a7
	v_accvgpr_read_b32 v20, a6
	v_pk_add_f32 v[24:25], v[26:27], v[24:25] neg_lo:[0,1] neg_hi:[0,1]
	s_waitcnt vmcnt(5)
	v_lshlrev_b32_e32 v27, 16, v40
	s_waitcnt vmcnt(4)
	v_lshlrev_b32_e32 v26, 16, v41
	v_lshl_add_u64 v[18:19], v[18:19], 0, v[56:57]
	v_pk_add_f32 v[20:21], v[26:27], v[20:21] neg_lo:[0,1] neg_hi:[0,1]
	global_store_short_d16_hi v[18:19], v24, off
	global_store_short_d16_hi v[18:19], v25, off offset:256
	global_store_short_d16_hi v[18:19], v20, off offset:512
	;; [unrolled: 1-line block ×3, first 2 shown]
	v_pk_mul_f32 v[24:25], v[28:29], v[24:25]
	v_pk_mul_f32 v[20:21], v[30:31], v[20:21]
	v_accvgpr_read_b32 v27, a1
	v_perm_b32 v21, v21, v20, s39
	v_perm_b32 v20, v25, v24, s39
	s_waitcnt vmcnt(5)
	v_lshlrev_b32_e32 v25, 16, v44
	s_waitcnt vmcnt(4)
	v_lshlrev_b32_e32 v24, 16, v119
	v_accvgpr_read_b32 v26, a0
	v_accvgpr_read_b32 v23, a3
	;; [unrolled: 1-line block ×3, first 2 shown]
	v_pk_add_f32 v[24:25], v[24:25], v[26:27] neg_lo:[0,1] neg_hi:[0,1]
	v_lshlrev_b32_e32 v27, 16, v42
	v_lshlrev_b32_e32 v26, 16, v43
	v_pk_add_f32 v[22:23], v[26:27], v[22:23] neg_lo:[0,1] neg_hi:[0,1]
	global_store_short_d16_hi v[18:19], v24, off offset:32
	global_store_short_d16_hi v[18:19], v25, off offset:288
	;; [unrolled: 1-line block ×4, first 2 shown]
	v_pk_mul_f32 v[18:19], v[28:29], v[24:25]
	v_pk_mul_f32 v[22:23], v[30:31], v[22:23]
	v_mov_b32_e32 v119, 0
	v_perm_b32 v23, v23, v22, s39
	v_perm_b32 v22, v19, v18, s39
	ds_write2_b64 v86, v[20:21], v[22:23] offset1:16
	v_mov_b32_e32 v18, 0
	v_mov_b32_e32 v19, 0
	;; [unrolled: 1-line block ×16, first 2 shown]
	s_cbranch_vccnz .LBB323_40
; %bb.39:                               ;   in Loop: Header=BB323_32 Depth=1
	s_and_b32 s25, s25, 0xffff
	s_mov_b32 s27, s23
	buffer_load_dwordx4 v[30:33], v104, s[24:27], 0 offen
	buffer_load_dwordx4 v[22:25], v104, s[24:27], s59 offen
	;; [unrolled: 1-line block ×4, first 2 shown]
	v_mov_b32_e32 v118, v78
	v_mov_b32_e32 v119, v77
.LBB323_40:                             ;   in Loop: Header=BB323_32 Depth=1
	s_waitcnt lgkmcnt(0)
	s_barrier
	ds_read_b64 v[38:39], v106
	ds_read_b64 v[124:125], v103
	;; [unrolled: 1-line block ×5, first 2 shown]
	ds_read_b64 v[138:139], v100 offset:3072
	ds_read2_b64 v[34:37], v99 offset0:16 offset1:128
	s_waitcnt lgkmcnt(5)
	v_mfma_f32_16x16x16_bf16 a[0:3], v[38:39], v[124:125], 0
	ds_read2st64_b64 v[40:43], v100 offset0:2 offset1:4
	s_add_i32 s3, s56, s62
	s_mul_hi_i32 s21, s3, s13
	s_waitcnt lgkmcnt(1)
	v_mfma_f32_16x16x16_bf16 a[4:7], v[38:39], v[34:35], 0
	ds_read_b64 v[38:39], v111
	s_mul_i32 s3, s3, s13
	s_add_u32 s20, s3, s49
	s_waitcnt lgkmcnt(1)
	v_mfma_f32_16x16x16_bf16 a[4:7], v[126:127], v[40:41], a[4:7]
	s_addc_u32 s21, s21, s51
	s_lshl_b64 s[20:21], s[20:21], 15
	s_mul_i32 s24, s63, s13
	s_mul_hi_i32 s3, s63, s13
	s_add_u32 s24, s24, s49
	v_mfma_f32_16x16x16_bf16 a[8:11], v[128:129], v[42:43], a[4:7]
	s_addc_u32 s25, s3, s51
	ds_read2st64_b64 v[120:123], v99 offset0:4 offset1:6
	s_lshl_b64 s[24:25], s[24:25], 9
	s_waitcnt lgkmcnt(1)
	v_mfma_f32_16x16x16_bf16 a[4:7], v[38:39], v[124:125], 0
	s_add_u32 s24, s16, s24
	s_addc_u32 s25, s17, s25
	v_mfma_f32_16x16x16_bf16 a[0:3], v[126:127], v[36:37], a[0:3]
	ds_read_b64 v[126:127], v112
	ds_read_b64 v[134:135], v113
	;; [unrolled: 1-line block ×3, first 2 shown]
	v_mfma_f32_16x16x16_bf16 a[12:15], v[38:39], v[34:35], 0
	s_waitcnt lgkmcnt(2)
	v_mfma_f32_16x16x16_bf16 a[4:7], v[126:127], v[36:37], a[4:7]
	global_load_dwordx4 v[34:37], v110, s[24:25]
	v_mfma_f32_16x16x16_bf16 a[12:15], v[126:127], v[40:41], a[12:15]
	global_load_dwordx4 v[38:41], v47, s[24:25]
	ds_read2st64_b64 v[124:127], v101 offset1:8
	s_waitcnt lgkmcnt(0)
	v_mov_b32_e32 v132, v124
	v_mfma_f32_16x16x16_bf16 a[0:3], v[128:129], v[120:121], a[0:3]
	ds_read2st64_b64 v[128:131], v102 offset1:8
	v_mov_b32_e32 v133, v125
	v_mfma_f32_16x16x16_bf16 a[16:19], v[134:135], v[120:121], a[4:7]
	v_lshl_add_u64 v[120:121], v[62:63], 0, s[20:21]
	v_mfma_f32_16x16x16_bf16 a[20:23], v[134:135], v[42:43], a[12:15]
	v_add_co_u32_e32 v42, vcc, s37, v120
	s_waitcnt lgkmcnt(0)
	v_mov_b32_e32 v134, v128
	v_mfma_f32_16x16x16_bf16 a[4:7], v[136:137], v[122:123], a[0:3]
	v_mov_b32_e32 v135, v129
	v_mov_b32_e32 v128, v126
	;; [unrolled: 1-line block ×3, first 2 shown]
	v_mfma_f32_16x16x16_bf16 a[8:11], v[136:137], v[138:139], a[8:11]
	v_addc_co_u32_e32 v43, vcc, 0, v121, vcc
	global_store_dwordx4 v[42:43], v[128:131], off
	v_mfma_f32_16x16x16_bf16 a[12:15], v[140:141], v[122:123], a[16:19]
	s_and_b64 vcc, exec, s[0:1]
	global_store_dwordx4 v[120:121], v[132:135], off
	s_waitcnt vmcnt(3)
	v_mov_b32_e32 v44, v37
	v_mfma_f32_16x16x16_bf16 a[0:3], v[140:141], v[138:139], a[20:23]
	v_mov_b32_e32 v43, v36
	v_mov_b32_e32 v42, v35
	s_cbranch_vccnz .LBB323_42
; %bb.41:                               ;   in Loop: Header=BB323_32 Depth=1
	v_lshrrev_b32_e32 v35, 3, v118
	v_and_b32_e32 v35, 6, v35
	v_xor_b32_e32 v36, v35, v119
	v_lshlrev_b32_e32 v36, 2, v36
	v_and_b32_e32 v37, 8, v118
	v_xor_b32_e32 v118, 0x440, v36
	v_cmp_eq_u32_e32 vcc, 0, v37
	v_perm_b32 v37, v22, v18, s60
	s_nop 0
	v_cndmask_b32_e32 v36, v118, v36, vcc
	v_lshl_or_b32 v35, v35, 10, v36
	v_perm_b32 v36, v30, v26, s60
	s_barrier
	ds_write2st64_b32 v35, v36, v37 offset0:32 offset1:64
	v_xor_b32_e32 v36, 8, v35
	v_perm_b32 v26, v30, v26, s61
	v_perm_b32 v18, v22, v18, s61
	v_add_u32_e32 v22, 0x80, v36
	ds_write2st64_b32 v22, v26, v18 offset0:32 offset1:64
	v_xor_b32_e32 v18, 16, v35
	v_perm_b32 v22, v31, v27, s60
	v_perm_b32 v26, v23, v19, s60
	ds_write2st64_b32 v18, v22, v26 offset0:33 offset1:65
	v_xor_b32_e32 v18, 24, v35
	v_perm_b32 v22, v31, v27, s61
	v_perm_b32 v19, v23, v19, s61
	v_add_u32_e32 v18, 0x80, v18
	ds_write2st64_b32 v18, v22, v19 offset0:33 offset1:65
	v_xor_b32_e32 v18, 32, v35
	v_perm_b32 v19, v32, v28, s60
	v_perm_b32 v22, v24, v20, s60
	;; [unrolled: 9-line block ×3, first 2 shown]
	ds_write2st64_b32 v18, v19, v20 offset0:35 offset1:67
	v_xor_b32_e32 v18, 56, v35
	v_perm_b32 v19, v33, v29, s61
	v_perm_b32 v20, v25, v21, s61
	v_add_u32_e32 v18, 0x80, v18
	ds_write2st64_b32 v18, v19, v20 offset0:35 offset1:67
	ds_write_b64 v117, v[14:15] offset:24576
	v_xor_b32_e32 v14, 8, v117
	ds_write_b64 v14, v[16:17] offset:24576
	ds_write_b64 v117, v[10:11] offset:32768
	;; [unrolled: 1-line block ×4, first 2 shown]
	v_xor_b32_e32 v6, 8, v116
	ds_write_b64 v6, v[8:9] offset:24576
	ds_write_b64 v116, v[2:3] offset:32768
	;; [unrolled: 1-line block ×3, first 2 shown]
.LBB323_42:                             ;   in Loop: Header=BB323_32 Depth=1
	v_mul_f32_e32 v6, s2, v115
	v_exp_f32_e32 v18, v6
	s_waitcnt vmcnt(2)
	v_mul_f32_e32 v6, 0x3fb8aa3b, v38
	v_exp_f32_e32 v20, v6
	v_mul_f32_e32 v6, 0x3fb8aa3b, v39
	v_exp_f32_e32 v21, v6
	;; [unrolled: 2-line block ×4, first 2 shown]
	v_accvgpr_read_b32 v13, a7
	v_accvgpr_read_b32 v11, a5
	;; [unrolled: 1-line block ×4, first 2 shown]
	v_pk_mul_f32 v[20:21], v[18:19], v[20:21] op_sel_hi:[0,1]
	v_accvgpr_read_b32 v4, a10
	v_pk_fma_f32 v[50:51], v[50:51], v[20:21], v[10:11]
	v_pk_mul_f32 v[10:11], v[18:19], v[22:23] op_sel_hi:[0,1]
	v_accvgpr_read_b32 v12, a6
	v_accvgpr_read_b32 v3, a9
	v_fma_f32 v75, v75, v10, v4
	v_mul_f32_e32 v4, 0x3fb8aa3b, v43
	v_pk_fma_f32 v[54:55], v[54:55], v[10:11], v[12:13]
	v_fma_f32 v73, v73, v20, v2
	v_fma_f32 v71, v71, v21, v3
	v_mul_f32_e32 v2, 0x3fb8aa3b, v34
	v_mul_f32_e32 v3, 0x3fb8aa3b, v42
	v_exp_f32_e32 v12, v4
	v_mul_f32_e32 v4, 0x3fb8aa3b, v44
	v_exp_f32_e32 v2, v2
	v_exp_f32_e32 v3, v3
	;; [unrolled: 1-line block ×3, first 2 shown]
	v_accvgpr_read_b32 v5, a11
	v_accvgpr_read_b32 v17, a15
	;; [unrolled: 1-line block ×9, first 2 shown]
	v_fmac_f32_e32 v5, v82, v11
	v_pk_mul_f32 v[2:3], v[18:19], v[2:3] op_sel_hi:[0,1]
	v_pk_mul_f32 v[10:11], v[18:19], v[12:13] op_sel_hi:[0,1]
	s_add_i32 s57, s57, 64
	v_pk_fma_f32 v[48:49], v[48:49], v[2:3], v[14:15]
	v_pk_fma_f32 v[52:53], v[52:53], v[10:11], v[16:17]
	v_fma_f32 v74, v74, v2, v6
	v_fma_f32 v72, v72, v3, v7
	;; [unrolled: 1-line block ×3, first 2 shown]
	s_cmp_eq_u32 s50, s41
	v_fmac_f32_e32 v9, v79, v11
	s_cbranch_scc1 .LBB323_4
; %bb.43:                               ;   in Loop: Header=BB323_32 Depth=1
	s_mov_b32 s62, s41
	v_mov_b32_e32 v82, v5
	v_mov_b32_e32 v79, v9
	s_branch .LBB323_32
.LBB323_44:
                                        ; implicit-def: $vgpr5
                                        ; implicit-def: $vgpr9
                                        ; implicit-def: $vgpr13
                                        ; implicit-def: $vgpr17
	s_cbranch_execz .LBB323_46
; %bb.45:
	s_waitcnt vmcnt(0)
	v_mad_u64_u32 v[2:3], s[0:1], v20, s15, v[18:19]
	v_lshlrev_b32_e32 v20, 1, v2
	s_lshl_b32 s2, s15, 7
	s_and_b32 s1, s5, 0xffff
	s_mov_b32 s3, 0x20000
	s_mov_b32 s0, s4
	v_add_lshl_u32 v21, v2, s15, 1
	s_movk_i32 s13, 0x80
	buffer_load_dwordx4 v[2:5], v20, s[0:3], 0 offen
	buffer_load_dwordx4 v[10:13], v20, s[0:3], s13 offen
	;; [unrolled: 1-line block ×4, first 2 shown]
.LBB323_46:
	v_lshrrev_b32_e32 v30, 2, v45
	s_cbranch_execnz .LBB323_59
.LBB323_47:
	s_and_b64 vcc, exec, s[6:7]
	s_cbranch_vccz .LBB323_57
; %bb.48:
	s_waitcnt vmcnt(0)
	v_lshlrev_b32_e32 v7, 1, v23
	v_cmp_gt_i32_e32 vcc, s27, v7
	v_mov_b32_e32 v6, 0
	v_lshlrev_b32_e32 v14, 9, v23
	v_mov_b32_e32 v2, 0
	v_mov_b32_e32 v3, 0
	;; [unrolled: 1-line block ×4, first 2 shown]
	s_and_saveexec_b64 s[0:1], vcc
	s_cbranch_execz .LBB323_50
; %bb.49:
	v_mov_b32_e32 v15, 0
	v_lshl_add_u64 v[2:3], s[4:5], 0, v[14:15]
	v_lshlrev_b32_e32 v4, 1, v18
	v_mov_b32_e32 v5, v15
	v_lshl_add_u64 v[2:3], v[2:3], 0, v[4:5]
	global_load_dwordx4 v[2:5], v[2:3], off
.LBB323_50:
	s_or_b64 exec, exec, s[0:1]
	v_or_b32_e32 v7, 1, v7
	v_cmp_gt_i32_e64 s[0:1], s27, v7
	v_lshlrev_b32_e32 v20, 8, v7
	v_mov_b32_e32 v7, 0
	v_mov_b32_e32 v8, 0
	;; [unrolled: 1-line block ×3, first 2 shown]
	s_and_saveexec_b64 s[2:3], s[0:1]
	s_cbranch_execz .LBB323_52
; %bb.51:
	v_mov_b32_e32 v21, 0
	v_lshl_add_u64 v[6:7], s[4:5], 0, v[20:21]
	v_lshlrev_b32_e32 v8, 1, v18
	v_mov_b32_e32 v9, v21
	v_lshl_add_u64 v[6:7], v[6:7], 0, v[8:9]
	global_load_dwordx4 v[6:9], v[6:7], off
.LBB323_52:
	s_or_b64 exec, exec, s[2:3]
	v_mov_b32_e32 v17, 0
	v_mov_b32_e32 v10, 0
	;; [unrolled: 1-line block ×5, first 2 shown]
	s_and_saveexec_b64 s[2:3], vcc
	s_cbranch_execz .LBB323_54
; %bb.53:
	v_mov_b32_e32 v15, 0
	v_lshl_add_u64 v[10:11], s[4:5], 0, v[14:15]
	v_lshlrev_b32_e32 v14, 1, v18
	v_lshl_add_u64 v[10:11], v[10:11], 0, v[14:15]
	global_load_dwordx4 v[10:13], v[10:11], off offset:128
.LBB323_54:
	s_or_b64 exec, exec, s[2:3]
	v_mov_b32_e32 v16, 0
	v_mov_b32_e32 v15, 0
	;; [unrolled: 1-line block ×3, first 2 shown]
	s_and_saveexec_b64 s[2:3], s[0:1]
	s_cbranch_execz .LBB323_56
; %bb.55:
	v_mov_b32_e32 v21, 0
	v_lshl_add_u64 v[14:15], s[4:5], 0, v[20:21]
	v_lshlrev_b32_e32 v20, 1, v18
	v_lshl_add_u64 v[14:15], v[14:15], 0, v[20:21]
	global_load_dwordx4 v[14:17], v[14:15], off offset:128
.LBB323_56:
	s_or_b64 exec, exec, s[2:3]
	s_branch .LBB323_59
.LBB323_57:
                                        ; implicit-def: $vgpr5
                                        ; implicit-def: $vgpr9
                                        ; implicit-def: $vgpr13
                                        ; implicit-def: $vgpr17
	s_cbranch_execz .LBB323_59
; %bb.58:
	s_waitcnt vmcnt(0)
	v_lshlrev_b32_e32 v2, 1, v18
	v_lshl_or_b32 v18, v23, 9, v2
	s_and_b32 s5, s5, 0xffff
	s_mov_b32 s7, 0x20000
	s_movk_i32 s6, 0x4000
	s_movk_i32 s0, 0x80
	buffer_load_dwordx4 v[2:5], v18, s[4:7], 0 offen
	buffer_load_dwordx4 v[6:9], v18, s[4:7], 0 offen offset:256
	buffer_load_dwordx4 v[10:13], v18, s[4:7], s0 offen
	buffer_load_dwordx4 v[14:17], v18, s[4:7], s0 offen offset:256
.LBB323_59:
	ds_read_b64 v[20:21], v25 offset:32768
	v_add_u32_e32 v18, 0xb000, v24
	ds_read2_b64 v[32:35], v18 offset1:16
	ds_read_b64 v[40:41], v26 offset:32768
	ds_read_b64 v[26:27], v27 offset:32768
	;; [unrolled: 1-line block ×3, first 2 shown]
	v_and_b32_e32 v18, 6, v0
	v_xor_b32_e32 v23, v23, v18
	v_lshlrev_b32_e32 v23, 2, v23
	v_and_b32_e32 v0, 1, v0
	v_xor_b32_e32 v28, 0x440, v23
	v_cmp_eq_u32_e32 vcc, 0, v0
	s_waitcnt lgkmcnt(3)
	v_mfma_f32_16x16x16_bf16 a[0:3], v[20:21], v[32:33], a[0:3]
	s_mov_b32 s0, 0x1000504
	v_cndmask_b32_e32 v0, v28, v23, vcc
	v_lshl_or_b32 v0, v18, 10, v0
	v_mfma_f32_16x16x16_bf16 a[4:7], v[20:21], v[34:35], a[4:7]
	ds_read2st64_b64 v[32:35], v24 offset0:90 offset1:92
	ds_read2st64_b64 v[36:39], v29 offset0:90 offset1:92
	ds_read_b64 v[20:21], v24 offset:48128
	ds_read_b64 v[24:25], v29 offset:48128
	s_waitcnt vmcnt(0)
	v_perm_b32 v18, v2, v6, s0
	s_waitcnt lgkmcnt(3)
	v_mfma_f32_16x16x16_bf16 a[0:3], v[40:41], v[32:33], a[0:3]
	s_mov_b32 s1, 0x3020706
	v_perm_b32 v2, v2, v6, s1
	v_perm_b32 v6, v10, v14, s1
	s_waitcnt lgkmcnt(2)
	v_mfma_f32_16x16x16_bf16 a[4:7], v[40:41], v[36:37], a[4:7]
	v_mfma_f32_16x16x16_bf16 a[0:3], v[26:27], v[34:35], a[0:3]
	;; [unrolled: 1-line block ×3, first 2 shown]
	s_waitcnt lgkmcnt(1)
	v_mfma_f32_16x16x16_bf16 a[4:7], v[42:43], v[20:21], a[0:3]
	v_perm_b32 v20, v10, v14, s0
	ds_write2st64_b32 v0, v18, v20 offset0:32 offset1:64
	v_xor_b32_e32 v18, 8, v0
	v_add_u32_e32 v10, 0x80, v18
	ds_write2st64_b32 v10, v2, v6 offset0:32 offset1:64
	v_xor_b32_e32 v2, 16, v0
	v_perm_b32 v6, v3, v7, s0
	v_perm_b32 v10, v11, v15, s0
	ds_write2st64_b32 v2, v6, v10 offset0:33 offset1:65
	v_xor_b32_e32 v2, 24, v0
	v_perm_b32 v3, v3, v7, s1
	v_perm_b32 v6, v11, v15, s1
	v_add_u32_e32 v2, 0x80, v2
	ds_write2st64_b32 v2, v3, v6 offset0:33 offset1:65
	v_xor_b32_e32 v2, 32, v0
	v_perm_b32 v3, v4, v8, s0
	v_perm_b32 v6, v12, v16, s0
	s_waitcnt lgkmcnt(4)
	v_mfma_f32_16x16x16_bf16 a[0:3], v[42:43], v[24:25], a[8:11]
	ds_write2st64_b32 v2, v3, v6 offset0:34 offset1:66
	v_xor_b32_e32 v2, 40, v0
	v_perm_b32 v3, v4, v8, s1
	v_perm_b32 v4, v12, v16, s1
	v_add_u32_e32 v2, 0x80, v2
	ds_write2st64_b32 v2, v3, v4 offset0:34 offset1:66
	v_xor_b32_e32 v2, 48, v0
	v_perm_b32 v3, v5, v9, s0
	v_perm_b32 v4, v13, v17, s0
	v_xor_b32_e32 v0, 56, v0
	v_and_or_b32 v21, v30, 12, v1
	ds_write2st64_b32 v2, v3, v4 offset0:35 offset1:67
	v_perm_b32 v2, v5, v9, s1
	v_perm_b32 v3, v13, v17, s1
	v_add_u32_e32 v0, 0x80, v0
	v_cmp_gt_i32_e32 vcc, s27, v21
	v_mov_b32_e32 v16, 0
	v_mov_b32_e32 v18, 0
	ds_write2st64_b32 v0, v2, v3 offset0:35 offset1:67
	s_and_saveexec_b64 s[0:1], vcc
	s_cbranch_execz .LBB323_61
; %bb.60:
	v_add_u32_e32 v0, s26, v21
	v_ashrrev_i32_e32 v1, 31, v0
	v_mul_lo_u32 v2, v1, s30
	v_mul_lo_u32 v3, v0, s31
	v_mad_u64_u32 v[0:1], s[2:3], v0, s30, 0
	v_add3_u32 v1, v1, v3, v2
	v_lshl_add_u64 v[0:1], v[0:1], 2, s[10:11]
	global_load_dword v0, v[0:1], off
	s_waitcnt vmcnt(0)
	v_sub_f32_e32 v0, s12, v0
	v_mul_f32_e32 v0, 0x3fb8aa3b, v0
	v_exp_f32_e32 v18, v0
.LBB323_61:
	s_or_b64 exec, exec, s[0:1]
	v_or_b32_e32 v10, 1, v21
	v_cmp_gt_i32_e64 s[0:1], s27, v10
	s_and_saveexec_b64 s[2:3], s[0:1]
	s_cbranch_execz .LBB323_63
; %bb.62:
	v_add_u32_e32 v0, s26, v10
	v_ashrrev_i32_e32 v1, 31, v0
	v_mul_lo_u32 v2, v1, s30
	v_mul_lo_u32 v3, v0, s31
	v_mad_u64_u32 v[0:1], s[4:5], v0, s30, 0
	v_add3_u32 v1, v1, v3, v2
	v_lshl_add_u64 v[0:1], v[0:1], 2, s[10:11]
	global_load_dword v0, v[0:1], off
	s_waitcnt vmcnt(0)
	v_sub_f32_e32 v0, s12, v0
	v_mul_f32_e32 v0, 0x3fb8aa3b, v0
	v_exp_f32_e32 v16, v0
.LBB323_63:
	s_or_b64 exec, exec, s[2:3]
	v_or_b32_e32 v12, 2, v21
	v_cmp_gt_i32_e64 s[2:3], s27, v12
	v_mov_b32_e32 v17, 0
	v_mov_b32_e32 v20, 0
	s_and_saveexec_b64 s[4:5], s[2:3]
	s_cbranch_execz .LBB323_65
; %bb.64:
	v_add_u32_e32 v0, s26, v12
	v_ashrrev_i32_e32 v1, 31, v0
	v_mul_lo_u32 v2, v1, s30
	v_mul_lo_u32 v3, v0, s31
	v_mad_u64_u32 v[0:1], s[6:7], v0, s30, 0
	v_add3_u32 v1, v1, v3, v2
	v_lshl_add_u64 v[0:1], v[0:1], 2, s[10:11]
	global_load_dword v0, v[0:1], off
	s_waitcnt vmcnt(0)
	v_sub_f32_e32 v0, s12, v0
	v_mul_f32_e32 v0, 0x3fb8aa3b, v0
	v_exp_f32_e32 v20, v0
.LBB323_65:
	s_or_b64 exec, exec, s[4:5]
	v_or_b32_e32 v14, 3, v21
	v_cmp_gt_i32_e64 s[4:5], s27, v14
	s_and_saveexec_b64 s[6:7], s[4:5]
	s_cbranch_execz .LBB323_67
; %bb.66:
	v_add_u32_e32 v0, s26, v14
	v_ashrrev_i32_e32 v1, 31, v0
	v_mul_lo_u32 v2, v1, s30
	v_mul_lo_u32 v3, v0, s31
	v_mad_u64_u32 v[0:1], s[14:15], v0, s30, 0
	v_add3_u32 v1, v1, v3, v2
	v_lshl_add_u64 v[0:1], v[0:1], 2, s[10:11]
	global_load_dword v0, v[0:1], off
	s_waitcnt vmcnt(0)
	v_sub_f32_e32 v0, s12, v0
	v_mul_f32_e32 v0, 0x3fb8aa3b, v0
	v_exp_f32_e32 v17, v0
.LBB323_67:
	s_or_b64 exec, exec, s[6:7]
	s_add_u32 s6, s8, s20
	s_addc_u32 s7, s9, s21
	s_add_u32 s8, s28, s20
	v_ashrrev_i32_e32 v47, 31, v46
	v_accvgpr_read_b32 v0, a4
	s_addc_u32 s9, s29, s21
	v_lshlrev_b64 v[4:5], 1, v[46:47]
	v_accvgpr_read_b32 v1, a5
	v_accvgpr_read_b32 v2, a6
	;; [unrolled: 1-line block ×3, first 2 shown]
	v_lshl_add_u64 v[6:7], s[6:7], 0, v[4:5]
	v_lshl_add_u64 v[4:5], s[8:9], 0, v[4:5]
	v_mov_b32_e32 v11, 0
	v_lshlrev_b32_e32 v8, 8, v21
	v_mov_b32_e32 v9, 0
	s_and_saveexec_b64 s[6:7], vcc
	s_cbranch_execz .LBB323_69
; %bb.68:
	v_mov_b32_e32 v9, 0
	v_lshl_add_u64 v[24:25], v[6:7], 0, v[8:9]
	global_load_ushort v13, v[24:25], off
	v_lshl_add_u64 v[24:25], v[4:5], 0, v[8:9]
	s_waitcnt vmcnt(0)
	v_lshlrev_b32_e32 v9, 16, v13
	v_sub_f32_e32 v0, v9, v0
	global_store_short_d16_hi v[24:25], v0, off
	v_mul_f32_e32 v0, v18, v0
	v_lshrrev_b32_e32 v9, 16, v0
.LBB323_69:
	s_or_b64 exec, exec, s[6:7]
	v_lshlrev_b32_e32 v10, 8, v10
	s_and_saveexec_b64 s[6:7], s[0:1]
	s_cbranch_execz .LBB323_71
; %bb.70:
	v_mov_b32_e32 v11, 0
	v_lshl_add_u64 v[24:25], v[6:7], 0, v[10:11]
	global_load_ushort v0, v[24:25], off
	v_lshl_add_u64 v[24:25], v[4:5], 0, v[10:11]
	s_waitcnt vmcnt(0)
	v_lshlrev_b32_e32 v0, 16, v0
	v_sub_f32_e32 v0, v0, v1
	global_store_short_d16_hi v[24:25], v0, off
	v_mul_f32_e32 v0, v16, v0
	v_lshrrev_b32_e32 v11, 16, v0
.LBB323_71:
	s_or_b64 exec, exec, s[6:7]
	v_mov_b32_e32 v15, 0
	v_lshlrev_b32_e32 v12, 8, v12
	v_mov_b32_e32 v13, 0
	s_and_saveexec_b64 s[6:7], s[2:3]
	s_cbranch_execz .LBB323_73
; %bb.72:
	v_mov_b32_e32 v13, 0
	v_lshl_add_u64 v[0:1], v[6:7], 0, v[12:13]
	global_load_ushort v23, v[0:1], off
	v_lshl_add_u64 v[0:1], v[4:5], 0, v[12:13]
	s_waitcnt vmcnt(0)
	v_lshlrev_b32_e32 v13, 16, v23
	v_sub_f32_e32 v2, v13, v2
	global_store_short_d16_hi v[0:1], v2, off
	v_mul_f32_e32 v0, v20, v2
	v_lshrrev_b32_e32 v13, 16, v0
.LBB323_73:
	s_or_b64 exec, exec, s[6:7]
	v_lshlrev_b32_e32 v14, 8, v14
	s_and_saveexec_b64 s[6:7], s[4:5]
	s_cbranch_execz .LBB323_75
; %bb.74:
	v_mov_b32_e32 v15, 0
	v_lshl_add_u64 v[0:1], v[6:7], 0, v[14:15]
	global_load_ushort v2, v[0:1], off
	v_lshl_add_u64 v[0:1], v[4:5], 0, v[14:15]
	s_waitcnt vmcnt(0)
	v_lshlrev_b32_e32 v2, 16, v2
	v_sub_f32_e32 v2, v2, v3
	global_store_short_d16_hi v[0:1], v2, off
	v_mul_f32_e32 v0, v17, v2
	v_lshrrev_b32_e32 v15, 16, v0
.LBB323_75:
	s_or_b64 exec, exec, s[6:7]
	v_lshlrev_b32_e32 v21, 5, v21
	s_mov_b32 s6, 0x5040100
	v_perm_b32 v24, v11, v9, s6
	v_or_b32_e32 v9, v21, v22
	v_accvgpr_read_b32 v0, a0
	v_perm_b32 v25, v15, v13, s6
	v_lshlrev_b32_e32 v9, 1, v9
	v_accvgpr_read_b32 v1, a1
	v_accvgpr_read_b32 v2, a2
	;; [unrolled: 1-line block ×3, first 2 shown]
	ds_write_b64 v9, v[24:25] offset:45056
	v_mov_b32_e32 v11, 0
	v_mov_b32_e32 v9, 0
	s_and_saveexec_b64 s[6:7], vcc
	s_cbranch_execz .LBB323_77
; %bb.76:
	v_mov_b32_e32 v9, 0
	v_lshl_add_u64 v[22:23], v[6:7], 0, v[8:9]
	global_load_ushort v13, v[22:23], off offset:32
	v_lshl_add_u64 v[8:9], v[4:5], 0, v[8:9]
	s_waitcnt vmcnt(0)
	v_lshlrev_b32_e32 v13, 16, v13
	v_sub_f32_e32 v0, v13, v0
	global_store_short_d16_hi v[8:9], v0, off offset:32
	v_mul_f32_e32 v0, v18, v0
	v_lshrrev_b32_e32 v9, 16, v0
.LBB323_77:
	s_or_b64 exec, exec, s[6:7]
	s_and_saveexec_b64 s[6:7], s[0:1]
	s_cbranch_execz .LBB323_79
; %bb.78:
	v_mov_b32_e32 v11, 0
	v_lshl_add_u64 v[22:23], v[6:7], 0, v[10:11]
	global_load_ushort v0, v[22:23], off offset:32
	v_lshl_add_u64 v[10:11], v[4:5], 0, v[10:11]
	s_waitcnt vmcnt(0)
	v_lshlrev_b32_e32 v0, 16, v0
	v_sub_f32_e32 v0, v0, v1
	global_store_short_d16_hi v[10:11], v0, off offset:32
	v_mul_f32_e32 v0, v16, v0
	v_lshrrev_b32_e32 v11, 16, v0
.LBB323_79:
	s_or_b64 exec, exec, s[6:7]
	v_mov_b32_e32 v0, 0
	v_mov_b32_e32 v1, 0
	s_and_saveexec_b64 s[0:1], s[2:3]
	s_cbranch_execz .LBB323_81
; %bb.80:
	v_mov_b32_e32 v13, 0
	v_lshl_add_u64 v[22:23], v[6:7], 0, v[12:13]
	global_load_ushort v1, v[22:23], off offset:32
	v_lshl_add_u64 v[12:13], v[4:5], 0, v[12:13]
	s_waitcnt vmcnt(0)
	v_lshlrev_b32_e32 v1, 16, v1
	v_sub_f32_e32 v1, v1, v2
	global_store_short_d16_hi v[12:13], v1, off offset:32
	v_mul_f32_e32 v1, v20, v1
	v_lshrrev_b32_e32 v1, 16, v1
.LBB323_81:
	s_or_b64 exec, exec, s[0:1]
	s_and_saveexec_b64 s[0:1], s[4:5]
	s_cbranch_execz .LBB323_83
; %bb.82:
	v_mov_b32_e32 v15, 0
	v_lshl_add_u64 v[6:7], v[6:7], 0, v[14:15]
	global_load_ushort v0, v[6:7], off offset:32
	v_lshl_add_u64 v[4:5], v[4:5], 0, v[14:15]
	s_waitcnt vmcnt(0)
	v_lshlrev_b32_e32 v0, 16, v0
	v_sub_f32_e32 v0, v0, v3
	global_store_short_d16_hi v[4:5], v0, off offset:32
	v_mul_f32_e32 v0, v17, v0
	v_lshrrev_b32_e32 v0, 16, v0
.LBB323_83:
	s_or_b64 exec, exec, s[0:1]
	s_mov_b32 s0, 0x5040100
	v_or_b32_e32 v2, v21, v19
	v_perm_b32 v1, v0, v1, s0
	v_perm_b32 v0, v11, v9, s0
	v_lshlrev_b32_e32 v2, 1, v2
	ds_write_b64 v2, v[0:1] offset:45056
	s_waitcnt lgkmcnt(0)
	s_barrier
.LBB323_84:
	s_endpgm
	.section	.rodata,"a",@progbits
	.p2align	6, 0x0
	.amdhsa_kernel _ZN12_GLOBAL__N_139chunk_gated_delta_rule_fwd_h_hip_kernelILi32ELb1ELb0ELb1ELb1ELb0ELb1ELb1ELb1EEEvPK12hip_bfloat16S3_S3_PKfS5_PKvPS1_S8_PvPKiSB_iiiiilll
		.amdhsa_group_segment_fixed_size 49152
		.amdhsa_private_segment_fixed_size 0
		.amdhsa_kernarg_size 136
		.amdhsa_user_sgpr_count 2
		.amdhsa_user_sgpr_dispatch_ptr 0
		.amdhsa_user_sgpr_queue_ptr 0
		.amdhsa_user_sgpr_kernarg_segment_ptr 1
		.amdhsa_user_sgpr_dispatch_id 0
		.amdhsa_user_sgpr_kernarg_preload_length 0
		.amdhsa_user_sgpr_kernarg_preload_offset 0
		.amdhsa_user_sgpr_private_segment_size 0
		.amdhsa_uses_dynamic_stack 0
		.amdhsa_enable_private_segment 0
		.amdhsa_system_sgpr_workgroup_id_x 1
		.amdhsa_system_sgpr_workgroup_id_y 1
		.amdhsa_system_sgpr_workgroup_id_z 0
		.amdhsa_system_sgpr_workgroup_info 0
		.amdhsa_system_vgpr_workitem_id 0
		.amdhsa_next_free_vgpr 168
		.amdhsa_next_free_sgpr 64
		.amdhsa_accum_offset 144
		.amdhsa_reserve_vcc 1
		.amdhsa_float_round_mode_32 0
		.amdhsa_float_round_mode_16_64 0
		.amdhsa_float_denorm_mode_32 3
		.amdhsa_float_denorm_mode_16_64 3
		.amdhsa_dx10_clamp 1
		.amdhsa_ieee_mode 1
		.amdhsa_fp16_overflow 0
		.amdhsa_tg_split 0
		.amdhsa_exception_fp_ieee_invalid_op 0
		.amdhsa_exception_fp_denorm_src 0
		.amdhsa_exception_fp_ieee_div_zero 0
		.amdhsa_exception_fp_ieee_overflow 0
		.amdhsa_exception_fp_ieee_underflow 0
		.amdhsa_exception_fp_ieee_inexact 0
		.amdhsa_exception_int_div_zero 0
	.end_amdhsa_kernel
	.section	.text._ZN12_GLOBAL__N_139chunk_gated_delta_rule_fwd_h_hip_kernelILi32ELb1ELb0ELb1ELb1ELb0ELb1ELb1ELb1EEEvPK12hip_bfloat16S3_S3_PKfS5_PKvPS1_S8_PvPKiSB_iiiiilll,"axG",@progbits,_ZN12_GLOBAL__N_139chunk_gated_delta_rule_fwd_h_hip_kernelILi32ELb1ELb0ELb1ELb1ELb0ELb1ELb1ELb1EEEvPK12hip_bfloat16S3_S3_PKfS5_PKvPS1_S8_PvPKiSB_iiiiilll,comdat
.Lfunc_end323:
	.size	_ZN12_GLOBAL__N_139chunk_gated_delta_rule_fwd_h_hip_kernelILi32ELb1ELb0ELb1ELb1ELb0ELb1ELb1ELb1EEEvPK12hip_bfloat16S3_S3_PKfS5_PKvPS1_S8_PvPKiSB_iiiiilll, .Lfunc_end323-_ZN12_GLOBAL__N_139chunk_gated_delta_rule_fwd_h_hip_kernelILi32ELb1ELb0ELb1ELb1ELb0ELb1ELb1ELb1EEEvPK12hip_bfloat16S3_S3_PKfS5_PKvPS1_S8_PvPKiSB_iiiiilll
                                        ; -- End function
	.section	.AMDGPU.csdata,"",@progbits
; Kernel info:
; codeLenInByte = 8932
; NumSgprs: 70
; NumVgprs: 142
; NumAgprs: 24
; TotalNumVgprs: 168
; ScratchSize: 0
; MemoryBound: 0
; FloatMode: 240
; IeeeMode: 1
; LDSByteSize: 49152 bytes/workgroup (compile time only)
; SGPRBlocks: 8
; VGPRBlocks: 20
; NumSGPRsForWavesPerEU: 70
; NumVGPRsForWavesPerEU: 168
; AccumOffset: 144
; Occupancy: 1
; WaveLimiterHint : 1
; COMPUTE_PGM_RSRC2:SCRATCH_EN: 0
; COMPUTE_PGM_RSRC2:USER_SGPR: 2
; COMPUTE_PGM_RSRC2:TRAP_HANDLER: 0
; COMPUTE_PGM_RSRC2:TGID_X_EN: 1
; COMPUTE_PGM_RSRC2:TGID_Y_EN: 1
; COMPUTE_PGM_RSRC2:TGID_Z_EN: 0
; COMPUTE_PGM_RSRC2:TIDIG_COMP_CNT: 0
; COMPUTE_PGM_RSRC3_GFX90A:ACCUM_OFFSET: 35
; COMPUTE_PGM_RSRC3_GFX90A:TG_SPLIT: 0
	.section	.text._ZN12_GLOBAL__N_139chunk_gated_delta_rule_fwd_h_hip_kernelILi32ELb1ELb0ELb0ELb1ELb0ELb1ELb1ELb1EEEvPK12hip_bfloat16S3_S3_PKfS5_PKvPS1_S8_PvPKiSB_iiiiilll,"axG",@progbits,_ZN12_GLOBAL__N_139chunk_gated_delta_rule_fwd_h_hip_kernelILi32ELb1ELb0ELb0ELb1ELb0ELb1ELb1ELb1EEEvPK12hip_bfloat16S3_S3_PKfS5_PKvPS1_S8_PvPKiSB_iiiiilll,comdat
	.globl	_ZN12_GLOBAL__N_139chunk_gated_delta_rule_fwd_h_hip_kernelILi32ELb1ELb0ELb0ELb1ELb0ELb1ELb1ELb1EEEvPK12hip_bfloat16S3_S3_PKfS5_PKvPS1_S8_PvPKiSB_iiiiilll ; -- Begin function _ZN12_GLOBAL__N_139chunk_gated_delta_rule_fwd_h_hip_kernelILi32ELb1ELb0ELb0ELb1ELb0ELb1ELb1ELb1EEEvPK12hip_bfloat16S3_S3_PKfS5_PKvPS1_S8_PvPKiSB_iiiiilll
	.p2align	8
	.type	_ZN12_GLOBAL__N_139chunk_gated_delta_rule_fwd_h_hip_kernelILi32ELb1ELb0ELb0ELb1ELb0ELb1ELb1ELb1EEEvPK12hip_bfloat16S3_S3_PKfS5_PKvPS1_S8_PvPKiSB_iiiiilll,@function
_ZN12_GLOBAL__N_139chunk_gated_delta_rule_fwd_h_hip_kernelILi32ELb1ELb0ELb0ELb1ELb0ELb1ELb1ELb1EEEvPK12hip_bfloat16S3_S3_PKfS5_PKvPS1_S8_PvPKiSB_iiiiilll: ; @_ZN12_GLOBAL__N_139chunk_gated_delta_rule_fwd_h_hip_kernelILi32ELb1ELb0ELb0ELb1ELb0ELb1ELb1ELb1EEEvPK12hip_bfloat16S3_S3_PKfS5_PKvPS1_S8_PvPKiSB_iiiiilll
; %bb.0:
	s_load_dwordx4 s[12:15], s[0:1], 0x5c
	s_load_dwordx4 s[20:23], s[0:1], 0x70
	s_abs_i32 s9, s3
	s_ashr_i32 s8, s3, 31
	s_load_dwordx4 s[4:7], s[0:1], 0x48
	s_waitcnt lgkmcnt(0)
	s_abs_i32 s10, s13
	v_cvt_f32_u32_e32 v1, s10
	s_sub_i32 s16, 0, s10
	s_ashr_i32 s11, s13, 31
	s_xor_b32 s8, s8, s11
	v_rcp_iflag_f32_e32 v1, v1
	v_and_b32_e32 v64, 15, v0
	v_lshrrev_b32_e32 v62, 6, v0
	v_bfe_u32 v63, v0, 4, 2
	v_mul_f32_e32 v1, 0x4f7ffffe, v1
	v_cvt_u32_f32_e32 v1, v1
	v_mov_b32_e32 v7, 0
	v_and_b32_e32 v45, 63, v0
	v_lshlrev_b32_e32 v65, 3, v0
	v_readfirstlane_b32 s17, v1
	s_mul_i32 s16, s16, s17
	s_mul_hi_u32 s16, s17, s16
	s_add_i32 s17, s17, s16
	s_mul_hi_u32 s16, s9, s17
	s_mul_i32 s17, s16, s10
	s_sub_i32 s9, s9, s17
	s_add_i32 s18, s16, 1
	s_sub_i32 s17, s9, s10
	s_cmp_ge_u32 s9, s10
	s_cselect_b32 s16, s18, s16
	s_cselect_b32 s9, s17, s9
	s_add_i32 s17, s16, 1
	s_cmp_ge_u32 s9, s10
	s_cselect_b32 s9, s17, s16
	s_load_dwordx4 s[16:19], s[0:1], 0x28
	s_xor_b32 s9, s9, s8
	s_sub_i32 s24, s9, s8
	s_mul_i32 s28, s24, s13
	s_ashr_i32 s25, s24, 31
	s_sub_i32 s47, s3, s28
	s_lshl_b64 s[8:9], s[24:25], 2
	s_add_u32 s4, s4, s8
	s_addc_u32 s5, s5, s9
	s_add_u32 s26, s6, s8
	s_addc_u32 s27, s7, s9
	s_abs_i32 s3, s14
	v_cvt_f32_u32_e32 v1, s3
	s_load_dwordx2 s[30:31], s[4:5], 0x0
	s_lshl_b32 s38, s2, 5
	s_ashr_i32 s2, s14, 31
	v_rcp_iflag_f32_e32 v1, v1
	s_xor_b32 s2, s11, s2
	s_waitcnt lgkmcnt(0)
	s_sub_i32 s50, s31, s30
	s_ashr_i32 s4, s50, 31
	v_mul_f32_e32 v1, 0x4f7ffffe, v1
	v_cvt_u32_f32_e32 v1, v1
	s_lshr_b32 s4, s4, 26
	s_add_i32 s4, s50, s4
	s_ashr_i32 s48, s4, 6
	s_sub_i32 s4, 0, s3
	v_readfirstlane_b32 s5, v1
	s_mul_i32 s4, s4, s5
	s_mul_hi_u32 s4, s5, s4
	s_add_i32 s5, s5, s4
	s_mul_hi_u32 s4, s10, s5
	s_mul_i32 s5, s4, s3
	s_sub_i32 s5, s10, s5
	s_add_i32 s6, s4, 1
	s_sub_i32 s7, s5, s3
	s_cmp_ge_u32 s5, s3
	s_cselect_b32 s4, s6, s4
	s_cselect_b32 s5, s7, s5
	s_add_i32 s6, s4, 1
	s_cmp_ge_u32 s5, s3
	s_cselect_b32 s3, s6, s4
	s_xor_b32 s3, s3, s2
	s_sub_i32 s2, s3, s2
	s_abs_i32 s3, s2
	v_cvt_f32_u32_e32 v1, s3
	s_sub_i32 s5, 0, s3
	s_abs_i32 s4, s47
	s_xor_b32 s2, s47, s2
	v_rcp_iflag_f32_e32 v1, v1
	s_ashr_i32 s2, s2, 31
	v_or_b32_e32 v46, s38, v64
	v_lshlrev_b32_e32 v2, 7, v46
	v_mul_f32_e32 v1, 0x4f7ffffe, v1
	v_cvt_u32_f32_e32 v1, v1
	v_ashrrev_i32_e32 v3, 31, v2
	v_lshrrev_b32_e32 v66, 3, v45
	s_mul_i32 s33, s24, s21
	v_readfirstlane_b32 s6, v1
	s_mul_i32 s5, s5, s6
	s_mul_hi_u32 s5, s6, s5
	s_add_i32 s6, s6, s5
	s_mul_hi_u32 s5, s4, s6
	s_mul_i32 s6, s5, s3
	s_sub_i32 s4, s4, s6
	s_add_i32 s6, s5, 1
	s_sub_i32 s7, s4, s3
	s_cmp_ge_u32 s4, s3
	s_cselect_b32 s5, s6, s5
	s_cselect_b32 s4, s7, s4
	s_add_i32 s6, s5, 1
	s_cmp_ge_u32 s4, s3
	s_cselect_b32 s3, s6, s5
	s_xor_b32 s3, s3, s2
	s_sub_i32 s51, s3, s2
	s_ashr_i32 s49, s47, 31
	s_mul_hi_i32 s3, s24, s13
	s_add_u32 s2, s28, s47
	s_addc_u32 s3, s3, s49
	s_lshl_b64 s[2:3], s[2:3], 15
	s_add_u32 s2, s16, s2
	s_addc_u32 s3, s17, s3
	v_lshlrev_b32_e32 v1, 4, v62
	v_lshl_add_u64 v[4:5], v[2:3], 1, s[2:3]
	v_or_b32_e32 v2, 0x800, v2
	v_lshl_or_b32 v67, v63, 2, v1
	v_ashrrev_i32_e32 v3, 31, v2
	v_lshlrev_b32_e32 v6, 1, v67
	v_lshl_add_u64 v[2:3], v[2:3], 1, s[2:3]
	v_lshl_add_u64 v[4:5], v[4:5], 0, v[6:7]
	;; [unrolled: 1-line block ×3, first 2 shown]
	global_load_dwordx2 v[8:9], v[4:5], off
	v_or_b32_e32 v68, 64, v67
	global_load_dwordx2 v[4:5], v[4:5], off offset:128
	s_nop 0
	global_load_dwordx2 v[6:7], v[2:3], off
	global_load_dwordx2 v[10:11], v[2:3], off offset:128
	s_load_dwordx8 s[4:11], s[0:1], 0x0
	s_load_dwordx2 s[28:29], s[0:1], 0x80
	s_load_dword s54, s[26:27], 0x0
	s_mul_hi_u32 s42, s24, s20
	s_mul_i32 s34, s24, s20
	s_mul_i32 s43, s25, s20
	s_mul_hi_i32 s52, s47, s12
	s_mul_i32 s53, s47, s12
	s_mul_i32 s44, s47, s23
	s_mul_hi_u32 s45, s47, s22
	s_mul_i32 s46, s49, s22
	s_cmp_lt_i32 s50, 64
	s_mul_i32 s36, s47, s22
	s_waitcnt vmcnt(3)
	v_and_b32_e32 v51, 0xffff0000, v8
	v_lshlrev_b32_e32 v50, 16, v8
	v_and_b32_e32 v55, 0xffff0000, v9
	v_lshlrev_b32_e32 v54, 16, v9
	s_waitcnt vmcnt(2)
	v_and_b32_e32 v49, 0xffff0000, v4
	v_lshlrev_b32_e32 v48, 16, v4
	v_and_b32_e32 v53, 0xffff0000, v5
	v_lshlrev_b32_e32 v52, 16, v5
	;; [unrolled: 5-line block ×4, first 2 shown]
	s_cbranch_scc1 .LBB324_3
; %bb.1:
	s_ashr_i32 s3, s30, 31
	s_add_u32 s2, s53, s30
	s_addc_u32 s3, s52, s3
	s_lshl_b64 s[2:3], s[2:3], 8
	v_and_b32_e32 v76, 56, v65
	s_waitcnt lgkmcnt(0)
	s_add_u32 s20, s6, s2
	v_lshl_or_b32 v75, v62, 3, v66
	v_lshlrev_b32_e32 v2, 1, v76
	s_addc_u32 s2, s7, s3
	v_lshl_or_b32 v78, v75, 8, v2
	s_and_b32 s21, s2, 0xffff
	s_mov_b32 s23, 0x20000
	s_movk_i32 s22, 0x4000
	s_movk_i32 s2, 0x80
	v_or_b32_e32 v79, 0x2000, v78
	buffer_load_dwordx4 v[4:7], v78, s[20:23], 0 offen
	buffer_load_dwordx4 v[8:11], v78, s[20:23], s2 offen
	;; [unrolled: 1-line block ×4, first 2 shown]
	v_lshlrev_b32_e32 v3, 3, v75
	v_and_or_b32 v21, v0, 7, v3
	v_and_b32_e32 v3, 0x78, v3
	v_lshlrev_b32_e32 v21, 4, v21
	v_xor_b32_e32 v81, v21, v3
	v_mul_lo_u32 v20, v75, s15
	v_or_b32_e32 v82, 0x1000, v81
	v_xor_b32_e32 v3, 8, v81
	s_cmpk_eq_i32 s15, 0x80
	s_mov_b32 s55, s30
	v_xor_b32_e32 v21, 8, v82
	s_cselect_b64 s[2:3], -1, 0
	s_cmpk_lg_i32 s15, 0x80
	s_waitcnt vmcnt(3)
	ds_write_b64 v81, v[4:5] offset:24576
	ds_write_b64 v3, v[6:7] offset:24576
	s_waitcnt vmcnt(2)
	ds_write_b64 v81, v[8:9] offset:32768
	ds_write_b64 v3, v[10:11] offset:32768
	;; [unrolled: 3-line block ×4, first 2 shown]
	v_lshl_add_u32 v3, v20, 1, v76
	s_cbranch_scc0 .LBB324_29
; %bb.2:
	v_lshlrev_b32_e32 v5, 1, v3
	v_add_lshl_u32 v4, v3, s15, 1
	s_lshl_b32 s22, s15, 7
	s_load_dwordx2 s[16:17], s[0:1], 0x20
	v_lshl_or_b32 v2, v75, 9, v2
	s_cbranch_execz .LBB324_30
	s_branch .LBB324_31
.LBB324_3:
	v_mov_b32_e32 v9, v77
	v_mov_b32_e32 v5, v80
.LBB324_4:
	s_lshl_b32 s26, s48, 6
	s_sub_i32 s27, s50, s26
	s_cmp_gt_i32 s27, 0
	s_cbranch_scc0 .LBB324_84
; %bb.5:
	s_add_i32 s26, s26, s30
	s_ashr_i32 s2, s26, 31
	s_cmpk_lg_i32 s15, 0x80
	s_cselect_b64 s[22:23], -1, 0
	s_and_b64 vcc, exec, s[22:23]
	s_cbranch_vccz .LBB324_7
; %bb.6:
	s_mul_i32 s1, s26, s14
	s_ashr_i32 s3, s51, 31
	s_mul_hi_i32 s0, s26, s14
	s_add_u32 s24, s1, s51
	s_addc_u32 s25, s0, s3
	s_cbranch_execz .LBB324_8
	s_branch .LBB324_9
.LBB324_7:
                                        ; implicit-def: $sgpr24_sgpr25
.LBB324_8:
	s_mul_i32 s1, s51, s12
	s_mul_hi_i32 s0, s51, s12
	s_add_u32 s24, s1, s26
	s_addc_u32 s25, s0, s2
.LBB324_9:
	s_waitcnt lgkmcnt(0)
	s_add_i32 s3, s48, s54
	s_add_u32 s0, s53, s26
	v_lshlrev_b32_e32 v8, 5, v67
	v_lshlrev_b32_e32 v22, 2, v64
	s_addc_u32 s1, s52, s2
	s_mov_b32 s2, 0x7060302
	v_or_b32_e32 v11, v8, v22
	v_xor_b32_e32 v4, v67, v22
	v_perm_b32 v3, v55, v54, s2
	v_perm_b32 v2, v51, v50, s2
	;; [unrolled: 1-line block ×4, first 2 shown]
	v_lshlrev_b32_e32 v11, 1, v11
	s_lshl_b64 s[20:21], s[0:1], 8
	v_xor_b32_e32 v10, v68, v22
	ds_write2st64_b64 v11, v[2:3], v[6:7] offset0:80 offset1:88
	v_lshlrev_b32_e32 v11, 1, v4
	v_lshlrev_b32_e32 v4, 8, v64
	s_add_u32 s0, s6, s20
	v_or_b32_e32 v12, v11, v4
	v_lshlrev_b32_e32 v10, 1, v10
	s_addc_u32 s1, s7, s21
	ds_write_b64 v12, v[2:3]
	v_or_b32_e32 v2, v10, v4
	s_mul_hi_i32 s6, s3, s13
	s_mul_i32 s3, s3, s13
	ds_write_b64 v2, v[6:7]
	v_perm_b32 v3, v5, v73, s2
	v_perm_b32 v2, v69, v71, s2
	;; [unrolled: 1-line block ×4, first 2 shown]
	v_or_b32_e32 v6, 16, v64
	s_add_u32 s2, s3, s47
	v_lshlrev_b32_e32 v19, 2, v6
	s_addc_u32 s3, s6, s49
	v_or_b32_e32 v7, v8, v19
	s_ashr_i32 s39, s38, 31
	s_lshl_b64 s[2:3], s[2:3], 15
	v_lshlrev_b32_e32 v7, 1, v7
	v_lshlrev_b32_e32 v6, 8, v6
	s_add_u32 s6, s18, s2
	ds_write2st64_b64 v7, v[2:3], v[4:5] offset0:80 offset1:88
	v_or_b32_e32 v7, v11, v6
	s_addc_u32 s7, s19, s3
	s_lshl_b64 s[2:3], s[38:39], 8
	ds_write_b64 v7, v[2:3]
	v_or_b32_e32 v2, v10, v6
	s_add_u32 s2, s6, s2
	ds_write_b64 v2, v[4:5]
	v_lshrrev_b32_e32 v2, 4, v0
	s_addc_u32 s3, s7, s3
	v_lshlrev_b32_e32 v3, 1, v64
	v_lshlrev_b32_e32 v10, 4, v64
	v_mov_b32_e32 v11, 0
	v_or_b32_e32 v4, 1, v3
	v_xor_b32_e32 v3, v2, v3
	v_lshl_add_u64 v[12:13], s[2:3], 0, v[10:11]
	v_lshlrev_b32_e32 v10, 8, v2
	v_xor_b32_e32 v6, v4, v2
	v_lshl_or_b32 v2, v3, 3, v10
	s_waitcnt lgkmcnt(0)
	s_barrier
	ds_read2st64_b64 v[2:5], v2 offset1:8
	v_lshl_or_b32 v6, v6, 3, v10
	ds_read2st64_b64 v[6:9], v6 offset1:8
	v_lshl_add_u64 v[14:15], v[12:13], 0, v[10:11]
	s_movk_i32 s2, 0x1000
	s_waitcnt lgkmcnt(1)
	v_mov_b32_e32 v10, v2
	v_add_co_u32_e32 v2, vcc, s2, v14
	s_cmp_lg_u32 s27, 64
	v_mov_b32_e32 v11, v3
	v_addc_co_u32_e32 v3, vcc, 0, v15, vcc
	s_cselect_b64 s[6:7], -1, 0
	v_lshl_or_b32 v23, v62, 3, v66
	s_waitcnt lgkmcnt(0)
	v_mov_b32_e32 v12, v6
	v_mov_b32_e32 v13, v7
	;; [unrolled: 1-line block ×4, first 2 shown]
	s_mov_b32 s16, 0
	v_or_b32_e32 v20, 32, v23
	v_and_b32_e32 v18, 56, v65
	s_and_b64 vcc, exec, s[6:7]
	global_store_dwordx4 v[14:15], v[10:13], off
	global_store_dwordx4 v[2:3], v[6:9], off
	s_cbranch_vccz .LBB324_15
; %bb.10:
	s_mov_b32 s17, s16
	s_mov_b32 s18, s16
	s_mov_b32 s19, s16
	v_mov_b64_e32 v[6:7], s[16:17]
	v_mov_b64_e32 v[8:9], s[18:19]
	v_mov_b64_e32 v[2:3], v[6:7]
	v_cmp_gt_i32_e32 vcc, s27, v23
	v_mov_b64_e32 v[4:5], v[8:9]
	s_and_saveexec_b64 s[2:3], vcc
	s_cbranch_execz .LBB324_12
; %bb.11:
	v_lshlrev_b32_e32 v2, 8, v23
	v_mov_b32_e32 v3, 0
	v_lshl_add_u64 v[4:5], s[0:1], 0, v[2:3]
	v_lshlrev_b32_e32 v2, 1, v18
	v_lshl_add_u64 v[10:11], v[4:5], 0, v[2:3]
	global_load_dwordx4 v[6:9], v[10:11], off
	global_load_dwordx4 v[2:5], v[10:11], off offset:128
.LBB324_12:
	s_or_b64 exec, exec, s[2:3]
	s_mov_b32 s17, s16
	s_mov_b32 s18, s16
	s_mov_b32 s19, s16
	v_mov_b64_e32 v[14:15], s[16:17]
	v_mov_b64_e32 v[16:17], s[18:19]
	;; [unrolled: 1-line block ×3, first 2 shown]
	v_cmp_gt_i32_e32 vcc, s27, v20
	v_lshlrev_b32_e32 v21, 7, v20
	v_mov_b64_e32 v[12:13], v[16:17]
	s_and_saveexec_b64 s[2:3], vcc
	s_cbranch_execz .LBB324_14
; %bb.13:
	v_lshlrev_b32_e32 v10, 1, v21
	v_mov_b32_e32 v11, 0
	v_lshl_add_u64 v[12:13], s[0:1], 0, v[10:11]
	v_lshlrev_b32_e32 v10, 1, v18
	v_lshl_add_u64 v[24:25], v[12:13], 0, v[10:11]
	global_load_dwordx4 v[14:17], v[24:25], off
	global_load_dwordx4 v[10:13], v[24:25], off offset:128
.LBB324_14:
	s_or_b64 exec, exec, s[2:3]
	v_lshrrev_b32_e32 v24, 3, v18
	v_lshlrev_b32_e32 v25, 3, v23
	v_or_b32_e32 v24, v25, v24
	v_lshlrev_b32_e32 v24, 4, v24
	v_and_b32_e32 v25, 0x78, v25
	v_xor_b32_e32 v24, v24, v25
	s_branch .LBB324_17
.LBB324_15:
                                        ; implicit-def: $vgpr24
                                        ; implicit-def: $vgpr21
                                        ; implicit-def: $vgpr6_vgpr7_vgpr8_vgpr9
                                        ; implicit-def: $vgpr2_vgpr3_vgpr4_vgpr5
                                        ; implicit-def: $vgpr14_vgpr15_vgpr16_vgpr17
                                        ; implicit-def: $vgpr10_vgpr11_vgpr12_vgpr13
	s_cbranch_execz .LBB324_17
; %bb.16:
	s_waitcnt vmcnt(0)
	v_lshlrev_b32_e32 v2, 1, v18
	v_lshl_or_b32 v21, v23, 8, v2
	s_and_b32 s1, s1, 0xffff
	s_mov_b32 s3, 0x20000
	s_movk_i32 s2, 0x4000
	v_lshl_or_b32 v24, v20, 8, v2
	s_movk_i32 s12, 0x80
	buffer_load_dwordx4 v[6:9], v21, s[0:3], 0 offen
	buffer_load_dwordx4 v[2:5], v21, s[0:3], s12 offen
	;; [unrolled: 1-line block ×4, first 2 shown]
	v_lshrrev_b32_e32 v21, 3, v18
	v_lshlrev_b32_e32 v24, 3, v23
	v_or_b32_e32 v21, v24, v21
	v_lshlrev_b32_e32 v21, 4, v21
	v_and_b32_e32 v24, 0x78, v24
	v_xor_b32_e32 v24, v21, v24
	v_lshlrev_b32_e32 v21, 7, v20
.LBB324_17:
	s_lshl_b64 s[0:1], s[24:25], 8
	s_add_u32 s4, s4, s0
	s_movk_i32 s0, 0x1000
	v_and_or_b32 v20, v21, s0, v24
	s_waitcnt vmcnt(1)
	ds_write_b64 v24, v[6:7] offset:24576
	v_xor_b32_e32 v6, 8, v24
	ds_write_b64 v6, v[8:9] offset:24576
	s_waitcnt vmcnt(0)
	ds_write_b64 v24, v[2:3] offset:32768
	ds_write_b64 v6, v[4:5] offset:32768
	;; [unrolled: 1-line block ×3, first 2 shown]
	v_xor_b32_e32 v2, 8, v20
	ds_write_b64 v2, v[16:17] offset:24576
	ds_write_b64 v20, v[10:11] offset:32768
	;; [unrolled: 1-line block ×3, first 2 shown]
	v_or_b32_e32 v2, v1, v64
	v_lshlrev_b32_e32 v3, 11, v62
	v_lshlrev_b32_e32 v2, 3, v2
	v_and_b32_e32 v6, 0x1000, v3
	v_lshrrev_b32_e32 v3, 5, v45
	s_movk_i32 s3, 0xf8
	v_and_or_b32 v3, v2, s3, v3
	v_lshlrev_b32_e32 v7, 4, v3
	v_and_b32_e32 v8, 0x78, v2
	v_or_b32_e32 v10, 32, v7
	v_lshrrev_b32_e32 v3, 1, v45
	v_xor_b32_e32 v10, v10, v8
	v_xor_b32_e32 v2, v7, v8
	v_and_b32_e32 v9, 8, v3
	v_or_b32_e32 v10, v10, v6
	v_or_b32_e32 v2, v2, v6
	v_xor_b32_e32 v26, v10, v9
	v_or_b32_e32 v10, 64, v7
	v_xor_b32_e32 v25, v2, v9
	v_xor_b32_e32 v10, v10, v8
	s_waitcnt lgkmcnt(0)
	s_barrier
	v_or_b32_e32 v12, v10, v6
	ds_read_b64 v[10:11], v25 offset:24576
	v_lshl_or_b32 v20, v63, 7, v22
	v_lshlrev_b32_e32 v24, 1, v20
	v_add_u32_e32 v2, 0xa000, v24
	ds_read2_b64 v[2:5], v2 offset1:16
	v_or_b32_e32 v7, 0x60, v7
	v_xor_b32_e32 v7, v7, v8
	s_waitcnt lgkmcnt(0)
	v_mfma_f32_16x16x16_bf16 a[0:3], v[10:11], v[2:3], 0
	v_or_b32_e32 v2, 64, v20
	v_or_b32_e32 v6, v7, v6
	v_lshlrev_b32_e32 v29, 1, v2
	v_xor_b32_e32 v27, v12, v9
	v_xor_b32_e32 v28, v6, v9
	ds_read_b64 v[12:13], v26 offset:24576
	ds_read_b64 v[14:15], v27 offset:24576
	;; [unrolled: 1-line block ×3, first 2 shown]
	v_mfma_f32_16x16x16_bf16 a[4:7], v[10:11], v[4:5], 0
	ds_read2st64_b64 v[2:5], v29 offset0:82 offset1:84
	ds_read2st64_b64 v[6:9], v24 offset0:82 offset1:84
	s_addc_u32 s5, s5, s1
	s_add_i32 s1, s42, s33
	s_add_i32 s0, s31, -1
	s_add_i32 s35, s1, s43
	s_add_i32 s1, s45, s44
	;; [unrolled: 1-line block ×3, first 2 shown]
	s_ashr_i32 s1, s0, 31
	s_mul_i32 s2, s0, s29
	s_mul_hi_u32 s3, s0, s28
	s_add_i32 s2, s3, s2
	s_mul_i32 s1, s1, s28
	s_waitcnt lgkmcnt(1)
	v_mfma_f32_16x16x16_bf16 a[4:7], v[12:13], v[2:3], a[4:7]
	s_add_i32 s1, s2, s1
	s_lshl_b64 s[2:3], s[34:35], 2
	s_add_u32 s10, s10, s2
	s_waitcnt lgkmcnt(0)
	v_mfma_f32_16x16x16_bf16 a[0:3], v[12:13], v[6:7], a[0:3]
	s_addc_u32 s11, s11, s3
	s_lshl_b64 s[2:3], s[36:37], 2
	s_mul_i32 s0, s0, s28
	s_add_u32 s10, s10, s2
	ds_read_b64 v[2:3], v24 offset:44032
	v_mfma_f32_16x16x16_bf16 a[4:7], v[14:15], v[4:5], a[4:7]
	ds_read_b64 v[4:5], v29 offset:44032
	s_addc_u32 s11, s11, s3
	s_lshl_b64 s[0:1], s[0:1], 2
	v_mfma_f32_16x16x16_bf16 a[0:3], v[14:15], v[8:9], a[0:3]
	s_add_u32 s0, s10, s0
	s_addc_u32 s1, s11, s1
	s_load_dword s12, s[0:1], 0x0
	s_waitcnt lgkmcnt(0)
	v_mfma_f32_16x16x16_bf16 a[0:3], v[16:17], v[2:3], a[0:3]
	s_and_b64 vcc, exec, s[22:23]
	v_mfma_f32_16x16x16_bf16 a[4:7], v[16:17], v[4:5], a[4:7]
	s_cbranch_vccz .LBB324_28
; %bb.18:
	v_lshlrev_b32_e32 v20, 1, v23
	s_and_b64 vcc, exec, s[6:7]
	s_cbranch_vccz .LBB324_44
; %bb.19:
	v_cmp_gt_i32_e32 vcc, s27, v20
	v_mov_b32_e32 v6, 0
	v_mov_b32_e32 v2, 0
	v_mov_b32_e32 v3, 0
	v_mov_b32_e32 v4, 0
	v_mov_b32_e32 v5, 0
	s_and_saveexec_b64 s[0:1], vcc
	s_cbranch_execz .LBB324_21
; %bb.20:
	v_mad_i64_i32 v[2:3], s[2:3], s15, v20, 0
	v_lshl_add_u64 v[2:3], v[2:3], 1, s[4:5]
	v_lshlrev_b32_e32 v4, 1, v18
	v_mov_b32_e32 v5, 0
	v_lshl_add_u64 v[2:3], v[2:3], 0, v[4:5]
	global_load_dwordx4 v[2:5], v[2:3], off
.LBB324_21:
	s_or_b64 exec, exec, s[0:1]
	v_or_b32_e32 v21, 1, v20
	v_cmp_gt_i32_e64 s[0:1], s27, v21
	v_mov_b32_e32 v7, 0
	v_mov_b32_e32 v8, 0
	;; [unrolled: 1-line block ×3, first 2 shown]
	s_and_saveexec_b64 s[2:3], s[0:1]
	s_cbranch_execz .LBB324_23
; %bb.22:
	v_mad_i64_i32 v[6:7], s[16:17], s15, v21, 0
	v_lshl_add_u64 v[6:7], v[6:7], 1, s[4:5]
	v_lshlrev_b32_e32 v8, 1, v18
	v_mov_b32_e32 v9, 0
	v_lshl_add_u64 v[6:7], v[6:7], 0, v[8:9]
	global_load_dwordx4 v[6:9], v[6:7], off
.LBB324_23:
	s_or_b64 exec, exec, s[2:3]
	v_mov_b32_e32 v17, 0
	v_mov_b32_e32 v10, 0
	;; [unrolled: 1-line block ×5, first 2 shown]
	s_and_saveexec_b64 s[2:3], vcc
	s_cbranch_execz .LBB324_25
; %bb.24:
	v_mad_i64_i32 v[10:11], s[16:17], s15, v20, 0
	v_lshl_add_u64 v[10:11], v[10:11], 1, s[4:5]
	v_lshlrev_b32_e32 v12, 1, v18
	v_mov_b32_e32 v13, 0
	v_lshl_add_u64 v[10:11], v[10:11], 0, v[12:13]
	global_load_dwordx4 v[10:13], v[10:11], off offset:128
.LBB324_25:
	s_or_b64 exec, exec, s[2:3]
	v_mov_b32_e32 v16, 0
	v_mov_b32_e32 v15, 0
	;; [unrolled: 1-line block ×3, first 2 shown]
	s_and_saveexec_b64 s[2:3], s[0:1]
	s_cbranch_execz .LBB324_27
; %bb.26:
	v_mad_i64_i32 v[14:15], s[0:1], s15, v21, 0
	v_lshl_add_u64 v[14:15], v[14:15], 1, s[4:5]
	v_lshlrev_b32_e32 v16, 1, v18
	v_mov_b32_e32 v17, 0
	v_lshl_add_u64 v[14:15], v[14:15], 0, v[16:17]
	global_load_dwordx4 v[14:17], v[14:15], off offset:128
.LBB324_27:
	s_or_b64 exec, exec, s[2:3]
	s_branch .LBB324_46
.LBB324_28:
                                        ; implicit-def: $vgpr5
                                        ; implicit-def: $vgpr9
                                        ; implicit-def: $vgpr13
                                        ; implicit-def: $vgpr17
	v_lshrrev_b32_e32 v30, 2, v45
	s_branch .LBB324_47
.LBB324_29:
                                        ; implicit-def: $vgpr4
                                        ; implicit-def: $vgpr5
                                        ; implicit-def: $sgpr22
	s_load_dwordx2 s[16:17], s[0:1], 0x20
	v_lshl_or_b32 v2, v75, 9, v2
.LBB324_30:
	v_or_b32_e32 v4, 0x100, v2
	s_movk_i32 s22, 0x4000
	v_mov_b32_e32 v5, v2
.LBB324_31:
	s_mul_i32 s0, s30, s14
	s_ashr_i32 s56, s51, 31
	s_mul_hi_i32 s1, s30, s14
	s_add_u32 s0, s0, s51
	s_addc_u32 s1, s1, s56
	s_lshl_b64 s[0:1], s[0:1], 8
	s_add_u32 s20, s4, s0
	s_addc_u32 s0, s5, s1
	s_and_b32 s21, s0, 0xffff
	s_movk_i32 s57, 0x80
	buffer_load_dwordx4 v[6:9], v5, s[20:23], 0 offen
	buffer_load_dwordx4 v[10:13], v5, s[20:23], s57 offen
	;; [unrolled: 1-line block ×4, first 2 shown]
	v_and_b32_e32 v4, 6, v0
	v_lshlrev_b32_e32 v23, 6, v67
	v_or_b32_e32 v25, 16, v64
	v_xor_b32_e32 v26, v75, v4
	v_and_b32_e32 v5, 1, v0
	v_lshl_or_b32 v29, v64, 3, v23
	v_lshl_or_b32 v23, v25, 3, v23
	v_lshlrev_b32_e32 v26, 2, v26
	v_lshlrev_b32_e32 v22, 2, v64
	v_or_b32_e32 v85, 0xa000, v23
	v_or_b32_e32 v86, 0xb000, v23
	v_xor_b32_e32 v23, 0x440, v26
	v_cmp_eq_u32_e32 vcc, 0, v5
	s_add_i32 s0, s42, s33
	v_xor_b32_e32 v27, v67, v22
	v_xor_b32_e32 v28, v68, v22
	v_cndmask_b32_e32 v5, v23, v26, vcc
	s_add_i32 s1, s45, s44
	s_add_i32 s35, s0, s43
	s_mov_b32 s58, 0x1000504
	v_lshlrev_b32_e32 v24, 8, v64
	v_lshlrev_b32_e32 v25, 8, v25
	;; [unrolled: 1-line block ×4, first 2 shown]
	v_lshl_or_b32 v4, v4, 10, v5
	s_add_i32 s37, s1, s46
	s_lshl_b64 s[0:1], s[34:35], 2
	s_mov_b32 s59, 0x3020706
	v_or_b32_e32 v83, 0xa000, v29
	v_or_b32_e32 v84, 0xb000, v29
	;; [unrolled: 1-line block ×5, first 2 shown]
	v_xor_b32_e32 v5, 8, v4
	v_xor_b32_e32 v24, 24, v4
	;; [unrolled: 1-line block ×4, first 2 shown]
	s_add_u32 s20, s10, s0
	v_or_b32_e32 v89, v25, v27
	v_xor_b32_e32 v23, 16, v4
	v_xor_b32_e32 v25, 32, v4
	;; [unrolled: 1-line block ×3, first 2 shown]
	v_add_u32_e32 v5, 0x80, v5
	v_add_u32_e32 v24, 0x80, v24
	;; [unrolled: 1-line block ×4, first 2 shown]
	s_addc_u32 s21, s11, s1
	s_lshl_b64 s[0:1], s[36:37], 2
	s_add_u32 s40, s20, s0
	s_movk_i32 s0, 0xf8
	s_addc_u32 s41, s21, s1
	s_ashr_i32 s39, s38, 31
	s_lshl_b32 s26, s15, 7
	s_movk_i32 s20, 0x100
	v_mov_b32_e32 v57, 0
	v_lshlrev_b32_e32 v56, 4, v64
	v_cmp_gt_u32_e32 vcc, s20, v0
	v_ashrrev_i32_e32 v47, 31, v46
	s_mov_b32 s60, 0
	s_movk_i32 s35, 0x1000
	s_movk_i32 s22, 0x4000
	v_lshl_add_u64 v[58:59], v[46:47], 1, s[8:9]
	s_mov_b32 s37, 0x7060302
	v_mov_b32_e32 v113, 0x3fb8aa3b
	s_waitcnt vmcnt(1)
	v_perm_b32 v29, v6, v14, s58
	s_waitcnt vmcnt(0)
	v_perm_b32 v30, v10, v18, s58
	v_perm_b32 v6, v6, v14, s59
	;; [unrolled: 1-line block ×15, first 2 shown]
	ds_write2st64_b32 v4, v29, v30 offset0:32 offset1:64
	ds_write2st64_b32 v5, v6, v10 offset0:32 offset1:64
	;; [unrolled: 1-line block ×8, first 2 shown]
	v_or_b32_e32 v4, v1, v64
	v_lshlrev_b32_e32 v4, 3, v4
	v_lshrrev_b32_e32 v7, 5, v45
	v_and_or_b32 v7, v4, s0, v7
	v_lshlrev_b32_e32 v7, 4, v7
	v_lshlrev_b32_e32 v9, 11, v62
	v_and_b32_e32 v4, 0x78, v4
	v_or_b32_e32 v12, 32, v7
	v_and_b32_e32 v6, 0x1000, v9
	v_lshrrev_b32_e32 v10, 1, v45
	v_xor_b32_e32 v12, v12, v4
	v_xor_b32_e32 v8, v7, v4
	v_and_b32_e32 v10, 8, v10
	v_or_b32_e32 v12, v12, v6
	v_or_b32_e32 v8, v8, v6
	v_lshlrev_b32_e32 v11, 7, v63
	v_xor_b32_e32 v93, v12, v10
	v_or_b32_e32 v12, 64, v7
	v_or_b32_e32 v7, 0x60, v7
	v_xor_b32_e32 v91, v8, v10
	v_or_b32_e32 v8, v11, v22
	v_xor_b32_e32 v12, v12, v4
	v_xor_b32_e32 v4, v7, v4
	s_lshl_b64 s[0:1], s[38:39], 8
	v_lshlrev_b32_e32 v8, 1, v8
	v_or_b32_e32 v12, v12, v6
	v_or_b32_e32 v4, v4, v6
	s_add_u32 s0, s18, s0
	v_lshlrev_b32_e32 v6, 1, v64
	v_or_b32_e32 v92, 0xa000, v8
	v_or_b32_e32 v94, 0xa080, v8
	v_or_b32_e32 v97, 0xb000, v8
	v_or_b32_e32 v98, 0xb080, v8
	v_lshrrev_b32_e32 v8, 4, v0
	s_addc_u32 s1, s19, s1
	v_or_b32_e32 v7, 1, v6
	v_mov_b32_e32 v17, 0x4000
	v_mov_b32_e32 v18, 0x2000
	v_lshrrev_b32_e32 v19, 1, v0
	v_xor_b32_e32 v95, v12, v10
	v_xor_b32_e32 v96, v4, v10
	;; [unrolled: 1-line block ×4, first 2 shown]
	v_lshl_add_u64 v[6:7], s[0:1], 0, v[56:57]
	v_lshlrev_b32_e32 v56, 8, v8
	v_cndmask_b32_e32 v17, v17, v18, vcc
	v_lshlrev_b32_e32 v18, 3, v62
	v_and_b32_e32 v19, 24, v19
	v_lshl_or_b32 v99, v10, 3, v56
	v_and_b32_e32 v10, 8, v0
	v_xor_b32_e32 v20, v18, v19
	v_or_b32_e32 v21, 0x440, v20
	v_cmp_eq_u32_e32 vcc, 0, v10
	v_and_b32_e32 v8, 7, v0
	v_lshl_or_b32 v100, v14, 3, v56
	v_cndmask_b32_e32 v10, v21, v20, vcc
	v_lshlrev_b32_e32 v14, 3, v8
	v_lshlrev_b32_e32 v16, 2, v0
	v_or_b32_e32 v10, v10, v9
	v_xor_b32_e32 v20, v10, v14
	v_and_or_b32 v10, v16, 60, v11
	v_mov_b32_e32 v11, 0xb000
	v_lshl_or_b32 v101, v10, 1, v11
	v_or_b32_e32 v10, 32, v19
	v_xor_b32_e32 v10, v18, v10
	v_or_b32_e32 v11, 0x440, v10
	v_cndmask_b32_e32 v10, v11, v10, vcc
	v_or_b32_e32 v10, v10, v9
	v_xor_b32_e32 v11, v10, v14
	v_or_b32_e32 v10, 64, v19
	v_xor_b32_e32 v10, v18, v10
	v_xor_b32_e32 v22, 0x440, v10
	v_cndmask_b32_e32 v10, v22, v10, vcc
	v_or_b32_e32 v10, v10, v9
	v_xor_b32_e32 v22, v10, v14
	v_or_b32_e32 v10, 0x60, v19
	v_xor_b32_e32 v10, v18, v10
	v_xor_b32_e32 v18, 0x440, v10
	v_cndmask_b32_e32 v10, v18, v10, vcc
	v_lshrrev_b32_e32 v5, 2, v45
	v_or_b32_e32 v9, v10, v9
	v_and_b32_e32 v5, 12, v5
	v_xor_b32_e32 v9, v9, v14
	v_lshlrev_b32_e32 v4, 7, v67
	v_lshlrev_b32_e32 v12, 1, v3
	v_add_lshl_u32 v3, v3, s15, 1
	v_or_b32_e32 v13, 0x100, v2
	v_lshlrev_b32_e32 v15, 7, v8
	v_or_b32_e32 v8, v5, v1
	v_add_u32_e32 v21, v17, v20
	v_add_u32_e32 v16, v17, v11
	;; [unrolled: 1-line block ×4, first 2 shown]
	v_or3_b32 v10, v1, v5, 64
	v_add_u32_e32 v5, 0x4000, v20
	v_add_u32_e32 v11, 0x4000, v11
	;; [unrolled: 1-line block ×4, first 2 shown]
	v_cndmask_b32_e64 v102, v12, v2, s[2:3]
	v_cndmask_b32_e64 v103, v3, v13, s[2:3]
	v_lshl_add_u64 v[60:61], v[6:7], 0, v[56:57]
	v_lshlrev_b32_e32 v56, 1, v4
	v_lshlrev_b32_e32 v47, 2, v8
	v_add_u32_e32 v104, v21, v15
	v_add_u32_e32 v105, v16, v15
	;; [unrolled: 1-line block ×4, first 2 shown]
	v_lshlrev_b32_e32 v108, 2, v10
	v_add_u32_e32 v109, v5, v15
	v_add_u32_e32 v110, v11, v15
	v_add_u32_e32 v111, v17, v15
	v_add_u32_e32 v112, v9, v15
	s_waitcnt lgkmcnt(0)
	s_barrier
.LBB324_32:                             ; =>This Inner Loop Header: Depth=1
	s_add_i32 s39, s60, 1
	s_cmp_lt_i32 s39, s48
	s_mov_b64 s[24:25], 0
	s_cselect_b64 s[2:3], -1, 0
	s_cmp_ge_i32 s39, s48
	s_mov_b64 s[20:21], 0
	s_cbranch_scc1 .LBB324_34
; %bb.33:                               ;   in Loop: Header=BB324_32 Depth=1
	s_add_i32 s0, s55, 64
	s_ashr_i32 s1, s0, 31
	s_add_u32 s0, s53, s0
	s_addc_u32 s1, s52, s1
	s_lshl_b64 s[0:1], s[0:1], 8
	s_add_u32 s20, s6, s0
	s_addc_u32 s21, s7, s1
.LBB324_34:                             ;   in Loop: Header=BB324_32 Depth=1
	v_cndmask_b32_e64 v2, 0, 1, s[2:3]
	v_cmp_ne_u32_e64 s[0:1], 1, v2
	s_andn2_b64 vcc, exec, s[2:3]
	s_cbranch_vccnz .LBB324_36
; %bb.35:                               ;   in Loop: Header=BB324_32 Depth=1
	s_add_i32 s2, s55, 64
	s_mul_hi_i32 s3, s2, s14
	s_mul_i32 s2, s2, s14
	s_add_u32 s2, s2, s51
	s_addc_u32 s3, s3, s56
	s_lshl_b64 s[2:3], s[2:3], 8
	s_add_u32 s24, s4, s2
	s_addc_u32 s25, s5, s3
.LBB324_36:                             ;   in Loop: Header=BB324_32 Depth=1
	v_perm_b32 v3, v55, v54, s37
	v_perm_b32 v2, v51, v50, s37
	;; [unrolled: 1-line block ×4, first 2 shown]
	ds_write_b64 v83, v[2:3]
	ds_write_b64 v84, v[4:5]
	;; [unrolled: 1-line block ×4, first 2 shown]
	v_perm_b32 v3, v80, v73, s37
	v_perm_b32 v2, v69, v71, s37
	;; [unrolled: 1-line block ×4, first 2 shown]
	ds_write_b64 v85, v[2:3]
	ds_write_b64 v86, v[4:5]
	;; [unrolled: 1-line block ×4, first 2 shown]
	s_waitcnt lgkmcnt(0)
	s_barrier
	ds_read_b64 v[6:7], v91 offset:24576
	ds_read2_b64 v[2:5], v92 offset1:16
	ds_read_b64 v[10:11], v94 offset:3072
	ds_read_b64 v[12:13], v92 offset:3072
	;; [unrolled: 1-line block ×3, first 2 shown]
	s_waitcnt lgkmcnt(3)
	v_mfma_f32_16x16x16_bf16 a[0:3], v[6:7], v[2:3], 0
	s_add_i32 s61, s55, 63
	s_ashr_i32 s2, s61, 31
	s_mul_i32 s3, s61, s29
	v_mfma_f32_16x16x16_bf16 a[4:7], v[6:7], v[4:5], 0
	ds_read2st64_b64 v[2:5], v92 offset0:2 offset1:4
	s_mul_hi_u32 s27, s61, s28
	s_add_i32 s3, s27, s3
	s_waitcnt lgkmcnt(0)
	v_mfma_f32_16x16x16_bf16 a[0:3], v[14:15], v[2:3], a[0:3]
	ds_read2st64_b64 v[6:9], v94 offset0:2 offset1:4
	ds_read_b64 v[2:3], v95 offset:24576
	s_mul_i32 s2, s2, s28
	s_add_i32 s3, s3, s2
	s_waitcnt lgkmcnt(1)
	v_mfma_f32_16x16x16_bf16 a[4:7], v[14:15], v[6:7], a[4:7]
	ds_read_b64 v[6:7], v96 offset:24576
	s_mul_i32 s2, s61, s28
	s_lshl_b64 s[2:3], s[2:3], 2
	s_waitcnt lgkmcnt(1)
	v_mfma_f32_16x16x16_bf16 a[0:3], v[2:3], v[4:5], a[0:3]
	s_add_u32 s2, s40, s2
	s_addc_u32 s3, s41, s3
	s_and_b64 vcc, exec, s[0:1]
	v_mfma_f32_16x16x16_bf16 a[4:7], v[2:3], v[8:9], a[4:7]
	v_mov_b32_e32 v116, 0
	v_mov_b32_e32 v115, 0
	;; [unrolled: 1-line block ×3, first 2 shown]
	s_waitcnt lgkmcnt(0)
	v_mfma_f32_16x16x16_bf16 a[0:3], v[6:7], v[12:13], a[0:3]
	v_mov_b32_e32 v2, 0
	v_mov_b32_e32 v3, 0
	;; [unrolled: 1-line block ×3, first 2 shown]
	v_mfma_f32_16x16x16_bf16 a[4:7], v[6:7], v[10:11], a[4:7]
	v_mov_b32_e32 v5, 0
	v_mov_b32_e32 v6, 0
	;; [unrolled: 1-line block ×13, first 2 shown]
	s_cbranch_vccnz .LBB324_38
; %bb.37:                               ;   in Loop: Header=BB324_32 Depth=1
	s_and_b32 s21, s21, 0xffff
	buffer_load_dwordx4 v[14:17], v78, s[20:23], 0 offen
	buffer_load_dwordx4 v[10:13], v78, s[20:23], s57 offen
	;; [unrolled: 1-line block ×4, first 2 shown]
	v_mov_b32_e32 v115, v81
	v_mov_b32_e32 v114, v82
.LBB324_38:                             ;   in Loop: Header=BB324_32 Depth=1
	ds_read_b64 v[22:23], v91 offset:32768
	ds_read2_b64 v[18:21], v97 offset1:16
	ds_read_b64 v[26:27], v93 offset:32768
	ds_read_b64 v[28:29], v95 offset:32768
	;; [unrolled: 1-line block ×3, first 2 shown]
	v_add_u32_e32 v32, s55, v67
	s_waitcnt lgkmcnt(3)
	v_mfma_f32_16x16x16_bf16 a[0:3], v[22:23], v[18:19], a[0:3]
	v_mul_lo_u32 v33, v32, s29
	v_mov_b32_e32 v117, 0
	v_mfma_f32_16x16x16_bf16 a[4:7], v[22:23], v[20:21], a[4:7]
	ds_read2st64_b64 v[18:21], v97 offset0:2 offset1:4
	ds_read2st64_b64 v[22:25], v98 offset0:2 offset1:4
	s_waitcnt lgkmcnt(1)
	v_mfma_f32_16x16x16_bf16 a[0:3], v[26:27], v[18:19], a[0:3]
	v_ashrrev_i32_e32 v18, 31, v32
	v_mul_lo_u32 v34, v18, s28
	v_mad_u64_u32 v[18:19], s[20:21], v32, s28, 0
	v_mfma_f32_16x16x16_bf16 a[0:3], v[28:29], v[20:21], a[0:3]
	v_add_u32_e32 v20, 1, v32
	v_ashrrev_i32_e32 v21, 31, v20
	v_add3_u32 v19, v19, v33, v34
	s_waitcnt lgkmcnt(0)
	v_mfma_f32_16x16x16_bf16 a[4:7], v[26:27], v[22:23], a[4:7]
	v_mul_lo_u32 v22, v21, s28
	v_mul_lo_u32 v23, v20, s29
	v_mad_u64_u32 v[20:21], s[20:21], v20, s28, 0
	v_add3_u32 v21, v21, v23, v22
	v_add_u32_e32 v22, 2, v32
	v_ashrrev_i32_e32 v23, 31, v22
	v_mul_lo_u32 v26, v23, s28
	v_mul_lo_u32 v27, v22, s29
	v_mad_u64_u32 v[22:23], s[20:21], v22, s28, 0
	v_add3_u32 v23, v23, v27, v26
	v_add_u32_e32 v26, 3, v32
	v_ashrrev_i32_e32 v27, 31, v26
	v_mul_lo_u32 v32, v27, s28
	v_mul_lo_u32 v33, v26, s29
	v_mad_u64_u32 v[26:27], s[20:21], v26, s28, 0
	v_add3_u32 v27, v27, v33, v32
	s_ashr_i32 s21, s55, 31
	v_lshl_add_u64 v[18:19], v[18:19], 2, s[40:41]
	v_lshl_add_u64 v[26:27], v[26:27], 2, s[40:41]
	s_add_u32 s20, s53, s55
	v_lshl_add_u64 v[20:21], v[20:21], 2, s[40:41]
	v_lshl_add_u64 v[22:23], v[22:23], 2, s[40:41]
	global_load_dword v32, v[18:19], off
	global_load_dword v33, v[20:21], off
	;; [unrolled: 1-line block ×3, first 2 shown]
	s_nop 0
	global_load_dword v26, v[26:27], off
	s_addc_u32 s21, s52, s21
	s_lshl_b64 s[20:21], s[20:21], 8
	v_lshl_add_u64 v[18:19], v[58:59], 0, s[20:21]
	v_lshl_add_u64 v[18:19], v[18:19], 0, v[56:57]
	global_load_ushort v27, v[18:19], off offset:256
	global_load_ushort v35, v[18:19], off
	global_load_ushort v36, v[18:19], off offset:768
	global_load_ushort v37, v[18:19], off offset:512
	ds_read_b64 v[20:21], v97 offset:3072
	ds_read_b64 v[22:23], v98 offset:3072
	global_load_ushort v38, v[18:19], off offset:800
	global_load_ushort v39, v[18:19], off offset:544
	global_load_ushort v40, v[18:19], off offset:288
	global_load_ushort v41, v[18:19], off offset:32
	s_load_dword s2, s[2:3], 0x0
	v_mfma_f32_16x16x16_bf16 a[4:7], v[28:29], v[24:25], a[4:7]
	s_and_b64 vcc, exec, s[0:1]
	s_waitcnt vmcnt(11) lgkmcnt(0)
	v_sub_f32_e32 v24, s2, v32
	v_mfma_f32_16x16x16_bf16 a[0:3], v[30:31], v[20:21], a[0:3]
	s_waitcnt vmcnt(10)
	v_sub_f32_e32 v29, s2, v33
	v_mul_f32_e32 v28, 0x3fb8aa3b, v24
	v_mul_f32_e32 v29, 0x3fb8aa3b, v29
	v_mfma_f32_16x16x16_bf16 a[4:7], v[30:31], v[22:23], a[4:7]
	s_waitcnt vmcnt(9)
	v_sub_f32_e32 v30, s2, v34
	s_waitcnt vmcnt(8)
	v_sub_f32_e32 v31, s2, v26
	v_mul_f32_e32 v30, 0x3fb8aa3b, v30
	v_mul_f32_e32 v31, 0x3fb8aa3b, v31
	v_exp_f32_e32 v28, v28
	v_exp_f32_e32 v29, v29
	;; [unrolled: 1-line block ×4, first 2 shown]
	v_accvgpr_read_b32 v23, a1
	v_accvgpr_read_b32 v19, a3
	;; [unrolled: 1-line block ×4, first 2 shown]
	s_waitcnt vmcnt(7)
	v_lshlrev_b32_e32 v25, 16, v27
	s_waitcnt vmcnt(6)
	v_lshlrev_b32_e32 v24, 16, v35
	;; [unrolled: 2-line block ×4, first 2 shown]
	v_pk_add_f32 v[22:23], v[24:25], v[22:23] neg_lo:[0,1] neg_hi:[0,1]
	v_pk_add_f32 v[18:19], v[26:27], v[18:19] neg_lo:[0,1] neg_hi:[0,1]
	v_pk_mul_f32 v[22:23], v[28:29], v[22:23]
	v_pk_mul_f32 v[18:19], v[30:31], v[18:19]
	v_accvgpr_read_b32 v25, a5
	v_perm_b32 v19, v19, v18, s37
	v_perm_b32 v18, v23, v22, s37
	s_waitcnt vmcnt(1)
	v_lshlrev_b32_e32 v23, 16, v40
	s_waitcnt vmcnt(0)
	v_lshlrev_b32_e32 v22, 16, v41
	v_accvgpr_read_b32 v24, a4
	v_accvgpr_read_b32 v21, a7
	;; [unrolled: 1-line block ×3, first 2 shown]
	v_pk_add_f32 v[22:23], v[22:23], v[24:25] neg_lo:[0,1] neg_hi:[0,1]
	v_lshlrev_b32_e32 v25, 16, v38
	v_lshlrev_b32_e32 v24, 16, v39
	v_pk_add_f32 v[20:21], v[24:25], v[20:21] neg_lo:[0,1] neg_hi:[0,1]
	v_pk_mul_f32 v[22:23], v[28:29], v[22:23]
	v_pk_mul_f32 v[20:21], v[30:31], v[20:21]
	v_mov_b32_e32 v24, 0
	v_perm_b32 v21, v21, v20, s37
	v_perm_b32 v20, v23, v22, s37
	ds_write2_b64 v84, v[18:19], v[20:21] offset1:16
	v_mov_b32_e32 v18, 0
	v_mov_b32_e32 v19, 0
	;; [unrolled: 1-line block ×15, first 2 shown]
	s_cbranch_vccnz .LBB324_40
; %bb.39:                               ;   in Loop: Header=BB324_32 Depth=1
	s_and_b32 s25, s25, 0xffff
	s_mov_b32 s27, s23
	buffer_load_dwordx4 v[30:33], v102, s[24:27], 0 offen
	buffer_load_dwordx4 v[22:25], v102, s[24:27], s57 offen
	;; [unrolled: 1-line block ×4, first 2 shown]
	v_mov_b32_e32 v116, v76
	v_mov_b32_e32 v117, v75
.LBB324_40:                             ;   in Loop: Header=BB324_32 Depth=1
	s_waitcnt lgkmcnt(0)
	s_barrier
	ds_read_b64 v[38:39], v104
	ds_read_b64 v[122:123], v101
	;; [unrolled: 1-line block ×5, first 2 shown]
	ds_read_b64 v[136:137], v98 offset:3072
	ds_read2_b64 v[34:37], v97 offset0:16 offset1:128
	s_waitcnt lgkmcnt(5)
	v_mfma_f32_16x16x16_bf16 a[0:3], v[38:39], v[122:123], 0
	ds_read2st64_b64 v[40:43], v98 offset0:2 offset1:4
	s_add_i32 s3, s54, s60
	s_mul_hi_i32 s21, s3, s13
	s_waitcnt lgkmcnt(1)
	v_mfma_f32_16x16x16_bf16 a[4:7], v[38:39], v[34:35], 0
	ds_read_b64 v[38:39], v109
	s_mul_i32 s3, s3, s13
	s_add_u32 s20, s3, s47
	s_waitcnt lgkmcnt(1)
	v_mfma_f32_16x16x16_bf16 a[4:7], v[124:125], v[40:41], a[4:7]
	s_addc_u32 s21, s21, s49
	s_lshl_b64 s[20:21], s[20:21], 15
	s_mul_i32 s24, s61, s13
	s_mul_hi_i32 s3, s61, s13
	s_add_u32 s24, s24, s47
	v_mfma_f32_16x16x16_bf16 a[8:11], v[126:127], v[42:43], a[4:7]
	s_addc_u32 s25, s3, s49
	ds_read2st64_b64 v[118:121], v97 offset0:4 offset1:6
	s_lshl_b64 s[24:25], s[24:25], 9
	s_waitcnt lgkmcnt(1)
	v_mfma_f32_16x16x16_bf16 a[4:7], v[38:39], v[122:123], 0
	s_add_u32 s24, s16, s24
	s_addc_u32 s25, s17, s25
	v_mfma_f32_16x16x16_bf16 a[0:3], v[124:125], v[36:37], a[0:3]
	ds_read_b64 v[124:125], v110
	ds_read_b64 v[132:133], v111
	;; [unrolled: 1-line block ×3, first 2 shown]
	v_mfma_f32_16x16x16_bf16 a[12:15], v[38:39], v[34:35], 0
	s_waitcnt lgkmcnt(2)
	v_mfma_f32_16x16x16_bf16 a[4:7], v[124:125], v[36:37], a[4:7]
	global_load_dwordx4 v[34:37], v108, s[24:25]
	v_mfma_f32_16x16x16_bf16 a[12:15], v[124:125], v[40:41], a[12:15]
	global_load_dwordx4 v[38:41], v47, s[24:25]
	ds_read2st64_b64 v[122:125], v99 offset1:8
	s_waitcnt lgkmcnt(0)
	v_mov_b32_e32 v130, v122
	v_mfma_f32_16x16x16_bf16 a[0:3], v[126:127], v[118:119], a[0:3]
	ds_read2st64_b64 v[126:129], v100 offset1:8
	v_mov_b32_e32 v131, v123
	v_mfma_f32_16x16x16_bf16 a[16:19], v[132:133], v[118:119], a[4:7]
	v_lshl_add_u64 v[118:119], v[60:61], 0, s[20:21]
	v_mfma_f32_16x16x16_bf16 a[20:23], v[132:133], v[42:43], a[12:15]
	v_add_co_u32_e32 v42, vcc, s35, v118
	s_waitcnt lgkmcnt(0)
	v_mov_b32_e32 v132, v126
	v_mfma_f32_16x16x16_bf16 a[4:7], v[134:135], v[120:121], a[0:3]
	v_mov_b32_e32 v133, v127
	v_mov_b32_e32 v126, v124
	;; [unrolled: 1-line block ×3, first 2 shown]
	v_mfma_f32_16x16x16_bf16 a[8:11], v[134:135], v[136:137], a[8:11]
	v_addc_co_u32_e32 v43, vcc, 0, v119, vcc
	global_store_dwordx4 v[42:43], v[126:129], off
	v_mfma_f32_16x16x16_bf16 a[12:15], v[138:139], v[120:121], a[16:19]
	s_and_b64 vcc, exec, s[0:1]
	global_store_dwordx4 v[118:119], v[130:133], off
	s_waitcnt vmcnt(3)
	v_mov_b32_e32 v44, v37
	v_mfma_f32_16x16x16_bf16 a[0:3], v[138:139], v[136:137], a[20:23]
	v_mov_b32_e32 v43, v36
	v_mov_b32_e32 v42, v35
	s_cbranch_vccnz .LBB324_42
; %bb.41:                               ;   in Loop: Header=BB324_32 Depth=1
	v_lshrrev_b32_e32 v35, 3, v116
	v_and_b32_e32 v35, 6, v35
	v_xor_b32_e32 v36, v35, v117
	v_lshlrev_b32_e32 v36, 2, v36
	v_and_b32_e32 v37, 8, v116
	v_xor_b32_e32 v116, 0x440, v36
	v_cmp_eq_u32_e32 vcc, 0, v37
	v_perm_b32 v37, v22, v18, s58
	s_nop 0
	v_cndmask_b32_e32 v36, v116, v36, vcc
	v_lshl_or_b32 v35, v35, 10, v36
	v_perm_b32 v36, v30, v26, s58
	s_barrier
	ds_write2st64_b32 v35, v36, v37 offset0:32 offset1:64
	v_xor_b32_e32 v36, 8, v35
	v_perm_b32 v26, v30, v26, s59
	v_perm_b32 v18, v22, v18, s59
	v_add_u32_e32 v22, 0x80, v36
	ds_write2st64_b32 v22, v26, v18 offset0:32 offset1:64
	v_xor_b32_e32 v18, 16, v35
	v_perm_b32 v22, v31, v27, s58
	v_perm_b32 v26, v23, v19, s58
	ds_write2st64_b32 v18, v22, v26 offset0:33 offset1:65
	v_xor_b32_e32 v18, 24, v35
	v_perm_b32 v22, v31, v27, s59
	v_perm_b32 v19, v23, v19, s59
	v_add_u32_e32 v18, 0x80, v18
	ds_write2st64_b32 v18, v22, v19 offset0:33 offset1:65
	v_xor_b32_e32 v18, 32, v35
	v_perm_b32 v19, v32, v28, s58
	v_perm_b32 v22, v24, v20, s58
	ds_write2st64_b32 v18, v19, v22 offset0:34 offset1:66
	v_xor_b32_e32 v18, 40, v35
	v_perm_b32 v19, v32, v28, s59
	v_perm_b32 v20, v24, v20, s59
	v_add_u32_e32 v18, 0x80, v18
	ds_write2st64_b32 v18, v19, v20 offset0:34 offset1:66
	v_xor_b32_e32 v18, 48, v35
	v_perm_b32 v19, v33, v29, s58
	v_perm_b32 v20, v25, v21, s58
	ds_write2st64_b32 v18, v19, v20 offset0:35 offset1:67
	v_xor_b32_e32 v18, 56, v35
	v_perm_b32 v19, v33, v29, s59
	v_perm_b32 v20, v25, v21, s59
	v_add_u32_e32 v18, 0x80, v18
	ds_write2st64_b32 v18, v19, v20 offset0:35 offset1:67
	ds_write_b64 v115, v[14:15] offset:24576
	v_xor_b32_e32 v14, 8, v115
	ds_write_b64 v14, v[16:17] offset:24576
	ds_write_b64 v115, v[10:11] offset:32768
	ds_write_b64 v14, v[12:13] offset:32768
	ds_write_b64 v114, v[6:7] offset:24576
	v_xor_b32_e32 v6, 8, v114
	ds_write_b64 v6, v[8:9] offset:24576
	ds_write_b64 v114, v[2:3] offset:32768
	;; [unrolled: 1-line block ×3, first 2 shown]
.LBB324_42:                             ;   in Loop: Header=BB324_32 Depth=1
	v_mul_f32_e32 v6, s2, v113
	v_exp_f32_e32 v18, v6
	s_waitcnt vmcnt(2)
	v_mul_f32_e32 v6, 0x3fb8aa3b, v38
	v_exp_f32_e32 v20, v6
	v_mul_f32_e32 v6, 0x3fb8aa3b, v39
	v_exp_f32_e32 v21, v6
	;; [unrolled: 2-line block ×4, first 2 shown]
	v_accvgpr_read_b32 v13, a7
	v_accvgpr_read_b32 v11, a5
	;; [unrolled: 1-line block ×4, first 2 shown]
	v_pk_mul_f32 v[20:21], v[18:19], v[20:21] op_sel_hi:[0,1]
	v_accvgpr_read_b32 v4, a10
	v_pk_fma_f32 v[50:51], v[50:51], v[20:21], v[10:11]
	v_pk_mul_f32 v[10:11], v[18:19], v[22:23] op_sel_hi:[0,1]
	v_accvgpr_read_b32 v12, a6
	v_accvgpr_read_b32 v3, a9
	v_fma_f32 v73, v73, v10, v4
	v_mul_f32_e32 v4, 0x3fb8aa3b, v43
	v_pk_fma_f32 v[54:55], v[54:55], v[10:11], v[12:13]
	v_fma_f32 v71, v71, v20, v2
	v_fma_f32 v69, v69, v21, v3
	v_mul_f32_e32 v2, 0x3fb8aa3b, v34
	v_mul_f32_e32 v3, 0x3fb8aa3b, v42
	v_exp_f32_e32 v12, v4
	v_mul_f32_e32 v4, 0x3fb8aa3b, v44
	v_exp_f32_e32 v2, v2
	v_exp_f32_e32 v3, v3
	;; [unrolled: 1-line block ×3, first 2 shown]
	v_accvgpr_read_b32 v5, a11
	v_accvgpr_read_b32 v17, a15
	;; [unrolled: 1-line block ×9, first 2 shown]
	v_fmac_f32_e32 v5, v80, v11
	v_pk_mul_f32 v[2:3], v[18:19], v[2:3] op_sel_hi:[0,1]
	v_pk_mul_f32 v[10:11], v[18:19], v[12:13] op_sel_hi:[0,1]
	s_add_i32 s55, s55, 64
	v_pk_fma_f32 v[48:49], v[48:49], v[2:3], v[14:15]
	v_pk_fma_f32 v[52:53], v[52:53], v[10:11], v[16:17]
	v_fma_f32 v72, v72, v2, v6
	v_fma_f32 v70, v70, v3, v7
	;; [unrolled: 1-line block ×3, first 2 shown]
	s_cmp_eq_u32 s48, s39
	v_fmac_f32_e32 v9, v77, v11
	s_cbranch_scc1 .LBB324_4
; %bb.43:                               ;   in Loop: Header=BB324_32 Depth=1
	s_mov_b32 s60, s39
	v_mov_b32_e32 v80, v5
	v_mov_b32_e32 v77, v9
	s_branch .LBB324_32
.LBB324_44:
                                        ; implicit-def: $vgpr5
                                        ; implicit-def: $vgpr9
                                        ; implicit-def: $vgpr13
                                        ; implicit-def: $vgpr17
	s_cbranch_execz .LBB324_46
; %bb.45:
	s_waitcnt vmcnt(0)
	v_mad_u64_u32 v[2:3], s[0:1], v20, s15, v[18:19]
	v_lshlrev_b32_e32 v20, 1, v2
	s_lshl_b32 s2, s15, 7
	s_and_b32 s1, s5, 0xffff
	s_mov_b32 s3, 0x20000
	s_mov_b32 s0, s4
	v_add_lshl_u32 v21, v2, s15, 1
	s_movk_i32 s13, 0x80
	buffer_load_dwordx4 v[2:5], v20, s[0:3], 0 offen
	buffer_load_dwordx4 v[10:13], v20, s[0:3], s13 offen
	;; [unrolled: 1-line block ×4, first 2 shown]
.LBB324_46:
	v_lshrrev_b32_e32 v30, 2, v45
	s_cbranch_execnz .LBB324_59
.LBB324_47:
	s_and_b64 vcc, exec, s[6:7]
	s_cbranch_vccz .LBB324_57
; %bb.48:
	s_waitcnt vmcnt(0)
	v_lshlrev_b32_e32 v7, 1, v23
	v_cmp_gt_i32_e32 vcc, s27, v7
	v_mov_b32_e32 v6, 0
	v_lshlrev_b32_e32 v14, 9, v23
	v_mov_b32_e32 v2, 0
	v_mov_b32_e32 v3, 0
	;; [unrolled: 1-line block ×4, first 2 shown]
	s_and_saveexec_b64 s[0:1], vcc
	s_cbranch_execz .LBB324_50
; %bb.49:
	v_mov_b32_e32 v15, 0
	v_lshl_add_u64 v[2:3], s[4:5], 0, v[14:15]
	v_lshlrev_b32_e32 v4, 1, v18
	v_mov_b32_e32 v5, v15
	v_lshl_add_u64 v[2:3], v[2:3], 0, v[4:5]
	global_load_dwordx4 v[2:5], v[2:3], off
.LBB324_50:
	s_or_b64 exec, exec, s[0:1]
	v_or_b32_e32 v7, 1, v7
	v_cmp_gt_i32_e64 s[0:1], s27, v7
	v_lshlrev_b32_e32 v20, 8, v7
	v_mov_b32_e32 v7, 0
	v_mov_b32_e32 v8, 0
	;; [unrolled: 1-line block ×3, first 2 shown]
	s_and_saveexec_b64 s[2:3], s[0:1]
	s_cbranch_execz .LBB324_52
; %bb.51:
	v_mov_b32_e32 v21, 0
	v_lshl_add_u64 v[6:7], s[4:5], 0, v[20:21]
	v_lshlrev_b32_e32 v8, 1, v18
	v_mov_b32_e32 v9, v21
	v_lshl_add_u64 v[6:7], v[6:7], 0, v[8:9]
	global_load_dwordx4 v[6:9], v[6:7], off
.LBB324_52:
	s_or_b64 exec, exec, s[2:3]
	v_mov_b32_e32 v17, 0
	v_mov_b32_e32 v10, 0
	;; [unrolled: 1-line block ×5, first 2 shown]
	s_and_saveexec_b64 s[2:3], vcc
	s_cbranch_execz .LBB324_54
; %bb.53:
	v_mov_b32_e32 v15, 0
	v_lshl_add_u64 v[10:11], s[4:5], 0, v[14:15]
	v_lshlrev_b32_e32 v14, 1, v18
	v_lshl_add_u64 v[10:11], v[10:11], 0, v[14:15]
	global_load_dwordx4 v[10:13], v[10:11], off offset:128
.LBB324_54:
	s_or_b64 exec, exec, s[2:3]
	v_mov_b32_e32 v16, 0
	v_mov_b32_e32 v15, 0
	;; [unrolled: 1-line block ×3, first 2 shown]
	s_and_saveexec_b64 s[2:3], s[0:1]
	s_cbranch_execz .LBB324_56
; %bb.55:
	v_mov_b32_e32 v21, 0
	v_lshl_add_u64 v[14:15], s[4:5], 0, v[20:21]
	v_lshlrev_b32_e32 v20, 1, v18
	v_lshl_add_u64 v[14:15], v[14:15], 0, v[20:21]
	global_load_dwordx4 v[14:17], v[14:15], off offset:128
.LBB324_56:
	s_or_b64 exec, exec, s[2:3]
	s_branch .LBB324_59
.LBB324_57:
                                        ; implicit-def: $vgpr5
                                        ; implicit-def: $vgpr9
                                        ; implicit-def: $vgpr13
                                        ; implicit-def: $vgpr17
	s_cbranch_execz .LBB324_59
; %bb.58:
	s_waitcnt vmcnt(0)
	v_lshlrev_b32_e32 v2, 1, v18
	v_lshl_or_b32 v18, v23, 9, v2
	s_and_b32 s5, s5, 0xffff
	s_mov_b32 s7, 0x20000
	s_movk_i32 s6, 0x4000
	s_movk_i32 s0, 0x80
	buffer_load_dwordx4 v[2:5], v18, s[4:7], 0 offen
	buffer_load_dwordx4 v[6:9], v18, s[4:7], 0 offen offset:256
	buffer_load_dwordx4 v[10:13], v18, s[4:7], s0 offen
	buffer_load_dwordx4 v[14:17], v18, s[4:7], s0 offen offset:256
.LBB324_59:
	ds_read_b64 v[20:21], v25 offset:32768
	v_add_u32_e32 v18, 0xb000, v24
	ds_read2_b64 v[32:35], v18 offset1:16
	ds_read_b64 v[40:41], v26 offset:32768
	ds_read_b64 v[26:27], v27 offset:32768
	ds_read_b64 v[42:43], v28 offset:32768
	v_and_b32_e32 v18, 6, v0
	v_xor_b32_e32 v23, v23, v18
	v_lshlrev_b32_e32 v23, 2, v23
	v_and_b32_e32 v0, 1, v0
	v_xor_b32_e32 v28, 0x440, v23
	v_cmp_eq_u32_e32 vcc, 0, v0
	s_waitcnt lgkmcnt(3)
	v_mfma_f32_16x16x16_bf16 a[0:3], v[20:21], v[32:33], a[0:3]
	s_mov_b32 s0, 0x1000504
	v_cndmask_b32_e32 v0, v28, v23, vcc
	v_lshl_or_b32 v0, v18, 10, v0
	v_mfma_f32_16x16x16_bf16 a[4:7], v[20:21], v[34:35], a[4:7]
	ds_read2st64_b64 v[32:35], v24 offset0:90 offset1:92
	ds_read2st64_b64 v[36:39], v29 offset0:90 offset1:92
	ds_read_b64 v[20:21], v24 offset:48128
	ds_read_b64 v[24:25], v29 offset:48128
	s_waitcnt vmcnt(0)
	v_perm_b32 v18, v2, v6, s0
	s_waitcnt lgkmcnt(3)
	v_mfma_f32_16x16x16_bf16 a[0:3], v[40:41], v[32:33], a[0:3]
	s_mov_b32 s1, 0x3020706
	v_perm_b32 v2, v2, v6, s1
	v_perm_b32 v6, v10, v14, s1
	s_waitcnt lgkmcnt(2)
	v_mfma_f32_16x16x16_bf16 a[4:7], v[40:41], v[36:37], a[4:7]
	v_mfma_f32_16x16x16_bf16 a[0:3], v[26:27], v[34:35], a[0:3]
	;; [unrolled: 1-line block ×3, first 2 shown]
	s_waitcnt lgkmcnt(1)
	v_mfma_f32_16x16x16_bf16 a[4:7], v[42:43], v[20:21], a[0:3]
	v_perm_b32 v20, v10, v14, s0
	ds_write2st64_b32 v0, v18, v20 offset0:32 offset1:64
	v_xor_b32_e32 v18, 8, v0
	v_add_u32_e32 v10, 0x80, v18
	ds_write2st64_b32 v10, v2, v6 offset0:32 offset1:64
	v_xor_b32_e32 v2, 16, v0
	v_perm_b32 v6, v3, v7, s0
	v_perm_b32 v10, v11, v15, s0
	ds_write2st64_b32 v2, v6, v10 offset0:33 offset1:65
	v_xor_b32_e32 v2, 24, v0
	v_perm_b32 v3, v3, v7, s1
	v_perm_b32 v6, v11, v15, s1
	v_add_u32_e32 v2, 0x80, v2
	ds_write2st64_b32 v2, v3, v6 offset0:33 offset1:65
	v_xor_b32_e32 v2, 32, v0
	v_perm_b32 v3, v4, v8, s0
	v_perm_b32 v6, v12, v16, s0
	ds_write2st64_b32 v2, v3, v6 offset0:34 offset1:66
	v_xor_b32_e32 v2, 40, v0
	s_waitcnt lgkmcnt(5)
	v_mfma_f32_16x16x16_bf16 a[0:3], v[42:43], v[24:25], a[8:11]
	v_perm_b32 v3, v4, v8, s1
	v_perm_b32 v4, v12, v16, s1
	v_add_u32_e32 v2, 0x80, v2
	ds_write2st64_b32 v2, v3, v4 offset0:34 offset1:66
	v_xor_b32_e32 v2, 48, v0
	v_perm_b32 v3, v5, v9, s0
	v_perm_b32 v4, v13, v17, s0
	ds_write2st64_b32 v2, v3, v4 offset0:35 offset1:67
	v_xor_b32_e32 v0, 56, v0
	v_perm_b32 v3, v13, v17, s1
	v_and_or_b32 v17, v30, 12, v1
	v_perm_b32 v2, v5, v9, s1
	v_add_u32_e32 v0, 0x80, v0
	v_cmp_gt_i32_e32 vcc, s27, v17
	v_mov_b32_e32 v14, 0
	v_mov_b32_e32 v16, 0
	ds_write2st64_b32 v0, v2, v3 offset0:35 offset1:67
	s_and_saveexec_b64 s[0:1], vcc
	s_cbranch_execz .LBB324_61
; %bb.60:
	v_add_u32_e32 v0, s26, v17
	v_ashrrev_i32_e32 v1, 31, v0
	v_mul_lo_u32 v2, v1, s28
	v_mul_lo_u32 v3, v0, s29
	v_mad_u64_u32 v[0:1], s[2:3], v0, s28, 0
	v_add3_u32 v1, v1, v3, v2
	v_lshl_add_u64 v[0:1], v[0:1], 2, s[10:11]
	global_load_dword v0, v[0:1], off
	s_waitcnt vmcnt(0)
	v_sub_f32_e32 v0, s12, v0
	v_mul_f32_e32 v0, 0x3fb8aa3b, v0
	v_exp_f32_e32 v16, v0
.LBB324_61:
	s_or_b64 exec, exec, s[0:1]
	v_or_b32_e32 v8, 1, v17
	v_cmp_gt_i32_e64 s[0:1], s27, v8
	s_and_saveexec_b64 s[2:3], s[0:1]
	s_cbranch_execz .LBB324_63
; %bb.62:
	v_add_u32_e32 v0, s26, v8
	v_ashrrev_i32_e32 v1, 31, v0
	v_mul_lo_u32 v2, v1, s28
	v_mul_lo_u32 v3, v0, s29
	v_mad_u64_u32 v[0:1], s[4:5], v0, s28, 0
	v_add3_u32 v1, v1, v3, v2
	v_lshl_add_u64 v[0:1], v[0:1], 2, s[10:11]
	global_load_dword v0, v[0:1], off
	s_waitcnt vmcnt(0)
	v_sub_f32_e32 v0, s12, v0
	v_mul_f32_e32 v0, 0x3fb8aa3b, v0
	v_exp_f32_e32 v14, v0
.LBB324_63:
	s_or_b64 exec, exec, s[2:3]
	v_or_b32_e32 v10, 2, v17
	v_cmp_gt_i32_e64 s[2:3], s27, v10
	v_mov_b32_e32 v15, 0
	v_mov_b32_e32 v18, 0
	s_and_saveexec_b64 s[4:5], s[2:3]
	s_cbranch_execz .LBB324_65
; %bb.64:
	v_add_u32_e32 v0, s26, v10
	v_ashrrev_i32_e32 v1, 31, v0
	v_mul_lo_u32 v2, v1, s28
	v_mul_lo_u32 v3, v0, s29
	v_mad_u64_u32 v[0:1], s[6:7], v0, s28, 0
	v_add3_u32 v1, v1, v3, v2
	v_lshl_add_u64 v[0:1], v[0:1], 2, s[10:11]
	global_load_dword v0, v[0:1], off
	s_waitcnt vmcnt(0)
	v_sub_f32_e32 v0, s12, v0
	v_mul_f32_e32 v0, 0x3fb8aa3b, v0
	v_exp_f32_e32 v18, v0
.LBB324_65:
	s_or_b64 exec, exec, s[4:5]
	v_or_b32_e32 v12, 3, v17
	v_cmp_gt_i32_e64 s[4:5], s27, v12
	s_and_saveexec_b64 s[6:7], s[4:5]
	s_cbranch_execz .LBB324_67
; %bb.66:
	v_add_u32_e32 v0, s26, v12
	v_ashrrev_i32_e32 v1, 31, v0
	v_mul_lo_u32 v2, v1, s28
	v_mul_lo_u32 v3, v0, s29
	v_mad_u64_u32 v[0:1], s[14:15], v0, s28, 0
	v_add3_u32 v1, v1, v3, v2
	v_lshl_add_u64 v[0:1], v[0:1], 2, s[10:11]
	global_load_dword v0, v[0:1], off
	s_waitcnt vmcnt(0)
	v_sub_f32_e32 v0, s12, v0
	v_mul_f32_e32 v0, 0x3fb8aa3b, v0
	v_exp_f32_e32 v15, v0
.LBB324_67:
	s_or_b64 exec, exec, s[6:7]
	s_add_u32 s6, s8, s20
	v_accvgpr_read_b32 v0, a4
	s_addc_u32 s7, s9, s21
	v_ashrrev_i32_e32 v47, 31, v46
	v_accvgpr_read_b32 v1, a5
	v_accvgpr_read_b32 v2, a6
	;; [unrolled: 1-line block ×3, first 2 shown]
	v_lshl_add_u64 v[4:5], v[46:47], 1, s[6:7]
	v_mov_b32_e32 v9, 0
	v_lshlrev_b32_e32 v6, 8, v17
	v_mov_b32_e32 v7, 0
	s_and_saveexec_b64 s[6:7], vcc
	s_cbranch_execz .LBB324_69
; %bb.68:
	v_mov_b32_e32 v7, 0
	v_lshl_add_u64 v[20:21], v[4:5], 0, v[6:7]
	global_load_ushort v7, v[20:21], off
	s_waitcnt vmcnt(0)
	v_lshlrev_b32_e32 v7, 16, v7
	v_sub_f32_e32 v0, v7, v0
	v_mul_f32_e32 v0, v16, v0
	v_lshrrev_b32_e32 v7, 16, v0
.LBB324_69:
	s_or_b64 exec, exec, s[6:7]
	v_lshlrev_b32_e32 v8, 8, v8
	s_and_saveexec_b64 s[6:7], s[0:1]
	s_cbranch_execz .LBB324_71
; %bb.70:
	v_mov_b32_e32 v9, 0
	v_lshl_add_u64 v[20:21], v[4:5], 0, v[8:9]
	global_load_ushort v0, v[20:21], off
	s_waitcnt vmcnt(0)
	v_lshlrev_b32_e32 v0, 16, v0
	v_sub_f32_e32 v0, v0, v1
	v_mul_f32_e32 v0, v14, v0
	v_lshrrev_b32_e32 v9, 16, v0
.LBB324_71:
	s_or_b64 exec, exec, s[6:7]
	v_mov_b32_e32 v13, 0
	v_lshlrev_b32_e32 v10, 8, v10
	v_mov_b32_e32 v11, 0
	s_and_saveexec_b64 s[6:7], s[2:3]
	s_cbranch_execz .LBB324_73
; %bb.72:
	v_mov_b32_e32 v11, 0
	v_lshl_add_u64 v[0:1], v[4:5], 0, v[10:11]
	global_load_ushort v0, v[0:1], off
	s_waitcnt vmcnt(0)
	v_lshlrev_b32_e32 v0, 16, v0
	v_sub_f32_e32 v0, v0, v2
	v_mul_f32_e32 v0, v18, v0
	v_lshrrev_b32_e32 v11, 16, v0
.LBB324_73:
	s_or_b64 exec, exec, s[6:7]
	v_lshlrev_b32_e32 v12, 8, v12
	s_and_saveexec_b64 s[6:7], s[4:5]
	s_cbranch_execz .LBB324_75
; %bb.74:
	v_mov_b32_e32 v13, 0
	v_lshl_add_u64 v[0:1], v[4:5], 0, v[12:13]
	global_load_ushort v0, v[0:1], off
	s_waitcnt vmcnt(0)
	v_lshlrev_b32_e32 v0, 16, v0
	v_sub_f32_e32 v0, v0, v3
	v_mul_f32_e32 v0, v15, v0
	v_lshrrev_b32_e32 v13, 16, v0
.LBB324_75:
	s_or_b64 exec, exec, s[6:7]
	v_lshlrev_b32_e32 v17, 5, v17
	s_mov_b32 s6, 0x5040100
	v_perm_b32 v20, v9, v7, s6
	v_or_b32_e32 v7, v17, v22
	v_accvgpr_read_b32 v0, a0
	v_perm_b32 v21, v13, v11, s6
	v_lshlrev_b32_e32 v7, 1, v7
	v_accvgpr_read_b32 v1, a1
	v_accvgpr_read_b32 v2, a2
	;; [unrolled: 1-line block ×3, first 2 shown]
	ds_write_b64 v7, v[20:21] offset:45056
	v_mov_b32_e32 v9, 0
	v_mov_b32_e32 v7, 0
	s_and_saveexec_b64 s[6:7], vcc
	s_cbranch_execz .LBB324_77
; %bb.76:
	v_mov_b32_e32 v7, 0
	v_lshl_add_u64 v[6:7], v[4:5], 0, v[6:7]
	global_load_ushort v6, v[6:7], off offset:32
	s_waitcnt vmcnt(0)
	v_lshlrev_b32_e32 v6, 16, v6
	v_sub_f32_e32 v0, v6, v0
	v_mul_f32_e32 v0, v16, v0
	v_lshrrev_b32_e32 v7, 16, v0
.LBB324_77:
	s_or_b64 exec, exec, s[6:7]
	s_and_saveexec_b64 s[6:7], s[0:1]
	s_cbranch_execz .LBB324_79
; %bb.78:
	v_mov_b32_e32 v9, 0
	v_lshl_add_u64 v[8:9], v[4:5], 0, v[8:9]
	global_load_ushort v0, v[8:9], off offset:32
	s_waitcnt vmcnt(0)
	v_lshlrev_b32_e32 v0, 16, v0
	v_sub_f32_e32 v0, v0, v1
	v_mul_f32_e32 v0, v14, v0
	v_lshrrev_b32_e32 v9, 16, v0
.LBB324_79:
	s_or_b64 exec, exec, s[6:7]
	v_mov_b32_e32 v0, 0
	v_mov_b32_e32 v1, 0
	s_and_saveexec_b64 s[0:1], s[2:3]
	s_cbranch_execz .LBB324_81
; %bb.80:
	v_mov_b32_e32 v11, 0
	v_lshl_add_u64 v[10:11], v[4:5], 0, v[10:11]
	global_load_ushort v1, v[10:11], off offset:32
	s_waitcnt vmcnt(0)
	v_lshlrev_b32_e32 v1, 16, v1
	v_sub_f32_e32 v1, v1, v2
	v_mul_f32_e32 v1, v18, v1
	v_lshrrev_b32_e32 v1, 16, v1
.LBB324_81:
	s_or_b64 exec, exec, s[0:1]
	s_and_saveexec_b64 s[0:1], s[4:5]
	s_cbranch_execz .LBB324_83
; %bb.82:
	v_mov_b32_e32 v13, 0
	v_lshl_add_u64 v[4:5], v[4:5], 0, v[12:13]
	global_load_ushort v0, v[4:5], off offset:32
	s_waitcnt vmcnt(0)
	v_lshlrev_b32_e32 v0, 16, v0
	v_sub_f32_e32 v0, v0, v3
	v_mul_f32_e32 v0, v15, v0
	v_lshrrev_b32_e32 v0, 16, v0
.LBB324_83:
	s_or_b64 exec, exec, s[0:1]
	s_mov_b32 s0, 0x5040100
	v_or_b32_e32 v2, v17, v19
	v_perm_b32 v1, v0, v1, s0
	v_perm_b32 v0, v9, v7, s0
	v_lshlrev_b32_e32 v2, 1, v2
	ds_write_b64 v2, v[0:1] offset:45056
	s_waitcnt lgkmcnt(0)
	s_barrier
.LBB324_84:
	s_endpgm
	.section	.rodata,"a",@progbits
	.p2align	6, 0x0
	.amdhsa_kernel _ZN12_GLOBAL__N_139chunk_gated_delta_rule_fwd_h_hip_kernelILi32ELb1ELb0ELb0ELb1ELb0ELb1ELb1ELb1EEEvPK12hip_bfloat16S3_S3_PKfS5_PKvPS1_S8_PvPKiSB_iiiiilll
		.amdhsa_group_segment_fixed_size 49152
		.amdhsa_private_segment_fixed_size 0
		.amdhsa_kernarg_size 136
		.amdhsa_user_sgpr_count 2
		.amdhsa_user_sgpr_dispatch_ptr 0
		.amdhsa_user_sgpr_queue_ptr 0
		.amdhsa_user_sgpr_kernarg_segment_ptr 1
		.amdhsa_user_sgpr_dispatch_id 0
		.amdhsa_user_sgpr_kernarg_preload_length 0
		.amdhsa_user_sgpr_kernarg_preload_offset 0
		.amdhsa_user_sgpr_private_segment_size 0
		.amdhsa_uses_dynamic_stack 0
		.amdhsa_enable_private_segment 0
		.amdhsa_system_sgpr_workgroup_id_x 1
		.amdhsa_system_sgpr_workgroup_id_y 1
		.amdhsa_system_sgpr_workgroup_id_z 0
		.amdhsa_system_sgpr_workgroup_info 0
		.amdhsa_system_vgpr_workitem_id 0
		.amdhsa_next_free_vgpr 164
		.amdhsa_next_free_sgpr 62
		.amdhsa_accum_offset 140
		.amdhsa_reserve_vcc 1
		.amdhsa_float_round_mode_32 0
		.amdhsa_float_round_mode_16_64 0
		.amdhsa_float_denorm_mode_32 3
		.amdhsa_float_denorm_mode_16_64 3
		.amdhsa_dx10_clamp 1
		.amdhsa_ieee_mode 1
		.amdhsa_fp16_overflow 0
		.amdhsa_tg_split 0
		.amdhsa_exception_fp_ieee_invalid_op 0
		.amdhsa_exception_fp_denorm_src 0
		.amdhsa_exception_fp_ieee_div_zero 0
		.amdhsa_exception_fp_ieee_overflow 0
		.amdhsa_exception_fp_ieee_underflow 0
		.amdhsa_exception_fp_ieee_inexact 0
		.amdhsa_exception_int_div_zero 0
	.end_amdhsa_kernel
	.section	.text._ZN12_GLOBAL__N_139chunk_gated_delta_rule_fwd_h_hip_kernelILi32ELb1ELb0ELb0ELb1ELb0ELb1ELb1ELb1EEEvPK12hip_bfloat16S3_S3_PKfS5_PKvPS1_S8_PvPKiSB_iiiiilll,"axG",@progbits,_ZN12_GLOBAL__N_139chunk_gated_delta_rule_fwd_h_hip_kernelILi32ELb1ELb0ELb0ELb1ELb0ELb1ELb1ELb1EEEvPK12hip_bfloat16S3_S3_PKfS5_PKvPS1_S8_PvPKiSB_iiiiilll,comdat
.Lfunc_end324:
	.size	_ZN12_GLOBAL__N_139chunk_gated_delta_rule_fwd_h_hip_kernelILi32ELb1ELb0ELb0ELb1ELb0ELb1ELb1ELb1EEEvPK12hip_bfloat16S3_S3_PKfS5_PKvPS1_S8_PvPKiSB_iiiiilll, .Lfunc_end324-_ZN12_GLOBAL__N_139chunk_gated_delta_rule_fwd_h_hip_kernelILi32ELb1ELb0ELb0ELb1ELb0ELb1ELb1ELb1EEEvPK12hip_bfloat16S3_S3_PKfS5_PKvPS1_S8_PvPKiSB_iiiiilll
                                        ; -- End function
	.section	.AMDGPU.csdata,"",@progbits
; Kernel info:
; codeLenInByte = 8688
; NumSgprs: 68
; NumVgprs: 140
; NumAgprs: 24
; TotalNumVgprs: 164
; ScratchSize: 0
; MemoryBound: 0
; FloatMode: 240
; IeeeMode: 1
; LDSByteSize: 49152 bytes/workgroup (compile time only)
; SGPRBlocks: 8
; VGPRBlocks: 20
; NumSGPRsForWavesPerEU: 68
; NumVGPRsForWavesPerEU: 164
; AccumOffset: 140
; Occupancy: 1
; WaveLimiterHint : 1
; COMPUTE_PGM_RSRC2:SCRATCH_EN: 0
; COMPUTE_PGM_RSRC2:USER_SGPR: 2
; COMPUTE_PGM_RSRC2:TRAP_HANDLER: 0
; COMPUTE_PGM_RSRC2:TGID_X_EN: 1
; COMPUTE_PGM_RSRC2:TGID_Y_EN: 1
; COMPUTE_PGM_RSRC2:TGID_Z_EN: 0
; COMPUTE_PGM_RSRC2:TIDIG_COMP_CNT: 0
; COMPUTE_PGM_RSRC3_GFX90A:ACCUM_OFFSET: 34
; COMPUTE_PGM_RSRC3_GFX90A:TG_SPLIT: 0
	.section	.text._ZN12_GLOBAL__N_139chunk_gated_delta_rule_fwd_h_hip_kernelILi32ELb0ELb1ELb1ELb1ELb0ELb1ELb1ELb1EEEvPK12hip_bfloat16S3_S3_PKfS5_PKvPS1_S8_PvPKiSB_iiiiilll,"axG",@progbits,_ZN12_GLOBAL__N_139chunk_gated_delta_rule_fwd_h_hip_kernelILi32ELb0ELb1ELb1ELb1ELb0ELb1ELb1ELb1EEEvPK12hip_bfloat16S3_S3_PKfS5_PKvPS1_S8_PvPKiSB_iiiiilll,comdat
	.globl	_ZN12_GLOBAL__N_139chunk_gated_delta_rule_fwd_h_hip_kernelILi32ELb0ELb1ELb1ELb1ELb0ELb1ELb1ELb1EEEvPK12hip_bfloat16S3_S3_PKfS5_PKvPS1_S8_PvPKiSB_iiiiilll ; -- Begin function _ZN12_GLOBAL__N_139chunk_gated_delta_rule_fwd_h_hip_kernelILi32ELb0ELb1ELb1ELb1ELb0ELb1ELb1ELb1EEEvPK12hip_bfloat16S3_S3_PKfS5_PKvPS1_S8_PvPKiSB_iiiiilll
	.p2align	8
	.type	_ZN12_GLOBAL__N_139chunk_gated_delta_rule_fwd_h_hip_kernelILi32ELb0ELb1ELb1ELb1ELb0ELb1ELb1ELb1EEEvPK12hip_bfloat16S3_S3_PKfS5_PKvPS1_S8_PvPKiSB_iiiiilll,@function
_ZN12_GLOBAL__N_139chunk_gated_delta_rule_fwd_h_hip_kernelILi32ELb0ELb1ELb1ELb1ELb0ELb1ELb1ELb1EEEvPK12hip_bfloat16S3_S3_PKfS5_PKvPS1_S8_PvPKiSB_iiiiilll: ; @_ZN12_GLOBAL__N_139chunk_gated_delta_rule_fwd_h_hip_kernelILi32ELb0ELb1ELb1ELb1ELb0ELb1ELb1ELb1EEEvPK12hip_bfloat16S3_S3_PKfS5_PKvPS1_S8_PvPKiSB_iiiiilll
; %bb.0:
	s_load_dwordx4 s[20:23], s[0:1], 0x5c
	s_load_dwordx2 s[40:41], s[0:1], 0x20
	s_abs_i32 s27, s3
	s_ashr_i32 s26, s3, 31
	s_load_dwordx2 s[24:25], s[0:1], 0x50
	s_load_dwordx8 s[4:11], s[0:1], 0x30
	s_load_dwordx8 s[12:19], s[0:1], 0x0
	s_waitcnt lgkmcnt(0)
	s_abs_i32 s30, s21
	v_cvt_f32_u32_e32 v1, s30
	s_sub_i32 s28, 0, s30
	s_ashr_i32 s33, s21, 31
	s_xor_b32 s26, s26, s33
	v_rcp_iflag_f32_e32 v1, v1
	v_lshrrev_b32_e32 v53, 6, v0
	v_bfe_u32 v64, v0, 4, 2
	v_lshlrev_b32_e32 v62, 4, v53
	v_mul_f32_e32 v1, 0x4f7ffffe, v1
	v_cvt_u32_f32_e32 v1, v1
	v_lshlrev_b32_e32 v18, 2, v64
	v_and_b32_e32 v63, 63, v0
	v_mov_b32_e32 v17, 0
	v_readfirstlane_b32 s29, v1
	s_mul_i32 s28, s28, s29
	s_mul_hi_u32 s28, s29, s28
	s_add_i32 s29, s29, s28
	s_mul_hi_u32 s28, s27, s29
	s_mul_i32 s29, s28, s30
	s_sub_i32 s27, s27, s29
	s_add_i32 s31, s28, 1
	s_sub_i32 s29, s27, s30
	s_cmp_ge_u32 s27, s30
	s_cselect_b32 s28, s31, s28
	s_cselect_b32 s27, s29, s27
	s_add_i32 s29, s28, 1
	s_cmp_ge_u32 s27, s30
	s_cselect_b32 s27, s29, s28
	s_xor_b32 s27, s27, s26
	s_sub_i32 s34, s27, s26
	s_mul_i32 s26, s34, s21
	s_ashr_i32 s35, s34, 31
	s_sub_i32 s48, s3, s26
	s_lshl_b64 s[26:27], s[34:35], 2
	s_add_u32 s10, s10, s26
	s_addc_u32 s11, s11, s27
	s_add_u32 s28, s24, s26
	s_addc_u32 s29, s25, s27
	s_abs_i32 s3, s22
	v_cvt_f32_u32_e32 v1, s3
	s_load_dwordx2 s[42:43], s[10:11], 0x0
	s_sub_i32 s11, 0, s3
	s_mov_b32 s49, s21
	v_rcp_iflag_f32_e32 v1, v1
	v_and_b32_e32 v65, 15, v0
	s_waitcnt lgkmcnt(0)
	s_sub_i32 s58, s43, s42
	s_ashr_i32 s10, s58, 31
	v_mul_f32_e32 v1, 0x4f7ffffe, v1
	v_cvt_u32_f32_e32 v1, v1
	s_lshr_b32 s10, s10, 26
	s_add_i32 s10, s58, s10
	s_ashr_i32 s53, s10, 6
	v_readfirstlane_b32 s24, v1
	s_mul_i32 s11, s11, s24
	s_mul_hi_u32 s11, s24, s11
	s_add_i32 s24, s24, s11
	s_mul_hi_u32 s11, s30, s24
	s_mul_i32 s24, s11, s3
	s_ashr_i32 s10, s22, 31
	s_sub_i32 s24, s30, s24
	s_xor_b32 s10, s33, s10
	s_add_i32 s25, s11, 1
	s_sub_i32 s26, s24, s3
	s_cmp_ge_u32 s24, s3
	s_cselect_b32 s11, s25, s11
	s_cselect_b32 s24, s26, s24
	s_add_i32 s25, s11, 1
	s_cmp_ge_u32 s24, s3
	s_cselect_b32 s3, s25, s11
	s_xor_b32 s3, s3, s10
	s_sub_i32 s3, s3, s10
	s_abs_i32 s30, s3
	v_cvt_f32_u32_e32 v1, s30
	s_load_dwordx2 s[10:11], s[0:1], 0x80
	s_load_dwordx4 s[24:27], s[0:1], 0x70
	s_load_dword s54, s[28:29], 0x0
	s_xor_b32 s0, s48, s3
	v_rcp_iflag_f32_e32 v1, v1
	s_sub_i32 s3, 0, s30
	s_abs_i32 s1, s48
	s_ashr_i32 s0, s0, 31
	v_mul_f32_e32 v1, 0x4f7ffffe, v1
	v_cvt_u32_f32_e32 v1, v1
	s_mul_hi_i32 s55, s48, s20
	s_mul_i32 s56, s48, s20
	v_lshrrev_b32_e32 v67, 3, v63
	v_readfirstlane_b32 s28, v1
	s_mul_i32 s3, s3, s28
	s_mul_hi_u32 s3, s28, s3
	s_add_i32 s28, s28, s3
	s_mul_hi_u32 s3, s1, s28
	s_mul_i32 s28, s3, s30
	s_sub_i32 s1, s1, s28
	s_add_i32 s28, s3, 1
	s_sub_i32 s29, s1, s30
	s_cmp_ge_u32 s1, s30
	s_cselect_b32 s3, s28, s3
	s_cselect_b32 s1, s29, s1
	s_add_i32 s28, s3, 1
	s_cmp_ge_u32 s1, s30
	s_cselect_b32 s1, s28, s3
	s_xor_b32 s1, s1, s0
	s_sub_i32 s57, s1, s0
	v_or_b32_e32 v1, v18, v62
	s_lshl_b32 s2, s2, 5
	v_or_b32_e32 v68, 64, v1
	s_cmp_lt_i32 s58, 64
	v_lshlrev_b32_e32 v66, 3, v0
	s_waitcnt lgkmcnt(0)
	s_mul_i32 s50, s34, s25
	s_mul_hi_u32 s51, s34, s24
	s_mul_i32 s52, s35, s24
	s_mul_i32 s24, s34, s24
	v_mov_b32_e32 v16, v17
	v_mov_b32_e32 v15, v17
	;; [unrolled: 1-line block ×15, first 2 shown]
	s_cbranch_scc1 .LBB325_19
; %bb.1:
	s_ashr_i32 s60, s48, 31
	s_ashr_i32 s1, s42, 31
	s_add_u32 s0, s56, s42
	s_addc_u32 s1, s55, s1
	s_lshl_b64 s[0:1], s[0:1], 8
	v_and_b32_e32 v70, 56, v66
	s_add_u32 s28, s14, s0
	v_lshl_or_b32 v69, v53, 3, v67
	v_lshlrev_b32_e32 v2, 1, v70
	s_addc_u32 s0, s15, s1
	v_lshl_or_b32 v71, v69, 8, v2
	s_and_b32 s29, s0, 0xffff
	s_mov_b32 s31, 0x20000
	s_movk_i32 s30, 0x4000
	s_movk_i32 s0, 0x80
	v_or_b32_e32 v72, 0x2000, v71
	buffer_load_dwordx4 v[4:7], v71, s[28:31], 0 offen
	buffer_load_dwordx4 v[8:11], v71, s[28:31], s0 offen
	;; [unrolled: 1-line block ×4, first 2 shown]
	v_lshlrev_b32_e32 v3, 3, v69
	v_and_or_b32 v17, v0, 7, v3
	v_and_b32_e32 v3, 0x78, v3
	v_lshlrev_b32_e32 v17, 4, v17
	v_xor_b32_e32 v73, v17, v3
	v_mul_lo_u32 v16, v69, s23
	v_or_b32_e32 v74, 0x1000, v73
	v_xor_b32_e32 v3, 8, v73
	s_cmpk_eq_i32 s23, 0x80
	s_mov_b32 s59, s42
	v_xor_b32_e32 v17, 8, v74
	s_cselect_b64 s[0:1], -1, 0
	s_cmpk_lg_i32 s23, 0x80
	s_waitcnt vmcnt(3)
	ds_write_b64 v73, v[4:5] offset:24576
	ds_write_b64 v3, v[6:7] offset:24576
	s_waitcnt vmcnt(2)
	ds_write_b64 v73, v[8:9] offset:32768
	ds_write_b64 v3, v[10:11] offset:32768
	s_waitcnt vmcnt(1)
	ds_write_b64 v73, v[12:13] offset:28672
	ds_write_b64 v17, v[14:15] offset:24576
	s_waitcnt vmcnt(0)
	ds_write_b64 v73, v[20:21] offset:36864
	ds_write_b64 v17, v[22:23] offset:32768
	v_lshl_add_u32 v3, v16, 1, v70
	s_cbranch_scc0 .LBB325_3
; %bb.2:
	v_lshlrev_b32_e32 v5, 1, v3
	v_add_lshl_u32 v4, v3, s23, 1
	s_lshl_b32 s30, s23, 7
	v_lshl_or_b32 v2, v69, 9, v2
	s_cbranch_execz .LBB325_4
	s_branch .LBB325_5
.LBB325_3:
                                        ; implicit-def: $vgpr4
                                        ; implicit-def: $vgpr5
                                        ; implicit-def: $sgpr30
	v_lshl_or_b32 v2, v69, 9, v2
.LBB325_4:
	v_or_b32_e32 v4, 0x100, v2
	s_movk_i32 s30, 0x4000
	v_mov_b32_e32 v5, v2
.LBB325_5:
	s_mul_i32 s25, s42, s22
	s_ashr_i32 s61, s57, 31
	s_mul_hi_i32 s3, s42, s22
	s_add_u32 s28, s25, s57
	s_addc_u32 s29, s3, s61
	s_lshl_b64 s[28:29], s[28:29], 8
	s_add_u32 s28, s12, s28
	s_addc_u32 s3, s13, s29
	s_and_b32 s29, s3, 0xffff
	s_movk_i32 s62, 0x80
	buffer_load_dwordx4 v[6:9], v5, s[28:31], 0 offen
	buffer_load_dwordx4 v[10:13], v5, s[28:31], s62 offen
	;; [unrolled: 1-line block ×4, first 2 shown]
	v_and_b32_e32 v4, 6, v0
	v_lshlrev_b32_e32 v24, 6, v1
	v_or_b32_e32 v26, 16, v65
	v_xor_b32_e32 v27, v69, v4
	v_and_b32_e32 v5, 1, v0
	v_lshl_or_b32 v30, v65, 3, v24
	v_lshl_or_b32 v24, v26, 3, v24
	v_lshlrev_b32_e32 v27, 2, v27
	v_lshlrev_b32_e32 v19, 2, v65
	s_mul_i32 s3, s48, s27
	s_mul_hi_u32 s25, s48, s26
	v_or_b32_e32 v77, 0xa000, v24
	v_or_b32_e32 v78, 0xb000, v24
	v_xor_b32_e32 v24, 0x440, v27
	v_cmp_eq_u32_e32 vcc, 0, v5
	s_add_i32 s29, s51, s50
	s_mul_i32 s28, s60, s26
	v_xor_b32_e32 v28, v1, v19
	v_xor_b32_e32 v29, v68, v19
	v_cndmask_b32_e32 v5, v24, v27, vcc
	s_add_i32 s3, s25, s3
	s_add_i32 s25, s29, s52
	s_mov_b32 s63, 0x1000504
	v_lshlrev_b32_e32 v25, 8, v65
	v_lshlrev_b32_e32 v26, 8, v26
	;; [unrolled: 1-line block ×4, first 2 shown]
	v_lshl_or_b32 v4, v4, 10, v5
	s_add_i32 s29, s3, s28
	s_lshl_b64 s[36:37], s[24:25], 2
	s_mov_b32 s64, 0x3020706
	v_or_b32_e32 v75, 0xa000, v30
	v_or_b32_e32 v76, 0xb000, v30
	;; [unrolled: 1-line block ×5, first 2 shown]
	v_xor_b32_e32 v5, 8, v4
	v_xor_b32_e32 v25, 24, v4
	;; [unrolled: 1-line block ×4, first 2 shown]
	s_mul_i32 s28, s48, s26
	s_add_u32 s3, s18, s36
	v_or_b32_e32 v81, v26, v28
	v_xor_b32_e32 v24, 16, v4
	v_xor_b32_e32 v26, 32, v4
	;; [unrolled: 1-line block ×3, first 2 shown]
	v_add_u32_e32 v5, 0x80, v5
	v_add_u32_e32 v25, 0x80, v25
	;; [unrolled: 1-line block ×4, first 2 shown]
	s_addc_u32 s25, s19, s37
	s_lshl_b64 s[28:29], s[28:29], 2
	s_add_u32 s44, s3, s28
	s_movk_i32 s3, 0xf8
	s_addc_u32 s45, s25, s29
	s_lshl_b32 s38, s23, 7
	s_movk_i32 s36, 0x100
	v_mov_b32_e32 v55, 0
	v_lshlrev_b32_e32 v54, 4, v65
	v_cmp_gt_u32_e32 vcc, s36, v0
	s_mov_b32 s65, 0
	s_movk_i32 s25, 0x1000
	s_movk_i32 s30, 0x4000
	v_add_u32_e32 v96, v62, v18
	v_mov_b32_e32 v107, 0x3fb8aa3b
	v_mov_b32_e32 v108, v55
	;; [unrolled: 1-line block ×9, first 2 shown]
	s_waitcnt vmcnt(1)
	v_perm_b32 v30, v6, v14, s63
	s_waitcnt vmcnt(0)
	v_perm_b32 v31, v10, v20, s63
	v_perm_b32 v6, v6, v14, s64
	;; [unrolled: 1-line block ×15, first 2 shown]
	ds_write2st64_b32 v4, v30, v31 offset0:32 offset1:64
	ds_write2st64_b32 v5, v6, v10 offset0:32 offset1:64
	;; [unrolled: 1-line block ×8, first 2 shown]
	v_or_b32_e32 v4, v62, v65
	v_lshlrev_b32_e32 v4, 3, v4
	v_lshrrev_b32_e32 v6, 5, v63
	v_and_or_b32 v6, v4, s3, v6
	v_lshlrev_b32_e32 v6, 4, v6
	v_lshrrev_b32_e32 v5, 2, v63
	v_lshlrev_b32_e32 v11, 11, v53
	v_and_b32_e32 v4, 0x78, v4
	v_or_b32_e32 v10, 32, v6
	v_and_b32_e32 v7, 12, v5
	v_and_b32_e32 v5, 0x1000, v11
	v_xor_b32_e32 v8, v6, v4
	v_lshrrev_b32_e32 v9, 1, v63
	v_xor_b32_e32 v10, v10, v4
	v_or_b32_e32 v8, v8, v5
	v_and_b32_e32 v9, 8, v9
	v_lshlrev_b32_e32 v12, 7, v64
	v_or_b32_e32 v10, v10, v5
	v_xor_b32_e32 v83, v8, v9
	v_or_b32_e32 v8, v12, v19
	v_xor_b32_e32 v85, v10, v9
	v_or_b32_e32 v10, 64, v6
	v_or_b32_e32 v6, 0x60, v6
	s_ashr_i32 s3, s2, 31
	v_lshlrev_b32_e32 v8, 1, v8
	v_xor_b32_e32 v10, v10, v4
	v_xor_b32_e32 v4, v6, v4
	s_lshl_b64 s[28:29], s[2:3], 8
	v_or_b32_e32 v84, 0xa000, v8
	v_or_b32_e32 v86, 0xa080, v8
	;; [unrolled: 1-line block ×6, first 2 shown]
	s_add_u32 s28, s4, s28
	v_lshlrev_b32_e32 v8, 1, v65
	v_lshlrev_b32_e32 v19, 2, v0
	v_lshrrev_b32_e32 v22, 1, v0
	v_xor_b32_e32 v87, v10, v9
	v_xor_b32_e32 v88, v4, v9
	v_lshrrev_b32_e32 v10, 4, v0
	s_addc_u32 s29, s5, s29
	v_or_b32_e32 v9, 1, v8
	v_mov_b32_e32 v20, 0x4000
	v_mov_b32_e32 v21, 0x2000
	v_and_b32_e32 v22, 24, v22
	v_and_or_b32 v12, v19, 60, v12
	v_mov_b32_e32 v19, 0xb000
	v_xor_b32_e32 v15, v10, v8
	v_xor_b32_e32 v16, v9, v10
	v_lshl_add_u64 v[8:9], s[28:29], 0, v[54:55]
	v_lshlrev_b32_e32 v54, 8, v10
	v_cndmask_b32_e32 v20, v20, v21, vcc
	v_lshlrev_b32_e32 v21, 3, v53
	v_lshl_or_b32 v93, v12, 1, v19
	v_or_b32_e32 v12, 32, v22
	v_lshl_or_b32 v91, v15, 3, v54
	v_and_b32_e32 v15, 8, v0
	v_xor_b32_e32 v12, v21, v12
	v_cmp_eq_u32_e32 vcc, 0, v15
	v_or_b32_e32 v19, 0x440, v12
	v_and_b32_e32 v10, 7, v0
	v_cndmask_b32_e32 v12, v19, v12, vcc
	v_lshl_or_b32 v92, v16, 3, v54
	v_lshlrev_b32_e32 v16, 3, v10
	v_or_b32_e32 v12, v12, v11
	v_xor_b32_e32 v19, v12, v16
	v_or_b32_e32 v12, 64, v22
	v_xor_b32_e32 v12, v21, v12
	v_xor_b32_e32 v25, 0x440, v12
	v_cndmask_b32_e32 v12, v25, v12, vcc
	v_or_b32_e32 v12, v12, v11
	v_xor_b32_e32 v25, v12, v16
	v_or_b32_e32 v12, 0x60, v22
	v_xor_b32_e32 v23, v21, v22
	v_xor_b32_e32 v12, v21, v12
	v_or_b32_e32 v24, 0x440, v23
	v_xor_b32_e32 v21, 0x440, v12
	v_cndmask_b32_e32 v15, v24, v23, vcc
	v_cndmask_b32_e32 v12, v21, v12, vcc
	v_or_b32_e32 v4, s2, v65
	v_or_b32_e32 v15, v15, v11
	;; [unrolled: 1-line block ×3, first 2 shown]
	v_ashrrev_i32_e32 v5, 31, v4
	v_lshlrev_b32_e32 v13, 1, v3
	v_add_lshl_u32 v3, v3, s23, 1
	v_or_b32_e32 v14, 0x100, v2
	v_xor_b32_e32 v15, v15, v16
	v_xor_b32_e32 v11, v11, v16
	v_lshlrev_b32_e32 v6, 7, v1
	v_lshlrev_b32_e32 v17, 7, v10
	v_or_b32_e32 v10, v7, v62
	v_add_u32_e32 v23, v20, v15
	v_add_u32_e32 v24, v20, v19
	;; [unrolled: 1-line block ×4, first 2 shown]
	v_or3_b32 v12, v62, v7, 64
	v_add_u32_e32 v7, 0x4000, v15
	v_add_u32_e32 v15, 0x4000, v19
	v_add_u32_e32 v19, 0x4000, v25
	v_add_u32_e32 v11, 0x4000, v11
	v_cndmask_b32_e64 v94, v13, v2, s[0:1]
	v_cndmask_b32_e64 v95, v3, v14, s[0:1]
	v_lshlrev_b64 v[2:3], 1, v[4:5]
	v_lshl_add_u64 v[56:57], s[16:17], 0, v[2:3]
	v_lshl_add_u64 v[58:59], s[6:7], 0, v[2:3]
	;; [unrolled: 1-line block ×3, first 2 shown]
	s_mov_b32 s3, 0x7060302
	v_lshlrev_b32_e32 v54, 1, v6
	v_lshlrev_b32_e32 v97, 2, v10
	v_add_u32_e32 v98, v23, v17
	v_add_u32_e32 v99, v24, v17
	v_add_u32_e32 v100, v26, v17
	v_add_u32_e32 v101, v16, v17
	v_lshlrev_b32_e32 v102, 2, v12
	v_add_u32_e32 v103, v7, v17
	v_add_u32_e32 v104, v15, v17
	v_add_u32_e32 v105, v19, v17
	v_add_u32_e32 v106, v11, v17
	v_mov_b32_e32 v2, v55
	v_mov_b32_e32 v3, v55
	;; [unrolled: 1-line block ×8, first 2 shown]
	s_waitcnt lgkmcnt(0)
	s_barrier
.LBB325_6:                              ; =>This Inner Loop Header: Depth=1
	s_add_i32 s66, s65, 1
	s_cmp_lt_i32 s66, s53
	s_mov_b64 s[36:37], 0
	s_cselect_b64 s[46:47], -1, 0
	s_cmp_ge_i32 s66, s53
	s_mov_b64 s[28:29], 0
	s_cbranch_scc1 .LBB325_8
; %bb.7:                                ;   in Loop: Header=BB325_6 Depth=1
	s_add_i32 s0, s59, 64
	s_ashr_i32 s1, s0, 31
	s_add_u32 s0, s56, s0
	s_addc_u32 s1, s55, s1
	s_lshl_b64 s[0:1], s[0:1], 8
	s_add_u32 s28, s14, s0
	s_addc_u32 s29, s15, s1
.LBB325_8:                              ;   in Loop: Header=BB325_6 Depth=1
	v_cndmask_b32_e64 v10, 0, 1, s[46:47]
	v_cmp_ne_u32_e64 s[0:1], 1, v10
	s_andn2_b64 vcc, exec, s[46:47]
	s_cbranch_vccnz .LBB325_10
; %bb.9:                                ;   in Loop: Header=BB325_6 Depth=1
	s_add_i32 s36, s59, 64
	s_mul_hi_i32 s37, s36, s22
	s_mul_i32 s36, s36, s22
	s_add_u32 s36, s36, s57
	s_addc_u32 s37, s37, s61
	s_lshl_b64 s[36:37], s[36:37], 8
	s_add_u32 s36, s12, s36
	s_addc_u32 s37, s13, s37
.LBB325_10:                             ;   in Loop: Header=BB325_6 Depth=1
	v_perm_b32 v11, v5, v4, s3
	v_perm_b32 v10, v3, v2, s3
	;; [unrolled: 1-line block ×4, first 2 shown]
	ds_write_b64 v75, v[10:11]
	ds_write_b64 v76, v[12:13]
	;; [unrolled: 1-line block ×4, first 2 shown]
	v_perm_b32 v11, v115, v110, s3
	v_perm_b32 v10, v109, v108, s3
	v_perm_b32 v13, v114, v113, s3
	v_perm_b32 v12, v112, v111, s3
	ds_write_b64 v77, v[10:11]
	ds_write_b64 v78, v[12:13]
	;; [unrolled: 1-line block ×4, first 2 shown]
	s_waitcnt lgkmcnt(0)
	s_barrier
	ds_read_b64 v[14:15], v83 offset:24576
	ds_read2_b64 v[10:13], v84 offset1:16
	ds_read_b64 v[18:19], v86 offset:3072
	ds_read_b64 v[20:21], v84 offset:3072
	;; [unrolled: 1-line block ×3, first 2 shown]
	s_waitcnt lgkmcnt(3)
	v_mfma_f32_16x16x16_bf16 a[0:3], v[14:15], v[10:11], 0
	s_add_i32 s67, s59, 63
	s_ashr_i32 s39, s67, 31
	s_mul_i32 s46, s67, s11
	v_mfma_f32_16x16x16_bf16 a[4:7], v[14:15], v[12:13], 0
	ds_read2st64_b64 v[10:13], v84 offset0:2 offset1:4
	s_mul_hi_u32 s47, s67, s10
	s_add_i32 s46, s47, s46
	s_waitcnt lgkmcnt(0)
	v_mfma_f32_16x16x16_bf16 a[0:3], v[22:23], v[10:11], a[0:3]
	ds_read2st64_b64 v[14:17], v86 offset0:2 offset1:4
	ds_read_b64 v[10:11], v87 offset:24576
	s_mul_i32 s39, s39, s10
	s_add_i32 s47, s46, s39
	s_waitcnt lgkmcnt(1)
	v_mfma_f32_16x16x16_bf16 a[4:7], v[22:23], v[14:15], a[4:7]
	ds_read_b64 v[14:15], v88 offset:24576
	s_mul_i32 s46, s67, s10
	s_lshl_b64 s[46:47], s[46:47], 2
	s_waitcnt lgkmcnt(1)
	v_mfma_f32_16x16x16_bf16 a[0:3], v[10:11], v[12:13], a[0:3]
	s_add_u32 s46, s44, s46
	s_addc_u32 s47, s45, s47
	s_and_b64 vcc, exec, s[0:1]
	v_mfma_f32_16x16x16_bf16 a[8:11], v[10:11], v[16:17], a[4:7]
	v_mov_b32_e32 v118, 0
	v_mov_b32_e32 v117, 0
	;; [unrolled: 1-line block ×3, first 2 shown]
	s_waitcnt lgkmcnt(0)
	v_mfma_f32_16x16x16_bf16 a[4:7], v[14:15], v[20:21], a[0:3]
	v_mov_b32_e32 v10, 0
	v_mov_b32_e32 v11, 0
	;; [unrolled: 1-line block ×3, first 2 shown]
	v_mfma_f32_16x16x16_bf16 a[0:3], v[14:15], v[18:19], a[8:11]
	v_mov_b32_e32 v13, 0
	v_mov_b32_e32 v14, 0
	;; [unrolled: 1-line block ×13, first 2 shown]
	s_cbranch_vccnz .LBB325_12
; %bb.11:                               ;   in Loop: Header=BB325_6 Depth=1
	s_and_b32 s29, s29, 0xffff
	buffer_load_dwordx4 v[22:25], v71, s[28:31], 0 offen
	buffer_load_dwordx4 v[18:21], v71, s[28:31], s62 offen
	;; [unrolled: 1-line block ×4, first 2 shown]
	v_mov_b32_e32 v117, v73
	v_mov_b32_e32 v116, v74
.LBB325_12:                             ;   in Loop: Header=BB325_6 Depth=1
	ds_read_b64 v[34:35], v83 offset:32768
	ds_read2_b64 v[26:29], v89 offset1:16
	ds_read_b64 v[36:37], v85 offset:32768
	ds_read_b64 v[38:39], v87 offset:32768
	;; [unrolled: 1-line block ×3, first 2 shown]
	v_add_u32_e32 v42, s59, v96
	s_waitcnt lgkmcnt(3)
	v_mfma_f32_16x16x16_bf16 a[4:7], v[34:35], v[26:27], a[4:7]
	v_ashrrev_i32_e32 v26, 31, v42
	ds_read2st64_b64 v[30:33], v89 offset0:2 offset1:4
	v_mfma_f32_16x16x16_bf16 a[0:3], v[34:35], v[28:29], a[0:3]
	v_mul_lo_u32 v28, v26, s10
	v_mul_lo_u32 v29, v42, s11
	v_mad_u64_u32 v[26:27], s[28:29], v42, s10, 0
	v_add3_u32 v27, v27, v29, v28
	v_add_u32_e32 v28, 1, v42
	v_ashrrev_i32_e32 v29, 31, v28
	v_mul_lo_u32 v34, v29, s10
	v_mul_lo_u32 v35, v28, s11
	v_mad_u64_u32 v[28:29], s[28:29], v28, s10, 0
	v_add3_u32 v29, v29, v35, v34
	v_add_u32_e32 v34, 2, v42
	v_ashrrev_i32_e32 v35, 31, v34
	v_mul_lo_u32 v43, v35, s10
	v_mul_lo_u32 v44, v34, s11
	v_mad_u64_u32 v[34:35], s[28:29], v34, s10, 0
	v_add_u32_e32 v42, 3, v42
	v_add3_u32 v35, v35, v44, v43
	v_ashrrev_i32_e32 v43, 31, v42
	v_mul_lo_u32 v44, v43, s10
	v_mul_lo_u32 v45, v42, s11
	v_mad_u64_u32 v[42:43], s[28:29], v42, s10, 0
	s_ashr_i32 s29, s59, 31
	v_add3_u32 v43, v43, v45, v44
	s_add_u32 s28, s56, s59
	v_lshl_add_u64 v[26:27], v[26:27], 2, s[44:45]
	v_lshl_add_u64 v[42:43], v[42:43], 2, s[44:45]
	s_addc_u32 s29, s55, s29
	v_lshl_add_u64 v[28:29], v[28:29], 2, s[44:45]
	v_lshl_add_u64 v[34:35], v[34:35], 2, s[44:45]
	global_load_dword v44, v[26:27], off
	global_load_dword v45, v[28:29], off
	;; [unrolled: 1-line block ×3, first 2 shown]
	s_nop 0
	global_load_dword v42, v[42:43], off
	s_lshl_b64 s[68:69], s[28:29], 8
	v_lshl_add_u64 v[26:27], v[56:57], 0, s[68:69]
	v_lshl_add_u64 v[34:35], v[26:27], 0, v[54:55]
	global_load_ushort v43, v[34:35], off offset:256
	global_load_ushort v47, v[34:35], off
	ds_read2st64_b64 v[26:29], v90 offset0:2 offset1:4
	global_load_ushort v48, v[34:35], off offset:768
	global_load_ushort v49, v[34:35], off offset:512
	;; [unrolled: 1-line block ×6, first 2 shown]
	s_waitcnt lgkmcnt(1)
	v_mfma_f32_16x16x16_bf16 a[4:7], v[36:37], v[30:31], a[4:7]
	s_and_b64 vcc, exec, s[0:1]
	s_waitcnt vmcnt(7)
	v_lshlrev_b32_e32 v35, 16, v43
	s_waitcnt lgkmcnt(0)
	v_mfma_f32_16x16x16_bf16 a[0:3], v[36:37], v[26:27], a[0:3]
	v_mfma_f32_16x16x16_bf16 a[4:7], v[38:39], v[32:33], a[4:7]
	;; [unrolled: 1-line block ×3, first 2 shown]
	ds_read_b64 v[26:27], v89 offset:3072
	ds_read_b64 v[28:29], v90 offset:3072
	s_load_dword s28, s[46:47], 0x0
	s_waitcnt lgkmcnt(0)
	v_sub_f32_e32 v34, s28, v44
	v_mfma_f32_16x16x16_bf16 a[4:7], v[40:41], v[26:27], a[4:7]
	v_sub_f32_e32 v37, s28, v45
	v_sub_f32_e32 v38, s28, v46
	;; [unrolled: 1-line block ×3, first 2 shown]
	v_mul_f32_e32 v36, 0x3fb8aa3b, v34
	v_mul_f32_e32 v37, 0x3fb8aa3b, v37
	;; [unrolled: 1-line block ×4, first 2 shown]
	v_mfma_f32_16x16x16_bf16 a[0:3], v[40:41], v[28:29], a[0:3]
	v_accvgpr_read_b32 v33, a5
	v_exp_f32_e32 v36, v36
	v_exp_f32_e32 v37, v37
	;; [unrolled: 1-line block ×4, first 2 shown]
	v_accvgpr_read_b32 v32, a4
	s_waitcnt vmcnt(6)
	v_lshlrev_b32_e32 v34, 16, v47
	v_lshl_add_u64 v[26:27], v[58:59], 0, s[68:69]
	v_accvgpr_read_b32 v29, a7
	v_accvgpr_read_b32 v28, a6
	v_pk_add_f32 v[32:33], v[34:35], v[32:33] neg_lo:[0,1] neg_hi:[0,1]
	s_waitcnt vmcnt(5)
	v_lshlrev_b32_e32 v35, 16, v48
	s_waitcnt vmcnt(4)
	v_lshlrev_b32_e32 v34, 16, v49
	v_lshl_add_u64 v[26:27], v[26:27], 0, v[54:55]
	v_pk_add_f32 v[28:29], v[34:35], v[28:29] neg_lo:[0,1] neg_hi:[0,1]
	global_store_short_d16_hi v[26:27], v32, off
	global_store_short_d16_hi v[26:27], v33, off offset:256
	global_store_short_d16_hi v[26:27], v28, off offset:512
	global_store_short_d16_hi v[26:27], v29, off offset:768
	v_pk_mul_f32 v[32:33], v[36:37], v[32:33]
	v_pk_mul_f32 v[28:29], v[38:39], v[28:29]
	v_accvgpr_read_b32 v35, a1
	v_perm_b32 v29, v29, v28, s3
	v_perm_b32 v28, v33, v32, s3
	s_waitcnt vmcnt(5)
	v_lshlrev_b32_e32 v33, 16, v52
	s_waitcnt vmcnt(4)
	v_lshlrev_b32_e32 v32, 16, v119
	v_accvgpr_read_b32 v34, a0
	v_accvgpr_read_b32 v31, a3
	;; [unrolled: 1-line block ×3, first 2 shown]
	v_pk_add_f32 v[32:33], v[32:33], v[34:35] neg_lo:[0,1] neg_hi:[0,1]
	v_lshlrev_b32_e32 v35, 16, v50
	v_lshlrev_b32_e32 v34, 16, v51
	v_pk_add_f32 v[30:31], v[34:35], v[30:31] neg_lo:[0,1] neg_hi:[0,1]
	global_store_short_d16_hi v[26:27], v32, off offset:32
	global_store_short_d16_hi v[26:27], v33, off offset:288
	;; [unrolled: 1-line block ×4, first 2 shown]
	v_pk_mul_f32 v[26:27], v[36:37], v[32:33]
	v_pk_mul_f32 v[30:31], v[38:39], v[30:31]
	v_mov_b32_e32 v119, 0
	v_perm_b32 v31, v31, v30, s3
	v_perm_b32 v30, v27, v26, s3
	ds_write2_b64 v76, v[28:29], v[30:31] offset1:16
	v_mov_b32_e32 v26, 0
	v_mov_b32_e32 v27, 0
	;; [unrolled: 1-line block ×16, first 2 shown]
	s_cbranch_vccnz .LBB325_14
; %bb.13:                               ;   in Loop: Header=BB325_6 Depth=1
	s_and_b32 s37, s37, 0xffff
	s_mov_b32 s39, s31
	buffer_load_dwordx4 v[38:41], v94, s[36:39], 0 offen
	buffer_load_dwordx4 v[30:33], v94, s[36:39], s62 offen
	;; [unrolled: 1-line block ×4, first 2 shown]
	v_mov_b32_e32 v118, v70
	v_mov_b32_e32 v119, v69
.LBB325_14:                             ;   in Loop: Header=BB325_6 Depth=1
	s_waitcnt lgkmcnt(0)
	s_barrier
	ds_read_b64 v[46:47], v98
	ds_read_b64 v[124:125], v93
	ds_read_b64 v[126:127], v99
	ds_read_b64 v[128:129], v100
	ds_read_b64 v[136:137], v101
	ds_read_b64 v[138:139], v90 offset:3072
	ds_read2_b64 v[42:45], v89 offset0:16 offset1:128
	s_waitcnt lgkmcnt(5)
	v_mfma_f32_16x16x16_bf16 a[0:3], v[46:47], v[124:125], 0
	ds_read2st64_b64 v[48:51], v90 offset0:2 offset1:4
	s_add_i32 s29, s54, s65
	s_mul_hi_i32 s37, s29, s49
	s_waitcnt lgkmcnt(1)
	v_mfma_f32_16x16x16_bf16 a[4:7], v[46:47], v[42:43], 0
	ds_read_b64 v[46:47], v103
	s_mul_i32 s29, s29, s49
	s_add_u32 s36, s29, s48
	s_waitcnt lgkmcnt(1)
	v_mfma_f32_16x16x16_bf16 a[4:7], v[126:127], v[48:49], a[4:7]
	s_addc_u32 s37, s37, s60
	s_lshl_b64 s[36:37], s[36:37], 15
	s_mul_i32 s39, s67, s49
	s_mul_hi_i32 s29, s67, s49
	s_add_u32 s46, s39, s48
	v_mfma_f32_16x16x16_bf16 a[8:11], v[128:129], v[50:51], a[4:7]
	s_addc_u32 s47, s29, s60
	ds_read2st64_b64 v[120:123], v89 offset0:4 offset1:6
	s_lshl_b64 s[46:47], s[46:47], 9
	s_waitcnt lgkmcnt(1)
	v_mfma_f32_16x16x16_bf16 a[4:7], v[46:47], v[124:125], 0
	s_add_u32 s46, s40, s46
	s_addc_u32 s47, s41, s47
	v_mfma_f32_16x16x16_bf16 a[0:3], v[126:127], v[44:45], a[0:3]
	ds_read_b64 v[126:127], v104
	ds_read_b64 v[134:135], v105
	;; [unrolled: 1-line block ×3, first 2 shown]
	v_mfma_f32_16x16x16_bf16 a[12:15], v[46:47], v[42:43], 0
	s_waitcnt lgkmcnt(2)
	v_mfma_f32_16x16x16_bf16 a[4:7], v[126:127], v[44:45], a[4:7]
	global_load_dwordx4 v[42:45], v102, s[46:47]
	v_mfma_f32_16x16x16_bf16 a[12:15], v[126:127], v[48:49], a[12:15]
	global_load_dwordx4 v[46:49], v97, s[46:47]
	ds_read2st64_b64 v[124:127], v91 offset1:8
	s_waitcnt lgkmcnt(0)
	v_mov_b32_e32 v132, v124
	v_mfma_f32_16x16x16_bf16 a[0:3], v[128:129], v[120:121], a[0:3]
	ds_read2st64_b64 v[128:131], v92 offset1:8
	v_mov_b32_e32 v133, v125
	v_mfma_f32_16x16x16_bf16 a[16:19], v[134:135], v[120:121], a[4:7]
	v_lshl_add_u64 v[120:121], v[60:61], 0, s[36:37]
	v_mfma_f32_16x16x16_bf16 a[20:23], v[134:135], v[50:51], a[12:15]
	v_add_co_u32_e32 v50, vcc, s25, v120
	s_waitcnt lgkmcnt(0)
	v_mov_b32_e32 v134, v128
	v_mfma_f32_16x16x16_bf16 a[4:7], v[136:137], v[122:123], a[0:3]
	v_mov_b32_e32 v135, v129
	v_mov_b32_e32 v128, v126
	;; [unrolled: 1-line block ×3, first 2 shown]
	v_mfma_f32_16x16x16_bf16 a[8:11], v[136:137], v[138:139], a[8:11]
	v_addc_co_u32_e32 v51, vcc, 0, v121, vcc
	global_store_dwordx4 v[50:51], v[128:131], off
	v_mfma_f32_16x16x16_bf16 a[12:15], v[140:141], v[122:123], a[16:19]
	s_and_b64 vcc, exec, s[0:1]
	global_store_dwordx4 v[120:121], v[132:135], off
	s_waitcnt vmcnt(3)
	v_mov_b32_e32 v52, v45
	v_mfma_f32_16x16x16_bf16 a[0:3], v[140:141], v[138:139], a[20:23]
	v_mov_b32_e32 v51, v44
	v_mov_b32_e32 v50, v43
	s_cbranch_vccnz .LBB325_16
; %bb.15:                               ;   in Loop: Header=BB325_6 Depth=1
	v_lshrrev_b32_e32 v43, 3, v118
	v_and_b32_e32 v43, 6, v43
	v_xor_b32_e32 v44, v43, v119
	v_lshlrev_b32_e32 v44, 2, v44
	v_and_b32_e32 v45, 8, v118
	v_xor_b32_e32 v118, 0x440, v44
	v_cmp_eq_u32_e32 vcc, 0, v45
	v_perm_b32 v45, v30, v26, s63
	s_nop 0
	v_cndmask_b32_e32 v44, v118, v44, vcc
	v_lshl_or_b32 v43, v43, 10, v44
	v_perm_b32 v44, v38, v34, s63
	s_barrier
	ds_write2st64_b32 v43, v44, v45 offset0:32 offset1:64
	v_xor_b32_e32 v44, 8, v43
	v_perm_b32 v34, v38, v34, s64
	v_perm_b32 v26, v30, v26, s64
	v_add_u32_e32 v30, 0x80, v44
	ds_write2st64_b32 v30, v34, v26 offset0:32 offset1:64
	v_xor_b32_e32 v26, 16, v43
	v_perm_b32 v30, v39, v35, s63
	v_perm_b32 v34, v31, v27, s63
	ds_write2st64_b32 v26, v30, v34 offset0:33 offset1:65
	v_xor_b32_e32 v26, 24, v43
	v_perm_b32 v30, v39, v35, s64
	v_perm_b32 v27, v31, v27, s64
	v_add_u32_e32 v26, 0x80, v26
	ds_write2st64_b32 v26, v30, v27 offset0:33 offset1:65
	v_xor_b32_e32 v26, 32, v43
	v_perm_b32 v27, v40, v36, s63
	v_perm_b32 v30, v32, v28, s63
	;; [unrolled: 9-line block ×3, first 2 shown]
	ds_write2st64_b32 v26, v27, v28 offset0:35 offset1:67
	v_xor_b32_e32 v26, 56, v43
	v_perm_b32 v27, v41, v37, s64
	v_perm_b32 v28, v33, v29, s64
	v_add_u32_e32 v26, 0x80, v26
	ds_write2st64_b32 v26, v27, v28 offset0:35 offset1:67
	ds_write_b64 v117, v[22:23] offset:24576
	v_xor_b32_e32 v22, 8, v117
	ds_write_b64 v22, v[24:25] offset:24576
	ds_write_b64 v117, v[18:19] offset:32768
	ds_write_b64 v22, v[20:21] offset:32768
	ds_write_b64 v116, v[14:15] offset:24576
	v_xor_b32_e32 v14, 8, v116
	ds_write_b64 v14, v[16:17] offset:24576
	ds_write_b64 v116, v[10:11] offset:32768
	ds_write_b64 v14, v[12:13] offset:32768
.LBB325_16:                             ;   in Loop: Header=BB325_6 Depth=1
	v_mul_f32_e32 v14, s28, v107
	v_exp_f32_e32 v26, v14
	s_waitcnt vmcnt(2)
	v_mul_f32_e32 v14, 0x3fb8aa3b, v46
	v_exp_f32_e32 v28, v14
	v_mul_f32_e32 v14, 0x3fb8aa3b, v47
	v_exp_f32_e32 v29, v14
	;; [unrolled: 2-line block ×4, first 2 shown]
	v_accvgpr_read_b32 v21, a7
	v_accvgpr_read_b32 v19, a5
	;; [unrolled: 1-line block ×4, first 2 shown]
	v_pk_mul_f32 v[28:29], v[26:27], v[28:29] op_sel_hi:[0,1]
	v_accvgpr_read_b32 v12, a10
	v_pk_fma_f32 v[2:3], v[2:3], v[28:29], v[18:19]
	v_pk_mul_f32 v[18:19], v[26:27], v[30:31] op_sel_hi:[0,1]
	v_accvgpr_read_b32 v20, a6
	v_accvgpr_read_b32 v11, a9
	;; [unrolled: 1-line block ×3, first 2 shown]
	v_fma_f32 v110, v110, v18, v12
	v_mul_f32_e32 v12, 0x3fb8aa3b, v51
	v_pk_fma_f32 v[4:5], v[4:5], v[18:19], v[20:21]
	v_fma_f32 v108, v108, v28, v10
	v_fma_f32 v109, v109, v29, v11
	v_mul_f32_e32 v10, 0x3fb8aa3b, v42
	v_mul_f32_e32 v11, 0x3fb8aa3b, v50
	v_exp_f32_e32 v20, v12
	v_mul_f32_e32 v12, 0x3fb8aa3b, v52
	v_exp_f32_e32 v10, v10
	v_exp_f32_e32 v11, v11
	;; [unrolled: 1-line block ×3, first 2 shown]
	v_accvgpr_read_b32 v25, a15
	v_accvgpr_read_b32 v17, a3
	;; [unrolled: 1-line block ×8, first 2 shown]
	v_fmac_f32_e32 v13, v115, v19
	v_pk_mul_f32 v[10:11], v[26:27], v[10:11] op_sel_hi:[0,1]
	v_pk_mul_f32 v[18:19], v[26:27], v[20:21] op_sel_hi:[0,1]
	s_add_i32 s59, s59, 64
	v_pk_fma_f32 v[6:7], v[6:7], v[10:11], v[22:23]
	v_pk_fma_f32 v[8:9], v[8:9], v[18:19], v[24:25]
	v_fma_f32 v111, v111, v10, v14
	v_fma_f32 v112, v112, v11, v15
	;; [unrolled: 1-line block ×3, first 2 shown]
	s_cmp_eq_u32 s53, s66
	v_fmac_f32_e32 v17, v114, v19
	s_cbranch_scc1 .LBB325_18
; %bb.17:                               ;   in Loop: Header=BB325_6 Depth=1
	s_mov_b32 s65, s66
	v_mov_b32_e32 v115, v13
	v_mov_b32_e32 v114, v17
	s_branch .LBB325_6
.LBB325_18:
	v_mov_b32_e32 v16, v113
	v_mov_b32_e32 v15, v112
	;; [unrolled: 1-line block ×6, first 2 shown]
.LBB325_19:
	s_lshl_b32 s3, s53, 6
	s_sub_i32 s58, s58, s3
	s_cmp_gt_i32 s58, 0
	v_or_b32_e32 v34, s2, v65
	s_cbranch_scc1 .LBB325_21
; %bb.20:
	s_ashr_i32 s37, s48, 31
	v_or_b32_e32 v35, s2, v65
	s_cbranch_execz .LBB325_22
	s_branch .LBB325_86
.LBB325_21:
                                        ; implicit-def: $vgpr35
                                        ; implicit-def: $sgpr36_sgpr37
.LBB325_22:
	s_add_i32 s36, s3, s42
	s_ashr_i32 s3, s36, 31
	s_cmpk_lg_i32 s23, 0x80
	s_cselect_b64 s[44:45], -1, 0
	s_and_b64 vcc, exec, s[44:45]
	s_cbranch_vccz .LBB325_24
; %bb.23:
	s_mul_hi_i32 s0, s36, s22
	s_mul_i32 s1, s36, s22
	s_ashr_i32 s22, s57, 31
	s_add_u32 s46, s1, s57
	s_addc_u32 s47, s0, s22
	s_cbranch_execz .LBB325_25
	s_branch .LBB325_26
.LBB325_24:
                                        ; implicit-def: $sgpr46_sgpr47
.LBB325_25:
	s_mul_i32 s1, s57, s20
	s_mul_hi_i32 s0, s57, s20
	s_add_u32 s46, s1, s36
	s_addc_u32 s47, s0, s3
.LBB325_26:
	s_add_i32 s20, s53, s54
	s_ashr_i32 s37, s48, 31
	s_add_u32 s0, s56, s36
	v_lshlrev_b32_e32 v22, 5, v1
	v_lshlrev_b32_e32 v40, 2, v65
	s_addc_u32 s1, s55, s3
	s_mov_b32 s3, 0x7060302
	v_or_b32_e32 v25, v22, v40
	v_xor_b32_e32 v23, v1, v40
	v_perm_b32 v19, v5, v4, s3
	v_perm_b32 v18, v3, v2, s3
	;; [unrolled: 1-line block ×4, first 2 shown]
	v_lshlrev_b32_e32 v25, 1, v25
	v_xor_b32_e32 v24, v68, v40
	ds_write2st64_b64 v25, v[18:19], v[20:21] offset0:80 offset1:88
	v_lshlrev_b32_e32 v23, 1, v23
	v_lshlrev_b32_e32 v25, 8, v65
	s_lshl_b64 s[38:39], s[0:1], 8
	v_or_b32_e32 v26, v23, v25
	v_lshlrev_b32_e32 v24, 1, v24
	s_add_u32 s0, s14, s38
	ds_write_b64 v26, v[18:19]
	v_or_b32_e32 v18, v24, v25
	s_addc_u32 s1, s15, s39
	ds_write_b64 v18, v[20:21]
	v_perm_b32 v19, v13, v12, s3
	v_perm_b32 v18, v11, v10, s3
	;; [unrolled: 1-line block ×4, first 2 shown]
	v_or_b32_e32 v25, 16, v65
	s_mul_hi_i32 s3, s20, s21
	s_mul_i32 s20, s20, s21
	v_lshlrev_b32_e32 v37, 2, v25
	s_add_u32 s14, s20, s48
	v_or_b32_e32 v22, v22, v37
	s_addc_u32 s15, s3, s37
	v_lshlrev_b32_e32 v22, 1, v22
	s_ashr_i32 s3, s2, 31
	s_lshl_b64 s[14:15], s[14:15], 15
	ds_write2st64_b64 v22, v[18:19], v[20:21] offset0:80 offset1:88
	v_lshlrev_b32_e32 v22, 8, v25
	s_add_u32 s4, s4, s14
	v_or_b32_e32 v23, v23, v22
	s_addc_u32 s5, s5, s15
	s_lshl_b64 s[2:3], s[2:3], 8
	ds_write_b64 v23, v[18:19]
	v_or_b32_e32 v18, v24, v22
	s_add_u32 s2, s4, s2
	ds_write_b64 v18, v[20:21]
	v_lshrrev_b32_e32 v18, 4, v0
	s_addc_u32 s3, s5, s3
	v_lshlrev_b32_e32 v19, 1, v65
	v_lshlrev_b32_e32 v26, 4, v65
	v_mov_b32_e32 v27, 0
	v_or_b32_e32 v20, 1, v19
	v_xor_b32_e32 v19, v18, v19
	v_lshl_add_u64 v[28:29], s[2:3], 0, v[26:27]
	v_lshlrev_b32_e32 v26, 8, v18
	v_xor_b32_e32 v22, v20, v18
	v_lshl_or_b32 v18, v19, 3, v26
	s_waitcnt lgkmcnt(0)
	s_barrier
	ds_read2st64_b64 v[18:21], v18 offset1:8
	v_lshl_or_b32 v22, v22, 3, v26
	ds_read2st64_b64 v[22:25], v22 offset1:8
	v_lshl_add_u64 v[30:31], v[28:29], 0, v[26:27]
	s_movk_i32 s2, 0x1000
	s_waitcnt lgkmcnt(1)
	v_mov_b32_e32 v26, v18
	v_add_co_u32_e32 v18, vcc, s2, v30
	s_cmp_lg_u32 s58, 64
	v_mov_b32_e32 v27, v19
	v_addc_co_u32_e32 v19, vcc, 0, v31, vcc
	s_cselect_b64 s[4:5], -1, 0
	v_lshl_or_b32 v35, v53, 3, v67
	s_waitcnt lgkmcnt(0)
	v_mov_b32_e32 v28, v22
	v_mov_b32_e32 v29, v23
	;; [unrolled: 1-line block ×4, first 2 shown]
	s_mov_b32 s28, 0
	v_or_b32_e32 v38, 32, v35
	v_and_b32_e32 v36, 56, v66
	s_and_b64 vcc, exec, s[4:5]
	global_store_dwordx4 v[30:31], v[26:29], off
	global_store_dwordx4 v[18:19], v[22:25], off
	s_cbranch_vccz .LBB325_32
; %bb.27:
	s_mov_b32 s29, s28
	s_mov_b32 s30, s28
	;; [unrolled: 1-line block ×3, first 2 shown]
	v_mov_b64_e32 v[22:23], s[28:29]
	v_mov_b64_e32 v[24:25], s[30:31]
	;; [unrolled: 1-line block ×3, first 2 shown]
	v_cmp_gt_i32_e32 vcc, s58, v35
	v_mov_b64_e32 v[20:21], v[24:25]
	s_and_saveexec_b64 s[2:3], vcc
	s_cbranch_execz .LBB325_29
; %bb.28:
	v_lshlrev_b32_e32 v18, 8, v35
	v_mov_b32_e32 v19, 0
	v_lshl_add_u64 v[20:21], s[0:1], 0, v[18:19]
	v_lshlrev_b32_e32 v18, 1, v36
	v_lshl_add_u64 v[26:27], v[20:21], 0, v[18:19]
	global_load_dwordx4 v[22:25], v[26:27], off
	global_load_dwordx4 v[18:21], v[26:27], off offset:128
.LBB325_29:
	s_or_b64 exec, exec, s[2:3]
	s_mov_b32 s30, s28
	s_mov_b32 s31, s28
	;; [unrolled: 1-line block ×3, first 2 shown]
	v_mov_b64_e32 v[32:33], s[30:31]
	v_mov_b64_e32 v[30:31], s[28:29]
	;; [unrolled: 1-line block ×3, first 2 shown]
	v_cmp_gt_i32_e32 vcc, s58, v38
	v_lshlrev_b32_e32 v39, 7, v38
	v_mov_b64_e32 v[28:29], v[32:33]
	s_and_saveexec_b64 s[2:3], vcc
	s_cbranch_execz .LBB325_31
; %bb.30:
	v_lshlrev_b32_e32 v26, 1, v39
	v_mov_b32_e32 v27, 0
	v_lshl_add_u64 v[28:29], s[0:1], 0, v[26:27]
	v_lshlrev_b32_e32 v26, 1, v36
	v_lshl_add_u64 v[42:43], v[28:29], 0, v[26:27]
	global_load_dwordx4 v[30:33], v[42:43], off
	global_load_dwordx4 v[26:29], v[42:43], off offset:128
.LBB325_31:
	s_or_b64 exec, exec, s[2:3]
	v_lshrrev_b32_e32 v41, 3, v36
	v_lshlrev_b32_e32 v42, 3, v35
	v_or_b32_e32 v41, v42, v41
	v_lshlrev_b32_e32 v41, 4, v41
	v_and_b32_e32 v42, 0x78, v42
	v_xor_b32_e32 v41, v41, v42
	s_branch .LBB325_34
.LBB325_32:
                                        ; implicit-def: $vgpr41
                                        ; implicit-def: $vgpr39
                                        ; implicit-def: $vgpr22_vgpr23_vgpr24_vgpr25
                                        ; implicit-def: $vgpr18_vgpr19_vgpr20_vgpr21
                                        ; implicit-def: $vgpr30_vgpr31_vgpr32_vgpr33
                                        ; implicit-def: $vgpr26_vgpr27_vgpr28_vgpr29
	s_cbranch_execz .LBB325_34
; %bb.33:
	s_waitcnt vmcnt(0)
	v_lshlrev_b32_e32 v18, 1, v36
	v_lshl_or_b32 v39, v35, 8, v18
	s_and_b32 s1, s1, 0xffff
	s_mov_b32 s3, 0x20000
	s_movk_i32 s2, 0x4000
	v_lshl_or_b32 v41, v38, 8, v18
	s_movk_i32 s14, 0x80
	buffer_load_dwordx4 v[22:25], v39, s[0:3], 0 offen
	buffer_load_dwordx4 v[18:21], v39, s[0:3], s14 offen
	;; [unrolled: 1-line block ×4, first 2 shown]
	v_lshrrev_b32_e32 v39, 3, v36
	v_lshlrev_b32_e32 v41, 3, v35
	v_or_b32_e32 v39, v41, v39
	v_lshlrev_b32_e32 v39, 4, v39
	v_and_b32_e32 v41, 0x78, v41
	v_xor_b32_e32 v41, v39, v41
	v_lshlrev_b32_e32 v39, 7, v38
.LBB325_34:
	s_lshl_b64 s[0:1], s[46:47], 8
	s_add_u32 s12, s12, s0
	s_movk_i32 s0, 0x1000
	v_and_or_b32 v38, v39, s0, v41
	s_waitcnt vmcnt(1)
	ds_write_b64 v41, v[22:23] offset:24576
	v_xor_b32_e32 v22, 8, v41
	ds_write_b64 v22, v[24:25] offset:24576
	s_waitcnt vmcnt(0)
	ds_write_b64 v41, v[18:19] offset:32768
	ds_write_b64 v22, v[20:21] offset:32768
	;; [unrolled: 1-line block ×3, first 2 shown]
	v_xor_b32_e32 v18, 8, v38
	ds_write_b64 v18, v[32:33] offset:24576
	ds_write_b64 v38, v[26:27] offset:32768
	;; [unrolled: 1-line block ×3, first 2 shown]
	v_or_b32_e32 v18, v62, v65
	v_lshlrev_b32_e32 v18, 3, v18
	v_lshrrev_b32_e32 v19, 5, v63
	s_movk_i32 s14, 0xf8
	v_and_or_b32 v19, v18, s14, v19
	v_lshlrev_b32_e32 v23, 4, v19
	v_lshlrev_b32_e32 v41, 11, v53
	v_and_b32_e32 v24, 0x78, v18
	v_or_b32_e32 v26, 32, v23
	v_and_b32_e32 v22, 0x1000, v41
	v_lshrrev_b32_e32 v19, 1, v63
	v_xor_b32_e32 v26, v26, v24
	v_xor_b32_e32 v18, v23, v24
	v_and_b32_e32 v25, 8, v19
	v_or_b32_e32 v26, v26, v22
	v_or_b32_e32 v18, v18, v22
	v_xor_b32_e32 v45, v26, v25
	v_or_b32_e32 v26, 64, v23
	v_xor_b32_e32 v44, v18, v25
	v_xor_b32_e32 v26, v26, v24
	s_waitcnt lgkmcnt(0)
	s_barrier
	v_or_b32_e32 v28, v26, v22
	ds_read_b64 v[26:27], v44 offset:24576
	v_lshl_or_b32 v38, v64, 7, v40
	v_lshlrev_b32_e32 v42, 1, v38
	v_add_u32_e32 v18, 0xa000, v42
	ds_read2_b64 v[18:21], v18 offset1:16
	v_or_b32_e32 v23, 0x60, v23
	v_xor_b32_e32 v23, v23, v24
	s_waitcnt lgkmcnt(0)
	v_mfma_f32_16x16x16_bf16 a[0:3], v[26:27], v[18:19], 0
	v_or_b32_e32 v18, 64, v38
	v_or_b32_e32 v22, v23, v22
	v_lshlrev_b32_e32 v43, 1, v18
	v_xor_b32_e32 v46, v28, v25
	v_xor_b32_e32 v47, v22, v25
	ds_read_b64 v[28:29], v45 offset:24576
	ds_read_b64 v[30:31], v46 offset:24576
	;; [unrolled: 1-line block ×3, first 2 shown]
	v_mfma_f32_16x16x16_bf16 a[4:7], v[26:27], v[20:21], 0
	ds_read2st64_b64 v[18:21], v43 offset0:82 offset1:84
	ds_read2st64_b64 v[22:25], v42 offset0:82 offset1:84
	s_addc_u32 s13, s13, s1
	s_add_i32 s20, s43, -1
	s_add_i32 s0, s51, s50
	s_add_i32 s25, s0, s52
	s_mul_i32 s0, s48, s27
	s_mul_hi_u32 s1, s48, s26
	s_ashr_i32 s2, s20, 31
	s_mul_i32 s3, s20, s11
	s_mul_hi_u32 s14, s20, s10
	s_add_i32 s0, s1, s0
	s_mul_i32 s1, s37, s26
	s_add_i32 s3, s14, s3
	s_mul_i32 s2, s2, s10
	s_waitcnt lgkmcnt(1)
	v_mfma_f32_16x16x16_bf16 a[4:7], v[28:29], v[18:19], a[4:7]
	s_add_i32 s1, s0, s1
	s_add_i32 s3, s3, s2
	s_lshl_b64 s[14:15], s[24:25], 2
	s_waitcnt lgkmcnt(0)
	v_mfma_f32_16x16x16_bf16 a[0:3], v[28:29], v[22:23], a[0:3]
	s_mul_i32 s0, s48, s26
	s_add_u32 s14, s18, s14
	s_addc_u32 s15, s19, s15
	s_lshl_b64 s[0:1], s[0:1], 2
	s_mul_i32 s2, s20, s10
	s_add_u32 s18, s14, s0
	ds_read_b64 v[18:19], v42 offset:44032
	v_mfma_f32_16x16x16_bf16 a[4:7], v[30:31], v[20:21], a[4:7]
	ds_read_b64 v[20:21], v43 offset:44032
	s_addc_u32 s19, s15, s1
	s_lshl_b64 s[0:1], s[2:3], 2
	v_mfma_f32_16x16x16_bf16 a[0:3], v[30:31], v[24:25], a[0:3]
	s_add_u32 s0, s18, s0
	s_addc_u32 s1, s19, s1
	s_load_dword s22, s[0:1], 0x0
	s_waitcnt lgkmcnt(0)
	v_mfma_f32_16x16x16_bf16 a[0:3], v[32:33], v[18:19], a[0:3]
	s_and_b64 vcc, exec, s[44:45]
	v_mfma_f32_16x16x16_bf16 a[4:7], v[32:33], v[20:21], a[4:7]
	s_cbranch_vccz .LBB325_45
; %bb.35:
	v_lshlrev_b32_e32 v38, 1, v35
	s_and_b64 vcc, exec, s[4:5]
	s_cbranch_vccz .LBB325_46
; %bb.36:
	v_cmp_gt_i32_e32 vcc, s58, v38
	v_mov_b32_e32 v22, 0
	v_mov_b32_e32 v18, 0
	;; [unrolled: 1-line block ×5, first 2 shown]
	s_and_saveexec_b64 s[0:1], vcc
	s_cbranch_execz .LBB325_38
; %bb.37:
	v_mad_i64_i32 v[18:19], s[2:3], s23, v38, 0
	v_lshl_add_u64 v[18:19], v[18:19], 1, s[12:13]
	v_lshlrev_b32_e32 v20, 1, v36
	v_mov_b32_e32 v21, 0
	v_lshl_add_u64 v[18:19], v[18:19], 0, v[20:21]
	global_load_dwordx4 v[18:21], v[18:19], off
.LBB325_38:
	s_or_b64 exec, exec, s[0:1]
	v_or_b32_e32 v39, 1, v38
	v_cmp_gt_i32_e64 s[0:1], s58, v39
	v_mov_b32_e32 v23, 0
	v_mov_b32_e32 v24, 0
	;; [unrolled: 1-line block ×3, first 2 shown]
	s_and_saveexec_b64 s[2:3], s[0:1]
	s_cbranch_execz .LBB325_40
; %bb.39:
	v_mad_i64_i32 v[22:23], s[14:15], s23, v39, 0
	v_lshl_add_u64 v[22:23], v[22:23], 1, s[12:13]
	v_lshlrev_b32_e32 v24, 1, v36
	v_mov_b32_e32 v25, 0
	v_lshl_add_u64 v[22:23], v[22:23], 0, v[24:25]
	global_load_dwordx4 v[22:25], v[22:23], off
.LBB325_40:
	s_or_b64 exec, exec, s[2:3]
	v_mov_b32_e32 v33, 0
	v_mov_b32_e32 v26, 0
	;; [unrolled: 1-line block ×5, first 2 shown]
	s_and_saveexec_b64 s[2:3], vcc
	s_cbranch_execz .LBB325_42
; %bb.41:
	v_mad_i64_i32 v[26:27], s[14:15], s23, v38, 0
	v_lshl_add_u64 v[26:27], v[26:27], 1, s[12:13]
	v_lshlrev_b32_e32 v28, 1, v36
	v_mov_b32_e32 v29, 0
	v_lshl_add_u64 v[26:27], v[26:27], 0, v[28:29]
	global_load_dwordx4 v[26:29], v[26:27], off offset:128
.LBB325_42:
	s_or_b64 exec, exec, s[2:3]
	v_mov_b32_e32 v32, 0
	v_mov_b32_e32 v31, 0
	;; [unrolled: 1-line block ×3, first 2 shown]
	s_and_saveexec_b64 s[2:3], s[0:1]
	s_cbranch_execz .LBB325_44
; %bb.43:
	v_mad_i64_i32 v[30:31], s[0:1], s23, v39, 0
	v_lshl_add_u64 v[30:31], v[30:31], 1, s[12:13]
	v_lshlrev_b32_e32 v32, 1, v36
	v_mov_b32_e32 v33, 0
	v_lshl_add_u64 v[30:31], v[30:31], 0, v[32:33]
	global_load_dwordx4 v[30:33], v[30:31], off offset:128
.LBB325_44:
	s_or_b64 exec, exec, s[2:3]
	s_branch .LBB325_48
.LBB325_45:
                                        ; implicit-def: $vgpr21
                                        ; implicit-def: $vgpr25
                                        ; implicit-def: $vgpr29
                                        ; implicit-def: $vgpr33
	v_lshrrev_b32_e32 v48, 2, v63
	s_branch .LBB325_49
.LBB325_46:
                                        ; implicit-def: $vgpr21
                                        ; implicit-def: $vgpr25
                                        ; implicit-def: $vgpr29
                                        ; implicit-def: $vgpr33
	s_cbranch_execz .LBB325_48
; %bb.47:
	s_waitcnt vmcnt(0)
	v_mad_u64_u32 v[18:19], s[0:1], v38, s23, v[36:37]
	v_lshlrev_b32_e32 v38, 1, v18
	s_lshl_b32 s2, s23, 7
	s_and_b32 s1, s13, 0xffff
	s_mov_b32 s3, 0x20000
	s_mov_b32 s0, s12
	v_add_lshl_u32 v39, v18, s23, 1
	s_movk_i32 s14, 0x80
	buffer_load_dwordx4 v[18:21], v38, s[0:3], 0 offen
	buffer_load_dwordx4 v[26:29], v38, s[0:3], s14 offen
	;; [unrolled: 1-line block ×4, first 2 shown]
.LBB325_48:
	v_lshrrev_b32_e32 v48, 2, v63
	s_cbranch_execnz .LBB325_61
.LBB325_49:
	s_and_b64 vcc, exec, s[4:5]
	s_cbranch_vccz .LBB325_59
; %bb.50:
	s_waitcnt vmcnt(0)
	v_lshlrev_b32_e32 v23, 1, v35
	v_cmp_gt_i32_e32 vcc, s58, v23
	v_mov_b32_e32 v22, 0
	v_lshlrev_b32_e32 v30, 9, v35
	v_mov_b32_e32 v18, 0
	v_mov_b32_e32 v19, 0
	;; [unrolled: 1-line block ×4, first 2 shown]
	s_and_saveexec_b64 s[0:1], vcc
	s_cbranch_execz .LBB325_52
; %bb.51:
	v_mov_b32_e32 v31, 0
	v_lshl_add_u64 v[18:19], s[12:13], 0, v[30:31]
	v_lshlrev_b32_e32 v20, 1, v36
	v_mov_b32_e32 v21, v31
	v_lshl_add_u64 v[18:19], v[18:19], 0, v[20:21]
	global_load_dwordx4 v[18:21], v[18:19], off
.LBB325_52:
	s_or_b64 exec, exec, s[0:1]
	v_or_b32_e32 v23, 1, v23
	v_cmp_gt_i32_e64 s[0:1], s58, v23
	v_lshlrev_b32_e32 v38, 8, v23
	v_mov_b32_e32 v23, 0
	v_mov_b32_e32 v24, 0
	;; [unrolled: 1-line block ×3, first 2 shown]
	s_and_saveexec_b64 s[2:3], s[0:1]
	s_cbranch_execz .LBB325_54
; %bb.53:
	v_mov_b32_e32 v39, 0
	v_lshl_add_u64 v[22:23], s[12:13], 0, v[38:39]
	v_lshlrev_b32_e32 v24, 1, v36
	v_mov_b32_e32 v25, v39
	v_lshl_add_u64 v[22:23], v[22:23], 0, v[24:25]
	global_load_dwordx4 v[22:25], v[22:23], off
.LBB325_54:
	s_or_b64 exec, exec, s[2:3]
	v_mov_b32_e32 v33, 0
	v_mov_b32_e32 v26, 0
	;; [unrolled: 1-line block ×5, first 2 shown]
	s_and_saveexec_b64 s[2:3], vcc
	s_cbranch_execz .LBB325_56
; %bb.55:
	v_mov_b32_e32 v31, 0
	v_lshl_add_u64 v[26:27], s[12:13], 0, v[30:31]
	v_lshlrev_b32_e32 v30, 1, v36
	v_lshl_add_u64 v[26:27], v[26:27], 0, v[30:31]
	global_load_dwordx4 v[26:29], v[26:27], off offset:128
.LBB325_56:
	s_or_b64 exec, exec, s[2:3]
	v_mov_b32_e32 v32, 0
	v_mov_b32_e32 v31, 0
	;; [unrolled: 1-line block ×3, first 2 shown]
	s_and_saveexec_b64 s[2:3], s[0:1]
	s_cbranch_execz .LBB325_58
; %bb.57:
	v_mov_b32_e32 v39, 0
	v_lshl_add_u64 v[30:31], s[12:13], 0, v[38:39]
	v_lshlrev_b32_e32 v38, 1, v36
	v_lshl_add_u64 v[30:31], v[30:31], 0, v[38:39]
	global_load_dwordx4 v[30:33], v[30:31], off offset:128
.LBB325_58:
	s_or_b64 exec, exec, s[2:3]
	s_branch .LBB325_61
.LBB325_59:
                                        ; implicit-def: $vgpr21
                                        ; implicit-def: $vgpr25
                                        ; implicit-def: $vgpr29
                                        ; implicit-def: $vgpr33
	s_cbranch_execz .LBB325_61
; %bb.60:
	s_waitcnt vmcnt(0)
	v_lshlrev_b32_e32 v18, 1, v36
	v_lshl_or_b32 v36, v35, 9, v18
	s_and_b32 s13, s13, 0xffff
	s_mov_b32 s15, 0x20000
	s_movk_i32 s14, 0x4000
	s_movk_i32 s0, 0x80
	buffer_load_dwordx4 v[18:21], v36, s[12:15], 0 offen
	buffer_load_dwordx4 v[22:25], v36, s[12:15], 0 offen offset:256
	buffer_load_dwordx4 v[26:29], v36, s[12:15], s0 offen
	buffer_load_dwordx4 v[30:33], v36, s[12:15], s0 offen offset:256
.LBB325_61:
	ds_read_b64 v[38:39], v44 offset:32768
	v_add_u32_e32 v36, 0xb000, v42
	ds_read2_b64 v[54:57], v36 offset1:16
	ds_read_b64 v[50:51], v45 offset:32768
	ds_read_b64 v[58:59], v46 offset:32768
	;; [unrolled: 1-line block ×3, first 2 shown]
	ds_read2st64_b64 v[44:47], v42 offset0:90 offset1:92
	v_and_b32_e32 v36, 12, v48
	v_and_b32_e32 v48, 6, v0
	v_xor_b32_e32 v35, v35, v48
	v_lshlrev_b32_e32 v35, 2, v35
	s_mov_b32 s0, 0x1000504
	s_waitcnt lgkmcnt(4)
	v_mfma_f32_16x16x16_bf16 a[0:3], v[38:39], v[54:55], a[0:3]
	s_mov_b32 s1, 0x3020706
	v_mfma_f32_16x16x16_bf16 a[4:7], v[38:39], v[56:57], a[4:7]
	ds_read2st64_b64 v[54:57], v43 offset0:90 offset1:92
	s_waitcnt lgkmcnt(1)
	v_mfma_f32_16x16x16_bf16 a[0:3], v[50:51], v[44:45], a[0:3]
	ds_read_b64 v[38:39], v42 offset:48128
	ds_read_b64 v[44:45], v43 offset:48128
	s_waitcnt lgkmcnt(2)
	v_mfma_f32_16x16x16_bf16 a[4:7], v[50:51], v[54:55], a[4:7]
	v_mfma_f32_16x16x16_bf16 a[0:3], v[58:59], v[46:47], a[0:3]
	v_and_b32_e32 v46, 1, v0
	v_xor_b32_e32 v47, 0x440, v35
	v_cmp_eq_u32_e32 vcc, 0, v46
	v_mfma_f32_16x16x16_bf16 a[8:11], v[58:59], v[56:57], a[4:7]
	s_nop 0
	v_cndmask_b32_e32 v35, v47, v35, vcc
	v_lshl_or_b32 v35, v48, 10, v35
	s_waitcnt lgkmcnt(1)
	v_mfma_f32_16x16x16_bf16 a[4:7], v[60:61], v[38:39], a[0:3]
	s_waitcnt vmcnt(0)
	v_perm_b32 v38, v18, v22, s0
	v_perm_b32 v39, v26, v30, s0
	ds_write2st64_b32 v35, v38, v39 offset0:32 offset1:64
	v_xor_b32_e32 v38, 8, v35
	v_perm_b32 v18, v18, v22, s1
	v_perm_b32 v22, v26, v30, s1
	v_add_u32_e32 v26, 0x80, v38
	ds_write2st64_b32 v26, v18, v22 offset0:32 offset1:64
	v_xor_b32_e32 v18, 16, v35
	v_perm_b32 v22, v19, v23, s0
	v_perm_b32 v26, v27, v31, s0
	ds_write2st64_b32 v18, v22, v26 offset0:33 offset1:65
	v_xor_b32_e32 v18, 24, v35
	v_perm_b32 v19, v19, v23, s1
	v_perm_b32 v22, v27, v31, s1
	v_add_u32_e32 v18, 0x80, v18
	ds_write2st64_b32 v18, v19, v22 offset0:33 offset1:65
	v_xor_b32_e32 v18, 32, v35
	v_perm_b32 v19, v20, v24, s0
	v_perm_b32 v22, v28, v32, s0
	ds_write2st64_b32 v18, v19, v22 offset0:34 offset1:66
	v_xor_b32_e32 v18, 40, v35
	s_waitcnt lgkmcnt(5)
	v_mfma_f32_16x16x16_bf16 a[0:3], v[60:61], v[44:45], a[8:11]
	v_perm_b32 v19, v20, v24, s1
	v_perm_b32 v20, v28, v32, s1
	v_add_u32_e32 v18, 0x80, v18
	ds_write2st64_b32 v18, v19, v20 offset0:34 offset1:66
	v_xor_b32_e32 v18, 48, v35
	v_perm_b32 v19, v21, v25, s0
	v_perm_b32 v20, v29, v33, s0
	ds_write2st64_b32 v18, v19, v20 offset0:35 offset1:67
	v_xor_b32_e32 v18, 56, v35
	v_or_b32_e32 v38, v36, v62
	v_perm_b32 v19, v21, v25, s1
	v_perm_b32 v20, v29, v33, s1
	v_add_u32_e32 v18, 0x80, v18
	v_cmp_gt_i32_e32 vcc, s58, v38
	v_mov_b32_e32 v44, 0
	v_mov_b32_e32 v45, 0
	ds_write2st64_b32 v18, v19, v20 offset0:35 offset1:67
	s_and_saveexec_b64 s[0:1], vcc
	s_cbranch_execz .LBB325_63
; %bb.62:
	v_add_u32_e32 v18, s36, v38
	v_ashrrev_i32_e32 v19, 31, v18
	v_mul_lo_u32 v20, v19, s10
	v_mul_lo_u32 v21, v18, s11
	v_mad_u64_u32 v[18:19], s[2:3], v18, s10, 0
	v_add3_u32 v19, v19, v21, v20
	v_lshl_add_u64 v[18:19], v[18:19], 2, s[18:19]
	global_load_dword v18, v[18:19], off
	s_waitcnt vmcnt(0)
	v_sub_f32_e32 v18, s22, v18
	v_mul_f32_e32 v18, 0x3fb8aa3b, v18
	v_exp_f32_e32 v45, v18
.LBB325_63:
	s_or_b64 exec, exec, s[0:1]
	v_or_b32_e32 v27, 1, v38
	v_cmp_gt_i32_e64 s[2:3], s58, v27
	s_and_saveexec_b64 s[0:1], s[2:3]
	s_cbranch_execz .LBB325_65
; %bb.64:
	v_add_u32_e32 v18, s36, v27
	v_ashrrev_i32_e32 v19, 31, v18
	v_mul_lo_u32 v20, v19, s10
	v_mul_lo_u32 v21, v18, s11
	v_mad_u64_u32 v[18:19], s[4:5], v18, s10, 0
	v_add3_u32 v19, v19, v21, v20
	v_lshl_add_u64 v[18:19], v[18:19], 2, s[18:19]
	global_load_dword v18, v[18:19], off
	s_waitcnt vmcnt(0)
	v_sub_f32_e32 v18, s22, v18
	v_mul_f32_e32 v18, 0x3fb8aa3b, v18
	v_exp_f32_e32 v44, v18
.LBB325_65:
	s_or_b64 exec, exec, s[0:1]
	v_or_b32_e32 v26, 2, v38
	v_cmp_gt_i32_e64 s[4:5], s58, v26
	v_mov_b32_e32 v39, 0
	v_mov_b32_e32 v46, 0
	s_and_saveexec_b64 s[0:1], s[4:5]
	s_cbranch_execz .LBB325_67
; %bb.66:
	v_add_u32_e32 v18, s36, v26
	v_ashrrev_i32_e32 v19, 31, v18
	v_mul_lo_u32 v20, v19, s10
	v_mul_lo_u32 v21, v18, s11
	v_mad_u64_u32 v[18:19], s[12:13], v18, s10, 0
	v_add3_u32 v19, v19, v21, v20
	v_lshl_add_u64 v[18:19], v[18:19], 2, s[18:19]
	global_load_dword v18, v[18:19], off
	s_waitcnt vmcnt(0)
	v_sub_f32_e32 v18, s22, v18
	v_mul_f32_e32 v18, 0x3fb8aa3b, v18
	v_exp_f32_e32 v46, v18
.LBB325_67:
	s_or_b64 exec, exec, s[0:1]
	v_or_b32_e32 v47, 3, v38
	v_cmp_gt_i32_e64 s[0:1], s58, v47
	s_and_saveexec_b64 s[12:13], s[0:1]
	s_cbranch_execz .LBB325_69
; %bb.68:
	v_add_u32_e32 v18, s36, v47
	v_ashrrev_i32_e32 v19, 31, v18
	v_mul_lo_u32 v20, v19, s10
	v_mul_lo_u32 v21, v18, s11
	v_mad_u64_u32 v[18:19], s[10:11], v18, s10, 0
	v_add3_u32 v19, v19, v21, v20
	v_lshl_add_u64 v[18:19], v[18:19], 2, s[18:19]
	global_load_dword v18, v[18:19], off
	s_waitcnt vmcnt(0)
	v_sub_f32_e32 v18, s22, v18
	v_mul_f32_e32 v18, 0x3fb8aa3b, v18
	v_exp_f32_e32 v39, v18
.LBB325_69:
	s_or_b64 exec, exec, s[12:13]
	s_add_u32 s10, s16, s38
	s_addc_u32 s11, s17, s39
	s_add_u32 s6, s6, s38
	v_ashrrev_i32_e32 v35, 31, v34
	v_accvgpr_read_b32 v21, a7
	s_addc_u32 s7, s7, s39
	v_lshlrev_b64 v[22:23], 1, v[34:35]
	v_accvgpr_read_b32 v20, a6
	v_accvgpr_read_b32 v19, a5
	v_accvgpr_read_b32 v18, a4
	v_lshl_add_u64 v[24:25], s[10:11], 0, v[22:23]
	v_lshl_add_u64 v[22:23], s[6:7], 0, v[22:23]
	v_mov_b32_e32 v31, 0
	v_lshlrev_b32_e32 v28, 8, v38
	v_mov_b32_e32 v29, 0
	s_and_saveexec_b64 s[6:7], vcc
	s_cbranch_execz .LBB325_71
; %bb.70:
	v_mov_b32_e32 v29, 0
	v_lshl_add_u64 v[32:33], v[24:25], 0, v[28:29]
	global_load_ushort v30, v[32:33], off
	v_lshl_add_u64 v[32:33], v[22:23], 0, v[28:29]
	s_waitcnt vmcnt(0)
	v_lshlrev_b32_e32 v29, 16, v30
	v_sub_f32_e32 v18, v29, v18
	global_store_short_d16_hi v[32:33], v18, off
	v_mul_f32_e32 v18, v45, v18
	v_lshrrev_b32_e32 v29, 16, v18
.LBB325_71:
	s_or_b64 exec, exec, s[6:7]
	v_lshlrev_b32_e32 v30, 8, v27
	s_and_saveexec_b64 s[6:7], s[2:3]
	s_cbranch_execz .LBB325_73
; %bb.72:
	v_mov_b32_e32 v31, 0
	v_lshl_add_u64 v[32:33], v[24:25], 0, v[30:31]
	global_load_ushort v18, v[32:33], off
	v_lshl_add_u64 v[32:33], v[22:23], 0, v[30:31]
	s_waitcnt vmcnt(0)
	v_lshlrev_b32_e32 v18, 16, v18
	v_sub_f32_e32 v18, v18, v19
	global_store_short_d16_hi v[32:33], v18, off
	v_mul_f32_e32 v18, v44, v18
	v_lshrrev_b32_e32 v31, 16, v18
.LBB325_73:
	s_or_b64 exec, exec, s[6:7]
	v_mov_b32_e32 v27, 0
	v_lshlrev_b32_e32 v32, 8, v26
	v_mov_b32_e32 v33, 0
	s_and_saveexec_b64 s[6:7], s[4:5]
	s_cbranch_execz .LBB325_75
; %bb.74:
	v_mov_b32_e32 v33, 0
	v_lshl_add_u64 v[18:19], v[24:25], 0, v[32:33]
	global_load_ushort v26, v[18:19], off
	v_lshl_add_u64 v[18:19], v[22:23], 0, v[32:33]
	s_waitcnt vmcnt(0)
	v_lshlrev_b32_e32 v26, 16, v26
	v_sub_f32_e32 v20, v26, v20
	global_store_short_d16_hi v[18:19], v20, off
	v_mul_f32_e32 v18, v46, v20
	v_lshrrev_b32_e32 v33, 16, v18
.LBB325_75:
	s_or_b64 exec, exec, s[6:7]
	v_lshlrev_b32_e32 v26, 8, v47
	s_and_saveexec_b64 s[6:7], s[0:1]
	s_cbranch_execz .LBB325_77
; %bb.76:
	v_mov_b32_e32 v27, 0
	v_lshl_add_u64 v[18:19], v[24:25], 0, v[26:27]
	global_load_ushort v20, v[18:19], off
	v_lshl_add_u64 v[18:19], v[22:23], 0, v[26:27]
	s_waitcnt vmcnt(0)
	v_lshlrev_b32_e32 v20, 16, v20
	v_sub_f32_e32 v20, v20, v21
	global_store_short_d16_hi v[18:19], v20, off
	v_mul_f32_e32 v18, v39, v20
	v_lshrrev_b32_e32 v27, 16, v18
.LBB325_77:
	s_or_b64 exec, exec, s[6:7]
	v_lshlrev_b32_e32 v35, 5, v38
	s_mov_b32 s6, 0x5040100
	v_accvgpr_read_b32 v21, a3
	v_perm_b32 v49, v27, v33, s6
	v_or_b32_e32 v27, v35, v40
	v_accvgpr_read_b32 v20, a2
	v_accvgpr_read_b32 v19, a1
	;; [unrolled: 1-line block ×3, first 2 shown]
	v_perm_b32 v48, v31, v29, s6
	v_lshlrev_b32_e32 v27, 1, v27
	v_mov_b32_e32 v31, 0
	v_mov_b32_e32 v29, 0
	ds_write_b64 v27, v[48:49] offset:45056
	s_and_saveexec_b64 s[6:7], vcc
	s_cbranch_execz .LBB325_79
; %bb.78:
	v_mov_b32_e32 v29, 0
	v_lshl_add_u64 v[48:49], v[24:25], 0, v[28:29]
	global_load_ushort v27, v[48:49], off offset:32
	v_lshl_add_u64 v[28:29], v[22:23], 0, v[28:29]
	s_waitcnt vmcnt(0)
	v_lshlrev_b32_e32 v27, 16, v27
	v_sub_f32_e32 v18, v27, v18
	global_store_short_d16_hi v[28:29], v18, off offset:32
	v_mul_f32_e32 v18, v45, v18
	v_lshrrev_b32_e32 v29, 16, v18
.LBB325_79:
	s_or_b64 exec, exec, s[6:7]
	s_and_saveexec_b64 s[6:7], s[2:3]
	s_cbranch_execz .LBB325_81
; %bb.80:
	v_mov_b32_e32 v31, 0
	v_lshl_add_u64 v[48:49], v[24:25], 0, v[30:31]
	global_load_ushort v18, v[48:49], off offset:32
	v_lshl_add_u64 v[30:31], v[22:23], 0, v[30:31]
	s_waitcnt vmcnt(0)
	v_lshlrev_b32_e32 v18, 16, v18
	v_sub_f32_e32 v18, v18, v19
	global_store_short_d16_hi v[30:31], v18, off offset:32
	v_mul_f32_e32 v18, v44, v18
	v_lshrrev_b32_e32 v31, 16, v18
.LBB325_81:
	s_or_b64 exec, exec, s[6:7]
	v_mov_b32_e32 v27, 0
	v_mov_b32_e32 v28, 0
	s_and_saveexec_b64 s[2:3], s[4:5]
	s_cbranch_execz .LBB325_83
; %bb.82:
	v_mov_b32_e32 v33, 0
	v_lshl_add_u64 v[18:19], v[24:25], 0, v[32:33]
	global_load_ushort v28, v[18:19], off offset:32
	v_lshl_add_u64 v[18:19], v[22:23], 0, v[32:33]
	s_waitcnt vmcnt(0)
	v_lshlrev_b32_e32 v28, 16, v28
	v_sub_f32_e32 v20, v28, v20
	global_store_short_d16_hi v[18:19], v20, off offset:32
	v_mul_f32_e32 v18, v46, v20
	v_lshrrev_b32_e32 v28, 16, v18
.LBB325_83:
	s_or_b64 exec, exec, s[2:3]
	v_or_b32_e32 v19, 0xb000, v42
	v_or_b32_e32 v18, 0xb000, v43
	s_and_saveexec_b64 s[2:3], s[0:1]
	s_cbranch_execz .LBB325_85
; %bb.84:
	v_mov_b32_e32 v27, 0
	v_lshl_add_u64 v[24:25], v[24:25], 0, v[26:27]
	global_load_ushort v20, v[24:25], off offset:32
	v_lshl_add_u64 v[22:23], v[22:23], 0, v[26:27]
	s_waitcnt vmcnt(0)
	v_lshlrev_b32_e32 v20, 16, v20
	v_sub_f32_e32 v20, v20, v21
	global_store_short_d16_hi v[22:23], v20, off offset:32
	v_mul_f32_e32 v20, v39, v20
	v_lshrrev_b32_e32 v27, 16, v20
.LBB325_85:
	s_or_b64 exec, exec, s[2:3]
	s_mov_b32 s0, 0x5040100
	v_or_b32_e32 v22, v35, v37
	v_perm_b32 v21, v27, v28, s0
	v_perm_b32 v20, v31, v29, s0
	v_lshlrev_b32_e32 v22, 1, v22
	s_movk_i32 s2, 0x100
	ds_write_b64 v22, v[20:21] offset:45056
	v_and_b32_e32 v20, 7, v0
	v_and_b32_e32 v21, 8, v0
	v_cmp_gt_u32_e32 vcc, s2, v0
	v_lshrrev_b32_e32 v0, 1, v0
	v_lshlrev_b32_e32 v26, 3, v20
	v_lshlrev_b32_e32 v35, 7, v20
	v_mov_b32_e32 v20, 0x4000
	v_mov_b32_e32 v22, 0x2000
	v_lshlrev_b32_e32 v24, 3, v53
	v_and_b32_e32 v0, 24, v0
	v_cndmask_b32_e32 v27, v20, v22, vcc
	v_xor_b32_e32 v20, v24, v0
	v_or_b32_e32 v22, 0x440, v20
	v_cmp_eq_u32_e32 vcc, 0, v21
	v_or_b32_e32 v28, 32, v0
	v_xor_b32_e32 v28, v24, v28
	v_cndmask_b32_e32 v20, v22, v20, vcc
	v_or_b32_e32 v20, v20, v41
	v_xor_b32_e32 v48, v20, v26
	v_or_b32_e32 v29, 0x440, v28
	v_add3_u32 v25, v27, v48, v35
	v_cndmask_b32_e32 v28, v29, v28, vcc
	v_or_b32_e32 v29, 64, v0
	v_or_b32_e32 v0, 0x60, v0
	s_waitcnt lgkmcnt(0)
	s_barrier
	v_xor_b32_e32 v29, v24, v29
	v_xor_b32_e32 v0, v24, v0
	ds_read_b64 v[24:25], v25
	v_xor_b32_e32 v30, 0x440, v29
	ds_read2_b64 v[20:23], v19 offset1:16
	v_cndmask_b32_e32 v29, v30, v29, vcc
	v_xor_b32_e32 v30, 0x440, v0
	v_or_b32_e32 v28, v28, v41
	v_or_b32_e32 v29, v29, v41
	v_cndmask_b32_e32 v0, v30, v0, vcc
	v_xor_b32_e32 v50, v28, v26
	v_xor_b32_e32 v51, v29, v26
	v_or_b32_e32 v0, v0, v41
	v_add3_u32 v28, v27, v50, v35
	v_add3_u32 v29, v27, v51, v35
	v_xor_b32_e32 v52, v0, v26
	s_mul_i32 s0, s20, s21
	s_mul_hi_i32 s1, s20, s21
	v_add3_u32 v0, v27, v52, v35
	ds_read_b64 v[26:27], v28
	ds_read_b64 v[32:33], v29
	ds_read_b64 v[44:45], v0
	s_add_u32 s0, s0, s48
	ds_read2st64_b64 v[28:31], v19 offset0:2 offset1:4
	ds_read2st64_b64 v[40:43], v18 offset0:2 offset1:4
	s_waitcnt lgkmcnt(5)
	v_mfma_f32_16x16x16_bf16 a[0:3], v[24:25], v[20:21], 0
	s_addc_u32 s1, s1, s37
	s_lshl_b64 s[0:1], s[0:1], 9
	s_add_u32 s0, s40, s0
	v_mfma_f32_16x16x16_bf16 a[4:7], v[24:25], v[22:23], 0
	s_addc_u32 s1, s41, s1
	v_lshlrev_b32_e32 v0, 2, v38
	v_lshlrev_b32_e32 v36, 2, v36
	s_waitcnt lgkmcnt(1)
	v_mfma_f32_16x16x16_bf16 a[0:3], v[26:27], v[28:29], a[0:3]
	ds_read_b64 v[46:47], v19 offset:3072
	s_waitcnt lgkmcnt(1)
	v_mfma_f32_16x16x16_bf16 a[4:7], v[26:27], v[40:41], a[4:7]
	global_load_dwordx4 v[24:27], v0, s[0:1]
	v_lshlrev_b32_e32 v0, 6, v53
	v_or3_b32 v0, v0, v36, s2
	global_load_dwordx4 v[36:39], v0, s[0:1]
	v_mfma_f32_16x16x16_bf16 a[0:3], v[32:33], v[30:31], a[0:3]
	v_mov_b32_e32 v0, 0x3fb8aa3b
	v_mul_f32_e32 v0, s22, v0
	v_exp_f32_e32 v0, v0
	v_mfma_f32_16x16x16_bf16 a[4:7], v[32:33], v[42:43], a[4:7]
	ds_read_b64 v[32:33], v18 offset:3072
	s_waitcnt vmcnt(1)
	v_mul_f32_e32 v18, 0x3fb8aa3b, v24
	v_mul_f32_e32 v19, 0x3fb8aa3b, v25
	s_waitcnt lgkmcnt(1)
	v_mfma_f32_16x16x16_bf16 a[0:3], v[44:45], v[46:47], a[0:3]
	v_exp_f32_e32 v18, v18
	v_exp_f32_e32 v19, v19
	v_mul_f32_e32 v24, 0x3fb8aa3b, v26
	v_mul_f32_e32 v25, 0x3fb8aa3b, v27
	v_exp_f32_e32 v24, v24
	v_exp_f32_e32 v25, v25
	s_nop 0
	v_accvgpr_read_b32 v27, a3
	v_accvgpr_read_b32 v26, a2
	s_waitcnt lgkmcnt(0)
	v_mfma_f32_16x16x16_bf16 a[2:5], v[44:45], v[32:33], a[4:7]
	v_pk_mul_f32 v[44:45], v[0:1], v[18:19] op_sel_hi:[0,1]
	v_add_u32_e32 v18, v48, v35
	ds_read_b64 v[48:49], v18 offset:16384
	v_accvgpr_read_b32 v19, a1
	v_accvgpr_read_b32 v18, a0
	v_pk_fma_f32 v[18:19], v[2:3], v[44:45], v[18:19]
	v_add_u32_e32 v2, v50, v35
	v_add_u32_e32 v50, v51, v35
	s_waitcnt lgkmcnt(0)
	v_mfma_f32_16x16x16_bf16 a[6:9], v[48:49], v[20:21], 0
	v_add_u32_e32 v35, v52, v35
	ds_read_b64 v[2:3], v2 offset:16384
	ds_read_b64 v[50:51], v50 offset:16384
	;; [unrolled: 1-line block ×3, first 2 shown]
	v_pk_mul_f32 v[24:25], v[0:1], v[24:25] op_sel_hi:[0,1]
	v_pk_fma_f32 v[20:21], v[4:5], v[24:25], v[26:27]
	v_accvgpr_read_b32 v4, a2
	v_mfma_f32_16x16x16_bf16 a[10:13], v[48:49], v[22:23], 0
	v_fma_f32 v26, v10, v44, v4
	v_accvgpr_read_b32 v4, a3
	v_fma_f32 v27, v11, v45, v4
	s_waitcnt lgkmcnt(2)
	v_mfma_f32_16x16x16_bf16 a[0:3], v[2:3], v[28:29], a[6:9]
	v_accvgpr_read_b32 v4, a4
	v_accvgpr_read_b32 v29, a5
	v_fma_f32 v28, v12, v24, v4
	v_mfma_f32_16x16x16_bf16 a[4:7], v[2:3], v[40:41], a[10:13]
	s_waitcnt vmcnt(0)
	v_mov_b32_e32 v2, v37
	v_mov_b32_e32 v3, v38
	;; [unrolled: 1-line block ×3, first 2 shown]
	s_waitcnt lgkmcnt(1)
	v_mfma_f32_16x16x16_bf16 a[0:3], v[50:51], v[30:31], a[0:3]
	v_mul_f32_e32 v2, 0x3fb8aa3b, v2
	v_mul_f32_e32 v5, 0x3fb8aa3b, v36
	v_exp_f32_e32 v11, v2
	v_mfma_f32_16x16x16_bf16 a[4:7], v[50:51], v[42:43], a[4:7]
	v_mul_f32_e32 v2, 0x3fb8aa3b, v3
	v_mul_f32_e32 v3, 0x3fb8aa3b, v4
	v_exp_f32_e32 v10, v5
	s_waitcnt lgkmcnt(0)
	v_mfma_f32_16x16x16_bf16 a[0:3], v[52:53], v[46:47], a[0:3]
	v_exp_f32_e32 v2, v2
	v_exp_f32_e32 v3, v3
	v_pk_mul_f32 v[10:11], v[0:1], v[10:11] op_sel_hi:[0,1]
	v_fmac_f32_e32 v29, v13, v25
	v_mov_b32_e32 v35, v34
	v_pk_mul_f32 v[2:3], v[0:1], v[2:3] op_sel_hi:[0,1]
	s_nop 0
	v_accvgpr_read_b32 v5, a3
	v_accvgpr_read_b32 v4, a2
	v_mfma_f32_16x16x16_bf16 a[2:5], v[52:53], v[32:33], a[4:7]
	v_accvgpr_read_b32 v13, a1
	v_accvgpr_read_b32 v12, a0
	v_pk_fma_f32 v[22:23], v[6:7], v[10:11], v[12:13]
	v_pk_fma_f32 v[24:25], v[8:9], v[2:3], v[4:5]
	s_nop 2
	v_accvgpr_read_b32 v0, a2
	v_fma_f32 v30, v14, v10, v0
	v_accvgpr_read_b32 v0, a3
	v_fma_f32 v31, v15, v11, v0
	v_accvgpr_read_b32 v0, a4
	v_accvgpr_read_b32 v33, a5
	v_fma_f32 v32, v16, v2, v0
	v_fmac_f32_e32 v33, v17, v3
	v_mov_b64_e32 v[2:3], v[18:19]
	v_mov_b64_e32 v[4:5], v[20:21]
	;; [unrolled: 1-line block ×8, first 2 shown]
.LBB325_86:
	s_mul_i32 s0, s49, s35
	s_mul_hi_u32 s1, s49, s34
	s_add_i32 s0, s1, s0
	s_mul_i32 s1, s33, s34
	s_add_i32 s1, s0, s1
	s_mul_i32 s0, s49, s34
	s_add_u32 s0, s0, s48
	s_addc_u32 s1, s1, s37
	s_lshl_b64 s[0:1], s[0:1], 15
	s_add_u32 s0, s8, s0
	v_lshlrev_b32_e32 v18, 7, v35
	s_addc_u32 s1, s9, s1
	v_ashrrev_i32_e32 v19, 31, v18
	v_lshl_add_u64 v[20:21], v[18:19], 1, s[0:1]
	v_lshlrev_b32_e32 v0, 1, v1
	v_mov_b32_e32 v1, 0
	s_mov_b32 s2, 0x7060302
	v_lshl_add_u64 v[20:21], v[20:21], 0, v[0:1]
	v_perm_b32 v5, v5, v4, s2
	v_perm_b32 v4, v3, v2, s2
	;; [unrolled: 1-line block ×4, first 2 shown]
	global_store_dwordx2 v[20:21], v[2:3], off offset:128
	v_or_b32_e32 v2, 0x800, v18
	v_ashrrev_i32_e32 v3, 31, v2
	v_lshl_add_u64 v[2:3], v[2:3], 1, s[0:1]
	v_lshl_add_u64 v[0:1], v[2:3], 0, v[0:1]
	v_perm_b32 v3, v13, v12, s2
	v_perm_b32 v2, v11, v10, s2
	global_store_dwordx2 v[0:1], v[2:3], off
	v_perm_b32 v3, v17, v16, s2
	v_perm_b32 v2, v15, v14, s2
	global_store_dwordx2 v[20:21], v[4:5], off
	global_store_dwordx2 v[0:1], v[2:3], off offset:128
	s_endpgm
	.section	.rodata,"a",@progbits
	.p2align	6, 0x0
	.amdhsa_kernel _ZN12_GLOBAL__N_139chunk_gated_delta_rule_fwd_h_hip_kernelILi32ELb0ELb1ELb1ELb1ELb0ELb1ELb1ELb1EEEvPK12hip_bfloat16S3_S3_PKfS5_PKvPS1_S8_PvPKiSB_iiiiilll
		.amdhsa_group_segment_fixed_size 49152
		.amdhsa_private_segment_fixed_size 0
		.amdhsa_kernarg_size 136
		.amdhsa_user_sgpr_count 2
		.amdhsa_user_sgpr_dispatch_ptr 0
		.amdhsa_user_sgpr_queue_ptr 0
		.amdhsa_user_sgpr_kernarg_segment_ptr 1
		.amdhsa_user_sgpr_dispatch_id 0
		.amdhsa_user_sgpr_kernarg_preload_length 0
		.amdhsa_user_sgpr_kernarg_preload_offset 0
		.amdhsa_user_sgpr_private_segment_size 0
		.amdhsa_uses_dynamic_stack 0
		.amdhsa_enable_private_segment 0
		.amdhsa_system_sgpr_workgroup_id_x 1
		.amdhsa_system_sgpr_workgroup_id_y 1
		.amdhsa_system_sgpr_workgroup_id_z 0
		.amdhsa_system_sgpr_workgroup_info 0
		.amdhsa_system_vgpr_workitem_id 0
		.amdhsa_next_free_vgpr 168
		.amdhsa_next_free_sgpr 70
		.amdhsa_accum_offset 144
		.amdhsa_reserve_vcc 1
		.amdhsa_float_round_mode_32 0
		.amdhsa_float_round_mode_16_64 0
		.amdhsa_float_denorm_mode_32 3
		.amdhsa_float_denorm_mode_16_64 3
		.amdhsa_dx10_clamp 1
		.amdhsa_ieee_mode 1
		.amdhsa_fp16_overflow 0
		.amdhsa_tg_split 0
		.amdhsa_exception_fp_ieee_invalid_op 0
		.amdhsa_exception_fp_denorm_src 0
		.amdhsa_exception_fp_ieee_div_zero 0
		.amdhsa_exception_fp_ieee_overflow 0
		.amdhsa_exception_fp_ieee_underflow 0
		.amdhsa_exception_fp_ieee_inexact 0
		.amdhsa_exception_int_div_zero 0
	.end_amdhsa_kernel
	.section	.text._ZN12_GLOBAL__N_139chunk_gated_delta_rule_fwd_h_hip_kernelILi32ELb0ELb1ELb1ELb1ELb0ELb1ELb1ELb1EEEvPK12hip_bfloat16S3_S3_PKfS5_PKvPS1_S8_PvPKiSB_iiiiilll,"axG",@progbits,_ZN12_GLOBAL__N_139chunk_gated_delta_rule_fwd_h_hip_kernelILi32ELb0ELb1ELb1ELb1ELb0ELb1ELb1ELb1EEEvPK12hip_bfloat16S3_S3_PKfS5_PKvPS1_S8_PvPKiSB_iiiiilll,comdat
.Lfunc_end325:
	.size	_ZN12_GLOBAL__N_139chunk_gated_delta_rule_fwd_h_hip_kernelILi32ELb0ELb1ELb1ELb1ELb0ELb1ELb1ELb1EEEvPK12hip_bfloat16S3_S3_PKfS5_PKvPS1_S8_PvPKiSB_iiiiilll, .Lfunc_end325-_ZN12_GLOBAL__N_139chunk_gated_delta_rule_fwd_h_hip_kernelILi32ELb0ELb1ELb1ELb1ELb0ELb1ELb1ELb1EEEvPK12hip_bfloat16S3_S3_PKfS5_PKvPS1_S8_PvPKiSB_iiiiilll
                                        ; -- End function
	.section	.AMDGPU.csdata,"",@progbits
; Kernel info:
; codeLenInByte = 10080
; NumSgprs: 76
; NumVgprs: 142
; NumAgprs: 24
; TotalNumVgprs: 168
; ScratchSize: 0
; MemoryBound: 0
; FloatMode: 240
; IeeeMode: 1
; LDSByteSize: 49152 bytes/workgroup (compile time only)
; SGPRBlocks: 9
; VGPRBlocks: 20
; NumSGPRsForWavesPerEU: 76
; NumVGPRsForWavesPerEU: 168
; AccumOffset: 144
; Occupancy: 1
; WaveLimiterHint : 1
; COMPUTE_PGM_RSRC2:SCRATCH_EN: 0
; COMPUTE_PGM_RSRC2:USER_SGPR: 2
; COMPUTE_PGM_RSRC2:TRAP_HANDLER: 0
; COMPUTE_PGM_RSRC2:TGID_X_EN: 1
; COMPUTE_PGM_RSRC2:TGID_Y_EN: 1
; COMPUTE_PGM_RSRC2:TGID_Z_EN: 0
; COMPUTE_PGM_RSRC2:TIDIG_COMP_CNT: 0
; COMPUTE_PGM_RSRC3_GFX90A:ACCUM_OFFSET: 35
; COMPUTE_PGM_RSRC3_GFX90A:TG_SPLIT: 0
	.section	.text._ZN12_GLOBAL__N_139chunk_gated_delta_rule_fwd_h_hip_kernelILi32ELb0ELb1ELb0ELb1ELb0ELb1ELb1ELb1EEEvPK12hip_bfloat16S3_S3_PKfS5_PKvPS1_S8_PvPKiSB_iiiiilll,"axG",@progbits,_ZN12_GLOBAL__N_139chunk_gated_delta_rule_fwd_h_hip_kernelILi32ELb0ELb1ELb0ELb1ELb0ELb1ELb1ELb1EEEvPK12hip_bfloat16S3_S3_PKfS5_PKvPS1_S8_PvPKiSB_iiiiilll,comdat
	.globl	_ZN12_GLOBAL__N_139chunk_gated_delta_rule_fwd_h_hip_kernelILi32ELb0ELb1ELb0ELb1ELb0ELb1ELb1ELb1EEEvPK12hip_bfloat16S3_S3_PKfS5_PKvPS1_S8_PvPKiSB_iiiiilll ; -- Begin function _ZN12_GLOBAL__N_139chunk_gated_delta_rule_fwd_h_hip_kernelILi32ELb0ELb1ELb0ELb1ELb0ELb1ELb1ELb1EEEvPK12hip_bfloat16S3_S3_PKfS5_PKvPS1_S8_PvPKiSB_iiiiilll
	.p2align	8
	.type	_ZN12_GLOBAL__N_139chunk_gated_delta_rule_fwd_h_hip_kernelILi32ELb0ELb1ELb0ELb1ELb0ELb1ELb1ELb1EEEvPK12hip_bfloat16S3_S3_PKfS5_PKvPS1_S8_PvPKiSB_iiiiilll,@function
_ZN12_GLOBAL__N_139chunk_gated_delta_rule_fwd_h_hip_kernelILi32ELb0ELb1ELb0ELb1ELb0ELb1ELb1ELb1EEEvPK12hip_bfloat16S3_S3_PKfS5_PKvPS1_S8_PvPKiSB_iiiiilll: ; @_ZN12_GLOBAL__N_139chunk_gated_delta_rule_fwd_h_hip_kernelILi32ELb0ELb1ELb0ELb1ELb0ELb1ELb1ELb1EEEvPK12hip_bfloat16S3_S3_PKfS5_PKvPS1_S8_PvPKiSB_iiiiilll
; %bb.0:
	s_load_dwordx4 s[16:19], s[0:1], 0x5c
	s_load_dwordx4 s[20:23], s[0:1], 0x70
	s_abs_i32 s27, s3
	s_ashr_i32 s26, s3, 31
	s_load_dwordx8 s[4:11], s[0:1], 0x0
	s_load_dwordx2 s[36:37], s[0:1], 0x20
	s_load_dwordx2 s[40:41], s[0:1], 0x30
	s_waitcnt lgkmcnt(0)
	s_abs_i32 s28, s17
	v_cvt_f32_u32_e32 v1, s28
	s_sub_i32 s29, 0, s28
	s_ashr_i32 s33, s17, 31
	s_xor_b32 s26, s26, s33
	v_rcp_iflag_f32_e32 v1, v1
	s_load_dwordx4 s[12:15], s[0:1], 0x40
	s_load_dwordx2 s[24:25], s[0:1], 0x50
	v_lshrrev_b32_e32 v53, 6, v0
	v_bfe_u32 v62, v0, 4, 2
	v_mul_f32_e32 v1, 0x4f7ffffe, v1
	v_cvt_u32_f32_e32 v1, v1
	v_lshlrev_b32_e32 v60, 4, v53
	v_lshlrev_b32_e32 v18, 2, v62
	v_and_b32_e32 v61, 63, v0
	v_readfirstlane_b32 s30, v1
	s_mul_i32 s29, s29, s30
	s_mul_hi_u32 s29, s30, s29
	s_add_i32 s30, s30, s29
	s_mul_hi_u32 s29, s27, s30
	s_mul_i32 s30, s29, s28
	s_sub_i32 s27, s27, s30
	s_add_i32 s30, s29, 1
	s_sub_i32 s31, s27, s28
	s_cmp_ge_u32 s27, s28
	s_cselect_b32 s29, s30, s29
	s_cselect_b32 s27, s31, s27
	s_add_i32 s30, s29, 1
	s_cmp_ge_u32 s27, s28
	s_cselect_b32 s27, s30, s29
	s_xor_b32 s27, s27, s26
	s_sub_i32 s34, s27, s26
	s_mul_i32 s26, s34, s17
	s_ashr_i32 s35, s34, 31
	s_sub_i32 s46, s3, s26
	s_lshl_b64 s[26:27], s[34:35], 2
	s_waitcnt lgkmcnt(0)
	s_add_u32 s14, s14, s26
	s_addc_u32 s15, s15, s27
	s_add_u32 s24, s24, s26
	s_addc_u32 s25, s25, s27
	s_abs_i32 s3, s18
	v_cvt_f32_u32_e32 v1, s3
	s_load_dwordx2 s[38:39], s[14:15], 0x0
	s_sub_i32 s15, 0, s3
	s_load_dword s52, s[24:25], 0x0
	v_rcp_iflag_f32_e32 v1, v1
	v_mov_b32_e32 v17, 0
	s_waitcnt lgkmcnt(0)
	s_sub_i32 s56, s39, s38
	s_ashr_i32 s14, s56, 31
	v_mul_f32_e32 v1, 0x4f7ffffe, v1
	v_cvt_u32_f32_e32 v1, v1
	s_lshr_b32 s14, s14, 26
	s_add_i32 s14, s56, s14
	s_ashr_i32 s51, s14, 6
	v_readfirstlane_b32 s26, v1
	s_mul_i32 s15, s15, s26
	s_mul_hi_u32 s15, s26, s15
	s_add_i32 s26, s26, s15
	s_mul_hi_u32 s15, s28, s26
	s_mul_i32 s26, s15, s3
	s_ashr_i32 s14, s18, 31
	s_sub_i32 s26, s28, s26
	s_xor_b32 s14, s33, s14
	s_add_i32 s27, s15, 1
	s_sub_i32 s28, s26, s3
	s_cmp_ge_u32 s26, s3
	s_cselect_b32 s15, s27, s15
	s_cselect_b32 s26, s28, s26
	s_add_i32 s27, s15, 1
	s_cmp_ge_u32 s26, s3
	s_cselect_b32 s3, s27, s15
	s_xor_b32 s3, s3, s14
	s_sub_i32 s3, s3, s14
	s_abs_i32 s26, s3
	v_cvt_f32_u32_e32 v1, s26
	s_load_dwordx2 s[14:15], s[0:1], 0x80
	s_xor_b32 s0, s46, s3
	s_sub_i32 s3, 0, s26
	v_rcp_iflag_f32_e32 v1, v1
	s_abs_i32 s1, s46
	s_ashr_i32 s0, s0, 31
	s_mov_b32 s47, s17
	v_mul_f32_e32 v1, 0x4f7ffffe, v1
	v_cvt_u32_f32_e32 v1, v1
	v_and_b32_e32 v63, 15, v0
	s_mul_hi_i32 s53, s46, s16
	s_mul_i32 s54, s46, s16
	v_readfirstlane_b32 s24, v1
	s_mul_i32 s3, s3, s24
	s_mul_hi_u32 s3, s24, s3
	s_add_i32 s24, s24, s3
	s_mul_hi_u32 s3, s1, s24
	s_mul_i32 s24, s3, s26
	s_sub_i32 s1, s1, s24
	s_add_i32 s24, s3, 1
	s_sub_i32 s25, s1, s26
	s_cmp_ge_u32 s1, s26
	s_cselect_b32 s3, s24, s3
	s_cselect_b32 s1, s25, s1
	s_add_i32 s24, s3, 1
	s_cmp_ge_u32 s1, s26
	s_cselect_b32 s1, s24, s3
	s_xor_b32 s1, s1, s0
	s_sub_i32 s55, s1, s0
	v_or_b32_e32 v1, v18, v60
	s_lshl_b32 s2, s2, 5
	v_or_b32_e32 v66, 64, v1
	s_cmp_lt_i32 s56, 64
	v_lshrrev_b32_e32 v65, 3, v61
	v_lshlrev_b32_e32 v64, 3, v0
	s_mul_i32 s48, s34, s21
	s_mul_hi_u32 s49, s34, s20
	s_mul_i32 s50, s35, s20
	s_mul_i32 s20, s34, s20
	v_mov_b32_e32 v16, v17
	v_mov_b32_e32 v15, v17
	;; [unrolled: 1-line block ×15, first 2 shown]
	s_cbranch_scc1 .LBB326_19
; %bb.1:
	s_ashr_i32 s58, s46, 31
	s_ashr_i32 s1, s38, 31
	s_add_u32 s0, s54, s38
	s_addc_u32 s1, s53, s1
	s_lshl_b64 s[0:1], s[0:1], 8
	v_and_b32_e32 v68, 56, v64
	s_add_u32 s24, s6, s0
	v_lshl_or_b32 v67, v53, 3, v65
	v_lshlrev_b32_e32 v2, 1, v68
	s_addc_u32 s0, s7, s1
	v_lshl_or_b32 v69, v67, 8, v2
	s_and_b32 s25, s0, 0xffff
	s_mov_b32 s27, 0x20000
	s_movk_i32 s26, 0x4000
	s_movk_i32 s0, 0x80
	v_or_b32_e32 v70, 0x2000, v69
	buffer_load_dwordx4 v[4:7], v69, s[24:27], 0 offen
	buffer_load_dwordx4 v[8:11], v69, s[24:27], s0 offen
	;; [unrolled: 1-line block ×4, first 2 shown]
	v_lshlrev_b32_e32 v3, 3, v67
	v_and_or_b32 v17, v0, 7, v3
	v_and_b32_e32 v3, 0x78, v3
	v_lshlrev_b32_e32 v17, 4, v17
	v_xor_b32_e32 v71, v17, v3
	v_mul_lo_u32 v16, v67, s19
	v_or_b32_e32 v72, 0x1000, v71
	v_xor_b32_e32 v3, 8, v71
	s_cmpk_eq_i32 s19, 0x80
	s_mov_b32 s57, s38
	v_xor_b32_e32 v17, 8, v72
	s_cselect_b64 s[0:1], -1, 0
	s_cmpk_lg_i32 s19, 0x80
	s_waitcnt vmcnt(3)
	ds_write_b64 v71, v[4:5] offset:24576
	ds_write_b64 v3, v[6:7] offset:24576
	s_waitcnt vmcnt(2)
	ds_write_b64 v71, v[8:9] offset:32768
	ds_write_b64 v3, v[10:11] offset:32768
	s_waitcnt vmcnt(1)
	ds_write_b64 v71, v[12:13] offset:28672
	ds_write_b64 v17, v[14:15] offset:24576
	s_waitcnt vmcnt(0)
	ds_write_b64 v71, v[20:21] offset:36864
	ds_write_b64 v17, v[22:23] offset:32768
	v_lshl_add_u32 v3, v16, 1, v68
	s_cbranch_scc0 .LBB326_3
; %bb.2:
	v_lshlrev_b32_e32 v5, 1, v3
	v_add_lshl_u32 v4, v3, s19, 1
	s_lshl_b32 s26, s19, 7
	v_lshl_or_b32 v2, v67, 9, v2
	s_cbranch_execz .LBB326_4
	s_branch .LBB326_5
.LBB326_3:
                                        ; implicit-def: $vgpr4
                                        ; implicit-def: $vgpr5
                                        ; implicit-def: $sgpr26
	v_lshl_or_b32 v2, v67, 9, v2
.LBB326_4:
	v_or_b32_e32 v4, 0x100, v2
	s_movk_i32 s26, 0x4000
	v_mov_b32_e32 v5, v2
.LBB326_5:
	s_mul_i32 s21, s38, s18
	s_ashr_i32 s59, s55, 31
	s_mul_hi_i32 s3, s38, s18
	s_add_u32 s24, s21, s55
	s_addc_u32 s25, s3, s59
	s_lshl_b64 s[24:25], s[24:25], 8
	s_add_u32 s24, s4, s24
	s_addc_u32 s3, s5, s25
	s_and_b32 s25, s3, 0xffff
	s_movk_i32 s60, 0x80
	buffer_load_dwordx4 v[6:9], v5, s[24:27], 0 offen
	buffer_load_dwordx4 v[10:13], v5, s[24:27], s60 offen
	;; [unrolled: 1-line block ×4, first 2 shown]
	v_and_b32_e32 v4, 6, v0
	v_lshlrev_b32_e32 v24, 6, v1
	v_or_b32_e32 v26, 16, v63
	v_xor_b32_e32 v27, v67, v4
	v_and_b32_e32 v5, 1, v0
	v_lshl_or_b32 v30, v63, 3, v24
	v_lshl_or_b32 v24, v26, 3, v24
	v_lshlrev_b32_e32 v27, 2, v27
	v_lshlrev_b32_e32 v19, 2, v63
	s_mul_i32 s3, s46, s23
	s_mul_hi_u32 s21, s46, s22
	v_or_b32_e32 v75, 0xa000, v24
	v_or_b32_e32 v76, 0xb000, v24
	v_xor_b32_e32 v24, 0x440, v27
	v_cmp_eq_u32_e32 vcc, 0, v5
	s_add_i32 s25, s49, s48
	s_mul_i32 s24, s58, s22
	v_xor_b32_e32 v28, v1, v19
	v_xor_b32_e32 v29, v66, v19
	v_cndmask_b32_e32 v5, v24, v27, vcc
	s_add_i32 s3, s21, s3
	s_add_i32 s21, s25, s50
	s_mov_b32 s61, 0x1000504
	v_lshlrev_b32_e32 v25, 8, v63
	v_lshlrev_b32_e32 v26, 8, v26
	;; [unrolled: 1-line block ×4, first 2 shown]
	v_lshl_or_b32 v4, v4, 10, v5
	s_add_i32 s25, s3, s24
	s_lshl_b64 s[28:29], s[20:21], 2
	s_mov_b32 s62, 0x3020706
	v_or_b32_e32 v73, 0xa000, v30
	v_or_b32_e32 v74, 0xb000, v30
	;; [unrolled: 1-line block ×5, first 2 shown]
	v_xor_b32_e32 v5, 8, v4
	v_xor_b32_e32 v25, 24, v4
	v_xor_b32_e32 v27, 40, v4
	v_xor_b32_e32 v29, 56, v4
	s_mul_i32 s24, s46, s22
	s_add_u32 s3, s10, s28
	v_or_b32_e32 v79, v26, v28
	v_xor_b32_e32 v24, 16, v4
	v_xor_b32_e32 v26, 32, v4
	;; [unrolled: 1-line block ×3, first 2 shown]
	v_add_u32_e32 v5, 0x80, v5
	v_add_u32_e32 v25, 0x80, v25
	;; [unrolled: 1-line block ×4, first 2 shown]
	s_addc_u32 s21, s11, s29
	s_lshl_b64 s[24:25], s[24:25], 2
	s_add_u32 s42, s3, s24
	s_movk_i32 s3, 0xf8
	s_addc_u32 s43, s21, s25
	s_lshl_b32 s30, s19, 7
	s_movk_i32 s28, 0x100
	v_mov_b32_e32 v55, 0
	v_lshlrev_b32_e32 v54, 4, v63
	v_cmp_gt_u32_e32 vcc, s28, v0
	s_mov_b32 s63, 0
	s_movk_i32 s21, 0x1000
	s_movk_i32 s26, 0x4000
	v_add_u32_e32 v94, v60, v18
	v_mov_b32_e32 v105, 0x3fb8aa3b
	v_mov_b32_e32 v106, v55
	;; [unrolled: 1-line block ×9, first 2 shown]
	s_waitcnt vmcnt(1)
	v_perm_b32 v30, v6, v14, s61
	s_waitcnt vmcnt(0)
	v_perm_b32 v31, v10, v20, s61
	v_perm_b32 v6, v6, v14, s62
	;; [unrolled: 1-line block ×15, first 2 shown]
	ds_write2st64_b32 v4, v30, v31 offset0:32 offset1:64
	ds_write2st64_b32 v5, v6, v10 offset0:32 offset1:64
	;; [unrolled: 1-line block ×8, first 2 shown]
	v_or_b32_e32 v4, v60, v63
	v_lshlrev_b32_e32 v4, 3, v4
	v_lshrrev_b32_e32 v6, 5, v61
	v_and_or_b32 v6, v4, s3, v6
	v_lshlrev_b32_e32 v6, 4, v6
	v_lshrrev_b32_e32 v5, 2, v61
	v_lshlrev_b32_e32 v11, 11, v53
	v_and_b32_e32 v4, 0x78, v4
	v_or_b32_e32 v10, 32, v6
	v_and_b32_e32 v7, 12, v5
	v_and_b32_e32 v5, 0x1000, v11
	v_xor_b32_e32 v8, v6, v4
	v_lshrrev_b32_e32 v9, 1, v61
	v_xor_b32_e32 v10, v10, v4
	v_or_b32_e32 v8, v8, v5
	v_and_b32_e32 v9, 8, v9
	v_lshlrev_b32_e32 v12, 7, v62
	v_or_b32_e32 v10, v10, v5
	v_xor_b32_e32 v81, v8, v9
	v_or_b32_e32 v8, v12, v19
	v_xor_b32_e32 v83, v10, v9
	v_or_b32_e32 v10, 64, v6
	v_or_b32_e32 v6, 0x60, v6
	s_ashr_i32 s3, s2, 31
	v_lshlrev_b32_e32 v8, 1, v8
	v_xor_b32_e32 v10, v10, v4
	v_xor_b32_e32 v4, v6, v4
	s_lshl_b64 s[24:25], s[2:3], 8
	v_or_b32_e32 v82, 0xa000, v8
	v_or_b32_e32 v84, 0xa080, v8
	;; [unrolled: 1-line block ×6, first 2 shown]
	s_add_u32 s24, s40, s24
	v_lshlrev_b32_e32 v8, 1, v63
	v_lshlrev_b32_e32 v19, 2, v0
	v_lshrrev_b32_e32 v22, 1, v0
	v_xor_b32_e32 v85, v10, v9
	v_xor_b32_e32 v86, v4, v9
	v_lshrrev_b32_e32 v10, 4, v0
	s_addc_u32 s25, s41, s25
	v_or_b32_e32 v9, 1, v8
	v_mov_b32_e32 v20, 0x4000
	v_mov_b32_e32 v21, 0x2000
	v_and_b32_e32 v22, 24, v22
	v_and_or_b32 v12, v19, 60, v12
	v_mov_b32_e32 v19, 0xb000
	v_xor_b32_e32 v15, v10, v8
	v_xor_b32_e32 v16, v9, v10
	v_lshl_add_u64 v[8:9], s[24:25], 0, v[54:55]
	v_lshlrev_b32_e32 v54, 8, v10
	v_cndmask_b32_e32 v20, v20, v21, vcc
	v_lshlrev_b32_e32 v21, 3, v53
	v_lshl_or_b32 v91, v12, 1, v19
	v_or_b32_e32 v12, 32, v22
	v_lshl_or_b32 v89, v15, 3, v54
	v_and_b32_e32 v15, 8, v0
	v_xor_b32_e32 v12, v21, v12
	v_cmp_eq_u32_e32 vcc, 0, v15
	v_or_b32_e32 v19, 0x440, v12
	v_and_b32_e32 v10, 7, v0
	v_cndmask_b32_e32 v12, v19, v12, vcc
	v_lshl_or_b32 v90, v16, 3, v54
	v_lshlrev_b32_e32 v16, 3, v10
	v_or_b32_e32 v12, v12, v11
	v_xor_b32_e32 v19, v12, v16
	v_or_b32_e32 v12, 64, v22
	v_xor_b32_e32 v12, v21, v12
	v_xor_b32_e32 v25, 0x440, v12
	v_cndmask_b32_e32 v12, v25, v12, vcc
	v_or_b32_e32 v12, v12, v11
	v_xor_b32_e32 v25, v12, v16
	v_or_b32_e32 v12, 0x60, v22
	v_xor_b32_e32 v23, v21, v22
	v_xor_b32_e32 v12, v21, v12
	v_or_b32_e32 v24, 0x440, v23
	v_xor_b32_e32 v21, 0x440, v12
	v_cndmask_b32_e32 v15, v24, v23, vcc
	v_cndmask_b32_e32 v12, v21, v12, vcc
	v_or_b32_e32 v15, v15, v11
	v_or_b32_e32 v11, v12, v11
	;; [unrolled: 1-line block ×3, first 2 shown]
	v_xor_b32_e32 v15, v15, v16
	v_xor_b32_e32 v11, v11, v16
	v_lshlrev_b32_e32 v6, 7, v1
	v_ashrrev_i32_e32 v5, 31, v4
	v_lshlrev_b32_e32 v13, 1, v3
	v_add_lshl_u32 v3, v3, s19, 1
	v_or_b32_e32 v14, 0x100, v2
	v_lshlrev_b32_e32 v17, 7, v10
	v_or_b32_e32 v10, v7, v60
	v_add_u32_e32 v23, v20, v15
	v_add_u32_e32 v24, v20, v19
	;; [unrolled: 1-line block ×4, first 2 shown]
	v_or3_b32 v12, v60, v7, 64
	v_add_u32_e32 v7, 0x4000, v15
	v_add_u32_e32 v15, 0x4000, v19
	;; [unrolled: 1-line block ×4, first 2 shown]
	v_cndmask_b32_e64 v92, v13, v2, s[0:1]
	v_cndmask_b32_e64 v93, v3, v14, s[0:1]
	v_lshl_add_u64 v[56:57], v[4:5], 1, s[8:9]
	v_lshl_add_u64 v[58:59], v[8:9], 0, v[54:55]
	s_mov_b32 s3, 0x7060302
	v_lshlrev_b32_e32 v54, 1, v6
	v_lshlrev_b32_e32 v95, 2, v10
	v_add_u32_e32 v96, v23, v17
	v_add_u32_e32 v97, v24, v17
	;; [unrolled: 1-line block ×4, first 2 shown]
	v_lshlrev_b32_e32 v100, 2, v12
	v_add_u32_e32 v101, v7, v17
	v_add_u32_e32 v102, v15, v17
	v_add_u32_e32 v103, v19, v17
	v_add_u32_e32 v104, v11, v17
	v_mov_b32_e32 v2, v55
	v_mov_b32_e32 v3, v55
	;; [unrolled: 1-line block ×8, first 2 shown]
	s_waitcnt lgkmcnt(0)
	s_barrier
.LBB326_6:                              ; =>This Inner Loop Header: Depth=1
	s_add_i32 s64, s63, 1
	s_cmp_lt_i32 s64, s51
	s_mov_b64 s[28:29], 0
	s_cselect_b64 s[44:45], -1, 0
	s_cmp_ge_i32 s64, s51
	s_mov_b64 s[24:25], 0
	s_cbranch_scc1 .LBB326_8
; %bb.7:                                ;   in Loop: Header=BB326_6 Depth=1
	s_add_i32 s0, s57, 64
	s_ashr_i32 s1, s0, 31
	s_add_u32 s0, s54, s0
	s_addc_u32 s1, s53, s1
	s_lshl_b64 s[0:1], s[0:1], 8
	s_add_u32 s24, s6, s0
	s_addc_u32 s25, s7, s1
.LBB326_8:                              ;   in Loop: Header=BB326_6 Depth=1
	v_cndmask_b32_e64 v10, 0, 1, s[44:45]
	v_cmp_ne_u32_e64 s[0:1], 1, v10
	s_andn2_b64 vcc, exec, s[44:45]
	s_cbranch_vccnz .LBB326_10
; %bb.9:                                ;   in Loop: Header=BB326_6 Depth=1
	s_add_i32 s28, s57, 64
	s_mul_hi_i32 s29, s28, s18
	s_mul_i32 s28, s28, s18
	s_add_u32 s28, s28, s55
	s_addc_u32 s29, s29, s59
	s_lshl_b64 s[28:29], s[28:29], 8
	s_add_u32 s28, s4, s28
	s_addc_u32 s29, s5, s29
.LBB326_10:                             ;   in Loop: Header=BB326_6 Depth=1
	v_perm_b32 v11, v5, v4, s3
	v_perm_b32 v10, v3, v2, s3
	;; [unrolled: 1-line block ×4, first 2 shown]
	ds_write_b64 v73, v[10:11]
	ds_write_b64 v74, v[12:13]
	;; [unrolled: 1-line block ×4, first 2 shown]
	v_perm_b32 v11, v113, v108, s3
	v_perm_b32 v10, v107, v106, s3
	;; [unrolled: 1-line block ×4, first 2 shown]
	ds_write_b64 v75, v[10:11]
	ds_write_b64 v76, v[12:13]
	;; [unrolled: 1-line block ×4, first 2 shown]
	s_waitcnt lgkmcnt(0)
	s_barrier
	ds_read_b64 v[14:15], v81 offset:24576
	ds_read2_b64 v[10:13], v82 offset1:16
	ds_read_b64 v[18:19], v84 offset:3072
	ds_read_b64 v[20:21], v82 offset:3072
	;; [unrolled: 1-line block ×3, first 2 shown]
	s_waitcnt lgkmcnt(3)
	v_mfma_f32_16x16x16_bf16 a[0:3], v[14:15], v[10:11], 0
	s_add_i32 s65, s57, 63
	s_ashr_i32 s31, s65, 31
	s_mul_i32 s44, s65, s15
	v_mfma_f32_16x16x16_bf16 a[4:7], v[14:15], v[12:13], 0
	ds_read2st64_b64 v[10:13], v82 offset0:2 offset1:4
	s_mul_hi_u32 s45, s65, s14
	s_add_i32 s44, s45, s44
	s_waitcnt lgkmcnt(0)
	v_mfma_f32_16x16x16_bf16 a[0:3], v[22:23], v[10:11], a[0:3]
	ds_read2st64_b64 v[14:17], v84 offset0:2 offset1:4
	ds_read_b64 v[10:11], v85 offset:24576
	s_mul_i32 s31, s31, s14
	s_add_i32 s45, s44, s31
	s_waitcnt lgkmcnt(1)
	v_mfma_f32_16x16x16_bf16 a[4:7], v[22:23], v[14:15], a[4:7]
	ds_read_b64 v[14:15], v86 offset:24576
	s_mul_i32 s44, s65, s14
	s_lshl_b64 s[44:45], s[44:45], 2
	s_waitcnt lgkmcnt(1)
	v_mfma_f32_16x16x16_bf16 a[0:3], v[10:11], v[12:13], a[0:3]
	s_add_u32 s44, s42, s44
	s_addc_u32 s45, s43, s45
	s_and_b64 vcc, exec, s[0:1]
	v_mfma_f32_16x16x16_bf16 a[4:7], v[10:11], v[16:17], a[4:7]
	v_mov_b32_e32 v116, 0
	v_mov_b32_e32 v115, 0
	;; [unrolled: 1-line block ×3, first 2 shown]
	s_waitcnt lgkmcnt(0)
	v_mfma_f32_16x16x16_bf16 a[0:3], v[14:15], v[20:21], a[0:3]
	v_mov_b32_e32 v10, 0
	v_mov_b32_e32 v11, 0
	;; [unrolled: 1-line block ×3, first 2 shown]
	v_mfma_f32_16x16x16_bf16 a[4:7], v[14:15], v[18:19], a[4:7]
	v_mov_b32_e32 v13, 0
	v_mov_b32_e32 v14, 0
	;; [unrolled: 1-line block ×13, first 2 shown]
	s_cbranch_vccnz .LBB326_12
; %bb.11:                               ;   in Loop: Header=BB326_6 Depth=1
	s_and_b32 s25, s25, 0xffff
	buffer_load_dwordx4 v[22:25], v69, s[24:27], 0 offen
	buffer_load_dwordx4 v[18:21], v69, s[24:27], s60 offen
	;; [unrolled: 1-line block ×4, first 2 shown]
	v_mov_b32_e32 v115, v71
	v_mov_b32_e32 v114, v72
.LBB326_12:                             ;   in Loop: Header=BB326_6 Depth=1
	ds_read_b64 v[30:31], v81 offset:32768
	ds_read2_b64 v[26:29], v87 offset1:16
	ds_read_b64 v[34:35], v83 offset:32768
	ds_read_b64 v[36:37], v85 offset:32768
	;; [unrolled: 1-line block ×3, first 2 shown]
	v_add_u32_e32 v40, s57, v94
	s_waitcnt lgkmcnt(3)
	v_mfma_f32_16x16x16_bf16 a[0:3], v[30:31], v[26:27], a[0:3]
	v_mul_lo_u32 v41, v40, s15
	v_mov_b32_e32 v117, 0
	v_mfma_f32_16x16x16_bf16 a[4:7], v[30:31], v[28:29], a[4:7]
	ds_read2st64_b64 v[26:29], v87 offset0:2 offset1:4
	ds_read2st64_b64 v[30:33], v88 offset0:2 offset1:4
	s_waitcnt lgkmcnt(1)
	v_mfma_f32_16x16x16_bf16 a[0:3], v[34:35], v[26:27], a[0:3]
	v_ashrrev_i32_e32 v26, 31, v40
	v_mul_lo_u32 v42, v26, s14
	v_mad_u64_u32 v[26:27], s[24:25], v40, s14, 0
	v_mfma_f32_16x16x16_bf16 a[0:3], v[36:37], v[28:29], a[0:3]
	v_add_u32_e32 v28, 1, v40
	v_ashrrev_i32_e32 v29, 31, v28
	v_add3_u32 v27, v27, v41, v42
	s_waitcnt lgkmcnt(0)
	v_mfma_f32_16x16x16_bf16 a[4:7], v[34:35], v[30:31], a[4:7]
	v_mul_lo_u32 v30, v29, s14
	v_mul_lo_u32 v31, v28, s15
	v_mad_u64_u32 v[28:29], s[24:25], v28, s14, 0
	v_add3_u32 v29, v29, v31, v30
	v_add_u32_e32 v30, 2, v40
	v_ashrrev_i32_e32 v31, 31, v30
	v_mul_lo_u32 v34, v31, s14
	v_mul_lo_u32 v35, v30, s15
	v_mad_u64_u32 v[30:31], s[24:25], v30, s14, 0
	v_add3_u32 v31, v31, v35, v34
	v_add_u32_e32 v34, 3, v40
	v_ashrrev_i32_e32 v35, 31, v34
	v_mul_lo_u32 v40, v35, s14
	v_mul_lo_u32 v41, v34, s15
	v_mad_u64_u32 v[34:35], s[24:25], v34, s14, 0
	v_add3_u32 v35, v35, v41, v40
	s_ashr_i32 s25, s57, 31
	v_lshl_add_u64 v[26:27], v[26:27], 2, s[42:43]
	v_lshl_add_u64 v[34:35], v[34:35], 2, s[42:43]
	s_add_u32 s24, s54, s57
	v_lshl_add_u64 v[28:29], v[28:29], 2, s[42:43]
	v_lshl_add_u64 v[30:31], v[30:31], 2, s[42:43]
	global_load_dword v40, v[26:27], off
	global_load_dword v41, v[28:29], off
	;; [unrolled: 1-line block ×3, first 2 shown]
	s_nop 0
	global_load_dword v34, v[34:35], off
	s_addc_u32 s25, s53, s25
	s_lshl_b64 s[24:25], s[24:25], 8
	v_lshl_add_u64 v[26:27], v[56:57], 0, s[24:25]
	v_lshl_add_u64 v[26:27], v[26:27], 0, v[54:55]
	global_load_ushort v35, v[26:27], off offset:256
	global_load_ushort v43, v[26:27], off
	global_load_ushort v44, v[26:27], off offset:768
	global_load_ushort v45, v[26:27], off offset:512
	ds_read_b64 v[28:29], v87 offset:3072
	ds_read_b64 v[30:31], v88 offset:3072
	global_load_ushort v46, v[26:27], off offset:800
	global_load_ushort v47, v[26:27], off offset:544
	;; [unrolled: 1-line block ×4, first 2 shown]
	s_load_dword s24, s[44:45], 0x0
	v_mfma_f32_16x16x16_bf16 a[4:7], v[36:37], v[32:33], a[4:7]
	s_and_b64 vcc, exec, s[0:1]
	s_waitcnt vmcnt(11) lgkmcnt(0)
	v_sub_f32_e32 v32, s24, v40
	v_mfma_f32_16x16x16_bf16 a[0:3], v[38:39], v[28:29], a[0:3]
	s_waitcnt vmcnt(10)
	v_sub_f32_e32 v37, s24, v41
	v_mul_f32_e32 v36, 0x3fb8aa3b, v32
	v_mul_f32_e32 v37, 0x3fb8aa3b, v37
	v_mfma_f32_16x16x16_bf16 a[4:7], v[38:39], v[30:31], a[4:7]
	s_waitcnt vmcnt(9)
	v_sub_f32_e32 v38, s24, v42
	s_waitcnt vmcnt(8)
	v_sub_f32_e32 v39, s24, v34
	v_mul_f32_e32 v38, 0x3fb8aa3b, v38
	v_mul_f32_e32 v39, 0x3fb8aa3b, v39
	v_exp_f32_e32 v36, v36
	v_exp_f32_e32 v37, v37
	;; [unrolled: 1-line block ×4, first 2 shown]
	v_accvgpr_read_b32 v31, a1
	v_accvgpr_read_b32 v27, a3
	;; [unrolled: 1-line block ×4, first 2 shown]
	s_waitcnt vmcnt(7)
	v_lshlrev_b32_e32 v33, 16, v35
	s_waitcnt vmcnt(6)
	v_lshlrev_b32_e32 v32, 16, v43
	;; [unrolled: 2-line block ×4, first 2 shown]
	v_pk_add_f32 v[30:31], v[32:33], v[30:31] neg_lo:[0,1] neg_hi:[0,1]
	v_pk_add_f32 v[26:27], v[34:35], v[26:27] neg_lo:[0,1] neg_hi:[0,1]
	v_pk_mul_f32 v[30:31], v[36:37], v[30:31]
	v_pk_mul_f32 v[26:27], v[38:39], v[26:27]
	v_accvgpr_read_b32 v33, a5
	v_perm_b32 v27, v27, v26, s3
	v_perm_b32 v26, v31, v30, s3
	s_waitcnt vmcnt(1)
	v_lshlrev_b32_e32 v31, 16, v48
	s_waitcnt vmcnt(0)
	v_lshlrev_b32_e32 v30, 16, v49
	v_accvgpr_read_b32 v32, a4
	v_accvgpr_read_b32 v29, a7
	;; [unrolled: 1-line block ×3, first 2 shown]
	v_pk_add_f32 v[30:31], v[30:31], v[32:33] neg_lo:[0,1] neg_hi:[0,1]
	v_lshlrev_b32_e32 v33, 16, v46
	v_lshlrev_b32_e32 v32, 16, v47
	v_pk_add_f32 v[28:29], v[32:33], v[28:29] neg_lo:[0,1] neg_hi:[0,1]
	v_pk_mul_f32 v[30:31], v[36:37], v[30:31]
	v_pk_mul_f32 v[28:29], v[38:39], v[28:29]
	v_mov_b32_e32 v32, 0
	v_perm_b32 v29, v29, v28, s3
	v_perm_b32 v28, v31, v30, s3
	ds_write2_b64 v74, v[26:27], v[28:29] offset1:16
	v_mov_b32_e32 v26, 0
	v_mov_b32_e32 v27, 0
	;; [unrolled: 1-line block ×15, first 2 shown]
	s_cbranch_vccnz .LBB326_14
; %bb.13:                               ;   in Loop: Header=BB326_6 Depth=1
	s_and_b32 s29, s29, 0xffff
	s_mov_b32 s31, s27
	buffer_load_dwordx4 v[38:41], v92, s[28:31], 0 offen
	buffer_load_dwordx4 v[30:33], v92, s[28:31], s60 offen
	;; [unrolled: 1-line block ×4, first 2 shown]
	v_mov_b32_e32 v116, v68
	v_mov_b32_e32 v117, v67
.LBB326_14:                             ;   in Loop: Header=BB326_6 Depth=1
	s_waitcnt lgkmcnt(0)
	s_barrier
	ds_read_b64 v[46:47], v96
	ds_read_b64 v[122:123], v91
	;; [unrolled: 1-line block ×5, first 2 shown]
	ds_read_b64 v[136:137], v88 offset:3072
	ds_read2_b64 v[42:45], v87 offset0:16 offset1:128
	s_waitcnt lgkmcnt(5)
	v_mfma_f32_16x16x16_bf16 a[0:3], v[46:47], v[122:123], 0
	ds_read2st64_b64 v[48:51], v88 offset0:2 offset1:4
	s_add_i32 s25, s52, s63
	s_mul_hi_i32 s29, s25, s47
	s_waitcnt lgkmcnt(1)
	v_mfma_f32_16x16x16_bf16 a[4:7], v[46:47], v[42:43], 0
	ds_read_b64 v[46:47], v101
	s_mul_i32 s25, s25, s47
	s_add_u32 s28, s25, s46
	s_waitcnt lgkmcnt(1)
	v_mfma_f32_16x16x16_bf16 a[4:7], v[124:125], v[48:49], a[4:7]
	s_addc_u32 s29, s29, s58
	s_lshl_b64 s[28:29], s[28:29], 15
	s_mul_i32 s31, s65, s47
	s_mul_hi_i32 s25, s65, s47
	s_add_u32 s44, s31, s46
	v_mfma_f32_16x16x16_bf16 a[8:11], v[126:127], v[50:51], a[4:7]
	s_addc_u32 s45, s25, s58
	ds_read2st64_b64 v[118:121], v87 offset0:4 offset1:6
	s_lshl_b64 s[44:45], s[44:45], 9
	s_waitcnt lgkmcnt(1)
	v_mfma_f32_16x16x16_bf16 a[4:7], v[46:47], v[122:123], 0
	s_add_u32 s44, s36, s44
	s_addc_u32 s45, s37, s45
	v_mfma_f32_16x16x16_bf16 a[0:3], v[124:125], v[44:45], a[0:3]
	ds_read_b64 v[124:125], v102
	ds_read_b64 v[132:133], v103
	;; [unrolled: 1-line block ×3, first 2 shown]
	v_mfma_f32_16x16x16_bf16 a[12:15], v[46:47], v[42:43], 0
	s_waitcnt lgkmcnt(2)
	v_mfma_f32_16x16x16_bf16 a[4:7], v[124:125], v[44:45], a[4:7]
	global_load_dwordx4 v[42:45], v100, s[44:45]
	v_mfma_f32_16x16x16_bf16 a[12:15], v[124:125], v[48:49], a[12:15]
	global_load_dwordx4 v[46:49], v95, s[44:45]
	ds_read2st64_b64 v[122:125], v89 offset1:8
	s_waitcnt lgkmcnt(0)
	v_mov_b32_e32 v130, v122
	v_mfma_f32_16x16x16_bf16 a[0:3], v[126:127], v[118:119], a[0:3]
	ds_read2st64_b64 v[126:129], v90 offset1:8
	v_mov_b32_e32 v131, v123
	v_mfma_f32_16x16x16_bf16 a[16:19], v[132:133], v[118:119], a[4:7]
	v_lshl_add_u64 v[118:119], v[58:59], 0, s[28:29]
	v_mfma_f32_16x16x16_bf16 a[20:23], v[132:133], v[50:51], a[12:15]
	v_add_co_u32_e32 v50, vcc, s21, v118
	s_waitcnt lgkmcnt(0)
	v_mov_b32_e32 v132, v126
	v_mfma_f32_16x16x16_bf16 a[4:7], v[134:135], v[120:121], a[0:3]
	v_mov_b32_e32 v133, v127
	v_mov_b32_e32 v126, v124
	;; [unrolled: 1-line block ×3, first 2 shown]
	v_mfma_f32_16x16x16_bf16 a[8:11], v[134:135], v[136:137], a[8:11]
	v_addc_co_u32_e32 v51, vcc, 0, v119, vcc
	global_store_dwordx4 v[50:51], v[126:129], off
	v_mfma_f32_16x16x16_bf16 a[12:15], v[138:139], v[120:121], a[16:19]
	s_and_b64 vcc, exec, s[0:1]
	global_store_dwordx4 v[118:119], v[130:133], off
	s_waitcnt vmcnt(3)
	v_mov_b32_e32 v52, v45
	v_mfma_f32_16x16x16_bf16 a[0:3], v[138:139], v[136:137], a[20:23]
	v_mov_b32_e32 v51, v44
	v_mov_b32_e32 v50, v43
	s_cbranch_vccnz .LBB326_16
; %bb.15:                               ;   in Loop: Header=BB326_6 Depth=1
	v_lshrrev_b32_e32 v43, 3, v116
	v_and_b32_e32 v43, 6, v43
	v_xor_b32_e32 v44, v43, v117
	v_lshlrev_b32_e32 v44, 2, v44
	v_and_b32_e32 v45, 8, v116
	v_xor_b32_e32 v116, 0x440, v44
	v_cmp_eq_u32_e32 vcc, 0, v45
	v_perm_b32 v45, v30, v26, s61
	s_nop 0
	v_cndmask_b32_e32 v44, v116, v44, vcc
	v_lshl_or_b32 v43, v43, 10, v44
	v_perm_b32 v44, v38, v34, s61
	s_barrier
	ds_write2st64_b32 v43, v44, v45 offset0:32 offset1:64
	v_xor_b32_e32 v44, 8, v43
	v_perm_b32 v34, v38, v34, s62
	v_perm_b32 v26, v30, v26, s62
	v_add_u32_e32 v30, 0x80, v44
	ds_write2st64_b32 v30, v34, v26 offset0:32 offset1:64
	v_xor_b32_e32 v26, 16, v43
	v_perm_b32 v30, v39, v35, s61
	v_perm_b32 v34, v31, v27, s61
	ds_write2st64_b32 v26, v30, v34 offset0:33 offset1:65
	v_xor_b32_e32 v26, 24, v43
	v_perm_b32 v30, v39, v35, s62
	v_perm_b32 v27, v31, v27, s62
	v_add_u32_e32 v26, 0x80, v26
	ds_write2st64_b32 v26, v30, v27 offset0:33 offset1:65
	v_xor_b32_e32 v26, 32, v43
	v_perm_b32 v27, v40, v36, s61
	v_perm_b32 v30, v32, v28, s61
	ds_write2st64_b32 v26, v27, v30 offset0:34 offset1:66
	v_xor_b32_e32 v26, 40, v43
	v_perm_b32 v27, v40, v36, s62
	v_perm_b32 v28, v32, v28, s62
	v_add_u32_e32 v26, 0x80, v26
	ds_write2st64_b32 v26, v27, v28 offset0:34 offset1:66
	v_xor_b32_e32 v26, 48, v43
	v_perm_b32 v27, v41, v37, s61
	v_perm_b32 v28, v33, v29, s61
	ds_write2st64_b32 v26, v27, v28 offset0:35 offset1:67
	v_xor_b32_e32 v26, 56, v43
	v_perm_b32 v27, v41, v37, s62
	v_perm_b32 v28, v33, v29, s62
	v_add_u32_e32 v26, 0x80, v26
	ds_write2st64_b32 v26, v27, v28 offset0:35 offset1:67
	ds_write_b64 v115, v[22:23] offset:24576
	v_xor_b32_e32 v22, 8, v115
	ds_write_b64 v22, v[24:25] offset:24576
	ds_write_b64 v115, v[18:19] offset:32768
	;; [unrolled: 1-line block ×4, first 2 shown]
	v_xor_b32_e32 v14, 8, v114
	ds_write_b64 v14, v[16:17] offset:24576
	ds_write_b64 v114, v[10:11] offset:32768
	;; [unrolled: 1-line block ×3, first 2 shown]
.LBB326_16:                             ;   in Loop: Header=BB326_6 Depth=1
	v_mul_f32_e32 v14, s24, v105
	v_exp_f32_e32 v26, v14
	s_waitcnt vmcnt(2)
	v_mul_f32_e32 v14, 0x3fb8aa3b, v46
	v_exp_f32_e32 v28, v14
	v_mul_f32_e32 v14, 0x3fb8aa3b, v47
	v_exp_f32_e32 v29, v14
	;; [unrolled: 2-line block ×4, first 2 shown]
	v_accvgpr_read_b32 v21, a7
	v_accvgpr_read_b32 v19, a5
	;; [unrolled: 1-line block ×4, first 2 shown]
	v_pk_mul_f32 v[28:29], v[26:27], v[28:29] op_sel_hi:[0,1]
	v_accvgpr_read_b32 v12, a10
	v_pk_fma_f32 v[2:3], v[2:3], v[28:29], v[18:19]
	v_pk_mul_f32 v[18:19], v[26:27], v[30:31] op_sel_hi:[0,1]
	v_accvgpr_read_b32 v20, a6
	v_accvgpr_read_b32 v11, a9
	;; [unrolled: 1-line block ×3, first 2 shown]
	v_fma_f32 v108, v108, v18, v12
	v_mul_f32_e32 v12, 0x3fb8aa3b, v51
	v_pk_fma_f32 v[4:5], v[4:5], v[18:19], v[20:21]
	v_fma_f32 v106, v106, v28, v10
	v_fma_f32 v107, v107, v29, v11
	v_mul_f32_e32 v10, 0x3fb8aa3b, v42
	v_mul_f32_e32 v11, 0x3fb8aa3b, v50
	v_exp_f32_e32 v20, v12
	v_mul_f32_e32 v12, 0x3fb8aa3b, v52
	v_exp_f32_e32 v10, v10
	v_exp_f32_e32 v11, v11
	;; [unrolled: 1-line block ×3, first 2 shown]
	v_accvgpr_read_b32 v25, a15
	v_accvgpr_read_b32 v17, a3
	;; [unrolled: 1-line block ×8, first 2 shown]
	v_fmac_f32_e32 v13, v113, v19
	v_pk_mul_f32 v[10:11], v[26:27], v[10:11] op_sel_hi:[0,1]
	v_pk_mul_f32 v[18:19], v[26:27], v[20:21] op_sel_hi:[0,1]
	s_add_i32 s57, s57, 64
	v_pk_fma_f32 v[6:7], v[6:7], v[10:11], v[22:23]
	v_pk_fma_f32 v[8:9], v[8:9], v[18:19], v[24:25]
	v_fma_f32 v109, v109, v10, v14
	v_fma_f32 v110, v110, v11, v15
	;; [unrolled: 1-line block ×3, first 2 shown]
	s_cmp_eq_u32 s51, s64
	v_fmac_f32_e32 v17, v112, v19
	s_cbranch_scc1 .LBB326_18
; %bb.17:                               ;   in Loop: Header=BB326_6 Depth=1
	s_mov_b32 s63, s64
	v_mov_b32_e32 v113, v13
	v_mov_b32_e32 v112, v17
	s_branch .LBB326_6
.LBB326_18:
	v_mov_b32_e32 v16, v111
	v_mov_b32_e32 v15, v110
	;; [unrolled: 1-line block ×6, first 2 shown]
.LBB326_19:
	s_lshl_b32 s3, s51, 6
	s_sub_i32 s56, s56, s3
	s_cmp_gt_i32 s56, 0
	v_or_b32_e32 v34, s2, v63
	s_cbranch_scc1 .LBB326_21
; %bb.20:
	s_ashr_i32 s29, s46, 31
	v_or_b32_e32 v35, s2, v63
	s_cbranch_execz .LBB326_22
	s_branch .LBB326_86
.LBB326_21:
                                        ; implicit-def: $vgpr35
                                        ; implicit-def: $sgpr28_sgpr29
.LBB326_22:
	s_add_i32 s28, s3, s38
	s_ashr_i32 s3, s28, 31
	s_cmpk_lg_i32 s19, 0x80
	s_cselect_b64 s[42:43], -1, 0
	s_and_b64 vcc, exec, s[42:43]
	s_cbranch_vccz .LBB326_24
; %bb.23:
	s_mul_hi_i32 s0, s28, s18
	s_mul_i32 s1, s28, s18
	s_ashr_i32 s18, s55, 31
	s_add_u32 s44, s1, s55
	s_addc_u32 s45, s0, s18
	s_cbranch_execz .LBB326_25
	s_branch .LBB326_26
.LBB326_24:
                                        ; implicit-def: $sgpr44_sgpr45
.LBB326_25:
	s_mul_i32 s1, s55, s16
	s_mul_hi_i32 s0, s55, s16
	s_add_u32 s44, s1, s28
	s_addc_u32 s45, s0, s3
.LBB326_26:
	s_add_i32 s16, s51, s52
	s_ashr_i32 s29, s46, 31
	s_add_u32 s0, s54, s28
	v_lshlrev_b32_e32 v22, 5, v1
	v_lshlrev_b32_e32 v40, 2, v63
	s_addc_u32 s1, s53, s3
	s_mov_b32 s3, 0x7060302
	v_or_b32_e32 v25, v22, v40
	v_xor_b32_e32 v23, v1, v40
	v_perm_b32 v19, v5, v4, s3
	v_perm_b32 v18, v3, v2, s3
	v_perm_b32 v21, v9, v8, s3
	v_perm_b32 v20, v7, v6, s3
	v_lshlrev_b32_e32 v25, 1, v25
	v_xor_b32_e32 v24, v66, v40
	ds_write2st64_b64 v25, v[18:19], v[20:21] offset0:80 offset1:88
	v_lshlrev_b32_e32 v23, 1, v23
	v_lshlrev_b32_e32 v25, 8, v63
	s_lshl_b64 s[30:31], s[0:1], 8
	v_or_b32_e32 v26, v23, v25
	v_lshlrev_b32_e32 v24, 1, v24
	s_add_u32 s0, s6, s30
	ds_write_b64 v26, v[18:19]
	v_or_b32_e32 v18, v24, v25
	s_addc_u32 s1, s7, s31
	ds_write_b64 v18, v[20:21]
	v_perm_b32 v19, v13, v12, s3
	v_perm_b32 v18, v11, v10, s3
	;; [unrolled: 1-line block ×4, first 2 shown]
	v_or_b32_e32 v25, 16, v63
	s_mul_hi_i32 s3, s16, s17
	s_mul_i32 s16, s16, s17
	v_lshlrev_b32_e32 v37, 2, v25
	s_add_u32 s6, s16, s46
	v_or_b32_e32 v22, v22, v37
	s_addc_u32 s7, s3, s29
	v_lshlrev_b32_e32 v22, 1, v22
	s_ashr_i32 s3, s2, 31
	s_lshl_b64 s[6:7], s[6:7], 15
	ds_write2st64_b64 v22, v[18:19], v[20:21] offset0:80 offset1:88
	v_lshlrev_b32_e32 v22, 8, v25
	s_add_u32 s6, s40, s6
	v_or_b32_e32 v23, v23, v22
	s_addc_u32 s7, s41, s7
	s_lshl_b64 s[2:3], s[2:3], 8
	ds_write_b64 v23, v[18:19]
	v_or_b32_e32 v18, v24, v22
	s_add_u32 s2, s6, s2
	ds_write_b64 v18, v[20:21]
	v_lshrrev_b32_e32 v18, 4, v0
	s_addc_u32 s3, s7, s3
	v_lshlrev_b32_e32 v19, 1, v63
	v_lshlrev_b32_e32 v26, 4, v63
	v_mov_b32_e32 v27, 0
	v_or_b32_e32 v20, 1, v19
	v_xor_b32_e32 v19, v18, v19
	v_lshl_add_u64 v[28:29], s[2:3], 0, v[26:27]
	v_lshlrev_b32_e32 v26, 8, v18
	v_xor_b32_e32 v22, v20, v18
	v_lshl_or_b32 v18, v19, 3, v26
	s_waitcnt lgkmcnt(0)
	s_barrier
	ds_read2st64_b64 v[18:21], v18 offset1:8
	v_lshl_or_b32 v22, v22, 3, v26
	ds_read2st64_b64 v[22:25], v22 offset1:8
	v_lshl_add_u64 v[30:31], v[28:29], 0, v[26:27]
	s_movk_i32 s2, 0x1000
	s_waitcnt lgkmcnt(1)
	v_mov_b32_e32 v26, v18
	v_add_co_u32_e32 v18, vcc, s2, v30
	s_cmp_lg_u32 s56, 64
	v_mov_b32_e32 v27, v19
	v_addc_co_u32_e32 v19, vcc, 0, v31, vcc
	s_cselect_b64 s[6:7], -1, 0
	v_lshl_or_b32 v35, v53, 3, v65
	s_waitcnt lgkmcnt(0)
	v_mov_b32_e32 v28, v22
	v_mov_b32_e32 v29, v23
	;; [unrolled: 1-line block ×4, first 2 shown]
	s_mov_b32 s24, 0
	v_or_b32_e32 v38, 32, v35
	v_and_b32_e32 v36, 56, v64
	s_and_b64 vcc, exec, s[6:7]
	global_store_dwordx4 v[30:31], v[26:29], off
	global_store_dwordx4 v[18:19], v[22:25], off
	s_cbranch_vccz .LBB326_32
; %bb.27:
	s_mov_b32 s25, s24
	s_mov_b32 s26, s24
	;; [unrolled: 1-line block ×3, first 2 shown]
	v_mov_b64_e32 v[22:23], s[24:25]
	v_mov_b64_e32 v[24:25], s[26:27]
	;; [unrolled: 1-line block ×3, first 2 shown]
	v_cmp_gt_i32_e32 vcc, s56, v35
	v_mov_b64_e32 v[20:21], v[24:25]
	s_and_saveexec_b64 s[2:3], vcc
	s_cbranch_execz .LBB326_29
; %bb.28:
	v_lshlrev_b32_e32 v18, 8, v35
	v_mov_b32_e32 v19, 0
	v_lshl_add_u64 v[20:21], s[0:1], 0, v[18:19]
	v_lshlrev_b32_e32 v18, 1, v36
	v_lshl_add_u64 v[26:27], v[20:21], 0, v[18:19]
	global_load_dwordx4 v[22:25], v[26:27], off
	global_load_dwordx4 v[18:21], v[26:27], off offset:128
.LBB326_29:
	s_or_b64 exec, exec, s[2:3]
	s_mov_b32 s26, s24
	s_mov_b32 s27, s24
	;; [unrolled: 1-line block ×3, first 2 shown]
	v_mov_b64_e32 v[32:33], s[26:27]
	v_mov_b64_e32 v[30:31], s[24:25]
	;; [unrolled: 1-line block ×3, first 2 shown]
	v_cmp_gt_i32_e32 vcc, s56, v38
	v_lshlrev_b32_e32 v39, 7, v38
	v_mov_b64_e32 v[28:29], v[32:33]
	s_and_saveexec_b64 s[2:3], vcc
	s_cbranch_execz .LBB326_31
; %bb.30:
	v_lshlrev_b32_e32 v26, 1, v39
	v_mov_b32_e32 v27, 0
	v_lshl_add_u64 v[28:29], s[0:1], 0, v[26:27]
	v_lshlrev_b32_e32 v26, 1, v36
	v_lshl_add_u64 v[42:43], v[28:29], 0, v[26:27]
	global_load_dwordx4 v[30:33], v[42:43], off
	global_load_dwordx4 v[26:29], v[42:43], off offset:128
.LBB326_31:
	s_or_b64 exec, exec, s[2:3]
	v_lshrrev_b32_e32 v41, 3, v36
	v_lshlrev_b32_e32 v42, 3, v35
	v_or_b32_e32 v41, v42, v41
	v_lshlrev_b32_e32 v41, 4, v41
	v_and_b32_e32 v42, 0x78, v42
	v_xor_b32_e32 v41, v41, v42
	s_branch .LBB326_34
.LBB326_32:
                                        ; implicit-def: $vgpr41
                                        ; implicit-def: $vgpr39
                                        ; implicit-def: $vgpr22_vgpr23_vgpr24_vgpr25
                                        ; implicit-def: $vgpr18_vgpr19_vgpr20_vgpr21
                                        ; implicit-def: $vgpr30_vgpr31_vgpr32_vgpr33
                                        ; implicit-def: $vgpr26_vgpr27_vgpr28_vgpr29
	s_cbranch_execz .LBB326_34
; %bb.33:
	s_waitcnt vmcnt(0)
	v_lshlrev_b32_e32 v18, 1, v36
	v_lshl_or_b32 v39, v35, 8, v18
	s_and_b32 s1, s1, 0xffff
	s_mov_b32 s3, 0x20000
	s_movk_i32 s2, 0x4000
	v_lshl_or_b32 v41, v38, 8, v18
	s_movk_i32 s16, 0x80
	buffer_load_dwordx4 v[22:25], v39, s[0:3], 0 offen
	buffer_load_dwordx4 v[18:21], v39, s[0:3], s16 offen
	;; [unrolled: 1-line block ×4, first 2 shown]
	v_lshrrev_b32_e32 v39, 3, v36
	v_lshlrev_b32_e32 v41, 3, v35
	v_or_b32_e32 v39, v41, v39
	v_lshlrev_b32_e32 v39, 4, v39
	v_and_b32_e32 v41, 0x78, v41
	v_xor_b32_e32 v41, v39, v41
	v_lshlrev_b32_e32 v39, 7, v38
.LBB326_34:
	s_lshl_b64 s[0:1], s[44:45], 8
	s_add_u32 s4, s4, s0
	s_movk_i32 s0, 0x1000
	v_and_or_b32 v38, v39, s0, v41
	s_waitcnt vmcnt(1)
	ds_write_b64 v41, v[22:23] offset:24576
	v_xor_b32_e32 v22, 8, v41
	ds_write_b64 v22, v[24:25] offset:24576
	s_waitcnt vmcnt(0)
	ds_write_b64 v41, v[18:19] offset:32768
	ds_write_b64 v22, v[20:21] offset:32768
	;; [unrolled: 1-line block ×3, first 2 shown]
	v_xor_b32_e32 v18, 8, v38
	ds_write_b64 v18, v[32:33] offset:24576
	ds_write_b64 v38, v[26:27] offset:32768
	;; [unrolled: 1-line block ×3, first 2 shown]
	v_or_b32_e32 v18, v60, v63
	v_lshlrev_b32_e32 v18, 3, v18
	v_lshrrev_b32_e32 v19, 5, v61
	s_movk_i32 s18, 0xf8
	v_and_or_b32 v19, v18, s18, v19
	v_lshlrev_b32_e32 v23, 4, v19
	v_lshlrev_b32_e32 v41, 11, v53
	v_and_b32_e32 v24, 0x78, v18
	v_or_b32_e32 v26, 32, v23
	v_and_b32_e32 v22, 0x1000, v41
	v_lshrrev_b32_e32 v19, 1, v61
	v_xor_b32_e32 v26, v26, v24
	v_xor_b32_e32 v18, v23, v24
	v_and_b32_e32 v25, 8, v19
	v_or_b32_e32 v26, v26, v22
	v_or_b32_e32 v18, v18, v22
	v_xor_b32_e32 v45, v26, v25
	v_or_b32_e32 v26, 64, v23
	v_xor_b32_e32 v44, v18, v25
	v_xor_b32_e32 v26, v26, v24
	s_waitcnt lgkmcnt(0)
	s_barrier
	v_or_b32_e32 v28, v26, v22
	ds_read_b64 v[26:27], v44 offset:24576
	v_lshl_or_b32 v38, v62, 7, v40
	v_lshlrev_b32_e32 v42, 1, v38
	v_add_u32_e32 v18, 0xa000, v42
	ds_read2_b64 v[18:21], v18 offset1:16
	v_or_b32_e32 v23, 0x60, v23
	v_xor_b32_e32 v23, v23, v24
	s_waitcnt lgkmcnt(0)
	v_mfma_f32_16x16x16_bf16 a[0:3], v[26:27], v[18:19], 0
	v_or_b32_e32 v18, 64, v38
	v_or_b32_e32 v22, v23, v22
	v_lshlrev_b32_e32 v43, 1, v18
	v_xor_b32_e32 v46, v28, v25
	v_xor_b32_e32 v47, v22, v25
	ds_read_b64 v[28:29], v45 offset:24576
	ds_read_b64 v[30:31], v46 offset:24576
	;; [unrolled: 1-line block ×3, first 2 shown]
	v_mfma_f32_16x16x16_bf16 a[4:7], v[26:27], v[20:21], 0
	ds_read2st64_b64 v[18:21], v43 offset0:82 offset1:84
	ds_read2st64_b64 v[22:25], v42 offset0:82 offset1:84
	s_addc_u32 s5, s5, s1
	s_add_i32 s16, s39, -1
	s_add_i32 s0, s49, s48
	s_add_i32 s21, s0, s50
	s_mul_i32 s0, s46, s23
	s_mul_hi_u32 s1, s46, s22
	s_ashr_i32 s2, s16, 31
	s_mul_i32 s3, s16, s15
	s_mul_hi_u32 s18, s16, s14
	s_add_i32 s0, s1, s0
	s_mul_i32 s1, s29, s22
	s_add_i32 s3, s18, s3
	s_mul_i32 s2, s2, s14
	s_waitcnt lgkmcnt(1)
	v_mfma_f32_16x16x16_bf16 a[4:7], v[28:29], v[18:19], a[4:7]
	s_add_i32 s1, s0, s1
	s_add_i32 s3, s3, s2
	s_lshl_b64 s[20:21], s[20:21], 2
	s_waitcnt lgkmcnt(0)
	v_mfma_f32_16x16x16_bf16 a[0:3], v[28:29], v[22:23], a[0:3]
	s_mul_i32 s0, s46, s22
	s_add_u32 s10, s10, s20
	s_addc_u32 s11, s11, s21
	s_lshl_b64 s[0:1], s[0:1], 2
	s_mul_i32 s2, s16, s14
	s_add_u32 s10, s10, s0
	ds_read_b64 v[18:19], v42 offset:44032
	v_mfma_f32_16x16x16_bf16 a[4:7], v[30:31], v[20:21], a[4:7]
	ds_read_b64 v[20:21], v43 offset:44032
	s_addc_u32 s11, s11, s1
	s_lshl_b64 s[0:1], s[2:3], 2
	v_mfma_f32_16x16x16_bf16 a[0:3], v[30:31], v[24:25], a[0:3]
	s_add_u32 s0, s10, s0
	s_addc_u32 s1, s11, s1
	s_load_dword s18, s[0:1], 0x0
	s_waitcnt lgkmcnt(0)
	v_mfma_f32_16x16x16_bf16 a[0:3], v[32:33], v[18:19], a[0:3]
	s_and_b64 vcc, exec, s[42:43]
	v_mfma_f32_16x16x16_bf16 a[4:7], v[32:33], v[20:21], a[4:7]
	s_cbranch_vccz .LBB326_45
; %bb.35:
	v_lshlrev_b32_e32 v38, 1, v35
	s_and_b64 vcc, exec, s[6:7]
	s_cbranch_vccz .LBB326_46
; %bb.36:
	v_cmp_gt_i32_e32 vcc, s56, v38
	v_mov_b32_e32 v22, 0
	v_mov_b32_e32 v18, 0
	v_mov_b32_e32 v19, 0
	v_mov_b32_e32 v20, 0
	v_mov_b32_e32 v21, 0
	s_and_saveexec_b64 s[0:1], vcc
	s_cbranch_execz .LBB326_38
; %bb.37:
	v_mad_i64_i32 v[18:19], s[2:3], s19, v38, 0
	v_lshl_add_u64 v[18:19], v[18:19], 1, s[4:5]
	v_lshlrev_b32_e32 v20, 1, v36
	v_mov_b32_e32 v21, 0
	v_lshl_add_u64 v[18:19], v[18:19], 0, v[20:21]
	global_load_dwordx4 v[18:21], v[18:19], off
.LBB326_38:
	s_or_b64 exec, exec, s[0:1]
	v_or_b32_e32 v39, 1, v38
	v_cmp_gt_i32_e64 s[0:1], s56, v39
	v_mov_b32_e32 v23, 0
	v_mov_b32_e32 v24, 0
	;; [unrolled: 1-line block ×3, first 2 shown]
	s_and_saveexec_b64 s[2:3], s[0:1]
	s_cbranch_execz .LBB326_40
; %bb.39:
	v_mad_i64_i32 v[22:23], s[20:21], s19, v39, 0
	v_lshl_add_u64 v[22:23], v[22:23], 1, s[4:5]
	v_lshlrev_b32_e32 v24, 1, v36
	v_mov_b32_e32 v25, 0
	v_lshl_add_u64 v[22:23], v[22:23], 0, v[24:25]
	global_load_dwordx4 v[22:25], v[22:23], off
.LBB326_40:
	s_or_b64 exec, exec, s[2:3]
	v_mov_b32_e32 v33, 0
	v_mov_b32_e32 v26, 0
	;; [unrolled: 1-line block ×5, first 2 shown]
	s_and_saveexec_b64 s[2:3], vcc
	s_cbranch_execz .LBB326_42
; %bb.41:
	v_mad_i64_i32 v[26:27], s[20:21], s19, v38, 0
	v_lshl_add_u64 v[26:27], v[26:27], 1, s[4:5]
	v_lshlrev_b32_e32 v28, 1, v36
	v_mov_b32_e32 v29, 0
	v_lshl_add_u64 v[26:27], v[26:27], 0, v[28:29]
	global_load_dwordx4 v[26:29], v[26:27], off offset:128
.LBB326_42:
	s_or_b64 exec, exec, s[2:3]
	v_mov_b32_e32 v32, 0
	v_mov_b32_e32 v31, 0
	;; [unrolled: 1-line block ×3, first 2 shown]
	s_and_saveexec_b64 s[2:3], s[0:1]
	s_cbranch_execz .LBB326_44
; %bb.43:
	v_mad_i64_i32 v[30:31], s[0:1], s19, v39, 0
	v_lshl_add_u64 v[30:31], v[30:31], 1, s[4:5]
	v_lshlrev_b32_e32 v32, 1, v36
	v_mov_b32_e32 v33, 0
	v_lshl_add_u64 v[30:31], v[30:31], 0, v[32:33]
	global_load_dwordx4 v[30:33], v[30:31], off offset:128
.LBB326_44:
	s_or_b64 exec, exec, s[2:3]
	s_branch .LBB326_48
.LBB326_45:
                                        ; implicit-def: $vgpr21
                                        ; implicit-def: $vgpr25
                                        ; implicit-def: $vgpr29
                                        ; implicit-def: $vgpr33
	v_lshrrev_b32_e32 v48, 2, v61
	s_branch .LBB326_49
.LBB326_46:
                                        ; implicit-def: $vgpr21
                                        ; implicit-def: $vgpr25
                                        ; implicit-def: $vgpr29
                                        ; implicit-def: $vgpr33
	s_cbranch_execz .LBB326_48
; %bb.47:
	s_waitcnt vmcnt(0)
	v_mad_u64_u32 v[18:19], s[0:1], v38, s19, v[36:37]
	v_lshlrev_b32_e32 v38, 1, v18
	s_lshl_b32 s2, s19, 7
	s_and_b32 s1, s5, 0xffff
	s_mov_b32 s3, 0x20000
	s_mov_b32 s0, s4
	v_add_lshl_u32 v39, v18, s19, 1
	s_movk_i32 s19, 0x80
	buffer_load_dwordx4 v[18:21], v38, s[0:3], 0 offen
	buffer_load_dwordx4 v[26:29], v38, s[0:3], s19 offen
	;; [unrolled: 1-line block ×4, first 2 shown]
.LBB326_48:
	v_lshrrev_b32_e32 v48, 2, v61
	s_cbranch_execnz .LBB326_61
.LBB326_49:
	s_and_b64 vcc, exec, s[6:7]
	s_cbranch_vccz .LBB326_59
; %bb.50:
	s_waitcnt vmcnt(0)
	v_lshlrev_b32_e32 v23, 1, v35
	v_cmp_gt_i32_e32 vcc, s56, v23
	v_mov_b32_e32 v22, 0
	v_lshlrev_b32_e32 v30, 9, v35
	v_mov_b32_e32 v18, 0
	v_mov_b32_e32 v19, 0
	;; [unrolled: 1-line block ×4, first 2 shown]
	s_and_saveexec_b64 s[0:1], vcc
	s_cbranch_execz .LBB326_52
; %bb.51:
	v_mov_b32_e32 v31, 0
	v_lshl_add_u64 v[18:19], s[4:5], 0, v[30:31]
	v_lshlrev_b32_e32 v20, 1, v36
	v_mov_b32_e32 v21, v31
	v_lshl_add_u64 v[18:19], v[18:19], 0, v[20:21]
	global_load_dwordx4 v[18:21], v[18:19], off
.LBB326_52:
	s_or_b64 exec, exec, s[0:1]
	v_or_b32_e32 v23, 1, v23
	v_cmp_gt_i32_e64 s[0:1], s56, v23
	v_lshlrev_b32_e32 v38, 8, v23
	v_mov_b32_e32 v23, 0
	v_mov_b32_e32 v24, 0
	;; [unrolled: 1-line block ×3, first 2 shown]
	s_and_saveexec_b64 s[2:3], s[0:1]
	s_cbranch_execz .LBB326_54
; %bb.53:
	v_mov_b32_e32 v39, 0
	v_lshl_add_u64 v[22:23], s[4:5], 0, v[38:39]
	v_lshlrev_b32_e32 v24, 1, v36
	v_mov_b32_e32 v25, v39
	v_lshl_add_u64 v[22:23], v[22:23], 0, v[24:25]
	global_load_dwordx4 v[22:25], v[22:23], off
.LBB326_54:
	s_or_b64 exec, exec, s[2:3]
	v_mov_b32_e32 v33, 0
	v_mov_b32_e32 v26, 0
	;; [unrolled: 1-line block ×5, first 2 shown]
	s_and_saveexec_b64 s[2:3], vcc
	s_cbranch_execz .LBB326_56
; %bb.55:
	v_mov_b32_e32 v31, 0
	v_lshl_add_u64 v[26:27], s[4:5], 0, v[30:31]
	v_lshlrev_b32_e32 v30, 1, v36
	v_lshl_add_u64 v[26:27], v[26:27], 0, v[30:31]
	global_load_dwordx4 v[26:29], v[26:27], off offset:128
.LBB326_56:
	s_or_b64 exec, exec, s[2:3]
	v_mov_b32_e32 v32, 0
	v_mov_b32_e32 v31, 0
	;; [unrolled: 1-line block ×3, first 2 shown]
	s_and_saveexec_b64 s[2:3], s[0:1]
	s_cbranch_execz .LBB326_58
; %bb.57:
	v_mov_b32_e32 v39, 0
	v_lshl_add_u64 v[30:31], s[4:5], 0, v[38:39]
	v_lshlrev_b32_e32 v38, 1, v36
	v_lshl_add_u64 v[30:31], v[30:31], 0, v[38:39]
	global_load_dwordx4 v[30:33], v[30:31], off offset:128
.LBB326_58:
	s_or_b64 exec, exec, s[2:3]
	s_branch .LBB326_61
.LBB326_59:
                                        ; implicit-def: $vgpr21
                                        ; implicit-def: $vgpr25
                                        ; implicit-def: $vgpr29
                                        ; implicit-def: $vgpr33
	s_cbranch_execz .LBB326_61
; %bb.60:
	s_waitcnt vmcnt(0)
	v_lshlrev_b32_e32 v18, 1, v36
	v_lshl_or_b32 v36, v35, 9, v18
	s_and_b32 s5, s5, 0xffff
	s_mov_b32 s7, 0x20000
	s_movk_i32 s6, 0x4000
	s_movk_i32 s0, 0x80
	buffer_load_dwordx4 v[18:21], v36, s[4:7], 0 offen
	buffer_load_dwordx4 v[22:25], v36, s[4:7], 0 offen offset:256
	buffer_load_dwordx4 v[26:29], v36, s[4:7], s0 offen
	buffer_load_dwordx4 v[30:33], v36, s[4:7], s0 offen offset:256
.LBB326_61:
	ds_read_b64 v[38:39], v44 offset:32768
	v_add_u32_e32 v36, 0xb000, v42
	ds_read2_b64 v[54:57], v36 offset1:16
	ds_read_b64 v[50:51], v45 offset:32768
	ds_read_b64 v[58:59], v46 offset:32768
	;; [unrolled: 1-line block ×3, first 2 shown]
	ds_read2st64_b64 v[44:47], v42 offset0:90 offset1:92
	v_and_b32_e32 v36, 12, v48
	v_and_b32_e32 v48, 6, v0
	v_xor_b32_e32 v35, v35, v48
	v_lshlrev_b32_e32 v35, 2, v35
	s_mov_b32 s0, 0x1000504
	s_waitcnt lgkmcnt(4)
	v_mfma_f32_16x16x16_bf16 a[0:3], v[38:39], v[54:55], a[0:3]
	s_mov_b32 s1, 0x3020706
	v_mfma_f32_16x16x16_bf16 a[4:7], v[38:39], v[56:57], a[4:7]
	ds_read2st64_b64 v[54:57], v43 offset0:90 offset1:92
	s_waitcnt lgkmcnt(1)
	v_mfma_f32_16x16x16_bf16 a[0:3], v[50:51], v[44:45], a[0:3]
	ds_read_b64 v[38:39], v42 offset:48128
	ds_read_b64 v[44:45], v43 offset:48128
	s_waitcnt lgkmcnt(2)
	v_mfma_f32_16x16x16_bf16 a[4:7], v[50:51], v[54:55], a[4:7]
	v_mfma_f32_16x16x16_bf16 a[0:3], v[58:59], v[46:47], a[0:3]
	v_and_b32_e32 v46, 1, v0
	v_xor_b32_e32 v47, 0x440, v35
	v_cmp_eq_u32_e32 vcc, 0, v46
	v_mfma_f32_16x16x16_bf16 a[8:11], v[58:59], v[56:57], a[4:7]
	s_nop 0
	v_cndmask_b32_e32 v35, v47, v35, vcc
	v_lshl_or_b32 v35, v48, 10, v35
	s_waitcnt lgkmcnt(1)
	v_mfma_f32_16x16x16_bf16 a[4:7], v[62:63], v[38:39], a[0:3]
	s_waitcnt vmcnt(0)
	v_perm_b32 v38, v18, v22, s0
	v_perm_b32 v39, v26, v30, s0
	ds_write2st64_b32 v35, v38, v39 offset0:32 offset1:64
	v_xor_b32_e32 v38, 8, v35
	v_perm_b32 v18, v18, v22, s1
	v_perm_b32 v22, v26, v30, s1
	v_add_u32_e32 v26, 0x80, v38
	ds_write2st64_b32 v26, v18, v22 offset0:32 offset1:64
	v_xor_b32_e32 v18, 16, v35
	v_perm_b32 v22, v19, v23, s0
	v_perm_b32 v26, v27, v31, s0
	ds_write2st64_b32 v18, v22, v26 offset0:33 offset1:65
	v_xor_b32_e32 v18, 24, v35
	v_perm_b32 v19, v19, v23, s1
	v_perm_b32 v22, v27, v31, s1
	v_add_u32_e32 v18, 0x80, v18
	ds_write2st64_b32 v18, v19, v22 offset0:33 offset1:65
	v_xor_b32_e32 v18, 32, v35
	v_perm_b32 v19, v20, v24, s0
	v_perm_b32 v22, v28, v32, s0
	ds_write2st64_b32 v18, v19, v22 offset0:34 offset1:66
	v_xor_b32_e32 v18, 40, v35
	s_waitcnt lgkmcnt(5)
	v_mfma_f32_16x16x16_bf16 a[0:3], v[62:63], v[44:45], a[8:11]
	v_perm_b32 v19, v20, v24, s1
	v_perm_b32 v20, v28, v32, s1
	v_add_u32_e32 v18, 0x80, v18
	ds_write2st64_b32 v18, v19, v20 offset0:34 offset1:66
	v_xor_b32_e32 v18, 48, v35
	v_perm_b32 v19, v21, v25, s0
	v_perm_b32 v20, v29, v33, s0
	ds_write2st64_b32 v18, v19, v20 offset0:35 offset1:67
	v_xor_b32_e32 v18, 56, v35
	v_or_b32_e32 v32, v36, v60
	v_perm_b32 v19, v21, v25, s1
	v_perm_b32 v20, v29, v33, s1
	v_add_u32_e32 v18, 0x80, v18
	v_cmp_gt_i32_e32 vcc, s56, v32
	v_mov_b32_e32 v33, 0
	v_mov_b32_e32 v39, 0
	ds_write2st64_b32 v18, v19, v20 offset0:35 offset1:67
	s_and_saveexec_b64 s[0:1], vcc
	s_cbranch_execz .LBB326_63
; %bb.62:
	v_add_u32_e32 v18, s28, v32
	v_ashrrev_i32_e32 v19, 31, v18
	v_mul_lo_u32 v20, v19, s14
	v_mul_lo_u32 v21, v18, s15
	v_mad_u64_u32 v[18:19], s[2:3], v18, s14, 0
	v_add3_u32 v19, v19, v21, v20
	v_lshl_add_u64 v[18:19], v[18:19], 2, s[10:11]
	global_load_dword v18, v[18:19], off
	s_waitcnt vmcnt(0)
	v_sub_f32_e32 v18, s18, v18
	v_mul_f32_e32 v18, 0x3fb8aa3b, v18
	v_exp_f32_e32 v39, v18
.LBB326_63:
	s_or_b64 exec, exec, s[0:1]
	v_or_b32_e32 v24, 1, v32
	v_cmp_gt_i32_e64 s[0:1], s56, v24
	s_and_saveexec_b64 s[2:3], s[0:1]
	s_cbranch_execz .LBB326_65
; %bb.64:
	v_add_u32_e32 v18, s28, v24
	v_ashrrev_i32_e32 v19, 31, v18
	v_mul_lo_u32 v20, v19, s14
	v_mul_lo_u32 v21, v18, s15
	v_mad_u64_u32 v[18:19], s[4:5], v18, s14, 0
	v_add3_u32 v19, v19, v21, v20
	v_lshl_add_u64 v[18:19], v[18:19], 2, s[10:11]
	global_load_dword v18, v[18:19], off
	s_waitcnt vmcnt(0)
	v_sub_f32_e32 v18, s18, v18
	v_mul_f32_e32 v18, 0x3fb8aa3b, v18
	v_exp_f32_e32 v33, v18
.LBB326_65:
	s_or_b64 exec, exec, s[2:3]
	v_or_b32_e32 v25, 2, v32
	v_cmp_gt_i32_e64 s[2:3], s56, v25
	v_mov_b32_e32 v38, 0
	v_mov_b32_e32 v44, 0
	s_and_saveexec_b64 s[4:5], s[2:3]
	s_cbranch_execz .LBB326_67
; %bb.66:
	v_add_u32_e32 v18, s28, v25
	v_ashrrev_i32_e32 v19, 31, v18
	v_mul_lo_u32 v20, v19, s14
	v_mul_lo_u32 v21, v18, s15
	v_mad_u64_u32 v[18:19], s[6:7], v18, s14, 0
	v_add3_u32 v19, v19, v21, v20
	v_lshl_add_u64 v[18:19], v[18:19], 2, s[10:11]
	global_load_dword v18, v[18:19], off
	s_waitcnt vmcnt(0)
	v_sub_f32_e32 v18, s18, v18
	v_mul_f32_e32 v18, 0x3fb8aa3b, v18
	v_exp_f32_e32 v44, v18
.LBB326_67:
	s_or_b64 exec, exec, s[4:5]
	v_or_b32_e32 v45, 3, v32
	v_cmp_gt_i32_e64 s[4:5], s56, v45
	s_and_saveexec_b64 s[6:7], s[4:5]
	s_cbranch_execz .LBB326_69
; %bb.68:
	v_add_u32_e32 v18, s28, v45
	v_ashrrev_i32_e32 v19, 31, v18
	v_mul_lo_u32 v20, v19, s14
	v_mul_lo_u32 v21, v18, s15
	v_mad_u64_u32 v[18:19], s[14:15], v18, s14, 0
	v_add3_u32 v19, v19, v21, v20
	v_lshl_add_u64 v[18:19], v[18:19], 2, s[10:11]
	global_load_dword v18, v[18:19], off
	s_waitcnt vmcnt(0)
	v_sub_f32_e32 v18, s18, v18
	v_mul_f32_e32 v18, 0x3fb8aa3b, v18
	v_exp_f32_e32 v38, v18
.LBB326_69:
	s_or_b64 exec, exec, s[6:7]
	s_add_u32 s6, s8, s30
	v_accvgpr_read_b32 v21, a7
	s_addc_u32 s7, s9, s31
	v_ashrrev_i32_e32 v35, 31, v34
	v_accvgpr_read_b32 v20, a6
	v_accvgpr_read_b32 v19, a5
	;; [unrolled: 1-line block ×3, first 2 shown]
	v_lshl_add_u64 v[22:23], v[34:35], 1, s[6:7]
	v_mov_b32_e32 v29, 0
	v_lshlrev_b32_e32 v26, 8, v32
	v_mov_b32_e32 v27, 0
	s_and_saveexec_b64 s[6:7], vcc
	s_cbranch_execz .LBB326_71
; %bb.70:
	v_mov_b32_e32 v27, 0
	v_lshl_add_u64 v[30:31], v[22:23], 0, v[26:27]
	global_load_ushort v27, v[30:31], off
	s_waitcnt vmcnt(0)
	v_lshlrev_b32_e32 v27, 16, v27
	v_sub_f32_e32 v18, v27, v18
	v_mul_f32_e32 v18, v39, v18
	v_lshrrev_b32_e32 v27, 16, v18
.LBB326_71:
	s_or_b64 exec, exec, s[6:7]
	v_lshlrev_b32_e32 v28, 8, v24
	s_and_saveexec_b64 s[6:7], s[0:1]
	s_cbranch_execz .LBB326_73
; %bb.72:
	v_mov_b32_e32 v29, 0
	v_lshl_add_u64 v[30:31], v[22:23], 0, v[28:29]
	global_load_ushort v18, v[30:31], off
	s_waitcnt vmcnt(0)
	v_lshlrev_b32_e32 v18, 16, v18
	v_sub_f32_e32 v18, v18, v19
	v_mul_f32_e32 v18, v33, v18
	v_lshrrev_b32_e32 v29, 16, v18
.LBB326_73:
	s_or_b64 exec, exec, s[6:7]
	v_mov_b32_e32 v46, 0
	v_lshlrev_b32_e32 v30, 8, v25
	v_mov_b32_e32 v31, 0
	s_and_saveexec_b64 s[6:7], s[2:3]
	s_cbranch_execz .LBB326_75
; %bb.74:
	v_mov_b32_e32 v31, 0
	v_lshl_add_u64 v[18:19], v[22:23], 0, v[30:31]
	global_load_ushort v18, v[18:19], off
	s_waitcnt vmcnt(0)
	v_lshlrev_b32_e32 v18, 16, v18
	v_sub_f32_e32 v18, v18, v20
	v_mul_f32_e32 v18, v44, v18
	v_lshrrev_b32_e32 v31, 16, v18
.LBB326_75:
	s_or_b64 exec, exec, s[6:7]
	v_lshlrev_b32_e32 v24, 8, v45
	s_and_saveexec_b64 s[6:7], s[4:5]
	s_cbranch_execz .LBB326_77
; %bb.76:
	v_mov_b32_e32 v25, 0
	v_lshl_add_u64 v[18:19], v[22:23], 0, v[24:25]
	global_load_ushort v18, v[18:19], off
	s_waitcnt vmcnt(0)
	v_lshlrev_b32_e32 v18, 16, v18
	v_sub_f32_e32 v18, v18, v21
	v_mul_f32_e32 v18, v38, v18
	v_lshrrev_b32_e32 v46, 16, v18
.LBB326_77:
	s_or_b64 exec, exec, s[6:7]
	v_lshlrev_b32_e32 v35, 5, v32
	v_accvgpr_read_b32 v21, a3
	s_mov_b32 s6, 0x5040100
	v_or_b32_e32 v25, v35, v40
	v_accvgpr_read_b32 v20, a2
	v_accvgpr_read_b32 v19, a1
	;; [unrolled: 1-line block ×3, first 2 shown]
	v_perm_b32 v47, v46, v31, s6
	v_perm_b32 v46, v29, v27, s6
	v_lshlrev_b32_e32 v25, 1, v25
	v_mov_b32_e32 v29, 0
	v_mov_b32_e32 v27, 0
	ds_write_b64 v25, v[46:47] offset:45056
	s_and_saveexec_b64 s[6:7], vcc
	s_cbranch_execz .LBB326_79
; %bb.78:
	v_mov_b32_e32 v27, 0
	v_lshl_add_u64 v[26:27], v[22:23], 0, v[26:27]
	global_load_ushort v25, v[26:27], off offset:32
	s_waitcnt vmcnt(0)
	v_lshlrev_b32_e32 v25, 16, v25
	v_sub_f32_e32 v18, v25, v18
	v_mul_f32_e32 v18, v39, v18
	v_lshrrev_b32_e32 v27, 16, v18
.LBB326_79:
	s_or_b64 exec, exec, s[6:7]
	s_and_saveexec_b64 s[6:7], s[0:1]
	s_cbranch_execz .LBB326_81
; %bb.80:
	v_mov_b32_e32 v29, 0
	v_lshl_add_u64 v[28:29], v[22:23], 0, v[28:29]
	global_load_ushort v18, v[28:29], off offset:32
	s_waitcnt vmcnt(0)
	v_lshlrev_b32_e32 v18, 16, v18
	v_sub_f32_e32 v18, v18, v19
	v_mul_f32_e32 v18, v33, v18
	v_lshrrev_b32_e32 v29, 16, v18
.LBB326_81:
	s_or_b64 exec, exec, s[6:7]
	v_mov_b32_e32 v25, 0
	v_mov_b32_e32 v26, 0
	s_and_saveexec_b64 s[0:1], s[2:3]
	s_cbranch_execz .LBB326_83
; %bb.82:
	v_mov_b32_e32 v31, 0
	v_lshl_add_u64 v[18:19], v[22:23], 0, v[30:31]
	global_load_ushort v18, v[18:19], off offset:32
	s_waitcnt vmcnt(0)
	v_lshlrev_b32_e32 v18, 16, v18
	v_sub_f32_e32 v18, v18, v20
	v_mul_f32_e32 v18, v44, v18
	v_lshrrev_b32_e32 v26, 16, v18
.LBB326_83:
	s_or_b64 exec, exec, s[0:1]
	v_or_b32_e32 v19, 0xb000, v42
	v_or_b32_e32 v18, 0xb000, v43
	s_and_saveexec_b64 s[0:1], s[4:5]
	s_cbranch_execz .LBB326_85
; %bb.84:
	v_mov_b32_e32 v25, 0
	v_lshl_add_u64 v[22:23], v[22:23], 0, v[24:25]
	global_load_ushort v20, v[22:23], off offset:32
	s_waitcnt vmcnt(0)
	v_lshlrev_b32_e32 v20, 16, v20
	v_sub_f32_e32 v20, v20, v21
	v_mul_f32_e32 v20, v38, v20
	v_lshrrev_b32_e32 v25, 16, v20
.LBB326_85:
	s_or_b64 exec, exec, s[0:1]
	s_mov_b32 s0, 0x5040100
	v_or_b32_e32 v22, v35, v37
	v_perm_b32 v21, v25, v26, s0
	v_perm_b32 v20, v29, v27, s0
	v_lshlrev_b32_e32 v22, 1, v22
	s_movk_i32 s2, 0x100
	ds_write_b64 v22, v[20:21] offset:45056
	v_and_b32_e32 v20, 7, v0
	v_and_b32_e32 v21, 8, v0
	v_cmp_gt_u32_e32 vcc, s2, v0
	v_lshrrev_b32_e32 v0, 1, v0
	v_lshlrev_b32_e32 v26, 3, v20
	v_lshlrev_b32_e32 v35, 7, v20
	v_mov_b32_e32 v20, 0x4000
	v_mov_b32_e32 v22, 0x2000
	v_lshlrev_b32_e32 v24, 3, v53
	v_and_b32_e32 v0, 24, v0
	v_cndmask_b32_e32 v27, v20, v22, vcc
	v_xor_b32_e32 v20, v24, v0
	v_or_b32_e32 v22, 0x440, v20
	v_cmp_eq_u32_e32 vcc, 0, v21
	v_or_b32_e32 v28, 32, v0
	v_xor_b32_e32 v28, v24, v28
	v_cndmask_b32_e32 v20, v22, v20, vcc
	v_or_b32_e32 v20, v20, v41
	v_xor_b32_e32 v50, v20, v26
	v_or_b32_e32 v29, 0x440, v28
	v_add3_u32 v25, v27, v50, v35
	v_cndmask_b32_e32 v28, v29, v28, vcc
	v_or_b32_e32 v29, 64, v0
	v_or_b32_e32 v0, 0x60, v0
	s_waitcnt lgkmcnt(0)
	s_barrier
	v_xor_b32_e32 v29, v24, v29
	v_xor_b32_e32 v0, v24, v0
	ds_read_b64 v[24:25], v25
	v_xor_b32_e32 v30, 0x440, v29
	ds_read2_b64 v[20:23], v19 offset1:16
	v_cndmask_b32_e32 v29, v30, v29, vcc
	v_xor_b32_e32 v30, 0x440, v0
	v_or_b32_e32 v28, v28, v41
	v_or_b32_e32 v29, v29, v41
	v_cndmask_b32_e32 v0, v30, v0, vcc
	v_xor_b32_e32 v51, v28, v26
	v_xor_b32_e32 v52, v29, v26
	v_or_b32_e32 v0, v0, v41
	v_add3_u32 v28, v27, v51, v35
	v_add3_u32 v29, v27, v52, v35
	v_xor_b32_e32 v54, v0, v26
	s_mul_i32 s0, s16, s17
	s_mul_hi_i32 s1, s16, s17
	v_add3_u32 v0, v27, v54, v35
	ds_read_b64 v[26:27], v28
	ds_read_b64 v[46:47], v29
	ds_read_b64 v[48:49], v0
	s_add_u32 s0, s0, s46
	ds_read2st64_b64 v[28:31], v19 offset0:2 offset1:4
	ds_read2st64_b64 v[38:41], v18 offset0:2 offset1:4
	s_waitcnt lgkmcnt(5)
	v_mfma_f32_16x16x16_bf16 a[0:3], v[24:25], v[20:21], 0
	s_addc_u32 s1, s1, s29
	s_lshl_b64 s[0:1], s[0:1], 9
	s_add_u32 s0, s36, s0
	v_mfma_f32_16x16x16_bf16 a[4:7], v[24:25], v[22:23], 0
	s_addc_u32 s1, s37, s1
	v_lshlrev_b32_e32 v0, 2, v32
	v_lshlrev_b32_e32 v32, 2, v36
	s_waitcnt lgkmcnt(1)
	v_mfma_f32_16x16x16_bf16 a[0:3], v[26:27], v[28:29], a[0:3]
	ds_read_b64 v[36:37], v18 offset:3072
	s_waitcnt lgkmcnt(1)
	v_mfma_f32_16x16x16_bf16 a[4:7], v[26:27], v[38:39], a[4:7]
	global_load_dwordx4 v[24:27], v0, s[0:1]
	v_lshlrev_b32_e32 v0, 6, v53
	v_or3_b32 v0, v0, v32, s2
	global_load_dwordx4 v[42:45], v0, s[0:1]
	ds_read_b64 v[32:33], v19 offset:3072
	v_mfma_f32_16x16x16_bf16 a[0:3], v[46:47], v[30:31], a[0:3]
	v_mov_b32_e32 v0, 0x3fb8aa3b
	v_mul_f32_e32 v0, s18, v0
	v_exp_f32_e32 v0, v0
	v_mfma_f32_16x16x16_bf16 a[4:7], v[46:47], v[40:41], a[4:7]
	s_waitcnt vmcnt(1)
	v_mul_f32_e32 v18, 0x3fb8aa3b, v24
	v_mul_f32_e32 v19, 0x3fb8aa3b, v25
	v_exp_f32_e32 v18, v18
	v_exp_f32_e32 v19, v19
	s_waitcnt lgkmcnt(0)
	v_mfma_f32_16x16x16_bf16 a[0:3], v[48:49], v[32:33], a[0:3]
	v_mul_f32_e32 v24, 0x3fb8aa3b, v26
	v_mul_f32_e32 v25, 0x3fb8aa3b, v27
	v_pk_mul_f32 v[46:47], v[0:1], v[18:19] op_sel_hi:[0,1]
	v_add_u32_e32 v18, v50, v35
	v_exp_f32_e32 v24, v24
	v_exp_f32_e32 v25, v25
	v_add_u32_e32 v50, v52, v35
	v_accvgpr_read_b32 v27, a3
	v_accvgpr_read_b32 v26, a2
	v_mfma_f32_16x16x16_bf16 a[2:5], v[48:49], v[36:37], a[4:7]
	ds_read_b64 v[48:49], v18 offset:16384
	v_accvgpr_read_b32 v19, a1
	v_accvgpr_read_b32 v18, a0
	v_pk_fma_f32 v[18:19], v[2:3], v[46:47], v[18:19]
	v_add_u32_e32 v2, v51, v35
	s_waitcnt lgkmcnt(0)
	v_mfma_f32_16x16x16_bf16 a[6:9], v[48:49], v[20:21], 0
	v_add_u32_e32 v35, v54, v35
	ds_read_b64 v[2:3], v2 offset:16384
	ds_read_b64 v[50:51], v50 offset:16384
	;; [unrolled: 1-line block ×3, first 2 shown]
	v_pk_mul_f32 v[24:25], v[0:1], v[24:25] op_sel_hi:[0,1]
	v_pk_fma_f32 v[20:21], v[4:5], v[24:25], v[26:27]
	v_accvgpr_read_b32 v4, a2
	v_mfma_f32_16x16x16_bf16 a[10:13], v[48:49], v[22:23], 0
	v_fma_f32 v26, v10, v46, v4
	v_accvgpr_read_b32 v4, a3
	v_fma_f32 v27, v11, v47, v4
	s_waitcnt lgkmcnt(2)
	v_mfma_f32_16x16x16_bf16 a[0:3], v[2:3], v[28:29], a[6:9]
	v_accvgpr_read_b32 v4, a4
	v_accvgpr_read_b32 v29, a5
	v_fma_f32 v28, v12, v24, v4
	v_mfma_f32_16x16x16_bf16 a[4:7], v[2:3], v[38:39], a[10:13]
	s_waitcnt vmcnt(0)
	v_mov_b32_e32 v2, v43
	v_mov_b32_e32 v3, v44
	;; [unrolled: 1-line block ×3, first 2 shown]
	s_waitcnt lgkmcnt(1)
	v_mfma_f32_16x16x16_bf16 a[0:3], v[50:51], v[30:31], a[0:3]
	v_mul_f32_e32 v2, 0x3fb8aa3b, v2
	v_mul_f32_e32 v5, 0x3fb8aa3b, v42
	v_exp_f32_e32 v11, v2
	v_mfma_f32_16x16x16_bf16 a[4:7], v[50:51], v[40:41], a[4:7]
	v_mul_f32_e32 v2, 0x3fb8aa3b, v3
	v_mul_f32_e32 v3, 0x3fb8aa3b, v4
	v_exp_f32_e32 v10, v5
	s_waitcnt lgkmcnt(0)
	v_mfma_f32_16x16x16_bf16 a[0:3], v[52:53], v[32:33], a[0:3]
	v_exp_f32_e32 v2, v2
	v_exp_f32_e32 v3, v3
	v_pk_mul_f32 v[10:11], v[0:1], v[10:11] op_sel_hi:[0,1]
	v_fmac_f32_e32 v29, v13, v25
	v_mov_b32_e32 v35, v34
	v_pk_mul_f32 v[2:3], v[0:1], v[2:3] op_sel_hi:[0,1]
	s_nop 0
	v_accvgpr_read_b32 v5, a3
	v_accvgpr_read_b32 v4, a2
	v_mfma_f32_16x16x16_bf16 a[2:5], v[52:53], v[36:37], a[4:7]
	v_accvgpr_read_b32 v13, a1
	v_accvgpr_read_b32 v12, a0
	v_pk_fma_f32 v[22:23], v[6:7], v[10:11], v[12:13]
	v_pk_fma_f32 v[24:25], v[8:9], v[2:3], v[4:5]
	s_nop 2
	v_accvgpr_read_b32 v0, a2
	v_fma_f32 v30, v14, v10, v0
	v_accvgpr_read_b32 v0, a3
	v_fma_f32 v31, v15, v11, v0
	v_accvgpr_read_b32 v0, a4
	v_accvgpr_read_b32 v33, a5
	v_fma_f32 v32, v16, v2, v0
	v_fmac_f32_e32 v33, v17, v3
	v_mov_b64_e32 v[2:3], v[18:19]
	v_mov_b64_e32 v[4:5], v[20:21]
	;; [unrolled: 1-line block ×8, first 2 shown]
.LBB326_86:
	s_mul_i32 s0, s47, s35
	s_mul_hi_u32 s1, s47, s34
	s_add_i32 s0, s1, s0
	s_mul_i32 s1, s33, s34
	s_add_i32 s1, s0, s1
	s_mul_i32 s0, s47, s34
	s_add_u32 s0, s0, s46
	s_addc_u32 s1, s1, s29
	s_lshl_b64 s[0:1], s[0:1], 15
	s_add_u32 s0, s12, s0
	v_lshlrev_b32_e32 v18, 7, v35
	s_addc_u32 s1, s13, s1
	v_ashrrev_i32_e32 v19, 31, v18
	v_lshl_add_u64 v[20:21], v[18:19], 1, s[0:1]
	v_lshlrev_b32_e32 v0, 1, v1
	v_mov_b32_e32 v1, 0
	s_mov_b32 s2, 0x7060302
	v_lshl_add_u64 v[20:21], v[20:21], 0, v[0:1]
	v_perm_b32 v5, v5, v4, s2
	v_perm_b32 v4, v3, v2, s2
	;; [unrolled: 1-line block ×4, first 2 shown]
	global_store_dwordx2 v[20:21], v[2:3], off offset:128
	v_or_b32_e32 v2, 0x800, v18
	v_ashrrev_i32_e32 v3, 31, v2
	v_lshl_add_u64 v[2:3], v[2:3], 1, s[0:1]
	v_lshl_add_u64 v[0:1], v[2:3], 0, v[0:1]
	v_perm_b32 v3, v13, v12, s2
	v_perm_b32 v2, v11, v10, s2
	global_store_dwordx2 v[0:1], v[2:3], off
	v_perm_b32 v3, v17, v16, s2
	v_perm_b32 v2, v15, v14, s2
	global_store_dwordx2 v[20:21], v[4:5], off
	global_store_dwordx2 v[0:1], v[2:3], off offset:128
	s_endpgm
	.section	.rodata,"a",@progbits
	.p2align	6, 0x0
	.amdhsa_kernel _ZN12_GLOBAL__N_139chunk_gated_delta_rule_fwd_h_hip_kernelILi32ELb0ELb1ELb0ELb1ELb0ELb1ELb1ELb1EEEvPK12hip_bfloat16S3_S3_PKfS5_PKvPS1_S8_PvPKiSB_iiiiilll
		.amdhsa_group_segment_fixed_size 49152
		.amdhsa_private_segment_fixed_size 0
		.amdhsa_kernarg_size 136
		.amdhsa_user_sgpr_count 2
		.amdhsa_user_sgpr_dispatch_ptr 0
		.amdhsa_user_sgpr_queue_ptr 0
		.amdhsa_user_sgpr_kernarg_segment_ptr 1
		.amdhsa_user_sgpr_dispatch_id 0
		.amdhsa_user_sgpr_kernarg_preload_length 0
		.amdhsa_user_sgpr_kernarg_preload_offset 0
		.amdhsa_user_sgpr_private_segment_size 0
		.amdhsa_uses_dynamic_stack 0
		.amdhsa_enable_private_segment 0
		.amdhsa_system_sgpr_workgroup_id_x 1
		.amdhsa_system_sgpr_workgroup_id_y 1
		.amdhsa_system_sgpr_workgroup_id_z 0
		.amdhsa_system_sgpr_workgroup_info 0
		.amdhsa_system_vgpr_workitem_id 0
		.amdhsa_next_free_vgpr 164
		.amdhsa_next_free_sgpr 66
		.amdhsa_accum_offset 140
		.amdhsa_reserve_vcc 1
		.amdhsa_float_round_mode_32 0
		.amdhsa_float_round_mode_16_64 0
		.amdhsa_float_denorm_mode_32 3
		.amdhsa_float_denorm_mode_16_64 3
		.amdhsa_dx10_clamp 1
		.amdhsa_ieee_mode 1
		.amdhsa_fp16_overflow 0
		.amdhsa_tg_split 0
		.amdhsa_exception_fp_ieee_invalid_op 0
		.amdhsa_exception_fp_denorm_src 0
		.amdhsa_exception_fp_ieee_div_zero 0
		.amdhsa_exception_fp_ieee_overflow 0
		.amdhsa_exception_fp_ieee_underflow 0
		.amdhsa_exception_fp_ieee_inexact 0
		.amdhsa_exception_int_div_zero 0
	.end_amdhsa_kernel
	.section	.text._ZN12_GLOBAL__N_139chunk_gated_delta_rule_fwd_h_hip_kernelILi32ELb0ELb1ELb0ELb1ELb0ELb1ELb1ELb1EEEvPK12hip_bfloat16S3_S3_PKfS5_PKvPS1_S8_PvPKiSB_iiiiilll,"axG",@progbits,_ZN12_GLOBAL__N_139chunk_gated_delta_rule_fwd_h_hip_kernelILi32ELb0ELb1ELb0ELb1ELb0ELb1ELb1ELb1EEEvPK12hip_bfloat16S3_S3_PKfS5_PKvPS1_S8_PvPKiSB_iiiiilll,comdat
.Lfunc_end326:
	.size	_ZN12_GLOBAL__N_139chunk_gated_delta_rule_fwd_h_hip_kernelILi32ELb0ELb1ELb0ELb1ELb0ELb1ELb1ELb1EEEvPK12hip_bfloat16S3_S3_PKfS5_PKvPS1_S8_PvPKiSB_iiiiilll, .Lfunc_end326-_ZN12_GLOBAL__N_139chunk_gated_delta_rule_fwd_h_hip_kernelILi32ELb0ELb1ELb0ELb1ELb0ELb1ELb1ELb1EEEvPK12hip_bfloat16S3_S3_PKfS5_PKvPS1_S8_PvPKiSB_iiiiilll
                                        ; -- End function
	.section	.AMDGPU.csdata,"",@progbits
; Kernel info:
; codeLenInByte = 9844
; NumSgprs: 72
; NumVgprs: 140
; NumAgprs: 24
; TotalNumVgprs: 164
; ScratchSize: 0
; MemoryBound: 0
; FloatMode: 240
; IeeeMode: 1
; LDSByteSize: 49152 bytes/workgroup (compile time only)
; SGPRBlocks: 8
; VGPRBlocks: 20
; NumSGPRsForWavesPerEU: 72
; NumVGPRsForWavesPerEU: 164
; AccumOffset: 140
; Occupancy: 1
; WaveLimiterHint : 1
; COMPUTE_PGM_RSRC2:SCRATCH_EN: 0
; COMPUTE_PGM_RSRC2:USER_SGPR: 2
; COMPUTE_PGM_RSRC2:TRAP_HANDLER: 0
; COMPUTE_PGM_RSRC2:TGID_X_EN: 1
; COMPUTE_PGM_RSRC2:TGID_Y_EN: 1
; COMPUTE_PGM_RSRC2:TGID_Z_EN: 0
; COMPUTE_PGM_RSRC2:TIDIG_COMP_CNT: 0
; COMPUTE_PGM_RSRC3_GFX90A:ACCUM_OFFSET: 34
; COMPUTE_PGM_RSRC3_GFX90A:TG_SPLIT: 0
	.section	.text._ZN12_GLOBAL__N_139chunk_gated_delta_rule_fwd_h_hip_kernelILi32ELb0ELb0ELb1ELb1ELb0ELb1ELb1ELb1EEEvPK12hip_bfloat16S3_S3_PKfS5_PKvPS1_S8_PvPKiSB_iiiiilll,"axG",@progbits,_ZN12_GLOBAL__N_139chunk_gated_delta_rule_fwd_h_hip_kernelILi32ELb0ELb0ELb1ELb1ELb0ELb1ELb1ELb1EEEvPK12hip_bfloat16S3_S3_PKfS5_PKvPS1_S8_PvPKiSB_iiiiilll,comdat
	.globl	_ZN12_GLOBAL__N_139chunk_gated_delta_rule_fwd_h_hip_kernelILi32ELb0ELb0ELb1ELb1ELb0ELb1ELb1ELb1EEEvPK12hip_bfloat16S3_S3_PKfS5_PKvPS1_S8_PvPKiSB_iiiiilll ; -- Begin function _ZN12_GLOBAL__N_139chunk_gated_delta_rule_fwd_h_hip_kernelILi32ELb0ELb0ELb1ELb1ELb0ELb1ELb1ELb1EEEvPK12hip_bfloat16S3_S3_PKfS5_PKvPS1_S8_PvPKiSB_iiiiilll
	.p2align	8
	.type	_ZN12_GLOBAL__N_139chunk_gated_delta_rule_fwd_h_hip_kernelILi32ELb0ELb0ELb1ELb1ELb0ELb1ELb1ELb1EEEvPK12hip_bfloat16S3_S3_PKfS5_PKvPS1_S8_PvPKiSB_iiiiilll,@function
_ZN12_GLOBAL__N_139chunk_gated_delta_rule_fwd_h_hip_kernelILi32ELb0ELb0ELb1ELb1ELb0ELb1ELb1ELb1EEEvPK12hip_bfloat16S3_S3_PKfS5_PKvPS1_S8_PvPKiSB_iiiiilll: ; @_ZN12_GLOBAL__N_139chunk_gated_delta_rule_fwd_h_hip_kernelILi32ELb0ELb0ELb1ELb1ELb0ELb1ELb1ELb1EEEvPK12hip_bfloat16S3_S3_PKfS5_PKvPS1_S8_PvPKiSB_iiiiilll
; %bb.0:
	s_load_dwordx4 s[16:19], s[0:1], 0x5c
	s_load_dwordx4 s[20:23], s[0:1], 0x70
	s_abs_i32 s25, s3
	s_ashr_i32 s24, s3, 31
	s_load_dwordx4 s[12:15], s[0:1], 0x30
	s_load_dwordx4 s[28:31], s[0:1], 0x48
	s_waitcnt lgkmcnt(0)
	s_abs_i32 s34, s17
	v_cvt_f32_u32_e32 v1, s34
	s_sub_i32 s26, 0, s34
	s_ashr_i32 s35, s17, 31
	s_xor_b32 s24, s24, s35
	v_rcp_iflag_f32_e32 v1, v1
	s_load_dwordx8 s[4:11], s[0:1], 0x0
	v_lshrrev_b32_e32 v63, 6, v0
	v_bfe_u32 v64, v0, 4, 2
	v_mul_f32_e32 v1, 0x4f7ffffe, v1
	v_cvt_u32_f32_e32 v1, v1
	v_lshlrev_b32_e32 v2, 2, v64
	v_and_b32_e32 v62, 63, v0
	v_mov_b32_e32 v5, 0
	v_readfirstlane_b32 s27, v1
	s_mul_i32 s26, s26, s27
	s_mul_hi_u32 s26, s27, s26
	s_add_i32 s27, s27, s26
	s_mul_hi_u32 s26, s25, s27
	s_mul_i32 s27, s26, s34
	s_sub_i32 s25, s25, s27
	s_add_i32 s33, s26, 1
	s_sub_i32 s27, s25, s34
	s_cmp_ge_u32 s25, s34
	s_cselect_b32 s26, s33, s26
	s_cselect_b32 s25, s27, s25
	s_add_i32 s27, s26, 1
	s_cmp_ge_u32 s25, s34
	s_cselect_b32 s25, s27, s26
	s_xor_b32 s25, s25, s24
	s_sub_i32 s24, s25, s24
	s_mul_i32 s25, s24, s17
	s_sub_i32 s33, s3, s25
	s_ashr_i32 s25, s24, 31
	s_lshl_b64 s[26:27], s[24:25], 2
	s_add_u32 s28, s28, s26
	s_addc_u32 s29, s29, s27
	s_add_u32 s26, s30, s26
	s_addc_u32 s27, s31, s27
	s_abs_i32 s3, s18
	v_cvt_f32_u32_e32 v1, s3
	s_load_dwordx2 s[38:39], s[28:29], 0x0
	s_sub_i32 s29, 0, s3
	s_load_dword s48, s[26:27], 0x0
	v_rcp_iflag_f32_e32 v1, v1
	v_and_b32_e32 v45, 15, v0
	s_waitcnt lgkmcnt(0)
	s_sub_i32 s49, s39, s38
	s_ashr_i32 s28, s49, 31
	v_mul_f32_e32 v1, 0x4f7ffffe, v1
	v_cvt_u32_f32_e32 v1, v1
	s_lshr_b32 s28, s28, 26
	s_add_i32 s28, s49, s28
	s_ashr_i32 s47, s28, 6
	v_readfirstlane_b32 s30, v1
	s_mul_i32 s29, s29, s30
	s_mul_hi_u32 s29, s30, s29
	s_add_i32 s30, s30, s29
	s_mul_hi_u32 s29, s34, s30
	s_mul_i32 s30, s29, s3
	s_ashr_i32 s28, s18, 31
	s_sub_i32 s30, s34, s30
	s_xor_b32 s28, s35, s28
	s_add_i32 s31, s29, 1
	s_sub_i32 s34, s30, s3
	s_cmp_ge_u32 s30, s3
	s_cselect_b32 s29, s31, s29
	s_cselect_b32 s30, s34, s30
	s_add_i32 s31, s29, 1
	s_cmp_ge_u32 s30, s3
	s_cselect_b32 s3, s31, s29
	s_xor_b32 s3, s3, s28
	s_sub_i32 s3, s3, s28
	s_abs_i32 s28, s3
	v_cvt_f32_u32_e32 v1, s28
	s_sub_i32 s27, 0, s28
	s_abs_i32 s26, s33
	s_xor_b32 s3, s33, s3
	v_rcp_iflag_f32_e32 v1, v1
	s_ashr_i32 s3, s3, 31
	s_load_dwordx2 s[34:35], s[0:1], 0x80
	s_mul_hi_i32 s50, s33, s16
	v_mul_f32_e32 v1, 0x4f7ffffe, v1
	v_cvt_u32_f32_e32 v1, v1
	s_mul_i32 s51, s33, s16
	v_lshrrev_b32_e32 v66, 3, v62
	v_lshlrev_b32_e32 v65, 3, v0
	v_readfirstlane_b32 s29, v1
	s_mul_i32 s27, s27, s29
	s_mul_hi_u32 s27, s29, s27
	s_add_i32 s29, s29, s27
	s_mul_hi_u32 s27, s26, s29
	s_mul_i32 s29, s27, s28
	s_sub_i32 s26, s26, s29
	s_add_i32 s29, s27, 1
	s_sub_i32 s30, s26, s28
	s_cmp_ge_u32 s26, s28
	s_cselect_b32 s27, s29, s27
	s_cselect_b32 s26, s30, s26
	s_add_i32 s29, s27, 1
	s_cmp_ge_u32 s26, s28
	s_cselect_b32 s26, s29, s27
	s_xor_b32 s26, s26, s3
	v_lshlrev_b32_e32 v1, 4, v63
	s_sub_i32 s52, s26, s3
	v_or_b32_e32 v67, v2, v1
	s_lshl_b32 s36, s2, 5
	v_or_b32_e32 v68, 64, v67
	s_cmp_lt_i32 s49, 64
	s_mul_i32 s44, s24, s21
	s_mul_hi_u32 s45, s24, s20
	s_mul_i32 s46, s25, s20
	s_mul_i32 s20, s24, s20
	v_mov_b32_e32 v86, 0
	v_mov_b32_e32 v84, 0
	v_mov_b32_e32 v85, 0
	v_mov_b32_e32 v9, 0
	v_mov_b32_e32 v90, 0
	v_mov_b32_e32 v88, 0
	v_mov_b32_e32 v89, 0
	v_mov_b32_e32 v49, 0
	v_mov_b32_e32 v48, v5
	v_mov_b32_e32 v47, 0
	v_mov_b32_e32 v46, v5
	v_mov_b32_e32 v55, 0
	v_mov_b32_e32 v54, v5
	v_mov_b32_e32 v53, v5
	v_mov_b32_e32 v52, v5
	s_cbranch_scc1 .LBB327_18
; %bb.1:
	s_ashr_i32 s55, s33, 31
	s_ashr_i32 s3, s38, 31
	s_add_u32 s2, s51, s38
	s_addc_u32 s3, s50, s3
	s_lshl_b64 s[2:3], s[2:3], 8
	v_and_b32_e32 v70, 56, v65
	s_add_u32 s24, s6, s2
	v_lshl_or_b32 v69, v63, 3, v66
	v_lshlrev_b32_e32 v3, 1, v70
	s_addc_u32 s2, s7, s3
	v_lshl_or_b32 v71, v69, 8, v3
	s_and_b32 s25, s2, 0xffff
	s_mov_b32 s27, 0x20000
	s_movk_i32 s26, 0x4000
	s_movk_i32 s2, 0x80
	v_or_b32_e32 v72, 0x2000, v71
	buffer_load_dwordx4 v[4:7], v71, s[24:27], 0 offen
	buffer_load_dwordx4 v[8:11], v71, s[24:27], s2 offen
	;; [unrolled: 1-line block ×4, first 2 shown]
	v_lshlrev_b32_e32 v20, 3, v69
	v_and_or_b32 v22, v0, 7, v20
	v_and_b32_e32 v20, 0x78, v20
	v_lshlrev_b32_e32 v22, 4, v22
	v_xor_b32_e32 v73, v22, v20
	v_mul_lo_u32 v21, v69, s19
	v_or_b32_e32 v74, 0x1000, v73
	s_cmpk_eq_i32 s19, 0x80
	s_mov_b32 s53, s17
	s_mov_b32 s54, s38
	v_xor_b32_e32 v20, 8, v73
	v_xor_b32_e32 v22, 8, v74
	s_cselect_b64 s[2:3], -1, 0
	s_cmpk_lg_i32 s19, 0x80
	s_waitcnt vmcnt(3)
	ds_write_b64 v73, v[4:5] offset:24576
	ds_write_b64 v20, v[6:7] offset:24576
	s_waitcnt vmcnt(2)
	ds_write_b64 v73, v[8:9] offset:32768
	ds_write_b64 v20, v[10:11] offset:32768
	;; [unrolled: 3-line block ×4, first 2 shown]
	v_lshl_add_u32 v4, v21, 1, v70
	s_cbranch_scc0 .LBB327_3
; %bb.2:
	v_lshlrev_b32_e32 v6, 1, v4
	v_add_lshl_u32 v5, v4, s19, 1
	s_lshl_b32 s26, s19, 7
	s_load_dwordx2 s[40:41], s[0:1], 0x20
	v_lshl_or_b32 v3, v69, 9, v3
	s_cbranch_execz .LBB327_4
	s_branch .LBB327_5
.LBB327_3:
                                        ; implicit-def: $vgpr5
                                        ; implicit-def: $vgpr6
                                        ; implicit-def: $sgpr26
	s_load_dwordx2 s[40:41], s[0:1], 0x20
	v_lshl_or_b32 v3, v69, 9, v3
.LBB327_4:
	v_or_b32_e32 v5, 0x100, v3
	s_movk_i32 s26, 0x4000
	v_mov_b32_e32 v6, v3
.LBB327_5:
	s_mul_i32 s0, s38, s18
	s_ashr_i32 s56, s52, 31
	s_mul_hi_i32 s1, s38, s18
	s_add_u32 s0, s0, s52
	s_addc_u32 s1, s1, s56
	s_lshl_b64 s[0:1], s[0:1], 8
	s_add_u32 s24, s4, s0
	s_addc_u32 s0, s5, s1
	s_and_b32 s25, s0, 0xffff
	s_movk_i32 s57, 0x80
	buffer_load_dwordx4 v[8:11], v6, s[24:27], 0 offen
	buffer_load_dwordx4 v[12:15], v6, s[24:27], s57 offen
	;; [unrolled: 1-line block ×4, first 2 shown]
	v_and_b32_e32 v5, 6, v0
	v_lshlrev_b32_e32 v24, 6, v67
	v_or_b32_e32 v26, 16, v45
	v_xor_b32_e32 v27, v69, v5
	v_and_b32_e32 v6, 1, v0
	v_lshl_or_b32 v30, v45, 3, v24
	v_lshl_or_b32 v24, v26, 3, v24
	v_lshlrev_b32_e32 v27, 2, v27
	v_lshlrev_b32_e32 v7, 2, v45
	s_mul_i32 s0, s33, s23
	s_mul_hi_u32 s1, s33, s22
	v_or_b32_e32 v77, 0xa000, v24
	v_or_b32_e32 v78, 0xb000, v24
	v_xor_b32_e32 v24, 0x440, v27
	v_cmp_eq_u32_e32 vcc, 0, v6
	s_add_i32 s21, s45, s44
	s_mul_i32 s24, s55, s22
	v_xor_b32_e32 v28, v67, v7
	v_xor_b32_e32 v29, v68, v7
	v_cndmask_b32_e32 v6, v24, v27, vcc
	s_add_i32 s0, s1, s0
	s_add_i32 s21, s21, s46
	s_mov_b32 s58, 0x1000504
	v_lshlrev_b32_e32 v25, 8, v45
	v_lshlrev_b32_e32 v26, 8, v26
	;; [unrolled: 1-line block ×4, first 2 shown]
	v_lshl_or_b32 v5, v5, 10, v6
	s_add_i32 s1, s0, s24
	s_lshl_b64 s[24:25], s[20:21], 2
	s_mov_b32 s59, 0x3020706
	v_or_b32_e32 v75, 0xa000, v30
	v_or_b32_e32 v76, 0xb000, v30
	;; [unrolled: 1-line block ×5, first 2 shown]
	v_xor_b32_e32 v6, 8, v5
	v_xor_b32_e32 v25, 24, v5
	;; [unrolled: 1-line block ×4, first 2 shown]
	s_mul_i32 s0, s33, s22
	s_add_u32 s21, s10, s24
	v_or_b32_e32 v81, v26, v28
	v_xor_b32_e32 v24, 16, v5
	v_xor_b32_e32 v26, 32, v5
	;; [unrolled: 1-line block ×3, first 2 shown]
	v_add_u32_e32 v6, 0x80, v6
	v_add_u32_e32 v25, 0x80, v25
	;; [unrolled: 1-line block ×4, first 2 shown]
	s_addc_u32 s24, s11, s25
	s_lshl_b64 s[0:1], s[0:1], 2
	s_add_u32 s42, s21, s0
	s_movk_i32 s0, 0xf8
	s_addc_u32 s43, s24, s1
	s_ashr_i32 s37, s36, 31
	s_lshl_b32 s30, s19, 7
	s_movk_i32 s24, 0x100
	v_mov_b32_e32 v51, 0
	v_lshlrev_b32_e32 v50, 4, v45
	v_cmp_gt_u32_e32 vcc, s24, v0
	s_mov_b32 s60, 0
	s_movk_i32 s21, 0x1000
	s_movk_i32 s26, 0x4000
	v_add_u32_e32 v102, v1, v2
	v_mov_b32_e32 v113, 0x3fb8aa3b
	v_mov_b32_e32 v52, v51
	v_mov_b32_e32 v53, v51
	v_mov_b32_e32 v54, v51
	v_mov_b32_e32 v55, v51
	v_mov_b32_e32 v46, v51
	v_mov_b32_e32 v47, v51
	v_mov_b32_e32 v48, v51
	v_mov_b32_e32 v49, v51
	v_mov_b32_e32 v89, v51
	v_mov_b32_e32 v88, v51
	v_mov_b32_e32 v90, v51
	v_mov_b32_e32 v115, v51
	s_waitcnt vmcnt(1)
	v_perm_b32 v30, v8, v16, s58
	s_waitcnt vmcnt(0)
	v_perm_b32 v31, v12, v20, s58
	v_perm_b32 v8, v8, v16, s59
	;; [unrolled: 1-line block ×15, first 2 shown]
	ds_write2st64_b32 v5, v30, v31 offset0:32 offset1:64
	ds_write2st64_b32 v6, v8, v12 offset0:32 offset1:64
	;; [unrolled: 1-line block ×8, first 2 shown]
	v_or_b32_e32 v5, v1, v45
	v_lshlrev_b32_e32 v5, 3, v5
	v_lshrrev_b32_e32 v8, 5, v62
	v_and_or_b32 v8, v5, s0, v8
	v_lshrrev_b32_e32 v6, 2, v62
	v_lshlrev_b32_e32 v11, 11, v63
	v_lshlrev_b32_e32 v8, 4, v8
	v_and_b32_e32 v5, 0x78, v5
	v_and_b32_e32 v9, 12, v6
	;; [unrolled: 1-line block ×3, first 2 shown]
	v_xor_b32_e32 v10, v8, v5
	v_lshrrev_b32_e32 v12, 1, v62
	v_or_b32_e32 v10, v10, v6
	v_and_b32_e32 v12, 8, v12
	v_xor_b32_e32 v83, v10, v12
	v_or_b32_e32 v10, 32, v8
	v_xor_b32_e32 v10, v10, v5
	v_or_b32_e32 v10, v10, v6
	v_xor_b32_e32 v91, v10, v12
	v_or_b32_e32 v10, 64, v8
	v_or_b32_e32 v8, 0x60, v8
	v_xor_b32_e32 v10, v10, v5
	v_xor_b32_e32 v5, v8, v5
	s_lshl_b64 s[0:1], s[36:37], 8
	v_or_b32_e32 v10, v10, v6
	v_or_b32_e32 v5, v5, v6
	v_lshlrev_b32_e32 v14, 1, v4
	v_add_lshl_u32 v15, v4, s19, 1
	s_add_u32 s0, s12, s0
	v_lshlrev_b32_e32 v4, 1, v45
	v_xor_b32_e32 v93, v10, v12
	v_xor_b32_e32 v94, v5, v12
	v_lshrrev_b32_e32 v10, 4, v0
	s_addc_u32 s1, s13, s1
	v_or_b32_e32 v5, 1, v4
	v_mov_b32_e32 v20, 0x4000
	v_mov_b32_e32 v21, 0x2000
	v_lshrrev_b32_e32 v22, 1, v0
	v_xor_b32_e32 v12, v10, v4
	v_xor_b32_e32 v17, v5, v10
	v_lshl_add_u64 v[4:5], s[0:1], 0, v[50:51]
	v_lshlrev_b32_e32 v50, 8, v10
	v_cndmask_b32_e32 v20, v20, v21, vcc
	v_lshlrev_b32_e32 v21, 3, v63
	v_and_b32_e32 v22, 24, v22
	v_lshl_or_b32 v97, v12, 3, v50
	v_and_b32_e32 v12, 8, v0
	v_xor_b32_e32 v23, v21, v22
	v_or_b32_e32 v24, 0x440, v23
	v_cmp_eq_u32_e32 vcc, 0, v12
	v_and_b32_e32 v10, 7, v0
	v_lshlrev_b32_e32 v13, 7, v64
	v_cndmask_b32_e32 v12, v24, v23, vcc
	v_lshl_or_b32 v98, v17, 3, v50
	v_lshlrev_b32_e32 v17, 3, v10
	v_lshlrev_b32_e32 v19, 2, v0
	v_or_b32_e32 v12, v12, v11
	v_or_b32_e32 v7, v13, v7
	v_xor_b32_e32 v23, v12, v17
	v_and_or_b32 v12, v19, 60, v13
	v_mov_b32_e32 v13, 0xb000
	v_lshl_or_b32 v99, v12, 1, v13
	v_or_b32_e32 v12, 32, v22
	v_xor_b32_e32 v12, v21, v12
	v_or_b32_e32 v13, 0x440, v12
	v_cndmask_b32_e32 v12, v13, v12, vcc
	v_or_b32_e32 v12, v12, v11
	v_xor_b32_e32 v13, v12, v17
	v_or_b32_e32 v12, 64, v22
	v_xor_b32_e32 v12, v21, v12
	v_xor_b32_e32 v25, 0x440, v12
	v_cndmask_b32_e32 v12, v25, v12, vcc
	v_or_b32_e32 v12, v12, v11
	v_xor_b32_e32 v25, v12, v17
	v_or_b32_e32 v12, 0x60, v22
	v_xor_b32_e32 v12, v21, v12
	v_xor_b32_e32 v21, 0x440, v12
	v_cndmask_b32_e32 v12, v21, v12, vcc
	v_lshlrev_b32_e32 v7, 1, v7
	v_or_b32_e32 v6, s36, v45
	v_or_b32_e32 v11, v12, v11
	;; [unrolled: 1-line block ×6, first 2 shown]
	v_ashrrev_i32_e32 v7, 31, v6
	v_xor_b32_e32 v11, v11, v17
	v_lshlrev_b32_e32 v8, 7, v67
	v_or_b32_e32 v16, 0x100, v3
	v_lshlrev_b32_e32 v18, 7, v10
	v_or_b32_e32 v10, v9, v1
	v_add_u32_e32 v24, v20, v23
	v_add_u32_e32 v19, v20, v13
	;; [unrolled: 1-line block ×4, first 2 shown]
	v_or3_b32 v12, v1, v9, 64
	v_add_u32_e32 v9, 0x4000, v23
	v_add_u32_e32 v13, 0x4000, v13
	;; [unrolled: 1-line block ×4, first 2 shown]
	v_lshlrev_b64 v[6:7], 1, v[6:7]
	v_cndmask_b32_e64 v100, v14, v3, s[2:3]
	v_cndmask_b32_e64 v101, v15, v16, s[2:3]
	v_lshl_add_u64 v[56:57], s[8:9], 0, v[6:7]
	v_lshl_add_u64 v[58:59], s[14:15], 0, v[6:7]
	v_lshl_add_u64 v[60:61], v[4:5], 0, v[50:51]
	s_mov_b32 s37, 0x7060302
	v_lshlrev_b32_e32 v50, 1, v8
	v_lshlrev_b32_e32 v103, 2, v10
	v_add_u32_e32 v104, v24, v18
	v_add_u32_e32 v105, v19, v18
	;; [unrolled: 1-line block ×4, first 2 shown]
	v_lshlrev_b32_e32 v108, 2, v12
	v_add_u32_e32 v109, v9, v18
	v_add_u32_e32 v110, v13, v18
	;; [unrolled: 1-line block ×4, first 2 shown]
	v_mov_b32_e32 v85, v51
	v_mov_b32_e32 v84, v51
	;; [unrolled: 1-line block ×4, first 2 shown]
	s_waitcnt lgkmcnt(0)
	s_barrier
.LBB327_6:                              ; =>This Inner Loop Header: Depth=1
	s_add_i32 s61, s60, 1
	s_cmp_lt_i32 s61, s47
	s_mov_b64 s[28:29], 0
	s_cselect_b64 s[2:3], -1, 0
	s_cmp_ge_i32 s61, s47
	s_mov_b64 s[24:25], 0
	s_cbranch_scc1 .LBB327_8
; %bb.7:                                ;   in Loop: Header=BB327_6 Depth=1
	s_add_i32 s0, s54, 64
	s_ashr_i32 s1, s0, 31
	s_add_u32 s0, s51, s0
	s_addc_u32 s1, s50, s1
	s_lshl_b64 s[0:1], s[0:1], 8
	s_add_u32 s24, s6, s0
	s_addc_u32 s25, s7, s1
.LBB327_8:                              ;   in Loop: Header=BB327_6 Depth=1
	v_cndmask_b32_e64 v2, 0, 1, s[2:3]
	v_cmp_ne_u32_e64 s[0:1], 1, v2
	s_andn2_b64 vcc, exec, s[2:3]
	s_cbranch_vccnz .LBB327_10
; %bb.9:                                ;   in Loop: Header=BB327_6 Depth=1
	s_add_i32 s2, s54, 64
	s_mul_hi_i32 s3, s2, s18
	s_mul_i32 s2, s2, s18
	s_add_u32 s2, s2, s52
	s_addc_u32 s3, s3, s56
	s_lshl_b64 s[2:3], s[2:3], 8
	s_add_u32 s28, s4, s2
	s_addc_u32 s29, s5, s3
.LBB327_10:                             ;   in Loop: Header=BB327_6 Depth=1
	v_perm_b32 v3, v55, v54, s37
	v_perm_b32 v2, v53, v52, s37
	;; [unrolled: 1-line block ×4, first 2 shown]
	ds_write_b64 v75, v[2:3]
	ds_write_b64 v76, v[4:5]
	;; [unrolled: 1-line block ×4, first 2 shown]
	v_perm_b32 v3, v115, v90, s37
	v_perm_b32 v2, v88, v89, s37
	;; [unrolled: 1-line block ×4, first 2 shown]
	ds_write_b64 v77, v[2:3]
	ds_write_b64 v78, v[4:5]
	;; [unrolled: 1-line block ×4, first 2 shown]
	s_waitcnt lgkmcnt(0)
	s_barrier
	ds_read_b64 v[6:7], v83 offset:24576
	ds_read2_b64 v[2:5], v87 offset1:16
	ds_read_b64 v[10:11], v92 offset:3072
	ds_read_b64 v[12:13], v87 offset:3072
	;; [unrolled: 1-line block ×3, first 2 shown]
	s_waitcnt lgkmcnt(3)
	v_mfma_f32_16x16x16_bf16 a[0:3], v[6:7], v[2:3], 0
	s_add_i32 s62, s54, 63
	s_ashr_i32 s2, s62, 31
	s_mul_i32 s3, s62, s35
	v_mfma_f32_16x16x16_bf16 a[4:7], v[6:7], v[4:5], 0
	ds_read2st64_b64 v[2:5], v87 offset0:2 offset1:4
	s_mul_hi_u32 s31, s62, s34
	s_add_i32 s3, s31, s3
	s_waitcnt lgkmcnt(0)
	v_mfma_f32_16x16x16_bf16 a[0:3], v[14:15], v[2:3], a[0:3]
	ds_read2st64_b64 v[6:9], v92 offset0:2 offset1:4
	ds_read_b64 v[2:3], v93 offset:24576
	s_mul_i32 s2, s2, s34
	s_add_i32 s3, s3, s2
	s_waitcnt lgkmcnt(1)
	v_mfma_f32_16x16x16_bf16 a[4:7], v[14:15], v[6:7], a[4:7]
	ds_read_b64 v[6:7], v94 offset:24576
	s_mul_i32 s2, s62, s34
	s_lshl_b64 s[2:3], s[2:3], 2
	s_waitcnt lgkmcnt(1)
	v_mfma_f32_16x16x16_bf16 a[0:3], v[2:3], v[4:5], a[0:3]
	s_add_u32 s2, s42, s2
	s_addc_u32 s3, s43, s3
	s_and_b64 vcc, exec, s[0:1]
	v_mfma_f32_16x16x16_bf16 a[8:11], v[2:3], v[8:9], a[4:7]
	v_mov_b32_e32 v118, 0
	v_mov_b32_e32 v117, 0
	;; [unrolled: 1-line block ×3, first 2 shown]
	s_waitcnt lgkmcnt(0)
	v_mfma_f32_16x16x16_bf16 a[4:7], v[6:7], v[12:13], a[0:3]
	v_mov_b32_e32 v2, 0
	v_mov_b32_e32 v3, 0
	;; [unrolled: 1-line block ×3, first 2 shown]
	v_mfma_f32_16x16x16_bf16 a[0:3], v[6:7], v[10:11], a[8:11]
	v_mov_b32_e32 v5, 0
	v_mov_b32_e32 v6, 0
	;; [unrolled: 1-line block ×13, first 2 shown]
	s_cbranch_vccnz .LBB327_12
; %bb.11:                               ;   in Loop: Header=BB327_6 Depth=1
	s_and_b32 s25, s25, 0xffff
	buffer_load_dwordx4 v[14:17], v71, s[24:27], 0 offen
	buffer_load_dwordx4 v[10:13], v71, s[24:27], s57 offen
	;; [unrolled: 1-line block ×4, first 2 shown]
	v_mov_b32_e32 v117, v73
	v_mov_b32_e32 v116, v74
.LBB327_12:                             ;   in Loop: Header=BB327_6 Depth=1
	ds_read_b64 v[26:27], v83 offset:32768
	ds_read2_b64 v[18:21], v95 offset1:16
	ds_read_b64 v[28:29], v91 offset:32768
	ds_read_b64 v[30:31], v93 offset:32768
	;; [unrolled: 1-line block ×3, first 2 shown]
	v_add_u32_e32 v34, s54, v102
	s_waitcnt lgkmcnt(3)
	v_mfma_f32_16x16x16_bf16 a[4:7], v[26:27], v[18:19], a[4:7]
	v_ashrrev_i32_e32 v18, 31, v34
	ds_read2st64_b64 v[22:25], v95 offset0:2 offset1:4
	v_mfma_f32_16x16x16_bf16 a[0:3], v[26:27], v[20:21], a[0:3]
	v_mul_lo_u32 v20, v18, s34
	v_mul_lo_u32 v21, v34, s35
	v_mad_u64_u32 v[18:19], s[24:25], v34, s34, 0
	v_add3_u32 v19, v19, v21, v20
	v_add_u32_e32 v20, 1, v34
	v_ashrrev_i32_e32 v21, 31, v20
	v_mul_lo_u32 v26, v21, s34
	v_mul_lo_u32 v27, v20, s35
	v_mad_u64_u32 v[20:21], s[24:25], v20, s34, 0
	v_add3_u32 v21, v21, v27, v26
	v_add_u32_e32 v26, 2, v34
	v_ashrrev_i32_e32 v27, 31, v26
	v_mul_lo_u32 v35, v27, s34
	v_mul_lo_u32 v36, v26, s35
	v_mad_u64_u32 v[26:27], s[24:25], v26, s34, 0
	v_add_u32_e32 v34, 3, v34
	v_add3_u32 v27, v27, v36, v35
	v_ashrrev_i32_e32 v35, 31, v34
	v_mul_lo_u32 v36, v35, s34
	v_mul_lo_u32 v37, v34, s35
	v_mad_u64_u32 v[34:35], s[24:25], v34, s34, 0
	s_ashr_i32 s25, s54, 31
	v_add3_u32 v35, v35, v37, v36
	s_add_u32 s24, s51, s54
	v_lshl_add_u64 v[18:19], v[18:19], 2, s[42:43]
	v_lshl_add_u64 v[34:35], v[34:35], 2, s[42:43]
	s_addc_u32 s25, s50, s25
	v_lshl_add_u64 v[20:21], v[20:21], 2, s[42:43]
	v_lshl_add_u64 v[26:27], v[26:27], 2, s[42:43]
	global_load_dword v36, v[18:19], off
	global_load_dword v37, v[20:21], off
	global_load_dword v38, v[26:27], off
	s_nop 0
	global_load_dword v34, v[34:35], off
	s_lshl_b64 s[24:25], s[24:25], 8
	v_lshl_add_u64 v[18:19], v[56:57], 0, s[24:25]
	v_lshl_add_u64 v[26:27], v[18:19], 0, v[50:51]
	global_load_ushort v35, v[26:27], off offset:256
	global_load_ushort v39, v[26:27], off
	ds_read2st64_b64 v[18:21], v96 offset0:2 offset1:4
	global_load_ushort v40, v[26:27], off offset:768
	global_load_ushort v41, v[26:27], off offset:512
	;; [unrolled: 1-line block ×6, first 2 shown]
	s_waitcnt lgkmcnt(1)
	v_mfma_f32_16x16x16_bf16 a[4:7], v[28:29], v[22:23], a[4:7]
	s_and_b64 vcc, exec, s[0:1]
	s_waitcnt vmcnt(7)
	v_lshlrev_b32_e32 v27, 16, v35
	s_waitcnt lgkmcnt(0)
	v_mfma_f32_16x16x16_bf16 a[0:3], v[28:29], v[18:19], a[0:3]
	v_mfma_f32_16x16x16_bf16 a[4:7], v[30:31], v[24:25], a[4:7]
	v_mfma_f32_16x16x16_bf16 a[0:3], v[30:31], v[20:21], a[0:3]
	ds_read_b64 v[18:19], v95 offset:3072
	ds_read_b64 v[20:21], v96 offset:3072
	s_load_dword s2, s[2:3], 0x0
	s_waitcnt lgkmcnt(0)
	v_sub_f32_e32 v26, s2, v36
	v_mfma_f32_16x16x16_bf16 a[4:7], v[32:33], v[18:19], a[4:7]
	v_sub_f32_e32 v29, s2, v37
	v_sub_f32_e32 v30, s2, v38
	;; [unrolled: 1-line block ×3, first 2 shown]
	v_mul_f32_e32 v28, 0x3fb8aa3b, v26
	v_mul_f32_e32 v29, 0x3fb8aa3b, v29
	;; [unrolled: 1-line block ×4, first 2 shown]
	v_mfma_f32_16x16x16_bf16 a[0:3], v[32:33], v[20:21], a[0:3]
	v_accvgpr_read_b32 v25, a5
	v_exp_f32_e32 v28, v28
	v_exp_f32_e32 v29, v29
	;; [unrolled: 1-line block ×4, first 2 shown]
	v_accvgpr_read_b32 v24, a4
	s_waitcnt vmcnt(6)
	v_lshlrev_b32_e32 v26, 16, v39
	v_lshl_add_u64 v[18:19], v[58:59], 0, s[24:25]
	v_accvgpr_read_b32 v21, a7
	v_accvgpr_read_b32 v20, a6
	v_pk_add_f32 v[24:25], v[26:27], v[24:25] neg_lo:[0,1] neg_hi:[0,1]
	s_waitcnt vmcnt(5)
	v_lshlrev_b32_e32 v27, 16, v40
	s_waitcnt vmcnt(4)
	v_lshlrev_b32_e32 v26, 16, v41
	v_lshl_add_u64 v[18:19], v[18:19], 0, v[50:51]
	v_pk_add_f32 v[20:21], v[26:27], v[20:21] neg_lo:[0,1] neg_hi:[0,1]
	global_store_short_d16_hi v[18:19], v24, off
	global_store_short_d16_hi v[18:19], v25, off offset:256
	global_store_short_d16_hi v[18:19], v20, off offset:512
	;; [unrolled: 1-line block ×3, first 2 shown]
	v_pk_mul_f32 v[24:25], v[28:29], v[24:25]
	v_pk_mul_f32 v[20:21], v[30:31], v[20:21]
	v_accvgpr_read_b32 v27, a1
	v_perm_b32 v21, v21, v20, s37
	v_perm_b32 v20, v25, v24, s37
	s_waitcnt vmcnt(5)
	v_lshlrev_b32_e32 v25, 16, v44
	s_waitcnt vmcnt(4)
	v_lshlrev_b32_e32 v24, 16, v119
	v_accvgpr_read_b32 v26, a0
	v_accvgpr_read_b32 v23, a3
	v_accvgpr_read_b32 v22, a2
	v_pk_add_f32 v[24:25], v[24:25], v[26:27] neg_lo:[0,1] neg_hi:[0,1]
	v_lshlrev_b32_e32 v27, 16, v42
	v_lshlrev_b32_e32 v26, 16, v43
	v_pk_add_f32 v[22:23], v[26:27], v[22:23] neg_lo:[0,1] neg_hi:[0,1]
	global_store_short_d16_hi v[18:19], v24, off offset:32
	global_store_short_d16_hi v[18:19], v25, off offset:288
	;; [unrolled: 1-line block ×4, first 2 shown]
	v_pk_mul_f32 v[18:19], v[28:29], v[24:25]
	v_pk_mul_f32 v[22:23], v[30:31], v[22:23]
	v_mov_b32_e32 v119, 0
	v_perm_b32 v23, v23, v22, s37
	v_perm_b32 v22, v19, v18, s37
	ds_write2_b64 v76, v[20:21], v[22:23] offset1:16
	v_mov_b32_e32 v18, 0
	v_mov_b32_e32 v19, 0
	;; [unrolled: 1-line block ×16, first 2 shown]
	s_cbranch_vccnz .LBB327_14
; %bb.13:                               ;   in Loop: Header=BB327_6 Depth=1
	s_and_b32 s29, s29, 0xffff
	s_mov_b32 s31, s27
	buffer_load_dwordx4 v[30:33], v100, s[28:31], 0 offen
	buffer_load_dwordx4 v[22:25], v100, s[28:31], s57 offen
	;; [unrolled: 1-line block ×4, first 2 shown]
	v_mov_b32_e32 v118, v70
	v_mov_b32_e32 v119, v69
.LBB327_14:                             ;   in Loop: Header=BB327_6 Depth=1
	s_waitcnt lgkmcnt(0)
	s_barrier
	ds_read_b64 v[38:39], v104
	ds_read_b64 v[124:125], v99
	;; [unrolled: 1-line block ×5, first 2 shown]
	ds_read_b64 v[138:139], v96 offset:3072
	ds_read2_b64 v[34:37], v95 offset0:16 offset1:128
	s_waitcnt lgkmcnt(5)
	v_mfma_f32_16x16x16_bf16 a[0:3], v[38:39], v[124:125], 0
	ds_read2st64_b64 v[40:43], v96 offset0:2 offset1:4
	s_add_i32 s3, s48, s60
	s_mul_hi_i32 s25, s3, s53
	s_waitcnt lgkmcnt(1)
	v_mfma_f32_16x16x16_bf16 a[4:7], v[38:39], v[34:35], 0
	ds_read_b64 v[38:39], v109
	s_mul_i32 s3, s3, s53
	s_add_u32 s24, s3, s33
	s_waitcnt lgkmcnt(1)
	v_mfma_f32_16x16x16_bf16 a[4:7], v[126:127], v[40:41], a[4:7]
	s_addc_u32 s25, s25, s55
	s_lshl_b64 s[24:25], s[24:25], 15
	s_mul_i32 s28, s62, s53
	s_mul_hi_i32 s3, s62, s53
	s_add_u32 s28, s28, s33
	v_mfma_f32_16x16x16_bf16 a[8:11], v[128:129], v[42:43], a[4:7]
	s_addc_u32 s29, s3, s55
	ds_read2st64_b64 v[120:123], v95 offset0:4 offset1:6
	s_lshl_b64 s[28:29], s[28:29], 9
	s_waitcnt lgkmcnt(1)
	v_mfma_f32_16x16x16_bf16 a[4:7], v[38:39], v[124:125], 0
	s_add_u32 s28, s40, s28
	s_addc_u32 s29, s41, s29
	v_mfma_f32_16x16x16_bf16 a[0:3], v[126:127], v[36:37], a[0:3]
	ds_read_b64 v[126:127], v110
	ds_read_b64 v[134:135], v111
	ds_read_b64 v[140:141], v112
	v_mfma_f32_16x16x16_bf16 a[12:15], v[38:39], v[34:35], 0
	s_waitcnt lgkmcnt(2)
	v_mfma_f32_16x16x16_bf16 a[4:7], v[126:127], v[36:37], a[4:7]
	global_load_dwordx4 v[34:37], v108, s[28:29]
	v_mfma_f32_16x16x16_bf16 a[12:15], v[126:127], v[40:41], a[12:15]
	global_load_dwordx4 v[38:41], v103, s[28:29]
	ds_read2st64_b64 v[124:127], v97 offset1:8
	s_waitcnt lgkmcnt(0)
	v_mov_b32_e32 v132, v124
	v_mfma_f32_16x16x16_bf16 a[0:3], v[128:129], v[120:121], a[0:3]
	ds_read2st64_b64 v[128:131], v98 offset1:8
	v_mov_b32_e32 v133, v125
	v_mfma_f32_16x16x16_bf16 a[16:19], v[134:135], v[120:121], a[4:7]
	v_lshl_add_u64 v[120:121], v[60:61], 0, s[24:25]
	v_mfma_f32_16x16x16_bf16 a[20:23], v[134:135], v[42:43], a[12:15]
	v_add_co_u32_e32 v42, vcc, s21, v120
	s_waitcnt lgkmcnt(0)
	v_mov_b32_e32 v134, v128
	v_mfma_f32_16x16x16_bf16 a[4:7], v[136:137], v[122:123], a[0:3]
	v_mov_b32_e32 v135, v129
	v_mov_b32_e32 v128, v126
	;; [unrolled: 1-line block ×3, first 2 shown]
	v_mfma_f32_16x16x16_bf16 a[8:11], v[136:137], v[138:139], a[8:11]
	v_addc_co_u32_e32 v43, vcc, 0, v121, vcc
	global_store_dwordx4 v[42:43], v[128:131], off
	v_mfma_f32_16x16x16_bf16 a[12:15], v[140:141], v[122:123], a[16:19]
	s_and_b64 vcc, exec, s[0:1]
	global_store_dwordx4 v[120:121], v[132:135], off
	s_waitcnt vmcnt(3)
	v_mov_b32_e32 v44, v37
	v_mfma_f32_16x16x16_bf16 a[0:3], v[140:141], v[138:139], a[20:23]
	v_mov_b32_e32 v43, v36
	v_mov_b32_e32 v42, v35
	s_cbranch_vccnz .LBB327_16
; %bb.15:                               ;   in Loop: Header=BB327_6 Depth=1
	v_lshrrev_b32_e32 v35, 3, v118
	v_and_b32_e32 v35, 6, v35
	v_xor_b32_e32 v36, v35, v119
	v_lshlrev_b32_e32 v36, 2, v36
	v_and_b32_e32 v37, 8, v118
	v_xor_b32_e32 v118, 0x440, v36
	v_cmp_eq_u32_e32 vcc, 0, v37
	v_perm_b32 v37, v22, v18, s58
	s_nop 0
	v_cndmask_b32_e32 v36, v118, v36, vcc
	v_lshl_or_b32 v35, v35, 10, v36
	v_perm_b32 v36, v30, v26, s58
	s_barrier
	ds_write2st64_b32 v35, v36, v37 offset0:32 offset1:64
	v_xor_b32_e32 v36, 8, v35
	v_perm_b32 v26, v30, v26, s59
	v_perm_b32 v18, v22, v18, s59
	v_add_u32_e32 v22, 0x80, v36
	ds_write2st64_b32 v22, v26, v18 offset0:32 offset1:64
	v_xor_b32_e32 v18, 16, v35
	v_perm_b32 v22, v31, v27, s58
	v_perm_b32 v26, v23, v19, s58
	ds_write2st64_b32 v18, v22, v26 offset0:33 offset1:65
	v_xor_b32_e32 v18, 24, v35
	v_perm_b32 v22, v31, v27, s59
	v_perm_b32 v19, v23, v19, s59
	v_add_u32_e32 v18, 0x80, v18
	ds_write2st64_b32 v18, v22, v19 offset0:33 offset1:65
	v_xor_b32_e32 v18, 32, v35
	v_perm_b32 v19, v32, v28, s58
	v_perm_b32 v22, v24, v20, s58
	;; [unrolled: 9-line block ×3, first 2 shown]
	ds_write2st64_b32 v18, v19, v20 offset0:35 offset1:67
	v_xor_b32_e32 v18, 56, v35
	v_perm_b32 v19, v33, v29, s59
	v_perm_b32 v20, v25, v21, s59
	v_add_u32_e32 v18, 0x80, v18
	ds_write2st64_b32 v18, v19, v20 offset0:35 offset1:67
	ds_write_b64 v117, v[14:15] offset:24576
	v_xor_b32_e32 v14, 8, v117
	ds_write_b64 v14, v[16:17] offset:24576
	ds_write_b64 v117, v[10:11] offset:32768
	;; [unrolled: 1-line block ×4, first 2 shown]
	v_xor_b32_e32 v6, 8, v116
	ds_write_b64 v6, v[8:9] offset:24576
	ds_write_b64 v116, v[2:3] offset:32768
	;; [unrolled: 1-line block ×3, first 2 shown]
.LBB327_16:                             ;   in Loop: Header=BB327_6 Depth=1
	v_mul_f32_e32 v2, s2, v113
	v_exp_f32_e32 v18, v2
	s_waitcnt vmcnt(2)
	v_mul_f32_e32 v2, 0x3fb8aa3b, v38
	v_exp_f32_e32 v20, v2
	v_mul_f32_e32 v2, 0x3fb8aa3b, v39
	v_exp_f32_e32 v21, v2
	v_mul_f32_e32 v2, 0x3fb8aa3b, v40
	v_exp_f32_e32 v22, v2
	v_mul_f32_e32 v2, 0x3fb8aa3b, v41
	v_exp_f32_e32 v23, v2
	v_accvgpr_read_b32 v13, a7
	v_accvgpr_read_b32 v11, a5
	v_accvgpr_read_b32 v10, a4
	v_accvgpr_read_b32 v6, a8
	v_pk_mul_f32 v[20:21], v[18:19], v[20:21] op_sel_hi:[0,1]
	v_accvgpr_read_b32 v8, a10
	v_pk_fma_f32 v[52:53], v[52:53], v[20:21], v[10:11]
	v_pk_mul_f32 v[10:11], v[18:19], v[22:23] op_sel_hi:[0,1]
	v_accvgpr_read_b32 v12, a6
	v_accvgpr_read_b32 v7, a9
	v_fma_f32 v90, v90, v10, v8
	v_mul_f32_e32 v8, 0x3fb8aa3b, v43
	v_pk_fma_f32 v[54:55], v[54:55], v[10:11], v[12:13]
	v_fma_f32 v89, v89, v20, v6
	v_fma_f32 v88, v88, v21, v7
	v_mul_f32_e32 v6, 0x3fb8aa3b, v34
	v_mul_f32_e32 v7, 0x3fb8aa3b, v42
	v_exp_f32_e32 v12, v8
	v_mul_f32_e32 v8, 0x3fb8aa3b, v44
	v_exp_f32_e32 v6, v6
	v_exp_f32_e32 v7, v7
	;; [unrolled: 1-line block ×3, first 2 shown]
	v_accvgpr_read_b32 v9, a11
	v_accvgpr_read_b32 v17, a15
	;; [unrolled: 1-line block ×9, first 2 shown]
	v_fmac_f32_e32 v9, v115, v11
	v_pk_mul_f32 v[6:7], v[18:19], v[6:7] op_sel_hi:[0,1]
	v_pk_mul_f32 v[10:11], v[18:19], v[12:13] op_sel_hi:[0,1]
	s_add_i32 s54, s54, 64
	v_pk_fma_f32 v[46:47], v[46:47], v[6:7], v[14:15]
	v_pk_fma_f32 v[48:49], v[48:49], v[10:11], v[16:17]
	v_fma_f32 v85, v85, v6, v2
	v_fma_f32 v84, v84, v7, v3
	;; [unrolled: 1-line block ×3, first 2 shown]
	s_cmp_eq_u32 s47, s61
	v_fmac_f32_e32 v5, v114, v11
	s_cbranch_scc1 .LBB327_18
; %bb.17:                               ;   in Loop: Header=BB327_6 Depth=1
	s_mov_b32 s60, s61
	v_mov_b32_e32 v115, v9
	v_mov_b32_e32 v114, v5
	s_branch .LBB327_6
.LBB327_18:
	s_lshl_b32 s0, s47, 6
	s_sub_i32 s42, s49, s0
	s_cmp_gt_i32 s42, 0
	s_cbranch_scc0 .LBB327_83
; %bb.19:
	s_add_i32 s38, s0, s38
	s_ashr_i32 s2, s38, 31
	s_cmpk_lg_i32 s19, 0x80
	s_cselect_b64 s[30:31], -1, 0
	s_and_b64 vcc, exec, s[30:31]
	s_cbranch_vccz .LBB327_21
; %bb.20:
	s_mul_i32 s1, s38, s18
	s_ashr_i32 s3, s52, 31
	s_mul_hi_i32 s0, s38, s18
	s_add_u32 s40, s1, s52
	s_addc_u32 s41, s0, s3
	s_cbranch_execz .LBB327_22
	s_branch .LBB327_23
.LBB327_21:
                                        ; implicit-def: $sgpr40_sgpr41
.LBB327_22:
	s_mul_i32 s1, s52, s16
	s_mul_hi_i32 s0, s52, s16
	s_add_u32 s40, s1, s38
	s_addc_u32 s41, s0, s2
.LBB327_23:
	s_add_i32 s3, s47, s48
	s_ashr_i32 s16, s33, 31
	s_add_u32 s0, s51, s38
	v_lshlrev_b32_e32 v8, 5, v67
	v_lshlrev_b32_e32 v22, 2, v45
	s_addc_u32 s1, s50, s2
	s_mov_b32 s2, 0x7060302
	v_or_b32_e32 v11, v8, v22
	v_xor_b32_e32 v4, v67, v22
	v_perm_b32 v3, v55, v54, s2
	v_perm_b32 v2, v53, v52, s2
	;; [unrolled: 1-line block ×4, first 2 shown]
	v_lshlrev_b32_e32 v11, 1, v11
	s_lshl_b64 s[28:29], s[0:1], 8
	v_xor_b32_e32 v10, v68, v22
	ds_write2st64_b64 v11, v[2:3], v[6:7] offset0:80 offset1:88
	v_lshlrev_b32_e32 v11, 1, v4
	v_lshlrev_b32_e32 v4, 8, v45
	s_add_u32 s0, s6, s28
	v_or_b32_e32 v12, v11, v4
	v_lshlrev_b32_e32 v10, 1, v10
	s_addc_u32 s1, s7, s29
	ds_write_b64 v12, v[2:3]
	v_or_b32_e32 v2, v10, v4
	s_mul_hi_i32 s6, s3, s17
	s_mul_i32 s3, s3, s17
	ds_write_b64 v2, v[6:7]
	v_perm_b32 v3, v9, v90, s2
	v_perm_b32 v2, v88, v89, s2
	;; [unrolled: 1-line block ×4, first 2 shown]
	v_or_b32_e32 v6, 16, v45
	s_add_u32 s2, s3, s33
	v_lshlrev_b32_e32 v19, 2, v6
	s_addc_u32 s3, s6, s16
	v_or_b32_e32 v7, v8, v19
	s_ashr_i32 s37, s36, 31
	s_lshl_b64 s[2:3], s[2:3], 15
	v_lshlrev_b32_e32 v7, 1, v7
	v_lshlrev_b32_e32 v6, 8, v6
	s_add_u32 s6, s12, s2
	ds_write2st64_b64 v7, v[2:3], v[4:5] offset0:80 offset1:88
	v_or_b32_e32 v7, v11, v6
	s_addc_u32 s7, s13, s3
	s_lshl_b64 s[2:3], s[36:37], 8
	ds_write_b64 v7, v[2:3]
	v_or_b32_e32 v2, v10, v6
	s_add_u32 s2, s6, s2
	ds_write_b64 v2, v[4:5]
	v_lshrrev_b32_e32 v2, 4, v0
	s_addc_u32 s3, s7, s3
	v_lshlrev_b32_e32 v3, 1, v45
	v_lshlrev_b32_e32 v10, 4, v45
	v_mov_b32_e32 v11, 0
	v_or_b32_e32 v4, 1, v3
	v_xor_b32_e32 v3, v2, v3
	v_lshl_add_u64 v[12:13], s[2:3], 0, v[10:11]
	v_lshlrev_b32_e32 v10, 8, v2
	v_xor_b32_e32 v6, v4, v2
	v_lshl_or_b32 v2, v3, 3, v10
	s_waitcnt lgkmcnt(0)
	s_barrier
	ds_read2st64_b64 v[2:5], v2 offset1:8
	v_lshl_or_b32 v6, v6, 3, v10
	ds_read2st64_b64 v[6:9], v6 offset1:8
	v_lshl_add_u64 v[14:15], v[12:13], 0, v[10:11]
	s_movk_i32 s2, 0x1000
	s_waitcnt lgkmcnt(1)
	v_mov_b32_e32 v10, v2
	v_add_co_u32_e32 v2, vcc, s2, v14
	s_cmp_lg_u32 s42, 64
	v_mov_b32_e32 v11, v3
	v_addc_co_u32_e32 v3, vcc, 0, v15, vcc
	s_cselect_b64 s[6:7], -1, 0
	v_lshl_or_b32 v23, v63, 3, v66
	s_waitcnt lgkmcnt(0)
	v_mov_b32_e32 v12, v6
	v_mov_b32_e32 v13, v7
	;; [unrolled: 1-line block ×4, first 2 shown]
	s_mov_b32 s24, 0
	v_or_b32_e32 v20, 32, v23
	v_and_b32_e32 v18, 56, v65
	s_and_b64 vcc, exec, s[6:7]
	global_store_dwordx4 v[14:15], v[10:13], off
	global_store_dwordx4 v[2:3], v[6:9], off
	s_cbranch_vccz .LBB327_29
; %bb.24:
	s_mov_b32 s25, s24
	s_mov_b32 s26, s24
	;; [unrolled: 1-line block ×3, first 2 shown]
	v_mov_b64_e32 v[6:7], s[24:25]
	v_mov_b64_e32 v[8:9], s[26:27]
	;; [unrolled: 1-line block ×3, first 2 shown]
	v_cmp_gt_i32_e32 vcc, s42, v23
	v_mov_b64_e32 v[4:5], v[8:9]
	s_and_saveexec_b64 s[2:3], vcc
	s_cbranch_execz .LBB327_26
; %bb.25:
	v_lshlrev_b32_e32 v2, 8, v23
	v_mov_b32_e32 v3, 0
	v_lshl_add_u64 v[4:5], s[0:1], 0, v[2:3]
	v_lshlrev_b32_e32 v2, 1, v18
	v_lshl_add_u64 v[10:11], v[4:5], 0, v[2:3]
	global_load_dwordx4 v[6:9], v[10:11], off
	global_load_dwordx4 v[2:5], v[10:11], off offset:128
.LBB327_26:
	s_or_b64 exec, exec, s[2:3]
	s_mov_b32 s25, s24
	s_mov_b32 s26, s24
	s_mov_b32 s27, s24
	v_mov_b64_e32 v[14:15], s[24:25]
	v_mov_b64_e32 v[16:17], s[26:27]
	;; [unrolled: 1-line block ×3, first 2 shown]
	v_cmp_gt_i32_e32 vcc, s42, v20
	v_lshlrev_b32_e32 v21, 7, v20
	v_mov_b64_e32 v[12:13], v[16:17]
	s_and_saveexec_b64 s[2:3], vcc
	s_cbranch_execz .LBB327_28
; %bb.27:
	v_lshlrev_b32_e32 v10, 1, v21
	v_mov_b32_e32 v11, 0
	v_lshl_add_u64 v[12:13], s[0:1], 0, v[10:11]
	v_lshlrev_b32_e32 v10, 1, v18
	v_lshl_add_u64 v[24:25], v[12:13], 0, v[10:11]
	global_load_dwordx4 v[14:17], v[24:25], off
	global_load_dwordx4 v[10:13], v[24:25], off offset:128
.LBB327_28:
	s_or_b64 exec, exec, s[2:3]
	v_lshrrev_b32_e32 v24, 3, v18
	v_lshlrev_b32_e32 v25, 3, v23
	v_or_b32_e32 v24, v25, v24
	v_lshlrev_b32_e32 v24, 4, v24
	v_and_b32_e32 v25, 0x78, v25
	v_xor_b32_e32 v24, v24, v25
	s_branch .LBB327_31
.LBB327_29:
                                        ; implicit-def: $vgpr24
                                        ; implicit-def: $vgpr21
                                        ; implicit-def: $vgpr6_vgpr7_vgpr8_vgpr9
                                        ; implicit-def: $vgpr2_vgpr3_vgpr4_vgpr5
                                        ; implicit-def: $vgpr14_vgpr15_vgpr16_vgpr17
                                        ; implicit-def: $vgpr10_vgpr11_vgpr12_vgpr13
	s_cbranch_execz .LBB327_31
; %bb.30:
	s_waitcnt vmcnt(0)
	v_lshlrev_b32_e32 v2, 1, v18
	v_lshl_or_b32 v21, v23, 8, v2
	s_and_b32 s1, s1, 0xffff
	s_mov_b32 s3, 0x20000
	s_movk_i32 s2, 0x4000
	v_lshl_or_b32 v24, v20, 8, v2
	s_movk_i32 s12, 0x80
	buffer_load_dwordx4 v[6:9], v21, s[0:3], 0 offen
	buffer_load_dwordx4 v[2:5], v21, s[0:3], s12 offen
	;; [unrolled: 1-line block ×4, first 2 shown]
	v_lshrrev_b32_e32 v21, 3, v18
	v_lshlrev_b32_e32 v24, 3, v23
	v_or_b32_e32 v21, v24, v21
	v_lshlrev_b32_e32 v21, 4, v21
	v_and_b32_e32 v24, 0x78, v24
	v_xor_b32_e32 v24, v21, v24
	v_lshlrev_b32_e32 v21, 7, v20
.LBB327_31:
	s_lshl_b64 s[0:1], s[40:41], 8
	s_add_u32 s4, s4, s0
	s_movk_i32 s0, 0x1000
	v_and_or_b32 v20, v21, s0, v24
	s_waitcnt vmcnt(1)
	ds_write_b64 v24, v[6:7] offset:24576
	v_xor_b32_e32 v6, 8, v24
	ds_write_b64 v6, v[8:9] offset:24576
	s_waitcnt vmcnt(0)
	ds_write_b64 v24, v[2:3] offset:32768
	ds_write_b64 v6, v[4:5] offset:32768
	;; [unrolled: 1-line block ×3, first 2 shown]
	v_xor_b32_e32 v2, 8, v20
	ds_write_b64 v2, v[16:17] offset:24576
	ds_write_b64 v20, v[10:11] offset:32768
	ds_write_b64 v2, v[12:13] offset:32768
	v_or_b32_e32 v2, v1, v45
	v_lshlrev_b32_e32 v3, 11, v63
	v_lshlrev_b32_e32 v2, 3, v2
	v_and_b32_e32 v6, 0x1000, v3
	v_lshrrev_b32_e32 v3, 5, v62
	s_movk_i32 s13, 0xf8
	v_and_or_b32 v3, v2, s13, v3
	v_lshlrev_b32_e32 v7, 4, v3
	v_and_b32_e32 v8, 0x78, v2
	v_or_b32_e32 v10, 32, v7
	v_lshrrev_b32_e32 v3, 1, v62
	v_xor_b32_e32 v10, v10, v8
	v_xor_b32_e32 v2, v7, v8
	v_and_b32_e32 v9, 8, v3
	v_or_b32_e32 v10, v10, v6
	v_or_b32_e32 v2, v2, v6
	v_xor_b32_e32 v26, v10, v9
	v_or_b32_e32 v10, 64, v7
	v_xor_b32_e32 v25, v2, v9
	v_xor_b32_e32 v10, v10, v8
	s_waitcnt lgkmcnt(0)
	s_barrier
	v_or_b32_e32 v12, v10, v6
	ds_read_b64 v[10:11], v25 offset:24576
	v_lshl_or_b32 v20, v64, 7, v22
	v_lshlrev_b32_e32 v24, 1, v20
	v_add_u32_e32 v2, 0xa000, v24
	ds_read2_b64 v[2:5], v2 offset1:16
	v_or_b32_e32 v7, 0x60, v7
	v_xor_b32_e32 v7, v7, v8
	s_waitcnt lgkmcnt(0)
	v_mfma_f32_16x16x16_bf16 a[0:3], v[10:11], v[2:3], 0
	v_or_b32_e32 v2, 64, v20
	v_or_b32_e32 v6, v7, v6
	v_lshlrev_b32_e32 v29, 1, v2
	v_xor_b32_e32 v27, v12, v9
	v_xor_b32_e32 v28, v6, v9
	ds_read_b64 v[12:13], v26 offset:24576
	ds_read_b64 v[14:15], v27 offset:24576
	;; [unrolled: 1-line block ×3, first 2 shown]
	v_mfma_f32_16x16x16_bf16 a[4:7], v[10:11], v[4:5], 0
	ds_read2st64_b64 v[2:5], v29 offset0:82 offset1:84
	ds_read2st64_b64 v[6:9], v24 offset0:82 offset1:84
	s_addc_u32 s5, s5, s1
	s_add_i32 s2, s39, -1
	s_add_i32 s0, s45, s44
	s_add_i32 s21, s0, s46
	s_mul_i32 s0, s33, s23
	s_mul_hi_u32 s1, s33, s22
	s_ashr_i32 s3, s2, 31
	s_mul_i32 s12, s2, s35
	s_mul_hi_u32 s13, s2, s34
	s_add_i32 s0, s1, s0
	s_mul_i32 s1, s16, s22
	s_add_i32 s12, s13, s12
	s_mul_i32 s3, s3, s34
	s_waitcnt lgkmcnt(1)
	v_mfma_f32_16x16x16_bf16 a[4:7], v[12:13], v[2:3], a[4:7]
	s_add_i32 s1, s0, s1
	s_add_i32 s3, s12, s3
	s_lshl_b64 s[12:13], s[20:21], 2
	s_waitcnt lgkmcnt(0)
	v_mfma_f32_16x16x16_bf16 a[0:3], v[12:13], v[6:7], a[0:3]
	s_mul_i32 s0, s33, s22
	s_add_u32 s10, s10, s12
	s_addc_u32 s11, s11, s13
	s_lshl_b64 s[0:1], s[0:1], 2
	s_mul_i32 s2, s2, s34
	s_add_u32 s10, s10, s0
	ds_read_b64 v[2:3], v24 offset:44032
	v_mfma_f32_16x16x16_bf16 a[4:7], v[14:15], v[4:5], a[4:7]
	ds_read_b64 v[4:5], v29 offset:44032
	s_addc_u32 s11, s11, s1
	s_lshl_b64 s[0:1], s[2:3], 2
	v_mfma_f32_16x16x16_bf16 a[0:3], v[14:15], v[8:9], a[0:3]
	s_add_u32 s0, s10, s0
	s_addc_u32 s1, s11, s1
	s_load_dword s12, s[0:1], 0x0
	s_waitcnt lgkmcnt(0)
	v_mfma_f32_16x16x16_bf16 a[0:3], v[16:17], v[2:3], a[0:3]
	s_and_b64 vcc, exec, s[30:31]
	v_mfma_f32_16x16x16_bf16 a[4:7], v[16:17], v[4:5], a[4:7]
	s_cbranch_vccz .LBB327_42
; %bb.32:
	v_lshlrev_b32_e32 v20, 1, v23
	s_and_b64 vcc, exec, s[6:7]
	s_cbranch_vccz .LBB327_43
; %bb.33:
	v_cmp_gt_i32_e32 vcc, s42, v20
	v_mov_b32_e32 v6, 0
	v_mov_b32_e32 v2, 0
	;; [unrolled: 1-line block ×5, first 2 shown]
	s_and_saveexec_b64 s[0:1], vcc
	s_cbranch_execz .LBB327_35
; %bb.34:
	v_mad_i64_i32 v[2:3], s[2:3], s19, v20, 0
	v_lshl_add_u64 v[2:3], v[2:3], 1, s[4:5]
	v_lshlrev_b32_e32 v4, 1, v18
	v_mov_b32_e32 v5, 0
	v_lshl_add_u64 v[2:3], v[2:3], 0, v[4:5]
	global_load_dwordx4 v[2:5], v[2:3], off
.LBB327_35:
	s_or_b64 exec, exec, s[0:1]
	v_or_b32_e32 v21, 1, v20
	v_cmp_gt_i32_e64 s[0:1], s42, v21
	v_mov_b32_e32 v7, 0
	v_mov_b32_e32 v8, 0
	;; [unrolled: 1-line block ×3, first 2 shown]
	s_and_saveexec_b64 s[2:3], s[0:1]
	s_cbranch_execz .LBB327_37
; %bb.36:
	v_mad_i64_i32 v[6:7], s[16:17], s19, v21, 0
	v_lshl_add_u64 v[6:7], v[6:7], 1, s[4:5]
	v_lshlrev_b32_e32 v8, 1, v18
	v_mov_b32_e32 v9, 0
	v_lshl_add_u64 v[6:7], v[6:7], 0, v[8:9]
	global_load_dwordx4 v[6:9], v[6:7], off
.LBB327_37:
	s_or_b64 exec, exec, s[2:3]
	v_mov_b32_e32 v17, 0
	v_mov_b32_e32 v10, 0
	v_mov_b32_e32 v11, 0
	v_mov_b32_e32 v12, 0
	v_mov_b32_e32 v13, 0
	s_and_saveexec_b64 s[2:3], vcc
	s_cbranch_execz .LBB327_39
; %bb.38:
	v_mad_i64_i32 v[10:11], s[16:17], s19, v20, 0
	v_lshl_add_u64 v[10:11], v[10:11], 1, s[4:5]
	v_lshlrev_b32_e32 v12, 1, v18
	v_mov_b32_e32 v13, 0
	v_lshl_add_u64 v[10:11], v[10:11], 0, v[12:13]
	global_load_dwordx4 v[10:13], v[10:11], off offset:128
.LBB327_39:
	s_or_b64 exec, exec, s[2:3]
	v_mov_b32_e32 v16, 0
	v_mov_b32_e32 v15, 0
	;; [unrolled: 1-line block ×3, first 2 shown]
	s_and_saveexec_b64 s[2:3], s[0:1]
	s_cbranch_execz .LBB327_41
; %bb.40:
	v_mad_i64_i32 v[14:15], s[0:1], s19, v21, 0
	v_lshl_add_u64 v[14:15], v[14:15], 1, s[4:5]
	v_lshlrev_b32_e32 v16, 1, v18
	v_mov_b32_e32 v17, 0
	v_lshl_add_u64 v[14:15], v[14:15], 0, v[16:17]
	global_load_dwordx4 v[14:17], v[14:15], off offset:128
.LBB327_41:
	s_or_b64 exec, exec, s[2:3]
	s_branch .LBB327_45
.LBB327_42:
                                        ; implicit-def: $vgpr5
                                        ; implicit-def: $vgpr9
                                        ; implicit-def: $vgpr13
                                        ; implicit-def: $vgpr17
	v_lshrrev_b32_e32 v30, 2, v62
	s_branch .LBB327_46
.LBB327_43:
                                        ; implicit-def: $vgpr5
                                        ; implicit-def: $vgpr9
                                        ; implicit-def: $vgpr13
                                        ; implicit-def: $vgpr17
	s_cbranch_execz .LBB327_45
; %bb.44:
	s_waitcnt vmcnt(0)
	v_mad_u64_u32 v[2:3], s[0:1], v20, s19, v[18:19]
	v_lshlrev_b32_e32 v20, 1, v2
	s_lshl_b32 s2, s19, 7
	s_and_b32 s1, s5, 0xffff
	s_mov_b32 s3, 0x20000
	s_mov_b32 s0, s4
	v_add_lshl_u32 v21, v2, s19, 1
	s_movk_i32 s13, 0x80
	buffer_load_dwordx4 v[2:5], v20, s[0:3], 0 offen
	buffer_load_dwordx4 v[10:13], v20, s[0:3], s13 offen
	;; [unrolled: 1-line block ×4, first 2 shown]
.LBB327_45:
	v_lshrrev_b32_e32 v30, 2, v62
	s_cbranch_execnz .LBB327_58
.LBB327_46:
	s_and_b64 vcc, exec, s[6:7]
	s_cbranch_vccz .LBB327_56
; %bb.47:
	s_waitcnt vmcnt(0)
	v_lshlrev_b32_e32 v7, 1, v23
	v_cmp_gt_i32_e32 vcc, s42, v7
	v_mov_b32_e32 v6, 0
	v_lshlrev_b32_e32 v14, 9, v23
	v_mov_b32_e32 v2, 0
	v_mov_b32_e32 v3, 0
	v_mov_b32_e32 v4, 0
	v_mov_b32_e32 v5, 0
	s_and_saveexec_b64 s[0:1], vcc
	s_cbranch_execz .LBB327_49
; %bb.48:
	v_mov_b32_e32 v15, 0
	v_lshl_add_u64 v[2:3], s[4:5], 0, v[14:15]
	v_lshlrev_b32_e32 v4, 1, v18
	v_mov_b32_e32 v5, v15
	v_lshl_add_u64 v[2:3], v[2:3], 0, v[4:5]
	global_load_dwordx4 v[2:5], v[2:3], off
.LBB327_49:
	s_or_b64 exec, exec, s[0:1]
	v_or_b32_e32 v7, 1, v7
	v_cmp_gt_i32_e64 s[0:1], s42, v7
	v_lshlrev_b32_e32 v20, 8, v7
	v_mov_b32_e32 v7, 0
	v_mov_b32_e32 v8, 0
	;; [unrolled: 1-line block ×3, first 2 shown]
	s_and_saveexec_b64 s[2:3], s[0:1]
	s_cbranch_execz .LBB327_51
; %bb.50:
	v_mov_b32_e32 v21, 0
	v_lshl_add_u64 v[6:7], s[4:5], 0, v[20:21]
	v_lshlrev_b32_e32 v8, 1, v18
	v_mov_b32_e32 v9, v21
	v_lshl_add_u64 v[6:7], v[6:7], 0, v[8:9]
	global_load_dwordx4 v[6:9], v[6:7], off
.LBB327_51:
	s_or_b64 exec, exec, s[2:3]
	v_mov_b32_e32 v17, 0
	v_mov_b32_e32 v10, 0
	;; [unrolled: 1-line block ×5, first 2 shown]
	s_and_saveexec_b64 s[2:3], vcc
	s_cbranch_execz .LBB327_53
; %bb.52:
	v_mov_b32_e32 v15, 0
	v_lshl_add_u64 v[10:11], s[4:5], 0, v[14:15]
	v_lshlrev_b32_e32 v14, 1, v18
	v_lshl_add_u64 v[10:11], v[10:11], 0, v[14:15]
	global_load_dwordx4 v[10:13], v[10:11], off offset:128
.LBB327_53:
	s_or_b64 exec, exec, s[2:3]
	v_mov_b32_e32 v16, 0
	v_mov_b32_e32 v15, 0
	;; [unrolled: 1-line block ×3, first 2 shown]
	s_and_saveexec_b64 s[2:3], s[0:1]
	s_cbranch_execz .LBB327_55
; %bb.54:
	v_mov_b32_e32 v21, 0
	v_lshl_add_u64 v[14:15], s[4:5], 0, v[20:21]
	v_lshlrev_b32_e32 v20, 1, v18
	v_lshl_add_u64 v[14:15], v[14:15], 0, v[20:21]
	global_load_dwordx4 v[14:17], v[14:15], off offset:128
.LBB327_55:
	s_or_b64 exec, exec, s[2:3]
	s_branch .LBB327_58
.LBB327_56:
                                        ; implicit-def: $vgpr5
                                        ; implicit-def: $vgpr9
                                        ; implicit-def: $vgpr13
                                        ; implicit-def: $vgpr17
	s_cbranch_execz .LBB327_58
; %bb.57:
	s_waitcnt vmcnt(0)
	v_lshlrev_b32_e32 v2, 1, v18
	v_lshl_or_b32 v18, v23, 9, v2
	s_and_b32 s5, s5, 0xffff
	s_mov_b32 s7, 0x20000
	s_movk_i32 s6, 0x4000
	s_movk_i32 s0, 0x80
	buffer_load_dwordx4 v[2:5], v18, s[4:7], 0 offen
	buffer_load_dwordx4 v[6:9], v18, s[4:7], 0 offen offset:256
	buffer_load_dwordx4 v[10:13], v18, s[4:7], s0 offen
	buffer_load_dwordx4 v[14:17], v18, s[4:7], s0 offen offset:256
.LBB327_58:
	ds_read_b64 v[20:21], v25 offset:32768
	v_add_u32_e32 v18, 0xb000, v24
	ds_read2_b64 v[32:35], v18 offset1:16
	ds_read_b64 v[40:41], v26 offset:32768
	ds_read_b64 v[26:27], v27 offset:32768
	;; [unrolled: 1-line block ×3, first 2 shown]
	v_and_b32_e32 v18, 6, v0
	v_xor_b32_e32 v23, v23, v18
	v_lshlrev_b32_e32 v23, 2, v23
	v_and_b32_e32 v0, 1, v0
	v_xor_b32_e32 v28, 0x440, v23
	v_cmp_eq_u32_e32 vcc, 0, v0
	s_waitcnt lgkmcnt(3)
	v_mfma_f32_16x16x16_bf16 a[0:3], v[20:21], v[32:33], a[0:3]
	s_mov_b32 s0, 0x1000504
	v_cndmask_b32_e32 v0, v28, v23, vcc
	v_lshl_or_b32 v0, v18, 10, v0
	v_mfma_f32_16x16x16_bf16 a[4:7], v[20:21], v[34:35], a[4:7]
	ds_read2st64_b64 v[32:35], v24 offset0:90 offset1:92
	ds_read2st64_b64 v[36:39], v29 offset0:90 offset1:92
	ds_read_b64 v[20:21], v24 offset:48128
	ds_read_b64 v[24:25], v29 offset:48128
	s_waitcnt vmcnt(0)
	v_perm_b32 v18, v2, v6, s0
	s_waitcnt lgkmcnt(3)
	v_mfma_f32_16x16x16_bf16 a[0:3], v[40:41], v[32:33], a[0:3]
	s_mov_b32 s1, 0x3020706
	v_perm_b32 v2, v2, v6, s1
	v_perm_b32 v6, v10, v14, s1
	s_waitcnt lgkmcnt(2)
	v_mfma_f32_16x16x16_bf16 a[4:7], v[40:41], v[36:37], a[4:7]
	v_mfma_f32_16x16x16_bf16 a[0:3], v[26:27], v[34:35], a[0:3]
	v_mfma_f32_16x16x16_bf16 a[8:11], v[26:27], v[38:39], a[4:7]
	s_waitcnt lgkmcnt(1)
	v_mfma_f32_16x16x16_bf16 a[4:7], v[42:43], v[20:21], a[0:3]
	v_perm_b32 v20, v10, v14, s0
	ds_write2st64_b32 v0, v18, v20 offset0:32 offset1:64
	v_xor_b32_e32 v18, 8, v0
	v_add_u32_e32 v10, 0x80, v18
	ds_write2st64_b32 v10, v2, v6 offset0:32 offset1:64
	v_xor_b32_e32 v2, 16, v0
	v_perm_b32 v6, v3, v7, s0
	v_perm_b32 v10, v11, v15, s0
	ds_write2st64_b32 v2, v6, v10 offset0:33 offset1:65
	v_xor_b32_e32 v2, 24, v0
	v_perm_b32 v3, v3, v7, s1
	v_perm_b32 v6, v11, v15, s1
	v_add_u32_e32 v2, 0x80, v2
	ds_write2st64_b32 v2, v3, v6 offset0:33 offset1:65
	v_xor_b32_e32 v2, 32, v0
	v_perm_b32 v3, v4, v8, s0
	v_perm_b32 v6, v12, v16, s0
	s_waitcnt lgkmcnt(4)
	v_mfma_f32_16x16x16_bf16 a[0:3], v[42:43], v[24:25], a[8:11]
	ds_write2st64_b32 v2, v3, v6 offset0:34 offset1:66
	v_xor_b32_e32 v2, 40, v0
	v_perm_b32 v3, v4, v8, s1
	v_perm_b32 v4, v12, v16, s1
	v_add_u32_e32 v2, 0x80, v2
	ds_write2st64_b32 v2, v3, v4 offset0:34 offset1:66
	v_xor_b32_e32 v2, 48, v0
	v_perm_b32 v3, v5, v9, s0
	v_perm_b32 v4, v13, v17, s0
	v_xor_b32_e32 v0, 56, v0
	v_and_or_b32 v21, v30, 12, v1
	ds_write2st64_b32 v2, v3, v4 offset0:35 offset1:67
	v_perm_b32 v2, v5, v9, s1
	v_perm_b32 v3, v13, v17, s1
	v_add_u32_e32 v0, 0x80, v0
	v_cmp_gt_i32_e32 vcc, s42, v21
	v_mov_b32_e32 v16, 0
	v_mov_b32_e32 v18, 0
	ds_write2st64_b32 v0, v2, v3 offset0:35 offset1:67
	s_and_saveexec_b64 s[0:1], vcc
	s_cbranch_execz .LBB327_60
; %bb.59:
	v_add_u32_e32 v0, s38, v21
	v_ashrrev_i32_e32 v1, 31, v0
	v_mul_lo_u32 v2, v1, s34
	v_mul_lo_u32 v3, v0, s35
	v_mad_u64_u32 v[0:1], s[2:3], v0, s34, 0
	v_add3_u32 v1, v1, v3, v2
	v_lshl_add_u64 v[0:1], v[0:1], 2, s[10:11]
	global_load_dword v0, v[0:1], off
	s_waitcnt vmcnt(0)
	v_sub_f32_e32 v0, s12, v0
	v_mul_f32_e32 v0, 0x3fb8aa3b, v0
	v_exp_f32_e32 v18, v0
.LBB327_60:
	s_or_b64 exec, exec, s[0:1]
	v_or_b32_e32 v10, 1, v21
	v_cmp_gt_i32_e64 s[0:1], s42, v10
	s_and_saveexec_b64 s[2:3], s[0:1]
	s_cbranch_execz .LBB327_62
; %bb.61:
	v_add_u32_e32 v0, s38, v10
	v_ashrrev_i32_e32 v1, 31, v0
	v_mul_lo_u32 v2, v1, s34
	v_mul_lo_u32 v3, v0, s35
	v_mad_u64_u32 v[0:1], s[4:5], v0, s34, 0
	v_add3_u32 v1, v1, v3, v2
	v_lshl_add_u64 v[0:1], v[0:1], 2, s[10:11]
	global_load_dword v0, v[0:1], off
	s_waitcnt vmcnt(0)
	v_sub_f32_e32 v0, s12, v0
	v_mul_f32_e32 v0, 0x3fb8aa3b, v0
	v_exp_f32_e32 v16, v0
.LBB327_62:
	s_or_b64 exec, exec, s[2:3]
	v_or_b32_e32 v12, 2, v21
	v_cmp_gt_i32_e64 s[2:3], s42, v12
	v_mov_b32_e32 v17, 0
	v_mov_b32_e32 v20, 0
	s_and_saveexec_b64 s[4:5], s[2:3]
	s_cbranch_execz .LBB327_64
; %bb.63:
	v_add_u32_e32 v0, s38, v12
	v_ashrrev_i32_e32 v1, 31, v0
	v_mul_lo_u32 v2, v1, s34
	v_mul_lo_u32 v3, v0, s35
	v_mad_u64_u32 v[0:1], s[6:7], v0, s34, 0
	v_add3_u32 v1, v1, v3, v2
	v_lshl_add_u64 v[0:1], v[0:1], 2, s[10:11]
	global_load_dword v0, v[0:1], off
	s_waitcnt vmcnt(0)
	v_sub_f32_e32 v0, s12, v0
	v_mul_f32_e32 v0, 0x3fb8aa3b, v0
	v_exp_f32_e32 v20, v0
.LBB327_64:
	s_or_b64 exec, exec, s[4:5]
	v_or_b32_e32 v14, 3, v21
	v_cmp_gt_i32_e64 s[4:5], s42, v14
	s_and_saveexec_b64 s[6:7], s[4:5]
	s_cbranch_execz .LBB327_66
; %bb.65:
	v_add_u32_e32 v0, s38, v14
	v_ashrrev_i32_e32 v1, 31, v0
	v_mul_lo_u32 v2, v1, s34
	v_mul_lo_u32 v3, v0, s35
	v_mad_u64_u32 v[0:1], s[16:17], v0, s34, 0
	v_add3_u32 v1, v1, v3, v2
	v_lshl_add_u64 v[0:1], v[0:1], 2, s[10:11]
	global_load_dword v0, v[0:1], off
	s_waitcnt vmcnt(0)
	v_sub_f32_e32 v0, s12, v0
	v_mul_f32_e32 v0, 0x3fb8aa3b, v0
	v_exp_f32_e32 v17, v0
.LBB327_66:
	s_or_b64 exec, exec, s[6:7]
	s_add_u32 s6, s8, s28
	v_or_b32_e32 v4, s36, v45
	s_addc_u32 s7, s9, s29
	s_add_u32 s8, s14, s28
	v_ashrrev_i32_e32 v5, 31, v4
	v_accvgpr_read_b32 v0, a4
	s_addc_u32 s9, s15, s29
	v_lshlrev_b64 v[4:5], 1, v[4:5]
	v_accvgpr_read_b32 v1, a5
	v_accvgpr_read_b32 v2, a6
	;; [unrolled: 1-line block ×3, first 2 shown]
	v_lshl_add_u64 v[6:7], s[6:7], 0, v[4:5]
	v_lshl_add_u64 v[4:5], s[8:9], 0, v[4:5]
	v_mov_b32_e32 v11, 0
	v_lshlrev_b32_e32 v8, 8, v21
	v_mov_b32_e32 v9, 0
	s_and_saveexec_b64 s[6:7], vcc
	s_cbranch_execz .LBB327_68
; %bb.67:
	v_mov_b32_e32 v9, 0
	v_lshl_add_u64 v[24:25], v[6:7], 0, v[8:9]
	global_load_ushort v13, v[24:25], off
	v_lshl_add_u64 v[24:25], v[4:5], 0, v[8:9]
	s_waitcnt vmcnt(0)
	v_lshlrev_b32_e32 v9, 16, v13
	v_sub_f32_e32 v0, v9, v0
	global_store_short_d16_hi v[24:25], v0, off
	v_mul_f32_e32 v0, v18, v0
	v_lshrrev_b32_e32 v9, 16, v0
.LBB327_68:
	s_or_b64 exec, exec, s[6:7]
	v_lshlrev_b32_e32 v10, 8, v10
	s_and_saveexec_b64 s[6:7], s[0:1]
	s_cbranch_execz .LBB327_70
; %bb.69:
	v_mov_b32_e32 v11, 0
	v_lshl_add_u64 v[24:25], v[6:7], 0, v[10:11]
	global_load_ushort v0, v[24:25], off
	v_lshl_add_u64 v[24:25], v[4:5], 0, v[10:11]
	s_waitcnt vmcnt(0)
	v_lshlrev_b32_e32 v0, 16, v0
	v_sub_f32_e32 v0, v0, v1
	global_store_short_d16_hi v[24:25], v0, off
	v_mul_f32_e32 v0, v16, v0
	v_lshrrev_b32_e32 v11, 16, v0
.LBB327_70:
	s_or_b64 exec, exec, s[6:7]
	v_mov_b32_e32 v15, 0
	v_lshlrev_b32_e32 v12, 8, v12
	v_mov_b32_e32 v13, 0
	s_and_saveexec_b64 s[6:7], s[2:3]
	s_cbranch_execz .LBB327_72
; %bb.71:
	v_mov_b32_e32 v13, 0
	v_lshl_add_u64 v[0:1], v[6:7], 0, v[12:13]
	global_load_ushort v23, v[0:1], off
	v_lshl_add_u64 v[0:1], v[4:5], 0, v[12:13]
	s_waitcnt vmcnt(0)
	v_lshlrev_b32_e32 v13, 16, v23
	v_sub_f32_e32 v2, v13, v2
	global_store_short_d16_hi v[0:1], v2, off
	v_mul_f32_e32 v0, v20, v2
	v_lshrrev_b32_e32 v13, 16, v0
.LBB327_72:
	s_or_b64 exec, exec, s[6:7]
	v_lshlrev_b32_e32 v14, 8, v14
	s_and_saveexec_b64 s[6:7], s[4:5]
	s_cbranch_execz .LBB327_74
; %bb.73:
	v_mov_b32_e32 v15, 0
	v_lshl_add_u64 v[0:1], v[6:7], 0, v[14:15]
	global_load_ushort v2, v[0:1], off
	v_lshl_add_u64 v[0:1], v[4:5], 0, v[14:15]
	s_waitcnt vmcnt(0)
	v_lshlrev_b32_e32 v2, 16, v2
	v_sub_f32_e32 v2, v2, v3
	global_store_short_d16_hi v[0:1], v2, off
	v_mul_f32_e32 v0, v17, v2
	v_lshrrev_b32_e32 v15, 16, v0
.LBB327_74:
	s_or_b64 exec, exec, s[6:7]
	v_lshlrev_b32_e32 v21, 5, v21
	s_mov_b32 s6, 0x5040100
	v_perm_b32 v24, v11, v9, s6
	v_or_b32_e32 v9, v21, v22
	v_accvgpr_read_b32 v0, a0
	v_perm_b32 v25, v15, v13, s6
	v_lshlrev_b32_e32 v9, 1, v9
	v_accvgpr_read_b32 v1, a1
	v_accvgpr_read_b32 v2, a2
	;; [unrolled: 1-line block ×3, first 2 shown]
	ds_write_b64 v9, v[24:25] offset:45056
	v_mov_b32_e32 v11, 0
	v_mov_b32_e32 v9, 0
	s_and_saveexec_b64 s[6:7], vcc
	s_cbranch_execz .LBB327_76
; %bb.75:
	v_mov_b32_e32 v9, 0
	v_lshl_add_u64 v[22:23], v[6:7], 0, v[8:9]
	global_load_ushort v13, v[22:23], off offset:32
	v_lshl_add_u64 v[8:9], v[4:5], 0, v[8:9]
	s_waitcnt vmcnt(0)
	v_lshlrev_b32_e32 v13, 16, v13
	v_sub_f32_e32 v0, v13, v0
	global_store_short_d16_hi v[8:9], v0, off offset:32
	v_mul_f32_e32 v0, v18, v0
	v_lshrrev_b32_e32 v9, 16, v0
.LBB327_76:
	s_or_b64 exec, exec, s[6:7]
	s_and_saveexec_b64 s[6:7], s[0:1]
	s_cbranch_execz .LBB327_78
; %bb.77:
	v_mov_b32_e32 v11, 0
	v_lshl_add_u64 v[22:23], v[6:7], 0, v[10:11]
	global_load_ushort v0, v[22:23], off offset:32
	v_lshl_add_u64 v[10:11], v[4:5], 0, v[10:11]
	s_waitcnt vmcnt(0)
	v_lshlrev_b32_e32 v0, 16, v0
	v_sub_f32_e32 v0, v0, v1
	global_store_short_d16_hi v[10:11], v0, off offset:32
	v_mul_f32_e32 v0, v16, v0
	v_lshrrev_b32_e32 v11, 16, v0
.LBB327_78:
	s_or_b64 exec, exec, s[6:7]
	v_mov_b32_e32 v0, 0
	v_mov_b32_e32 v1, 0
	s_and_saveexec_b64 s[0:1], s[2:3]
	s_cbranch_execz .LBB327_80
; %bb.79:
	v_mov_b32_e32 v13, 0
	v_lshl_add_u64 v[22:23], v[6:7], 0, v[12:13]
	global_load_ushort v1, v[22:23], off offset:32
	v_lshl_add_u64 v[12:13], v[4:5], 0, v[12:13]
	s_waitcnt vmcnt(0)
	v_lshlrev_b32_e32 v1, 16, v1
	v_sub_f32_e32 v1, v1, v2
	global_store_short_d16_hi v[12:13], v1, off offset:32
	v_mul_f32_e32 v1, v20, v1
	v_lshrrev_b32_e32 v1, 16, v1
.LBB327_80:
	s_or_b64 exec, exec, s[0:1]
	s_and_saveexec_b64 s[0:1], s[4:5]
	s_cbranch_execz .LBB327_82
; %bb.81:
	v_mov_b32_e32 v15, 0
	v_lshl_add_u64 v[6:7], v[6:7], 0, v[14:15]
	global_load_ushort v0, v[6:7], off offset:32
	v_lshl_add_u64 v[4:5], v[4:5], 0, v[14:15]
	s_waitcnt vmcnt(0)
	v_lshlrev_b32_e32 v0, 16, v0
	v_sub_f32_e32 v0, v0, v3
	global_store_short_d16_hi v[4:5], v0, off offset:32
	v_mul_f32_e32 v0, v17, v0
	v_lshrrev_b32_e32 v0, 16, v0
.LBB327_82:
	s_or_b64 exec, exec, s[0:1]
	s_mov_b32 s0, 0x5040100
	v_or_b32_e32 v2, v21, v19
	v_perm_b32 v1, v0, v1, s0
	v_perm_b32 v0, v11, v9, s0
	v_lshlrev_b32_e32 v2, 1, v2
	ds_write_b64 v2, v[0:1] offset:45056
	s_waitcnt lgkmcnt(0)
	s_barrier
.LBB327_83:
	s_endpgm
	.section	.rodata,"a",@progbits
	.p2align	6, 0x0
	.amdhsa_kernel _ZN12_GLOBAL__N_139chunk_gated_delta_rule_fwd_h_hip_kernelILi32ELb0ELb0ELb1ELb1ELb0ELb1ELb1ELb1EEEvPK12hip_bfloat16S3_S3_PKfS5_PKvPS1_S8_PvPKiSB_iiiiilll
		.amdhsa_group_segment_fixed_size 49152
		.amdhsa_private_segment_fixed_size 0
		.amdhsa_kernarg_size 136
		.amdhsa_user_sgpr_count 2
		.amdhsa_user_sgpr_dispatch_ptr 0
		.amdhsa_user_sgpr_queue_ptr 0
		.amdhsa_user_sgpr_kernarg_segment_ptr 1
		.amdhsa_user_sgpr_dispatch_id 0
		.amdhsa_user_sgpr_kernarg_preload_length 0
		.amdhsa_user_sgpr_kernarg_preload_offset 0
		.amdhsa_user_sgpr_private_segment_size 0
		.amdhsa_uses_dynamic_stack 0
		.amdhsa_enable_private_segment 0
		.amdhsa_system_sgpr_workgroup_id_x 1
		.amdhsa_system_sgpr_workgroup_id_y 1
		.amdhsa_system_sgpr_workgroup_id_z 0
		.amdhsa_system_sgpr_workgroup_info 0
		.amdhsa_system_vgpr_workitem_id 0
		.amdhsa_next_free_vgpr 168
		.amdhsa_next_free_sgpr 63
		.amdhsa_accum_offset 144
		.amdhsa_reserve_vcc 1
		.amdhsa_float_round_mode_32 0
		.amdhsa_float_round_mode_16_64 0
		.amdhsa_float_denorm_mode_32 3
		.amdhsa_float_denorm_mode_16_64 3
		.amdhsa_dx10_clamp 1
		.amdhsa_ieee_mode 1
		.amdhsa_fp16_overflow 0
		.amdhsa_tg_split 0
		.amdhsa_exception_fp_ieee_invalid_op 0
		.amdhsa_exception_fp_denorm_src 0
		.amdhsa_exception_fp_ieee_div_zero 0
		.amdhsa_exception_fp_ieee_overflow 0
		.amdhsa_exception_fp_ieee_underflow 0
		.amdhsa_exception_fp_ieee_inexact 0
		.amdhsa_exception_int_div_zero 0
	.end_amdhsa_kernel
	.section	.text._ZN12_GLOBAL__N_139chunk_gated_delta_rule_fwd_h_hip_kernelILi32ELb0ELb0ELb1ELb1ELb0ELb1ELb1ELb1EEEvPK12hip_bfloat16S3_S3_PKfS5_PKvPS1_S8_PvPKiSB_iiiiilll,"axG",@progbits,_ZN12_GLOBAL__N_139chunk_gated_delta_rule_fwd_h_hip_kernelILi32ELb0ELb0ELb1ELb1ELb0ELb1ELb1ELb1EEEvPK12hip_bfloat16S3_S3_PKfS5_PKvPS1_S8_PvPKiSB_iiiiilll,comdat
.Lfunc_end327:
	.size	_ZN12_GLOBAL__N_139chunk_gated_delta_rule_fwd_h_hip_kernelILi32ELb0ELb0ELb1ELb1ELb0ELb1ELb1ELb1EEEvPK12hip_bfloat16S3_S3_PKfS5_PKvPS1_S8_PvPKiSB_iiiiilll, .Lfunc_end327-_ZN12_GLOBAL__N_139chunk_gated_delta_rule_fwd_h_hip_kernelILi32ELb0ELb0ELb1ELb1ELb0ELb1ELb1ELb1EEEvPK12hip_bfloat16S3_S3_PKfS5_PKvPS1_S8_PvPKiSB_iiiiilll
                                        ; -- End function
	.section	.AMDGPU.csdata,"",@progbits
; Kernel info:
; codeLenInByte = 8836
; NumSgprs: 69
; NumVgprs: 142
; NumAgprs: 24
; TotalNumVgprs: 168
; ScratchSize: 0
; MemoryBound: 0
; FloatMode: 240
; IeeeMode: 1
; LDSByteSize: 49152 bytes/workgroup (compile time only)
; SGPRBlocks: 8
; VGPRBlocks: 20
; NumSGPRsForWavesPerEU: 69
; NumVGPRsForWavesPerEU: 168
; AccumOffset: 144
; Occupancy: 1
; WaveLimiterHint : 1
; COMPUTE_PGM_RSRC2:SCRATCH_EN: 0
; COMPUTE_PGM_RSRC2:USER_SGPR: 2
; COMPUTE_PGM_RSRC2:TRAP_HANDLER: 0
; COMPUTE_PGM_RSRC2:TGID_X_EN: 1
; COMPUTE_PGM_RSRC2:TGID_Y_EN: 1
; COMPUTE_PGM_RSRC2:TGID_Z_EN: 0
; COMPUTE_PGM_RSRC2:TIDIG_COMP_CNT: 0
; COMPUTE_PGM_RSRC3_GFX90A:ACCUM_OFFSET: 35
; COMPUTE_PGM_RSRC3_GFX90A:TG_SPLIT: 0
	.section	.text._ZN12_GLOBAL__N_139chunk_gated_delta_rule_fwd_h_hip_kernelILi32ELb0ELb0ELb0ELb1ELb0ELb1ELb1ELb1EEEvPK12hip_bfloat16S3_S3_PKfS5_PKvPS1_S8_PvPKiSB_iiiiilll,"axG",@progbits,_ZN12_GLOBAL__N_139chunk_gated_delta_rule_fwd_h_hip_kernelILi32ELb0ELb0ELb0ELb1ELb0ELb1ELb1ELb1EEEvPK12hip_bfloat16S3_S3_PKfS5_PKvPS1_S8_PvPKiSB_iiiiilll,comdat
	.globl	_ZN12_GLOBAL__N_139chunk_gated_delta_rule_fwd_h_hip_kernelILi32ELb0ELb0ELb0ELb1ELb0ELb1ELb1ELb1EEEvPK12hip_bfloat16S3_S3_PKfS5_PKvPS1_S8_PvPKiSB_iiiiilll ; -- Begin function _ZN12_GLOBAL__N_139chunk_gated_delta_rule_fwd_h_hip_kernelILi32ELb0ELb0ELb0ELb1ELb0ELb1ELb1ELb1EEEvPK12hip_bfloat16S3_S3_PKfS5_PKvPS1_S8_PvPKiSB_iiiiilll
	.p2align	8
	.type	_ZN12_GLOBAL__N_139chunk_gated_delta_rule_fwd_h_hip_kernelILi32ELb0ELb0ELb0ELb1ELb0ELb1ELb1ELb1EEEvPK12hip_bfloat16S3_S3_PKfS5_PKvPS1_S8_PvPKiSB_iiiiilll,@function
_ZN12_GLOBAL__N_139chunk_gated_delta_rule_fwd_h_hip_kernelILi32ELb0ELb0ELb0ELb1ELb0ELb1ELb1ELb1EEEvPK12hip_bfloat16S3_S3_PKfS5_PKvPS1_S8_PvPKiSB_iiiiilll: ; @_ZN12_GLOBAL__N_139chunk_gated_delta_rule_fwd_h_hip_kernelILi32ELb0ELb0ELb0ELb1ELb0ELb1ELb1ELb1EEEvPK12hip_bfloat16S3_S3_PKfS5_PKvPS1_S8_PvPKiSB_iiiiilll
; %bb.0:
	s_load_dwordx4 s[12:15], s[0:1], 0x5c
	s_load_dwordx4 s[16:19], s[0:1], 0x70
	s_abs_i32 s21, s3
	s_ashr_i32 s20, s3, 31
	s_load_dwordx2 s[36:37], s[0:1], 0x30
	s_load_dwordx4 s[24:27], s[0:1], 0x48
	s_waitcnt lgkmcnt(0)
	s_abs_i32 s28, s13
	v_cvt_f32_u32_e32 v1, s28
	s_sub_i32 s22, 0, s28
	s_ashr_i32 s29, s13, 31
	s_xor_b32 s20, s20, s29
	v_rcp_iflag_f32_e32 v1, v1
	s_load_dwordx8 s[4:11], s[0:1], 0x0
	v_lshrrev_b32_e32 v61, 6, v0
	v_bfe_u32 v62, v0, 4, 2
	v_mul_f32_e32 v1, 0x4f7ffffe, v1
	v_cvt_u32_f32_e32 v1, v1
	v_lshlrev_b32_e32 v2, 2, v62
	v_and_b32_e32 v60, 63, v0
	v_mov_b32_e32 v5, 0
	v_readfirstlane_b32 s23, v1
	s_mul_i32 s22, s22, s23
	s_mul_hi_u32 s22, s23, s22
	s_add_i32 s23, s23, s22
	s_mul_hi_u32 s22, s21, s23
	s_mul_i32 s23, s22, s28
	s_sub_i32 s21, s21, s23
	s_add_i32 s30, s22, 1
	s_sub_i32 s23, s21, s28
	s_cmp_ge_u32 s21, s28
	s_cselect_b32 s22, s30, s22
	s_cselect_b32 s21, s23, s21
	s_add_i32 s23, s22, 1
	s_cmp_ge_u32 s21, s28
	s_cselect_b32 s21, s23, s22
	s_xor_b32 s21, s21, s20
	s_sub_i32 s20, s21, s20
	s_mul_i32 s21, s20, s13
	s_sub_i32 s33, s3, s21
	s_ashr_i32 s21, s20, 31
	s_lshl_b64 s[22:23], s[20:21], 2
	s_add_u32 s24, s24, s22
	s_addc_u32 s25, s25, s23
	s_add_u32 s22, s26, s22
	s_addc_u32 s23, s27, s23
	s_abs_i32 s3, s14
	v_cvt_f32_u32_e32 v1, s3
	s_load_dwordx2 s[34:35], s[24:25], 0x0
	s_sub_i32 s25, 0, s3
	s_load_dword s46, s[22:23], 0x0
	v_rcp_iflag_f32_e32 v1, v1
	v_and_b32_e32 v45, 15, v0
	s_waitcnt lgkmcnt(0)
	s_sub_i32 s47, s35, s34
	s_ashr_i32 s24, s47, 31
	v_mul_f32_e32 v1, 0x4f7ffffe, v1
	v_cvt_u32_f32_e32 v1, v1
	s_lshr_b32 s24, s24, 26
	s_add_i32 s24, s47, s24
	s_ashr_i32 s45, s24, 6
	v_readfirstlane_b32 s26, v1
	s_mul_i32 s25, s25, s26
	s_mul_hi_u32 s25, s26, s25
	s_add_i32 s26, s26, s25
	s_mul_hi_u32 s25, s28, s26
	s_mul_i32 s26, s25, s3
	s_ashr_i32 s24, s14, 31
	s_sub_i32 s26, s28, s26
	s_xor_b32 s24, s29, s24
	s_add_i32 s27, s25, 1
	s_sub_i32 s28, s26, s3
	s_cmp_ge_u32 s26, s3
	s_cselect_b32 s25, s27, s25
	s_cselect_b32 s26, s28, s26
	s_add_i32 s27, s25, 1
	s_cmp_ge_u32 s26, s3
	s_cselect_b32 s3, s27, s25
	s_xor_b32 s3, s3, s24
	s_sub_i32 s3, s3, s24
	s_abs_i32 s24, s3
	v_cvt_f32_u32_e32 v1, s24
	s_sub_i32 s23, 0, s24
	s_abs_i32 s22, s33
	s_xor_b32 s3, s33, s3
	v_rcp_iflag_f32_e32 v1, v1
	s_ashr_i32 s3, s3, 31
	s_load_dwordx2 s[28:29], s[0:1], 0x80
	s_mul_hi_i32 s48, s33, s12
	v_mul_f32_e32 v1, 0x4f7ffffe, v1
	v_cvt_u32_f32_e32 v1, v1
	s_mul_i32 s49, s33, s12
	v_lshrrev_b32_e32 v64, 3, v60
	v_lshlrev_b32_e32 v63, 3, v0
	v_readfirstlane_b32 s25, v1
	s_mul_i32 s23, s23, s25
	s_mul_hi_u32 s23, s25, s23
	s_add_i32 s25, s25, s23
	s_mul_hi_u32 s23, s22, s25
	s_mul_i32 s25, s23, s24
	s_sub_i32 s22, s22, s25
	s_add_i32 s25, s23, 1
	s_sub_i32 s26, s22, s24
	s_cmp_ge_u32 s22, s24
	s_cselect_b32 s23, s25, s23
	s_cselect_b32 s22, s26, s22
	s_add_i32 s25, s23, 1
	s_cmp_ge_u32 s22, s24
	s_cselect_b32 s22, s25, s23
	s_xor_b32 s22, s22, s3
	v_lshlrev_b32_e32 v1, 4, v61
	s_sub_i32 s50, s22, s3
	v_or_b32_e32 v65, v2, v1
	s_lshl_b32 s30, s2, 5
	v_or_b32_e32 v66, 64, v65
	s_cmp_lt_i32 s47, 64
	s_mul_i32 s42, s20, s17
	s_mul_hi_u32 s43, s20, s16
	s_mul_i32 s44, s21, s16
	s_mul_i32 s16, s20, s16
	v_mov_b32_e32 v84, 0
	v_mov_b32_e32 v82, 0
	;; [unrolled: 1-line block ×15, first 2 shown]
	s_cbranch_scc1 .LBB328_18
; %bb.1:
	s_ashr_i32 s53, s33, 31
	s_ashr_i32 s3, s34, 31
	s_add_u32 s2, s49, s34
	s_addc_u32 s3, s48, s3
	s_lshl_b64 s[2:3], s[2:3], 8
	v_and_b32_e32 v68, 56, v63
	s_add_u32 s20, s6, s2
	v_lshl_or_b32 v67, v61, 3, v64
	v_lshlrev_b32_e32 v3, 1, v68
	s_addc_u32 s2, s7, s3
	v_lshl_or_b32 v69, v67, 8, v3
	s_and_b32 s21, s2, 0xffff
	s_mov_b32 s23, 0x20000
	s_movk_i32 s22, 0x4000
	s_movk_i32 s2, 0x80
	v_or_b32_e32 v70, 0x2000, v69
	buffer_load_dwordx4 v[4:7], v69, s[20:23], 0 offen
	buffer_load_dwordx4 v[8:11], v69, s[20:23], s2 offen
	;; [unrolled: 1-line block ×4, first 2 shown]
	v_lshlrev_b32_e32 v20, 3, v67
	v_and_or_b32 v22, v0, 7, v20
	v_and_b32_e32 v20, 0x78, v20
	v_lshlrev_b32_e32 v22, 4, v22
	v_xor_b32_e32 v71, v22, v20
	v_mul_lo_u32 v21, v67, s15
	v_or_b32_e32 v72, 0x1000, v71
	s_cmpk_eq_i32 s15, 0x80
	s_mov_b32 s51, s13
	s_mov_b32 s52, s34
	v_xor_b32_e32 v20, 8, v71
	v_xor_b32_e32 v22, 8, v72
	s_cselect_b64 s[2:3], -1, 0
	s_cmpk_lg_i32 s15, 0x80
	s_waitcnt vmcnt(3)
	ds_write_b64 v71, v[4:5] offset:24576
	ds_write_b64 v20, v[6:7] offset:24576
	s_waitcnt vmcnt(2)
	ds_write_b64 v71, v[8:9] offset:32768
	ds_write_b64 v20, v[10:11] offset:32768
	;; [unrolled: 3-line block ×4, first 2 shown]
	v_lshl_add_u32 v4, v21, 1, v68
	s_cbranch_scc0 .LBB328_3
; %bb.2:
	v_lshlrev_b32_e32 v6, 1, v4
	v_add_lshl_u32 v5, v4, s15, 1
	s_lshl_b32 s22, s15, 7
	s_load_dwordx2 s[38:39], s[0:1], 0x20
	v_lshl_or_b32 v3, v67, 9, v3
	s_cbranch_execz .LBB328_4
	s_branch .LBB328_5
.LBB328_3:
                                        ; implicit-def: $vgpr5
                                        ; implicit-def: $vgpr6
                                        ; implicit-def: $sgpr22
	s_load_dwordx2 s[38:39], s[0:1], 0x20
	v_lshl_or_b32 v3, v67, 9, v3
.LBB328_4:
	v_or_b32_e32 v5, 0x100, v3
	s_movk_i32 s22, 0x4000
	v_mov_b32_e32 v6, v3
.LBB328_5:
	s_mul_i32 s0, s34, s14
	s_ashr_i32 s54, s50, 31
	s_mul_hi_i32 s1, s34, s14
	s_add_u32 s0, s0, s50
	s_addc_u32 s1, s1, s54
	s_lshl_b64 s[0:1], s[0:1], 8
	s_add_u32 s20, s4, s0
	s_addc_u32 s0, s5, s1
	s_and_b32 s21, s0, 0xffff
	s_movk_i32 s55, 0x80
	buffer_load_dwordx4 v[8:11], v6, s[20:23], 0 offen
	buffer_load_dwordx4 v[12:15], v6, s[20:23], s55 offen
	;; [unrolled: 1-line block ×4, first 2 shown]
	v_and_b32_e32 v5, 6, v0
	v_lshlrev_b32_e32 v24, 6, v65
	v_or_b32_e32 v26, 16, v45
	v_xor_b32_e32 v27, v67, v5
	v_and_b32_e32 v6, 1, v0
	v_lshl_or_b32 v30, v45, 3, v24
	v_lshl_or_b32 v24, v26, 3, v24
	v_lshlrev_b32_e32 v27, 2, v27
	v_lshlrev_b32_e32 v7, 2, v45
	s_mul_i32 s0, s33, s19
	s_mul_hi_u32 s1, s33, s18
	v_or_b32_e32 v75, 0xa000, v24
	v_or_b32_e32 v76, 0xb000, v24
	v_xor_b32_e32 v24, 0x440, v27
	v_cmp_eq_u32_e32 vcc, 0, v6
	s_add_i32 s17, s43, s42
	s_mul_i32 s20, s53, s18
	v_xor_b32_e32 v28, v65, v7
	v_xor_b32_e32 v29, v66, v7
	v_cndmask_b32_e32 v6, v24, v27, vcc
	s_add_i32 s0, s1, s0
	s_add_i32 s17, s17, s44
	s_mov_b32 s56, 0x1000504
	v_lshlrev_b32_e32 v25, 8, v45
	v_lshlrev_b32_e32 v26, 8, v26
	;; [unrolled: 1-line block ×4, first 2 shown]
	v_lshl_or_b32 v5, v5, 10, v6
	s_add_i32 s1, s0, s20
	s_lshl_b64 s[20:21], s[16:17], 2
	s_mov_b32 s57, 0x3020706
	v_or_b32_e32 v73, 0xa000, v30
	v_or_b32_e32 v74, 0xb000, v30
	;; [unrolled: 1-line block ×5, first 2 shown]
	v_xor_b32_e32 v6, 8, v5
	v_xor_b32_e32 v25, 24, v5
	;; [unrolled: 1-line block ×4, first 2 shown]
	s_mul_i32 s0, s33, s18
	s_add_u32 s17, s10, s20
	v_or_b32_e32 v79, v26, v28
	v_xor_b32_e32 v24, 16, v5
	v_xor_b32_e32 v26, 32, v5
	;; [unrolled: 1-line block ×3, first 2 shown]
	v_add_u32_e32 v6, 0x80, v6
	v_add_u32_e32 v25, 0x80, v25
	;; [unrolled: 1-line block ×4, first 2 shown]
	s_addc_u32 s20, s11, s21
	s_lshl_b64 s[0:1], s[0:1], 2
	s_add_u32 s40, s17, s0
	s_movk_i32 s0, 0xf8
	s_addc_u32 s41, s20, s1
	s_ashr_i32 s31, s30, 31
	s_lshl_b32 s26, s15, 7
	s_movk_i32 s20, 0x100
	v_mov_b32_e32 v51, 0
	v_lshlrev_b32_e32 v50, 4, v45
	v_cmp_gt_u32_e32 vcc, s20, v0
	s_mov_b32 s58, 0
	s_movk_i32 s17, 0x1000
	s_movk_i32 s22, 0x4000
	v_add_u32_e32 v100, v1, v2
	v_mov_b32_e32 v111, 0x3fb8aa3b
	v_mov_b32_e32 v52, v51
	;; [unrolled: 1-line block ×13, first 2 shown]
	s_waitcnt vmcnt(1)
	v_perm_b32 v30, v8, v16, s56
	s_waitcnt vmcnt(0)
	v_perm_b32 v31, v12, v20, s56
	v_perm_b32 v8, v8, v16, s57
	;; [unrolled: 1-line block ×15, first 2 shown]
	ds_write2st64_b32 v5, v30, v31 offset0:32 offset1:64
	ds_write2st64_b32 v6, v8, v12 offset0:32 offset1:64
	;; [unrolled: 1-line block ×8, first 2 shown]
	v_or_b32_e32 v5, v1, v45
	v_lshlrev_b32_e32 v5, 3, v5
	v_lshrrev_b32_e32 v8, 5, v60
	v_and_or_b32 v8, v5, s0, v8
	v_lshrrev_b32_e32 v6, 2, v60
	v_lshlrev_b32_e32 v11, 11, v61
	v_lshlrev_b32_e32 v8, 4, v8
	v_and_b32_e32 v5, 0x78, v5
	v_and_b32_e32 v9, 12, v6
	;; [unrolled: 1-line block ×3, first 2 shown]
	v_xor_b32_e32 v10, v8, v5
	v_lshrrev_b32_e32 v12, 1, v60
	v_or_b32_e32 v10, v10, v6
	v_and_b32_e32 v12, 8, v12
	v_xor_b32_e32 v81, v10, v12
	v_or_b32_e32 v10, 32, v8
	v_xor_b32_e32 v10, v10, v5
	v_or_b32_e32 v10, v10, v6
	;; [unrolled: 2-line block ×3, first 2 shown]
	v_or_b32_e32 v8, 0x60, v8
	v_xor_b32_e32 v10, v10, v5
	v_xor_b32_e32 v5, v8, v5
	s_lshl_b64 s[0:1], s[30:31], 8
	v_or_b32_e32 v10, v10, v6
	v_or_b32_e32 v5, v5, v6
	v_lshlrev_b32_e32 v14, 1, v4
	v_add_lshl_u32 v15, v4, s15, 1
	s_add_u32 s0, s36, s0
	v_lshlrev_b32_e32 v4, 1, v45
	v_xor_b32_e32 v91, v10, v12
	v_xor_b32_e32 v92, v5, v12
	v_lshrrev_b32_e32 v10, 4, v0
	s_addc_u32 s1, s37, s1
	v_or_b32_e32 v5, 1, v4
	v_mov_b32_e32 v20, 0x4000
	v_mov_b32_e32 v21, 0x2000
	v_lshrrev_b32_e32 v22, 1, v0
	v_xor_b32_e32 v12, v10, v4
	v_xor_b32_e32 v17, v5, v10
	v_lshl_add_u64 v[4:5], s[0:1], 0, v[50:51]
	v_lshlrev_b32_e32 v50, 8, v10
	v_cndmask_b32_e32 v20, v20, v21, vcc
	v_lshlrev_b32_e32 v21, 3, v61
	v_and_b32_e32 v22, 24, v22
	v_lshl_or_b32 v95, v12, 3, v50
	v_and_b32_e32 v12, 8, v0
	v_xor_b32_e32 v23, v21, v22
	v_or_b32_e32 v24, 0x440, v23
	v_cmp_eq_u32_e32 vcc, 0, v12
	v_and_b32_e32 v10, 7, v0
	v_lshlrev_b32_e32 v13, 7, v62
	v_cndmask_b32_e32 v12, v24, v23, vcc
	v_lshl_or_b32 v96, v17, 3, v50
	v_lshlrev_b32_e32 v17, 3, v10
	v_lshlrev_b32_e32 v19, 2, v0
	v_or_b32_e32 v12, v12, v11
	v_or_b32_e32 v7, v13, v7
	v_xor_b32_e32 v23, v12, v17
	v_and_or_b32 v12, v19, 60, v13
	v_mov_b32_e32 v13, 0xb000
	v_lshl_or_b32 v97, v12, 1, v13
	v_or_b32_e32 v12, 32, v22
	v_xor_b32_e32 v12, v21, v12
	v_or_b32_e32 v13, 0x440, v12
	v_cndmask_b32_e32 v12, v13, v12, vcc
	v_or_b32_e32 v12, v12, v11
	v_xor_b32_e32 v13, v12, v17
	v_or_b32_e32 v12, 64, v22
	v_xor_b32_e32 v12, v21, v12
	v_xor_b32_e32 v25, 0x440, v12
	v_cndmask_b32_e32 v12, v25, v12, vcc
	v_or_b32_e32 v12, v12, v11
	v_xor_b32_e32 v25, v12, v17
	v_or_b32_e32 v12, 0x60, v22
	v_xor_b32_e32 v12, v21, v12
	v_xor_b32_e32 v21, 0x440, v12
	v_cndmask_b32_e32 v12, v21, v12, vcc
	v_or_b32_e32 v11, v12, v11
	v_lshlrev_b32_e32 v7, 1, v7
	v_or_b32_e32 v6, s30, v45
	v_xor_b32_e32 v11, v11, v17
	v_or_b32_e32 v85, 0xa000, v7
	v_or_b32_e32 v90, 0xa080, v7
	;; [unrolled: 1-line block ×4, first 2 shown]
	v_lshlrev_b32_e32 v8, 7, v65
	v_ashrrev_i32_e32 v7, 31, v6
	v_or_b32_e32 v16, 0x100, v3
	v_lshlrev_b32_e32 v18, 7, v10
	v_or_b32_e32 v10, v9, v1
	v_add_u32_e32 v24, v20, v23
	v_add_u32_e32 v19, v20, v13
	;; [unrolled: 1-line block ×4, first 2 shown]
	v_or3_b32 v12, v1, v9, 64
	v_add_u32_e32 v9, 0x4000, v23
	v_add_u32_e32 v13, 0x4000, v13
	v_add_u32_e32 v20, 0x4000, v25
	v_add_u32_e32 v11, 0x4000, v11
	v_cndmask_b32_e64 v98, v14, v3, s[2:3]
	v_cndmask_b32_e64 v99, v15, v16, s[2:3]
	v_lshl_add_u64 v[56:57], v[6:7], 1, s[8:9]
	v_lshl_add_u64 v[58:59], v[4:5], 0, v[50:51]
	s_mov_b32 s31, 0x7060302
	v_lshlrev_b32_e32 v50, 1, v8
	v_lshlrev_b32_e32 v101, 2, v10
	v_add_u32_e32 v102, v24, v18
	v_add_u32_e32 v103, v19, v18
	;; [unrolled: 1-line block ×4, first 2 shown]
	v_lshlrev_b32_e32 v106, 2, v12
	v_add_u32_e32 v107, v9, v18
	v_add_u32_e32 v108, v13, v18
	;; [unrolled: 1-line block ×4, first 2 shown]
	v_mov_b32_e32 v83, v51
	v_mov_b32_e32 v82, v51
	;; [unrolled: 1-line block ×4, first 2 shown]
	s_waitcnt lgkmcnt(0)
	s_barrier
.LBB328_6:                              ; =>This Inner Loop Header: Depth=1
	s_add_i32 s59, s58, 1
	s_cmp_lt_i32 s59, s45
	s_mov_b64 s[24:25], 0
	s_cselect_b64 s[2:3], -1, 0
	s_cmp_ge_i32 s59, s45
	s_mov_b64 s[20:21], 0
	s_cbranch_scc1 .LBB328_8
; %bb.7:                                ;   in Loop: Header=BB328_6 Depth=1
	s_add_i32 s0, s52, 64
	s_ashr_i32 s1, s0, 31
	s_add_u32 s0, s49, s0
	s_addc_u32 s1, s48, s1
	s_lshl_b64 s[0:1], s[0:1], 8
	s_add_u32 s20, s6, s0
	s_addc_u32 s21, s7, s1
.LBB328_8:                              ;   in Loop: Header=BB328_6 Depth=1
	v_cndmask_b32_e64 v2, 0, 1, s[2:3]
	v_cmp_ne_u32_e64 s[0:1], 1, v2
	s_andn2_b64 vcc, exec, s[2:3]
	s_cbranch_vccnz .LBB328_10
; %bb.9:                                ;   in Loop: Header=BB328_6 Depth=1
	s_add_i32 s2, s52, 64
	s_mul_hi_i32 s3, s2, s14
	s_mul_i32 s2, s2, s14
	s_add_u32 s2, s2, s50
	s_addc_u32 s3, s3, s54
	s_lshl_b64 s[2:3], s[2:3], 8
	s_add_u32 s24, s4, s2
	s_addc_u32 s25, s5, s3
.LBB328_10:                             ;   in Loop: Header=BB328_6 Depth=1
	v_perm_b32 v3, v55, v54, s31
	v_perm_b32 v2, v53, v52, s31
	;; [unrolled: 1-line block ×4, first 2 shown]
	ds_write_b64 v73, v[2:3]
	ds_write_b64 v74, v[4:5]
	ds_write_b64 v77, v[2:3]
	ds_write_b64 v78, v[4:5]
	v_perm_b32 v3, v113, v88, s31
	v_perm_b32 v2, v86, v87, s31
	;; [unrolled: 1-line block ×4, first 2 shown]
	ds_write_b64 v75, v[2:3]
	ds_write_b64 v76, v[4:5]
	;; [unrolled: 1-line block ×4, first 2 shown]
	s_waitcnt lgkmcnt(0)
	s_barrier
	ds_read_b64 v[6:7], v81 offset:24576
	ds_read2_b64 v[2:5], v85 offset1:16
	ds_read_b64 v[10:11], v90 offset:3072
	ds_read_b64 v[12:13], v85 offset:3072
	;; [unrolled: 1-line block ×3, first 2 shown]
	s_waitcnt lgkmcnt(3)
	v_mfma_f32_16x16x16_bf16 a[0:3], v[6:7], v[2:3], 0
	s_add_i32 s60, s52, 63
	s_ashr_i32 s2, s60, 31
	s_mul_i32 s3, s60, s29
	v_mfma_f32_16x16x16_bf16 a[4:7], v[6:7], v[4:5], 0
	ds_read2st64_b64 v[2:5], v85 offset0:2 offset1:4
	s_mul_hi_u32 s27, s60, s28
	s_add_i32 s3, s27, s3
	s_waitcnt lgkmcnt(0)
	v_mfma_f32_16x16x16_bf16 a[0:3], v[14:15], v[2:3], a[0:3]
	ds_read2st64_b64 v[6:9], v90 offset0:2 offset1:4
	ds_read_b64 v[2:3], v91 offset:24576
	s_mul_i32 s2, s2, s28
	s_add_i32 s3, s3, s2
	s_waitcnt lgkmcnt(1)
	v_mfma_f32_16x16x16_bf16 a[4:7], v[14:15], v[6:7], a[4:7]
	ds_read_b64 v[6:7], v92 offset:24576
	s_mul_i32 s2, s60, s28
	s_lshl_b64 s[2:3], s[2:3], 2
	s_waitcnt lgkmcnt(1)
	v_mfma_f32_16x16x16_bf16 a[0:3], v[2:3], v[4:5], a[0:3]
	s_add_u32 s2, s40, s2
	s_addc_u32 s3, s41, s3
	s_and_b64 vcc, exec, s[0:1]
	v_mfma_f32_16x16x16_bf16 a[4:7], v[2:3], v[8:9], a[4:7]
	v_mov_b32_e32 v116, 0
	v_mov_b32_e32 v115, 0
	;; [unrolled: 1-line block ×3, first 2 shown]
	s_waitcnt lgkmcnt(0)
	v_mfma_f32_16x16x16_bf16 a[0:3], v[6:7], v[12:13], a[0:3]
	v_mov_b32_e32 v2, 0
	v_mov_b32_e32 v3, 0
	;; [unrolled: 1-line block ×3, first 2 shown]
	v_mfma_f32_16x16x16_bf16 a[4:7], v[6:7], v[10:11], a[4:7]
	v_mov_b32_e32 v5, 0
	v_mov_b32_e32 v6, 0
	;; [unrolled: 1-line block ×13, first 2 shown]
	s_cbranch_vccnz .LBB328_12
; %bb.11:                               ;   in Loop: Header=BB328_6 Depth=1
	s_and_b32 s21, s21, 0xffff
	buffer_load_dwordx4 v[14:17], v69, s[20:23], 0 offen
	buffer_load_dwordx4 v[10:13], v69, s[20:23], s55 offen
	;; [unrolled: 1-line block ×4, first 2 shown]
	v_mov_b32_e32 v115, v71
	v_mov_b32_e32 v114, v72
.LBB328_12:                             ;   in Loop: Header=BB328_6 Depth=1
	ds_read_b64 v[22:23], v81 offset:32768
	ds_read2_b64 v[18:21], v93 offset1:16
	ds_read_b64 v[26:27], v89 offset:32768
	ds_read_b64 v[28:29], v91 offset:32768
	;; [unrolled: 1-line block ×3, first 2 shown]
	v_add_u32_e32 v32, s52, v100
	s_waitcnt lgkmcnt(3)
	v_mfma_f32_16x16x16_bf16 a[0:3], v[22:23], v[18:19], a[0:3]
	v_mul_lo_u32 v33, v32, s29
	v_mov_b32_e32 v117, 0
	v_mfma_f32_16x16x16_bf16 a[4:7], v[22:23], v[20:21], a[4:7]
	ds_read2st64_b64 v[18:21], v93 offset0:2 offset1:4
	ds_read2st64_b64 v[22:25], v94 offset0:2 offset1:4
	s_waitcnt lgkmcnt(1)
	v_mfma_f32_16x16x16_bf16 a[0:3], v[26:27], v[18:19], a[0:3]
	v_ashrrev_i32_e32 v18, 31, v32
	v_mul_lo_u32 v34, v18, s28
	v_mad_u64_u32 v[18:19], s[20:21], v32, s28, 0
	v_mfma_f32_16x16x16_bf16 a[0:3], v[28:29], v[20:21], a[0:3]
	v_add_u32_e32 v20, 1, v32
	v_ashrrev_i32_e32 v21, 31, v20
	v_add3_u32 v19, v19, v33, v34
	s_waitcnt lgkmcnt(0)
	v_mfma_f32_16x16x16_bf16 a[4:7], v[26:27], v[22:23], a[4:7]
	v_mul_lo_u32 v22, v21, s28
	v_mul_lo_u32 v23, v20, s29
	v_mad_u64_u32 v[20:21], s[20:21], v20, s28, 0
	v_add3_u32 v21, v21, v23, v22
	v_add_u32_e32 v22, 2, v32
	v_ashrrev_i32_e32 v23, 31, v22
	v_mul_lo_u32 v26, v23, s28
	v_mul_lo_u32 v27, v22, s29
	v_mad_u64_u32 v[22:23], s[20:21], v22, s28, 0
	v_add3_u32 v23, v23, v27, v26
	v_add_u32_e32 v26, 3, v32
	v_ashrrev_i32_e32 v27, 31, v26
	v_mul_lo_u32 v32, v27, s28
	v_mul_lo_u32 v33, v26, s29
	v_mad_u64_u32 v[26:27], s[20:21], v26, s28, 0
	v_add3_u32 v27, v27, v33, v32
	s_ashr_i32 s21, s52, 31
	v_lshl_add_u64 v[18:19], v[18:19], 2, s[40:41]
	v_lshl_add_u64 v[26:27], v[26:27], 2, s[40:41]
	s_add_u32 s20, s49, s52
	v_lshl_add_u64 v[20:21], v[20:21], 2, s[40:41]
	v_lshl_add_u64 v[22:23], v[22:23], 2, s[40:41]
	global_load_dword v32, v[18:19], off
	global_load_dword v33, v[20:21], off
	;; [unrolled: 1-line block ×3, first 2 shown]
	s_nop 0
	global_load_dword v26, v[26:27], off
	s_addc_u32 s21, s48, s21
	s_lshl_b64 s[20:21], s[20:21], 8
	v_lshl_add_u64 v[18:19], v[56:57], 0, s[20:21]
	v_lshl_add_u64 v[18:19], v[18:19], 0, v[50:51]
	global_load_ushort v27, v[18:19], off offset:256
	global_load_ushort v35, v[18:19], off
	global_load_ushort v36, v[18:19], off offset:768
	global_load_ushort v37, v[18:19], off offset:512
	ds_read_b64 v[20:21], v93 offset:3072
	ds_read_b64 v[22:23], v94 offset:3072
	global_load_ushort v38, v[18:19], off offset:800
	global_load_ushort v39, v[18:19], off offset:544
	;; [unrolled: 1-line block ×4, first 2 shown]
	s_load_dword s2, s[2:3], 0x0
	v_mfma_f32_16x16x16_bf16 a[4:7], v[28:29], v[24:25], a[4:7]
	s_and_b64 vcc, exec, s[0:1]
	s_waitcnt vmcnt(11) lgkmcnt(0)
	v_sub_f32_e32 v24, s2, v32
	v_mfma_f32_16x16x16_bf16 a[0:3], v[30:31], v[20:21], a[0:3]
	s_waitcnt vmcnt(10)
	v_sub_f32_e32 v29, s2, v33
	v_mul_f32_e32 v28, 0x3fb8aa3b, v24
	v_mul_f32_e32 v29, 0x3fb8aa3b, v29
	v_mfma_f32_16x16x16_bf16 a[4:7], v[30:31], v[22:23], a[4:7]
	s_waitcnt vmcnt(9)
	v_sub_f32_e32 v30, s2, v34
	s_waitcnt vmcnt(8)
	v_sub_f32_e32 v31, s2, v26
	v_mul_f32_e32 v30, 0x3fb8aa3b, v30
	v_mul_f32_e32 v31, 0x3fb8aa3b, v31
	v_exp_f32_e32 v28, v28
	v_exp_f32_e32 v29, v29
	;; [unrolled: 1-line block ×4, first 2 shown]
	v_accvgpr_read_b32 v23, a1
	v_accvgpr_read_b32 v19, a3
	;; [unrolled: 1-line block ×4, first 2 shown]
	s_waitcnt vmcnt(7)
	v_lshlrev_b32_e32 v25, 16, v27
	s_waitcnt vmcnt(6)
	v_lshlrev_b32_e32 v24, 16, v35
	;; [unrolled: 2-line block ×4, first 2 shown]
	v_pk_add_f32 v[22:23], v[24:25], v[22:23] neg_lo:[0,1] neg_hi:[0,1]
	v_pk_add_f32 v[18:19], v[26:27], v[18:19] neg_lo:[0,1] neg_hi:[0,1]
	v_pk_mul_f32 v[22:23], v[28:29], v[22:23]
	v_pk_mul_f32 v[18:19], v[30:31], v[18:19]
	v_accvgpr_read_b32 v25, a5
	v_perm_b32 v19, v19, v18, s31
	v_perm_b32 v18, v23, v22, s31
	s_waitcnt vmcnt(1)
	v_lshlrev_b32_e32 v23, 16, v40
	s_waitcnt vmcnt(0)
	v_lshlrev_b32_e32 v22, 16, v41
	v_accvgpr_read_b32 v24, a4
	v_accvgpr_read_b32 v21, a7
	;; [unrolled: 1-line block ×3, first 2 shown]
	v_pk_add_f32 v[22:23], v[22:23], v[24:25] neg_lo:[0,1] neg_hi:[0,1]
	v_lshlrev_b32_e32 v25, 16, v38
	v_lshlrev_b32_e32 v24, 16, v39
	v_pk_add_f32 v[20:21], v[24:25], v[20:21] neg_lo:[0,1] neg_hi:[0,1]
	v_pk_mul_f32 v[22:23], v[28:29], v[22:23]
	v_pk_mul_f32 v[20:21], v[30:31], v[20:21]
	v_mov_b32_e32 v24, 0
	v_perm_b32 v21, v21, v20, s31
	v_perm_b32 v20, v23, v22, s31
	ds_write2_b64 v74, v[18:19], v[20:21] offset1:16
	v_mov_b32_e32 v18, 0
	v_mov_b32_e32 v19, 0
	;; [unrolled: 1-line block ×15, first 2 shown]
	s_cbranch_vccnz .LBB328_14
; %bb.13:                               ;   in Loop: Header=BB328_6 Depth=1
	s_and_b32 s25, s25, 0xffff
	s_mov_b32 s27, s23
	buffer_load_dwordx4 v[30:33], v98, s[24:27], 0 offen
	buffer_load_dwordx4 v[22:25], v98, s[24:27], s55 offen
	;; [unrolled: 1-line block ×4, first 2 shown]
	v_mov_b32_e32 v116, v68
	v_mov_b32_e32 v117, v67
.LBB328_14:                             ;   in Loop: Header=BB328_6 Depth=1
	s_waitcnt lgkmcnt(0)
	s_barrier
	ds_read_b64 v[38:39], v102
	ds_read_b64 v[122:123], v97
	;; [unrolled: 1-line block ×5, first 2 shown]
	ds_read_b64 v[136:137], v94 offset:3072
	ds_read2_b64 v[34:37], v93 offset0:16 offset1:128
	s_waitcnt lgkmcnt(5)
	v_mfma_f32_16x16x16_bf16 a[0:3], v[38:39], v[122:123], 0
	ds_read2st64_b64 v[40:43], v94 offset0:2 offset1:4
	s_add_i32 s3, s46, s58
	s_mul_hi_i32 s21, s3, s51
	s_waitcnt lgkmcnt(1)
	v_mfma_f32_16x16x16_bf16 a[4:7], v[38:39], v[34:35], 0
	ds_read_b64 v[38:39], v107
	s_mul_i32 s3, s3, s51
	s_add_u32 s20, s3, s33
	s_waitcnt lgkmcnt(1)
	v_mfma_f32_16x16x16_bf16 a[4:7], v[124:125], v[40:41], a[4:7]
	s_addc_u32 s21, s21, s53
	s_lshl_b64 s[20:21], s[20:21], 15
	s_mul_i32 s24, s60, s51
	s_mul_hi_i32 s3, s60, s51
	s_add_u32 s24, s24, s33
	v_mfma_f32_16x16x16_bf16 a[8:11], v[126:127], v[42:43], a[4:7]
	s_addc_u32 s25, s3, s53
	ds_read2st64_b64 v[118:121], v93 offset0:4 offset1:6
	s_lshl_b64 s[24:25], s[24:25], 9
	s_waitcnt lgkmcnt(1)
	v_mfma_f32_16x16x16_bf16 a[4:7], v[38:39], v[122:123], 0
	s_add_u32 s24, s38, s24
	s_addc_u32 s25, s39, s25
	v_mfma_f32_16x16x16_bf16 a[0:3], v[124:125], v[36:37], a[0:3]
	ds_read_b64 v[124:125], v108
	ds_read_b64 v[132:133], v109
	;; [unrolled: 1-line block ×3, first 2 shown]
	v_mfma_f32_16x16x16_bf16 a[12:15], v[38:39], v[34:35], 0
	s_waitcnt lgkmcnt(2)
	v_mfma_f32_16x16x16_bf16 a[4:7], v[124:125], v[36:37], a[4:7]
	global_load_dwordx4 v[34:37], v106, s[24:25]
	v_mfma_f32_16x16x16_bf16 a[12:15], v[124:125], v[40:41], a[12:15]
	global_load_dwordx4 v[38:41], v101, s[24:25]
	ds_read2st64_b64 v[122:125], v95 offset1:8
	s_waitcnt lgkmcnt(0)
	v_mov_b32_e32 v130, v122
	v_mfma_f32_16x16x16_bf16 a[0:3], v[126:127], v[118:119], a[0:3]
	ds_read2st64_b64 v[126:129], v96 offset1:8
	v_mov_b32_e32 v131, v123
	v_mfma_f32_16x16x16_bf16 a[16:19], v[132:133], v[118:119], a[4:7]
	v_lshl_add_u64 v[118:119], v[58:59], 0, s[20:21]
	v_mfma_f32_16x16x16_bf16 a[20:23], v[132:133], v[42:43], a[12:15]
	v_add_co_u32_e32 v42, vcc, s17, v118
	s_waitcnt lgkmcnt(0)
	v_mov_b32_e32 v132, v126
	v_mfma_f32_16x16x16_bf16 a[4:7], v[134:135], v[120:121], a[0:3]
	v_mov_b32_e32 v133, v127
	v_mov_b32_e32 v126, v124
	;; [unrolled: 1-line block ×3, first 2 shown]
	v_mfma_f32_16x16x16_bf16 a[8:11], v[134:135], v[136:137], a[8:11]
	v_addc_co_u32_e32 v43, vcc, 0, v119, vcc
	global_store_dwordx4 v[42:43], v[126:129], off
	v_mfma_f32_16x16x16_bf16 a[12:15], v[138:139], v[120:121], a[16:19]
	s_and_b64 vcc, exec, s[0:1]
	global_store_dwordx4 v[118:119], v[130:133], off
	s_waitcnt vmcnt(3)
	v_mov_b32_e32 v44, v37
	v_mfma_f32_16x16x16_bf16 a[0:3], v[138:139], v[136:137], a[20:23]
	v_mov_b32_e32 v43, v36
	v_mov_b32_e32 v42, v35
	s_cbranch_vccnz .LBB328_16
; %bb.15:                               ;   in Loop: Header=BB328_6 Depth=1
	v_lshrrev_b32_e32 v35, 3, v116
	v_and_b32_e32 v35, 6, v35
	v_xor_b32_e32 v36, v35, v117
	v_lshlrev_b32_e32 v36, 2, v36
	v_and_b32_e32 v37, 8, v116
	v_xor_b32_e32 v116, 0x440, v36
	v_cmp_eq_u32_e32 vcc, 0, v37
	v_perm_b32 v37, v22, v18, s56
	s_nop 0
	v_cndmask_b32_e32 v36, v116, v36, vcc
	v_lshl_or_b32 v35, v35, 10, v36
	v_perm_b32 v36, v30, v26, s56
	s_barrier
	ds_write2st64_b32 v35, v36, v37 offset0:32 offset1:64
	v_xor_b32_e32 v36, 8, v35
	v_perm_b32 v26, v30, v26, s57
	v_perm_b32 v18, v22, v18, s57
	v_add_u32_e32 v22, 0x80, v36
	ds_write2st64_b32 v22, v26, v18 offset0:32 offset1:64
	v_xor_b32_e32 v18, 16, v35
	v_perm_b32 v22, v31, v27, s56
	v_perm_b32 v26, v23, v19, s56
	ds_write2st64_b32 v18, v22, v26 offset0:33 offset1:65
	v_xor_b32_e32 v18, 24, v35
	v_perm_b32 v22, v31, v27, s57
	v_perm_b32 v19, v23, v19, s57
	v_add_u32_e32 v18, 0x80, v18
	ds_write2st64_b32 v18, v22, v19 offset0:33 offset1:65
	v_xor_b32_e32 v18, 32, v35
	v_perm_b32 v19, v32, v28, s56
	v_perm_b32 v22, v24, v20, s56
	;; [unrolled: 9-line block ×3, first 2 shown]
	ds_write2st64_b32 v18, v19, v20 offset0:35 offset1:67
	v_xor_b32_e32 v18, 56, v35
	v_perm_b32 v19, v33, v29, s57
	v_perm_b32 v20, v25, v21, s57
	v_add_u32_e32 v18, 0x80, v18
	ds_write2st64_b32 v18, v19, v20 offset0:35 offset1:67
	ds_write_b64 v115, v[14:15] offset:24576
	v_xor_b32_e32 v14, 8, v115
	ds_write_b64 v14, v[16:17] offset:24576
	ds_write_b64 v115, v[10:11] offset:32768
	;; [unrolled: 1-line block ×4, first 2 shown]
	v_xor_b32_e32 v6, 8, v114
	ds_write_b64 v6, v[8:9] offset:24576
	ds_write_b64 v114, v[2:3] offset:32768
	;; [unrolled: 1-line block ×3, first 2 shown]
.LBB328_16:                             ;   in Loop: Header=BB328_6 Depth=1
	v_mul_f32_e32 v2, s2, v111
	v_exp_f32_e32 v18, v2
	s_waitcnt vmcnt(2)
	v_mul_f32_e32 v2, 0x3fb8aa3b, v38
	v_exp_f32_e32 v20, v2
	v_mul_f32_e32 v2, 0x3fb8aa3b, v39
	v_exp_f32_e32 v21, v2
	;; [unrolled: 2-line block ×4, first 2 shown]
	v_accvgpr_read_b32 v13, a7
	v_accvgpr_read_b32 v11, a5
	;; [unrolled: 1-line block ×4, first 2 shown]
	v_pk_mul_f32 v[20:21], v[18:19], v[20:21] op_sel_hi:[0,1]
	v_accvgpr_read_b32 v8, a10
	v_pk_fma_f32 v[52:53], v[52:53], v[20:21], v[10:11]
	v_pk_mul_f32 v[10:11], v[18:19], v[22:23] op_sel_hi:[0,1]
	v_accvgpr_read_b32 v12, a6
	v_accvgpr_read_b32 v7, a9
	v_fma_f32 v88, v88, v10, v8
	v_mul_f32_e32 v8, 0x3fb8aa3b, v43
	v_pk_fma_f32 v[54:55], v[54:55], v[10:11], v[12:13]
	v_fma_f32 v87, v87, v20, v6
	v_fma_f32 v86, v86, v21, v7
	v_mul_f32_e32 v6, 0x3fb8aa3b, v34
	v_mul_f32_e32 v7, 0x3fb8aa3b, v42
	v_exp_f32_e32 v12, v8
	v_mul_f32_e32 v8, 0x3fb8aa3b, v44
	v_exp_f32_e32 v6, v6
	v_exp_f32_e32 v7, v7
	;; [unrolled: 1-line block ×3, first 2 shown]
	v_accvgpr_read_b32 v9, a11
	v_accvgpr_read_b32 v17, a15
	;; [unrolled: 1-line block ×9, first 2 shown]
	v_fmac_f32_e32 v9, v113, v11
	v_pk_mul_f32 v[6:7], v[18:19], v[6:7] op_sel_hi:[0,1]
	v_pk_mul_f32 v[10:11], v[18:19], v[12:13] op_sel_hi:[0,1]
	s_add_i32 s52, s52, 64
	v_pk_fma_f32 v[46:47], v[46:47], v[6:7], v[14:15]
	v_pk_fma_f32 v[48:49], v[48:49], v[10:11], v[16:17]
	v_fma_f32 v83, v83, v6, v2
	v_fma_f32 v82, v82, v7, v3
	;; [unrolled: 1-line block ×3, first 2 shown]
	s_cmp_eq_u32 s45, s59
	v_fmac_f32_e32 v5, v112, v11
	s_cbranch_scc1 .LBB328_18
; %bb.17:                               ;   in Loop: Header=BB328_6 Depth=1
	s_mov_b32 s58, s59
	v_mov_b32_e32 v113, v9
	v_mov_b32_e32 v112, v5
	s_branch .LBB328_6
.LBB328_18:
	s_lshl_b32 s0, s45, 6
	s_sub_i32 s40, s47, s0
	s_cmp_gt_i32 s40, 0
	s_cbranch_scc0 .LBB328_83
; %bb.19:
	s_add_i32 s34, s0, s34
	s_ashr_i32 s2, s34, 31
	s_cmpk_lg_i32 s15, 0x80
	s_cselect_b64 s[26:27], -1, 0
	s_and_b64 vcc, exec, s[26:27]
	s_cbranch_vccz .LBB328_21
; %bb.20:
	s_mul_i32 s1, s34, s14
	s_ashr_i32 s3, s50, 31
	s_mul_hi_i32 s0, s34, s14
	s_add_u32 s38, s1, s50
	s_addc_u32 s39, s0, s3
	s_cbranch_execz .LBB328_22
	s_branch .LBB328_23
.LBB328_21:
                                        ; implicit-def: $sgpr38_sgpr39
.LBB328_22:
	s_mul_i32 s1, s50, s12
	s_mul_hi_i32 s0, s50, s12
	s_add_u32 s38, s1, s34
	s_addc_u32 s39, s0, s2
.LBB328_23:
	s_add_i32 s3, s45, s46
	s_ashr_i32 s12, s33, 31
	s_add_u32 s0, s49, s34
	v_lshlrev_b32_e32 v8, 5, v65
	v_lshlrev_b32_e32 v22, 2, v45
	s_addc_u32 s1, s48, s2
	s_mov_b32 s2, 0x7060302
	v_or_b32_e32 v11, v8, v22
	v_xor_b32_e32 v4, v65, v22
	v_perm_b32 v3, v55, v54, s2
	v_perm_b32 v2, v53, v52, s2
	;; [unrolled: 1-line block ×4, first 2 shown]
	v_lshlrev_b32_e32 v11, 1, v11
	s_lshl_b64 s[24:25], s[0:1], 8
	v_xor_b32_e32 v10, v66, v22
	ds_write2st64_b64 v11, v[2:3], v[6:7] offset0:80 offset1:88
	v_lshlrev_b32_e32 v11, 1, v4
	v_lshlrev_b32_e32 v4, 8, v45
	s_add_u32 s0, s6, s24
	v_or_b32_e32 v12, v11, v4
	v_lshlrev_b32_e32 v10, 1, v10
	s_addc_u32 s1, s7, s25
	ds_write_b64 v12, v[2:3]
	v_or_b32_e32 v2, v10, v4
	s_mul_hi_i32 s6, s3, s13
	s_mul_i32 s3, s3, s13
	ds_write_b64 v2, v[6:7]
	v_perm_b32 v3, v9, v88, s2
	v_perm_b32 v2, v86, v87, s2
	;; [unrolled: 1-line block ×4, first 2 shown]
	v_or_b32_e32 v6, 16, v45
	s_add_u32 s2, s3, s33
	v_lshlrev_b32_e32 v19, 2, v6
	s_addc_u32 s3, s6, s12
	v_or_b32_e32 v7, v8, v19
	s_ashr_i32 s31, s30, 31
	s_lshl_b64 s[2:3], s[2:3], 15
	v_lshlrev_b32_e32 v7, 1, v7
	v_lshlrev_b32_e32 v6, 8, v6
	s_add_u32 s6, s36, s2
	ds_write2st64_b64 v7, v[2:3], v[4:5] offset0:80 offset1:88
	v_or_b32_e32 v7, v11, v6
	s_addc_u32 s7, s37, s3
	s_lshl_b64 s[2:3], s[30:31], 8
	ds_write_b64 v7, v[2:3]
	v_or_b32_e32 v2, v10, v6
	s_add_u32 s2, s6, s2
	ds_write_b64 v2, v[4:5]
	v_lshrrev_b32_e32 v2, 4, v0
	s_addc_u32 s3, s7, s3
	v_lshlrev_b32_e32 v3, 1, v45
	v_lshlrev_b32_e32 v10, 4, v45
	v_mov_b32_e32 v11, 0
	v_or_b32_e32 v4, 1, v3
	v_xor_b32_e32 v3, v2, v3
	v_lshl_add_u64 v[12:13], s[2:3], 0, v[10:11]
	v_lshlrev_b32_e32 v10, 8, v2
	v_xor_b32_e32 v6, v4, v2
	v_lshl_or_b32 v2, v3, 3, v10
	s_waitcnt lgkmcnt(0)
	s_barrier
	ds_read2st64_b64 v[2:5], v2 offset1:8
	v_lshl_or_b32 v6, v6, 3, v10
	ds_read2st64_b64 v[6:9], v6 offset1:8
	v_lshl_add_u64 v[14:15], v[12:13], 0, v[10:11]
	s_movk_i32 s2, 0x1000
	s_waitcnt lgkmcnt(1)
	v_mov_b32_e32 v10, v2
	v_add_co_u32_e32 v2, vcc, s2, v14
	s_cmp_lg_u32 s40, 64
	v_mov_b32_e32 v11, v3
	v_addc_co_u32_e32 v3, vcc, 0, v15, vcc
	s_cselect_b64 s[6:7], -1, 0
	v_lshl_or_b32 v23, v61, 3, v64
	s_waitcnt lgkmcnt(0)
	v_mov_b32_e32 v12, v6
	v_mov_b32_e32 v13, v7
	;; [unrolled: 1-line block ×4, first 2 shown]
	s_mov_b32 s20, 0
	v_or_b32_e32 v20, 32, v23
	v_and_b32_e32 v18, 56, v63
	s_and_b64 vcc, exec, s[6:7]
	global_store_dwordx4 v[14:15], v[10:13], off
	global_store_dwordx4 v[2:3], v[6:9], off
	s_cbranch_vccz .LBB328_29
; %bb.24:
	s_mov_b32 s21, s20
	s_mov_b32 s22, s20
	;; [unrolled: 1-line block ×3, first 2 shown]
	v_mov_b64_e32 v[6:7], s[20:21]
	v_mov_b64_e32 v[8:9], s[22:23]
	;; [unrolled: 1-line block ×3, first 2 shown]
	v_cmp_gt_i32_e32 vcc, s40, v23
	v_mov_b64_e32 v[4:5], v[8:9]
	s_and_saveexec_b64 s[2:3], vcc
	s_cbranch_execz .LBB328_26
; %bb.25:
	v_lshlrev_b32_e32 v2, 8, v23
	v_mov_b32_e32 v3, 0
	v_lshl_add_u64 v[4:5], s[0:1], 0, v[2:3]
	v_lshlrev_b32_e32 v2, 1, v18
	v_lshl_add_u64 v[10:11], v[4:5], 0, v[2:3]
	global_load_dwordx4 v[6:9], v[10:11], off
	global_load_dwordx4 v[2:5], v[10:11], off offset:128
.LBB328_26:
	s_or_b64 exec, exec, s[2:3]
	s_mov_b32 s21, s20
	s_mov_b32 s22, s20
	;; [unrolled: 1-line block ×3, first 2 shown]
	v_mov_b64_e32 v[14:15], s[20:21]
	v_mov_b64_e32 v[16:17], s[22:23]
	;; [unrolled: 1-line block ×3, first 2 shown]
	v_cmp_gt_i32_e32 vcc, s40, v20
	v_lshlrev_b32_e32 v21, 7, v20
	v_mov_b64_e32 v[12:13], v[16:17]
	s_and_saveexec_b64 s[2:3], vcc
	s_cbranch_execz .LBB328_28
; %bb.27:
	v_lshlrev_b32_e32 v10, 1, v21
	v_mov_b32_e32 v11, 0
	v_lshl_add_u64 v[12:13], s[0:1], 0, v[10:11]
	v_lshlrev_b32_e32 v10, 1, v18
	v_lshl_add_u64 v[24:25], v[12:13], 0, v[10:11]
	global_load_dwordx4 v[14:17], v[24:25], off
	global_load_dwordx4 v[10:13], v[24:25], off offset:128
.LBB328_28:
	s_or_b64 exec, exec, s[2:3]
	v_lshrrev_b32_e32 v24, 3, v18
	v_lshlrev_b32_e32 v25, 3, v23
	v_or_b32_e32 v24, v25, v24
	v_lshlrev_b32_e32 v24, 4, v24
	v_and_b32_e32 v25, 0x78, v25
	v_xor_b32_e32 v24, v24, v25
	s_branch .LBB328_31
.LBB328_29:
                                        ; implicit-def: $vgpr24
                                        ; implicit-def: $vgpr21
                                        ; implicit-def: $vgpr6_vgpr7_vgpr8_vgpr9
                                        ; implicit-def: $vgpr2_vgpr3_vgpr4_vgpr5
                                        ; implicit-def: $vgpr14_vgpr15_vgpr16_vgpr17
                                        ; implicit-def: $vgpr10_vgpr11_vgpr12_vgpr13
	s_cbranch_execz .LBB328_31
; %bb.30:
	s_waitcnt vmcnt(0)
	v_lshlrev_b32_e32 v2, 1, v18
	v_lshl_or_b32 v21, v23, 8, v2
	s_and_b32 s1, s1, 0xffff
	s_mov_b32 s3, 0x20000
	s_movk_i32 s2, 0x4000
	v_lshl_or_b32 v24, v20, 8, v2
	s_movk_i32 s13, 0x80
	buffer_load_dwordx4 v[6:9], v21, s[0:3], 0 offen
	buffer_load_dwordx4 v[2:5], v21, s[0:3], s13 offen
	;; [unrolled: 1-line block ×4, first 2 shown]
	v_lshrrev_b32_e32 v21, 3, v18
	v_lshlrev_b32_e32 v24, 3, v23
	v_or_b32_e32 v21, v24, v21
	v_lshlrev_b32_e32 v21, 4, v21
	v_and_b32_e32 v24, 0x78, v24
	v_xor_b32_e32 v24, v21, v24
	v_lshlrev_b32_e32 v21, 7, v20
.LBB328_31:
	s_lshl_b64 s[0:1], s[38:39], 8
	s_add_u32 s4, s4, s0
	s_movk_i32 s0, 0x1000
	v_and_or_b32 v20, v21, s0, v24
	s_waitcnt vmcnt(1)
	ds_write_b64 v24, v[6:7] offset:24576
	v_xor_b32_e32 v6, 8, v24
	ds_write_b64 v6, v[8:9] offset:24576
	s_waitcnt vmcnt(0)
	ds_write_b64 v24, v[2:3] offset:32768
	ds_write_b64 v6, v[4:5] offset:32768
	;; [unrolled: 1-line block ×3, first 2 shown]
	v_xor_b32_e32 v2, 8, v20
	ds_write_b64 v2, v[16:17] offset:24576
	ds_write_b64 v20, v[10:11] offset:32768
	;; [unrolled: 1-line block ×3, first 2 shown]
	v_or_b32_e32 v2, v1, v45
	v_lshlrev_b32_e32 v3, 11, v61
	v_lshlrev_b32_e32 v2, 3, v2
	v_and_b32_e32 v6, 0x1000, v3
	v_lshrrev_b32_e32 v3, 5, v60
	s_movk_i32 s13, 0xf8
	v_and_or_b32 v3, v2, s13, v3
	v_lshlrev_b32_e32 v7, 4, v3
	v_and_b32_e32 v8, 0x78, v2
	v_or_b32_e32 v10, 32, v7
	v_lshrrev_b32_e32 v3, 1, v60
	v_xor_b32_e32 v10, v10, v8
	v_xor_b32_e32 v2, v7, v8
	v_and_b32_e32 v9, 8, v3
	v_or_b32_e32 v10, v10, v6
	v_or_b32_e32 v2, v2, v6
	v_xor_b32_e32 v26, v10, v9
	v_or_b32_e32 v10, 64, v7
	v_xor_b32_e32 v25, v2, v9
	v_xor_b32_e32 v10, v10, v8
	s_waitcnt lgkmcnt(0)
	s_barrier
	v_or_b32_e32 v12, v10, v6
	ds_read_b64 v[10:11], v25 offset:24576
	v_lshl_or_b32 v20, v62, 7, v22
	v_lshlrev_b32_e32 v24, 1, v20
	v_add_u32_e32 v2, 0xa000, v24
	ds_read2_b64 v[2:5], v2 offset1:16
	v_or_b32_e32 v7, 0x60, v7
	v_xor_b32_e32 v7, v7, v8
	s_waitcnt lgkmcnt(0)
	v_mfma_f32_16x16x16_bf16 a[0:3], v[10:11], v[2:3], 0
	v_or_b32_e32 v2, 64, v20
	v_or_b32_e32 v6, v7, v6
	v_lshlrev_b32_e32 v29, 1, v2
	v_xor_b32_e32 v27, v12, v9
	v_xor_b32_e32 v28, v6, v9
	ds_read_b64 v[12:13], v26 offset:24576
	ds_read_b64 v[14:15], v27 offset:24576
	;; [unrolled: 1-line block ×3, first 2 shown]
	v_mfma_f32_16x16x16_bf16 a[4:7], v[10:11], v[4:5], 0
	ds_read2st64_b64 v[2:5], v29 offset0:82 offset1:84
	ds_read2st64_b64 v[6:9], v24 offset0:82 offset1:84
	s_addc_u32 s5, s5, s1
	s_add_i32 s0, s43, s42
	s_add_i32 s2, s35, -1
	s_add_i32 s17, s0, s44
	s_mul_i32 s0, s33, s19
	s_mul_hi_u32 s1, s33, s18
	s_add_i32 s0, s1, s0
	s_mul_i32 s1, s12, s18
	s_ashr_i32 s3, s2, 31
	s_mul_i32 s12, s2, s29
	s_mul_hi_u32 s13, s2, s28
	s_add_i32 s12, s13, s12
	s_mul_i32 s3, s3, s28
	s_waitcnt lgkmcnt(1)
	v_mfma_f32_16x16x16_bf16 a[4:7], v[12:13], v[2:3], a[4:7]
	s_add_i32 s1, s0, s1
	s_add_i32 s3, s12, s3
	s_lshl_b64 s[12:13], s[16:17], 2
	s_waitcnt lgkmcnt(0)
	v_mfma_f32_16x16x16_bf16 a[0:3], v[12:13], v[6:7], a[0:3]
	s_mul_i32 s0, s33, s18
	s_add_u32 s10, s10, s12
	s_addc_u32 s11, s11, s13
	s_lshl_b64 s[0:1], s[0:1], 2
	s_mul_i32 s2, s2, s28
	s_add_u32 s10, s10, s0
	ds_read_b64 v[2:3], v24 offset:44032
	v_mfma_f32_16x16x16_bf16 a[4:7], v[14:15], v[4:5], a[4:7]
	ds_read_b64 v[4:5], v29 offset:44032
	s_addc_u32 s11, s11, s1
	s_lshl_b64 s[0:1], s[2:3], 2
	v_mfma_f32_16x16x16_bf16 a[0:3], v[14:15], v[8:9], a[0:3]
	s_add_u32 s0, s10, s0
	s_addc_u32 s1, s11, s1
	s_load_dword s12, s[0:1], 0x0
	s_waitcnt lgkmcnt(0)
	v_mfma_f32_16x16x16_bf16 a[0:3], v[16:17], v[2:3], a[0:3]
	s_and_b64 vcc, exec, s[26:27]
	v_mfma_f32_16x16x16_bf16 a[4:7], v[16:17], v[4:5], a[4:7]
	s_cbranch_vccz .LBB328_42
; %bb.32:
	v_lshlrev_b32_e32 v20, 1, v23
	s_and_b64 vcc, exec, s[6:7]
	s_cbranch_vccz .LBB328_43
; %bb.33:
	v_cmp_gt_i32_e32 vcc, s40, v20
	v_mov_b32_e32 v6, 0
	v_mov_b32_e32 v2, 0
	v_mov_b32_e32 v3, 0
	v_mov_b32_e32 v4, 0
	v_mov_b32_e32 v5, 0
	s_and_saveexec_b64 s[0:1], vcc
	s_cbranch_execz .LBB328_35
; %bb.34:
	v_mad_i64_i32 v[2:3], s[2:3], s15, v20, 0
	v_lshl_add_u64 v[2:3], v[2:3], 1, s[4:5]
	v_lshlrev_b32_e32 v4, 1, v18
	v_mov_b32_e32 v5, 0
	v_lshl_add_u64 v[2:3], v[2:3], 0, v[4:5]
	global_load_dwordx4 v[2:5], v[2:3], off
.LBB328_35:
	s_or_b64 exec, exec, s[0:1]
	v_or_b32_e32 v21, 1, v20
	v_cmp_gt_i32_e64 s[0:1], s40, v21
	v_mov_b32_e32 v7, 0
	v_mov_b32_e32 v8, 0
	;; [unrolled: 1-line block ×3, first 2 shown]
	s_and_saveexec_b64 s[2:3], s[0:1]
	s_cbranch_execz .LBB328_37
; %bb.36:
	v_mad_i64_i32 v[6:7], s[16:17], s15, v21, 0
	v_lshl_add_u64 v[6:7], v[6:7], 1, s[4:5]
	v_lshlrev_b32_e32 v8, 1, v18
	v_mov_b32_e32 v9, 0
	v_lshl_add_u64 v[6:7], v[6:7], 0, v[8:9]
	global_load_dwordx4 v[6:9], v[6:7], off
.LBB328_37:
	s_or_b64 exec, exec, s[2:3]
	v_mov_b32_e32 v17, 0
	v_mov_b32_e32 v10, 0
	;; [unrolled: 1-line block ×5, first 2 shown]
	s_and_saveexec_b64 s[2:3], vcc
	s_cbranch_execz .LBB328_39
; %bb.38:
	v_mad_i64_i32 v[10:11], s[16:17], s15, v20, 0
	v_lshl_add_u64 v[10:11], v[10:11], 1, s[4:5]
	v_lshlrev_b32_e32 v12, 1, v18
	v_mov_b32_e32 v13, 0
	v_lshl_add_u64 v[10:11], v[10:11], 0, v[12:13]
	global_load_dwordx4 v[10:13], v[10:11], off offset:128
.LBB328_39:
	s_or_b64 exec, exec, s[2:3]
	v_mov_b32_e32 v16, 0
	v_mov_b32_e32 v15, 0
	;; [unrolled: 1-line block ×3, first 2 shown]
	s_and_saveexec_b64 s[2:3], s[0:1]
	s_cbranch_execz .LBB328_41
; %bb.40:
	v_mad_i64_i32 v[14:15], s[0:1], s15, v21, 0
	v_lshl_add_u64 v[14:15], v[14:15], 1, s[4:5]
	v_lshlrev_b32_e32 v16, 1, v18
	v_mov_b32_e32 v17, 0
	v_lshl_add_u64 v[14:15], v[14:15], 0, v[16:17]
	global_load_dwordx4 v[14:17], v[14:15], off offset:128
.LBB328_41:
	s_or_b64 exec, exec, s[2:3]
	s_branch .LBB328_45
.LBB328_42:
                                        ; implicit-def: $vgpr5
                                        ; implicit-def: $vgpr9
                                        ; implicit-def: $vgpr13
                                        ; implicit-def: $vgpr17
	v_lshrrev_b32_e32 v30, 2, v60
	s_branch .LBB328_46
.LBB328_43:
                                        ; implicit-def: $vgpr5
                                        ; implicit-def: $vgpr9
                                        ; implicit-def: $vgpr13
                                        ; implicit-def: $vgpr17
	s_cbranch_execz .LBB328_45
; %bb.44:
	s_waitcnt vmcnt(0)
	v_mad_u64_u32 v[2:3], s[0:1], v20, s15, v[18:19]
	v_lshlrev_b32_e32 v20, 1, v2
	s_lshl_b32 s2, s15, 7
	s_and_b32 s1, s5, 0xffff
	s_mov_b32 s3, 0x20000
	s_mov_b32 s0, s4
	v_add_lshl_u32 v21, v2, s15, 1
	s_movk_i32 s13, 0x80
	buffer_load_dwordx4 v[2:5], v20, s[0:3], 0 offen
	buffer_load_dwordx4 v[10:13], v20, s[0:3], s13 offen
	;; [unrolled: 1-line block ×4, first 2 shown]
.LBB328_45:
	v_lshrrev_b32_e32 v30, 2, v60
	s_cbranch_execnz .LBB328_58
.LBB328_46:
	s_and_b64 vcc, exec, s[6:7]
	s_cbranch_vccz .LBB328_56
; %bb.47:
	s_waitcnt vmcnt(0)
	v_lshlrev_b32_e32 v7, 1, v23
	v_cmp_gt_i32_e32 vcc, s40, v7
	v_mov_b32_e32 v6, 0
	v_lshlrev_b32_e32 v14, 9, v23
	v_mov_b32_e32 v2, 0
	v_mov_b32_e32 v3, 0
	;; [unrolled: 1-line block ×4, first 2 shown]
	s_and_saveexec_b64 s[0:1], vcc
	s_cbranch_execz .LBB328_49
; %bb.48:
	v_mov_b32_e32 v15, 0
	v_lshl_add_u64 v[2:3], s[4:5], 0, v[14:15]
	v_lshlrev_b32_e32 v4, 1, v18
	v_mov_b32_e32 v5, v15
	v_lshl_add_u64 v[2:3], v[2:3], 0, v[4:5]
	global_load_dwordx4 v[2:5], v[2:3], off
.LBB328_49:
	s_or_b64 exec, exec, s[0:1]
	v_or_b32_e32 v7, 1, v7
	v_cmp_gt_i32_e64 s[0:1], s40, v7
	v_lshlrev_b32_e32 v20, 8, v7
	v_mov_b32_e32 v7, 0
	v_mov_b32_e32 v8, 0
	;; [unrolled: 1-line block ×3, first 2 shown]
	s_and_saveexec_b64 s[2:3], s[0:1]
	s_cbranch_execz .LBB328_51
; %bb.50:
	v_mov_b32_e32 v21, 0
	v_lshl_add_u64 v[6:7], s[4:5], 0, v[20:21]
	v_lshlrev_b32_e32 v8, 1, v18
	v_mov_b32_e32 v9, v21
	v_lshl_add_u64 v[6:7], v[6:7], 0, v[8:9]
	global_load_dwordx4 v[6:9], v[6:7], off
.LBB328_51:
	s_or_b64 exec, exec, s[2:3]
	v_mov_b32_e32 v17, 0
	v_mov_b32_e32 v10, 0
	;; [unrolled: 1-line block ×5, first 2 shown]
	s_and_saveexec_b64 s[2:3], vcc
	s_cbranch_execz .LBB328_53
; %bb.52:
	v_mov_b32_e32 v15, 0
	v_lshl_add_u64 v[10:11], s[4:5], 0, v[14:15]
	v_lshlrev_b32_e32 v14, 1, v18
	v_lshl_add_u64 v[10:11], v[10:11], 0, v[14:15]
	global_load_dwordx4 v[10:13], v[10:11], off offset:128
.LBB328_53:
	s_or_b64 exec, exec, s[2:3]
	v_mov_b32_e32 v16, 0
	v_mov_b32_e32 v15, 0
	;; [unrolled: 1-line block ×3, first 2 shown]
	s_and_saveexec_b64 s[2:3], s[0:1]
	s_cbranch_execz .LBB328_55
; %bb.54:
	v_mov_b32_e32 v21, 0
	v_lshl_add_u64 v[14:15], s[4:5], 0, v[20:21]
	v_lshlrev_b32_e32 v20, 1, v18
	v_lshl_add_u64 v[14:15], v[14:15], 0, v[20:21]
	global_load_dwordx4 v[14:17], v[14:15], off offset:128
.LBB328_55:
	s_or_b64 exec, exec, s[2:3]
	s_branch .LBB328_58
.LBB328_56:
                                        ; implicit-def: $vgpr5
                                        ; implicit-def: $vgpr9
                                        ; implicit-def: $vgpr13
                                        ; implicit-def: $vgpr17
	s_cbranch_execz .LBB328_58
; %bb.57:
	s_waitcnt vmcnt(0)
	v_lshlrev_b32_e32 v2, 1, v18
	v_lshl_or_b32 v18, v23, 9, v2
	s_and_b32 s5, s5, 0xffff
	s_mov_b32 s7, 0x20000
	s_movk_i32 s6, 0x4000
	s_movk_i32 s0, 0x80
	buffer_load_dwordx4 v[2:5], v18, s[4:7], 0 offen
	buffer_load_dwordx4 v[6:9], v18, s[4:7], 0 offen offset:256
	buffer_load_dwordx4 v[10:13], v18, s[4:7], s0 offen
	buffer_load_dwordx4 v[14:17], v18, s[4:7], s0 offen offset:256
.LBB328_58:
	ds_read_b64 v[20:21], v25 offset:32768
	v_add_u32_e32 v18, 0xb000, v24
	ds_read2_b64 v[32:35], v18 offset1:16
	ds_read_b64 v[40:41], v26 offset:32768
	ds_read_b64 v[26:27], v27 offset:32768
	;; [unrolled: 1-line block ×3, first 2 shown]
	v_and_b32_e32 v18, 6, v0
	v_xor_b32_e32 v23, v23, v18
	v_lshlrev_b32_e32 v23, 2, v23
	v_and_b32_e32 v0, 1, v0
	v_xor_b32_e32 v28, 0x440, v23
	v_cmp_eq_u32_e32 vcc, 0, v0
	s_waitcnt lgkmcnt(3)
	v_mfma_f32_16x16x16_bf16 a[0:3], v[20:21], v[32:33], a[0:3]
	s_mov_b32 s0, 0x1000504
	v_cndmask_b32_e32 v0, v28, v23, vcc
	v_lshl_or_b32 v0, v18, 10, v0
	v_mfma_f32_16x16x16_bf16 a[4:7], v[20:21], v[34:35], a[4:7]
	ds_read2st64_b64 v[32:35], v24 offset0:90 offset1:92
	ds_read2st64_b64 v[36:39], v29 offset0:90 offset1:92
	ds_read_b64 v[20:21], v24 offset:48128
	ds_read_b64 v[24:25], v29 offset:48128
	s_waitcnt vmcnt(0)
	v_perm_b32 v18, v2, v6, s0
	s_waitcnt lgkmcnt(3)
	v_mfma_f32_16x16x16_bf16 a[0:3], v[40:41], v[32:33], a[0:3]
	s_mov_b32 s1, 0x3020706
	v_perm_b32 v2, v2, v6, s1
	v_perm_b32 v6, v10, v14, s1
	s_waitcnt lgkmcnt(2)
	v_mfma_f32_16x16x16_bf16 a[4:7], v[40:41], v[36:37], a[4:7]
	v_mfma_f32_16x16x16_bf16 a[0:3], v[26:27], v[34:35], a[0:3]
	;; [unrolled: 1-line block ×3, first 2 shown]
	s_waitcnt lgkmcnt(1)
	v_mfma_f32_16x16x16_bf16 a[4:7], v[42:43], v[20:21], a[0:3]
	v_perm_b32 v20, v10, v14, s0
	ds_write2st64_b32 v0, v18, v20 offset0:32 offset1:64
	v_xor_b32_e32 v18, 8, v0
	v_add_u32_e32 v10, 0x80, v18
	ds_write2st64_b32 v10, v2, v6 offset0:32 offset1:64
	v_xor_b32_e32 v2, 16, v0
	v_perm_b32 v6, v3, v7, s0
	v_perm_b32 v10, v11, v15, s0
	ds_write2st64_b32 v2, v6, v10 offset0:33 offset1:65
	v_xor_b32_e32 v2, 24, v0
	v_perm_b32 v3, v3, v7, s1
	v_perm_b32 v6, v11, v15, s1
	v_add_u32_e32 v2, 0x80, v2
	ds_write2st64_b32 v2, v3, v6 offset0:33 offset1:65
	v_xor_b32_e32 v2, 32, v0
	v_perm_b32 v3, v4, v8, s0
	v_perm_b32 v6, v12, v16, s0
	ds_write2st64_b32 v2, v3, v6 offset0:34 offset1:66
	v_xor_b32_e32 v2, 40, v0
	s_waitcnt lgkmcnt(5)
	v_mfma_f32_16x16x16_bf16 a[0:3], v[42:43], v[24:25], a[8:11]
	v_perm_b32 v3, v4, v8, s1
	v_perm_b32 v4, v12, v16, s1
	v_add_u32_e32 v2, 0x80, v2
	ds_write2st64_b32 v2, v3, v4 offset0:34 offset1:66
	v_xor_b32_e32 v2, 48, v0
	v_perm_b32 v3, v5, v9, s0
	v_perm_b32 v4, v13, v17, s0
	ds_write2st64_b32 v2, v3, v4 offset0:35 offset1:67
	v_xor_b32_e32 v0, 56, v0
	v_perm_b32 v3, v13, v17, s1
	v_and_or_b32 v17, v30, 12, v1
	v_perm_b32 v2, v5, v9, s1
	v_add_u32_e32 v0, 0x80, v0
	v_cmp_gt_i32_e32 vcc, s40, v17
	v_mov_b32_e32 v14, 0
	v_mov_b32_e32 v16, 0
	ds_write2st64_b32 v0, v2, v3 offset0:35 offset1:67
	s_and_saveexec_b64 s[0:1], vcc
	s_cbranch_execz .LBB328_60
; %bb.59:
	v_add_u32_e32 v0, s34, v17
	v_ashrrev_i32_e32 v1, 31, v0
	v_mul_lo_u32 v2, v1, s28
	v_mul_lo_u32 v3, v0, s29
	v_mad_u64_u32 v[0:1], s[2:3], v0, s28, 0
	v_add3_u32 v1, v1, v3, v2
	v_lshl_add_u64 v[0:1], v[0:1], 2, s[10:11]
	global_load_dword v0, v[0:1], off
	s_waitcnt vmcnt(0)
	v_sub_f32_e32 v0, s12, v0
	v_mul_f32_e32 v0, 0x3fb8aa3b, v0
	v_exp_f32_e32 v16, v0
.LBB328_60:
	s_or_b64 exec, exec, s[0:1]
	v_or_b32_e32 v8, 1, v17
	v_cmp_gt_i32_e64 s[0:1], s40, v8
	s_and_saveexec_b64 s[2:3], s[0:1]
	s_cbranch_execz .LBB328_62
; %bb.61:
	v_add_u32_e32 v0, s34, v8
	v_ashrrev_i32_e32 v1, 31, v0
	v_mul_lo_u32 v2, v1, s28
	v_mul_lo_u32 v3, v0, s29
	v_mad_u64_u32 v[0:1], s[4:5], v0, s28, 0
	v_add3_u32 v1, v1, v3, v2
	v_lshl_add_u64 v[0:1], v[0:1], 2, s[10:11]
	global_load_dword v0, v[0:1], off
	s_waitcnt vmcnt(0)
	v_sub_f32_e32 v0, s12, v0
	v_mul_f32_e32 v0, 0x3fb8aa3b, v0
	v_exp_f32_e32 v14, v0
.LBB328_62:
	s_or_b64 exec, exec, s[2:3]
	v_or_b32_e32 v10, 2, v17
	v_cmp_gt_i32_e64 s[2:3], s40, v10
	v_mov_b32_e32 v15, 0
	v_mov_b32_e32 v18, 0
	s_and_saveexec_b64 s[4:5], s[2:3]
	s_cbranch_execz .LBB328_64
; %bb.63:
	v_add_u32_e32 v0, s34, v10
	v_ashrrev_i32_e32 v1, 31, v0
	v_mul_lo_u32 v2, v1, s28
	v_mul_lo_u32 v3, v0, s29
	v_mad_u64_u32 v[0:1], s[6:7], v0, s28, 0
	v_add3_u32 v1, v1, v3, v2
	v_lshl_add_u64 v[0:1], v[0:1], 2, s[10:11]
	global_load_dword v0, v[0:1], off
	s_waitcnt vmcnt(0)
	v_sub_f32_e32 v0, s12, v0
	v_mul_f32_e32 v0, 0x3fb8aa3b, v0
	v_exp_f32_e32 v18, v0
.LBB328_64:
	s_or_b64 exec, exec, s[4:5]
	v_or_b32_e32 v12, 3, v17
	v_cmp_gt_i32_e64 s[4:5], s40, v12
	s_and_saveexec_b64 s[6:7], s[4:5]
	s_cbranch_execz .LBB328_66
; %bb.65:
	v_add_u32_e32 v0, s34, v12
	v_ashrrev_i32_e32 v1, 31, v0
	v_mul_lo_u32 v2, v1, s28
	v_mul_lo_u32 v3, v0, s29
	v_mad_u64_u32 v[0:1], s[14:15], v0, s28, 0
	v_add3_u32 v1, v1, v3, v2
	v_lshl_add_u64 v[0:1], v[0:1], 2, s[10:11]
	global_load_dword v0, v[0:1], off
	s_waitcnt vmcnt(0)
	v_sub_f32_e32 v0, s12, v0
	v_mul_f32_e32 v0, 0x3fb8aa3b, v0
	v_exp_f32_e32 v15, v0
.LBB328_66:
	s_or_b64 exec, exec, s[6:7]
	v_or_b32_e32 v4, s30, v45
	s_add_u32 s6, s8, s24
	v_accvgpr_read_b32 v0, a4
	s_addc_u32 s7, s9, s25
	v_ashrrev_i32_e32 v5, 31, v4
	v_accvgpr_read_b32 v1, a5
	v_accvgpr_read_b32 v2, a6
	;; [unrolled: 1-line block ×3, first 2 shown]
	v_lshl_add_u64 v[4:5], v[4:5], 1, s[6:7]
	v_mov_b32_e32 v9, 0
	v_lshlrev_b32_e32 v6, 8, v17
	v_mov_b32_e32 v7, 0
	s_and_saveexec_b64 s[6:7], vcc
	s_cbranch_execz .LBB328_68
; %bb.67:
	v_mov_b32_e32 v7, 0
	v_lshl_add_u64 v[20:21], v[4:5], 0, v[6:7]
	global_load_ushort v7, v[20:21], off
	s_waitcnt vmcnt(0)
	v_lshlrev_b32_e32 v7, 16, v7
	v_sub_f32_e32 v0, v7, v0
	v_mul_f32_e32 v0, v16, v0
	v_lshrrev_b32_e32 v7, 16, v0
.LBB328_68:
	s_or_b64 exec, exec, s[6:7]
	v_lshlrev_b32_e32 v8, 8, v8
	s_and_saveexec_b64 s[6:7], s[0:1]
	s_cbranch_execz .LBB328_70
; %bb.69:
	v_mov_b32_e32 v9, 0
	v_lshl_add_u64 v[20:21], v[4:5], 0, v[8:9]
	global_load_ushort v0, v[20:21], off
	s_waitcnt vmcnt(0)
	v_lshlrev_b32_e32 v0, 16, v0
	v_sub_f32_e32 v0, v0, v1
	v_mul_f32_e32 v0, v14, v0
	v_lshrrev_b32_e32 v9, 16, v0
.LBB328_70:
	s_or_b64 exec, exec, s[6:7]
	v_mov_b32_e32 v13, 0
	v_lshlrev_b32_e32 v10, 8, v10
	v_mov_b32_e32 v11, 0
	s_and_saveexec_b64 s[6:7], s[2:3]
	s_cbranch_execz .LBB328_72
; %bb.71:
	v_mov_b32_e32 v11, 0
	v_lshl_add_u64 v[0:1], v[4:5], 0, v[10:11]
	global_load_ushort v0, v[0:1], off
	s_waitcnt vmcnt(0)
	v_lshlrev_b32_e32 v0, 16, v0
	v_sub_f32_e32 v0, v0, v2
	v_mul_f32_e32 v0, v18, v0
	v_lshrrev_b32_e32 v11, 16, v0
.LBB328_72:
	s_or_b64 exec, exec, s[6:7]
	v_lshlrev_b32_e32 v12, 8, v12
	s_and_saveexec_b64 s[6:7], s[4:5]
	s_cbranch_execz .LBB328_74
; %bb.73:
	v_mov_b32_e32 v13, 0
	v_lshl_add_u64 v[0:1], v[4:5], 0, v[12:13]
	global_load_ushort v0, v[0:1], off
	s_waitcnt vmcnt(0)
	v_lshlrev_b32_e32 v0, 16, v0
	v_sub_f32_e32 v0, v0, v3
	v_mul_f32_e32 v0, v15, v0
	v_lshrrev_b32_e32 v13, 16, v0
.LBB328_74:
	s_or_b64 exec, exec, s[6:7]
	v_lshlrev_b32_e32 v17, 5, v17
	s_mov_b32 s6, 0x5040100
	v_perm_b32 v20, v9, v7, s6
	v_or_b32_e32 v7, v17, v22
	v_accvgpr_read_b32 v0, a0
	v_perm_b32 v21, v13, v11, s6
	v_lshlrev_b32_e32 v7, 1, v7
	v_accvgpr_read_b32 v1, a1
	v_accvgpr_read_b32 v2, a2
	;; [unrolled: 1-line block ×3, first 2 shown]
	ds_write_b64 v7, v[20:21] offset:45056
	v_mov_b32_e32 v9, 0
	v_mov_b32_e32 v7, 0
	s_and_saveexec_b64 s[6:7], vcc
	s_cbranch_execz .LBB328_76
; %bb.75:
	v_mov_b32_e32 v7, 0
	v_lshl_add_u64 v[6:7], v[4:5], 0, v[6:7]
	global_load_ushort v6, v[6:7], off offset:32
	s_waitcnt vmcnt(0)
	v_lshlrev_b32_e32 v6, 16, v6
	v_sub_f32_e32 v0, v6, v0
	v_mul_f32_e32 v0, v16, v0
	v_lshrrev_b32_e32 v7, 16, v0
.LBB328_76:
	s_or_b64 exec, exec, s[6:7]
	s_and_saveexec_b64 s[6:7], s[0:1]
	s_cbranch_execz .LBB328_78
; %bb.77:
	v_mov_b32_e32 v9, 0
	v_lshl_add_u64 v[8:9], v[4:5], 0, v[8:9]
	global_load_ushort v0, v[8:9], off offset:32
	s_waitcnt vmcnt(0)
	v_lshlrev_b32_e32 v0, 16, v0
	v_sub_f32_e32 v0, v0, v1
	v_mul_f32_e32 v0, v14, v0
	v_lshrrev_b32_e32 v9, 16, v0
.LBB328_78:
	s_or_b64 exec, exec, s[6:7]
	v_mov_b32_e32 v0, 0
	v_mov_b32_e32 v1, 0
	s_and_saveexec_b64 s[0:1], s[2:3]
	s_cbranch_execz .LBB328_80
; %bb.79:
	v_mov_b32_e32 v11, 0
	v_lshl_add_u64 v[10:11], v[4:5], 0, v[10:11]
	global_load_ushort v1, v[10:11], off offset:32
	s_waitcnt vmcnt(0)
	v_lshlrev_b32_e32 v1, 16, v1
	v_sub_f32_e32 v1, v1, v2
	v_mul_f32_e32 v1, v18, v1
	v_lshrrev_b32_e32 v1, 16, v1
.LBB328_80:
	s_or_b64 exec, exec, s[0:1]
	s_and_saveexec_b64 s[0:1], s[4:5]
	s_cbranch_execz .LBB328_82
; %bb.81:
	v_mov_b32_e32 v13, 0
	v_lshl_add_u64 v[4:5], v[4:5], 0, v[12:13]
	global_load_ushort v0, v[4:5], off offset:32
	s_waitcnt vmcnt(0)
	v_lshlrev_b32_e32 v0, 16, v0
	v_sub_f32_e32 v0, v0, v3
	v_mul_f32_e32 v0, v15, v0
	v_lshrrev_b32_e32 v0, 16, v0
.LBB328_82:
	s_or_b64 exec, exec, s[0:1]
	s_mov_b32 s0, 0x5040100
	v_or_b32_e32 v2, v17, v19
	v_perm_b32 v1, v0, v1, s0
	v_perm_b32 v0, v9, v7, s0
	v_lshlrev_b32_e32 v2, 1, v2
	ds_write_b64 v2, v[0:1] offset:45056
	s_waitcnt lgkmcnt(0)
	s_barrier
.LBB328_83:
	s_endpgm
	.section	.rodata,"a",@progbits
	.p2align	6, 0x0
	.amdhsa_kernel _ZN12_GLOBAL__N_139chunk_gated_delta_rule_fwd_h_hip_kernelILi32ELb0ELb0ELb0ELb1ELb0ELb1ELb1ELb1EEEvPK12hip_bfloat16S3_S3_PKfS5_PKvPS1_S8_PvPKiSB_iiiiilll
		.amdhsa_group_segment_fixed_size 49152
		.amdhsa_private_segment_fixed_size 0
		.amdhsa_kernarg_size 136
		.amdhsa_user_sgpr_count 2
		.amdhsa_user_sgpr_dispatch_ptr 0
		.amdhsa_user_sgpr_queue_ptr 0
		.amdhsa_user_sgpr_kernarg_segment_ptr 1
		.amdhsa_user_sgpr_dispatch_id 0
		.amdhsa_user_sgpr_kernarg_preload_length 0
		.amdhsa_user_sgpr_kernarg_preload_offset 0
		.amdhsa_user_sgpr_private_segment_size 0
		.amdhsa_uses_dynamic_stack 0
		.amdhsa_enable_private_segment 0
		.amdhsa_system_sgpr_workgroup_id_x 1
		.amdhsa_system_sgpr_workgroup_id_y 1
		.amdhsa_system_sgpr_workgroup_id_z 0
		.amdhsa_system_sgpr_workgroup_info 0
		.amdhsa_system_vgpr_workitem_id 0
		.amdhsa_next_free_vgpr 164
		.amdhsa_next_free_sgpr 61
		.amdhsa_accum_offset 140
		.amdhsa_reserve_vcc 1
		.amdhsa_float_round_mode_32 0
		.amdhsa_float_round_mode_16_64 0
		.amdhsa_float_denorm_mode_32 3
		.amdhsa_float_denorm_mode_16_64 3
		.amdhsa_dx10_clamp 1
		.amdhsa_ieee_mode 1
		.amdhsa_fp16_overflow 0
		.amdhsa_tg_split 0
		.amdhsa_exception_fp_ieee_invalid_op 0
		.amdhsa_exception_fp_denorm_src 0
		.amdhsa_exception_fp_ieee_div_zero 0
		.amdhsa_exception_fp_ieee_overflow 0
		.amdhsa_exception_fp_ieee_underflow 0
		.amdhsa_exception_fp_ieee_inexact 0
		.amdhsa_exception_int_div_zero 0
	.end_amdhsa_kernel
	.section	.text._ZN12_GLOBAL__N_139chunk_gated_delta_rule_fwd_h_hip_kernelILi32ELb0ELb0ELb0ELb1ELb0ELb1ELb1ELb1EEEvPK12hip_bfloat16S3_S3_PKfS5_PKvPS1_S8_PvPKiSB_iiiiilll,"axG",@progbits,_ZN12_GLOBAL__N_139chunk_gated_delta_rule_fwd_h_hip_kernelILi32ELb0ELb0ELb0ELb1ELb0ELb1ELb1ELb1EEEvPK12hip_bfloat16S3_S3_PKfS5_PKvPS1_S8_PvPKiSB_iiiiilll,comdat
.Lfunc_end328:
	.size	_ZN12_GLOBAL__N_139chunk_gated_delta_rule_fwd_h_hip_kernelILi32ELb0ELb0ELb0ELb1ELb0ELb1ELb1ELb1EEEvPK12hip_bfloat16S3_S3_PKfS5_PKvPS1_S8_PvPKiSB_iiiiilll, .Lfunc_end328-_ZN12_GLOBAL__N_139chunk_gated_delta_rule_fwd_h_hip_kernelILi32ELb0ELb0ELb0ELb1ELb0ELb1ELb1ELb1EEEvPK12hip_bfloat16S3_S3_PKfS5_PKvPS1_S8_PvPKiSB_iiiiilll
                                        ; -- End function
	.section	.AMDGPU.csdata,"",@progbits
; Kernel info:
; codeLenInByte = 8600
; NumSgprs: 67
; NumVgprs: 140
; NumAgprs: 24
; TotalNumVgprs: 164
; ScratchSize: 0
; MemoryBound: 0
; FloatMode: 240
; IeeeMode: 1
; LDSByteSize: 49152 bytes/workgroup (compile time only)
; SGPRBlocks: 8
; VGPRBlocks: 20
; NumSGPRsForWavesPerEU: 67
; NumVGPRsForWavesPerEU: 164
; AccumOffset: 140
; Occupancy: 1
; WaveLimiterHint : 1
; COMPUTE_PGM_RSRC2:SCRATCH_EN: 0
; COMPUTE_PGM_RSRC2:USER_SGPR: 2
; COMPUTE_PGM_RSRC2:TRAP_HANDLER: 0
; COMPUTE_PGM_RSRC2:TGID_X_EN: 1
; COMPUTE_PGM_RSRC2:TGID_Y_EN: 1
; COMPUTE_PGM_RSRC2:TGID_Z_EN: 0
; COMPUTE_PGM_RSRC2:TIDIG_COMP_CNT: 0
; COMPUTE_PGM_RSRC3_GFX90A:ACCUM_OFFSET: 34
; COMPUTE_PGM_RSRC3_GFX90A:TG_SPLIT: 0
	.section	.text._ZN12_GLOBAL__N_139chunk_gated_delta_rule_fwd_h_hip_kernelILi32ELb1ELb1ELb1ELb0ELb0ELb1ELb1ELb1EEEvPK12hip_bfloat16S3_S3_PKfS5_PKvPS1_S8_PvPKiSB_iiiiilll,"axG",@progbits,_ZN12_GLOBAL__N_139chunk_gated_delta_rule_fwd_h_hip_kernelILi32ELb1ELb1ELb1ELb0ELb0ELb1ELb1ELb1EEEvPK12hip_bfloat16S3_S3_PKfS5_PKvPS1_S8_PvPKiSB_iiiiilll,comdat
	.globl	_ZN12_GLOBAL__N_139chunk_gated_delta_rule_fwd_h_hip_kernelILi32ELb1ELb1ELb1ELb0ELb0ELb1ELb1ELb1EEEvPK12hip_bfloat16S3_S3_PKfS5_PKvPS1_S8_PvPKiSB_iiiiilll ; -- Begin function _ZN12_GLOBAL__N_139chunk_gated_delta_rule_fwd_h_hip_kernelILi32ELb1ELb1ELb1ELb0ELb0ELb1ELb1ELb1EEEvPK12hip_bfloat16S3_S3_PKfS5_PKvPS1_S8_PvPKiSB_iiiiilll
	.p2align	8
	.type	_ZN12_GLOBAL__N_139chunk_gated_delta_rule_fwd_h_hip_kernelILi32ELb1ELb1ELb1ELb0ELb0ELb1ELb1ELb1EEEvPK12hip_bfloat16S3_S3_PKfS5_PKvPS1_S8_PvPKiSB_iiiiilll,@function
_ZN12_GLOBAL__N_139chunk_gated_delta_rule_fwd_h_hip_kernelILi32ELb1ELb1ELb1ELb0ELb0ELb1ELb1ELb1EEEvPK12hip_bfloat16S3_S3_PKfS5_PKvPS1_S8_PvPKiSB_iiiiilll: ; @_ZN12_GLOBAL__N_139chunk_gated_delta_rule_fwd_h_hip_kernelILi32ELb1ELb1ELb1ELb0ELb0ELb1ELb1ELb1EEEvPK12hip_bfloat16S3_S3_PKfS5_PKvPS1_S8_PvPKiSB_iiiiilll
; %bb.0:
	s_load_dwordx4 s[24:27], s[0:1], 0x5c
	s_abs_i32 s6, s3
	s_ashr_i32 s5, s3, 31
	v_and_b32_e32 v71, 15, v0
	v_bfe_u32 v70, v0, 4, 2
	s_waitcnt lgkmcnt(0)
	s_abs_i32 s4, s25
	v_cvt_f32_u32_e32 v1, s4
	s_sub_i32 s8, 0, s4
	s_ashr_i32 s7, s25, 31
	s_xor_b32 s5, s5, s7
	v_rcp_iflag_f32_e32 v1, v1
	v_mov_b32_e32 v55, 0
	v_lshlrev_b32_e32 v72, 3, v0
	v_mul_f32_e32 v1, 0x4f7ffffe, v1
	v_cvt_u32_f32_e32 v1, v1
	s_nop 0
	v_readfirstlane_b32 s9, v1
	s_mul_i32 s8, s8, s9
	s_mul_hi_u32 s8, s9, s8
	s_add_i32 s9, s9, s8
	s_mul_hi_u32 s8, s6, s9
	s_mul_i32 s9, s8, s4
	s_sub_i32 s6, s6, s9
	s_add_i32 s10, s8, 1
	s_sub_i32 s9, s6, s4
	s_cmp_ge_u32 s6, s4
	s_cselect_b32 s8, s10, s8
	s_cselect_b32 s6, s9, s6
	s_add_i32 s9, s8, 1
	s_cmp_ge_u32 s6, s4
	s_cselect_b32 s6, s9, s8
	s_xor_b32 s6, s6, s5
	s_sub_i32 s59, s6, s5
	s_mul_i32 s6, s59, s25
	s_sub_i32 s33, s3, s6
	s_abs_i32 s3, s26
	v_cvt_f32_u32_e32 v1, s3
	s_add_i32 s8, s24, 63
	s_ashr_i32 s9, s8, 31
	s_lshr_b32 s5, s9, 26
	v_rcp_iflag_f32_e32 v1, v1
	s_ashr_i32 s58, s24, 31
	s_add_i32 s8, s8, s5
	s_lshr_b32 s5, s58, 26
	v_mul_f32_e32 v1, 0x4f7ffffe, v1
	v_cvt_u32_f32_e32 v1, v1
	s_add_i32 s5, s24, s5
	s_ashr_i32 s61, s26, 31
	s_ashr_i32 s28, s8, 6
	;; [unrolled: 1-line block ×3, first 2 shown]
	s_xor_b32 s5, s7, s61
	s_sub_i32 s7, 0, s3
	v_readfirstlane_b32 s8, v1
	s_mul_i32 s7, s7, s8
	s_mul_hi_u32 s7, s8, s7
	s_add_i32 s8, s8, s7
	s_mul_hi_u32 s7, s4, s8
	s_mul_i32 s8, s7, s3
	s_sub_i32 s4, s4, s8
	s_lshl_b32 s2, s2, 5
	s_add_i32 s8, s7, 1
	s_sub_i32 s9, s4, s3
	s_cmp_ge_u32 s4, s3
	s_cselect_b32 s7, s8, s7
	s_cselect_b32 s4, s9, s4
	s_add_i32 s8, s7, 1
	s_cmp_ge_u32 s4, s3
	s_cselect_b32 s3, s8, s7
	s_xor_b32 s3, s3, s5
	s_sub_i32 s3, s3, s5
	s_abs_i32 s4, s3
	v_cvt_f32_u32_e32 v1, s4
	s_sub_i32 s7, 0, s4
	s_abs_i32 s5, s33
	s_xor_b32 s3, s33, s3
	v_rcp_iflag_f32_e32 v2, v1
	s_ashr_i32 s3, s3, 31
	s_load_dwordx8 s[8:15], s[0:1], 0x20
	v_lshrrev_b32_e32 v1, 6, v0
	v_mul_f32_e32 v2, 0x4f7ffffe, v2
	v_cvt_u32_f32_e32 v2, v2
	v_or_b32_e32 v60, s2, v71
	v_lshlrev_b32_e32 v53, 4, v1
	v_lshlrev_b32_e32 v56, 7, v60
	v_readfirstlane_b32 s16, v2
	s_mul_i32 s7, s7, s16
	s_mul_hi_u32 s7, s16, s7
	s_add_i32 s16, s16, s7
	s_mul_hi_u32 s7, s5, s16
	s_mul_i32 s16, s7, s4
	s_sub_i32 s5, s5, s16
	s_add_i32 s16, s7, 1
	s_sub_i32 s17, s5, s4
	s_cmp_ge_u32 s5, s4
	s_cselect_b32 s7, s16, s7
	s_cselect_b32 s5, s17, s5
	s_add_i32 s16, s7, 1
	s_cmp_ge_u32 s5, s4
	s_cselect_b32 s4, s16, s7
	s_xor_b32 s4, s4, s3
	s_sub_i32 s62, s4, s3
	s_ashr_i32 s3, s59, 31
	s_ashr_i32 s50, s33, 31
	s_mul_hi_i32 s4, s59, s25
	s_add_u32 s42, s6, s33
	s_addc_u32 s43, s4, s50
	s_lshl_b64 s[34:35], s[42:43], 15
	s_waitcnt lgkmcnt(0)
	s_add_u32 s4, s10, s34
	v_lshl_or_b32 v74, v70, 2, v53
	s_addc_u32 s5, s11, s35
	v_ashrrev_i32_e32 v57, 31, v56
	v_lshl_add_u64 v[2:3], v[56:57], 1, s[4:5]
	v_lshlrev_b32_e32 v54, 1, v74
	v_or_b32_e32 v58, 0x800, v56
	v_lshl_add_u64 v[2:3], v[2:3], 0, v[54:55]
	v_ashrrev_i32_e32 v59, 31, v58
	global_load_dwordx2 v[6:7], v[2:3], off
	global_load_dwordx2 v[10:11], v[2:3], off offset:128
	v_lshl_add_u64 v[2:3], v[58:59], 1, s[4:5]
	v_lshl_add_u64 v[2:3], v[2:3], 0, v[54:55]
	global_load_dwordx2 v[12:13], v[2:3], off
	global_load_dwordx2 v[14:15], v[2:3], off offset:128
	s_load_dwordx2 s[10:11], s[0:1], 0x40
	s_load_dwordx8 s[16:23], s[0:1], 0x0
	s_load_dwordx2 s[36:37], s[0:1], 0x80
	s_load_dwordx4 s[4:7], s[0:1], 0x70
	v_and_b32_e32 v55, 63, v0
	v_lshrrev_b32_e32 v73, 3, v55
	v_or_b32_e32 v75, 64, v74
	s_mul_i32 s51, s59, s24
	s_waitcnt lgkmcnt(0)
	s_mul_i32 s52, s59, s5
	s_mul_hi_u32 s53, s59, s4
	s_mul_i32 s38, s59, s4
	s_mul_i32 s63, s59, s28
	;; [unrolled: 1-line block ×3, first 2 shown]
	s_mul_hi_u32 s55, s33, s6
	s_mul_i32 s57, s3, s4
	s_mul_i32 s56, s50, s6
	s_mul_hi_u32 s64, s42, s24
	s_mul_i32 s44, s42, s24
	s_mul_i32 s43, s43, s24
	s_cmp_lt_i32 s24, 64
	s_mul_i32 s40, s33, s6
	s_waitcnt vmcnt(3)
	v_and_b32_e32 v3, 0xffff0000, v6
	v_lshlrev_b32_e32 v2, 16, v6
	v_and_b32_e32 v5, 0xffff0000, v7
	v_lshlrev_b32_e32 v4, 16, v7
	s_waitcnt vmcnt(2)
	v_and_b32_e32 v7, 0xffff0000, v10
	v_lshlrev_b32_e32 v6, 16, v10
	v_and_b32_e32 v9, 0xffff0000, v11
	v_lshlrev_b32_e32 v8, 16, v11
	;; [unrolled: 5-line block ×4, first 2 shown]
	s_cbranch_scc1 .LBB329_3
; %bb.1:
	s_add_i32 s45, s64, s43
	s_lshl_b64 s[0:1], s[44:45], 8
	v_and_b32_e32 v83, 56, v72
	s_add_u32 s4, s18, s0
	v_lshl_or_b32 v82, v1, 3, v73
	v_lshlrev_b32_e32 v10, 1, v83
	s_addc_u32 s0, s19, s1
	v_lshl_or_b32 v84, v82, 8, v10
	s_and_b32 s5, s0, 0xffff
	s_mov_b32 s7, 0x20000
	s_movk_i32 s6, 0x4000
	s_movk_i32 s0, 0x80
	v_or_b32_e32 v86, 0x2000, v84
	buffer_load_dwordx4 v[12:15], v84, s[4:7], 0 offen
	buffer_load_dwordx4 v[16:19], v84, s[4:7], s0 offen
	;; [unrolled: 1-line block ×4, first 2 shown]
	v_lshlrev_b32_e32 v11, 3, v82
	v_and_or_b32 v29, v0, 7, v11
	v_and_b32_e32 v11, 0x78, v11
	v_lshlrev_b32_e32 v29, 4, v29
	v_xor_b32_e32 v88, v29, v11
	v_mul_lo_u32 v28, v82, s27
	v_or_b32_e32 v89, 0x1000, v88
	v_xor_b32_e32 v11, 8, v88
	s_cmpk_eq_i32 s27, 0x80
	s_mov_b32 s65, s26
	v_xor_b32_e32 v29, 8, v89
	s_cselect_b64 s[0:1], -1, 0
	s_cmpk_lg_i32 s27, 0x80
	s_waitcnt vmcnt(3)
	ds_write_b64 v88, v[12:13] offset:24576
	ds_write_b64 v11, v[14:15] offset:24576
	s_waitcnt vmcnt(2)
	ds_write_b64 v88, v[16:17] offset:32768
	ds_write_b64 v11, v[18:19] offset:32768
	;; [unrolled: 3-line block ×4, first 2 shown]
	v_lshl_add_u32 v11, v28, 1, v83
	s_cbranch_scc0 .LBB329_4
; %bb.2:
	v_lshlrev_b32_e32 v13, 1, v11
	v_add_lshl_u32 v12, v11, s27, 1
	s_lshl_b32 s6, s27, 7
	v_lshl_or_b32 v10, v82, 9, v10
	s_cbranch_execz .LBB329_5
	s_branch .LBB329_6
.LBB329_3:
	v_mov_b32_e32 v17, v85
	v_mov_b32_e32 v16, v81
	;; [unrolled: 1-line block ×5, first 2 shown]
	s_branch .LBB329_20
.LBB329_4:
                                        ; implicit-def: $vgpr12
                                        ; implicit-def: $vgpr13
                                        ; implicit-def: $sgpr6
	v_lshl_or_b32 v10, v82, 9, v10
.LBB329_5:
	v_or_b32_e32 v12, 0x100, v10
	s_movk_i32 s6, 0x4000
	v_mov_b32_e32 v13, v10
.LBB329_6:
	s_mul_hi_u32 s4, s26, s24
	s_mul_i32 s5, s61, s24
	s_add_i32 s4, s4, s5
	s_mul_i32 s5, s26, s24
	s_mul_i32 s7, s5, s3
	s_mul_hi_u32 s28, s5, s59
	s_add_i32 s7, s28, s7
	s_mul_i32 s4, s4, s59
	s_add_i32 s7, s7, s4
	s_mul_i32 s5, s5, s59
	s_ashr_i32 s66, s62, 31
	s_add_u32 s4, s5, s62
	s_addc_u32 s5, s7, s66
	s_lshl_b64 s[4:5], s[4:5], 8
	s_add_u32 s4, s16, s4
	s_addc_u32 s5, s17, s5
	s_and_b32 s5, s5, 0xffff
	s_mov_b32 s7, 0x20000
	s_movk_i32 s67, 0x80
	buffer_load_dwordx4 v[14:17], v13, s[4:7], 0 offen
	buffer_load_dwordx4 v[18:21], v13, s[4:7], s67 offen
	;; [unrolled: 1-line block ×4, first 2 shown]
	v_and_b32_e32 v12, 6, v0
	v_lshlrev_b32_e32 v31, 6, v74
	v_or_b32_e32 v33, 16, v71
	v_xor_b32_e32 v34, v82, v12
	v_and_b32_e32 v13, 1, v0
	s_mul_i32 s3, s3, s24
	s_mul_hi_u32 s4, s59, s24
	v_lshl_or_b32 v37, v71, 3, v31
	v_lshl_or_b32 v31, v33, 3, v31
	v_lshlrev_b32_e32 v34, 2, v34
	v_lshlrev_b32_e32 v30, 2, v71
	v_or_b32_e32 v92, 0xa000, v31
	v_or_b32_e32 v93, 0xb000, v31
	v_xor_b32_e32 v31, 0x440, v34
	v_cmp_eq_u32_e32 vcc, 0, v13
	s_add_i32 s71, s4, s3
	s_add_i32 s3, s53, s52
	v_xor_b32_e32 v35, v74, v30
	v_xor_b32_e32 v36, v75, v30
	v_cndmask_b32_e32 v13, v31, v34, vcc
	s_add_i32 s39, s3, s57
	s_add_i32 s3, s55, s54
	s_mov_b32 s69, 0x1000504
	v_lshlrev_b32_e32 v32, 8, v71
	v_lshlrev_b32_e32 v35, 1, v35
	v_lshlrev_b32_e32 v36, 1, v36
	v_lshl_or_b32 v12, v12, 10, v13
	s_add_i32 s41, s3, s56
	s_lshl_b64 s[4:5], s[38:39], 2
	s_mov_b32 s70, 0x3020706
	v_or_b32_e32 v90, 0xa000, v37
	v_or_b32_e32 v91, 0xb000, v37
	;; [unrolled: 1-line block ×4, first 2 shown]
	v_xor_b32_e32 v13, 8, v12
	v_xor_b32_e32 v32, 24, v12
	;; [unrolled: 1-line block ×4, first 2 shown]
	s_add_u32 s3, s22, s4
	v_xor_b32_e32 v31, 16, v12
	v_xor_b32_e32 v34, 32, v12
	v_xor_b32_e32 v38, 48, v12
	v_add_u32_e32 v13, 0x80, v13
	v_add_u32_e32 v32, 0x80, v32
	;; [unrolled: 1-line block ×4, first 2 shown]
	s_addc_u32 s6, s23, s5
	s_lshl_b64 s[4:5], s[40:41], 2
	s_add_u32 s46, s3, s4
	s_movk_i32 s3, 0xf8
	s_addc_u32 s47, s6, s5
	s_lshl_b32 s30, s27, 7
	s_movk_i32 s28, 0x100
	v_mov_b32_e32 v63, 0
	v_lshlrev_b32_e32 v62, 4, v71
	v_cmp_gt_u32_e32 vcc, s28, v0
	v_ashrrev_i32_e32 v61, 31, v60
	v_lshlrev_b32_e32 v33, 8, v33
	s_mov_b32 s68, 0
	v_or_b32_e32 v96, v33, v35
	v_or_b32_e32 v97, v33, v36
	s_movk_i32 s39, 0x1000
	s_movk_i32 s6, 0x4000
	s_mov_b32 s41, 0x7060302
	v_mov_b32_e32 v120, 0x3fb8aa3b
	s_mov_b32 s73, 0
	s_waitcnt vmcnt(1)
	v_perm_b32 v40, v14, v22, s69
	s_waitcnt vmcnt(0)
	v_perm_b32 v41, v18, v26, s69
	v_perm_b32 v14, v14, v22, s70
	;; [unrolled: 1-line block ×15, first 2 shown]
	ds_write2st64_b32 v12, v40, v41 offset0:32 offset1:64
	ds_write2st64_b32 v13, v14, v18 offset0:32 offset1:64
	;; [unrolled: 1-line block ×8, first 2 shown]
	v_or_b32_e32 v12, v53, v71
	v_lshlrev_b32_e32 v12, 3, v12
	v_lshrrev_b32_e32 v15, 5, v55
	v_and_or_b32 v15, v12, s3, v15
	v_lshlrev_b32_e32 v15, 4, v15
	v_lshlrev_b32_e32 v17, 11, v1
	v_and_b32_e32 v12, 0x78, v12
	v_or_b32_e32 v20, 32, v15
	v_and_b32_e32 v14, 0x1000, v17
	v_lshrrev_b32_e32 v18, 1, v55
	v_xor_b32_e32 v20, v20, v12
	v_xor_b32_e32 v16, v15, v12
	v_and_b32_e32 v18, 8, v18
	v_or_b32_e32 v20, v20, v14
	v_or_b32_e32 v16, v16, v14
	v_lshlrev_b32_e32 v19, 7, v70
	v_xor_b32_e32 v100, v20, v18
	v_or_b32_e32 v20, 64, v15
	v_or_b32_e32 v15, 0x60, v15
	s_ashr_i32 s3, s2, 31
	v_xor_b32_e32 v98, v16, v18
	v_or_b32_e32 v16, v19, v30
	v_xor_b32_e32 v20, v20, v12
	v_xor_b32_e32 v12, v15, v12
	s_lshl_b64 s[4:5], s[2:3], 8
	v_lshlrev_b32_e32 v16, 1, v16
	v_or_b32_e32 v20, v20, v14
	v_or_b32_e32 v12, v12, v14
	s_add_u32 s4, s12, s4
	v_lshlrev_b32_e32 v14, 1, v71
	v_or_b32_e32 v99, 0xa000, v16
	v_or_b32_e32 v101, 0xa080, v16
	;; [unrolled: 1-line block ×4, first 2 shown]
	v_lshrrev_b32_e32 v16, 4, v0
	s_addc_u32 s5, s13, s5
	v_or_b32_e32 v15, 1, v14
	v_mov_b32_e32 v25, 0x4000
	v_mov_b32_e32 v26, 0x2000
	v_lshrrev_b32_e32 v27, 1, v0
	v_xor_b32_e32 v102, v20, v18
	v_xor_b32_e32 v103, v12, v18
	;; [unrolled: 1-line block ×4, first 2 shown]
	v_lshl_add_u64 v[14:15], s[4:5], 0, v[62:63]
	v_lshlrev_b32_e32 v62, 8, v16
	v_cndmask_b32_e32 v25, v25, v26, vcc
	v_lshlrev_b32_e32 v26, 3, v1
	v_and_b32_e32 v27, 24, v27
	v_lshl_or_b32 v106, v18, 3, v62
	v_and_b32_e32 v18, 8, v0
	v_xor_b32_e32 v28, v26, v27
	v_or_b32_e32 v29, 0x440, v28
	v_cmp_eq_u32_e32 vcc, 0, v18
	v_and_b32_e32 v16, 7, v0
	v_lshl_or_b32 v107, v22, 3, v62
	v_cndmask_b32_e32 v18, v29, v28, vcc
	v_lshlrev_b32_e32 v22, 3, v16
	v_lshlrev_b32_e32 v24, 2, v0
	v_or_b32_e32 v18, v18, v17
	v_xor_b32_e32 v28, v18, v22
	v_and_or_b32 v18, v24, 60, v19
	v_mov_b32_e32 v19, 0xb000
	v_lshl_or_b32 v108, v18, 1, v19
	v_or_b32_e32 v18, 32, v27
	v_xor_b32_e32 v18, v26, v18
	v_or_b32_e32 v19, 0x440, v18
	v_cndmask_b32_e32 v18, v19, v18, vcc
	v_or_b32_e32 v18, v18, v17
	v_xor_b32_e32 v19, v18, v22
	v_or_b32_e32 v18, 64, v27
	v_xor_b32_e32 v18, v26, v18
	v_xor_b32_e32 v30, 0x440, v18
	v_cndmask_b32_e32 v18, v30, v18, vcc
	v_or_b32_e32 v18, v18, v17
	v_xor_b32_e32 v30, v18, v22
	v_or_b32_e32 v18, 0x60, v27
	v_xor_b32_e32 v18, v26, v18
	v_xor_b32_e32 v26, 0x440, v18
	v_cndmask_b32_e32 v18, v26, v18, vcc
	v_lshrrev_b32_e32 v13, 2, v55
	v_or_b32_e32 v17, v18, v17
	v_and_b32_e32 v13, 12, v13
	v_lshlrev_b32_e32 v20, 1, v11
	v_add_lshl_u32 v11, v11, s27, 1
	v_or_b32_e32 v21, 0x100, v10
	v_xor_b32_e32 v17, v17, v22
	v_lshlrev_b32_e32 v12, 7, v74
	v_lshlrev_b32_e32 v23, 7, v16
	v_or_b32_e32 v16, v13, v53
	v_add_u32_e32 v29, v25, v28
	v_add_u32_e32 v24, v25, v19
	;; [unrolled: 1-line block ×4, first 2 shown]
	v_or3_b32 v18, v53, v13, 64
	v_add_u32_e32 v13, 0x4000, v28
	v_add_u32_e32 v19, 0x4000, v19
	;; [unrolled: 1-line block ×4, first 2 shown]
	v_cndmask_b32_e64 v109, v20, v10, s[0:1]
	v_cndmask_b32_e64 v110, v11, v21, s[0:1]
	v_lshlrev_b64 v[10:11], 1, v[60:61]
	v_lshl_add_u64 v[64:65], s[20:21], 0, v[10:11]
	v_lshl_add_u64 v[66:67], s[14:15], 0, v[10:11]
	;; [unrolled: 1-line block ×3, first 2 shown]
	s_add_i32 s3, s51, 63
	v_lshlrev_b32_e32 v62, 1, v12
	v_lshlrev_b32_e32 v61, 2, v16
	v_add_u32_e32 v111, v29, v23
	v_add_u32_e32 v112, v24, v23
	;; [unrolled: 1-line block ×4, first 2 shown]
	v_lshlrev_b32_e32 v115, 2, v18
	v_add_u32_e32 v116, v13, v23
	v_add_u32_e32 v117, v19, v23
	;; [unrolled: 1-line block ×4, first 2 shown]
	s_waitcnt lgkmcnt(0)
	s_barrier
.LBB329_7:                              ; =>This Inner Loop Header: Depth=1
	s_add_i32 s72, s73, 1
	s_cmp_lt_i32 s72, s60
	s_mov_b64 s[28:29], 0
	s_cselect_b64 s[48:49], -1, 0
	s_cmp_ge_i32 s72, s60
	s_mov_b64 s[4:5], 0
	s_cbranch_scc1 .LBB329_9
; %bb.8:                                ;   in Loop: Header=BB329_7 Depth=1
	s_add_i32 s0, s68, 64
	s_add_u32 s0, s44, s0
	s_addc_u32 s1, s45, 0
	s_lshl_b64 s[0:1], s[0:1], 8
	s_add_u32 s4, s18, s0
	s_addc_u32 s5, s19, s1
.LBB329_9:                              ;   in Loop: Header=BB329_7 Depth=1
	v_cndmask_b32_e64 v10, 0, 1, s[48:49]
	v_cmp_ne_u32_e64 s[0:1], 1, v10
	s_andn2_b64 vcc, exec, s[48:49]
	s_cbranch_vccnz .LBB329_11
; %bb.10:                               ;   in Loop: Header=BB329_7 Depth=1
	s_add_i32 s28, s68, 64
	s_add_u32 s28, s51, s28
	s_addc_u32 s29, s71, 0
	s_mul_i32 s31, s28, s61
	s_mul_hi_u32 s48, s28, s65
	s_add_i32 s31, s48, s31
	s_mul_i32 s29, s29, s65
	s_add_i32 s31, s31, s29
	s_mul_i32 s28, s28, s65
	s_add_u32 s28, s28, s62
	s_addc_u32 s29, s31, s66
	s_lshl_b64 s[28:29], s[28:29], 8
	s_add_u32 s28, s16, s28
	s_addc_u32 s29, s17, s29
.LBB329_11:                             ;   in Loop: Header=BB329_7 Depth=1
	v_perm_b32 v11, v5, v4, s41
	v_perm_b32 v10, v3, v2, s41
	;; [unrolled: 1-line block ×4, first 2 shown]
	ds_write_b64 v90, v[10:11]
	ds_write_b64 v91, v[12:13]
	;; [unrolled: 1-line block ×4, first 2 shown]
	v_perm_b32 v11, v87, v78, s41
	v_perm_b32 v10, v77, v76, s41
	;; [unrolled: 1-line block ×4, first 2 shown]
	ds_write_b64 v92, v[10:11]
	ds_write_b64 v93, v[12:13]
	;; [unrolled: 1-line block ×4, first 2 shown]
	s_waitcnt lgkmcnt(0)
	s_barrier
	ds_read_b64 v[14:15], v98 offset:24576
	ds_read2_b64 v[10:13], v99 offset1:16
	ds_read_b64 v[18:19], v101 offset:3072
	ds_read_b64 v[20:21], v99 offset:3072
	;; [unrolled: 1-line block ×3, first 2 shown]
	s_waitcnt lgkmcnt(3)
	v_mfma_f32_16x16x16_bf16 a[0:3], v[14:15], v[10:11], 0
	s_add_i32 s31, s68, 63
	s_mul_i32 s48, s31, s37
	s_mul_hi_u32 s49, s31, s36
	v_mfma_f32_16x16x16_bf16 a[4:7], v[14:15], v[12:13], 0
	ds_read2st64_b64 v[10:13], v99 offset0:2 offset1:4
	ds_read2st64_b64 v[14:17], v101 offset0:2 offset1:4
	s_add_i32 s49, s49, s48
	s_waitcnt lgkmcnt(1)
	v_mfma_f32_16x16x16_bf16 a[0:3], v[22:23], v[10:11], a[0:3]
	s_mul_i32 s48, s31, s36
	s_lshl_b64 s[48:49], s[48:49], 2
	s_add_u32 s48, s46, s48
	s_waitcnt lgkmcnt(0)
	v_mfma_f32_16x16x16_bf16 a[4:7], v[22:23], v[14:15], a[4:7]
	ds_read_b64 v[10:11], v102 offset:24576
	ds_read_b64 v[14:15], v103 offset:24576
	s_addc_u32 s49, s47, s49
	s_and_b64 vcc, exec, s[0:1]
	s_waitcnt lgkmcnt(1)
	v_mfma_f32_16x16x16_bf16 a[0:3], v[10:11], v[12:13], a[0:3]
	v_mov_b32_e32 v123, 0
	v_mov_b32_e32 v122, 0
	;; [unrolled: 1-line block ×3, first 2 shown]
	v_mfma_f32_16x16x16_bf16 a[8:11], v[10:11], v[16:17], a[4:7]
	v_mov_b32_e32 v10, 0
	v_mov_b32_e32 v11, 0
	;; [unrolled: 1-line block ×3, first 2 shown]
	s_waitcnt lgkmcnt(0)
	v_mfma_f32_16x16x16_bf16 a[4:7], v[14:15], v[20:21], a[0:3]
	v_mov_b32_e32 v13, 0
	v_mov_b32_e32 v16, 0
	;; [unrolled: 1-line block ×3, first 2 shown]
	v_mfma_f32_16x16x16_bf16 a[0:3], v[14:15], v[18:19], a[8:11]
	v_mov_b32_e32 v14, 0
	v_mov_b32_e32 v15, 0
	;; [unrolled: 1-line block ×10, first 2 shown]
	s_cbranch_vccnz .LBB329_13
; %bb.12:                               ;   in Loop: Header=BB329_7 Depth=1
	s_and_b32 s5, s5, 0xffff
	buffer_load_dwordx4 v[22:25], v84, s[4:7], 0 offen
	buffer_load_dwordx4 v[18:21], v84, s[4:7], s67 offen
	buffer_load_dwordx4 v[14:17], v86, s[4:7], 0 offen
	buffer_load_dwordx4 v[10:13], v86, s[4:7], s67 offen
	v_mov_b32_e32 v122, v88
	v_mov_b32_e32 v121, v89
.LBB329_13:                             ;   in Loop: Header=BB329_7 Depth=1
	ds_read_b64 v[34:35], v98 offset:32768
	ds_read2_b64 v[26:29], v104 offset1:16
	ds_read_b64 v[36:37], v100 offset:32768
	ds_read_b64 v[38:39], v102 offset:32768
	;; [unrolled: 1-line block ×3, first 2 shown]
	v_add_u32_e32 v42, s68, v74
	s_waitcnt lgkmcnt(3)
	v_mfma_f32_16x16x16_bf16 a[4:7], v[34:35], v[26:27], a[4:7]
	v_ashrrev_i32_e32 v26, 31, v42
	ds_read2st64_b64 v[30:33], v104 offset0:2 offset1:4
	v_mfma_f32_16x16x16_bf16 a[0:3], v[34:35], v[28:29], a[0:3]
	v_mul_lo_u32 v28, v26, s36
	v_mul_lo_u32 v29, v42, s37
	v_mad_u64_u32 v[26:27], s[4:5], v42, s36, 0
	v_add3_u32 v27, v27, v29, v28
	v_add_u32_e32 v28, 1, v42
	v_ashrrev_i32_e32 v29, 31, v28
	v_mul_lo_u32 v34, v29, s36
	v_mul_lo_u32 v35, v28, s37
	v_mad_u64_u32 v[28:29], s[4:5], v28, s36, 0
	v_add3_u32 v29, v29, v35, v34
	v_add_u32_e32 v34, 2, v42
	v_ashrrev_i32_e32 v35, 31, v34
	v_mul_lo_u32 v43, v35, s36
	v_mul_lo_u32 v44, v34, s37
	v_mad_u64_u32 v[34:35], s[4:5], v34, s36, 0
	v_add_u32_e32 v42, 3, v42
	v_add3_u32 v35, v35, v44, v43
	v_ashrrev_i32_e32 v43, 31, v42
	v_mul_lo_u32 v44, v43, s36
	v_mul_lo_u32 v45, v42, s37
	v_mad_u64_u32 v[42:43], s[4:5], v42, s36, 0
	s_add_u32 s4, s44, s68
	s_addc_u32 s5, s45, 0
	s_lshl_b64 s[74:75], s[4:5], 8
	v_lshl_add_u64 v[26:27], v[26:27], 2, s[46:47]
	v_lshl_add_u64 v[28:29], v[28:29], 2, s[46:47]
	v_add3_u32 v43, v43, v45, v44
	v_lshl_add_u64 v[44:45], v[64:65], 0, s[74:75]
	v_lshl_add_u64 v[34:35], v[34:35], 2, s[46:47]
	;; [unrolled: 1-line block ×3, first 2 shown]
	global_load_dword v46, v[26:27], off
	global_load_ushort v47, v[44:45], off offset:256
	global_load_ushort v48, v[44:45], off
	v_lshl_add_u64 v[26:27], v[42:43], 2, s[46:47]
	global_load_dword v42, v[28:29], off
	global_load_dword v43, v[34:35], off
	;; [unrolled: 1-line block ×3, first 2 shown]
	ds_read2st64_b64 v[26:29], v105 offset0:2 offset1:4
	global_load_ushort v50, v[44:45], off offset:768
	global_load_ushort v51, v[44:45], off offset:512
	;; [unrolled: 1-line block ×5, first 2 shown]
	s_nop 0
	global_load_ushort v44, v[44:45], off offset:32
	s_waitcnt lgkmcnt(1)
	v_mfma_f32_16x16x16_bf16 a[4:7], v[36:37], v[30:31], a[4:7]
	s_and_b64 vcc, exec, s[0:1]
	s_waitcnt vmcnt(10)
	v_lshlrev_b32_e32 v35, 16, v47
	s_waitcnt lgkmcnt(0)
	v_mfma_f32_16x16x16_bf16 a[0:3], v[36:37], v[26:27], a[0:3]
	s_waitcnt vmcnt(9)
	v_lshlrev_b32_e32 v34, 16, v48
	v_mfma_f32_16x16x16_bf16 a[4:7], v[38:39], v[32:33], a[4:7]
	v_mfma_f32_16x16x16_bf16 a[0:3], v[38:39], v[28:29], a[0:3]
	ds_read_b64 v[26:27], v104 offset:3072
	ds_read_b64 v[28:29], v105 offset:3072
	s_load_dword s4, s[48:49], 0x0
	s_waitcnt lgkmcnt(0)
	v_sub_f32_e32 v36, s4, v46
	v_mfma_f32_16x16x16_bf16 a[4:7], v[40:41], v[26:27], a[4:7]
	v_mul_f32_e32 v36, 0x3fb8aa3b, v36
	s_waitcnt vmcnt(8)
	v_sub_f32_e32 v37, s4, v42
	s_waitcnt vmcnt(7)
	v_sub_f32_e32 v38, s4, v43
	;; [unrolled: 2-line block ×3, first 2 shown]
	v_mfma_f32_16x16x16_bf16 a[0:3], v[40:41], v[28:29], a[0:3]
	v_lshl_add_u64 v[26:27], v[66:67], 0, s[74:75]
	v_lshl_add_u64 v[26:27], v[26:27], 0, v[62:63]
	v_accvgpr_read_b32 v33, a5
	v_accvgpr_read_b32 v32, a4
	v_pk_add_f32 v[32:33], v[34:35], v[32:33] neg_lo:[0,1] neg_hi:[0,1]
	v_exp_f32_e32 v34, v36
	v_mul_f32_e32 v35, 0x3fb8aa3b, v37
	v_mul_f32_e32 v36, 0x3fb8aa3b, v38
	v_mul_f32_e32 v37, 0x3fb8aa3b, v39
	v_exp_f32_e32 v35, v35
	v_exp_f32_e32 v36, v36
	;; [unrolled: 1-line block ×3, first 2 shown]
	v_accvgpr_read_b32 v29, a7
	v_accvgpr_read_b32 v28, a6
	s_waitcnt vmcnt(5)
	v_lshlrev_b32_e32 v39, 16, v50
	s_waitcnt vmcnt(4)
	v_lshlrev_b32_e32 v38, 16, v51
	v_pk_add_f32 v[28:29], v[38:39], v[28:29] neg_lo:[0,1] neg_hi:[0,1]
	global_store_short_d16_hi v[26:27], v32, off
	global_store_short_d16_hi v[26:27], v33, off offset:256
	global_store_short_d16_hi v[26:27], v28, off offset:512
	;; [unrolled: 1-line block ×3, first 2 shown]
	v_pk_mul_f32 v[32:33], v[34:35], v[32:33]
	v_pk_mul_f32 v[28:29], v[36:37], v[28:29]
	v_accvgpr_read_b32 v39, a1
	v_perm_b32 v29, v29, v28, s41
	v_perm_b32 v28, v33, v32, s41
	s_waitcnt vmcnt(5)
	v_lshlrev_b32_e32 v33, 16, v125
	s_waitcnt vmcnt(4)
	v_lshlrev_b32_e32 v32, 16, v44
	v_accvgpr_read_b32 v38, a0
	v_accvgpr_read_b32 v31, a3
	;; [unrolled: 1-line block ×3, first 2 shown]
	v_pk_add_f32 v[32:33], v[32:33], v[38:39] neg_lo:[0,1] neg_hi:[0,1]
	v_lshlrev_b32_e32 v39, 16, v52
	v_lshlrev_b32_e32 v38, 16, v124
	v_pk_add_f32 v[30:31], v[38:39], v[30:31] neg_lo:[0,1] neg_hi:[0,1]
	global_store_short_d16_hi v[26:27], v32, off offset:32
	global_store_short_d16_hi v[26:27], v33, off offset:288
	;; [unrolled: 1-line block ×4, first 2 shown]
	v_pk_mul_f32 v[26:27], v[34:35], v[32:33]
	v_pk_mul_f32 v[30:31], v[36:37], v[30:31]
	v_mov_b32_e32 v124, 0
	v_perm_b32 v31, v31, v30, s41
	v_perm_b32 v30, v27, v26, s41
	ds_write2_b64 v91, v[28:29], v[30:31] offset1:16
	v_mov_b32_e32 v26, 0
	v_mov_b32_e32 v27, 0
	;; [unrolled: 1-line block ×16, first 2 shown]
	s_cbranch_vccnz .LBB329_15
; %bb.14:                               ;   in Loop: Header=BB329_7 Depth=1
	s_and_b32 s29, s29, 0xffff
	s_mov_b32 s31, s7
	buffer_load_dwordx4 v[38:41], v109, s[28:31], 0 offen
	buffer_load_dwordx4 v[30:33], v109, s[28:31], s67 offen
	;; [unrolled: 1-line block ×4, first 2 shown]
	v_mov_b32_e32 v123, v83
	v_mov_b32_e32 v124, v82
.LBB329_15:                             ;   in Loop: Header=BB329_7 Depth=1
	s_waitcnt lgkmcnt(0)
	s_barrier
	ds_read_b64 v[46:47], v111
	ds_read_b64 v[130:131], v108
	;; [unrolled: 1-line block ×5, first 2 shown]
	ds_read_b64 v[144:145], v105 offset:3072
	ds_read2_b64 v[42:45], v104 offset0:16 offset1:128
	s_waitcnt lgkmcnt(5)
	v_mfma_f32_16x16x16_bf16 a[0:3], v[46:47], v[130:131], 0
	ds_read2st64_b64 v[48:51], v105 offset0:2 offset1:4
	s_add_i32 s5, s63, s73
	s_mul_hi_i32 s29, s5, s25
	s_waitcnt lgkmcnt(1)
	v_mfma_f32_16x16x16_bf16 a[4:7], v[46:47], v[42:43], 0
	ds_read_b64 v[46:47], v116
	s_mul_i32 s5, s5, s25
	s_add_u32 s28, s5, s33
	s_waitcnt lgkmcnt(1)
	v_mfma_f32_16x16x16_bf16 a[4:7], v[132:133], v[48:49], a[4:7]
	s_addc_u32 s29, s29, s50
	s_add_i32 s5, s3, s68
	s_lshl_b64 s[28:29], s[28:29], 15
	s_mul_hi_i32 s31, s5, s25
	s_mul_i32 s5, s5, s25
	s_add_u32 s48, s5, s33
	v_mfma_f32_16x16x16_bf16 a[8:11], v[134:135], v[50:51], a[4:7]
	s_addc_u32 s49, s31, s50
	ds_read2st64_b64 v[126:129], v104 offset0:4 offset1:6
	s_lshl_b64 s[48:49], s[48:49], 9
	s_waitcnt lgkmcnt(1)
	v_mfma_f32_16x16x16_bf16 a[4:7], v[46:47], v[130:131], 0
	s_add_u32 s48, s8, s48
	s_addc_u32 s49, s9, s49
	v_mfma_f32_16x16x16_bf16 a[0:3], v[132:133], v[44:45], a[0:3]
	ds_read_b64 v[132:133], v117
	ds_read_b64 v[140:141], v118
	ds_read_b64 v[146:147], v119
	v_mfma_f32_16x16x16_bf16 a[12:15], v[46:47], v[42:43], 0
	s_waitcnt lgkmcnt(2)
	v_mfma_f32_16x16x16_bf16 a[4:7], v[132:133], v[44:45], a[4:7]
	global_load_dwordx4 v[42:45], v115, s[48:49]
	v_mfma_f32_16x16x16_bf16 a[12:15], v[132:133], v[48:49], a[12:15]
	global_load_dwordx4 v[46:49], v61, s[48:49]
	ds_read2st64_b64 v[130:133], v106 offset1:8
	s_waitcnt lgkmcnt(0)
	v_mov_b32_e32 v138, v130
	v_mfma_f32_16x16x16_bf16 a[0:3], v[134:135], v[126:127], a[0:3]
	ds_read2st64_b64 v[134:137], v107 offset1:8
	v_mov_b32_e32 v139, v131
	v_mfma_f32_16x16x16_bf16 a[16:19], v[140:141], v[126:127], a[4:7]
	v_lshl_add_u64 v[126:127], v[68:69], 0, s[28:29]
	v_mfma_f32_16x16x16_bf16 a[20:23], v[140:141], v[50:51], a[12:15]
	v_add_co_u32_e32 v50, vcc, s39, v126
	s_waitcnt lgkmcnt(0)
	v_mov_b32_e32 v140, v134
	v_mfma_f32_16x16x16_bf16 a[4:7], v[142:143], v[128:129], a[0:3]
	v_mov_b32_e32 v141, v135
	v_mov_b32_e32 v134, v132
	;; [unrolled: 1-line block ×3, first 2 shown]
	v_mfma_f32_16x16x16_bf16 a[8:11], v[142:143], v[144:145], a[8:11]
	v_addc_co_u32_e32 v51, vcc, 0, v127, vcc
	global_store_dwordx4 v[50:51], v[134:137], off
	v_mfma_f32_16x16x16_bf16 a[12:15], v[146:147], v[128:129], a[16:19]
	s_and_b64 vcc, exec, s[0:1]
	global_store_dwordx4 v[126:127], v[138:141], off
	s_waitcnt vmcnt(3)
	v_mov_b32_e32 v52, v45
	v_mfma_f32_16x16x16_bf16 a[0:3], v[146:147], v[144:145], a[20:23]
	v_mov_b32_e32 v51, v44
	v_mov_b32_e32 v50, v43
	s_cbranch_vccnz .LBB329_17
; %bb.16:                               ;   in Loop: Header=BB329_7 Depth=1
	v_lshrrev_b32_e32 v43, 3, v123
	v_and_b32_e32 v43, 6, v43
	v_xor_b32_e32 v44, v43, v124
	v_lshlrev_b32_e32 v44, 2, v44
	v_and_b32_e32 v45, 8, v123
	v_xor_b32_e32 v123, 0x440, v44
	v_cmp_eq_u32_e32 vcc, 0, v45
	v_perm_b32 v45, v30, v26, s69
	s_nop 0
	v_cndmask_b32_e32 v44, v123, v44, vcc
	v_lshl_or_b32 v43, v43, 10, v44
	v_perm_b32 v44, v38, v34, s69
	s_barrier
	ds_write2st64_b32 v43, v44, v45 offset0:32 offset1:64
	v_xor_b32_e32 v44, 8, v43
	v_perm_b32 v34, v38, v34, s70
	v_perm_b32 v26, v30, v26, s70
	v_add_u32_e32 v30, 0x80, v44
	ds_write2st64_b32 v30, v34, v26 offset0:32 offset1:64
	v_xor_b32_e32 v26, 16, v43
	v_perm_b32 v30, v39, v35, s69
	v_perm_b32 v34, v31, v27, s69
	ds_write2st64_b32 v26, v30, v34 offset0:33 offset1:65
	v_xor_b32_e32 v26, 24, v43
	v_perm_b32 v30, v39, v35, s70
	v_perm_b32 v27, v31, v27, s70
	v_add_u32_e32 v26, 0x80, v26
	ds_write2st64_b32 v26, v30, v27 offset0:33 offset1:65
	v_xor_b32_e32 v26, 32, v43
	v_perm_b32 v27, v40, v36, s69
	v_perm_b32 v30, v32, v28, s69
	;; [unrolled: 9-line block ×3, first 2 shown]
	ds_write2st64_b32 v26, v27, v28 offset0:35 offset1:67
	v_xor_b32_e32 v26, 56, v43
	v_perm_b32 v27, v41, v37, s70
	v_perm_b32 v28, v33, v29, s70
	v_add_u32_e32 v26, 0x80, v26
	ds_write2st64_b32 v26, v27, v28 offset0:35 offset1:67
	ds_write_b64 v122, v[22:23] offset:24576
	v_xor_b32_e32 v22, 8, v122
	ds_write_b64 v22, v[24:25] offset:24576
	ds_write_b64 v122, v[18:19] offset:32768
	ds_write_b64 v22, v[20:21] offset:32768
	ds_write_b64 v121, v[14:15] offset:24576
	v_xor_b32_e32 v14, 8, v121
	ds_write_b64 v14, v[16:17] offset:24576
	ds_write_b64 v121, v[10:11] offset:32768
	;; [unrolled: 1-line block ×3, first 2 shown]
.LBB329_17:                             ;   in Loop: Header=BB329_7 Depth=1
	v_mul_f32_e32 v14, s4, v120
	v_exp_f32_e32 v26, v14
	s_waitcnt vmcnt(2)
	v_mul_f32_e32 v14, 0x3fb8aa3b, v46
	v_exp_f32_e32 v28, v14
	v_mul_f32_e32 v14, 0x3fb8aa3b, v47
	v_exp_f32_e32 v29, v14
	;; [unrolled: 2-line block ×4, first 2 shown]
	v_accvgpr_read_b32 v21, a7
	v_accvgpr_read_b32 v19, a5
	;; [unrolled: 1-line block ×4, first 2 shown]
	v_pk_mul_f32 v[28:29], v[26:27], v[28:29] op_sel_hi:[0,1]
	v_accvgpr_read_b32 v12, a10
	v_pk_fma_f32 v[2:3], v[2:3], v[28:29], v[18:19]
	v_pk_mul_f32 v[18:19], v[26:27], v[30:31] op_sel_hi:[0,1]
	v_accvgpr_read_b32 v20, a6
	v_accvgpr_read_b32 v11, a9
	;; [unrolled: 1-line block ×3, first 2 shown]
	v_fma_f32 v78, v78, v18, v12
	v_mul_f32_e32 v12, 0x3fb8aa3b, v51
	v_pk_fma_f32 v[4:5], v[4:5], v[18:19], v[20:21]
	v_fma_f32 v76, v76, v28, v10
	v_fma_f32 v77, v77, v29, v11
	v_mul_f32_e32 v10, 0x3fb8aa3b, v42
	v_mul_f32_e32 v11, 0x3fb8aa3b, v50
	v_exp_f32_e32 v20, v12
	v_mul_f32_e32 v12, 0x3fb8aa3b, v52
	v_exp_f32_e32 v10, v10
	v_exp_f32_e32 v11, v11
	;; [unrolled: 1-line block ×3, first 2 shown]
	v_accvgpr_read_b32 v25, a15
	v_accvgpr_read_b32 v17, a3
	;; [unrolled: 1-line block ×8, first 2 shown]
	v_fmac_f32_e32 v13, v87, v19
	v_pk_mul_f32 v[10:11], v[26:27], v[10:11] op_sel_hi:[0,1]
	v_pk_mul_f32 v[18:19], v[26:27], v[20:21] op_sel_hi:[0,1]
	s_add_i32 s68, s68, 64
	v_pk_fma_f32 v[6:7], v[6:7], v[10:11], v[22:23]
	v_pk_fma_f32 v[8:9], v[8:9], v[18:19], v[24:25]
	v_fma_f32 v79, v79, v10, v14
	v_fma_f32 v80, v80, v11, v15
	;; [unrolled: 1-line block ×3, first 2 shown]
	s_cmp_eq_u32 s60, s72
	v_fmac_f32_e32 v17, v85, v19
	s_cbranch_scc1 .LBB329_19
; %bb.18:                               ;   in Loop: Header=BB329_7 Depth=1
	s_mov_b32 s73, s72
	v_mov_b32_e32 v87, v13
	v_mov_b32_e32 v85, v17
	s_branch .LBB329_7
.LBB329_19:
	v_mov_b32_e32 v16, v81
	v_mov_b32_e32 v15, v80
	v_mov_b32_e32 v14, v79
.LBB329_20:
	s_lshl_b32 s45, s60, 6
	s_sub_i32 s48, s24, s45
	v_mov_b32_e32 v12, v78
	v_mov_b32_e32 v11, v77
	;; [unrolled: 1-line block ×3, first 2 shown]
	s_cmp_gt_i32 s48, 0
	s_cbranch_scc0 .LBB329_85
; %bb.21:
	s_ashr_i32 s3, s45, 31
	s_cmpk_lg_i32 s27, 0x80
	s_cselect_b64 s[30:31], -1, 0
	s_and_b64 vcc, exec, s[30:31]
	s_cbranch_vccz .LBB329_23
; %bb.22:
	s_mul_hi_i32 s0, s59, s24
	s_add_u32 s1, s51, s45
	s_addc_u32 s0, s0, s3
	s_mul_i32 s4, s1, s61
	s_mul_hi_u32 s5, s1, s26
	s_add_i32 s4, s5, s4
	s_mul_i32 s0, s0, s26
	s_add_i32 s4, s4, s0
	s_mul_i32 s1, s1, s26
	s_ashr_i32 s0, s62, 31
	s_add_u32 s46, s1, s62
	s_addc_u32 s47, s4, s0
	s_cbranch_execz .LBB329_24
	s_branch .LBB329_25
.LBB329_23:
                                        ; implicit-def: $sgpr46_sgpr47
.LBB329_24:
	s_mul_hi_i32 s0, s59, s26
	s_mul_i32 s59, s59, s26
	s_ashr_i32 s1, s62, 31
	s_add_u32 s4, s59, s62
	s_addc_u32 s0, s0, s1
	s_mul_i32 s1, s4, s58
	s_mul_hi_u32 s5, s4, s24
	s_add_i32 s1, s5, s1
	s_mul_i32 s0, s0, s24
	s_add_i32 s1, s1, s0
	s_mul_i32 s4, s4, s24
	s_add_u32 s46, s4, s45
	s_addc_u32 s47, s1, s3
.LBB329_25:
	s_mul_i32 s0, s42, s58
	s_add_i32 s0, s64, s0
	s_add_i32 s4, s63, s60
	;; [unrolled: 1-line block ×3, first 2 shown]
	s_add_u32 s0, s44, s45
	v_lshlrev_b32_e32 v22, 5, v74
	v_lshlrev_b32_e32 v38, 2, v71
	s_addc_u32 s1, s1, s3
	s_mov_b32 s3, 0x7060302
	v_or_b32_e32 v25, v22, v38
	v_xor_b32_e32 v23, v74, v38
	v_perm_b32 v19, v5, v4, s3
	v_perm_b32 v18, v3, v2, s3
	;; [unrolled: 1-line block ×4, first 2 shown]
	v_lshlrev_b32_e32 v25, 1, v25
	v_xor_b32_e32 v24, v75, v38
	ds_write2st64_b64 v25, v[18:19], v[20:21] offset0:80 offset1:88
	v_lshlrev_b32_e32 v23, 1, v23
	v_lshlrev_b32_e32 v25, 8, v71
	s_lshl_b64 s[28:29], s[0:1], 8
	v_or_b32_e32 v26, v23, v25
	v_lshlrev_b32_e32 v24, 1, v24
	s_add_u32 s0, s18, s28
	ds_write_b64 v26, v[18:19]
	v_or_b32_e32 v18, v24, v25
	s_addc_u32 s1, s19, s29
	ds_write_b64 v18, v[20:21]
	v_perm_b32 v19, v13, v12, s3
	v_perm_b32 v18, v11, v10, s3
	;; [unrolled: 1-line block ×4, first 2 shown]
	v_or_b32_e32 v25, 16, v71
	s_mul_hi_i32 s3, s4, s25
	s_mul_i32 s4, s4, s25
	v_lshlrev_b32_e32 v35, 2, v25
	s_add_u32 s4, s4, s33
	v_or_b32_e32 v22, v22, v35
	s_addc_u32 s5, s3, s50
	v_lshlrev_b32_e32 v22, 1, v22
	s_ashr_i32 s3, s2, 31
	s_lshl_b64 s[4:5], s[4:5], 15
	ds_write2st64_b64 v22, v[18:19], v[20:21] offset0:80 offset1:88
	v_lshlrev_b32_e32 v22, 8, v25
	s_add_u32 s4, s12, s4
	v_or_b32_e32 v23, v23, v22
	s_addc_u32 s5, s13, s5
	s_lshl_b64 s[2:3], s[2:3], 8
	ds_write_b64 v23, v[18:19]
	v_or_b32_e32 v18, v24, v22
	s_add_u32 s2, s4, s2
	ds_write_b64 v18, v[20:21]
	v_lshrrev_b32_e32 v18, 4, v0
	s_addc_u32 s3, s5, s3
	v_lshlrev_b32_e32 v19, 1, v71
	v_lshlrev_b32_e32 v26, 4, v71
	v_mov_b32_e32 v27, 0
	v_or_b32_e32 v20, 1, v19
	v_xor_b32_e32 v19, v18, v19
	v_lshl_add_u64 v[28:29], s[2:3], 0, v[26:27]
	v_lshlrev_b32_e32 v26, 8, v18
	v_xor_b32_e32 v22, v20, v18
	v_lshl_or_b32 v18, v19, 3, v26
	s_waitcnt lgkmcnt(0)
	s_barrier
	ds_read2st64_b64 v[18:21], v18 offset1:8
	v_lshl_or_b32 v22, v22, 3, v26
	ds_read2st64_b64 v[22:25], v22 offset1:8
	v_lshl_add_u64 v[30:31], v[28:29], 0, v[26:27]
	s_movk_i32 s2, 0x1000
	s_waitcnt lgkmcnt(1)
	v_mov_b32_e32 v26, v18
	v_add_co_u32_e32 v18, vcc, s2, v30
	s_cmp_lg_u32 s48, 64
	v_mov_b32_e32 v27, v19
	v_addc_co_u32_e32 v19, vcc, 0, v31, vcc
	s_cselect_b64 s[18:19], -1, 0
	v_lshl_or_b32 v42, v1, 3, v73
	s_waitcnt lgkmcnt(0)
	v_mov_b32_e32 v28, v22
	v_mov_b32_e32 v29, v23
	;; [unrolled: 1-line block ×4, first 2 shown]
	s_mov_b32 s4, 0
	v_or_b32_e32 v36, 32, v42
	v_and_b32_e32 v34, 56, v72
	s_and_b64 vcc, exec, s[18:19]
	global_store_dwordx4 v[30:31], v[26:29], off
	global_store_dwordx4 v[18:19], v[22:25], off
	s_cbranch_vccz .LBB329_31
; %bb.26:
	s_mov_b32 s6, s4
	s_mov_b32 s7, s4
	;; [unrolled: 1-line block ×3, first 2 shown]
	v_mov_b64_e32 v[24:25], s[6:7]
	v_mov_b64_e32 v[22:23], s[4:5]
	;; [unrolled: 1-line block ×3, first 2 shown]
	v_cmp_gt_i32_e32 vcc, s48, v42
	v_mov_b64_e32 v[20:21], v[24:25]
	s_and_saveexec_b64 s[2:3], vcc
	s_cbranch_execz .LBB329_28
; %bb.27:
	v_lshlrev_b32_e32 v18, 8, v42
	v_mov_b32_e32 v19, 0
	v_lshl_add_u64 v[20:21], s[0:1], 0, v[18:19]
	v_lshlrev_b32_e32 v18, 1, v34
	v_lshl_add_u64 v[26:27], v[20:21], 0, v[18:19]
	global_load_dwordx4 v[22:25], v[26:27], off
	global_load_dwordx4 v[18:21], v[26:27], off offset:128
.LBB329_28:
	s_or_b64 exec, exec, s[2:3]
	s_mov_b32 s6, s4
	s_mov_b32 s7, s4
	;; [unrolled: 1-line block ×3, first 2 shown]
	v_mov_b64_e32 v[32:33], s[6:7]
	v_mov_b64_e32 v[30:31], s[4:5]
	;; [unrolled: 1-line block ×3, first 2 shown]
	v_cmp_gt_i32_e32 vcc, s48, v36
	v_lshlrev_b32_e32 v37, 7, v36
	v_mov_b64_e32 v[28:29], v[32:33]
	s_and_saveexec_b64 s[2:3], vcc
	s_cbranch_execz .LBB329_30
; %bb.29:
	v_lshlrev_b32_e32 v26, 1, v37
	v_mov_b32_e32 v27, 0
	v_lshl_add_u64 v[28:29], s[0:1], 0, v[26:27]
	v_lshlrev_b32_e32 v26, 1, v34
	v_lshl_add_u64 v[40:41], v[28:29], 0, v[26:27]
	global_load_dwordx4 v[30:33], v[40:41], off
	global_load_dwordx4 v[26:29], v[40:41], off offset:128
.LBB329_30:
	s_or_b64 exec, exec, s[2:3]
	v_lshrrev_b32_e32 v39, 3, v34
	v_lshlrev_b32_e32 v40, 3, v42
	v_or_b32_e32 v39, v40, v39
	v_lshlrev_b32_e32 v39, 4, v39
	v_and_b32_e32 v40, 0x78, v40
	v_xor_b32_e32 v39, v39, v40
	s_branch .LBB329_33
.LBB329_31:
                                        ; implicit-def: $vgpr39
                                        ; implicit-def: $vgpr37
                                        ; implicit-def: $vgpr22_vgpr23_vgpr24_vgpr25
                                        ; implicit-def: $vgpr18_vgpr19_vgpr20_vgpr21
                                        ; implicit-def: $vgpr30_vgpr31_vgpr32_vgpr33
                                        ; implicit-def: $vgpr26_vgpr27_vgpr28_vgpr29
	s_cbranch_execz .LBB329_33
; %bb.32:
	s_waitcnt vmcnt(0)
	v_lshlrev_b32_e32 v18, 1, v34
	v_lshl_or_b32 v37, v42, 8, v18
	s_and_b32 s1, s1, 0xffff
	s_mov_b32 s3, 0x20000
	s_movk_i32 s2, 0x4000
	v_lshl_or_b32 v39, v36, 8, v18
	s_movk_i32 s4, 0x80
	buffer_load_dwordx4 v[22:25], v37, s[0:3], 0 offen
	buffer_load_dwordx4 v[18:21], v37, s[0:3], s4 offen
	;; [unrolled: 1-line block ×4, first 2 shown]
	v_lshrrev_b32_e32 v37, 3, v34
	v_lshlrev_b32_e32 v39, 3, v42
	v_or_b32_e32 v37, v39, v37
	v_lshlrev_b32_e32 v37, 4, v37
	v_and_b32_e32 v39, 0x78, v39
	v_xor_b32_e32 v39, v37, v39
	v_lshlrev_b32_e32 v37, 7, v36
.LBB329_33:
	s_lshl_b64 s[0:1], s[46:47], 8
	s_add_u32 s4, s16, s0
	s_movk_i32 s0, 0x1000
	v_and_or_b32 v36, v37, s0, v39
	s_waitcnt vmcnt(1)
	ds_write_b64 v39, v[22:23] offset:24576
	v_xor_b32_e32 v22, 8, v39
	ds_write_b64 v22, v[24:25] offset:24576
	s_waitcnt vmcnt(0)
	ds_write_b64 v39, v[18:19] offset:32768
	ds_write_b64 v22, v[20:21] offset:32768
	;; [unrolled: 1-line block ×3, first 2 shown]
	v_xor_b32_e32 v18, 8, v36
	ds_write_b64 v18, v[32:33] offset:24576
	ds_write_b64 v36, v[26:27] offset:32768
	;; [unrolled: 1-line block ×3, first 2 shown]
	v_or_b32_e32 v18, v53, v71
	v_lshlrev_b32_e32 v18, 3, v18
	v_lshrrev_b32_e32 v19, 5, v55
	s_movk_i32 s2, 0xf8
	v_and_or_b32 v19, v18, s2, v19
	v_lshlrev_b32_e32 v23, 4, v19
	v_lshlrev_b32_e32 v39, 11, v1
	v_and_b32_e32 v24, 0x78, v18
	v_or_b32_e32 v26, 32, v23
	v_and_b32_e32 v22, 0x1000, v39
	v_lshrrev_b32_e32 v19, 1, v55
	v_xor_b32_e32 v26, v26, v24
	v_xor_b32_e32 v18, v23, v24
	v_and_b32_e32 v25, 8, v19
	v_or_b32_e32 v26, v26, v22
	v_or_b32_e32 v18, v18, v22
	v_xor_b32_e32 v44, v26, v25
	v_or_b32_e32 v26, 64, v23
	v_xor_b32_e32 v43, v18, v25
	v_xor_b32_e32 v26, v26, v24
	s_waitcnt lgkmcnt(0)
	s_barrier
	v_or_b32_e32 v28, v26, v22
	ds_read_b64 v[26:27], v43 offset:24576
	v_lshl_or_b32 v36, v70, 7, v38
	v_lshlrev_b32_e32 v40, 1, v36
	v_add_u32_e32 v18, 0xa000, v40
	ds_read2_b64 v[18:21], v18 offset1:16
	v_or_b32_e32 v23, 0x60, v23
	v_xor_b32_e32 v23, v23, v24
	s_waitcnt lgkmcnt(0)
	v_mfma_f32_16x16x16_bf16 a[0:3], v[26:27], v[18:19], 0
	v_or_b32_e32 v18, 64, v36
	v_or_b32_e32 v22, v23, v22
	v_lshlrev_b32_e32 v41, 1, v18
	v_xor_b32_e32 v45, v28, v25
	v_xor_b32_e32 v46, v22, v25
	ds_read_b64 v[28:29], v44 offset:24576
	ds_read_b64 v[30:31], v45 offset:24576
	;; [unrolled: 1-line block ×3, first 2 shown]
	v_mfma_f32_16x16x16_bf16 a[4:7], v[26:27], v[20:21], 0
	ds_read2st64_b64 v[18:21], v41 offset0:82 offset1:84
	ds_read2st64_b64 v[22:25], v40 offset0:82 offset1:84
	s_addc_u32 s5, s17, s1
	s_add_i32 s0, s53, s52
	s_add_i32 s17, s24, -1
	s_add_i32 s39, s0, s57
	s_add_i32 s0, s55, s54
	;; [unrolled: 1-line block ×3, first 2 shown]
	s_ashr_i32 s0, s17, 31
	s_mul_i32 s1, s17, s37
	s_mul_hi_u32 s2, s17, s36
	s_add_i32 s1, s2, s1
	s_mul_i32 s0, s0, s36
	s_waitcnt lgkmcnt(1)
	v_mfma_f32_16x16x16_bf16 a[4:7], v[28:29], v[18:19], a[4:7]
	s_add_i32 s1, s1, s0
	s_lshl_b64 s[2:3], s[38:39], 2
	s_add_u32 s6, s22, s2
	s_waitcnt lgkmcnt(0)
	v_mfma_f32_16x16x16_bf16 a[0:3], v[28:29], v[22:23], a[0:3]
	s_addc_u32 s7, s23, s3
	s_lshl_b64 s[2:3], s[40:41], 2
	s_mul_i32 s0, s17, s36
	s_add_u32 s12, s6, s2
	ds_read_b64 v[18:19], v40 offset:44032
	v_mfma_f32_16x16x16_bf16 a[4:7], v[30:31], v[20:21], a[4:7]
	ds_read_b64 v[20:21], v41 offset:44032
	s_addc_u32 s13, s7, s3
	s_lshl_b64 s[0:1], s[0:1], 2
	v_mfma_f32_16x16x16_bf16 a[0:3], v[30:31], v[24:25], a[0:3]
	s_add_u32 s0, s12, s0
	s_addc_u32 s1, s13, s1
	s_load_dword s16, s[0:1], 0x0
	s_waitcnt lgkmcnt(0)
	v_mfma_f32_16x16x16_bf16 a[0:3], v[32:33], v[18:19], a[0:3]
	s_and_b64 vcc, exec, s[30:31]
	v_mfma_f32_16x16x16_bf16 a[4:7], v[32:33], v[20:21], a[4:7]
	s_cbranch_vccz .LBB329_44
; %bb.34:
	v_lshlrev_b32_e32 v36, 1, v42
	s_and_b64 vcc, exec, s[18:19]
	s_cbranch_vccz .LBB329_45
; %bb.35:
	v_cmp_gt_i32_e32 vcc, s48, v36
	v_mov_b32_e32 v22, 0
	v_mov_b32_e32 v18, 0
	;; [unrolled: 1-line block ×5, first 2 shown]
	s_and_saveexec_b64 s[0:1], vcc
	s_cbranch_execz .LBB329_37
; %bb.36:
	v_mad_i64_i32 v[18:19], s[2:3], s27, v36, 0
	v_lshl_add_u64 v[18:19], v[18:19], 1, s[4:5]
	v_lshlrev_b32_e32 v20, 1, v34
	v_mov_b32_e32 v21, 0
	v_lshl_add_u64 v[18:19], v[18:19], 0, v[20:21]
	global_load_dwordx4 v[18:21], v[18:19], off
.LBB329_37:
	s_or_b64 exec, exec, s[0:1]
	v_or_b32_e32 v37, 1, v36
	v_cmp_gt_i32_e64 s[0:1], s48, v37
	v_mov_b32_e32 v23, 0
	v_mov_b32_e32 v24, 0
	;; [unrolled: 1-line block ×3, first 2 shown]
	s_and_saveexec_b64 s[2:3], s[0:1]
	s_cbranch_execz .LBB329_39
; %bb.38:
	v_mad_i64_i32 v[22:23], s[6:7], s27, v37, 0
	v_lshl_add_u64 v[22:23], v[22:23], 1, s[4:5]
	v_lshlrev_b32_e32 v24, 1, v34
	v_mov_b32_e32 v25, 0
	v_lshl_add_u64 v[22:23], v[22:23], 0, v[24:25]
	global_load_dwordx4 v[22:25], v[22:23], off
.LBB329_39:
	s_or_b64 exec, exec, s[2:3]
	v_mov_b32_e32 v33, 0
	v_mov_b32_e32 v26, 0
	;; [unrolled: 1-line block ×5, first 2 shown]
	s_and_saveexec_b64 s[2:3], vcc
	s_cbranch_execz .LBB329_41
; %bb.40:
	v_mad_i64_i32 v[26:27], s[6:7], s27, v36, 0
	v_lshl_add_u64 v[26:27], v[26:27], 1, s[4:5]
	v_lshlrev_b32_e32 v28, 1, v34
	v_mov_b32_e32 v29, 0
	v_lshl_add_u64 v[26:27], v[26:27], 0, v[28:29]
	global_load_dwordx4 v[26:29], v[26:27], off offset:128
.LBB329_41:
	s_or_b64 exec, exec, s[2:3]
	v_mov_b32_e32 v32, 0
	v_mov_b32_e32 v31, 0
	;; [unrolled: 1-line block ×3, first 2 shown]
	s_and_saveexec_b64 s[2:3], s[0:1]
	s_cbranch_execz .LBB329_43
; %bb.42:
	v_mad_i64_i32 v[30:31], s[0:1], s27, v37, 0
	v_lshl_add_u64 v[30:31], v[30:31], 1, s[4:5]
	v_lshlrev_b32_e32 v32, 1, v34
	v_mov_b32_e32 v33, 0
	v_lshl_add_u64 v[30:31], v[30:31], 0, v[32:33]
	global_load_dwordx4 v[30:33], v[30:31], off offset:128
.LBB329_43:
	s_or_b64 exec, exec, s[2:3]
	s_branch .LBB329_47
.LBB329_44:
                                        ; implicit-def: $vgpr21
                                        ; implicit-def: $vgpr25
                                        ; implicit-def: $vgpr29
                                        ; implicit-def: $vgpr33
	v_lshrrev_b32_e32 v47, 2, v55
	s_branch .LBB329_48
.LBB329_45:
                                        ; implicit-def: $vgpr21
                                        ; implicit-def: $vgpr25
                                        ; implicit-def: $vgpr29
                                        ; implicit-def: $vgpr33
	s_cbranch_execz .LBB329_47
; %bb.46:
	s_waitcnt vmcnt(0)
	v_mad_u64_u32 v[18:19], s[0:1], v36, s27, v[34:35]
	v_lshlrev_b32_e32 v36, 1, v18
	s_lshl_b32 s2, s27, 7
	s_and_b32 s1, s5, 0xffff
	s_mov_b32 s3, 0x20000
	s_mov_b32 s0, s4
	v_add_lshl_u32 v37, v18, s27, 1
	s_movk_i32 s6, 0x80
	buffer_load_dwordx4 v[18:21], v36, s[0:3], 0 offen
	buffer_load_dwordx4 v[26:29], v36, s[0:3], s6 offen
	buffer_load_dwordx4 v[22:25], v37, s[0:3], 0 offen
	buffer_load_dwordx4 v[30:33], v37, s[0:3], s6 offen
.LBB329_47:
	v_lshrrev_b32_e32 v47, 2, v55
	s_cbranch_execnz .LBB329_60
.LBB329_48:
	s_and_b64 vcc, exec, s[18:19]
	s_cbranch_vccz .LBB329_58
; %bb.49:
	s_waitcnt vmcnt(0)
	v_lshlrev_b32_e32 v23, 1, v42
	v_cmp_gt_i32_e32 vcc, s48, v23
	v_mov_b32_e32 v22, 0
	v_lshlrev_b32_e32 v30, 9, v42
	v_mov_b32_e32 v18, 0
	v_mov_b32_e32 v19, 0
	;; [unrolled: 1-line block ×4, first 2 shown]
	s_and_saveexec_b64 s[0:1], vcc
	s_cbranch_execz .LBB329_51
; %bb.50:
	v_mov_b32_e32 v31, 0
	v_lshl_add_u64 v[18:19], s[4:5], 0, v[30:31]
	v_lshlrev_b32_e32 v20, 1, v34
	v_mov_b32_e32 v21, v31
	v_lshl_add_u64 v[18:19], v[18:19], 0, v[20:21]
	global_load_dwordx4 v[18:21], v[18:19], off
.LBB329_51:
	s_or_b64 exec, exec, s[0:1]
	v_or_b32_e32 v23, 1, v23
	v_cmp_gt_i32_e64 s[0:1], s48, v23
	v_lshlrev_b32_e32 v36, 8, v23
	v_mov_b32_e32 v23, 0
	v_mov_b32_e32 v24, 0
	;; [unrolled: 1-line block ×3, first 2 shown]
	s_and_saveexec_b64 s[2:3], s[0:1]
	s_cbranch_execz .LBB329_53
; %bb.52:
	v_mov_b32_e32 v37, 0
	v_lshl_add_u64 v[22:23], s[4:5], 0, v[36:37]
	v_lshlrev_b32_e32 v24, 1, v34
	v_mov_b32_e32 v25, v37
	v_lshl_add_u64 v[22:23], v[22:23], 0, v[24:25]
	global_load_dwordx4 v[22:25], v[22:23], off
.LBB329_53:
	s_or_b64 exec, exec, s[2:3]
	v_mov_b32_e32 v33, 0
	v_mov_b32_e32 v26, 0
	;; [unrolled: 1-line block ×5, first 2 shown]
	s_and_saveexec_b64 s[2:3], vcc
	s_cbranch_execz .LBB329_55
; %bb.54:
	v_mov_b32_e32 v31, 0
	v_lshl_add_u64 v[26:27], s[4:5], 0, v[30:31]
	v_lshlrev_b32_e32 v30, 1, v34
	v_lshl_add_u64 v[26:27], v[26:27], 0, v[30:31]
	global_load_dwordx4 v[26:29], v[26:27], off offset:128
.LBB329_55:
	s_or_b64 exec, exec, s[2:3]
	v_mov_b32_e32 v32, 0
	v_mov_b32_e32 v31, 0
	;; [unrolled: 1-line block ×3, first 2 shown]
	s_and_saveexec_b64 s[2:3], s[0:1]
	s_cbranch_execz .LBB329_57
; %bb.56:
	v_mov_b32_e32 v37, 0
	v_lshl_add_u64 v[30:31], s[4:5], 0, v[36:37]
	v_lshlrev_b32_e32 v36, 1, v34
	v_lshl_add_u64 v[30:31], v[30:31], 0, v[36:37]
	global_load_dwordx4 v[30:33], v[30:31], off offset:128
.LBB329_57:
	s_or_b64 exec, exec, s[2:3]
	s_branch .LBB329_60
.LBB329_58:
                                        ; implicit-def: $vgpr21
                                        ; implicit-def: $vgpr25
                                        ; implicit-def: $vgpr29
                                        ; implicit-def: $vgpr33
	s_cbranch_execz .LBB329_60
; %bb.59:
	s_waitcnt vmcnt(0)
	v_lshlrev_b32_e32 v18, 1, v34
	v_lshl_or_b32 v34, v42, 9, v18
	s_and_b32 s5, s5, 0xffff
	s_mov_b32 s7, 0x20000
	s_movk_i32 s6, 0x4000
	s_movk_i32 s0, 0x80
	buffer_load_dwordx4 v[18:21], v34, s[4:7], 0 offen
	buffer_load_dwordx4 v[22:25], v34, s[4:7], 0 offen offset:256
	buffer_load_dwordx4 v[26:29], v34, s[4:7], s0 offen
	buffer_load_dwordx4 v[30:33], v34, s[4:7], s0 offen offset:256
.LBB329_60:
	ds_read_b64 v[36:37], v43 offset:32768
	v_add_u32_e32 v34, 0xb000, v40
	ds_read2_b64 v[48:51], v34 offset1:16
	ds_read_b64 v[66:67], v44 offset:32768
	ds_read_b64 v[44:45], v45 offset:32768
	;; [unrolled: 1-line block ×3, first 2 shown]
	ds_read2st64_b64 v[62:65], v41 offset0:90 offset1:92
	v_and_b32_e32 v43, 6, v0
	v_and_b32_e32 v34, 12, v47
	v_xor_b32_e32 v42, v42, v43
	v_lshlrev_b32_e32 v42, 2, v42
	s_mov_b32 s0, 0x1000504
	s_waitcnt lgkmcnt(4)
	v_mfma_f32_16x16x16_bf16 a[0:3], v[36:37], v[48:49], a[0:3]
	s_mov_b32 s1, 0x3020706
	v_mfma_f32_16x16x16_bf16 a[4:7], v[36:37], v[50:51], a[4:7]
	ds_read2st64_b64 v[48:51], v40 offset0:90 offset1:92
	ds_read_b64 v[36:37], v40 offset:48128
	ds_read_b64 v[46:47], v41 offset:48128
	s_waitcnt lgkmcnt(2)
	v_mfma_f32_16x16x16_bf16 a[0:3], v[66:67], v[48:49], a[0:3]
	v_and_b32_e32 v48, 1, v0
	v_xor_b32_e32 v49, 0x440, v42
	v_cmp_eq_u32_e32 vcc, 0, v48
	v_mfma_f32_16x16x16_bf16 a[4:7], v[66:67], v[62:63], a[4:7]
	s_nop 0
	v_cndmask_b32_e32 v42, v49, v42, vcc
	v_lshl_or_b32 v42, v43, 10, v42
	v_mfma_f32_16x16x16_bf16 a[0:3], v[44:45], v[50:51], a[0:3]
	v_mov_b32_e32 v43, 0
	v_mfma_f32_16x16x16_bf16 a[8:11], v[44:45], v[64:65], a[4:7]
	s_waitcnt lgkmcnt(1)
	v_mfma_f32_16x16x16_bf16 a[4:7], v[68:69], v[36:37], a[0:3]
	s_waitcnt vmcnt(0)
	v_perm_b32 v36, v18, v22, s0
	v_perm_b32 v37, v26, v30, s0
	ds_write2st64_b32 v42, v36, v37 offset0:32 offset1:64
	v_xor_b32_e32 v36, 8, v42
	v_perm_b32 v18, v18, v22, s1
	v_perm_b32 v22, v26, v30, s1
	v_add_u32_e32 v26, 0x80, v36
	ds_write2st64_b32 v26, v18, v22 offset0:32 offset1:64
	v_xor_b32_e32 v18, 16, v42
	v_perm_b32 v22, v19, v23, s0
	v_perm_b32 v26, v27, v31, s0
	ds_write2st64_b32 v18, v22, v26 offset0:33 offset1:65
	v_xor_b32_e32 v18, 24, v42
	v_perm_b32 v19, v19, v23, s1
	v_perm_b32 v22, v27, v31, s1
	v_add_u32_e32 v18, 0x80, v18
	ds_write2st64_b32 v18, v19, v22 offset0:33 offset1:65
	v_xor_b32_e32 v18, 32, v42
	v_perm_b32 v19, v20, v24, s0
	v_perm_b32 v22, v28, v32, s0
	ds_write2st64_b32 v18, v19, v22 offset0:34 offset1:66
	v_xor_b32_e32 v18, 40, v42
	s_waitcnt lgkmcnt(5)
	v_mfma_f32_16x16x16_bf16 a[0:3], v[68:69], v[46:47], a[8:11]
	v_perm_b32 v19, v20, v24, s1
	v_perm_b32 v20, v28, v32, s1
	v_add_u32_e32 v18, 0x80, v18
	ds_write2st64_b32 v18, v19, v20 offset0:34 offset1:66
	v_xor_b32_e32 v18, 48, v42
	v_perm_b32 v19, v21, v25, s0
	v_perm_b32 v20, v29, v33, s0
	ds_write2st64_b32 v18, v19, v20 offset0:35 offset1:67
	v_xor_b32_e32 v18, 56, v42
	v_or_b32_e32 v36, v34, v53
	v_perm_b32 v19, v21, v25, s1
	v_perm_b32 v20, v29, v33, s1
	v_add_u32_e32 v18, 0x80, v18
	v_cmp_gt_i32_e32 vcc, s48, v36
	v_mov_b32_e32 v37, 0
	ds_write2st64_b32 v18, v19, v20 offset0:35 offset1:67
	s_and_saveexec_b64 s[0:1], vcc
	s_cbranch_execz .LBB329_62
; %bb.61:
	v_add_u32_e32 v18, s45, v36
	v_ashrrev_i32_e32 v19, 31, v18
	v_mul_lo_u32 v20, v19, s36
	v_mul_lo_u32 v21, v18, s37
	v_mad_u64_u32 v[18:19], s[2:3], v18, s36, 0
	v_add3_u32 v19, v19, v21, v20
	v_lshl_add_u64 v[18:19], v[18:19], 2, s[12:13]
	global_load_dword v18, v[18:19], off
	s_waitcnt vmcnt(0)
	v_sub_f32_e32 v18, s16, v18
	v_mul_f32_e32 v18, 0x3fb8aa3b, v18
	v_exp_f32_e32 v43, v18
.LBB329_62:
	s_or_b64 exec, exec, s[0:1]
	v_or_b32_e32 v29, 1, v36
	v_cmp_gt_i32_e64 s[0:1], s48, v29
	s_and_saveexec_b64 s[2:3], s[0:1]
	s_cbranch_execz .LBB329_64
; %bb.63:
	v_add_u32_e32 v18, s45, v29
	v_ashrrev_i32_e32 v19, 31, v18
	v_mul_lo_u32 v20, v19, s36
	v_mul_lo_u32 v21, v18, s37
	v_mad_u64_u32 v[18:19], s[4:5], v18, s36, 0
	v_add3_u32 v19, v19, v21, v20
	v_lshl_add_u64 v[18:19], v[18:19], 2, s[12:13]
	global_load_dword v18, v[18:19], off
	s_waitcnt vmcnt(0)
	v_sub_f32_e32 v18, s16, v18
	v_mul_f32_e32 v18, 0x3fb8aa3b, v18
	v_exp_f32_e32 v37, v18
.LBB329_64:
	s_or_b64 exec, exec, s[2:3]
	v_or_b32_e32 v28, 2, v36
	v_cmp_gt_i32_e64 s[2:3], s48, v28
	v_mov_b32_e32 v42, 0
	v_mov_b32_e32 v44, 0
	s_and_saveexec_b64 s[4:5], s[2:3]
	s_cbranch_execz .LBB329_66
; %bb.65:
	v_add_u32_e32 v18, s45, v28
	v_ashrrev_i32_e32 v19, 31, v18
	v_mul_lo_u32 v20, v19, s36
	v_mul_lo_u32 v21, v18, s37
	v_mad_u64_u32 v[18:19], s[6:7], v18, s36, 0
	v_add3_u32 v19, v19, v21, v20
	v_lshl_add_u64 v[18:19], v[18:19], 2, s[12:13]
	global_load_dword v18, v[18:19], off
	s_waitcnt vmcnt(0)
	v_sub_f32_e32 v18, s16, v18
	v_mul_f32_e32 v18, 0x3fb8aa3b, v18
	v_exp_f32_e32 v44, v18
.LBB329_66:
	s_or_b64 exec, exec, s[4:5]
	v_or_b32_e32 v45, 3, v36
	v_cmp_gt_i32_e64 s[4:5], s48, v45
	s_and_saveexec_b64 s[6:7], s[4:5]
	s_cbranch_execz .LBB329_68
; %bb.67:
	v_add_u32_e32 v18, s45, v45
	v_ashrrev_i32_e32 v19, 31, v18
	v_mul_lo_u32 v20, v19, s36
	v_mul_lo_u32 v21, v18, s37
	v_mad_u64_u32 v[18:19], s[18:19], v18, s36, 0
	v_add3_u32 v19, v19, v21, v20
	v_lshl_add_u64 v[18:19], v[18:19], 2, s[12:13]
	global_load_dword v18, v[18:19], off
	s_waitcnt vmcnt(0)
	v_sub_f32_e32 v18, s16, v18
	v_mul_f32_e32 v18, 0x3fb8aa3b, v18
	v_exp_f32_e32 v42, v18
.LBB329_68:
	s_or_b64 exec, exec, s[6:7]
	s_add_u32 s6, s20, s28
	s_addc_u32 s7, s21, s29
	s_add_u32 s12, s14, s28
	v_ashrrev_i32_e32 v61, 31, v60
	v_accvgpr_read_b32 v21, a7
	s_addc_u32 s13, s15, s29
	v_lshlrev_b64 v[22:23], 1, v[60:61]
	v_accvgpr_read_b32 v20, a6
	v_accvgpr_read_b32 v19, a5
	v_accvgpr_read_b32 v18, a4
	v_lshl_add_u64 v[24:25], s[6:7], 0, v[22:23]
	v_lshl_add_u64 v[22:23], s[12:13], 0, v[22:23]
	v_mov_b32_e32 v31, 0
	v_lshlrev_b32_e32 v26, 8, v36
	v_mov_b32_e32 v27, 0
	s_and_saveexec_b64 s[6:7], vcc
	s_cbranch_execz .LBB329_70
; %bb.69:
	v_mov_b32_e32 v27, 0
	v_lshl_add_u64 v[32:33], v[24:25], 0, v[26:27]
	global_load_ushort v30, v[32:33], off
	v_lshl_add_u64 v[32:33], v[22:23], 0, v[26:27]
	s_waitcnt vmcnt(0)
	v_lshlrev_b32_e32 v27, 16, v30
	v_sub_f32_e32 v18, v27, v18
	global_store_short_d16_hi v[32:33], v18, off
	v_mul_f32_e32 v18, v43, v18
	v_lshrrev_b32_e32 v27, 16, v18
.LBB329_70:
	s_or_b64 exec, exec, s[6:7]
	v_lshlrev_b32_e32 v30, 8, v29
	s_and_saveexec_b64 s[6:7], s[0:1]
	s_cbranch_execz .LBB329_72
; %bb.71:
	v_mov_b32_e32 v31, 0
	v_lshl_add_u64 v[32:33], v[24:25], 0, v[30:31]
	global_load_ushort v18, v[32:33], off
	v_lshl_add_u64 v[32:33], v[22:23], 0, v[30:31]
	s_waitcnt vmcnt(0)
	v_lshlrev_b32_e32 v18, 16, v18
	v_sub_f32_e32 v18, v18, v19
	global_store_short_d16_hi v[32:33], v18, off
	v_mul_f32_e32 v18, v37, v18
	v_lshrrev_b32_e32 v31, 16, v18
.LBB329_72:
	s_or_b64 exec, exec, s[6:7]
	v_mov_b32_e32 v29, 0
	v_lshlrev_b32_e32 v32, 8, v28
	v_mov_b32_e32 v33, 0
	s_and_saveexec_b64 s[6:7], s[2:3]
	s_cbranch_execz .LBB329_74
; %bb.73:
	v_mov_b32_e32 v33, 0
	v_lshl_add_u64 v[18:19], v[24:25], 0, v[32:33]
	global_load_ushort v28, v[18:19], off
	v_lshl_add_u64 v[18:19], v[22:23], 0, v[32:33]
	s_waitcnt vmcnt(0)
	v_lshlrev_b32_e32 v28, 16, v28
	v_sub_f32_e32 v20, v28, v20
	global_store_short_d16_hi v[18:19], v20, off
	v_mul_f32_e32 v18, v44, v20
	v_lshrrev_b32_e32 v33, 16, v18
.LBB329_74:
	s_or_b64 exec, exec, s[6:7]
	v_lshlrev_b32_e32 v28, 8, v45
	s_and_saveexec_b64 s[6:7], s[4:5]
	s_cbranch_execz .LBB329_76
; %bb.75:
	v_mov_b32_e32 v29, 0
	v_lshl_add_u64 v[18:19], v[24:25], 0, v[28:29]
	global_load_ushort v20, v[18:19], off
	v_lshl_add_u64 v[18:19], v[22:23], 0, v[28:29]
	s_waitcnt vmcnt(0)
	v_lshlrev_b32_e32 v20, 16, v20
	v_sub_f32_e32 v20, v20, v21
	global_store_short_d16_hi v[18:19], v20, off
	v_mul_f32_e32 v18, v42, v20
	v_lshrrev_b32_e32 v29, 16, v18
.LBB329_76:
	s_or_b64 exec, exec, s[6:7]
	v_lshlrev_b32_e32 v45, 5, v36
	s_mov_b32 s6, 0x5040100
	v_perm_b32 v46, v31, v27, s6
	v_or_b32_e32 v27, v45, v38
	v_accvgpr_read_b32 v21, a3
	v_perm_b32 v47, v29, v33, s6
	v_lshlrev_b32_e32 v27, 1, v27
	v_accvgpr_read_b32 v20, a2
	v_accvgpr_read_b32 v19, a1
	v_accvgpr_read_b32 v18, a0
	ds_write_b64 v27, v[46:47] offset:45056
	v_mov_b32_e32 v31, 0
	v_mov_b32_e32 v27, 0
	s_and_saveexec_b64 s[6:7], vcc
	s_cbranch_execz .LBB329_78
; %bb.77:
	v_mov_b32_e32 v27, 0
	v_lshl_add_u64 v[46:47], v[24:25], 0, v[26:27]
	global_load_ushort v29, v[46:47], off offset:32
	v_lshl_add_u64 v[26:27], v[22:23], 0, v[26:27]
	s_waitcnt vmcnt(0)
	v_lshlrev_b32_e32 v29, 16, v29
	v_sub_f32_e32 v18, v29, v18
	global_store_short_d16_hi v[26:27], v18, off offset:32
	v_mul_f32_e32 v18, v43, v18
	v_lshrrev_b32_e32 v27, 16, v18
.LBB329_78:
	s_or_b64 exec, exec, s[6:7]
	s_and_saveexec_b64 s[6:7], s[0:1]
	s_cbranch_execz .LBB329_80
; %bb.79:
	v_mov_b32_e32 v31, 0
	v_lshl_add_u64 v[46:47], v[24:25], 0, v[30:31]
	global_load_ushort v18, v[46:47], off offset:32
	v_lshl_add_u64 v[30:31], v[22:23], 0, v[30:31]
	s_waitcnt vmcnt(0)
	v_lshlrev_b32_e32 v18, 16, v18
	v_sub_f32_e32 v18, v18, v19
	global_store_short_d16_hi v[30:31], v18, off offset:32
	v_mul_f32_e32 v18, v37, v18
	v_lshrrev_b32_e32 v31, 16, v18
.LBB329_80:
	s_or_b64 exec, exec, s[6:7]
	v_mov_b32_e32 v26, 0
	v_mov_b32_e32 v30, 0
	s_and_saveexec_b64 s[0:1], s[2:3]
	s_cbranch_execz .LBB329_82
; %bb.81:
	v_mov_b32_e32 v33, 0
	v_lshl_add_u64 v[18:19], v[24:25], 0, v[32:33]
	global_load_ushort v29, v[18:19], off offset:32
	v_lshl_add_u64 v[18:19], v[22:23], 0, v[32:33]
	s_waitcnt vmcnt(0)
	v_lshlrev_b32_e32 v29, 16, v29
	v_sub_f32_e32 v20, v29, v20
	global_store_short_d16_hi v[18:19], v20, off offset:32
	v_mul_f32_e32 v18, v44, v20
	v_lshrrev_b32_e32 v30, 16, v18
.LBB329_82:
	s_or_b64 exec, exec, s[0:1]
	v_or_b32_e32 v19, 0xb000, v40
	v_or_b32_e32 v18, 0xb000, v41
	s_and_saveexec_b64 s[0:1], s[4:5]
	s_cbranch_execz .LBB329_84
; %bb.83:
	v_mov_b32_e32 v29, 0
	v_lshl_add_u64 v[24:25], v[24:25], 0, v[28:29]
	global_load_ushort v20, v[24:25], off offset:32
	v_lshl_add_u64 v[22:23], v[22:23], 0, v[28:29]
	s_waitcnt vmcnt(0)
	v_lshlrev_b32_e32 v20, 16, v20
	v_sub_f32_e32 v20, v20, v21
	global_store_short_d16_hi v[22:23], v20, off offset:32
	v_mul_f32_e32 v20, v42, v20
	v_lshrrev_b32_e32 v26, 16, v20
.LBB329_84:
	s_or_b64 exec, exec, s[0:1]
	s_mov_b32 s0, 0x5040100
	v_or_b32_e32 v22, v45, v35
	v_perm_b32 v21, v26, v30, s0
	v_perm_b32 v20, v31, v27, s0
	v_lshlrev_b32_e32 v22, 1, v22
	s_movk_i32 s2, 0x100
	ds_write_b64 v22, v[20:21] offset:45056
	v_and_b32_e32 v20, 7, v0
	v_and_b32_e32 v21, 8, v0
	v_cmp_gt_u32_e32 vcc, s2, v0
	v_lshrrev_b32_e32 v0, 1, v0
	v_lshlrev_b32_e32 v26, 3, v20
	v_lshlrev_b32_e32 v48, 7, v20
	v_mov_b32_e32 v20, 0x4000
	v_mov_b32_e32 v22, 0x2000
	v_lshlrev_b32_e32 v24, 3, v1
	v_and_b32_e32 v0, 24, v0
	v_cndmask_b32_e32 v27, v20, v22, vcc
	v_xor_b32_e32 v20, v24, v0
	v_or_b32_e32 v22, 0x440, v20
	v_cmp_eq_u32_e32 vcc, 0, v21
	v_or_b32_e32 v28, 32, v0
	v_xor_b32_e32 v28, v24, v28
	v_cndmask_b32_e32 v20, v22, v20, vcc
	v_or_b32_e32 v20, v20, v39
	v_xor_b32_e32 v49, v20, v26
	v_or_b32_e32 v29, 0x440, v28
	v_add3_u32 v25, v27, v49, v48
	v_cndmask_b32_e32 v28, v29, v28, vcc
	v_or_b32_e32 v29, 64, v0
	v_or_b32_e32 v0, 0x60, v0
	s_waitcnt lgkmcnt(0)
	s_barrier
	v_xor_b32_e32 v29, v24, v29
	v_xor_b32_e32 v0, v24, v0
	ds_read_b64 v[24:25], v25
	v_xor_b32_e32 v30, 0x440, v29
	ds_read2_b64 v[20:23], v19 offset1:16
	v_cndmask_b32_e32 v29, v30, v29, vcc
	v_xor_b32_e32 v30, 0x440, v0
	v_or_b32_e32 v28, v28, v39
	v_or_b32_e32 v29, v29, v39
	v_cndmask_b32_e32 v0, v30, v0, vcc
	s_add_i32 s0, s17, s51
	v_xor_b32_e32 v50, v28, v26
	v_xor_b32_e32 v51, v29, v26
	v_or_b32_e32 v0, v0, v39
	s_mul_hi_i32 s1, s0, s25
	v_add3_u32 v28, v27, v50, v48
	v_add3_u32 v29, v27, v51, v48
	v_xor_b32_e32 v52, v0, v26
	s_mul_i32 s0, s0, s25
	v_add3_u32 v0, v27, v52, v48
	ds_read_b64 v[26:27], v28
	ds_read_b64 v[42:43], v29
	;; [unrolled: 1-line block ×3, first 2 shown]
	s_add_u32 s0, s0, s33
	ds_read2st64_b64 v[28:31], v19 offset0:2 offset1:4
	ds_read2st64_b64 v[38:41], v18 offset0:2 offset1:4
	s_waitcnt lgkmcnt(5)
	v_mfma_f32_16x16x16_bf16 a[0:3], v[24:25], v[20:21], 0
	s_addc_u32 s1, s1, s50
	s_lshl_b64 s[0:1], s[0:1], 9
	s_add_u32 s0, s8, s0
	v_mfma_f32_16x16x16_bf16 a[4:7], v[24:25], v[22:23], 0
	s_addc_u32 s1, s9, s1
	v_lshlrev_b32_e32 v0, 2, v36
	ds_read_b64 v[36:37], v19 offset:3072
	ds_read_b64 v[46:47], v18 offset:3072
	s_waitcnt lgkmcnt(3)
	v_mfma_f32_16x16x16_bf16 a[0:3], v[26:27], v[28:29], a[0:3]
	s_waitcnt lgkmcnt(2)
	v_mfma_f32_16x16x16_bf16 a[4:7], v[26:27], v[38:39], a[4:7]
	global_load_dwordx4 v[24:27], v0, s[0:1]
	v_lshlrev_b32_e32 v0, 6, v1
	v_lshlrev_b32_e32 v1, 2, v34
	v_or3_b32 v0, v0, v1, s2
	global_load_dwordx4 v[32:35], v0, s[0:1]
	v_mfma_f32_16x16x16_bf16 a[0:3], v[42:43], v[30:31], a[0:3]
	v_mov_b32_e32 v0, 0x3fb8aa3b
	v_mul_f32_e32 v0, s16, v0
	s_waitcnt vmcnt(1)
	v_mul_f32_e32 v18, 0x3fb8aa3b, v26
	v_mfma_f32_16x16x16_bf16 a[4:7], v[42:43], v[40:41], a[4:7]
	v_exp_f32_e32 v42, v0
	v_mul_f32_e32 v0, 0x3fb8aa3b, v24
	v_exp_f32_e32 v24, v18
	s_waitcnt lgkmcnt(1)
	v_mfma_f32_16x16x16_bf16 a[0:3], v[44:45], v[36:37], a[0:3]
	v_add_u32_e32 v18, v49, v48
	v_mul_f32_e32 v19, 0x3fb8aa3b, v27
	v_mul_f32_e32 v1, 0x3fb8aa3b, v25
	v_exp_f32_e32 v0, v0
	v_exp_f32_e32 v1, v1
	;; [unrolled: 1-line block ×3, first 2 shown]
	v_pk_mul_f32 v[0:1], v[42:43], v[0:1] op_sel_hi:[0,1]
	v_accvgpr_read_b32 v27, a3
	v_accvgpr_read_b32 v26, a2
	s_waitcnt lgkmcnt(0)
	v_mfma_f32_16x16x16_bf16 a[2:5], v[44:45], v[46:47], a[4:7]
	ds_read_b64 v[44:45], v18 offset:16384
	v_accvgpr_read_b32 v19, a1
	v_accvgpr_read_b32 v18, a0
	v_pk_fma_f32 v[18:19], v[2:3], v[0:1], v[18:19]
	v_add_u32_e32 v2, v50, v48
	v_add_u32_e32 v50, v52, v48
	s_waitcnt lgkmcnt(0)
	v_mfma_f32_16x16x16_bf16 a[6:9], v[44:45], v[20:21], 0
	v_add_u32_e32 v43, v51, v48
	ds_read_b64 v[2:3], v2 offset:16384
	ds_read_b64 v[48:49], v43 offset:16384
	ds_read_b64 v[50:51], v50 offset:16384
	v_pk_mul_f32 v[24:25], v[42:43], v[24:25] op_sel_hi:[0,1]
	v_pk_fma_f32 v[20:21], v[4:5], v[24:25], v[26:27]
	v_accvgpr_read_b32 v4, a2
	v_mfma_f32_16x16x16_bf16 a[10:13], v[44:45], v[22:23], 0
	v_fma_f32 v26, v10, v0, v4
	v_accvgpr_read_b32 v0, a3
	v_fma_f32 v27, v11, v1, v0
	s_waitcnt lgkmcnt(2)
	v_mfma_f32_16x16x16_bf16 a[0:3], v[2:3], v[28:29], a[6:9]
	v_accvgpr_read_b32 v0, a4
	v_accvgpr_read_b32 v29, a5
	v_fma_f32 v28, v12, v24, v0
	v_mfma_f32_16x16x16_bf16 a[4:7], v[2:3], v[38:39], a[10:13]
	s_waitcnt vmcnt(0)
	v_mov_b32_e32 v0, v33
	v_mov_b32_e32 v1, v34
	;; [unrolled: 1-line block ×3, first 2 shown]
	s_waitcnt lgkmcnt(1)
	v_mfma_f32_16x16x16_bf16 a[0:3], v[48:49], v[30:31], a[0:3]
	v_mul_f32_e32 v0, 0x3fb8aa3b, v0
	v_exp_f32_e32 v5, v0
	v_mul_f32_e32 v0, 0x3fb8aa3b, v1
	v_mfma_f32_16x16x16_bf16 a[4:7], v[48:49], v[40:41], a[4:7]
	v_mul_f32_e32 v1, 0x3fb8aa3b, v2
	v_mul_f32_e32 v3, 0x3fb8aa3b, v32
	v_exp_f32_e32 v0, v0
	s_waitcnt lgkmcnt(0)
	v_mfma_f32_16x16x16_bf16 a[0:3], v[50:51], v[36:37], a[0:3]
	v_exp_f32_e32 v1, v1
	v_exp_f32_e32 v4, v3
	v_fmac_f32_e32 v29, v13, v25
	v_pk_mul_f32 v[0:1], v[42:43], v[0:1] op_sel_hi:[0,1]
	v_pk_mul_f32 v[4:5], v[42:43], v[4:5] op_sel_hi:[0,1]
	s_nop 1
	v_accvgpr_read_b32 v3, a3
	v_accvgpr_read_b32 v2, a2
	v_mfma_f32_16x16x16_bf16 a[2:5], v[50:51], v[46:47], a[4:7]
	v_pk_fma_f32 v[24:25], v[8:9], v[0:1], v[2:3]
	v_accvgpr_read_b32 v11, a1
	v_accvgpr_read_b32 v10, a0
	v_pk_fma_f32 v[22:23], v[6:7], v[4:5], v[10:11]
	s_nop 2
	v_accvgpr_read_b32 v2, a2
	v_fma_f32 v30, v14, v4, v2
	v_accvgpr_read_b32 v2, a3
	v_fma_f32 v31, v15, v5, v2
	v_accvgpr_read_b32 v2, a4
	v_accvgpr_read_b32 v33, a5
	v_fma_f32 v32, v16, v0, v2
	v_fmac_f32_e32 v33, v17, v1
	v_mov_b64_e32 v[2:3], v[18:19]
	v_mov_b64_e32 v[4:5], v[20:21]
	;; [unrolled: 1-line block ×8, first 2 shown]
.LBB329_85:
	s_add_u32 s0, s10, s34
	s_addc_u32 s1, s11, s35
	v_lshl_add_u64 v[0:1], v[56:57], 1, s[0:1]
	v_mov_b32_e32 v55, 0
	s_mov_b32 s2, 0x7060302
	v_lshl_add_u64 v[0:1], v[0:1], 0, v[54:55]
	v_perm_b32 v5, v5, v4, s2
	v_perm_b32 v4, v3, v2, s2
	;; [unrolled: 1-line block ×4, first 2 shown]
	global_store_dwordx2 v[0:1], v[4:5], off
	global_store_dwordx2 v[0:1], v[2:3], off offset:128
	v_lshl_add_u64 v[0:1], v[58:59], 1, s[0:1]
	v_lshl_add_u64 v[0:1], v[0:1], 0, v[54:55]
	v_perm_b32 v3, v13, v12, s2
	v_perm_b32 v2, v11, v10, s2
	global_store_dwordx2 v[0:1], v[2:3], off
	v_perm_b32 v3, v17, v16, s2
	v_perm_b32 v2, v15, v14, s2
	global_store_dwordx2 v[0:1], v[2:3], off offset:128
	s_endpgm
	.section	.rodata,"a",@progbits
	.p2align	6, 0x0
	.amdhsa_kernel _ZN12_GLOBAL__N_139chunk_gated_delta_rule_fwd_h_hip_kernelILi32ELb1ELb1ELb1ELb0ELb0ELb1ELb1ELb1EEEvPK12hip_bfloat16S3_S3_PKfS5_PKvPS1_S8_PvPKiSB_iiiiilll
		.amdhsa_group_segment_fixed_size 49152
		.amdhsa_private_segment_fixed_size 0
		.amdhsa_kernarg_size 136
		.amdhsa_user_sgpr_count 2
		.amdhsa_user_sgpr_dispatch_ptr 0
		.amdhsa_user_sgpr_queue_ptr 0
		.amdhsa_user_sgpr_kernarg_segment_ptr 1
		.amdhsa_user_sgpr_dispatch_id 0
		.amdhsa_user_sgpr_kernarg_preload_length 0
		.amdhsa_user_sgpr_kernarg_preload_offset 0
		.amdhsa_user_sgpr_private_segment_size 0
		.amdhsa_uses_dynamic_stack 0
		.amdhsa_enable_private_segment 0
		.amdhsa_system_sgpr_workgroup_id_x 1
		.amdhsa_system_sgpr_workgroup_id_y 1
		.amdhsa_system_sgpr_workgroup_id_z 0
		.amdhsa_system_sgpr_workgroup_info 0
		.amdhsa_system_vgpr_workitem_id 0
		.amdhsa_next_free_vgpr 172
		.amdhsa_next_free_sgpr 76
		.amdhsa_accum_offset 148
		.amdhsa_reserve_vcc 1
		.amdhsa_float_round_mode_32 0
		.amdhsa_float_round_mode_16_64 0
		.amdhsa_float_denorm_mode_32 3
		.amdhsa_float_denorm_mode_16_64 3
		.amdhsa_dx10_clamp 1
		.amdhsa_ieee_mode 1
		.amdhsa_fp16_overflow 0
		.amdhsa_tg_split 0
		.amdhsa_exception_fp_ieee_invalid_op 0
		.amdhsa_exception_fp_denorm_src 0
		.amdhsa_exception_fp_ieee_div_zero 0
		.amdhsa_exception_fp_ieee_overflow 0
		.amdhsa_exception_fp_ieee_underflow 0
		.amdhsa_exception_fp_ieee_inexact 0
		.amdhsa_exception_int_div_zero 0
	.end_amdhsa_kernel
	.section	.text._ZN12_GLOBAL__N_139chunk_gated_delta_rule_fwd_h_hip_kernelILi32ELb1ELb1ELb1ELb0ELb0ELb1ELb1ELb1EEEvPK12hip_bfloat16S3_S3_PKfS5_PKvPS1_S8_PvPKiSB_iiiiilll,"axG",@progbits,_ZN12_GLOBAL__N_139chunk_gated_delta_rule_fwd_h_hip_kernelILi32ELb1ELb1ELb1ELb0ELb0ELb1ELb1ELb1EEEvPK12hip_bfloat16S3_S3_PKfS5_PKvPS1_S8_PvPKiSB_iiiiilll,comdat
.Lfunc_end329:
	.size	_ZN12_GLOBAL__N_139chunk_gated_delta_rule_fwd_h_hip_kernelILi32ELb1ELb1ELb1ELb0ELb0ELb1ELb1ELb1EEEvPK12hip_bfloat16S3_S3_PKfS5_PKvPS1_S8_PvPKiSB_iiiiilll, .Lfunc_end329-_ZN12_GLOBAL__N_139chunk_gated_delta_rule_fwd_h_hip_kernelILi32ELb1ELb1ELb1ELb0ELb0ELb1ELb1ELb1EEEvPK12hip_bfloat16S3_S3_PKfS5_PKvPS1_S8_PvPKiSB_iiiiilll
                                        ; -- End function
	.section	.AMDGPU.csdata,"",@progbits
; Kernel info:
; codeLenInByte = 10220
; NumSgprs: 82
; NumVgprs: 148
; NumAgprs: 24
; TotalNumVgprs: 172
; ScratchSize: 0
; MemoryBound: 0
; FloatMode: 240
; IeeeMode: 1
; LDSByteSize: 49152 bytes/workgroup (compile time only)
; SGPRBlocks: 10
; VGPRBlocks: 21
; NumSGPRsForWavesPerEU: 82
; NumVGPRsForWavesPerEU: 172
; AccumOffset: 148
; Occupancy: 1
; WaveLimiterHint : 1
; COMPUTE_PGM_RSRC2:SCRATCH_EN: 0
; COMPUTE_PGM_RSRC2:USER_SGPR: 2
; COMPUTE_PGM_RSRC2:TRAP_HANDLER: 0
; COMPUTE_PGM_RSRC2:TGID_X_EN: 1
; COMPUTE_PGM_RSRC2:TGID_Y_EN: 1
; COMPUTE_PGM_RSRC2:TGID_Z_EN: 0
; COMPUTE_PGM_RSRC2:TIDIG_COMP_CNT: 0
; COMPUTE_PGM_RSRC3_GFX90A:ACCUM_OFFSET: 36
; COMPUTE_PGM_RSRC3_GFX90A:TG_SPLIT: 0
	.section	.text._ZN12_GLOBAL__N_139chunk_gated_delta_rule_fwd_h_hip_kernelILi32ELb1ELb1ELb0ELb0ELb0ELb1ELb1ELb1EEEvPK12hip_bfloat16S3_S3_PKfS5_PKvPS1_S8_PvPKiSB_iiiiilll,"axG",@progbits,_ZN12_GLOBAL__N_139chunk_gated_delta_rule_fwd_h_hip_kernelILi32ELb1ELb1ELb0ELb0ELb0ELb1ELb1ELb1EEEvPK12hip_bfloat16S3_S3_PKfS5_PKvPS1_S8_PvPKiSB_iiiiilll,comdat
	.globl	_ZN12_GLOBAL__N_139chunk_gated_delta_rule_fwd_h_hip_kernelILi32ELb1ELb1ELb0ELb0ELb0ELb1ELb1ELb1EEEvPK12hip_bfloat16S3_S3_PKfS5_PKvPS1_S8_PvPKiSB_iiiiilll ; -- Begin function _ZN12_GLOBAL__N_139chunk_gated_delta_rule_fwd_h_hip_kernelILi32ELb1ELb1ELb0ELb0ELb0ELb1ELb1ELb1EEEvPK12hip_bfloat16S3_S3_PKfS5_PKvPS1_S8_PvPKiSB_iiiiilll
	.p2align	8
	.type	_ZN12_GLOBAL__N_139chunk_gated_delta_rule_fwd_h_hip_kernelILi32ELb1ELb1ELb0ELb0ELb0ELb1ELb1ELb1EEEvPK12hip_bfloat16S3_S3_PKfS5_PKvPS1_S8_PvPKiSB_iiiiilll,@function
_ZN12_GLOBAL__N_139chunk_gated_delta_rule_fwd_h_hip_kernelILi32ELb1ELb1ELb0ELb0ELb0ELb1ELb1ELb1EEEvPK12hip_bfloat16S3_S3_PKfS5_PKvPS1_S8_PvPKiSB_iiiiilll: ; @_ZN12_GLOBAL__N_139chunk_gated_delta_rule_fwd_h_hip_kernelILi32ELb1ELb1ELb0ELb0ELb0ELb1ELb1ELb1EEEvPK12hip_bfloat16S3_S3_PKfS5_PKvPS1_S8_PvPKiSB_iiiiilll
; %bb.0:
	s_load_dwordx4 s[12:15], s[0:1], 0x5c
	s_abs_i32 s6, s3
	s_ashr_i32 s5, s3, 31
	s_load_dwordx4 s[16:19], s[0:1], 0x20
	s_load_dwordx2 s[38:39], s[0:1], 0x30
	v_and_b32_e32 v69, 15, v0
	s_waitcnt lgkmcnt(0)
	s_abs_i32 s4, s13
	v_cvt_f32_u32_e32 v1, s4
	s_sub_i32 s8, 0, s4
	s_ashr_i32 s7, s13, 31
	s_xor_b32 s5, s5, s7
	v_rcp_iflag_f32_e32 v1, v1
	v_bfe_u32 v68, v0, 4, 2
	v_mov_b32_e32 v55, 0
	v_lshlrev_b32_e32 v70, 3, v0
	v_mul_f32_e32 v1, 0x4f7ffffe, v1
	v_cvt_u32_f32_e32 v1, v1
	s_nop 0
	v_readfirstlane_b32 s9, v1
	s_mul_i32 s8, s8, s9
	s_mul_hi_u32 s8, s9, s8
	s_add_i32 s9, s9, s8
	s_mul_hi_u32 s8, s6, s9
	s_mul_i32 s9, s8, s4
	s_sub_i32 s6, s6, s9
	s_add_i32 s10, s8, 1
	s_sub_i32 s9, s6, s4
	s_cmp_ge_u32 s6, s4
	s_cselect_b32 s8, s10, s8
	s_cselect_b32 s6, s9, s6
	s_add_i32 s9, s8, 1
	s_cmp_ge_u32 s6, s4
	s_cselect_b32 s6, s9, s8
	s_xor_b32 s6, s6, s5
	s_sub_i32 s57, s6, s5
	s_mul_i32 s6, s57, s13
	s_sub_i32 s33, s3, s6
	s_abs_i32 s3, s14
	v_cvt_f32_u32_e32 v1, s3
	s_add_i32 s8, s12, 63
	s_ashr_i32 s9, s8, 31
	s_lshr_b32 s5, s9, 26
	v_rcp_iflag_f32_e32 v1, v1
	s_ashr_i32 s56, s12, 31
	s_add_i32 s8, s8, s5
	s_lshr_b32 s5, s56, 26
	v_mul_f32_e32 v1, 0x4f7ffffe, v1
	v_cvt_u32_f32_e32 v1, v1
	s_add_i32 s5, s12, s5
	s_ashr_i32 s59, s14, 31
	s_ashr_i32 s24, s8, 6
	;; [unrolled: 1-line block ×3, first 2 shown]
	s_xor_b32 s5, s7, s59
	s_sub_i32 s7, 0, s3
	v_readfirstlane_b32 s8, v1
	s_mul_i32 s7, s7, s8
	s_mul_hi_u32 s7, s8, s7
	s_add_i32 s8, s8, s7
	s_mul_hi_u32 s7, s4, s8
	s_mul_i32 s8, s7, s3
	s_sub_i32 s4, s4, s8
	s_lshl_b32 s2, s2, 5
	s_add_i32 s8, s7, 1
	s_sub_i32 s9, s4, s3
	s_cmp_ge_u32 s4, s3
	s_cselect_b32 s7, s8, s7
	s_cselect_b32 s4, s9, s4
	s_add_i32 s8, s7, 1
	s_cmp_ge_u32 s4, s3
	s_cselect_b32 s3, s8, s7
	s_xor_b32 s3, s3, s5
	s_sub_i32 s3, s3, s5
	s_abs_i32 s4, s3
	v_cvt_f32_u32_e32 v1, s4
	s_sub_i32 s7, 0, s4
	s_abs_i32 s5, s33
	s_xor_b32 s3, s33, s3
	v_rcp_iflag_f32_e32 v2, v1
	s_ashr_i32 s3, s3, 31
	v_lshrrev_b32_e32 v1, 6, v0
	v_or_b32_e32 v60, s2, v69
	v_mul_f32_e32 v2, 0x4f7ffffe, v2
	v_cvt_u32_f32_e32 v2, v2
	v_lshlrev_b32_e32 v53, 4, v1
	v_lshlrev_b32_e32 v56, 7, v60
	v_lshl_or_b32 v72, v68, 2, v53
	v_readfirstlane_b32 s8, v2
	s_mul_i32 s7, s7, s8
	s_mul_hi_u32 s7, s8, s7
	s_add_i32 s8, s8, s7
	s_mul_hi_u32 s7, s5, s8
	s_mul_i32 s8, s7, s4
	s_sub_i32 s5, s5, s8
	s_add_i32 s8, s7, 1
	s_sub_i32 s9, s5, s4
	s_cmp_ge_u32 s5, s4
	s_cselect_b32 s7, s8, s7
	s_cselect_b32 s5, s9, s5
	s_add_i32 s8, s7, 1
	s_cmp_ge_u32 s5, s4
	s_cselect_b32 s4, s8, s7
	s_xor_b32 s4, s4, s3
	s_sub_i32 s60, s4, s3
	s_ashr_i32 s3, s57, 31
	s_ashr_i32 s48, s33, 31
	s_mul_hi_i32 s4, s57, s13
	s_add_u32 s40, s6, s33
	s_addc_u32 s41, s4, s48
	s_lshl_b64 s[28:29], s[40:41], 15
	s_add_u32 s4, s18, s28
	s_addc_u32 s5, s19, s29
	v_ashrrev_i32_e32 v57, 31, v56
	v_lshl_add_u64 v[2:3], v[56:57], 1, s[4:5]
	v_lshlrev_b32_e32 v54, 1, v72
	v_or_b32_e32 v58, 0x800, v56
	v_lshl_add_u64 v[2:3], v[2:3], 0, v[54:55]
	v_ashrrev_i32_e32 v59, 31, v58
	global_load_dwordx2 v[6:7], v[2:3], off
	global_load_dwordx2 v[10:11], v[2:3], off offset:128
	v_lshl_add_u64 v[2:3], v[58:59], 1, s[4:5]
	v_lshl_add_u64 v[2:3], v[2:3], 0, v[54:55]
	global_load_dwordx2 v[12:13], v[2:3], off
	global_load_dwordx2 v[14:15], v[2:3], off offset:128
	s_load_dwordx2 s[18:19], s[0:1], 0x40
	s_load_dwordx8 s[4:11], s[0:1], 0x0
	s_load_dwordx2 s[30:31], s[0:1], 0x80
	s_load_dwordx4 s[20:23], s[0:1], 0x70
	v_and_b32_e32 v55, 63, v0
	v_lshrrev_b32_e32 v71, 3, v55
	v_or_b32_e32 v73, 64, v72
	s_mul_i32 s49, s57, s12
	s_waitcnt lgkmcnt(0)
	s_mul_i32 s50, s57, s21
	s_mul_hi_u32 s51, s57, s20
	s_mul_i32 s34, s57, s20
	s_mul_i32 s61, s57, s24
	s_mul_i32 s52, s33, s23
	s_mul_hi_u32 s53, s33, s22
	s_mul_i32 s55, s3, s20
	s_mul_i32 s54, s48, s22
	s_mul_hi_u32 s62, s40, s12
	s_mul_i32 s42, s40, s12
	s_mul_i32 s41, s41, s12
	s_cmp_lt_i32 s12, 64
	s_mul_i32 s36, s33, s22
	s_waitcnt vmcnt(3)
	v_and_b32_e32 v3, 0xffff0000, v6
	v_lshlrev_b32_e32 v2, 16, v6
	v_and_b32_e32 v5, 0xffff0000, v7
	v_lshlrev_b32_e32 v4, 16, v7
	s_waitcnt vmcnt(2)
	v_and_b32_e32 v7, 0xffff0000, v10
	v_lshlrev_b32_e32 v6, 16, v10
	v_and_b32_e32 v9, 0xffff0000, v11
	v_lshlrev_b32_e32 v8, 16, v11
	;; [unrolled: 5-line block ×4, first 2 shown]
	s_cbranch_scc1 .LBB330_3
; %bb.1:
	s_add_i32 s43, s62, s41
	s_lshl_b64 s[0:1], s[42:43], 8
	v_and_b32_e32 v81, 56, v70
	s_add_u32 s20, s6, s0
	v_lshl_or_b32 v80, v1, 3, v71
	v_lshlrev_b32_e32 v10, 1, v81
	s_addc_u32 s0, s7, s1
	v_lshl_or_b32 v82, v80, 8, v10
	s_and_b32 s21, s0, 0xffff
	s_mov_b32 s23, 0x20000
	s_movk_i32 s22, 0x4000
	s_movk_i32 s0, 0x80
	v_or_b32_e32 v84, 0x2000, v82
	buffer_load_dwordx4 v[12:15], v82, s[20:23], 0 offen
	buffer_load_dwordx4 v[16:19], v82, s[20:23], s0 offen
	buffer_load_dwordx4 v[20:23], v84, s[20:23], 0 offen
	buffer_load_dwordx4 v[24:27], v84, s[20:23], s0 offen
	v_lshlrev_b32_e32 v11, 3, v80
	v_and_or_b32 v29, v0, 7, v11
	v_and_b32_e32 v11, 0x78, v11
	v_lshlrev_b32_e32 v29, 4, v29
	v_xor_b32_e32 v86, v29, v11
	v_mul_lo_u32 v28, v80, s15
	v_or_b32_e32 v87, 0x1000, v86
	v_xor_b32_e32 v11, 8, v86
	s_cmpk_eq_i32 s15, 0x80
	s_mov_b32 s63, s14
	v_xor_b32_e32 v29, 8, v87
	s_cselect_b64 s[0:1], -1, 0
	s_cmpk_lg_i32 s15, 0x80
	s_waitcnt vmcnt(3)
	ds_write_b64 v86, v[12:13] offset:24576
	ds_write_b64 v11, v[14:15] offset:24576
	s_waitcnt vmcnt(2)
	ds_write_b64 v86, v[16:17] offset:32768
	ds_write_b64 v11, v[18:19] offset:32768
	;; [unrolled: 3-line block ×4, first 2 shown]
	v_lshl_add_u32 v11, v28, 1, v81
	s_cbranch_scc0 .LBB330_4
; %bb.2:
	v_lshlrev_b32_e32 v13, 1, v11
	v_add_lshl_u32 v12, v11, s15, 1
	s_lshl_b32 s22, s15, 7
	v_lshl_or_b32 v10, v80, 9, v10
	s_cbranch_execz .LBB330_5
	s_branch .LBB330_6
.LBB330_3:
	v_mov_b32_e32 v17, v83
	v_mov_b32_e32 v16, v79
	;; [unrolled: 1-line block ×5, first 2 shown]
	s_branch .LBB330_20
.LBB330_4:
                                        ; implicit-def: $vgpr12
                                        ; implicit-def: $vgpr13
                                        ; implicit-def: $sgpr22
	v_lshl_or_b32 v10, v80, 9, v10
.LBB330_5:
	v_or_b32_e32 v12, 0x100, v10
	s_movk_i32 s22, 0x4000
	v_mov_b32_e32 v13, v10
.LBB330_6:
	s_mul_hi_u32 s20, s14, s12
	s_mul_i32 s21, s59, s12
	s_add_i32 s20, s20, s21
	s_mul_i32 s21, s14, s12
	s_mul_i32 s23, s21, s3
	s_mul_hi_u32 s24, s21, s57
	s_add_i32 s23, s24, s23
	s_mul_i32 s20, s20, s57
	s_add_i32 s23, s23, s20
	s_mul_i32 s21, s21, s57
	s_ashr_i32 s64, s60, 31
	s_add_u32 s20, s21, s60
	s_addc_u32 s21, s23, s64
	s_lshl_b64 s[20:21], s[20:21], 8
	s_add_u32 s20, s4, s20
	s_addc_u32 s21, s5, s21
	s_and_b32 s21, s21, 0xffff
	s_mov_b32 s23, 0x20000
	s_movk_i32 s65, 0x80
	buffer_load_dwordx4 v[14:17], v13, s[20:23], 0 offen
	buffer_load_dwordx4 v[18:21], v13, s[20:23], s65 offen
	;; [unrolled: 1-line block ×4, first 2 shown]
	v_and_b32_e32 v12, 6, v0
	v_lshlrev_b32_e32 v31, 6, v72
	v_or_b32_e32 v33, 16, v69
	v_xor_b32_e32 v34, v80, v12
	v_and_b32_e32 v13, 1, v0
	s_mul_i32 s3, s3, s12
	s_mul_hi_u32 s20, s57, s12
	v_lshl_or_b32 v37, v69, 3, v31
	v_lshl_or_b32 v31, v33, 3, v31
	v_lshlrev_b32_e32 v34, 2, v34
	v_lshlrev_b32_e32 v30, 2, v69
	v_or_b32_e32 v90, 0xa000, v31
	v_or_b32_e32 v91, 0xb000, v31
	v_xor_b32_e32 v31, 0x440, v34
	v_cmp_eq_u32_e32 vcc, 0, v13
	s_add_i32 s69, s20, s3
	s_add_i32 s3, s51, s50
	v_xor_b32_e32 v35, v72, v30
	v_xor_b32_e32 v36, v73, v30
	v_cndmask_b32_e32 v13, v31, v34, vcc
	s_add_i32 s35, s3, s55
	s_add_i32 s3, s53, s52
	s_mov_b32 s67, 0x1000504
	v_lshlrev_b32_e32 v32, 8, v69
	v_lshlrev_b32_e32 v35, 1, v35
	;; [unrolled: 1-line block ×3, first 2 shown]
	v_lshl_or_b32 v12, v12, 10, v13
	s_add_i32 s37, s3, s54
	s_lshl_b64 s[20:21], s[34:35], 2
	s_mov_b32 s68, 0x3020706
	v_or_b32_e32 v88, 0xa000, v37
	v_or_b32_e32 v89, 0xb000, v37
	;; [unrolled: 1-line block ×4, first 2 shown]
	v_xor_b32_e32 v13, 8, v12
	v_xor_b32_e32 v32, 24, v12
	;; [unrolled: 1-line block ×4, first 2 shown]
	s_add_u32 s3, s10, s20
	v_xor_b32_e32 v31, 16, v12
	v_xor_b32_e32 v34, 32, v12
	;; [unrolled: 1-line block ×3, first 2 shown]
	v_add_u32_e32 v13, 0x80, v13
	v_add_u32_e32 v32, 0x80, v32
	;; [unrolled: 1-line block ×4, first 2 shown]
	s_addc_u32 s22, s11, s21
	s_lshl_b64 s[20:21], s[36:37], 2
	s_add_u32 s44, s3, s20
	s_movk_i32 s3, 0xf8
	s_addc_u32 s45, s22, s21
	s_lshl_b32 s26, s15, 7
	s_movk_i32 s24, 0x100
	v_mov_b32_e32 v63, 0
	v_lshlrev_b32_e32 v62, 4, v69
	v_cmp_gt_u32_e32 vcc, s24, v0
	v_lshlrev_b32_e32 v33, 8, v33
	v_ashrrev_i32_e32 v61, 31, v60
	s_mov_b32 s66, 0
	v_or_b32_e32 v94, v33, v35
	v_or_b32_e32 v95, v33, v36
	s_movk_i32 s35, 0x1000
	s_movk_i32 s22, 0x4000
	v_lshl_add_u64 v[64:65], v[60:61], 1, s[8:9]
	s_mov_b32 s37, 0x7060302
	v_mov_b32_e32 v118, 0x3fb8aa3b
	s_mov_b32 s71, 0
	s_waitcnt vmcnt(1)
	v_perm_b32 v40, v14, v22, s67
	s_waitcnt vmcnt(0)
	v_perm_b32 v41, v18, v26, s67
	v_perm_b32 v14, v14, v22, s68
	;; [unrolled: 1-line block ×15, first 2 shown]
	ds_write2st64_b32 v12, v40, v41 offset0:32 offset1:64
	ds_write2st64_b32 v13, v14, v18 offset0:32 offset1:64
	;; [unrolled: 1-line block ×8, first 2 shown]
	v_or_b32_e32 v12, v53, v69
	v_lshlrev_b32_e32 v12, 3, v12
	v_lshrrev_b32_e32 v15, 5, v55
	v_and_or_b32 v15, v12, s3, v15
	v_lshlrev_b32_e32 v15, 4, v15
	v_lshlrev_b32_e32 v17, 11, v1
	v_and_b32_e32 v12, 0x78, v12
	v_or_b32_e32 v20, 32, v15
	v_and_b32_e32 v14, 0x1000, v17
	v_lshrrev_b32_e32 v18, 1, v55
	v_xor_b32_e32 v20, v20, v12
	v_xor_b32_e32 v16, v15, v12
	v_and_b32_e32 v18, 8, v18
	v_or_b32_e32 v20, v20, v14
	v_or_b32_e32 v16, v16, v14
	v_lshlrev_b32_e32 v19, 7, v68
	v_xor_b32_e32 v98, v20, v18
	v_or_b32_e32 v20, 64, v15
	v_or_b32_e32 v15, 0x60, v15
	s_ashr_i32 s3, s2, 31
	v_xor_b32_e32 v96, v16, v18
	v_or_b32_e32 v16, v19, v30
	v_xor_b32_e32 v20, v20, v12
	v_xor_b32_e32 v12, v15, v12
	s_lshl_b64 s[20:21], s[2:3], 8
	v_lshlrev_b32_e32 v16, 1, v16
	v_or_b32_e32 v20, v20, v14
	v_or_b32_e32 v12, v12, v14
	s_add_u32 s20, s38, s20
	v_lshlrev_b32_e32 v14, 1, v69
	v_or_b32_e32 v97, 0xa000, v16
	v_or_b32_e32 v99, 0xa080, v16
	;; [unrolled: 1-line block ×4, first 2 shown]
	v_lshrrev_b32_e32 v16, 4, v0
	s_addc_u32 s21, s39, s21
	v_or_b32_e32 v15, 1, v14
	v_mov_b32_e32 v25, 0x4000
	v_mov_b32_e32 v26, 0x2000
	v_lshrrev_b32_e32 v27, 1, v0
	v_xor_b32_e32 v100, v20, v18
	v_xor_b32_e32 v101, v12, v18
	;; [unrolled: 1-line block ×4, first 2 shown]
	v_lshl_add_u64 v[14:15], s[20:21], 0, v[62:63]
	v_lshlrev_b32_e32 v62, 8, v16
	v_cndmask_b32_e32 v25, v25, v26, vcc
	v_lshlrev_b32_e32 v26, 3, v1
	v_and_b32_e32 v27, 24, v27
	v_lshl_or_b32 v104, v18, 3, v62
	v_and_b32_e32 v18, 8, v0
	v_xor_b32_e32 v28, v26, v27
	v_or_b32_e32 v29, 0x440, v28
	v_cmp_eq_u32_e32 vcc, 0, v18
	v_and_b32_e32 v16, 7, v0
	v_lshl_or_b32 v105, v22, 3, v62
	v_cndmask_b32_e32 v18, v29, v28, vcc
	v_lshlrev_b32_e32 v22, 3, v16
	v_lshlrev_b32_e32 v24, 2, v0
	v_or_b32_e32 v18, v18, v17
	v_xor_b32_e32 v28, v18, v22
	v_and_or_b32 v18, v24, 60, v19
	v_mov_b32_e32 v19, 0xb000
	v_lshl_or_b32 v106, v18, 1, v19
	v_or_b32_e32 v18, 32, v27
	v_xor_b32_e32 v18, v26, v18
	v_or_b32_e32 v19, 0x440, v18
	v_cndmask_b32_e32 v18, v19, v18, vcc
	v_or_b32_e32 v18, v18, v17
	v_xor_b32_e32 v19, v18, v22
	v_or_b32_e32 v18, 64, v27
	v_xor_b32_e32 v18, v26, v18
	v_xor_b32_e32 v30, 0x440, v18
	v_cndmask_b32_e32 v18, v30, v18, vcc
	v_or_b32_e32 v18, v18, v17
	v_xor_b32_e32 v30, v18, v22
	v_or_b32_e32 v18, 0x60, v27
	v_xor_b32_e32 v18, v26, v18
	v_xor_b32_e32 v26, 0x440, v18
	v_cndmask_b32_e32 v18, v26, v18, vcc
	v_lshrrev_b32_e32 v13, 2, v55
	v_or_b32_e32 v17, v18, v17
	v_and_b32_e32 v13, 12, v13
	v_xor_b32_e32 v17, v17, v22
	v_lshlrev_b32_e32 v12, 7, v72
	v_lshlrev_b32_e32 v20, 1, v11
	v_add_lshl_u32 v11, v11, s15, 1
	v_or_b32_e32 v21, 0x100, v10
	v_lshlrev_b32_e32 v23, 7, v16
	v_or_b32_e32 v16, v13, v53
	v_add_u32_e32 v29, v25, v28
	v_add_u32_e32 v24, v25, v19
	;; [unrolled: 1-line block ×4, first 2 shown]
	v_or3_b32 v18, v53, v13, 64
	v_add_u32_e32 v13, 0x4000, v28
	v_add_u32_e32 v19, 0x4000, v19
	;; [unrolled: 1-line block ×4, first 2 shown]
	v_cndmask_b32_e64 v107, v20, v10, s[0:1]
	v_cndmask_b32_e64 v108, v11, v21, s[0:1]
	v_lshl_add_u64 v[66:67], v[14:15], 0, v[62:63]
	s_add_i32 s3, s49, 63
	v_lshlrev_b32_e32 v62, 1, v12
	v_lshlrev_b32_e32 v61, 2, v16
	v_add_u32_e32 v109, v29, v23
	v_add_u32_e32 v110, v24, v23
	v_add_u32_e32 v111, v31, v23
	v_add_u32_e32 v112, v22, v23
	v_lshlrev_b32_e32 v113, 2, v18
	v_add_u32_e32 v114, v13, v23
	v_add_u32_e32 v115, v19, v23
	;; [unrolled: 1-line block ×4, first 2 shown]
	s_waitcnt lgkmcnt(0)
	s_barrier
.LBB330_7:                              ; =>This Inner Loop Header: Depth=1
	s_add_i32 s70, s71, 1
	s_cmp_lt_i32 s70, s58
	s_mov_b64 s[24:25], 0
	s_cselect_b64 s[46:47], -1, 0
	s_cmp_ge_i32 s70, s58
	s_mov_b64 s[20:21], 0
	s_cbranch_scc1 .LBB330_9
; %bb.8:                                ;   in Loop: Header=BB330_7 Depth=1
	s_add_i32 s0, s66, 64
	s_add_u32 s0, s42, s0
	s_addc_u32 s1, s43, 0
	s_lshl_b64 s[0:1], s[0:1], 8
	s_add_u32 s20, s6, s0
	s_addc_u32 s21, s7, s1
.LBB330_9:                              ;   in Loop: Header=BB330_7 Depth=1
	v_cndmask_b32_e64 v10, 0, 1, s[46:47]
	v_cmp_ne_u32_e64 s[0:1], 1, v10
	s_andn2_b64 vcc, exec, s[46:47]
	s_cbranch_vccnz .LBB330_11
; %bb.10:                               ;   in Loop: Header=BB330_7 Depth=1
	s_add_i32 s24, s66, 64
	s_add_u32 s24, s49, s24
	s_addc_u32 s25, s69, 0
	s_mul_i32 s27, s24, s59
	s_mul_hi_u32 s46, s24, s63
	s_add_i32 s27, s46, s27
	s_mul_i32 s25, s25, s63
	s_add_i32 s27, s27, s25
	s_mul_i32 s24, s24, s63
	s_add_u32 s24, s24, s60
	s_addc_u32 s25, s27, s64
	s_lshl_b64 s[24:25], s[24:25], 8
	s_add_u32 s24, s4, s24
	s_addc_u32 s25, s5, s25
.LBB330_11:                             ;   in Loop: Header=BB330_7 Depth=1
	v_perm_b32 v11, v5, v4, s37
	v_perm_b32 v10, v3, v2, s37
	;; [unrolled: 1-line block ×4, first 2 shown]
	ds_write_b64 v88, v[10:11]
	ds_write_b64 v89, v[12:13]
	;; [unrolled: 1-line block ×4, first 2 shown]
	v_perm_b32 v11, v85, v76, s37
	v_perm_b32 v10, v75, v74, s37
	;; [unrolled: 1-line block ×4, first 2 shown]
	ds_write_b64 v90, v[10:11]
	ds_write_b64 v91, v[12:13]
	ds_write_b64 v94, v[10:11]
	ds_write_b64 v95, v[12:13]
	s_waitcnt lgkmcnt(0)
	s_barrier
	ds_read_b64 v[14:15], v96 offset:24576
	ds_read2_b64 v[10:13], v97 offset1:16
	ds_read_b64 v[18:19], v99 offset:3072
	ds_read_b64 v[20:21], v97 offset:3072
	;; [unrolled: 1-line block ×3, first 2 shown]
	s_waitcnt lgkmcnt(3)
	v_mfma_f32_16x16x16_bf16 a[0:3], v[14:15], v[10:11], 0
	s_add_i32 s27, s66, 63
	s_mul_i32 s46, s27, s31
	s_mul_hi_u32 s47, s27, s30
	v_mfma_f32_16x16x16_bf16 a[4:7], v[14:15], v[12:13], 0
	ds_read2st64_b64 v[10:13], v97 offset0:2 offset1:4
	ds_read2st64_b64 v[14:17], v99 offset0:2 offset1:4
	s_add_i32 s47, s47, s46
	s_waitcnt lgkmcnt(1)
	v_mfma_f32_16x16x16_bf16 a[0:3], v[22:23], v[10:11], a[0:3]
	s_mul_i32 s46, s27, s30
	s_lshl_b64 s[46:47], s[46:47], 2
	s_add_u32 s46, s44, s46
	s_waitcnt lgkmcnt(0)
	v_mfma_f32_16x16x16_bf16 a[4:7], v[22:23], v[14:15], a[4:7]
	ds_read_b64 v[10:11], v100 offset:24576
	ds_read_b64 v[14:15], v101 offset:24576
	s_addc_u32 s47, s45, s47
	s_and_b64 vcc, exec, s[0:1]
	s_waitcnt lgkmcnt(1)
	v_mfma_f32_16x16x16_bf16 a[0:3], v[10:11], v[12:13], a[0:3]
	v_mov_b32_e32 v121, 0
	v_mov_b32_e32 v120, 0
	v_mov_b32_e32 v119, 0
	v_mfma_f32_16x16x16_bf16 a[4:7], v[10:11], v[16:17], a[4:7]
	v_mov_b32_e32 v10, 0
	v_mov_b32_e32 v11, 0
	;; [unrolled: 1-line block ×3, first 2 shown]
	s_waitcnt lgkmcnt(0)
	v_mfma_f32_16x16x16_bf16 a[0:3], v[14:15], v[20:21], a[0:3]
	v_mov_b32_e32 v13, 0
	v_mov_b32_e32 v16, 0
	;; [unrolled: 1-line block ×3, first 2 shown]
	v_mfma_f32_16x16x16_bf16 a[4:7], v[14:15], v[18:19], a[4:7]
	v_mov_b32_e32 v14, 0
	v_mov_b32_e32 v15, 0
	;; [unrolled: 1-line block ×10, first 2 shown]
	s_cbranch_vccnz .LBB330_13
; %bb.12:                               ;   in Loop: Header=BB330_7 Depth=1
	s_and_b32 s21, s21, 0xffff
	buffer_load_dwordx4 v[22:25], v82, s[20:23], 0 offen
	buffer_load_dwordx4 v[18:21], v82, s[20:23], s65 offen
	;; [unrolled: 1-line block ×4, first 2 shown]
	v_mov_b32_e32 v120, v86
	v_mov_b32_e32 v119, v87
.LBB330_13:                             ;   in Loop: Header=BB330_7 Depth=1
	ds_read_b64 v[30:31], v96 offset:32768
	ds_read2_b64 v[26:29], v102 offset1:16
	ds_read_b64 v[34:35], v98 offset:32768
	ds_read_b64 v[36:37], v100 offset:32768
	;; [unrolled: 1-line block ×3, first 2 shown]
	v_add_u32_e32 v40, s66, v72
	s_waitcnt lgkmcnt(3)
	v_mfma_f32_16x16x16_bf16 a[0:3], v[30:31], v[26:27], a[0:3]
	v_mul_lo_u32 v41, v40, s31
	v_mov_b32_e32 v122, 0
	v_mfma_f32_16x16x16_bf16 a[4:7], v[30:31], v[28:29], a[4:7]
	ds_read2st64_b64 v[26:29], v102 offset0:2 offset1:4
	ds_read2st64_b64 v[30:33], v103 offset0:2 offset1:4
	s_waitcnt lgkmcnt(1)
	v_mfma_f32_16x16x16_bf16 a[0:3], v[34:35], v[26:27], a[0:3]
	v_ashrrev_i32_e32 v26, 31, v40
	v_mul_lo_u32 v42, v26, s30
	v_mad_u64_u32 v[26:27], s[20:21], v40, s30, 0
	v_mfma_f32_16x16x16_bf16 a[0:3], v[36:37], v[28:29], a[0:3]
	v_add_u32_e32 v28, 1, v40
	v_ashrrev_i32_e32 v29, 31, v28
	v_add3_u32 v27, v27, v41, v42
	s_waitcnt lgkmcnt(0)
	v_mfma_f32_16x16x16_bf16 a[4:7], v[34:35], v[30:31], a[4:7]
	v_mul_lo_u32 v30, v29, s30
	v_mul_lo_u32 v31, v28, s31
	v_mad_u64_u32 v[28:29], s[20:21], v28, s30, 0
	v_add3_u32 v29, v29, v31, v30
	v_add_u32_e32 v30, 2, v40
	v_ashrrev_i32_e32 v31, 31, v30
	v_mul_lo_u32 v34, v31, s30
	v_mul_lo_u32 v35, v30, s31
	v_mad_u64_u32 v[30:31], s[20:21], v30, s30, 0
	v_add3_u32 v31, v31, v35, v34
	v_add_u32_e32 v34, 3, v40
	v_ashrrev_i32_e32 v35, 31, v34
	v_mul_lo_u32 v40, v35, s30
	v_mul_lo_u32 v41, v34, s31
	v_mad_u64_u32 v[34:35], s[20:21], v34, s30, 0
	s_add_u32 s20, s42, s66
	s_addc_u32 s21, s43, 0
	s_lshl_b64 s[20:21], s[20:21], 8
	v_lshl_add_u64 v[26:27], v[26:27], 2, s[44:45]
	v_lshl_add_u64 v[28:29], v[28:29], 2, s[44:45]
	v_add3_u32 v35, v35, v41, v40
	v_lshl_add_u64 v[40:41], v[64:65], 0, s[20:21]
	v_lshl_add_u64 v[30:31], v[30:31], 2, s[44:45]
	v_lshl_add_u64 v[40:41], v[40:41], 0, v[62:63]
	global_load_dword v42, v[26:27], off
	global_load_ushort v43, v[40:41], off offset:256
	global_load_ushort v44, v[40:41], off
	global_load_ushort v45, v[40:41], off offset:768
	global_load_ushort v46, v[40:41], off offset:512
	v_lshl_add_u64 v[26:27], v[34:35], 2, s[44:45]
	global_load_dword v47, v[28:29], off
	global_load_dword v48, v[30:31], off
	;; [unrolled: 1-line block ×3, first 2 shown]
	ds_read_b64 v[26:27], v102 offset:3072
	ds_read_b64 v[28:29], v103 offset:3072
	global_load_ushort v50, v[40:41], off offset:800
	global_load_ushort v51, v[40:41], off offset:544
	;; [unrolled: 1-line block ×3, first 2 shown]
	s_nop 0
	global_load_ushort v40, v[40:41], off offset:32
	s_load_dword s20, s[46:47], 0x0
	v_mfma_f32_16x16x16_bf16 a[4:7], v[36:37], v[32:33], a[4:7]
	s_and_b64 vcc, exec, s[0:1]
	v_mov_b32_e32 v41, 0
	s_waitcnt vmcnt(11) lgkmcnt(0)
	v_sub_f32_e32 v36, s20, v42
	v_mfma_f32_16x16x16_bf16 a[0:3], v[38:39], v[26:27], a[0:3]
	v_mul_f32_e32 v36, 0x3fb8aa3b, v36
	v_exp_f32_e32 v36, v36
	s_waitcnt vmcnt(6)
	v_sub_f32_e32 v37, s20, v47
	v_mfma_f32_16x16x16_bf16 a[4:7], v[38:39], v[28:29], a[4:7]
	s_waitcnt vmcnt(5)
	v_sub_f32_e32 v38, s20, v48
	s_waitcnt vmcnt(4)
	v_sub_f32_e32 v39, s20, v49
	v_mul_f32_e32 v37, 0x3fb8aa3b, v37
	v_mul_f32_e32 v38, 0x3fb8aa3b, v38
	;; [unrolled: 1-line block ×3, first 2 shown]
	v_exp_f32_e32 v37, v37
	v_exp_f32_e32 v38, v38
	;; [unrolled: 1-line block ×3, first 2 shown]
	v_accvgpr_read_b32 v31, a1
	v_accvgpr_read_b32 v27, a3
	;; [unrolled: 1-line block ×4, first 2 shown]
	v_lshlrev_b32_e32 v33, 16, v43
	v_lshlrev_b32_e32 v32, 16, v44
	;; [unrolled: 1-line block ×4, first 2 shown]
	v_pk_add_f32 v[30:31], v[32:33], v[30:31] neg_lo:[0,1] neg_hi:[0,1]
	v_pk_add_f32 v[26:27], v[34:35], v[26:27] neg_lo:[0,1] neg_hi:[0,1]
	v_pk_mul_f32 v[30:31], v[36:37], v[30:31]
	v_pk_mul_f32 v[26:27], v[38:39], v[26:27]
	v_accvgpr_read_b32 v33, a5
	v_perm_b32 v27, v27, v26, s37
	v_perm_b32 v26, v31, v30, s37
	s_waitcnt vmcnt(1)
	v_lshlrev_b32_e32 v31, 16, v52
	s_waitcnt vmcnt(0)
	v_lshlrev_b32_e32 v30, 16, v40
	v_accvgpr_read_b32 v32, a4
	v_accvgpr_read_b32 v29, a7
	;; [unrolled: 1-line block ×3, first 2 shown]
	v_pk_add_f32 v[30:31], v[30:31], v[32:33] neg_lo:[0,1] neg_hi:[0,1]
	v_lshlrev_b32_e32 v33, 16, v50
	v_lshlrev_b32_e32 v32, 16, v51
	v_pk_add_f32 v[28:29], v[32:33], v[28:29] neg_lo:[0,1] neg_hi:[0,1]
	v_pk_mul_f32 v[30:31], v[36:37], v[30:31]
	v_pk_mul_f32 v[28:29], v[38:39], v[28:29]
	v_mov_b32_e32 v32, 0
	v_perm_b32 v29, v29, v28, s37
	v_perm_b32 v28, v31, v30, s37
	ds_write2_b64 v89, v[26:27], v[28:29] offset1:16
	v_mov_b32_e32 v26, 0
	v_mov_b32_e32 v27, 0
	;; [unrolled: 1-line block ×14, first 2 shown]
	s_cbranch_vccnz .LBB330_15
; %bb.14:                               ;   in Loop: Header=BB330_7 Depth=1
	s_and_b32 s25, s25, 0xffff
	s_mov_b32 s27, s23
	buffer_load_dwordx4 v[38:41], v107, s[24:27], 0 offen
	buffer_load_dwordx4 v[30:33], v107, s[24:27], s65 offen
	;; [unrolled: 1-line block ×4, first 2 shown]
	v_mov_b32_e32 v121, v81
	v_mov_b32_e32 v122, v80
.LBB330_15:                             ;   in Loop: Header=BB330_7 Depth=1
	s_waitcnt lgkmcnt(0)
	s_barrier
	ds_read_b64 v[46:47], v109
	ds_read_b64 v[128:129], v106
	;; [unrolled: 1-line block ×5, first 2 shown]
	ds_read_b64 v[142:143], v103 offset:3072
	ds_read2_b64 v[42:45], v102 offset0:16 offset1:128
	s_waitcnt lgkmcnt(5)
	v_mfma_f32_16x16x16_bf16 a[0:3], v[46:47], v[128:129], 0
	ds_read2st64_b64 v[48:51], v103 offset0:2 offset1:4
	s_add_i32 s21, s61, s71
	s_mul_hi_i32 s25, s21, s13
	s_waitcnt lgkmcnt(1)
	v_mfma_f32_16x16x16_bf16 a[4:7], v[46:47], v[42:43], 0
	ds_read_b64 v[46:47], v114
	s_mul_i32 s21, s21, s13
	s_add_u32 s24, s21, s33
	s_waitcnt lgkmcnt(1)
	v_mfma_f32_16x16x16_bf16 a[4:7], v[130:131], v[48:49], a[4:7]
	s_addc_u32 s25, s25, s48
	s_add_i32 s21, s3, s66
	s_lshl_b64 s[24:25], s[24:25], 15
	s_mul_hi_i32 s27, s21, s13
	s_mul_i32 s21, s21, s13
	s_add_u32 s46, s21, s33
	v_mfma_f32_16x16x16_bf16 a[8:11], v[132:133], v[50:51], a[4:7]
	s_addc_u32 s47, s27, s48
	ds_read2st64_b64 v[124:127], v102 offset0:4 offset1:6
	s_lshl_b64 s[46:47], s[46:47], 9
	s_waitcnt lgkmcnt(1)
	v_mfma_f32_16x16x16_bf16 a[4:7], v[46:47], v[128:129], 0
	s_add_u32 s46, s16, s46
	s_addc_u32 s47, s17, s47
	v_mfma_f32_16x16x16_bf16 a[0:3], v[130:131], v[44:45], a[0:3]
	ds_read_b64 v[130:131], v115
	ds_read_b64 v[138:139], v116
	;; [unrolled: 1-line block ×3, first 2 shown]
	v_mfma_f32_16x16x16_bf16 a[12:15], v[46:47], v[42:43], 0
	s_waitcnt lgkmcnt(2)
	v_mfma_f32_16x16x16_bf16 a[4:7], v[130:131], v[44:45], a[4:7]
	global_load_dwordx4 v[42:45], v113, s[46:47]
	v_mfma_f32_16x16x16_bf16 a[12:15], v[130:131], v[48:49], a[12:15]
	global_load_dwordx4 v[46:49], v61, s[46:47]
	ds_read2st64_b64 v[128:131], v104 offset1:8
	s_waitcnt lgkmcnt(0)
	v_mov_b32_e32 v136, v128
	v_mfma_f32_16x16x16_bf16 a[0:3], v[132:133], v[124:125], a[0:3]
	ds_read2st64_b64 v[132:135], v105 offset1:8
	v_mov_b32_e32 v137, v129
	v_mfma_f32_16x16x16_bf16 a[16:19], v[138:139], v[124:125], a[4:7]
	v_lshl_add_u64 v[124:125], v[66:67], 0, s[24:25]
	v_mfma_f32_16x16x16_bf16 a[20:23], v[138:139], v[50:51], a[12:15]
	v_add_co_u32_e32 v50, vcc, s35, v124
	s_waitcnt lgkmcnt(0)
	v_mov_b32_e32 v138, v132
	v_mfma_f32_16x16x16_bf16 a[4:7], v[140:141], v[126:127], a[0:3]
	v_mov_b32_e32 v139, v133
	v_mov_b32_e32 v132, v130
	;; [unrolled: 1-line block ×3, first 2 shown]
	v_mfma_f32_16x16x16_bf16 a[8:11], v[140:141], v[142:143], a[8:11]
	v_addc_co_u32_e32 v51, vcc, 0, v125, vcc
	global_store_dwordx4 v[50:51], v[132:135], off
	v_mfma_f32_16x16x16_bf16 a[12:15], v[144:145], v[126:127], a[16:19]
	s_and_b64 vcc, exec, s[0:1]
	global_store_dwordx4 v[124:125], v[136:139], off
	s_waitcnt vmcnt(3)
	v_mov_b32_e32 v52, v45
	v_mfma_f32_16x16x16_bf16 a[0:3], v[144:145], v[142:143], a[20:23]
	v_mov_b32_e32 v51, v44
	v_mov_b32_e32 v50, v43
	s_cbranch_vccnz .LBB330_17
; %bb.16:                               ;   in Loop: Header=BB330_7 Depth=1
	v_lshrrev_b32_e32 v43, 3, v121
	v_and_b32_e32 v43, 6, v43
	v_xor_b32_e32 v44, v43, v122
	v_lshlrev_b32_e32 v44, 2, v44
	v_and_b32_e32 v45, 8, v121
	v_xor_b32_e32 v121, 0x440, v44
	v_cmp_eq_u32_e32 vcc, 0, v45
	v_perm_b32 v45, v30, v26, s67
	s_nop 0
	v_cndmask_b32_e32 v44, v121, v44, vcc
	v_lshl_or_b32 v43, v43, 10, v44
	v_perm_b32 v44, v38, v34, s67
	s_barrier
	ds_write2st64_b32 v43, v44, v45 offset0:32 offset1:64
	v_xor_b32_e32 v44, 8, v43
	v_perm_b32 v34, v38, v34, s68
	v_perm_b32 v26, v30, v26, s68
	v_add_u32_e32 v30, 0x80, v44
	ds_write2st64_b32 v30, v34, v26 offset0:32 offset1:64
	v_xor_b32_e32 v26, 16, v43
	v_perm_b32 v30, v39, v35, s67
	v_perm_b32 v34, v31, v27, s67
	ds_write2st64_b32 v26, v30, v34 offset0:33 offset1:65
	v_xor_b32_e32 v26, 24, v43
	v_perm_b32 v30, v39, v35, s68
	v_perm_b32 v27, v31, v27, s68
	v_add_u32_e32 v26, 0x80, v26
	ds_write2st64_b32 v26, v30, v27 offset0:33 offset1:65
	v_xor_b32_e32 v26, 32, v43
	v_perm_b32 v27, v40, v36, s67
	v_perm_b32 v30, v32, v28, s67
	;; [unrolled: 9-line block ×3, first 2 shown]
	ds_write2st64_b32 v26, v27, v28 offset0:35 offset1:67
	v_xor_b32_e32 v26, 56, v43
	v_perm_b32 v27, v41, v37, s68
	v_perm_b32 v28, v33, v29, s68
	v_add_u32_e32 v26, 0x80, v26
	ds_write2st64_b32 v26, v27, v28 offset0:35 offset1:67
	ds_write_b64 v120, v[22:23] offset:24576
	v_xor_b32_e32 v22, 8, v120
	ds_write_b64 v22, v[24:25] offset:24576
	ds_write_b64 v120, v[18:19] offset:32768
	;; [unrolled: 1-line block ×4, first 2 shown]
	v_xor_b32_e32 v14, 8, v119
	ds_write_b64 v14, v[16:17] offset:24576
	ds_write_b64 v119, v[10:11] offset:32768
	;; [unrolled: 1-line block ×3, first 2 shown]
.LBB330_17:                             ;   in Loop: Header=BB330_7 Depth=1
	v_mul_f32_e32 v14, s20, v118
	v_exp_f32_e32 v26, v14
	s_waitcnt vmcnt(2)
	v_mul_f32_e32 v14, 0x3fb8aa3b, v46
	v_exp_f32_e32 v28, v14
	v_mul_f32_e32 v14, 0x3fb8aa3b, v47
	v_exp_f32_e32 v29, v14
	;; [unrolled: 2-line block ×4, first 2 shown]
	v_accvgpr_read_b32 v21, a7
	v_accvgpr_read_b32 v19, a5
	;; [unrolled: 1-line block ×4, first 2 shown]
	v_pk_mul_f32 v[28:29], v[26:27], v[28:29] op_sel_hi:[0,1]
	v_accvgpr_read_b32 v12, a10
	v_pk_fma_f32 v[2:3], v[2:3], v[28:29], v[18:19]
	v_pk_mul_f32 v[18:19], v[26:27], v[30:31] op_sel_hi:[0,1]
	v_accvgpr_read_b32 v20, a6
	v_accvgpr_read_b32 v11, a9
	;; [unrolled: 1-line block ×3, first 2 shown]
	v_fma_f32 v76, v76, v18, v12
	v_mul_f32_e32 v12, 0x3fb8aa3b, v51
	v_pk_fma_f32 v[4:5], v[4:5], v[18:19], v[20:21]
	v_fma_f32 v74, v74, v28, v10
	v_fma_f32 v75, v75, v29, v11
	v_mul_f32_e32 v10, 0x3fb8aa3b, v42
	v_mul_f32_e32 v11, 0x3fb8aa3b, v50
	v_exp_f32_e32 v20, v12
	v_mul_f32_e32 v12, 0x3fb8aa3b, v52
	v_exp_f32_e32 v10, v10
	v_exp_f32_e32 v11, v11
	;; [unrolled: 1-line block ×3, first 2 shown]
	v_accvgpr_read_b32 v25, a15
	v_accvgpr_read_b32 v17, a3
	;; [unrolled: 1-line block ×8, first 2 shown]
	v_fmac_f32_e32 v13, v85, v19
	v_pk_mul_f32 v[10:11], v[26:27], v[10:11] op_sel_hi:[0,1]
	v_pk_mul_f32 v[18:19], v[26:27], v[20:21] op_sel_hi:[0,1]
	s_add_i32 s66, s66, 64
	v_pk_fma_f32 v[6:7], v[6:7], v[10:11], v[22:23]
	v_pk_fma_f32 v[8:9], v[8:9], v[18:19], v[24:25]
	v_fma_f32 v77, v77, v10, v14
	v_fma_f32 v78, v78, v11, v15
	;; [unrolled: 1-line block ×3, first 2 shown]
	s_cmp_eq_u32 s58, s70
	v_fmac_f32_e32 v17, v83, v19
	s_cbranch_scc1 .LBB330_19
; %bb.18:                               ;   in Loop: Header=BB330_7 Depth=1
	s_mov_b32 s71, s70
	v_mov_b32_e32 v85, v13
	v_mov_b32_e32 v83, v17
	s_branch .LBB330_7
.LBB330_19:
	v_mov_b32_e32 v16, v79
	v_mov_b32_e32 v15, v78
	;; [unrolled: 1-line block ×3, first 2 shown]
.LBB330_20:
	s_lshl_b32 s43, s58, 6
	s_sub_i32 s46, s12, s43
	v_mov_b32_e32 v12, v76
	v_mov_b32_e32 v11, v75
	;; [unrolled: 1-line block ×3, first 2 shown]
	s_cmp_gt_i32 s46, 0
	s_cbranch_scc0 .LBB330_85
; %bb.21:
	s_ashr_i32 s3, s43, 31
	s_cmpk_lg_i32 s15, 0x80
	s_cselect_b64 s[26:27], -1, 0
	s_and_b64 vcc, exec, s[26:27]
	s_cbranch_vccz .LBB330_23
; %bb.22:
	s_mul_hi_i32 s0, s57, s12
	s_add_u32 s1, s49, s43
	s_addc_u32 s0, s0, s3
	s_mul_i32 s20, s1, s59
	s_mul_hi_u32 s21, s1, s14
	s_add_i32 s20, s21, s20
	s_mul_i32 s0, s0, s14
	s_add_i32 s20, s20, s0
	s_mul_i32 s1, s1, s14
	s_ashr_i32 s0, s60, 31
	s_add_u32 s44, s1, s60
	s_addc_u32 s45, s20, s0
	s_cbranch_execz .LBB330_24
	s_branch .LBB330_25
.LBB330_23:
                                        ; implicit-def: $sgpr44_sgpr45
.LBB330_24:
	s_mul_hi_i32 s0, s57, s14
	s_mul_i32 s57, s57, s14
	s_ashr_i32 s1, s60, 31
	s_add_u32 s14, s57, s60
	s_addc_u32 s0, s0, s1
	s_mul_i32 s1, s14, s56
	s_mul_hi_u32 s20, s14, s12
	s_add_i32 s1, s20, s1
	s_mul_i32 s0, s0, s12
	s_add_i32 s1, s1, s0
	s_mul_i32 s14, s14, s12
	s_add_u32 s44, s14, s43
	s_addc_u32 s45, s1, s3
.LBB330_25:
	s_mul_i32 s0, s40, s56
	s_add_i32 s0, s62, s0
	s_add_i32 s14, s61, s58
	s_add_i32 s1, s0, s41
	s_add_u32 s0, s42, s43
	v_lshlrev_b32_e32 v22, 5, v72
	v_lshlrev_b32_e32 v38, 2, v69
	s_addc_u32 s1, s1, s3
	s_mov_b32 s3, 0x7060302
	v_or_b32_e32 v25, v22, v38
	v_xor_b32_e32 v23, v72, v38
	v_perm_b32 v19, v5, v4, s3
	v_perm_b32 v18, v3, v2, s3
	;; [unrolled: 1-line block ×4, first 2 shown]
	v_lshlrev_b32_e32 v25, 1, v25
	v_xor_b32_e32 v24, v73, v38
	ds_write2st64_b64 v25, v[18:19], v[20:21] offset0:80 offset1:88
	v_lshlrev_b32_e32 v23, 1, v23
	v_lshlrev_b32_e32 v25, 8, v69
	s_lshl_b64 s[24:25], s[0:1], 8
	v_or_b32_e32 v26, v23, v25
	v_lshlrev_b32_e32 v24, 1, v24
	s_add_u32 s0, s6, s24
	ds_write_b64 v26, v[18:19]
	v_or_b32_e32 v18, v24, v25
	s_addc_u32 s1, s7, s25
	ds_write_b64 v18, v[20:21]
	v_perm_b32 v19, v13, v12, s3
	v_perm_b32 v18, v11, v10, s3
	;; [unrolled: 1-line block ×4, first 2 shown]
	v_or_b32_e32 v25, 16, v69
	s_mul_hi_i32 s3, s14, s13
	s_mul_i32 s14, s14, s13
	v_lshlrev_b32_e32 v35, 2, v25
	s_add_u32 s6, s14, s33
	v_or_b32_e32 v22, v22, v35
	s_addc_u32 s7, s3, s48
	v_lshlrev_b32_e32 v22, 1, v22
	s_ashr_i32 s3, s2, 31
	s_lshl_b64 s[6:7], s[6:7], 15
	ds_write2st64_b64 v22, v[18:19], v[20:21] offset0:80 offset1:88
	v_lshlrev_b32_e32 v22, 8, v25
	s_add_u32 s6, s38, s6
	v_or_b32_e32 v23, v23, v22
	s_addc_u32 s7, s39, s7
	s_lshl_b64 s[2:3], s[2:3], 8
	ds_write_b64 v23, v[18:19]
	v_or_b32_e32 v18, v24, v22
	s_add_u32 s2, s6, s2
	ds_write_b64 v18, v[20:21]
	v_lshrrev_b32_e32 v18, 4, v0
	s_addc_u32 s3, s7, s3
	v_lshlrev_b32_e32 v19, 1, v69
	v_lshlrev_b32_e32 v26, 4, v69
	v_mov_b32_e32 v27, 0
	v_or_b32_e32 v20, 1, v19
	v_xor_b32_e32 v19, v18, v19
	v_lshl_add_u64 v[28:29], s[2:3], 0, v[26:27]
	v_lshlrev_b32_e32 v26, 8, v18
	v_xor_b32_e32 v22, v20, v18
	v_lshl_or_b32 v18, v19, 3, v26
	s_waitcnt lgkmcnt(0)
	s_barrier
	ds_read2st64_b64 v[18:21], v18 offset1:8
	v_lshl_or_b32 v22, v22, 3, v26
	ds_read2st64_b64 v[22:25], v22 offset1:8
	v_lshl_add_u64 v[30:31], v[28:29], 0, v[26:27]
	s_movk_i32 s2, 0x1000
	s_waitcnt lgkmcnt(1)
	v_mov_b32_e32 v26, v18
	v_add_co_u32_e32 v18, vcc, s2, v30
	s_cmp_lg_u32 s46, 64
	v_mov_b32_e32 v27, v19
	v_addc_co_u32_e32 v19, vcc, 0, v31, vcc
	s_cselect_b64 s[6:7], -1, 0
	v_lshl_or_b32 v42, v1, 3, v71
	s_waitcnt lgkmcnt(0)
	v_mov_b32_e32 v28, v22
	v_mov_b32_e32 v29, v23
	;; [unrolled: 1-line block ×4, first 2 shown]
	s_mov_b32 s20, 0
	v_or_b32_e32 v36, 32, v42
	v_and_b32_e32 v34, 56, v70
	s_and_b64 vcc, exec, s[6:7]
	global_store_dwordx4 v[30:31], v[26:29], off
	global_store_dwordx4 v[18:19], v[22:25], off
	s_cbranch_vccz .LBB330_31
; %bb.26:
	s_mov_b32 s22, s20
	s_mov_b32 s23, s20
	;; [unrolled: 1-line block ×3, first 2 shown]
	v_mov_b64_e32 v[24:25], s[22:23]
	v_mov_b64_e32 v[22:23], s[20:21]
	;; [unrolled: 1-line block ×3, first 2 shown]
	v_cmp_gt_i32_e32 vcc, s46, v42
	v_mov_b64_e32 v[20:21], v[24:25]
	s_and_saveexec_b64 s[2:3], vcc
	s_cbranch_execz .LBB330_28
; %bb.27:
	v_lshlrev_b32_e32 v18, 8, v42
	v_mov_b32_e32 v19, 0
	v_lshl_add_u64 v[20:21], s[0:1], 0, v[18:19]
	v_lshlrev_b32_e32 v18, 1, v34
	v_lshl_add_u64 v[26:27], v[20:21], 0, v[18:19]
	global_load_dwordx4 v[22:25], v[26:27], off
	global_load_dwordx4 v[18:21], v[26:27], off offset:128
.LBB330_28:
	s_or_b64 exec, exec, s[2:3]
	s_mov_b32 s22, s20
	s_mov_b32 s23, s20
	;; [unrolled: 1-line block ×3, first 2 shown]
	v_mov_b64_e32 v[32:33], s[22:23]
	v_mov_b64_e32 v[30:31], s[20:21]
	;; [unrolled: 1-line block ×3, first 2 shown]
	v_cmp_gt_i32_e32 vcc, s46, v36
	v_lshlrev_b32_e32 v37, 7, v36
	v_mov_b64_e32 v[28:29], v[32:33]
	s_and_saveexec_b64 s[2:3], vcc
	s_cbranch_execz .LBB330_30
; %bb.29:
	v_lshlrev_b32_e32 v26, 1, v37
	v_mov_b32_e32 v27, 0
	v_lshl_add_u64 v[28:29], s[0:1], 0, v[26:27]
	v_lshlrev_b32_e32 v26, 1, v34
	v_lshl_add_u64 v[40:41], v[28:29], 0, v[26:27]
	global_load_dwordx4 v[30:33], v[40:41], off
	global_load_dwordx4 v[26:29], v[40:41], off offset:128
.LBB330_30:
	s_or_b64 exec, exec, s[2:3]
	v_lshrrev_b32_e32 v39, 3, v34
	v_lshlrev_b32_e32 v40, 3, v42
	v_or_b32_e32 v39, v40, v39
	v_lshlrev_b32_e32 v39, 4, v39
	v_and_b32_e32 v40, 0x78, v40
	v_xor_b32_e32 v39, v39, v40
	s_branch .LBB330_33
.LBB330_31:
                                        ; implicit-def: $vgpr39
                                        ; implicit-def: $vgpr37
                                        ; implicit-def: $vgpr22_vgpr23_vgpr24_vgpr25
                                        ; implicit-def: $vgpr18_vgpr19_vgpr20_vgpr21
                                        ; implicit-def: $vgpr30_vgpr31_vgpr32_vgpr33
                                        ; implicit-def: $vgpr26_vgpr27_vgpr28_vgpr29
	s_cbranch_execz .LBB330_33
; %bb.32:
	s_waitcnt vmcnt(0)
	v_lshlrev_b32_e32 v18, 1, v34
	v_lshl_or_b32 v37, v42, 8, v18
	s_and_b32 s1, s1, 0xffff
	s_mov_b32 s3, 0x20000
	s_movk_i32 s2, 0x4000
	v_lshl_or_b32 v39, v36, 8, v18
	s_movk_i32 s14, 0x80
	buffer_load_dwordx4 v[22:25], v37, s[0:3], 0 offen
	buffer_load_dwordx4 v[18:21], v37, s[0:3], s14 offen
	;; [unrolled: 1-line block ×4, first 2 shown]
	v_lshrrev_b32_e32 v37, 3, v34
	v_lshlrev_b32_e32 v39, 3, v42
	v_or_b32_e32 v37, v39, v37
	v_lshlrev_b32_e32 v37, 4, v37
	v_and_b32_e32 v39, 0x78, v39
	v_xor_b32_e32 v39, v37, v39
	v_lshlrev_b32_e32 v37, 7, v36
.LBB330_33:
	s_lshl_b64 s[0:1], s[44:45], 8
	s_add_u32 s4, s4, s0
	s_movk_i32 s0, 0x1000
	v_and_or_b32 v36, v37, s0, v39
	s_waitcnt vmcnt(1)
	ds_write_b64 v39, v[22:23] offset:24576
	v_xor_b32_e32 v22, 8, v39
	ds_write_b64 v22, v[24:25] offset:24576
	s_waitcnt vmcnt(0)
	ds_write_b64 v39, v[18:19] offset:32768
	ds_write_b64 v22, v[20:21] offset:32768
	;; [unrolled: 1-line block ×3, first 2 shown]
	v_xor_b32_e32 v18, 8, v36
	ds_write_b64 v18, v[32:33] offset:24576
	ds_write_b64 v36, v[26:27] offset:32768
	;; [unrolled: 1-line block ×3, first 2 shown]
	v_or_b32_e32 v18, v53, v69
	v_lshlrev_b32_e32 v18, 3, v18
	v_lshrrev_b32_e32 v19, 5, v55
	s_movk_i32 s2, 0xf8
	v_and_or_b32 v19, v18, s2, v19
	v_lshlrev_b32_e32 v23, 4, v19
	v_lshlrev_b32_e32 v39, 11, v1
	v_and_b32_e32 v24, 0x78, v18
	v_or_b32_e32 v26, 32, v23
	v_and_b32_e32 v22, 0x1000, v39
	v_lshrrev_b32_e32 v19, 1, v55
	v_xor_b32_e32 v26, v26, v24
	v_xor_b32_e32 v18, v23, v24
	v_and_b32_e32 v25, 8, v19
	v_or_b32_e32 v26, v26, v22
	v_or_b32_e32 v18, v18, v22
	v_xor_b32_e32 v44, v26, v25
	v_or_b32_e32 v26, 64, v23
	v_xor_b32_e32 v43, v18, v25
	v_xor_b32_e32 v26, v26, v24
	s_waitcnt lgkmcnt(0)
	s_barrier
	v_or_b32_e32 v28, v26, v22
	ds_read_b64 v[26:27], v43 offset:24576
	v_lshl_or_b32 v36, v68, 7, v38
	v_lshlrev_b32_e32 v40, 1, v36
	v_add_u32_e32 v18, 0xa000, v40
	ds_read2_b64 v[18:21], v18 offset1:16
	v_or_b32_e32 v23, 0x60, v23
	v_xor_b32_e32 v23, v23, v24
	s_waitcnt lgkmcnt(0)
	v_mfma_f32_16x16x16_bf16 a[0:3], v[26:27], v[18:19], 0
	v_or_b32_e32 v18, 64, v36
	v_or_b32_e32 v22, v23, v22
	v_lshlrev_b32_e32 v41, 1, v18
	v_xor_b32_e32 v45, v28, v25
	v_xor_b32_e32 v46, v22, v25
	ds_read_b64 v[28:29], v44 offset:24576
	ds_read_b64 v[30:31], v45 offset:24576
	;; [unrolled: 1-line block ×3, first 2 shown]
	v_mfma_f32_16x16x16_bf16 a[4:7], v[26:27], v[20:21], 0
	ds_read2st64_b64 v[18:21], v41 offset0:82 offset1:84
	ds_read2st64_b64 v[22:25], v40 offset0:82 offset1:84
	s_addc_u32 s5, s5, s1
	s_add_i32 s0, s51, s50
	s_add_i32 s14, s12, -1
	s_add_i32 s35, s0, s55
	s_add_i32 s0, s53, s52
	;; [unrolled: 1-line block ×3, first 2 shown]
	s_ashr_i32 s0, s14, 31
	s_mul_i32 s1, s14, s31
	s_mul_hi_u32 s2, s14, s30
	s_add_i32 s1, s2, s1
	s_mul_i32 s0, s0, s30
	s_waitcnt lgkmcnt(1)
	v_mfma_f32_16x16x16_bf16 a[4:7], v[28:29], v[18:19], a[4:7]
	s_add_i32 s1, s1, s0
	s_lshl_b64 s[2:3], s[34:35], 2
	s_add_u32 s10, s10, s2
	s_waitcnt lgkmcnt(0)
	v_mfma_f32_16x16x16_bf16 a[0:3], v[28:29], v[22:23], a[0:3]
	s_addc_u32 s11, s11, s3
	s_lshl_b64 s[2:3], s[36:37], 2
	s_mul_i32 s0, s14, s30
	s_add_u32 s10, s10, s2
	ds_read_b64 v[18:19], v40 offset:44032
	v_mfma_f32_16x16x16_bf16 a[4:7], v[30:31], v[20:21], a[4:7]
	ds_read_b64 v[20:21], v41 offset:44032
	s_addc_u32 s11, s11, s3
	s_lshl_b64 s[0:1], s[0:1], 2
	v_mfma_f32_16x16x16_bf16 a[0:3], v[30:31], v[24:25], a[0:3]
	s_add_u32 s0, s10, s0
	s_addc_u32 s1, s11, s1
	s_load_dword s12, s[0:1], 0x0
	s_waitcnt lgkmcnt(0)
	v_mfma_f32_16x16x16_bf16 a[0:3], v[32:33], v[18:19], a[0:3]
	s_and_b64 vcc, exec, s[26:27]
	v_mfma_f32_16x16x16_bf16 a[4:7], v[32:33], v[20:21], a[4:7]
	s_cbranch_vccz .LBB330_44
; %bb.34:
	v_lshlrev_b32_e32 v36, 1, v42
	s_and_b64 vcc, exec, s[6:7]
	s_cbranch_vccz .LBB330_45
; %bb.35:
	v_cmp_gt_i32_e32 vcc, s46, v36
	v_mov_b32_e32 v22, 0
	v_mov_b32_e32 v18, 0
	;; [unrolled: 1-line block ×5, first 2 shown]
	s_and_saveexec_b64 s[0:1], vcc
	s_cbranch_execz .LBB330_37
; %bb.36:
	v_mad_i64_i32 v[18:19], s[2:3], s15, v36, 0
	v_lshl_add_u64 v[18:19], v[18:19], 1, s[4:5]
	v_lshlrev_b32_e32 v20, 1, v34
	v_mov_b32_e32 v21, 0
	v_lshl_add_u64 v[18:19], v[18:19], 0, v[20:21]
	global_load_dwordx4 v[18:21], v[18:19], off
.LBB330_37:
	s_or_b64 exec, exec, s[0:1]
	v_or_b32_e32 v37, 1, v36
	v_cmp_gt_i32_e64 s[0:1], s46, v37
	v_mov_b32_e32 v23, 0
	v_mov_b32_e32 v24, 0
	;; [unrolled: 1-line block ×3, first 2 shown]
	s_and_saveexec_b64 s[2:3], s[0:1]
	s_cbranch_execz .LBB330_39
; %bb.38:
	v_mad_i64_i32 v[22:23], s[20:21], s15, v37, 0
	v_lshl_add_u64 v[22:23], v[22:23], 1, s[4:5]
	v_lshlrev_b32_e32 v24, 1, v34
	v_mov_b32_e32 v25, 0
	v_lshl_add_u64 v[22:23], v[22:23], 0, v[24:25]
	global_load_dwordx4 v[22:25], v[22:23], off
.LBB330_39:
	s_or_b64 exec, exec, s[2:3]
	v_mov_b32_e32 v33, 0
	v_mov_b32_e32 v26, 0
	;; [unrolled: 1-line block ×5, first 2 shown]
	s_and_saveexec_b64 s[2:3], vcc
	s_cbranch_execz .LBB330_41
; %bb.40:
	v_mad_i64_i32 v[26:27], s[20:21], s15, v36, 0
	v_lshl_add_u64 v[26:27], v[26:27], 1, s[4:5]
	v_lshlrev_b32_e32 v28, 1, v34
	v_mov_b32_e32 v29, 0
	v_lshl_add_u64 v[26:27], v[26:27], 0, v[28:29]
	global_load_dwordx4 v[26:29], v[26:27], off offset:128
.LBB330_41:
	s_or_b64 exec, exec, s[2:3]
	v_mov_b32_e32 v32, 0
	v_mov_b32_e32 v31, 0
	;; [unrolled: 1-line block ×3, first 2 shown]
	s_and_saveexec_b64 s[2:3], s[0:1]
	s_cbranch_execz .LBB330_43
; %bb.42:
	v_mad_i64_i32 v[30:31], s[0:1], s15, v37, 0
	v_lshl_add_u64 v[30:31], v[30:31], 1, s[4:5]
	v_lshlrev_b32_e32 v32, 1, v34
	v_mov_b32_e32 v33, 0
	v_lshl_add_u64 v[30:31], v[30:31], 0, v[32:33]
	global_load_dwordx4 v[30:33], v[30:31], off offset:128
.LBB330_43:
	s_or_b64 exec, exec, s[2:3]
	s_branch .LBB330_47
.LBB330_44:
                                        ; implicit-def: $vgpr21
                                        ; implicit-def: $vgpr25
                                        ; implicit-def: $vgpr29
                                        ; implicit-def: $vgpr33
	v_lshrrev_b32_e32 v47, 2, v55
	s_branch .LBB330_48
.LBB330_45:
                                        ; implicit-def: $vgpr21
                                        ; implicit-def: $vgpr25
                                        ; implicit-def: $vgpr29
                                        ; implicit-def: $vgpr33
	s_cbranch_execz .LBB330_47
; %bb.46:
	s_waitcnt vmcnt(0)
	v_mad_u64_u32 v[18:19], s[0:1], v36, s15, v[34:35]
	v_lshlrev_b32_e32 v36, 1, v18
	s_lshl_b32 s2, s15, 7
	s_and_b32 s1, s5, 0xffff
	s_mov_b32 s3, 0x20000
	s_mov_b32 s0, s4
	v_add_lshl_u32 v37, v18, s15, 1
	s_movk_i32 s15, 0x80
	buffer_load_dwordx4 v[18:21], v36, s[0:3], 0 offen
	buffer_load_dwordx4 v[26:29], v36, s[0:3], s15 offen
	;; [unrolled: 1-line block ×4, first 2 shown]
.LBB330_47:
	v_lshrrev_b32_e32 v47, 2, v55
	s_cbranch_execnz .LBB330_60
.LBB330_48:
	s_and_b64 vcc, exec, s[6:7]
	s_cbranch_vccz .LBB330_58
; %bb.49:
	s_waitcnt vmcnt(0)
	v_lshlrev_b32_e32 v23, 1, v42
	v_cmp_gt_i32_e32 vcc, s46, v23
	v_mov_b32_e32 v22, 0
	v_lshlrev_b32_e32 v30, 9, v42
	v_mov_b32_e32 v18, 0
	v_mov_b32_e32 v19, 0
	;; [unrolled: 1-line block ×4, first 2 shown]
	s_and_saveexec_b64 s[0:1], vcc
	s_cbranch_execz .LBB330_51
; %bb.50:
	v_mov_b32_e32 v31, 0
	v_lshl_add_u64 v[18:19], s[4:5], 0, v[30:31]
	v_lshlrev_b32_e32 v20, 1, v34
	v_mov_b32_e32 v21, v31
	v_lshl_add_u64 v[18:19], v[18:19], 0, v[20:21]
	global_load_dwordx4 v[18:21], v[18:19], off
.LBB330_51:
	s_or_b64 exec, exec, s[0:1]
	v_or_b32_e32 v23, 1, v23
	v_cmp_gt_i32_e64 s[0:1], s46, v23
	v_lshlrev_b32_e32 v36, 8, v23
	v_mov_b32_e32 v23, 0
	v_mov_b32_e32 v24, 0
	v_mov_b32_e32 v25, 0
	s_and_saveexec_b64 s[2:3], s[0:1]
	s_cbranch_execz .LBB330_53
; %bb.52:
	v_mov_b32_e32 v37, 0
	v_lshl_add_u64 v[22:23], s[4:5], 0, v[36:37]
	v_lshlrev_b32_e32 v24, 1, v34
	v_mov_b32_e32 v25, v37
	v_lshl_add_u64 v[22:23], v[22:23], 0, v[24:25]
	global_load_dwordx4 v[22:25], v[22:23], off
.LBB330_53:
	s_or_b64 exec, exec, s[2:3]
	v_mov_b32_e32 v33, 0
	v_mov_b32_e32 v26, 0
	;; [unrolled: 1-line block ×5, first 2 shown]
	s_and_saveexec_b64 s[2:3], vcc
	s_cbranch_execz .LBB330_55
; %bb.54:
	v_mov_b32_e32 v31, 0
	v_lshl_add_u64 v[26:27], s[4:5], 0, v[30:31]
	v_lshlrev_b32_e32 v30, 1, v34
	v_lshl_add_u64 v[26:27], v[26:27], 0, v[30:31]
	global_load_dwordx4 v[26:29], v[26:27], off offset:128
.LBB330_55:
	s_or_b64 exec, exec, s[2:3]
	v_mov_b32_e32 v32, 0
	v_mov_b32_e32 v31, 0
	;; [unrolled: 1-line block ×3, first 2 shown]
	s_and_saveexec_b64 s[2:3], s[0:1]
	s_cbranch_execz .LBB330_57
; %bb.56:
	v_mov_b32_e32 v37, 0
	v_lshl_add_u64 v[30:31], s[4:5], 0, v[36:37]
	v_lshlrev_b32_e32 v36, 1, v34
	v_lshl_add_u64 v[30:31], v[30:31], 0, v[36:37]
	global_load_dwordx4 v[30:33], v[30:31], off offset:128
.LBB330_57:
	s_or_b64 exec, exec, s[2:3]
	s_branch .LBB330_60
.LBB330_58:
                                        ; implicit-def: $vgpr21
                                        ; implicit-def: $vgpr25
                                        ; implicit-def: $vgpr29
                                        ; implicit-def: $vgpr33
	s_cbranch_execz .LBB330_60
; %bb.59:
	s_waitcnt vmcnt(0)
	v_lshlrev_b32_e32 v18, 1, v34
	v_lshl_or_b32 v34, v42, 9, v18
	s_and_b32 s5, s5, 0xffff
	s_mov_b32 s7, 0x20000
	s_movk_i32 s6, 0x4000
	s_movk_i32 s0, 0x80
	buffer_load_dwordx4 v[18:21], v34, s[4:7], 0 offen
	buffer_load_dwordx4 v[22:25], v34, s[4:7], 0 offen offset:256
	buffer_load_dwordx4 v[26:29], v34, s[4:7], s0 offen
	buffer_load_dwordx4 v[30:33], v34, s[4:7], s0 offen offset:256
.LBB330_60:
	ds_read_b64 v[36:37], v43 offset:32768
	v_add_u32_e32 v34, 0xb000, v40
	ds_read2_b64 v[48:51], v34 offset1:16
	ds_read_b64 v[66:67], v44 offset:32768
	ds_read_b64 v[44:45], v45 offset:32768
	;; [unrolled: 1-line block ×3, first 2 shown]
	ds_read2st64_b64 v[62:65], v41 offset0:90 offset1:92
	v_and_b32_e32 v43, 6, v0
	v_and_b32_e32 v34, 12, v47
	v_xor_b32_e32 v42, v42, v43
	v_lshlrev_b32_e32 v42, 2, v42
	s_mov_b32 s0, 0x1000504
	s_waitcnt lgkmcnt(4)
	v_mfma_f32_16x16x16_bf16 a[0:3], v[36:37], v[48:49], a[0:3]
	s_mov_b32 s1, 0x3020706
	v_mfma_f32_16x16x16_bf16 a[4:7], v[36:37], v[50:51], a[4:7]
	ds_read2st64_b64 v[48:51], v40 offset0:90 offset1:92
	ds_read_b64 v[36:37], v40 offset:48128
	ds_read_b64 v[46:47], v41 offset:48128
	s_waitcnt lgkmcnt(2)
	v_mfma_f32_16x16x16_bf16 a[0:3], v[66:67], v[48:49], a[0:3]
	v_and_b32_e32 v48, 1, v0
	v_xor_b32_e32 v49, 0x440, v42
	v_cmp_eq_u32_e32 vcc, 0, v48
	v_mfma_f32_16x16x16_bf16 a[4:7], v[66:67], v[62:63], a[4:7]
	s_nop 0
	v_cndmask_b32_e32 v42, v49, v42, vcc
	v_lshl_or_b32 v42, v43, 10, v42
	v_mfma_f32_16x16x16_bf16 a[0:3], v[44:45], v[50:51], a[0:3]
	v_mfma_f32_16x16x16_bf16 a[8:11], v[44:45], v[64:65], a[4:7]
	s_waitcnt lgkmcnt(1)
	v_mfma_f32_16x16x16_bf16 a[4:7], v[68:69], v[36:37], a[0:3]
	s_waitcnt vmcnt(0)
	v_perm_b32 v36, v18, v22, s0
	v_perm_b32 v37, v26, v30, s0
	ds_write2st64_b32 v42, v36, v37 offset0:32 offset1:64
	v_xor_b32_e32 v36, 8, v42
	v_perm_b32 v18, v18, v22, s1
	v_perm_b32 v22, v26, v30, s1
	v_add_u32_e32 v26, 0x80, v36
	ds_write2st64_b32 v26, v18, v22 offset0:32 offset1:64
	v_xor_b32_e32 v18, 16, v42
	v_perm_b32 v22, v19, v23, s0
	v_perm_b32 v26, v27, v31, s0
	ds_write2st64_b32 v18, v22, v26 offset0:33 offset1:65
	v_xor_b32_e32 v18, 24, v42
	v_perm_b32 v19, v19, v23, s1
	v_perm_b32 v22, v27, v31, s1
	v_add_u32_e32 v18, 0x80, v18
	ds_write2st64_b32 v18, v19, v22 offset0:33 offset1:65
	v_xor_b32_e32 v18, 32, v42
	v_perm_b32 v19, v20, v24, s0
	v_perm_b32 v22, v28, v32, s0
	ds_write2st64_b32 v18, v19, v22 offset0:34 offset1:66
	v_xor_b32_e32 v18, 40, v42
	s_waitcnt lgkmcnt(5)
	v_mfma_f32_16x16x16_bf16 a[0:3], v[68:69], v[46:47], a[8:11]
	v_perm_b32 v19, v20, v24, s1
	v_perm_b32 v20, v28, v32, s1
	v_add_u32_e32 v18, 0x80, v18
	ds_write2st64_b32 v18, v19, v20 offset0:34 offset1:66
	v_xor_b32_e32 v18, 48, v42
	v_perm_b32 v19, v21, v25, s0
	v_perm_b32 v20, v29, v33, s0
	ds_write2st64_b32 v18, v19, v20 offset0:35 offset1:67
	v_xor_b32_e32 v18, 56, v42
	v_or_b32_e32 v32, v34, v53
	v_perm_b32 v19, v21, v25, s1
	v_perm_b32 v20, v29, v33, s1
	v_add_u32_e32 v18, 0x80, v18
	v_cmp_gt_i32_e32 vcc, s46, v32
	v_mov_b32_e32 v33, 0
	v_mov_b32_e32 v37, 0
	ds_write2st64_b32 v18, v19, v20 offset0:35 offset1:67
	s_and_saveexec_b64 s[0:1], vcc
	s_cbranch_execz .LBB330_62
; %bb.61:
	v_add_u32_e32 v18, s43, v32
	v_ashrrev_i32_e32 v19, 31, v18
	v_mul_lo_u32 v20, v19, s30
	v_mul_lo_u32 v21, v18, s31
	v_mad_u64_u32 v[18:19], s[2:3], v18, s30, 0
	v_add3_u32 v19, v19, v21, v20
	v_lshl_add_u64 v[18:19], v[18:19], 2, s[10:11]
	global_load_dword v18, v[18:19], off
	s_waitcnt vmcnt(0)
	v_sub_f32_e32 v18, s12, v18
	v_mul_f32_e32 v18, 0x3fb8aa3b, v18
	v_exp_f32_e32 v37, v18
.LBB330_62:
	s_or_b64 exec, exec, s[0:1]
	v_or_b32_e32 v26, 1, v32
	v_cmp_gt_i32_e64 s[0:1], s46, v26
	s_and_saveexec_b64 s[2:3], s[0:1]
	s_cbranch_execz .LBB330_64
; %bb.63:
	v_add_u32_e32 v18, s43, v26
	v_ashrrev_i32_e32 v19, 31, v18
	v_mul_lo_u32 v20, v19, s30
	v_mul_lo_u32 v21, v18, s31
	v_mad_u64_u32 v[18:19], s[4:5], v18, s30, 0
	v_add3_u32 v19, v19, v21, v20
	v_lshl_add_u64 v[18:19], v[18:19], 2, s[10:11]
	global_load_dword v18, v[18:19], off
	s_waitcnt vmcnt(0)
	v_sub_f32_e32 v18, s12, v18
	v_mul_f32_e32 v18, 0x3fb8aa3b, v18
	v_exp_f32_e32 v33, v18
.LBB330_64:
	s_or_b64 exec, exec, s[2:3]
	v_or_b32_e32 v27, 2, v32
	v_cmp_gt_i32_e64 s[2:3], s46, v27
	v_mov_b32_e32 v36, 0
	v_mov_b32_e32 v42, 0
	s_and_saveexec_b64 s[4:5], s[2:3]
	s_cbranch_execz .LBB330_66
; %bb.65:
	v_add_u32_e32 v18, s43, v27
	v_ashrrev_i32_e32 v19, 31, v18
	v_mul_lo_u32 v20, v19, s30
	v_mul_lo_u32 v21, v18, s31
	v_mad_u64_u32 v[18:19], s[6:7], v18, s30, 0
	v_add3_u32 v19, v19, v21, v20
	v_lshl_add_u64 v[18:19], v[18:19], 2, s[10:11]
	global_load_dword v18, v[18:19], off
	s_waitcnt vmcnt(0)
	v_sub_f32_e32 v18, s12, v18
	v_mul_f32_e32 v18, 0x3fb8aa3b, v18
	v_exp_f32_e32 v42, v18
.LBB330_66:
	s_or_b64 exec, exec, s[4:5]
	v_or_b32_e32 v43, 3, v32
	v_cmp_gt_i32_e64 s[4:5], s46, v43
	s_and_saveexec_b64 s[6:7], s[4:5]
	s_cbranch_execz .LBB330_68
; %bb.67:
	v_add_u32_e32 v18, s43, v43
	v_ashrrev_i32_e32 v19, 31, v18
	v_mul_lo_u32 v20, v19, s30
	v_mul_lo_u32 v21, v18, s31
	v_mad_u64_u32 v[18:19], s[20:21], v18, s30, 0
	v_add3_u32 v19, v19, v21, v20
	v_lshl_add_u64 v[18:19], v[18:19], 2, s[10:11]
	global_load_dword v18, v[18:19], off
	s_waitcnt vmcnt(0)
	v_sub_f32_e32 v18, s12, v18
	v_mul_f32_e32 v18, 0x3fb8aa3b, v18
	v_exp_f32_e32 v36, v18
.LBB330_68:
	s_or_b64 exec, exec, s[6:7]
	s_add_u32 s6, s8, s24
	v_accvgpr_read_b32 v21, a7
	s_addc_u32 s7, s9, s25
	v_ashrrev_i32_e32 v61, 31, v60
	v_accvgpr_read_b32 v20, a6
	v_accvgpr_read_b32 v19, a5
	;; [unrolled: 1-line block ×3, first 2 shown]
	v_lshl_add_u64 v[22:23], v[60:61], 1, s[6:7]
	v_mov_b32_e32 v29, 0
	v_lshlrev_b32_e32 v24, 8, v32
	v_mov_b32_e32 v25, 0
	s_and_saveexec_b64 s[6:7], vcc
	s_cbranch_execz .LBB330_70
; %bb.69:
	v_mov_b32_e32 v25, 0
	v_lshl_add_u64 v[30:31], v[22:23], 0, v[24:25]
	global_load_ushort v25, v[30:31], off
	s_waitcnt vmcnt(0)
	v_lshlrev_b32_e32 v25, 16, v25
	v_sub_f32_e32 v18, v25, v18
	v_mul_f32_e32 v18, v37, v18
	v_lshrrev_b32_e32 v25, 16, v18
.LBB330_70:
	s_or_b64 exec, exec, s[6:7]
	v_lshlrev_b32_e32 v28, 8, v26
	s_and_saveexec_b64 s[6:7], s[0:1]
	s_cbranch_execz .LBB330_72
; %bb.71:
	v_mov_b32_e32 v29, 0
	v_lshl_add_u64 v[30:31], v[22:23], 0, v[28:29]
	global_load_ushort v18, v[30:31], off
	s_waitcnt vmcnt(0)
	v_lshlrev_b32_e32 v18, 16, v18
	v_sub_f32_e32 v18, v18, v19
	v_mul_f32_e32 v18, v33, v18
	v_lshrrev_b32_e32 v29, 16, v18
.LBB330_72:
	s_or_b64 exec, exec, s[6:7]
	v_mov_b32_e32 v44, 0
	v_lshlrev_b32_e32 v30, 8, v27
	v_mov_b32_e32 v31, 0
	s_and_saveexec_b64 s[6:7], s[2:3]
	s_cbranch_execz .LBB330_74
; %bb.73:
	v_mov_b32_e32 v31, 0
	v_lshl_add_u64 v[18:19], v[22:23], 0, v[30:31]
	global_load_ushort v18, v[18:19], off
	s_waitcnt vmcnt(0)
	v_lshlrev_b32_e32 v18, 16, v18
	v_sub_f32_e32 v18, v18, v20
	v_mul_f32_e32 v18, v42, v18
	v_lshrrev_b32_e32 v31, 16, v18
.LBB330_74:
	s_or_b64 exec, exec, s[6:7]
	v_lshlrev_b32_e32 v26, 8, v43
	s_and_saveexec_b64 s[6:7], s[4:5]
	s_cbranch_execz .LBB330_76
; %bb.75:
	v_mov_b32_e32 v27, 0
	v_lshl_add_u64 v[18:19], v[22:23], 0, v[26:27]
	global_load_ushort v18, v[18:19], off
	s_waitcnt vmcnt(0)
	v_lshlrev_b32_e32 v18, 16, v18
	v_sub_f32_e32 v18, v18, v21
	v_mul_f32_e32 v18, v36, v18
	v_lshrrev_b32_e32 v44, 16, v18
.LBB330_76:
	s_or_b64 exec, exec, s[6:7]
	v_lshlrev_b32_e32 v43, 5, v32
	s_mov_b32 s6, 0x5040100
	v_perm_b32 v45, v44, v31, s6
	v_perm_b32 v44, v29, v25, s6
	v_or_b32_e32 v25, v43, v38
	v_accvgpr_read_b32 v21, a3
	v_lshlrev_b32_e32 v25, 1, v25
	v_accvgpr_read_b32 v20, a2
	v_accvgpr_read_b32 v19, a1
	;; [unrolled: 1-line block ×3, first 2 shown]
	ds_write_b64 v25, v[44:45] offset:45056
	v_mov_b32_e32 v29, 0
	v_mov_b32_e32 v25, 0
	s_and_saveexec_b64 s[6:7], vcc
	s_cbranch_execz .LBB330_78
; %bb.77:
	v_mov_b32_e32 v25, 0
	v_lshl_add_u64 v[24:25], v[22:23], 0, v[24:25]
	global_load_ushort v24, v[24:25], off offset:32
	s_waitcnt vmcnt(0)
	v_lshlrev_b32_e32 v24, 16, v24
	v_sub_f32_e32 v18, v24, v18
	v_mul_f32_e32 v18, v37, v18
	v_lshrrev_b32_e32 v25, 16, v18
.LBB330_78:
	s_or_b64 exec, exec, s[6:7]
	s_and_saveexec_b64 s[6:7], s[0:1]
	s_cbranch_execz .LBB330_80
; %bb.79:
	v_mov_b32_e32 v29, 0
	v_lshl_add_u64 v[28:29], v[22:23], 0, v[28:29]
	global_load_ushort v18, v[28:29], off offset:32
	s_waitcnt vmcnt(0)
	v_lshlrev_b32_e32 v18, 16, v18
	v_sub_f32_e32 v18, v18, v19
	v_mul_f32_e32 v18, v33, v18
	v_lshrrev_b32_e32 v29, 16, v18
.LBB330_80:
	s_or_b64 exec, exec, s[6:7]
	v_mov_b32_e32 v24, 0
	v_mov_b32_e32 v28, 0
	s_and_saveexec_b64 s[0:1], s[2:3]
	s_cbranch_execz .LBB330_82
; %bb.81:
	v_mov_b32_e32 v31, 0
	v_lshl_add_u64 v[18:19], v[22:23], 0, v[30:31]
	global_load_ushort v18, v[18:19], off offset:32
	s_waitcnt vmcnt(0)
	v_lshlrev_b32_e32 v18, 16, v18
	v_sub_f32_e32 v18, v18, v20
	v_mul_f32_e32 v18, v42, v18
	v_lshrrev_b32_e32 v28, 16, v18
.LBB330_82:
	s_or_b64 exec, exec, s[0:1]
	v_or_b32_e32 v19, 0xb000, v40
	v_or_b32_e32 v18, 0xb000, v41
	s_and_saveexec_b64 s[0:1], s[4:5]
	s_cbranch_execz .LBB330_84
; %bb.83:
	v_mov_b32_e32 v27, 0
	v_lshl_add_u64 v[22:23], v[22:23], 0, v[26:27]
	global_load_ushort v20, v[22:23], off offset:32
	s_waitcnt vmcnt(0)
	v_lshlrev_b32_e32 v20, 16, v20
	v_sub_f32_e32 v20, v20, v21
	v_mul_f32_e32 v20, v36, v20
	v_lshrrev_b32_e32 v24, 16, v20
.LBB330_84:
	s_or_b64 exec, exec, s[0:1]
	s_mov_b32 s0, 0x5040100
	v_or_b32_e32 v22, v43, v35
	v_perm_b32 v21, v24, v28, s0
	v_perm_b32 v20, v29, v25, s0
	v_lshlrev_b32_e32 v22, 1, v22
	s_movk_i32 s2, 0x100
	ds_write_b64 v22, v[20:21] offset:45056
	v_and_b32_e32 v20, 7, v0
	v_and_b32_e32 v21, 8, v0
	v_cmp_gt_u32_e32 vcc, s2, v0
	v_lshrrev_b32_e32 v0, 1, v0
	v_lshlrev_b32_e32 v26, 3, v20
	v_lshlrev_b32_e32 v48, 7, v20
	v_mov_b32_e32 v20, 0x4000
	v_mov_b32_e32 v22, 0x2000
	v_lshlrev_b32_e32 v24, 3, v1
	v_and_b32_e32 v0, 24, v0
	v_cndmask_b32_e32 v27, v20, v22, vcc
	v_xor_b32_e32 v20, v24, v0
	v_or_b32_e32 v22, 0x440, v20
	v_cmp_eq_u32_e32 vcc, 0, v21
	v_or_b32_e32 v28, 32, v0
	v_xor_b32_e32 v28, v24, v28
	v_cndmask_b32_e32 v20, v22, v20, vcc
	v_or_b32_e32 v20, v20, v39
	v_xor_b32_e32 v49, v20, v26
	v_or_b32_e32 v29, 0x440, v28
	v_add3_u32 v25, v27, v49, v48
	v_cndmask_b32_e32 v28, v29, v28, vcc
	v_or_b32_e32 v29, 64, v0
	v_or_b32_e32 v0, 0x60, v0
	s_waitcnt lgkmcnt(0)
	s_barrier
	v_xor_b32_e32 v29, v24, v29
	v_xor_b32_e32 v0, v24, v0
	ds_read_b64 v[24:25], v25
	v_xor_b32_e32 v30, 0x440, v29
	ds_read2_b64 v[20:23], v19 offset1:16
	v_cndmask_b32_e32 v29, v30, v29, vcc
	v_xor_b32_e32 v30, 0x440, v0
	v_or_b32_e32 v28, v28, v39
	v_or_b32_e32 v29, v29, v39
	v_cndmask_b32_e32 v0, v30, v0, vcc
	s_add_i32 s0, s14, s49
	v_xor_b32_e32 v50, v28, v26
	v_xor_b32_e32 v51, v29, v26
	v_or_b32_e32 v0, v0, v39
	s_mul_hi_i32 s1, s0, s13
	v_add3_u32 v28, v27, v50, v48
	v_add3_u32 v29, v27, v51, v48
	v_xor_b32_e32 v52, v0, v26
	s_mul_i32 s0, s0, s13
	v_add3_u32 v0, v27, v52, v48
	ds_read_b64 v[26:27], v28
	ds_read_b64 v[40:41], v29
	;; [unrolled: 1-line block ×3, first 2 shown]
	s_add_u32 s0, s0, s33
	ds_read2st64_b64 v[28:31], v19 offset0:2 offset1:4
	ds_read2st64_b64 v[36:39], v18 offset0:2 offset1:4
	s_waitcnt lgkmcnt(5)
	v_mfma_f32_16x16x16_bf16 a[0:3], v[24:25], v[20:21], 0
	s_addc_u32 s1, s1, s48
	s_lshl_b64 s[0:1], s[0:1], 9
	s_add_u32 s0, s16, s0
	v_mfma_f32_16x16x16_bf16 a[4:7], v[24:25], v[22:23], 0
	s_addc_u32 s1, s17, s1
	v_lshlrev_b32_e32 v0, 2, v32
	ds_read_b64 v[44:45], v19 offset:3072
	ds_read_b64 v[46:47], v18 offset:3072
	s_waitcnt lgkmcnt(3)
	v_mfma_f32_16x16x16_bf16 a[0:3], v[26:27], v[28:29], a[0:3]
	s_waitcnt lgkmcnt(2)
	v_mfma_f32_16x16x16_bf16 a[4:7], v[26:27], v[36:37], a[4:7]
	global_load_dwordx4 v[24:27], v0, s[0:1]
	v_lshlrev_b32_e32 v0, 6, v1
	v_lshlrev_b32_e32 v1, 2, v34
	v_or3_b32 v0, v0, v1, s2
	global_load_dwordx4 v[32:35], v0, s[0:1]
	v_mfma_f32_16x16x16_bf16 a[0:3], v[40:41], v[30:31], a[0:3]
	v_mov_b32_e32 v0, 0x3fb8aa3b
	v_mul_f32_e32 v0, s12, v0
	s_waitcnt vmcnt(1)
	v_mul_f32_e32 v18, 0x3fb8aa3b, v26
	v_mfma_f32_16x16x16_bf16 a[4:7], v[40:41], v[38:39], a[4:7]
	v_exp_f32_e32 v40, v0
	v_mul_f32_e32 v0, 0x3fb8aa3b, v24
	v_exp_f32_e32 v24, v18
	s_waitcnt lgkmcnt(1)
	v_mfma_f32_16x16x16_bf16 a[0:3], v[42:43], v[44:45], a[0:3]
	v_add_u32_e32 v18, v49, v48
	v_mul_f32_e32 v19, 0x3fb8aa3b, v27
	v_mul_f32_e32 v1, 0x3fb8aa3b, v25
	v_exp_f32_e32 v0, v0
	v_exp_f32_e32 v1, v1
	v_exp_f32_e32 v25, v19
	v_pk_mul_f32 v[0:1], v[40:41], v[0:1] op_sel_hi:[0,1]
	v_accvgpr_read_b32 v27, a3
	v_accvgpr_read_b32 v26, a2
	s_waitcnt lgkmcnt(0)
	v_mfma_f32_16x16x16_bf16 a[2:5], v[42:43], v[46:47], a[4:7]
	ds_read_b64 v[42:43], v18 offset:16384
	v_accvgpr_read_b32 v19, a1
	v_accvgpr_read_b32 v18, a0
	v_pk_fma_f32 v[18:19], v[2:3], v[0:1], v[18:19]
	v_add_u32_e32 v2, v50, v48
	v_add_u32_e32 v50, v52, v48
	s_waitcnt lgkmcnt(0)
	v_mfma_f32_16x16x16_bf16 a[6:9], v[42:43], v[20:21], 0
	v_add_u32_e32 v41, v51, v48
	ds_read_b64 v[2:3], v2 offset:16384
	ds_read_b64 v[48:49], v41 offset:16384
	;; [unrolled: 1-line block ×3, first 2 shown]
	v_pk_mul_f32 v[24:25], v[40:41], v[24:25] op_sel_hi:[0,1]
	v_pk_fma_f32 v[20:21], v[4:5], v[24:25], v[26:27]
	v_accvgpr_read_b32 v4, a2
	v_mfma_f32_16x16x16_bf16 a[10:13], v[42:43], v[22:23], 0
	v_fma_f32 v26, v10, v0, v4
	v_accvgpr_read_b32 v0, a3
	v_fma_f32 v27, v11, v1, v0
	s_waitcnt lgkmcnt(2)
	v_mfma_f32_16x16x16_bf16 a[0:3], v[2:3], v[28:29], a[6:9]
	v_accvgpr_read_b32 v0, a4
	v_accvgpr_read_b32 v29, a5
	v_fma_f32 v28, v12, v24, v0
	v_mfma_f32_16x16x16_bf16 a[4:7], v[2:3], v[36:37], a[10:13]
	s_waitcnt vmcnt(0)
	v_mov_b32_e32 v0, v33
	v_mov_b32_e32 v1, v34
	;; [unrolled: 1-line block ×3, first 2 shown]
	s_waitcnt lgkmcnt(1)
	v_mfma_f32_16x16x16_bf16 a[0:3], v[48:49], v[30:31], a[0:3]
	v_mul_f32_e32 v0, 0x3fb8aa3b, v0
	v_exp_f32_e32 v5, v0
	v_mul_f32_e32 v0, 0x3fb8aa3b, v1
	v_mfma_f32_16x16x16_bf16 a[4:7], v[48:49], v[38:39], a[4:7]
	v_mul_f32_e32 v1, 0x3fb8aa3b, v2
	v_mul_f32_e32 v3, 0x3fb8aa3b, v32
	v_exp_f32_e32 v0, v0
	s_waitcnt lgkmcnt(0)
	v_mfma_f32_16x16x16_bf16 a[0:3], v[50:51], v[44:45], a[0:3]
	v_exp_f32_e32 v1, v1
	v_exp_f32_e32 v4, v3
	v_fmac_f32_e32 v29, v13, v25
	v_pk_mul_f32 v[0:1], v[40:41], v[0:1] op_sel_hi:[0,1]
	v_pk_mul_f32 v[4:5], v[40:41], v[4:5] op_sel_hi:[0,1]
	s_nop 1
	v_accvgpr_read_b32 v3, a3
	v_accvgpr_read_b32 v2, a2
	v_mfma_f32_16x16x16_bf16 a[2:5], v[50:51], v[46:47], a[4:7]
	v_pk_fma_f32 v[24:25], v[8:9], v[0:1], v[2:3]
	v_accvgpr_read_b32 v11, a1
	v_accvgpr_read_b32 v10, a0
	v_pk_fma_f32 v[22:23], v[6:7], v[4:5], v[10:11]
	s_nop 2
	v_accvgpr_read_b32 v2, a2
	v_fma_f32 v30, v14, v4, v2
	v_accvgpr_read_b32 v2, a3
	v_fma_f32 v31, v15, v5, v2
	v_accvgpr_read_b32 v2, a4
	v_accvgpr_read_b32 v33, a5
	v_fma_f32 v32, v16, v0, v2
	v_fmac_f32_e32 v33, v17, v1
	v_mov_b64_e32 v[2:3], v[18:19]
	v_mov_b64_e32 v[4:5], v[20:21]
	;; [unrolled: 1-line block ×8, first 2 shown]
.LBB330_85:
	s_add_u32 s0, s18, s28
	s_addc_u32 s1, s19, s29
	v_lshl_add_u64 v[0:1], v[56:57], 1, s[0:1]
	v_mov_b32_e32 v55, 0
	s_mov_b32 s2, 0x7060302
	v_lshl_add_u64 v[0:1], v[0:1], 0, v[54:55]
	v_perm_b32 v5, v5, v4, s2
	v_perm_b32 v4, v3, v2, s2
	;; [unrolled: 1-line block ×4, first 2 shown]
	global_store_dwordx2 v[0:1], v[4:5], off
	global_store_dwordx2 v[0:1], v[2:3], off offset:128
	v_lshl_add_u64 v[0:1], v[58:59], 1, s[0:1]
	v_lshl_add_u64 v[0:1], v[0:1], 0, v[54:55]
	v_perm_b32 v3, v13, v12, s2
	v_perm_b32 v2, v11, v10, s2
	global_store_dwordx2 v[0:1], v[2:3], off
	v_perm_b32 v3, v17, v16, s2
	v_perm_b32 v2, v15, v14, s2
	global_store_dwordx2 v[0:1], v[2:3], off offset:128
	s_endpgm
	.section	.rodata,"a",@progbits
	.p2align	6, 0x0
	.amdhsa_kernel _ZN12_GLOBAL__N_139chunk_gated_delta_rule_fwd_h_hip_kernelILi32ELb1ELb1ELb0ELb0ELb0ELb1ELb1ELb1EEEvPK12hip_bfloat16S3_S3_PKfS5_PKvPS1_S8_PvPKiSB_iiiiilll
		.amdhsa_group_segment_fixed_size 49152
		.amdhsa_private_segment_fixed_size 0
		.amdhsa_kernarg_size 136
		.amdhsa_user_sgpr_count 2
		.amdhsa_user_sgpr_dispatch_ptr 0
		.amdhsa_user_sgpr_queue_ptr 0
		.amdhsa_user_sgpr_kernarg_segment_ptr 1
		.amdhsa_user_sgpr_dispatch_id 0
		.amdhsa_user_sgpr_kernarg_preload_length 0
		.amdhsa_user_sgpr_kernarg_preload_offset 0
		.amdhsa_user_sgpr_private_segment_size 0
		.amdhsa_uses_dynamic_stack 0
		.amdhsa_enable_private_segment 0
		.amdhsa_system_sgpr_workgroup_id_x 1
		.amdhsa_system_sgpr_workgroup_id_y 1
		.amdhsa_system_sgpr_workgroup_id_z 0
		.amdhsa_system_sgpr_workgroup_info 0
		.amdhsa_system_vgpr_workitem_id 0
		.amdhsa_next_free_vgpr 172
		.amdhsa_next_free_sgpr 72
		.amdhsa_accum_offset 148
		.amdhsa_reserve_vcc 1
		.amdhsa_float_round_mode_32 0
		.amdhsa_float_round_mode_16_64 0
		.amdhsa_float_denorm_mode_32 3
		.amdhsa_float_denorm_mode_16_64 3
		.amdhsa_dx10_clamp 1
		.amdhsa_ieee_mode 1
		.amdhsa_fp16_overflow 0
		.amdhsa_tg_split 0
		.amdhsa_exception_fp_ieee_invalid_op 0
		.amdhsa_exception_fp_denorm_src 0
		.amdhsa_exception_fp_ieee_div_zero 0
		.amdhsa_exception_fp_ieee_overflow 0
		.amdhsa_exception_fp_ieee_underflow 0
		.amdhsa_exception_fp_ieee_inexact 0
		.amdhsa_exception_int_div_zero 0
	.end_amdhsa_kernel
	.section	.text._ZN12_GLOBAL__N_139chunk_gated_delta_rule_fwd_h_hip_kernelILi32ELb1ELb1ELb0ELb0ELb0ELb1ELb1ELb1EEEvPK12hip_bfloat16S3_S3_PKfS5_PKvPS1_S8_PvPKiSB_iiiiilll,"axG",@progbits,_ZN12_GLOBAL__N_139chunk_gated_delta_rule_fwd_h_hip_kernelILi32ELb1ELb1ELb0ELb0ELb0ELb1ELb1ELb1EEEvPK12hip_bfloat16S3_S3_PKfS5_PKvPS1_S8_PvPKiSB_iiiiilll,comdat
.Lfunc_end330:
	.size	_ZN12_GLOBAL__N_139chunk_gated_delta_rule_fwd_h_hip_kernelILi32ELb1ELb1ELb0ELb0ELb0ELb1ELb1ELb1EEEvPK12hip_bfloat16S3_S3_PKfS5_PKvPS1_S8_PvPKiSB_iiiiilll, .Lfunc_end330-_ZN12_GLOBAL__N_139chunk_gated_delta_rule_fwd_h_hip_kernelILi32ELb1ELb1ELb0ELb0ELb0ELb1ELb1ELb1EEEvPK12hip_bfloat16S3_S3_PKfS5_PKvPS1_S8_PvPKiSB_iiiiilll
                                        ; -- End function
	.section	.AMDGPU.csdata,"",@progbits
; Kernel info:
; codeLenInByte = 9960
; NumSgprs: 78
; NumVgprs: 146
; NumAgprs: 24
; TotalNumVgprs: 172
; ScratchSize: 0
; MemoryBound: 0
; FloatMode: 240
; IeeeMode: 1
; LDSByteSize: 49152 bytes/workgroup (compile time only)
; SGPRBlocks: 9
; VGPRBlocks: 21
; NumSGPRsForWavesPerEU: 78
; NumVGPRsForWavesPerEU: 172
; AccumOffset: 148
; Occupancy: 1
; WaveLimiterHint : 1
; COMPUTE_PGM_RSRC2:SCRATCH_EN: 0
; COMPUTE_PGM_RSRC2:USER_SGPR: 2
; COMPUTE_PGM_RSRC2:TRAP_HANDLER: 0
; COMPUTE_PGM_RSRC2:TGID_X_EN: 1
; COMPUTE_PGM_RSRC2:TGID_Y_EN: 1
; COMPUTE_PGM_RSRC2:TGID_Z_EN: 0
; COMPUTE_PGM_RSRC2:TIDIG_COMP_CNT: 0
; COMPUTE_PGM_RSRC3_GFX90A:ACCUM_OFFSET: 36
; COMPUTE_PGM_RSRC3_GFX90A:TG_SPLIT: 0
	.section	.text._ZN12_GLOBAL__N_139chunk_gated_delta_rule_fwd_h_hip_kernelILi32ELb1ELb0ELb1ELb0ELb0ELb1ELb1ELb1EEEvPK12hip_bfloat16S3_S3_PKfS5_PKvPS1_S8_PvPKiSB_iiiiilll,"axG",@progbits,_ZN12_GLOBAL__N_139chunk_gated_delta_rule_fwd_h_hip_kernelILi32ELb1ELb0ELb1ELb0ELb0ELb1ELb1ELb1EEEvPK12hip_bfloat16S3_S3_PKfS5_PKvPS1_S8_PvPKiSB_iiiiilll,comdat
	.globl	_ZN12_GLOBAL__N_139chunk_gated_delta_rule_fwd_h_hip_kernelILi32ELb1ELb0ELb1ELb0ELb0ELb1ELb1ELb1EEEvPK12hip_bfloat16S3_S3_PKfS5_PKvPS1_S8_PvPKiSB_iiiiilll ; -- Begin function _ZN12_GLOBAL__N_139chunk_gated_delta_rule_fwd_h_hip_kernelILi32ELb1ELb0ELb1ELb0ELb0ELb1ELb1ELb1EEEvPK12hip_bfloat16S3_S3_PKfS5_PKvPS1_S8_PvPKiSB_iiiiilll
	.p2align	8
	.type	_ZN12_GLOBAL__N_139chunk_gated_delta_rule_fwd_h_hip_kernelILi32ELb1ELb0ELb1ELb0ELb0ELb1ELb1ELb1EEEvPK12hip_bfloat16S3_S3_PKfS5_PKvPS1_S8_PvPKiSB_iiiiilll,@function
_ZN12_GLOBAL__N_139chunk_gated_delta_rule_fwd_h_hip_kernelILi32ELb1ELb0ELb1ELb0ELb0ELb1ELb1ELb1EEEvPK12hip_bfloat16S3_S3_PKfS5_PKvPS1_S8_PvPKiSB_iiiiilll: ; @_ZN12_GLOBAL__N_139chunk_gated_delta_rule_fwd_h_hip_kernelILi32ELb1ELb0ELb1ELb0ELb0ELb1ELb1ELb1EEEvPK12hip_bfloat16S3_S3_PKfS5_PKvPS1_S8_PvPKiSB_iiiiilll
; %bb.0:
	s_load_dwordx4 s[12:15], s[0:1], 0x5c
	s_load_dwordx4 s[20:23], s[0:1], 0x70
	s_abs_i32 s6, s3
	s_ashr_i32 s5, s3, 31
	s_load_dwordx4 s[16:19], s[0:1], 0x28
	s_load_dwordx2 s[28:29], s[0:1], 0x38
	s_waitcnt lgkmcnt(0)
	s_abs_i32 s4, s13
	v_cvt_f32_u32_e32 v1, s4
	s_sub_i32 s8, 0, s4
	s_ashr_i32 s7, s13, 31
	s_xor_b32 s5, s5, s7
	v_rcp_iflag_f32_e32 v1, v1
	v_and_b32_e32 v66, 15, v0
	v_lshrrev_b32_e32 v64, 6, v0
	v_bfe_u32 v65, v0, 4, 2
	v_mul_f32_e32 v1, 0x4f7ffffe, v1
	v_cvt_u32_f32_e32 v1, v1
	v_mov_b32_e32 v7, 0
	v_and_b32_e32 v45, 63, v0
	v_lshlrev_b32_e32 v67, 3, v0
	v_readfirstlane_b32 s9, v1
	s_mul_i32 s8, s8, s9
	s_mul_hi_u32 s8, s9, s8
	s_add_i32 s9, s9, s8
	s_mul_hi_u32 s8, s6, s9
	s_mul_i32 s9, s8, s4
	s_sub_i32 s6, s6, s9
	s_add_i32 s10, s8, 1
	s_sub_i32 s9, s6, s4
	s_cmp_ge_u32 s6, s4
	s_cselect_b32 s8, s10, s8
	s_cselect_b32 s6, s9, s6
	s_add_i32 s9, s8, 1
	s_cmp_ge_u32 s6, s4
	s_cselect_b32 s6, s9, s8
	s_xor_b32 s6, s6, s5
	s_add_i32 s8, s12, 63
	s_sub_i32 s53, s6, s5
	s_ashr_i32 s9, s8, 31
	s_mul_i32 s5, s53, s13
	s_sub_i32 s51, s3, s5
	s_lshr_b32 s3, s9, 26
	s_add_i32 s8, s8, s3
	s_abs_i32 s3, s14
	v_cvt_f32_u32_e32 v1, s3
	s_ashr_i32 s52, s12, 31
	s_lshr_b32 s6, s52, 26
	s_add_i32 s6, s12, s6
	v_rcp_iflag_f32_e32 v1, v1
	s_ashr_i32 s56, s14, 31
	s_ashr_i32 s54, s6, 6
	s_lshl_b32 s38, s2, 5
	v_mul_f32_e32 v1, 0x4f7ffffe, v1
	v_cvt_u32_f32_e32 v1, v1
	s_xor_b32 s2, s7, s56
	s_sub_i32 s6, 0, s3
	s_ashr_i32 s25, s8, 6
	v_readfirstlane_b32 s7, v1
	s_mul_i32 s6, s6, s7
	s_mul_hi_u32 s6, s7, s6
	s_add_i32 s7, s7, s6
	s_mul_hi_u32 s6, s4, s7
	s_mul_i32 s7, s6, s3
	s_sub_i32 s4, s4, s7
	s_add_i32 s7, s6, 1
	s_sub_i32 s8, s4, s3
	s_cmp_ge_u32 s4, s3
	s_cselect_b32 s6, s7, s6
	s_cselect_b32 s4, s8, s4
	s_add_i32 s7, s6, 1
	s_cmp_ge_u32 s4, s3
	s_cselect_b32 s3, s7, s6
	s_xor_b32 s3, s3, s2
	s_sub_i32 s2, s3, s2
	s_abs_i32 s3, s2
	v_cvt_f32_u32_e32 v1, s3
	s_sub_i32 s6, 0, s3
	s_abs_i32 s4, s51
	s_xor_b32 s2, s51, s2
	v_rcp_iflag_f32_e32 v1, v1
	s_ashr_i32 s2, s2, 31
	v_or_b32_e32 v46, s38, v66
	v_lshlrev_b32_e32 v2, 7, v46
	v_mul_f32_e32 v1, 0x4f7ffffe, v1
	v_cvt_u32_f32_e32 v1, v1
	v_ashrrev_i32_e32 v3, 31, v2
	v_lshrrev_b32_e32 v68, 3, v45
	s_mul_i32 s33, s53, s21
	v_readfirstlane_b32 s7, v1
	s_mul_i32 s6, s6, s7
	s_mul_hi_u32 s6, s7, s6
	s_add_i32 s7, s7, s6
	s_mul_hi_u32 s6, s4, s7
	s_mul_i32 s7, s6, s3
	s_sub_i32 s4, s4, s7
	s_add_i32 s7, s6, 1
	s_sub_i32 s8, s4, s3
	s_cmp_ge_u32 s4, s3
	s_cselect_b32 s6, s7, s6
	s_cselect_b32 s4, s8, s4
	s_add_i32 s7, s6, 1
	s_cmp_ge_u32 s4, s3
	s_cselect_b32 s3, s7, s6
	s_xor_b32 s3, s3, s2
	s_sub_i32 s57, s3, s2
	s_ashr_i32 s24, s53, 31
	s_ashr_i32 s55, s51, 31
	s_mul_hi_i32 s2, s53, s13
	s_add_u32 s40, s5, s51
	s_addc_u32 s41, s2, s55
	s_lshl_b64 s[2:3], s[40:41], 15
	s_add_u32 s2, s16, s2
	s_addc_u32 s3, s17, s3
	v_lshlrev_b32_e32 v1, 4, v64
	v_lshl_add_u64 v[4:5], v[2:3], 1, s[2:3]
	v_or_b32_e32 v2, 0x800, v2
	v_lshl_or_b32 v69, v65, 2, v1
	v_ashrrev_i32_e32 v3, 31, v2
	v_lshlrev_b32_e32 v6, 1, v69
	v_lshl_add_u64 v[2:3], v[2:3], 1, s[2:3]
	v_lshl_add_u64 v[4:5], v[4:5], 0, v[6:7]
	;; [unrolled: 1-line block ×3, first 2 shown]
	global_load_dwordx2 v[8:9], v[4:5], off
	v_or_b32_e32 v70, 64, v69
	global_load_dwordx2 v[4:5], v[4:5], off offset:128
	s_nop 0
	global_load_dwordx2 v[6:7], v[2:3], off
	global_load_dwordx2 v[10:11], v[2:3], off offset:128
	s_load_dwordx8 s[4:11], s[0:1], 0x0
	s_load_dwordx2 s[30:31], s[0:1], 0x80
	s_mul_hi_u32 s46, s53, s20
	s_mul_i32 s34, s53, s20
	s_mul_i32 s58, s53, s25
	;; [unrolled: 1-line block ×3, first 2 shown]
	s_mul_hi_u32 s48, s51, s22
	s_mul_i32 s50, s24, s20
	s_mul_i32 s49, s55, s22
	s_mul_hi_u32 s59, s40, s12
	s_mul_i32 s16, s40, s12
	s_mul_i32 s41, s41, s12
	s_cmp_lt_i32 s12, 64
	s_mul_i32 s36, s51, s22
	s_waitcnt vmcnt(3)
	v_and_b32_e32 v51, 0xffff0000, v8
	v_lshlrev_b32_e32 v50, 16, v8
	v_and_b32_e32 v55, 0xffff0000, v9
	v_lshlrev_b32_e32 v54, 16, v9
	s_waitcnt vmcnt(2)
	v_and_b32_e32 v49, 0xffff0000, v4
	v_lshlrev_b32_e32 v48, 16, v4
	v_and_b32_e32 v53, 0xffff0000, v5
	v_lshlrev_b32_e32 v52, 16, v5
	;; [unrolled: 5-line block ×4, first 2 shown]
	s_cbranch_scc1 .LBB331_3
; %bb.1:
	s_add_i32 s17, s59, s41
	s_lshl_b64 s[2:3], s[16:17], 8
	v_and_b32_e32 v78, 56, v67
	s_waitcnt lgkmcnt(0)
	s_add_u32 s20, s6, s2
	v_lshl_or_b32 v77, v64, 3, v68
	v_lshlrev_b32_e32 v2, 1, v78
	s_addc_u32 s2, s7, s3
	v_lshl_or_b32 v79, v77, 8, v2
	s_and_b32 s21, s2, 0xffff
	s_mov_b32 s23, 0x20000
	s_movk_i32 s22, 0x4000
	s_movk_i32 s2, 0x80
	v_or_b32_e32 v81, 0x2000, v79
	buffer_load_dwordx4 v[4:7], v79, s[20:23], 0 offen
	buffer_load_dwordx4 v[8:11], v79, s[20:23], s2 offen
	;; [unrolled: 1-line block ×4, first 2 shown]
	v_lshlrev_b32_e32 v3, 3, v77
	v_and_or_b32 v21, v0, 7, v3
	v_and_b32_e32 v3, 0x78, v3
	v_lshlrev_b32_e32 v21, 4, v21
	v_xor_b32_e32 v83, v21, v3
	v_mul_lo_u32 v20, v77, s15
	v_or_b32_e32 v84, 0x1000, v83
	v_xor_b32_e32 v3, 8, v83
	s_cmpk_eq_i32 s15, 0x80
	s_mov_b32 s60, s14
	v_xor_b32_e32 v21, 8, v84
	s_cselect_b64 s[2:3], -1, 0
	s_cmpk_lg_i32 s15, 0x80
	s_waitcnt vmcnt(3)
	ds_write_b64 v83, v[4:5] offset:24576
	ds_write_b64 v3, v[6:7] offset:24576
	s_waitcnt vmcnt(2)
	ds_write_b64 v83, v[8:9] offset:32768
	ds_write_b64 v3, v[10:11] offset:32768
	;; [unrolled: 3-line block ×4, first 2 shown]
	v_lshl_add_u32 v3, v20, 1, v78
	s_cbranch_scc0 .LBB331_29
; %bb.2:
	v_lshlrev_b32_e32 v5, 1, v3
	v_add_lshl_u32 v4, v3, s15, 1
	s_lshl_b32 s22, s15, 7
	s_load_dwordx2 s[42:43], s[0:1], 0x20
	v_lshl_or_b32 v2, v77, 9, v2
	s_cbranch_execz .LBB331_30
	s_branch .LBB331_31
.LBB331_3:
	v_mov_b32_e32 v9, v80
	v_mov_b32_e32 v5, v82
.LBB331_4:
	s_lshl_b32 s26, s54, 6
	s_sub_i32 s27, s12, s26
	s_cmp_gt_i32 s27, 0
	s_cbranch_scc0 .LBB331_84
; %bb.5:
	s_ashr_i32 s2, s26, 31
	s_cmpk_lg_i32 s15, 0x80
	s_cselect_b64 s[22:23], -1, 0
	s_and_b64 vcc, exec, s[22:23]
	s_cbranch_vccz .LBB331_7
; %bb.6:
	s_mul_i32 s1, s53, s12
	s_mul_hi_i32 s0, s53, s12
	s_add_u32 s1, s1, s26
	s_addc_u32 s0, s0, s2
	s_mul_i32 s3, s1, s56
	s_mul_hi_u32 s17, s1, s14
	s_add_i32 s3, s17, s3
	s_mul_i32 s0, s0, s14
	s_add_i32 s3, s3, s0
	s_mul_i32 s1, s1, s14
	s_ashr_i32 s0, s57, 31
	s_add_u32 s24, s1, s57
	s_addc_u32 s25, s3, s0
	s_cbranch_execz .LBB331_8
	s_branch .LBB331_9
.LBB331_7:
                                        ; implicit-def: $sgpr24_sgpr25
.LBB331_8:
	s_mul_hi_i32 s0, s53, s14
	s_mul_i32 s53, s53, s14
	s_ashr_i32 s1, s57, 31
	s_add_u32 s3, s53, s57
	s_addc_u32 s0, s0, s1
	s_mul_i32 s1, s3, s52
	s_mul_hi_u32 s14, s3, s12
	s_add_i32 s1, s14, s1
	s_mul_i32 s0, s0, s12
	s_add_i32 s1, s1, s0
	s_mul_i32 s3, s3, s12
	s_add_u32 s24, s3, s26
	s_addc_u32 s25, s1, s2
.LBB331_9:
	s_mul_i32 s0, s40, s52
	s_add_i32 s0, s59, s0
	s_add_i32 s3, s58, s54
	;; [unrolled: 1-line block ×3, first 2 shown]
	s_add_u32 s0, s16, s26
	v_lshlrev_b32_e32 v8, 5, v69
	v_lshlrev_b32_e32 v22, 2, v66
	s_addc_u32 s1, s1, s2
	s_mov_b32 s2, 0x7060302
	v_or_b32_e32 v11, v8, v22
	v_xor_b32_e32 v4, v69, v22
	v_perm_b32 v3, v55, v54, s2
	v_perm_b32 v2, v51, v50, s2
	;; [unrolled: 1-line block ×4, first 2 shown]
	v_lshlrev_b32_e32 v11, 1, v11
	s_lshl_b64 s[20:21], s[0:1], 8
	v_xor_b32_e32 v10, v70, v22
	ds_write2st64_b64 v11, v[2:3], v[6:7] offset0:80 offset1:88
	v_lshlrev_b32_e32 v11, 1, v4
	v_lshlrev_b32_e32 v4, 8, v66
	s_waitcnt lgkmcnt(0)
	s_add_u32 s0, s6, s20
	v_or_b32_e32 v12, v11, v4
	v_lshlrev_b32_e32 v10, 1, v10
	s_addc_u32 s1, s7, s21
	ds_write_b64 v12, v[2:3]
	v_or_b32_e32 v2, v10, v4
	s_mul_hi_i32 s6, s3, s13
	s_mul_i32 s3, s3, s13
	ds_write_b64 v2, v[6:7]
	v_perm_b32 v3, v5, v75, s2
	v_perm_b32 v2, v71, v73, s2
	;; [unrolled: 1-line block ×4, first 2 shown]
	v_or_b32_e32 v6, 16, v66
	s_add_u32 s2, s3, s51
	v_lshlrev_b32_e32 v19, 2, v6
	s_addc_u32 s3, s6, s55
	v_or_b32_e32 v7, v8, v19
	s_ashr_i32 s39, s38, 31
	s_lshl_b64 s[2:3], s[2:3], 15
	v_lshlrev_b32_e32 v7, 1, v7
	v_lshlrev_b32_e32 v6, 8, v6
	s_add_u32 s6, s18, s2
	ds_write2st64_b64 v7, v[2:3], v[4:5] offset0:80 offset1:88
	v_or_b32_e32 v7, v11, v6
	s_addc_u32 s7, s19, s3
	s_lshl_b64 s[2:3], s[38:39], 8
	ds_write_b64 v7, v[2:3]
	v_or_b32_e32 v2, v10, v6
	s_add_u32 s2, s6, s2
	ds_write_b64 v2, v[4:5]
	v_lshrrev_b32_e32 v2, 4, v0
	s_addc_u32 s3, s7, s3
	v_lshlrev_b32_e32 v3, 1, v66
	v_lshlrev_b32_e32 v10, 4, v66
	v_mov_b32_e32 v11, 0
	v_or_b32_e32 v4, 1, v3
	v_xor_b32_e32 v3, v2, v3
	v_lshl_add_u64 v[12:13], s[2:3], 0, v[10:11]
	v_lshlrev_b32_e32 v10, 8, v2
	v_xor_b32_e32 v6, v4, v2
	v_lshl_or_b32 v2, v3, 3, v10
	s_waitcnt lgkmcnt(0)
	s_barrier
	ds_read2st64_b64 v[2:5], v2 offset1:8
	v_lshl_or_b32 v6, v6, 3, v10
	ds_read2st64_b64 v[6:9], v6 offset1:8
	v_lshl_add_u64 v[14:15], v[12:13], 0, v[10:11]
	s_movk_i32 s2, 0x1000
	s_waitcnt lgkmcnt(1)
	v_mov_b32_e32 v10, v2
	v_add_co_u32_e32 v2, vcc, s2, v14
	s_cmp_lg_u32 s27, 64
	v_mov_b32_e32 v11, v3
	v_addc_co_u32_e32 v3, vcc, 0, v15, vcc
	s_cselect_b64 s[6:7], -1, 0
	v_lshl_or_b32 v23, v64, 3, v68
	s_waitcnt lgkmcnt(0)
	v_mov_b32_e32 v12, v6
	v_mov_b32_e32 v13, v7
	;; [unrolled: 1-line block ×4, first 2 shown]
	s_mov_b32 s16, 0
	v_or_b32_e32 v20, 32, v23
	v_and_b32_e32 v18, 56, v67
	s_and_b64 vcc, exec, s[6:7]
	global_store_dwordx4 v[14:15], v[10:13], off
	global_store_dwordx4 v[2:3], v[6:9], off
	s_cbranch_vccz .LBB331_15
; %bb.10:
	s_mov_b32 s17, s16
	s_mov_b32 s18, s16
	;; [unrolled: 1-line block ×3, first 2 shown]
	v_mov_b64_e32 v[6:7], s[16:17]
	v_mov_b64_e32 v[8:9], s[18:19]
	v_mov_b64_e32 v[2:3], v[6:7]
	v_cmp_gt_i32_e32 vcc, s27, v23
	v_mov_b64_e32 v[4:5], v[8:9]
	s_and_saveexec_b64 s[2:3], vcc
	s_cbranch_execz .LBB331_12
; %bb.11:
	v_lshlrev_b32_e32 v2, 8, v23
	v_mov_b32_e32 v3, 0
	v_lshl_add_u64 v[4:5], s[0:1], 0, v[2:3]
	v_lshlrev_b32_e32 v2, 1, v18
	v_lshl_add_u64 v[10:11], v[4:5], 0, v[2:3]
	global_load_dwordx4 v[6:9], v[10:11], off
	global_load_dwordx4 v[2:5], v[10:11], off offset:128
.LBB331_12:
	s_or_b64 exec, exec, s[2:3]
	s_mov_b32 s17, s16
	s_mov_b32 s18, s16
	;; [unrolled: 1-line block ×3, first 2 shown]
	v_mov_b64_e32 v[14:15], s[16:17]
	v_mov_b64_e32 v[16:17], s[18:19]
	;; [unrolled: 1-line block ×3, first 2 shown]
	v_cmp_gt_i32_e32 vcc, s27, v20
	v_lshlrev_b32_e32 v21, 7, v20
	v_mov_b64_e32 v[12:13], v[16:17]
	s_and_saveexec_b64 s[2:3], vcc
	s_cbranch_execz .LBB331_14
; %bb.13:
	v_lshlrev_b32_e32 v10, 1, v21
	v_mov_b32_e32 v11, 0
	v_lshl_add_u64 v[12:13], s[0:1], 0, v[10:11]
	v_lshlrev_b32_e32 v10, 1, v18
	v_lshl_add_u64 v[24:25], v[12:13], 0, v[10:11]
	global_load_dwordx4 v[14:17], v[24:25], off
	global_load_dwordx4 v[10:13], v[24:25], off offset:128
.LBB331_14:
	s_or_b64 exec, exec, s[2:3]
	v_lshrrev_b32_e32 v24, 3, v18
	v_lshlrev_b32_e32 v25, 3, v23
	v_or_b32_e32 v24, v25, v24
	v_lshlrev_b32_e32 v24, 4, v24
	v_and_b32_e32 v25, 0x78, v25
	v_xor_b32_e32 v24, v24, v25
	s_branch .LBB331_17
.LBB331_15:
                                        ; implicit-def: $vgpr24
                                        ; implicit-def: $vgpr21
                                        ; implicit-def: $vgpr6_vgpr7_vgpr8_vgpr9
                                        ; implicit-def: $vgpr2_vgpr3_vgpr4_vgpr5
                                        ; implicit-def: $vgpr14_vgpr15_vgpr16_vgpr17
                                        ; implicit-def: $vgpr10_vgpr11_vgpr12_vgpr13
	s_cbranch_execz .LBB331_17
; %bb.16:
	s_waitcnt vmcnt(0)
	v_lshlrev_b32_e32 v2, 1, v18
	v_lshl_or_b32 v21, v23, 8, v2
	s_and_b32 s1, s1, 0xffff
	s_mov_b32 s3, 0x20000
	s_movk_i32 s2, 0x4000
	v_lshl_or_b32 v24, v20, 8, v2
	s_movk_i32 s13, 0x80
	buffer_load_dwordx4 v[6:9], v21, s[0:3], 0 offen
	buffer_load_dwordx4 v[2:5], v21, s[0:3], s13 offen
	;; [unrolled: 1-line block ×4, first 2 shown]
	v_lshrrev_b32_e32 v21, 3, v18
	v_lshlrev_b32_e32 v24, 3, v23
	v_or_b32_e32 v21, v24, v21
	v_lshlrev_b32_e32 v21, 4, v21
	v_and_b32_e32 v24, 0x78, v24
	v_xor_b32_e32 v24, v21, v24
	v_lshlrev_b32_e32 v21, 7, v20
.LBB331_17:
	s_lshl_b64 s[0:1], s[24:25], 8
	s_add_u32 s4, s4, s0
	s_movk_i32 s0, 0x1000
	v_and_or_b32 v20, v21, s0, v24
	s_waitcnt vmcnt(1)
	ds_write_b64 v24, v[6:7] offset:24576
	v_xor_b32_e32 v6, 8, v24
	ds_write_b64 v6, v[8:9] offset:24576
	s_waitcnt vmcnt(0)
	ds_write_b64 v24, v[2:3] offset:32768
	ds_write_b64 v6, v[4:5] offset:32768
	;; [unrolled: 1-line block ×3, first 2 shown]
	v_xor_b32_e32 v2, 8, v20
	ds_write_b64 v2, v[16:17] offset:24576
	ds_write_b64 v20, v[10:11] offset:32768
	ds_write_b64 v2, v[12:13] offset:32768
	v_or_b32_e32 v2, v1, v66
	v_lshlrev_b32_e32 v3, 11, v64
	v_lshlrev_b32_e32 v2, 3, v2
	v_and_b32_e32 v6, 0x1000, v3
	v_lshrrev_b32_e32 v3, 5, v45
	s_movk_i32 s3, 0xf8
	v_and_or_b32 v3, v2, s3, v3
	v_lshlrev_b32_e32 v7, 4, v3
	v_and_b32_e32 v8, 0x78, v2
	v_or_b32_e32 v10, 32, v7
	v_lshrrev_b32_e32 v3, 1, v45
	v_xor_b32_e32 v10, v10, v8
	v_xor_b32_e32 v2, v7, v8
	v_and_b32_e32 v9, 8, v3
	v_or_b32_e32 v10, v10, v6
	v_or_b32_e32 v2, v2, v6
	v_xor_b32_e32 v26, v10, v9
	v_or_b32_e32 v10, 64, v7
	v_xor_b32_e32 v25, v2, v9
	v_xor_b32_e32 v10, v10, v8
	s_waitcnt lgkmcnt(0)
	s_barrier
	v_or_b32_e32 v12, v10, v6
	ds_read_b64 v[10:11], v25 offset:24576
	v_lshl_or_b32 v20, v65, 7, v22
	v_lshlrev_b32_e32 v24, 1, v20
	v_add_u32_e32 v2, 0xa000, v24
	ds_read2_b64 v[2:5], v2 offset1:16
	v_or_b32_e32 v7, 0x60, v7
	v_xor_b32_e32 v7, v7, v8
	s_waitcnt lgkmcnt(0)
	v_mfma_f32_16x16x16_bf16 a[0:3], v[10:11], v[2:3], 0
	v_or_b32_e32 v2, 64, v20
	v_or_b32_e32 v6, v7, v6
	v_lshlrev_b32_e32 v29, 1, v2
	v_xor_b32_e32 v27, v12, v9
	v_xor_b32_e32 v28, v6, v9
	ds_read_b64 v[12:13], v26 offset:24576
	ds_read_b64 v[14:15], v27 offset:24576
	;; [unrolled: 1-line block ×3, first 2 shown]
	v_mfma_f32_16x16x16_bf16 a[4:7], v[10:11], v[4:5], 0
	ds_read2st64_b64 v[2:5], v29 offset0:82 offset1:84
	ds_read2st64_b64 v[6:9], v24 offset0:82 offset1:84
	s_addc_u32 s5, s5, s1
	s_add_i32 s1, s46, s33
	s_add_i32 s0, s12, -1
	s_add_i32 s35, s1, s50
	s_add_i32 s1, s48, s47
	;; [unrolled: 1-line block ×3, first 2 shown]
	s_ashr_i32 s1, s0, 31
	s_mul_i32 s2, s0, s31
	s_mul_hi_u32 s3, s0, s30
	s_add_i32 s2, s3, s2
	s_mul_i32 s1, s1, s30
	s_waitcnt lgkmcnt(1)
	v_mfma_f32_16x16x16_bf16 a[4:7], v[12:13], v[2:3], a[4:7]
	s_add_i32 s1, s2, s1
	s_lshl_b64 s[2:3], s[34:35], 2
	s_add_u32 s10, s10, s2
	s_waitcnt lgkmcnt(0)
	v_mfma_f32_16x16x16_bf16 a[0:3], v[12:13], v[6:7], a[0:3]
	s_addc_u32 s11, s11, s3
	s_lshl_b64 s[2:3], s[36:37], 2
	s_mul_i32 s0, s0, s30
	s_add_u32 s10, s10, s2
	ds_read_b64 v[2:3], v24 offset:44032
	v_mfma_f32_16x16x16_bf16 a[4:7], v[14:15], v[4:5], a[4:7]
	ds_read_b64 v[4:5], v29 offset:44032
	s_addc_u32 s11, s11, s3
	s_lshl_b64 s[0:1], s[0:1], 2
	v_mfma_f32_16x16x16_bf16 a[0:3], v[14:15], v[8:9], a[0:3]
	s_add_u32 s0, s10, s0
	s_addc_u32 s1, s11, s1
	s_load_dword s12, s[0:1], 0x0
	s_waitcnt lgkmcnt(0)
	v_mfma_f32_16x16x16_bf16 a[0:3], v[16:17], v[2:3], a[0:3]
	s_and_b64 vcc, exec, s[22:23]
	v_mfma_f32_16x16x16_bf16 a[4:7], v[16:17], v[4:5], a[4:7]
	s_cbranch_vccz .LBB331_28
; %bb.18:
	v_lshlrev_b32_e32 v20, 1, v23
	s_and_b64 vcc, exec, s[6:7]
	s_cbranch_vccz .LBB331_44
; %bb.19:
	v_cmp_gt_i32_e32 vcc, s27, v20
	v_mov_b32_e32 v6, 0
	v_mov_b32_e32 v2, 0
	;; [unrolled: 1-line block ×5, first 2 shown]
	s_and_saveexec_b64 s[0:1], vcc
	s_cbranch_execz .LBB331_21
; %bb.20:
	v_mad_i64_i32 v[2:3], s[2:3], s15, v20, 0
	v_lshl_add_u64 v[2:3], v[2:3], 1, s[4:5]
	v_lshlrev_b32_e32 v4, 1, v18
	v_mov_b32_e32 v5, 0
	v_lshl_add_u64 v[2:3], v[2:3], 0, v[4:5]
	global_load_dwordx4 v[2:5], v[2:3], off
.LBB331_21:
	s_or_b64 exec, exec, s[0:1]
	v_or_b32_e32 v21, 1, v20
	v_cmp_gt_i32_e64 s[0:1], s27, v21
	v_mov_b32_e32 v7, 0
	v_mov_b32_e32 v8, 0
	;; [unrolled: 1-line block ×3, first 2 shown]
	s_and_saveexec_b64 s[2:3], s[0:1]
	s_cbranch_execz .LBB331_23
; %bb.22:
	v_mad_i64_i32 v[6:7], s[16:17], s15, v21, 0
	v_lshl_add_u64 v[6:7], v[6:7], 1, s[4:5]
	v_lshlrev_b32_e32 v8, 1, v18
	v_mov_b32_e32 v9, 0
	v_lshl_add_u64 v[6:7], v[6:7], 0, v[8:9]
	global_load_dwordx4 v[6:9], v[6:7], off
.LBB331_23:
	s_or_b64 exec, exec, s[2:3]
	v_mov_b32_e32 v17, 0
	v_mov_b32_e32 v10, 0
	;; [unrolled: 1-line block ×5, first 2 shown]
	s_and_saveexec_b64 s[2:3], vcc
	s_cbranch_execz .LBB331_25
; %bb.24:
	v_mad_i64_i32 v[10:11], s[16:17], s15, v20, 0
	v_lshl_add_u64 v[10:11], v[10:11], 1, s[4:5]
	v_lshlrev_b32_e32 v12, 1, v18
	v_mov_b32_e32 v13, 0
	v_lshl_add_u64 v[10:11], v[10:11], 0, v[12:13]
	global_load_dwordx4 v[10:13], v[10:11], off offset:128
.LBB331_25:
	s_or_b64 exec, exec, s[2:3]
	v_mov_b32_e32 v16, 0
	v_mov_b32_e32 v15, 0
	;; [unrolled: 1-line block ×3, first 2 shown]
	s_and_saveexec_b64 s[2:3], s[0:1]
	s_cbranch_execz .LBB331_27
; %bb.26:
	v_mad_i64_i32 v[14:15], s[0:1], s15, v21, 0
	v_lshl_add_u64 v[14:15], v[14:15], 1, s[4:5]
	v_lshlrev_b32_e32 v16, 1, v18
	v_mov_b32_e32 v17, 0
	v_lshl_add_u64 v[14:15], v[14:15], 0, v[16:17]
	global_load_dwordx4 v[14:17], v[14:15], off offset:128
.LBB331_27:
	s_or_b64 exec, exec, s[2:3]
	s_branch .LBB331_46
.LBB331_28:
                                        ; implicit-def: $vgpr5
                                        ; implicit-def: $vgpr9
                                        ; implicit-def: $vgpr13
                                        ; implicit-def: $vgpr17
	v_lshrrev_b32_e32 v30, 2, v45
	s_branch .LBB331_47
.LBB331_29:
                                        ; implicit-def: $vgpr4
                                        ; implicit-def: $vgpr5
                                        ; implicit-def: $sgpr22
	s_load_dwordx2 s[42:43], s[0:1], 0x20
	v_lshl_or_b32 v2, v77, 9, v2
.LBB331_30:
	v_or_b32_e32 v4, 0x100, v2
	s_movk_i32 s22, 0x4000
	v_mov_b32_e32 v5, v2
.LBB331_31:
	s_mul_hi_u32 s0, s14, s12
	s_mul_i32 s1, s56, s12
	s_add_i32 s0, s0, s1
	s_mul_i32 s1, s14, s12
	s_mul_i32 s20, s1, s24
	s_mul_hi_u32 s21, s1, s53
	s_add_i32 s20, s21, s20
	s_mul_i32 s0, s0, s53
	s_add_i32 s20, s20, s0
	s_mul_i32 s1, s1, s53
	s_ashr_i32 s61, s57, 31
	s_add_u32 s0, s1, s57
	s_addc_u32 s1, s20, s61
	s_lshl_b64 s[0:1], s[0:1], 8
	s_add_u32 s20, s4, s0
	s_addc_u32 s0, s5, s1
	s_and_b32 s21, s0, 0xffff
	s_movk_i32 s62, 0x80
	buffer_load_dwordx4 v[6:9], v5, s[20:23], 0 offen
	buffer_load_dwordx4 v[10:13], v5, s[20:23], s62 offen
	;; [unrolled: 1-line block ×4, first 2 shown]
	v_and_b32_e32 v4, 6, v0
	v_lshlrev_b32_e32 v23, 6, v69
	v_or_b32_e32 v25, 16, v66
	v_xor_b32_e32 v26, v77, v4
	v_and_b32_e32 v5, 1, v0
	v_lshl_or_b32 v29, v66, 3, v23
	v_lshl_or_b32 v23, v25, 3, v23
	v_lshlrev_b32_e32 v26, 2, v26
	s_mul_i32 s24, s24, s12
	s_mul_hi_u32 s0, s53, s12
	v_lshlrev_b32_e32 v22, 2, v66
	v_or_b32_e32 v87, 0xa000, v23
	v_or_b32_e32 v88, 0xb000, v23
	v_xor_b32_e32 v23, 0x440, v26
	v_cmp_eq_u32_e32 vcc, 0, v5
	v_xor_b32_e32 v27, v69, v22
	v_xor_b32_e32 v28, v70, v22
	v_cndmask_b32_e32 v5, v23, v26, vcc
	s_add_i32 s67, s0, s24
	s_add_i32 s0, s46, s33
	s_mov_b32 s65, 0x1000504
	v_lshlrev_b32_e32 v24, 8, v66
	v_lshlrev_b32_e32 v27, 1, v27
	;; [unrolled: 1-line block ×3, first 2 shown]
	v_lshl_or_b32 v4, v4, 10, v5
	s_add_i32 s35, s0, s50
	s_add_i32 s0, s48, s47
	s_mov_b32 s66, 0x3020706
	v_or_b32_e32 v85, 0xa000, v29
	v_or_b32_e32 v86, 0xb000, v29
	;; [unrolled: 1-line block ×4, first 2 shown]
	v_xor_b32_e32 v5, 8, v4
	v_xor_b32_e32 v24, 24, v4
	v_xor_b32_e32 v29, 40, v4
	v_xor_b32_e32 v31, 56, v4
	s_add_i32 s37, s0, s49
	s_lshl_b64 s[0:1], s[34:35], 2
	v_xor_b32_e32 v23, 16, v4
	v_xor_b32_e32 v26, 32, v4
	;; [unrolled: 1-line block ×3, first 2 shown]
	v_add_u32_e32 v5, 0x80, v5
	v_add_u32_e32 v24, 0x80, v24
	;; [unrolled: 1-line block ×4, first 2 shown]
	s_add_u32 s20, s10, s0
	s_addc_u32 s21, s11, s1
	s_lshl_b64 s[0:1], s[36:37], 2
	s_add_u32 s44, s20, s0
	s_movk_i32 s0, 0xf8
	s_addc_u32 s45, s21, s1
	s_ashr_i32 s39, s38, 31
	s_lshl_b32 s26, s15, 7
	s_movk_i32 s20, 0x100
	v_mov_b32_e32 v57, 0
	v_lshlrev_b32_e32 v56, 4, v66
	v_cmp_gt_u32_e32 vcc, s20, v0
	v_ashrrev_i32_e32 v47, 31, v46
	s_mul_i32 s63, s53, s12
	s_mov_b32 s64, 0
	s_movk_i32 s35, 0x1000
	s_movk_i32 s22, 0x4000
	v_mov_b32_e32 v115, 0x3fb8aa3b
	s_mov_b32 s69, 0
	s_waitcnt vmcnt(1)
	v_perm_b32 v32, v6, v14, s65
	s_waitcnt vmcnt(0)
	v_perm_b32 v33, v10, v18, s65
	v_perm_b32 v6, v6, v14, s66
	;; [unrolled: 1-line block ×15, first 2 shown]
	ds_write2st64_b32 v4, v32, v33 offset0:32 offset1:64
	ds_write2st64_b32 v5, v6, v10 offset0:32 offset1:64
	;; [unrolled: 1-line block ×8, first 2 shown]
	v_lshlrev_b32_e32 v4, 8, v25
	v_or_b32_e32 v91, v4, v27
	v_or_b32_e32 v92, v4, v28
	;; [unrolled: 1-line block ×3, first 2 shown]
	v_lshlrev_b32_e32 v4, 3, v4
	v_lshrrev_b32_e32 v7, 5, v45
	v_and_or_b32 v7, v4, s0, v7
	v_lshlrev_b32_e32 v7, 4, v7
	v_lshlrev_b32_e32 v9, 11, v64
	v_and_b32_e32 v4, 0x78, v4
	v_or_b32_e32 v12, 32, v7
	v_and_b32_e32 v6, 0x1000, v9
	v_lshrrev_b32_e32 v10, 1, v45
	v_xor_b32_e32 v12, v12, v4
	v_xor_b32_e32 v8, v7, v4
	v_and_b32_e32 v10, 8, v10
	v_or_b32_e32 v12, v12, v6
	v_or_b32_e32 v8, v8, v6
	v_lshlrev_b32_e32 v11, 7, v65
	v_xor_b32_e32 v95, v12, v10
	v_or_b32_e32 v12, 64, v7
	v_or_b32_e32 v7, 0x60, v7
	v_xor_b32_e32 v93, v8, v10
	v_or_b32_e32 v8, v11, v22
	v_xor_b32_e32 v12, v12, v4
	v_xor_b32_e32 v4, v7, v4
	s_lshl_b64 s[0:1], s[38:39], 8
	v_lshlrev_b32_e32 v8, 1, v8
	v_or_b32_e32 v12, v12, v6
	v_or_b32_e32 v4, v4, v6
	s_add_u32 s0, s18, s0
	v_lshlrev_b32_e32 v6, 1, v66
	v_or_b32_e32 v94, 0xa000, v8
	v_or_b32_e32 v96, 0xa080, v8
	;; [unrolled: 1-line block ×4, first 2 shown]
	v_lshrrev_b32_e32 v8, 4, v0
	s_addc_u32 s1, s19, s1
	v_or_b32_e32 v7, 1, v6
	v_mov_b32_e32 v17, 0x4000
	v_mov_b32_e32 v18, 0x2000
	v_lshrrev_b32_e32 v19, 1, v0
	v_xor_b32_e32 v97, v12, v10
	v_xor_b32_e32 v98, v4, v10
	;; [unrolled: 1-line block ×4, first 2 shown]
	v_lshl_add_u64 v[6:7], s[0:1], 0, v[56:57]
	v_lshlrev_b32_e32 v56, 8, v8
	v_cndmask_b32_e32 v17, v17, v18, vcc
	v_lshlrev_b32_e32 v18, 3, v64
	v_and_b32_e32 v19, 24, v19
	v_lshl_or_b32 v101, v10, 3, v56
	v_and_b32_e32 v10, 8, v0
	v_xor_b32_e32 v20, v18, v19
	v_or_b32_e32 v21, 0x440, v20
	v_cmp_eq_u32_e32 vcc, 0, v10
	v_and_b32_e32 v8, 7, v0
	v_lshl_or_b32 v102, v14, 3, v56
	v_cndmask_b32_e32 v10, v21, v20, vcc
	v_lshlrev_b32_e32 v14, 3, v8
	v_lshlrev_b32_e32 v16, 2, v0
	v_or_b32_e32 v10, v10, v9
	v_xor_b32_e32 v20, v10, v14
	v_and_or_b32 v10, v16, 60, v11
	v_mov_b32_e32 v11, 0xb000
	v_lshl_or_b32 v103, v10, 1, v11
	v_or_b32_e32 v10, 32, v19
	v_xor_b32_e32 v10, v18, v10
	v_or_b32_e32 v11, 0x440, v10
	v_cndmask_b32_e32 v10, v11, v10, vcc
	v_or_b32_e32 v10, v10, v9
	v_xor_b32_e32 v11, v10, v14
	v_or_b32_e32 v10, 64, v19
	v_xor_b32_e32 v10, v18, v10
	v_xor_b32_e32 v22, 0x440, v10
	v_cndmask_b32_e32 v10, v22, v10, vcc
	v_or_b32_e32 v10, v10, v9
	v_xor_b32_e32 v22, v10, v14
	v_or_b32_e32 v10, 0x60, v19
	v_xor_b32_e32 v10, v18, v10
	v_xor_b32_e32 v18, 0x440, v10
	v_cndmask_b32_e32 v10, v18, v10, vcc
	v_lshrrev_b32_e32 v5, 2, v45
	v_or_b32_e32 v9, v10, v9
	v_and_b32_e32 v5, 12, v5
	v_lshlrev_b32_e32 v12, 1, v3
	v_add_lshl_u32 v3, v3, s15, 1
	v_or_b32_e32 v13, 0x100, v2
	v_xor_b32_e32 v9, v9, v14
	v_lshlrev_b32_e32 v4, 7, v69
	v_lshlrev_b32_e32 v15, 7, v8
	v_or_b32_e32 v8, v5, v1
	v_add_u32_e32 v21, v17, v20
	v_add_u32_e32 v16, v17, v11
	v_add_u32_e32 v23, v17, v22
	v_add_u32_e32 v14, v17, v9
	v_or3_b32 v10, v1, v5, 64
	v_add_u32_e32 v5, 0x4000, v20
	v_add_u32_e32 v11, 0x4000, v11
	;; [unrolled: 1-line block ×4, first 2 shown]
	v_cndmask_b32_e64 v104, v12, v2, s[2:3]
	v_cndmask_b32_e64 v105, v3, v13, s[2:3]
	v_lshlrev_b64 v[2:3], 1, v[46:47]
	v_lshl_add_u64 v[58:59], s[8:9], 0, v[2:3]
	v_lshl_add_u64 v[60:61], s[28:29], 0, v[2:3]
	;; [unrolled: 1-line block ×3, first 2 shown]
	s_add_i32 s37, s63, 63
	s_mov_b32 s39, 0x7060302
	v_lshlrev_b32_e32 v56, 1, v4
	v_lshlrev_b32_e32 v47, 2, v8
	v_add_u32_e32 v106, v21, v15
	v_add_u32_e32 v107, v16, v15
	;; [unrolled: 1-line block ×4, first 2 shown]
	v_lshlrev_b32_e32 v110, 2, v10
	v_add_u32_e32 v111, v5, v15
	v_add_u32_e32 v112, v11, v15
	;; [unrolled: 1-line block ×4, first 2 shown]
	s_waitcnt lgkmcnt(0)
	s_barrier
.LBB331_32:                             ; =>This Inner Loop Header: Depth=1
	s_add_i32 s68, s69, 1
	s_cmp_lt_i32 s68, s54
	s_mov_b64 s[24:25], 0
	s_cselect_b64 s[2:3], -1, 0
	s_cmp_ge_i32 s68, s54
	s_mov_b64 s[20:21], 0
	s_cbranch_scc1 .LBB331_34
; %bb.33:                               ;   in Loop: Header=BB331_32 Depth=1
	s_add_i32 s0, s64, 64
	s_add_u32 s0, s16, s0
	s_addc_u32 s1, s17, 0
	s_lshl_b64 s[0:1], s[0:1], 8
	s_add_u32 s20, s6, s0
	s_addc_u32 s21, s7, s1
.LBB331_34:                             ;   in Loop: Header=BB331_32 Depth=1
	v_cndmask_b32_e64 v2, 0, 1, s[2:3]
	v_cmp_ne_u32_e64 s[0:1], 1, v2
	s_andn2_b64 vcc, exec, s[2:3]
	s_cbranch_vccnz .LBB331_36
; %bb.35:                               ;   in Loop: Header=BB331_32 Depth=1
	s_add_i32 s2, s64, 64
	s_add_u32 s2, s63, s2
	s_addc_u32 s3, s67, 0
	s_mul_i32 s24, s2, s56
	s_mul_hi_u32 s25, s2, s60
	s_add_i32 s24, s25, s24
	s_mul_i32 s3, s3, s60
	s_add_i32 s24, s24, s3
	s_mul_i32 s2, s2, s60
	s_add_u32 s2, s2, s57
	s_addc_u32 s3, s24, s61
	s_lshl_b64 s[2:3], s[2:3], 8
	s_add_u32 s24, s4, s2
	s_addc_u32 s25, s5, s3
.LBB331_36:                             ;   in Loop: Header=BB331_32 Depth=1
	v_perm_b32 v3, v55, v54, s39
	v_perm_b32 v2, v51, v50, s39
	;; [unrolled: 1-line block ×4, first 2 shown]
	ds_write_b64 v85, v[2:3]
	ds_write_b64 v86, v[4:5]
	;; [unrolled: 1-line block ×4, first 2 shown]
	v_perm_b32 v3, v82, v75, s39
	v_perm_b32 v2, v71, v73, s39
	;; [unrolled: 1-line block ×4, first 2 shown]
	ds_write_b64 v87, v[2:3]
	ds_write_b64 v88, v[4:5]
	;; [unrolled: 1-line block ×4, first 2 shown]
	s_waitcnt lgkmcnt(0)
	s_barrier
	ds_read_b64 v[6:7], v93 offset:24576
	ds_read2_b64 v[2:5], v94 offset1:16
	ds_read_b64 v[10:11], v96 offset:3072
	ds_read_b64 v[12:13], v94 offset:3072
	;; [unrolled: 1-line block ×3, first 2 shown]
	s_waitcnt lgkmcnt(3)
	v_mfma_f32_16x16x16_bf16 a[0:3], v[6:7], v[2:3], 0
	s_add_i32 s2, s64, 63
	s_mul_i32 s3, s2, s31
	s_mul_hi_u32 s27, s2, s30
	v_mfma_f32_16x16x16_bf16 a[4:7], v[6:7], v[4:5], 0
	ds_read2st64_b64 v[2:5], v94 offset0:2 offset1:4
	ds_read2st64_b64 v[6:9], v96 offset0:2 offset1:4
	s_add_i32 s3, s27, s3
	s_waitcnt lgkmcnt(1)
	v_mfma_f32_16x16x16_bf16 a[0:3], v[14:15], v[2:3], a[0:3]
	s_mul_i32 s2, s2, s30
	s_lshl_b64 s[2:3], s[2:3], 2
	s_add_u32 s2, s44, s2
	s_waitcnt lgkmcnt(0)
	v_mfma_f32_16x16x16_bf16 a[4:7], v[14:15], v[6:7], a[4:7]
	ds_read_b64 v[2:3], v97 offset:24576
	ds_read_b64 v[6:7], v98 offset:24576
	s_addc_u32 s3, s45, s3
	s_and_b64 vcc, exec, s[0:1]
	s_waitcnt lgkmcnt(1)
	v_mfma_f32_16x16x16_bf16 a[0:3], v[2:3], v[4:5], a[0:3]
	v_mov_b32_e32 v118, 0
	v_mov_b32_e32 v117, 0
	v_mov_b32_e32 v116, 0
	v_mfma_f32_16x16x16_bf16 a[8:11], v[2:3], v[8:9], a[4:7]
	v_mov_b32_e32 v2, 0
	v_mov_b32_e32 v3, 0
	;; [unrolled: 1-line block ×3, first 2 shown]
	s_waitcnt lgkmcnt(0)
	v_mfma_f32_16x16x16_bf16 a[4:7], v[6:7], v[12:13], a[0:3]
	v_mov_b32_e32 v5, 0
	v_mov_b32_e32 v8, 0
	;; [unrolled: 1-line block ×3, first 2 shown]
	v_mfma_f32_16x16x16_bf16 a[0:3], v[6:7], v[10:11], a[8:11]
	v_mov_b32_e32 v6, 0
	v_mov_b32_e32 v7, 0
	v_mov_b32_e32 v10, 0
	v_mov_b32_e32 v11, 0
	v_mov_b32_e32 v12, 0
	v_mov_b32_e32 v13, 0
	v_mov_b32_e32 v14, 0
	v_mov_b32_e32 v15, 0
	v_mov_b32_e32 v16, 0
	v_mov_b32_e32 v17, 0
	s_cbranch_vccnz .LBB331_38
; %bb.37:                               ;   in Loop: Header=BB331_32 Depth=1
	s_and_b32 s21, s21, 0xffff
	buffer_load_dwordx4 v[14:17], v79, s[20:23], 0 offen
	buffer_load_dwordx4 v[10:13], v79, s[20:23], s62 offen
	;; [unrolled: 1-line block ×4, first 2 shown]
	v_mov_b32_e32 v117, v83
	v_mov_b32_e32 v116, v84
.LBB331_38:                             ;   in Loop: Header=BB331_32 Depth=1
	ds_read_b64 v[26:27], v93 offset:32768
	ds_read2_b64 v[18:21], v99 offset1:16
	ds_read_b64 v[28:29], v95 offset:32768
	ds_read_b64 v[30:31], v97 offset:32768
	;; [unrolled: 1-line block ×3, first 2 shown]
	v_add_u32_e32 v34, s64, v69
	s_waitcnt lgkmcnt(3)
	v_mfma_f32_16x16x16_bf16 a[4:7], v[26:27], v[18:19], a[4:7]
	v_ashrrev_i32_e32 v18, 31, v34
	ds_read2st64_b64 v[22:25], v99 offset0:2 offset1:4
	v_mfma_f32_16x16x16_bf16 a[0:3], v[26:27], v[20:21], a[0:3]
	v_mul_lo_u32 v20, v18, s30
	v_mul_lo_u32 v21, v34, s31
	v_mad_u64_u32 v[18:19], s[20:21], v34, s30, 0
	v_add3_u32 v19, v19, v21, v20
	v_add_u32_e32 v20, 1, v34
	v_ashrrev_i32_e32 v21, 31, v20
	v_mul_lo_u32 v26, v21, s30
	v_mul_lo_u32 v27, v20, s31
	v_mad_u64_u32 v[20:21], s[20:21], v20, s30, 0
	v_add3_u32 v21, v21, v27, v26
	v_add_u32_e32 v26, 2, v34
	v_ashrrev_i32_e32 v27, 31, v26
	v_mul_lo_u32 v35, v27, s30
	v_mul_lo_u32 v36, v26, s31
	v_mad_u64_u32 v[26:27], s[20:21], v26, s30, 0
	v_add_u32_e32 v34, 3, v34
	v_add3_u32 v27, v27, v36, v35
	v_ashrrev_i32_e32 v35, 31, v34
	v_mul_lo_u32 v36, v35, s30
	v_mul_lo_u32 v37, v34, s31
	v_mad_u64_u32 v[34:35], s[20:21], v34, s30, 0
	s_add_u32 s20, s16, s64
	s_addc_u32 s21, s17, 0
	s_lshl_b64 s[20:21], s[20:21], 8
	v_lshl_add_u64 v[18:19], v[18:19], 2, s[44:45]
	v_lshl_add_u64 v[20:21], v[20:21], 2, s[44:45]
	v_add3_u32 v35, v35, v37, v36
	v_lshl_add_u64 v[36:37], v[58:59], 0, s[20:21]
	v_lshl_add_u64 v[26:27], v[26:27], 2, s[44:45]
	;; [unrolled: 1-line block ×3, first 2 shown]
	global_load_dword v38, v[18:19], off
	global_load_ushort v39, v[36:37], off offset:256
	global_load_ushort v40, v[36:37], off
	v_lshl_add_u64 v[18:19], v[34:35], 2, s[44:45]
	global_load_dword v34, v[20:21], off
	global_load_dword v35, v[26:27], off
	;; [unrolled: 1-line block ×3, first 2 shown]
	ds_read2st64_b64 v[18:21], v100 offset0:2 offset1:4
	global_load_ushort v42, v[36:37], off offset:768
	global_load_ushort v43, v[36:37], off offset:512
	;; [unrolled: 1-line block ×5, first 2 shown]
	s_nop 0
	global_load_ushort v36, v[36:37], off offset:32
	s_waitcnt lgkmcnt(1)
	v_mfma_f32_16x16x16_bf16 a[4:7], v[28:29], v[22:23], a[4:7]
	s_and_b64 vcc, exec, s[0:1]
	s_waitcnt vmcnt(10)
	v_lshlrev_b32_e32 v27, 16, v39
	s_waitcnt lgkmcnt(0)
	v_mfma_f32_16x16x16_bf16 a[0:3], v[28:29], v[18:19], a[0:3]
	s_waitcnt vmcnt(9)
	v_lshlrev_b32_e32 v26, 16, v40
	v_mfma_f32_16x16x16_bf16 a[4:7], v[30:31], v[24:25], a[4:7]
	v_mfma_f32_16x16x16_bf16 a[0:3], v[30:31], v[20:21], a[0:3]
	ds_read_b64 v[18:19], v99 offset:3072
	ds_read_b64 v[20:21], v100 offset:3072
	s_load_dword s2, s[2:3], 0x0
	s_waitcnt lgkmcnt(0)
	v_sub_f32_e32 v28, s2, v38
	v_mfma_f32_16x16x16_bf16 a[4:7], v[32:33], v[18:19], a[4:7]
	v_mul_f32_e32 v28, 0x3fb8aa3b, v28
	s_waitcnt vmcnt(8)
	v_sub_f32_e32 v29, s2, v34
	s_waitcnt vmcnt(7)
	v_sub_f32_e32 v30, s2, v35
	;; [unrolled: 2-line block ×3, first 2 shown]
	v_mfma_f32_16x16x16_bf16 a[0:3], v[32:33], v[20:21], a[0:3]
	v_lshl_add_u64 v[18:19], v[60:61], 0, s[20:21]
	v_lshl_add_u64 v[18:19], v[18:19], 0, v[56:57]
	v_accvgpr_read_b32 v25, a5
	v_accvgpr_read_b32 v24, a4
	v_pk_add_f32 v[24:25], v[26:27], v[24:25] neg_lo:[0,1] neg_hi:[0,1]
	v_exp_f32_e32 v26, v28
	v_mul_f32_e32 v27, 0x3fb8aa3b, v29
	v_mul_f32_e32 v28, 0x3fb8aa3b, v30
	;; [unrolled: 1-line block ×3, first 2 shown]
	v_exp_f32_e32 v27, v27
	v_exp_f32_e32 v28, v28
	;; [unrolled: 1-line block ×3, first 2 shown]
	v_accvgpr_read_b32 v21, a7
	v_accvgpr_read_b32 v20, a6
	s_waitcnt vmcnt(5)
	v_lshlrev_b32_e32 v31, 16, v42
	s_waitcnt vmcnt(4)
	v_lshlrev_b32_e32 v30, 16, v43
	v_pk_add_f32 v[20:21], v[30:31], v[20:21] neg_lo:[0,1] neg_hi:[0,1]
	global_store_short_d16_hi v[18:19], v24, off
	global_store_short_d16_hi v[18:19], v25, off offset:256
	global_store_short_d16_hi v[18:19], v20, off offset:512
	global_store_short_d16_hi v[18:19], v21, off offset:768
	v_pk_mul_f32 v[24:25], v[26:27], v[24:25]
	v_pk_mul_f32 v[20:21], v[28:29], v[20:21]
	v_accvgpr_read_b32 v31, a1
	v_perm_b32 v21, v21, v20, s39
	v_perm_b32 v20, v25, v24, s39
	s_waitcnt vmcnt(5)
	v_lshlrev_b32_e32 v25, 16, v120
	s_waitcnt vmcnt(4)
	v_lshlrev_b32_e32 v24, 16, v36
	v_accvgpr_read_b32 v30, a0
	v_accvgpr_read_b32 v23, a3
	;; [unrolled: 1-line block ×3, first 2 shown]
	v_pk_add_f32 v[24:25], v[24:25], v[30:31] neg_lo:[0,1] neg_hi:[0,1]
	v_lshlrev_b32_e32 v31, 16, v44
	v_lshlrev_b32_e32 v30, 16, v119
	v_pk_add_f32 v[22:23], v[30:31], v[22:23] neg_lo:[0,1] neg_hi:[0,1]
	global_store_short_d16_hi v[18:19], v24, off offset:32
	global_store_short_d16_hi v[18:19], v25, off offset:288
	;; [unrolled: 1-line block ×4, first 2 shown]
	v_pk_mul_f32 v[18:19], v[26:27], v[24:25]
	v_pk_mul_f32 v[22:23], v[28:29], v[22:23]
	v_mov_b32_e32 v119, 0
	v_perm_b32 v23, v23, v22, s39
	v_perm_b32 v22, v19, v18, s39
	ds_write2_b64 v86, v[20:21], v[22:23] offset1:16
	v_mov_b32_e32 v18, 0
	v_mov_b32_e32 v19, 0
	;; [unrolled: 1-line block ×16, first 2 shown]
	s_cbranch_vccnz .LBB331_40
; %bb.39:                               ;   in Loop: Header=BB331_32 Depth=1
	s_and_b32 s25, s25, 0xffff
	s_mov_b32 s27, s23
	buffer_load_dwordx4 v[30:33], v104, s[24:27], 0 offen
	buffer_load_dwordx4 v[22:25], v104, s[24:27], s62 offen
	;; [unrolled: 1-line block ×4, first 2 shown]
	v_mov_b32_e32 v118, v78
	v_mov_b32_e32 v119, v77
.LBB331_40:                             ;   in Loop: Header=BB331_32 Depth=1
	s_waitcnt lgkmcnt(0)
	s_barrier
	ds_read_b64 v[38:39], v106
	ds_read_b64 v[124:125], v103
	;; [unrolled: 1-line block ×5, first 2 shown]
	ds_read_b64 v[138:139], v100 offset:3072
	ds_read2_b64 v[34:37], v99 offset0:16 offset1:128
	s_waitcnt lgkmcnt(5)
	v_mfma_f32_16x16x16_bf16 a[0:3], v[38:39], v[124:125], 0
	ds_read2st64_b64 v[40:43], v100 offset0:2 offset1:4
	s_add_i32 s3, s58, s69
	s_mul_hi_i32 s21, s3, s13
	s_waitcnt lgkmcnt(1)
	v_mfma_f32_16x16x16_bf16 a[4:7], v[38:39], v[34:35], 0
	ds_read_b64 v[38:39], v111
	s_mul_i32 s3, s3, s13
	s_add_u32 s20, s3, s51
	s_waitcnt lgkmcnt(1)
	v_mfma_f32_16x16x16_bf16 a[4:7], v[126:127], v[40:41], a[4:7]
	s_addc_u32 s21, s21, s55
	s_add_i32 s3, s37, s64
	s_lshl_b64 s[20:21], s[20:21], 15
	s_mul_hi_i32 s25, s3, s13
	s_mul_i32 s3, s3, s13
	s_add_u32 s24, s3, s51
	v_mfma_f32_16x16x16_bf16 a[8:11], v[128:129], v[42:43], a[4:7]
	s_addc_u32 s25, s25, s55
	ds_read2st64_b64 v[120:123], v99 offset0:4 offset1:6
	s_lshl_b64 s[24:25], s[24:25], 9
	s_waitcnt lgkmcnt(1)
	v_mfma_f32_16x16x16_bf16 a[4:7], v[38:39], v[124:125], 0
	s_add_u32 s24, s42, s24
	s_addc_u32 s25, s43, s25
	v_mfma_f32_16x16x16_bf16 a[0:3], v[126:127], v[36:37], a[0:3]
	ds_read_b64 v[126:127], v112
	ds_read_b64 v[134:135], v113
	;; [unrolled: 1-line block ×3, first 2 shown]
	v_mfma_f32_16x16x16_bf16 a[12:15], v[38:39], v[34:35], 0
	s_waitcnt lgkmcnt(2)
	v_mfma_f32_16x16x16_bf16 a[4:7], v[126:127], v[36:37], a[4:7]
	global_load_dwordx4 v[34:37], v110, s[24:25]
	v_mfma_f32_16x16x16_bf16 a[12:15], v[126:127], v[40:41], a[12:15]
	global_load_dwordx4 v[38:41], v47, s[24:25]
	ds_read2st64_b64 v[124:127], v101 offset1:8
	s_waitcnt lgkmcnt(0)
	v_mov_b32_e32 v132, v124
	v_mfma_f32_16x16x16_bf16 a[0:3], v[128:129], v[120:121], a[0:3]
	ds_read2st64_b64 v[128:131], v102 offset1:8
	v_mov_b32_e32 v133, v125
	v_mfma_f32_16x16x16_bf16 a[16:19], v[134:135], v[120:121], a[4:7]
	v_lshl_add_u64 v[120:121], v[62:63], 0, s[20:21]
	v_mfma_f32_16x16x16_bf16 a[20:23], v[134:135], v[42:43], a[12:15]
	v_add_co_u32_e32 v42, vcc, s35, v120
	s_waitcnt lgkmcnt(0)
	v_mov_b32_e32 v134, v128
	v_mfma_f32_16x16x16_bf16 a[4:7], v[136:137], v[122:123], a[0:3]
	v_mov_b32_e32 v135, v129
	v_mov_b32_e32 v128, v126
	;; [unrolled: 1-line block ×3, first 2 shown]
	v_mfma_f32_16x16x16_bf16 a[8:11], v[136:137], v[138:139], a[8:11]
	v_addc_co_u32_e32 v43, vcc, 0, v121, vcc
	global_store_dwordx4 v[42:43], v[128:131], off
	v_mfma_f32_16x16x16_bf16 a[12:15], v[140:141], v[122:123], a[16:19]
	s_and_b64 vcc, exec, s[0:1]
	global_store_dwordx4 v[120:121], v[132:135], off
	s_waitcnt vmcnt(3)
	v_mov_b32_e32 v44, v37
	v_mfma_f32_16x16x16_bf16 a[0:3], v[140:141], v[138:139], a[20:23]
	v_mov_b32_e32 v43, v36
	v_mov_b32_e32 v42, v35
	s_cbranch_vccnz .LBB331_42
; %bb.41:                               ;   in Loop: Header=BB331_32 Depth=1
	v_lshrrev_b32_e32 v35, 3, v118
	v_and_b32_e32 v35, 6, v35
	v_xor_b32_e32 v36, v35, v119
	v_lshlrev_b32_e32 v36, 2, v36
	v_and_b32_e32 v37, 8, v118
	v_xor_b32_e32 v118, 0x440, v36
	v_cmp_eq_u32_e32 vcc, 0, v37
	v_perm_b32 v37, v22, v18, s65
	s_nop 0
	v_cndmask_b32_e32 v36, v118, v36, vcc
	v_lshl_or_b32 v35, v35, 10, v36
	v_perm_b32 v36, v30, v26, s65
	s_barrier
	ds_write2st64_b32 v35, v36, v37 offset0:32 offset1:64
	v_xor_b32_e32 v36, 8, v35
	v_perm_b32 v26, v30, v26, s66
	v_perm_b32 v18, v22, v18, s66
	v_add_u32_e32 v22, 0x80, v36
	ds_write2st64_b32 v22, v26, v18 offset0:32 offset1:64
	v_xor_b32_e32 v18, 16, v35
	v_perm_b32 v22, v31, v27, s65
	v_perm_b32 v26, v23, v19, s65
	ds_write2st64_b32 v18, v22, v26 offset0:33 offset1:65
	v_xor_b32_e32 v18, 24, v35
	v_perm_b32 v22, v31, v27, s66
	v_perm_b32 v19, v23, v19, s66
	v_add_u32_e32 v18, 0x80, v18
	ds_write2st64_b32 v18, v22, v19 offset0:33 offset1:65
	v_xor_b32_e32 v18, 32, v35
	v_perm_b32 v19, v32, v28, s65
	v_perm_b32 v22, v24, v20, s65
	;; [unrolled: 9-line block ×3, first 2 shown]
	ds_write2st64_b32 v18, v19, v20 offset0:35 offset1:67
	v_xor_b32_e32 v18, 56, v35
	v_perm_b32 v19, v33, v29, s66
	v_perm_b32 v20, v25, v21, s66
	v_add_u32_e32 v18, 0x80, v18
	ds_write2st64_b32 v18, v19, v20 offset0:35 offset1:67
	ds_write_b64 v117, v[14:15] offset:24576
	v_xor_b32_e32 v14, 8, v117
	ds_write_b64 v14, v[16:17] offset:24576
	ds_write_b64 v117, v[10:11] offset:32768
	;; [unrolled: 1-line block ×4, first 2 shown]
	v_xor_b32_e32 v6, 8, v116
	ds_write_b64 v6, v[8:9] offset:24576
	ds_write_b64 v116, v[2:3] offset:32768
	;; [unrolled: 1-line block ×3, first 2 shown]
.LBB331_42:                             ;   in Loop: Header=BB331_32 Depth=1
	v_mul_f32_e32 v6, s2, v115
	v_exp_f32_e32 v18, v6
	s_waitcnt vmcnt(2)
	v_mul_f32_e32 v6, 0x3fb8aa3b, v38
	v_exp_f32_e32 v20, v6
	v_mul_f32_e32 v6, 0x3fb8aa3b, v39
	v_exp_f32_e32 v21, v6
	;; [unrolled: 2-line block ×4, first 2 shown]
	v_accvgpr_read_b32 v13, a7
	v_accvgpr_read_b32 v11, a5
	;; [unrolled: 1-line block ×4, first 2 shown]
	v_pk_mul_f32 v[20:21], v[18:19], v[20:21] op_sel_hi:[0,1]
	v_accvgpr_read_b32 v4, a10
	v_pk_fma_f32 v[50:51], v[50:51], v[20:21], v[10:11]
	v_pk_mul_f32 v[10:11], v[18:19], v[22:23] op_sel_hi:[0,1]
	v_accvgpr_read_b32 v12, a6
	v_accvgpr_read_b32 v3, a9
	v_fma_f32 v75, v75, v10, v4
	v_mul_f32_e32 v4, 0x3fb8aa3b, v43
	v_pk_fma_f32 v[54:55], v[54:55], v[10:11], v[12:13]
	v_fma_f32 v73, v73, v20, v2
	v_fma_f32 v71, v71, v21, v3
	v_mul_f32_e32 v2, 0x3fb8aa3b, v34
	v_mul_f32_e32 v3, 0x3fb8aa3b, v42
	v_exp_f32_e32 v12, v4
	v_mul_f32_e32 v4, 0x3fb8aa3b, v44
	v_exp_f32_e32 v2, v2
	v_exp_f32_e32 v3, v3
	;; [unrolled: 1-line block ×3, first 2 shown]
	v_accvgpr_read_b32 v5, a11
	v_accvgpr_read_b32 v17, a15
	;; [unrolled: 1-line block ×9, first 2 shown]
	v_fmac_f32_e32 v5, v82, v11
	v_pk_mul_f32 v[2:3], v[18:19], v[2:3] op_sel_hi:[0,1]
	v_pk_mul_f32 v[10:11], v[18:19], v[12:13] op_sel_hi:[0,1]
	s_add_i32 s64, s64, 64
	v_pk_fma_f32 v[48:49], v[48:49], v[2:3], v[14:15]
	v_pk_fma_f32 v[52:53], v[52:53], v[10:11], v[16:17]
	v_fma_f32 v74, v74, v2, v6
	v_fma_f32 v72, v72, v3, v7
	v_fma_f32 v76, v76, v10, v8
	s_cmp_eq_u32 s54, s68
	v_fmac_f32_e32 v9, v80, v11
	s_cbranch_scc1 .LBB331_4
; %bb.43:                               ;   in Loop: Header=BB331_32 Depth=1
	s_mov_b32 s69, s68
	v_mov_b32_e32 v82, v5
	v_mov_b32_e32 v80, v9
	s_branch .LBB331_32
.LBB331_44:
                                        ; implicit-def: $vgpr5
                                        ; implicit-def: $vgpr9
                                        ; implicit-def: $vgpr13
                                        ; implicit-def: $vgpr17
	s_cbranch_execz .LBB331_46
; %bb.45:
	s_waitcnt vmcnt(0)
	v_mad_u64_u32 v[2:3], s[0:1], v20, s15, v[18:19]
	v_lshlrev_b32_e32 v20, 1, v2
	s_lshl_b32 s2, s15, 7
	s_and_b32 s1, s5, 0xffff
	s_mov_b32 s3, 0x20000
	s_mov_b32 s0, s4
	v_add_lshl_u32 v21, v2, s15, 1
	s_movk_i32 s13, 0x80
	buffer_load_dwordx4 v[2:5], v20, s[0:3], 0 offen
	buffer_load_dwordx4 v[10:13], v20, s[0:3], s13 offen
	;; [unrolled: 1-line block ×4, first 2 shown]
.LBB331_46:
	v_lshrrev_b32_e32 v30, 2, v45
	s_cbranch_execnz .LBB331_59
.LBB331_47:
	s_and_b64 vcc, exec, s[6:7]
	s_cbranch_vccz .LBB331_57
; %bb.48:
	s_waitcnt vmcnt(0)
	v_lshlrev_b32_e32 v7, 1, v23
	v_cmp_gt_i32_e32 vcc, s27, v7
	v_mov_b32_e32 v6, 0
	v_lshlrev_b32_e32 v14, 9, v23
	v_mov_b32_e32 v2, 0
	v_mov_b32_e32 v3, 0
	;; [unrolled: 1-line block ×4, first 2 shown]
	s_and_saveexec_b64 s[0:1], vcc
	s_cbranch_execz .LBB331_50
; %bb.49:
	v_mov_b32_e32 v15, 0
	v_lshl_add_u64 v[2:3], s[4:5], 0, v[14:15]
	v_lshlrev_b32_e32 v4, 1, v18
	v_mov_b32_e32 v5, v15
	v_lshl_add_u64 v[2:3], v[2:3], 0, v[4:5]
	global_load_dwordx4 v[2:5], v[2:3], off
.LBB331_50:
	s_or_b64 exec, exec, s[0:1]
	v_or_b32_e32 v7, 1, v7
	v_cmp_gt_i32_e64 s[0:1], s27, v7
	v_lshlrev_b32_e32 v20, 8, v7
	v_mov_b32_e32 v7, 0
	v_mov_b32_e32 v8, 0
	v_mov_b32_e32 v9, 0
	s_and_saveexec_b64 s[2:3], s[0:1]
	s_cbranch_execz .LBB331_52
; %bb.51:
	v_mov_b32_e32 v21, 0
	v_lshl_add_u64 v[6:7], s[4:5], 0, v[20:21]
	v_lshlrev_b32_e32 v8, 1, v18
	v_mov_b32_e32 v9, v21
	v_lshl_add_u64 v[6:7], v[6:7], 0, v[8:9]
	global_load_dwordx4 v[6:9], v[6:7], off
.LBB331_52:
	s_or_b64 exec, exec, s[2:3]
	v_mov_b32_e32 v17, 0
	v_mov_b32_e32 v10, 0
	;; [unrolled: 1-line block ×5, first 2 shown]
	s_and_saveexec_b64 s[2:3], vcc
	s_cbranch_execz .LBB331_54
; %bb.53:
	v_mov_b32_e32 v15, 0
	v_lshl_add_u64 v[10:11], s[4:5], 0, v[14:15]
	v_lshlrev_b32_e32 v14, 1, v18
	v_lshl_add_u64 v[10:11], v[10:11], 0, v[14:15]
	global_load_dwordx4 v[10:13], v[10:11], off offset:128
.LBB331_54:
	s_or_b64 exec, exec, s[2:3]
	v_mov_b32_e32 v16, 0
	v_mov_b32_e32 v15, 0
	;; [unrolled: 1-line block ×3, first 2 shown]
	s_and_saveexec_b64 s[2:3], s[0:1]
	s_cbranch_execz .LBB331_56
; %bb.55:
	v_mov_b32_e32 v21, 0
	v_lshl_add_u64 v[14:15], s[4:5], 0, v[20:21]
	v_lshlrev_b32_e32 v20, 1, v18
	v_lshl_add_u64 v[14:15], v[14:15], 0, v[20:21]
	global_load_dwordx4 v[14:17], v[14:15], off offset:128
.LBB331_56:
	s_or_b64 exec, exec, s[2:3]
	s_branch .LBB331_59
.LBB331_57:
                                        ; implicit-def: $vgpr5
                                        ; implicit-def: $vgpr9
                                        ; implicit-def: $vgpr13
                                        ; implicit-def: $vgpr17
	s_cbranch_execz .LBB331_59
; %bb.58:
	s_waitcnt vmcnt(0)
	v_lshlrev_b32_e32 v2, 1, v18
	v_lshl_or_b32 v18, v23, 9, v2
	s_and_b32 s5, s5, 0xffff
	s_mov_b32 s7, 0x20000
	s_movk_i32 s6, 0x4000
	s_movk_i32 s0, 0x80
	buffer_load_dwordx4 v[2:5], v18, s[4:7], 0 offen
	buffer_load_dwordx4 v[6:9], v18, s[4:7], 0 offen offset:256
	buffer_load_dwordx4 v[10:13], v18, s[4:7], s0 offen
	buffer_load_dwordx4 v[14:17], v18, s[4:7], s0 offen offset:256
.LBB331_59:
	ds_read_b64 v[20:21], v25 offset:32768
	v_add_u32_e32 v18, 0xb000, v24
	ds_read2_b64 v[32:35], v18 offset1:16
	ds_read_b64 v[40:41], v26 offset:32768
	ds_read_b64 v[26:27], v27 offset:32768
	;; [unrolled: 1-line block ×3, first 2 shown]
	v_and_b32_e32 v18, 6, v0
	v_xor_b32_e32 v23, v23, v18
	v_lshlrev_b32_e32 v23, 2, v23
	v_and_b32_e32 v0, 1, v0
	v_xor_b32_e32 v28, 0x440, v23
	v_cmp_eq_u32_e32 vcc, 0, v0
	s_waitcnt lgkmcnt(3)
	v_mfma_f32_16x16x16_bf16 a[0:3], v[20:21], v[32:33], a[0:3]
	s_mov_b32 s0, 0x1000504
	v_cndmask_b32_e32 v0, v28, v23, vcc
	v_lshl_or_b32 v0, v18, 10, v0
	v_mfma_f32_16x16x16_bf16 a[4:7], v[20:21], v[34:35], a[4:7]
	ds_read2st64_b64 v[32:35], v24 offset0:90 offset1:92
	ds_read2st64_b64 v[36:39], v29 offset0:90 offset1:92
	ds_read_b64 v[20:21], v24 offset:48128
	ds_read_b64 v[24:25], v29 offset:48128
	s_waitcnt vmcnt(0)
	v_perm_b32 v18, v2, v6, s0
	s_waitcnt lgkmcnt(3)
	v_mfma_f32_16x16x16_bf16 a[0:3], v[40:41], v[32:33], a[0:3]
	s_mov_b32 s1, 0x3020706
	v_perm_b32 v2, v2, v6, s1
	v_perm_b32 v6, v10, v14, s1
	s_waitcnt lgkmcnt(2)
	v_mfma_f32_16x16x16_bf16 a[4:7], v[40:41], v[36:37], a[4:7]
	v_mfma_f32_16x16x16_bf16 a[0:3], v[26:27], v[34:35], a[0:3]
	;; [unrolled: 1-line block ×3, first 2 shown]
	s_waitcnt lgkmcnt(1)
	v_mfma_f32_16x16x16_bf16 a[4:7], v[42:43], v[20:21], a[0:3]
	v_perm_b32 v20, v10, v14, s0
	ds_write2st64_b32 v0, v18, v20 offset0:32 offset1:64
	v_xor_b32_e32 v18, 8, v0
	v_add_u32_e32 v10, 0x80, v18
	ds_write2st64_b32 v10, v2, v6 offset0:32 offset1:64
	v_xor_b32_e32 v2, 16, v0
	v_perm_b32 v6, v3, v7, s0
	v_perm_b32 v10, v11, v15, s0
	ds_write2st64_b32 v2, v6, v10 offset0:33 offset1:65
	v_xor_b32_e32 v2, 24, v0
	v_perm_b32 v3, v3, v7, s1
	v_perm_b32 v6, v11, v15, s1
	v_add_u32_e32 v2, 0x80, v2
	ds_write2st64_b32 v2, v3, v6 offset0:33 offset1:65
	v_xor_b32_e32 v2, 32, v0
	v_perm_b32 v3, v4, v8, s0
	v_perm_b32 v6, v12, v16, s0
	s_waitcnt lgkmcnt(4)
	v_mfma_f32_16x16x16_bf16 a[0:3], v[42:43], v[24:25], a[8:11]
	ds_write2st64_b32 v2, v3, v6 offset0:34 offset1:66
	v_xor_b32_e32 v2, 40, v0
	v_perm_b32 v3, v4, v8, s1
	v_perm_b32 v4, v12, v16, s1
	v_add_u32_e32 v2, 0x80, v2
	ds_write2st64_b32 v2, v3, v4 offset0:34 offset1:66
	v_xor_b32_e32 v2, 48, v0
	v_perm_b32 v3, v5, v9, s0
	v_perm_b32 v4, v13, v17, s0
	v_xor_b32_e32 v0, 56, v0
	v_and_or_b32 v21, v30, 12, v1
	ds_write2st64_b32 v2, v3, v4 offset0:35 offset1:67
	v_perm_b32 v2, v5, v9, s1
	v_perm_b32 v3, v13, v17, s1
	v_add_u32_e32 v0, 0x80, v0
	v_cmp_gt_i32_e32 vcc, s27, v21
	v_mov_b32_e32 v16, 0
	v_mov_b32_e32 v18, 0
	ds_write2st64_b32 v0, v2, v3 offset0:35 offset1:67
	s_and_saveexec_b64 s[0:1], vcc
	s_cbranch_execz .LBB331_61
; %bb.60:
	v_add_u32_e32 v0, s26, v21
	v_ashrrev_i32_e32 v1, 31, v0
	v_mul_lo_u32 v2, v1, s30
	v_mul_lo_u32 v3, v0, s31
	v_mad_u64_u32 v[0:1], s[2:3], v0, s30, 0
	v_add3_u32 v1, v1, v3, v2
	v_lshl_add_u64 v[0:1], v[0:1], 2, s[10:11]
	global_load_dword v0, v[0:1], off
	s_waitcnt vmcnt(0)
	v_sub_f32_e32 v0, s12, v0
	v_mul_f32_e32 v0, 0x3fb8aa3b, v0
	v_exp_f32_e32 v18, v0
.LBB331_61:
	s_or_b64 exec, exec, s[0:1]
	v_or_b32_e32 v10, 1, v21
	v_cmp_gt_i32_e64 s[0:1], s27, v10
	s_and_saveexec_b64 s[2:3], s[0:1]
	s_cbranch_execz .LBB331_63
; %bb.62:
	v_add_u32_e32 v0, s26, v10
	v_ashrrev_i32_e32 v1, 31, v0
	v_mul_lo_u32 v2, v1, s30
	v_mul_lo_u32 v3, v0, s31
	v_mad_u64_u32 v[0:1], s[4:5], v0, s30, 0
	v_add3_u32 v1, v1, v3, v2
	v_lshl_add_u64 v[0:1], v[0:1], 2, s[10:11]
	global_load_dword v0, v[0:1], off
	s_waitcnt vmcnt(0)
	v_sub_f32_e32 v0, s12, v0
	v_mul_f32_e32 v0, 0x3fb8aa3b, v0
	v_exp_f32_e32 v16, v0
.LBB331_63:
	s_or_b64 exec, exec, s[2:3]
	v_or_b32_e32 v12, 2, v21
	v_cmp_gt_i32_e64 s[2:3], s27, v12
	v_mov_b32_e32 v17, 0
	v_mov_b32_e32 v20, 0
	s_and_saveexec_b64 s[4:5], s[2:3]
	s_cbranch_execz .LBB331_65
; %bb.64:
	v_add_u32_e32 v0, s26, v12
	v_ashrrev_i32_e32 v1, 31, v0
	v_mul_lo_u32 v2, v1, s30
	v_mul_lo_u32 v3, v0, s31
	v_mad_u64_u32 v[0:1], s[6:7], v0, s30, 0
	v_add3_u32 v1, v1, v3, v2
	v_lshl_add_u64 v[0:1], v[0:1], 2, s[10:11]
	global_load_dword v0, v[0:1], off
	s_waitcnt vmcnt(0)
	v_sub_f32_e32 v0, s12, v0
	v_mul_f32_e32 v0, 0x3fb8aa3b, v0
	v_exp_f32_e32 v20, v0
.LBB331_65:
	s_or_b64 exec, exec, s[4:5]
	v_or_b32_e32 v14, 3, v21
	v_cmp_gt_i32_e64 s[4:5], s27, v14
	s_and_saveexec_b64 s[6:7], s[4:5]
	s_cbranch_execz .LBB331_67
; %bb.66:
	v_add_u32_e32 v0, s26, v14
	v_ashrrev_i32_e32 v1, 31, v0
	v_mul_lo_u32 v2, v1, s30
	v_mul_lo_u32 v3, v0, s31
	v_mad_u64_u32 v[0:1], s[14:15], v0, s30, 0
	v_add3_u32 v1, v1, v3, v2
	v_lshl_add_u64 v[0:1], v[0:1], 2, s[10:11]
	global_load_dword v0, v[0:1], off
	s_waitcnt vmcnt(0)
	v_sub_f32_e32 v0, s12, v0
	v_mul_f32_e32 v0, 0x3fb8aa3b, v0
	v_exp_f32_e32 v17, v0
.LBB331_67:
	s_or_b64 exec, exec, s[6:7]
	s_add_u32 s6, s8, s20
	s_addc_u32 s7, s9, s21
	s_add_u32 s8, s28, s20
	v_ashrrev_i32_e32 v47, 31, v46
	v_accvgpr_read_b32 v0, a4
	s_addc_u32 s9, s29, s21
	v_lshlrev_b64 v[4:5], 1, v[46:47]
	v_accvgpr_read_b32 v1, a5
	v_accvgpr_read_b32 v2, a6
	;; [unrolled: 1-line block ×3, first 2 shown]
	v_lshl_add_u64 v[6:7], s[6:7], 0, v[4:5]
	v_lshl_add_u64 v[4:5], s[8:9], 0, v[4:5]
	v_mov_b32_e32 v11, 0
	v_lshlrev_b32_e32 v8, 8, v21
	v_mov_b32_e32 v9, 0
	s_and_saveexec_b64 s[6:7], vcc
	s_cbranch_execz .LBB331_69
; %bb.68:
	v_mov_b32_e32 v9, 0
	v_lshl_add_u64 v[24:25], v[6:7], 0, v[8:9]
	global_load_ushort v13, v[24:25], off
	v_lshl_add_u64 v[24:25], v[4:5], 0, v[8:9]
	s_waitcnt vmcnt(0)
	v_lshlrev_b32_e32 v9, 16, v13
	v_sub_f32_e32 v0, v9, v0
	global_store_short_d16_hi v[24:25], v0, off
	v_mul_f32_e32 v0, v18, v0
	v_lshrrev_b32_e32 v9, 16, v0
.LBB331_69:
	s_or_b64 exec, exec, s[6:7]
	v_lshlrev_b32_e32 v10, 8, v10
	s_and_saveexec_b64 s[6:7], s[0:1]
	s_cbranch_execz .LBB331_71
; %bb.70:
	v_mov_b32_e32 v11, 0
	v_lshl_add_u64 v[24:25], v[6:7], 0, v[10:11]
	global_load_ushort v0, v[24:25], off
	v_lshl_add_u64 v[24:25], v[4:5], 0, v[10:11]
	s_waitcnt vmcnt(0)
	v_lshlrev_b32_e32 v0, 16, v0
	v_sub_f32_e32 v0, v0, v1
	global_store_short_d16_hi v[24:25], v0, off
	v_mul_f32_e32 v0, v16, v0
	v_lshrrev_b32_e32 v11, 16, v0
.LBB331_71:
	s_or_b64 exec, exec, s[6:7]
	v_mov_b32_e32 v15, 0
	v_lshlrev_b32_e32 v12, 8, v12
	v_mov_b32_e32 v13, 0
	s_and_saveexec_b64 s[6:7], s[2:3]
	s_cbranch_execz .LBB331_73
; %bb.72:
	v_mov_b32_e32 v13, 0
	v_lshl_add_u64 v[0:1], v[6:7], 0, v[12:13]
	global_load_ushort v23, v[0:1], off
	v_lshl_add_u64 v[0:1], v[4:5], 0, v[12:13]
	s_waitcnt vmcnt(0)
	v_lshlrev_b32_e32 v13, 16, v23
	v_sub_f32_e32 v2, v13, v2
	global_store_short_d16_hi v[0:1], v2, off
	v_mul_f32_e32 v0, v20, v2
	v_lshrrev_b32_e32 v13, 16, v0
.LBB331_73:
	s_or_b64 exec, exec, s[6:7]
	v_lshlrev_b32_e32 v14, 8, v14
	s_and_saveexec_b64 s[6:7], s[4:5]
	s_cbranch_execz .LBB331_75
; %bb.74:
	v_mov_b32_e32 v15, 0
	v_lshl_add_u64 v[0:1], v[6:7], 0, v[14:15]
	global_load_ushort v2, v[0:1], off
	v_lshl_add_u64 v[0:1], v[4:5], 0, v[14:15]
	s_waitcnt vmcnt(0)
	v_lshlrev_b32_e32 v2, 16, v2
	v_sub_f32_e32 v2, v2, v3
	global_store_short_d16_hi v[0:1], v2, off
	v_mul_f32_e32 v0, v17, v2
	v_lshrrev_b32_e32 v15, 16, v0
.LBB331_75:
	s_or_b64 exec, exec, s[6:7]
	v_lshlrev_b32_e32 v21, 5, v21
	s_mov_b32 s6, 0x5040100
	v_perm_b32 v24, v11, v9, s6
	v_or_b32_e32 v9, v21, v22
	v_accvgpr_read_b32 v0, a0
	v_perm_b32 v25, v15, v13, s6
	v_lshlrev_b32_e32 v9, 1, v9
	v_accvgpr_read_b32 v1, a1
	v_accvgpr_read_b32 v2, a2
	v_accvgpr_read_b32 v3, a3
	ds_write_b64 v9, v[24:25] offset:45056
	v_mov_b32_e32 v11, 0
	v_mov_b32_e32 v9, 0
	s_and_saveexec_b64 s[6:7], vcc
	s_cbranch_execz .LBB331_77
; %bb.76:
	v_mov_b32_e32 v9, 0
	v_lshl_add_u64 v[22:23], v[6:7], 0, v[8:9]
	global_load_ushort v13, v[22:23], off offset:32
	v_lshl_add_u64 v[8:9], v[4:5], 0, v[8:9]
	s_waitcnt vmcnt(0)
	v_lshlrev_b32_e32 v13, 16, v13
	v_sub_f32_e32 v0, v13, v0
	global_store_short_d16_hi v[8:9], v0, off offset:32
	v_mul_f32_e32 v0, v18, v0
	v_lshrrev_b32_e32 v9, 16, v0
.LBB331_77:
	s_or_b64 exec, exec, s[6:7]
	s_and_saveexec_b64 s[6:7], s[0:1]
	s_cbranch_execz .LBB331_79
; %bb.78:
	v_mov_b32_e32 v11, 0
	v_lshl_add_u64 v[22:23], v[6:7], 0, v[10:11]
	global_load_ushort v0, v[22:23], off offset:32
	v_lshl_add_u64 v[10:11], v[4:5], 0, v[10:11]
	s_waitcnt vmcnt(0)
	v_lshlrev_b32_e32 v0, 16, v0
	v_sub_f32_e32 v0, v0, v1
	global_store_short_d16_hi v[10:11], v0, off offset:32
	v_mul_f32_e32 v0, v16, v0
	v_lshrrev_b32_e32 v11, 16, v0
.LBB331_79:
	s_or_b64 exec, exec, s[6:7]
	v_mov_b32_e32 v0, 0
	v_mov_b32_e32 v1, 0
	s_and_saveexec_b64 s[0:1], s[2:3]
	s_cbranch_execz .LBB331_81
; %bb.80:
	v_mov_b32_e32 v13, 0
	v_lshl_add_u64 v[22:23], v[6:7], 0, v[12:13]
	global_load_ushort v1, v[22:23], off offset:32
	v_lshl_add_u64 v[12:13], v[4:5], 0, v[12:13]
	s_waitcnt vmcnt(0)
	v_lshlrev_b32_e32 v1, 16, v1
	v_sub_f32_e32 v1, v1, v2
	global_store_short_d16_hi v[12:13], v1, off offset:32
	v_mul_f32_e32 v1, v20, v1
	v_lshrrev_b32_e32 v1, 16, v1
.LBB331_81:
	s_or_b64 exec, exec, s[0:1]
	s_and_saveexec_b64 s[0:1], s[4:5]
	s_cbranch_execz .LBB331_83
; %bb.82:
	v_mov_b32_e32 v15, 0
	v_lshl_add_u64 v[6:7], v[6:7], 0, v[14:15]
	global_load_ushort v0, v[6:7], off offset:32
	v_lshl_add_u64 v[4:5], v[4:5], 0, v[14:15]
	s_waitcnt vmcnt(0)
	v_lshlrev_b32_e32 v0, 16, v0
	v_sub_f32_e32 v0, v0, v3
	global_store_short_d16_hi v[4:5], v0, off offset:32
	v_mul_f32_e32 v0, v17, v0
	v_lshrrev_b32_e32 v0, 16, v0
.LBB331_83:
	s_or_b64 exec, exec, s[0:1]
	s_mov_b32 s0, 0x5040100
	v_or_b32_e32 v2, v21, v19
	v_perm_b32 v1, v0, v1, s0
	v_perm_b32 v0, v11, v9, s0
	v_lshlrev_b32_e32 v2, 1, v2
	ds_write_b64 v2, v[0:1] offset:45056
	s_waitcnt lgkmcnt(0)
	s_barrier
.LBB331_84:
	s_endpgm
	.section	.rodata,"a",@progbits
	.p2align	6, 0x0
	.amdhsa_kernel _ZN12_GLOBAL__N_139chunk_gated_delta_rule_fwd_h_hip_kernelILi32ELb1ELb0ELb1ELb0ELb0ELb1ELb1ELb1EEEvPK12hip_bfloat16S3_S3_PKfS5_PKvPS1_S8_PvPKiSB_iiiiilll
		.amdhsa_group_segment_fixed_size 49152
		.amdhsa_private_segment_fixed_size 0
		.amdhsa_kernarg_size 136
		.amdhsa_user_sgpr_count 2
		.amdhsa_user_sgpr_dispatch_ptr 0
		.amdhsa_user_sgpr_queue_ptr 0
		.amdhsa_user_sgpr_kernarg_segment_ptr 1
		.amdhsa_user_sgpr_dispatch_id 0
		.amdhsa_user_sgpr_kernarg_preload_length 0
		.amdhsa_user_sgpr_kernarg_preload_offset 0
		.amdhsa_user_sgpr_private_segment_size 0
		.amdhsa_uses_dynamic_stack 0
		.amdhsa_enable_private_segment 0
		.amdhsa_system_sgpr_workgroup_id_x 1
		.amdhsa_system_sgpr_workgroup_id_y 1
		.amdhsa_system_sgpr_workgroup_id_z 0
		.amdhsa_system_sgpr_workgroup_info 0
		.amdhsa_system_vgpr_workitem_id 0
		.amdhsa_next_free_vgpr 168
		.amdhsa_next_free_sgpr 70
		.amdhsa_accum_offset 144
		.amdhsa_reserve_vcc 1
		.amdhsa_float_round_mode_32 0
		.amdhsa_float_round_mode_16_64 0
		.amdhsa_float_denorm_mode_32 3
		.amdhsa_float_denorm_mode_16_64 3
		.amdhsa_dx10_clamp 1
		.amdhsa_ieee_mode 1
		.amdhsa_fp16_overflow 0
		.amdhsa_tg_split 0
		.amdhsa_exception_fp_ieee_invalid_op 0
		.amdhsa_exception_fp_denorm_src 0
		.amdhsa_exception_fp_ieee_div_zero 0
		.amdhsa_exception_fp_ieee_overflow 0
		.amdhsa_exception_fp_ieee_underflow 0
		.amdhsa_exception_fp_ieee_inexact 0
		.amdhsa_exception_int_div_zero 0
	.end_amdhsa_kernel
	.section	.text._ZN12_GLOBAL__N_139chunk_gated_delta_rule_fwd_h_hip_kernelILi32ELb1ELb0ELb1ELb0ELb0ELb1ELb1ELb1EEEvPK12hip_bfloat16S3_S3_PKfS5_PKvPS1_S8_PvPKiSB_iiiiilll,"axG",@progbits,_ZN12_GLOBAL__N_139chunk_gated_delta_rule_fwd_h_hip_kernelILi32ELb1ELb0ELb1ELb0ELb0ELb1ELb1ELb1EEEvPK12hip_bfloat16S3_S3_PKfS5_PKvPS1_S8_PvPKiSB_iiiiilll,comdat
.Lfunc_end331:
	.size	_ZN12_GLOBAL__N_139chunk_gated_delta_rule_fwd_h_hip_kernelILi32ELb1ELb0ELb1ELb0ELb0ELb1ELb1ELb1EEEvPK12hip_bfloat16S3_S3_PKfS5_PKvPS1_S8_PvPKiSB_iiiiilll, .Lfunc_end331-_ZN12_GLOBAL__N_139chunk_gated_delta_rule_fwd_h_hip_kernelILi32ELb1ELb0ELb1ELb0ELb0ELb1ELb1ELb1EEEvPK12hip_bfloat16S3_S3_PKfS5_PKvPS1_S8_PvPKiSB_iiiiilll
                                        ; -- End function
	.section	.AMDGPU.csdata,"",@progbits
; Kernel info:
; codeLenInByte = 9052
; NumSgprs: 76
; NumVgprs: 142
; NumAgprs: 24
; TotalNumVgprs: 168
; ScratchSize: 0
; MemoryBound: 0
; FloatMode: 240
; IeeeMode: 1
; LDSByteSize: 49152 bytes/workgroup (compile time only)
; SGPRBlocks: 9
; VGPRBlocks: 20
; NumSGPRsForWavesPerEU: 76
; NumVGPRsForWavesPerEU: 168
; AccumOffset: 144
; Occupancy: 1
; WaveLimiterHint : 1
; COMPUTE_PGM_RSRC2:SCRATCH_EN: 0
; COMPUTE_PGM_RSRC2:USER_SGPR: 2
; COMPUTE_PGM_RSRC2:TRAP_HANDLER: 0
; COMPUTE_PGM_RSRC2:TGID_X_EN: 1
; COMPUTE_PGM_RSRC2:TGID_Y_EN: 1
; COMPUTE_PGM_RSRC2:TGID_Z_EN: 0
; COMPUTE_PGM_RSRC2:TIDIG_COMP_CNT: 0
; COMPUTE_PGM_RSRC3_GFX90A:ACCUM_OFFSET: 35
; COMPUTE_PGM_RSRC3_GFX90A:TG_SPLIT: 0
	.section	.text._ZN12_GLOBAL__N_139chunk_gated_delta_rule_fwd_h_hip_kernelILi32ELb1ELb0ELb0ELb0ELb0ELb1ELb1ELb1EEEvPK12hip_bfloat16S3_S3_PKfS5_PKvPS1_S8_PvPKiSB_iiiiilll,"axG",@progbits,_ZN12_GLOBAL__N_139chunk_gated_delta_rule_fwd_h_hip_kernelILi32ELb1ELb0ELb0ELb0ELb0ELb1ELb1ELb1EEEvPK12hip_bfloat16S3_S3_PKfS5_PKvPS1_S8_PvPKiSB_iiiiilll,comdat
	.globl	_ZN12_GLOBAL__N_139chunk_gated_delta_rule_fwd_h_hip_kernelILi32ELb1ELb0ELb0ELb0ELb0ELb1ELb1ELb1EEEvPK12hip_bfloat16S3_S3_PKfS5_PKvPS1_S8_PvPKiSB_iiiiilll ; -- Begin function _ZN12_GLOBAL__N_139chunk_gated_delta_rule_fwd_h_hip_kernelILi32ELb1ELb0ELb0ELb0ELb0ELb1ELb1ELb1EEEvPK12hip_bfloat16S3_S3_PKfS5_PKvPS1_S8_PvPKiSB_iiiiilll
	.p2align	8
	.type	_ZN12_GLOBAL__N_139chunk_gated_delta_rule_fwd_h_hip_kernelILi32ELb1ELb0ELb0ELb0ELb0ELb1ELb1ELb1EEEvPK12hip_bfloat16S3_S3_PKfS5_PKvPS1_S8_PvPKiSB_iiiiilll,@function
_ZN12_GLOBAL__N_139chunk_gated_delta_rule_fwd_h_hip_kernelILi32ELb1ELb0ELb0ELb0ELb0ELb1ELb1ELb1EEEvPK12hip_bfloat16S3_S3_PKfS5_PKvPS1_S8_PvPKiSB_iiiiilll: ; @_ZN12_GLOBAL__N_139chunk_gated_delta_rule_fwd_h_hip_kernelILi32ELb1ELb0ELb0ELb0ELb0ELb1ELb1ELb1EEEvPK12hip_bfloat16S3_S3_PKfS5_PKvPS1_S8_PvPKiSB_iiiiilll
; %bb.0:
	s_load_dwordx4 s[12:15], s[0:1], 0x5c
	s_load_dwordx4 s[16:19], s[0:1], 0x28
	s_abs_i32 s6, s3
	s_ashr_i32 s5, s3, 31
	v_and_b32_e32 v64, 15, v0
	s_waitcnt lgkmcnt(0)
	s_abs_i32 s4, s13
	v_cvt_f32_u32_e32 v1, s4
	s_sub_i32 s8, 0, s4
	s_ashr_i32 s7, s13, 31
	s_xor_b32 s5, s5, s7
	v_rcp_iflag_f32_e32 v1, v1
	v_lshrrev_b32_e32 v62, 6, v0
	v_bfe_u32 v63, v0, 4, 2
	v_mov_b32_e32 v7, 0
	v_mul_f32_e32 v1, 0x4f7ffffe, v1
	v_cvt_u32_f32_e32 v1, v1
	v_and_b32_e32 v45, 63, v0
	v_lshlrev_b32_e32 v65, 3, v0
	v_lshrrev_b32_e32 v66, 3, v45
	v_readfirstlane_b32 s9, v1
	s_mul_i32 s8, s8, s9
	s_mul_hi_u32 s8, s9, s8
	s_add_i32 s9, s9, s8
	s_mul_hi_u32 s8, s6, s9
	s_mul_i32 s9, s8, s4
	s_sub_i32 s6, s6, s9
	s_add_i32 s10, s8, 1
	s_sub_i32 s9, s6, s4
	s_cmp_ge_u32 s6, s4
	s_cselect_b32 s8, s10, s8
	s_cselect_b32 s6, s9, s6
	s_add_i32 s9, s8, 1
	s_cmp_ge_u32 s6, s4
	s_cselect_b32 s6, s9, s8
	s_xor_b32 s6, s6, s5
	s_sub_i32 s51, s6, s5
	s_mul_i32 s6, s51, s13
	s_sub_i32 s49, s3, s6
	s_abs_i32 s3, s14
	v_cvt_f32_u32_e32 v1, s3
	s_add_i32 s8, s12, 63
	s_ashr_i32 s9, s8, 31
	s_lshr_b32 s5, s9, 26
	v_rcp_iflag_f32_e32 v1, v1
	s_ashr_i32 s50, s12, 31
	s_add_i32 s8, s8, s5
	s_lshr_b32 s5, s50, 26
	v_mul_f32_e32 v1, 0x4f7ffffe, v1
	v_cvt_u32_f32_e32 v1, v1
	s_add_i32 s5, s12, s5
	s_ashr_i32 s54, s14, 31
	s_ashr_i32 s52, s5, 6
	s_lshl_b32 s36, s2, 5
	s_xor_b32 s2, s7, s54
	s_sub_i32 s5, 0, s3
	v_readfirstlane_b32 s7, v1
	s_mul_i32 s5, s5, s7
	s_mul_hi_u32 s5, s7, s5
	s_add_i32 s7, s7, s5
	s_mul_hi_u32 s5, s4, s7
	s_mul_i32 s7, s5, s3
	s_sub_i32 s4, s4, s7
	s_ashr_i32 s25, s8, 6
	s_add_i32 s7, s5, 1
	s_sub_i32 s8, s4, s3
	s_cmp_ge_u32 s4, s3
	s_cselect_b32 s5, s7, s5
	s_cselect_b32 s4, s8, s4
	s_add_i32 s7, s5, 1
	s_cmp_ge_u32 s4, s3
	s_cselect_b32 s3, s7, s5
	s_xor_b32 s3, s3, s2
	s_sub_i32 s2, s3, s2
	s_abs_i32 s3, s2
	v_cvt_f32_u32_e32 v1, s3
	s_sub_i32 s5, 0, s3
	s_abs_i32 s4, s49
	s_xor_b32 s2, s49, s2
	v_rcp_iflag_f32_e32 v1, v1
	s_ashr_i32 s2, s2, 31
	v_or_b32_e32 v46, s36, v64
	v_lshlrev_b32_e32 v2, 7, v46
	v_mul_f32_e32 v1, 0x4f7ffffe, v1
	v_cvt_u32_f32_e32 v1, v1
	v_ashrrev_i32_e32 v3, 31, v2
	s_mul_i32 s56, s51, s25
	v_readfirstlane_b32 s7, v1
	s_mul_i32 s5, s5, s7
	s_mul_hi_u32 s5, s7, s5
	s_add_i32 s7, s7, s5
	s_mul_hi_u32 s5, s4, s7
	s_mul_i32 s7, s5, s3
	s_sub_i32 s4, s4, s7
	s_add_i32 s7, s5, 1
	s_sub_i32 s8, s4, s3
	s_cmp_ge_u32 s4, s3
	s_cselect_b32 s5, s7, s5
	s_cselect_b32 s4, s8, s4
	s_add_i32 s7, s5, 1
	s_cmp_ge_u32 s4, s3
	s_cselect_b32 s3, s7, s5
	s_xor_b32 s3, s3, s2
	s_sub_i32 s55, s3, s2
	s_ashr_i32 s24, s51, 31
	s_ashr_i32 s53, s49, 31
	s_mul_hi_i32 s2, s51, s13
	s_add_u32 s38, s6, s49
	s_addc_u32 s39, s2, s53
	s_lshl_b64 s[2:3], s[38:39], 15
	s_add_u32 s2, s16, s2
	s_addc_u32 s3, s17, s3
	v_lshlrev_b32_e32 v1, 4, v62
	v_lshl_add_u64 v[4:5], v[2:3], 1, s[2:3]
	v_or_b32_e32 v2, 0x800, v2
	v_lshl_or_b32 v67, v63, 2, v1
	v_ashrrev_i32_e32 v3, 31, v2
	v_lshlrev_b32_e32 v6, 1, v67
	v_lshl_add_u64 v[2:3], v[2:3], 1, s[2:3]
	v_lshl_add_u64 v[4:5], v[4:5], 0, v[6:7]
	;; [unrolled: 1-line block ×3, first 2 shown]
	global_load_dwordx2 v[8:9], v[4:5], off
	v_or_b32_e32 v68, 64, v67
	global_load_dwordx2 v[4:5], v[4:5], off offset:128
	s_nop 0
	global_load_dwordx2 v[6:7], v[2:3], off
	global_load_dwordx2 v[10:11], v[2:3], off offset:128
	s_load_dwordx8 s[4:11], s[0:1], 0x0
	s_load_dwordx2 s[28:29], s[0:1], 0x80
	s_load_dwordx4 s[20:23], s[0:1], 0x70
	s_mul_hi_u32 s57, s38, s12
	s_mul_i32 s16, s38, s12
	s_mul_i32 s39, s39, s12
	s_cmp_lt_i32 s12, 64
	s_waitcnt lgkmcnt(0)
	s_mul_i32 s33, s51, s21
	s_mul_hi_u32 s44, s51, s20
	s_mul_i32 s30, s51, s20
	s_mul_i32 s45, s49, s23
	s_mul_hi_u32 s46, s49, s22
	s_mul_i32 s48, s24, s20
	s_mul_i32 s47, s53, s22
	;; [unrolled: 1-line block ×3, first 2 shown]
	s_waitcnt vmcnt(3)
	v_and_b32_e32 v51, 0xffff0000, v8
	v_lshlrev_b32_e32 v50, 16, v8
	v_and_b32_e32 v55, 0xffff0000, v9
	v_lshlrev_b32_e32 v54, 16, v9
	s_waitcnt vmcnt(2)
	v_and_b32_e32 v49, 0xffff0000, v4
	v_lshlrev_b32_e32 v48, 16, v4
	v_and_b32_e32 v53, 0xffff0000, v5
	v_lshlrev_b32_e32 v52, 16, v5
	;; [unrolled: 5-line block ×4, first 2 shown]
	s_cbranch_scc1 .LBB332_3
; %bb.1:
	s_add_i32 s17, s57, s39
	s_lshl_b64 s[2:3], s[16:17], 8
	v_and_b32_e32 v76, 56, v65
	s_add_u32 s20, s6, s2
	v_lshl_or_b32 v75, v62, 3, v66
	v_lshlrev_b32_e32 v2, 1, v76
	s_addc_u32 s2, s7, s3
	v_lshl_or_b32 v77, v75, 8, v2
	s_and_b32 s21, s2, 0xffff
	s_mov_b32 s23, 0x20000
	s_movk_i32 s22, 0x4000
	s_movk_i32 s2, 0x80
	v_or_b32_e32 v79, 0x2000, v77
	buffer_load_dwordx4 v[4:7], v77, s[20:23], 0 offen
	buffer_load_dwordx4 v[8:11], v77, s[20:23], s2 offen
	;; [unrolled: 1-line block ×4, first 2 shown]
	v_lshlrev_b32_e32 v3, 3, v75
	v_and_or_b32 v21, v0, 7, v3
	v_and_b32_e32 v3, 0x78, v3
	v_lshlrev_b32_e32 v21, 4, v21
	v_xor_b32_e32 v81, v21, v3
	v_mul_lo_u32 v20, v75, s15
	v_or_b32_e32 v82, 0x1000, v81
	v_xor_b32_e32 v3, 8, v81
	s_cmpk_eq_i32 s15, 0x80
	s_mov_b32 s58, s14
	v_xor_b32_e32 v21, 8, v82
	s_cselect_b64 s[2:3], -1, 0
	s_cmpk_lg_i32 s15, 0x80
	s_waitcnt vmcnt(3)
	ds_write_b64 v81, v[4:5] offset:24576
	ds_write_b64 v3, v[6:7] offset:24576
	s_waitcnt vmcnt(2)
	ds_write_b64 v81, v[8:9] offset:32768
	ds_write_b64 v3, v[10:11] offset:32768
	;; [unrolled: 3-line block ×4, first 2 shown]
	v_lshl_add_u32 v3, v20, 1, v76
	s_cbranch_scc0 .LBB332_29
; %bb.2:
	v_lshlrev_b32_e32 v5, 1, v3
	v_add_lshl_u32 v4, v3, s15, 1
	s_lshl_b32 s22, s15, 7
	s_load_dwordx2 s[40:41], s[0:1], 0x20
	v_lshl_or_b32 v2, v75, 9, v2
	s_cbranch_execz .LBB332_30
	s_branch .LBB332_31
.LBB332_3:
	v_mov_b32_e32 v9, v78
	v_mov_b32_e32 v5, v80
.LBB332_4:
	s_lshl_b32 s26, s52, 6
	s_sub_i32 s27, s12, s26
	s_cmp_gt_i32 s27, 0
	s_cbranch_scc0 .LBB332_84
; %bb.5:
	s_ashr_i32 s2, s26, 31
	s_cmpk_lg_i32 s15, 0x80
	s_cselect_b64 s[22:23], -1, 0
	s_and_b64 vcc, exec, s[22:23]
	s_cbranch_vccz .LBB332_7
; %bb.6:
	s_mul_i32 s1, s51, s12
	s_mul_hi_i32 s0, s51, s12
	s_add_u32 s1, s1, s26
	s_addc_u32 s0, s0, s2
	s_mul_i32 s3, s1, s54
	s_mul_hi_u32 s17, s1, s14
	s_add_i32 s3, s17, s3
	s_mul_i32 s0, s0, s14
	s_add_i32 s3, s3, s0
	s_mul_i32 s1, s1, s14
	s_ashr_i32 s0, s55, 31
	s_add_u32 s24, s1, s55
	s_addc_u32 s25, s3, s0
	s_cbranch_execz .LBB332_8
	s_branch .LBB332_9
.LBB332_7:
                                        ; implicit-def: $sgpr24_sgpr25
.LBB332_8:
	s_mul_hi_i32 s0, s51, s14
	s_mul_i32 s51, s51, s14
	s_ashr_i32 s1, s55, 31
	s_add_u32 s3, s51, s55
	s_addc_u32 s0, s0, s1
	s_mul_i32 s1, s3, s50
	s_mul_hi_u32 s14, s3, s12
	s_add_i32 s1, s14, s1
	s_mul_i32 s0, s0, s12
	s_add_i32 s1, s1, s0
	s_mul_i32 s3, s3, s12
	s_add_u32 s24, s3, s26
	s_addc_u32 s25, s1, s2
.LBB332_9:
	s_mul_i32 s0, s38, s50
	s_add_i32 s0, s57, s0
	s_add_i32 s3, s56, s52
	;; [unrolled: 1-line block ×3, first 2 shown]
	s_add_u32 s0, s16, s26
	v_lshlrev_b32_e32 v8, 5, v67
	v_lshlrev_b32_e32 v22, 2, v64
	s_addc_u32 s1, s1, s2
	s_mov_b32 s2, 0x7060302
	v_or_b32_e32 v11, v8, v22
	v_xor_b32_e32 v4, v67, v22
	v_perm_b32 v3, v55, v54, s2
	v_perm_b32 v2, v51, v50, s2
	;; [unrolled: 1-line block ×4, first 2 shown]
	v_lshlrev_b32_e32 v11, 1, v11
	s_lshl_b64 s[20:21], s[0:1], 8
	v_xor_b32_e32 v10, v68, v22
	ds_write2st64_b64 v11, v[2:3], v[6:7] offset0:80 offset1:88
	v_lshlrev_b32_e32 v11, 1, v4
	v_lshlrev_b32_e32 v4, 8, v64
	s_add_u32 s0, s6, s20
	v_or_b32_e32 v12, v11, v4
	v_lshlrev_b32_e32 v10, 1, v10
	s_addc_u32 s1, s7, s21
	ds_write_b64 v12, v[2:3]
	v_or_b32_e32 v2, v10, v4
	s_mul_hi_i32 s6, s3, s13
	s_mul_i32 s3, s3, s13
	ds_write_b64 v2, v[6:7]
	v_perm_b32 v3, v5, v73, s2
	v_perm_b32 v2, v69, v71, s2
	;; [unrolled: 1-line block ×4, first 2 shown]
	v_or_b32_e32 v6, 16, v64
	s_add_u32 s2, s3, s49
	v_lshlrev_b32_e32 v19, 2, v6
	s_addc_u32 s3, s6, s53
	v_or_b32_e32 v7, v8, v19
	s_ashr_i32 s37, s36, 31
	s_lshl_b64 s[2:3], s[2:3], 15
	v_lshlrev_b32_e32 v7, 1, v7
	v_lshlrev_b32_e32 v6, 8, v6
	s_add_u32 s6, s18, s2
	ds_write2st64_b64 v7, v[2:3], v[4:5] offset0:80 offset1:88
	v_or_b32_e32 v7, v11, v6
	s_addc_u32 s7, s19, s3
	s_lshl_b64 s[2:3], s[36:37], 8
	ds_write_b64 v7, v[2:3]
	v_or_b32_e32 v2, v10, v6
	s_add_u32 s2, s6, s2
	ds_write_b64 v2, v[4:5]
	v_lshrrev_b32_e32 v2, 4, v0
	s_addc_u32 s3, s7, s3
	v_lshlrev_b32_e32 v3, 1, v64
	v_lshlrev_b32_e32 v10, 4, v64
	v_mov_b32_e32 v11, 0
	v_or_b32_e32 v4, 1, v3
	v_xor_b32_e32 v3, v2, v3
	v_lshl_add_u64 v[12:13], s[2:3], 0, v[10:11]
	v_lshlrev_b32_e32 v10, 8, v2
	v_xor_b32_e32 v6, v4, v2
	v_lshl_or_b32 v2, v3, 3, v10
	s_waitcnt lgkmcnt(0)
	s_barrier
	ds_read2st64_b64 v[2:5], v2 offset1:8
	v_lshl_or_b32 v6, v6, 3, v10
	ds_read2st64_b64 v[6:9], v6 offset1:8
	v_lshl_add_u64 v[14:15], v[12:13], 0, v[10:11]
	s_movk_i32 s2, 0x1000
	s_waitcnt lgkmcnt(1)
	v_mov_b32_e32 v10, v2
	v_add_co_u32_e32 v2, vcc, s2, v14
	s_cmp_lg_u32 s27, 64
	v_mov_b32_e32 v11, v3
	v_addc_co_u32_e32 v3, vcc, 0, v15, vcc
	s_cselect_b64 s[6:7], -1, 0
	v_lshl_or_b32 v23, v62, 3, v66
	s_waitcnt lgkmcnt(0)
	v_mov_b32_e32 v12, v6
	v_mov_b32_e32 v13, v7
	;; [unrolled: 1-line block ×4, first 2 shown]
	s_mov_b32 s16, 0
	v_or_b32_e32 v20, 32, v23
	v_and_b32_e32 v18, 56, v65
	s_and_b64 vcc, exec, s[6:7]
	global_store_dwordx4 v[14:15], v[10:13], off
	global_store_dwordx4 v[2:3], v[6:9], off
	s_cbranch_vccz .LBB332_15
; %bb.10:
	s_mov_b32 s17, s16
	s_mov_b32 s18, s16
	;; [unrolled: 1-line block ×3, first 2 shown]
	v_mov_b64_e32 v[6:7], s[16:17]
	v_mov_b64_e32 v[8:9], s[18:19]
	;; [unrolled: 1-line block ×3, first 2 shown]
	v_cmp_gt_i32_e32 vcc, s27, v23
	v_mov_b64_e32 v[4:5], v[8:9]
	s_and_saveexec_b64 s[2:3], vcc
	s_cbranch_execz .LBB332_12
; %bb.11:
	v_lshlrev_b32_e32 v2, 8, v23
	v_mov_b32_e32 v3, 0
	v_lshl_add_u64 v[4:5], s[0:1], 0, v[2:3]
	v_lshlrev_b32_e32 v2, 1, v18
	v_lshl_add_u64 v[10:11], v[4:5], 0, v[2:3]
	global_load_dwordx4 v[6:9], v[10:11], off
	global_load_dwordx4 v[2:5], v[10:11], off offset:128
.LBB332_12:
	s_or_b64 exec, exec, s[2:3]
	s_mov_b32 s17, s16
	s_mov_b32 s18, s16
	s_mov_b32 s19, s16
	v_mov_b64_e32 v[14:15], s[16:17]
	v_mov_b64_e32 v[16:17], s[18:19]
	;; [unrolled: 1-line block ×3, first 2 shown]
	v_cmp_gt_i32_e32 vcc, s27, v20
	v_lshlrev_b32_e32 v21, 7, v20
	v_mov_b64_e32 v[12:13], v[16:17]
	s_and_saveexec_b64 s[2:3], vcc
	s_cbranch_execz .LBB332_14
; %bb.13:
	v_lshlrev_b32_e32 v10, 1, v21
	v_mov_b32_e32 v11, 0
	v_lshl_add_u64 v[12:13], s[0:1], 0, v[10:11]
	v_lshlrev_b32_e32 v10, 1, v18
	v_lshl_add_u64 v[24:25], v[12:13], 0, v[10:11]
	global_load_dwordx4 v[14:17], v[24:25], off
	global_load_dwordx4 v[10:13], v[24:25], off offset:128
.LBB332_14:
	s_or_b64 exec, exec, s[2:3]
	v_lshrrev_b32_e32 v24, 3, v18
	v_lshlrev_b32_e32 v25, 3, v23
	v_or_b32_e32 v24, v25, v24
	v_lshlrev_b32_e32 v24, 4, v24
	v_and_b32_e32 v25, 0x78, v25
	v_xor_b32_e32 v24, v24, v25
	s_branch .LBB332_17
.LBB332_15:
                                        ; implicit-def: $vgpr24
                                        ; implicit-def: $vgpr21
                                        ; implicit-def: $vgpr6_vgpr7_vgpr8_vgpr9
                                        ; implicit-def: $vgpr2_vgpr3_vgpr4_vgpr5
                                        ; implicit-def: $vgpr14_vgpr15_vgpr16_vgpr17
                                        ; implicit-def: $vgpr10_vgpr11_vgpr12_vgpr13
	s_cbranch_execz .LBB332_17
; %bb.16:
	s_waitcnt vmcnt(0)
	v_lshlrev_b32_e32 v2, 1, v18
	v_lshl_or_b32 v21, v23, 8, v2
	s_and_b32 s1, s1, 0xffff
	s_mov_b32 s3, 0x20000
	s_movk_i32 s2, 0x4000
	v_lshl_or_b32 v24, v20, 8, v2
	s_movk_i32 s13, 0x80
	buffer_load_dwordx4 v[6:9], v21, s[0:3], 0 offen
	buffer_load_dwordx4 v[2:5], v21, s[0:3], s13 offen
	;; [unrolled: 1-line block ×4, first 2 shown]
	v_lshrrev_b32_e32 v21, 3, v18
	v_lshlrev_b32_e32 v24, 3, v23
	v_or_b32_e32 v21, v24, v21
	v_lshlrev_b32_e32 v21, 4, v21
	v_and_b32_e32 v24, 0x78, v24
	v_xor_b32_e32 v24, v21, v24
	v_lshlrev_b32_e32 v21, 7, v20
.LBB332_17:
	s_lshl_b64 s[0:1], s[24:25], 8
	s_add_u32 s4, s4, s0
	s_movk_i32 s0, 0x1000
	v_and_or_b32 v20, v21, s0, v24
	s_waitcnt vmcnt(1)
	ds_write_b64 v24, v[6:7] offset:24576
	v_xor_b32_e32 v6, 8, v24
	ds_write_b64 v6, v[8:9] offset:24576
	s_waitcnt vmcnt(0)
	ds_write_b64 v24, v[2:3] offset:32768
	ds_write_b64 v6, v[4:5] offset:32768
	;; [unrolled: 1-line block ×3, first 2 shown]
	v_xor_b32_e32 v2, 8, v20
	ds_write_b64 v2, v[16:17] offset:24576
	ds_write_b64 v20, v[10:11] offset:32768
	;; [unrolled: 1-line block ×3, first 2 shown]
	v_or_b32_e32 v2, v1, v64
	v_lshlrev_b32_e32 v3, 11, v62
	v_lshlrev_b32_e32 v2, 3, v2
	v_and_b32_e32 v6, 0x1000, v3
	v_lshrrev_b32_e32 v3, 5, v45
	s_movk_i32 s3, 0xf8
	v_and_or_b32 v3, v2, s3, v3
	v_lshlrev_b32_e32 v7, 4, v3
	v_and_b32_e32 v8, 0x78, v2
	v_or_b32_e32 v10, 32, v7
	v_lshrrev_b32_e32 v3, 1, v45
	v_xor_b32_e32 v10, v10, v8
	v_xor_b32_e32 v2, v7, v8
	v_and_b32_e32 v9, 8, v3
	v_or_b32_e32 v10, v10, v6
	v_or_b32_e32 v2, v2, v6
	v_xor_b32_e32 v26, v10, v9
	v_or_b32_e32 v10, 64, v7
	v_xor_b32_e32 v25, v2, v9
	v_xor_b32_e32 v10, v10, v8
	s_waitcnt lgkmcnt(0)
	s_barrier
	v_or_b32_e32 v12, v10, v6
	ds_read_b64 v[10:11], v25 offset:24576
	v_lshl_or_b32 v20, v63, 7, v22
	v_lshlrev_b32_e32 v24, 1, v20
	v_add_u32_e32 v2, 0xa000, v24
	ds_read2_b64 v[2:5], v2 offset1:16
	v_or_b32_e32 v7, 0x60, v7
	v_xor_b32_e32 v7, v7, v8
	s_waitcnt lgkmcnt(0)
	v_mfma_f32_16x16x16_bf16 a[0:3], v[10:11], v[2:3], 0
	v_or_b32_e32 v2, 64, v20
	v_or_b32_e32 v6, v7, v6
	v_lshlrev_b32_e32 v29, 1, v2
	v_xor_b32_e32 v27, v12, v9
	v_xor_b32_e32 v28, v6, v9
	ds_read_b64 v[12:13], v26 offset:24576
	ds_read_b64 v[14:15], v27 offset:24576
	;; [unrolled: 1-line block ×3, first 2 shown]
	v_mfma_f32_16x16x16_bf16 a[4:7], v[10:11], v[4:5], 0
	ds_read2st64_b64 v[2:5], v29 offset0:82 offset1:84
	ds_read2st64_b64 v[6:9], v24 offset0:82 offset1:84
	s_addc_u32 s5, s5, s1
	s_add_i32 s1, s44, s33
	s_add_i32 s0, s12, -1
	s_add_i32 s31, s1, s48
	s_add_i32 s1, s46, s45
	;; [unrolled: 1-line block ×3, first 2 shown]
	s_ashr_i32 s1, s0, 31
	s_mul_i32 s2, s0, s29
	s_mul_hi_u32 s3, s0, s28
	s_add_i32 s2, s3, s2
	s_mul_i32 s1, s1, s28
	s_waitcnt lgkmcnt(1)
	v_mfma_f32_16x16x16_bf16 a[4:7], v[12:13], v[2:3], a[4:7]
	s_add_i32 s1, s2, s1
	s_lshl_b64 s[2:3], s[30:31], 2
	s_add_u32 s10, s10, s2
	s_waitcnt lgkmcnt(0)
	v_mfma_f32_16x16x16_bf16 a[0:3], v[12:13], v[6:7], a[0:3]
	s_addc_u32 s11, s11, s3
	s_lshl_b64 s[2:3], s[34:35], 2
	s_mul_i32 s0, s0, s28
	s_add_u32 s10, s10, s2
	ds_read_b64 v[2:3], v24 offset:44032
	v_mfma_f32_16x16x16_bf16 a[4:7], v[14:15], v[4:5], a[4:7]
	ds_read_b64 v[4:5], v29 offset:44032
	s_addc_u32 s11, s11, s3
	s_lshl_b64 s[0:1], s[0:1], 2
	v_mfma_f32_16x16x16_bf16 a[0:3], v[14:15], v[8:9], a[0:3]
	s_add_u32 s0, s10, s0
	s_addc_u32 s1, s11, s1
	s_load_dword s12, s[0:1], 0x0
	s_waitcnt lgkmcnt(0)
	v_mfma_f32_16x16x16_bf16 a[0:3], v[16:17], v[2:3], a[0:3]
	s_and_b64 vcc, exec, s[22:23]
	v_mfma_f32_16x16x16_bf16 a[4:7], v[16:17], v[4:5], a[4:7]
	s_cbranch_vccz .LBB332_28
; %bb.18:
	v_lshlrev_b32_e32 v20, 1, v23
	s_and_b64 vcc, exec, s[6:7]
	s_cbranch_vccz .LBB332_44
; %bb.19:
	v_cmp_gt_i32_e32 vcc, s27, v20
	v_mov_b32_e32 v6, 0
	v_mov_b32_e32 v2, 0
	;; [unrolled: 1-line block ×5, first 2 shown]
	s_and_saveexec_b64 s[0:1], vcc
	s_cbranch_execz .LBB332_21
; %bb.20:
	v_mad_i64_i32 v[2:3], s[2:3], s15, v20, 0
	v_lshl_add_u64 v[2:3], v[2:3], 1, s[4:5]
	v_lshlrev_b32_e32 v4, 1, v18
	v_mov_b32_e32 v5, 0
	v_lshl_add_u64 v[2:3], v[2:3], 0, v[4:5]
	global_load_dwordx4 v[2:5], v[2:3], off
.LBB332_21:
	s_or_b64 exec, exec, s[0:1]
	v_or_b32_e32 v21, 1, v20
	v_cmp_gt_i32_e64 s[0:1], s27, v21
	v_mov_b32_e32 v7, 0
	v_mov_b32_e32 v8, 0
	;; [unrolled: 1-line block ×3, first 2 shown]
	s_and_saveexec_b64 s[2:3], s[0:1]
	s_cbranch_execz .LBB332_23
; %bb.22:
	v_mad_i64_i32 v[6:7], s[16:17], s15, v21, 0
	v_lshl_add_u64 v[6:7], v[6:7], 1, s[4:5]
	v_lshlrev_b32_e32 v8, 1, v18
	v_mov_b32_e32 v9, 0
	v_lshl_add_u64 v[6:7], v[6:7], 0, v[8:9]
	global_load_dwordx4 v[6:9], v[6:7], off
.LBB332_23:
	s_or_b64 exec, exec, s[2:3]
	v_mov_b32_e32 v17, 0
	v_mov_b32_e32 v10, 0
	;; [unrolled: 1-line block ×5, first 2 shown]
	s_and_saveexec_b64 s[2:3], vcc
	s_cbranch_execz .LBB332_25
; %bb.24:
	v_mad_i64_i32 v[10:11], s[16:17], s15, v20, 0
	v_lshl_add_u64 v[10:11], v[10:11], 1, s[4:5]
	v_lshlrev_b32_e32 v12, 1, v18
	v_mov_b32_e32 v13, 0
	v_lshl_add_u64 v[10:11], v[10:11], 0, v[12:13]
	global_load_dwordx4 v[10:13], v[10:11], off offset:128
.LBB332_25:
	s_or_b64 exec, exec, s[2:3]
	v_mov_b32_e32 v16, 0
	v_mov_b32_e32 v15, 0
	;; [unrolled: 1-line block ×3, first 2 shown]
	s_and_saveexec_b64 s[2:3], s[0:1]
	s_cbranch_execz .LBB332_27
; %bb.26:
	v_mad_i64_i32 v[14:15], s[0:1], s15, v21, 0
	v_lshl_add_u64 v[14:15], v[14:15], 1, s[4:5]
	v_lshlrev_b32_e32 v16, 1, v18
	v_mov_b32_e32 v17, 0
	v_lshl_add_u64 v[14:15], v[14:15], 0, v[16:17]
	global_load_dwordx4 v[14:17], v[14:15], off offset:128
.LBB332_27:
	s_or_b64 exec, exec, s[2:3]
	s_branch .LBB332_46
.LBB332_28:
                                        ; implicit-def: $vgpr5
                                        ; implicit-def: $vgpr9
                                        ; implicit-def: $vgpr13
                                        ; implicit-def: $vgpr17
	v_lshrrev_b32_e32 v30, 2, v45
	s_branch .LBB332_47
.LBB332_29:
                                        ; implicit-def: $vgpr4
                                        ; implicit-def: $vgpr5
                                        ; implicit-def: $sgpr22
	s_load_dwordx2 s[40:41], s[0:1], 0x20
	v_lshl_or_b32 v2, v75, 9, v2
.LBB332_30:
	v_or_b32_e32 v4, 0x100, v2
	s_movk_i32 s22, 0x4000
	v_mov_b32_e32 v5, v2
.LBB332_31:
	s_mul_hi_u32 s0, s14, s12
	s_mul_i32 s1, s54, s12
	s_add_i32 s0, s0, s1
	s_mul_i32 s1, s14, s12
	s_mul_i32 s20, s1, s24
	s_mul_hi_u32 s21, s1, s51
	s_add_i32 s20, s21, s20
	s_mul_i32 s0, s0, s51
	s_add_i32 s20, s20, s0
	s_mul_i32 s1, s1, s51
	s_ashr_i32 s59, s55, 31
	s_add_u32 s0, s1, s55
	s_addc_u32 s1, s20, s59
	s_lshl_b64 s[0:1], s[0:1], 8
	s_add_u32 s20, s4, s0
	s_addc_u32 s0, s5, s1
	s_and_b32 s21, s0, 0xffff
	s_movk_i32 s60, 0x80
	buffer_load_dwordx4 v[6:9], v5, s[20:23], 0 offen
	buffer_load_dwordx4 v[10:13], v5, s[20:23], s60 offen
	;; [unrolled: 1-line block ×4, first 2 shown]
	v_and_b32_e32 v4, 6, v0
	v_lshlrev_b32_e32 v23, 6, v67
	v_or_b32_e32 v25, 16, v64
	v_xor_b32_e32 v26, v75, v4
	v_and_b32_e32 v5, 1, v0
	v_lshl_or_b32 v29, v64, 3, v23
	v_lshl_or_b32 v23, v25, 3, v23
	v_lshlrev_b32_e32 v26, 2, v26
	s_mul_i32 s24, s24, s12
	s_mul_hi_u32 s0, s51, s12
	v_lshlrev_b32_e32 v22, 2, v64
	v_or_b32_e32 v85, 0xa000, v23
	v_or_b32_e32 v86, 0xb000, v23
	v_xor_b32_e32 v23, 0x440, v26
	v_cmp_eq_u32_e32 vcc, 0, v5
	v_xor_b32_e32 v27, v67, v22
	v_xor_b32_e32 v28, v68, v22
	v_cndmask_b32_e32 v5, v23, v26, vcc
	s_add_i32 s65, s0, s24
	s_add_i32 s0, s44, s33
	s_mov_b32 s63, 0x1000504
	v_lshlrev_b32_e32 v24, 8, v64
	v_lshlrev_b32_e32 v27, 1, v27
	;; [unrolled: 1-line block ×3, first 2 shown]
	v_lshl_or_b32 v4, v4, 10, v5
	s_add_i32 s31, s0, s48
	s_add_i32 s0, s46, s45
	s_mov_b32 s64, 0x3020706
	v_or_b32_e32 v83, 0xa000, v29
	v_or_b32_e32 v84, 0xb000, v29
	;; [unrolled: 1-line block ×4, first 2 shown]
	v_xor_b32_e32 v5, 8, v4
	v_xor_b32_e32 v24, 24, v4
	;; [unrolled: 1-line block ×4, first 2 shown]
	s_add_i32 s35, s0, s47
	s_lshl_b64 s[0:1], s[30:31], 2
	v_xor_b32_e32 v23, 16, v4
	v_xor_b32_e32 v26, 32, v4
	;; [unrolled: 1-line block ×3, first 2 shown]
	v_add_u32_e32 v5, 0x80, v5
	v_add_u32_e32 v24, 0x80, v24
	;; [unrolled: 1-line block ×4, first 2 shown]
	s_add_u32 s20, s10, s0
	s_addc_u32 s21, s11, s1
	s_lshl_b64 s[0:1], s[34:35], 2
	s_add_u32 s42, s20, s0
	s_movk_i32 s0, 0xf8
	s_addc_u32 s43, s21, s1
	s_ashr_i32 s37, s36, 31
	s_lshl_b32 s26, s15, 7
	s_movk_i32 s20, 0x100
	v_mov_b32_e32 v57, 0
	v_lshlrev_b32_e32 v56, 4, v64
	v_cmp_gt_u32_e32 vcc, s20, v0
	s_mul_i32 s61, s51, s12
	v_ashrrev_i32_e32 v47, 31, v46
	s_mov_b32 s62, 0
	s_movk_i32 s31, 0x1000
	s_movk_i32 s22, 0x4000
	v_lshl_add_u64 v[58:59], v[46:47], 1, s[8:9]
	v_mov_b32_e32 v113, 0x3fb8aa3b
	s_mov_b32 s67, 0
	s_waitcnt vmcnt(1)
	v_perm_b32 v32, v6, v14, s63
	s_waitcnt vmcnt(0)
	v_perm_b32 v33, v10, v18, s63
	v_perm_b32 v6, v6, v14, s64
	;; [unrolled: 1-line block ×15, first 2 shown]
	ds_write2st64_b32 v4, v32, v33 offset0:32 offset1:64
	ds_write2st64_b32 v5, v6, v10 offset0:32 offset1:64
	ds_write2st64_b32 v23, v14, v18 offset0:33 offset1:65
	ds_write2st64_b32 v24, v7, v11 offset0:33 offset1:65
	ds_write2st64_b32 v26, v15, v19 offset0:34 offset1:66
	ds_write2st64_b32 v29, v8, v12 offset0:34 offset1:66
	ds_write2st64_b32 v30, v16, v20 offset0:35 offset1:67
	ds_write2st64_b32 v31, v9, v13 offset0:35 offset1:67
	v_lshlrev_b32_e32 v4, 8, v25
	v_or_b32_e32 v89, v4, v27
	v_or_b32_e32 v90, v4, v28
	;; [unrolled: 1-line block ×3, first 2 shown]
	v_lshlrev_b32_e32 v4, 3, v4
	v_lshrrev_b32_e32 v7, 5, v45
	v_and_or_b32 v7, v4, s0, v7
	v_lshlrev_b32_e32 v7, 4, v7
	v_lshlrev_b32_e32 v9, 11, v62
	v_and_b32_e32 v4, 0x78, v4
	v_or_b32_e32 v12, 32, v7
	v_and_b32_e32 v6, 0x1000, v9
	v_lshrrev_b32_e32 v10, 1, v45
	v_xor_b32_e32 v12, v12, v4
	v_xor_b32_e32 v8, v7, v4
	v_and_b32_e32 v10, 8, v10
	v_or_b32_e32 v12, v12, v6
	v_or_b32_e32 v8, v8, v6
	v_lshlrev_b32_e32 v11, 7, v63
	v_xor_b32_e32 v93, v12, v10
	v_or_b32_e32 v12, 64, v7
	v_or_b32_e32 v7, 0x60, v7
	v_xor_b32_e32 v91, v8, v10
	v_or_b32_e32 v8, v11, v22
	v_xor_b32_e32 v12, v12, v4
	v_xor_b32_e32 v4, v7, v4
	s_lshl_b64 s[0:1], s[36:37], 8
	v_lshlrev_b32_e32 v8, 1, v8
	v_or_b32_e32 v12, v12, v6
	v_or_b32_e32 v4, v4, v6
	s_add_u32 s0, s18, s0
	v_lshlrev_b32_e32 v6, 1, v64
	v_or_b32_e32 v92, 0xa000, v8
	v_or_b32_e32 v94, 0xa080, v8
	v_or_b32_e32 v97, 0xb000, v8
	v_or_b32_e32 v98, 0xb080, v8
	v_lshrrev_b32_e32 v8, 4, v0
	s_addc_u32 s1, s19, s1
	v_or_b32_e32 v7, 1, v6
	v_mov_b32_e32 v17, 0x4000
	v_mov_b32_e32 v18, 0x2000
	v_lshrrev_b32_e32 v19, 1, v0
	v_xor_b32_e32 v95, v12, v10
	v_xor_b32_e32 v96, v4, v10
	;; [unrolled: 1-line block ×4, first 2 shown]
	v_lshl_add_u64 v[6:7], s[0:1], 0, v[56:57]
	v_lshlrev_b32_e32 v56, 8, v8
	v_cndmask_b32_e32 v17, v17, v18, vcc
	v_lshlrev_b32_e32 v18, 3, v62
	v_and_b32_e32 v19, 24, v19
	v_lshl_or_b32 v99, v10, 3, v56
	v_and_b32_e32 v10, 8, v0
	v_xor_b32_e32 v20, v18, v19
	v_or_b32_e32 v21, 0x440, v20
	v_cmp_eq_u32_e32 vcc, 0, v10
	v_and_b32_e32 v8, 7, v0
	v_lshl_or_b32 v100, v14, 3, v56
	v_cndmask_b32_e32 v10, v21, v20, vcc
	v_lshlrev_b32_e32 v14, 3, v8
	v_lshlrev_b32_e32 v16, 2, v0
	v_or_b32_e32 v10, v10, v9
	v_xor_b32_e32 v20, v10, v14
	v_and_or_b32 v10, v16, 60, v11
	v_mov_b32_e32 v11, 0xb000
	v_lshl_or_b32 v101, v10, 1, v11
	v_or_b32_e32 v10, 32, v19
	v_xor_b32_e32 v10, v18, v10
	v_or_b32_e32 v11, 0x440, v10
	v_cndmask_b32_e32 v10, v11, v10, vcc
	v_or_b32_e32 v10, v10, v9
	v_xor_b32_e32 v11, v10, v14
	v_or_b32_e32 v10, 64, v19
	v_xor_b32_e32 v10, v18, v10
	v_xor_b32_e32 v22, 0x440, v10
	v_cndmask_b32_e32 v10, v22, v10, vcc
	v_or_b32_e32 v10, v10, v9
	v_xor_b32_e32 v22, v10, v14
	v_or_b32_e32 v10, 0x60, v19
	v_xor_b32_e32 v10, v18, v10
	v_xor_b32_e32 v18, 0x440, v10
	v_cndmask_b32_e32 v10, v18, v10, vcc
	v_lshrrev_b32_e32 v5, 2, v45
	v_or_b32_e32 v9, v10, v9
	v_and_b32_e32 v5, 12, v5
	v_xor_b32_e32 v9, v9, v14
	v_lshlrev_b32_e32 v4, 7, v67
	v_lshlrev_b32_e32 v12, 1, v3
	v_add_lshl_u32 v3, v3, s15, 1
	v_or_b32_e32 v13, 0x100, v2
	v_lshlrev_b32_e32 v15, 7, v8
	v_or_b32_e32 v8, v5, v1
	v_add_u32_e32 v21, v17, v20
	v_add_u32_e32 v16, v17, v11
	;; [unrolled: 1-line block ×4, first 2 shown]
	v_or3_b32 v10, v1, v5, 64
	v_add_u32_e32 v5, 0x4000, v20
	v_add_u32_e32 v11, 0x4000, v11
	;; [unrolled: 1-line block ×4, first 2 shown]
	v_cndmask_b32_e64 v102, v12, v2, s[2:3]
	v_cndmask_b32_e64 v103, v3, v13, s[2:3]
	v_lshl_add_u64 v[60:61], v[6:7], 0, v[56:57]
	s_add_i32 s35, s61, 63
	s_mov_b32 s37, 0x7060302
	v_lshlrev_b32_e32 v56, 1, v4
	v_lshlrev_b32_e32 v47, 2, v8
	v_add_u32_e32 v104, v21, v15
	v_add_u32_e32 v105, v16, v15
	;; [unrolled: 1-line block ×4, first 2 shown]
	v_lshlrev_b32_e32 v108, 2, v10
	v_add_u32_e32 v109, v5, v15
	v_add_u32_e32 v110, v11, v15
	;; [unrolled: 1-line block ×4, first 2 shown]
	s_waitcnt lgkmcnt(0)
	s_barrier
.LBB332_32:                             ; =>This Inner Loop Header: Depth=1
	s_add_i32 s66, s67, 1
	s_cmp_lt_i32 s66, s52
	s_mov_b64 s[24:25], 0
	s_cselect_b64 s[2:3], -1, 0
	s_cmp_ge_i32 s66, s52
	s_mov_b64 s[20:21], 0
	s_cbranch_scc1 .LBB332_34
; %bb.33:                               ;   in Loop: Header=BB332_32 Depth=1
	s_add_i32 s0, s62, 64
	s_add_u32 s0, s16, s0
	s_addc_u32 s1, s17, 0
	s_lshl_b64 s[0:1], s[0:1], 8
	s_add_u32 s20, s6, s0
	s_addc_u32 s21, s7, s1
.LBB332_34:                             ;   in Loop: Header=BB332_32 Depth=1
	v_cndmask_b32_e64 v2, 0, 1, s[2:3]
	v_cmp_ne_u32_e64 s[0:1], 1, v2
	s_andn2_b64 vcc, exec, s[2:3]
	s_cbranch_vccnz .LBB332_36
; %bb.35:                               ;   in Loop: Header=BB332_32 Depth=1
	s_add_i32 s2, s62, 64
	s_add_u32 s2, s61, s2
	s_addc_u32 s3, s65, 0
	s_mul_i32 s24, s2, s54
	s_mul_hi_u32 s25, s2, s58
	s_add_i32 s24, s25, s24
	s_mul_i32 s3, s3, s58
	s_add_i32 s24, s24, s3
	s_mul_i32 s2, s2, s58
	s_add_u32 s2, s2, s55
	s_addc_u32 s3, s24, s59
	s_lshl_b64 s[2:3], s[2:3], 8
	s_add_u32 s24, s4, s2
	s_addc_u32 s25, s5, s3
.LBB332_36:                             ;   in Loop: Header=BB332_32 Depth=1
	v_perm_b32 v3, v55, v54, s37
	v_perm_b32 v2, v51, v50, s37
	;; [unrolled: 1-line block ×4, first 2 shown]
	ds_write_b64 v83, v[2:3]
	ds_write_b64 v84, v[4:5]
	;; [unrolled: 1-line block ×4, first 2 shown]
	v_perm_b32 v3, v80, v73, s37
	v_perm_b32 v2, v69, v71, s37
	;; [unrolled: 1-line block ×4, first 2 shown]
	ds_write_b64 v85, v[2:3]
	ds_write_b64 v86, v[4:5]
	;; [unrolled: 1-line block ×4, first 2 shown]
	s_waitcnt lgkmcnt(0)
	s_barrier
	ds_read_b64 v[6:7], v91 offset:24576
	ds_read2_b64 v[2:5], v92 offset1:16
	ds_read_b64 v[10:11], v94 offset:3072
	ds_read_b64 v[12:13], v92 offset:3072
	;; [unrolled: 1-line block ×3, first 2 shown]
	s_waitcnt lgkmcnt(3)
	v_mfma_f32_16x16x16_bf16 a[0:3], v[6:7], v[2:3], 0
	s_add_i32 s2, s62, 63
	s_mul_i32 s3, s2, s29
	s_mul_hi_u32 s27, s2, s28
	v_mfma_f32_16x16x16_bf16 a[4:7], v[6:7], v[4:5], 0
	ds_read2st64_b64 v[2:5], v92 offset0:2 offset1:4
	ds_read2st64_b64 v[6:9], v94 offset0:2 offset1:4
	s_add_i32 s3, s27, s3
	s_waitcnt lgkmcnt(1)
	v_mfma_f32_16x16x16_bf16 a[0:3], v[14:15], v[2:3], a[0:3]
	s_mul_i32 s2, s2, s28
	s_lshl_b64 s[2:3], s[2:3], 2
	s_add_u32 s2, s42, s2
	s_waitcnt lgkmcnt(0)
	v_mfma_f32_16x16x16_bf16 a[4:7], v[14:15], v[6:7], a[4:7]
	ds_read_b64 v[2:3], v95 offset:24576
	ds_read_b64 v[6:7], v96 offset:24576
	s_addc_u32 s3, s43, s3
	s_and_b64 vcc, exec, s[0:1]
	s_waitcnt lgkmcnt(1)
	v_mfma_f32_16x16x16_bf16 a[0:3], v[2:3], v[4:5], a[0:3]
	v_mov_b32_e32 v116, 0
	v_mov_b32_e32 v115, 0
	;; [unrolled: 1-line block ×3, first 2 shown]
	v_mfma_f32_16x16x16_bf16 a[4:7], v[2:3], v[8:9], a[4:7]
	v_mov_b32_e32 v2, 0
	v_mov_b32_e32 v3, 0
	;; [unrolled: 1-line block ×3, first 2 shown]
	s_waitcnt lgkmcnt(0)
	v_mfma_f32_16x16x16_bf16 a[0:3], v[6:7], v[12:13], a[0:3]
	v_mov_b32_e32 v5, 0
	v_mov_b32_e32 v8, 0
	;; [unrolled: 1-line block ×3, first 2 shown]
	v_mfma_f32_16x16x16_bf16 a[4:7], v[6:7], v[10:11], a[4:7]
	v_mov_b32_e32 v6, 0
	v_mov_b32_e32 v7, 0
	;; [unrolled: 1-line block ×10, first 2 shown]
	s_cbranch_vccnz .LBB332_38
; %bb.37:                               ;   in Loop: Header=BB332_32 Depth=1
	s_and_b32 s21, s21, 0xffff
	buffer_load_dwordx4 v[14:17], v77, s[20:23], 0 offen
	buffer_load_dwordx4 v[10:13], v77, s[20:23], s60 offen
	;; [unrolled: 1-line block ×4, first 2 shown]
	v_mov_b32_e32 v115, v81
	v_mov_b32_e32 v114, v82
.LBB332_38:                             ;   in Loop: Header=BB332_32 Depth=1
	ds_read_b64 v[22:23], v91 offset:32768
	ds_read2_b64 v[18:21], v97 offset1:16
	ds_read_b64 v[26:27], v93 offset:32768
	ds_read_b64 v[28:29], v95 offset:32768
	;; [unrolled: 1-line block ×3, first 2 shown]
	v_add_u32_e32 v32, s62, v67
	s_waitcnt lgkmcnt(3)
	v_mfma_f32_16x16x16_bf16 a[0:3], v[22:23], v[18:19], a[0:3]
	v_mul_lo_u32 v33, v32, s29
	v_mov_b32_e32 v117, 0
	v_mfma_f32_16x16x16_bf16 a[4:7], v[22:23], v[20:21], a[4:7]
	ds_read2st64_b64 v[18:21], v97 offset0:2 offset1:4
	ds_read2st64_b64 v[22:25], v98 offset0:2 offset1:4
	s_waitcnt lgkmcnt(1)
	v_mfma_f32_16x16x16_bf16 a[0:3], v[26:27], v[18:19], a[0:3]
	v_ashrrev_i32_e32 v18, 31, v32
	v_mul_lo_u32 v34, v18, s28
	v_mad_u64_u32 v[18:19], s[20:21], v32, s28, 0
	v_mfma_f32_16x16x16_bf16 a[0:3], v[28:29], v[20:21], a[0:3]
	v_add_u32_e32 v20, 1, v32
	v_ashrrev_i32_e32 v21, 31, v20
	v_add3_u32 v19, v19, v33, v34
	s_waitcnt lgkmcnt(0)
	v_mfma_f32_16x16x16_bf16 a[4:7], v[26:27], v[22:23], a[4:7]
	v_mul_lo_u32 v22, v21, s28
	v_mul_lo_u32 v23, v20, s29
	v_mad_u64_u32 v[20:21], s[20:21], v20, s28, 0
	v_add3_u32 v21, v21, v23, v22
	v_add_u32_e32 v22, 2, v32
	v_ashrrev_i32_e32 v23, 31, v22
	v_mul_lo_u32 v26, v23, s28
	v_mul_lo_u32 v27, v22, s29
	v_mad_u64_u32 v[22:23], s[20:21], v22, s28, 0
	v_add3_u32 v23, v23, v27, v26
	v_add_u32_e32 v26, 3, v32
	v_ashrrev_i32_e32 v27, 31, v26
	v_mul_lo_u32 v32, v27, s28
	v_mul_lo_u32 v33, v26, s29
	v_mad_u64_u32 v[26:27], s[20:21], v26, s28, 0
	s_add_u32 s20, s16, s62
	s_addc_u32 s21, s17, 0
	s_lshl_b64 s[20:21], s[20:21], 8
	v_lshl_add_u64 v[18:19], v[18:19], 2, s[42:43]
	v_lshl_add_u64 v[20:21], v[20:21], 2, s[42:43]
	v_add3_u32 v27, v27, v33, v32
	v_lshl_add_u64 v[32:33], v[58:59], 0, s[20:21]
	v_lshl_add_u64 v[22:23], v[22:23], 2, s[42:43]
	;; [unrolled: 1-line block ×3, first 2 shown]
	global_load_dword v34, v[18:19], off
	global_load_ushort v35, v[32:33], off offset:256
	global_load_ushort v36, v[32:33], off
	global_load_ushort v37, v[32:33], off offset:768
	global_load_ushort v38, v[32:33], off offset:512
	v_lshl_add_u64 v[18:19], v[26:27], 2, s[42:43]
	global_load_dword v39, v[20:21], off
	global_load_dword v40, v[22:23], off
	;; [unrolled: 1-line block ×3, first 2 shown]
	ds_read_b64 v[18:19], v97 offset:3072
	ds_read_b64 v[20:21], v98 offset:3072
	global_load_ushort v42, v[32:33], off offset:800
	global_load_ushort v43, v[32:33], off offset:544
	;; [unrolled: 1-line block ×3, first 2 shown]
	s_nop 0
	global_load_ushort v32, v[32:33], off offset:32
	s_load_dword s2, s[2:3], 0x0
	v_mfma_f32_16x16x16_bf16 a[4:7], v[28:29], v[24:25], a[4:7]
	s_and_b64 vcc, exec, s[0:1]
	v_mov_b32_e32 v33, 0
	s_waitcnt vmcnt(11) lgkmcnt(0)
	v_sub_f32_e32 v28, s2, v34
	v_mfma_f32_16x16x16_bf16 a[0:3], v[30:31], v[18:19], a[0:3]
	v_mul_f32_e32 v28, 0x3fb8aa3b, v28
	v_exp_f32_e32 v28, v28
	s_waitcnt vmcnt(6)
	v_sub_f32_e32 v29, s2, v39
	v_mfma_f32_16x16x16_bf16 a[4:7], v[30:31], v[20:21], a[4:7]
	s_waitcnt vmcnt(5)
	v_sub_f32_e32 v30, s2, v40
	s_waitcnt vmcnt(4)
	v_sub_f32_e32 v31, s2, v41
	v_mul_f32_e32 v29, 0x3fb8aa3b, v29
	v_mul_f32_e32 v30, 0x3fb8aa3b, v30
	;; [unrolled: 1-line block ×3, first 2 shown]
	v_exp_f32_e32 v29, v29
	v_exp_f32_e32 v30, v30
	;; [unrolled: 1-line block ×3, first 2 shown]
	v_accvgpr_read_b32 v23, a1
	v_accvgpr_read_b32 v19, a3
	;; [unrolled: 1-line block ×4, first 2 shown]
	v_lshlrev_b32_e32 v25, 16, v35
	v_lshlrev_b32_e32 v24, 16, v36
	;; [unrolled: 1-line block ×4, first 2 shown]
	v_pk_add_f32 v[22:23], v[24:25], v[22:23] neg_lo:[0,1] neg_hi:[0,1]
	v_pk_add_f32 v[18:19], v[26:27], v[18:19] neg_lo:[0,1] neg_hi:[0,1]
	v_pk_mul_f32 v[22:23], v[28:29], v[22:23]
	v_pk_mul_f32 v[18:19], v[30:31], v[18:19]
	v_accvgpr_read_b32 v25, a5
	v_perm_b32 v19, v19, v18, s37
	v_perm_b32 v18, v23, v22, s37
	s_waitcnt vmcnt(1)
	v_lshlrev_b32_e32 v23, 16, v44
	s_waitcnt vmcnt(0)
	v_lshlrev_b32_e32 v22, 16, v32
	v_accvgpr_read_b32 v24, a4
	v_accvgpr_read_b32 v21, a7
	;; [unrolled: 1-line block ×3, first 2 shown]
	v_pk_add_f32 v[22:23], v[22:23], v[24:25] neg_lo:[0,1] neg_hi:[0,1]
	v_lshlrev_b32_e32 v25, 16, v42
	v_lshlrev_b32_e32 v24, 16, v43
	v_pk_add_f32 v[20:21], v[24:25], v[20:21] neg_lo:[0,1] neg_hi:[0,1]
	v_pk_mul_f32 v[22:23], v[28:29], v[22:23]
	v_pk_mul_f32 v[20:21], v[30:31], v[20:21]
	v_mov_b32_e32 v24, 0
	v_perm_b32 v21, v21, v20, s37
	v_perm_b32 v20, v23, v22, s37
	ds_write2_b64 v84, v[18:19], v[20:21] offset1:16
	v_mov_b32_e32 v18, 0
	v_mov_b32_e32 v19, 0
	;; [unrolled: 1-line block ×14, first 2 shown]
	s_cbranch_vccnz .LBB332_40
; %bb.39:                               ;   in Loop: Header=BB332_32 Depth=1
	s_and_b32 s25, s25, 0xffff
	s_mov_b32 s27, s23
	buffer_load_dwordx4 v[30:33], v102, s[24:27], 0 offen
	buffer_load_dwordx4 v[22:25], v102, s[24:27], s60 offen
	;; [unrolled: 1-line block ×4, first 2 shown]
	v_mov_b32_e32 v116, v76
	v_mov_b32_e32 v117, v75
.LBB332_40:                             ;   in Loop: Header=BB332_32 Depth=1
	s_waitcnt lgkmcnt(0)
	s_barrier
	ds_read_b64 v[38:39], v104
	ds_read_b64 v[122:123], v101
	;; [unrolled: 1-line block ×5, first 2 shown]
	ds_read_b64 v[136:137], v98 offset:3072
	ds_read2_b64 v[34:37], v97 offset0:16 offset1:128
	s_waitcnt lgkmcnt(5)
	v_mfma_f32_16x16x16_bf16 a[0:3], v[38:39], v[122:123], 0
	ds_read2st64_b64 v[40:43], v98 offset0:2 offset1:4
	s_add_i32 s3, s56, s67
	s_mul_hi_i32 s21, s3, s13
	s_waitcnt lgkmcnt(1)
	v_mfma_f32_16x16x16_bf16 a[4:7], v[38:39], v[34:35], 0
	ds_read_b64 v[38:39], v109
	s_mul_i32 s3, s3, s13
	s_add_u32 s20, s3, s49
	s_waitcnt lgkmcnt(1)
	v_mfma_f32_16x16x16_bf16 a[4:7], v[124:125], v[40:41], a[4:7]
	s_addc_u32 s21, s21, s53
	s_add_i32 s3, s35, s62
	s_lshl_b64 s[20:21], s[20:21], 15
	s_mul_hi_i32 s25, s3, s13
	s_mul_i32 s3, s3, s13
	s_add_u32 s24, s3, s49
	v_mfma_f32_16x16x16_bf16 a[8:11], v[126:127], v[42:43], a[4:7]
	s_addc_u32 s25, s25, s53
	ds_read2st64_b64 v[118:121], v97 offset0:4 offset1:6
	s_lshl_b64 s[24:25], s[24:25], 9
	s_waitcnt lgkmcnt(1)
	v_mfma_f32_16x16x16_bf16 a[4:7], v[38:39], v[122:123], 0
	s_add_u32 s24, s40, s24
	s_addc_u32 s25, s41, s25
	v_mfma_f32_16x16x16_bf16 a[0:3], v[124:125], v[36:37], a[0:3]
	ds_read_b64 v[124:125], v110
	ds_read_b64 v[132:133], v111
	;; [unrolled: 1-line block ×3, first 2 shown]
	v_mfma_f32_16x16x16_bf16 a[12:15], v[38:39], v[34:35], 0
	s_waitcnt lgkmcnt(2)
	v_mfma_f32_16x16x16_bf16 a[4:7], v[124:125], v[36:37], a[4:7]
	global_load_dwordx4 v[34:37], v108, s[24:25]
	v_mfma_f32_16x16x16_bf16 a[12:15], v[124:125], v[40:41], a[12:15]
	global_load_dwordx4 v[38:41], v47, s[24:25]
	ds_read2st64_b64 v[122:125], v99 offset1:8
	s_waitcnt lgkmcnt(0)
	v_mov_b32_e32 v130, v122
	v_mfma_f32_16x16x16_bf16 a[0:3], v[126:127], v[118:119], a[0:3]
	ds_read2st64_b64 v[126:129], v100 offset1:8
	v_mov_b32_e32 v131, v123
	v_mfma_f32_16x16x16_bf16 a[16:19], v[132:133], v[118:119], a[4:7]
	v_lshl_add_u64 v[118:119], v[60:61], 0, s[20:21]
	v_mfma_f32_16x16x16_bf16 a[20:23], v[132:133], v[42:43], a[12:15]
	v_add_co_u32_e32 v42, vcc, s31, v118
	s_waitcnt lgkmcnt(0)
	v_mov_b32_e32 v132, v126
	v_mfma_f32_16x16x16_bf16 a[4:7], v[134:135], v[120:121], a[0:3]
	v_mov_b32_e32 v133, v127
	v_mov_b32_e32 v126, v124
	;; [unrolled: 1-line block ×3, first 2 shown]
	v_mfma_f32_16x16x16_bf16 a[8:11], v[134:135], v[136:137], a[8:11]
	v_addc_co_u32_e32 v43, vcc, 0, v119, vcc
	global_store_dwordx4 v[42:43], v[126:129], off
	v_mfma_f32_16x16x16_bf16 a[12:15], v[138:139], v[120:121], a[16:19]
	s_and_b64 vcc, exec, s[0:1]
	global_store_dwordx4 v[118:119], v[130:133], off
	s_waitcnt vmcnt(3)
	v_mov_b32_e32 v44, v37
	v_mfma_f32_16x16x16_bf16 a[0:3], v[138:139], v[136:137], a[20:23]
	v_mov_b32_e32 v43, v36
	v_mov_b32_e32 v42, v35
	s_cbranch_vccnz .LBB332_42
; %bb.41:                               ;   in Loop: Header=BB332_32 Depth=1
	v_lshrrev_b32_e32 v35, 3, v116
	v_and_b32_e32 v35, 6, v35
	v_xor_b32_e32 v36, v35, v117
	v_lshlrev_b32_e32 v36, 2, v36
	v_and_b32_e32 v37, 8, v116
	v_xor_b32_e32 v116, 0x440, v36
	v_cmp_eq_u32_e32 vcc, 0, v37
	v_perm_b32 v37, v22, v18, s63
	s_nop 0
	v_cndmask_b32_e32 v36, v116, v36, vcc
	v_lshl_or_b32 v35, v35, 10, v36
	v_perm_b32 v36, v30, v26, s63
	s_barrier
	ds_write2st64_b32 v35, v36, v37 offset0:32 offset1:64
	v_xor_b32_e32 v36, 8, v35
	v_perm_b32 v26, v30, v26, s64
	v_perm_b32 v18, v22, v18, s64
	v_add_u32_e32 v22, 0x80, v36
	ds_write2st64_b32 v22, v26, v18 offset0:32 offset1:64
	v_xor_b32_e32 v18, 16, v35
	v_perm_b32 v22, v31, v27, s63
	v_perm_b32 v26, v23, v19, s63
	ds_write2st64_b32 v18, v22, v26 offset0:33 offset1:65
	v_xor_b32_e32 v18, 24, v35
	v_perm_b32 v22, v31, v27, s64
	v_perm_b32 v19, v23, v19, s64
	v_add_u32_e32 v18, 0x80, v18
	ds_write2st64_b32 v18, v22, v19 offset0:33 offset1:65
	v_xor_b32_e32 v18, 32, v35
	v_perm_b32 v19, v32, v28, s63
	v_perm_b32 v22, v24, v20, s63
	;; [unrolled: 9-line block ×3, first 2 shown]
	ds_write2st64_b32 v18, v19, v20 offset0:35 offset1:67
	v_xor_b32_e32 v18, 56, v35
	v_perm_b32 v19, v33, v29, s64
	v_perm_b32 v20, v25, v21, s64
	v_add_u32_e32 v18, 0x80, v18
	ds_write2st64_b32 v18, v19, v20 offset0:35 offset1:67
	ds_write_b64 v115, v[14:15] offset:24576
	v_xor_b32_e32 v14, 8, v115
	ds_write_b64 v14, v[16:17] offset:24576
	ds_write_b64 v115, v[10:11] offset:32768
	;; [unrolled: 1-line block ×4, first 2 shown]
	v_xor_b32_e32 v6, 8, v114
	ds_write_b64 v6, v[8:9] offset:24576
	ds_write_b64 v114, v[2:3] offset:32768
	;; [unrolled: 1-line block ×3, first 2 shown]
.LBB332_42:                             ;   in Loop: Header=BB332_32 Depth=1
	v_mul_f32_e32 v6, s2, v113
	v_exp_f32_e32 v18, v6
	s_waitcnt vmcnt(2)
	v_mul_f32_e32 v6, 0x3fb8aa3b, v38
	v_exp_f32_e32 v20, v6
	v_mul_f32_e32 v6, 0x3fb8aa3b, v39
	v_exp_f32_e32 v21, v6
	;; [unrolled: 2-line block ×4, first 2 shown]
	v_accvgpr_read_b32 v13, a7
	v_accvgpr_read_b32 v11, a5
	;; [unrolled: 1-line block ×4, first 2 shown]
	v_pk_mul_f32 v[20:21], v[18:19], v[20:21] op_sel_hi:[0,1]
	v_accvgpr_read_b32 v4, a10
	v_pk_fma_f32 v[50:51], v[50:51], v[20:21], v[10:11]
	v_pk_mul_f32 v[10:11], v[18:19], v[22:23] op_sel_hi:[0,1]
	v_accvgpr_read_b32 v12, a6
	v_accvgpr_read_b32 v3, a9
	v_fma_f32 v73, v73, v10, v4
	v_mul_f32_e32 v4, 0x3fb8aa3b, v43
	v_pk_fma_f32 v[54:55], v[54:55], v[10:11], v[12:13]
	v_fma_f32 v71, v71, v20, v2
	v_fma_f32 v69, v69, v21, v3
	v_mul_f32_e32 v2, 0x3fb8aa3b, v34
	v_mul_f32_e32 v3, 0x3fb8aa3b, v42
	v_exp_f32_e32 v12, v4
	v_mul_f32_e32 v4, 0x3fb8aa3b, v44
	v_exp_f32_e32 v2, v2
	v_exp_f32_e32 v3, v3
	;; [unrolled: 1-line block ×3, first 2 shown]
	v_accvgpr_read_b32 v5, a11
	v_accvgpr_read_b32 v17, a15
	;; [unrolled: 1-line block ×9, first 2 shown]
	v_fmac_f32_e32 v5, v80, v11
	v_pk_mul_f32 v[2:3], v[18:19], v[2:3] op_sel_hi:[0,1]
	v_pk_mul_f32 v[10:11], v[18:19], v[12:13] op_sel_hi:[0,1]
	s_add_i32 s62, s62, 64
	v_pk_fma_f32 v[48:49], v[48:49], v[2:3], v[14:15]
	v_pk_fma_f32 v[52:53], v[52:53], v[10:11], v[16:17]
	v_fma_f32 v72, v72, v2, v6
	v_fma_f32 v70, v70, v3, v7
	;; [unrolled: 1-line block ×3, first 2 shown]
	s_cmp_eq_u32 s52, s66
	v_fmac_f32_e32 v9, v78, v11
	s_cbranch_scc1 .LBB332_4
; %bb.43:                               ;   in Loop: Header=BB332_32 Depth=1
	s_mov_b32 s67, s66
	v_mov_b32_e32 v80, v5
	v_mov_b32_e32 v78, v9
	s_branch .LBB332_32
.LBB332_44:
                                        ; implicit-def: $vgpr5
                                        ; implicit-def: $vgpr9
                                        ; implicit-def: $vgpr13
                                        ; implicit-def: $vgpr17
	s_cbranch_execz .LBB332_46
; %bb.45:
	s_waitcnt vmcnt(0)
	v_mad_u64_u32 v[2:3], s[0:1], v20, s15, v[18:19]
	v_lshlrev_b32_e32 v20, 1, v2
	s_lshl_b32 s2, s15, 7
	s_and_b32 s1, s5, 0xffff
	s_mov_b32 s3, 0x20000
	s_mov_b32 s0, s4
	v_add_lshl_u32 v21, v2, s15, 1
	s_movk_i32 s13, 0x80
	buffer_load_dwordx4 v[2:5], v20, s[0:3], 0 offen
	buffer_load_dwordx4 v[10:13], v20, s[0:3], s13 offen
	buffer_load_dwordx4 v[6:9], v21, s[0:3], 0 offen
	buffer_load_dwordx4 v[14:17], v21, s[0:3], s13 offen
.LBB332_46:
	v_lshrrev_b32_e32 v30, 2, v45
	s_cbranch_execnz .LBB332_59
.LBB332_47:
	s_and_b64 vcc, exec, s[6:7]
	s_cbranch_vccz .LBB332_57
; %bb.48:
	s_waitcnt vmcnt(0)
	v_lshlrev_b32_e32 v7, 1, v23
	v_cmp_gt_i32_e32 vcc, s27, v7
	v_mov_b32_e32 v6, 0
	v_lshlrev_b32_e32 v14, 9, v23
	v_mov_b32_e32 v2, 0
	v_mov_b32_e32 v3, 0
	;; [unrolled: 1-line block ×4, first 2 shown]
	s_and_saveexec_b64 s[0:1], vcc
	s_cbranch_execz .LBB332_50
; %bb.49:
	v_mov_b32_e32 v15, 0
	v_lshl_add_u64 v[2:3], s[4:5], 0, v[14:15]
	v_lshlrev_b32_e32 v4, 1, v18
	v_mov_b32_e32 v5, v15
	v_lshl_add_u64 v[2:3], v[2:3], 0, v[4:5]
	global_load_dwordx4 v[2:5], v[2:3], off
.LBB332_50:
	s_or_b64 exec, exec, s[0:1]
	v_or_b32_e32 v7, 1, v7
	v_cmp_gt_i32_e64 s[0:1], s27, v7
	v_lshlrev_b32_e32 v20, 8, v7
	v_mov_b32_e32 v7, 0
	v_mov_b32_e32 v8, 0
	;; [unrolled: 1-line block ×3, first 2 shown]
	s_and_saveexec_b64 s[2:3], s[0:1]
	s_cbranch_execz .LBB332_52
; %bb.51:
	v_mov_b32_e32 v21, 0
	v_lshl_add_u64 v[6:7], s[4:5], 0, v[20:21]
	v_lshlrev_b32_e32 v8, 1, v18
	v_mov_b32_e32 v9, v21
	v_lshl_add_u64 v[6:7], v[6:7], 0, v[8:9]
	global_load_dwordx4 v[6:9], v[6:7], off
.LBB332_52:
	s_or_b64 exec, exec, s[2:3]
	v_mov_b32_e32 v17, 0
	v_mov_b32_e32 v10, 0
	;; [unrolled: 1-line block ×5, first 2 shown]
	s_and_saveexec_b64 s[2:3], vcc
	s_cbranch_execz .LBB332_54
; %bb.53:
	v_mov_b32_e32 v15, 0
	v_lshl_add_u64 v[10:11], s[4:5], 0, v[14:15]
	v_lshlrev_b32_e32 v14, 1, v18
	v_lshl_add_u64 v[10:11], v[10:11], 0, v[14:15]
	global_load_dwordx4 v[10:13], v[10:11], off offset:128
.LBB332_54:
	s_or_b64 exec, exec, s[2:3]
	v_mov_b32_e32 v16, 0
	v_mov_b32_e32 v15, 0
	;; [unrolled: 1-line block ×3, first 2 shown]
	s_and_saveexec_b64 s[2:3], s[0:1]
	s_cbranch_execz .LBB332_56
; %bb.55:
	v_mov_b32_e32 v21, 0
	v_lshl_add_u64 v[14:15], s[4:5], 0, v[20:21]
	v_lshlrev_b32_e32 v20, 1, v18
	v_lshl_add_u64 v[14:15], v[14:15], 0, v[20:21]
	global_load_dwordx4 v[14:17], v[14:15], off offset:128
.LBB332_56:
	s_or_b64 exec, exec, s[2:3]
	s_branch .LBB332_59
.LBB332_57:
                                        ; implicit-def: $vgpr5
                                        ; implicit-def: $vgpr9
                                        ; implicit-def: $vgpr13
                                        ; implicit-def: $vgpr17
	s_cbranch_execz .LBB332_59
; %bb.58:
	s_waitcnt vmcnt(0)
	v_lshlrev_b32_e32 v2, 1, v18
	v_lshl_or_b32 v18, v23, 9, v2
	s_and_b32 s5, s5, 0xffff
	s_mov_b32 s7, 0x20000
	s_movk_i32 s6, 0x4000
	s_movk_i32 s0, 0x80
	buffer_load_dwordx4 v[2:5], v18, s[4:7], 0 offen
	buffer_load_dwordx4 v[6:9], v18, s[4:7], 0 offen offset:256
	buffer_load_dwordx4 v[10:13], v18, s[4:7], s0 offen
	buffer_load_dwordx4 v[14:17], v18, s[4:7], s0 offen offset:256
.LBB332_59:
	ds_read_b64 v[20:21], v25 offset:32768
	v_add_u32_e32 v18, 0xb000, v24
	ds_read2_b64 v[32:35], v18 offset1:16
	ds_read_b64 v[40:41], v26 offset:32768
	ds_read_b64 v[26:27], v27 offset:32768
	;; [unrolled: 1-line block ×3, first 2 shown]
	v_and_b32_e32 v18, 6, v0
	v_xor_b32_e32 v23, v23, v18
	v_lshlrev_b32_e32 v23, 2, v23
	v_and_b32_e32 v0, 1, v0
	v_xor_b32_e32 v28, 0x440, v23
	v_cmp_eq_u32_e32 vcc, 0, v0
	s_waitcnt lgkmcnt(3)
	v_mfma_f32_16x16x16_bf16 a[0:3], v[20:21], v[32:33], a[0:3]
	s_mov_b32 s0, 0x1000504
	v_cndmask_b32_e32 v0, v28, v23, vcc
	v_lshl_or_b32 v0, v18, 10, v0
	v_mfma_f32_16x16x16_bf16 a[4:7], v[20:21], v[34:35], a[4:7]
	ds_read2st64_b64 v[32:35], v24 offset0:90 offset1:92
	ds_read2st64_b64 v[36:39], v29 offset0:90 offset1:92
	ds_read_b64 v[20:21], v24 offset:48128
	ds_read_b64 v[24:25], v29 offset:48128
	s_waitcnt vmcnt(0)
	v_perm_b32 v18, v2, v6, s0
	s_waitcnt lgkmcnt(3)
	v_mfma_f32_16x16x16_bf16 a[0:3], v[40:41], v[32:33], a[0:3]
	s_mov_b32 s1, 0x3020706
	v_perm_b32 v2, v2, v6, s1
	v_perm_b32 v6, v10, v14, s1
	s_waitcnt lgkmcnt(2)
	v_mfma_f32_16x16x16_bf16 a[4:7], v[40:41], v[36:37], a[4:7]
	v_mfma_f32_16x16x16_bf16 a[0:3], v[26:27], v[34:35], a[0:3]
	;; [unrolled: 1-line block ×3, first 2 shown]
	s_waitcnt lgkmcnt(1)
	v_mfma_f32_16x16x16_bf16 a[4:7], v[42:43], v[20:21], a[0:3]
	v_perm_b32 v20, v10, v14, s0
	ds_write2st64_b32 v0, v18, v20 offset0:32 offset1:64
	v_xor_b32_e32 v18, 8, v0
	v_add_u32_e32 v10, 0x80, v18
	ds_write2st64_b32 v10, v2, v6 offset0:32 offset1:64
	v_xor_b32_e32 v2, 16, v0
	v_perm_b32 v6, v3, v7, s0
	v_perm_b32 v10, v11, v15, s0
	ds_write2st64_b32 v2, v6, v10 offset0:33 offset1:65
	v_xor_b32_e32 v2, 24, v0
	v_perm_b32 v3, v3, v7, s1
	v_perm_b32 v6, v11, v15, s1
	v_add_u32_e32 v2, 0x80, v2
	ds_write2st64_b32 v2, v3, v6 offset0:33 offset1:65
	v_xor_b32_e32 v2, 32, v0
	v_perm_b32 v3, v4, v8, s0
	v_perm_b32 v6, v12, v16, s0
	ds_write2st64_b32 v2, v3, v6 offset0:34 offset1:66
	v_xor_b32_e32 v2, 40, v0
	s_waitcnt lgkmcnt(5)
	v_mfma_f32_16x16x16_bf16 a[0:3], v[42:43], v[24:25], a[8:11]
	v_perm_b32 v3, v4, v8, s1
	v_perm_b32 v4, v12, v16, s1
	v_add_u32_e32 v2, 0x80, v2
	ds_write2st64_b32 v2, v3, v4 offset0:34 offset1:66
	v_xor_b32_e32 v2, 48, v0
	v_perm_b32 v3, v5, v9, s0
	v_perm_b32 v4, v13, v17, s0
	ds_write2st64_b32 v2, v3, v4 offset0:35 offset1:67
	v_xor_b32_e32 v0, 56, v0
	v_perm_b32 v3, v13, v17, s1
	v_and_or_b32 v17, v30, 12, v1
	v_perm_b32 v2, v5, v9, s1
	v_add_u32_e32 v0, 0x80, v0
	v_cmp_gt_i32_e32 vcc, s27, v17
	v_mov_b32_e32 v14, 0
	v_mov_b32_e32 v16, 0
	ds_write2st64_b32 v0, v2, v3 offset0:35 offset1:67
	s_and_saveexec_b64 s[0:1], vcc
	s_cbranch_execz .LBB332_61
; %bb.60:
	v_add_u32_e32 v0, s26, v17
	v_ashrrev_i32_e32 v1, 31, v0
	v_mul_lo_u32 v2, v1, s28
	v_mul_lo_u32 v3, v0, s29
	v_mad_u64_u32 v[0:1], s[2:3], v0, s28, 0
	v_add3_u32 v1, v1, v3, v2
	v_lshl_add_u64 v[0:1], v[0:1], 2, s[10:11]
	global_load_dword v0, v[0:1], off
	s_waitcnt vmcnt(0)
	v_sub_f32_e32 v0, s12, v0
	v_mul_f32_e32 v0, 0x3fb8aa3b, v0
	v_exp_f32_e32 v16, v0
.LBB332_61:
	s_or_b64 exec, exec, s[0:1]
	v_or_b32_e32 v8, 1, v17
	v_cmp_gt_i32_e64 s[0:1], s27, v8
	s_and_saveexec_b64 s[2:3], s[0:1]
	s_cbranch_execz .LBB332_63
; %bb.62:
	v_add_u32_e32 v0, s26, v8
	v_ashrrev_i32_e32 v1, 31, v0
	v_mul_lo_u32 v2, v1, s28
	v_mul_lo_u32 v3, v0, s29
	v_mad_u64_u32 v[0:1], s[4:5], v0, s28, 0
	v_add3_u32 v1, v1, v3, v2
	v_lshl_add_u64 v[0:1], v[0:1], 2, s[10:11]
	global_load_dword v0, v[0:1], off
	s_waitcnt vmcnt(0)
	v_sub_f32_e32 v0, s12, v0
	v_mul_f32_e32 v0, 0x3fb8aa3b, v0
	v_exp_f32_e32 v14, v0
.LBB332_63:
	s_or_b64 exec, exec, s[2:3]
	v_or_b32_e32 v10, 2, v17
	v_cmp_gt_i32_e64 s[2:3], s27, v10
	v_mov_b32_e32 v15, 0
	v_mov_b32_e32 v18, 0
	s_and_saveexec_b64 s[4:5], s[2:3]
	s_cbranch_execz .LBB332_65
; %bb.64:
	v_add_u32_e32 v0, s26, v10
	v_ashrrev_i32_e32 v1, 31, v0
	v_mul_lo_u32 v2, v1, s28
	v_mul_lo_u32 v3, v0, s29
	v_mad_u64_u32 v[0:1], s[6:7], v0, s28, 0
	v_add3_u32 v1, v1, v3, v2
	v_lshl_add_u64 v[0:1], v[0:1], 2, s[10:11]
	global_load_dword v0, v[0:1], off
	s_waitcnt vmcnt(0)
	v_sub_f32_e32 v0, s12, v0
	v_mul_f32_e32 v0, 0x3fb8aa3b, v0
	v_exp_f32_e32 v18, v0
.LBB332_65:
	s_or_b64 exec, exec, s[4:5]
	v_or_b32_e32 v12, 3, v17
	v_cmp_gt_i32_e64 s[4:5], s27, v12
	s_and_saveexec_b64 s[6:7], s[4:5]
	s_cbranch_execz .LBB332_67
; %bb.66:
	v_add_u32_e32 v0, s26, v12
	v_ashrrev_i32_e32 v1, 31, v0
	v_mul_lo_u32 v2, v1, s28
	v_mul_lo_u32 v3, v0, s29
	v_mad_u64_u32 v[0:1], s[14:15], v0, s28, 0
	v_add3_u32 v1, v1, v3, v2
	v_lshl_add_u64 v[0:1], v[0:1], 2, s[10:11]
	global_load_dword v0, v[0:1], off
	s_waitcnt vmcnt(0)
	v_sub_f32_e32 v0, s12, v0
	v_mul_f32_e32 v0, 0x3fb8aa3b, v0
	v_exp_f32_e32 v15, v0
.LBB332_67:
	s_or_b64 exec, exec, s[6:7]
	s_add_u32 s6, s8, s20
	v_accvgpr_read_b32 v0, a4
	s_addc_u32 s7, s9, s21
	v_ashrrev_i32_e32 v47, 31, v46
	v_accvgpr_read_b32 v1, a5
	v_accvgpr_read_b32 v2, a6
	;; [unrolled: 1-line block ×3, first 2 shown]
	v_lshl_add_u64 v[4:5], v[46:47], 1, s[6:7]
	v_mov_b32_e32 v9, 0
	v_lshlrev_b32_e32 v6, 8, v17
	v_mov_b32_e32 v7, 0
	s_and_saveexec_b64 s[6:7], vcc
	s_cbranch_execz .LBB332_69
; %bb.68:
	v_mov_b32_e32 v7, 0
	v_lshl_add_u64 v[20:21], v[4:5], 0, v[6:7]
	global_load_ushort v7, v[20:21], off
	s_waitcnt vmcnt(0)
	v_lshlrev_b32_e32 v7, 16, v7
	v_sub_f32_e32 v0, v7, v0
	v_mul_f32_e32 v0, v16, v0
	v_lshrrev_b32_e32 v7, 16, v0
.LBB332_69:
	s_or_b64 exec, exec, s[6:7]
	v_lshlrev_b32_e32 v8, 8, v8
	s_and_saveexec_b64 s[6:7], s[0:1]
	s_cbranch_execz .LBB332_71
; %bb.70:
	v_mov_b32_e32 v9, 0
	v_lshl_add_u64 v[20:21], v[4:5], 0, v[8:9]
	global_load_ushort v0, v[20:21], off
	s_waitcnt vmcnt(0)
	v_lshlrev_b32_e32 v0, 16, v0
	v_sub_f32_e32 v0, v0, v1
	v_mul_f32_e32 v0, v14, v0
	v_lshrrev_b32_e32 v9, 16, v0
.LBB332_71:
	s_or_b64 exec, exec, s[6:7]
	v_mov_b32_e32 v13, 0
	v_lshlrev_b32_e32 v10, 8, v10
	v_mov_b32_e32 v11, 0
	s_and_saveexec_b64 s[6:7], s[2:3]
	s_cbranch_execz .LBB332_73
; %bb.72:
	v_mov_b32_e32 v11, 0
	v_lshl_add_u64 v[0:1], v[4:5], 0, v[10:11]
	global_load_ushort v0, v[0:1], off
	s_waitcnt vmcnt(0)
	v_lshlrev_b32_e32 v0, 16, v0
	v_sub_f32_e32 v0, v0, v2
	v_mul_f32_e32 v0, v18, v0
	v_lshrrev_b32_e32 v11, 16, v0
.LBB332_73:
	s_or_b64 exec, exec, s[6:7]
	v_lshlrev_b32_e32 v12, 8, v12
	s_and_saveexec_b64 s[6:7], s[4:5]
	s_cbranch_execz .LBB332_75
; %bb.74:
	v_mov_b32_e32 v13, 0
	v_lshl_add_u64 v[0:1], v[4:5], 0, v[12:13]
	global_load_ushort v0, v[0:1], off
	s_waitcnt vmcnt(0)
	v_lshlrev_b32_e32 v0, 16, v0
	v_sub_f32_e32 v0, v0, v3
	v_mul_f32_e32 v0, v15, v0
	v_lshrrev_b32_e32 v13, 16, v0
.LBB332_75:
	s_or_b64 exec, exec, s[6:7]
	v_lshlrev_b32_e32 v17, 5, v17
	s_mov_b32 s6, 0x5040100
	v_perm_b32 v20, v9, v7, s6
	v_or_b32_e32 v7, v17, v22
	v_accvgpr_read_b32 v0, a0
	v_perm_b32 v21, v13, v11, s6
	v_lshlrev_b32_e32 v7, 1, v7
	v_accvgpr_read_b32 v1, a1
	v_accvgpr_read_b32 v2, a2
	;; [unrolled: 1-line block ×3, first 2 shown]
	ds_write_b64 v7, v[20:21] offset:45056
	v_mov_b32_e32 v9, 0
	v_mov_b32_e32 v7, 0
	s_and_saveexec_b64 s[6:7], vcc
	s_cbranch_execz .LBB332_77
; %bb.76:
	v_mov_b32_e32 v7, 0
	v_lshl_add_u64 v[6:7], v[4:5], 0, v[6:7]
	global_load_ushort v6, v[6:7], off offset:32
	s_waitcnt vmcnt(0)
	v_lshlrev_b32_e32 v6, 16, v6
	v_sub_f32_e32 v0, v6, v0
	v_mul_f32_e32 v0, v16, v0
	v_lshrrev_b32_e32 v7, 16, v0
.LBB332_77:
	s_or_b64 exec, exec, s[6:7]
	s_and_saveexec_b64 s[6:7], s[0:1]
	s_cbranch_execz .LBB332_79
; %bb.78:
	v_mov_b32_e32 v9, 0
	v_lshl_add_u64 v[8:9], v[4:5], 0, v[8:9]
	global_load_ushort v0, v[8:9], off offset:32
	s_waitcnt vmcnt(0)
	v_lshlrev_b32_e32 v0, 16, v0
	v_sub_f32_e32 v0, v0, v1
	v_mul_f32_e32 v0, v14, v0
	v_lshrrev_b32_e32 v9, 16, v0
.LBB332_79:
	s_or_b64 exec, exec, s[6:7]
	v_mov_b32_e32 v0, 0
	v_mov_b32_e32 v1, 0
	s_and_saveexec_b64 s[0:1], s[2:3]
	s_cbranch_execz .LBB332_81
; %bb.80:
	v_mov_b32_e32 v11, 0
	v_lshl_add_u64 v[10:11], v[4:5], 0, v[10:11]
	global_load_ushort v1, v[10:11], off offset:32
	s_waitcnt vmcnt(0)
	v_lshlrev_b32_e32 v1, 16, v1
	v_sub_f32_e32 v1, v1, v2
	v_mul_f32_e32 v1, v18, v1
	v_lshrrev_b32_e32 v1, 16, v1
.LBB332_81:
	s_or_b64 exec, exec, s[0:1]
	s_and_saveexec_b64 s[0:1], s[4:5]
	s_cbranch_execz .LBB332_83
; %bb.82:
	v_mov_b32_e32 v13, 0
	v_lshl_add_u64 v[4:5], v[4:5], 0, v[12:13]
	global_load_ushort v0, v[4:5], off offset:32
	s_waitcnt vmcnt(0)
	v_lshlrev_b32_e32 v0, 16, v0
	v_sub_f32_e32 v0, v0, v3
	v_mul_f32_e32 v0, v15, v0
	v_lshrrev_b32_e32 v0, 16, v0
.LBB332_83:
	s_or_b64 exec, exec, s[0:1]
	s_mov_b32 s0, 0x5040100
	v_or_b32_e32 v2, v17, v19
	v_perm_b32 v1, v0, v1, s0
	v_perm_b32 v0, v9, v7, s0
	v_lshlrev_b32_e32 v2, 1, v2
	ds_write_b64 v2, v[0:1] offset:45056
	s_waitcnt lgkmcnt(0)
	s_barrier
.LBB332_84:
	s_endpgm
	.section	.rodata,"a",@progbits
	.p2align	6, 0x0
	.amdhsa_kernel _ZN12_GLOBAL__N_139chunk_gated_delta_rule_fwd_h_hip_kernelILi32ELb1ELb0ELb0ELb0ELb0ELb1ELb1ELb1EEEvPK12hip_bfloat16S3_S3_PKfS5_PKvPS1_S8_PvPKiSB_iiiiilll
		.amdhsa_group_segment_fixed_size 49152
		.amdhsa_private_segment_fixed_size 0
		.amdhsa_kernarg_size 136
		.amdhsa_user_sgpr_count 2
		.amdhsa_user_sgpr_dispatch_ptr 0
		.amdhsa_user_sgpr_queue_ptr 0
		.amdhsa_user_sgpr_kernarg_segment_ptr 1
		.amdhsa_user_sgpr_dispatch_id 0
		.amdhsa_user_sgpr_kernarg_preload_length 0
		.amdhsa_user_sgpr_kernarg_preload_offset 0
		.amdhsa_user_sgpr_private_segment_size 0
		.amdhsa_uses_dynamic_stack 0
		.amdhsa_enable_private_segment 0
		.amdhsa_system_sgpr_workgroup_id_x 1
		.amdhsa_system_sgpr_workgroup_id_y 1
		.amdhsa_system_sgpr_workgroup_id_z 0
		.amdhsa_system_sgpr_workgroup_info 0
		.amdhsa_system_vgpr_workitem_id 0
		.amdhsa_next_free_vgpr 164
		.amdhsa_next_free_sgpr 68
		.amdhsa_accum_offset 140
		.amdhsa_reserve_vcc 1
		.amdhsa_float_round_mode_32 0
		.amdhsa_float_round_mode_16_64 0
		.amdhsa_float_denorm_mode_32 3
		.amdhsa_float_denorm_mode_16_64 3
		.amdhsa_dx10_clamp 1
		.amdhsa_ieee_mode 1
		.amdhsa_fp16_overflow 0
		.amdhsa_tg_split 0
		.amdhsa_exception_fp_ieee_invalid_op 0
		.amdhsa_exception_fp_denorm_src 0
		.amdhsa_exception_fp_ieee_div_zero 0
		.amdhsa_exception_fp_ieee_overflow 0
		.amdhsa_exception_fp_ieee_underflow 0
		.amdhsa_exception_fp_ieee_inexact 0
		.amdhsa_exception_int_div_zero 0
	.end_amdhsa_kernel
	.section	.text._ZN12_GLOBAL__N_139chunk_gated_delta_rule_fwd_h_hip_kernelILi32ELb1ELb0ELb0ELb0ELb0ELb1ELb1ELb1EEEvPK12hip_bfloat16S3_S3_PKfS5_PKvPS1_S8_PvPKiSB_iiiiilll,"axG",@progbits,_ZN12_GLOBAL__N_139chunk_gated_delta_rule_fwd_h_hip_kernelILi32ELb1ELb0ELb0ELb0ELb0ELb1ELb1ELb1EEEvPK12hip_bfloat16S3_S3_PKfS5_PKvPS1_S8_PvPKiSB_iiiiilll,comdat
.Lfunc_end332:
	.size	_ZN12_GLOBAL__N_139chunk_gated_delta_rule_fwd_h_hip_kernelILi32ELb1ELb0ELb0ELb0ELb0ELb1ELb1ELb1EEEvPK12hip_bfloat16S3_S3_PKfS5_PKvPS1_S8_PvPKiSB_iiiiilll, .Lfunc_end332-_ZN12_GLOBAL__N_139chunk_gated_delta_rule_fwd_h_hip_kernelILi32ELb1ELb0ELb0ELb0ELb0ELb1ELb1ELb1EEEvPK12hip_bfloat16S3_S3_PKfS5_PKvPS1_S8_PvPKiSB_iiiiilll
                                        ; -- End function
	.section	.AMDGPU.csdata,"",@progbits
; Kernel info:
; codeLenInByte = 8776
; NumSgprs: 74
; NumVgprs: 140
; NumAgprs: 24
; TotalNumVgprs: 164
; ScratchSize: 0
; MemoryBound: 0
; FloatMode: 240
; IeeeMode: 1
; LDSByteSize: 49152 bytes/workgroup (compile time only)
; SGPRBlocks: 9
; VGPRBlocks: 20
; NumSGPRsForWavesPerEU: 74
; NumVGPRsForWavesPerEU: 164
; AccumOffset: 140
; Occupancy: 1
; WaveLimiterHint : 1
; COMPUTE_PGM_RSRC2:SCRATCH_EN: 0
; COMPUTE_PGM_RSRC2:USER_SGPR: 2
; COMPUTE_PGM_RSRC2:TRAP_HANDLER: 0
; COMPUTE_PGM_RSRC2:TGID_X_EN: 1
; COMPUTE_PGM_RSRC2:TGID_Y_EN: 1
; COMPUTE_PGM_RSRC2:TGID_Z_EN: 0
; COMPUTE_PGM_RSRC2:TIDIG_COMP_CNT: 0
; COMPUTE_PGM_RSRC3_GFX90A:ACCUM_OFFSET: 34
; COMPUTE_PGM_RSRC3_GFX90A:TG_SPLIT: 0
	.section	.text._ZN12_GLOBAL__N_139chunk_gated_delta_rule_fwd_h_hip_kernelILi32ELb0ELb1ELb1ELb0ELb0ELb1ELb1ELb1EEEvPK12hip_bfloat16S3_S3_PKfS5_PKvPS1_S8_PvPKiSB_iiiiilll,"axG",@progbits,_ZN12_GLOBAL__N_139chunk_gated_delta_rule_fwd_h_hip_kernelILi32ELb0ELb1ELb1ELb0ELb0ELb1ELb1ELb1EEEvPK12hip_bfloat16S3_S3_PKfS5_PKvPS1_S8_PvPKiSB_iiiiilll,comdat
	.globl	_ZN12_GLOBAL__N_139chunk_gated_delta_rule_fwd_h_hip_kernelILi32ELb0ELb1ELb1ELb0ELb0ELb1ELb1ELb1EEEvPK12hip_bfloat16S3_S3_PKfS5_PKvPS1_S8_PvPKiSB_iiiiilll ; -- Begin function _ZN12_GLOBAL__N_139chunk_gated_delta_rule_fwd_h_hip_kernelILi32ELb0ELb1ELb1ELb0ELb0ELb1ELb1ELb1EEEvPK12hip_bfloat16S3_S3_PKfS5_PKvPS1_S8_PvPKiSB_iiiiilll
	.p2align	8
	.type	_ZN12_GLOBAL__N_139chunk_gated_delta_rule_fwd_h_hip_kernelILi32ELb0ELb1ELb1ELb0ELb0ELb1ELb1ELb1EEEvPK12hip_bfloat16S3_S3_PKfS5_PKvPS1_S8_PvPKiSB_iiiiilll,@function
_ZN12_GLOBAL__N_139chunk_gated_delta_rule_fwd_h_hip_kernelILi32ELb0ELb1ELb1ELb0ELb0ELb1ELb1ELb1EEEvPK12hip_bfloat16S3_S3_PKfS5_PKvPS1_S8_PvPKiSB_iiiiilll: ; @_ZN12_GLOBAL__N_139chunk_gated_delta_rule_fwd_h_hip_kernelILi32ELb0ELb1ELb1ELb0ELb0ELb1ELb1ELb1EEEvPK12hip_bfloat16S3_S3_PKfS5_PKvPS1_S8_PvPKiSB_iiiiilll
; %bb.0:
	s_load_dwordx4 s[12:15], s[0:1], 0x5c
	s_load_dwordx2 s[34:35], s[0:1], 0x40
	s_abs_i32 s22, s3
	s_ashr_i32 s21, s3, 31
	s_load_dwordx8 s[4:11], s[0:1], 0x0
	s_load_dwordx2 s[36:37], s[0:1], 0x20
	s_load_dwordx4 s[16:19], s[0:1], 0x30
	s_waitcnt lgkmcnt(0)
	s_abs_i32 s20, s13
	v_cvt_f32_u32_e32 v1, s20
	s_sub_i32 s24, 0, s20
	s_ashr_i32 s23, s13, 31
	s_xor_b32 s21, s21, s23
	v_rcp_iflag_f32_e32 v1, v1
	v_lshrrev_b32_e32 v53, 6, v0
	v_bfe_u32 v64, v0, 4, 2
	v_lshlrev_b32_e32 v62, 4, v53
	v_mul_f32_e32 v1, 0x4f7ffffe, v1
	v_cvt_u32_f32_e32 v1, v1
	v_lshlrev_b32_e32 v18, 2, v64
	v_and_b32_e32 v63, 63, v0
	v_mov_b32_e32 v17, 0
	v_readfirstlane_b32 s25, v1
	s_mul_i32 s24, s24, s25
	s_mul_hi_u32 s24, s25, s24
	s_add_i32 s25, s25, s24
	s_mul_hi_u32 s24, s22, s25
	s_mul_i32 s25, s24, s20
	s_sub_i32 s22, s22, s25
	s_add_i32 s25, s24, 1
	s_sub_i32 s26, s22, s20
	s_cmp_ge_u32 s22, s20
	s_cselect_b32 s24, s25, s24
	s_cselect_b32 s22, s26, s22
	s_add_i32 s25, s24, 1
	s_cmp_ge_u32 s22, s20
	s_cselect_b32 s22, s25, s24
	s_xor_b32 s22, s22, s21
	s_sub_i32 s52, s22, s21
	s_abs_i32 s21, s14
	v_cvt_f32_u32_e32 v1, s21
	s_ashr_i32 s51, s12, 31
	s_lshr_b32 s22, s51, 26
	s_add_i32 s22, s12, s22
	v_rcp_iflag_f32_e32 v1, v1
	s_ashr_i32 s54, s14, 31
	s_ashr_i32 s53, s22, 6
	s_xor_b32 s22, s23, s54
	v_mul_f32_e32 v1, 0x4f7ffffe, v1
	v_cvt_u32_f32_e32 v1, v1
	s_sub_i32 s23, 0, s21
	s_mul_i32 s50, s52, s13
	s_sub_i32 s33, s3, s50
	v_readfirstlane_b32 s24, v1
	s_mul_i32 s23, s23, s24
	s_mul_hi_u32 s23, s24, s23
	s_add_i32 s24, s24, s23
	s_mul_hi_u32 s23, s20, s24
	s_mul_i32 s24, s23, s21
	s_sub_i32 s20, s20, s24
	s_add_i32 s3, s12, 63
	s_add_i32 s24, s23, 1
	s_sub_i32 s25, s20, s21
	s_cmp_ge_u32 s20, s21
	s_cselect_b32 s23, s24, s23
	s_cselect_b32 s20, s25, s20
	s_add_i32 s24, s23, 1
	s_cmp_ge_u32 s20, s21
	s_cselect_b32 s20, s24, s23
	s_xor_b32 s20, s20, s22
	s_sub_i32 s24, s20, s22
	s_abs_i32 s25, s24
	v_cvt_f32_u32_e32 v1, s25
	s_load_dwordx2 s[38:39], s[0:1], 0x80
	s_load_dwordx4 s[20:23], s[0:1], 0x70
	s_xor_b32 s0, s33, s24
	s_sub_i32 s24, 0, s25
	v_rcp_iflag_f32_e32 v1, v1
	s_abs_i32 s1, s33
	s_ashr_i32 s0, s0, 31
	s_mul_i32 s48, s52, s12
	v_mul_f32_e32 v1, 0x4f7ffffe, v1
	v_cvt_u32_f32_e32 v1, v1
	v_and_b32_e32 v65, 15, v0
	s_mul_hi_i32 s56, s52, s13
	v_lshrrev_b32_e32 v67, 3, v63
	v_readfirstlane_b32 s26, v1
	s_mul_i32 s24, s24, s26
	s_mul_hi_u32 s24, s26, s24
	s_add_i32 s26, s26, s24
	s_mul_hi_u32 s24, s1, s26
	s_mul_i32 s26, s24, s25
	s_sub_i32 s1, s1, s26
	s_add_i32 s26, s24, 1
	s_sub_i32 s27, s1, s25
	s_cmp_ge_u32 s1, s25
	s_cselect_b32 s24, s26, s24
	s_cselect_b32 s1, s27, s1
	s_add_i32 s26, s24, 1
	s_cmp_ge_u32 s1, s25
	s_cselect_b32 s1, s26, s24
	s_xor_b32 s1, s1, s0
	s_sub_i32 s57, s1, s0
	s_ashr_i32 s0, s3, 31
	s_lshr_b32 s0, s0, 26
	s_add_i32 s3, s3, s0
	v_or_b32_e32 v1, v18, v62
	s_ashr_i32 s0, s3, 6
	s_lshl_b32 s2, s2, 5
	s_mul_i32 s55, s52, s0
	v_or_b32_e32 v68, 64, v1
	s_cmp_lt_i32 s12, 64
	v_lshlrev_b32_e32 v66, 3, v0
	s_waitcnt lgkmcnt(0)
	s_mul_i32 s21, s52, s21
	s_mul_hi_u32 s49, s52, s20
	s_mul_i32 s40, s52, s20
	v_mov_b32_e32 v16, v17
	v_mov_b32_e32 v15, v17
	;; [unrolled: 1-line block ×15, first 2 shown]
	s_cbranch_scc1 .LBB333_19
; %bb.1:
	s_ashr_i32 s3, s52, 31
	s_ashr_i32 s59, s33, 31
	s_add_u32 s0, s50, s33
	s_addc_u32 s1, s56, s59
	s_mul_i32 s1, s12, s1
	s_mul_hi_u32 s24, s12, s0
	s_add_i32 s43, s24, s1
	s_mul_i32 s42, s12, s0
	s_lshl_b64 s[0:1], s[42:43], 8
	v_and_b32_e32 v70, 56, v66
	s_add_u32 s24, s6, s0
	v_lshl_or_b32 v69, v53, 3, v67
	v_lshlrev_b32_e32 v2, 1, v70
	s_addc_u32 s0, s7, s1
	v_lshl_or_b32 v71, v69, 8, v2
	s_and_b32 s25, s0, 0xffff
	s_mov_b32 s27, 0x20000
	s_movk_i32 s26, 0x4000
	s_movk_i32 s0, 0x80
	v_or_b32_e32 v72, 0x2000, v71
	buffer_load_dwordx4 v[4:7], v71, s[24:27], 0 offen
	buffer_load_dwordx4 v[8:11], v71, s[24:27], s0 offen
	;; [unrolled: 1-line block ×4, first 2 shown]
	v_lshlrev_b32_e32 v3, 3, v69
	v_and_or_b32 v17, v0, 7, v3
	v_and_b32_e32 v3, 0x78, v3
	v_lshlrev_b32_e32 v17, 4, v17
	v_xor_b32_e32 v73, v17, v3
	v_mul_lo_u32 v16, v69, s15
	v_or_b32_e32 v74, 0x1000, v73
	v_xor_b32_e32 v3, 8, v73
	s_cmpk_eq_i32 s15, 0x80
	s_mov_b32 s58, s14
	v_xor_b32_e32 v17, 8, v74
	s_cselect_b64 s[0:1], -1, 0
	s_cmpk_lg_i32 s15, 0x80
	s_waitcnt vmcnt(3)
	ds_write_b64 v73, v[4:5] offset:24576
	ds_write_b64 v3, v[6:7] offset:24576
	s_waitcnt vmcnt(2)
	ds_write_b64 v73, v[8:9] offset:32768
	ds_write_b64 v3, v[10:11] offset:32768
	;; [unrolled: 3-line block ×4, first 2 shown]
	v_lshl_add_u32 v3, v16, 1, v70
	s_cbranch_scc0 .LBB333_3
; %bb.2:
	v_lshlrev_b32_e32 v5, 1, v3
	v_add_lshl_u32 v4, v3, s15, 1
	s_lshl_b32 s26, s15, 7
	v_lshl_or_b32 v2, v69, 9, v2
	s_cbranch_execz .LBB333_4
	s_branch .LBB333_5
.LBB333_3:
                                        ; implicit-def: $vgpr4
                                        ; implicit-def: $vgpr5
                                        ; implicit-def: $sgpr26
	v_lshl_or_b32 v2, v69, 9, v2
.LBB333_4:
	v_or_b32_e32 v4, 0x100, v2
	s_movk_i32 s26, 0x4000
	v_mov_b32_e32 v5, v2
.LBB333_5:
	s_mul_hi_u32 s24, s14, s12
	s_mul_i32 s25, s54, s12
	s_add_i32 s24, s24, s25
	s_mul_i32 s25, s14, s12
	s_mul_i32 s27, s25, s3
	s_mul_hi_u32 s28, s25, s52
	s_add_i32 s27, s28, s27
	s_mul_i32 s24, s24, s52
	s_add_i32 s27, s27, s24
	s_mul_i32 s25, s25, s52
	s_ashr_i32 s60, s57, 31
	s_add_u32 s24, s25, s57
	s_addc_u32 s25, s27, s60
	s_lshl_b64 s[24:25], s[24:25], 8
	s_add_u32 s24, s4, s24
	s_addc_u32 s25, s5, s25
	s_and_b32 s25, s25, 0xffff
	s_mov_b32 s27, 0x20000
	s_movk_i32 s61, 0x80
	buffer_load_dwordx4 v[6:9], v5, s[24:27], 0 offen
	buffer_load_dwordx4 v[10:13], v5, s[24:27], s61 offen
	;; [unrolled: 1-line block ×4, first 2 shown]
	v_and_b32_e32 v4, 6, v0
	s_mul_i32 s24, s3, s12
	s_mul_hi_u32 s25, s52, s12
	v_lshlrev_b32_e32 v24, 6, v1
	v_or_b32_e32 v26, 16, v65
	v_xor_b32_e32 v27, v69, v4
	v_and_b32_e32 v5, 1, v0
	v_lshl_or_b32 v30, v65, 3, v24
	v_lshl_or_b32 v24, v26, 3, v24
	v_lshlrev_b32_e32 v27, 2, v27
	s_add_i32 s65, s25, s24
	s_add_i32 s24, s49, s21
	s_mul_i32 s3, s3, s20
	v_lshlrev_b32_e32 v19, 2, v65
	v_or_b32_e32 v77, 0xa000, v24
	v_or_b32_e32 v78, 0xb000, v24
	v_xor_b32_e32 v24, 0x440, v27
	v_cmp_eq_u32_e32 vcc, 0, v5
	s_add_i32 s41, s24, s3
	s_mul_i32 s3, s33, s23
	s_mul_hi_u32 s24, s33, s22
	v_xor_b32_e32 v28, v1, v19
	v_xor_b32_e32 v29, v68, v19
	v_cndmask_b32_e32 v5, v24, v27, vcc
	s_add_i32 s3, s24, s3
	s_mul_i32 s24, s59, s22
	s_mov_b32 s63, 0x1000504
	v_lshlrev_b32_e32 v25, 8, v65
	v_lshlrev_b32_e32 v28, 1, v28
	;; [unrolled: 1-line block ×3, first 2 shown]
	v_lshl_or_b32 v4, v4, 10, v5
	s_add_i32 s25, s3, s24
	s_lshl_b64 s[28:29], s[40:41], 2
	s_mov_b32 s64, 0x3020706
	v_or_b32_e32 v75, 0xa000, v30
	v_or_b32_e32 v76, 0xb000, v30
	v_or_b32_e32 v79, v25, v28
	v_or_b32_e32 v80, v25, v29
	v_xor_b32_e32 v5, 8, v4
	v_xor_b32_e32 v25, 24, v4
	;; [unrolled: 1-line block ×4, first 2 shown]
	s_mul_i32 s24, s33, s22
	s_add_u32 s3, s10, s28
	v_xor_b32_e32 v24, 16, v4
	v_xor_b32_e32 v27, 32, v4
	;; [unrolled: 1-line block ×3, first 2 shown]
	v_add_u32_e32 v5, 0x80, v5
	v_add_u32_e32 v25, 0x80, v25
	;; [unrolled: 1-line block ×4, first 2 shown]
	s_addc_u32 s26, s11, s29
	s_lshl_b64 s[24:25], s[24:25], 2
	s_add_u32 s44, s3, s24
	s_movk_i32 s3, 0xf8
	s_addc_u32 s45, s26, s25
	s_lshl_b32 s30, s15, 7
	s_movk_i32 s28, 0x100
	v_mov_b32_e32 v55, 0
	v_lshlrev_b32_e32 v54, 4, v65
	v_cmp_gt_u32_e32 vcc, s28, v0
	v_lshlrev_b32_e32 v26, 8, v26
	v_or_b32_e32 v81, v26, v28
	v_or_b32_e32 v82, v26, v29
	s_mov_b32 s62, 0
	s_movk_i32 s41, 0x1000
	s_movk_i32 s26, 0x4000
	v_add_u32_e32 v96, v62, v18
	s_mov_b32 s66, 0x7060302
	v_mov_b32_e32 v107, 0x3fb8aa3b
	s_mov_b32 s68, 0
	v_mov_b32_e32 v108, v55
	v_mov_b32_e32 v109, v55
	;; [unrolled: 1-line block ×7, first 2 shown]
	s_waitcnt vmcnt(1)
	v_perm_b32 v33, v6, v14, s63
	s_waitcnt vmcnt(0)
	v_perm_b32 v34, v10, v20, s63
	v_perm_b32 v6, v6, v14, s64
	;; [unrolled: 1-line block ×15, first 2 shown]
	ds_write2st64_b32 v4, v33, v34 offset0:32 offset1:64
	ds_write2st64_b32 v5, v6, v10 offset0:32 offset1:64
	;; [unrolled: 1-line block ×8, first 2 shown]
	v_or_b32_e32 v4, v62, v65
	v_lshlrev_b32_e32 v4, 3, v4
	v_lshrrev_b32_e32 v6, 5, v63
	v_and_or_b32 v6, v4, s3, v6
	v_lshlrev_b32_e32 v6, 4, v6
	v_lshrrev_b32_e32 v5, 2, v63
	v_lshlrev_b32_e32 v11, 11, v53
	v_and_b32_e32 v4, 0x78, v4
	v_or_b32_e32 v10, 32, v6
	v_and_b32_e32 v7, 12, v5
	v_and_b32_e32 v5, 0x1000, v11
	v_xor_b32_e32 v8, v6, v4
	v_lshrrev_b32_e32 v9, 1, v63
	v_xor_b32_e32 v10, v10, v4
	v_or_b32_e32 v8, v8, v5
	v_and_b32_e32 v9, 8, v9
	v_lshlrev_b32_e32 v12, 7, v64
	v_or_b32_e32 v10, v10, v5
	v_xor_b32_e32 v83, v8, v9
	v_or_b32_e32 v8, v12, v19
	v_xor_b32_e32 v85, v10, v9
	v_or_b32_e32 v10, 64, v6
	v_or_b32_e32 v6, 0x60, v6
	s_ashr_i32 s3, s2, 31
	v_lshlrev_b32_e32 v8, 1, v8
	v_xor_b32_e32 v10, v10, v4
	v_xor_b32_e32 v4, v6, v4
	s_lshl_b64 s[24:25], s[2:3], 8
	v_or_b32_e32 v84, 0xa000, v8
	v_or_b32_e32 v86, 0xa080, v8
	;; [unrolled: 1-line block ×6, first 2 shown]
	s_add_u32 s24, s16, s24
	v_lshlrev_b32_e32 v8, 1, v65
	v_lshlrev_b32_e32 v19, 2, v0
	v_lshrrev_b32_e32 v22, 1, v0
	v_xor_b32_e32 v87, v10, v9
	v_xor_b32_e32 v88, v4, v9
	v_lshrrev_b32_e32 v10, 4, v0
	s_addc_u32 s25, s17, s25
	v_or_b32_e32 v9, 1, v8
	v_mov_b32_e32 v20, 0x4000
	v_mov_b32_e32 v21, 0x2000
	v_and_b32_e32 v22, 24, v22
	v_and_or_b32 v12, v19, 60, v12
	v_mov_b32_e32 v19, 0xb000
	v_xor_b32_e32 v15, v10, v8
	v_xor_b32_e32 v16, v9, v10
	v_lshl_add_u64 v[8:9], s[24:25], 0, v[54:55]
	v_lshlrev_b32_e32 v54, 8, v10
	v_cndmask_b32_e32 v20, v20, v21, vcc
	v_lshlrev_b32_e32 v21, 3, v53
	v_lshl_or_b32 v93, v12, 1, v19
	v_or_b32_e32 v12, 32, v22
	v_lshl_or_b32 v91, v15, 3, v54
	v_and_b32_e32 v15, 8, v0
	v_xor_b32_e32 v12, v21, v12
	v_cmp_eq_u32_e32 vcc, 0, v15
	v_or_b32_e32 v19, 0x440, v12
	v_and_b32_e32 v10, 7, v0
	v_cndmask_b32_e32 v12, v19, v12, vcc
	v_lshl_or_b32 v92, v16, 3, v54
	v_lshlrev_b32_e32 v16, 3, v10
	v_or_b32_e32 v12, v12, v11
	v_xor_b32_e32 v19, v12, v16
	v_or_b32_e32 v12, 64, v22
	v_xor_b32_e32 v12, v21, v12
	v_xor_b32_e32 v25, 0x440, v12
	v_cndmask_b32_e32 v12, v25, v12, vcc
	v_or_b32_e32 v12, v12, v11
	v_xor_b32_e32 v25, v12, v16
	v_or_b32_e32 v12, 0x60, v22
	v_xor_b32_e32 v23, v21, v22
	v_xor_b32_e32 v12, v21, v12
	v_or_b32_e32 v24, 0x440, v23
	v_xor_b32_e32 v21, 0x440, v12
	v_cndmask_b32_e32 v15, v24, v23, vcc
	v_cndmask_b32_e32 v12, v21, v12, vcc
	v_or_b32_e32 v4, s2, v65
	v_or_b32_e32 v15, v15, v11
	;; [unrolled: 1-line block ×3, first 2 shown]
	v_ashrrev_i32_e32 v5, 31, v4
	v_lshlrev_b32_e32 v13, 1, v3
	v_add_lshl_u32 v3, v3, s15, 1
	v_or_b32_e32 v14, 0x100, v2
	v_xor_b32_e32 v15, v15, v16
	v_xor_b32_e32 v11, v11, v16
	v_lshlrev_b32_e32 v6, 7, v1
	v_lshlrev_b32_e32 v17, 7, v10
	v_or_b32_e32 v10, v7, v62
	v_add_u32_e32 v23, v20, v15
	v_add_u32_e32 v24, v20, v19
	;; [unrolled: 1-line block ×4, first 2 shown]
	v_or3_b32 v12, v62, v7, 64
	v_add_u32_e32 v7, 0x4000, v15
	v_add_u32_e32 v15, 0x4000, v19
	;; [unrolled: 1-line block ×4, first 2 shown]
	v_cndmask_b32_e64 v94, v13, v2, s[0:1]
	v_cndmask_b32_e64 v95, v3, v14, s[0:1]
	v_lshlrev_b64 v[2:3], 1, v[4:5]
	v_lshl_add_u64 v[56:57], s[8:9], 0, v[2:3]
	v_lshl_add_u64 v[58:59], s[18:19], 0, v[2:3]
	;; [unrolled: 1-line block ×3, first 2 shown]
	s_add_i32 s3, s48, 63
	v_lshlrev_b32_e32 v54, 1, v6
	v_lshlrev_b32_e32 v97, 2, v10
	v_add_u32_e32 v98, v23, v17
	v_add_u32_e32 v99, v24, v17
	;; [unrolled: 1-line block ×4, first 2 shown]
	v_lshlrev_b32_e32 v102, 2, v12
	v_add_u32_e32 v103, v7, v17
	v_add_u32_e32 v104, v15, v17
	;; [unrolled: 1-line block ×4, first 2 shown]
	v_mov_b32_e32 v2, v55
	v_mov_b32_e32 v3, v55
	;; [unrolled: 1-line block ×9, first 2 shown]
	s_waitcnt lgkmcnt(0)
	s_barrier
.LBB333_6:                              ; =>This Inner Loop Header: Depth=1
	s_add_i32 s67, s68, 1
	s_cmp_lt_i32 s67, s53
	s_mov_b64 s[28:29], 0
	s_cselect_b64 s[46:47], -1, 0
	s_cmp_ge_i32 s67, s53
	s_mov_b64 s[24:25], 0
	s_cbranch_scc1 .LBB333_8
; %bb.7:                                ;   in Loop: Header=BB333_6 Depth=1
	s_add_i32 s0, s62, 64
	s_add_u32 s0, s42, s0
	s_addc_u32 s1, s43, 0
	s_lshl_b64 s[0:1], s[0:1], 8
	s_add_u32 s24, s6, s0
	s_addc_u32 s25, s7, s1
.LBB333_8:                              ;   in Loop: Header=BB333_6 Depth=1
	v_cndmask_b32_e64 v10, 0, 1, s[46:47]
	v_cmp_ne_u32_e64 s[0:1], 1, v10
	s_andn2_b64 vcc, exec, s[46:47]
	s_cbranch_vccnz .LBB333_10
; %bb.9:                                ;   in Loop: Header=BB333_6 Depth=1
	s_add_i32 s28, s62, 64
	s_add_u32 s28, s48, s28
	s_addc_u32 s29, s65, 0
	s_mul_i32 s31, s28, s54
	s_mul_hi_u32 s46, s28, s58
	s_add_i32 s31, s46, s31
	s_mul_i32 s29, s29, s58
	s_add_i32 s31, s31, s29
	s_mul_i32 s28, s28, s58
	s_add_u32 s28, s28, s57
	s_addc_u32 s29, s31, s60
	s_lshl_b64 s[28:29], s[28:29], 8
	s_add_u32 s28, s4, s28
	s_addc_u32 s29, s5, s29
.LBB333_10:                             ;   in Loop: Header=BB333_6 Depth=1
	v_perm_b32 v11, v5, v4, s66
	v_perm_b32 v10, v3, v2, s66
	v_perm_b32 v13, v9, v8, s66
	v_perm_b32 v12, v7, v6, s66
	ds_write_b64 v75, v[10:11]
	ds_write_b64 v76, v[12:13]
	;; [unrolled: 1-line block ×4, first 2 shown]
	v_perm_b32 v11, v115, v110, s66
	v_perm_b32 v10, v109, v108, s66
	v_perm_b32 v13, v114, v113, s66
	v_perm_b32 v12, v112, v111, s66
	ds_write_b64 v77, v[10:11]
	ds_write_b64 v78, v[12:13]
	;; [unrolled: 1-line block ×4, first 2 shown]
	s_waitcnt lgkmcnt(0)
	s_barrier
	ds_read_b64 v[14:15], v83 offset:24576
	ds_read2_b64 v[10:13], v84 offset1:16
	ds_read_b64 v[18:19], v86 offset:3072
	ds_read_b64 v[20:21], v84 offset:3072
	;; [unrolled: 1-line block ×3, first 2 shown]
	s_waitcnt lgkmcnt(3)
	v_mfma_f32_16x16x16_bf16 a[0:3], v[14:15], v[10:11], 0
	s_add_i32 s31, s62, 63
	s_mul_i32 s46, s31, s39
	s_mul_hi_u32 s47, s31, s38
	v_mfma_f32_16x16x16_bf16 a[4:7], v[14:15], v[12:13], 0
	ds_read2st64_b64 v[10:13], v84 offset0:2 offset1:4
	ds_read2st64_b64 v[14:17], v86 offset0:2 offset1:4
	s_add_i32 s47, s47, s46
	s_waitcnt lgkmcnt(1)
	v_mfma_f32_16x16x16_bf16 a[0:3], v[22:23], v[10:11], a[0:3]
	s_mul_i32 s46, s31, s38
	s_lshl_b64 s[46:47], s[46:47], 2
	s_add_u32 s46, s44, s46
	s_waitcnt lgkmcnt(0)
	v_mfma_f32_16x16x16_bf16 a[4:7], v[22:23], v[14:15], a[4:7]
	ds_read_b64 v[10:11], v87 offset:24576
	ds_read_b64 v[14:15], v88 offset:24576
	s_addc_u32 s47, s45, s47
	s_and_b64 vcc, exec, s[0:1]
	s_waitcnt lgkmcnt(1)
	v_mfma_f32_16x16x16_bf16 a[0:3], v[10:11], v[12:13], a[0:3]
	v_mov_b32_e32 v118, 0
	v_mov_b32_e32 v117, 0
	;; [unrolled: 1-line block ×3, first 2 shown]
	v_mfma_f32_16x16x16_bf16 a[8:11], v[10:11], v[16:17], a[4:7]
	v_mov_b32_e32 v10, 0
	v_mov_b32_e32 v11, 0
	;; [unrolled: 1-line block ×3, first 2 shown]
	s_waitcnt lgkmcnt(0)
	v_mfma_f32_16x16x16_bf16 a[4:7], v[14:15], v[20:21], a[0:3]
	v_mov_b32_e32 v13, 0
	v_mov_b32_e32 v16, 0
	v_mov_b32_e32 v17, 0
	v_mfma_f32_16x16x16_bf16 a[0:3], v[14:15], v[18:19], a[8:11]
	v_mov_b32_e32 v14, 0
	v_mov_b32_e32 v15, 0
	;; [unrolled: 1-line block ×10, first 2 shown]
	s_cbranch_vccnz .LBB333_12
; %bb.11:                               ;   in Loop: Header=BB333_6 Depth=1
	s_and_b32 s25, s25, 0xffff
	buffer_load_dwordx4 v[22:25], v71, s[24:27], 0 offen
	buffer_load_dwordx4 v[18:21], v71, s[24:27], s61 offen
	;; [unrolled: 1-line block ×4, first 2 shown]
	v_mov_b32_e32 v117, v73
	v_mov_b32_e32 v116, v74
.LBB333_12:                             ;   in Loop: Header=BB333_6 Depth=1
	ds_read_b64 v[34:35], v83 offset:32768
	ds_read2_b64 v[26:29], v89 offset1:16
	ds_read_b64 v[36:37], v85 offset:32768
	ds_read_b64 v[38:39], v87 offset:32768
	;; [unrolled: 1-line block ×3, first 2 shown]
	v_add_u32_e32 v42, s62, v96
	s_waitcnt lgkmcnt(3)
	v_mfma_f32_16x16x16_bf16 a[4:7], v[34:35], v[26:27], a[4:7]
	v_ashrrev_i32_e32 v26, 31, v42
	ds_read2st64_b64 v[30:33], v89 offset0:2 offset1:4
	v_mfma_f32_16x16x16_bf16 a[0:3], v[34:35], v[28:29], a[0:3]
	v_mul_lo_u32 v28, v26, s38
	v_mul_lo_u32 v29, v42, s39
	v_mad_u64_u32 v[26:27], s[24:25], v42, s38, 0
	v_add3_u32 v27, v27, v29, v28
	v_add_u32_e32 v28, 1, v42
	v_ashrrev_i32_e32 v29, 31, v28
	v_mul_lo_u32 v34, v29, s38
	v_mul_lo_u32 v35, v28, s39
	v_mad_u64_u32 v[28:29], s[24:25], v28, s38, 0
	v_add3_u32 v29, v29, v35, v34
	v_add_u32_e32 v34, 2, v42
	v_ashrrev_i32_e32 v35, 31, v34
	v_mul_lo_u32 v43, v35, s38
	v_mul_lo_u32 v44, v34, s39
	v_mad_u64_u32 v[34:35], s[24:25], v34, s38, 0
	v_add_u32_e32 v42, 3, v42
	v_add3_u32 v35, v35, v44, v43
	v_ashrrev_i32_e32 v43, 31, v42
	v_mul_lo_u32 v44, v43, s38
	v_mul_lo_u32 v45, v42, s39
	v_mad_u64_u32 v[42:43], s[24:25], v42, s38, 0
	s_add_u32 s24, s42, s62
	s_addc_u32 s25, s43, 0
	s_lshl_b64 s[70:71], s[24:25], 8
	v_lshl_add_u64 v[26:27], v[26:27], 2, s[44:45]
	v_lshl_add_u64 v[28:29], v[28:29], 2, s[44:45]
	v_add3_u32 v43, v43, v45, v44
	v_lshl_add_u64 v[44:45], v[56:57], 0, s[70:71]
	v_lshl_add_u64 v[34:35], v[34:35], 2, s[44:45]
	;; [unrolled: 1-line block ×3, first 2 shown]
	global_load_dword v46, v[26:27], off
	global_load_ushort v47, v[44:45], off offset:256
	global_load_ushort v48, v[44:45], off
	v_lshl_add_u64 v[26:27], v[42:43], 2, s[44:45]
	global_load_dword v42, v[28:29], off
	global_load_dword v43, v[34:35], off
	;; [unrolled: 1-line block ×3, first 2 shown]
	ds_read2st64_b64 v[26:29], v90 offset0:2 offset1:4
	global_load_ushort v50, v[44:45], off offset:768
	global_load_ushort v51, v[44:45], off offset:512
	;; [unrolled: 1-line block ×5, first 2 shown]
	s_nop 0
	global_load_ushort v44, v[44:45], off offset:32
	s_waitcnt lgkmcnt(1)
	v_mfma_f32_16x16x16_bf16 a[4:7], v[36:37], v[30:31], a[4:7]
	s_and_b64 vcc, exec, s[0:1]
	s_waitcnt vmcnt(10)
	v_lshlrev_b32_e32 v35, 16, v47
	s_waitcnt lgkmcnt(0)
	v_mfma_f32_16x16x16_bf16 a[0:3], v[36:37], v[26:27], a[0:3]
	s_waitcnt vmcnt(9)
	v_lshlrev_b32_e32 v34, 16, v48
	v_mfma_f32_16x16x16_bf16 a[4:7], v[38:39], v[32:33], a[4:7]
	v_mfma_f32_16x16x16_bf16 a[0:3], v[38:39], v[28:29], a[0:3]
	ds_read_b64 v[26:27], v89 offset:3072
	ds_read_b64 v[28:29], v90 offset:3072
	s_load_dword s24, s[46:47], 0x0
	s_waitcnt lgkmcnt(0)
	v_sub_f32_e32 v36, s24, v46
	v_mfma_f32_16x16x16_bf16 a[4:7], v[40:41], v[26:27], a[4:7]
	v_mul_f32_e32 v36, 0x3fb8aa3b, v36
	s_waitcnt vmcnt(8)
	v_sub_f32_e32 v37, s24, v42
	s_waitcnt vmcnt(7)
	v_sub_f32_e32 v38, s24, v43
	;; [unrolled: 2-line block ×3, first 2 shown]
	v_mfma_f32_16x16x16_bf16 a[0:3], v[40:41], v[28:29], a[0:3]
	v_lshl_add_u64 v[26:27], v[58:59], 0, s[70:71]
	v_lshl_add_u64 v[26:27], v[26:27], 0, v[54:55]
	v_accvgpr_read_b32 v33, a5
	v_accvgpr_read_b32 v32, a4
	v_pk_add_f32 v[32:33], v[34:35], v[32:33] neg_lo:[0,1] neg_hi:[0,1]
	v_exp_f32_e32 v34, v36
	v_mul_f32_e32 v35, 0x3fb8aa3b, v37
	v_mul_f32_e32 v36, 0x3fb8aa3b, v38
	;; [unrolled: 1-line block ×3, first 2 shown]
	v_exp_f32_e32 v35, v35
	v_exp_f32_e32 v36, v36
	;; [unrolled: 1-line block ×3, first 2 shown]
	v_accvgpr_read_b32 v29, a7
	v_accvgpr_read_b32 v28, a6
	s_waitcnt vmcnt(5)
	v_lshlrev_b32_e32 v39, 16, v50
	s_waitcnt vmcnt(4)
	v_lshlrev_b32_e32 v38, 16, v51
	v_pk_add_f32 v[28:29], v[38:39], v[28:29] neg_lo:[0,1] neg_hi:[0,1]
	global_store_short_d16_hi v[26:27], v32, off
	global_store_short_d16_hi v[26:27], v33, off offset:256
	global_store_short_d16_hi v[26:27], v28, off offset:512
	;; [unrolled: 1-line block ×3, first 2 shown]
	v_pk_mul_f32 v[32:33], v[34:35], v[32:33]
	v_pk_mul_f32 v[28:29], v[36:37], v[28:29]
	v_accvgpr_read_b32 v39, a1
	v_perm_b32 v29, v29, v28, s66
	v_perm_b32 v28, v33, v32, s66
	s_waitcnt vmcnt(5)
	v_lshlrev_b32_e32 v33, 16, v120
	s_waitcnt vmcnt(4)
	v_lshlrev_b32_e32 v32, 16, v44
	v_accvgpr_read_b32 v38, a0
	v_accvgpr_read_b32 v31, a3
	;; [unrolled: 1-line block ×3, first 2 shown]
	v_pk_add_f32 v[32:33], v[32:33], v[38:39] neg_lo:[0,1] neg_hi:[0,1]
	v_lshlrev_b32_e32 v39, 16, v52
	v_lshlrev_b32_e32 v38, 16, v119
	v_pk_add_f32 v[30:31], v[38:39], v[30:31] neg_lo:[0,1] neg_hi:[0,1]
	global_store_short_d16_hi v[26:27], v32, off offset:32
	global_store_short_d16_hi v[26:27], v33, off offset:288
	;; [unrolled: 1-line block ×4, first 2 shown]
	v_pk_mul_f32 v[26:27], v[34:35], v[32:33]
	v_pk_mul_f32 v[30:31], v[36:37], v[30:31]
	v_mov_b32_e32 v119, 0
	v_perm_b32 v31, v31, v30, s66
	v_perm_b32 v30, v27, v26, s66
	ds_write2_b64 v76, v[28:29], v[30:31] offset1:16
	v_mov_b32_e32 v26, 0
	v_mov_b32_e32 v27, 0
	;; [unrolled: 1-line block ×16, first 2 shown]
	s_cbranch_vccnz .LBB333_14
; %bb.13:                               ;   in Loop: Header=BB333_6 Depth=1
	s_and_b32 s29, s29, 0xffff
	s_mov_b32 s31, s27
	buffer_load_dwordx4 v[38:41], v94, s[28:31], 0 offen
	buffer_load_dwordx4 v[30:33], v94, s[28:31], s61 offen
	;; [unrolled: 1-line block ×4, first 2 shown]
	v_mov_b32_e32 v118, v70
	v_mov_b32_e32 v119, v69
.LBB333_14:                             ;   in Loop: Header=BB333_6 Depth=1
	s_waitcnt lgkmcnt(0)
	s_barrier
	ds_read_b64 v[46:47], v98
	ds_read_b64 v[124:125], v93
	;; [unrolled: 1-line block ×5, first 2 shown]
	ds_read_b64 v[138:139], v90 offset:3072
	ds_read2_b64 v[42:45], v89 offset0:16 offset1:128
	s_waitcnt lgkmcnt(5)
	v_mfma_f32_16x16x16_bf16 a[0:3], v[46:47], v[124:125], 0
	ds_read2st64_b64 v[48:51], v90 offset0:2 offset1:4
	s_add_i32 s25, s55, s68
	s_mul_hi_i32 s29, s25, s13
	s_waitcnt lgkmcnt(1)
	v_mfma_f32_16x16x16_bf16 a[4:7], v[46:47], v[42:43], 0
	ds_read_b64 v[46:47], v103
	s_mul_i32 s25, s25, s13
	s_add_u32 s28, s25, s33
	s_waitcnt lgkmcnt(1)
	v_mfma_f32_16x16x16_bf16 a[4:7], v[126:127], v[48:49], a[4:7]
	s_addc_u32 s29, s29, s59
	s_add_i32 s25, s3, s62
	s_lshl_b64 s[28:29], s[28:29], 15
	s_mul_hi_i32 s31, s25, s13
	s_mul_i32 s25, s25, s13
	s_add_u32 s46, s25, s33
	v_mfma_f32_16x16x16_bf16 a[8:11], v[128:129], v[50:51], a[4:7]
	s_addc_u32 s47, s31, s59
	ds_read2st64_b64 v[120:123], v89 offset0:4 offset1:6
	s_lshl_b64 s[46:47], s[46:47], 9
	s_waitcnt lgkmcnt(1)
	v_mfma_f32_16x16x16_bf16 a[4:7], v[46:47], v[124:125], 0
	s_add_u32 s46, s36, s46
	s_addc_u32 s47, s37, s47
	v_mfma_f32_16x16x16_bf16 a[0:3], v[126:127], v[44:45], a[0:3]
	ds_read_b64 v[126:127], v104
	ds_read_b64 v[134:135], v105
	;; [unrolled: 1-line block ×3, first 2 shown]
	v_mfma_f32_16x16x16_bf16 a[12:15], v[46:47], v[42:43], 0
	s_waitcnt lgkmcnt(2)
	v_mfma_f32_16x16x16_bf16 a[4:7], v[126:127], v[44:45], a[4:7]
	global_load_dwordx4 v[42:45], v102, s[46:47]
	v_mfma_f32_16x16x16_bf16 a[12:15], v[126:127], v[48:49], a[12:15]
	global_load_dwordx4 v[46:49], v97, s[46:47]
	ds_read2st64_b64 v[124:127], v91 offset1:8
	s_waitcnt lgkmcnt(0)
	v_mov_b32_e32 v132, v124
	v_mfma_f32_16x16x16_bf16 a[0:3], v[128:129], v[120:121], a[0:3]
	ds_read2st64_b64 v[128:131], v92 offset1:8
	v_mov_b32_e32 v133, v125
	v_mfma_f32_16x16x16_bf16 a[16:19], v[134:135], v[120:121], a[4:7]
	v_lshl_add_u64 v[120:121], v[60:61], 0, s[28:29]
	v_mfma_f32_16x16x16_bf16 a[20:23], v[134:135], v[50:51], a[12:15]
	v_add_co_u32_e32 v50, vcc, s41, v120
	s_waitcnt lgkmcnt(0)
	v_mov_b32_e32 v134, v128
	v_mfma_f32_16x16x16_bf16 a[4:7], v[136:137], v[122:123], a[0:3]
	v_mov_b32_e32 v135, v129
	v_mov_b32_e32 v128, v126
	;; [unrolled: 1-line block ×3, first 2 shown]
	v_mfma_f32_16x16x16_bf16 a[8:11], v[136:137], v[138:139], a[8:11]
	v_addc_co_u32_e32 v51, vcc, 0, v121, vcc
	global_store_dwordx4 v[50:51], v[128:131], off
	v_mfma_f32_16x16x16_bf16 a[12:15], v[140:141], v[122:123], a[16:19]
	s_and_b64 vcc, exec, s[0:1]
	global_store_dwordx4 v[120:121], v[132:135], off
	s_waitcnt vmcnt(3)
	v_mov_b32_e32 v52, v45
	v_mfma_f32_16x16x16_bf16 a[0:3], v[140:141], v[138:139], a[20:23]
	v_mov_b32_e32 v51, v44
	v_mov_b32_e32 v50, v43
	s_cbranch_vccnz .LBB333_16
; %bb.15:                               ;   in Loop: Header=BB333_6 Depth=1
	v_lshrrev_b32_e32 v43, 3, v118
	v_and_b32_e32 v43, 6, v43
	v_xor_b32_e32 v44, v43, v119
	v_lshlrev_b32_e32 v44, 2, v44
	v_and_b32_e32 v45, 8, v118
	v_xor_b32_e32 v118, 0x440, v44
	v_cmp_eq_u32_e32 vcc, 0, v45
	v_perm_b32 v45, v30, v26, s63
	s_nop 0
	v_cndmask_b32_e32 v44, v118, v44, vcc
	v_lshl_or_b32 v43, v43, 10, v44
	v_perm_b32 v44, v38, v34, s63
	s_barrier
	ds_write2st64_b32 v43, v44, v45 offset0:32 offset1:64
	v_xor_b32_e32 v44, 8, v43
	v_perm_b32 v34, v38, v34, s64
	v_perm_b32 v26, v30, v26, s64
	v_add_u32_e32 v30, 0x80, v44
	ds_write2st64_b32 v30, v34, v26 offset0:32 offset1:64
	v_xor_b32_e32 v26, 16, v43
	v_perm_b32 v30, v39, v35, s63
	v_perm_b32 v34, v31, v27, s63
	ds_write2st64_b32 v26, v30, v34 offset0:33 offset1:65
	v_xor_b32_e32 v26, 24, v43
	v_perm_b32 v30, v39, v35, s64
	v_perm_b32 v27, v31, v27, s64
	v_add_u32_e32 v26, 0x80, v26
	ds_write2st64_b32 v26, v30, v27 offset0:33 offset1:65
	v_xor_b32_e32 v26, 32, v43
	v_perm_b32 v27, v40, v36, s63
	v_perm_b32 v30, v32, v28, s63
	ds_write2st64_b32 v26, v27, v30 offset0:34 offset1:66
	v_xor_b32_e32 v26, 40, v43
	v_perm_b32 v27, v40, v36, s64
	v_perm_b32 v28, v32, v28, s64
	v_add_u32_e32 v26, 0x80, v26
	ds_write2st64_b32 v26, v27, v28 offset0:34 offset1:66
	v_xor_b32_e32 v26, 48, v43
	v_perm_b32 v27, v41, v37, s63
	v_perm_b32 v28, v33, v29, s63
	ds_write2st64_b32 v26, v27, v28 offset0:35 offset1:67
	v_xor_b32_e32 v26, 56, v43
	v_perm_b32 v27, v41, v37, s64
	v_perm_b32 v28, v33, v29, s64
	v_add_u32_e32 v26, 0x80, v26
	ds_write2st64_b32 v26, v27, v28 offset0:35 offset1:67
	ds_write_b64 v117, v[22:23] offset:24576
	v_xor_b32_e32 v22, 8, v117
	ds_write_b64 v22, v[24:25] offset:24576
	ds_write_b64 v117, v[18:19] offset:32768
	;; [unrolled: 1-line block ×4, first 2 shown]
	v_xor_b32_e32 v14, 8, v116
	ds_write_b64 v14, v[16:17] offset:24576
	ds_write_b64 v116, v[10:11] offset:32768
	;; [unrolled: 1-line block ×3, first 2 shown]
.LBB333_16:                             ;   in Loop: Header=BB333_6 Depth=1
	v_mul_f32_e32 v14, s24, v107
	v_exp_f32_e32 v26, v14
	s_waitcnt vmcnt(2)
	v_mul_f32_e32 v14, 0x3fb8aa3b, v46
	v_exp_f32_e32 v28, v14
	v_mul_f32_e32 v14, 0x3fb8aa3b, v47
	v_exp_f32_e32 v29, v14
	v_mul_f32_e32 v14, 0x3fb8aa3b, v48
	v_exp_f32_e32 v30, v14
	v_mul_f32_e32 v14, 0x3fb8aa3b, v49
	v_exp_f32_e32 v31, v14
	v_accvgpr_read_b32 v21, a7
	v_accvgpr_read_b32 v19, a5
	;; [unrolled: 1-line block ×4, first 2 shown]
	v_pk_mul_f32 v[28:29], v[26:27], v[28:29] op_sel_hi:[0,1]
	v_accvgpr_read_b32 v12, a10
	v_pk_fma_f32 v[2:3], v[2:3], v[28:29], v[18:19]
	v_pk_mul_f32 v[18:19], v[26:27], v[30:31] op_sel_hi:[0,1]
	v_accvgpr_read_b32 v20, a6
	v_accvgpr_read_b32 v11, a9
	;; [unrolled: 1-line block ×3, first 2 shown]
	v_fma_f32 v110, v110, v18, v12
	v_mul_f32_e32 v12, 0x3fb8aa3b, v51
	v_pk_fma_f32 v[4:5], v[4:5], v[18:19], v[20:21]
	v_fma_f32 v108, v108, v28, v10
	v_fma_f32 v109, v109, v29, v11
	v_mul_f32_e32 v10, 0x3fb8aa3b, v42
	v_mul_f32_e32 v11, 0x3fb8aa3b, v50
	v_exp_f32_e32 v20, v12
	v_mul_f32_e32 v12, 0x3fb8aa3b, v52
	v_exp_f32_e32 v10, v10
	v_exp_f32_e32 v11, v11
	;; [unrolled: 1-line block ×3, first 2 shown]
	v_accvgpr_read_b32 v25, a15
	v_accvgpr_read_b32 v17, a3
	v_accvgpr_read_b32 v24, a14
	v_accvgpr_read_b32 v23, a13
	v_accvgpr_read_b32 v22, a12
	v_accvgpr_read_b32 v16, a2
	v_accvgpr_read_b32 v15, a1
	v_accvgpr_read_b32 v14, a0
	v_fmac_f32_e32 v13, v115, v19
	v_pk_mul_f32 v[10:11], v[26:27], v[10:11] op_sel_hi:[0,1]
	v_pk_mul_f32 v[18:19], v[26:27], v[20:21] op_sel_hi:[0,1]
	s_add_i32 s62, s62, 64
	v_pk_fma_f32 v[6:7], v[6:7], v[10:11], v[22:23]
	v_pk_fma_f32 v[8:9], v[8:9], v[18:19], v[24:25]
	v_fma_f32 v111, v111, v10, v14
	v_fma_f32 v112, v112, v11, v15
	v_fma_f32 v113, v113, v18, v16
	s_cmp_eq_u32 s53, s67
	v_fmac_f32_e32 v17, v114, v19
	s_cbranch_scc1 .LBB333_18
; %bb.17:                               ;   in Loop: Header=BB333_6 Depth=1
	s_mov_b32 s68, s67
	v_mov_b32_e32 v115, v13
	v_mov_b32_e32 v114, v17
	s_branch .LBB333_6
.LBB333_18:
	v_mov_b32_e32 v16, v113
	v_mov_b32_e32 v15, v112
	;; [unrolled: 1-line block ×6, first 2 shown]
.LBB333_19:
	s_lshl_b32 s46, s53, 6
	s_sub_i32 s47, s12, s46
	s_cmp_gt_i32 s47, 0
	v_or_b32_e32 v34, s2, v65
	s_cbranch_scc1 .LBB333_21
; %bb.20:
	s_ashr_i32 s0, s33, 31
	s_add_u32 s28, s50, s33
	s_addc_u32 s29, s56, s0
	v_or_b32_e32 v35, s2, v65
	s_cbranch_execz .LBB333_22
	s_branch .LBB333_86
.LBB333_21:
                                        ; implicit-def: $sgpr28_sgpr29
                                        ; implicit-def: $vgpr35
.LBB333_22:
	s_ashr_i32 s41, s52, 31
	s_ashr_i32 s3, s46, 31
	s_cmpk_lg_i32 s15, 0x80
	s_cselect_b64 s[42:43], -1, 0
	s_and_b64 vcc, exec, s[42:43]
	s_cbranch_vccz .LBB333_24
; %bb.23:
	s_mul_hi_i32 s0, s52, s12
	s_add_u32 s1, s48, s46
	s_addc_u32 s0, s0, s3
	s_mul_i32 s24, s1, s54
	s_mul_hi_u32 s25, s1, s14
	s_add_i32 s24, s25, s24
	s_mul_i32 s0, s0, s14
	s_add_i32 s24, s24, s0
	s_mul_i32 s1, s1, s14
	s_ashr_i32 s0, s57, 31
	s_add_u32 s44, s1, s57
	s_addc_u32 s45, s24, s0
	s_cbranch_execz .LBB333_25
	s_branch .LBB333_26
.LBB333_24:
                                        ; implicit-def: $sgpr44_sgpr45
.LBB333_25:
	s_mul_hi_i32 s0, s52, s14
	s_mul_i32 s52, s52, s14
	s_ashr_i32 s1, s57, 31
	s_add_u32 s14, s52, s57
	s_addc_u32 s0, s0, s1
	s_mul_i32 s1, s14, s51
	s_mul_hi_u32 s24, s14, s12
	s_add_i32 s1, s24, s1
	s_mul_i32 s0, s0, s12
	s_add_i32 s1, s1, s0
	s_mul_i32 s14, s14, s12
	s_add_u32 s44, s14, s46
	s_addc_u32 s45, s1, s3
.LBB333_26:
	s_add_i32 s24, s55, s53
	s_ashr_i32 s14, s33, 31
	s_add_u32 s28, s50, s33
	s_addc_u32 s29, s56, s14
	s_mul_i32 s0, s28, s51
	s_mul_hi_u32 s1, s28, s12
	s_add_i32 s0, s1, s0
	s_mul_i32 s1, s29, s12
	s_add_i32 s1, s0, s1
	s_mul_i32 s0, s28, s12
	s_add_u32 s0, s0, s46
	v_lshlrev_b32_e32 v22, 5, v1
	v_lshlrev_b32_e32 v40, 2, v65
	s_addc_u32 s1, s1, s3
	s_mov_b32 s3, 0x7060302
	v_or_b32_e32 v25, v22, v40
	v_xor_b32_e32 v23, v1, v40
	v_perm_b32 v19, v5, v4, s3
	v_perm_b32 v18, v3, v2, s3
	;; [unrolled: 1-line block ×4, first 2 shown]
	v_lshlrev_b32_e32 v25, 1, v25
	v_xor_b32_e32 v24, v68, v40
	ds_write2st64_b64 v25, v[18:19], v[20:21] offset0:80 offset1:88
	v_lshlrev_b32_e32 v23, 1, v23
	v_lshlrev_b32_e32 v25, 8, v65
	s_lshl_b64 s[30:31], s[0:1], 8
	v_or_b32_e32 v26, v23, v25
	v_lshlrev_b32_e32 v24, 1, v24
	s_add_u32 s0, s6, s30
	ds_write_b64 v26, v[18:19]
	v_or_b32_e32 v18, v24, v25
	s_addc_u32 s1, s7, s31
	ds_write_b64 v18, v[20:21]
	v_perm_b32 v19, v13, v12, s3
	v_perm_b32 v18, v11, v10, s3
	;; [unrolled: 1-line block ×4, first 2 shown]
	v_or_b32_e32 v25, 16, v65
	s_mul_hi_i32 s3, s24, s13
	s_mul_i32 s24, s24, s13
	v_lshlrev_b32_e32 v37, 2, v25
	s_add_u32 s6, s24, s33
	v_or_b32_e32 v22, v22, v37
	s_addc_u32 s7, s3, s14
	v_lshlrev_b32_e32 v22, 1, v22
	s_ashr_i32 s3, s2, 31
	s_lshl_b64 s[6:7], s[6:7], 15
	ds_write2st64_b64 v22, v[18:19], v[20:21] offset0:80 offset1:88
	v_lshlrev_b32_e32 v22, 8, v25
	s_add_u32 s6, s16, s6
	v_or_b32_e32 v23, v23, v22
	s_addc_u32 s7, s17, s7
	s_lshl_b64 s[2:3], s[2:3], 8
	ds_write_b64 v23, v[18:19]
	v_or_b32_e32 v18, v24, v22
	s_add_u32 s2, s6, s2
	ds_write_b64 v18, v[20:21]
	v_lshrrev_b32_e32 v18, 4, v0
	s_addc_u32 s3, s7, s3
	v_lshlrev_b32_e32 v19, 1, v65
	v_lshlrev_b32_e32 v26, 4, v65
	v_mov_b32_e32 v27, 0
	v_or_b32_e32 v20, 1, v19
	v_xor_b32_e32 v19, v18, v19
	v_lshl_add_u64 v[28:29], s[2:3], 0, v[26:27]
	v_lshlrev_b32_e32 v26, 8, v18
	v_xor_b32_e32 v22, v20, v18
	v_lshl_or_b32 v18, v19, 3, v26
	s_waitcnt lgkmcnt(0)
	s_barrier
	ds_read2st64_b64 v[18:21], v18 offset1:8
	v_lshl_or_b32 v22, v22, 3, v26
	ds_read2st64_b64 v[22:25], v22 offset1:8
	v_lshl_add_u64 v[30:31], v[28:29], 0, v[26:27]
	s_movk_i32 s2, 0x1000
	s_waitcnt lgkmcnt(1)
	v_mov_b32_e32 v26, v18
	v_add_co_u32_e32 v18, vcc, s2, v30
	s_cmp_lg_u32 s47, 64
	v_mov_b32_e32 v27, v19
	v_addc_co_u32_e32 v19, vcc, 0, v31, vcc
	s_cselect_b64 s[6:7], -1, 0
	v_lshl_or_b32 v35, v53, 3, v67
	s_waitcnt lgkmcnt(0)
	v_mov_b32_e32 v28, v22
	v_mov_b32_e32 v29, v23
	;; [unrolled: 1-line block ×4, first 2 shown]
	s_mov_b32 s24, 0
	v_or_b32_e32 v38, 32, v35
	v_and_b32_e32 v36, 56, v66
	s_and_b64 vcc, exec, s[6:7]
	global_store_dwordx4 v[30:31], v[26:29], off
	global_store_dwordx4 v[18:19], v[22:25], off
	s_cbranch_vccz .LBB333_32
; %bb.27:
	s_mov_b32 s25, s24
	s_mov_b32 s26, s24
	s_mov_b32 s27, s24
	v_mov_b64_e32 v[22:23], s[24:25]
	v_mov_b64_e32 v[24:25], s[26:27]
	;; [unrolled: 1-line block ×3, first 2 shown]
	v_cmp_gt_i32_e32 vcc, s47, v35
	v_mov_b64_e32 v[20:21], v[24:25]
	s_and_saveexec_b64 s[2:3], vcc
	s_cbranch_execz .LBB333_29
; %bb.28:
	v_lshlrev_b32_e32 v18, 8, v35
	v_mov_b32_e32 v19, 0
	v_lshl_add_u64 v[20:21], s[0:1], 0, v[18:19]
	v_lshlrev_b32_e32 v18, 1, v36
	v_lshl_add_u64 v[26:27], v[20:21], 0, v[18:19]
	global_load_dwordx4 v[22:25], v[26:27], off
	global_load_dwordx4 v[18:21], v[26:27], off offset:128
.LBB333_29:
	s_or_b64 exec, exec, s[2:3]
	s_mov_b32 s26, s24
	s_mov_b32 s27, s24
	;; [unrolled: 1-line block ×3, first 2 shown]
	v_mov_b64_e32 v[32:33], s[26:27]
	v_mov_b64_e32 v[30:31], s[24:25]
	;; [unrolled: 1-line block ×3, first 2 shown]
	v_cmp_gt_i32_e32 vcc, s47, v38
	v_lshlrev_b32_e32 v39, 7, v38
	v_mov_b64_e32 v[28:29], v[32:33]
	s_and_saveexec_b64 s[2:3], vcc
	s_cbranch_execz .LBB333_31
; %bb.30:
	v_lshlrev_b32_e32 v26, 1, v39
	v_mov_b32_e32 v27, 0
	v_lshl_add_u64 v[28:29], s[0:1], 0, v[26:27]
	v_lshlrev_b32_e32 v26, 1, v36
	v_lshl_add_u64 v[42:43], v[28:29], 0, v[26:27]
	global_load_dwordx4 v[30:33], v[42:43], off
	global_load_dwordx4 v[26:29], v[42:43], off offset:128
.LBB333_31:
	s_or_b64 exec, exec, s[2:3]
	v_lshrrev_b32_e32 v41, 3, v36
	v_lshlrev_b32_e32 v42, 3, v35
	v_or_b32_e32 v41, v42, v41
	v_lshlrev_b32_e32 v41, 4, v41
	v_and_b32_e32 v42, 0x78, v42
	v_xor_b32_e32 v41, v41, v42
	s_branch .LBB333_34
.LBB333_32:
                                        ; implicit-def: $vgpr41
                                        ; implicit-def: $vgpr39
                                        ; implicit-def: $vgpr22_vgpr23_vgpr24_vgpr25
                                        ; implicit-def: $vgpr18_vgpr19_vgpr20_vgpr21
                                        ; implicit-def: $vgpr30_vgpr31_vgpr32_vgpr33
                                        ; implicit-def: $vgpr26_vgpr27_vgpr28_vgpr29
	s_cbranch_execz .LBB333_34
; %bb.33:
	s_waitcnt vmcnt(0)
	v_lshlrev_b32_e32 v18, 1, v36
	v_lshl_or_b32 v39, v35, 8, v18
	s_and_b32 s1, s1, 0xffff
	s_mov_b32 s3, 0x20000
	s_movk_i32 s2, 0x4000
	v_lshl_or_b32 v41, v38, 8, v18
	s_movk_i32 s16, 0x80
	buffer_load_dwordx4 v[22:25], v39, s[0:3], 0 offen
	buffer_load_dwordx4 v[18:21], v39, s[0:3], s16 offen
	;; [unrolled: 1-line block ×4, first 2 shown]
	v_lshrrev_b32_e32 v39, 3, v36
	v_lshlrev_b32_e32 v41, 3, v35
	v_or_b32_e32 v39, v41, v39
	v_lshlrev_b32_e32 v39, 4, v39
	v_and_b32_e32 v41, 0x78, v41
	v_xor_b32_e32 v41, v39, v41
	v_lshlrev_b32_e32 v39, 7, v38
.LBB333_34:
	s_lshl_b64 s[0:1], s[44:45], 8
	s_add_u32 s4, s4, s0
	s_movk_i32 s0, 0x1000
	v_and_or_b32 v38, v39, s0, v41
	s_waitcnt vmcnt(1)
	ds_write_b64 v41, v[22:23] offset:24576
	v_xor_b32_e32 v22, 8, v41
	ds_write_b64 v22, v[24:25] offset:24576
	s_waitcnt vmcnt(0)
	ds_write_b64 v41, v[18:19] offset:32768
	ds_write_b64 v22, v[20:21] offset:32768
	;; [unrolled: 1-line block ×3, first 2 shown]
	v_xor_b32_e32 v18, 8, v38
	ds_write_b64 v18, v[32:33] offset:24576
	ds_write_b64 v38, v[26:27] offset:32768
	;; [unrolled: 1-line block ×3, first 2 shown]
	v_or_b32_e32 v18, v62, v65
	s_addc_u32 s5, s5, s1
	s_add_i32 s16, s12, -1
	v_lshlrev_b32_e32 v18, 3, v18
	v_lshrrev_b32_e32 v19, 5, v63
	s_movk_i32 s12, 0xf8
	v_and_or_b32 v19, v18, s12, v19
	v_lshlrev_b32_e32 v23, 4, v19
	v_lshlrev_b32_e32 v41, 11, v53
	v_and_b32_e32 v24, 0x78, v18
	v_or_b32_e32 v26, 32, v23
	v_and_b32_e32 v22, 0x1000, v41
	v_lshrrev_b32_e32 v19, 1, v63
	v_xor_b32_e32 v26, v26, v24
	v_xor_b32_e32 v18, v23, v24
	v_and_b32_e32 v25, 8, v19
	v_or_b32_e32 v26, v26, v22
	v_or_b32_e32 v18, v18, v22
	v_xor_b32_e32 v45, v26, v25
	v_or_b32_e32 v26, 64, v23
	v_xor_b32_e32 v44, v18, v25
	v_xor_b32_e32 v26, v26, v24
	s_waitcnt lgkmcnt(0)
	s_barrier
	v_or_b32_e32 v28, v26, v22
	ds_read_b64 v[26:27], v44 offset:24576
	v_lshl_or_b32 v38, v64, 7, v40
	v_lshlrev_b32_e32 v42, 1, v38
	v_add_u32_e32 v18, 0xa000, v42
	ds_read2_b64 v[18:21], v18 offset1:16
	v_or_b32_e32 v23, 0x60, v23
	v_xor_b32_e32 v23, v23, v24
	s_waitcnt lgkmcnt(0)
	v_mfma_f32_16x16x16_bf16 a[0:3], v[26:27], v[18:19], 0
	v_or_b32_e32 v18, 64, v38
	v_or_b32_e32 v22, v23, v22
	v_lshlrev_b32_e32 v43, 1, v18
	v_xor_b32_e32 v46, v28, v25
	v_xor_b32_e32 v47, v22, v25
	ds_read_b64 v[28:29], v45 offset:24576
	ds_read_b64 v[30:31], v46 offset:24576
	;; [unrolled: 1-line block ×3, first 2 shown]
	v_mfma_f32_16x16x16_bf16 a[4:7], v[26:27], v[20:21], 0
	ds_read2st64_b64 v[18:21], v43 offset0:82 offset1:84
	ds_read2st64_b64 v[22:25], v42 offset0:82 offset1:84
	s_add_i32 s0, s49, s21
	s_mul_i32 s41, s41, s20
	s_add_i32 s41, s0, s41
	s_mul_i32 s0, s33, s23
	s_mul_hi_u32 s1, s33, s22
	s_ashr_i32 s2, s16, 31
	s_mul_i32 s3, s16, s39
	s_mul_hi_u32 s12, s16, s38
	s_add_i32 s0, s1, s0
	s_mul_i32 s1, s14, s22
	s_add_i32 s3, s12, s3
	s_mul_i32 s2, s2, s38
	s_waitcnt lgkmcnt(1)
	v_mfma_f32_16x16x16_bf16 a[4:7], v[28:29], v[18:19], a[4:7]
	s_add_i32 s1, s0, s1
	s_add_i32 s3, s3, s2
	s_lshl_b64 s[20:21], s[40:41], 2
	s_waitcnt lgkmcnt(0)
	v_mfma_f32_16x16x16_bf16 a[0:3], v[28:29], v[22:23], a[0:3]
	s_mul_i32 s0, s33, s22
	s_add_u32 s10, s10, s20
	s_addc_u32 s11, s11, s21
	s_lshl_b64 s[0:1], s[0:1], 2
	s_mul_i32 s2, s16, s38
	s_add_u32 s10, s10, s0
	ds_read_b64 v[18:19], v42 offset:44032
	v_mfma_f32_16x16x16_bf16 a[4:7], v[30:31], v[20:21], a[4:7]
	ds_read_b64 v[20:21], v43 offset:44032
	s_addc_u32 s11, s11, s1
	s_lshl_b64 s[0:1], s[2:3], 2
	v_mfma_f32_16x16x16_bf16 a[0:3], v[30:31], v[24:25], a[0:3]
	s_add_u32 s0, s10, s0
	s_addc_u32 s1, s11, s1
	s_load_dword s12, s[0:1], 0x0
	s_waitcnt lgkmcnt(0)
	v_mfma_f32_16x16x16_bf16 a[0:3], v[32:33], v[18:19], a[0:3]
	s_and_b64 vcc, exec, s[42:43]
	v_mfma_f32_16x16x16_bf16 a[4:7], v[32:33], v[20:21], a[4:7]
	s_cbranch_vccz .LBB333_45
; %bb.35:
	v_lshlrev_b32_e32 v38, 1, v35
	s_and_b64 vcc, exec, s[6:7]
	s_cbranch_vccz .LBB333_46
; %bb.36:
	v_cmp_gt_i32_e32 vcc, s47, v38
	v_mov_b32_e32 v22, 0
	v_mov_b32_e32 v18, 0
	;; [unrolled: 1-line block ×5, first 2 shown]
	s_and_saveexec_b64 s[0:1], vcc
	s_cbranch_execz .LBB333_38
; %bb.37:
	v_mad_i64_i32 v[18:19], s[2:3], s15, v38, 0
	v_lshl_add_u64 v[18:19], v[18:19], 1, s[4:5]
	v_lshlrev_b32_e32 v20, 1, v36
	v_mov_b32_e32 v21, 0
	v_lshl_add_u64 v[18:19], v[18:19], 0, v[20:21]
	global_load_dwordx4 v[18:21], v[18:19], off
.LBB333_38:
	s_or_b64 exec, exec, s[0:1]
	v_or_b32_e32 v39, 1, v38
	v_cmp_gt_i32_e64 s[0:1], s47, v39
	v_mov_b32_e32 v23, 0
	v_mov_b32_e32 v24, 0
	;; [unrolled: 1-line block ×3, first 2 shown]
	s_and_saveexec_b64 s[2:3], s[0:1]
	s_cbranch_execz .LBB333_40
; %bb.39:
	v_mad_i64_i32 v[22:23], s[20:21], s15, v39, 0
	v_lshl_add_u64 v[22:23], v[22:23], 1, s[4:5]
	v_lshlrev_b32_e32 v24, 1, v36
	v_mov_b32_e32 v25, 0
	v_lshl_add_u64 v[22:23], v[22:23], 0, v[24:25]
	global_load_dwordx4 v[22:25], v[22:23], off
.LBB333_40:
	s_or_b64 exec, exec, s[2:3]
	v_mov_b32_e32 v33, 0
	v_mov_b32_e32 v26, 0
	;; [unrolled: 1-line block ×5, first 2 shown]
	s_and_saveexec_b64 s[2:3], vcc
	s_cbranch_execz .LBB333_42
; %bb.41:
	v_mad_i64_i32 v[26:27], s[20:21], s15, v38, 0
	v_lshl_add_u64 v[26:27], v[26:27], 1, s[4:5]
	v_lshlrev_b32_e32 v28, 1, v36
	v_mov_b32_e32 v29, 0
	v_lshl_add_u64 v[26:27], v[26:27], 0, v[28:29]
	global_load_dwordx4 v[26:29], v[26:27], off offset:128
.LBB333_42:
	s_or_b64 exec, exec, s[2:3]
	v_mov_b32_e32 v32, 0
	v_mov_b32_e32 v31, 0
	;; [unrolled: 1-line block ×3, first 2 shown]
	s_and_saveexec_b64 s[2:3], s[0:1]
	s_cbranch_execz .LBB333_44
; %bb.43:
	v_mad_i64_i32 v[30:31], s[0:1], s15, v39, 0
	v_lshl_add_u64 v[30:31], v[30:31], 1, s[4:5]
	v_lshlrev_b32_e32 v32, 1, v36
	v_mov_b32_e32 v33, 0
	v_lshl_add_u64 v[30:31], v[30:31], 0, v[32:33]
	global_load_dwordx4 v[30:33], v[30:31], off offset:128
.LBB333_44:
	s_or_b64 exec, exec, s[2:3]
	s_branch .LBB333_48
.LBB333_45:
                                        ; implicit-def: $vgpr21
                                        ; implicit-def: $vgpr25
                                        ; implicit-def: $vgpr29
                                        ; implicit-def: $vgpr33
	v_lshrrev_b32_e32 v48, 2, v63
	s_branch .LBB333_49
.LBB333_46:
                                        ; implicit-def: $vgpr21
                                        ; implicit-def: $vgpr25
                                        ; implicit-def: $vgpr29
                                        ; implicit-def: $vgpr33
	s_cbranch_execz .LBB333_48
; %bb.47:
	s_waitcnt vmcnt(0)
	v_mad_u64_u32 v[18:19], s[0:1], v38, s15, v[36:37]
	v_lshlrev_b32_e32 v38, 1, v18
	s_lshl_b32 s2, s15, 7
	s_and_b32 s1, s5, 0xffff
	s_mov_b32 s3, 0x20000
	s_mov_b32 s0, s4
	v_add_lshl_u32 v39, v18, s15, 1
	s_movk_i32 s15, 0x80
	buffer_load_dwordx4 v[18:21], v38, s[0:3], 0 offen
	buffer_load_dwordx4 v[26:29], v38, s[0:3], s15 offen
	;; [unrolled: 1-line block ×4, first 2 shown]
.LBB333_48:
	v_lshrrev_b32_e32 v48, 2, v63
	s_cbranch_execnz .LBB333_61
.LBB333_49:
	s_and_b64 vcc, exec, s[6:7]
	s_cbranch_vccz .LBB333_59
; %bb.50:
	s_waitcnt vmcnt(0)
	v_lshlrev_b32_e32 v23, 1, v35
	v_cmp_gt_i32_e32 vcc, s47, v23
	v_mov_b32_e32 v22, 0
	v_lshlrev_b32_e32 v30, 9, v35
	v_mov_b32_e32 v18, 0
	v_mov_b32_e32 v19, 0
	;; [unrolled: 1-line block ×4, first 2 shown]
	s_and_saveexec_b64 s[0:1], vcc
	s_cbranch_execz .LBB333_52
; %bb.51:
	v_mov_b32_e32 v31, 0
	v_lshl_add_u64 v[18:19], s[4:5], 0, v[30:31]
	v_lshlrev_b32_e32 v20, 1, v36
	v_mov_b32_e32 v21, v31
	v_lshl_add_u64 v[18:19], v[18:19], 0, v[20:21]
	global_load_dwordx4 v[18:21], v[18:19], off
.LBB333_52:
	s_or_b64 exec, exec, s[0:1]
	v_or_b32_e32 v23, 1, v23
	v_cmp_gt_i32_e64 s[0:1], s47, v23
	v_lshlrev_b32_e32 v38, 8, v23
	v_mov_b32_e32 v23, 0
	v_mov_b32_e32 v24, 0
	;; [unrolled: 1-line block ×3, first 2 shown]
	s_and_saveexec_b64 s[2:3], s[0:1]
	s_cbranch_execz .LBB333_54
; %bb.53:
	v_mov_b32_e32 v39, 0
	v_lshl_add_u64 v[22:23], s[4:5], 0, v[38:39]
	v_lshlrev_b32_e32 v24, 1, v36
	v_mov_b32_e32 v25, v39
	v_lshl_add_u64 v[22:23], v[22:23], 0, v[24:25]
	global_load_dwordx4 v[22:25], v[22:23], off
.LBB333_54:
	s_or_b64 exec, exec, s[2:3]
	v_mov_b32_e32 v33, 0
	v_mov_b32_e32 v26, 0
	;; [unrolled: 1-line block ×5, first 2 shown]
	s_and_saveexec_b64 s[2:3], vcc
	s_cbranch_execz .LBB333_56
; %bb.55:
	v_mov_b32_e32 v31, 0
	v_lshl_add_u64 v[26:27], s[4:5], 0, v[30:31]
	v_lshlrev_b32_e32 v30, 1, v36
	v_lshl_add_u64 v[26:27], v[26:27], 0, v[30:31]
	global_load_dwordx4 v[26:29], v[26:27], off offset:128
.LBB333_56:
	s_or_b64 exec, exec, s[2:3]
	v_mov_b32_e32 v32, 0
	v_mov_b32_e32 v31, 0
	;; [unrolled: 1-line block ×3, first 2 shown]
	s_and_saveexec_b64 s[2:3], s[0:1]
	s_cbranch_execz .LBB333_58
; %bb.57:
	v_mov_b32_e32 v39, 0
	v_lshl_add_u64 v[30:31], s[4:5], 0, v[38:39]
	v_lshlrev_b32_e32 v38, 1, v36
	v_lshl_add_u64 v[30:31], v[30:31], 0, v[38:39]
	global_load_dwordx4 v[30:33], v[30:31], off offset:128
.LBB333_58:
	s_or_b64 exec, exec, s[2:3]
	s_branch .LBB333_61
.LBB333_59:
                                        ; implicit-def: $vgpr21
                                        ; implicit-def: $vgpr25
                                        ; implicit-def: $vgpr29
                                        ; implicit-def: $vgpr33
	s_cbranch_execz .LBB333_61
; %bb.60:
	s_waitcnt vmcnt(0)
	v_lshlrev_b32_e32 v18, 1, v36
	v_lshl_or_b32 v36, v35, 9, v18
	s_and_b32 s5, s5, 0xffff
	s_mov_b32 s7, 0x20000
	s_movk_i32 s6, 0x4000
	s_movk_i32 s0, 0x80
	buffer_load_dwordx4 v[18:21], v36, s[4:7], 0 offen
	buffer_load_dwordx4 v[22:25], v36, s[4:7], 0 offen offset:256
	buffer_load_dwordx4 v[26:29], v36, s[4:7], s0 offen
	buffer_load_dwordx4 v[30:33], v36, s[4:7], s0 offen offset:256
.LBB333_61:
	ds_read_b64 v[38:39], v44 offset:32768
	v_add_u32_e32 v36, 0xb000, v42
	ds_read2_b64 v[54:57], v36 offset1:16
	ds_read_b64 v[50:51], v45 offset:32768
	ds_read_b64 v[58:59], v46 offset:32768
	;; [unrolled: 1-line block ×3, first 2 shown]
	ds_read2st64_b64 v[44:47], v42 offset0:90 offset1:92
	v_and_b32_e32 v36, 12, v48
	v_and_b32_e32 v48, 6, v0
	v_xor_b32_e32 v35, v35, v48
	v_lshlrev_b32_e32 v35, 2, v35
	s_mov_b32 s0, 0x1000504
	s_waitcnt lgkmcnt(4)
	v_mfma_f32_16x16x16_bf16 a[0:3], v[38:39], v[54:55], a[0:3]
	s_mov_b32 s1, 0x3020706
	v_mfma_f32_16x16x16_bf16 a[4:7], v[38:39], v[56:57], a[4:7]
	ds_read2st64_b64 v[54:57], v43 offset0:90 offset1:92
	s_waitcnt lgkmcnt(1)
	v_mfma_f32_16x16x16_bf16 a[0:3], v[50:51], v[44:45], a[0:3]
	ds_read_b64 v[38:39], v42 offset:48128
	ds_read_b64 v[44:45], v43 offset:48128
	s_waitcnt lgkmcnt(2)
	v_mfma_f32_16x16x16_bf16 a[4:7], v[50:51], v[54:55], a[4:7]
	v_mfma_f32_16x16x16_bf16 a[0:3], v[58:59], v[46:47], a[0:3]
	v_and_b32_e32 v46, 1, v0
	v_xor_b32_e32 v47, 0x440, v35
	v_cmp_eq_u32_e32 vcc, 0, v46
	v_mfma_f32_16x16x16_bf16 a[8:11], v[58:59], v[56:57], a[4:7]
	s_nop 0
	v_cndmask_b32_e32 v35, v47, v35, vcc
	v_lshl_or_b32 v35, v48, 10, v35
	s_waitcnt lgkmcnt(1)
	v_mfma_f32_16x16x16_bf16 a[4:7], v[60:61], v[38:39], a[0:3]
	s_waitcnt vmcnt(0)
	v_perm_b32 v38, v18, v22, s0
	v_perm_b32 v39, v26, v30, s0
	ds_write2st64_b32 v35, v38, v39 offset0:32 offset1:64
	v_xor_b32_e32 v38, 8, v35
	v_perm_b32 v18, v18, v22, s1
	v_perm_b32 v22, v26, v30, s1
	v_add_u32_e32 v26, 0x80, v38
	ds_write2st64_b32 v26, v18, v22 offset0:32 offset1:64
	v_xor_b32_e32 v18, 16, v35
	v_perm_b32 v22, v19, v23, s0
	v_perm_b32 v26, v27, v31, s0
	ds_write2st64_b32 v18, v22, v26 offset0:33 offset1:65
	v_xor_b32_e32 v18, 24, v35
	v_perm_b32 v19, v19, v23, s1
	v_perm_b32 v22, v27, v31, s1
	v_add_u32_e32 v18, 0x80, v18
	ds_write2st64_b32 v18, v19, v22 offset0:33 offset1:65
	v_xor_b32_e32 v18, 32, v35
	v_perm_b32 v19, v20, v24, s0
	v_perm_b32 v22, v28, v32, s0
	ds_write2st64_b32 v18, v19, v22 offset0:34 offset1:66
	v_xor_b32_e32 v18, 40, v35
	s_waitcnt lgkmcnt(5)
	v_mfma_f32_16x16x16_bf16 a[0:3], v[60:61], v[44:45], a[8:11]
	v_perm_b32 v19, v20, v24, s1
	v_perm_b32 v20, v28, v32, s1
	v_add_u32_e32 v18, 0x80, v18
	ds_write2st64_b32 v18, v19, v20 offset0:34 offset1:66
	v_xor_b32_e32 v18, 48, v35
	v_perm_b32 v19, v21, v25, s0
	v_perm_b32 v20, v29, v33, s0
	ds_write2st64_b32 v18, v19, v20 offset0:35 offset1:67
	v_xor_b32_e32 v18, 56, v35
	v_or_b32_e32 v38, v36, v62
	v_perm_b32 v19, v21, v25, s1
	v_perm_b32 v20, v29, v33, s1
	v_add_u32_e32 v18, 0x80, v18
	v_cmp_gt_i32_e32 vcc, s47, v38
	v_mov_b32_e32 v39, 0
	v_mov_b32_e32 v45, 0
	ds_write2st64_b32 v18, v19, v20 offset0:35 offset1:67
	s_and_saveexec_b64 s[0:1], vcc
	s_cbranch_execz .LBB333_63
; %bb.62:
	v_add_u32_e32 v18, s46, v38
	v_ashrrev_i32_e32 v19, 31, v18
	v_mul_lo_u32 v20, v19, s38
	v_mul_lo_u32 v21, v18, s39
	v_mad_u64_u32 v[18:19], s[2:3], v18, s38, 0
	v_add3_u32 v19, v19, v21, v20
	v_lshl_add_u64 v[18:19], v[18:19], 2, s[10:11]
	global_load_dword v18, v[18:19], off
	s_waitcnt vmcnt(0)
	v_sub_f32_e32 v18, s12, v18
	v_mul_f32_e32 v18, 0x3fb8aa3b, v18
	v_exp_f32_e32 v45, v18
.LBB333_63:
	s_or_b64 exec, exec, s[0:1]
	v_or_b32_e32 v29, 1, v38
	v_cmp_gt_i32_e64 s[0:1], s47, v29
	s_and_saveexec_b64 s[2:3], s[0:1]
	s_cbranch_execz .LBB333_65
; %bb.64:
	v_add_u32_e32 v18, s46, v29
	v_ashrrev_i32_e32 v19, 31, v18
	v_mul_lo_u32 v20, v19, s38
	v_mul_lo_u32 v21, v18, s39
	v_mad_u64_u32 v[18:19], s[4:5], v18, s38, 0
	v_add3_u32 v19, v19, v21, v20
	v_lshl_add_u64 v[18:19], v[18:19], 2, s[10:11]
	global_load_dword v18, v[18:19], off
	s_waitcnt vmcnt(0)
	v_sub_f32_e32 v18, s12, v18
	v_mul_f32_e32 v18, 0x3fb8aa3b, v18
	v_exp_f32_e32 v39, v18
.LBB333_65:
	s_or_b64 exec, exec, s[2:3]
	v_or_b32_e32 v28, 2, v38
	v_cmp_gt_i32_e64 s[2:3], s47, v28
	v_mov_b32_e32 v44, 0
	v_mov_b32_e32 v46, 0
	s_and_saveexec_b64 s[4:5], s[2:3]
	s_cbranch_execz .LBB333_67
; %bb.66:
	v_add_u32_e32 v18, s46, v28
	v_ashrrev_i32_e32 v19, 31, v18
	v_mul_lo_u32 v20, v19, s38
	v_mul_lo_u32 v21, v18, s39
	v_mad_u64_u32 v[18:19], s[6:7], v18, s38, 0
	v_add3_u32 v19, v19, v21, v20
	v_lshl_add_u64 v[18:19], v[18:19], 2, s[10:11]
	global_load_dword v18, v[18:19], off
	s_waitcnt vmcnt(0)
	v_sub_f32_e32 v18, s12, v18
	v_mul_f32_e32 v18, 0x3fb8aa3b, v18
	v_exp_f32_e32 v46, v18
.LBB333_67:
	s_or_b64 exec, exec, s[4:5]
	v_or_b32_e32 v47, 3, v38
	v_cmp_gt_i32_e64 s[4:5], s47, v47
	s_and_saveexec_b64 s[6:7], s[4:5]
	s_cbranch_execz .LBB333_69
; %bb.68:
	v_add_u32_e32 v18, s46, v47
	v_ashrrev_i32_e32 v19, 31, v18
	v_mul_lo_u32 v20, v19, s38
	v_mul_lo_u32 v21, v18, s39
	v_mad_u64_u32 v[18:19], s[20:21], v18, s38, 0
	v_add3_u32 v19, v19, v21, v20
	v_lshl_add_u64 v[18:19], v[18:19], 2, s[10:11]
	global_load_dword v18, v[18:19], off
	s_waitcnt vmcnt(0)
	v_sub_f32_e32 v18, s12, v18
	v_mul_f32_e32 v18, 0x3fb8aa3b, v18
	v_exp_f32_e32 v44, v18
.LBB333_69:
	s_or_b64 exec, exec, s[6:7]
	s_add_u32 s6, s8, s30
	s_addc_u32 s7, s9, s31
	s_add_u32 s8, s18, s30
	v_ashrrev_i32_e32 v35, 31, v34
	v_accvgpr_read_b32 v21, a7
	s_addc_u32 s9, s19, s31
	v_lshlrev_b64 v[22:23], 1, v[34:35]
	v_accvgpr_read_b32 v20, a6
	v_accvgpr_read_b32 v19, a5
	;; [unrolled: 1-line block ×3, first 2 shown]
	v_lshl_add_u64 v[24:25], s[6:7], 0, v[22:23]
	v_lshl_add_u64 v[22:23], s[8:9], 0, v[22:23]
	v_mov_b32_e32 v31, 0
	v_lshlrev_b32_e32 v26, 8, v38
	v_mov_b32_e32 v27, 0
	s_and_saveexec_b64 s[6:7], vcc
	s_cbranch_execz .LBB333_71
; %bb.70:
	v_mov_b32_e32 v27, 0
	v_lshl_add_u64 v[32:33], v[24:25], 0, v[26:27]
	global_load_ushort v30, v[32:33], off
	v_lshl_add_u64 v[32:33], v[22:23], 0, v[26:27]
	s_waitcnt vmcnt(0)
	v_lshlrev_b32_e32 v27, 16, v30
	v_sub_f32_e32 v18, v27, v18
	global_store_short_d16_hi v[32:33], v18, off
	v_mul_f32_e32 v18, v45, v18
	v_lshrrev_b32_e32 v27, 16, v18
.LBB333_71:
	s_or_b64 exec, exec, s[6:7]
	v_lshlrev_b32_e32 v30, 8, v29
	s_and_saveexec_b64 s[6:7], s[0:1]
	s_cbranch_execz .LBB333_73
; %bb.72:
	v_mov_b32_e32 v31, 0
	v_lshl_add_u64 v[32:33], v[24:25], 0, v[30:31]
	global_load_ushort v18, v[32:33], off
	v_lshl_add_u64 v[32:33], v[22:23], 0, v[30:31]
	s_waitcnt vmcnt(0)
	v_lshlrev_b32_e32 v18, 16, v18
	v_sub_f32_e32 v18, v18, v19
	global_store_short_d16_hi v[32:33], v18, off
	v_mul_f32_e32 v18, v39, v18
	v_lshrrev_b32_e32 v31, 16, v18
.LBB333_73:
	s_or_b64 exec, exec, s[6:7]
	v_mov_b32_e32 v29, 0
	v_lshlrev_b32_e32 v32, 8, v28
	v_mov_b32_e32 v33, 0
	s_and_saveexec_b64 s[6:7], s[2:3]
	s_cbranch_execz .LBB333_75
; %bb.74:
	v_mov_b32_e32 v33, 0
	v_lshl_add_u64 v[18:19], v[24:25], 0, v[32:33]
	global_load_ushort v28, v[18:19], off
	v_lshl_add_u64 v[18:19], v[22:23], 0, v[32:33]
	s_waitcnt vmcnt(0)
	v_lshlrev_b32_e32 v28, 16, v28
	v_sub_f32_e32 v20, v28, v20
	global_store_short_d16_hi v[18:19], v20, off
	v_mul_f32_e32 v18, v46, v20
	v_lshrrev_b32_e32 v33, 16, v18
.LBB333_75:
	s_or_b64 exec, exec, s[6:7]
	v_lshlrev_b32_e32 v28, 8, v47
	s_and_saveexec_b64 s[6:7], s[4:5]
	s_cbranch_execz .LBB333_77
; %bb.76:
	v_mov_b32_e32 v29, 0
	v_lshl_add_u64 v[18:19], v[24:25], 0, v[28:29]
	global_load_ushort v20, v[18:19], off
	v_lshl_add_u64 v[18:19], v[22:23], 0, v[28:29]
	s_waitcnt vmcnt(0)
	v_lshlrev_b32_e32 v20, 16, v20
	v_sub_f32_e32 v20, v20, v21
	global_store_short_d16_hi v[18:19], v20, off
	v_mul_f32_e32 v18, v44, v20
	v_lshrrev_b32_e32 v29, 16, v18
.LBB333_77:
	s_or_b64 exec, exec, s[6:7]
	v_lshlrev_b32_e32 v35, 5, v38
	s_mov_b32 s6, 0x5040100
	v_perm_b32 v48, v31, v27, s6
	v_or_b32_e32 v27, v35, v40
	v_accvgpr_read_b32 v21, a3
	v_perm_b32 v49, v29, v33, s6
	v_lshlrev_b32_e32 v27, 1, v27
	v_accvgpr_read_b32 v20, a2
	v_accvgpr_read_b32 v19, a1
	;; [unrolled: 1-line block ×3, first 2 shown]
	ds_write_b64 v27, v[48:49] offset:45056
	v_mov_b32_e32 v31, 0
	v_mov_b32_e32 v27, 0
	s_and_saveexec_b64 s[6:7], vcc
	s_cbranch_execz .LBB333_79
; %bb.78:
	v_mov_b32_e32 v27, 0
	v_lshl_add_u64 v[48:49], v[24:25], 0, v[26:27]
	global_load_ushort v29, v[48:49], off offset:32
	v_lshl_add_u64 v[26:27], v[22:23], 0, v[26:27]
	s_waitcnt vmcnt(0)
	v_lshlrev_b32_e32 v29, 16, v29
	v_sub_f32_e32 v18, v29, v18
	global_store_short_d16_hi v[26:27], v18, off offset:32
	v_mul_f32_e32 v18, v45, v18
	v_lshrrev_b32_e32 v27, 16, v18
.LBB333_79:
	s_or_b64 exec, exec, s[6:7]
	s_and_saveexec_b64 s[6:7], s[0:1]
	s_cbranch_execz .LBB333_81
; %bb.80:
	v_mov_b32_e32 v31, 0
	v_lshl_add_u64 v[48:49], v[24:25], 0, v[30:31]
	global_load_ushort v18, v[48:49], off offset:32
	v_lshl_add_u64 v[30:31], v[22:23], 0, v[30:31]
	s_waitcnt vmcnt(0)
	v_lshlrev_b32_e32 v18, 16, v18
	v_sub_f32_e32 v18, v18, v19
	global_store_short_d16_hi v[30:31], v18, off offset:32
	v_mul_f32_e32 v18, v39, v18
	v_lshrrev_b32_e32 v31, 16, v18
.LBB333_81:
	s_or_b64 exec, exec, s[6:7]
	v_mov_b32_e32 v26, 0
	v_mov_b32_e32 v30, 0
	s_and_saveexec_b64 s[0:1], s[2:3]
	s_cbranch_execz .LBB333_83
; %bb.82:
	v_mov_b32_e32 v33, 0
	v_lshl_add_u64 v[18:19], v[24:25], 0, v[32:33]
	global_load_ushort v29, v[18:19], off offset:32
	v_lshl_add_u64 v[18:19], v[22:23], 0, v[32:33]
	s_waitcnt vmcnt(0)
	v_lshlrev_b32_e32 v29, 16, v29
	v_sub_f32_e32 v20, v29, v20
	global_store_short_d16_hi v[18:19], v20, off offset:32
	v_mul_f32_e32 v18, v46, v20
	v_lshrrev_b32_e32 v30, 16, v18
.LBB333_83:
	s_or_b64 exec, exec, s[0:1]
	v_or_b32_e32 v19, 0xb000, v42
	v_or_b32_e32 v18, 0xb000, v43
	s_and_saveexec_b64 s[0:1], s[4:5]
	s_cbranch_execz .LBB333_85
; %bb.84:
	v_mov_b32_e32 v29, 0
	v_lshl_add_u64 v[24:25], v[24:25], 0, v[28:29]
	global_load_ushort v20, v[24:25], off offset:32
	v_lshl_add_u64 v[22:23], v[22:23], 0, v[28:29]
	s_waitcnt vmcnt(0)
	v_lshlrev_b32_e32 v20, 16, v20
	v_sub_f32_e32 v20, v20, v21
	global_store_short_d16_hi v[22:23], v20, off offset:32
	v_mul_f32_e32 v20, v44, v20
	v_lshrrev_b32_e32 v26, 16, v20
.LBB333_85:
	s_or_b64 exec, exec, s[0:1]
	s_mov_b32 s0, 0x5040100
	v_or_b32_e32 v22, v35, v37
	v_perm_b32 v21, v26, v30, s0
	v_perm_b32 v20, v31, v27, s0
	v_lshlrev_b32_e32 v22, 1, v22
	s_movk_i32 s2, 0x100
	ds_write_b64 v22, v[20:21] offset:45056
	v_and_b32_e32 v20, 7, v0
	v_and_b32_e32 v21, 8, v0
	v_cmp_gt_u32_e32 vcc, s2, v0
	v_lshrrev_b32_e32 v0, 1, v0
	v_lshlrev_b32_e32 v26, 3, v20
	v_lshlrev_b32_e32 v35, 7, v20
	v_mov_b32_e32 v20, 0x4000
	v_mov_b32_e32 v22, 0x2000
	v_lshlrev_b32_e32 v24, 3, v53
	v_and_b32_e32 v0, 24, v0
	v_cndmask_b32_e32 v27, v20, v22, vcc
	v_xor_b32_e32 v20, v24, v0
	v_or_b32_e32 v22, 0x440, v20
	v_cmp_eq_u32_e32 vcc, 0, v21
	v_or_b32_e32 v28, 32, v0
	v_xor_b32_e32 v28, v24, v28
	v_cndmask_b32_e32 v20, v22, v20, vcc
	v_or_b32_e32 v20, v20, v41
	v_xor_b32_e32 v48, v20, v26
	v_or_b32_e32 v29, 0x440, v28
	v_add3_u32 v25, v27, v48, v35
	v_cndmask_b32_e32 v28, v29, v28, vcc
	v_or_b32_e32 v29, 64, v0
	v_or_b32_e32 v0, 0x60, v0
	s_waitcnt lgkmcnt(0)
	s_barrier
	v_xor_b32_e32 v29, v24, v29
	v_xor_b32_e32 v0, v24, v0
	ds_read_b64 v[24:25], v25
	v_xor_b32_e32 v30, 0x440, v29
	ds_read2_b64 v[20:23], v19 offset1:16
	v_cndmask_b32_e32 v29, v30, v29, vcc
	v_xor_b32_e32 v30, 0x440, v0
	v_or_b32_e32 v28, v28, v41
	v_or_b32_e32 v29, v29, v41
	v_cndmask_b32_e32 v0, v30, v0, vcc
	s_add_i32 s0, s16, s48
	v_xor_b32_e32 v50, v28, v26
	v_xor_b32_e32 v51, v29, v26
	v_or_b32_e32 v0, v0, v41
	s_mul_hi_i32 s1, s0, s13
	v_add3_u32 v28, v27, v50, v35
	v_add3_u32 v29, v27, v51, v35
	v_xor_b32_e32 v52, v0, v26
	s_mul_i32 s0, s0, s13
	v_add3_u32 v0, v27, v52, v35
	ds_read_b64 v[26:27], v28
	ds_read_b64 v[32:33], v29
	;; [unrolled: 1-line block ×3, first 2 shown]
	s_add_u32 s0, s0, s33
	ds_read2st64_b64 v[28:31], v19 offset0:2 offset1:4
	ds_read2st64_b64 v[40:43], v18 offset0:2 offset1:4
	s_waitcnt lgkmcnt(5)
	v_mfma_f32_16x16x16_bf16 a[0:3], v[24:25], v[20:21], 0
	s_addc_u32 s1, s1, s14
	s_lshl_b64 s[0:1], s[0:1], 9
	s_add_u32 s0, s36, s0
	v_mfma_f32_16x16x16_bf16 a[4:7], v[24:25], v[22:23], 0
	s_addc_u32 s1, s37, s1
	v_lshlrev_b32_e32 v0, 2, v38
	v_lshlrev_b32_e32 v36, 2, v36
	s_waitcnt lgkmcnt(1)
	v_mfma_f32_16x16x16_bf16 a[0:3], v[26:27], v[28:29], a[0:3]
	ds_read_b64 v[46:47], v19 offset:3072
	s_waitcnt lgkmcnt(1)
	v_mfma_f32_16x16x16_bf16 a[4:7], v[26:27], v[40:41], a[4:7]
	global_load_dwordx4 v[24:27], v0, s[0:1]
	v_lshlrev_b32_e32 v0, 6, v53
	v_or3_b32 v0, v0, v36, s2
	global_load_dwordx4 v[36:39], v0, s[0:1]
	v_mfma_f32_16x16x16_bf16 a[0:3], v[32:33], v[30:31], a[0:3]
	v_mov_b32_e32 v0, 0x3fb8aa3b
	v_mul_f32_e32 v0, s12, v0
	v_exp_f32_e32 v0, v0
	v_mfma_f32_16x16x16_bf16 a[4:7], v[32:33], v[42:43], a[4:7]
	ds_read_b64 v[32:33], v18 offset:3072
	s_waitcnt vmcnt(1)
	v_mul_f32_e32 v18, 0x3fb8aa3b, v24
	v_mul_f32_e32 v19, 0x3fb8aa3b, v25
	s_waitcnt lgkmcnt(1)
	v_mfma_f32_16x16x16_bf16 a[0:3], v[44:45], v[46:47], a[0:3]
	v_exp_f32_e32 v18, v18
	v_exp_f32_e32 v19, v19
	v_mul_f32_e32 v24, 0x3fb8aa3b, v26
	v_mul_f32_e32 v25, 0x3fb8aa3b, v27
	v_exp_f32_e32 v24, v24
	v_exp_f32_e32 v25, v25
	s_nop 0
	v_accvgpr_read_b32 v27, a3
	v_accvgpr_read_b32 v26, a2
	s_waitcnt lgkmcnt(0)
	v_mfma_f32_16x16x16_bf16 a[2:5], v[44:45], v[32:33], a[4:7]
	v_pk_mul_f32 v[44:45], v[0:1], v[18:19] op_sel_hi:[0,1]
	v_add_u32_e32 v18, v48, v35
	ds_read_b64 v[48:49], v18 offset:16384
	v_accvgpr_read_b32 v19, a1
	v_accvgpr_read_b32 v18, a0
	v_pk_fma_f32 v[18:19], v[2:3], v[44:45], v[18:19]
	v_add_u32_e32 v2, v50, v35
	v_add_u32_e32 v50, v51, v35
	s_waitcnt lgkmcnt(0)
	v_mfma_f32_16x16x16_bf16 a[6:9], v[48:49], v[20:21], 0
	v_add_u32_e32 v35, v52, v35
	ds_read_b64 v[2:3], v2 offset:16384
	ds_read_b64 v[50:51], v50 offset:16384
	;; [unrolled: 1-line block ×3, first 2 shown]
	v_pk_mul_f32 v[24:25], v[0:1], v[24:25] op_sel_hi:[0,1]
	v_pk_fma_f32 v[20:21], v[4:5], v[24:25], v[26:27]
	v_accvgpr_read_b32 v4, a2
	v_mfma_f32_16x16x16_bf16 a[10:13], v[48:49], v[22:23], 0
	v_fma_f32 v26, v10, v44, v4
	v_accvgpr_read_b32 v4, a3
	v_fma_f32 v27, v11, v45, v4
	s_waitcnt lgkmcnt(2)
	v_mfma_f32_16x16x16_bf16 a[0:3], v[2:3], v[28:29], a[6:9]
	v_accvgpr_read_b32 v4, a4
	v_accvgpr_read_b32 v29, a5
	v_fma_f32 v28, v12, v24, v4
	v_mfma_f32_16x16x16_bf16 a[4:7], v[2:3], v[40:41], a[10:13]
	s_waitcnt vmcnt(0)
	v_mov_b32_e32 v2, v37
	v_mov_b32_e32 v3, v38
	v_mov_b32_e32 v4, v39
	s_waitcnt lgkmcnt(1)
	v_mfma_f32_16x16x16_bf16 a[0:3], v[50:51], v[30:31], a[0:3]
	v_mul_f32_e32 v2, 0x3fb8aa3b, v2
	v_mul_f32_e32 v5, 0x3fb8aa3b, v36
	v_exp_f32_e32 v11, v2
	v_mfma_f32_16x16x16_bf16 a[4:7], v[50:51], v[42:43], a[4:7]
	v_mul_f32_e32 v2, 0x3fb8aa3b, v3
	v_mul_f32_e32 v3, 0x3fb8aa3b, v4
	v_exp_f32_e32 v10, v5
	s_waitcnt lgkmcnt(0)
	v_mfma_f32_16x16x16_bf16 a[0:3], v[52:53], v[46:47], a[0:3]
	v_exp_f32_e32 v2, v2
	v_exp_f32_e32 v3, v3
	v_pk_mul_f32 v[10:11], v[0:1], v[10:11] op_sel_hi:[0,1]
	v_fmac_f32_e32 v29, v13, v25
	v_mov_b32_e32 v35, v34
	v_pk_mul_f32 v[2:3], v[0:1], v[2:3] op_sel_hi:[0,1]
	s_nop 0
	v_accvgpr_read_b32 v5, a3
	v_accvgpr_read_b32 v4, a2
	v_mfma_f32_16x16x16_bf16 a[2:5], v[52:53], v[32:33], a[4:7]
	v_accvgpr_read_b32 v13, a1
	v_accvgpr_read_b32 v12, a0
	v_pk_fma_f32 v[22:23], v[6:7], v[10:11], v[12:13]
	v_pk_fma_f32 v[24:25], v[8:9], v[2:3], v[4:5]
	s_nop 2
	v_accvgpr_read_b32 v0, a2
	v_fma_f32 v30, v14, v10, v0
	v_accvgpr_read_b32 v0, a3
	v_fma_f32 v31, v15, v11, v0
	v_accvgpr_read_b32 v0, a4
	v_accvgpr_read_b32 v33, a5
	v_fma_f32 v32, v16, v2, v0
	v_fmac_f32_e32 v33, v17, v3
	v_mov_b64_e32 v[2:3], v[18:19]
	v_mov_b64_e32 v[4:5], v[20:21]
	;; [unrolled: 1-line block ×8, first 2 shown]
.LBB333_86:
	s_lshl_b64 s[0:1], s[28:29], 15
	s_add_u32 s0, s34, s0
	v_lshlrev_b32_e32 v18, 7, v35
	s_addc_u32 s1, s35, s1
	v_ashrrev_i32_e32 v19, 31, v18
	v_lshl_add_u64 v[20:21], v[18:19], 1, s[0:1]
	v_lshlrev_b32_e32 v0, 1, v1
	v_mov_b32_e32 v1, 0
	s_mov_b32 s2, 0x7060302
	v_lshl_add_u64 v[20:21], v[20:21], 0, v[0:1]
	v_perm_b32 v5, v5, v4, s2
	v_perm_b32 v4, v3, v2, s2
	;; [unrolled: 1-line block ×4, first 2 shown]
	global_store_dwordx2 v[20:21], v[2:3], off offset:128
	v_or_b32_e32 v2, 0x800, v18
	v_ashrrev_i32_e32 v3, 31, v2
	v_lshl_add_u64 v[2:3], v[2:3], 1, s[0:1]
	v_lshl_add_u64 v[0:1], v[2:3], 0, v[0:1]
	v_perm_b32 v3, v13, v12, s2
	v_perm_b32 v2, v11, v10, s2
	global_store_dwordx2 v[0:1], v[2:3], off
	v_perm_b32 v3, v17, v16, s2
	v_perm_b32 v2, v15, v14, s2
	global_store_dwordx2 v[20:21], v[4:5], off
	global_store_dwordx2 v[0:1], v[2:3], off offset:128
	s_endpgm
	.section	.rodata,"a",@progbits
	.p2align	6, 0x0
	.amdhsa_kernel _ZN12_GLOBAL__N_139chunk_gated_delta_rule_fwd_h_hip_kernelILi32ELb0ELb1ELb1ELb0ELb0ELb1ELb1ELb1EEEvPK12hip_bfloat16S3_S3_PKfS5_PKvPS1_S8_PvPKiSB_iiiiilll
		.amdhsa_group_segment_fixed_size 49152
		.amdhsa_private_segment_fixed_size 0
		.amdhsa_kernarg_size 136
		.amdhsa_user_sgpr_count 2
		.amdhsa_user_sgpr_dispatch_ptr 0
		.amdhsa_user_sgpr_queue_ptr 0
		.amdhsa_user_sgpr_kernarg_segment_ptr 1
		.amdhsa_user_sgpr_dispatch_id 0
		.amdhsa_user_sgpr_kernarg_preload_length 0
		.amdhsa_user_sgpr_kernarg_preload_offset 0
		.amdhsa_user_sgpr_private_segment_size 0
		.amdhsa_uses_dynamic_stack 0
		.amdhsa_enable_private_segment 0
		.amdhsa_system_sgpr_workgroup_id_x 1
		.amdhsa_system_sgpr_workgroup_id_y 1
		.amdhsa_system_sgpr_workgroup_id_z 0
		.amdhsa_system_sgpr_workgroup_info 0
		.amdhsa_system_vgpr_workitem_id 0
		.amdhsa_next_free_vgpr 168
		.amdhsa_next_free_sgpr 72
		.amdhsa_accum_offset 144
		.amdhsa_reserve_vcc 1
		.amdhsa_float_round_mode_32 0
		.amdhsa_float_round_mode_16_64 0
		.amdhsa_float_denorm_mode_32 3
		.amdhsa_float_denorm_mode_16_64 3
		.amdhsa_dx10_clamp 1
		.amdhsa_ieee_mode 1
		.amdhsa_fp16_overflow 0
		.amdhsa_tg_split 0
		.amdhsa_exception_fp_ieee_invalid_op 0
		.amdhsa_exception_fp_denorm_src 0
		.amdhsa_exception_fp_ieee_div_zero 0
		.amdhsa_exception_fp_ieee_overflow 0
		.amdhsa_exception_fp_ieee_underflow 0
		.amdhsa_exception_fp_ieee_inexact 0
		.amdhsa_exception_int_div_zero 0
	.end_amdhsa_kernel
	.section	.text._ZN12_GLOBAL__N_139chunk_gated_delta_rule_fwd_h_hip_kernelILi32ELb0ELb1ELb1ELb0ELb0ELb1ELb1ELb1EEEvPK12hip_bfloat16S3_S3_PKfS5_PKvPS1_S8_PvPKiSB_iiiiilll,"axG",@progbits,_ZN12_GLOBAL__N_139chunk_gated_delta_rule_fwd_h_hip_kernelILi32ELb0ELb1ELb1ELb0ELb0ELb1ELb1ELb1EEEvPK12hip_bfloat16S3_S3_PKfS5_PKvPS1_S8_PvPKiSB_iiiiilll,comdat
.Lfunc_end333:
	.size	_ZN12_GLOBAL__N_139chunk_gated_delta_rule_fwd_h_hip_kernelILi32ELb0ELb1ELb1ELb0ELb0ELb1ELb1ELb1EEEvPK12hip_bfloat16S3_S3_PKfS5_PKvPS1_S8_PvPKiSB_iiiiilll, .Lfunc_end333-_ZN12_GLOBAL__N_139chunk_gated_delta_rule_fwd_h_hip_kernelILi32ELb0ELb1ELb1ELb0ELb0ELb1ELb1ELb1EEEvPK12hip_bfloat16S3_S3_PKfS5_PKvPS1_S8_PvPKiSB_iiiiilll
                                        ; -- End function
	.section	.AMDGPU.csdata,"",@progbits
; Kernel info:
; codeLenInByte = 10228
; NumSgprs: 78
; NumVgprs: 142
; NumAgprs: 24
; TotalNumVgprs: 168
; ScratchSize: 0
; MemoryBound: 0
; FloatMode: 240
; IeeeMode: 1
; LDSByteSize: 49152 bytes/workgroup (compile time only)
; SGPRBlocks: 9
; VGPRBlocks: 20
; NumSGPRsForWavesPerEU: 78
; NumVGPRsForWavesPerEU: 168
; AccumOffset: 144
; Occupancy: 1
; WaveLimiterHint : 1
; COMPUTE_PGM_RSRC2:SCRATCH_EN: 0
; COMPUTE_PGM_RSRC2:USER_SGPR: 2
; COMPUTE_PGM_RSRC2:TRAP_HANDLER: 0
; COMPUTE_PGM_RSRC2:TGID_X_EN: 1
; COMPUTE_PGM_RSRC2:TGID_Y_EN: 1
; COMPUTE_PGM_RSRC2:TGID_Z_EN: 0
; COMPUTE_PGM_RSRC2:TIDIG_COMP_CNT: 0
; COMPUTE_PGM_RSRC3_GFX90A:ACCUM_OFFSET: 35
; COMPUTE_PGM_RSRC3_GFX90A:TG_SPLIT: 0
	.section	.text._ZN12_GLOBAL__N_139chunk_gated_delta_rule_fwd_h_hip_kernelILi32ELb0ELb1ELb0ELb0ELb0ELb1ELb1ELb1EEEvPK12hip_bfloat16S3_S3_PKfS5_PKvPS1_S8_PvPKiSB_iiiiilll,"axG",@progbits,_ZN12_GLOBAL__N_139chunk_gated_delta_rule_fwd_h_hip_kernelILi32ELb0ELb1ELb0ELb0ELb0ELb1ELb1ELb1EEEvPK12hip_bfloat16S3_S3_PKfS5_PKvPS1_S8_PvPKiSB_iiiiilll,comdat
	.globl	_ZN12_GLOBAL__N_139chunk_gated_delta_rule_fwd_h_hip_kernelILi32ELb0ELb1ELb0ELb0ELb0ELb1ELb1ELb1EEEvPK12hip_bfloat16S3_S3_PKfS5_PKvPS1_S8_PvPKiSB_iiiiilll ; -- Begin function _ZN12_GLOBAL__N_139chunk_gated_delta_rule_fwd_h_hip_kernelILi32ELb0ELb1ELb0ELb0ELb0ELb1ELb1ELb1EEEvPK12hip_bfloat16S3_S3_PKfS5_PKvPS1_S8_PvPKiSB_iiiiilll
	.p2align	8
	.type	_ZN12_GLOBAL__N_139chunk_gated_delta_rule_fwd_h_hip_kernelILi32ELb0ELb1ELb0ELb0ELb0ELb1ELb1ELb1EEEvPK12hip_bfloat16S3_S3_PKfS5_PKvPS1_S8_PvPKiSB_iiiiilll,@function
_ZN12_GLOBAL__N_139chunk_gated_delta_rule_fwd_h_hip_kernelILi32ELb0ELb1ELb0ELb0ELb0ELb1ELb1ELb1EEEvPK12hip_bfloat16S3_S3_PKfS5_PKvPS1_S8_PvPKiSB_iiiiilll: ; @_ZN12_GLOBAL__N_139chunk_gated_delta_rule_fwd_h_hip_kernelILi32ELb0ELb1ELb0ELb0ELb0ELb1ELb1ELb1EEEvPK12hip_bfloat16S3_S3_PKfS5_PKvPS1_S8_PvPKiSB_iiiiilll
; %bb.0:
	s_load_dwordx4 s[12:15], s[0:1], 0x5c
	s_load_dwordx4 s[16:19], s[0:1], 0x70
	s_abs_i32 s22, s3
	s_ashr_i32 s21, s3, 31
	s_load_dwordx8 s[4:11], s[0:1], 0x0
	s_load_dwordx2 s[30:31], s[0:1], 0x20
	s_waitcnt lgkmcnt(0)
	s_abs_i32 s20, s13
	v_cvt_f32_u32_e32 v1, s20
	s_sub_i32 s24, 0, s20
	s_ashr_i32 s23, s13, 31
	s_xor_b32 s21, s21, s23
	v_rcp_iflag_f32_e32 v1, v1
	s_load_dwordx2 s[28:29], s[0:1], 0x40
	s_load_dwordx2 s[38:39], s[0:1], 0x30
	;; [unrolled: 1-line block ×3, first 2 shown]
	v_lshrrev_b32_e32 v53, 6, v0
	v_mul_f32_e32 v1, 0x4f7ffffe, v1
	v_cvt_u32_f32_e32 v1, v1
	v_bfe_u32 v62, v0, 4, 2
	v_lshlrev_b32_e32 v60, 4, v53
	v_lshlrev_b32_e32 v18, 2, v62
	v_readfirstlane_b32 s25, v1
	s_mul_i32 s24, s24, s25
	s_mul_hi_u32 s24, s25, s24
	s_add_i32 s25, s25, s24
	s_mul_hi_u32 s24, s22, s25
	s_mul_i32 s25, s24, s20
	s_sub_i32 s22, s22, s25
	s_add_i32 s25, s24, 1
	s_sub_i32 s26, s22, s20
	s_cmp_ge_u32 s22, s20
	s_cselect_b32 s24, s25, s24
	s_cselect_b32 s22, s26, s22
	s_add_i32 s25, s24, 1
	s_cmp_ge_u32 s22, s20
	s_cselect_b32 s22, s25, s24
	s_xor_b32 s22, s22, s21
	s_sub_i32 s50, s22, s21
	s_abs_i32 s21, s14
	v_cvt_f32_u32_e32 v1, s21
	s_ashr_i32 s49, s12, 31
	s_lshr_b32 s22, s49, 26
	s_add_i32 s22, s12, s22
	v_rcp_iflag_f32_e32 v1, v1
	s_ashr_i32 s52, s14, 31
	s_ashr_i32 s51, s22, 6
	s_xor_b32 s22, s23, s52
	v_mul_f32_e32 v1, 0x4f7ffffe, v1
	v_cvt_u32_f32_e32 v1, v1
	s_sub_i32 s23, 0, s21
	s_mul_i32 s48, s50, s13
	s_sub_i32 s33, s3, s48
	v_readfirstlane_b32 s24, v1
	s_mul_i32 s23, s23, s24
	s_mul_hi_u32 s23, s24, s23
	s_add_i32 s24, s24, s23
	s_mul_hi_u32 s23, s20, s24
	s_mul_i32 s24, s23, s21
	s_sub_i32 s20, s20, s24
	s_add_i32 s3, s12, 63
	s_add_i32 s24, s23, 1
	s_sub_i32 s25, s20, s21
	s_cmp_ge_u32 s20, s21
	s_cselect_b32 s23, s24, s23
	s_cselect_b32 s20, s25, s20
	s_add_i32 s24, s23, 1
	s_cmp_ge_u32 s20, s21
	s_cselect_b32 s20, s24, s23
	s_xor_b32 s20, s20, s22
	s_sub_i32 s20, s20, s22
	s_abs_i32 s21, s20
	v_cvt_f32_u32_e32 v1, s21
	s_xor_b32 s0, s33, s20
	s_sub_i32 s20, 0, s21
	s_abs_i32 s1, s33
	v_rcp_iflag_f32_e32 v1, v1
	s_ashr_i32 s0, s0, 31
	v_and_b32_e32 v61, 63, v0
	v_mov_b32_e32 v17, 0
	v_mul_f32_e32 v1, 0x4f7ffffe, v1
	v_cvt_u32_f32_e32 v1, v1
	s_mul_i32 s46, s50, s12
	v_and_b32_e32 v63, 15, v0
	s_mul_hi_i32 s54, s50, s13
	v_readfirstlane_b32 s22, v1
	s_mul_i32 s20, s20, s22
	s_mul_hi_u32 s20, s22, s20
	s_add_i32 s22, s22, s20
	s_mul_hi_u32 s20, s1, s22
	s_mul_i32 s22, s20, s21
	s_sub_i32 s1, s1, s22
	s_add_i32 s22, s20, 1
	s_sub_i32 s23, s1, s21
	s_cmp_ge_u32 s1, s21
	s_cselect_b32 s20, s22, s20
	s_cselect_b32 s1, s23, s1
	s_add_i32 s22, s20, 1
	s_cmp_ge_u32 s1, s21
	s_cselect_b32 s1, s22, s20
	s_xor_b32 s1, s1, s0
	s_sub_i32 s55, s1, s0
	s_ashr_i32 s0, s3, 31
	s_lshr_b32 s0, s0, 26
	s_add_i32 s3, s3, s0
	v_or_b32_e32 v1, v18, v60
	s_ashr_i32 s0, s3, 6
	s_lshl_b32 s2, s2, 5
	s_mul_i32 s53, s50, s0
	v_or_b32_e32 v66, 64, v1
	s_cmp_lt_i32 s12, 64
	v_lshrrev_b32_e32 v65, 3, v61
	v_lshlrev_b32_e32 v64, 3, v0
	s_mul_i32 s17, s50, s17
	s_mul_hi_u32 s47, s50, s16
	s_mul_i32 s36, s50, s16
	v_mov_b32_e32 v16, v17
	v_mov_b32_e32 v15, v17
	;; [unrolled: 1-line block ×15, first 2 shown]
	s_cbranch_scc1 .LBB334_19
; %bb.1:
	s_ashr_i32 s3, s50, 31
	s_ashr_i32 s57, s33, 31
	s_add_u32 s0, s48, s33
	s_addc_u32 s1, s54, s57
	s_mul_i32 s1, s12, s1
	s_mul_hi_u32 s20, s12, s0
	s_add_i32 s41, s20, s1
	s_mul_i32 s40, s12, s0
	s_lshl_b64 s[0:1], s[40:41], 8
	v_and_b32_e32 v68, 56, v64
	s_add_u32 s20, s6, s0
	v_lshl_or_b32 v67, v53, 3, v65
	v_lshlrev_b32_e32 v2, 1, v68
	s_addc_u32 s0, s7, s1
	v_lshl_or_b32 v69, v67, 8, v2
	s_and_b32 s21, s0, 0xffff
	s_mov_b32 s23, 0x20000
	s_movk_i32 s22, 0x4000
	s_movk_i32 s0, 0x80
	v_or_b32_e32 v70, 0x2000, v69
	buffer_load_dwordx4 v[4:7], v69, s[20:23], 0 offen
	buffer_load_dwordx4 v[8:11], v69, s[20:23], s0 offen
	;; [unrolled: 1-line block ×4, first 2 shown]
	v_lshlrev_b32_e32 v3, 3, v67
	v_and_or_b32 v17, v0, 7, v3
	v_and_b32_e32 v3, 0x78, v3
	v_lshlrev_b32_e32 v17, 4, v17
	v_xor_b32_e32 v71, v17, v3
	v_mul_lo_u32 v16, v67, s15
	v_or_b32_e32 v72, 0x1000, v71
	v_xor_b32_e32 v3, 8, v71
	s_cmpk_eq_i32 s15, 0x80
	s_mov_b32 s56, s14
	v_xor_b32_e32 v17, 8, v72
	s_cselect_b64 s[0:1], -1, 0
	s_cmpk_lg_i32 s15, 0x80
	s_waitcnt vmcnt(3)
	ds_write_b64 v71, v[4:5] offset:24576
	ds_write_b64 v3, v[6:7] offset:24576
	s_waitcnt vmcnt(2)
	ds_write_b64 v71, v[8:9] offset:32768
	ds_write_b64 v3, v[10:11] offset:32768
	s_waitcnt vmcnt(1)
	ds_write_b64 v71, v[12:13] offset:28672
	ds_write_b64 v17, v[14:15] offset:24576
	s_waitcnt vmcnt(0)
	ds_write_b64 v71, v[20:21] offset:36864
	ds_write_b64 v17, v[22:23] offset:32768
	v_lshl_add_u32 v3, v16, 1, v68
	s_cbranch_scc0 .LBB334_3
; %bb.2:
	v_lshlrev_b32_e32 v5, 1, v3
	v_add_lshl_u32 v4, v3, s15, 1
	s_lshl_b32 s22, s15, 7
	v_lshl_or_b32 v2, v67, 9, v2
	s_cbranch_execz .LBB334_4
	s_branch .LBB334_5
.LBB334_3:
                                        ; implicit-def: $vgpr4
                                        ; implicit-def: $vgpr5
                                        ; implicit-def: $sgpr22
	v_lshl_or_b32 v2, v67, 9, v2
.LBB334_4:
	v_or_b32_e32 v4, 0x100, v2
	s_movk_i32 s22, 0x4000
	v_mov_b32_e32 v5, v2
.LBB334_5:
	s_mul_hi_u32 s20, s14, s12
	s_mul_i32 s21, s52, s12
	s_add_i32 s20, s20, s21
	s_mul_i32 s21, s14, s12
	s_mul_i32 s23, s21, s3
	s_mul_hi_u32 s24, s21, s50
	s_add_i32 s23, s24, s23
	s_mul_i32 s20, s20, s50
	s_add_i32 s23, s23, s20
	s_mul_i32 s21, s21, s50
	s_ashr_i32 s58, s55, 31
	s_add_u32 s20, s21, s55
	s_addc_u32 s21, s23, s58
	s_lshl_b64 s[20:21], s[20:21], 8
	s_add_u32 s20, s4, s20
	s_addc_u32 s21, s5, s21
	s_and_b32 s21, s21, 0xffff
	s_mov_b32 s23, 0x20000
	s_movk_i32 s59, 0x80
	buffer_load_dwordx4 v[6:9], v5, s[20:23], 0 offen
	buffer_load_dwordx4 v[10:13], v5, s[20:23], s59 offen
	;; [unrolled: 1-line block ×4, first 2 shown]
	v_and_b32_e32 v4, 6, v0
	s_mul_i32 s20, s3, s12
	s_mul_hi_u32 s21, s50, s12
	v_lshlrev_b32_e32 v24, 6, v1
	v_or_b32_e32 v26, 16, v63
	v_xor_b32_e32 v27, v67, v4
	v_and_b32_e32 v5, 1, v0
	v_lshl_or_b32 v30, v63, 3, v24
	v_lshl_or_b32 v24, v26, 3, v24
	v_lshlrev_b32_e32 v27, 2, v27
	s_add_i32 s63, s21, s20
	s_add_i32 s20, s47, s17
	s_mul_i32 s3, s3, s16
	v_lshlrev_b32_e32 v19, 2, v63
	v_or_b32_e32 v75, 0xa000, v24
	v_or_b32_e32 v76, 0xb000, v24
	v_xor_b32_e32 v24, 0x440, v27
	v_cmp_eq_u32_e32 vcc, 0, v5
	s_add_i32 s37, s20, s3
	s_mul_i32 s3, s33, s19
	s_mul_hi_u32 s20, s33, s18
	v_xor_b32_e32 v28, v1, v19
	v_xor_b32_e32 v29, v66, v19
	v_cndmask_b32_e32 v5, v24, v27, vcc
	s_add_i32 s3, s20, s3
	s_mul_i32 s20, s57, s18
	s_mov_b32 s61, 0x1000504
	v_lshlrev_b32_e32 v25, 8, v63
	v_lshlrev_b32_e32 v28, 1, v28
	;; [unrolled: 1-line block ×3, first 2 shown]
	v_lshl_or_b32 v4, v4, 10, v5
	s_add_i32 s21, s3, s20
	s_lshl_b64 s[24:25], s[36:37], 2
	s_mov_b32 s62, 0x3020706
	v_or_b32_e32 v73, 0xa000, v30
	v_or_b32_e32 v74, 0xb000, v30
	;; [unrolled: 1-line block ×4, first 2 shown]
	v_xor_b32_e32 v5, 8, v4
	v_xor_b32_e32 v25, 24, v4
	;; [unrolled: 1-line block ×4, first 2 shown]
	s_mul_i32 s20, s33, s18
	s_add_u32 s3, s10, s24
	v_xor_b32_e32 v24, 16, v4
	v_xor_b32_e32 v27, 32, v4
	;; [unrolled: 1-line block ×3, first 2 shown]
	v_add_u32_e32 v5, 0x80, v5
	v_add_u32_e32 v25, 0x80, v25
	;; [unrolled: 1-line block ×4, first 2 shown]
	s_addc_u32 s22, s11, s25
	s_lshl_b64 s[20:21], s[20:21], 2
	s_add_u32 s42, s3, s20
	s_movk_i32 s3, 0xf8
	s_addc_u32 s43, s22, s21
	s_lshl_b32 s26, s15, 7
	s_movk_i32 s24, 0x100
	v_mov_b32_e32 v55, 0
	v_lshlrev_b32_e32 v54, 4, v63
	v_cmp_gt_u32_e32 vcc, s24, v0
	v_lshlrev_b32_e32 v26, 8, v26
	v_or_b32_e32 v79, v26, v28
	v_or_b32_e32 v80, v26, v29
	s_mov_b32 s60, 0
	s_movk_i32 s37, 0x1000
	s_movk_i32 s22, 0x4000
	v_add_u32_e32 v94, v60, v18
	s_mov_b32 s64, 0x7060302
	v_mov_b32_e32 v105, 0x3fb8aa3b
	s_mov_b32 s66, 0
	v_mov_b32_e32 v106, v55
	v_mov_b32_e32 v107, v55
	;; [unrolled: 1-line block ×7, first 2 shown]
	s_waitcnt vmcnt(1)
	v_perm_b32 v33, v6, v14, s61
	s_waitcnt vmcnt(0)
	v_perm_b32 v34, v10, v20, s61
	v_perm_b32 v6, v6, v14, s62
	;; [unrolled: 1-line block ×15, first 2 shown]
	ds_write2st64_b32 v4, v33, v34 offset0:32 offset1:64
	ds_write2st64_b32 v5, v6, v10 offset0:32 offset1:64
	;; [unrolled: 1-line block ×8, first 2 shown]
	v_or_b32_e32 v4, v60, v63
	v_lshlrev_b32_e32 v4, 3, v4
	v_lshrrev_b32_e32 v6, 5, v61
	v_and_or_b32 v6, v4, s3, v6
	v_lshlrev_b32_e32 v6, 4, v6
	v_lshrrev_b32_e32 v5, 2, v61
	v_lshlrev_b32_e32 v11, 11, v53
	v_and_b32_e32 v4, 0x78, v4
	v_or_b32_e32 v10, 32, v6
	v_and_b32_e32 v7, 12, v5
	v_and_b32_e32 v5, 0x1000, v11
	v_xor_b32_e32 v8, v6, v4
	v_lshrrev_b32_e32 v9, 1, v61
	v_xor_b32_e32 v10, v10, v4
	v_or_b32_e32 v8, v8, v5
	v_and_b32_e32 v9, 8, v9
	v_lshlrev_b32_e32 v12, 7, v62
	v_or_b32_e32 v10, v10, v5
	v_xor_b32_e32 v81, v8, v9
	v_or_b32_e32 v8, v12, v19
	v_xor_b32_e32 v83, v10, v9
	v_or_b32_e32 v10, 64, v6
	v_or_b32_e32 v6, 0x60, v6
	s_ashr_i32 s3, s2, 31
	v_lshlrev_b32_e32 v8, 1, v8
	v_xor_b32_e32 v10, v10, v4
	v_xor_b32_e32 v4, v6, v4
	s_lshl_b64 s[20:21], s[2:3], 8
	v_or_b32_e32 v82, 0xa000, v8
	v_or_b32_e32 v84, 0xa080, v8
	;; [unrolled: 1-line block ×6, first 2 shown]
	s_waitcnt lgkmcnt(0)
	s_add_u32 s20, s38, s20
	v_lshlrev_b32_e32 v8, 1, v63
	v_lshlrev_b32_e32 v19, 2, v0
	v_lshrrev_b32_e32 v22, 1, v0
	v_xor_b32_e32 v85, v10, v9
	v_xor_b32_e32 v86, v4, v9
	v_lshrrev_b32_e32 v10, 4, v0
	s_addc_u32 s21, s39, s21
	v_or_b32_e32 v9, 1, v8
	v_mov_b32_e32 v20, 0x4000
	v_mov_b32_e32 v21, 0x2000
	v_and_b32_e32 v22, 24, v22
	v_and_or_b32 v12, v19, 60, v12
	v_mov_b32_e32 v19, 0xb000
	v_xor_b32_e32 v15, v10, v8
	v_xor_b32_e32 v16, v9, v10
	v_lshl_add_u64 v[8:9], s[20:21], 0, v[54:55]
	v_lshlrev_b32_e32 v54, 8, v10
	v_cndmask_b32_e32 v20, v20, v21, vcc
	v_lshlrev_b32_e32 v21, 3, v53
	v_lshl_or_b32 v91, v12, 1, v19
	v_or_b32_e32 v12, 32, v22
	v_lshl_or_b32 v89, v15, 3, v54
	v_and_b32_e32 v15, 8, v0
	v_xor_b32_e32 v12, v21, v12
	v_cmp_eq_u32_e32 vcc, 0, v15
	v_or_b32_e32 v19, 0x440, v12
	v_and_b32_e32 v10, 7, v0
	v_cndmask_b32_e32 v12, v19, v12, vcc
	v_lshl_or_b32 v90, v16, 3, v54
	v_lshlrev_b32_e32 v16, 3, v10
	v_or_b32_e32 v12, v12, v11
	v_xor_b32_e32 v19, v12, v16
	v_or_b32_e32 v12, 64, v22
	v_xor_b32_e32 v12, v21, v12
	v_xor_b32_e32 v25, 0x440, v12
	v_cndmask_b32_e32 v12, v25, v12, vcc
	v_or_b32_e32 v12, v12, v11
	v_xor_b32_e32 v25, v12, v16
	v_or_b32_e32 v12, 0x60, v22
	v_xor_b32_e32 v23, v21, v22
	v_xor_b32_e32 v12, v21, v12
	v_or_b32_e32 v24, 0x440, v23
	v_xor_b32_e32 v21, 0x440, v12
	v_cndmask_b32_e32 v15, v24, v23, vcc
	v_cndmask_b32_e32 v12, v21, v12, vcc
	v_or_b32_e32 v15, v15, v11
	v_or_b32_e32 v11, v12, v11
	;; [unrolled: 1-line block ×3, first 2 shown]
	v_xor_b32_e32 v15, v15, v16
	v_xor_b32_e32 v11, v11, v16
	v_lshlrev_b32_e32 v6, 7, v1
	v_ashrrev_i32_e32 v5, 31, v4
	v_lshlrev_b32_e32 v13, 1, v3
	v_add_lshl_u32 v3, v3, s15, 1
	v_or_b32_e32 v14, 0x100, v2
	v_lshlrev_b32_e32 v17, 7, v10
	v_or_b32_e32 v10, v7, v60
	v_add_u32_e32 v23, v20, v15
	v_add_u32_e32 v24, v20, v19
	v_add_u32_e32 v26, v20, v25
	v_add_u32_e32 v16, v20, v11
	v_or3_b32 v12, v60, v7, 64
	v_add_u32_e32 v7, 0x4000, v15
	v_add_u32_e32 v15, 0x4000, v19
	;; [unrolled: 1-line block ×4, first 2 shown]
	v_cndmask_b32_e64 v92, v13, v2, s[0:1]
	v_cndmask_b32_e64 v93, v3, v14, s[0:1]
	v_lshl_add_u64 v[56:57], v[4:5], 1, s[8:9]
	v_lshl_add_u64 v[58:59], v[8:9], 0, v[54:55]
	s_add_i32 s3, s46, 63
	v_lshlrev_b32_e32 v54, 1, v6
	v_lshlrev_b32_e32 v95, 2, v10
	v_add_u32_e32 v96, v23, v17
	v_add_u32_e32 v97, v24, v17
	;; [unrolled: 1-line block ×4, first 2 shown]
	v_lshlrev_b32_e32 v100, 2, v12
	v_add_u32_e32 v101, v7, v17
	v_add_u32_e32 v102, v15, v17
	;; [unrolled: 1-line block ×4, first 2 shown]
	v_mov_b32_e32 v2, v55
	v_mov_b32_e32 v3, v55
	;; [unrolled: 1-line block ×9, first 2 shown]
	s_barrier
.LBB334_6:                              ; =>This Inner Loop Header: Depth=1
	s_add_i32 s65, s66, 1
	s_cmp_lt_i32 s65, s51
	s_mov_b64 s[24:25], 0
	s_cselect_b64 s[44:45], -1, 0
	s_cmp_ge_i32 s65, s51
	s_mov_b64 s[20:21], 0
	s_cbranch_scc1 .LBB334_8
; %bb.7:                                ;   in Loop: Header=BB334_6 Depth=1
	s_add_i32 s0, s60, 64
	s_add_u32 s0, s40, s0
	s_addc_u32 s1, s41, 0
	s_lshl_b64 s[0:1], s[0:1], 8
	s_add_u32 s20, s6, s0
	s_addc_u32 s21, s7, s1
.LBB334_8:                              ;   in Loop: Header=BB334_6 Depth=1
	v_cndmask_b32_e64 v10, 0, 1, s[44:45]
	v_cmp_ne_u32_e64 s[0:1], 1, v10
	s_andn2_b64 vcc, exec, s[44:45]
	s_cbranch_vccnz .LBB334_10
; %bb.9:                                ;   in Loop: Header=BB334_6 Depth=1
	s_add_i32 s24, s60, 64
	s_add_u32 s24, s46, s24
	s_addc_u32 s25, s63, 0
	s_mul_i32 s27, s24, s52
	s_mul_hi_u32 s44, s24, s56
	s_add_i32 s27, s44, s27
	s_mul_i32 s25, s25, s56
	s_add_i32 s27, s27, s25
	s_mul_i32 s24, s24, s56
	s_add_u32 s24, s24, s55
	s_addc_u32 s25, s27, s58
	s_lshl_b64 s[24:25], s[24:25], 8
	s_add_u32 s24, s4, s24
	s_addc_u32 s25, s5, s25
.LBB334_10:                             ;   in Loop: Header=BB334_6 Depth=1
	v_perm_b32 v11, v5, v4, s64
	v_perm_b32 v10, v3, v2, s64
	;; [unrolled: 1-line block ×4, first 2 shown]
	ds_write_b64 v73, v[10:11]
	ds_write_b64 v74, v[12:13]
	;; [unrolled: 1-line block ×4, first 2 shown]
	v_perm_b32 v11, v113, v108, s64
	v_perm_b32 v10, v107, v106, s64
	;; [unrolled: 1-line block ×4, first 2 shown]
	ds_write_b64 v75, v[10:11]
	ds_write_b64 v76, v[12:13]
	;; [unrolled: 1-line block ×4, first 2 shown]
	s_waitcnt lgkmcnt(0)
	s_barrier
	ds_read_b64 v[14:15], v81 offset:24576
	ds_read2_b64 v[10:13], v82 offset1:16
	ds_read_b64 v[18:19], v84 offset:3072
	ds_read_b64 v[20:21], v82 offset:3072
	;; [unrolled: 1-line block ×3, first 2 shown]
	s_waitcnt lgkmcnt(3)
	v_mfma_f32_16x16x16_bf16 a[0:3], v[14:15], v[10:11], 0
	s_add_i32 s27, s60, 63
	s_mul_i32 s44, s27, s35
	s_mul_hi_u32 s45, s27, s34
	v_mfma_f32_16x16x16_bf16 a[4:7], v[14:15], v[12:13], 0
	ds_read2st64_b64 v[10:13], v82 offset0:2 offset1:4
	ds_read2st64_b64 v[14:17], v84 offset0:2 offset1:4
	s_add_i32 s45, s45, s44
	s_waitcnt lgkmcnt(1)
	v_mfma_f32_16x16x16_bf16 a[0:3], v[22:23], v[10:11], a[0:3]
	s_mul_i32 s44, s27, s34
	s_lshl_b64 s[44:45], s[44:45], 2
	s_add_u32 s44, s42, s44
	s_waitcnt lgkmcnt(0)
	v_mfma_f32_16x16x16_bf16 a[4:7], v[22:23], v[14:15], a[4:7]
	ds_read_b64 v[10:11], v85 offset:24576
	ds_read_b64 v[14:15], v86 offset:24576
	s_addc_u32 s45, s43, s45
	s_and_b64 vcc, exec, s[0:1]
	s_waitcnt lgkmcnt(1)
	v_mfma_f32_16x16x16_bf16 a[0:3], v[10:11], v[12:13], a[0:3]
	v_mov_b32_e32 v116, 0
	v_mov_b32_e32 v115, 0
	;; [unrolled: 1-line block ×3, first 2 shown]
	v_mfma_f32_16x16x16_bf16 a[4:7], v[10:11], v[16:17], a[4:7]
	v_mov_b32_e32 v10, 0
	v_mov_b32_e32 v11, 0
	;; [unrolled: 1-line block ×3, first 2 shown]
	s_waitcnt lgkmcnt(0)
	v_mfma_f32_16x16x16_bf16 a[0:3], v[14:15], v[20:21], a[0:3]
	v_mov_b32_e32 v13, 0
	v_mov_b32_e32 v16, 0
	;; [unrolled: 1-line block ×3, first 2 shown]
	v_mfma_f32_16x16x16_bf16 a[4:7], v[14:15], v[18:19], a[4:7]
	v_mov_b32_e32 v14, 0
	v_mov_b32_e32 v15, 0
	;; [unrolled: 1-line block ×10, first 2 shown]
	s_cbranch_vccnz .LBB334_12
; %bb.11:                               ;   in Loop: Header=BB334_6 Depth=1
	s_and_b32 s21, s21, 0xffff
	buffer_load_dwordx4 v[22:25], v69, s[20:23], 0 offen
	buffer_load_dwordx4 v[18:21], v69, s[20:23], s59 offen
	;; [unrolled: 1-line block ×4, first 2 shown]
	v_mov_b32_e32 v115, v71
	v_mov_b32_e32 v114, v72
.LBB334_12:                             ;   in Loop: Header=BB334_6 Depth=1
	ds_read_b64 v[30:31], v81 offset:32768
	ds_read2_b64 v[26:29], v87 offset1:16
	ds_read_b64 v[34:35], v83 offset:32768
	ds_read_b64 v[36:37], v85 offset:32768
	;; [unrolled: 1-line block ×3, first 2 shown]
	v_add_u32_e32 v40, s60, v94
	s_waitcnt lgkmcnt(3)
	v_mfma_f32_16x16x16_bf16 a[0:3], v[30:31], v[26:27], a[0:3]
	v_mul_lo_u32 v41, v40, s35
	v_mov_b32_e32 v117, 0
	v_mfma_f32_16x16x16_bf16 a[4:7], v[30:31], v[28:29], a[4:7]
	ds_read2st64_b64 v[26:29], v87 offset0:2 offset1:4
	ds_read2st64_b64 v[30:33], v88 offset0:2 offset1:4
	s_waitcnt lgkmcnt(1)
	v_mfma_f32_16x16x16_bf16 a[0:3], v[34:35], v[26:27], a[0:3]
	v_ashrrev_i32_e32 v26, 31, v40
	v_mul_lo_u32 v42, v26, s34
	v_mad_u64_u32 v[26:27], s[20:21], v40, s34, 0
	v_mfma_f32_16x16x16_bf16 a[0:3], v[36:37], v[28:29], a[0:3]
	v_add_u32_e32 v28, 1, v40
	v_ashrrev_i32_e32 v29, 31, v28
	v_add3_u32 v27, v27, v41, v42
	s_waitcnt lgkmcnt(0)
	v_mfma_f32_16x16x16_bf16 a[4:7], v[34:35], v[30:31], a[4:7]
	v_mul_lo_u32 v30, v29, s34
	v_mul_lo_u32 v31, v28, s35
	v_mad_u64_u32 v[28:29], s[20:21], v28, s34, 0
	v_add3_u32 v29, v29, v31, v30
	v_add_u32_e32 v30, 2, v40
	v_ashrrev_i32_e32 v31, 31, v30
	v_mul_lo_u32 v34, v31, s34
	v_mul_lo_u32 v35, v30, s35
	v_mad_u64_u32 v[30:31], s[20:21], v30, s34, 0
	v_add3_u32 v31, v31, v35, v34
	v_add_u32_e32 v34, 3, v40
	v_ashrrev_i32_e32 v35, 31, v34
	v_mul_lo_u32 v40, v35, s34
	v_mul_lo_u32 v41, v34, s35
	v_mad_u64_u32 v[34:35], s[20:21], v34, s34, 0
	s_add_u32 s20, s40, s60
	s_addc_u32 s21, s41, 0
	s_lshl_b64 s[20:21], s[20:21], 8
	v_lshl_add_u64 v[26:27], v[26:27], 2, s[42:43]
	v_lshl_add_u64 v[28:29], v[28:29], 2, s[42:43]
	v_add3_u32 v35, v35, v41, v40
	v_lshl_add_u64 v[40:41], v[56:57], 0, s[20:21]
	v_lshl_add_u64 v[30:31], v[30:31], 2, s[42:43]
	;; [unrolled: 1-line block ×3, first 2 shown]
	global_load_dword v42, v[26:27], off
	global_load_ushort v43, v[40:41], off offset:256
	global_load_ushort v44, v[40:41], off
	global_load_ushort v45, v[40:41], off offset:768
	global_load_ushort v46, v[40:41], off offset:512
	v_lshl_add_u64 v[26:27], v[34:35], 2, s[42:43]
	global_load_dword v47, v[28:29], off
	global_load_dword v48, v[30:31], off
	;; [unrolled: 1-line block ×3, first 2 shown]
	ds_read_b64 v[26:27], v87 offset:3072
	ds_read_b64 v[28:29], v88 offset:3072
	global_load_ushort v50, v[40:41], off offset:800
	global_load_ushort v51, v[40:41], off offset:544
	;; [unrolled: 1-line block ×3, first 2 shown]
	s_nop 0
	global_load_ushort v40, v[40:41], off offset:32
	s_load_dword s20, s[44:45], 0x0
	v_mfma_f32_16x16x16_bf16 a[4:7], v[36:37], v[32:33], a[4:7]
	s_and_b64 vcc, exec, s[0:1]
	v_mov_b32_e32 v41, 0
	s_waitcnt vmcnt(11) lgkmcnt(0)
	v_sub_f32_e32 v36, s20, v42
	v_mfma_f32_16x16x16_bf16 a[0:3], v[38:39], v[26:27], a[0:3]
	v_mul_f32_e32 v36, 0x3fb8aa3b, v36
	v_exp_f32_e32 v36, v36
	s_waitcnt vmcnt(6)
	v_sub_f32_e32 v37, s20, v47
	v_mfma_f32_16x16x16_bf16 a[4:7], v[38:39], v[28:29], a[4:7]
	s_waitcnt vmcnt(5)
	v_sub_f32_e32 v38, s20, v48
	s_waitcnt vmcnt(4)
	v_sub_f32_e32 v39, s20, v49
	v_mul_f32_e32 v37, 0x3fb8aa3b, v37
	v_mul_f32_e32 v38, 0x3fb8aa3b, v38
	;; [unrolled: 1-line block ×3, first 2 shown]
	v_exp_f32_e32 v37, v37
	v_exp_f32_e32 v38, v38
	;; [unrolled: 1-line block ×3, first 2 shown]
	v_accvgpr_read_b32 v31, a1
	v_accvgpr_read_b32 v27, a3
	;; [unrolled: 1-line block ×4, first 2 shown]
	v_lshlrev_b32_e32 v33, 16, v43
	v_lshlrev_b32_e32 v32, 16, v44
	;; [unrolled: 1-line block ×4, first 2 shown]
	v_pk_add_f32 v[30:31], v[32:33], v[30:31] neg_lo:[0,1] neg_hi:[0,1]
	v_pk_add_f32 v[26:27], v[34:35], v[26:27] neg_lo:[0,1] neg_hi:[0,1]
	v_pk_mul_f32 v[30:31], v[36:37], v[30:31]
	v_pk_mul_f32 v[26:27], v[38:39], v[26:27]
	v_accvgpr_read_b32 v33, a5
	v_perm_b32 v27, v27, v26, s64
	v_perm_b32 v26, v31, v30, s64
	s_waitcnt vmcnt(1)
	v_lshlrev_b32_e32 v31, 16, v52
	s_waitcnt vmcnt(0)
	v_lshlrev_b32_e32 v30, 16, v40
	v_accvgpr_read_b32 v32, a4
	v_accvgpr_read_b32 v29, a7
	;; [unrolled: 1-line block ×3, first 2 shown]
	v_pk_add_f32 v[30:31], v[30:31], v[32:33] neg_lo:[0,1] neg_hi:[0,1]
	v_lshlrev_b32_e32 v33, 16, v50
	v_lshlrev_b32_e32 v32, 16, v51
	v_pk_add_f32 v[28:29], v[32:33], v[28:29] neg_lo:[0,1] neg_hi:[0,1]
	v_pk_mul_f32 v[30:31], v[36:37], v[30:31]
	v_pk_mul_f32 v[28:29], v[38:39], v[28:29]
	v_mov_b32_e32 v32, 0
	v_perm_b32 v29, v29, v28, s64
	v_perm_b32 v28, v31, v30, s64
	ds_write2_b64 v74, v[26:27], v[28:29] offset1:16
	v_mov_b32_e32 v26, 0
	v_mov_b32_e32 v27, 0
	;; [unrolled: 1-line block ×14, first 2 shown]
	s_cbranch_vccnz .LBB334_14
; %bb.13:                               ;   in Loop: Header=BB334_6 Depth=1
	s_and_b32 s25, s25, 0xffff
	s_mov_b32 s27, s23
	buffer_load_dwordx4 v[38:41], v92, s[24:27], 0 offen
	buffer_load_dwordx4 v[30:33], v92, s[24:27], s59 offen
	;; [unrolled: 1-line block ×4, first 2 shown]
	v_mov_b32_e32 v116, v68
	v_mov_b32_e32 v117, v67
.LBB334_14:                             ;   in Loop: Header=BB334_6 Depth=1
	s_waitcnt lgkmcnt(0)
	s_barrier
	ds_read_b64 v[46:47], v96
	ds_read_b64 v[122:123], v91
	;; [unrolled: 1-line block ×5, first 2 shown]
	ds_read_b64 v[136:137], v88 offset:3072
	ds_read2_b64 v[42:45], v87 offset0:16 offset1:128
	s_waitcnt lgkmcnt(5)
	v_mfma_f32_16x16x16_bf16 a[0:3], v[46:47], v[122:123], 0
	ds_read2st64_b64 v[48:51], v88 offset0:2 offset1:4
	s_add_i32 s21, s53, s66
	s_mul_hi_i32 s25, s21, s13
	s_waitcnt lgkmcnt(1)
	v_mfma_f32_16x16x16_bf16 a[4:7], v[46:47], v[42:43], 0
	ds_read_b64 v[46:47], v101
	s_mul_i32 s21, s21, s13
	s_add_u32 s24, s21, s33
	s_waitcnt lgkmcnt(1)
	v_mfma_f32_16x16x16_bf16 a[4:7], v[124:125], v[48:49], a[4:7]
	s_addc_u32 s25, s25, s57
	s_add_i32 s21, s3, s60
	s_lshl_b64 s[24:25], s[24:25], 15
	s_mul_hi_i32 s27, s21, s13
	s_mul_i32 s21, s21, s13
	s_add_u32 s44, s21, s33
	v_mfma_f32_16x16x16_bf16 a[8:11], v[126:127], v[50:51], a[4:7]
	s_addc_u32 s45, s27, s57
	ds_read2st64_b64 v[118:121], v87 offset0:4 offset1:6
	s_lshl_b64 s[44:45], s[44:45], 9
	s_waitcnt lgkmcnt(1)
	v_mfma_f32_16x16x16_bf16 a[4:7], v[46:47], v[122:123], 0
	s_add_u32 s44, s30, s44
	s_addc_u32 s45, s31, s45
	v_mfma_f32_16x16x16_bf16 a[0:3], v[124:125], v[44:45], a[0:3]
	ds_read_b64 v[124:125], v102
	ds_read_b64 v[132:133], v103
	;; [unrolled: 1-line block ×3, first 2 shown]
	v_mfma_f32_16x16x16_bf16 a[12:15], v[46:47], v[42:43], 0
	s_waitcnt lgkmcnt(2)
	v_mfma_f32_16x16x16_bf16 a[4:7], v[124:125], v[44:45], a[4:7]
	global_load_dwordx4 v[42:45], v100, s[44:45]
	v_mfma_f32_16x16x16_bf16 a[12:15], v[124:125], v[48:49], a[12:15]
	global_load_dwordx4 v[46:49], v95, s[44:45]
	ds_read2st64_b64 v[122:125], v89 offset1:8
	s_waitcnt lgkmcnt(0)
	v_mov_b32_e32 v130, v122
	v_mfma_f32_16x16x16_bf16 a[0:3], v[126:127], v[118:119], a[0:3]
	ds_read2st64_b64 v[126:129], v90 offset1:8
	v_mov_b32_e32 v131, v123
	v_mfma_f32_16x16x16_bf16 a[16:19], v[132:133], v[118:119], a[4:7]
	v_lshl_add_u64 v[118:119], v[58:59], 0, s[24:25]
	v_mfma_f32_16x16x16_bf16 a[20:23], v[132:133], v[50:51], a[12:15]
	v_add_co_u32_e32 v50, vcc, s37, v118
	s_waitcnt lgkmcnt(0)
	v_mov_b32_e32 v132, v126
	v_mfma_f32_16x16x16_bf16 a[4:7], v[134:135], v[120:121], a[0:3]
	v_mov_b32_e32 v133, v127
	v_mov_b32_e32 v126, v124
	;; [unrolled: 1-line block ×3, first 2 shown]
	v_mfma_f32_16x16x16_bf16 a[8:11], v[134:135], v[136:137], a[8:11]
	v_addc_co_u32_e32 v51, vcc, 0, v119, vcc
	global_store_dwordx4 v[50:51], v[126:129], off
	v_mfma_f32_16x16x16_bf16 a[12:15], v[138:139], v[120:121], a[16:19]
	s_and_b64 vcc, exec, s[0:1]
	global_store_dwordx4 v[118:119], v[130:133], off
	s_waitcnt vmcnt(3)
	v_mov_b32_e32 v52, v45
	v_mfma_f32_16x16x16_bf16 a[0:3], v[138:139], v[136:137], a[20:23]
	v_mov_b32_e32 v51, v44
	v_mov_b32_e32 v50, v43
	s_cbranch_vccnz .LBB334_16
; %bb.15:                               ;   in Loop: Header=BB334_6 Depth=1
	v_lshrrev_b32_e32 v43, 3, v116
	v_and_b32_e32 v43, 6, v43
	v_xor_b32_e32 v44, v43, v117
	v_lshlrev_b32_e32 v44, 2, v44
	v_and_b32_e32 v45, 8, v116
	v_xor_b32_e32 v116, 0x440, v44
	v_cmp_eq_u32_e32 vcc, 0, v45
	v_perm_b32 v45, v30, v26, s61
	s_nop 0
	v_cndmask_b32_e32 v44, v116, v44, vcc
	v_lshl_or_b32 v43, v43, 10, v44
	v_perm_b32 v44, v38, v34, s61
	s_barrier
	ds_write2st64_b32 v43, v44, v45 offset0:32 offset1:64
	v_xor_b32_e32 v44, 8, v43
	v_perm_b32 v34, v38, v34, s62
	v_perm_b32 v26, v30, v26, s62
	v_add_u32_e32 v30, 0x80, v44
	ds_write2st64_b32 v30, v34, v26 offset0:32 offset1:64
	v_xor_b32_e32 v26, 16, v43
	v_perm_b32 v30, v39, v35, s61
	v_perm_b32 v34, v31, v27, s61
	ds_write2st64_b32 v26, v30, v34 offset0:33 offset1:65
	v_xor_b32_e32 v26, 24, v43
	v_perm_b32 v30, v39, v35, s62
	v_perm_b32 v27, v31, v27, s62
	v_add_u32_e32 v26, 0x80, v26
	ds_write2st64_b32 v26, v30, v27 offset0:33 offset1:65
	v_xor_b32_e32 v26, 32, v43
	v_perm_b32 v27, v40, v36, s61
	v_perm_b32 v30, v32, v28, s61
	;; [unrolled: 9-line block ×3, first 2 shown]
	ds_write2st64_b32 v26, v27, v28 offset0:35 offset1:67
	v_xor_b32_e32 v26, 56, v43
	v_perm_b32 v27, v41, v37, s62
	v_perm_b32 v28, v33, v29, s62
	v_add_u32_e32 v26, 0x80, v26
	ds_write2st64_b32 v26, v27, v28 offset0:35 offset1:67
	ds_write_b64 v115, v[22:23] offset:24576
	v_xor_b32_e32 v22, 8, v115
	ds_write_b64 v22, v[24:25] offset:24576
	ds_write_b64 v115, v[18:19] offset:32768
	ds_write_b64 v22, v[20:21] offset:32768
	ds_write_b64 v114, v[14:15] offset:24576
	v_xor_b32_e32 v14, 8, v114
	ds_write_b64 v14, v[16:17] offset:24576
	ds_write_b64 v114, v[10:11] offset:32768
	;; [unrolled: 1-line block ×3, first 2 shown]
.LBB334_16:                             ;   in Loop: Header=BB334_6 Depth=1
	v_mul_f32_e32 v14, s20, v105
	v_exp_f32_e32 v26, v14
	s_waitcnt vmcnt(2)
	v_mul_f32_e32 v14, 0x3fb8aa3b, v46
	v_exp_f32_e32 v28, v14
	v_mul_f32_e32 v14, 0x3fb8aa3b, v47
	v_exp_f32_e32 v29, v14
	;; [unrolled: 2-line block ×4, first 2 shown]
	v_accvgpr_read_b32 v21, a7
	v_accvgpr_read_b32 v19, a5
	;; [unrolled: 1-line block ×4, first 2 shown]
	v_pk_mul_f32 v[28:29], v[26:27], v[28:29] op_sel_hi:[0,1]
	v_accvgpr_read_b32 v12, a10
	v_pk_fma_f32 v[2:3], v[2:3], v[28:29], v[18:19]
	v_pk_mul_f32 v[18:19], v[26:27], v[30:31] op_sel_hi:[0,1]
	v_accvgpr_read_b32 v20, a6
	v_accvgpr_read_b32 v11, a9
	;; [unrolled: 1-line block ×3, first 2 shown]
	v_fma_f32 v108, v108, v18, v12
	v_mul_f32_e32 v12, 0x3fb8aa3b, v51
	v_pk_fma_f32 v[4:5], v[4:5], v[18:19], v[20:21]
	v_fma_f32 v106, v106, v28, v10
	v_fma_f32 v107, v107, v29, v11
	v_mul_f32_e32 v10, 0x3fb8aa3b, v42
	v_mul_f32_e32 v11, 0x3fb8aa3b, v50
	v_exp_f32_e32 v20, v12
	v_mul_f32_e32 v12, 0x3fb8aa3b, v52
	v_exp_f32_e32 v10, v10
	v_exp_f32_e32 v11, v11
	v_exp_f32_e32 v21, v12
	v_accvgpr_read_b32 v25, a15
	v_accvgpr_read_b32 v17, a3
	;; [unrolled: 1-line block ×8, first 2 shown]
	v_fmac_f32_e32 v13, v113, v19
	v_pk_mul_f32 v[10:11], v[26:27], v[10:11] op_sel_hi:[0,1]
	v_pk_mul_f32 v[18:19], v[26:27], v[20:21] op_sel_hi:[0,1]
	s_add_i32 s60, s60, 64
	v_pk_fma_f32 v[6:7], v[6:7], v[10:11], v[22:23]
	v_pk_fma_f32 v[8:9], v[8:9], v[18:19], v[24:25]
	v_fma_f32 v109, v109, v10, v14
	v_fma_f32 v110, v110, v11, v15
	;; [unrolled: 1-line block ×3, first 2 shown]
	s_cmp_eq_u32 s51, s65
	v_fmac_f32_e32 v17, v112, v19
	s_cbranch_scc1 .LBB334_18
; %bb.17:                               ;   in Loop: Header=BB334_6 Depth=1
	s_mov_b32 s66, s65
	v_mov_b32_e32 v113, v13
	v_mov_b32_e32 v112, v17
	s_branch .LBB334_6
.LBB334_18:
	v_mov_b32_e32 v16, v111
	v_mov_b32_e32 v15, v110
	;; [unrolled: 1-line block ×6, first 2 shown]
.LBB334_19:
	s_lshl_b32 s44, s51, 6
	s_sub_i32 s45, s12, s44
	s_cmp_gt_i32 s45, 0
	v_or_b32_e32 v34, s2, v63
	s_cbranch_scc1 .LBB334_21
; %bb.20:
	s_ashr_i32 s0, s33, 31
	s_add_u32 s24, s48, s33
	s_addc_u32 s25, s54, s0
	v_or_b32_e32 v35, s2, v63
	s_cbranch_execz .LBB334_22
	s_branch .LBB334_86
.LBB334_21:
                                        ; implicit-def: $sgpr24_sgpr25
                                        ; implicit-def: $vgpr35
.LBB334_22:
	s_ashr_i32 s37, s50, 31
	s_ashr_i32 s3, s44, 31
	s_cmpk_lg_i32 s15, 0x80
	s_cselect_b64 s[40:41], -1, 0
	s_and_b64 vcc, exec, s[40:41]
	s_cbranch_vccz .LBB334_24
; %bb.23:
	s_mul_hi_i32 s0, s50, s12
	s_add_u32 s1, s46, s44
	s_addc_u32 s0, s0, s3
	s_mul_i32 s20, s1, s52
	s_mul_hi_u32 s21, s1, s14
	s_add_i32 s20, s21, s20
	s_mul_i32 s0, s0, s14
	s_add_i32 s20, s20, s0
	s_mul_i32 s1, s1, s14
	s_ashr_i32 s0, s55, 31
	s_add_u32 s42, s1, s55
	s_addc_u32 s43, s20, s0
	s_cbranch_execz .LBB334_25
	s_branch .LBB334_26
.LBB334_24:
                                        ; implicit-def: $sgpr42_sgpr43
.LBB334_25:
	s_mul_hi_i32 s0, s50, s14
	s_mul_i32 s50, s50, s14
	s_ashr_i32 s1, s55, 31
	s_add_u32 s14, s50, s55
	s_addc_u32 s0, s0, s1
	s_mul_i32 s1, s14, s49
	s_mul_hi_u32 s20, s14, s12
	s_add_i32 s1, s20, s1
	s_mul_i32 s0, s0, s12
	s_add_i32 s1, s1, s0
	s_mul_i32 s14, s14, s12
	s_add_u32 s42, s14, s44
	s_addc_u32 s43, s1, s3
.LBB334_26:
	s_add_i32 s20, s53, s51
	s_ashr_i32 s14, s33, 31
	s_add_u32 s24, s48, s33
	s_addc_u32 s25, s54, s14
	s_mul_i32 s0, s24, s49
	s_mul_hi_u32 s1, s24, s12
	s_add_i32 s0, s1, s0
	s_mul_i32 s1, s25, s12
	s_add_i32 s1, s0, s1
	s_mul_i32 s0, s24, s12
	s_add_u32 s0, s0, s44
	v_lshlrev_b32_e32 v22, 5, v1
	v_lshlrev_b32_e32 v40, 2, v63
	s_addc_u32 s1, s1, s3
	s_mov_b32 s3, 0x7060302
	v_or_b32_e32 v25, v22, v40
	v_xor_b32_e32 v23, v1, v40
	v_perm_b32 v19, v5, v4, s3
	v_perm_b32 v18, v3, v2, s3
	;; [unrolled: 1-line block ×4, first 2 shown]
	v_lshlrev_b32_e32 v25, 1, v25
	v_xor_b32_e32 v24, v66, v40
	ds_write2st64_b64 v25, v[18:19], v[20:21] offset0:80 offset1:88
	v_lshlrev_b32_e32 v23, 1, v23
	v_lshlrev_b32_e32 v25, 8, v63
	s_lshl_b64 s[26:27], s[0:1], 8
	v_or_b32_e32 v26, v23, v25
	v_lshlrev_b32_e32 v24, 1, v24
	s_add_u32 s0, s6, s26
	ds_write_b64 v26, v[18:19]
	v_or_b32_e32 v18, v24, v25
	s_addc_u32 s1, s7, s27
	ds_write_b64 v18, v[20:21]
	v_perm_b32 v19, v13, v12, s3
	v_perm_b32 v18, v11, v10, s3
	;; [unrolled: 1-line block ×4, first 2 shown]
	v_or_b32_e32 v25, 16, v63
	s_mul_hi_i32 s3, s20, s13
	s_mul_i32 s20, s20, s13
	v_lshlrev_b32_e32 v37, 2, v25
	s_add_u32 s6, s20, s33
	v_or_b32_e32 v22, v22, v37
	s_addc_u32 s7, s3, s14
	v_lshlrev_b32_e32 v22, 1, v22
	s_ashr_i32 s3, s2, 31
	s_lshl_b64 s[6:7], s[6:7], 15
	ds_write2st64_b64 v22, v[18:19], v[20:21] offset0:80 offset1:88
	v_lshlrev_b32_e32 v22, 8, v25
	s_waitcnt lgkmcnt(0)
	s_add_u32 s6, s38, s6
	v_or_b32_e32 v23, v23, v22
	s_addc_u32 s7, s39, s7
	s_lshl_b64 s[2:3], s[2:3], 8
	ds_write_b64 v23, v[18:19]
	v_or_b32_e32 v18, v24, v22
	s_add_u32 s2, s6, s2
	ds_write_b64 v18, v[20:21]
	v_lshrrev_b32_e32 v18, 4, v0
	s_addc_u32 s3, s7, s3
	v_lshlrev_b32_e32 v19, 1, v63
	v_lshlrev_b32_e32 v26, 4, v63
	v_mov_b32_e32 v27, 0
	v_or_b32_e32 v20, 1, v19
	v_xor_b32_e32 v19, v18, v19
	v_lshl_add_u64 v[28:29], s[2:3], 0, v[26:27]
	v_lshlrev_b32_e32 v26, 8, v18
	v_xor_b32_e32 v22, v20, v18
	v_lshl_or_b32 v18, v19, 3, v26
	s_waitcnt lgkmcnt(0)
	s_barrier
	ds_read2st64_b64 v[18:21], v18 offset1:8
	v_lshl_or_b32 v22, v22, 3, v26
	ds_read2st64_b64 v[22:25], v22 offset1:8
	v_lshl_add_u64 v[30:31], v[28:29], 0, v[26:27]
	s_movk_i32 s2, 0x1000
	s_waitcnt lgkmcnt(1)
	v_mov_b32_e32 v26, v18
	v_add_co_u32_e32 v18, vcc, s2, v30
	s_cmp_lg_u32 s45, 64
	v_mov_b32_e32 v27, v19
	v_addc_co_u32_e32 v19, vcc, 0, v31, vcc
	s_cselect_b64 s[6:7], -1, 0
	v_lshl_or_b32 v35, v53, 3, v65
	s_waitcnt lgkmcnt(0)
	v_mov_b32_e32 v28, v22
	v_mov_b32_e32 v29, v23
	;; [unrolled: 1-line block ×4, first 2 shown]
	s_mov_b32 s20, 0
	v_or_b32_e32 v38, 32, v35
	v_and_b32_e32 v36, 56, v64
	s_and_b64 vcc, exec, s[6:7]
	global_store_dwordx4 v[30:31], v[26:29], off
	global_store_dwordx4 v[18:19], v[22:25], off
	s_cbranch_vccz .LBB334_32
; %bb.27:
	s_mov_b32 s22, s20
	s_mov_b32 s23, s20
	;; [unrolled: 1-line block ×3, first 2 shown]
	v_mov_b64_e32 v[24:25], s[22:23]
	v_mov_b64_e32 v[22:23], s[20:21]
	;; [unrolled: 1-line block ×3, first 2 shown]
	v_cmp_gt_i32_e32 vcc, s45, v35
	v_mov_b64_e32 v[20:21], v[24:25]
	s_and_saveexec_b64 s[2:3], vcc
	s_cbranch_execz .LBB334_29
; %bb.28:
	v_lshlrev_b32_e32 v18, 8, v35
	v_mov_b32_e32 v19, 0
	v_lshl_add_u64 v[20:21], s[0:1], 0, v[18:19]
	v_lshlrev_b32_e32 v18, 1, v36
	v_lshl_add_u64 v[26:27], v[20:21], 0, v[18:19]
	global_load_dwordx4 v[22:25], v[26:27], off
	global_load_dwordx4 v[18:21], v[26:27], off offset:128
.LBB334_29:
	s_or_b64 exec, exec, s[2:3]
	s_mov_b32 s22, s20
	s_mov_b32 s23, s20
	;; [unrolled: 1-line block ×3, first 2 shown]
	v_mov_b64_e32 v[32:33], s[22:23]
	v_mov_b64_e32 v[30:31], s[20:21]
	;; [unrolled: 1-line block ×3, first 2 shown]
	v_cmp_gt_i32_e32 vcc, s45, v38
	v_lshlrev_b32_e32 v39, 7, v38
	v_mov_b64_e32 v[28:29], v[32:33]
	s_and_saveexec_b64 s[2:3], vcc
	s_cbranch_execz .LBB334_31
; %bb.30:
	v_lshlrev_b32_e32 v26, 1, v39
	v_mov_b32_e32 v27, 0
	v_lshl_add_u64 v[28:29], s[0:1], 0, v[26:27]
	v_lshlrev_b32_e32 v26, 1, v36
	v_lshl_add_u64 v[42:43], v[28:29], 0, v[26:27]
	global_load_dwordx4 v[30:33], v[42:43], off
	global_load_dwordx4 v[26:29], v[42:43], off offset:128
.LBB334_31:
	s_or_b64 exec, exec, s[2:3]
	v_lshrrev_b32_e32 v41, 3, v36
	v_lshlrev_b32_e32 v42, 3, v35
	v_or_b32_e32 v41, v42, v41
	v_lshlrev_b32_e32 v41, 4, v41
	v_and_b32_e32 v42, 0x78, v42
	v_xor_b32_e32 v41, v41, v42
	s_branch .LBB334_34
.LBB334_32:
                                        ; implicit-def: $vgpr41
                                        ; implicit-def: $vgpr39
                                        ; implicit-def: $vgpr22_vgpr23_vgpr24_vgpr25
                                        ; implicit-def: $vgpr18_vgpr19_vgpr20_vgpr21
                                        ; implicit-def: $vgpr30_vgpr31_vgpr32_vgpr33
                                        ; implicit-def: $vgpr26_vgpr27_vgpr28_vgpr29
	s_cbranch_execz .LBB334_34
; %bb.33:
	s_waitcnt vmcnt(0)
	v_lshlrev_b32_e32 v18, 1, v36
	v_lshl_or_b32 v39, v35, 8, v18
	s_and_b32 s1, s1, 0xffff
	s_mov_b32 s3, 0x20000
	s_movk_i32 s2, 0x4000
	v_lshl_or_b32 v41, v38, 8, v18
	s_movk_i32 s20, 0x80
	buffer_load_dwordx4 v[22:25], v39, s[0:3], 0 offen
	buffer_load_dwordx4 v[18:21], v39, s[0:3], s20 offen
	;; [unrolled: 1-line block ×4, first 2 shown]
	v_lshrrev_b32_e32 v39, 3, v36
	v_lshlrev_b32_e32 v41, 3, v35
	v_or_b32_e32 v39, v41, v39
	v_lshlrev_b32_e32 v39, 4, v39
	v_and_b32_e32 v41, 0x78, v41
	v_xor_b32_e32 v41, v39, v41
	v_lshlrev_b32_e32 v39, 7, v38
.LBB334_34:
	s_lshl_b64 s[0:1], s[42:43], 8
	s_add_u32 s4, s4, s0
	s_movk_i32 s0, 0x1000
	v_and_or_b32 v38, v39, s0, v41
	s_waitcnt vmcnt(1)
	ds_write_b64 v41, v[22:23] offset:24576
	v_xor_b32_e32 v22, 8, v41
	ds_write_b64 v22, v[24:25] offset:24576
	s_waitcnt vmcnt(0)
	ds_write_b64 v41, v[18:19] offset:32768
	ds_write_b64 v22, v[20:21] offset:32768
	ds_write_b64 v38, v[30:31] offset:24576
	v_xor_b32_e32 v18, 8, v38
	ds_write_b64 v18, v[32:33] offset:24576
	ds_write_b64 v38, v[26:27] offset:32768
	;; [unrolled: 1-line block ×3, first 2 shown]
	v_or_b32_e32 v18, v60, v63
	s_addc_u32 s5, s5, s1
	s_add_i32 s20, s12, -1
	v_lshlrev_b32_e32 v18, 3, v18
	v_lshrrev_b32_e32 v19, 5, v61
	s_movk_i32 s12, 0xf8
	v_and_or_b32 v19, v18, s12, v19
	v_lshlrev_b32_e32 v23, 4, v19
	v_lshlrev_b32_e32 v41, 11, v53
	v_and_b32_e32 v24, 0x78, v18
	v_or_b32_e32 v26, 32, v23
	v_and_b32_e32 v22, 0x1000, v41
	v_lshrrev_b32_e32 v19, 1, v61
	v_xor_b32_e32 v26, v26, v24
	v_xor_b32_e32 v18, v23, v24
	v_and_b32_e32 v25, 8, v19
	v_or_b32_e32 v26, v26, v22
	v_or_b32_e32 v18, v18, v22
	v_xor_b32_e32 v45, v26, v25
	v_or_b32_e32 v26, 64, v23
	v_xor_b32_e32 v44, v18, v25
	v_xor_b32_e32 v26, v26, v24
	s_waitcnt lgkmcnt(0)
	s_barrier
	v_or_b32_e32 v28, v26, v22
	ds_read_b64 v[26:27], v44 offset:24576
	v_lshl_or_b32 v38, v62, 7, v40
	v_lshlrev_b32_e32 v42, 1, v38
	v_add_u32_e32 v18, 0xa000, v42
	ds_read2_b64 v[18:21], v18 offset1:16
	v_or_b32_e32 v23, 0x60, v23
	v_xor_b32_e32 v23, v23, v24
	s_waitcnt lgkmcnt(0)
	v_mfma_f32_16x16x16_bf16 a[0:3], v[26:27], v[18:19], 0
	v_or_b32_e32 v18, 64, v38
	v_or_b32_e32 v22, v23, v22
	v_lshlrev_b32_e32 v43, 1, v18
	v_xor_b32_e32 v46, v28, v25
	v_xor_b32_e32 v47, v22, v25
	ds_read_b64 v[28:29], v45 offset:24576
	ds_read_b64 v[30:31], v46 offset:24576
	;; [unrolled: 1-line block ×3, first 2 shown]
	v_mfma_f32_16x16x16_bf16 a[4:7], v[26:27], v[20:21], 0
	ds_read2st64_b64 v[18:21], v43 offset0:82 offset1:84
	ds_read2st64_b64 v[22:25], v42 offset0:82 offset1:84
	s_add_i32 s0, s47, s17
	s_mul_i32 s37, s37, s16
	s_add_i32 s37, s0, s37
	s_mul_i32 s0, s33, s19
	s_mul_hi_u32 s1, s33, s18
	s_ashr_i32 s2, s20, 31
	s_mul_i32 s3, s20, s35
	s_mul_hi_u32 s12, s20, s34
	s_add_i32 s0, s1, s0
	s_mul_i32 s1, s14, s18
	s_add_i32 s3, s12, s3
	s_mul_i32 s2, s2, s34
	s_waitcnt lgkmcnt(1)
	v_mfma_f32_16x16x16_bf16 a[4:7], v[28:29], v[18:19], a[4:7]
	s_add_i32 s1, s0, s1
	s_add_i32 s3, s3, s2
	s_lshl_b64 s[16:17], s[36:37], 2
	s_waitcnt lgkmcnt(0)
	v_mfma_f32_16x16x16_bf16 a[0:3], v[28:29], v[22:23], a[0:3]
	s_mul_i32 s0, s33, s18
	s_add_u32 s10, s10, s16
	s_addc_u32 s11, s11, s17
	s_lshl_b64 s[0:1], s[0:1], 2
	s_mul_i32 s2, s20, s34
	s_add_u32 s10, s10, s0
	ds_read_b64 v[18:19], v42 offset:44032
	v_mfma_f32_16x16x16_bf16 a[4:7], v[30:31], v[20:21], a[4:7]
	ds_read_b64 v[20:21], v43 offset:44032
	s_addc_u32 s11, s11, s1
	s_lshl_b64 s[0:1], s[2:3], 2
	v_mfma_f32_16x16x16_bf16 a[0:3], v[30:31], v[24:25], a[0:3]
	s_add_u32 s0, s10, s0
	s_addc_u32 s1, s11, s1
	s_load_dword s12, s[0:1], 0x0
	s_waitcnt lgkmcnt(0)
	v_mfma_f32_16x16x16_bf16 a[0:3], v[32:33], v[18:19], a[0:3]
	s_and_b64 vcc, exec, s[40:41]
	v_mfma_f32_16x16x16_bf16 a[4:7], v[32:33], v[20:21], a[4:7]
	s_cbranch_vccz .LBB334_45
; %bb.35:
	v_lshlrev_b32_e32 v38, 1, v35
	s_and_b64 vcc, exec, s[6:7]
	s_cbranch_vccz .LBB334_46
; %bb.36:
	v_cmp_gt_i32_e32 vcc, s45, v38
	v_mov_b32_e32 v22, 0
	v_mov_b32_e32 v18, 0
	;; [unrolled: 1-line block ×5, first 2 shown]
	s_and_saveexec_b64 s[0:1], vcc
	s_cbranch_execz .LBB334_38
; %bb.37:
	v_mad_i64_i32 v[18:19], s[2:3], s15, v38, 0
	v_lshl_add_u64 v[18:19], v[18:19], 1, s[4:5]
	v_lshlrev_b32_e32 v20, 1, v36
	v_mov_b32_e32 v21, 0
	v_lshl_add_u64 v[18:19], v[18:19], 0, v[20:21]
	global_load_dwordx4 v[18:21], v[18:19], off
.LBB334_38:
	s_or_b64 exec, exec, s[0:1]
	v_or_b32_e32 v39, 1, v38
	v_cmp_gt_i32_e64 s[0:1], s45, v39
	v_mov_b32_e32 v23, 0
	v_mov_b32_e32 v24, 0
	v_mov_b32_e32 v25, 0
	s_and_saveexec_b64 s[2:3], s[0:1]
	s_cbranch_execz .LBB334_40
; %bb.39:
	v_mad_i64_i32 v[22:23], s[16:17], s15, v39, 0
	v_lshl_add_u64 v[22:23], v[22:23], 1, s[4:5]
	v_lshlrev_b32_e32 v24, 1, v36
	v_mov_b32_e32 v25, 0
	v_lshl_add_u64 v[22:23], v[22:23], 0, v[24:25]
	global_load_dwordx4 v[22:25], v[22:23], off
.LBB334_40:
	s_or_b64 exec, exec, s[2:3]
	v_mov_b32_e32 v33, 0
	v_mov_b32_e32 v26, 0
	;; [unrolled: 1-line block ×5, first 2 shown]
	s_and_saveexec_b64 s[2:3], vcc
	s_cbranch_execz .LBB334_42
; %bb.41:
	v_mad_i64_i32 v[26:27], s[16:17], s15, v38, 0
	v_lshl_add_u64 v[26:27], v[26:27], 1, s[4:5]
	v_lshlrev_b32_e32 v28, 1, v36
	v_mov_b32_e32 v29, 0
	v_lshl_add_u64 v[26:27], v[26:27], 0, v[28:29]
	global_load_dwordx4 v[26:29], v[26:27], off offset:128
.LBB334_42:
	s_or_b64 exec, exec, s[2:3]
	v_mov_b32_e32 v32, 0
	v_mov_b32_e32 v31, 0
	v_mov_b32_e32 v30, 0
	s_and_saveexec_b64 s[2:3], s[0:1]
	s_cbranch_execz .LBB334_44
; %bb.43:
	v_mad_i64_i32 v[30:31], s[0:1], s15, v39, 0
	v_lshl_add_u64 v[30:31], v[30:31], 1, s[4:5]
	v_lshlrev_b32_e32 v32, 1, v36
	v_mov_b32_e32 v33, 0
	v_lshl_add_u64 v[30:31], v[30:31], 0, v[32:33]
	global_load_dwordx4 v[30:33], v[30:31], off offset:128
.LBB334_44:
	s_or_b64 exec, exec, s[2:3]
	s_branch .LBB334_48
.LBB334_45:
                                        ; implicit-def: $vgpr21
                                        ; implicit-def: $vgpr25
                                        ; implicit-def: $vgpr29
                                        ; implicit-def: $vgpr33
	v_lshrrev_b32_e32 v48, 2, v61
	s_branch .LBB334_49
.LBB334_46:
                                        ; implicit-def: $vgpr21
                                        ; implicit-def: $vgpr25
                                        ; implicit-def: $vgpr29
                                        ; implicit-def: $vgpr33
	s_cbranch_execz .LBB334_48
; %bb.47:
	s_waitcnt vmcnt(0)
	v_mad_u64_u32 v[18:19], s[0:1], v38, s15, v[36:37]
	v_lshlrev_b32_e32 v38, 1, v18
	s_lshl_b32 s2, s15, 7
	s_and_b32 s1, s5, 0xffff
	s_mov_b32 s3, 0x20000
	s_mov_b32 s0, s4
	v_add_lshl_u32 v39, v18, s15, 1
	s_movk_i32 s15, 0x80
	buffer_load_dwordx4 v[18:21], v38, s[0:3], 0 offen
	buffer_load_dwordx4 v[26:29], v38, s[0:3], s15 offen
	buffer_load_dwordx4 v[22:25], v39, s[0:3], 0 offen
	buffer_load_dwordx4 v[30:33], v39, s[0:3], s15 offen
.LBB334_48:
	v_lshrrev_b32_e32 v48, 2, v61
	s_cbranch_execnz .LBB334_61
.LBB334_49:
	s_and_b64 vcc, exec, s[6:7]
	s_cbranch_vccz .LBB334_59
; %bb.50:
	s_waitcnt vmcnt(0)
	v_lshlrev_b32_e32 v23, 1, v35
	v_cmp_gt_i32_e32 vcc, s45, v23
	v_mov_b32_e32 v22, 0
	v_lshlrev_b32_e32 v30, 9, v35
	v_mov_b32_e32 v18, 0
	v_mov_b32_e32 v19, 0
	v_mov_b32_e32 v20, 0
	v_mov_b32_e32 v21, 0
	s_and_saveexec_b64 s[0:1], vcc
	s_cbranch_execz .LBB334_52
; %bb.51:
	v_mov_b32_e32 v31, 0
	v_lshl_add_u64 v[18:19], s[4:5], 0, v[30:31]
	v_lshlrev_b32_e32 v20, 1, v36
	v_mov_b32_e32 v21, v31
	v_lshl_add_u64 v[18:19], v[18:19], 0, v[20:21]
	global_load_dwordx4 v[18:21], v[18:19], off
.LBB334_52:
	s_or_b64 exec, exec, s[0:1]
	v_or_b32_e32 v23, 1, v23
	v_cmp_gt_i32_e64 s[0:1], s45, v23
	v_lshlrev_b32_e32 v38, 8, v23
	v_mov_b32_e32 v23, 0
	v_mov_b32_e32 v24, 0
	;; [unrolled: 1-line block ×3, first 2 shown]
	s_and_saveexec_b64 s[2:3], s[0:1]
	s_cbranch_execz .LBB334_54
; %bb.53:
	v_mov_b32_e32 v39, 0
	v_lshl_add_u64 v[22:23], s[4:5], 0, v[38:39]
	v_lshlrev_b32_e32 v24, 1, v36
	v_mov_b32_e32 v25, v39
	v_lshl_add_u64 v[22:23], v[22:23], 0, v[24:25]
	global_load_dwordx4 v[22:25], v[22:23], off
.LBB334_54:
	s_or_b64 exec, exec, s[2:3]
	v_mov_b32_e32 v33, 0
	v_mov_b32_e32 v26, 0
	;; [unrolled: 1-line block ×5, first 2 shown]
	s_and_saveexec_b64 s[2:3], vcc
	s_cbranch_execz .LBB334_56
; %bb.55:
	v_mov_b32_e32 v31, 0
	v_lshl_add_u64 v[26:27], s[4:5], 0, v[30:31]
	v_lshlrev_b32_e32 v30, 1, v36
	v_lshl_add_u64 v[26:27], v[26:27], 0, v[30:31]
	global_load_dwordx4 v[26:29], v[26:27], off offset:128
.LBB334_56:
	s_or_b64 exec, exec, s[2:3]
	v_mov_b32_e32 v32, 0
	v_mov_b32_e32 v31, 0
	;; [unrolled: 1-line block ×3, first 2 shown]
	s_and_saveexec_b64 s[2:3], s[0:1]
	s_cbranch_execz .LBB334_58
; %bb.57:
	v_mov_b32_e32 v39, 0
	v_lshl_add_u64 v[30:31], s[4:5], 0, v[38:39]
	v_lshlrev_b32_e32 v38, 1, v36
	v_lshl_add_u64 v[30:31], v[30:31], 0, v[38:39]
	global_load_dwordx4 v[30:33], v[30:31], off offset:128
.LBB334_58:
	s_or_b64 exec, exec, s[2:3]
	s_branch .LBB334_61
.LBB334_59:
                                        ; implicit-def: $vgpr21
                                        ; implicit-def: $vgpr25
                                        ; implicit-def: $vgpr29
                                        ; implicit-def: $vgpr33
	s_cbranch_execz .LBB334_61
; %bb.60:
	s_waitcnt vmcnt(0)
	v_lshlrev_b32_e32 v18, 1, v36
	v_lshl_or_b32 v36, v35, 9, v18
	s_and_b32 s5, s5, 0xffff
	s_mov_b32 s7, 0x20000
	s_movk_i32 s6, 0x4000
	s_movk_i32 s0, 0x80
	buffer_load_dwordx4 v[18:21], v36, s[4:7], 0 offen
	buffer_load_dwordx4 v[22:25], v36, s[4:7], 0 offen offset:256
	buffer_load_dwordx4 v[26:29], v36, s[4:7], s0 offen
	buffer_load_dwordx4 v[30:33], v36, s[4:7], s0 offen offset:256
.LBB334_61:
	ds_read_b64 v[38:39], v44 offset:32768
	v_add_u32_e32 v36, 0xb000, v42
	ds_read2_b64 v[54:57], v36 offset1:16
	ds_read_b64 v[50:51], v45 offset:32768
	ds_read_b64 v[58:59], v46 offset:32768
	;; [unrolled: 1-line block ×3, first 2 shown]
	ds_read2st64_b64 v[44:47], v42 offset0:90 offset1:92
	v_and_b32_e32 v36, 12, v48
	v_and_b32_e32 v48, 6, v0
	v_xor_b32_e32 v35, v35, v48
	v_lshlrev_b32_e32 v35, 2, v35
	s_mov_b32 s0, 0x1000504
	s_waitcnt lgkmcnt(4)
	v_mfma_f32_16x16x16_bf16 a[0:3], v[38:39], v[54:55], a[0:3]
	s_mov_b32 s1, 0x3020706
	v_mfma_f32_16x16x16_bf16 a[4:7], v[38:39], v[56:57], a[4:7]
	ds_read2st64_b64 v[54:57], v43 offset0:90 offset1:92
	s_waitcnt lgkmcnt(1)
	v_mfma_f32_16x16x16_bf16 a[0:3], v[50:51], v[44:45], a[0:3]
	ds_read_b64 v[38:39], v42 offset:48128
	ds_read_b64 v[44:45], v43 offset:48128
	s_waitcnt lgkmcnt(2)
	v_mfma_f32_16x16x16_bf16 a[4:7], v[50:51], v[54:55], a[4:7]
	v_mfma_f32_16x16x16_bf16 a[0:3], v[58:59], v[46:47], a[0:3]
	v_and_b32_e32 v46, 1, v0
	v_xor_b32_e32 v47, 0x440, v35
	v_cmp_eq_u32_e32 vcc, 0, v46
	v_mfma_f32_16x16x16_bf16 a[8:11], v[58:59], v[56:57], a[4:7]
	s_nop 0
	v_cndmask_b32_e32 v35, v47, v35, vcc
	v_lshl_or_b32 v35, v48, 10, v35
	s_waitcnt lgkmcnt(1)
	v_mfma_f32_16x16x16_bf16 a[4:7], v[62:63], v[38:39], a[0:3]
	s_waitcnt vmcnt(0)
	v_perm_b32 v38, v18, v22, s0
	v_perm_b32 v39, v26, v30, s0
	ds_write2st64_b32 v35, v38, v39 offset0:32 offset1:64
	v_xor_b32_e32 v38, 8, v35
	v_perm_b32 v18, v18, v22, s1
	v_perm_b32 v22, v26, v30, s1
	v_add_u32_e32 v26, 0x80, v38
	ds_write2st64_b32 v26, v18, v22 offset0:32 offset1:64
	v_xor_b32_e32 v18, 16, v35
	v_perm_b32 v22, v19, v23, s0
	v_perm_b32 v26, v27, v31, s0
	ds_write2st64_b32 v18, v22, v26 offset0:33 offset1:65
	v_xor_b32_e32 v18, 24, v35
	v_perm_b32 v19, v19, v23, s1
	v_perm_b32 v22, v27, v31, s1
	v_add_u32_e32 v18, 0x80, v18
	ds_write2st64_b32 v18, v19, v22 offset0:33 offset1:65
	v_xor_b32_e32 v18, 32, v35
	v_perm_b32 v19, v20, v24, s0
	v_perm_b32 v22, v28, v32, s0
	ds_write2st64_b32 v18, v19, v22 offset0:34 offset1:66
	v_xor_b32_e32 v18, 40, v35
	s_waitcnt lgkmcnt(5)
	v_mfma_f32_16x16x16_bf16 a[0:3], v[62:63], v[44:45], a[8:11]
	v_perm_b32 v19, v20, v24, s1
	v_perm_b32 v20, v28, v32, s1
	v_add_u32_e32 v18, 0x80, v18
	ds_write2st64_b32 v18, v19, v20 offset0:34 offset1:66
	v_xor_b32_e32 v18, 48, v35
	v_perm_b32 v19, v21, v25, s0
	v_perm_b32 v20, v29, v33, s0
	ds_write2st64_b32 v18, v19, v20 offset0:35 offset1:67
	v_xor_b32_e32 v18, 56, v35
	v_or_b32_e32 v32, v36, v60
	v_perm_b32 v19, v21, v25, s1
	v_perm_b32 v20, v29, v33, s1
	v_add_u32_e32 v18, 0x80, v18
	v_cmp_gt_i32_e32 vcc, s45, v32
	v_mov_b32_e32 v33, 0
	v_mov_b32_e32 v39, 0
	ds_write2st64_b32 v18, v19, v20 offset0:35 offset1:67
	s_and_saveexec_b64 s[0:1], vcc
	s_cbranch_execz .LBB334_63
; %bb.62:
	v_add_u32_e32 v18, s44, v32
	v_ashrrev_i32_e32 v19, 31, v18
	v_mul_lo_u32 v20, v19, s34
	v_mul_lo_u32 v21, v18, s35
	v_mad_u64_u32 v[18:19], s[2:3], v18, s34, 0
	v_add3_u32 v19, v19, v21, v20
	v_lshl_add_u64 v[18:19], v[18:19], 2, s[10:11]
	global_load_dword v18, v[18:19], off
	s_waitcnt vmcnt(0)
	v_sub_f32_e32 v18, s12, v18
	v_mul_f32_e32 v18, 0x3fb8aa3b, v18
	v_exp_f32_e32 v39, v18
.LBB334_63:
	s_or_b64 exec, exec, s[0:1]
	v_or_b32_e32 v26, 1, v32
	v_cmp_gt_i32_e64 s[0:1], s45, v26
	s_and_saveexec_b64 s[2:3], s[0:1]
	s_cbranch_execz .LBB334_65
; %bb.64:
	v_add_u32_e32 v18, s44, v26
	v_ashrrev_i32_e32 v19, 31, v18
	v_mul_lo_u32 v20, v19, s34
	v_mul_lo_u32 v21, v18, s35
	v_mad_u64_u32 v[18:19], s[4:5], v18, s34, 0
	v_add3_u32 v19, v19, v21, v20
	v_lshl_add_u64 v[18:19], v[18:19], 2, s[10:11]
	global_load_dword v18, v[18:19], off
	s_waitcnt vmcnt(0)
	v_sub_f32_e32 v18, s12, v18
	v_mul_f32_e32 v18, 0x3fb8aa3b, v18
	v_exp_f32_e32 v33, v18
.LBB334_65:
	s_or_b64 exec, exec, s[2:3]
	v_or_b32_e32 v27, 2, v32
	v_cmp_gt_i32_e64 s[2:3], s45, v27
	v_mov_b32_e32 v38, 0
	v_mov_b32_e32 v44, 0
	s_and_saveexec_b64 s[4:5], s[2:3]
	s_cbranch_execz .LBB334_67
; %bb.66:
	v_add_u32_e32 v18, s44, v27
	v_ashrrev_i32_e32 v19, 31, v18
	v_mul_lo_u32 v20, v19, s34
	v_mul_lo_u32 v21, v18, s35
	v_mad_u64_u32 v[18:19], s[6:7], v18, s34, 0
	v_add3_u32 v19, v19, v21, v20
	v_lshl_add_u64 v[18:19], v[18:19], 2, s[10:11]
	global_load_dword v18, v[18:19], off
	s_waitcnt vmcnt(0)
	v_sub_f32_e32 v18, s12, v18
	v_mul_f32_e32 v18, 0x3fb8aa3b, v18
	v_exp_f32_e32 v44, v18
.LBB334_67:
	s_or_b64 exec, exec, s[4:5]
	v_or_b32_e32 v45, 3, v32
	v_cmp_gt_i32_e64 s[4:5], s45, v45
	s_and_saveexec_b64 s[6:7], s[4:5]
	s_cbranch_execz .LBB334_69
; %bb.68:
	v_add_u32_e32 v18, s44, v45
	v_ashrrev_i32_e32 v19, 31, v18
	v_mul_lo_u32 v20, v19, s34
	v_mul_lo_u32 v21, v18, s35
	v_mad_u64_u32 v[18:19], s[16:17], v18, s34, 0
	v_add3_u32 v19, v19, v21, v20
	v_lshl_add_u64 v[18:19], v[18:19], 2, s[10:11]
	global_load_dword v18, v[18:19], off
	s_waitcnt vmcnt(0)
	v_sub_f32_e32 v18, s12, v18
	v_mul_f32_e32 v18, 0x3fb8aa3b, v18
	v_exp_f32_e32 v38, v18
.LBB334_69:
	s_or_b64 exec, exec, s[6:7]
	s_add_u32 s6, s8, s26
	v_accvgpr_read_b32 v21, a7
	s_addc_u32 s7, s9, s27
	v_ashrrev_i32_e32 v35, 31, v34
	v_accvgpr_read_b32 v20, a6
	v_accvgpr_read_b32 v19, a5
	;; [unrolled: 1-line block ×3, first 2 shown]
	v_lshl_add_u64 v[22:23], v[34:35], 1, s[6:7]
	v_mov_b32_e32 v29, 0
	v_lshlrev_b32_e32 v24, 8, v32
	v_mov_b32_e32 v25, 0
	s_and_saveexec_b64 s[6:7], vcc
	s_cbranch_execz .LBB334_71
; %bb.70:
	v_mov_b32_e32 v25, 0
	v_lshl_add_u64 v[30:31], v[22:23], 0, v[24:25]
	global_load_ushort v25, v[30:31], off
	s_waitcnt vmcnt(0)
	v_lshlrev_b32_e32 v25, 16, v25
	v_sub_f32_e32 v18, v25, v18
	v_mul_f32_e32 v18, v39, v18
	v_lshrrev_b32_e32 v25, 16, v18
.LBB334_71:
	s_or_b64 exec, exec, s[6:7]
	v_lshlrev_b32_e32 v28, 8, v26
	s_and_saveexec_b64 s[6:7], s[0:1]
	s_cbranch_execz .LBB334_73
; %bb.72:
	v_mov_b32_e32 v29, 0
	v_lshl_add_u64 v[30:31], v[22:23], 0, v[28:29]
	global_load_ushort v18, v[30:31], off
	s_waitcnt vmcnt(0)
	v_lshlrev_b32_e32 v18, 16, v18
	v_sub_f32_e32 v18, v18, v19
	v_mul_f32_e32 v18, v33, v18
	v_lshrrev_b32_e32 v29, 16, v18
.LBB334_73:
	s_or_b64 exec, exec, s[6:7]
	v_mov_b32_e32 v46, 0
	v_lshlrev_b32_e32 v30, 8, v27
	v_mov_b32_e32 v31, 0
	s_and_saveexec_b64 s[6:7], s[2:3]
	s_cbranch_execz .LBB334_75
; %bb.74:
	v_mov_b32_e32 v31, 0
	v_lshl_add_u64 v[18:19], v[22:23], 0, v[30:31]
	global_load_ushort v18, v[18:19], off
	s_waitcnt vmcnt(0)
	v_lshlrev_b32_e32 v18, 16, v18
	v_sub_f32_e32 v18, v18, v20
	v_mul_f32_e32 v18, v44, v18
	v_lshrrev_b32_e32 v31, 16, v18
.LBB334_75:
	s_or_b64 exec, exec, s[6:7]
	v_lshlrev_b32_e32 v26, 8, v45
	s_and_saveexec_b64 s[6:7], s[4:5]
	s_cbranch_execz .LBB334_77
; %bb.76:
	v_mov_b32_e32 v27, 0
	v_lshl_add_u64 v[18:19], v[22:23], 0, v[26:27]
	global_load_ushort v18, v[18:19], off
	s_waitcnt vmcnt(0)
	v_lshlrev_b32_e32 v18, 16, v18
	v_sub_f32_e32 v18, v18, v21
	v_mul_f32_e32 v18, v38, v18
	v_lshrrev_b32_e32 v46, 16, v18
.LBB334_77:
	s_or_b64 exec, exec, s[6:7]
	v_lshlrev_b32_e32 v35, 5, v32
	s_mov_b32 s6, 0x5040100
	v_perm_b32 v47, v46, v31, s6
	v_perm_b32 v46, v29, v25, s6
	v_or_b32_e32 v25, v35, v40
	v_accvgpr_read_b32 v21, a3
	v_lshlrev_b32_e32 v25, 1, v25
	v_accvgpr_read_b32 v20, a2
	v_accvgpr_read_b32 v19, a1
	;; [unrolled: 1-line block ×3, first 2 shown]
	ds_write_b64 v25, v[46:47] offset:45056
	v_mov_b32_e32 v29, 0
	v_mov_b32_e32 v25, 0
	s_and_saveexec_b64 s[6:7], vcc
	s_cbranch_execz .LBB334_79
; %bb.78:
	v_mov_b32_e32 v25, 0
	v_lshl_add_u64 v[24:25], v[22:23], 0, v[24:25]
	global_load_ushort v24, v[24:25], off offset:32
	s_waitcnt vmcnt(0)
	v_lshlrev_b32_e32 v24, 16, v24
	v_sub_f32_e32 v18, v24, v18
	v_mul_f32_e32 v18, v39, v18
	v_lshrrev_b32_e32 v25, 16, v18
.LBB334_79:
	s_or_b64 exec, exec, s[6:7]
	s_and_saveexec_b64 s[6:7], s[0:1]
	s_cbranch_execz .LBB334_81
; %bb.80:
	v_mov_b32_e32 v29, 0
	v_lshl_add_u64 v[28:29], v[22:23], 0, v[28:29]
	global_load_ushort v18, v[28:29], off offset:32
	s_waitcnt vmcnt(0)
	v_lshlrev_b32_e32 v18, 16, v18
	v_sub_f32_e32 v18, v18, v19
	v_mul_f32_e32 v18, v33, v18
	v_lshrrev_b32_e32 v29, 16, v18
.LBB334_81:
	s_or_b64 exec, exec, s[6:7]
	v_mov_b32_e32 v24, 0
	v_mov_b32_e32 v28, 0
	s_and_saveexec_b64 s[0:1], s[2:3]
	s_cbranch_execz .LBB334_83
; %bb.82:
	v_mov_b32_e32 v31, 0
	v_lshl_add_u64 v[18:19], v[22:23], 0, v[30:31]
	global_load_ushort v18, v[18:19], off offset:32
	s_waitcnt vmcnt(0)
	v_lshlrev_b32_e32 v18, 16, v18
	v_sub_f32_e32 v18, v18, v20
	v_mul_f32_e32 v18, v44, v18
	v_lshrrev_b32_e32 v28, 16, v18
.LBB334_83:
	s_or_b64 exec, exec, s[0:1]
	v_or_b32_e32 v19, 0xb000, v42
	v_or_b32_e32 v18, 0xb000, v43
	s_and_saveexec_b64 s[0:1], s[4:5]
	s_cbranch_execz .LBB334_85
; %bb.84:
	v_mov_b32_e32 v27, 0
	v_lshl_add_u64 v[22:23], v[22:23], 0, v[26:27]
	global_load_ushort v20, v[22:23], off offset:32
	s_waitcnt vmcnt(0)
	v_lshlrev_b32_e32 v20, 16, v20
	v_sub_f32_e32 v20, v20, v21
	v_mul_f32_e32 v20, v38, v20
	v_lshrrev_b32_e32 v24, 16, v20
.LBB334_85:
	s_or_b64 exec, exec, s[0:1]
	s_mov_b32 s0, 0x5040100
	v_or_b32_e32 v22, v35, v37
	v_perm_b32 v21, v24, v28, s0
	v_perm_b32 v20, v29, v25, s0
	v_lshlrev_b32_e32 v22, 1, v22
	s_movk_i32 s2, 0x100
	ds_write_b64 v22, v[20:21] offset:45056
	v_and_b32_e32 v20, 7, v0
	v_and_b32_e32 v21, 8, v0
	v_cmp_gt_u32_e32 vcc, s2, v0
	v_lshrrev_b32_e32 v0, 1, v0
	v_lshlrev_b32_e32 v26, 3, v20
	v_lshlrev_b32_e32 v35, 7, v20
	v_mov_b32_e32 v20, 0x4000
	v_mov_b32_e32 v22, 0x2000
	v_lshlrev_b32_e32 v24, 3, v53
	v_and_b32_e32 v0, 24, v0
	v_cndmask_b32_e32 v27, v20, v22, vcc
	v_xor_b32_e32 v20, v24, v0
	v_or_b32_e32 v22, 0x440, v20
	v_cmp_eq_u32_e32 vcc, 0, v21
	v_or_b32_e32 v28, 32, v0
	v_xor_b32_e32 v28, v24, v28
	v_cndmask_b32_e32 v20, v22, v20, vcc
	v_or_b32_e32 v20, v20, v41
	v_xor_b32_e32 v50, v20, v26
	v_or_b32_e32 v29, 0x440, v28
	v_add3_u32 v25, v27, v50, v35
	v_cndmask_b32_e32 v28, v29, v28, vcc
	v_or_b32_e32 v29, 64, v0
	v_or_b32_e32 v0, 0x60, v0
	s_waitcnt lgkmcnt(0)
	s_barrier
	v_xor_b32_e32 v29, v24, v29
	v_xor_b32_e32 v0, v24, v0
	ds_read_b64 v[24:25], v25
	v_xor_b32_e32 v30, 0x440, v29
	ds_read2_b64 v[20:23], v19 offset1:16
	v_cndmask_b32_e32 v29, v30, v29, vcc
	v_xor_b32_e32 v30, 0x440, v0
	v_or_b32_e32 v28, v28, v41
	v_or_b32_e32 v29, v29, v41
	v_cndmask_b32_e32 v0, v30, v0, vcc
	s_add_i32 s0, s20, s46
	v_xor_b32_e32 v51, v28, v26
	v_xor_b32_e32 v52, v29, v26
	v_or_b32_e32 v0, v0, v41
	s_mul_hi_i32 s1, s0, s13
	v_add3_u32 v28, v27, v51, v35
	v_add3_u32 v29, v27, v52, v35
	v_xor_b32_e32 v54, v0, v26
	s_mul_i32 s0, s0, s13
	v_add3_u32 v0, v27, v54, v35
	ds_read_b64 v[26:27], v28
	ds_read_b64 v[46:47], v29
	;; [unrolled: 1-line block ×3, first 2 shown]
	s_add_u32 s0, s0, s33
	ds_read2st64_b64 v[28:31], v19 offset0:2 offset1:4
	ds_read2st64_b64 v[38:41], v18 offset0:2 offset1:4
	s_waitcnt lgkmcnt(5)
	v_mfma_f32_16x16x16_bf16 a[0:3], v[24:25], v[20:21], 0
	s_addc_u32 s1, s1, s14
	s_lshl_b64 s[0:1], s[0:1], 9
	s_add_u32 s0, s30, s0
	v_mfma_f32_16x16x16_bf16 a[4:7], v[24:25], v[22:23], 0
	s_addc_u32 s1, s31, s1
	v_lshlrev_b32_e32 v0, 2, v32
	v_lshlrev_b32_e32 v32, 2, v36
	s_waitcnt lgkmcnt(1)
	v_mfma_f32_16x16x16_bf16 a[0:3], v[26:27], v[28:29], a[0:3]
	ds_read_b64 v[36:37], v18 offset:3072
	s_waitcnt lgkmcnt(1)
	v_mfma_f32_16x16x16_bf16 a[4:7], v[26:27], v[38:39], a[4:7]
	global_load_dwordx4 v[24:27], v0, s[0:1]
	v_lshlrev_b32_e32 v0, 6, v53
	v_or3_b32 v0, v0, v32, s2
	global_load_dwordx4 v[42:45], v0, s[0:1]
	ds_read_b64 v[32:33], v19 offset:3072
	v_mfma_f32_16x16x16_bf16 a[0:3], v[46:47], v[30:31], a[0:3]
	v_mov_b32_e32 v0, 0x3fb8aa3b
	v_mul_f32_e32 v0, s12, v0
	v_exp_f32_e32 v0, v0
	v_mfma_f32_16x16x16_bf16 a[4:7], v[46:47], v[40:41], a[4:7]
	s_waitcnt vmcnt(1)
	v_mul_f32_e32 v18, 0x3fb8aa3b, v24
	v_mul_f32_e32 v19, 0x3fb8aa3b, v25
	v_exp_f32_e32 v18, v18
	v_exp_f32_e32 v19, v19
	s_waitcnt lgkmcnt(0)
	v_mfma_f32_16x16x16_bf16 a[0:3], v[48:49], v[32:33], a[0:3]
	v_mul_f32_e32 v24, 0x3fb8aa3b, v26
	v_mul_f32_e32 v25, 0x3fb8aa3b, v27
	v_pk_mul_f32 v[46:47], v[0:1], v[18:19] op_sel_hi:[0,1]
	v_add_u32_e32 v18, v50, v35
	v_exp_f32_e32 v24, v24
	v_exp_f32_e32 v25, v25
	v_add_u32_e32 v50, v52, v35
	v_accvgpr_read_b32 v27, a3
	v_accvgpr_read_b32 v26, a2
	v_mfma_f32_16x16x16_bf16 a[2:5], v[48:49], v[36:37], a[4:7]
	ds_read_b64 v[48:49], v18 offset:16384
	v_accvgpr_read_b32 v19, a1
	v_accvgpr_read_b32 v18, a0
	v_pk_fma_f32 v[18:19], v[2:3], v[46:47], v[18:19]
	v_add_u32_e32 v2, v51, v35
	s_waitcnt lgkmcnt(0)
	v_mfma_f32_16x16x16_bf16 a[6:9], v[48:49], v[20:21], 0
	v_add_u32_e32 v35, v54, v35
	ds_read_b64 v[2:3], v2 offset:16384
	ds_read_b64 v[50:51], v50 offset:16384
	;; [unrolled: 1-line block ×3, first 2 shown]
	v_pk_mul_f32 v[24:25], v[0:1], v[24:25] op_sel_hi:[0,1]
	v_pk_fma_f32 v[20:21], v[4:5], v[24:25], v[26:27]
	v_accvgpr_read_b32 v4, a2
	v_mfma_f32_16x16x16_bf16 a[10:13], v[48:49], v[22:23], 0
	v_fma_f32 v26, v10, v46, v4
	v_accvgpr_read_b32 v4, a3
	v_fma_f32 v27, v11, v47, v4
	s_waitcnt lgkmcnt(2)
	v_mfma_f32_16x16x16_bf16 a[0:3], v[2:3], v[28:29], a[6:9]
	v_accvgpr_read_b32 v4, a4
	v_accvgpr_read_b32 v29, a5
	v_fma_f32 v28, v12, v24, v4
	v_mfma_f32_16x16x16_bf16 a[4:7], v[2:3], v[38:39], a[10:13]
	s_waitcnt vmcnt(0)
	v_mov_b32_e32 v2, v43
	v_mov_b32_e32 v3, v44
	;; [unrolled: 1-line block ×3, first 2 shown]
	s_waitcnt lgkmcnt(1)
	v_mfma_f32_16x16x16_bf16 a[0:3], v[50:51], v[30:31], a[0:3]
	v_mul_f32_e32 v2, 0x3fb8aa3b, v2
	v_mul_f32_e32 v5, 0x3fb8aa3b, v42
	v_exp_f32_e32 v11, v2
	v_mfma_f32_16x16x16_bf16 a[4:7], v[50:51], v[40:41], a[4:7]
	v_mul_f32_e32 v2, 0x3fb8aa3b, v3
	v_mul_f32_e32 v3, 0x3fb8aa3b, v4
	v_exp_f32_e32 v10, v5
	s_waitcnt lgkmcnt(0)
	v_mfma_f32_16x16x16_bf16 a[0:3], v[52:53], v[32:33], a[0:3]
	v_exp_f32_e32 v2, v2
	v_exp_f32_e32 v3, v3
	v_pk_mul_f32 v[10:11], v[0:1], v[10:11] op_sel_hi:[0,1]
	v_fmac_f32_e32 v29, v13, v25
	v_mov_b32_e32 v35, v34
	v_pk_mul_f32 v[2:3], v[0:1], v[2:3] op_sel_hi:[0,1]
	s_nop 0
	v_accvgpr_read_b32 v5, a3
	v_accvgpr_read_b32 v4, a2
	v_mfma_f32_16x16x16_bf16 a[2:5], v[52:53], v[36:37], a[4:7]
	v_accvgpr_read_b32 v13, a1
	v_accvgpr_read_b32 v12, a0
	v_pk_fma_f32 v[22:23], v[6:7], v[10:11], v[12:13]
	v_pk_fma_f32 v[24:25], v[8:9], v[2:3], v[4:5]
	s_nop 2
	v_accvgpr_read_b32 v0, a2
	v_fma_f32 v30, v14, v10, v0
	v_accvgpr_read_b32 v0, a3
	v_fma_f32 v31, v15, v11, v0
	v_accvgpr_read_b32 v0, a4
	v_accvgpr_read_b32 v33, a5
	v_fma_f32 v32, v16, v2, v0
	v_fmac_f32_e32 v33, v17, v3
	v_mov_b64_e32 v[2:3], v[18:19]
	v_mov_b64_e32 v[4:5], v[20:21]
	;; [unrolled: 1-line block ×8, first 2 shown]
.LBB334_86:
	s_lshl_b64 s[0:1], s[24:25], 15
	s_waitcnt lgkmcnt(0)
	s_add_u32 s0, s28, s0
	v_lshlrev_b32_e32 v18, 7, v35
	s_addc_u32 s1, s29, s1
	v_ashrrev_i32_e32 v19, 31, v18
	v_lshl_add_u64 v[20:21], v[18:19], 1, s[0:1]
	v_lshlrev_b32_e32 v0, 1, v1
	v_mov_b32_e32 v1, 0
	s_mov_b32 s2, 0x7060302
	v_lshl_add_u64 v[20:21], v[20:21], 0, v[0:1]
	v_perm_b32 v5, v5, v4, s2
	v_perm_b32 v4, v3, v2, s2
	;; [unrolled: 1-line block ×4, first 2 shown]
	global_store_dwordx2 v[20:21], v[2:3], off offset:128
	v_or_b32_e32 v2, 0x800, v18
	v_ashrrev_i32_e32 v3, 31, v2
	v_lshl_add_u64 v[2:3], v[2:3], 1, s[0:1]
	v_lshl_add_u64 v[0:1], v[2:3], 0, v[0:1]
	v_perm_b32 v3, v13, v12, s2
	v_perm_b32 v2, v11, v10, s2
	global_store_dwordx2 v[0:1], v[2:3], off
	v_perm_b32 v3, v17, v16, s2
	v_perm_b32 v2, v15, v14, s2
	global_store_dwordx2 v[20:21], v[4:5], off
	global_store_dwordx2 v[0:1], v[2:3], off offset:128
	s_endpgm
	.section	.rodata,"a",@progbits
	.p2align	6, 0x0
	.amdhsa_kernel _ZN12_GLOBAL__N_139chunk_gated_delta_rule_fwd_h_hip_kernelILi32ELb0ELb1ELb0ELb0ELb0ELb1ELb1ELb1EEEvPK12hip_bfloat16S3_S3_PKfS5_PKvPS1_S8_PvPKiSB_iiiiilll
		.amdhsa_group_segment_fixed_size 49152
		.amdhsa_private_segment_fixed_size 0
		.amdhsa_kernarg_size 136
		.amdhsa_user_sgpr_count 2
		.amdhsa_user_sgpr_dispatch_ptr 0
		.amdhsa_user_sgpr_queue_ptr 0
		.amdhsa_user_sgpr_kernarg_segment_ptr 1
		.amdhsa_user_sgpr_dispatch_id 0
		.amdhsa_user_sgpr_kernarg_preload_length 0
		.amdhsa_user_sgpr_kernarg_preload_offset 0
		.amdhsa_user_sgpr_private_segment_size 0
		.amdhsa_uses_dynamic_stack 0
		.amdhsa_enable_private_segment 0
		.amdhsa_system_sgpr_workgroup_id_x 1
		.amdhsa_system_sgpr_workgroup_id_y 1
		.amdhsa_system_sgpr_workgroup_id_z 0
		.amdhsa_system_sgpr_workgroup_info 0
		.amdhsa_system_vgpr_workitem_id 0
		.amdhsa_next_free_vgpr 164
		.amdhsa_next_free_sgpr 67
		.amdhsa_accum_offset 140
		.amdhsa_reserve_vcc 1
		.amdhsa_float_round_mode_32 0
		.amdhsa_float_round_mode_16_64 0
		.amdhsa_float_denorm_mode_32 3
		.amdhsa_float_denorm_mode_16_64 3
		.amdhsa_dx10_clamp 1
		.amdhsa_ieee_mode 1
		.amdhsa_fp16_overflow 0
		.amdhsa_tg_split 0
		.amdhsa_exception_fp_ieee_invalid_op 0
		.amdhsa_exception_fp_denorm_src 0
		.amdhsa_exception_fp_ieee_div_zero 0
		.amdhsa_exception_fp_ieee_overflow 0
		.amdhsa_exception_fp_ieee_underflow 0
		.amdhsa_exception_fp_ieee_inexact 0
		.amdhsa_exception_int_div_zero 0
	.end_amdhsa_kernel
	.section	.text._ZN12_GLOBAL__N_139chunk_gated_delta_rule_fwd_h_hip_kernelILi32ELb0ELb1ELb0ELb0ELb0ELb1ELb1ELb1EEEvPK12hip_bfloat16S3_S3_PKfS5_PKvPS1_S8_PvPKiSB_iiiiilll,"axG",@progbits,_ZN12_GLOBAL__N_139chunk_gated_delta_rule_fwd_h_hip_kernelILi32ELb0ELb1ELb0ELb0ELb0ELb1ELb1ELb1EEEvPK12hip_bfloat16S3_S3_PKfS5_PKvPS1_S8_PvPKiSB_iiiiilll,comdat
.Lfunc_end334:
	.size	_ZN12_GLOBAL__N_139chunk_gated_delta_rule_fwd_h_hip_kernelILi32ELb0ELb1ELb0ELb0ELb0ELb1ELb1ELb1EEEvPK12hip_bfloat16S3_S3_PKfS5_PKvPS1_S8_PvPKiSB_iiiiilll, .Lfunc_end334-_ZN12_GLOBAL__N_139chunk_gated_delta_rule_fwd_h_hip_kernelILi32ELb0ELb1ELb0ELb0ELb0ELb1ELb1ELb1EEEvPK12hip_bfloat16S3_S3_PKfS5_PKvPS1_S8_PvPKiSB_iiiiilll
                                        ; -- End function
	.section	.AMDGPU.csdata,"",@progbits
; Kernel info:
; codeLenInByte = 9960
; NumSgprs: 73
; NumVgprs: 140
; NumAgprs: 24
; TotalNumVgprs: 164
; ScratchSize: 0
; MemoryBound: 0
; FloatMode: 240
; IeeeMode: 1
; LDSByteSize: 49152 bytes/workgroup (compile time only)
; SGPRBlocks: 9
; VGPRBlocks: 20
; NumSGPRsForWavesPerEU: 73
; NumVGPRsForWavesPerEU: 164
; AccumOffset: 140
; Occupancy: 1
; WaveLimiterHint : 1
; COMPUTE_PGM_RSRC2:SCRATCH_EN: 0
; COMPUTE_PGM_RSRC2:USER_SGPR: 2
; COMPUTE_PGM_RSRC2:TRAP_HANDLER: 0
; COMPUTE_PGM_RSRC2:TGID_X_EN: 1
; COMPUTE_PGM_RSRC2:TGID_Y_EN: 1
; COMPUTE_PGM_RSRC2:TGID_Z_EN: 0
; COMPUTE_PGM_RSRC2:TIDIG_COMP_CNT: 0
; COMPUTE_PGM_RSRC3_GFX90A:ACCUM_OFFSET: 34
; COMPUTE_PGM_RSRC3_GFX90A:TG_SPLIT: 0
	.section	.text._ZN12_GLOBAL__N_139chunk_gated_delta_rule_fwd_h_hip_kernelILi32ELb0ELb0ELb1ELb0ELb0ELb1ELb1ELb1EEEvPK12hip_bfloat16S3_S3_PKfS5_PKvPS1_S8_PvPKiSB_iiiiilll,"axG",@progbits,_ZN12_GLOBAL__N_139chunk_gated_delta_rule_fwd_h_hip_kernelILi32ELb0ELb0ELb1ELb0ELb0ELb1ELb1ELb1EEEvPK12hip_bfloat16S3_S3_PKfS5_PKvPS1_S8_PvPKiSB_iiiiilll,comdat
	.globl	_ZN12_GLOBAL__N_139chunk_gated_delta_rule_fwd_h_hip_kernelILi32ELb0ELb0ELb1ELb0ELb0ELb1ELb1ELb1EEEvPK12hip_bfloat16S3_S3_PKfS5_PKvPS1_S8_PvPKiSB_iiiiilll ; -- Begin function _ZN12_GLOBAL__N_139chunk_gated_delta_rule_fwd_h_hip_kernelILi32ELb0ELb0ELb1ELb0ELb0ELb1ELb1ELb1EEEvPK12hip_bfloat16S3_S3_PKfS5_PKvPS1_S8_PvPKiSB_iiiiilll
	.p2align	8
	.type	_ZN12_GLOBAL__N_139chunk_gated_delta_rule_fwd_h_hip_kernelILi32ELb0ELb0ELb1ELb0ELb0ELb1ELb1ELb1EEEvPK12hip_bfloat16S3_S3_PKfS5_PKvPS1_S8_PvPKiSB_iiiiilll,@function
_ZN12_GLOBAL__N_139chunk_gated_delta_rule_fwd_h_hip_kernelILi32ELb0ELb0ELb1ELb0ELb0ELb1ELb1ELb1EEEvPK12hip_bfloat16S3_S3_PKfS5_PKvPS1_S8_PvPKiSB_iiiiilll: ; @_ZN12_GLOBAL__N_139chunk_gated_delta_rule_fwd_h_hip_kernelILi32ELb0ELb0ELb1ELb0ELb0ELb1ELb1ELb1EEEvPK12hip_bfloat16S3_S3_PKfS5_PKvPS1_S8_PvPKiSB_iiiiilll
; %bb.0:
	s_load_dwordx4 s[16:19], s[0:1], 0x5c
	s_load_dwordx4 s[12:15], s[0:1], 0x30
	s_abs_i32 s22, s3
	s_ashr_i32 s21, s3, 31
	s_load_dwordx8 s[4:11], s[0:1], 0x0
	s_waitcnt lgkmcnt(0)
	s_abs_i32 s20, s17
	v_cvt_f32_u32_e32 v1, s20
	s_sub_i32 s24, 0, s20
	s_ashr_i32 s23, s17, 31
	s_xor_b32 s21, s21, s23
	v_rcp_iflag_f32_e32 v1, v1
	v_lshrrev_b32_e32 v63, 6, v0
	v_bfe_u32 v64, v0, 4, 2
	v_lshlrev_b32_e32 v2, 2, v64
	v_mul_f32_e32 v1, 0x4f7ffffe, v1
	v_cvt_u32_f32_e32 v1, v1
	v_and_b32_e32 v62, 63, v0
	v_mov_b32_e32 v5, 0
	v_and_b32_e32 v45, 15, v0
	v_readfirstlane_b32 s25, v1
	s_mul_i32 s24, s24, s25
	s_mul_hi_u32 s24, s25, s24
	s_add_i32 s25, s25, s24
	s_mul_hi_u32 s24, s22, s25
	s_mul_i32 s25, s24, s20
	s_sub_i32 s22, s22, s25
	s_add_i32 s26, s24, 1
	s_sub_i32 s25, s22, s20
	s_cmp_ge_u32 s22, s20
	s_cselect_b32 s24, s26, s24
	s_cselect_b32 s22, s25, s22
	s_add_i32 s25, s24, 1
	s_cmp_ge_u32 s22, s20
	s_cselect_b32 s22, s25, s24
	s_abs_i32 s24, s18
	v_cvt_f32_u32_e32 v1, s24
	s_xor_b32 s22, s22, s21
	s_ashr_i32 s48, s16, 31
	s_sub_i32 s50, s22, s21
	v_rcp_iflag_f32_e32 v1, v1
	s_lshr_b32 s21, s48, 26
	s_add_i32 s21, s16, s21
	s_ashr_i32 s51, s18, 31
	v_mul_f32_e32 v1, 0x4f7ffffe, v1
	v_cvt_u32_f32_e32 v1, v1
	s_ashr_i32 s49, s21, 6
	s_xor_b32 s21, s23, s51
	s_sub_i32 s22, 0, s24
	v_readfirstlane_b32 s23, v1
	s_mul_i32 s22, s22, s23
	s_mul_hi_u32 s22, s23, s22
	s_add_i32 s23, s23, s22
	s_mul_hi_u32 s22, s20, s23
	s_mul_i32 s23, s22, s24
	s_mul_i32 s47, s50, s17
	s_sub_i32 s20, s20, s23
	s_sub_i32 s33, s3, s47
	s_add_i32 s3, s16, 63
	s_add_i32 s23, s22, 1
	s_sub_i32 s25, s20, s24
	s_cmp_ge_u32 s20, s24
	s_cselect_b32 s22, s23, s22
	s_cselect_b32 s20, s25, s20
	s_add_i32 s23, s22, 1
	s_cmp_ge_u32 s20, s24
	s_cselect_b32 s20, s23, s22
	s_xor_b32 s20, s20, s21
	s_sub_i32 s24, s20, s21
	s_abs_i32 s25, s24
	v_cvt_f32_u32_e32 v1, s25
	s_sub_i32 s27, 0, s25
	s_abs_i32 s26, s33
	s_xor_b32 s24, s33, s24
	v_rcp_iflag_f32_e32 v1, v1
	s_ashr_i32 s24, s24, 31
	s_load_dwordx2 s[34:35], s[0:1], 0x80
	s_load_dwordx4 s[20:23], s[0:1], 0x70
	s_mul_hi_i32 s53, s50, s17
	v_mul_f32_e32 v1, 0x4f7ffffe, v1
	v_cvt_u32_f32_e32 v1, v1
	v_lshrrev_b32_e32 v66, 3, v62
	v_lshlrev_b32_e32 v65, 3, v0
	s_waitcnt lgkmcnt(0)
	s_mul_i32 s21, s50, s21
	v_readfirstlane_b32 s28, v1
	s_mul_i32 s27, s27, s28
	s_mul_hi_u32 s27, s28, s27
	s_add_i32 s28, s28, s27
	s_mul_hi_u32 s27, s26, s28
	s_mul_i32 s28, s27, s25
	s_sub_i32 s26, s26, s28
	s_add_i32 s28, s27, 1
	s_sub_i32 s29, s26, s25
	s_cmp_ge_u32 s26, s25
	s_cselect_b32 s27, s28, s27
	s_cselect_b32 s26, s29, s26
	s_add_i32 s28, s27, 1
	s_cmp_ge_u32 s26, s25
	s_cselect_b32 s25, s28, s27
	s_xor_b32 s25, s25, s24
	s_sub_i32 s54, s25, s24
	s_ashr_i32 s24, s3, 31
	s_lshr_b32 s24, s24, 26
	v_lshlrev_b32_e32 v1, 4, v63
	s_add_i32 s3, s3, s24
	v_or_b32_e32 v67, v2, v1
	s_ashr_i32 s3, s3, 6
	s_lshl_b32 s36, s2, 5
	s_mul_i32 s52, s50, s3
	v_or_b32_e32 v68, 64, v67
	s_cmp_lt_i32 s16, 64
	s_mul_hi_u32 s46, s50, s20
	s_mul_i32 s38, s50, s20
	v_mov_b32_e32 v85, 0
	v_mov_b32_e32 v83, 0
	;; [unrolled: 1-line block ×15, first 2 shown]
	s_cbranch_scc1 .LBB335_18
; %bb.1:
	s_ashr_i32 s28, s50, 31
	s_ashr_i32 s56, s33, 31
	s_add_u32 s2, s47, s33
	s_addc_u32 s3, s53, s56
	s_mul_i32 s3, s16, s3
	s_mul_hi_u32 s24, s16, s2
	s_add_i32 s41, s24, s3
	s_mul_i32 s40, s16, s2
	s_lshl_b64 s[2:3], s[40:41], 8
	v_and_b32_e32 v70, 56, v65
	s_add_u32 s24, s6, s2
	v_lshl_or_b32 v69, v63, 3, v66
	v_lshlrev_b32_e32 v3, 1, v70
	s_addc_u32 s2, s7, s3
	v_lshl_or_b32 v71, v69, 8, v3
	s_and_b32 s25, s2, 0xffff
	s_mov_b32 s27, 0x20000
	s_movk_i32 s26, 0x4000
	s_movk_i32 s2, 0x80
	v_or_b32_e32 v72, 0x2000, v71
	buffer_load_dwordx4 v[4:7], v71, s[24:27], 0 offen
	buffer_load_dwordx4 v[8:11], v71, s[24:27], s2 offen
	;; [unrolled: 1-line block ×4, first 2 shown]
	v_lshlrev_b32_e32 v20, 3, v69
	v_and_or_b32 v22, v0, 7, v20
	v_and_b32_e32 v20, 0x78, v20
	v_lshlrev_b32_e32 v22, 4, v22
	v_xor_b32_e32 v73, v22, v20
	v_mul_lo_u32 v21, v69, s19
	v_or_b32_e32 v74, 0x1000, v73
	s_cmpk_eq_i32 s19, 0x80
	s_mov_b32 s55, s18
	v_xor_b32_e32 v20, 8, v73
	v_xor_b32_e32 v22, 8, v74
	s_cselect_b64 s[2:3], -1, 0
	s_cmpk_lg_i32 s19, 0x80
	s_waitcnt vmcnt(3)
	ds_write_b64 v73, v[4:5] offset:24576
	ds_write_b64 v20, v[6:7] offset:24576
	s_waitcnt vmcnt(2)
	ds_write_b64 v73, v[8:9] offset:32768
	ds_write_b64 v20, v[10:11] offset:32768
	;; [unrolled: 3-line block ×4, first 2 shown]
	v_lshl_add_u32 v4, v21, 1, v70
	s_cbranch_scc0 .LBB335_3
; %bb.2:
	v_lshlrev_b32_e32 v6, 1, v4
	v_add_lshl_u32 v5, v4, s19, 1
	s_lshl_b32 s26, s19, 7
	s_load_dwordx2 s[42:43], s[0:1], 0x20
	v_lshl_or_b32 v3, v69, 9, v3
	s_cbranch_execz .LBB335_4
	s_branch .LBB335_5
.LBB335_3:
                                        ; implicit-def: $vgpr5
                                        ; implicit-def: $vgpr6
                                        ; implicit-def: $sgpr26
	s_load_dwordx2 s[42:43], s[0:1], 0x20
	v_lshl_or_b32 v3, v69, 9, v3
.LBB335_4:
	v_or_b32_e32 v5, 0x100, v3
	s_movk_i32 s26, 0x4000
	v_mov_b32_e32 v6, v3
.LBB335_5:
	s_mul_hi_u32 s0, s18, s16
	s_mul_i32 s1, s51, s16
	s_add_i32 s0, s0, s1
	s_mul_i32 s1, s18, s16
	s_mul_i32 s24, s1, s28
	s_mul_hi_u32 s25, s1, s50
	s_add_i32 s24, s25, s24
	s_mul_i32 s0, s0, s50
	s_add_i32 s24, s24, s0
	s_mul_i32 s1, s1, s50
	s_ashr_i32 s57, s54, 31
	s_add_u32 s0, s1, s54
	s_addc_u32 s1, s24, s57
	s_lshl_b64 s[0:1], s[0:1], 8
	s_add_u32 s24, s4, s0
	s_addc_u32 s0, s5, s1
	s_and_b32 s25, s0, 0xffff
	s_movk_i32 s58, 0x80
	buffer_load_dwordx4 v[8:11], v6, s[24:27], 0 offen
	buffer_load_dwordx4 v[12:15], v6, s[24:27], s58 offen
	;; [unrolled: 1-line block ×4, first 2 shown]
	v_and_b32_e32 v5, 6, v0
	v_lshlrev_b32_e32 v24, 6, v67
	v_or_b32_e32 v26, 16, v45
	v_xor_b32_e32 v27, v69, v5
	v_and_b32_e32 v6, 1, v0
	s_mul_i32 s0, s28, s16
	s_mul_hi_u32 s1, s50, s16
	v_lshl_or_b32 v30, v45, 3, v24
	v_lshl_or_b32 v24, v26, 3, v24
	v_lshlrev_b32_e32 v27, 2, v27
	v_lshlrev_b32_e32 v7, 2, v45
	v_or_b32_e32 v77, 0xa000, v24
	v_or_b32_e32 v78, 0xb000, v24
	v_xor_b32_e32 v24, 0x440, v27
	v_cmp_eq_u32_e32 vcc, 0, v6
	s_add_i32 s63, s1, s0
	s_add_i32 s0, s46, s21
	s_mul_i32 s28, s28, s20
	v_xor_b32_e32 v28, v67, v7
	v_xor_b32_e32 v29, v68, v7
	v_cndmask_b32_e32 v6, v24, v27, vcc
	s_add_i32 s39, s0, s28
	s_mul_i32 s0, s33, s23
	s_mul_hi_u32 s1, s33, s22
	s_mov_b32 s61, 0x1000504
	v_lshlrev_b32_e32 v25, 8, v45
	v_lshlrev_b32_e32 v28, 1, v28
	;; [unrolled: 1-line block ×3, first 2 shown]
	v_lshl_or_b32 v5, v5, 10, v6
	s_add_i32 s0, s1, s0
	s_mul_i32 s1, s56, s22
	s_mov_b32 s62, 0x3020706
	v_or_b32_e32 v75, 0xa000, v30
	v_or_b32_e32 v76, 0xb000, v30
	v_or_b32_e32 v79, v25, v28
	v_or_b32_e32 v80, v25, v29
	v_xor_b32_e32 v6, 8, v5
	v_xor_b32_e32 v25, 24, v5
	;; [unrolled: 1-line block ×4, first 2 shown]
	s_add_i32 s1, s0, s1
	s_lshl_b64 s[24:25], s[38:39], 2
	v_xor_b32_e32 v24, 16, v5
	v_xor_b32_e32 v27, 32, v5
	;; [unrolled: 1-line block ×3, first 2 shown]
	v_add_u32_e32 v6, 0x80, v6
	v_add_u32_e32 v25, 0x80, v25
	;; [unrolled: 1-line block ×4, first 2 shown]
	s_mul_i32 s0, s33, s22
	s_add_u32 s24, s10, s24
	s_addc_u32 s25, s11, s25
	s_lshl_b64 s[0:1], s[0:1], 2
	s_add_u32 s44, s24, s0
	s_movk_i32 s0, 0xf8
	s_addc_u32 s45, s25, s1
	s_ashr_i32 s37, s36, 31
	s_lshl_b32 s30, s19, 7
	s_movk_i32 s24, 0x100
	v_mov_b32_e32 v55, 0
	v_lshlrev_b32_e32 v54, 4, v45
	v_cmp_gt_u32_e32 vcc, s24, v0
	s_mul_i32 s59, s50, s16
	s_mov_b32 s60, 0
	s_movk_i32 s39, 0x1000
	s_movk_i32 s26, 0x4000
	v_add_u32_e32 v102, v1, v2
	s_mov_b32 s64, 0x7060302
	v_mov_b32_e32 v113, 0x3fb8aa3b
	s_mov_b32 s66, 0
	v_mov_b32_e32 v50, v55
	v_mov_b32_e32 v51, v55
	v_mov_b32_e32 v52, v55
	v_mov_b32_e32 v53, v55
	v_mov_b32_e32 v46, v55
	v_mov_b32_e32 v47, v55
	v_mov_b32_e32 v48, v55
	v_mov_b32_e32 v49, v55
	s_waitcnt vmcnt(1)
	v_perm_b32 v33, v8, v16, s61
	s_waitcnt vmcnt(0)
	v_perm_b32 v34, v12, v20, s61
	v_perm_b32 v8, v8, v16, s62
	v_perm_b32 v12, v12, v20, s62
	v_perm_b32 v16, v9, v17, s61
	v_perm_b32 v20, v13, v21, s61
	v_perm_b32 v9, v9, v17, s62
	v_perm_b32 v13, v13, v21, s62
	v_perm_b32 v17, v10, v18, s61
	v_perm_b32 v21, v14, v22, s61
	v_perm_b32 v10, v10, v18, s62
	v_perm_b32 v14, v14, v22, s62
	v_perm_b32 v18, v11, v19, s61
	v_perm_b32 v22, v15, v23, s61
	v_perm_b32 v11, v11, v19, s62
	v_perm_b32 v15, v15, v23, s62
	ds_write2st64_b32 v5, v33, v34 offset0:32 offset1:64
	ds_write2st64_b32 v6, v8, v12 offset0:32 offset1:64
	;; [unrolled: 1-line block ×8, first 2 shown]
	v_lshlrev_b32_e32 v5, 8, v26
	v_or_b32_e32 v81, v5, v28
	v_or_b32_e32 v82, v5, v29
	;; [unrolled: 1-line block ×3, first 2 shown]
	v_lshlrev_b32_e32 v5, 3, v5
	v_lshrrev_b32_e32 v8, 5, v62
	v_and_or_b32 v8, v5, s0, v8
	v_lshrrev_b32_e32 v6, 2, v62
	v_lshlrev_b32_e32 v11, 11, v63
	v_lshlrev_b32_e32 v8, 4, v8
	v_and_b32_e32 v5, 0x78, v5
	v_and_b32_e32 v9, 12, v6
	;; [unrolled: 1-line block ×3, first 2 shown]
	v_xor_b32_e32 v10, v8, v5
	v_lshrrev_b32_e32 v12, 1, v62
	v_or_b32_e32 v10, v10, v6
	v_and_b32_e32 v12, 8, v12
	v_xor_b32_e32 v89, v10, v12
	v_or_b32_e32 v10, 32, v8
	v_xor_b32_e32 v10, v10, v5
	v_or_b32_e32 v10, v10, v6
	;; [unrolled: 2-line block ×3, first 2 shown]
	v_or_b32_e32 v8, 0x60, v8
	v_xor_b32_e32 v10, v10, v5
	v_xor_b32_e32 v5, v8, v5
	s_lshl_b64 s[0:1], s[36:37], 8
	v_or_b32_e32 v10, v10, v6
	v_or_b32_e32 v5, v5, v6
	v_lshlrev_b32_e32 v14, 1, v4
	v_add_lshl_u32 v15, v4, s19, 1
	s_add_u32 s0, s12, s0
	v_lshlrev_b32_e32 v4, 1, v45
	v_xor_b32_e32 v93, v10, v12
	v_xor_b32_e32 v94, v5, v12
	v_lshrrev_b32_e32 v10, 4, v0
	s_addc_u32 s1, s13, s1
	v_or_b32_e32 v5, 1, v4
	v_mov_b32_e32 v20, 0x4000
	v_mov_b32_e32 v21, 0x2000
	v_lshrrev_b32_e32 v22, 1, v0
	v_xor_b32_e32 v12, v10, v4
	v_xor_b32_e32 v17, v5, v10
	v_lshl_add_u64 v[4:5], s[0:1], 0, v[54:55]
	v_lshlrev_b32_e32 v54, 8, v10
	v_cndmask_b32_e32 v20, v20, v21, vcc
	v_lshlrev_b32_e32 v21, 3, v63
	v_and_b32_e32 v22, 24, v22
	v_lshl_or_b32 v97, v12, 3, v54
	v_and_b32_e32 v12, 8, v0
	v_xor_b32_e32 v23, v21, v22
	v_or_b32_e32 v24, 0x440, v23
	v_cmp_eq_u32_e32 vcc, 0, v12
	v_and_b32_e32 v10, 7, v0
	v_lshlrev_b32_e32 v13, 7, v64
	v_cndmask_b32_e32 v12, v24, v23, vcc
	v_lshl_or_b32 v98, v17, 3, v54
	v_lshlrev_b32_e32 v17, 3, v10
	v_lshlrev_b32_e32 v19, 2, v0
	v_or_b32_e32 v12, v12, v11
	v_or_b32_e32 v7, v13, v7
	v_xor_b32_e32 v23, v12, v17
	v_and_or_b32 v12, v19, 60, v13
	v_mov_b32_e32 v13, 0xb000
	v_lshl_or_b32 v99, v12, 1, v13
	v_or_b32_e32 v12, 32, v22
	v_xor_b32_e32 v12, v21, v12
	v_or_b32_e32 v13, 0x440, v12
	v_cndmask_b32_e32 v12, v13, v12, vcc
	v_or_b32_e32 v12, v12, v11
	v_xor_b32_e32 v13, v12, v17
	v_or_b32_e32 v12, 64, v22
	v_xor_b32_e32 v12, v21, v12
	v_xor_b32_e32 v25, 0x440, v12
	v_cndmask_b32_e32 v12, v25, v12, vcc
	v_or_b32_e32 v12, v12, v11
	v_xor_b32_e32 v25, v12, v17
	v_or_b32_e32 v12, 0x60, v22
	v_xor_b32_e32 v12, v21, v12
	v_xor_b32_e32 v21, 0x440, v12
	v_cndmask_b32_e32 v12, v21, v12, vcc
	v_lshlrev_b32_e32 v7, 1, v7
	v_or_b32_e32 v6, s36, v45
	v_or_b32_e32 v11, v12, v11
	;; [unrolled: 1-line block ×6, first 2 shown]
	v_ashrrev_i32_e32 v7, 31, v6
	v_xor_b32_e32 v11, v11, v17
	v_lshlrev_b32_e32 v8, 7, v67
	v_or_b32_e32 v16, 0x100, v3
	v_lshlrev_b32_e32 v18, 7, v10
	v_or_b32_e32 v10, v9, v1
	v_add_u32_e32 v24, v20, v23
	v_add_u32_e32 v19, v20, v13
	;; [unrolled: 1-line block ×4, first 2 shown]
	v_or3_b32 v12, v1, v9, 64
	v_add_u32_e32 v9, 0x4000, v23
	v_add_u32_e32 v13, 0x4000, v13
	;; [unrolled: 1-line block ×4, first 2 shown]
	v_lshlrev_b64 v[6:7], 1, v[6:7]
	v_cndmask_b32_e64 v100, v14, v3, s[2:3]
	v_cndmask_b32_e64 v101, v15, v16, s[2:3]
	v_lshl_add_u64 v[56:57], s[8:9], 0, v[6:7]
	v_lshl_add_u64 v[58:59], s[14:15], 0, v[6:7]
	;; [unrolled: 1-line block ×3, first 2 shown]
	s_add_i32 s37, s59, 63
	v_lshlrev_b32_e32 v54, 1, v8
	v_lshlrev_b32_e32 v103, 2, v10
	v_add_u32_e32 v104, v24, v18
	v_add_u32_e32 v105, v19, v18
	;; [unrolled: 1-line block ×4, first 2 shown]
	v_lshlrev_b32_e32 v108, 2, v12
	v_add_u32_e32 v109, v9, v18
	v_add_u32_e32 v110, v13, v18
	;; [unrolled: 1-line block ×4, first 2 shown]
	v_mov_b32_e32 v87, v55
	v_mov_b32_e32 v86, v55
	;; [unrolled: 1-line block ×8, first 2 shown]
	s_waitcnt lgkmcnt(0)
	s_barrier
.LBB335_6:                              ; =>This Inner Loop Header: Depth=1
	s_add_i32 s65, s66, 1
	s_cmp_lt_i32 s65, s49
	s_mov_b64 s[28:29], 0
	s_cselect_b64 s[2:3], -1, 0
	s_cmp_ge_i32 s65, s49
	s_mov_b64 s[24:25], 0
	s_cbranch_scc1 .LBB335_8
; %bb.7:                                ;   in Loop: Header=BB335_6 Depth=1
	s_add_i32 s0, s60, 64
	s_add_u32 s0, s40, s0
	s_addc_u32 s1, s41, 0
	s_lshl_b64 s[0:1], s[0:1], 8
	s_add_u32 s24, s6, s0
	s_addc_u32 s25, s7, s1
.LBB335_8:                              ;   in Loop: Header=BB335_6 Depth=1
	v_cndmask_b32_e64 v2, 0, 1, s[2:3]
	v_cmp_ne_u32_e64 s[0:1], 1, v2
	s_andn2_b64 vcc, exec, s[2:3]
	s_cbranch_vccnz .LBB335_10
; %bb.9:                                ;   in Loop: Header=BB335_6 Depth=1
	s_add_i32 s2, s60, 64
	s_add_u32 s2, s59, s2
	s_addc_u32 s3, s63, 0
	s_mul_i32 s28, s2, s51
	s_mul_hi_u32 s29, s2, s55
	s_add_i32 s28, s29, s28
	s_mul_i32 s3, s3, s55
	s_add_i32 s28, s28, s3
	s_mul_i32 s2, s2, s55
	s_add_u32 s2, s2, s54
	s_addc_u32 s3, s28, s57
	s_lshl_b64 s[2:3], s[2:3], 8
	s_add_u32 s28, s4, s2
	s_addc_u32 s29, s5, s3
.LBB335_10:                             ;   in Loop: Header=BB335_6 Depth=1
	v_perm_b32 v3, v53, v52, s64
	v_perm_b32 v2, v51, v50, s64
	;; [unrolled: 1-line block ×4, first 2 shown]
	ds_write_b64 v75, v[2:3]
	ds_write_b64 v76, v[4:5]
	;; [unrolled: 1-line block ×4, first 2 shown]
	v_perm_b32 v3, v115, v88, s64
	v_perm_b32 v2, v86, v87, s64
	;; [unrolled: 1-line block ×4, first 2 shown]
	ds_write_b64 v77, v[2:3]
	ds_write_b64 v78, v[4:5]
	;; [unrolled: 1-line block ×4, first 2 shown]
	s_waitcnt lgkmcnt(0)
	s_barrier
	ds_read_b64 v[6:7], v89 offset:24576
	ds_read2_b64 v[2:5], v90 offset1:16
	ds_read_b64 v[10:11], v92 offset:3072
	ds_read_b64 v[12:13], v90 offset:3072
	;; [unrolled: 1-line block ×3, first 2 shown]
	s_waitcnt lgkmcnt(3)
	v_mfma_f32_16x16x16_bf16 a[0:3], v[6:7], v[2:3], 0
	s_add_i32 s2, s60, 63
	s_mul_i32 s3, s2, s35
	s_mul_hi_u32 s31, s2, s34
	v_mfma_f32_16x16x16_bf16 a[4:7], v[6:7], v[4:5], 0
	ds_read2st64_b64 v[2:5], v90 offset0:2 offset1:4
	ds_read2st64_b64 v[6:9], v92 offset0:2 offset1:4
	s_add_i32 s3, s31, s3
	s_waitcnt lgkmcnt(1)
	v_mfma_f32_16x16x16_bf16 a[0:3], v[14:15], v[2:3], a[0:3]
	s_mul_i32 s2, s2, s34
	s_lshl_b64 s[2:3], s[2:3], 2
	s_add_u32 s2, s44, s2
	s_waitcnt lgkmcnt(0)
	v_mfma_f32_16x16x16_bf16 a[4:7], v[14:15], v[6:7], a[4:7]
	ds_read_b64 v[2:3], v93 offset:24576
	ds_read_b64 v[6:7], v94 offset:24576
	s_addc_u32 s3, s45, s3
	s_and_b64 vcc, exec, s[0:1]
	s_waitcnt lgkmcnt(1)
	v_mfma_f32_16x16x16_bf16 a[0:3], v[2:3], v[4:5], a[0:3]
	v_mov_b32_e32 v118, 0
	v_mov_b32_e32 v117, 0
	;; [unrolled: 1-line block ×3, first 2 shown]
	v_mfma_f32_16x16x16_bf16 a[8:11], v[2:3], v[8:9], a[4:7]
	v_mov_b32_e32 v2, 0
	v_mov_b32_e32 v3, 0
	;; [unrolled: 1-line block ×3, first 2 shown]
	s_waitcnt lgkmcnt(0)
	v_mfma_f32_16x16x16_bf16 a[4:7], v[6:7], v[12:13], a[0:3]
	v_mov_b32_e32 v5, 0
	v_mov_b32_e32 v8, 0
	;; [unrolled: 1-line block ×3, first 2 shown]
	v_mfma_f32_16x16x16_bf16 a[0:3], v[6:7], v[10:11], a[8:11]
	v_mov_b32_e32 v6, 0
	v_mov_b32_e32 v7, 0
	;; [unrolled: 1-line block ×10, first 2 shown]
	s_cbranch_vccnz .LBB335_12
; %bb.11:                               ;   in Loop: Header=BB335_6 Depth=1
	s_and_b32 s25, s25, 0xffff
	buffer_load_dwordx4 v[14:17], v71, s[24:27], 0 offen
	buffer_load_dwordx4 v[10:13], v71, s[24:27], s58 offen
	;; [unrolled: 1-line block ×4, first 2 shown]
	v_mov_b32_e32 v117, v73
	v_mov_b32_e32 v116, v74
.LBB335_12:                             ;   in Loop: Header=BB335_6 Depth=1
	ds_read_b64 v[26:27], v89 offset:32768
	ds_read2_b64 v[18:21], v95 offset1:16
	ds_read_b64 v[28:29], v91 offset:32768
	ds_read_b64 v[30:31], v93 offset:32768
	;; [unrolled: 1-line block ×3, first 2 shown]
	v_add_u32_e32 v34, s60, v102
	s_waitcnt lgkmcnt(3)
	v_mfma_f32_16x16x16_bf16 a[4:7], v[26:27], v[18:19], a[4:7]
	v_ashrrev_i32_e32 v18, 31, v34
	ds_read2st64_b64 v[22:25], v95 offset0:2 offset1:4
	v_mfma_f32_16x16x16_bf16 a[0:3], v[26:27], v[20:21], a[0:3]
	v_mul_lo_u32 v20, v18, s34
	v_mul_lo_u32 v21, v34, s35
	v_mad_u64_u32 v[18:19], s[24:25], v34, s34, 0
	v_add3_u32 v19, v19, v21, v20
	v_add_u32_e32 v20, 1, v34
	v_ashrrev_i32_e32 v21, 31, v20
	v_mul_lo_u32 v26, v21, s34
	v_mul_lo_u32 v27, v20, s35
	v_mad_u64_u32 v[20:21], s[24:25], v20, s34, 0
	v_add3_u32 v21, v21, v27, v26
	v_add_u32_e32 v26, 2, v34
	v_ashrrev_i32_e32 v27, 31, v26
	v_mul_lo_u32 v35, v27, s34
	v_mul_lo_u32 v36, v26, s35
	v_mad_u64_u32 v[26:27], s[24:25], v26, s34, 0
	v_add_u32_e32 v34, 3, v34
	v_add3_u32 v27, v27, v36, v35
	v_ashrrev_i32_e32 v35, 31, v34
	v_mul_lo_u32 v36, v35, s34
	v_mul_lo_u32 v37, v34, s35
	v_mad_u64_u32 v[34:35], s[24:25], v34, s34, 0
	s_add_u32 s24, s40, s60
	s_addc_u32 s25, s41, 0
	s_lshl_b64 s[24:25], s[24:25], 8
	v_lshl_add_u64 v[18:19], v[18:19], 2, s[44:45]
	v_lshl_add_u64 v[20:21], v[20:21], 2, s[44:45]
	v_add3_u32 v35, v35, v37, v36
	v_lshl_add_u64 v[36:37], v[56:57], 0, s[24:25]
	v_lshl_add_u64 v[26:27], v[26:27], 2, s[44:45]
	;; [unrolled: 1-line block ×3, first 2 shown]
	global_load_dword v38, v[18:19], off
	global_load_ushort v39, v[36:37], off offset:256
	global_load_ushort v40, v[36:37], off
	v_lshl_add_u64 v[18:19], v[34:35], 2, s[44:45]
	global_load_dword v34, v[20:21], off
	global_load_dword v35, v[26:27], off
	global_load_dword v41, v[18:19], off
	ds_read2st64_b64 v[18:21], v96 offset0:2 offset1:4
	global_load_ushort v42, v[36:37], off offset:768
	global_load_ushort v43, v[36:37], off offset:512
	global_load_ushort v44, v[36:37], off offset:800
	global_load_ushort v119, v[36:37], off offset:544
	global_load_ushort v120, v[36:37], off offset:288
	s_nop 0
	global_load_ushort v36, v[36:37], off offset:32
	s_waitcnt lgkmcnt(1)
	v_mfma_f32_16x16x16_bf16 a[4:7], v[28:29], v[22:23], a[4:7]
	s_and_b64 vcc, exec, s[0:1]
	s_waitcnt vmcnt(10)
	v_lshlrev_b32_e32 v27, 16, v39
	s_waitcnt lgkmcnt(0)
	v_mfma_f32_16x16x16_bf16 a[0:3], v[28:29], v[18:19], a[0:3]
	s_waitcnt vmcnt(9)
	v_lshlrev_b32_e32 v26, 16, v40
	v_mfma_f32_16x16x16_bf16 a[4:7], v[30:31], v[24:25], a[4:7]
	v_mfma_f32_16x16x16_bf16 a[0:3], v[30:31], v[20:21], a[0:3]
	ds_read_b64 v[18:19], v95 offset:3072
	ds_read_b64 v[20:21], v96 offset:3072
	s_load_dword s2, s[2:3], 0x0
	s_waitcnt lgkmcnt(0)
	v_sub_f32_e32 v28, s2, v38
	v_mfma_f32_16x16x16_bf16 a[4:7], v[32:33], v[18:19], a[4:7]
	v_mul_f32_e32 v28, 0x3fb8aa3b, v28
	s_waitcnt vmcnt(8)
	v_sub_f32_e32 v29, s2, v34
	s_waitcnt vmcnt(7)
	v_sub_f32_e32 v30, s2, v35
	;; [unrolled: 2-line block ×3, first 2 shown]
	v_mfma_f32_16x16x16_bf16 a[0:3], v[32:33], v[20:21], a[0:3]
	v_lshl_add_u64 v[18:19], v[58:59], 0, s[24:25]
	v_lshl_add_u64 v[18:19], v[18:19], 0, v[54:55]
	v_accvgpr_read_b32 v25, a5
	v_accvgpr_read_b32 v24, a4
	v_pk_add_f32 v[24:25], v[26:27], v[24:25] neg_lo:[0,1] neg_hi:[0,1]
	v_exp_f32_e32 v26, v28
	v_mul_f32_e32 v27, 0x3fb8aa3b, v29
	v_mul_f32_e32 v28, 0x3fb8aa3b, v30
	;; [unrolled: 1-line block ×3, first 2 shown]
	v_exp_f32_e32 v27, v27
	v_exp_f32_e32 v28, v28
	;; [unrolled: 1-line block ×3, first 2 shown]
	v_accvgpr_read_b32 v21, a7
	v_accvgpr_read_b32 v20, a6
	s_waitcnt vmcnt(5)
	v_lshlrev_b32_e32 v31, 16, v42
	s_waitcnt vmcnt(4)
	v_lshlrev_b32_e32 v30, 16, v43
	v_pk_add_f32 v[20:21], v[30:31], v[20:21] neg_lo:[0,1] neg_hi:[0,1]
	global_store_short_d16_hi v[18:19], v24, off
	global_store_short_d16_hi v[18:19], v25, off offset:256
	global_store_short_d16_hi v[18:19], v20, off offset:512
	;; [unrolled: 1-line block ×3, first 2 shown]
	v_pk_mul_f32 v[24:25], v[26:27], v[24:25]
	v_pk_mul_f32 v[20:21], v[28:29], v[20:21]
	v_accvgpr_read_b32 v31, a1
	v_perm_b32 v21, v21, v20, s64
	v_perm_b32 v20, v25, v24, s64
	s_waitcnt vmcnt(5)
	v_lshlrev_b32_e32 v25, 16, v120
	s_waitcnt vmcnt(4)
	v_lshlrev_b32_e32 v24, 16, v36
	v_accvgpr_read_b32 v30, a0
	v_accvgpr_read_b32 v23, a3
	;; [unrolled: 1-line block ×3, first 2 shown]
	v_pk_add_f32 v[24:25], v[24:25], v[30:31] neg_lo:[0,1] neg_hi:[0,1]
	v_lshlrev_b32_e32 v31, 16, v44
	v_lshlrev_b32_e32 v30, 16, v119
	v_pk_add_f32 v[22:23], v[30:31], v[22:23] neg_lo:[0,1] neg_hi:[0,1]
	global_store_short_d16_hi v[18:19], v24, off offset:32
	global_store_short_d16_hi v[18:19], v25, off offset:288
	;; [unrolled: 1-line block ×4, first 2 shown]
	v_pk_mul_f32 v[18:19], v[26:27], v[24:25]
	v_pk_mul_f32 v[22:23], v[28:29], v[22:23]
	v_mov_b32_e32 v119, 0
	v_perm_b32 v23, v23, v22, s64
	v_perm_b32 v22, v19, v18, s64
	ds_write2_b64 v76, v[20:21], v[22:23] offset1:16
	v_mov_b32_e32 v18, 0
	v_mov_b32_e32 v19, 0
	;; [unrolled: 1-line block ×16, first 2 shown]
	s_cbranch_vccnz .LBB335_14
; %bb.13:                               ;   in Loop: Header=BB335_6 Depth=1
	s_and_b32 s29, s29, 0xffff
	s_mov_b32 s31, s27
	buffer_load_dwordx4 v[30:33], v100, s[28:31], 0 offen
	buffer_load_dwordx4 v[22:25], v100, s[28:31], s58 offen
	buffer_load_dwordx4 v[26:29], v101, s[28:31], 0 offen
	buffer_load_dwordx4 v[18:21], v101, s[28:31], s58 offen
	v_mov_b32_e32 v118, v70
	v_mov_b32_e32 v119, v69
.LBB335_14:                             ;   in Loop: Header=BB335_6 Depth=1
	s_waitcnt lgkmcnt(0)
	s_barrier
	ds_read_b64 v[38:39], v104
	ds_read_b64 v[124:125], v99
	ds_read_b64 v[126:127], v105
	ds_read_b64 v[128:129], v106
	ds_read_b64 v[136:137], v107
	ds_read_b64 v[138:139], v96 offset:3072
	ds_read2_b64 v[34:37], v95 offset0:16 offset1:128
	s_waitcnt lgkmcnt(5)
	v_mfma_f32_16x16x16_bf16 a[0:3], v[38:39], v[124:125], 0
	ds_read2st64_b64 v[40:43], v96 offset0:2 offset1:4
	s_add_i32 s3, s52, s66
	s_mul_hi_i32 s25, s3, s17
	s_waitcnt lgkmcnt(1)
	v_mfma_f32_16x16x16_bf16 a[4:7], v[38:39], v[34:35], 0
	ds_read_b64 v[38:39], v109
	s_mul_i32 s3, s3, s17
	s_add_u32 s24, s3, s33
	s_waitcnt lgkmcnt(1)
	v_mfma_f32_16x16x16_bf16 a[4:7], v[126:127], v[40:41], a[4:7]
	s_addc_u32 s25, s25, s56
	s_add_i32 s3, s37, s60
	s_lshl_b64 s[24:25], s[24:25], 15
	s_mul_hi_i32 s29, s3, s17
	s_mul_i32 s3, s3, s17
	s_add_u32 s28, s3, s33
	v_mfma_f32_16x16x16_bf16 a[8:11], v[128:129], v[42:43], a[4:7]
	s_addc_u32 s29, s29, s56
	ds_read2st64_b64 v[120:123], v95 offset0:4 offset1:6
	s_lshl_b64 s[28:29], s[28:29], 9
	s_waitcnt lgkmcnt(1)
	v_mfma_f32_16x16x16_bf16 a[4:7], v[38:39], v[124:125], 0
	s_add_u32 s28, s42, s28
	s_addc_u32 s29, s43, s29
	v_mfma_f32_16x16x16_bf16 a[0:3], v[126:127], v[36:37], a[0:3]
	ds_read_b64 v[126:127], v110
	ds_read_b64 v[134:135], v111
	;; [unrolled: 1-line block ×3, first 2 shown]
	v_mfma_f32_16x16x16_bf16 a[12:15], v[38:39], v[34:35], 0
	s_waitcnt lgkmcnt(2)
	v_mfma_f32_16x16x16_bf16 a[4:7], v[126:127], v[36:37], a[4:7]
	global_load_dwordx4 v[34:37], v108, s[28:29]
	v_mfma_f32_16x16x16_bf16 a[12:15], v[126:127], v[40:41], a[12:15]
	global_load_dwordx4 v[38:41], v103, s[28:29]
	ds_read2st64_b64 v[124:127], v97 offset1:8
	s_waitcnt lgkmcnt(0)
	v_mov_b32_e32 v132, v124
	v_mfma_f32_16x16x16_bf16 a[0:3], v[128:129], v[120:121], a[0:3]
	ds_read2st64_b64 v[128:131], v98 offset1:8
	v_mov_b32_e32 v133, v125
	v_mfma_f32_16x16x16_bf16 a[16:19], v[134:135], v[120:121], a[4:7]
	v_lshl_add_u64 v[120:121], v[60:61], 0, s[24:25]
	v_mfma_f32_16x16x16_bf16 a[20:23], v[134:135], v[42:43], a[12:15]
	v_add_co_u32_e32 v42, vcc, s39, v120
	s_waitcnt lgkmcnt(0)
	v_mov_b32_e32 v134, v128
	v_mfma_f32_16x16x16_bf16 a[4:7], v[136:137], v[122:123], a[0:3]
	v_mov_b32_e32 v135, v129
	v_mov_b32_e32 v128, v126
	;; [unrolled: 1-line block ×3, first 2 shown]
	v_mfma_f32_16x16x16_bf16 a[8:11], v[136:137], v[138:139], a[8:11]
	v_addc_co_u32_e32 v43, vcc, 0, v121, vcc
	global_store_dwordx4 v[42:43], v[128:131], off
	v_mfma_f32_16x16x16_bf16 a[12:15], v[140:141], v[122:123], a[16:19]
	s_and_b64 vcc, exec, s[0:1]
	global_store_dwordx4 v[120:121], v[132:135], off
	s_waitcnt vmcnt(3)
	v_mov_b32_e32 v44, v37
	v_mfma_f32_16x16x16_bf16 a[0:3], v[140:141], v[138:139], a[20:23]
	v_mov_b32_e32 v43, v36
	v_mov_b32_e32 v42, v35
	s_cbranch_vccnz .LBB335_16
; %bb.15:                               ;   in Loop: Header=BB335_6 Depth=1
	v_lshrrev_b32_e32 v35, 3, v118
	v_and_b32_e32 v35, 6, v35
	v_xor_b32_e32 v36, v35, v119
	v_lshlrev_b32_e32 v36, 2, v36
	v_and_b32_e32 v37, 8, v118
	v_xor_b32_e32 v118, 0x440, v36
	v_cmp_eq_u32_e32 vcc, 0, v37
	v_perm_b32 v37, v22, v18, s61
	s_nop 0
	v_cndmask_b32_e32 v36, v118, v36, vcc
	v_lshl_or_b32 v35, v35, 10, v36
	v_perm_b32 v36, v30, v26, s61
	s_barrier
	ds_write2st64_b32 v35, v36, v37 offset0:32 offset1:64
	v_xor_b32_e32 v36, 8, v35
	v_perm_b32 v26, v30, v26, s62
	v_perm_b32 v18, v22, v18, s62
	v_add_u32_e32 v22, 0x80, v36
	ds_write2st64_b32 v22, v26, v18 offset0:32 offset1:64
	v_xor_b32_e32 v18, 16, v35
	v_perm_b32 v22, v31, v27, s61
	v_perm_b32 v26, v23, v19, s61
	ds_write2st64_b32 v18, v22, v26 offset0:33 offset1:65
	v_xor_b32_e32 v18, 24, v35
	v_perm_b32 v22, v31, v27, s62
	v_perm_b32 v19, v23, v19, s62
	v_add_u32_e32 v18, 0x80, v18
	ds_write2st64_b32 v18, v22, v19 offset0:33 offset1:65
	v_xor_b32_e32 v18, 32, v35
	v_perm_b32 v19, v32, v28, s61
	v_perm_b32 v22, v24, v20, s61
	;; [unrolled: 9-line block ×3, first 2 shown]
	ds_write2st64_b32 v18, v19, v20 offset0:35 offset1:67
	v_xor_b32_e32 v18, 56, v35
	v_perm_b32 v19, v33, v29, s62
	v_perm_b32 v20, v25, v21, s62
	v_add_u32_e32 v18, 0x80, v18
	ds_write2st64_b32 v18, v19, v20 offset0:35 offset1:67
	ds_write_b64 v117, v[14:15] offset:24576
	v_xor_b32_e32 v14, 8, v117
	ds_write_b64 v14, v[16:17] offset:24576
	ds_write_b64 v117, v[10:11] offset:32768
	;; [unrolled: 1-line block ×4, first 2 shown]
	v_xor_b32_e32 v6, 8, v116
	ds_write_b64 v6, v[8:9] offset:24576
	ds_write_b64 v116, v[2:3] offset:32768
	;; [unrolled: 1-line block ×3, first 2 shown]
.LBB335_16:                             ;   in Loop: Header=BB335_6 Depth=1
	v_mul_f32_e32 v2, s2, v113
	v_exp_f32_e32 v18, v2
	s_waitcnt vmcnt(2)
	v_mul_f32_e32 v2, 0x3fb8aa3b, v38
	v_exp_f32_e32 v20, v2
	v_mul_f32_e32 v2, 0x3fb8aa3b, v39
	v_exp_f32_e32 v21, v2
	v_mul_f32_e32 v2, 0x3fb8aa3b, v40
	v_exp_f32_e32 v22, v2
	v_mul_f32_e32 v2, 0x3fb8aa3b, v41
	v_exp_f32_e32 v23, v2
	v_accvgpr_read_b32 v13, a7
	v_accvgpr_read_b32 v11, a5
	;; [unrolled: 1-line block ×4, first 2 shown]
	v_pk_mul_f32 v[20:21], v[18:19], v[20:21] op_sel_hi:[0,1]
	v_accvgpr_read_b32 v8, a10
	v_pk_fma_f32 v[50:51], v[50:51], v[20:21], v[10:11]
	v_pk_mul_f32 v[10:11], v[18:19], v[22:23] op_sel_hi:[0,1]
	v_accvgpr_read_b32 v12, a6
	v_accvgpr_read_b32 v7, a9
	v_fma_f32 v88, v88, v10, v8
	v_mul_f32_e32 v8, 0x3fb8aa3b, v43
	v_pk_fma_f32 v[52:53], v[52:53], v[10:11], v[12:13]
	v_fma_f32 v87, v87, v20, v6
	v_fma_f32 v86, v86, v21, v7
	v_mul_f32_e32 v6, 0x3fb8aa3b, v34
	v_mul_f32_e32 v7, 0x3fb8aa3b, v42
	v_exp_f32_e32 v12, v8
	v_mul_f32_e32 v8, 0x3fb8aa3b, v44
	v_exp_f32_e32 v6, v6
	v_exp_f32_e32 v7, v7
	;; [unrolled: 1-line block ×3, first 2 shown]
	v_accvgpr_read_b32 v9, a11
	v_accvgpr_read_b32 v17, a15
	;; [unrolled: 1-line block ×9, first 2 shown]
	v_fmac_f32_e32 v9, v115, v11
	v_pk_mul_f32 v[6:7], v[18:19], v[6:7] op_sel_hi:[0,1]
	v_pk_mul_f32 v[10:11], v[18:19], v[12:13] op_sel_hi:[0,1]
	s_add_i32 s60, s60, 64
	v_pk_fma_f32 v[46:47], v[46:47], v[6:7], v[14:15]
	v_pk_fma_f32 v[48:49], v[48:49], v[10:11], v[16:17]
	v_fma_f32 v84, v84, v6, v2
	v_fma_f32 v83, v83, v7, v3
	v_fma_f32 v85, v85, v10, v4
	s_cmp_eq_u32 s49, s65
	v_fmac_f32_e32 v5, v114, v11
	s_cbranch_scc1 .LBB335_18
; %bb.17:                               ;   in Loop: Header=BB335_6 Depth=1
	s_mov_b32 s66, s65
	v_mov_b32_e32 v115, v9
	v_mov_b32_e32 v114, v5
	s_branch .LBB335_6
.LBB335_18:
	s_lshl_b32 s42, s49, 6
	s_sub_i32 s43, s16, s42
	s_cmp_gt_i32 s43, 0
	s_cbranch_scc0 .LBB335_83
; %bb.19:
	s_ashr_i32 s39, s50, 31
	s_ashr_i32 s2, s42, 31
	s_cmpk_lg_i32 s19, 0x80
	s_cselect_b64 s[30:31], -1, 0
	s_and_b64 vcc, exec, s[30:31]
	s_cbranch_vccz .LBB335_21
; %bb.20:
	s_mul_i32 s1, s50, s16
	s_mul_hi_i32 s0, s50, s16
	s_add_u32 s1, s1, s42
	s_addc_u32 s0, s0, s2
	s_mul_i32 s3, s1, s51
	s_mul_hi_u32 s24, s1, s18
	s_add_i32 s3, s24, s3
	s_mul_i32 s0, s0, s18
	s_add_i32 s3, s3, s0
	s_mul_i32 s1, s1, s18
	s_ashr_i32 s0, s54, 31
	s_add_u32 s40, s1, s54
	s_addc_u32 s41, s3, s0
	s_cbranch_execz .LBB335_22
	s_branch .LBB335_23
.LBB335_21:
                                        ; implicit-def: $sgpr40_sgpr41
.LBB335_22:
	s_mul_hi_i32 s0, s50, s18
	s_mul_i32 s50, s50, s18
	s_ashr_i32 s1, s54, 31
	s_add_u32 s3, s50, s54
	s_addc_u32 s0, s0, s1
	s_mul_i32 s1, s3, s48
	s_mul_hi_u32 s18, s3, s16
	s_add_i32 s1, s18, s1
	s_mul_i32 s0, s0, s16
	s_add_i32 s1, s1, s0
	s_mul_i32 s3, s3, s16
	s_add_u32 s40, s3, s42
	s_addc_u32 s41, s1, s2
.LBB335_23:
	s_add_i32 s3, s52, s49
	s_ashr_i32 s18, s33, 31
	s_add_u32 s0, s47, s33
	s_addc_u32 s1, s53, s18
	s_mul_i32 s24, s0, s48
	s_mul_hi_u32 s25, s0, s16
	s_add_i32 s24, s25, s24
	s_mul_i32 s1, s1, s16
	s_add_i32 s24, s24, s1
	s_mul_i32 s0, s0, s16
	s_add_u32 s0, s0, s42
	v_lshlrev_b32_e32 v8, 5, v67
	v_lshlrev_b32_e32 v22, 2, v45
	s_addc_u32 s1, s24, s2
	s_mov_b32 s2, 0x7060302
	v_or_b32_e32 v11, v8, v22
	v_xor_b32_e32 v4, v67, v22
	v_perm_b32 v3, v53, v52, s2
	v_perm_b32 v2, v51, v50, s2
	;; [unrolled: 1-line block ×4, first 2 shown]
	v_lshlrev_b32_e32 v11, 1, v11
	s_lshl_b64 s[28:29], s[0:1], 8
	v_xor_b32_e32 v10, v68, v22
	ds_write2st64_b64 v11, v[2:3], v[6:7] offset0:80 offset1:88
	v_lshlrev_b32_e32 v11, 1, v4
	v_lshlrev_b32_e32 v4, 8, v45
	s_add_u32 s0, s6, s28
	v_or_b32_e32 v12, v11, v4
	v_lshlrev_b32_e32 v10, 1, v10
	s_addc_u32 s1, s7, s29
	ds_write_b64 v12, v[2:3]
	v_or_b32_e32 v2, v10, v4
	s_mul_hi_i32 s6, s3, s17
	s_mul_i32 s3, s3, s17
	ds_write_b64 v2, v[6:7]
	v_perm_b32 v3, v9, v88, s2
	v_perm_b32 v2, v86, v87, s2
	;; [unrolled: 1-line block ×4, first 2 shown]
	v_or_b32_e32 v6, 16, v45
	s_add_u32 s2, s3, s33
	v_lshlrev_b32_e32 v19, 2, v6
	s_addc_u32 s3, s6, s18
	v_or_b32_e32 v7, v8, v19
	s_ashr_i32 s37, s36, 31
	s_lshl_b64 s[2:3], s[2:3], 15
	v_lshlrev_b32_e32 v7, 1, v7
	v_lshlrev_b32_e32 v6, 8, v6
	s_add_u32 s6, s12, s2
	ds_write2st64_b64 v7, v[2:3], v[4:5] offset0:80 offset1:88
	v_or_b32_e32 v7, v11, v6
	s_addc_u32 s7, s13, s3
	s_lshl_b64 s[2:3], s[36:37], 8
	ds_write_b64 v7, v[2:3]
	v_or_b32_e32 v2, v10, v6
	s_add_u32 s2, s6, s2
	ds_write_b64 v2, v[4:5]
	v_lshrrev_b32_e32 v2, 4, v0
	s_addc_u32 s3, s7, s3
	v_lshlrev_b32_e32 v3, 1, v45
	v_lshlrev_b32_e32 v10, 4, v45
	v_mov_b32_e32 v11, 0
	v_or_b32_e32 v4, 1, v3
	v_xor_b32_e32 v3, v2, v3
	v_lshl_add_u64 v[12:13], s[2:3], 0, v[10:11]
	v_lshlrev_b32_e32 v10, 8, v2
	v_xor_b32_e32 v6, v4, v2
	v_lshl_or_b32 v2, v3, 3, v10
	s_waitcnt lgkmcnt(0)
	s_barrier
	ds_read2st64_b64 v[2:5], v2 offset1:8
	v_lshl_or_b32 v6, v6, 3, v10
	ds_read2st64_b64 v[6:9], v6 offset1:8
	v_lshl_add_u64 v[14:15], v[12:13], 0, v[10:11]
	s_movk_i32 s2, 0x1000
	s_waitcnt lgkmcnt(1)
	v_mov_b32_e32 v10, v2
	v_add_co_u32_e32 v2, vcc, s2, v14
	s_cmp_lg_u32 s43, 64
	v_mov_b32_e32 v11, v3
	v_addc_co_u32_e32 v3, vcc, 0, v15, vcc
	s_cselect_b64 s[6:7], -1, 0
	v_lshl_or_b32 v23, v63, 3, v66
	s_waitcnt lgkmcnt(0)
	v_mov_b32_e32 v12, v6
	v_mov_b32_e32 v13, v7
	;; [unrolled: 1-line block ×4, first 2 shown]
	s_mov_b32 s24, 0
	v_or_b32_e32 v20, 32, v23
	v_and_b32_e32 v18, 56, v65
	s_and_b64 vcc, exec, s[6:7]
	global_store_dwordx4 v[14:15], v[10:13], off
	global_store_dwordx4 v[2:3], v[6:9], off
	s_cbranch_vccz .LBB335_29
; %bb.24:
	s_mov_b32 s25, s24
	s_mov_b32 s26, s24
	;; [unrolled: 1-line block ×3, first 2 shown]
	v_mov_b64_e32 v[6:7], s[24:25]
	v_mov_b64_e32 v[8:9], s[26:27]
	;; [unrolled: 1-line block ×3, first 2 shown]
	v_cmp_gt_i32_e32 vcc, s43, v23
	v_mov_b64_e32 v[4:5], v[8:9]
	s_and_saveexec_b64 s[2:3], vcc
	s_cbranch_execz .LBB335_26
; %bb.25:
	v_lshlrev_b32_e32 v2, 8, v23
	v_mov_b32_e32 v3, 0
	v_lshl_add_u64 v[4:5], s[0:1], 0, v[2:3]
	v_lshlrev_b32_e32 v2, 1, v18
	v_lshl_add_u64 v[10:11], v[4:5], 0, v[2:3]
	global_load_dwordx4 v[6:9], v[10:11], off
	global_load_dwordx4 v[2:5], v[10:11], off offset:128
.LBB335_26:
	s_or_b64 exec, exec, s[2:3]
	s_mov_b32 s25, s24
	s_mov_b32 s26, s24
	;; [unrolled: 1-line block ×3, first 2 shown]
	v_mov_b64_e32 v[14:15], s[24:25]
	v_mov_b64_e32 v[16:17], s[26:27]
	;; [unrolled: 1-line block ×3, first 2 shown]
	v_cmp_gt_i32_e32 vcc, s43, v20
	v_lshlrev_b32_e32 v21, 7, v20
	v_mov_b64_e32 v[12:13], v[16:17]
	s_and_saveexec_b64 s[2:3], vcc
	s_cbranch_execz .LBB335_28
; %bb.27:
	v_lshlrev_b32_e32 v10, 1, v21
	v_mov_b32_e32 v11, 0
	v_lshl_add_u64 v[12:13], s[0:1], 0, v[10:11]
	v_lshlrev_b32_e32 v10, 1, v18
	v_lshl_add_u64 v[24:25], v[12:13], 0, v[10:11]
	global_load_dwordx4 v[14:17], v[24:25], off
	global_load_dwordx4 v[10:13], v[24:25], off offset:128
.LBB335_28:
	s_or_b64 exec, exec, s[2:3]
	v_lshrrev_b32_e32 v24, 3, v18
	v_lshlrev_b32_e32 v25, 3, v23
	v_or_b32_e32 v24, v25, v24
	v_lshlrev_b32_e32 v24, 4, v24
	v_and_b32_e32 v25, 0x78, v25
	v_xor_b32_e32 v24, v24, v25
	s_branch .LBB335_31
.LBB335_29:
                                        ; implicit-def: $vgpr24
                                        ; implicit-def: $vgpr21
                                        ; implicit-def: $vgpr6_vgpr7_vgpr8_vgpr9
                                        ; implicit-def: $vgpr2_vgpr3_vgpr4_vgpr5
                                        ; implicit-def: $vgpr14_vgpr15_vgpr16_vgpr17
                                        ; implicit-def: $vgpr10_vgpr11_vgpr12_vgpr13
	s_cbranch_execz .LBB335_31
; %bb.30:
	s_waitcnt vmcnt(0)
	v_lshlrev_b32_e32 v2, 1, v18
	v_lshl_or_b32 v21, v23, 8, v2
	s_and_b32 s1, s1, 0xffff
	s_mov_b32 s3, 0x20000
	s_movk_i32 s2, 0x4000
	v_lshl_or_b32 v24, v20, 8, v2
	s_movk_i32 s12, 0x80
	buffer_load_dwordx4 v[6:9], v21, s[0:3], 0 offen
	buffer_load_dwordx4 v[2:5], v21, s[0:3], s12 offen
	;; [unrolled: 1-line block ×4, first 2 shown]
	v_lshrrev_b32_e32 v21, 3, v18
	v_lshlrev_b32_e32 v24, 3, v23
	v_or_b32_e32 v21, v24, v21
	v_lshlrev_b32_e32 v21, 4, v21
	v_and_b32_e32 v24, 0x78, v24
	v_xor_b32_e32 v24, v21, v24
	v_lshlrev_b32_e32 v21, 7, v20
.LBB335_31:
	s_lshl_b64 s[0:1], s[40:41], 8
	s_add_u32 s4, s4, s0
	s_movk_i32 s0, 0x1000
	v_and_or_b32 v20, v21, s0, v24
	s_waitcnt vmcnt(1)
	ds_write_b64 v24, v[6:7] offset:24576
	v_xor_b32_e32 v6, 8, v24
	ds_write_b64 v6, v[8:9] offset:24576
	s_waitcnt vmcnt(0)
	ds_write_b64 v24, v[2:3] offset:32768
	ds_write_b64 v6, v[4:5] offset:32768
	ds_write_b64 v20, v[14:15] offset:24576
	v_xor_b32_e32 v2, 8, v20
	ds_write_b64 v2, v[16:17] offset:24576
	ds_write_b64 v20, v[10:11] offset:32768
	;; [unrolled: 1-line block ×3, first 2 shown]
	v_or_b32_e32 v2, v1, v45
	v_lshlrev_b32_e32 v3, 11, v63
	v_lshlrev_b32_e32 v2, 3, v2
	v_and_b32_e32 v6, 0x1000, v3
	v_lshrrev_b32_e32 v3, 5, v62
	s_movk_i32 s13, 0xf8
	v_and_or_b32 v3, v2, s13, v3
	v_lshlrev_b32_e32 v7, 4, v3
	v_and_b32_e32 v8, 0x78, v2
	v_or_b32_e32 v10, 32, v7
	v_lshrrev_b32_e32 v3, 1, v62
	v_xor_b32_e32 v10, v10, v8
	v_xor_b32_e32 v2, v7, v8
	v_and_b32_e32 v9, 8, v3
	v_or_b32_e32 v10, v10, v6
	v_or_b32_e32 v2, v2, v6
	v_xor_b32_e32 v26, v10, v9
	v_or_b32_e32 v10, 64, v7
	v_xor_b32_e32 v25, v2, v9
	v_xor_b32_e32 v10, v10, v8
	s_waitcnt lgkmcnt(0)
	s_barrier
	v_or_b32_e32 v12, v10, v6
	ds_read_b64 v[10:11], v25 offset:24576
	v_lshl_or_b32 v20, v64, 7, v22
	v_lshlrev_b32_e32 v24, 1, v20
	v_add_u32_e32 v2, 0xa000, v24
	ds_read2_b64 v[2:5], v2 offset1:16
	v_or_b32_e32 v7, 0x60, v7
	v_xor_b32_e32 v7, v7, v8
	s_waitcnt lgkmcnt(0)
	v_mfma_f32_16x16x16_bf16 a[0:3], v[10:11], v[2:3], 0
	v_or_b32_e32 v2, 64, v20
	v_or_b32_e32 v6, v7, v6
	v_lshlrev_b32_e32 v29, 1, v2
	v_xor_b32_e32 v27, v12, v9
	v_xor_b32_e32 v28, v6, v9
	ds_read_b64 v[12:13], v26 offset:24576
	ds_read_b64 v[14:15], v27 offset:24576
	;; [unrolled: 1-line block ×3, first 2 shown]
	v_mfma_f32_16x16x16_bf16 a[4:7], v[10:11], v[4:5], 0
	ds_read2st64_b64 v[2:5], v29 offset0:82 offset1:84
	ds_read2st64_b64 v[6:9], v24 offset0:82 offset1:84
	s_addc_u32 s5, s5, s1
	s_add_i32 s2, s16, -1
	s_add_i32 s0, s46, s21
	s_mul_i32 s39, s39, s20
	s_add_i32 s39, s0, s39
	s_mul_i32 s0, s33, s23
	s_mul_hi_u32 s1, s33, s22
	s_ashr_i32 s3, s2, 31
	s_mul_i32 s12, s2, s35
	s_mul_hi_u32 s13, s2, s34
	s_add_i32 s0, s1, s0
	s_mul_i32 s1, s18, s22
	s_add_i32 s12, s13, s12
	s_mul_i32 s3, s3, s34
	s_waitcnt lgkmcnt(1)
	v_mfma_f32_16x16x16_bf16 a[4:7], v[12:13], v[2:3], a[4:7]
	s_add_i32 s1, s0, s1
	s_add_i32 s3, s12, s3
	s_lshl_b64 s[12:13], s[38:39], 2
	s_waitcnt lgkmcnt(0)
	v_mfma_f32_16x16x16_bf16 a[0:3], v[12:13], v[6:7], a[0:3]
	s_mul_i32 s0, s33, s22
	s_add_u32 s10, s10, s12
	s_addc_u32 s11, s11, s13
	s_lshl_b64 s[0:1], s[0:1], 2
	s_mul_i32 s2, s2, s34
	s_add_u32 s10, s10, s0
	ds_read_b64 v[2:3], v24 offset:44032
	v_mfma_f32_16x16x16_bf16 a[4:7], v[14:15], v[4:5], a[4:7]
	ds_read_b64 v[4:5], v29 offset:44032
	s_addc_u32 s11, s11, s1
	s_lshl_b64 s[0:1], s[2:3], 2
	v_mfma_f32_16x16x16_bf16 a[0:3], v[14:15], v[8:9], a[0:3]
	s_add_u32 s0, s10, s0
	s_addc_u32 s1, s11, s1
	s_load_dword s12, s[0:1], 0x0
	s_waitcnt lgkmcnt(0)
	v_mfma_f32_16x16x16_bf16 a[0:3], v[16:17], v[2:3], a[0:3]
	s_and_b64 vcc, exec, s[30:31]
	v_mfma_f32_16x16x16_bf16 a[4:7], v[16:17], v[4:5], a[4:7]
	s_cbranch_vccz .LBB335_42
; %bb.32:
	v_lshlrev_b32_e32 v20, 1, v23
	s_and_b64 vcc, exec, s[6:7]
	s_cbranch_vccz .LBB335_43
; %bb.33:
	v_cmp_gt_i32_e32 vcc, s43, v20
	v_mov_b32_e32 v6, 0
	v_mov_b32_e32 v2, 0
	;; [unrolled: 1-line block ×5, first 2 shown]
	s_and_saveexec_b64 s[0:1], vcc
	s_cbranch_execz .LBB335_35
; %bb.34:
	v_mad_i64_i32 v[2:3], s[2:3], s19, v20, 0
	v_lshl_add_u64 v[2:3], v[2:3], 1, s[4:5]
	v_lshlrev_b32_e32 v4, 1, v18
	v_mov_b32_e32 v5, 0
	v_lshl_add_u64 v[2:3], v[2:3], 0, v[4:5]
	global_load_dwordx4 v[2:5], v[2:3], off
.LBB335_35:
	s_or_b64 exec, exec, s[0:1]
	v_or_b32_e32 v21, 1, v20
	v_cmp_gt_i32_e64 s[0:1], s43, v21
	v_mov_b32_e32 v7, 0
	v_mov_b32_e32 v8, 0
	v_mov_b32_e32 v9, 0
	s_and_saveexec_b64 s[2:3], s[0:1]
	s_cbranch_execz .LBB335_37
; %bb.36:
	v_mad_i64_i32 v[6:7], s[16:17], s19, v21, 0
	v_lshl_add_u64 v[6:7], v[6:7], 1, s[4:5]
	v_lshlrev_b32_e32 v8, 1, v18
	v_mov_b32_e32 v9, 0
	v_lshl_add_u64 v[6:7], v[6:7], 0, v[8:9]
	global_load_dwordx4 v[6:9], v[6:7], off
.LBB335_37:
	s_or_b64 exec, exec, s[2:3]
	v_mov_b32_e32 v17, 0
	v_mov_b32_e32 v10, 0
	;; [unrolled: 1-line block ×5, first 2 shown]
	s_and_saveexec_b64 s[2:3], vcc
	s_cbranch_execz .LBB335_39
; %bb.38:
	v_mad_i64_i32 v[10:11], s[16:17], s19, v20, 0
	v_lshl_add_u64 v[10:11], v[10:11], 1, s[4:5]
	v_lshlrev_b32_e32 v12, 1, v18
	v_mov_b32_e32 v13, 0
	v_lshl_add_u64 v[10:11], v[10:11], 0, v[12:13]
	global_load_dwordx4 v[10:13], v[10:11], off offset:128
.LBB335_39:
	s_or_b64 exec, exec, s[2:3]
	v_mov_b32_e32 v16, 0
	v_mov_b32_e32 v15, 0
	;; [unrolled: 1-line block ×3, first 2 shown]
	s_and_saveexec_b64 s[2:3], s[0:1]
	s_cbranch_execz .LBB335_41
; %bb.40:
	v_mad_i64_i32 v[14:15], s[0:1], s19, v21, 0
	v_lshl_add_u64 v[14:15], v[14:15], 1, s[4:5]
	v_lshlrev_b32_e32 v16, 1, v18
	v_mov_b32_e32 v17, 0
	v_lshl_add_u64 v[14:15], v[14:15], 0, v[16:17]
	global_load_dwordx4 v[14:17], v[14:15], off offset:128
.LBB335_41:
	s_or_b64 exec, exec, s[2:3]
	s_branch .LBB335_45
.LBB335_42:
                                        ; implicit-def: $vgpr5
                                        ; implicit-def: $vgpr9
                                        ; implicit-def: $vgpr13
                                        ; implicit-def: $vgpr17
	v_lshrrev_b32_e32 v30, 2, v62
	s_branch .LBB335_46
.LBB335_43:
                                        ; implicit-def: $vgpr5
                                        ; implicit-def: $vgpr9
                                        ; implicit-def: $vgpr13
                                        ; implicit-def: $vgpr17
	s_cbranch_execz .LBB335_45
; %bb.44:
	s_waitcnt vmcnt(0)
	v_mad_u64_u32 v[2:3], s[0:1], v20, s19, v[18:19]
	v_lshlrev_b32_e32 v20, 1, v2
	s_lshl_b32 s2, s19, 7
	s_and_b32 s1, s5, 0xffff
	s_mov_b32 s3, 0x20000
	s_mov_b32 s0, s4
	v_add_lshl_u32 v21, v2, s19, 1
	s_movk_i32 s13, 0x80
	buffer_load_dwordx4 v[2:5], v20, s[0:3], 0 offen
	buffer_load_dwordx4 v[10:13], v20, s[0:3], s13 offen
	;; [unrolled: 1-line block ×4, first 2 shown]
.LBB335_45:
	v_lshrrev_b32_e32 v30, 2, v62
	s_cbranch_execnz .LBB335_58
.LBB335_46:
	s_and_b64 vcc, exec, s[6:7]
	s_cbranch_vccz .LBB335_56
; %bb.47:
	s_waitcnt vmcnt(0)
	v_lshlrev_b32_e32 v7, 1, v23
	v_cmp_gt_i32_e32 vcc, s43, v7
	v_mov_b32_e32 v6, 0
	v_lshlrev_b32_e32 v14, 9, v23
	v_mov_b32_e32 v2, 0
	v_mov_b32_e32 v3, 0
	;; [unrolled: 1-line block ×4, first 2 shown]
	s_and_saveexec_b64 s[0:1], vcc
	s_cbranch_execz .LBB335_49
; %bb.48:
	v_mov_b32_e32 v15, 0
	v_lshl_add_u64 v[2:3], s[4:5], 0, v[14:15]
	v_lshlrev_b32_e32 v4, 1, v18
	v_mov_b32_e32 v5, v15
	v_lshl_add_u64 v[2:3], v[2:3], 0, v[4:5]
	global_load_dwordx4 v[2:5], v[2:3], off
.LBB335_49:
	s_or_b64 exec, exec, s[0:1]
	v_or_b32_e32 v7, 1, v7
	v_cmp_gt_i32_e64 s[0:1], s43, v7
	v_lshlrev_b32_e32 v20, 8, v7
	v_mov_b32_e32 v7, 0
	v_mov_b32_e32 v8, 0
	v_mov_b32_e32 v9, 0
	s_and_saveexec_b64 s[2:3], s[0:1]
	s_cbranch_execz .LBB335_51
; %bb.50:
	v_mov_b32_e32 v21, 0
	v_lshl_add_u64 v[6:7], s[4:5], 0, v[20:21]
	v_lshlrev_b32_e32 v8, 1, v18
	v_mov_b32_e32 v9, v21
	v_lshl_add_u64 v[6:7], v[6:7], 0, v[8:9]
	global_load_dwordx4 v[6:9], v[6:7], off
.LBB335_51:
	s_or_b64 exec, exec, s[2:3]
	v_mov_b32_e32 v17, 0
	v_mov_b32_e32 v10, 0
	;; [unrolled: 1-line block ×5, first 2 shown]
	s_and_saveexec_b64 s[2:3], vcc
	s_cbranch_execz .LBB335_53
; %bb.52:
	v_mov_b32_e32 v15, 0
	v_lshl_add_u64 v[10:11], s[4:5], 0, v[14:15]
	v_lshlrev_b32_e32 v14, 1, v18
	v_lshl_add_u64 v[10:11], v[10:11], 0, v[14:15]
	global_load_dwordx4 v[10:13], v[10:11], off offset:128
.LBB335_53:
	s_or_b64 exec, exec, s[2:3]
	v_mov_b32_e32 v16, 0
	v_mov_b32_e32 v15, 0
	;; [unrolled: 1-line block ×3, first 2 shown]
	s_and_saveexec_b64 s[2:3], s[0:1]
	s_cbranch_execz .LBB335_55
; %bb.54:
	v_mov_b32_e32 v21, 0
	v_lshl_add_u64 v[14:15], s[4:5], 0, v[20:21]
	v_lshlrev_b32_e32 v20, 1, v18
	v_lshl_add_u64 v[14:15], v[14:15], 0, v[20:21]
	global_load_dwordx4 v[14:17], v[14:15], off offset:128
.LBB335_55:
	s_or_b64 exec, exec, s[2:3]
	s_branch .LBB335_58
.LBB335_56:
                                        ; implicit-def: $vgpr5
                                        ; implicit-def: $vgpr9
                                        ; implicit-def: $vgpr13
                                        ; implicit-def: $vgpr17
	s_cbranch_execz .LBB335_58
; %bb.57:
	s_waitcnt vmcnt(0)
	v_lshlrev_b32_e32 v2, 1, v18
	v_lshl_or_b32 v18, v23, 9, v2
	s_and_b32 s5, s5, 0xffff
	s_mov_b32 s7, 0x20000
	s_movk_i32 s6, 0x4000
	s_movk_i32 s0, 0x80
	buffer_load_dwordx4 v[2:5], v18, s[4:7], 0 offen
	buffer_load_dwordx4 v[6:9], v18, s[4:7], 0 offen offset:256
	buffer_load_dwordx4 v[10:13], v18, s[4:7], s0 offen
	buffer_load_dwordx4 v[14:17], v18, s[4:7], s0 offen offset:256
.LBB335_58:
	ds_read_b64 v[20:21], v25 offset:32768
	v_add_u32_e32 v18, 0xb000, v24
	ds_read2_b64 v[32:35], v18 offset1:16
	ds_read_b64 v[40:41], v26 offset:32768
	ds_read_b64 v[26:27], v27 offset:32768
	;; [unrolled: 1-line block ×3, first 2 shown]
	v_and_b32_e32 v18, 6, v0
	v_xor_b32_e32 v23, v23, v18
	v_lshlrev_b32_e32 v23, 2, v23
	v_and_b32_e32 v0, 1, v0
	v_xor_b32_e32 v28, 0x440, v23
	v_cmp_eq_u32_e32 vcc, 0, v0
	s_waitcnt lgkmcnt(3)
	v_mfma_f32_16x16x16_bf16 a[0:3], v[20:21], v[32:33], a[0:3]
	s_mov_b32 s0, 0x1000504
	v_cndmask_b32_e32 v0, v28, v23, vcc
	v_lshl_or_b32 v0, v18, 10, v0
	v_mfma_f32_16x16x16_bf16 a[4:7], v[20:21], v[34:35], a[4:7]
	ds_read2st64_b64 v[32:35], v24 offset0:90 offset1:92
	ds_read2st64_b64 v[36:39], v29 offset0:90 offset1:92
	ds_read_b64 v[20:21], v24 offset:48128
	ds_read_b64 v[24:25], v29 offset:48128
	s_waitcnt vmcnt(0)
	v_perm_b32 v18, v2, v6, s0
	s_waitcnt lgkmcnt(3)
	v_mfma_f32_16x16x16_bf16 a[0:3], v[40:41], v[32:33], a[0:3]
	s_mov_b32 s1, 0x3020706
	v_perm_b32 v2, v2, v6, s1
	v_perm_b32 v6, v10, v14, s1
	s_waitcnt lgkmcnt(2)
	v_mfma_f32_16x16x16_bf16 a[4:7], v[40:41], v[36:37], a[4:7]
	v_mfma_f32_16x16x16_bf16 a[0:3], v[26:27], v[34:35], a[0:3]
	;; [unrolled: 1-line block ×3, first 2 shown]
	s_waitcnt lgkmcnt(1)
	v_mfma_f32_16x16x16_bf16 a[4:7], v[42:43], v[20:21], a[0:3]
	v_perm_b32 v20, v10, v14, s0
	ds_write2st64_b32 v0, v18, v20 offset0:32 offset1:64
	v_xor_b32_e32 v18, 8, v0
	v_add_u32_e32 v10, 0x80, v18
	ds_write2st64_b32 v10, v2, v6 offset0:32 offset1:64
	v_xor_b32_e32 v2, 16, v0
	v_perm_b32 v6, v3, v7, s0
	v_perm_b32 v10, v11, v15, s0
	ds_write2st64_b32 v2, v6, v10 offset0:33 offset1:65
	v_xor_b32_e32 v2, 24, v0
	v_perm_b32 v3, v3, v7, s1
	v_perm_b32 v6, v11, v15, s1
	v_add_u32_e32 v2, 0x80, v2
	ds_write2st64_b32 v2, v3, v6 offset0:33 offset1:65
	v_xor_b32_e32 v2, 32, v0
	v_perm_b32 v3, v4, v8, s0
	v_perm_b32 v6, v12, v16, s0
	s_waitcnt lgkmcnt(4)
	v_mfma_f32_16x16x16_bf16 a[0:3], v[42:43], v[24:25], a[8:11]
	ds_write2st64_b32 v2, v3, v6 offset0:34 offset1:66
	v_xor_b32_e32 v2, 40, v0
	v_perm_b32 v3, v4, v8, s1
	v_perm_b32 v4, v12, v16, s1
	v_add_u32_e32 v2, 0x80, v2
	ds_write2st64_b32 v2, v3, v4 offset0:34 offset1:66
	v_xor_b32_e32 v2, 48, v0
	v_perm_b32 v3, v5, v9, s0
	v_perm_b32 v4, v13, v17, s0
	v_xor_b32_e32 v0, 56, v0
	v_and_or_b32 v21, v30, 12, v1
	ds_write2st64_b32 v2, v3, v4 offset0:35 offset1:67
	v_perm_b32 v2, v5, v9, s1
	v_perm_b32 v3, v13, v17, s1
	v_add_u32_e32 v0, 0x80, v0
	v_cmp_gt_i32_e32 vcc, s43, v21
	v_mov_b32_e32 v16, 0
	v_mov_b32_e32 v18, 0
	ds_write2st64_b32 v0, v2, v3 offset0:35 offset1:67
	s_and_saveexec_b64 s[0:1], vcc
	s_cbranch_execz .LBB335_60
; %bb.59:
	v_add_u32_e32 v0, s42, v21
	v_ashrrev_i32_e32 v1, 31, v0
	v_mul_lo_u32 v2, v1, s34
	v_mul_lo_u32 v3, v0, s35
	v_mad_u64_u32 v[0:1], s[2:3], v0, s34, 0
	v_add3_u32 v1, v1, v3, v2
	v_lshl_add_u64 v[0:1], v[0:1], 2, s[10:11]
	global_load_dword v0, v[0:1], off
	s_waitcnt vmcnt(0)
	v_sub_f32_e32 v0, s12, v0
	v_mul_f32_e32 v0, 0x3fb8aa3b, v0
	v_exp_f32_e32 v18, v0
.LBB335_60:
	s_or_b64 exec, exec, s[0:1]
	v_or_b32_e32 v10, 1, v21
	v_cmp_gt_i32_e64 s[0:1], s43, v10
	s_and_saveexec_b64 s[2:3], s[0:1]
	s_cbranch_execz .LBB335_62
; %bb.61:
	v_add_u32_e32 v0, s42, v10
	v_ashrrev_i32_e32 v1, 31, v0
	v_mul_lo_u32 v2, v1, s34
	v_mul_lo_u32 v3, v0, s35
	v_mad_u64_u32 v[0:1], s[4:5], v0, s34, 0
	v_add3_u32 v1, v1, v3, v2
	v_lshl_add_u64 v[0:1], v[0:1], 2, s[10:11]
	global_load_dword v0, v[0:1], off
	s_waitcnt vmcnt(0)
	v_sub_f32_e32 v0, s12, v0
	v_mul_f32_e32 v0, 0x3fb8aa3b, v0
	v_exp_f32_e32 v16, v0
.LBB335_62:
	s_or_b64 exec, exec, s[2:3]
	v_or_b32_e32 v12, 2, v21
	v_cmp_gt_i32_e64 s[2:3], s43, v12
	v_mov_b32_e32 v17, 0
	v_mov_b32_e32 v20, 0
	s_and_saveexec_b64 s[4:5], s[2:3]
	s_cbranch_execz .LBB335_64
; %bb.63:
	v_add_u32_e32 v0, s42, v12
	v_ashrrev_i32_e32 v1, 31, v0
	v_mul_lo_u32 v2, v1, s34
	v_mul_lo_u32 v3, v0, s35
	v_mad_u64_u32 v[0:1], s[6:7], v0, s34, 0
	v_add3_u32 v1, v1, v3, v2
	v_lshl_add_u64 v[0:1], v[0:1], 2, s[10:11]
	global_load_dword v0, v[0:1], off
	s_waitcnt vmcnt(0)
	v_sub_f32_e32 v0, s12, v0
	v_mul_f32_e32 v0, 0x3fb8aa3b, v0
	v_exp_f32_e32 v20, v0
.LBB335_64:
	s_or_b64 exec, exec, s[4:5]
	v_or_b32_e32 v14, 3, v21
	v_cmp_gt_i32_e64 s[4:5], s43, v14
	s_and_saveexec_b64 s[6:7], s[4:5]
	s_cbranch_execz .LBB335_66
; %bb.65:
	v_add_u32_e32 v0, s42, v14
	v_ashrrev_i32_e32 v1, 31, v0
	v_mul_lo_u32 v2, v1, s34
	v_mul_lo_u32 v3, v0, s35
	v_mad_u64_u32 v[0:1], s[16:17], v0, s34, 0
	v_add3_u32 v1, v1, v3, v2
	v_lshl_add_u64 v[0:1], v[0:1], 2, s[10:11]
	global_load_dword v0, v[0:1], off
	s_waitcnt vmcnt(0)
	v_sub_f32_e32 v0, s12, v0
	v_mul_f32_e32 v0, 0x3fb8aa3b, v0
	v_exp_f32_e32 v17, v0
.LBB335_66:
	s_or_b64 exec, exec, s[6:7]
	s_add_u32 s6, s8, s28
	v_or_b32_e32 v4, s36, v45
	s_addc_u32 s7, s9, s29
	s_add_u32 s8, s14, s28
	v_ashrrev_i32_e32 v5, 31, v4
	v_accvgpr_read_b32 v0, a4
	s_addc_u32 s9, s15, s29
	v_lshlrev_b64 v[4:5], 1, v[4:5]
	v_accvgpr_read_b32 v1, a5
	v_accvgpr_read_b32 v2, a6
	;; [unrolled: 1-line block ×3, first 2 shown]
	v_lshl_add_u64 v[6:7], s[6:7], 0, v[4:5]
	v_lshl_add_u64 v[4:5], s[8:9], 0, v[4:5]
	v_mov_b32_e32 v11, 0
	v_lshlrev_b32_e32 v8, 8, v21
	v_mov_b32_e32 v9, 0
	s_and_saveexec_b64 s[6:7], vcc
	s_cbranch_execz .LBB335_68
; %bb.67:
	v_mov_b32_e32 v9, 0
	v_lshl_add_u64 v[24:25], v[6:7], 0, v[8:9]
	global_load_ushort v13, v[24:25], off
	v_lshl_add_u64 v[24:25], v[4:5], 0, v[8:9]
	s_waitcnt vmcnt(0)
	v_lshlrev_b32_e32 v9, 16, v13
	v_sub_f32_e32 v0, v9, v0
	global_store_short_d16_hi v[24:25], v0, off
	v_mul_f32_e32 v0, v18, v0
	v_lshrrev_b32_e32 v9, 16, v0
.LBB335_68:
	s_or_b64 exec, exec, s[6:7]
	v_lshlrev_b32_e32 v10, 8, v10
	s_and_saveexec_b64 s[6:7], s[0:1]
	s_cbranch_execz .LBB335_70
; %bb.69:
	v_mov_b32_e32 v11, 0
	v_lshl_add_u64 v[24:25], v[6:7], 0, v[10:11]
	global_load_ushort v0, v[24:25], off
	v_lshl_add_u64 v[24:25], v[4:5], 0, v[10:11]
	s_waitcnt vmcnt(0)
	v_lshlrev_b32_e32 v0, 16, v0
	v_sub_f32_e32 v0, v0, v1
	global_store_short_d16_hi v[24:25], v0, off
	v_mul_f32_e32 v0, v16, v0
	v_lshrrev_b32_e32 v11, 16, v0
.LBB335_70:
	s_or_b64 exec, exec, s[6:7]
	v_mov_b32_e32 v15, 0
	v_lshlrev_b32_e32 v12, 8, v12
	v_mov_b32_e32 v13, 0
	s_and_saveexec_b64 s[6:7], s[2:3]
	s_cbranch_execz .LBB335_72
; %bb.71:
	v_mov_b32_e32 v13, 0
	v_lshl_add_u64 v[0:1], v[6:7], 0, v[12:13]
	global_load_ushort v23, v[0:1], off
	v_lshl_add_u64 v[0:1], v[4:5], 0, v[12:13]
	s_waitcnt vmcnt(0)
	v_lshlrev_b32_e32 v13, 16, v23
	v_sub_f32_e32 v2, v13, v2
	global_store_short_d16_hi v[0:1], v2, off
	v_mul_f32_e32 v0, v20, v2
	v_lshrrev_b32_e32 v13, 16, v0
.LBB335_72:
	s_or_b64 exec, exec, s[6:7]
	v_lshlrev_b32_e32 v14, 8, v14
	s_and_saveexec_b64 s[6:7], s[4:5]
	s_cbranch_execz .LBB335_74
; %bb.73:
	v_mov_b32_e32 v15, 0
	v_lshl_add_u64 v[0:1], v[6:7], 0, v[14:15]
	global_load_ushort v2, v[0:1], off
	v_lshl_add_u64 v[0:1], v[4:5], 0, v[14:15]
	s_waitcnt vmcnt(0)
	v_lshlrev_b32_e32 v2, 16, v2
	v_sub_f32_e32 v2, v2, v3
	global_store_short_d16_hi v[0:1], v2, off
	v_mul_f32_e32 v0, v17, v2
	v_lshrrev_b32_e32 v15, 16, v0
.LBB335_74:
	s_or_b64 exec, exec, s[6:7]
	v_lshlrev_b32_e32 v21, 5, v21
	s_mov_b32 s6, 0x5040100
	v_perm_b32 v24, v11, v9, s6
	v_or_b32_e32 v9, v21, v22
	v_accvgpr_read_b32 v0, a0
	v_perm_b32 v25, v15, v13, s6
	v_lshlrev_b32_e32 v9, 1, v9
	v_accvgpr_read_b32 v1, a1
	v_accvgpr_read_b32 v2, a2
	;; [unrolled: 1-line block ×3, first 2 shown]
	ds_write_b64 v9, v[24:25] offset:45056
	v_mov_b32_e32 v11, 0
	v_mov_b32_e32 v9, 0
	s_and_saveexec_b64 s[6:7], vcc
	s_cbranch_execz .LBB335_76
; %bb.75:
	v_mov_b32_e32 v9, 0
	v_lshl_add_u64 v[22:23], v[6:7], 0, v[8:9]
	global_load_ushort v13, v[22:23], off offset:32
	v_lshl_add_u64 v[8:9], v[4:5], 0, v[8:9]
	s_waitcnt vmcnt(0)
	v_lshlrev_b32_e32 v13, 16, v13
	v_sub_f32_e32 v0, v13, v0
	global_store_short_d16_hi v[8:9], v0, off offset:32
	v_mul_f32_e32 v0, v18, v0
	v_lshrrev_b32_e32 v9, 16, v0
.LBB335_76:
	s_or_b64 exec, exec, s[6:7]
	s_and_saveexec_b64 s[6:7], s[0:1]
	s_cbranch_execz .LBB335_78
; %bb.77:
	v_mov_b32_e32 v11, 0
	v_lshl_add_u64 v[22:23], v[6:7], 0, v[10:11]
	global_load_ushort v0, v[22:23], off offset:32
	v_lshl_add_u64 v[10:11], v[4:5], 0, v[10:11]
	s_waitcnt vmcnt(0)
	v_lshlrev_b32_e32 v0, 16, v0
	v_sub_f32_e32 v0, v0, v1
	global_store_short_d16_hi v[10:11], v0, off offset:32
	v_mul_f32_e32 v0, v16, v0
	v_lshrrev_b32_e32 v11, 16, v0
.LBB335_78:
	s_or_b64 exec, exec, s[6:7]
	v_mov_b32_e32 v0, 0
	v_mov_b32_e32 v1, 0
	s_and_saveexec_b64 s[0:1], s[2:3]
	s_cbranch_execz .LBB335_80
; %bb.79:
	v_mov_b32_e32 v13, 0
	v_lshl_add_u64 v[22:23], v[6:7], 0, v[12:13]
	global_load_ushort v1, v[22:23], off offset:32
	v_lshl_add_u64 v[12:13], v[4:5], 0, v[12:13]
	s_waitcnt vmcnt(0)
	v_lshlrev_b32_e32 v1, 16, v1
	v_sub_f32_e32 v1, v1, v2
	global_store_short_d16_hi v[12:13], v1, off offset:32
	v_mul_f32_e32 v1, v20, v1
	v_lshrrev_b32_e32 v1, 16, v1
.LBB335_80:
	s_or_b64 exec, exec, s[0:1]
	s_and_saveexec_b64 s[0:1], s[4:5]
	s_cbranch_execz .LBB335_82
; %bb.81:
	v_mov_b32_e32 v15, 0
	v_lshl_add_u64 v[6:7], v[6:7], 0, v[14:15]
	global_load_ushort v0, v[6:7], off offset:32
	v_lshl_add_u64 v[4:5], v[4:5], 0, v[14:15]
	s_waitcnt vmcnt(0)
	v_lshlrev_b32_e32 v0, 16, v0
	v_sub_f32_e32 v0, v0, v3
	global_store_short_d16_hi v[4:5], v0, off offset:32
	v_mul_f32_e32 v0, v17, v0
	v_lshrrev_b32_e32 v0, 16, v0
.LBB335_82:
	s_or_b64 exec, exec, s[0:1]
	s_mov_b32 s0, 0x5040100
	v_or_b32_e32 v2, v21, v19
	v_perm_b32 v1, v0, v1, s0
	v_perm_b32 v0, v11, v9, s0
	v_lshlrev_b32_e32 v2, 1, v2
	ds_write_b64 v2, v[0:1] offset:45056
	s_waitcnt lgkmcnt(0)
	s_barrier
.LBB335_83:
	s_endpgm
	.section	.rodata,"a",@progbits
	.p2align	6, 0x0
	.amdhsa_kernel _ZN12_GLOBAL__N_139chunk_gated_delta_rule_fwd_h_hip_kernelILi32ELb0ELb0ELb1ELb0ELb0ELb1ELb1ELb1EEEvPK12hip_bfloat16S3_S3_PKfS5_PKvPS1_S8_PvPKiSB_iiiiilll
		.amdhsa_group_segment_fixed_size 49152
		.amdhsa_private_segment_fixed_size 0
		.amdhsa_kernarg_size 136
		.amdhsa_user_sgpr_count 2
		.amdhsa_user_sgpr_dispatch_ptr 0
		.amdhsa_user_sgpr_queue_ptr 0
		.amdhsa_user_sgpr_kernarg_segment_ptr 1
		.amdhsa_user_sgpr_dispatch_id 0
		.amdhsa_user_sgpr_kernarg_preload_length 0
		.amdhsa_user_sgpr_kernarg_preload_offset 0
		.amdhsa_user_sgpr_private_segment_size 0
		.amdhsa_uses_dynamic_stack 0
		.amdhsa_enable_private_segment 0
		.amdhsa_system_sgpr_workgroup_id_x 1
		.amdhsa_system_sgpr_workgroup_id_y 1
		.amdhsa_system_sgpr_workgroup_id_z 0
		.amdhsa_system_sgpr_workgroup_info 0
		.amdhsa_system_vgpr_workitem_id 0
		.amdhsa_next_free_vgpr 168
		.amdhsa_next_free_sgpr 67
		.amdhsa_accum_offset 144
		.amdhsa_reserve_vcc 1
		.amdhsa_float_round_mode_32 0
		.amdhsa_float_round_mode_16_64 0
		.amdhsa_float_denorm_mode_32 3
		.amdhsa_float_denorm_mode_16_64 3
		.amdhsa_dx10_clamp 1
		.amdhsa_ieee_mode 1
		.amdhsa_fp16_overflow 0
		.amdhsa_tg_split 0
		.amdhsa_exception_fp_ieee_invalid_op 0
		.amdhsa_exception_fp_denorm_src 0
		.amdhsa_exception_fp_ieee_div_zero 0
		.amdhsa_exception_fp_ieee_overflow 0
		.amdhsa_exception_fp_ieee_underflow 0
		.amdhsa_exception_fp_ieee_inexact 0
		.amdhsa_exception_int_div_zero 0
	.end_amdhsa_kernel
	.section	.text._ZN12_GLOBAL__N_139chunk_gated_delta_rule_fwd_h_hip_kernelILi32ELb0ELb0ELb1ELb0ELb0ELb1ELb1ELb1EEEvPK12hip_bfloat16S3_S3_PKfS5_PKvPS1_S8_PvPKiSB_iiiiilll,"axG",@progbits,_ZN12_GLOBAL__N_139chunk_gated_delta_rule_fwd_h_hip_kernelILi32ELb0ELb0ELb1ELb0ELb0ELb1ELb1ELb1EEEvPK12hip_bfloat16S3_S3_PKfS5_PKvPS1_S8_PvPKiSB_iiiiilll,comdat
.Lfunc_end335:
	.size	_ZN12_GLOBAL__N_139chunk_gated_delta_rule_fwd_h_hip_kernelILi32ELb0ELb0ELb1ELb0ELb0ELb1ELb1ELb1EEEvPK12hip_bfloat16S3_S3_PKfS5_PKvPS1_S8_PvPKiSB_iiiiilll, .Lfunc_end335-_ZN12_GLOBAL__N_139chunk_gated_delta_rule_fwd_h_hip_kernelILi32ELb0ELb0ELb1ELb0ELb0ELb1ELb1ELb1EEEvPK12hip_bfloat16S3_S3_PKfS5_PKvPS1_S8_PvPKiSB_iiiiilll
                                        ; -- End function
	.section	.AMDGPU.csdata,"",@progbits
; Kernel info:
; codeLenInByte = 8996
; NumSgprs: 73
; NumVgprs: 142
; NumAgprs: 24
; TotalNumVgprs: 168
; ScratchSize: 0
; MemoryBound: 0
; FloatMode: 240
; IeeeMode: 1
; LDSByteSize: 49152 bytes/workgroup (compile time only)
; SGPRBlocks: 9
; VGPRBlocks: 20
; NumSGPRsForWavesPerEU: 73
; NumVGPRsForWavesPerEU: 168
; AccumOffset: 144
; Occupancy: 1
; WaveLimiterHint : 1
; COMPUTE_PGM_RSRC2:SCRATCH_EN: 0
; COMPUTE_PGM_RSRC2:USER_SGPR: 2
; COMPUTE_PGM_RSRC2:TRAP_HANDLER: 0
; COMPUTE_PGM_RSRC2:TGID_X_EN: 1
; COMPUTE_PGM_RSRC2:TGID_Y_EN: 1
; COMPUTE_PGM_RSRC2:TGID_Z_EN: 0
; COMPUTE_PGM_RSRC2:TIDIG_COMP_CNT: 0
; COMPUTE_PGM_RSRC3_GFX90A:ACCUM_OFFSET: 35
; COMPUTE_PGM_RSRC3_GFX90A:TG_SPLIT: 0
	.section	.text._ZN12_GLOBAL__N_139chunk_gated_delta_rule_fwd_h_hip_kernelILi32ELb0ELb0ELb0ELb0ELb0ELb1ELb1ELb1EEEvPK12hip_bfloat16S3_S3_PKfS5_PKvPS1_S8_PvPKiSB_iiiiilll,"axG",@progbits,_ZN12_GLOBAL__N_139chunk_gated_delta_rule_fwd_h_hip_kernelILi32ELb0ELb0ELb0ELb0ELb0ELb1ELb1ELb1EEEvPK12hip_bfloat16S3_S3_PKfS5_PKvPS1_S8_PvPKiSB_iiiiilll,comdat
	.globl	_ZN12_GLOBAL__N_139chunk_gated_delta_rule_fwd_h_hip_kernelILi32ELb0ELb0ELb0ELb0ELb0ELb1ELb1ELb1EEEvPK12hip_bfloat16S3_S3_PKfS5_PKvPS1_S8_PvPKiSB_iiiiilll ; -- Begin function _ZN12_GLOBAL__N_139chunk_gated_delta_rule_fwd_h_hip_kernelILi32ELb0ELb0ELb0ELb0ELb0ELb1ELb1ELb1EEEvPK12hip_bfloat16S3_S3_PKfS5_PKvPS1_S8_PvPKiSB_iiiiilll
	.p2align	8
	.type	_ZN12_GLOBAL__N_139chunk_gated_delta_rule_fwd_h_hip_kernelILi32ELb0ELb0ELb0ELb0ELb0ELb1ELb1ELb1EEEvPK12hip_bfloat16S3_S3_PKfS5_PKvPS1_S8_PvPKiSB_iiiiilll,@function
_ZN12_GLOBAL__N_139chunk_gated_delta_rule_fwd_h_hip_kernelILi32ELb0ELb0ELb0ELb0ELb0ELb1ELb1ELb1EEEvPK12hip_bfloat16S3_S3_PKfS5_PKvPS1_S8_PvPKiSB_iiiiilll: ; @_ZN12_GLOBAL__N_139chunk_gated_delta_rule_fwd_h_hip_kernelILi32ELb0ELb0ELb0ELb0ELb0ELb1ELb1ELb1EEEvPK12hip_bfloat16S3_S3_PKfS5_PKvPS1_S8_PvPKiSB_iiiiilll
; %bb.0:
	s_load_dwordx4 s[12:15], s[0:1], 0x5c
	s_load_dwordx2 s[36:37], s[0:1], 0x30
	s_abs_i32 s18, s3
	s_ashr_i32 s17, s3, 31
	s_load_dwordx8 s[4:11], s[0:1], 0x0
	s_waitcnt lgkmcnt(0)
	s_abs_i32 s16, s13
	v_cvt_f32_u32_e32 v1, s16
	s_sub_i32 s20, 0, s16
	s_ashr_i32 s19, s13, 31
	s_xor_b32 s17, s17, s19
	v_rcp_iflag_f32_e32 v1, v1
	v_lshrrev_b32_e32 v61, 6, v0
	v_bfe_u32 v62, v0, 4, 2
	v_lshlrev_b32_e32 v2, 2, v62
	v_mul_f32_e32 v1, 0x4f7ffffe, v1
	v_cvt_u32_f32_e32 v1, v1
	v_and_b32_e32 v60, 63, v0
	v_mov_b32_e32 v5, 0
	v_and_b32_e32 v45, 15, v0
	v_readfirstlane_b32 s21, v1
	s_mul_i32 s20, s20, s21
	s_mul_hi_u32 s20, s21, s20
	s_add_i32 s21, s21, s20
	s_mul_hi_u32 s20, s18, s21
	s_mul_i32 s21, s20, s16
	s_sub_i32 s18, s18, s21
	s_add_i32 s22, s20, 1
	s_sub_i32 s21, s18, s16
	s_cmp_ge_u32 s18, s16
	s_cselect_b32 s20, s22, s20
	s_cselect_b32 s18, s21, s18
	s_add_i32 s21, s20, 1
	s_cmp_ge_u32 s18, s16
	s_cselect_b32 s18, s21, s20
	s_abs_i32 s20, s14
	v_cvt_f32_u32_e32 v1, s20
	s_xor_b32 s18, s18, s17
	s_ashr_i32 s46, s12, 31
	s_sub_i32 s48, s18, s17
	v_rcp_iflag_f32_e32 v1, v1
	s_lshr_b32 s17, s46, 26
	s_add_i32 s17, s12, s17
	s_ashr_i32 s49, s14, 31
	v_mul_f32_e32 v1, 0x4f7ffffe, v1
	v_cvt_u32_f32_e32 v1, v1
	s_ashr_i32 s47, s17, 6
	s_xor_b32 s17, s19, s49
	s_sub_i32 s18, 0, s20
	v_readfirstlane_b32 s19, v1
	s_mul_i32 s18, s18, s19
	s_mul_hi_u32 s18, s19, s18
	s_add_i32 s19, s19, s18
	s_mul_hi_u32 s18, s16, s19
	s_mul_i32 s19, s18, s20
	s_mul_i32 s45, s48, s13
	s_sub_i32 s16, s16, s19
	s_sub_i32 s33, s3, s45
	s_add_i32 s3, s12, 63
	s_add_i32 s19, s18, 1
	s_sub_i32 s21, s16, s20
	s_cmp_ge_u32 s16, s20
	s_cselect_b32 s18, s19, s18
	s_cselect_b32 s16, s21, s16
	s_add_i32 s19, s18, 1
	s_cmp_ge_u32 s16, s20
	s_cselect_b32 s16, s19, s18
	s_xor_b32 s16, s16, s17
	s_sub_i32 s20, s16, s17
	s_abs_i32 s21, s20
	v_cvt_f32_u32_e32 v1, s21
	s_sub_i32 s23, 0, s21
	s_abs_i32 s22, s33
	s_xor_b32 s20, s33, s20
	v_rcp_iflag_f32_e32 v1, v1
	s_ashr_i32 s20, s20, 31
	s_load_dwordx2 s[28:29], s[0:1], 0x80
	s_load_dwordx4 s[16:19], s[0:1], 0x70
	s_mul_hi_i32 s51, s48, s13
	v_mul_f32_e32 v1, 0x4f7ffffe, v1
	v_cvt_u32_f32_e32 v1, v1
	v_lshrrev_b32_e32 v64, 3, v60
	v_lshlrev_b32_e32 v63, 3, v0
	s_waitcnt lgkmcnt(0)
	s_mul_i32 s17, s48, s17
	v_readfirstlane_b32 s24, v1
	s_mul_i32 s23, s23, s24
	s_mul_hi_u32 s23, s24, s23
	s_add_i32 s24, s24, s23
	s_mul_hi_u32 s23, s22, s24
	s_mul_i32 s24, s23, s21
	s_sub_i32 s22, s22, s24
	s_add_i32 s24, s23, 1
	s_sub_i32 s25, s22, s21
	s_cmp_ge_u32 s22, s21
	s_cselect_b32 s23, s24, s23
	s_cselect_b32 s22, s25, s22
	s_add_i32 s24, s23, 1
	s_cmp_ge_u32 s22, s21
	s_cselect_b32 s21, s24, s23
	s_xor_b32 s21, s21, s20
	s_sub_i32 s52, s21, s20
	s_ashr_i32 s20, s3, 31
	s_lshr_b32 s20, s20, 26
	v_lshlrev_b32_e32 v1, 4, v61
	s_add_i32 s3, s3, s20
	v_or_b32_e32 v65, v2, v1
	s_ashr_i32 s3, s3, 6
	s_lshl_b32 s30, s2, 5
	s_mul_i32 s50, s48, s3
	v_or_b32_e32 v66, 64, v65
	s_cmp_lt_i32 s12, 64
	s_mul_hi_u32 s44, s48, s16
	s_mul_i32 s34, s48, s16
	v_mov_b32_e32 v83, 0
	v_mov_b32_e32 v81, 0
	;; [unrolled: 1-line block ×15, first 2 shown]
	s_cbranch_scc1 .LBB336_18
; %bb.1:
	s_ashr_i32 s24, s48, 31
	s_ashr_i32 s54, s33, 31
	s_add_u32 s2, s45, s33
	s_addc_u32 s3, s51, s54
	s_mul_i32 s3, s12, s3
	s_mul_hi_u32 s20, s12, s2
	s_add_i32 s39, s20, s3
	s_mul_i32 s38, s12, s2
	s_lshl_b64 s[2:3], s[38:39], 8
	v_and_b32_e32 v68, 56, v63
	s_add_u32 s20, s6, s2
	v_lshl_or_b32 v67, v61, 3, v64
	v_lshlrev_b32_e32 v3, 1, v68
	s_addc_u32 s2, s7, s3
	v_lshl_or_b32 v69, v67, 8, v3
	s_and_b32 s21, s2, 0xffff
	s_mov_b32 s23, 0x20000
	s_movk_i32 s22, 0x4000
	s_movk_i32 s2, 0x80
	v_or_b32_e32 v70, 0x2000, v69
	buffer_load_dwordx4 v[4:7], v69, s[20:23], 0 offen
	buffer_load_dwordx4 v[8:11], v69, s[20:23], s2 offen
	;; [unrolled: 1-line block ×4, first 2 shown]
	v_lshlrev_b32_e32 v20, 3, v67
	v_and_or_b32 v22, v0, 7, v20
	v_and_b32_e32 v20, 0x78, v20
	v_lshlrev_b32_e32 v22, 4, v22
	v_xor_b32_e32 v71, v22, v20
	v_mul_lo_u32 v21, v67, s15
	v_or_b32_e32 v72, 0x1000, v71
	s_cmpk_eq_i32 s15, 0x80
	s_mov_b32 s53, s14
	v_xor_b32_e32 v20, 8, v71
	v_xor_b32_e32 v22, 8, v72
	s_cselect_b64 s[2:3], -1, 0
	s_cmpk_lg_i32 s15, 0x80
	s_waitcnt vmcnt(3)
	ds_write_b64 v71, v[4:5] offset:24576
	ds_write_b64 v20, v[6:7] offset:24576
	s_waitcnt vmcnt(2)
	ds_write_b64 v71, v[8:9] offset:32768
	ds_write_b64 v20, v[10:11] offset:32768
	;; [unrolled: 3-line block ×4, first 2 shown]
	v_lshl_add_u32 v4, v21, 1, v68
	s_cbranch_scc0 .LBB336_3
; %bb.2:
	v_lshlrev_b32_e32 v6, 1, v4
	v_add_lshl_u32 v5, v4, s15, 1
	s_lshl_b32 s22, s15, 7
	s_load_dwordx2 s[40:41], s[0:1], 0x20
	v_lshl_or_b32 v3, v67, 9, v3
	s_cbranch_execz .LBB336_4
	s_branch .LBB336_5
.LBB336_3:
                                        ; implicit-def: $vgpr5
                                        ; implicit-def: $vgpr6
                                        ; implicit-def: $sgpr22
	s_load_dwordx2 s[40:41], s[0:1], 0x20
	v_lshl_or_b32 v3, v67, 9, v3
.LBB336_4:
	v_or_b32_e32 v5, 0x100, v3
	s_movk_i32 s22, 0x4000
	v_mov_b32_e32 v6, v3
.LBB336_5:
	s_mul_hi_u32 s0, s14, s12
	s_mul_i32 s1, s49, s12
	s_add_i32 s0, s0, s1
	s_mul_i32 s1, s14, s12
	s_mul_i32 s20, s1, s24
	s_mul_hi_u32 s21, s1, s48
	s_add_i32 s20, s21, s20
	s_mul_i32 s0, s0, s48
	s_add_i32 s20, s20, s0
	s_mul_i32 s1, s1, s48
	s_ashr_i32 s55, s52, 31
	s_add_u32 s0, s1, s52
	s_addc_u32 s1, s20, s55
	s_lshl_b64 s[0:1], s[0:1], 8
	s_add_u32 s20, s4, s0
	s_addc_u32 s0, s5, s1
	s_and_b32 s21, s0, 0xffff
	s_movk_i32 s56, 0x80
	buffer_load_dwordx4 v[8:11], v6, s[20:23], 0 offen
	buffer_load_dwordx4 v[12:15], v6, s[20:23], s56 offen
	;; [unrolled: 1-line block ×4, first 2 shown]
	v_and_b32_e32 v5, 6, v0
	v_lshlrev_b32_e32 v24, 6, v65
	v_or_b32_e32 v26, 16, v45
	v_xor_b32_e32 v27, v67, v5
	v_and_b32_e32 v6, 1, v0
	s_mul_i32 s0, s24, s12
	s_mul_hi_u32 s1, s48, s12
	v_lshl_or_b32 v30, v45, 3, v24
	v_lshl_or_b32 v24, v26, 3, v24
	v_lshlrev_b32_e32 v27, 2, v27
	v_lshlrev_b32_e32 v7, 2, v45
	v_or_b32_e32 v75, 0xa000, v24
	v_or_b32_e32 v76, 0xb000, v24
	v_xor_b32_e32 v24, 0x440, v27
	v_cmp_eq_u32_e32 vcc, 0, v6
	s_add_i32 s61, s1, s0
	s_add_i32 s0, s44, s17
	s_mul_i32 s24, s24, s16
	v_xor_b32_e32 v28, v65, v7
	v_xor_b32_e32 v29, v66, v7
	v_cndmask_b32_e32 v6, v24, v27, vcc
	s_add_i32 s35, s0, s24
	s_mul_i32 s0, s33, s19
	s_mul_hi_u32 s1, s33, s18
	s_mov_b32 s59, 0x1000504
	v_lshlrev_b32_e32 v25, 8, v45
	v_lshlrev_b32_e32 v28, 1, v28
	;; [unrolled: 1-line block ×3, first 2 shown]
	v_lshl_or_b32 v5, v5, 10, v6
	s_add_i32 s0, s1, s0
	s_mul_i32 s1, s54, s18
	s_mov_b32 s60, 0x3020706
	v_or_b32_e32 v73, 0xa000, v30
	v_or_b32_e32 v74, 0xb000, v30
	v_or_b32_e32 v77, v25, v28
	v_or_b32_e32 v78, v25, v29
	v_xor_b32_e32 v6, 8, v5
	v_xor_b32_e32 v25, 24, v5
	;; [unrolled: 1-line block ×4, first 2 shown]
	s_add_i32 s1, s0, s1
	s_lshl_b64 s[20:21], s[34:35], 2
	v_xor_b32_e32 v24, 16, v5
	v_xor_b32_e32 v27, 32, v5
	;; [unrolled: 1-line block ×3, first 2 shown]
	v_add_u32_e32 v6, 0x80, v6
	v_add_u32_e32 v25, 0x80, v25
	;; [unrolled: 1-line block ×4, first 2 shown]
	s_mul_i32 s0, s33, s18
	s_add_u32 s20, s10, s20
	s_addc_u32 s21, s11, s21
	s_lshl_b64 s[0:1], s[0:1], 2
	s_add_u32 s42, s20, s0
	s_movk_i32 s0, 0xf8
	s_addc_u32 s43, s21, s1
	s_ashr_i32 s31, s30, 31
	s_lshl_b32 s26, s15, 7
	s_movk_i32 s20, 0x100
	v_mov_b32_e32 v55, 0
	v_lshlrev_b32_e32 v54, 4, v45
	v_cmp_gt_u32_e32 vcc, s20, v0
	s_mul_i32 s57, s48, s12
	s_mov_b32 s58, 0
	s_movk_i32 s35, 0x1000
	s_movk_i32 s22, 0x4000
	v_add_u32_e32 v100, v1, v2
	s_mov_b32 s62, 0x7060302
	v_mov_b32_e32 v111, 0x3fb8aa3b
	s_mov_b32 s64, 0
	v_mov_b32_e32 v50, v55
	v_mov_b32_e32 v51, v55
	;; [unrolled: 1-line block ×8, first 2 shown]
	s_waitcnt vmcnt(1)
	v_perm_b32 v33, v8, v16, s59
	s_waitcnt vmcnt(0)
	v_perm_b32 v34, v12, v20, s59
	v_perm_b32 v8, v8, v16, s60
	;; [unrolled: 1-line block ×15, first 2 shown]
	ds_write2st64_b32 v5, v33, v34 offset0:32 offset1:64
	ds_write2st64_b32 v6, v8, v12 offset0:32 offset1:64
	ds_write2st64_b32 v24, v16, v20 offset0:33 offset1:65
	ds_write2st64_b32 v25, v9, v13 offset0:33 offset1:65
	ds_write2st64_b32 v27, v17, v21 offset0:34 offset1:66
	ds_write2st64_b32 v30, v10, v14 offset0:34 offset1:66
	ds_write2st64_b32 v31, v18, v22 offset0:35 offset1:67
	ds_write2st64_b32 v32, v11, v15 offset0:35 offset1:67
	v_lshlrev_b32_e32 v5, 8, v26
	v_or_b32_e32 v79, v5, v28
	v_or_b32_e32 v80, v5, v29
	;; [unrolled: 1-line block ×3, first 2 shown]
	v_lshlrev_b32_e32 v5, 3, v5
	v_lshrrev_b32_e32 v8, 5, v60
	v_and_or_b32 v8, v5, s0, v8
	v_lshrrev_b32_e32 v6, 2, v60
	v_lshlrev_b32_e32 v11, 11, v61
	v_lshlrev_b32_e32 v8, 4, v8
	v_and_b32_e32 v5, 0x78, v5
	v_and_b32_e32 v9, 12, v6
	;; [unrolled: 1-line block ×3, first 2 shown]
	v_xor_b32_e32 v10, v8, v5
	v_lshrrev_b32_e32 v12, 1, v60
	v_or_b32_e32 v10, v10, v6
	v_and_b32_e32 v12, 8, v12
	v_xor_b32_e32 v87, v10, v12
	v_or_b32_e32 v10, 32, v8
	v_xor_b32_e32 v10, v10, v5
	v_or_b32_e32 v10, v10, v6
	;; [unrolled: 2-line block ×3, first 2 shown]
	v_or_b32_e32 v8, 0x60, v8
	v_xor_b32_e32 v10, v10, v5
	v_xor_b32_e32 v5, v8, v5
	s_lshl_b64 s[0:1], s[30:31], 8
	v_or_b32_e32 v10, v10, v6
	v_or_b32_e32 v5, v5, v6
	v_lshlrev_b32_e32 v14, 1, v4
	v_add_lshl_u32 v15, v4, s15, 1
	s_add_u32 s0, s36, s0
	v_lshlrev_b32_e32 v4, 1, v45
	v_xor_b32_e32 v91, v10, v12
	v_xor_b32_e32 v92, v5, v12
	v_lshrrev_b32_e32 v10, 4, v0
	s_addc_u32 s1, s37, s1
	v_or_b32_e32 v5, 1, v4
	v_mov_b32_e32 v20, 0x4000
	v_mov_b32_e32 v21, 0x2000
	v_lshrrev_b32_e32 v22, 1, v0
	v_xor_b32_e32 v12, v10, v4
	v_xor_b32_e32 v17, v5, v10
	v_lshl_add_u64 v[4:5], s[0:1], 0, v[54:55]
	v_lshlrev_b32_e32 v54, 8, v10
	v_cndmask_b32_e32 v20, v20, v21, vcc
	v_lshlrev_b32_e32 v21, 3, v61
	v_and_b32_e32 v22, 24, v22
	v_lshl_or_b32 v95, v12, 3, v54
	v_and_b32_e32 v12, 8, v0
	v_xor_b32_e32 v23, v21, v22
	v_or_b32_e32 v24, 0x440, v23
	v_cmp_eq_u32_e32 vcc, 0, v12
	v_and_b32_e32 v10, 7, v0
	v_lshlrev_b32_e32 v13, 7, v62
	v_cndmask_b32_e32 v12, v24, v23, vcc
	v_lshl_or_b32 v96, v17, 3, v54
	v_lshlrev_b32_e32 v17, 3, v10
	v_lshlrev_b32_e32 v19, 2, v0
	v_or_b32_e32 v12, v12, v11
	v_or_b32_e32 v7, v13, v7
	v_xor_b32_e32 v23, v12, v17
	v_and_or_b32 v12, v19, 60, v13
	v_mov_b32_e32 v13, 0xb000
	v_lshl_or_b32 v97, v12, 1, v13
	v_or_b32_e32 v12, 32, v22
	v_xor_b32_e32 v12, v21, v12
	v_or_b32_e32 v13, 0x440, v12
	v_cndmask_b32_e32 v12, v13, v12, vcc
	v_or_b32_e32 v12, v12, v11
	v_xor_b32_e32 v13, v12, v17
	v_or_b32_e32 v12, 64, v22
	v_xor_b32_e32 v12, v21, v12
	v_xor_b32_e32 v25, 0x440, v12
	v_cndmask_b32_e32 v12, v25, v12, vcc
	v_or_b32_e32 v12, v12, v11
	v_xor_b32_e32 v25, v12, v17
	v_or_b32_e32 v12, 0x60, v22
	v_xor_b32_e32 v12, v21, v12
	v_xor_b32_e32 v21, 0x440, v12
	v_cndmask_b32_e32 v12, v21, v12, vcc
	v_or_b32_e32 v11, v12, v11
	v_lshlrev_b32_e32 v7, 1, v7
	v_or_b32_e32 v6, s30, v45
	v_xor_b32_e32 v11, v11, v17
	v_or_b32_e32 v88, 0xa000, v7
	v_or_b32_e32 v90, 0xa080, v7
	;; [unrolled: 1-line block ×4, first 2 shown]
	v_lshlrev_b32_e32 v8, 7, v65
	v_ashrrev_i32_e32 v7, 31, v6
	v_or_b32_e32 v16, 0x100, v3
	v_lshlrev_b32_e32 v18, 7, v10
	v_or_b32_e32 v10, v9, v1
	v_add_u32_e32 v24, v20, v23
	v_add_u32_e32 v19, v20, v13
	v_add_u32_e32 v26, v20, v25
	v_add_u32_e32 v17, v20, v11
	v_or3_b32 v12, v1, v9, 64
	v_add_u32_e32 v9, 0x4000, v23
	v_add_u32_e32 v13, 0x4000, v13
	;; [unrolled: 1-line block ×4, first 2 shown]
	v_cndmask_b32_e64 v98, v14, v3, s[2:3]
	v_cndmask_b32_e64 v99, v15, v16, s[2:3]
	v_lshl_add_u64 v[56:57], v[6:7], 1, s[8:9]
	v_lshl_add_u64 v[58:59], v[4:5], 0, v[54:55]
	s_add_i32 s31, s57, 63
	v_lshlrev_b32_e32 v54, 1, v8
	v_lshlrev_b32_e32 v101, 2, v10
	v_add_u32_e32 v102, v24, v18
	v_add_u32_e32 v103, v19, v18
	;; [unrolled: 1-line block ×4, first 2 shown]
	v_lshlrev_b32_e32 v106, 2, v12
	v_add_u32_e32 v107, v9, v18
	v_add_u32_e32 v108, v13, v18
	;; [unrolled: 1-line block ×4, first 2 shown]
	v_mov_b32_e32 v85, v55
	v_mov_b32_e32 v84, v55
	;; [unrolled: 1-line block ×8, first 2 shown]
	s_waitcnt lgkmcnt(0)
	s_barrier
.LBB336_6:                              ; =>This Inner Loop Header: Depth=1
	s_add_i32 s63, s64, 1
	s_cmp_lt_i32 s63, s47
	s_mov_b64 s[24:25], 0
	s_cselect_b64 s[2:3], -1, 0
	s_cmp_ge_i32 s63, s47
	s_mov_b64 s[20:21], 0
	s_cbranch_scc1 .LBB336_8
; %bb.7:                                ;   in Loop: Header=BB336_6 Depth=1
	s_add_i32 s0, s58, 64
	s_add_u32 s0, s38, s0
	s_addc_u32 s1, s39, 0
	s_lshl_b64 s[0:1], s[0:1], 8
	s_add_u32 s20, s6, s0
	s_addc_u32 s21, s7, s1
.LBB336_8:                              ;   in Loop: Header=BB336_6 Depth=1
	v_cndmask_b32_e64 v2, 0, 1, s[2:3]
	v_cmp_ne_u32_e64 s[0:1], 1, v2
	s_andn2_b64 vcc, exec, s[2:3]
	s_cbranch_vccnz .LBB336_10
; %bb.9:                                ;   in Loop: Header=BB336_6 Depth=1
	s_add_i32 s2, s58, 64
	s_add_u32 s2, s57, s2
	s_addc_u32 s3, s61, 0
	s_mul_i32 s24, s2, s49
	s_mul_hi_u32 s25, s2, s53
	s_add_i32 s24, s25, s24
	s_mul_i32 s3, s3, s53
	s_add_i32 s24, s24, s3
	s_mul_i32 s2, s2, s53
	s_add_u32 s2, s2, s52
	s_addc_u32 s3, s24, s55
	s_lshl_b64 s[2:3], s[2:3], 8
	s_add_u32 s24, s4, s2
	s_addc_u32 s25, s5, s3
.LBB336_10:                             ;   in Loop: Header=BB336_6 Depth=1
	v_perm_b32 v3, v53, v52, s62
	v_perm_b32 v2, v51, v50, s62
	;; [unrolled: 1-line block ×4, first 2 shown]
	ds_write_b64 v73, v[2:3]
	ds_write_b64 v74, v[4:5]
	;; [unrolled: 1-line block ×4, first 2 shown]
	v_perm_b32 v3, v113, v86, s62
	v_perm_b32 v2, v84, v85, s62
	;; [unrolled: 1-line block ×4, first 2 shown]
	ds_write_b64 v75, v[2:3]
	ds_write_b64 v76, v[4:5]
	;; [unrolled: 1-line block ×4, first 2 shown]
	s_waitcnt lgkmcnt(0)
	s_barrier
	ds_read_b64 v[6:7], v87 offset:24576
	ds_read2_b64 v[2:5], v88 offset1:16
	ds_read_b64 v[10:11], v90 offset:3072
	ds_read_b64 v[12:13], v88 offset:3072
	;; [unrolled: 1-line block ×3, first 2 shown]
	s_waitcnt lgkmcnt(3)
	v_mfma_f32_16x16x16_bf16 a[0:3], v[6:7], v[2:3], 0
	s_add_i32 s2, s58, 63
	s_mul_i32 s3, s2, s29
	s_mul_hi_u32 s27, s2, s28
	v_mfma_f32_16x16x16_bf16 a[4:7], v[6:7], v[4:5], 0
	ds_read2st64_b64 v[2:5], v88 offset0:2 offset1:4
	ds_read2st64_b64 v[6:9], v90 offset0:2 offset1:4
	s_add_i32 s3, s27, s3
	s_waitcnt lgkmcnt(1)
	v_mfma_f32_16x16x16_bf16 a[0:3], v[14:15], v[2:3], a[0:3]
	s_mul_i32 s2, s2, s28
	s_lshl_b64 s[2:3], s[2:3], 2
	s_add_u32 s2, s42, s2
	s_waitcnt lgkmcnt(0)
	v_mfma_f32_16x16x16_bf16 a[4:7], v[14:15], v[6:7], a[4:7]
	ds_read_b64 v[2:3], v91 offset:24576
	ds_read_b64 v[6:7], v92 offset:24576
	s_addc_u32 s3, s43, s3
	s_and_b64 vcc, exec, s[0:1]
	s_waitcnt lgkmcnt(1)
	v_mfma_f32_16x16x16_bf16 a[0:3], v[2:3], v[4:5], a[0:3]
	v_mov_b32_e32 v116, 0
	v_mov_b32_e32 v115, 0
	;; [unrolled: 1-line block ×3, first 2 shown]
	v_mfma_f32_16x16x16_bf16 a[4:7], v[2:3], v[8:9], a[4:7]
	v_mov_b32_e32 v2, 0
	v_mov_b32_e32 v3, 0
	;; [unrolled: 1-line block ×3, first 2 shown]
	s_waitcnt lgkmcnt(0)
	v_mfma_f32_16x16x16_bf16 a[0:3], v[6:7], v[12:13], a[0:3]
	v_mov_b32_e32 v5, 0
	v_mov_b32_e32 v8, 0
	;; [unrolled: 1-line block ×3, first 2 shown]
	v_mfma_f32_16x16x16_bf16 a[4:7], v[6:7], v[10:11], a[4:7]
	v_mov_b32_e32 v6, 0
	v_mov_b32_e32 v7, 0
	;; [unrolled: 1-line block ×10, first 2 shown]
	s_cbranch_vccnz .LBB336_12
; %bb.11:                               ;   in Loop: Header=BB336_6 Depth=1
	s_and_b32 s21, s21, 0xffff
	buffer_load_dwordx4 v[14:17], v69, s[20:23], 0 offen
	buffer_load_dwordx4 v[10:13], v69, s[20:23], s56 offen
	;; [unrolled: 1-line block ×4, first 2 shown]
	v_mov_b32_e32 v115, v71
	v_mov_b32_e32 v114, v72
.LBB336_12:                             ;   in Loop: Header=BB336_6 Depth=1
	ds_read_b64 v[22:23], v87 offset:32768
	ds_read2_b64 v[18:21], v93 offset1:16
	ds_read_b64 v[26:27], v89 offset:32768
	ds_read_b64 v[28:29], v91 offset:32768
	;; [unrolled: 1-line block ×3, first 2 shown]
	v_add_u32_e32 v32, s58, v100
	s_waitcnt lgkmcnt(3)
	v_mfma_f32_16x16x16_bf16 a[0:3], v[22:23], v[18:19], a[0:3]
	v_mul_lo_u32 v33, v32, s29
	v_mov_b32_e32 v117, 0
	v_mfma_f32_16x16x16_bf16 a[4:7], v[22:23], v[20:21], a[4:7]
	ds_read2st64_b64 v[18:21], v93 offset0:2 offset1:4
	ds_read2st64_b64 v[22:25], v94 offset0:2 offset1:4
	s_waitcnt lgkmcnt(1)
	v_mfma_f32_16x16x16_bf16 a[0:3], v[26:27], v[18:19], a[0:3]
	v_ashrrev_i32_e32 v18, 31, v32
	v_mul_lo_u32 v34, v18, s28
	v_mad_u64_u32 v[18:19], s[20:21], v32, s28, 0
	v_mfma_f32_16x16x16_bf16 a[0:3], v[28:29], v[20:21], a[0:3]
	v_add_u32_e32 v20, 1, v32
	v_ashrrev_i32_e32 v21, 31, v20
	v_add3_u32 v19, v19, v33, v34
	s_waitcnt lgkmcnt(0)
	v_mfma_f32_16x16x16_bf16 a[4:7], v[26:27], v[22:23], a[4:7]
	v_mul_lo_u32 v22, v21, s28
	v_mul_lo_u32 v23, v20, s29
	v_mad_u64_u32 v[20:21], s[20:21], v20, s28, 0
	v_add3_u32 v21, v21, v23, v22
	v_add_u32_e32 v22, 2, v32
	v_ashrrev_i32_e32 v23, 31, v22
	v_mul_lo_u32 v26, v23, s28
	v_mul_lo_u32 v27, v22, s29
	v_mad_u64_u32 v[22:23], s[20:21], v22, s28, 0
	v_add3_u32 v23, v23, v27, v26
	v_add_u32_e32 v26, 3, v32
	v_ashrrev_i32_e32 v27, 31, v26
	v_mul_lo_u32 v32, v27, s28
	v_mul_lo_u32 v33, v26, s29
	v_mad_u64_u32 v[26:27], s[20:21], v26, s28, 0
	s_add_u32 s20, s38, s58
	s_addc_u32 s21, s39, 0
	s_lshl_b64 s[20:21], s[20:21], 8
	v_lshl_add_u64 v[18:19], v[18:19], 2, s[42:43]
	v_lshl_add_u64 v[20:21], v[20:21], 2, s[42:43]
	v_add3_u32 v27, v27, v33, v32
	v_lshl_add_u64 v[32:33], v[56:57], 0, s[20:21]
	v_lshl_add_u64 v[22:23], v[22:23], 2, s[42:43]
	;; [unrolled: 1-line block ×3, first 2 shown]
	global_load_dword v34, v[18:19], off
	global_load_ushort v35, v[32:33], off offset:256
	global_load_ushort v36, v[32:33], off
	global_load_ushort v37, v[32:33], off offset:768
	global_load_ushort v38, v[32:33], off offset:512
	v_lshl_add_u64 v[18:19], v[26:27], 2, s[42:43]
	global_load_dword v39, v[20:21], off
	global_load_dword v40, v[22:23], off
	;; [unrolled: 1-line block ×3, first 2 shown]
	ds_read_b64 v[18:19], v93 offset:3072
	ds_read_b64 v[20:21], v94 offset:3072
	global_load_ushort v42, v[32:33], off offset:800
	global_load_ushort v43, v[32:33], off offset:544
	;; [unrolled: 1-line block ×3, first 2 shown]
	s_nop 0
	global_load_ushort v32, v[32:33], off offset:32
	s_load_dword s2, s[2:3], 0x0
	v_mfma_f32_16x16x16_bf16 a[4:7], v[28:29], v[24:25], a[4:7]
	s_and_b64 vcc, exec, s[0:1]
	v_mov_b32_e32 v33, 0
	s_waitcnt vmcnt(11) lgkmcnt(0)
	v_sub_f32_e32 v28, s2, v34
	v_mfma_f32_16x16x16_bf16 a[0:3], v[30:31], v[18:19], a[0:3]
	v_mul_f32_e32 v28, 0x3fb8aa3b, v28
	v_exp_f32_e32 v28, v28
	s_waitcnt vmcnt(6)
	v_sub_f32_e32 v29, s2, v39
	v_mfma_f32_16x16x16_bf16 a[4:7], v[30:31], v[20:21], a[4:7]
	s_waitcnt vmcnt(5)
	v_sub_f32_e32 v30, s2, v40
	s_waitcnt vmcnt(4)
	v_sub_f32_e32 v31, s2, v41
	v_mul_f32_e32 v29, 0x3fb8aa3b, v29
	v_mul_f32_e32 v30, 0x3fb8aa3b, v30
	;; [unrolled: 1-line block ×3, first 2 shown]
	v_exp_f32_e32 v29, v29
	v_exp_f32_e32 v30, v30
	;; [unrolled: 1-line block ×3, first 2 shown]
	v_accvgpr_read_b32 v23, a1
	v_accvgpr_read_b32 v19, a3
	;; [unrolled: 1-line block ×4, first 2 shown]
	v_lshlrev_b32_e32 v25, 16, v35
	v_lshlrev_b32_e32 v24, 16, v36
	;; [unrolled: 1-line block ×4, first 2 shown]
	v_pk_add_f32 v[22:23], v[24:25], v[22:23] neg_lo:[0,1] neg_hi:[0,1]
	v_pk_add_f32 v[18:19], v[26:27], v[18:19] neg_lo:[0,1] neg_hi:[0,1]
	v_pk_mul_f32 v[22:23], v[28:29], v[22:23]
	v_pk_mul_f32 v[18:19], v[30:31], v[18:19]
	v_accvgpr_read_b32 v25, a5
	v_perm_b32 v19, v19, v18, s62
	v_perm_b32 v18, v23, v22, s62
	s_waitcnt vmcnt(1)
	v_lshlrev_b32_e32 v23, 16, v44
	s_waitcnt vmcnt(0)
	v_lshlrev_b32_e32 v22, 16, v32
	v_accvgpr_read_b32 v24, a4
	v_accvgpr_read_b32 v21, a7
	;; [unrolled: 1-line block ×3, first 2 shown]
	v_pk_add_f32 v[22:23], v[22:23], v[24:25] neg_lo:[0,1] neg_hi:[0,1]
	v_lshlrev_b32_e32 v25, 16, v42
	v_lshlrev_b32_e32 v24, 16, v43
	v_pk_add_f32 v[20:21], v[24:25], v[20:21] neg_lo:[0,1] neg_hi:[0,1]
	v_pk_mul_f32 v[22:23], v[28:29], v[22:23]
	v_pk_mul_f32 v[20:21], v[30:31], v[20:21]
	v_mov_b32_e32 v24, 0
	v_perm_b32 v21, v21, v20, s62
	v_perm_b32 v20, v23, v22, s62
	ds_write2_b64 v74, v[18:19], v[20:21] offset1:16
	v_mov_b32_e32 v18, 0
	v_mov_b32_e32 v19, 0
	v_mov_b32_e32 v20, 0
	v_mov_b32_e32 v21, 0
	v_mov_b32_e32 v22, 0
	v_mov_b32_e32 v23, 0
	v_mov_b32_e32 v25, 0
	v_mov_b32_e32 v26, 0
	v_mov_b32_e32 v27, 0
	v_mov_b32_e32 v28, 0
	v_mov_b32_e32 v29, 0
	v_mov_b32_e32 v30, 0
	v_mov_b32_e32 v31, 0
	v_mov_b32_e32 v32, 0
	s_cbranch_vccnz .LBB336_14
; %bb.13:                               ;   in Loop: Header=BB336_6 Depth=1
	s_and_b32 s25, s25, 0xffff
	s_mov_b32 s27, s23
	buffer_load_dwordx4 v[30:33], v98, s[24:27], 0 offen
	buffer_load_dwordx4 v[22:25], v98, s[24:27], s56 offen
	;; [unrolled: 1-line block ×4, first 2 shown]
	v_mov_b32_e32 v116, v68
	v_mov_b32_e32 v117, v67
.LBB336_14:                             ;   in Loop: Header=BB336_6 Depth=1
	s_waitcnt lgkmcnt(0)
	s_barrier
	ds_read_b64 v[38:39], v102
	ds_read_b64 v[122:123], v97
	;; [unrolled: 1-line block ×5, first 2 shown]
	ds_read_b64 v[136:137], v94 offset:3072
	ds_read2_b64 v[34:37], v93 offset0:16 offset1:128
	s_waitcnt lgkmcnt(5)
	v_mfma_f32_16x16x16_bf16 a[0:3], v[38:39], v[122:123], 0
	ds_read2st64_b64 v[40:43], v94 offset0:2 offset1:4
	s_add_i32 s3, s50, s64
	s_mul_hi_i32 s21, s3, s13
	s_waitcnt lgkmcnt(1)
	v_mfma_f32_16x16x16_bf16 a[4:7], v[38:39], v[34:35], 0
	ds_read_b64 v[38:39], v107
	s_mul_i32 s3, s3, s13
	s_add_u32 s20, s3, s33
	s_waitcnt lgkmcnt(1)
	v_mfma_f32_16x16x16_bf16 a[4:7], v[124:125], v[40:41], a[4:7]
	s_addc_u32 s21, s21, s54
	s_add_i32 s3, s31, s58
	s_lshl_b64 s[20:21], s[20:21], 15
	s_mul_hi_i32 s25, s3, s13
	s_mul_i32 s3, s3, s13
	s_add_u32 s24, s3, s33
	v_mfma_f32_16x16x16_bf16 a[8:11], v[126:127], v[42:43], a[4:7]
	s_addc_u32 s25, s25, s54
	ds_read2st64_b64 v[118:121], v93 offset0:4 offset1:6
	s_lshl_b64 s[24:25], s[24:25], 9
	s_waitcnt lgkmcnt(1)
	v_mfma_f32_16x16x16_bf16 a[4:7], v[38:39], v[122:123], 0
	s_add_u32 s24, s40, s24
	s_addc_u32 s25, s41, s25
	v_mfma_f32_16x16x16_bf16 a[0:3], v[124:125], v[36:37], a[0:3]
	ds_read_b64 v[124:125], v108
	ds_read_b64 v[132:133], v109
	;; [unrolled: 1-line block ×3, first 2 shown]
	v_mfma_f32_16x16x16_bf16 a[12:15], v[38:39], v[34:35], 0
	s_waitcnt lgkmcnt(2)
	v_mfma_f32_16x16x16_bf16 a[4:7], v[124:125], v[36:37], a[4:7]
	global_load_dwordx4 v[34:37], v106, s[24:25]
	v_mfma_f32_16x16x16_bf16 a[12:15], v[124:125], v[40:41], a[12:15]
	global_load_dwordx4 v[38:41], v101, s[24:25]
	ds_read2st64_b64 v[122:125], v95 offset1:8
	s_waitcnt lgkmcnt(0)
	v_mov_b32_e32 v130, v122
	v_mfma_f32_16x16x16_bf16 a[0:3], v[126:127], v[118:119], a[0:3]
	ds_read2st64_b64 v[126:129], v96 offset1:8
	v_mov_b32_e32 v131, v123
	v_mfma_f32_16x16x16_bf16 a[16:19], v[132:133], v[118:119], a[4:7]
	v_lshl_add_u64 v[118:119], v[58:59], 0, s[20:21]
	v_mfma_f32_16x16x16_bf16 a[20:23], v[132:133], v[42:43], a[12:15]
	v_add_co_u32_e32 v42, vcc, s35, v118
	s_waitcnt lgkmcnt(0)
	v_mov_b32_e32 v132, v126
	v_mfma_f32_16x16x16_bf16 a[4:7], v[134:135], v[120:121], a[0:3]
	v_mov_b32_e32 v133, v127
	v_mov_b32_e32 v126, v124
	;; [unrolled: 1-line block ×3, first 2 shown]
	v_mfma_f32_16x16x16_bf16 a[8:11], v[134:135], v[136:137], a[8:11]
	v_addc_co_u32_e32 v43, vcc, 0, v119, vcc
	global_store_dwordx4 v[42:43], v[126:129], off
	v_mfma_f32_16x16x16_bf16 a[12:15], v[138:139], v[120:121], a[16:19]
	s_and_b64 vcc, exec, s[0:1]
	global_store_dwordx4 v[118:119], v[130:133], off
	s_waitcnt vmcnt(3)
	v_mov_b32_e32 v44, v37
	v_mfma_f32_16x16x16_bf16 a[0:3], v[138:139], v[136:137], a[20:23]
	v_mov_b32_e32 v43, v36
	v_mov_b32_e32 v42, v35
	s_cbranch_vccnz .LBB336_16
; %bb.15:                               ;   in Loop: Header=BB336_6 Depth=1
	v_lshrrev_b32_e32 v35, 3, v116
	v_and_b32_e32 v35, 6, v35
	v_xor_b32_e32 v36, v35, v117
	v_lshlrev_b32_e32 v36, 2, v36
	v_and_b32_e32 v37, 8, v116
	v_xor_b32_e32 v116, 0x440, v36
	v_cmp_eq_u32_e32 vcc, 0, v37
	v_perm_b32 v37, v22, v18, s59
	s_nop 0
	v_cndmask_b32_e32 v36, v116, v36, vcc
	v_lshl_or_b32 v35, v35, 10, v36
	v_perm_b32 v36, v30, v26, s59
	s_barrier
	ds_write2st64_b32 v35, v36, v37 offset0:32 offset1:64
	v_xor_b32_e32 v36, 8, v35
	v_perm_b32 v26, v30, v26, s60
	v_perm_b32 v18, v22, v18, s60
	v_add_u32_e32 v22, 0x80, v36
	ds_write2st64_b32 v22, v26, v18 offset0:32 offset1:64
	v_xor_b32_e32 v18, 16, v35
	v_perm_b32 v22, v31, v27, s59
	v_perm_b32 v26, v23, v19, s59
	ds_write2st64_b32 v18, v22, v26 offset0:33 offset1:65
	v_xor_b32_e32 v18, 24, v35
	v_perm_b32 v22, v31, v27, s60
	v_perm_b32 v19, v23, v19, s60
	v_add_u32_e32 v18, 0x80, v18
	ds_write2st64_b32 v18, v22, v19 offset0:33 offset1:65
	v_xor_b32_e32 v18, 32, v35
	v_perm_b32 v19, v32, v28, s59
	v_perm_b32 v22, v24, v20, s59
	;; [unrolled: 9-line block ×3, first 2 shown]
	ds_write2st64_b32 v18, v19, v20 offset0:35 offset1:67
	v_xor_b32_e32 v18, 56, v35
	v_perm_b32 v19, v33, v29, s60
	v_perm_b32 v20, v25, v21, s60
	v_add_u32_e32 v18, 0x80, v18
	ds_write2st64_b32 v18, v19, v20 offset0:35 offset1:67
	ds_write_b64 v115, v[14:15] offset:24576
	v_xor_b32_e32 v14, 8, v115
	ds_write_b64 v14, v[16:17] offset:24576
	ds_write_b64 v115, v[10:11] offset:32768
	;; [unrolled: 1-line block ×4, first 2 shown]
	v_xor_b32_e32 v6, 8, v114
	ds_write_b64 v6, v[8:9] offset:24576
	ds_write_b64 v114, v[2:3] offset:32768
	;; [unrolled: 1-line block ×3, first 2 shown]
.LBB336_16:                             ;   in Loop: Header=BB336_6 Depth=1
	v_mul_f32_e32 v2, s2, v111
	v_exp_f32_e32 v18, v2
	s_waitcnt vmcnt(2)
	v_mul_f32_e32 v2, 0x3fb8aa3b, v38
	v_exp_f32_e32 v20, v2
	v_mul_f32_e32 v2, 0x3fb8aa3b, v39
	v_exp_f32_e32 v21, v2
	;; [unrolled: 2-line block ×4, first 2 shown]
	v_accvgpr_read_b32 v13, a7
	v_accvgpr_read_b32 v11, a5
	;; [unrolled: 1-line block ×4, first 2 shown]
	v_pk_mul_f32 v[20:21], v[18:19], v[20:21] op_sel_hi:[0,1]
	v_accvgpr_read_b32 v8, a10
	v_pk_fma_f32 v[50:51], v[50:51], v[20:21], v[10:11]
	v_pk_mul_f32 v[10:11], v[18:19], v[22:23] op_sel_hi:[0,1]
	v_accvgpr_read_b32 v12, a6
	v_accvgpr_read_b32 v7, a9
	v_fma_f32 v86, v86, v10, v8
	v_mul_f32_e32 v8, 0x3fb8aa3b, v43
	v_pk_fma_f32 v[52:53], v[52:53], v[10:11], v[12:13]
	v_fma_f32 v85, v85, v20, v6
	v_fma_f32 v84, v84, v21, v7
	v_mul_f32_e32 v6, 0x3fb8aa3b, v34
	v_mul_f32_e32 v7, 0x3fb8aa3b, v42
	v_exp_f32_e32 v12, v8
	v_mul_f32_e32 v8, 0x3fb8aa3b, v44
	v_exp_f32_e32 v6, v6
	v_exp_f32_e32 v7, v7
	;; [unrolled: 1-line block ×3, first 2 shown]
	v_accvgpr_read_b32 v9, a11
	v_accvgpr_read_b32 v17, a15
	;; [unrolled: 1-line block ×9, first 2 shown]
	v_fmac_f32_e32 v9, v113, v11
	v_pk_mul_f32 v[6:7], v[18:19], v[6:7] op_sel_hi:[0,1]
	v_pk_mul_f32 v[10:11], v[18:19], v[12:13] op_sel_hi:[0,1]
	s_add_i32 s58, s58, 64
	v_pk_fma_f32 v[46:47], v[46:47], v[6:7], v[14:15]
	v_pk_fma_f32 v[48:49], v[48:49], v[10:11], v[16:17]
	v_fma_f32 v82, v82, v6, v2
	v_fma_f32 v81, v81, v7, v3
	;; [unrolled: 1-line block ×3, first 2 shown]
	s_cmp_eq_u32 s47, s63
	v_fmac_f32_e32 v5, v112, v11
	s_cbranch_scc1 .LBB336_18
; %bb.17:                               ;   in Loop: Header=BB336_6 Depth=1
	s_mov_b32 s64, s63
	v_mov_b32_e32 v113, v9
	v_mov_b32_e32 v112, v5
	s_branch .LBB336_6
.LBB336_18:
	s_lshl_b32 s40, s47, 6
	s_sub_i32 s41, s12, s40
	s_cmp_gt_i32 s41, 0
	s_cbranch_scc0 .LBB336_83
; %bb.19:
	s_ashr_i32 s35, s48, 31
	s_ashr_i32 s2, s40, 31
	s_cmpk_lg_i32 s15, 0x80
	s_cselect_b64 s[26:27], -1, 0
	s_and_b64 vcc, exec, s[26:27]
	s_cbranch_vccz .LBB336_21
; %bb.20:
	s_mul_i32 s1, s48, s12
	s_mul_hi_i32 s0, s48, s12
	s_add_u32 s1, s1, s40
	s_addc_u32 s0, s0, s2
	s_mul_i32 s3, s1, s49
	s_mul_hi_u32 s20, s1, s14
	s_add_i32 s3, s20, s3
	s_mul_i32 s0, s0, s14
	s_add_i32 s3, s3, s0
	s_mul_i32 s1, s1, s14
	s_ashr_i32 s0, s52, 31
	s_add_u32 s38, s1, s52
	s_addc_u32 s39, s3, s0
	s_cbranch_execz .LBB336_22
	s_branch .LBB336_23
.LBB336_21:
                                        ; implicit-def: $sgpr38_sgpr39
.LBB336_22:
	s_mul_hi_i32 s0, s48, s14
	s_mul_i32 s48, s48, s14
	s_ashr_i32 s1, s52, 31
	s_add_u32 s3, s48, s52
	s_addc_u32 s0, s0, s1
	s_mul_i32 s1, s3, s46
	s_mul_hi_u32 s14, s3, s12
	s_add_i32 s1, s14, s1
	s_mul_i32 s0, s0, s12
	s_add_i32 s1, s1, s0
	s_mul_i32 s3, s3, s12
	s_add_u32 s38, s3, s40
	s_addc_u32 s39, s1, s2
.LBB336_23:
	s_add_i32 s3, s50, s47
	s_ashr_i32 s14, s33, 31
	s_add_u32 s0, s45, s33
	s_addc_u32 s1, s51, s14
	s_mul_i32 s20, s0, s46
	s_mul_hi_u32 s21, s0, s12
	s_add_i32 s20, s21, s20
	s_mul_i32 s1, s1, s12
	s_add_i32 s20, s20, s1
	s_mul_i32 s0, s0, s12
	s_add_u32 s0, s0, s40
	v_lshlrev_b32_e32 v8, 5, v65
	v_lshlrev_b32_e32 v22, 2, v45
	s_addc_u32 s1, s20, s2
	s_mov_b32 s2, 0x7060302
	v_or_b32_e32 v11, v8, v22
	v_xor_b32_e32 v4, v65, v22
	v_perm_b32 v3, v53, v52, s2
	v_perm_b32 v2, v51, v50, s2
	;; [unrolled: 1-line block ×4, first 2 shown]
	v_lshlrev_b32_e32 v11, 1, v11
	s_lshl_b64 s[24:25], s[0:1], 8
	v_xor_b32_e32 v10, v66, v22
	ds_write2st64_b64 v11, v[2:3], v[6:7] offset0:80 offset1:88
	v_lshlrev_b32_e32 v11, 1, v4
	v_lshlrev_b32_e32 v4, 8, v45
	s_add_u32 s0, s6, s24
	v_or_b32_e32 v12, v11, v4
	v_lshlrev_b32_e32 v10, 1, v10
	s_addc_u32 s1, s7, s25
	ds_write_b64 v12, v[2:3]
	v_or_b32_e32 v2, v10, v4
	s_mul_hi_i32 s6, s3, s13
	s_mul_i32 s3, s3, s13
	ds_write_b64 v2, v[6:7]
	v_perm_b32 v3, v9, v86, s2
	v_perm_b32 v2, v84, v85, s2
	;; [unrolled: 1-line block ×4, first 2 shown]
	v_or_b32_e32 v6, 16, v45
	s_add_u32 s2, s3, s33
	v_lshlrev_b32_e32 v19, 2, v6
	s_addc_u32 s3, s6, s14
	v_or_b32_e32 v7, v8, v19
	s_ashr_i32 s31, s30, 31
	s_lshl_b64 s[2:3], s[2:3], 15
	v_lshlrev_b32_e32 v7, 1, v7
	v_lshlrev_b32_e32 v6, 8, v6
	s_add_u32 s6, s36, s2
	ds_write2st64_b64 v7, v[2:3], v[4:5] offset0:80 offset1:88
	v_or_b32_e32 v7, v11, v6
	s_addc_u32 s7, s37, s3
	s_lshl_b64 s[2:3], s[30:31], 8
	ds_write_b64 v7, v[2:3]
	v_or_b32_e32 v2, v10, v6
	s_add_u32 s2, s6, s2
	ds_write_b64 v2, v[4:5]
	v_lshrrev_b32_e32 v2, 4, v0
	s_addc_u32 s3, s7, s3
	v_lshlrev_b32_e32 v3, 1, v45
	v_lshlrev_b32_e32 v10, 4, v45
	v_mov_b32_e32 v11, 0
	v_or_b32_e32 v4, 1, v3
	v_xor_b32_e32 v3, v2, v3
	v_lshl_add_u64 v[12:13], s[2:3], 0, v[10:11]
	v_lshlrev_b32_e32 v10, 8, v2
	v_xor_b32_e32 v6, v4, v2
	v_lshl_or_b32 v2, v3, 3, v10
	s_waitcnt lgkmcnt(0)
	s_barrier
	ds_read2st64_b64 v[2:5], v2 offset1:8
	v_lshl_or_b32 v6, v6, 3, v10
	ds_read2st64_b64 v[6:9], v6 offset1:8
	v_lshl_add_u64 v[14:15], v[12:13], 0, v[10:11]
	s_movk_i32 s2, 0x1000
	s_waitcnt lgkmcnt(1)
	v_mov_b32_e32 v10, v2
	v_add_co_u32_e32 v2, vcc, s2, v14
	s_cmp_lg_u32 s41, 64
	v_mov_b32_e32 v11, v3
	v_addc_co_u32_e32 v3, vcc, 0, v15, vcc
	s_cselect_b64 s[6:7], -1, 0
	v_lshl_or_b32 v23, v61, 3, v64
	s_waitcnt lgkmcnt(0)
	v_mov_b32_e32 v12, v6
	v_mov_b32_e32 v13, v7
	;; [unrolled: 1-line block ×4, first 2 shown]
	s_mov_b32 s20, 0
	v_or_b32_e32 v20, 32, v23
	v_and_b32_e32 v18, 56, v63
	s_and_b64 vcc, exec, s[6:7]
	global_store_dwordx4 v[14:15], v[10:13], off
	global_store_dwordx4 v[2:3], v[6:9], off
	s_cbranch_vccz .LBB336_29
; %bb.24:
	s_mov_b32 s21, s20
	s_mov_b32 s22, s20
	;; [unrolled: 1-line block ×3, first 2 shown]
	v_mov_b64_e32 v[6:7], s[20:21]
	v_mov_b64_e32 v[8:9], s[22:23]
	;; [unrolled: 1-line block ×3, first 2 shown]
	v_cmp_gt_i32_e32 vcc, s41, v23
	v_mov_b64_e32 v[4:5], v[8:9]
	s_and_saveexec_b64 s[2:3], vcc
	s_cbranch_execz .LBB336_26
; %bb.25:
	v_lshlrev_b32_e32 v2, 8, v23
	v_mov_b32_e32 v3, 0
	v_lshl_add_u64 v[4:5], s[0:1], 0, v[2:3]
	v_lshlrev_b32_e32 v2, 1, v18
	v_lshl_add_u64 v[10:11], v[4:5], 0, v[2:3]
	global_load_dwordx4 v[6:9], v[10:11], off
	global_load_dwordx4 v[2:5], v[10:11], off offset:128
.LBB336_26:
	s_or_b64 exec, exec, s[2:3]
	s_mov_b32 s21, s20
	s_mov_b32 s22, s20
	;; [unrolled: 1-line block ×3, first 2 shown]
	v_mov_b64_e32 v[14:15], s[20:21]
	v_mov_b64_e32 v[16:17], s[22:23]
	;; [unrolled: 1-line block ×3, first 2 shown]
	v_cmp_gt_i32_e32 vcc, s41, v20
	v_lshlrev_b32_e32 v21, 7, v20
	v_mov_b64_e32 v[12:13], v[16:17]
	s_and_saveexec_b64 s[2:3], vcc
	s_cbranch_execz .LBB336_28
; %bb.27:
	v_lshlrev_b32_e32 v10, 1, v21
	v_mov_b32_e32 v11, 0
	v_lshl_add_u64 v[12:13], s[0:1], 0, v[10:11]
	v_lshlrev_b32_e32 v10, 1, v18
	v_lshl_add_u64 v[24:25], v[12:13], 0, v[10:11]
	global_load_dwordx4 v[14:17], v[24:25], off
	global_load_dwordx4 v[10:13], v[24:25], off offset:128
.LBB336_28:
	s_or_b64 exec, exec, s[2:3]
	v_lshrrev_b32_e32 v24, 3, v18
	v_lshlrev_b32_e32 v25, 3, v23
	v_or_b32_e32 v24, v25, v24
	v_lshlrev_b32_e32 v24, 4, v24
	v_and_b32_e32 v25, 0x78, v25
	v_xor_b32_e32 v24, v24, v25
	s_branch .LBB336_31
.LBB336_29:
                                        ; implicit-def: $vgpr24
                                        ; implicit-def: $vgpr21
                                        ; implicit-def: $vgpr6_vgpr7_vgpr8_vgpr9
                                        ; implicit-def: $vgpr2_vgpr3_vgpr4_vgpr5
                                        ; implicit-def: $vgpr14_vgpr15_vgpr16_vgpr17
                                        ; implicit-def: $vgpr10_vgpr11_vgpr12_vgpr13
	s_cbranch_execz .LBB336_31
; %bb.30:
	s_waitcnt vmcnt(0)
	v_lshlrev_b32_e32 v2, 1, v18
	v_lshl_or_b32 v21, v23, 8, v2
	s_and_b32 s1, s1, 0xffff
	s_mov_b32 s3, 0x20000
	s_movk_i32 s2, 0x4000
	v_lshl_or_b32 v24, v20, 8, v2
	s_movk_i32 s13, 0x80
	buffer_load_dwordx4 v[6:9], v21, s[0:3], 0 offen
	buffer_load_dwordx4 v[2:5], v21, s[0:3], s13 offen
	;; [unrolled: 1-line block ×4, first 2 shown]
	v_lshrrev_b32_e32 v21, 3, v18
	v_lshlrev_b32_e32 v24, 3, v23
	v_or_b32_e32 v21, v24, v21
	v_lshlrev_b32_e32 v21, 4, v21
	v_and_b32_e32 v24, 0x78, v24
	v_xor_b32_e32 v24, v21, v24
	v_lshlrev_b32_e32 v21, 7, v20
.LBB336_31:
	s_lshl_b64 s[0:1], s[38:39], 8
	s_add_u32 s4, s4, s0
	s_movk_i32 s0, 0x1000
	v_and_or_b32 v20, v21, s0, v24
	s_waitcnt vmcnt(1)
	ds_write_b64 v24, v[6:7] offset:24576
	v_xor_b32_e32 v6, 8, v24
	ds_write_b64 v6, v[8:9] offset:24576
	s_waitcnt vmcnt(0)
	ds_write_b64 v24, v[2:3] offset:32768
	ds_write_b64 v6, v[4:5] offset:32768
	ds_write_b64 v20, v[14:15] offset:24576
	v_xor_b32_e32 v2, 8, v20
	ds_write_b64 v2, v[16:17] offset:24576
	ds_write_b64 v20, v[10:11] offset:32768
	;; [unrolled: 1-line block ×3, first 2 shown]
	v_or_b32_e32 v2, v1, v45
	v_lshlrev_b32_e32 v3, 11, v61
	v_lshlrev_b32_e32 v2, 3, v2
	v_and_b32_e32 v6, 0x1000, v3
	v_lshrrev_b32_e32 v3, 5, v60
	s_movk_i32 s13, 0xf8
	v_and_or_b32 v3, v2, s13, v3
	v_lshlrev_b32_e32 v7, 4, v3
	v_and_b32_e32 v8, 0x78, v2
	v_or_b32_e32 v10, 32, v7
	v_lshrrev_b32_e32 v3, 1, v60
	v_xor_b32_e32 v10, v10, v8
	v_xor_b32_e32 v2, v7, v8
	v_and_b32_e32 v9, 8, v3
	v_or_b32_e32 v10, v10, v6
	v_or_b32_e32 v2, v2, v6
	v_xor_b32_e32 v26, v10, v9
	v_or_b32_e32 v10, 64, v7
	v_xor_b32_e32 v25, v2, v9
	v_xor_b32_e32 v10, v10, v8
	s_waitcnt lgkmcnt(0)
	s_barrier
	v_or_b32_e32 v12, v10, v6
	ds_read_b64 v[10:11], v25 offset:24576
	v_lshl_or_b32 v20, v62, 7, v22
	v_lshlrev_b32_e32 v24, 1, v20
	v_add_u32_e32 v2, 0xa000, v24
	ds_read2_b64 v[2:5], v2 offset1:16
	v_or_b32_e32 v7, 0x60, v7
	v_xor_b32_e32 v7, v7, v8
	s_waitcnt lgkmcnt(0)
	v_mfma_f32_16x16x16_bf16 a[0:3], v[10:11], v[2:3], 0
	v_or_b32_e32 v2, 64, v20
	v_or_b32_e32 v6, v7, v6
	v_lshlrev_b32_e32 v29, 1, v2
	v_xor_b32_e32 v27, v12, v9
	v_xor_b32_e32 v28, v6, v9
	ds_read_b64 v[12:13], v26 offset:24576
	ds_read_b64 v[14:15], v27 offset:24576
	;; [unrolled: 1-line block ×3, first 2 shown]
	v_mfma_f32_16x16x16_bf16 a[4:7], v[10:11], v[4:5], 0
	ds_read2st64_b64 v[2:5], v29 offset0:82 offset1:84
	ds_read2st64_b64 v[6:9], v24 offset0:82 offset1:84
	s_addc_u32 s5, s5, s1
	s_add_i32 s2, s12, -1
	s_add_i32 s0, s44, s17
	s_mul_i32 s35, s35, s16
	s_add_i32 s35, s0, s35
	s_mul_i32 s0, s33, s19
	s_mul_hi_u32 s1, s33, s18
	s_ashr_i32 s3, s2, 31
	s_mul_i32 s12, s2, s29
	s_mul_hi_u32 s13, s2, s28
	s_add_i32 s0, s1, s0
	s_mul_i32 s1, s14, s18
	s_add_i32 s12, s13, s12
	s_mul_i32 s3, s3, s28
	s_waitcnt lgkmcnt(1)
	v_mfma_f32_16x16x16_bf16 a[4:7], v[12:13], v[2:3], a[4:7]
	s_add_i32 s1, s0, s1
	s_add_i32 s3, s12, s3
	s_lshl_b64 s[12:13], s[34:35], 2
	s_waitcnt lgkmcnt(0)
	v_mfma_f32_16x16x16_bf16 a[0:3], v[12:13], v[6:7], a[0:3]
	s_mul_i32 s0, s33, s18
	s_add_u32 s10, s10, s12
	s_addc_u32 s11, s11, s13
	s_lshl_b64 s[0:1], s[0:1], 2
	s_mul_i32 s2, s2, s28
	s_add_u32 s10, s10, s0
	ds_read_b64 v[2:3], v24 offset:44032
	v_mfma_f32_16x16x16_bf16 a[4:7], v[14:15], v[4:5], a[4:7]
	ds_read_b64 v[4:5], v29 offset:44032
	s_addc_u32 s11, s11, s1
	s_lshl_b64 s[0:1], s[2:3], 2
	v_mfma_f32_16x16x16_bf16 a[0:3], v[14:15], v[8:9], a[0:3]
	s_add_u32 s0, s10, s0
	s_addc_u32 s1, s11, s1
	s_load_dword s12, s[0:1], 0x0
	s_waitcnt lgkmcnt(0)
	v_mfma_f32_16x16x16_bf16 a[0:3], v[16:17], v[2:3], a[0:3]
	s_and_b64 vcc, exec, s[26:27]
	v_mfma_f32_16x16x16_bf16 a[4:7], v[16:17], v[4:5], a[4:7]
	s_cbranch_vccz .LBB336_42
; %bb.32:
	v_lshlrev_b32_e32 v20, 1, v23
	s_and_b64 vcc, exec, s[6:7]
	s_cbranch_vccz .LBB336_43
; %bb.33:
	v_cmp_gt_i32_e32 vcc, s41, v20
	v_mov_b32_e32 v6, 0
	v_mov_b32_e32 v2, 0
	;; [unrolled: 1-line block ×5, first 2 shown]
	s_and_saveexec_b64 s[0:1], vcc
	s_cbranch_execz .LBB336_35
; %bb.34:
	v_mad_i64_i32 v[2:3], s[2:3], s15, v20, 0
	v_lshl_add_u64 v[2:3], v[2:3], 1, s[4:5]
	v_lshlrev_b32_e32 v4, 1, v18
	v_mov_b32_e32 v5, 0
	v_lshl_add_u64 v[2:3], v[2:3], 0, v[4:5]
	global_load_dwordx4 v[2:5], v[2:3], off
.LBB336_35:
	s_or_b64 exec, exec, s[0:1]
	v_or_b32_e32 v21, 1, v20
	v_cmp_gt_i32_e64 s[0:1], s41, v21
	v_mov_b32_e32 v7, 0
	v_mov_b32_e32 v8, 0
	v_mov_b32_e32 v9, 0
	s_and_saveexec_b64 s[2:3], s[0:1]
	s_cbranch_execz .LBB336_37
; %bb.36:
	v_mad_i64_i32 v[6:7], s[16:17], s15, v21, 0
	v_lshl_add_u64 v[6:7], v[6:7], 1, s[4:5]
	v_lshlrev_b32_e32 v8, 1, v18
	v_mov_b32_e32 v9, 0
	v_lshl_add_u64 v[6:7], v[6:7], 0, v[8:9]
	global_load_dwordx4 v[6:9], v[6:7], off
.LBB336_37:
	s_or_b64 exec, exec, s[2:3]
	v_mov_b32_e32 v17, 0
	v_mov_b32_e32 v10, 0
	;; [unrolled: 1-line block ×5, first 2 shown]
	s_and_saveexec_b64 s[2:3], vcc
	s_cbranch_execz .LBB336_39
; %bb.38:
	v_mad_i64_i32 v[10:11], s[16:17], s15, v20, 0
	v_lshl_add_u64 v[10:11], v[10:11], 1, s[4:5]
	v_lshlrev_b32_e32 v12, 1, v18
	v_mov_b32_e32 v13, 0
	v_lshl_add_u64 v[10:11], v[10:11], 0, v[12:13]
	global_load_dwordx4 v[10:13], v[10:11], off offset:128
.LBB336_39:
	s_or_b64 exec, exec, s[2:3]
	v_mov_b32_e32 v16, 0
	v_mov_b32_e32 v15, 0
	;; [unrolled: 1-line block ×3, first 2 shown]
	s_and_saveexec_b64 s[2:3], s[0:1]
	s_cbranch_execz .LBB336_41
; %bb.40:
	v_mad_i64_i32 v[14:15], s[0:1], s15, v21, 0
	v_lshl_add_u64 v[14:15], v[14:15], 1, s[4:5]
	v_lshlrev_b32_e32 v16, 1, v18
	v_mov_b32_e32 v17, 0
	v_lshl_add_u64 v[14:15], v[14:15], 0, v[16:17]
	global_load_dwordx4 v[14:17], v[14:15], off offset:128
.LBB336_41:
	s_or_b64 exec, exec, s[2:3]
	s_branch .LBB336_45
.LBB336_42:
                                        ; implicit-def: $vgpr5
                                        ; implicit-def: $vgpr9
                                        ; implicit-def: $vgpr13
                                        ; implicit-def: $vgpr17
	v_lshrrev_b32_e32 v30, 2, v60
	s_branch .LBB336_46
.LBB336_43:
                                        ; implicit-def: $vgpr5
                                        ; implicit-def: $vgpr9
                                        ; implicit-def: $vgpr13
                                        ; implicit-def: $vgpr17
	s_cbranch_execz .LBB336_45
; %bb.44:
	s_waitcnt vmcnt(0)
	v_mad_u64_u32 v[2:3], s[0:1], v20, s15, v[18:19]
	v_lshlrev_b32_e32 v20, 1, v2
	s_lshl_b32 s2, s15, 7
	s_and_b32 s1, s5, 0xffff
	s_mov_b32 s3, 0x20000
	s_mov_b32 s0, s4
	v_add_lshl_u32 v21, v2, s15, 1
	s_movk_i32 s13, 0x80
	buffer_load_dwordx4 v[2:5], v20, s[0:3], 0 offen
	buffer_load_dwordx4 v[10:13], v20, s[0:3], s13 offen
	;; [unrolled: 1-line block ×4, first 2 shown]
.LBB336_45:
	v_lshrrev_b32_e32 v30, 2, v60
	s_cbranch_execnz .LBB336_58
.LBB336_46:
	s_and_b64 vcc, exec, s[6:7]
	s_cbranch_vccz .LBB336_56
; %bb.47:
	s_waitcnt vmcnt(0)
	v_lshlrev_b32_e32 v7, 1, v23
	v_cmp_gt_i32_e32 vcc, s41, v7
	v_mov_b32_e32 v6, 0
	v_lshlrev_b32_e32 v14, 9, v23
	v_mov_b32_e32 v2, 0
	v_mov_b32_e32 v3, 0
	;; [unrolled: 1-line block ×4, first 2 shown]
	s_and_saveexec_b64 s[0:1], vcc
	s_cbranch_execz .LBB336_49
; %bb.48:
	v_mov_b32_e32 v15, 0
	v_lshl_add_u64 v[2:3], s[4:5], 0, v[14:15]
	v_lshlrev_b32_e32 v4, 1, v18
	v_mov_b32_e32 v5, v15
	v_lshl_add_u64 v[2:3], v[2:3], 0, v[4:5]
	global_load_dwordx4 v[2:5], v[2:3], off
.LBB336_49:
	s_or_b64 exec, exec, s[0:1]
	v_or_b32_e32 v7, 1, v7
	v_cmp_gt_i32_e64 s[0:1], s41, v7
	v_lshlrev_b32_e32 v20, 8, v7
	v_mov_b32_e32 v7, 0
	v_mov_b32_e32 v8, 0
	v_mov_b32_e32 v9, 0
	s_and_saveexec_b64 s[2:3], s[0:1]
	s_cbranch_execz .LBB336_51
; %bb.50:
	v_mov_b32_e32 v21, 0
	v_lshl_add_u64 v[6:7], s[4:5], 0, v[20:21]
	v_lshlrev_b32_e32 v8, 1, v18
	v_mov_b32_e32 v9, v21
	v_lshl_add_u64 v[6:7], v[6:7], 0, v[8:9]
	global_load_dwordx4 v[6:9], v[6:7], off
.LBB336_51:
	s_or_b64 exec, exec, s[2:3]
	v_mov_b32_e32 v17, 0
	v_mov_b32_e32 v10, 0
	;; [unrolled: 1-line block ×5, first 2 shown]
	s_and_saveexec_b64 s[2:3], vcc
	s_cbranch_execz .LBB336_53
; %bb.52:
	v_mov_b32_e32 v15, 0
	v_lshl_add_u64 v[10:11], s[4:5], 0, v[14:15]
	v_lshlrev_b32_e32 v14, 1, v18
	v_lshl_add_u64 v[10:11], v[10:11], 0, v[14:15]
	global_load_dwordx4 v[10:13], v[10:11], off offset:128
.LBB336_53:
	s_or_b64 exec, exec, s[2:3]
	v_mov_b32_e32 v16, 0
	v_mov_b32_e32 v15, 0
	v_mov_b32_e32 v14, 0
	s_and_saveexec_b64 s[2:3], s[0:1]
	s_cbranch_execz .LBB336_55
; %bb.54:
	v_mov_b32_e32 v21, 0
	v_lshl_add_u64 v[14:15], s[4:5], 0, v[20:21]
	v_lshlrev_b32_e32 v20, 1, v18
	v_lshl_add_u64 v[14:15], v[14:15], 0, v[20:21]
	global_load_dwordx4 v[14:17], v[14:15], off offset:128
.LBB336_55:
	s_or_b64 exec, exec, s[2:3]
	s_branch .LBB336_58
.LBB336_56:
                                        ; implicit-def: $vgpr5
                                        ; implicit-def: $vgpr9
                                        ; implicit-def: $vgpr13
                                        ; implicit-def: $vgpr17
	s_cbranch_execz .LBB336_58
; %bb.57:
	s_waitcnt vmcnt(0)
	v_lshlrev_b32_e32 v2, 1, v18
	v_lshl_or_b32 v18, v23, 9, v2
	s_and_b32 s5, s5, 0xffff
	s_mov_b32 s7, 0x20000
	s_movk_i32 s6, 0x4000
	s_movk_i32 s0, 0x80
	buffer_load_dwordx4 v[2:5], v18, s[4:7], 0 offen
	buffer_load_dwordx4 v[6:9], v18, s[4:7], 0 offen offset:256
	buffer_load_dwordx4 v[10:13], v18, s[4:7], s0 offen
	buffer_load_dwordx4 v[14:17], v18, s[4:7], s0 offen offset:256
.LBB336_58:
	ds_read_b64 v[20:21], v25 offset:32768
	v_add_u32_e32 v18, 0xb000, v24
	ds_read2_b64 v[32:35], v18 offset1:16
	ds_read_b64 v[40:41], v26 offset:32768
	ds_read_b64 v[26:27], v27 offset:32768
	ds_read_b64 v[42:43], v28 offset:32768
	v_and_b32_e32 v18, 6, v0
	v_xor_b32_e32 v23, v23, v18
	v_lshlrev_b32_e32 v23, 2, v23
	v_and_b32_e32 v0, 1, v0
	v_xor_b32_e32 v28, 0x440, v23
	v_cmp_eq_u32_e32 vcc, 0, v0
	s_waitcnt lgkmcnt(3)
	v_mfma_f32_16x16x16_bf16 a[0:3], v[20:21], v[32:33], a[0:3]
	s_mov_b32 s0, 0x1000504
	v_cndmask_b32_e32 v0, v28, v23, vcc
	v_lshl_or_b32 v0, v18, 10, v0
	v_mfma_f32_16x16x16_bf16 a[4:7], v[20:21], v[34:35], a[4:7]
	ds_read2st64_b64 v[32:35], v24 offset0:90 offset1:92
	ds_read2st64_b64 v[36:39], v29 offset0:90 offset1:92
	ds_read_b64 v[20:21], v24 offset:48128
	ds_read_b64 v[24:25], v29 offset:48128
	s_waitcnt vmcnt(0)
	v_perm_b32 v18, v2, v6, s0
	s_waitcnt lgkmcnt(3)
	v_mfma_f32_16x16x16_bf16 a[0:3], v[40:41], v[32:33], a[0:3]
	s_mov_b32 s1, 0x3020706
	v_perm_b32 v2, v2, v6, s1
	v_perm_b32 v6, v10, v14, s1
	s_waitcnt lgkmcnt(2)
	v_mfma_f32_16x16x16_bf16 a[4:7], v[40:41], v[36:37], a[4:7]
	v_mfma_f32_16x16x16_bf16 a[0:3], v[26:27], v[34:35], a[0:3]
	;; [unrolled: 1-line block ×3, first 2 shown]
	s_waitcnt lgkmcnt(1)
	v_mfma_f32_16x16x16_bf16 a[4:7], v[42:43], v[20:21], a[0:3]
	v_perm_b32 v20, v10, v14, s0
	ds_write2st64_b32 v0, v18, v20 offset0:32 offset1:64
	v_xor_b32_e32 v18, 8, v0
	v_add_u32_e32 v10, 0x80, v18
	ds_write2st64_b32 v10, v2, v6 offset0:32 offset1:64
	v_xor_b32_e32 v2, 16, v0
	v_perm_b32 v6, v3, v7, s0
	v_perm_b32 v10, v11, v15, s0
	ds_write2st64_b32 v2, v6, v10 offset0:33 offset1:65
	v_xor_b32_e32 v2, 24, v0
	v_perm_b32 v3, v3, v7, s1
	v_perm_b32 v6, v11, v15, s1
	v_add_u32_e32 v2, 0x80, v2
	ds_write2st64_b32 v2, v3, v6 offset0:33 offset1:65
	v_xor_b32_e32 v2, 32, v0
	v_perm_b32 v3, v4, v8, s0
	v_perm_b32 v6, v12, v16, s0
	ds_write2st64_b32 v2, v3, v6 offset0:34 offset1:66
	v_xor_b32_e32 v2, 40, v0
	s_waitcnt lgkmcnt(5)
	v_mfma_f32_16x16x16_bf16 a[0:3], v[42:43], v[24:25], a[8:11]
	v_perm_b32 v3, v4, v8, s1
	v_perm_b32 v4, v12, v16, s1
	v_add_u32_e32 v2, 0x80, v2
	ds_write2st64_b32 v2, v3, v4 offset0:34 offset1:66
	v_xor_b32_e32 v2, 48, v0
	v_perm_b32 v3, v5, v9, s0
	v_perm_b32 v4, v13, v17, s0
	ds_write2st64_b32 v2, v3, v4 offset0:35 offset1:67
	v_xor_b32_e32 v0, 56, v0
	v_perm_b32 v3, v13, v17, s1
	v_and_or_b32 v17, v30, 12, v1
	v_perm_b32 v2, v5, v9, s1
	v_add_u32_e32 v0, 0x80, v0
	v_cmp_gt_i32_e32 vcc, s41, v17
	v_mov_b32_e32 v14, 0
	v_mov_b32_e32 v16, 0
	ds_write2st64_b32 v0, v2, v3 offset0:35 offset1:67
	s_and_saveexec_b64 s[0:1], vcc
	s_cbranch_execz .LBB336_60
; %bb.59:
	v_add_u32_e32 v0, s40, v17
	v_ashrrev_i32_e32 v1, 31, v0
	v_mul_lo_u32 v2, v1, s28
	v_mul_lo_u32 v3, v0, s29
	v_mad_u64_u32 v[0:1], s[2:3], v0, s28, 0
	v_add3_u32 v1, v1, v3, v2
	v_lshl_add_u64 v[0:1], v[0:1], 2, s[10:11]
	global_load_dword v0, v[0:1], off
	s_waitcnt vmcnt(0)
	v_sub_f32_e32 v0, s12, v0
	v_mul_f32_e32 v0, 0x3fb8aa3b, v0
	v_exp_f32_e32 v16, v0
.LBB336_60:
	s_or_b64 exec, exec, s[0:1]
	v_or_b32_e32 v8, 1, v17
	v_cmp_gt_i32_e64 s[0:1], s41, v8
	s_and_saveexec_b64 s[2:3], s[0:1]
	s_cbranch_execz .LBB336_62
; %bb.61:
	v_add_u32_e32 v0, s40, v8
	v_ashrrev_i32_e32 v1, 31, v0
	v_mul_lo_u32 v2, v1, s28
	v_mul_lo_u32 v3, v0, s29
	v_mad_u64_u32 v[0:1], s[4:5], v0, s28, 0
	v_add3_u32 v1, v1, v3, v2
	v_lshl_add_u64 v[0:1], v[0:1], 2, s[10:11]
	global_load_dword v0, v[0:1], off
	s_waitcnt vmcnt(0)
	v_sub_f32_e32 v0, s12, v0
	v_mul_f32_e32 v0, 0x3fb8aa3b, v0
	v_exp_f32_e32 v14, v0
.LBB336_62:
	s_or_b64 exec, exec, s[2:3]
	v_or_b32_e32 v10, 2, v17
	v_cmp_gt_i32_e64 s[2:3], s41, v10
	v_mov_b32_e32 v15, 0
	v_mov_b32_e32 v18, 0
	s_and_saveexec_b64 s[4:5], s[2:3]
	s_cbranch_execz .LBB336_64
; %bb.63:
	v_add_u32_e32 v0, s40, v10
	v_ashrrev_i32_e32 v1, 31, v0
	v_mul_lo_u32 v2, v1, s28
	v_mul_lo_u32 v3, v0, s29
	v_mad_u64_u32 v[0:1], s[6:7], v0, s28, 0
	v_add3_u32 v1, v1, v3, v2
	v_lshl_add_u64 v[0:1], v[0:1], 2, s[10:11]
	global_load_dword v0, v[0:1], off
	s_waitcnt vmcnt(0)
	v_sub_f32_e32 v0, s12, v0
	v_mul_f32_e32 v0, 0x3fb8aa3b, v0
	v_exp_f32_e32 v18, v0
.LBB336_64:
	s_or_b64 exec, exec, s[4:5]
	v_or_b32_e32 v12, 3, v17
	v_cmp_gt_i32_e64 s[4:5], s41, v12
	s_and_saveexec_b64 s[6:7], s[4:5]
	s_cbranch_execz .LBB336_66
; %bb.65:
	v_add_u32_e32 v0, s40, v12
	v_ashrrev_i32_e32 v1, 31, v0
	v_mul_lo_u32 v2, v1, s28
	v_mul_lo_u32 v3, v0, s29
	v_mad_u64_u32 v[0:1], s[14:15], v0, s28, 0
	v_add3_u32 v1, v1, v3, v2
	v_lshl_add_u64 v[0:1], v[0:1], 2, s[10:11]
	global_load_dword v0, v[0:1], off
	s_waitcnt vmcnt(0)
	v_sub_f32_e32 v0, s12, v0
	v_mul_f32_e32 v0, 0x3fb8aa3b, v0
	v_exp_f32_e32 v15, v0
.LBB336_66:
	s_or_b64 exec, exec, s[6:7]
	v_or_b32_e32 v4, s30, v45
	s_add_u32 s6, s8, s24
	v_accvgpr_read_b32 v0, a4
	s_addc_u32 s7, s9, s25
	v_ashrrev_i32_e32 v5, 31, v4
	v_accvgpr_read_b32 v1, a5
	v_accvgpr_read_b32 v2, a6
	;; [unrolled: 1-line block ×3, first 2 shown]
	v_lshl_add_u64 v[4:5], v[4:5], 1, s[6:7]
	v_mov_b32_e32 v9, 0
	v_lshlrev_b32_e32 v6, 8, v17
	v_mov_b32_e32 v7, 0
	s_and_saveexec_b64 s[6:7], vcc
	s_cbranch_execz .LBB336_68
; %bb.67:
	v_mov_b32_e32 v7, 0
	v_lshl_add_u64 v[20:21], v[4:5], 0, v[6:7]
	global_load_ushort v7, v[20:21], off
	s_waitcnt vmcnt(0)
	v_lshlrev_b32_e32 v7, 16, v7
	v_sub_f32_e32 v0, v7, v0
	v_mul_f32_e32 v0, v16, v0
	v_lshrrev_b32_e32 v7, 16, v0
.LBB336_68:
	s_or_b64 exec, exec, s[6:7]
	v_lshlrev_b32_e32 v8, 8, v8
	s_and_saveexec_b64 s[6:7], s[0:1]
	s_cbranch_execz .LBB336_70
; %bb.69:
	v_mov_b32_e32 v9, 0
	v_lshl_add_u64 v[20:21], v[4:5], 0, v[8:9]
	global_load_ushort v0, v[20:21], off
	s_waitcnt vmcnt(0)
	v_lshlrev_b32_e32 v0, 16, v0
	v_sub_f32_e32 v0, v0, v1
	v_mul_f32_e32 v0, v14, v0
	v_lshrrev_b32_e32 v9, 16, v0
.LBB336_70:
	s_or_b64 exec, exec, s[6:7]
	v_mov_b32_e32 v13, 0
	v_lshlrev_b32_e32 v10, 8, v10
	v_mov_b32_e32 v11, 0
	s_and_saveexec_b64 s[6:7], s[2:3]
	s_cbranch_execz .LBB336_72
; %bb.71:
	v_mov_b32_e32 v11, 0
	v_lshl_add_u64 v[0:1], v[4:5], 0, v[10:11]
	global_load_ushort v0, v[0:1], off
	s_waitcnt vmcnt(0)
	v_lshlrev_b32_e32 v0, 16, v0
	v_sub_f32_e32 v0, v0, v2
	v_mul_f32_e32 v0, v18, v0
	v_lshrrev_b32_e32 v11, 16, v0
.LBB336_72:
	s_or_b64 exec, exec, s[6:7]
	v_lshlrev_b32_e32 v12, 8, v12
	s_and_saveexec_b64 s[6:7], s[4:5]
	s_cbranch_execz .LBB336_74
; %bb.73:
	v_mov_b32_e32 v13, 0
	v_lshl_add_u64 v[0:1], v[4:5], 0, v[12:13]
	global_load_ushort v0, v[0:1], off
	s_waitcnt vmcnt(0)
	v_lshlrev_b32_e32 v0, 16, v0
	v_sub_f32_e32 v0, v0, v3
	v_mul_f32_e32 v0, v15, v0
	v_lshrrev_b32_e32 v13, 16, v0
.LBB336_74:
	s_or_b64 exec, exec, s[6:7]
	v_lshlrev_b32_e32 v17, 5, v17
	s_mov_b32 s6, 0x5040100
	v_perm_b32 v20, v9, v7, s6
	v_or_b32_e32 v7, v17, v22
	v_accvgpr_read_b32 v0, a0
	v_perm_b32 v21, v13, v11, s6
	v_lshlrev_b32_e32 v7, 1, v7
	v_accvgpr_read_b32 v1, a1
	v_accvgpr_read_b32 v2, a2
	;; [unrolled: 1-line block ×3, first 2 shown]
	ds_write_b64 v7, v[20:21] offset:45056
	v_mov_b32_e32 v9, 0
	v_mov_b32_e32 v7, 0
	s_and_saveexec_b64 s[6:7], vcc
	s_cbranch_execz .LBB336_76
; %bb.75:
	v_mov_b32_e32 v7, 0
	v_lshl_add_u64 v[6:7], v[4:5], 0, v[6:7]
	global_load_ushort v6, v[6:7], off offset:32
	s_waitcnt vmcnt(0)
	v_lshlrev_b32_e32 v6, 16, v6
	v_sub_f32_e32 v0, v6, v0
	v_mul_f32_e32 v0, v16, v0
	v_lshrrev_b32_e32 v7, 16, v0
.LBB336_76:
	s_or_b64 exec, exec, s[6:7]
	s_and_saveexec_b64 s[6:7], s[0:1]
	s_cbranch_execz .LBB336_78
; %bb.77:
	v_mov_b32_e32 v9, 0
	v_lshl_add_u64 v[8:9], v[4:5], 0, v[8:9]
	global_load_ushort v0, v[8:9], off offset:32
	s_waitcnt vmcnt(0)
	v_lshlrev_b32_e32 v0, 16, v0
	v_sub_f32_e32 v0, v0, v1
	v_mul_f32_e32 v0, v14, v0
	v_lshrrev_b32_e32 v9, 16, v0
.LBB336_78:
	s_or_b64 exec, exec, s[6:7]
	v_mov_b32_e32 v0, 0
	v_mov_b32_e32 v1, 0
	s_and_saveexec_b64 s[0:1], s[2:3]
	s_cbranch_execz .LBB336_80
; %bb.79:
	v_mov_b32_e32 v11, 0
	v_lshl_add_u64 v[10:11], v[4:5], 0, v[10:11]
	global_load_ushort v1, v[10:11], off offset:32
	s_waitcnt vmcnt(0)
	v_lshlrev_b32_e32 v1, 16, v1
	v_sub_f32_e32 v1, v1, v2
	v_mul_f32_e32 v1, v18, v1
	v_lshrrev_b32_e32 v1, 16, v1
.LBB336_80:
	s_or_b64 exec, exec, s[0:1]
	s_and_saveexec_b64 s[0:1], s[4:5]
	s_cbranch_execz .LBB336_82
; %bb.81:
	v_mov_b32_e32 v13, 0
	v_lshl_add_u64 v[4:5], v[4:5], 0, v[12:13]
	global_load_ushort v0, v[4:5], off offset:32
	s_waitcnt vmcnt(0)
	v_lshlrev_b32_e32 v0, 16, v0
	v_sub_f32_e32 v0, v0, v3
	v_mul_f32_e32 v0, v15, v0
	v_lshrrev_b32_e32 v0, 16, v0
.LBB336_82:
	s_or_b64 exec, exec, s[0:1]
	s_mov_b32 s0, 0x5040100
	v_or_b32_e32 v2, v17, v19
	v_perm_b32 v1, v0, v1, s0
	v_perm_b32 v0, v9, v7, s0
	v_lshlrev_b32_e32 v2, 1, v2
	ds_write_b64 v2, v[0:1] offset:45056
	s_waitcnt lgkmcnt(0)
	s_barrier
.LBB336_83:
	s_endpgm
	.section	.rodata,"a",@progbits
	.p2align	6, 0x0
	.amdhsa_kernel _ZN12_GLOBAL__N_139chunk_gated_delta_rule_fwd_h_hip_kernelILi32ELb0ELb0ELb0ELb0ELb0ELb1ELb1ELb1EEEvPK12hip_bfloat16S3_S3_PKfS5_PKvPS1_S8_PvPKiSB_iiiiilll
		.amdhsa_group_segment_fixed_size 49152
		.amdhsa_private_segment_fixed_size 0
		.amdhsa_kernarg_size 136
		.amdhsa_user_sgpr_count 2
		.amdhsa_user_sgpr_dispatch_ptr 0
		.amdhsa_user_sgpr_queue_ptr 0
		.amdhsa_user_sgpr_kernarg_segment_ptr 1
		.amdhsa_user_sgpr_dispatch_id 0
		.amdhsa_user_sgpr_kernarg_preload_length 0
		.amdhsa_user_sgpr_kernarg_preload_offset 0
		.amdhsa_user_sgpr_private_segment_size 0
		.amdhsa_uses_dynamic_stack 0
		.amdhsa_enable_private_segment 0
		.amdhsa_system_sgpr_workgroup_id_x 1
		.amdhsa_system_sgpr_workgroup_id_y 1
		.amdhsa_system_sgpr_workgroup_id_z 0
		.amdhsa_system_sgpr_workgroup_info 0
		.amdhsa_system_vgpr_workitem_id 0
		.amdhsa_next_free_vgpr 164
		.amdhsa_next_free_sgpr 65
		.amdhsa_accum_offset 140
		.amdhsa_reserve_vcc 1
		.amdhsa_float_round_mode_32 0
		.amdhsa_float_round_mode_16_64 0
		.amdhsa_float_denorm_mode_32 3
		.amdhsa_float_denorm_mode_16_64 3
		.amdhsa_dx10_clamp 1
		.amdhsa_ieee_mode 1
		.amdhsa_fp16_overflow 0
		.amdhsa_tg_split 0
		.amdhsa_exception_fp_ieee_invalid_op 0
		.amdhsa_exception_fp_denorm_src 0
		.amdhsa_exception_fp_ieee_div_zero 0
		.amdhsa_exception_fp_ieee_overflow 0
		.amdhsa_exception_fp_ieee_underflow 0
		.amdhsa_exception_fp_ieee_inexact 0
		.amdhsa_exception_int_div_zero 0
	.end_amdhsa_kernel
	.section	.text._ZN12_GLOBAL__N_139chunk_gated_delta_rule_fwd_h_hip_kernelILi32ELb0ELb0ELb0ELb0ELb0ELb1ELb1ELb1EEEvPK12hip_bfloat16S3_S3_PKfS5_PKvPS1_S8_PvPKiSB_iiiiilll,"axG",@progbits,_ZN12_GLOBAL__N_139chunk_gated_delta_rule_fwd_h_hip_kernelILi32ELb0ELb0ELb0ELb0ELb0ELb1ELb1ELb1EEEvPK12hip_bfloat16S3_S3_PKfS5_PKvPS1_S8_PvPKiSB_iiiiilll,comdat
.Lfunc_end336:
	.size	_ZN12_GLOBAL__N_139chunk_gated_delta_rule_fwd_h_hip_kernelILi32ELb0ELb0ELb0ELb0ELb0ELb1ELb1ELb1EEEvPK12hip_bfloat16S3_S3_PKfS5_PKvPS1_S8_PvPKiSB_iiiiilll, .Lfunc_end336-_ZN12_GLOBAL__N_139chunk_gated_delta_rule_fwd_h_hip_kernelILi32ELb0ELb0ELb0ELb0ELb0ELb1ELb1ELb1EEEvPK12hip_bfloat16S3_S3_PKfS5_PKvPS1_S8_PvPKiSB_iiiiilll
                                        ; -- End function
	.section	.AMDGPU.csdata,"",@progbits
; Kernel info:
; codeLenInByte = 8732
; NumSgprs: 71
; NumVgprs: 140
; NumAgprs: 24
; TotalNumVgprs: 164
; ScratchSize: 0
; MemoryBound: 0
; FloatMode: 240
; IeeeMode: 1
; LDSByteSize: 49152 bytes/workgroup (compile time only)
; SGPRBlocks: 8
; VGPRBlocks: 20
; NumSGPRsForWavesPerEU: 71
; NumVGPRsForWavesPerEU: 164
; AccumOffset: 140
; Occupancy: 1
; WaveLimiterHint : 1
; COMPUTE_PGM_RSRC2:SCRATCH_EN: 0
; COMPUTE_PGM_RSRC2:USER_SGPR: 2
; COMPUTE_PGM_RSRC2:TRAP_HANDLER: 0
; COMPUTE_PGM_RSRC2:TGID_X_EN: 1
; COMPUTE_PGM_RSRC2:TGID_Y_EN: 1
; COMPUTE_PGM_RSRC2:TGID_Z_EN: 0
; COMPUTE_PGM_RSRC2:TIDIG_COMP_CNT: 0
; COMPUTE_PGM_RSRC3_GFX90A:ACCUM_OFFSET: 34
; COMPUTE_PGM_RSRC3_GFX90A:TG_SPLIT: 0
	.section	.text._ZN12_GLOBAL__N_139chunk_gated_delta_rule_fwd_h_hip_kernelILi32ELb1ELb1ELb1ELb1ELb0ELb1ELb0ELb1EEEvPK12hip_bfloat16S3_S3_PKfS5_PKvPS1_S8_PvPKiSB_iiiiilll,"axG",@progbits,_ZN12_GLOBAL__N_139chunk_gated_delta_rule_fwd_h_hip_kernelILi32ELb1ELb1ELb1ELb1ELb0ELb1ELb0ELb1EEEvPK12hip_bfloat16S3_S3_PKfS5_PKvPS1_S8_PvPKiSB_iiiiilll,comdat
	.globl	_ZN12_GLOBAL__N_139chunk_gated_delta_rule_fwd_h_hip_kernelILi32ELb1ELb1ELb1ELb1ELb0ELb1ELb0ELb1EEEvPK12hip_bfloat16S3_S3_PKfS5_PKvPS1_S8_PvPKiSB_iiiiilll ; -- Begin function _ZN12_GLOBAL__N_139chunk_gated_delta_rule_fwd_h_hip_kernelILi32ELb1ELb1ELb1ELb1ELb0ELb1ELb0ELb1EEEvPK12hip_bfloat16S3_S3_PKfS5_PKvPS1_S8_PvPKiSB_iiiiilll
	.p2align	8
	.type	_ZN12_GLOBAL__N_139chunk_gated_delta_rule_fwd_h_hip_kernelILi32ELb1ELb1ELb1ELb1ELb0ELb1ELb0ELb1EEEvPK12hip_bfloat16S3_S3_PKfS5_PKvPS1_S8_PvPKiSB_iiiiilll,@function
_ZN12_GLOBAL__N_139chunk_gated_delta_rule_fwd_h_hip_kernelILi32ELb1ELb1ELb1ELb1ELb0ELb1ELb0ELb1EEEvPK12hip_bfloat16S3_S3_PKfS5_PKvPS1_S8_PvPKiSB_iiiiilll: ; @_ZN12_GLOBAL__N_139chunk_gated_delta_rule_fwd_h_hip_kernelILi32ELb1ELb1ELb1ELb1ELb0ELb1ELb0ELb1EEEvPK12hip_bfloat16S3_S3_PKfS5_PKvPS1_S8_PvPKiSB_iiiiilll
; %bb.0:
	s_load_dwordx4 s[28:31], s[0:1], 0x5c
	s_load_dwordx4 s[4:7], s[0:1], 0x70
	s_abs_i32 s11, s3
	s_ashr_i32 s10, s3, 31
	s_load_dwordx4 s[24:27], s[0:1], 0x40
	s_load_dwordx2 s[8:9], s[0:1], 0x50
	s_waitcnt lgkmcnt(0)
	s_abs_i32 s14, s29
	v_cvt_f32_u32_e32 v1, s14
	s_sub_i32 s12, 0, s14
	s_ashr_i32 s15, s29, 31
	s_xor_b32 s10, s10, s15
	v_rcp_iflag_f32_e32 v1, v1
	v_and_b32_e32 v71, 15, v0
	v_bfe_u32 v70, v0, 4, 2
	v_mov_b32_e32 v55, 0
	v_mul_f32_e32 v1, 0x4f7ffffe, v1
	v_cvt_u32_f32_e32 v1, v1
	v_lshlrev_b32_e32 v72, 3, v0
	v_readfirstlane_b32 s13, v1
	s_mul_i32 s12, s12, s13
	s_mul_hi_u32 s12, s13, s12
	s_add_i32 s13, s13, s12
	s_mul_hi_u32 s12, s11, s13
	s_mul_i32 s13, s12, s14
	s_sub_i32 s11, s11, s13
	s_add_i32 s16, s12, 1
	s_sub_i32 s13, s11, s14
	s_cmp_ge_u32 s11, s14
	s_cselect_b32 s12, s16, s12
	s_cselect_b32 s11, s13, s11
	s_add_i32 s13, s12, 1
	s_cmp_ge_u32 s11, s14
	s_cselect_b32 s11, s13, s12
	s_xor_b32 s11, s11, s10
	s_sub_i32 s36, s11, s10
	s_mul_i32 s16, s36, s29
	s_ashr_i32 s37, s36, 31
	s_sub_i32 s33, s3, s16
	s_lshl_b64 s[10:11], s[36:37], 2
	s_add_u32 s12, s26, s10
	s_addc_u32 s13, s27, s11
	s_add_u32 s38, s8, s10
	s_addc_u32 s39, s9, s11
	s_abs_i32 s3, s30
	v_cvt_f32_u32_e32 v1, s3
	s_load_dwordx2 s[34:35], s[12:13], 0x0
	s_sub_i32 s9, 0, s3
	s_lshl_b32 s2, s2, 5
	v_rcp_iflag_f32_e32 v1, v1
	v_or_b32_e32 v60, s2, v71
	s_waitcnt lgkmcnt(0)
	s_sub_i32 s56, s35, s34
	s_ashr_i32 s8, s56, 31
	v_mul_f32_e32 v1, 0x4f7ffffe, v1
	v_cvt_u32_f32_e32 v1, v1
	s_lshr_b32 s8, s8, 26
	s_add_i32 s8, s56, s8
	s_ashr_i32 s55, s8, 6
	v_readfirstlane_b32 s10, v1
	s_mul_i32 s9, s9, s10
	s_mul_hi_u32 s9, s10, s9
	s_add_i32 s10, s10, s9
	s_mul_hi_u32 s9, s14, s10
	s_mul_i32 s10, s9, s3
	s_ashr_i32 s8, s30, 31
	s_sub_i32 s10, s14, s10
	s_xor_b32 s8, s15, s8
	s_add_i32 s11, s9, 1
	s_sub_i32 s12, s10, s3
	s_cmp_ge_u32 s10, s3
	s_cselect_b32 s9, s11, s9
	s_cselect_b32 s10, s12, s10
	s_add_i32 s11, s9, 1
	s_cmp_ge_u32 s10, s3
	s_cselect_b32 s3, s11, s9
	s_xor_b32 s3, s3, s8
	s_sub_i32 s3, s3, s8
	s_abs_i32 s17, s3
	v_cvt_f32_u32_e32 v1, s17
	s_sub_i32 s19, 0, s17
	s_abs_i32 s18, s33
	s_xor_b32 s3, s33, s3
	v_rcp_iflag_f32_e32 v2, v1
	s_ashr_i32 s3, s3, 31
	s_load_dwordx8 s[8:15], s[0:1], 0x20
	v_lshrrev_b32_e32 v1, 6, v0
	v_mul_f32_e32 v2, 0x4f7ffffe, v2
	v_cvt_u32_f32_e32 v2, v2
	v_lshlrev_b32_e32 v53, 4, v1
	v_lshlrev_b32_e32 v56, 7, v60
	v_lshl_or_b32 v74, v70, 2, v53
	v_readfirstlane_b32 s20, v2
	s_mul_i32 s19, s19, s20
	s_mul_hi_u32 s19, s20, s19
	s_add_i32 s20, s20, s19
	s_mul_hi_u32 s19, s18, s20
	s_mul_i32 s20, s19, s17
	s_sub_i32 s18, s18, s20
	s_add_i32 s20, s19, 1
	s_sub_i32 s21, s18, s17
	s_cmp_ge_u32 s18, s17
	s_cselect_b32 s19, s20, s19
	s_cselect_b32 s18, s21, s18
	s_add_i32 s20, s19, 1
	s_cmp_ge_u32 s18, s17
	s_cselect_b32 s17, s20, s19
	s_xor_b32 s17, s17, s3
	s_sub_i32 s57, s17, s3
	s_ashr_i32 s48, s33, 31
	s_mul_hi_i32 s3, s36, s29
	s_add_u32 s16, s16, s33
	s_addc_u32 s17, s3, s48
	s_lshl_b64 s[26:27], s[16:17], 15
	s_waitcnt lgkmcnt(0)
	s_add_u32 s10, s10, s26
	s_addc_u32 s11, s11, s27
	v_ashrrev_i32_e32 v57, 31, v56
	v_lshl_add_u64 v[2:3], v[56:57], 1, s[10:11]
	v_lshlrev_b32_e32 v54, 1, v74
	v_or_b32_e32 v58, 0x800, v56
	v_lshl_add_u64 v[2:3], v[2:3], 0, v[54:55]
	v_ashrrev_i32_e32 v59, 31, v58
	global_load_dwordx2 v[6:7], v[2:3], off
	global_load_dwordx2 v[10:11], v[2:3], off offset:128
	v_lshl_add_u64 v[2:3], v[58:59], 1, s[10:11]
	v_lshl_add_u64 v[2:3], v[2:3], 0, v[54:55]
	global_load_dwordx2 v[12:13], v[2:3], off
	global_load_dwordx2 v[14:15], v[2:3], off offset:128
	s_load_dwordx8 s[16:23], s[0:1], 0x0
	s_load_dwordx2 s[10:11], s[0:1], 0x80
	s_load_dword s60, s[38:39], 0x0
	v_and_b32_e32 v55, 63, v0
	v_lshrrev_b32_e32 v73, 3, v55
	v_or_b32_e32 v75, 64, v74
	s_mul_i32 s49, s36, s5
	s_mul_hi_u32 s50, s36, s4
	s_mul_i32 s40, s36, s4
	s_mul_i32 s51, s37, s4
	s_mul_hi_i32 s58, s33, s28
	s_mul_i32 s59, s33, s28
	s_mul_i32 s52, s33, s7
	s_mul_hi_u32 s53, s33, s6
	s_mul_i32 s54, s48, s6
	s_cmp_lt_i32 s56, 64
	s_mul_i32 s42, s33, s6
	s_waitcnt vmcnt(3)
	v_and_b32_e32 v3, 0xffff0000, v6
	v_lshlrev_b32_e32 v2, 16, v6
	v_and_b32_e32 v5, 0xffff0000, v7
	v_lshlrev_b32_e32 v4, 16, v7
	s_waitcnt vmcnt(2)
	v_and_b32_e32 v7, 0xffff0000, v10
	v_lshlrev_b32_e32 v6, 16, v10
	v_and_b32_e32 v9, 0xffff0000, v11
	v_lshlrev_b32_e32 v8, 16, v11
	s_waitcnt vmcnt(1)
	v_and_b32_e32 v77, 0xffff0000, v12
	v_lshlrev_b32_e32 v76, 16, v12
	v_and_b32_e32 v87, 0xffff0000, v13
	v_lshlrev_b32_e32 v78, 16, v13
	s_waitcnt vmcnt(0)
	v_and_b32_e32 v80, 0xffff0000, v14
	v_lshlrev_b32_e32 v79, 16, v14
	v_and_b32_e32 v84, 0xffff0000, v15
	v_lshlrev_b32_e32 v81, 16, v15
	s_cbranch_scc1 .LBB337_3
; %bb.1:
	s_ashr_i32 s1, s34, 31
	s_add_u32 s0, s59, s34
	s_addc_u32 s1, s58, s1
	s_lshl_b64 s[0:1], s[0:1], 8
	v_and_b32_e32 v83, 56, v72
	s_waitcnt lgkmcnt(0)
	s_add_u32 s4, s18, s0
	v_lshl_or_b32 v82, v1, 3, v73
	v_lshlrev_b32_e32 v10, 1, v83
	s_addc_u32 s0, s19, s1
	v_lshl_or_b32 v85, v82, 8, v10
	s_and_b32 s5, s0, 0xffff
	s_mov_b32 s7, 0x20000
	s_movk_i32 s6, 0x4000
	s_movk_i32 s0, 0x80
	v_or_b32_e32 v86, 0x2000, v85
	buffer_load_dwordx4 v[12:15], v85, s[4:7], 0 offen
	buffer_load_dwordx4 v[16:19], v85, s[4:7], s0 offen
	buffer_load_dwordx4 v[20:23], v86, s[4:7], 0 offen
	buffer_load_dwordx4 v[24:27], v86, s[4:7], s0 offen
	v_lshlrev_b32_e32 v11, 3, v82
	v_and_or_b32 v29, v0, 7, v11
	v_and_b32_e32 v11, 0x78, v11
	v_lshlrev_b32_e32 v29, 4, v29
	v_xor_b32_e32 v88, v29, v11
	v_mul_lo_u32 v28, v82, s31
	v_or_b32_e32 v89, 0x1000, v88
	v_xor_b32_e32 v11, 8, v88
	s_cmpk_eq_i32 s31, 0x80
	s_mov_b32 s61, s34
	v_xor_b32_e32 v29, 8, v89
	s_cselect_b64 s[0:1], -1, 0
	s_cmpk_lg_i32 s31, 0x80
	s_waitcnt vmcnt(3)
	ds_write_b64 v88, v[12:13] offset:24576
	ds_write_b64 v11, v[14:15] offset:24576
	s_waitcnt vmcnt(2)
	ds_write_b64 v88, v[16:17] offset:32768
	ds_write_b64 v11, v[18:19] offset:32768
	;; [unrolled: 3-line block ×4, first 2 shown]
	v_lshl_add_u32 v11, v28, 1, v83
	s_cbranch_scc0 .LBB337_4
; %bb.2:
	v_lshlrev_b32_e32 v13, 1, v11
	v_add_lshl_u32 v12, v11, s31, 1
	s_lshl_b32 s6, s31, 7
	v_lshl_or_b32 v10, v82, 9, v10
	s_cbranch_execz .LBB337_5
	s_branch .LBB337_6
.LBB337_3:
	v_mov_b32_e32 v17, v84
	v_mov_b32_e32 v16, v81
	v_mov_b32_e32 v15, v80
	v_mov_b32_e32 v14, v79
	v_mov_b32_e32 v13, v87
	s_branch .LBB337_20
.LBB337_4:
                                        ; implicit-def: $vgpr12
                                        ; implicit-def: $vgpr13
                                        ; implicit-def: $sgpr6
	v_lshl_or_b32 v10, v82, 9, v10
.LBB337_5:
	v_or_b32_e32 v12, 0x100, v10
	s_movk_i32 s6, 0x4000
	v_mov_b32_e32 v13, v10
.LBB337_6:
	s_mul_i32 s4, s34, s30
	s_ashr_i32 s62, s57, 31
	s_mul_hi_i32 s3, s34, s30
	s_add_u32 s4, s4, s57
	s_addc_u32 s5, s3, s62
	s_lshl_b64 s[4:5], s[4:5], 8
	s_add_u32 s4, s16, s4
	s_addc_u32 s3, s17, s5
	s_and_b32 s5, s3, 0xffff
	s_movk_i32 s63, 0x80
	buffer_load_dwordx4 v[14:17], v13, s[4:7], 0 offen
	buffer_load_dwordx4 v[18:21], v13, s[4:7], s63 offen
	;; [unrolled: 1-line block ×4, first 2 shown]
	v_and_b32_e32 v12, 6, v0
	v_lshlrev_b32_e32 v31, 6, v74
	v_or_b32_e32 v33, 16, v71
	v_xor_b32_e32 v34, v82, v12
	v_and_b32_e32 v13, 1, v0
	v_lshl_or_b32 v37, v71, 3, v31
	v_lshl_or_b32 v31, v33, 3, v31
	v_lshlrev_b32_e32 v34, 2, v34
	v_lshlrev_b32_e32 v30, 2, v71
	v_or_b32_e32 v92, 0xa000, v31
	v_or_b32_e32 v93, 0xb000, v31
	v_xor_b32_e32 v31, 0x440, v34
	v_cmp_eq_u32_e32 vcc, 0, v13
	s_add_i32 s3, s50, s49
	v_xor_b32_e32 v35, v74, v30
	v_xor_b32_e32 v36, v75, v30
	v_cndmask_b32_e32 v13, v31, v34, vcc
	s_add_i32 s4, s53, s52
	s_add_i32 s41, s3, s51
	s_mov_b32 s64, 0x1000504
	v_lshlrev_b32_e32 v32, 8, v71
	v_lshlrev_b32_e32 v33, 8, v33
	;; [unrolled: 1-line block ×4, first 2 shown]
	v_lshl_or_b32 v12, v12, 10, v13
	s_add_i32 s43, s4, s54
	s_lshl_b64 s[4:5], s[40:41], 2
	s_mov_b32 s65, 0x3020706
	v_or_b32_e32 v90, 0xa000, v37
	v_or_b32_e32 v91, 0xb000, v37
	;; [unrolled: 1-line block ×5, first 2 shown]
	v_xor_b32_e32 v13, 8, v12
	v_xor_b32_e32 v32, 24, v12
	;; [unrolled: 1-line block ×4, first 2 shown]
	s_add_u32 s3, s22, s4
	v_or_b32_e32 v96, v33, v35
	v_xor_b32_e32 v31, 16, v12
	v_xor_b32_e32 v33, 32, v12
	;; [unrolled: 1-line block ×3, first 2 shown]
	v_add_u32_e32 v13, 0x80, v13
	v_add_u32_e32 v32, 0x80, v32
	v_add_u32_e32 v34, 0x80, v34
	v_add_u32_e32 v36, 0x80, v36
	s_addc_u32 s6, s23, s5
	s_lshl_b64 s[4:5], s[42:43], 2
	s_add_u32 s44, s3, s4
	s_movk_i32 s3, 0xf8
	s_addc_u32 s45, s6, s5
	s_lshl_b32 s38, s31, 7
	s_movk_i32 s36, 0x100
	v_mov_b32_e32 v63, 0
	v_lshlrev_b32_e32 v62, 4, v71
	v_cmp_gt_u32_e32 vcc, s36, v0
	v_ashrrev_i32_e32 v61, 31, v60
	s_mov_b32 s66, 0
	s_movk_i32 s41, 0x1000
	s_movk_i32 s6, 0x4000
	v_mov_b32_e32 v120, 0x3fb8aa3b
	s_waitcnt vmcnt(1)
	v_perm_b32 v37, v14, v22, s64
	s_waitcnt vmcnt(0)
	v_perm_b32 v38, v18, v26, s64
	v_perm_b32 v14, v14, v22, s65
	;; [unrolled: 1-line block ×15, first 2 shown]
	ds_write2st64_b32 v12, v37, v38 offset0:32 offset1:64
	ds_write2st64_b32 v13, v14, v18 offset0:32 offset1:64
	;; [unrolled: 1-line block ×8, first 2 shown]
	v_or_b32_e32 v12, v53, v71
	v_lshlrev_b32_e32 v12, 3, v12
	v_lshrrev_b32_e32 v15, 5, v55
	v_and_or_b32 v15, v12, s3, v15
	v_lshlrev_b32_e32 v15, 4, v15
	v_lshlrev_b32_e32 v17, 11, v1
	v_and_b32_e32 v12, 0x78, v12
	v_or_b32_e32 v20, 32, v15
	v_and_b32_e32 v14, 0x1000, v17
	v_lshrrev_b32_e32 v18, 1, v55
	v_xor_b32_e32 v20, v20, v12
	v_xor_b32_e32 v16, v15, v12
	v_and_b32_e32 v18, 8, v18
	v_or_b32_e32 v20, v20, v14
	v_or_b32_e32 v16, v16, v14
	v_lshlrev_b32_e32 v19, 7, v70
	v_xor_b32_e32 v100, v20, v18
	v_or_b32_e32 v20, 64, v15
	v_or_b32_e32 v15, 0x60, v15
	s_ashr_i32 s3, s2, 31
	v_xor_b32_e32 v98, v16, v18
	v_or_b32_e32 v16, v19, v30
	v_xor_b32_e32 v20, v20, v12
	v_xor_b32_e32 v12, v15, v12
	s_lshl_b64 s[4:5], s[2:3], 8
	v_lshlrev_b32_e32 v16, 1, v16
	v_or_b32_e32 v20, v20, v14
	v_or_b32_e32 v12, v12, v14
	s_add_u32 s4, s12, s4
	v_lshlrev_b32_e32 v14, 1, v71
	v_or_b32_e32 v99, 0xa000, v16
	v_or_b32_e32 v101, 0xa080, v16
	;; [unrolled: 1-line block ×4, first 2 shown]
	v_lshrrev_b32_e32 v16, 4, v0
	s_addc_u32 s5, s13, s5
	v_or_b32_e32 v15, 1, v14
	v_mov_b32_e32 v25, 0x4000
	v_mov_b32_e32 v26, 0x2000
	v_lshrrev_b32_e32 v27, 1, v0
	v_xor_b32_e32 v102, v20, v18
	v_xor_b32_e32 v103, v12, v18
	;; [unrolled: 1-line block ×4, first 2 shown]
	v_lshl_add_u64 v[14:15], s[4:5], 0, v[62:63]
	v_lshlrev_b32_e32 v62, 8, v16
	v_cndmask_b32_e32 v25, v25, v26, vcc
	v_lshlrev_b32_e32 v26, 3, v1
	v_and_b32_e32 v27, 24, v27
	v_lshl_or_b32 v106, v18, 3, v62
	v_and_b32_e32 v18, 8, v0
	v_xor_b32_e32 v28, v26, v27
	v_or_b32_e32 v29, 0x440, v28
	v_cmp_eq_u32_e32 vcc, 0, v18
	v_and_b32_e32 v16, 7, v0
	v_lshl_or_b32 v107, v22, 3, v62
	v_cndmask_b32_e32 v18, v29, v28, vcc
	v_lshlrev_b32_e32 v22, 3, v16
	v_lshlrev_b32_e32 v24, 2, v0
	v_or_b32_e32 v18, v18, v17
	v_xor_b32_e32 v28, v18, v22
	v_and_or_b32 v18, v24, 60, v19
	v_mov_b32_e32 v19, 0xb000
	v_lshl_or_b32 v108, v18, 1, v19
	v_or_b32_e32 v18, 32, v27
	v_xor_b32_e32 v18, v26, v18
	v_or_b32_e32 v19, 0x440, v18
	v_cndmask_b32_e32 v18, v19, v18, vcc
	v_or_b32_e32 v18, v18, v17
	v_xor_b32_e32 v19, v18, v22
	v_or_b32_e32 v18, 64, v27
	v_xor_b32_e32 v18, v26, v18
	v_xor_b32_e32 v30, 0x440, v18
	v_cndmask_b32_e32 v18, v30, v18, vcc
	v_or_b32_e32 v18, v18, v17
	v_xor_b32_e32 v30, v18, v22
	v_or_b32_e32 v18, 0x60, v27
	v_xor_b32_e32 v18, v26, v18
	v_xor_b32_e32 v26, 0x440, v18
	v_cndmask_b32_e32 v18, v26, v18, vcc
	v_lshrrev_b32_e32 v13, 2, v55
	v_or_b32_e32 v17, v18, v17
	v_and_b32_e32 v13, 12, v13
	v_lshlrev_b32_e32 v20, 1, v11
	v_add_lshl_u32 v11, v11, s31, 1
	v_or_b32_e32 v21, 0x100, v10
	v_xor_b32_e32 v17, v17, v22
	v_lshlrev_b32_e32 v12, 7, v74
	v_lshlrev_b32_e32 v23, 7, v16
	v_or_b32_e32 v16, v13, v53
	v_add_u32_e32 v29, v25, v28
	v_add_u32_e32 v24, v25, v19
	;; [unrolled: 1-line block ×4, first 2 shown]
	v_or3_b32 v18, v53, v13, 64
	v_add_u32_e32 v13, 0x4000, v28
	v_add_u32_e32 v19, 0x4000, v19
	;; [unrolled: 1-line block ×4, first 2 shown]
	v_cndmask_b32_e64 v109, v20, v10, s[0:1]
	v_cndmask_b32_e64 v110, v11, v21, s[0:1]
	v_lshlrev_b64 v[10:11], 1, v[60:61]
	v_lshl_add_u64 v[64:65], s[20:21], 0, v[10:11]
	v_lshl_add_u64 v[66:67], s[14:15], 0, v[10:11]
	;; [unrolled: 1-line block ×3, first 2 shown]
	s_mov_b32 s3, 0x7060302
	v_lshlrev_b32_e32 v62, 1, v12
	v_lshlrev_b32_e32 v61, 2, v16
	v_add_u32_e32 v111, v29, v23
	v_add_u32_e32 v112, v24, v23
	;; [unrolled: 1-line block ×4, first 2 shown]
	v_lshlrev_b32_e32 v115, 2, v18
	v_add_u32_e32 v116, v13, v23
	v_add_u32_e32 v117, v19, v23
	;; [unrolled: 1-line block ×4, first 2 shown]
	s_waitcnt lgkmcnt(0)
	s_barrier
.LBB337_7:                              ; =>This Inner Loop Header: Depth=1
	s_add_i32 s43, s66, 1
	s_cmp_lt_i32 s43, s55
	s_mov_b64 s[36:37], 0
	s_cselect_b64 s[46:47], -1, 0
	s_cmp_ge_i32 s43, s55
	s_mov_b64 s[4:5], 0
	s_cbranch_scc1 .LBB337_9
; %bb.8:                                ;   in Loop: Header=BB337_7 Depth=1
	s_add_i32 s0, s61, 64
	s_ashr_i32 s1, s0, 31
	s_add_u32 s0, s59, s0
	s_addc_u32 s1, s58, s1
	s_lshl_b64 s[0:1], s[0:1], 8
	s_add_u32 s4, s18, s0
	s_addc_u32 s5, s19, s1
.LBB337_9:                              ;   in Loop: Header=BB337_7 Depth=1
	v_cndmask_b32_e64 v10, 0, 1, s[46:47]
	v_cmp_ne_u32_e64 s[0:1], 1, v10
	s_andn2_b64 vcc, exec, s[46:47]
	s_cbranch_vccnz .LBB337_11
; %bb.10:                               ;   in Loop: Header=BB337_7 Depth=1
	s_add_i32 s36, s61, 64
	s_mul_hi_i32 s37, s36, s30
	s_mul_i32 s36, s36, s30
	s_add_u32 s36, s36, s57
	s_addc_u32 s37, s37, s62
	s_lshl_b64 s[36:37], s[36:37], 8
	s_add_u32 s36, s16, s36
	s_addc_u32 s37, s17, s37
.LBB337_11:                             ;   in Loop: Header=BB337_7 Depth=1
	v_perm_b32 v11, v5, v4, s3
	v_perm_b32 v10, v3, v2, s3
	;; [unrolled: 1-line block ×4, first 2 shown]
	ds_write_b64 v90, v[10:11]
	ds_write_b64 v91, v[12:13]
	;; [unrolled: 1-line block ×4, first 2 shown]
	v_perm_b32 v11, v87, v78, s3
	v_perm_b32 v10, v77, v76, s3
	v_perm_b32 v13, v84, v81, s3
	v_perm_b32 v12, v80, v79, s3
	ds_write_b64 v92, v[10:11]
	ds_write_b64 v93, v[12:13]
	;; [unrolled: 1-line block ×4, first 2 shown]
	s_waitcnt lgkmcnt(0)
	s_barrier
	ds_read_b64 v[14:15], v98 offset:24576
	ds_read2_b64 v[10:13], v99 offset1:16
	ds_read_b64 v[18:19], v101 offset:3072
	ds_read_b64 v[20:21], v99 offset:3072
	;; [unrolled: 1-line block ×3, first 2 shown]
	s_waitcnt lgkmcnt(3)
	v_mfma_f32_16x16x16_bf16 a[0:3], v[14:15], v[10:11], 0
	s_add_i32 s67, s61, 63
	s_ashr_i32 s39, s67, 31
	s_mul_i32 s46, s67, s11
	v_mfma_f32_16x16x16_bf16 a[4:7], v[14:15], v[12:13], 0
	ds_read2st64_b64 v[10:13], v99 offset0:2 offset1:4
	s_mul_hi_u32 s47, s67, s10
	s_add_i32 s46, s47, s46
	s_waitcnt lgkmcnt(0)
	v_mfma_f32_16x16x16_bf16 a[0:3], v[22:23], v[10:11], a[0:3]
	ds_read2st64_b64 v[14:17], v101 offset0:2 offset1:4
	ds_read_b64 v[10:11], v102 offset:24576
	s_mul_i32 s39, s39, s10
	s_add_i32 s47, s46, s39
	s_waitcnt lgkmcnt(1)
	v_mfma_f32_16x16x16_bf16 a[4:7], v[22:23], v[14:15], a[4:7]
	ds_read_b64 v[14:15], v103 offset:24576
	s_mul_i32 s46, s67, s10
	s_lshl_b64 s[46:47], s[46:47], 2
	s_waitcnt lgkmcnt(1)
	v_mfma_f32_16x16x16_bf16 a[0:3], v[10:11], v[12:13], a[0:3]
	s_add_u32 s46, s44, s46
	s_addc_u32 s47, s45, s47
	s_and_b64 vcc, exec, s[0:1]
	v_mfma_f32_16x16x16_bf16 a[8:11], v[10:11], v[16:17], a[4:7]
	v_mov_b32_e32 v123, 0
	v_mov_b32_e32 v122, 0
	;; [unrolled: 1-line block ×3, first 2 shown]
	s_waitcnt lgkmcnt(0)
	v_mfma_f32_16x16x16_bf16 a[4:7], v[14:15], v[20:21], a[0:3]
	v_mov_b32_e32 v10, 0
	v_mov_b32_e32 v11, 0
	;; [unrolled: 1-line block ×3, first 2 shown]
	v_mfma_f32_16x16x16_bf16 a[0:3], v[14:15], v[18:19], a[8:11]
	v_mov_b32_e32 v13, 0
	v_mov_b32_e32 v14, 0
	;; [unrolled: 1-line block ×13, first 2 shown]
	s_cbranch_vccnz .LBB337_13
; %bb.12:                               ;   in Loop: Header=BB337_7 Depth=1
	s_and_b32 s5, s5, 0xffff
	buffer_load_dwordx4 v[22:25], v85, s[4:7], 0 offen
	buffer_load_dwordx4 v[18:21], v85, s[4:7], s63 offen
	;; [unrolled: 1-line block ×4, first 2 shown]
	v_mov_b32_e32 v122, v88
	v_mov_b32_e32 v121, v89
.LBB337_13:                             ;   in Loop: Header=BB337_7 Depth=1
	ds_read_b64 v[34:35], v98 offset:32768
	ds_read2_b64 v[26:29], v104 offset1:16
	ds_read_b64 v[36:37], v100 offset:32768
	ds_read_b64 v[38:39], v102 offset:32768
	;; [unrolled: 1-line block ×3, first 2 shown]
	v_add_u32_e32 v42, s61, v74
	s_waitcnt lgkmcnt(3)
	v_mfma_f32_16x16x16_bf16 a[4:7], v[34:35], v[26:27], a[4:7]
	v_ashrrev_i32_e32 v26, 31, v42
	ds_read2st64_b64 v[30:33], v104 offset0:2 offset1:4
	v_mfma_f32_16x16x16_bf16 a[0:3], v[34:35], v[28:29], a[0:3]
	v_mul_lo_u32 v28, v26, s10
	v_mul_lo_u32 v29, v42, s11
	v_mad_u64_u32 v[26:27], s[4:5], v42, s10, 0
	v_add3_u32 v27, v27, v29, v28
	v_add_u32_e32 v28, 1, v42
	v_ashrrev_i32_e32 v29, 31, v28
	v_mul_lo_u32 v34, v29, s10
	v_mul_lo_u32 v35, v28, s11
	v_mad_u64_u32 v[28:29], s[4:5], v28, s10, 0
	v_add3_u32 v29, v29, v35, v34
	v_add_u32_e32 v34, 2, v42
	v_ashrrev_i32_e32 v35, 31, v34
	v_mul_lo_u32 v43, v35, s10
	v_mul_lo_u32 v44, v34, s11
	v_mad_u64_u32 v[34:35], s[4:5], v34, s10, 0
	v_add_u32_e32 v42, 3, v42
	v_add3_u32 v35, v35, v44, v43
	v_ashrrev_i32_e32 v43, 31, v42
	v_mul_lo_u32 v44, v43, s10
	v_mul_lo_u32 v45, v42, s11
	v_mad_u64_u32 v[42:43], s[4:5], v42, s10, 0
	s_ashr_i32 s5, s61, 31
	v_add3_u32 v43, v43, v45, v44
	s_add_u32 s4, s59, s61
	v_lshl_add_u64 v[26:27], v[26:27], 2, s[44:45]
	v_lshl_add_u64 v[42:43], v[42:43], 2, s[44:45]
	s_addc_u32 s5, s58, s5
	v_lshl_add_u64 v[28:29], v[28:29], 2, s[44:45]
	v_lshl_add_u64 v[34:35], v[34:35], 2, s[44:45]
	global_load_dword v44, v[26:27], off
	global_load_dword v45, v[28:29], off
	;; [unrolled: 1-line block ×3, first 2 shown]
	s_nop 0
	global_load_dword v42, v[42:43], off
	s_lshl_b64 s[68:69], s[4:5], 8
	v_lshl_add_u64 v[26:27], v[64:65], 0, s[68:69]
	v_lshl_add_u64 v[34:35], v[26:27], 0, v[62:63]
	global_load_ushort v43, v[34:35], off offset:256
	global_load_ushort v47, v[34:35], off
	ds_read2st64_b64 v[26:29], v105 offset0:2 offset1:4
	global_load_ushort v48, v[34:35], off offset:768
	global_load_ushort v49, v[34:35], off offset:512
	;; [unrolled: 1-line block ×6, first 2 shown]
	s_waitcnt lgkmcnt(1)
	v_mfma_f32_16x16x16_bf16 a[4:7], v[36:37], v[30:31], a[4:7]
	s_and_b64 vcc, exec, s[0:1]
	s_waitcnt vmcnt(7)
	v_lshlrev_b32_e32 v35, 16, v43
	s_waitcnt lgkmcnt(0)
	v_mfma_f32_16x16x16_bf16 a[0:3], v[36:37], v[26:27], a[0:3]
	v_mfma_f32_16x16x16_bf16 a[4:7], v[38:39], v[32:33], a[4:7]
	;; [unrolled: 1-line block ×3, first 2 shown]
	ds_read_b64 v[26:27], v104 offset:3072
	ds_read_b64 v[28:29], v105 offset:3072
	s_load_dword s4, s[46:47], 0x0
	s_waitcnt lgkmcnt(0)
	v_sub_f32_e32 v34, s4, v44
	v_mfma_f32_16x16x16_bf16 a[4:7], v[40:41], v[26:27], a[4:7]
	v_sub_f32_e32 v37, s4, v45
	v_sub_f32_e32 v38, s4, v46
	;; [unrolled: 1-line block ×3, first 2 shown]
	v_mul_f32_e32 v36, 0x3fb8aa3b, v34
	v_mul_f32_e32 v37, 0x3fb8aa3b, v37
	;; [unrolled: 1-line block ×4, first 2 shown]
	v_mfma_f32_16x16x16_bf16 a[0:3], v[40:41], v[28:29], a[0:3]
	v_accvgpr_read_b32 v33, a5
	v_exp_f32_e32 v36, v36
	v_exp_f32_e32 v37, v37
	;; [unrolled: 1-line block ×4, first 2 shown]
	v_accvgpr_read_b32 v32, a4
	s_waitcnt vmcnt(6)
	v_lshlrev_b32_e32 v34, 16, v47
	v_lshl_add_u64 v[26:27], v[66:67], 0, s[68:69]
	v_accvgpr_read_b32 v29, a7
	v_accvgpr_read_b32 v28, a6
	v_pk_add_f32 v[32:33], v[34:35], v[32:33] neg_lo:[0,1] neg_hi:[0,1]
	s_waitcnt vmcnt(5)
	v_lshlrev_b32_e32 v35, 16, v48
	s_waitcnt vmcnt(4)
	v_lshlrev_b32_e32 v34, 16, v49
	v_lshl_add_u64 v[26:27], v[26:27], 0, v[62:63]
	v_pk_add_f32 v[28:29], v[34:35], v[28:29] neg_lo:[0,1] neg_hi:[0,1]
	global_store_short_d16_hi v[26:27], v32, off
	global_store_short_d16_hi v[26:27], v33, off offset:256
	global_store_short_d16_hi v[26:27], v28, off offset:512
	;; [unrolled: 1-line block ×3, first 2 shown]
	v_pk_mul_f32 v[32:33], v[36:37], v[32:33]
	v_pk_mul_f32 v[28:29], v[38:39], v[28:29]
	v_accvgpr_read_b32 v35, a1
	v_perm_b32 v29, v29, v28, s3
	v_perm_b32 v28, v33, v32, s3
	s_waitcnt vmcnt(5)
	v_lshlrev_b32_e32 v33, 16, v52
	s_waitcnt vmcnt(4)
	v_lshlrev_b32_e32 v32, 16, v124
	v_accvgpr_read_b32 v34, a0
	v_accvgpr_read_b32 v31, a3
	;; [unrolled: 1-line block ×3, first 2 shown]
	v_pk_add_f32 v[32:33], v[32:33], v[34:35] neg_lo:[0,1] neg_hi:[0,1]
	v_lshlrev_b32_e32 v35, 16, v50
	v_lshlrev_b32_e32 v34, 16, v51
	v_pk_add_f32 v[30:31], v[34:35], v[30:31] neg_lo:[0,1] neg_hi:[0,1]
	global_store_short_d16_hi v[26:27], v32, off offset:32
	global_store_short_d16_hi v[26:27], v33, off offset:288
	;; [unrolled: 1-line block ×4, first 2 shown]
	v_pk_mul_f32 v[26:27], v[36:37], v[32:33]
	v_pk_mul_f32 v[30:31], v[38:39], v[30:31]
	v_mov_b32_e32 v124, 0
	v_perm_b32 v31, v31, v30, s3
	v_perm_b32 v30, v27, v26, s3
	ds_write2_b64 v91, v[28:29], v[30:31] offset1:16
	v_mov_b32_e32 v26, 0
	v_mov_b32_e32 v27, 0
	;; [unrolled: 1-line block ×16, first 2 shown]
	s_cbranch_vccnz .LBB337_15
; %bb.14:                               ;   in Loop: Header=BB337_7 Depth=1
	s_and_b32 s37, s37, 0xffff
	s_mov_b32 s39, s7
	buffer_load_dwordx4 v[38:41], v109, s[36:39], 0 offen
	buffer_load_dwordx4 v[30:33], v109, s[36:39], s63 offen
	;; [unrolled: 1-line block ×4, first 2 shown]
	v_mov_b32_e32 v123, v83
	v_mov_b32_e32 v124, v82
.LBB337_15:                             ;   in Loop: Header=BB337_7 Depth=1
	s_waitcnt lgkmcnt(0)
	s_barrier
	ds_read_b64 v[46:47], v111
	ds_read_b64 v[130:131], v108
	;; [unrolled: 1-line block ×5, first 2 shown]
	ds_read_b64 v[144:145], v105 offset:3072
	ds_read2_b64 v[42:45], v104 offset0:16 offset1:128
	s_waitcnt lgkmcnt(5)
	v_mfma_f32_16x16x16_bf16 a[0:3], v[46:47], v[130:131], 0
	ds_read2st64_b64 v[48:51], v105 offset0:2 offset1:4
	s_add_i32 s5, s60, s66
	s_mul_hi_i32 s37, s5, s29
	s_waitcnt lgkmcnt(1)
	v_mfma_f32_16x16x16_bf16 a[4:7], v[46:47], v[42:43], 0
	ds_read_b64 v[46:47], v116
	s_mul_i32 s5, s5, s29
	s_add_u32 s36, s5, s33
	s_waitcnt lgkmcnt(1)
	v_mfma_f32_16x16x16_bf16 a[4:7], v[132:133], v[48:49], a[4:7]
	s_addc_u32 s37, s37, s48
	s_lshl_b64 s[36:37], s[36:37], 15
	s_mul_i32 s39, s67, s29
	s_mul_hi_i32 s5, s67, s29
	s_add_u32 s46, s39, s33
	v_mfma_f32_16x16x16_bf16 a[8:11], v[134:135], v[50:51], a[4:7]
	s_addc_u32 s47, s5, s48
	ds_read2st64_b64 v[126:129], v104 offset0:4 offset1:6
	s_lshl_b64 s[46:47], s[46:47], 9
	s_waitcnt lgkmcnt(1)
	v_mfma_f32_16x16x16_bf16 a[4:7], v[46:47], v[130:131], 0
	s_add_u32 s46, s8, s46
	s_addc_u32 s47, s9, s47
	v_mfma_f32_16x16x16_bf16 a[0:3], v[132:133], v[44:45], a[0:3]
	ds_read_b64 v[132:133], v117
	ds_read_b64 v[140:141], v118
	;; [unrolled: 1-line block ×3, first 2 shown]
	v_mfma_f32_16x16x16_bf16 a[12:15], v[46:47], v[42:43], 0
	s_waitcnt lgkmcnt(2)
	v_mfma_f32_16x16x16_bf16 a[4:7], v[132:133], v[44:45], a[4:7]
	global_load_dwordx4 v[42:45], v115, s[46:47]
	v_mfma_f32_16x16x16_bf16 a[12:15], v[132:133], v[48:49], a[12:15]
	global_load_dwordx4 v[46:49], v61, s[46:47]
	ds_read2st64_b64 v[130:133], v106 offset1:8
	s_waitcnt lgkmcnt(0)
	v_mov_b32_e32 v138, v130
	v_mfma_f32_16x16x16_bf16 a[0:3], v[134:135], v[126:127], a[0:3]
	ds_read2st64_b64 v[134:137], v107 offset1:8
	v_mov_b32_e32 v139, v131
	v_mfma_f32_16x16x16_bf16 a[16:19], v[140:141], v[126:127], a[4:7]
	v_lshl_add_u64 v[126:127], v[68:69], 0, s[36:37]
	v_mfma_f32_16x16x16_bf16 a[20:23], v[140:141], v[50:51], a[12:15]
	v_add_co_u32_e32 v50, vcc, s41, v126
	s_waitcnt lgkmcnt(0)
	v_mov_b32_e32 v140, v134
	v_mfma_f32_16x16x16_bf16 a[4:7], v[142:143], v[128:129], a[0:3]
	v_mov_b32_e32 v141, v135
	v_mov_b32_e32 v134, v132
	;; [unrolled: 1-line block ×3, first 2 shown]
	v_mfma_f32_16x16x16_bf16 a[8:11], v[142:143], v[144:145], a[8:11]
	v_addc_co_u32_e32 v51, vcc, 0, v127, vcc
	global_store_dwordx4 v[50:51], v[134:137], off
	v_mfma_f32_16x16x16_bf16 a[12:15], v[146:147], v[128:129], a[16:19]
	s_and_b64 vcc, exec, s[0:1]
	global_store_dwordx4 v[126:127], v[138:141], off
	s_waitcnt vmcnt(3)
	v_mov_b32_e32 v52, v45
	v_mfma_f32_16x16x16_bf16 a[0:3], v[146:147], v[144:145], a[20:23]
	v_mov_b32_e32 v51, v44
	v_mov_b32_e32 v50, v43
	s_cbranch_vccnz .LBB337_17
; %bb.16:                               ;   in Loop: Header=BB337_7 Depth=1
	v_lshrrev_b32_e32 v43, 3, v123
	v_and_b32_e32 v43, 6, v43
	v_xor_b32_e32 v44, v43, v124
	v_lshlrev_b32_e32 v44, 2, v44
	v_and_b32_e32 v45, 8, v123
	v_xor_b32_e32 v123, 0x440, v44
	v_cmp_eq_u32_e32 vcc, 0, v45
	v_perm_b32 v45, v30, v26, s64
	s_nop 0
	v_cndmask_b32_e32 v44, v123, v44, vcc
	v_lshl_or_b32 v43, v43, 10, v44
	v_perm_b32 v44, v38, v34, s64
	s_barrier
	ds_write2st64_b32 v43, v44, v45 offset0:32 offset1:64
	v_xor_b32_e32 v44, 8, v43
	v_perm_b32 v34, v38, v34, s65
	v_perm_b32 v26, v30, v26, s65
	v_add_u32_e32 v30, 0x80, v44
	ds_write2st64_b32 v30, v34, v26 offset0:32 offset1:64
	v_xor_b32_e32 v26, 16, v43
	v_perm_b32 v30, v39, v35, s64
	v_perm_b32 v34, v31, v27, s64
	ds_write2st64_b32 v26, v30, v34 offset0:33 offset1:65
	v_xor_b32_e32 v26, 24, v43
	v_perm_b32 v30, v39, v35, s65
	v_perm_b32 v27, v31, v27, s65
	v_add_u32_e32 v26, 0x80, v26
	ds_write2st64_b32 v26, v30, v27 offset0:33 offset1:65
	v_xor_b32_e32 v26, 32, v43
	v_perm_b32 v27, v40, v36, s64
	v_perm_b32 v30, v32, v28, s64
	;; [unrolled: 9-line block ×3, first 2 shown]
	ds_write2st64_b32 v26, v27, v28 offset0:35 offset1:67
	v_xor_b32_e32 v26, 56, v43
	v_perm_b32 v27, v41, v37, s65
	v_perm_b32 v28, v33, v29, s65
	v_add_u32_e32 v26, 0x80, v26
	ds_write2st64_b32 v26, v27, v28 offset0:35 offset1:67
	ds_write_b64 v122, v[22:23] offset:24576
	v_xor_b32_e32 v22, 8, v122
	ds_write_b64 v22, v[24:25] offset:24576
	ds_write_b64 v122, v[18:19] offset:32768
	;; [unrolled: 1-line block ×4, first 2 shown]
	v_xor_b32_e32 v14, 8, v121
	ds_write_b64 v14, v[16:17] offset:24576
	ds_write_b64 v121, v[10:11] offset:32768
	;; [unrolled: 1-line block ×3, first 2 shown]
.LBB337_17:                             ;   in Loop: Header=BB337_7 Depth=1
	v_mul_f32_e32 v14, s4, v120
	v_exp_f32_e32 v26, v14
	s_waitcnt vmcnt(2)
	v_mul_f32_e32 v14, 0x3fb8aa3b, v46
	v_exp_f32_e32 v28, v14
	v_mul_f32_e32 v14, 0x3fb8aa3b, v47
	v_exp_f32_e32 v29, v14
	v_mul_f32_e32 v14, 0x3fb8aa3b, v48
	v_exp_f32_e32 v30, v14
	v_mul_f32_e32 v14, 0x3fb8aa3b, v49
	v_exp_f32_e32 v31, v14
	v_accvgpr_read_b32 v21, a7
	v_accvgpr_read_b32 v19, a5
	;; [unrolled: 1-line block ×4, first 2 shown]
	v_pk_mul_f32 v[28:29], v[26:27], v[28:29] op_sel_hi:[0,1]
	v_accvgpr_read_b32 v12, a10
	v_pk_fma_f32 v[2:3], v[2:3], v[28:29], v[18:19]
	v_pk_mul_f32 v[18:19], v[26:27], v[30:31] op_sel_hi:[0,1]
	v_accvgpr_read_b32 v20, a6
	v_accvgpr_read_b32 v11, a9
	;; [unrolled: 1-line block ×3, first 2 shown]
	v_fma_f32 v78, v78, v18, v12
	v_mul_f32_e32 v12, 0x3fb8aa3b, v51
	v_pk_fma_f32 v[4:5], v[4:5], v[18:19], v[20:21]
	v_fma_f32 v76, v76, v28, v10
	v_fma_f32 v77, v77, v29, v11
	v_mul_f32_e32 v10, 0x3fb8aa3b, v42
	v_mul_f32_e32 v11, 0x3fb8aa3b, v50
	v_exp_f32_e32 v20, v12
	v_mul_f32_e32 v12, 0x3fb8aa3b, v52
	v_exp_f32_e32 v10, v10
	v_exp_f32_e32 v11, v11
	;; [unrolled: 1-line block ×3, first 2 shown]
	v_accvgpr_read_b32 v25, a15
	v_accvgpr_read_b32 v17, a3
	v_accvgpr_read_b32 v24, a14
	v_accvgpr_read_b32 v23, a13
	v_accvgpr_read_b32 v22, a12
	v_accvgpr_read_b32 v16, a2
	v_accvgpr_read_b32 v15, a1
	v_accvgpr_read_b32 v14, a0
	v_fmac_f32_e32 v13, v87, v19
	v_pk_mul_f32 v[10:11], v[26:27], v[10:11] op_sel_hi:[0,1]
	v_pk_mul_f32 v[18:19], v[26:27], v[20:21] op_sel_hi:[0,1]
	s_add_i32 s61, s61, 64
	v_pk_fma_f32 v[6:7], v[6:7], v[10:11], v[22:23]
	v_pk_fma_f32 v[8:9], v[8:9], v[18:19], v[24:25]
	v_fma_f32 v79, v79, v10, v14
	v_fma_f32 v80, v80, v11, v15
	;; [unrolled: 1-line block ×3, first 2 shown]
	s_cmp_eq_u32 s55, s43
	v_fmac_f32_e32 v17, v84, v19
	s_cbranch_scc1 .LBB337_19
; %bb.18:                               ;   in Loop: Header=BB337_7 Depth=1
	s_mov_b32 s66, s43
	v_mov_b32_e32 v87, v13
	v_mov_b32_e32 v84, v17
	s_branch .LBB337_7
.LBB337_19:
	v_mov_b32_e32 v16, v81
	v_mov_b32_e32 v15, v80
	;; [unrolled: 1-line block ×3, first 2 shown]
.LBB337_20:
	s_lshl_b32 s0, s55, 6
	s_sub_i32 s46, s56, s0
	v_mov_b32_e32 v12, v78
	v_mov_b32_e32 v11, v77
	;; [unrolled: 1-line block ×3, first 2 shown]
	s_cmp_gt_i32 s46, 0
	s_cbranch_scc0 .LBB337_85
; %bb.21:
	s_add_i32 s34, s0, s34
	s_ashr_i32 s3, s34, 31
	s_cmpk_lg_i32 s31, 0x80
	s_cselect_b64 s[38:39], -1, 0
	s_and_b64 vcc, exec, s[38:39]
	s_cbranch_vccz .LBB337_23
; %bb.22:
	s_mul_i32 s1, s34, s30
	s_ashr_i32 s4, s57, 31
	s_mul_hi_i32 s0, s34, s30
	s_add_u32 s44, s1, s57
	s_addc_u32 s45, s0, s4
	s_cbranch_execz .LBB337_24
	s_branch .LBB337_25
.LBB337_23:
                                        ; implicit-def: $sgpr44_sgpr45
.LBB337_24:
	s_mul_i32 s1, s57, s28
	s_mul_hi_i32 s0, s57, s28
	s_add_u32 s44, s1, s34
	s_addc_u32 s45, s0, s3
.LBB337_25:
	s_waitcnt lgkmcnt(0)
	s_add_i32 s4, s55, s60
	s_add_u32 s0, s59, s34
	v_lshlrev_b32_e32 v22, 5, v74
	v_lshlrev_b32_e32 v38, 2, v71
	s_addc_u32 s1, s58, s3
	s_mov_b32 s3, 0x7060302
	v_or_b32_e32 v25, v22, v38
	v_xor_b32_e32 v23, v74, v38
	v_perm_b32 v19, v5, v4, s3
	v_perm_b32 v18, v3, v2, s3
	;; [unrolled: 1-line block ×4, first 2 shown]
	v_lshlrev_b32_e32 v25, 1, v25
	v_xor_b32_e32 v24, v75, v38
	ds_write2st64_b64 v25, v[18:19], v[20:21] offset0:80 offset1:88
	v_lshlrev_b32_e32 v23, 1, v23
	v_lshlrev_b32_e32 v25, 8, v71
	s_lshl_b64 s[36:37], s[0:1], 8
	v_or_b32_e32 v26, v23, v25
	v_lshlrev_b32_e32 v24, 1, v24
	s_add_u32 s0, s18, s36
	ds_write_b64 v26, v[18:19]
	v_or_b32_e32 v18, v24, v25
	s_addc_u32 s1, s19, s37
	ds_write_b64 v18, v[20:21]
	v_perm_b32 v19, v13, v12, s3
	v_perm_b32 v18, v11, v10, s3
	;; [unrolled: 1-line block ×4, first 2 shown]
	v_or_b32_e32 v25, 16, v71
	s_mul_hi_i32 s3, s4, s29
	s_mul_i32 s4, s4, s29
	v_lshlrev_b32_e32 v35, 2, v25
	s_add_u32 s4, s4, s33
	v_or_b32_e32 v22, v22, v35
	s_addc_u32 s5, s3, s48
	v_lshlrev_b32_e32 v22, 1, v22
	s_ashr_i32 s3, s2, 31
	s_lshl_b64 s[4:5], s[4:5], 15
	ds_write2st64_b64 v22, v[18:19], v[20:21] offset0:80 offset1:88
	v_lshlrev_b32_e32 v22, 8, v25
	s_add_u32 s4, s12, s4
	v_or_b32_e32 v23, v23, v22
	s_addc_u32 s5, s13, s5
	s_lshl_b64 s[2:3], s[2:3], 8
	ds_write_b64 v23, v[18:19]
	v_or_b32_e32 v18, v24, v22
	s_add_u32 s2, s4, s2
	ds_write_b64 v18, v[20:21]
	v_lshrrev_b32_e32 v18, 4, v0
	s_addc_u32 s3, s5, s3
	v_lshlrev_b32_e32 v19, 1, v71
	v_lshlrev_b32_e32 v26, 4, v71
	v_mov_b32_e32 v27, 0
	v_or_b32_e32 v20, 1, v19
	v_xor_b32_e32 v19, v18, v19
	v_lshl_add_u64 v[28:29], s[2:3], 0, v[26:27]
	v_lshlrev_b32_e32 v26, 8, v18
	v_xor_b32_e32 v22, v20, v18
	v_lshl_or_b32 v18, v19, 3, v26
	s_waitcnt lgkmcnt(0)
	s_barrier
	ds_read2st64_b64 v[18:21], v18 offset1:8
	v_lshl_or_b32 v22, v22, 3, v26
	ds_read2st64_b64 v[22:25], v22 offset1:8
	v_lshl_add_u64 v[30:31], v[28:29], 0, v[26:27]
	s_movk_i32 s2, 0x1000
	s_waitcnt lgkmcnt(1)
	v_mov_b32_e32 v26, v18
	v_add_co_u32_e32 v18, vcc, s2, v30
	s_cmp_lg_u32 s46, 64
	v_mov_b32_e32 v27, v19
	v_addc_co_u32_e32 v19, vcc, 0, v31, vcc
	s_cselect_b64 s[18:19], -1, 0
	v_lshl_or_b32 v42, v1, 3, v73
	s_waitcnt lgkmcnt(0)
	v_mov_b32_e32 v28, v22
	v_mov_b32_e32 v29, v23
	;; [unrolled: 1-line block ×4, first 2 shown]
	s_mov_b32 s4, 0
	v_or_b32_e32 v36, 32, v42
	v_and_b32_e32 v34, 56, v72
	s_and_b64 vcc, exec, s[18:19]
	global_store_dwordx4 v[30:31], v[26:29], off
	global_store_dwordx4 v[18:19], v[22:25], off
	s_cbranch_vccz .LBB337_31
; %bb.26:
	s_mov_b32 s6, s4
	s_mov_b32 s7, s4
	;; [unrolled: 1-line block ×3, first 2 shown]
	v_mov_b64_e32 v[24:25], s[6:7]
	v_mov_b64_e32 v[22:23], s[4:5]
	;; [unrolled: 1-line block ×3, first 2 shown]
	v_cmp_gt_i32_e32 vcc, s46, v42
	v_mov_b64_e32 v[20:21], v[24:25]
	s_and_saveexec_b64 s[2:3], vcc
	s_cbranch_execz .LBB337_28
; %bb.27:
	v_lshlrev_b32_e32 v18, 8, v42
	v_mov_b32_e32 v19, 0
	v_lshl_add_u64 v[20:21], s[0:1], 0, v[18:19]
	v_lshlrev_b32_e32 v18, 1, v34
	v_lshl_add_u64 v[26:27], v[20:21], 0, v[18:19]
	global_load_dwordx4 v[22:25], v[26:27], off
	global_load_dwordx4 v[18:21], v[26:27], off offset:128
.LBB337_28:
	s_or_b64 exec, exec, s[2:3]
	s_mov_b32 s6, s4
	s_mov_b32 s7, s4
	;; [unrolled: 1-line block ×3, first 2 shown]
	v_mov_b64_e32 v[32:33], s[6:7]
	v_mov_b64_e32 v[30:31], s[4:5]
	;; [unrolled: 1-line block ×3, first 2 shown]
	v_cmp_gt_i32_e32 vcc, s46, v36
	v_lshlrev_b32_e32 v37, 7, v36
	v_mov_b64_e32 v[28:29], v[32:33]
	s_and_saveexec_b64 s[2:3], vcc
	s_cbranch_execz .LBB337_30
; %bb.29:
	v_lshlrev_b32_e32 v26, 1, v37
	v_mov_b32_e32 v27, 0
	v_lshl_add_u64 v[28:29], s[0:1], 0, v[26:27]
	v_lshlrev_b32_e32 v26, 1, v34
	v_lshl_add_u64 v[40:41], v[28:29], 0, v[26:27]
	global_load_dwordx4 v[30:33], v[40:41], off
	global_load_dwordx4 v[26:29], v[40:41], off offset:128
.LBB337_30:
	s_or_b64 exec, exec, s[2:3]
	v_lshrrev_b32_e32 v39, 3, v34
	v_lshlrev_b32_e32 v40, 3, v42
	v_or_b32_e32 v39, v40, v39
	v_lshlrev_b32_e32 v39, 4, v39
	v_and_b32_e32 v40, 0x78, v40
	v_xor_b32_e32 v39, v39, v40
	s_branch .LBB337_33
.LBB337_31:
                                        ; implicit-def: $vgpr39
                                        ; implicit-def: $vgpr37
                                        ; implicit-def: $vgpr22_vgpr23_vgpr24_vgpr25
                                        ; implicit-def: $vgpr18_vgpr19_vgpr20_vgpr21
                                        ; implicit-def: $vgpr30_vgpr31_vgpr32_vgpr33
                                        ; implicit-def: $vgpr26_vgpr27_vgpr28_vgpr29
	s_cbranch_execz .LBB337_33
; %bb.32:
	s_waitcnt vmcnt(0)
	v_lshlrev_b32_e32 v18, 1, v34
	v_lshl_or_b32 v37, v42, 8, v18
	s_and_b32 s1, s1, 0xffff
	s_mov_b32 s3, 0x20000
	s_movk_i32 s2, 0x4000
	v_lshl_or_b32 v39, v36, 8, v18
	s_movk_i32 s4, 0x80
	buffer_load_dwordx4 v[22:25], v37, s[0:3], 0 offen
	buffer_load_dwordx4 v[18:21], v37, s[0:3], s4 offen
	;; [unrolled: 1-line block ×4, first 2 shown]
	v_lshrrev_b32_e32 v37, 3, v34
	v_lshlrev_b32_e32 v39, 3, v42
	v_or_b32_e32 v37, v39, v37
	v_lshlrev_b32_e32 v37, 4, v37
	v_and_b32_e32 v39, 0x78, v39
	v_xor_b32_e32 v39, v37, v39
	v_lshlrev_b32_e32 v37, 7, v36
.LBB337_33:
	s_lshl_b64 s[0:1], s[44:45], 8
	s_add_u32 s4, s16, s0
	s_movk_i32 s0, 0x1000
	v_and_or_b32 v36, v37, s0, v39
	s_waitcnt vmcnt(1)
	ds_write_b64 v39, v[22:23] offset:24576
	v_xor_b32_e32 v22, 8, v39
	ds_write_b64 v22, v[24:25] offset:24576
	s_waitcnt vmcnt(0)
	ds_write_b64 v39, v[18:19] offset:32768
	ds_write_b64 v22, v[20:21] offset:32768
	;; [unrolled: 1-line block ×3, first 2 shown]
	v_xor_b32_e32 v18, 8, v36
	ds_write_b64 v18, v[32:33] offset:24576
	ds_write_b64 v36, v[26:27] offset:32768
	;; [unrolled: 1-line block ×3, first 2 shown]
	v_or_b32_e32 v18, v53, v71
	v_lshlrev_b32_e32 v18, 3, v18
	v_lshrrev_b32_e32 v19, 5, v55
	s_movk_i32 s2, 0xf8
	v_and_or_b32 v19, v18, s2, v19
	v_lshlrev_b32_e32 v23, 4, v19
	v_lshlrev_b32_e32 v39, 11, v1
	v_and_b32_e32 v24, 0x78, v18
	v_or_b32_e32 v26, 32, v23
	v_and_b32_e32 v22, 0x1000, v39
	v_lshrrev_b32_e32 v19, 1, v55
	v_xor_b32_e32 v26, v26, v24
	v_xor_b32_e32 v18, v23, v24
	v_and_b32_e32 v25, 8, v19
	v_or_b32_e32 v26, v26, v22
	v_or_b32_e32 v18, v18, v22
	v_xor_b32_e32 v44, v26, v25
	v_or_b32_e32 v26, 64, v23
	v_xor_b32_e32 v43, v18, v25
	v_xor_b32_e32 v26, v26, v24
	s_waitcnt lgkmcnt(0)
	s_barrier
	v_or_b32_e32 v28, v26, v22
	ds_read_b64 v[26:27], v43 offset:24576
	v_lshl_or_b32 v36, v70, 7, v38
	v_lshlrev_b32_e32 v40, 1, v36
	v_add_u32_e32 v18, 0xa000, v40
	ds_read2_b64 v[18:21], v18 offset1:16
	v_or_b32_e32 v23, 0x60, v23
	v_xor_b32_e32 v23, v23, v24
	s_waitcnt lgkmcnt(0)
	v_mfma_f32_16x16x16_bf16 a[0:3], v[26:27], v[18:19], 0
	v_or_b32_e32 v18, 64, v36
	v_or_b32_e32 v22, v23, v22
	v_lshlrev_b32_e32 v41, 1, v18
	v_xor_b32_e32 v45, v28, v25
	v_xor_b32_e32 v46, v22, v25
	ds_read_b64 v[28:29], v44 offset:24576
	ds_read_b64 v[30:31], v45 offset:24576
	;; [unrolled: 1-line block ×3, first 2 shown]
	v_mfma_f32_16x16x16_bf16 a[4:7], v[26:27], v[20:21], 0
	ds_read2st64_b64 v[18:21], v41 offset0:82 offset1:84
	ds_read2st64_b64 v[22:25], v40 offset0:82 offset1:84
	s_addc_u32 s5, s17, s1
	s_add_i32 s0, s50, s49
	s_add_i32 s16, s35, -1
	s_add_i32 s41, s0, s51
	s_add_i32 s0, s53, s52
	;; [unrolled: 1-line block ×3, first 2 shown]
	s_ashr_i32 s0, s16, 31
	s_mul_i32 s1, s16, s11
	s_mul_hi_u32 s2, s16, s10
	s_add_i32 s1, s2, s1
	s_mul_i32 s0, s0, s10
	s_waitcnt lgkmcnt(1)
	v_mfma_f32_16x16x16_bf16 a[4:7], v[28:29], v[18:19], a[4:7]
	s_add_i32 s1, s1, s0
	s_lshl_b64 s[2:3], s[40:41], 2
	s_add_u32 s6, s22, s2
	s_waitcnt lgkmcnt(0)
	v_mfma_f32_16x16x16_bf16 a[0:3], v[28:29], v[22:23], a[0:3]
	s_addc_u32 s7, s23, s3
	s_lshl_b64 s[2:3], s[42:43], 2
	s_mul_i32 s0, s16, s10
	s_add_u32 s12, s6, s2
	ds_read_b64 v[18:19], v40 offset:44032
	v_mfma_f32_16x16x16_bf16 a[4:7], v[30:31], v[20:21], a[4:7]
	ds_read_b64 v[20:21], v41 offset:44032
	s_addc_u32 s13, s7, s3
	s_lshl_b64 s[0:1], s[0:1], 2
	v_mfma_f32_16x16x16_bf16 a[0:3], v[30:31], v[24:25], a[0:3]
	s_add_u32 s0, s12, s0
	s_addc_u32 s1, s13, s1
	s_load_dword s17, s[0:1], 0x0
	s_waitcnt lgkmcnt(0)
	v_mfma_f32_16x16x16_bf16 a[0:3], v[32:33], v[18:19], a[0:3]
	s_and_b64 vcc, exec, s[38:39]
	v_mfma_f32_16x16x16_bf16 a[4:7], v[32:33], v[20:21], a[4:7]
	s_cbranch_vccz .LBB337_44
; %bb.34:
	v_lshlrev_b32_e32 v36, 1, v42
	s_and_b64 vcc, exec, s[18:19]
	s_cbranch_vccz .LBB337_45
; %bb.35:
	v_cmp_gt_i32_e32 vcc, s46, v36
	v_mov_b32_e32 v22, 0
	v_mov_b32_e32 v18, 0
	;; [unrolled: 1-line block ×5, first 2 shown]
	s_and_saveexec_b64 s[0:1], vcc
	s_cbranch_execz .LBB337_37
; %bb.36:
	v_mad_i64_i32 v[18:19], s[2:3], s31, v36, 0
	v_lshl_add_u64 v[18:19], v[18:19], 1, s[4:5]
	v_lshlrev_b32_e32 v20, 1, v34
	v_mov_b32_e32 v21, 0
	v_lshl_add_u64 v[18:19], v[18:19], 0, v[20:21]
	global_load_dwordx4 v[18:21], v[18:19], off
.LBB337_37:
	s_or_b64 exec, exec, s[0:1]
	v_or_b32_e32 v37, 1, v36
	v_cmp_gt_i32_e64 s[0:1], s46, v37
	v_mov_b32_e32 v23, 0
	v_mov_b32_e32 v24, 0
	;; [unrolled: 1-line block ×3, first 2 shown]
	s_and_saveexec_b64 s[2:3], s[0:1]
	s_cbranch_execz .LBB337_39
; %bb.38:
	v_mad_i64_i32 v[22:23], s[6:7], s31, v37, 0
	v_lshl_add_u64 v[22:23], v[22:23], 1, s[4:5]
	v_lshlrev_b32_e32 v24, 1, v34
	v_mov_b32_e32 v25, 0
	v_lshl_add_u64 v[22:23], v[22:23], 0, v[24:25]
	global_load_dwordx4 v[22:25], v[22:23], off
.LBB337_39:
	s_or_b64 exec, exec, s[2:3]
	v_mov_b32_e32 v33, 0
	v_mov_b32_e32 v26, 0
	;; [unrolled: 1-line block ×5, first 2 shown]
	s_and_saveexec_b64 s[2:3], vcc
	s_cbranch_execz .LBB337_41
; %bb.40:
	v_mad_i64_i32 v[26:27], s[6:7], s31, v36, 0
	v_lshl_add_u64 v[26:27], v[26:27], 1, s[4:5]
	v_lshlrev_b32_e32 v28, 1, v34
	v_mov_b32_e32 v29, 0
	v_lshl_add_u64 v[26:27], v[26:27], 0, v[28:29]
	global_load_dwordx4 v[26:29], v[26:27], off offset:128
.LBB337_41:
	s_or_b64 exec, exec, s[2:3]
	v_mov_b32_e32 v32, 0
	v_mov_b32_e32 v31, 0
	;; [unrolled: 1-line block ×3, first 2 shown]
	s_and_saveexec_b64 s[2:3], s[0:1]
	s_cbranch_execz .LBB337_43
; %bb.42:
	v_mad_i64_i32 v[30:31], s[0:1], s31, v37, 0
	v_lshl_add_u64 v[30:31], v[30:31], 1, s[4:5]
	v_lshlrev_b32_e32 v32, 1, v34
	v_mov_b32_e32 v33, 0
	v_lshl_add_u64 v[30:31], v[30:31], 0, v[32:33]
	global_load_dwordx4 v[30:33], v[30:31], off offset:128
.LBB337_43:
	s_or_b64 exec, exec, s[2:3]
	s_branch .LBB337_47
.LBB337_44:
                                        ; implicit-def: $vgpr21
                                        ; implicit-def: $vgpr25
                                        ; implicit-def: $vgpr29
                                        ; implicit-def: $vgpr33
	v_lshrrev_b32_e32 v47, 2, v55
	s_branch .LBB337_48
.LBB337_45:
                                        ; implicit-def: $vgpr21
                                        ; implicit-def: $vgpr25
                                        ; implicit-def: $vgpr29
                                        ; implicit-def: $vgpr33
	s_cbranch_execz .LBB337_47
; %bb.46:
	s_waitcnt vmcnt(0)
	v_mad_u64_u32 v[18:19], s[0:1], v36, s31, v[34:35]
	v_lshlrev_b32_e32 v36, 1, v18
	s_lshl_b32 s2, s31, 7
	s_and_b32 s1, s5, 0xffff
	s_mov_b32 s3, 0x20000
	s_mov_b32 s0, s4
	v_add_lshl_u32 v37, v18, s31, 1
	s_movk_i32 s6, 0x80
	buffer_load_dwordx4 v[18:21], v36, s[0:3], 0 offen
	buffer_load_dwordx4 v[26:29], v36, s[0:3], s6 offen
	;; [unrolled: 1-line block ×4, first 2 shown]
.LBB337_47:
	v_lshrrev_b32_e32 v47, 2, v55
	s_cbranch_execnz .LBB337_60
.LBB337_48:
	s_and_b64 vcc, exec, s[18:19]
	s_cbranch_vccz .LBB337_58
; %bb.49:
	s_waitcnt vmcnt(0)
	v_lshlrev_b32_e32 v23, 1, v42
	v_cmp_gt_i32_e32 vcc, s46, v23
	v_mov_b32_e32 v22, 0
	v_lshlrev_b32_e32 v30, 9, v42
	v_mov_b32_e32 v18, 0
	v_mov_b32_e32 v19, 0
	;; [unrolled: 1-line block ×4, first 2 shown]
	s_and_saveexec_b64 s[0:1], vcc
	s_cbranch_execz .LBB337_51
; %bb.50:
	v_mov_b32_e32 v31, 0
	v_lshl_add_u64 v[18:19], s[4:5], 0, v[30:31]
	v_lshlrev_b32_e32 v20, 1, v34
	v_mov_b32_e32 v21, v31
	v_lshl_add_u64 v[18:19], v[18:19], 0, v[20:21]
	global_load_dwordx4 v[18:21], v[18:19], off
.LBB337_51:
	s_or_b64 exec, exec, s[0:1]
	v_or_b32_e32 v23, 1, v23
	v_cmp_gt_i32_e64 s[0:1], s46, v23
	v_lshlrev_b32_e32 v36, 8, v23
	v_mov_b32_e32 v23, 0
	v_mov_b32_e32 v24, 0
	;; [unrolled: 1-line block ×3, first 2 shown]
	s_and_saveexec_b64 s[2:3], s[0:1]
	s_cbranch_execz .LBB337_53
; %bb.52:
	v_mov_b32_e32 v37, 0
	v_lshl_add_u64 v[22:23], s[4:5], 0, v[36:37]
	v_lshlrev_b32_e32 v24, 1, v34
	v_mov_b32_e32 v25, v37
	v_lshl_add_u64 v[22:23], v[22:23], 0, v[24:25]
	global_load_dwordx4 v[22:25], v[22:23], off
.LBB337_53:
	s_or_b64 exec, exec, s[2:3]
	v_mov_b32_e32 v33, 0
	v_mov_b32_e32 v26, 0
	;; [unrolled: 1-line block ×5, first 2 shown]
	s_and_saveexec_b64 s[2:3], vcc
	s_cbranch_execz .LBB337_55
; %bb.54:
	v_mov_b32_e32 v31, 0
	v_lshl_add_u64 v[26:27], s[4:5], 0, v[30:31]
	v_lshlrev_b32_e32 v30, 1, v34
	v_lshl_add_u64 v[26:27], v[26:27], 0, v[30:31]
	global_load_dwordx4 v[26:29], v[26:27], off offset:128
.LBB337_55:
	s_or_b64 exec, exec, s[2:3]
	v_mov_b32_e32 v32, 0
	v_mov_b32_e32 v31, 0
	;; [unrolled: 1-line block ×3, first 2 shown]
	s_and_saveexec_b64 s[2:3], s[0:1]
	s_cbranch_execz .LBB337_57
; %bb.56:
	v_mov_b32_e32 v37, 0
	v_lshl_add_u64 v[30:31], s[4:5], 0, v[36:37]
	v_lshlrev_b32_e32 v36, 1, v34
	v_lshl_add_u64 v[30:31], v[30:31], 0, v[36:37]
	global_load_dwordx4 v[30:33], v[30:31], off offset:128
.LBB337_57:
	s_or_b64 exec, exec, s[2:3]
	s_branch .LBB337_60
.LBB337_58:
                                        ; implicit-def: $vgpr21
                                        ; implicit-def: $vgpr25
                                        ; implicit-def: $vgpr29
                                        ; implicit-def: $vgpr33
	s_cbranch_execz .LBB337_60
; %bb.59:
	s_waitcnt vmcnt(0)
	v_lshlrev_b32_e32 v18, 1, v34
	v_lshl_or_b32 v34, v42, 9, v18
	s_and_b32 s5, s5, 0xffff
	s_mov_b32 s7, 0x20000
	s_movk_i32 s6, 0x4000
	s_movk_i32 s0, 0x80
	buffer_load_dwordx4 v[18:21], v34, s[4:7], 0 offen
	buffer_load_dwordx4 v[22:25], v34, s[4:7], 0 offen offset:256
	buffer_load_dwordx4 v[26:29], v34, s[4:7], s0 offen
	buffer_load_dwordx4 v[30:33], v34, s[4:7], s0 offen offset:256
.LBB337_60:
	ds_read_b64 v[36:37], v43 offset:32768
	v_add_u32_e32 v34, 0xb000, v40
	ds_read2_b64 v[48:51], v34 offset1:16
	ds_read_b64 v[66:67], v44 offset:32768
	ds_read_b64 v[44:45], v45 offset:32768
	;; [unrolled: 1-line block ×3, first 2 shown]
	ds_read2st64_b64 v[62:65], v41 offset0:90 offset1:92
	v_and_b32_e32 v43, 6, v0
	v_and_b32_e32 v34, 12, v47
	v_xor_b32_e32 v42, v42, v43
	v_lshlrev_b32_e32 v42, 2, v42
	s_mov_b32 s0, 0x1000504
	s_waitcnt lgkmcnt(4)
	v_mfma_f32_16x16x16_bf16 a[0:3], v[36:37], v[48:49], a[0:3]
	s_mov_b32 s1, 0x3020706
	v_mfma_f32_16x16x16_bf16 a[4:7], v[36:37], v[50:51], a[4:7]
	ds_read2st64_b64 v[48:51], v40 offset0:90 offset1:92
	ds_read_b64 v[36:37], v40 offset:48128
	ds_read_b64 v[46:47], v41 offset:48128
	s_waitcnt lgkmcnt(2)
	v_mfma_f32_16x16x16_bf16 a[0:3], v[66:67], v[48:49], a[0:3]
	v_and_b32_e32 v48, 1, v0
	v_xor_b32_e32 v49, 0x440, v42
	v_cmp_eq_u32_e32 vcc, 0, v48
	v_mfma_f32_16x16x16_bf16 a[4:7], v[66:67], v[62:63], a[4:7]
	s_nop 0
	v_cndmask_b32_e32 v42, v49, v42, vcc
	v_lshl_or_b32 v42, v43, 10, v42
	v_mfma_f32_16x16x16_bf16 a[0:3], v[44:45], v[50:51], a[0:3]
	v_mov_b32_e32 v43, 0
	v_mfma_f32_16x16x16_bf16 a[8:11], v[44:45], v[64:65], a[4:7]
	s_waitcnt lgkmcnt(1)
	v_mfma_f32_16x16x16_bf16 a[4:7], v[68:69], v[36:37], a[0:3]
	s_waitcnt vmcnt(0)
	v_perm_b32 v36, v18, v22, s0
	v_perm_b32 v37, v26, v30, s0
	ds_write2st64_b32 v42, v36, v37 offset0:32 offset1:64
	v_xor_b32_e32 v36, 8, v42
	v_perm_b32 v18, v18, v22, s1
	v_perm_b32 v22, v26, v30, s1
	v_add_u32_e32 v26, 0x80, v36
	ds_write2st64_b32 v26, v18, v22 offset0:32 offset1:64
	v_xor_b32_e32 v18, 16, v42
	v_perm_b32 v22, v19, v23, s0
	v_perm_b32 v26, v27, v31, s0
	ds_write2st64_b32 v18, v22, v26 offset0:33 offset1:65
	v_xor_b32_e32 v18, 24, v42
	v_perm_b32 v19, v19, v23, s1
	v_perm_b32 v22, v27, v31, s1
	v_add_u32_e32 v18, 0x80, v18
	ds_write2st64_b32 v18, v19, v22 offset0:33 offset1:65
	v_xor_b32_e32 v18, 32, v42
	v_perm_b32 v19, v20, v24, s0
	v_perm_b32 v22, v28, v32, s0
	ds_write2st64_b32 v18, v19, v22 offset0:34 offset1:66
	v_xor_b32_e32 v18, 40, v42
	s_waitcnt lgkmcnt(5)
	v_mfma_f32_16x16x16_bf16 a[0:3], v[68:69], v[46:47], a[8:11]
	v_perm_b32 v19, v20, v24, s1
	v_perm_b32 v20, v28, v32, s1
	v_add_u32_e32 v18, 0x80, v18
	ds_write2st64_b32 v18, v19, v20 offset0:34 offset1:66
	v_xor_b32_e32 v18, 48, v42
	v_perm_b32 v19, v21, v25, s0
	v_perm_b32 v20, v29, v33, s0
	ds_write2st64_b32 v18, v19, v20 offset0:35 offset1:67
	v_xor_b32_e32 v18, 56, v42
	v_or_b32_e32 v36, v34, v53
	v_perm_b32 v19, v21, v25, s1
	v_perm_b32 v20, v29, v33, s1
	v_add_u32_e32 v18, 0x80, v18
	v_cmp_gt_i32_e32 vcc, s46, v36
	v_mov_b32_e32 v37, 0
	ds_write2st64_b32 v18, v19, v20 offset0:35 offset1:67
	s_and_saveexec_b64 s[0:1], vcc
	s_cbranch_execz .LBB337_62
; %bb.61:
	v_add_u32_e32 v18, s34, v36
	v_ashrrev_i32_e32 v19, 31, v18
	v_mul_lo_u32 v20, v19, s10
	v_mul_lo_u32 v21, v18, s11
	v_mad_u64_u32 v[18:19], s[2:3], v18, s10, 0
	v_add3_u32 v19, v19, v21, v20
	v_lshl_add_u64 v[18:19], v[18:19], 2, s[12:13]
	global_load_dword v18, v[18:19], off
	s_waitcnt vmcnt(0)
	v_sub_f32_e32 v18, s17, v18
	v_mul_f32_e32 v18, 0x3fb8aa3b, v18
	v_exp_f32_e32 v43, v18
.LBB337_62:
	s_or_b64 exec, exec, s[0:1]
	v_or_b32_e32 v29, 1, v36
	v_cmp_gt_i32_e64 s[0:1], s46, v29
	s_and_saveexec_b64 s[2:3], s[0:1]
	s_cbranch_execz .LBB337_64
; %bb.63:
	v_add_u32_e32 v18, s34, v29
	v_ashrrev_i32_e32 v19, 31, v18
	v_mul_lo_u32 v20, v19, s10
	v_mul_lo_u32 v21, v18, s11
	v_mad_u64_u32 v[18:19], s[4:5], v18, s10, 0
	v_add3_u32 v19, v19, v21, v20
	v_lshl_add_u64 v[18:19], v[18:19], 2, s[12:13]
	global_load_dword v18, v[18:19], off
	s_waitcnt vmcnt(0)
	v_sub_f32_e32 v18, s17, v18
	v_mul_f32_e32 v18, 0x3fb8aa3b, v18
	v_exp_f32_e32 v37, v18
.LBB337_64:
	s_or_b64 exec, exec, s[2:3]
	v_or_b32_e32 v28, 2, v36
	v_cmp_gt_i32_e64 s[2:3], s46, v28
	v_mov_b32_e32 v42, 0
	v_mov_b32_e32 v44, 0
	s_and_saveexec_b64 s[4:5], s[2:3]
	s_cbranch_execz .LBB337_66
; %bb.65:
	v_add_u32_e32 v18, s34, v28
	v_ashrrev_i32_e32 v19, 31, v18
	v_mul_lo_u32 v20, v19, s10
	v_mul_lo_u32 v21, v18, s11
	v_mad_u64_u32 v[18:19], s[6:7], v18, s10, 0
	v_add3_u32 v19, v19, v21, v20
	v_lshl_add_u64 v[18:19], v[18:19], 2, s[12:13]
	global_load_dword v18, v[18:19], off
	s_waitcnt vmcnt(0)
	v_sub_f32_e32 v18, s17, v18
	v_mul_f32_e32 v18, 0x3fb8aa3b, v18
	v_exp_f32_e32 v44, v18
.LBB337_66:
	s_or_b64 exec, exec, s[4:5]
	v_or_b32_e32 v45, 3, v36
	v_cmp_gt_i32_e64 s[4:5], s46, v45
	s_and_saveexec_b64 s[6:7], s[4:5]
	s_cbranch_execz .LBB337_68
; %bb.67:
	v_add_u32_e32 v18, s34, v45
	v_ashrrev_i32_e32 v19, 31, v18
	v_mul_lo_u32 v20, v19, s10
	v_mul_lo_u32 v21, v18, s11
	v_mad_u64_u32 v[18:19], s[10:11], v18, s10, 0
	v_add3_u32 v19, v19, v21, v20
	v_lshl_add_u64 v[18:19], v[18:19], 2, s[12:13]
	global_load_dword v18, v[18:19], off
	s_waitcnt vmcnt(0)
	v_sub_f32_e32 v18, s17, v18
	v_mul_f32_e32 v18, 0x3fb8aa3b, v18
	v_exp_f32_e32 v42, v18
.LBB337_68:
	s_or_b64 exec, exec, s[6:7]
	s_add_u32 s6, s20, s36
	s_addc_u32 s7, s21, s37
	s_add_u32 s10, s14, s36
	v_ashrrev_i32_e32 v61, 31, v60
	v_accvgpr_read_b32 v21, a7
	s_addc_u32 s11, s15, s37
	v_lshlrev_b64 v[22:23], 1, v[60:61]
	v_accvgpr_read_b32 v20, a6
	v_accvgpr_read_b32 v19, a5
	v_accvgpr_read_b32 v18, a4
	v_lshl_add_u64 v[24:25], s[6:7], 0, v[22:23]
	v_lshl_add_u64 v[22:23], s[10:11], 0, v[22:23]
	v_mov_b32_e32 v31, 0
	v_lshlrev_b32_e32 v26, 8, v36
	v_mov_b32_e32 v27, 0
	s_and_saveexec_b64 s[6:7], vcc
	s_cbranch_execz .LBB337_70
; %bb.69:
	v_mov_b32_e32 v27, 0
	v_lshl_add_u64 v[32:33], v[24:25], 0, v[26:27]
	global_load_ushort v30, v[32:33], off
	v_lshl_add_u64 v[32:33], v[22:23], 0, v[26:27]
	s_waitcnt vmcnt(0)
	v_lshlrev_b32_e32 v27, 16, v30
	v_sub_f32_e32 v18, v27, v18
	global_store_short_d16_hi v[32:33], v18, off
	v_mul_f32_e32 v18, v43, v18
	v_lshrrev_b32_e32 v27, 16, v18
.LBB337_70:
	s_or_b64 exec, exec, s[6:7]
	v_lshlrev_b32_e32 v30, 8, v29
	s_and_saveexec_b64 s[6:7], s[0:1]
	s_cbranch_execz .LBB337_72
; %bb.71:
	v_mov_b32_e32 v31, 0
	v_lshl_add_u64 v[32:33], v[24:25], 0, v[30:31]
	global_load_ushort v18, v[32:33], off
	v_lshl_add_u64 v[32:33], v[22:23], 0, v[30:31]
	s_waitcnt vmcnt(0)
	v_lshlrev_b32_e32 v18, 16, v18
	v_sub_f32_e32 v18, v18, v19
	global_store_short_d16_hi v[32:33], v18, off
	v_mul_f32_e32 v18, v37, v18
	v_lshrrev_b32_e32 v31, 16, v18
.LBB337_72:
	s_or_b64 exec, exec, s[6:7]
	v_mov_b32_e32 v29, 0
	v_lshlrev_b32_e32 v32, 8, v28
	v_mov_b32_e32 v33, 0
	s_and_saveexec_b64 s[6:7], s[2:3]
	s_cbranch_execz .LBB337_74
; %bb.73:
	v_mov_b32_e32 v33, 0
	v_lshl_add_u64 v[18:19], v[24:25], 0, v[32:33]
	global_load_ushort v28, v[18:19], off
	v_lshl_add_u64 v[18:19], v[22:23], 0, v[32:33]
	s_waitcnt vmcnt(0)
	v_lshlrev_b32_e32 v28, 16, v28
	v_sub_f32_e32 v20, v28, v20
	global_store_short_d16_hi v[18:19], v20, off
	v_mul_f32_e32 v18, v44, v20
	v_lshrrev_b32_e32 v33, 16, v18
.LBB337_74:
	s_or_b64 exec, exec, s[6:7]
	v_lshlrev_b32_e32 v28, 8, v45
	s_and_saveexec_b64 s[6:7], s[4:5]
	s_cbranch_execz .LBB337_76
; %bb.75:
	v_mov_b32_e32 v29, 0
	v_lshl_add_u64 v[18:19], v[24:25], 0, v[28:29]
	global_load_ushort v20, v[18:19], off
	v_lshl_add_u64 v[18:19], v[22:23], 0, v[28:29]
	s_waitcnt vmcnt(0)
	v_lshlrev_b32_e32 v20, 16, v20
	v_sub_f32_e32 v20, v20, v21
	global_store_short_d16_hi v[18:19], v20, off
	v_mul_f32_e32 v18, v42, v20
	v_lshrrev_b32_e32 v29, 16, v18
.LBB337_76:
	s_or_b64 exec, exec, s[6:7]
	v_lshlrev_b32_e32 v45, 5, v36
	s_mov_b32 s6, 0x5040100
	v_perm_b32 v46, v31, v27, s6
	v_or_b32_e32 v27, v45, v38
	v_accvgpr_read_b32 v21, a3
	v_perm_b32 v47, v29, v33, s6
	v_lshlrev_b32_e32 v27, 1, v27
	v_accvgpr_read_b32 v20, a2
	v_accvgpr_read_b32 v19, a1
	;; [unrolled: 1-line block ×3, first 2 shown]
	ds_write_b64 v27, v[46:47] offset:45056
	v_mov_b32_e32 v31, 0
	v_mov_b32_e32 v27, 0
	s_and_saveexec_b64 s[6:7], vcc
	s_cbranch_execz .LBB337_78
; %bb.77:
	v_mov_b32_e32 v27, 0
	v_lshl_add_u64 v[46:47], v[24:25], 0, v[26:27]
	global_load_ushort v29, v[46:47], off offset:32
	v_lshl_add_u64 v[26:27], v[22:23], 0, v[26:27]
	s_waitcnt vmcnt(0)
	v_lshlrev_b32_e32 v29, 16, v29
	v_sub_f32_e32 v18, v29, v18
	global_store_short_d16_hi v[26:27], v18, off offset:32
	v_mul_f32_e32 v18, v43, v18
	v_lshrrev_b32_e32 v27, 16, v18
.LBB337_78:
	s_or_b64 exec, exec, s[6:7]
	s_and_saveexec_b64 s[6:7], s[0:1]
	s_cbranch_execz .LBB337_80
; %bb.79:
	v_mov_b32_e32 v31, 0
	v_lshl_add_u64 v[46:47], v[24:25], 0, v[30:31]
	global_load_ushort v18, v[46:47], off offset:32
	v_lshl_add_u64 v[30:31], v[22:23], 0, v[30:31]
	s_waitcnt vmcnt(0)
	v_lshlrev_b32_e32 v18, 16, v18
	v_sub_f32_e32 v18, v18, v19
	global_store_short_d16_hi v[30:31], v18, off offset:32
	v_mul_f32_e32 v18, v37, v18
	v_lshrrev_b32_e32 v31, 16, v18
.LBB337_80:
	s_or_b64 exec, exec, s[6:7]
	v_mov_b32_e32 v26, 0
	v_mov_b32_e32 v30, 0
	s_and_saveexec_b64 s[0:1], s[2:3]
	s_cbranch_execz .LBB337_82
; %bb.81:
	v_mov_b32_e32 v33, 0
	v_lshl_add_u64 v[18:19], v[24:25], 0, v[32:33]
	global_load_ushort v29, v[18:19], off offset:32
	v_lshl_add_u64 v[18:19], v[22:23], 0, v[32:33]
	s_waitcnt vmcnt(0)
	v_lshlrev_b32_e32 v29, 16, v29
	v_sub_f32_e32 v20, v29, v20
	global_store_short_d16_hi v[18:19], v20, off offset:32
	v_mul_f32_e32 v18, v44, v20
	v_lshrrev_b32_e32 v30, 16, v18
.LBB337_82:
	s_or_b64 exec, exec, s[0:1]
	v_or_b32_e32 v19, 0xb000, v40
	v_or_b32_e32 v18, 0xb000, v41
	s_and_saveexec_b64 s[0:1], s[4:5]
	s_cbranch_execz .LBB337_84
; %bb.83:
	v_mov_b32_e32 v29, 0
	v_lshl_add_u64 v[24:25], v[24:25], 0, v[28:29]
	global_load_ushort v20, v[24:25], off offset:32
	v_lshl_add_u64 v[22:23], v[22:23], 0, v[28:29]
	s_waitcnt vmcnt(0)
	v_lshlrev_b32_e32 v20, 16, v20
	v_sub_f32_e32 v20, v20, v21
	global_store_short_d16_hi v[22:23], v20, off offset:32
	v_mul_f32_e32 v20, v42, v20
	v_lshrrev_b32_e32 v26, 16, v20
.LBB337_84:
	s_or_b64 exec, exec, s[0:1]
	s_mov_b32 s0, 0x5040100
	v_or_b32_e32 v22, v45, v35
	v_perm_b32 v21, v26, v30, s0
	v_perm_b32 v20, v31, v27, s0
	v_lshlrev_b32_e32 v22, 1, v22
	s_movk_i32 s2, 0x100
	ds_write_b64 v22, v[20:21] offset:45056
	v_and_b32_e32 v20, 7, v0
	v_and_b32_e32 v21, 8, v0
	v_cmp_gt_u32_e32 vcc, s2, v0
	v_lshrrev_b32_e32 v0, 1, v0
	v_lshlrev_b32_e32 v26, 3, v20
	v_lshlrev_b32_e32 v48, 7, v20
	v_mov_b32_e32 v20, 0x4000
	v_mov_b32_e32 v22, 0x2000
	v_lshlrev_b32_e32 v24, 3, v1
	v_and_b32_e32 v0, 24, v0
	v_cndmask_b32_e32 v27, v20, v22, vcc
	v_xor_b32_e32 v20, v24, v0
	v_or_b32_e32 v22, 0x440, v20
	v_cmp_eq_u32_e32 vcc, 0, v21
	v_or_b32_e32 v28, 32, v0
	v_xor_b32_e32 v28, v24, v28
	v_cndmask_b32_e32 v20, v22, v20, vcc
	v_or_b32_e32 v20, v20, v39
	v_xor_b32_e32 v49, v20, v26
	v_or_b32_e32 v29, 0x440, v28
	v_add3_u32 v25, v27, v49, v48
	v_cndmask_b32_e32 v28, v29, v28, vcc
	v_or_b32_e32 v29, 64, v0
	v_or_b32_e32 v0, 0x60, v0
	s_waitcnt lgkmcnt(0)
	s_barrier
	v_xor_b32_e32 v29, v24, v29
	v_xor_b32_e32 v0, v24, v0
	ds_read_b64 v[24:25], v25
	v_xor_b32_e32 v30, 0x440, v29
	ds_read2_b64 v[20:23], v19 offset1:16
	v_cndmask_b32_e32 v29, v30, v29, vcc
	v_xor_b32_e32 v30, 0x440, v0
	v_or_b32_e32 v28, v28, v39
	v_or_b32_e32 v29, v29, v39
	v_cndmask_b32_e32 v0, v30, v0, vcc
	v_xor_b32_e32 v50, v28, v26
	v_xor_b32_e32 v51, v29, v26
	v_or_b32_e32 v0, v0, v39
	v_add3_u32 v28, v27, v50, v48
	v_add3_u32 v29, v27, v51, v48
	v_xor_b32_e32 v52, v0, v26
	s_mul_i32 s0, s16, s29
	s_mul_hi_i32 s1, s16, s29
	v_add3_u32 v0, v27, v52, v48
	ds_read_b64 v[26:27], v28
	ds_read_b64 v[42:43], v29
	;; [unrolled: 1-line block ×3, first 2 shown]
	s_add_u32 s0, s0, s33
	ds_read2st64_b64 v[28:31], v19 offset0:2 offset1:4
	ds_read2st64_b64 v[38:41], v18 offset0:2 offset1:4
	s_waitcnt lgkmcnt(5)
	v_mfma_f32_16x16x16_bf16 a[0:3], v[24:25], v[20:21], 0
	s_addc_u32 s1, s1, s48
	s_lshl_b64 s[0:1], s[0:1], 9
	s_add_u32 s0, s8, s0
	v_mfma_f32_16x16x16_bf16 a[4:7], v[24:25], v[22:23], 0
	s_addc_u32 s1, s9, s1
	v_lshlrev_b32_e32 v0, 2, v36
	ds_read_b64 v[36:37], v19 offset:3072
	ds_read_b64 v[46:47], v18 offset:3072
	s_waitcnt lgkmcnt(3)
	v_mfma_f32_16x16x16_bf16 a[0:3], v[26:27], v[28:29], a[0:3]
	s_waitcnt lgkmcnt(2)
	v_mfma_f32_16x16x16_bf16 a[4:7], v[26:27], v[38:39], a[4:7]
	global_load_dwordx4 v[24:27], v0, s[0:1]
	v_lshlrev_b32_e32 v0, 6, v1
	v_lshlrev_b32_e32 v1, 2, v34
	v_or3_b32 v0, v0, v1, s2
	global_load_dwordx4 v[32:35], v0, s[0:1]
	v_mfma_f32_16x16x16_bf16 a[0:3], v[42:43], v[30:31], a[0:3]
	v_mov_b32_e32 v0, 0x3fb8aa3b
	v_mul_f32_e32 v0, s17, v0
	s_waitcnt vmcnt(1)
	v_mul_f32_e32 v18, 0x3fb8aa3b, v26
	v_mfma_f32_16x16x16_bf16 a[4:7], v[42:43], v[40:41], a[4:7]
	v_exp_f32_e32 v42, v0
	v_mul_f32_e32 v0, 0x3fb8aa3b, v24
	v_exp_f32_e32 v24, v18
	s_waitcnt lgkmcnt(1)
	v_mfma_f32_16x16x16_bf16 a[0:3], v[44:45], v[36:37], a[0:3]
	v_add_u32_e32 v18, v49, v48
	v_mul_f32_e32 v19, 0x3fb8aa3b, v27
	v_mul_f32_e32 v1, 0x3fb8aa3b, v25
	v_exp_f32_e32 v0, v0
	v_exp_f32_e32 v1, v1
	v_exp_f32_e32 v25, v19
	v_pk_mul_f32 v[0:1], v[42:43], v[0:1] op_sel_hi:[0,1]
	v_accvgpr_read_b32 v27, a3
	v_accvgpr_read_b32 v26, a2
	s_waitcnt lgkmcnt(0)
	v_mfma_f32_16x16x16_bf16 a[2:5], v[44:45], v[46:47], a[4:7]
	ds_read_b64 v[44:45], v18 offset:16384
	v_accvgpr_read_b32 v19, a1
	v_accvgpr_read_b32 v18, a0
	v_pk_fma_f32 v[18:19], v[2:3], v[0:1], v[18:19]
	v_add_u32_e32 v2, v50, v48
	v_add_u32_e32 v50, v52, v48
	s_waitcnt lgkmcnt(0)
	v_mfma_f32_16x16x16_bf16 a[6:9], v[44:45], v[20:21], 0
	v_add_u32_e32 v43, v51, v48
	ds_read_b64 v[2:3], v2 offset:16384
	ds_read_b64 v[48:49], v43 offset:16384
	;; [unrolled: 1-line block ×3, first 2 shown]
	v_pk_mul_f32 v[24:25], v[42:43], v[24:25] op_sel_hi:[0,1]
	v_pk_fma_f32 v[20:21], v[4:5], v[24:25], v[26:27]
	v_accvgpr_read_b32 v4, a2
	v_mfma_f32_16x16x16_bf16 a[10:13], v[44:45], v[22:23], 0
	v_fma_f32 v26, v10, v0, v4
	v_accvgpr_read_b32 v0, a3
	v_fma_f32 v27, v11, v1, v0
	s_waitcnt lgkmcnt(2)
	v_mfma_f32_16x16x16_bf16 a[0:3], v[2:3], v[28:29], a[6:9]
	v_accvgpr_read_b32 v0, a4
	v_accvgpr_read_b32 v29, a5
	v_fma_f32 v28, v12, v24, v0
	v_mfma_f32_16x16x16_bf16 a[4:7], v[2:3], v[38:39], a[10:13]
	s_waitcnt vmcnt(0)
	v_mov_b32_e32 v0, v33
	v_mov_b32_e32 v1, v34
	;; [unrolled: 1-line block ×3, first 2 shown]
	s_waitcnt lgkmcnt(1)
	v_mfma_f32_16x16x16_bf16 a[0:3], v[48:49], v[30:31], a[0:3]
	v_mul_f32_e32 v0, 0x3fb8aa3b, v0
	v_exp_f32_e32 v5, v0
	v_mul_f32_e32 v0, 0x3fb8aa3b, v1
	v_mfma_f32_16x16x16_bf16 a[4:7], v[48:49], v[40:41], a[4:7]
	v_mul_f32_e32 v1, 0x3fb8aa3b, v2
	v_mul_f32_e32 v3, 0x3fb8aa3b, v32
	v_exp_f32_e32 v0, v0
	s_waitcnt lgkmcnt(0)
	v_mfma_f32_16x16x16_bf16 a[0:3], v[50:51], v[36:37], a[0:3]
	v_exp_f32_e32 v1, v1
	v_exp_f32_e32 v4, v3
	v_fmac_f32_e32 v29, v13, v25
	v_pk_mul_f32 v[0:1], v[42:43], v[0:1] op_sel_hi:[0,1]
	v_pk_mul_f32 v[4:5], v[42:43], v[4:5] op_sel_hi:[0,1]
	s_nop 1
	v_accvgpr_read_b32 v3, a3
	v_accvgpr_read_b32 v2, a2
	v_mfma_f32_16x16x16_bf16 a[2:5], v[50:51], v[46:47], a[4:7]
	v_pk_fma_f32 v[24:25], v[8:9], v[0:1], v[2:3]
	v_accvgpr_read_b32 v11, a1
	v_accvgpr_read_b32 v10, a0
	v_pk_fma_f32 v[22:23], v[6:7], v[4:5], v[10:11]
	s_nop 2
	v_accvgpr_read_b32 v2, a2
	v_fma_f32 v30, v14, v4, v2
	v_accvgpr_read_b32 v2, a3
	v_fma_f32 v31, v15, v5, v2
	v_accvgpr_read_b32 v2, a4
	v_accvgpr_read_b32 v33, a5
	v_fma_f32 v32, v16, v0, v2
	v_fmac_f32_e32 v33, v17, v1
	v_mov_b64_e32 v[2:3], v[18:19]
	v_mov_b64_e32 v[4:5], v[20:21]
	;; [unrolled: 1-line block ×8, first 2 shown]
.LBB337_85:
	s_add_u32 s0, s24, s26
	s_addc_u32 s1, s25, s27
	v_lshl_add_u64 v[0:1], v[56:57], 1, s[0:1]
	v_mov_b32_e32 v55, 0
	s_mov_b32 s2, 0x7060302
	v_lshl_add_u64 v[0:1], v[0:1], 0, v[54:55]
	v_perm_b32 v5, v5, v4, s2
	v_perm_b32 v4, v3, v2, s2
	;; [unrolled: 1-line block ×4, first 2 shown]
	global_store_dwordx2 v[0:1], v[4:5], off
	global_store_dwordx2 v[0:1], v[2:3], off offset:128
	v_lshl_add_u64 v[0:1], v[58:59], 1, s[0:1]
	v_lshl_add_u64 v[0:1], v[0:1], 0, v[54:55]
	v_perm_b32 v3, v13, v12, s2
	v_perm_b32 v2, v11, v10, s2
	global_store_dwordx2 v[0:1], v[2:3], off
	v_perm_b32 v3, v17, v16, s2
	v_perm_b32 v2, v15, v14, s2
	global_store_dwordx2 v[0:1], v[2:3], off offset:128
	s_endpgm
	.section	.rodata,"a",@progbits
	.p2align	6, 0x0
	.amdhsa_kernel _ZN12_GLOBAL__N_139chunk_gated_delta_rule_fwd_h_hip_kernelILi32ELb1ELb1ELb1ELb1ELb0ELb1ELb0ELb1EEEvPK12hip_bfloat16S3_S3_PKfS5_PKvPS1_S8_PvPKiSB_iiiiilll
		.amdhsa_group_segment_fixed_size 49152
		.amdhsa_private_segment_fixed_size 0
		.amdhsa_kernarg_size 136
		.amdhsa_user_sgpr_count 2
		.amdhsa_user_sgpr_dispatch_ptr 0
		.amdhsa_user_sgpr_queue_ptr 0
		.amdhsa_user_sgpr_kernarg_segment_ptr 1
		.amdhsa_user_sgpr_dispatch_id 0
		.amdhsa_user_sgpr_kernarg_preload_length 0
		.amdhsa_user_sgpr_kernarg_preload_offset 0
		.amdhsa_user_sgpr_private_segment_size 0
		.amdhsa_uses_dynamic_stack 0
		.amdhsa_enable_private_segment 0
		.amdhsa_system_sgpr_workgroup_id_x 1
		.amdhsa_system_sgpr_workgroup_id_y 1
		.amdhsa_system_sgpr_workgroup_id_z 0
		.amdhsa_system_sgpr_workgroup_info 0
		.amdhsa_system_vgpr_workitem_id 0
		.amdhsa_next_free_vgpr 172
		.amdhsa_next_free_sgpr 70
		.amdhsa_accum_offset 148
		.amdhsa_reserve_vcc 1
		.amdhsa_float_round_mode_32 0
		.amdhsa_float_round_mode_16_64 0
		.amdhsa_float_denorm_mode_32 3
		.amdhsa_float_denorm_mode_16_64 3
		.amdhsa_dx10_clamp 1
		.amdhsa_ieee_mode 1
		.amdhsa_fp16_overflow 0
		.amdhsa_tg_split 0
		.amdhsa_exception_fp_ieee_invalid_op 0
		.amdhsa_exception_fp_denorm_src 0
		.amdhsa_exception_fp_ieee_div_zero 0
		.amdhsa_exception_fp_ieee_overflow 0
		.amdhsa_exception_fp_ieee_underflow 0
		.amdhsa_exception_fp_ieee_inexact 0
		.amdhsa_exception_int_div_zero 0
	.end_amdhsa_kernel
	.section	.text._ZN12_GLOBAL__N_139chunk_gated_delta_rule_fwd_h_hip_kernelILi32ELb1ELb1ELb1ELb1ELb0ELb1ELb0ELb1EEEvPK12hip_bfloat16S3_S3_PKfS5_PKvPS1_S8_PvPKiSB_iiiiilll,"axG",@progbits,_ZN12_GLOBAL__N_139chunk_gated_delta_rule_fwd_h_hip_kernelILi32ELb1ELb1ELb1ELb1ELb0ELb1ELb0ELb1EEEvPK12hip_bfloat16S3_S3_PKfS5_PKvPS1_S8_PvPKiSB_iiiiilll,comdat
.Lfunc_end337:
	.size	_ZN12_GLOBAL__N_139chunk_gated_delta_rule_fwd_h_hip_kernelILi32ELb1ELb1ELb1ELb1ELb0ELb1ELb0ELb1EEEvPK12hip_bfloat16S3_S3_PKfS5_PKvPS1_S8_PvPKiSB_iiiiilll, .Lfunc_end337-_ZN12_GLOBAL__N_139chunk_gated_delta_rule_fwd_h_hip_kernelILi32ELb1ELb1ELb1ELb1ELb0ELb1ELb0ELb1EEEvPK12hip_bfloat16S3_S3_PKfS5_PKvPS1_S8_PvPKiSB_iiiiilll
                                        ; -- End function
	.section	.AMDGPU.csdata,"",@progbits
; Kernel info:
; codeLenInByte = 10092
; NumSgprs: 76
; NumVgprs: 148
; NumAgprs: 24
; TotalNumVgprs: 172
; ScratchSize: 0
; MemoryBound: 0
; FloatMode: 240
; IeeeMode: 1
; LDSByteSize: 49152 bytes/workgroup (compile time only)
; SGPRBlocks: 9
; VGPRBlocks: 21
; NumSGPRsForWavesPerEU: 76
; NumVGPRsForWavesPerEU: 172
; AccumOffset: 148
; Occupancy: 1
; WaveLimiterHint : 1
; COMPUTE_PGM_RSRC2:SCRATCH_EN: 0
; COMPUTE_PGM_RSRC2:USER_SGPR: 2
; COMPUTE_PGM_RSRC2:TRAP_HANDLER: 0
; COMPUTE_PGM_RSRC2:TGID_X_EN: 1
; COMPUTE_PGM_RSRC2:TGID_Y_EN: 1
; COMPUTE_PGM_RSRC2:TGID_Z_EN: 0
; COMPUTE_PGM_RSRC2:TIDIG_COMP_CNT: 0
; COMPUTE_PGM_RSRC3_GFX90A:ACCUM_OFFSET: 36
; COMPUTE_PGM_RSRC3_GFX90A:TG_SPLIT: 0
	.section	.text._ZN12_GLOBAL__N_139chunk_gated_delta_rule_fwd_h_hip_kernelILi32ELb1ELb1ELb0ELb1ELb0ELb1ELb0ELb1EEEvPK12hip_bfloat16S3_S3_PKfS5_PKvPS1_S8_PvPKiSB_iiiiilll,"axG",@progbits,_ZN12_GLOBAL__N_139chunk_gated_delta_rule_fwd_h_hip_kernelILi32ELb1ELb1ELb0ELb1ELb0ELb1ELb0ELb1EEEvPK12hip_bfloat16S3_S3_PKfS5_PKvPS1_S8_PvPKiSB_iiiiilll,comdat
	.globl	_ZN12_GLOBAL__N_139chunk_gated_delta_rule_fwd_h_hip_kernelILi32ELb1ELb1ELb0ELb1ELb0ELb1ELb0ELb1EEEvPK12hip_bfloat16S3_S3_PKfS5_PKvPS1_S8_PvPKiSB_iiiiilll ; -- Begin function _ZN12_GLOBAL__N_139chunk_gated_delta_rule_fwd_h_hip_kernelILi32ELb1ELb1ELb0ELb1ELb0ELb1ELb0ELb1EEEvPK12hip_bfloat16S3_S3_PKfS5_PKvPS1_S8_PvPKiSB_iiiiilll
	.p2align	8
	.type	_ZN12_GLOBAL__N_139chunk_gated_delta_rule_fwd_h_hip_kernelILi32ELb1ELb1ELb0ELb1ELb0ELb1ELb0ELb1EEEvPK12hip_bfloat16S3_S3_PKfS5_PKvPS1_S8_PvPKiSB_iiiiilll,@function
_ZN12_GLOBAL__N_139chunk_gated_delta_rule_fwd_h_hip_kernelILi32ELb1ELb1ELb0ELb1ELb0ELb1ELb0ELb1EEEvPK12hip_bfloat16S3_S3_PKfS5_PKvPS1_S8_PvPKiSB_iiiiilll: ; @_ZN12_GLOBAL__N_139chunk_gated_delta_rule_fwd_h_hip_kernelILi32ELb1ELb1ELb0ELb1ELb0ELb1ELb0ELb1EEEvPK12hip_bfloat16S3_S3_PKfS5_PKvPS1_S8_PvPKiSB_iiiiilll
; %bb.0:
	s_load_dwordx4 s[16:19], s[0:1], 0x5c
	s_load_dwordx4 s[24:27], s[0:1], 0x70
	s_abs_i32 s7, s3
	s_ashr_i32 s6, s3, 31
	s_load_dwordx4 s[12:15], s[0:1], 0x40
	s_load_dwordx2 s[4:5], s[0:1], 0x50
	s_waitcnt lgkmcnt(0)
	s_abs_i32 s10, s17
	v_cvt_f32_u32_e32 v1, s10
	s_sub_i32 s8, 0, s10
	s_ashr_i32 s11, s17, 31
	s_xor_b32 s6, s6, s11
	v_rcp_iflag_f32_e32 v1, v1
	v_and_b32_e32 v69, 15, v0
	v_bfe_u32 v68, v0, 4, 2
	v_mov_b32_e32 v55, 0
	v_mul_f32_e32 v1, 0x4f7ffffe, v1
	v_cvt_u32_f32_e32 v1, v1
	v_lshlrev_b32_e32 v70, 3, v0
	v_readfirstlane_b32 s9, v1
	s_mul_i32 s8, s8, s9
	s_mul_hi_u32 s8, s9, s8
	s_add_i32 s9, s9, s8
	s_mul_hi_u32 s8, s7, s9
	s_mul_i32 s9, s8, s10
	s_sub_i32 s7, s7, s9
	s_add_i32 s20, s8, 1
	s_sub_i32 s9, s7, s10
	s_cmp_ge_u32 s7, s10
	s_cselect_b32 s8, s20, s8
	s_cselect_b32 s7, s9, s7
	s_add_i32 s9, s8, 1
	s_cmp_ge_u32 s7, s10
	s_cselect_b32 s7, s9, s8
	s_xor_b32 s7, s7, s6
	s_sub_i32 s28, s7, s6
	s_mul_i32 s36, s28, s17
	s_ashr_i32 s29, s28, 31
	s_sub_i32 s33, s3, s36
	s_lshl_b64 s[6:7], s[28:29], 2
	s_add_u32 s8, s14, s6
	s_addc_u32 s9, s15, s7
	s_add_u32 s30, s4, s6
	s_addc_u32 s31, s5, s7
	s_abs_i32 s3, s18
	v_cvt_f32_u32_e32 v1, s3
	s_load_dwordx2 s[34:35], s[8:9], 0x0
	s_sub_i32 s5, 0, s3
	s_lshl_b32 s2, s2, 5
	v_rcp_iflag_f32_e32 v1, v1
	s_load_dwordx4 s[20:23], s[0:1], 0x20
	s_load_dwordx2 s[40:41], s[0:1], 0x30
	s_waitcnt lgkmcnt(0)
	s_sub_i32 s54, s35, s34
	s_ashr_i32 s4, s54, 31
	v_mul_f32_e32 v1, 0x4f7ffffe, v1
	v_cvt_u32_f32_e32 v1, v1
	s_lshr_b32 s4, s4, 26
	s_add_i32 s4, s54, s4
	s_ashr_i32 s53, s4, 6
	v_readfirstlane_b32 s6, v1
	s_mul_i32 s5, s5, s6
	s_mul_hi_u32 s5, s6, s5
	s_add_i32 s6, s6, s5
	s_mul_hi_u32 s5, s10, s6
	s_mul_i32 s6, s5, s3
	s_ashr_i32 s4, s18, 31
	s_sub_i32 s6, s10, s6
	s_xor_b32 s4, s11, s4
	s_add_i32 s7, s5, 1
	s_sub_i32 s8, s6, s3
	s_cmp_ge_u32 s6, s3
	s_cselect_b32 s5, s7, s5
	s_cselect_b32 s6, s8, s6
	s_add_i32 s7, s5, 1
	s_cmp_ge_u32 s6, s3
	s_cselect_b32 s3, s7, s5
	s_xor_b32 s3, s3, s4
	s_sub_i32 s3, s3, s4
	s_abs_i32 s4, s3
	v_cvt_f32_u32_e32 v1, s4
	s_sub_i32 s6, 0, s4
	s_abs_i32 s5, s33
	s_xor_b32 s3, s33, s3
	v_rcp_iflag_f32_e32 v2, v1
	s_ashr_i32 s3, s3, 31
	v_lshrrev_b32_e32 v1, 6, v0
	v_or_b32_e32 v60, s2, v69
	v_mul_f32_e32 v2, 0x4f7ffffe, v2
	v_cvt_u32_f32_e32 v2, v2
	v_lshlrev_b32_e32 v53, 4, v1
	v_lshlrev_b32_e32 v56, 7, v60
	v_lshl_or_b32 v72, v68, 2, v53
	v_readfirstlane_b32 s7, v2
	s_mul_i32 s6, s6, s7
	s_mul_hi_u32 s6, s7, s6
	s_add_i32 s7, s7, s6
	s_mul_hi_u32 s6, s5, s7
	s_mul_i32 s7, s6, s4
	s_sub_i32 s5, s5, s7
	s_add_i32 s7, s6, 1
	s_sub_i32 s8, s5, s4
	s_cmp_ge_u32 s5, s4
	s_cselect_b32 s6, s7, s6
	s_cselect_b32 s5, s8, s5
	s_add_i32 s7, s6, 1
	s_cmp_ge_u32 s5, s4
	s_cselect_b32 s4, s7, s6
	s_xor_b32 s4, s4, s3
	s_sub_i32 s55, s4, s3
	s_ashr_i32 s46, s33, 31
	s_mul_hi_i32 s3, s28, s17
	s_add_u32 s4, s36, s33
	s_addc_u32 s5, s3, s46
	s_lshl_b64 s[14:15], s[4:5], 15
	s_add_u32 s4, s22, s14
	s_addc_u32 s5, s23, s15
	v_ashrrev_i32_e32 v57, 31, v56
	v_lshl_add_u64 v[2:3], v[56:57], 1, s[4:5]
	v_lshlrev_b32_e32 v54, 1, v72
	v_or_b32_e32 v58, 0x800, v56
	v_lshl_add_u64 v[2:3], v[2:3], 0, v[54:55]
	v_ashrrev_i32_e32 v59, 31, v58
	global_load_dwordx2 v[6:7], v[2:3], off
	global_load_dwordx2 v[10:11], v[2:3], off offset:128
	v_lshl_add_u64 v[2:3], v[58:59], 1, s[4:5]
	v_lshl_add_u64 v[2:3], v[2:3], 0, v[54:55]
	global_load_dwordx2 v[12:13], v[2:3], off
	global_load_dwordx2 v[14:15], v[2:3], off offset:128
	s_load_dwordx8 s[4:11], s[0:1], 0x0
	s_load_dwordx2 s[22:23], s[0:1], 0x80
	s_load_dword s58, s[30:31], 0x0
	v_and_b32_e32 v55, 63, v0
	v_lshrrev_b32_e32 v71, 3, v55
	v_or_b32_e32 v73, 64, v72
	s_mul_i32 s47, s28, s25
	s_mul_hi_u32 s48, s28, s24
	s_mul_i32 s36, s28, s24
	s_mul_i32 s49, s29, s24
	s_mul_hi_i32 s56, s33, s16
	s_mul_i32 s57, s33, s16
	s_mul_i32 s50, s33, s27
	s_mul_hi_u32 s51, s33, s26
	s_mul_i32 s52, s46, s26
	s_cmp_lt_i32 s54, 64
	s_mul_i32 s38, s33, s26
	s_waitcnt vmcnt(3)
	v_and_b32_e32 v3, 0xffff0000, v6
	v_lshlrev_b32_e32 v2, 16, v6
	v_and_b32_e32 v5, 0xffff0000, v7
	v_lshlrev_b32_e32 v4, 16, v7
	s_waitcnt vmcnt(2)
	v_and_b32_e32 v7, 0xffff0000, v10
	v_lshlrev_b32_e32 v6, 16, v10
	v_and_b32_e32 v9, 0xffff0000, v11
	v_lshlrev_b32_e32 v8, 16, v11
	;; [unrolled: 5-line block ×4, first 2 shown]
	s_cbranch_scc1 .LBB338_3
; %bb.1:
	s_ashr_i32 s1, s34, 31
	s_add_u32 s0, s57, s34
	s_addc_u32 s1, s56, s1
	s_lshl_b64 s[0:1], s[0:1], 8
	v_and_b32_e32 v81, 56, v70
	s_waitcnt lgkmcnt(0)
	s_add_u32 s24, s6, s0
	v_lshl_or_b32 v80, v1, 3, v71
	v_lshlrev_b32_e32 v10, 1, v81
	s_addc_u32 s0, s7, s1
	v_lshl_or_b32 v83, v80, 8, v10
	s_and_b32 s25, s0, 0xffff
	s_mov_b32 s27, 0x20000
	s_movk_i32 s26, 0x4000
	s_movk_i32 s0, 0x80
	v_or_b32_e32 v84, 0x2000, v83
	buffer_load_dwordx4 v[12:15], v83, s[24:27], 0 offen
	buffer_load_dwordx4 v[16:19], v83, s[24:27], s0 offen
	;; [unrolled: 1-line block ×4, first 2 shown]
	v_lshlrev_b32_e32 v11, 3, v80
	v_and_or_b32 v29, v0, 7, v11
	v_and_b32_e32 v11, 0x78, v11
	v_lshlrev_b32_e32 v29, 4, v29
	v_xor_b32_e32 v86, v29, v11
	v_mul_lo_u32 v28, v80, s19
	v_or_b32_e32 v87, 0x1000, v86
	v_xor_b32_e32 v11, 8, v86
	s_cmpk_eq_i32 s19, 0x80
	s_mov_b32 s59, s34
	v_xor_b32_e32 v29, 8, v87
	s_cselect_b64 s[0:1], -1, 0
	s_cmpk_lg_i32 s19, 0x80
	s_waitcnt vmcnt(3)
	ds_write_b64 v86, v[12:13] offset:24576
	ds_write_b64 v11, v[14:15] offset:24576
	s_waitcnt vmcnt(2)
	ds_write_b64 v86, v[16:17] offset:32768
	ds_write_b64 v11, v[18:19] offset:32768
	;; [unrolled: 3-line block ×4, first 2 shown]
	v_lshl_add_u32 v11, v28, 1, v81
	s_cbranch_scc0 .LBB338_4
; %bb.2:
	v_lshlrev_b32_e32 v13, 1, v11
	v_add_lshl_u32 v12, v11, s19, 1
	s_lshl_b32 s26, s19, 7
	v_lshl_or_b32 v10, v80, 9, v10
	s_cbranch_execz .LBB338_5
	s_branch .LBB338_6
.LBB338_3:
	v_mov_b32_e32 v17, v82
	v_mov_b32_e32 v16, v79
	;; [unrolled: 1-line block ×5, first 2 shown]
	s_branch .LBB338_20
.LBB338_4:
                                        ; implicit-def: $vgpr12
                                        ; implicit-def: $vgpr13
                                        ; implicit-def: $sgpr26
	v_lshl_or_b32 v10, v80, 9, v10
.LBB338_5:
	v_or_b32_e32 v12, 0x100, v10
	s_movk_i32 s26, 0x4000
	v_mov_b32_e32 v13, v10
.LBB338_6:
	s_mul_i32 s24, s34, s18
	s_ashr_i32 s60, s55, 31
	s_mul_hi_i32 s3, s34, s18
	s_add_u32 s24, s24, s55
	s_addc_u32 s25, s3, s60
	s_lshl_b64 s[24:25], s[24:25], 8
	s_add_u32 s24, s4, s24
	s_addc_u32 s3, s5, s25
	s_and_b32 s25, s3, 0xffff
	s_movk_i32 s61, 0x80
	buffer_load_dwordx4 v[14:17], v13, s[24:27], 0 offen
	buffer_load_dwordx4 v[18:21], v13, s[24:27], s61 offen
	buffer_load_dwordx4 v[22:25], v12, s[24:27], 0 offen
	buffer_load_dwordx4 v[26:29], v12, s[24:27], s61 offen
	v_and_b32_e32 v12, 6, v0
	v_lshlrev_b32_e32 v31, 6, v72
	v_or_b32_e32 v33, 16, v69
	v_xor_b32_e32 v34, v80, v12
	v_and_b32_e32 v13, 1, v0
	v_lshl_or_b32 v37, v69, 3, v31
	v_lshl_or_b32 v31, v33, 3, v31
	v_lshlrev_b32_e32 v34, 2, v34
	v_lshlrev_b32_e32 v30, 2, v69
	v_or_b32_e32 v90, 0xa000, v31
	v_or_b32_e32 v91, 0xb000, v31
	v_xor_b32_e32 v31, 0x440, v34
	v_cmp_eq_u32_e32 vcc, 0, v13
	s_add_i32 s3, s48, s47
	v_xor_b32_e32 v35, v72, v30
	v_xor_b32_e32 v36, v73, v30
	v_cndmask_b32_e32 v13, v31, v34, vcc
	s_add_i32 s24, s51, s50
	s_add_i32 s37, s3, s49
	s_mov_b32 s62, 0x1000504
	v_lshlrev_b32_e32 v32, 8, v69
	v_lshlrev_b32_e32 v33, 8, v33
	;; [unrolled: 1-line block ×4, first 2 shown]
	v_lshl_or_b32 v12, v12, 10, v13
	s_add_i32 s39, s24, s52
	s_lshl_b64 s[24:25], s[36:37], 2
	s_mov_b32 s63, 0x3020706
	v_or_b32_e32 v88, 0xa000, v37
	v_or_b32_e32 v89, 0xb000, v37
	;; [unrolled: 1-line block ×5, first 2 shown]
	v_xor_b32_e32 v13, 8, v12
	v_xor_b32_e32 v32, 24, v12
	;; [unrolled: 1-line block ×4, first 2 shown]
	s_add_u32 s3, s10, s24
	v_or_b32_e32 v94, v33, v35
	v_xor_b32_e32 v31, 16, v12
	v_xor_b32_e32 v33, 32, v12
	;; [unrolled: 1-line block ×3, first 2 shown]
	v_add_u32_e32 v13, 0x80, v13
	v_add_u32_e32 v32, 0x80, v32
	;; [unrolled: 1-line block ×4, first 2 shown]
	s_addc_u32 s26, s11, s25
	s_lshl_b64 s[24:25], s[38:39], 2
	s_add_u32 s42, s3, s24
	s_movk_i32 s3, 0xf8
	s_addc_u32 s43, s26, s25
	s_lshl_b32 s30, s19, 7
	s_movk_i32 s28, 0x100
	v_mov_b32_e32 v63, 0
	v_lshlrev_b32_e32 v62, 4, v69
	v_cmp_gt_u32_e32 vcc, s28, v0
	v_ashrrev_i32_e32 v61, 31, v60
	s_mov_b32 s64, 0
	s_movk_i32 s37, 0x1000
	s_movk_i32 s26, 0x4000
	v_lshl_add_u64 v[64:65], v[60:61], 1, s[8:9]
	v_mov_b32_e32 v118, 0x3fb8aa3b
	s_waitcnt vmcnt(1)
	v_perm_b32 v37, v14, v22, s62
	s_waitcnt vmcnt(0)
	v_perm_b32 v38, v18, v26, s62
	v_perm_b32 v14, v14, v22, s63
	;; [unrolled: 1-line block ×15, first 2 shown]
	ds_write2st64_b32 v12, v37, v38 offset0:32 offset1:64
	ds_write2st64_b32 v13, v14, v18 offset0:32 offset1:64
	;; [unrolled: 1-line block ×8, first 2 shown]
	v_or_b32_e32 v12, v53, v69
	v_lshlrev_b32_e32 v12, 3, v12
	v_lshrrev_b32_e32 v15, 5, v55
	v_and_or_b32 v15, v12, s3, v15
	v_lshlrev_b32_e32 v15, 4, v15
	v_lshlrev_b32_e32 v17, 11, v1
	v_and_b32_e32 v12, 0x78, v12
	v_or_b32_e32 v20, 32, v15
	v_and_b32_e32 v14, 0x1000, v17
	v_lshrrev_b32_e32 v18, 1, v55
	v_xor_b32_e32 v20, v20, v12
	v_xor_b32_e32 v16, v15, v12
	v_and_b32_e32 v18, 8, v18
	v_or_b32_e32 v20, v20, v14
	v_or_b32_e32 v16, v16, v14
	v_lshlrev_b32_e32 v19, 7, v68
	v_xor_b32_e32 v98, v20, v18
	v_or_b32_e32 v20, 64, v15
	v_or_b32_e32 v15, 0x60, v15
	s_ashr_i32 s3, s2, 31
	v_xor_b32_e32 v96, v16, v18
	v_or_b32_e32 v16, v19, v30
	v_xor_b32_e32 v20, v20, v12
	v_xor_b32_e32 v12, v15, v12
	s_lshl_b64 s[24:25], s[2:3], 8
	v_lshlrev_b32_e32 v16, 1, v16
	v_or_b32_e32 v20, v20, v14
	v_or_b32_e32 v12, v12, v14
	s_add_u32 s24, s40, s24
	v_lshlrev_b32_e32 v14, 1, v69
	v_or_b32_e32 v97, 0xa000, v16
	v_or_b32_e32 v99, 0xa080, v16
	;; [unrolled: 1-line block ×4, first 2 shown]
	v_lshrrev_b32_e32 v16, 4, v0
	s_addc_u32 s25, s41, s25
	v_or_b32_e32 v15, 1, v14
	v_mov_b32_e32 v25, 0x4000
	v_mov_b32_e32 v26, 0x2000
	v_lshrrev_b32_e32 v27, 1, v0
	v_xor_b32_e32 v100, v20, v18
	v_xor_b32_e32 v101, v12, v18
	;; [unrolled: 1-line block ×4, first 2 shown]
	v_lshl_add_u64 v[14:15], s[24:25], 0, v[62:63]
	v_lshlrev_b32_e32 v62, 8, v16
	v_cndmask_b32_e32 v25, v25, v26, vcc
	v_lshlrev_b32_e32 v26, 3, v1
	v_and_b32_e32 v27, 24, v27
	v_lshl_or_b32 v104, v18, 3, v62
	v_and_b32_e32 v18, 8, v0
	v_xor_b32_e32 v28, v26, v27
	v_or_b32_e32 v29, 0x440, v28
	v_cmp_eq_u32_e32 vcc, 0, v18
	v_and_b32_e32 v16, 7, v0
	v_lshl_or_b32 v105, v22, 3, v62
	v_cndmask_b32_e32 v18, v29, v28, vcc
	v_lshlrev_b32_e32 v22, 3, v16
	v_lshlrev_b32_e32 v24, 2, v0
	v_or_b32_e32 v18, v18, v17
	v_xor_b32_e32 v28, v18, v22
	v_and_or_b32 v18, v24, 60, v19
	v_mov_b32_e32 v19, 0xb000
	v_lshl_or_b32 v106, v18, 1, v19
	v_or_b32_e32 v18, 32, v27
	v_xor_b32_e32 v18, v26, v18
	v_or_b32_e32 v19, 0x440, v18
	v_cndmask_b32_e32 v18, v19, v18, vcc
	v_or_b32_e32 v18, v18, v17
	v_xor_b32_e32 v19, v18, v22
	v_or_b32_e32 v18, 64, v27
	v_xor_b32_e32 v18, v26, v18
	v_xor_b32_e32 v30, 0x440, v18
	v_cndmask_b32_e32 v18, v30, v18, vcc
	v_or_b32_e32 v18, v18, v17
	v_xor_b32_e32 v30, v18, v22
	v_or_b32_e32 v18, 0x60, v27
	v_xor_b32_e32 v18, v26, v18
	v_xor_b32_e32 v26, 0x440, v18
	v_cndmask_b32_e32 v18, v26, v18, vcc
	v_lshrrev_b32_e32 v13, 2, v55
	v_or_b32_e32 v17, v18, v17
	v_and_b32_e32 v13, 12, v13
	v_xor_b32_e32 v17, v17, v22
	v_lshlrev_b32_e32 v12, 7, v72
	v_lshlrev_b32_e32 v20, 1, v11
	v_add_lshl_u32 v11, v11, s19, 1
	v_or_b32_e32 v21, 0x100, v10
	v_lshlrev_b32_e32 v23, 7, v16
	v_or_b32_e32 v16, v13, v53
	v_add_u32_e32 v29, v25, v28
	v_add_u32_e32 v24, v25, v19
	;; [unrolled: 1-line block ×4, first 2 shown]
	v_or3_b32 v18, v53, v13, 64
	v_add_u32_e32 v13, 0x4000, v28
	v_add_u32_e32 v19, 0x4000, v19
	;; [unrolled: 1-line block ×4, first 2 shown]
	v_cndmask_b32_e64 v107, v20, v10, s[0:1]
	v_cndmask_b32_e64 v108, v11, v21, s[0:1]
	v_lshl_add_u64 v[66:67], v[14:15], 0, v[62:63]
	s_mov_b32 s3, 0x7060302
	v_lshlrev_b32_e32 v62, 1, v12
	v_lshlrev_b32_e32 v61, 2, v16
	v_add_u32_e32 v109, v29, v23
	v_add_u32_e32 v110, v24, v23
	;; [unrolled: 1-line block ×4, first 2 shown]
	v_lshlrev_b32_e32 v113, 2, v18
	v_add_u32_e32 v114, v13, v23
	v_add_u32_e32 v115, v19, v23
	v_add_u32_e32 v116, v25, v23
	v_add_u32_e32 v117, v17, v23
	s_waitcnt lgkmcnt(0)
	s_barrier
.LBB338_7:                              ; =>This Inner Loop Header: Depth=1
	s_add_i32 s39, s64, 1
	s_cmp_lt_i32 s39, s53
	s_mov_b64 s[28:29], 0
	s_cselect_b64 s[44:45], -1, 0
	s_cmp_ge_i32 s39, s53
	s_mov_b64 s[24:25], 0
	s_cbranch_scc1 .LBB338_9
; %bb.8:                                ;   in Loop: Header=BB338_7 Depth=1
	s_add_i32 s0, s59, 64
	s_ashr_i32 s1, s0, 31
	s_add_u32 s0, s57, s0
	s_addc_u32 s1, s56, s1
	s_lshl_b64 s[0:1], s[0:1], 8
	s_add_u32 s24, s6, s0
	s_addc_u32 s25, s7, s1
.LBB338_9:                              ;   in Loop: Header=BB338_7 Depth=1
	v_cndmask_b32_e64 v10, 0, 1, s[44:45]
	v_cmp_ne_u32_e64 s[0:1], 1, v10
	s_andn2_b64 vcc, exec, s[44:45]
	s_cbranch_vccnz .LBB338_11
; %bb.10:                               ;   in Loop: Header=BB338_7 Depth=1
	s_add_i32 s28, s59, 64
	s_mul_hi_i32 s29, s28, s18
	s_mul_i32 s28, s28, s18
	s_add_u32 s28, s28, s55
	s_addc_u32 s29, s29, s60
	s_lshl_b64 s[28:29], s[28:29], 8
	s_add_u32 s28, s4, s28
	s_addc_u32 s29, s5, s29
.LBB338_11:                             ;   in Loop: Header=BB338_7 Depth=1
	v_perm_b32 v11, v5, v4, s3
	v_perm_b32 v10, v3, v2, s3
	;; [unrolled: 1-line block ×4, first 2 shown]
	ds_write_b64 v88, v[10:11]
	ds_write_b64 v89, v[12:13]
	;; [unrolled: 1-line block ×4, first 2 shown]
	v_perm_b32 v11, v85, v76, s3
	v_perm_b32 v10, v75, v74, s3
	;; [unrolled: 1-line block ×4, first 2 shown]
	ds_write_b64 v90, v[10:11]
	ds_write_b64 v91, v[12:13]
	;; [unrolled: 1-line block ×4, first 2 shown]
	s_waitcnt lgkmcnt(0)
	s_barrier
	ds_read_b64 v[14:15], v96 offset:24576
	ds_read2_b64 v[10:13], v97 offset1:16
	ds_read_b64 v[18:19], v99 offset:3072
	ds_read_b64 v[20:21], v97 offset:3072
	;; [unrolled: 1-line block ×3, first 2 shown]
	s_waitcnt lgkmcnt(3)
	v_mfma_f32_16x16x16_bf16 a[0:3], v[14:15], v[10:11], 0
	s_add_i32 s65, s59, 63
	s_ashr_i32 s31, s65, 31
	s_mul_i32 s44, s65, s23
	v_mfma_f32_16x16x16_bf16 a[4:7], v[14:15], v[12:13], 0
	ds_read2st64_b64 v[10:13], v97 offset0:2 offset1:4
	s_mul_hi_u32 s45, s65, s22
	s_add_i32 s44, s45, s44
	s_waitcnt lgkmcnt(0)
	v_mfma_f32_16x16x16_bf16 a[0:3], v[22:23], v[10:11], a[0:3]
	ds_read2st64_b64 v[14:17], v99 offset0:2 offset1:4
	ds_read_b64 v[10:11], v100 offset:24576
	s_mul_i32 s31, s31, s22
	s_add_i32 s45, s44, s31
	s_waitcnt lgkmcnt(1)
	v_mfma_f32_16x16x16_bf16 a[4:7], v[22:23], v[14:15], a[4:7]
	ds_read_b64 v[14:15], v101 offset:24576
	s_mul_i32 s44, s65, s22
	s_lshl_b64 s[44:45], s[44:45], 2
	s_waitcnt lgkmcnt(1)
	v_mfma_f32_16x16x16_bf16 a[0:3], v[10:11], v[12:13], a[0:3]
	s_add_u32 s44, s42, s44
	s_addc_u32 s45, s43, s45
	s_and_b64 vcc, exec, s[0:1]
	v_mfma_f32_16x16x16_bf16 a[4:7], v[10:11], v[16:17], a[4:7]
	v_mov_b32_e32 v121, 0
	v_mov_b32_e32 v120, 0
	;; [unrolled: 1-line block ×3, first 2 shown]
	s_waitcnt lgkmcnt(0)
	v_mfma_f32_16x16x16_bf16 a[0:3], v[14:15], v[20:21], a[0:3]
	v_mov_b32_e32 v10, 0
	v_mov_b32_e32 v11, 0
	v_mov_b32_e32 v12, 0
	v_mfma_f32_16x16x16_bf16 a[4:7], v[14:15], v[18:19], a[4:7]
	v_mov_b32_e32 v13, 0
	v_mov_b32_e32 v14, 0
	;; [unrolled: 1-line block ×13, first 2 shown]
	s_cbranch_vccnz .LBB338_13
; %bb.12:                               ;   in Loop: Header=BB338_7 Depth=1
	s_and_b32 s25, s25, 0xffff
	buffer_load_dwordx4 v[22:25], v83, s[24:27], 0 offen
	buffer_load_dwordx4 v[18:21], v83, s[24:27], s61 offen
	;; [unrolled: 1-line block ×4, first 2 shown]
	v_mov_b32_e32 v120, v86
	v_mov_b32_e32 v119, v87
.LBB338_13:                             ;   in Loop: Header=BB338_7 Depth=1
	ds_read_b64 v[30:31], v96 offset:32768
	ds_read2_b64 v[26:29], v102 offset1:16
	ds_read_b64 v[34:35], v98 offset:32768
	ds_read_b64 v[36:37], v100 offset:32768
	;; [unrolled: 1-line block ×3, first 2 shown]
	v_add_u32_e32 v40, s59, v72
	s_waitcnt lgkmcnt(3)
	v_mfma_f32_16x16x16_bf16 a[0:3], v[30:31], v[26:27], a[0:3]
	v_mul_lo_u32 v41, v40, s23
	v_mov_b32_e32 v122, 0
	v_mfma_f32_16x16x16_bf16 a[4:7], v[30:31], v[28:29], a[4:7]
	ds_read2st64_b64 v[26:29], v102 offset0:2 offset1:4
	ds_read2st64_b64 v[30:33], v103 offset0:2 offset1:4
	s_waitcnt lgkmcnt(1)
	v_mfma_f32_16x16x16_bf16 a[0:3], v[34:35], v[26:27], a[0:3]
	v_ashrrev_i32_e32 v26, 31, v40
	v_mul_lo_u32 v42, v26, s22
	v_mad_u64_u32 v[26:27], s[24:25], v40, s22, 0
	v_mfma_f32_16x16x16_bf16 a[0:3], v[36:37], v[28:29], a[0:3]
	v_add_u32_e32 v28, 1, v40
	v_ashrrev_i32_e32 v29, 31, v28
	v_add3_u32 v27, v27, v41, v42
	s_waitcnt lgkmcnt(0)
	v_mfma_f32_16x16x16_bf16 a[4:7], v[34:35], v[30:31], a[4:7]
	v_mul_lo_u32 v30, v29, s22
	v_mul_lo_u32 v31, v28, s23
	v_mad_u64_u32 v[28:29], s[24:25], v28, s22, 0
	v_add3_u32 v29, v29, v31, v30
	v_add_u32_e32 v30, 2, v40
	v_ashrrev_i32_e32 v31, 31, v30
	v_mul_lo_u32 v34, v31, s22
	v_mul_lo_u32 v35, v30, s23
	v_mad_u64_u32 v[30:31], s[24:25], v30, s22, 0
	v_add3_u32 v31, v31, v35, v34
	v_add_u32_e32 v34, 3, v40
	v_ashrrev_i32_e32 v35, 31, v34
	v_mul_lo_u32 v40, v35, s22
	v_mul_lo_u32 v41, v34, s23
	v_mad_u64_u32 v[34:35], s[24:25], v34, s22, 0
	v_add3_u32 v35, v35, v41, v40
	s_ashr_i32 s25, s59, 31
	v_lshl_add_u64 v[26:27], v[26:27], 2, s[42:43]
	v_lshl_add_u64 v[34:35], v[34:35], 2, s[42:43]
	s_add_u32 s24, s57, s59
	v_lshl_add_u64 v[28:29], v[28:29], 2, s[42:43]
	v_lshl_add_u64 v[30:31], v[30:31], 2, s[42:43]
	global_load_dword v40, v[26:27], off
	global_load_dword v41, v[28:29], off
	;; [unrolled: 1-line block ×3, first 2 shown]
	s_nop 0
	global_load_dword v34, v[34:35], off
	s_addc_u32 s25, s56, s25
	s_lshl_b64 s[24:25], s[24:25], 8
	v_lshl_add_u64 v[26:27], v[64:65], 0, s[24:25]
	v_lshl_add_u64 v[26:27], v[26:27], 0, v[62:63]
	global_load_ushort v35, v[26:27], off offset:256
	global_load_ushort v43, v[26:27], off
	global_load_ushort v44, v[26:27], off offset:768
	global_load_ushort v45, v[26:27], off offset:512
	ds_read_b64 v[28:29], v102 offset:3072
	ds_read_b64 v[30:31], v103 offset:3072
	global_load_ushort v46, v[26:27], off offset:800
	global_load_ushort v47, v[26:27], off offset:544
	;; [unrolled: 1-line block ×4, first 2 shown]
	s_load_dword s24, s[44:45], 0x0
	v_mfma_f32_16x16x16_bf16 a[4:7], v[36:37], v[32:33], a[4:7]
	s_and_b64 vcc, exec, s[0:1]
	s_waitcnt vmcnt(11) lgkmcnt(0)
	v_sub_f32_e32 v32, s24, v40
	v_mfma_f32_16x16x16_bf16 a[0:3], v[38:39], v[28:29], a[0:3]
	s_waitcnt vmcnt(10)
	v_sub_f32_e32 v37, s24, v41
	v_mul_f32_e32 v36, 0x3fb8aa3b, v32
	v_mul_f32_e32 v37, 0x3fb8aa3b, v37
	v_mfma_f32_16x16x16_bf16 a[4:7], v[38:39], v[30:31], a[4:7]
	s_waitcnt vmcnt(9)
	v_sub_f32_e32 v38, s24, v42
	s_waitcnt vmcnt(8)
	v_sub_f32_e32 v39, s24, v34
	v_mul_f32_e32 v38, 0x3fb8aa3b, v38
	v_mul_f32_e32 v39, 0x3fb8aa3b, v39
	v_exp_f32_e32 v36, v36
	v_exp_f32_e32 v37, v37
	;; [unrolled: 1-line block ×4, first 2 shown]
	v_accvgpr_read_b32 v31, a1
	v_accvgpr_read_b32 v27, a3
	;; [unrolled: 1-line block ×4, first 2 shown]
	s_waitcnt vmcnt(7)
	v_lshlrev_b32_e32 v33, 16, v35
	s_waitcnt vmcnt(6)
	v_lshlrev_b32_e32 v32, 16, v43
	s_waitcnt vmcnt(5)
	v_lshlrev_b32_e32 v35, 16, v44
	s_waitcnt vmcnt(4)
	v_lshlrev_b32_e32 v34, 16, v45
	v_pk_add_f32 v[30:31], v[32:33], v[30:31] neg_lo:[0,1] neg_hi:[0,1]
	v_pk_add_f32 v[26:27], v[34:35], v[26:27] neg_lo:[0,1] neg_hi:[0,1]
	v_pk_mul_f32 v[30:31], v[36:37], v[30:31]
	v_pk_mul_f32 v[26:27], v[38:39], v[26:27]
	v_accvgpr_read_b32 v33, a5
	v_perm_b32 v27, v27, v26, s3
	v_perm_b32 v26, v31, v30, s3
	s_waitcnt vmcnt(1)
	v_lshlrev_b32_e32 v31, 16, v48
	s_waitcnt vmcnt(0)
	v_lshlrev_b32_e32 v30, 16, v49
	v_accvgpr_read_b32 v32, a4
	v_accvgpr_read_b32 v29, a7
	v_accvgpr_read_b32 v28, a6
	v_pk_add_f32 v[30:31], v[30:31], v[32:33] neg_lo:[0,1] neg_hi:[0,1]
	v_lshlrev_b32_e32 v33, 16, v46
	v_lshlrev_b32_e32 v32, 16, v47
	v_pk_add_f32 v[28:29], v[32:33], v[28:29] neg_lo:[0,1] neg_hi:[0,1]
	v_pk_mul_f32 v[30:31], v[36:37], v[30:31]
	v_pk_mul_f32 v[28:29], v[38:39], v[28:29]
	v_mov_b32_e32 v32, 0
	v_perm_b32 v29, v29, v28, s3
	v_perm_b32 v28, v31, v30, s3
	ds_write2_b64 v89, v[26:27], v[28:29] offset1:16
	v_mov_b32_e32 v26, 0
	v_mov_b32_e32 v27, 0
	;; [unrolled: 1-line block ×15, first 2 shown]
	s_cbranch_vccnz .LBB338_15
; %bb.14:                               ;   in Loop: Header=BB338_7 Depth=1
	s_and_b32 s29, s29, 0xffff
	s_mov_b32 s31, s27
	buffer_load_dwordx4 v[38:41], v107, s[28:31], 0 offen
	buffer_load_dwordx4 v[30:33], v107, s[28:31], s61 offen
	;; [unrolled: 1-line block ×4, first 2 shown]
	v_mov_b32_e32 v121, v81
	v_mov_b32_e32 v122, v80
.LBB338_15:                             ;   in Loop: Header=BB338_7 Depth=1
	s_waitcnt lgkmcnt(0)
	s_barrier
	ds_read_b64 v[46:47], v109
	ds_read_b64 v[128:129], v106
	;; [unrolled: 1-line block ×5, first 2 shown]
	ds_read_b64 v[142:143], v103 offset:3072
	ds_read2_b64 v[42:45], v102 offset0:16 offset1:128
	s_waitcnt lgkmcnt(5)
	v_mfma_f32_16x16x16_bf16 a[0:3], v[46:47], v[128:129], 0
	ds_read2st64_b64 v[48:51], v103 offset0:2 offset1:4
	s_add_i32 s25, s58, s64
	s_mul_hi_i32 s29, s25, s17
	s_waitcnt lgkmcnt(1)
	v_mfma_f32_16x16x16_bf16 a[4:7], v[46:47], v[42:43], 0
	ds_read_b64 v[46:47], v114
	s_mul_i32 s25, s25, s17
	s_add_u32 s28, s25, s33
	s_waitcnt lgkmcnt(1)
	v_mfma_f32_16x16x16_bf16 a[4:7], v[130:131], v[48:49], a[4:7]
	s_addc_u32 s29, s29, s46
	s_lshl_b64 s[28:29], s[28:29], 15
	s_mul_i32 s31, s65, s17
	s_mul_hi_i32 s25, s65, s17
	s_add_u32 s44, s31, s33
	v_mfma_f32_16x16x16_bf16 a[8:11], v[132:133], v[50:51], a[4:7]
	s_addc_u32 s45, s25, s46
	ds_read2st64_b64 v[124:127], v102 offset0:4 offset1:6
	s_lshl_b64 s[44:45], s[44:45], 9
	s_waitcnt lgkmcnt(1)
	v_mfma_f32_16x16x16_bf16 a[4:7], v[46:47], v[128:129], 0
	s_add_u32 s44, s20, s44
	s_addc_u32 s45, s21, s45
	v_mfma_f32_16x16x16_bf16 a[0:3], v[130:131], v[44:45], a[0:3]
	ds_read_b64 v[130:131], v115
	ds_read_b64 v[138:139], v116
	;; [unrolled: 1-line block ×3, first 2 shown]
	v_mfma_f32_16x16x16_bf16 a[12:15], v[46:47], v[42:43], 0
	s_waitcnt lgkmcnt(2)
	v_mfma_f32_16x16x16_bf16 a[4:7], v[130:131], v[44:45], a[4:7]
	global_load_dwordx4 v[42:45], v113, s[44:45]
	v_mfma_f32_16x16x16_bf16 a[12:15], v[130:131], v[48:49], a[12:15]
	global_load_dwordx4 v[46:49], v61, s[44:45]
	ds_read2st64_b64 v[128:131], v104 offset1:8
	s_waitcnt lgkmcnt(0)
	v_mov_b32_e32 v136, v128
	v_mfma_f32_16x16x16_bf16 a[0:3], v[132:133], v[124:125], a[0:3]
	ds_read2st64_b64 v[132:135], v105 offset1:8
	v_mov_b32_e32 v137, v129
	v_mfma_f32_16x16x16_bf16 a[16:19], v[138:139], v[124:125], a[4:7]
	v_lshl_add_u64 v[124:125], v[66:67], 0, s[28:29]
	v_mfma_f32_16x16x16_bf16 a[20:23], v[138:139], v[50:51], a[12:15]
	v_add_co_u32_e32 v50, vcc, s37, v124
	s_waitcnt lgkmcnt(0)
	v_mov_b32_e32 v138, v132
	v_mfma_f32_16x16x16_bf16 a[4:7], v[140:141], v[126:127], a[0:3]
	v_mov_b32_e32 v139, v133
	v_mov_b32_e32 v132, v130
	;; [unrolled: 1-line block ×3, first 2 shown]
	v_mfma_f32_16x16x16_bf16 a[8:11], v[140:141], v[142:143], a[8:11]
	v_addc_co_u32_e32 v51, vcc, 0, v125, vcc
	global_store_dwordx4 v[50:51], v[132:135], off
	v_mfma_f32_16x16x16_bf16 a[12:15], v[144:145], v[126:127], a[16:19]
	s_and_b64 vcc, exec, s[0:1]
	global_store_dwordx4 v[124:125], v[136:139], off
	s_waitcnt vmcnt(3)
	v_mov_b32_e32 v52, v45
	v_mfma_f32_16x16x16_bf16 a[0:3], v[144:145], v[142:143], a[20:23]
	v_mov_b32_e32 v51, v44
	v_mov_b32_e32 v50, v43
	s_cbranch_vccnz .LBB338_17
; %bb.16:                               ;   in Loop: Header=BB338_7 Depth=1
	v_lshrrev_b32_e32 v43, 3, v121
	v_and_b32_e32 v43, 6, v43
	v_xor_b32_e32 v44, v43, v122
	v_lshlrev_b32_e32 v44, 2, v44
	v_and_b32_e32 v45, 8, v121
	v_xor_b32_e32 v121, 0x440, v44
	v_cmp_eq_u32_e32 vcc, 0, v45
	v_perm_b32 v45, v30, v26, s62
	s_nop 0
	v_cndmask_b32_e32 v44, v121, v44, vcc
	v_lshl_or_b32 v43, v43, 10, v44
	v_perm_b32 v44, v38, v34, s62
	s_barrier
	ds_write2st64_b32 v43, v44, v45 offset0:32 offset1:64
	v_xor_b32_e32 v44, 8, v43
	v_perm_b32 v34, v38, v34, s63
	v_perm_b32 v26, v30, v26, s63
	v_add_u32_e32 v30, 0x80, v44
	ds_write2st64_b32 v30, v34, v26 offset0:32 offset1:64
	v_xor_b32_e32 v26, 16, v43
	v_perm_b32 v30, v39, v35, s62
	v_perm_b32 v34, v31, v27, s62
	ds_write2st64_b32 v26, v30, v34 offset0:33 offset1:65
	v_xor_b32_e32 v26, 24, v43
	v_perm_b32 v30, v39, v35, s63
	v_perm_b32 v27, v31, v27, s63
	v_add_u32_e32 v26, 0x80, v26
	ds_write2st64_b32 v26, v30, v27 offset0:33 offset1:65
	v_xor_b32_e32 v26, 32, v43
	v_perm_b32 v27, v40, v36, s62
	v_perm_b32 v30, v32, v28, s62
	;; [unrolled: 9-line block ×3, first 2 shown]
	ds_write2st64_b32 v26, v27, v28 offset0:35 offset1:67
	v_xor_b32_e32 v26, 56, v43
	v_perm_b32 v27, v41, v37, s63
	v_perm_b32 v28, v33, v29, s63
	v_add_u32_e32 v26, 0x80, v26
	ds_write2st64_b32 v26, v27, v28 offset0:35 offset1:67
	ds_write_b64 v120, v[22:23] offset:24576
	v_xor_b32_e32 v22, 8, v120
	ds_write_b64 v22, v[24:25] offset:24576
	ds_write_b64 v120, v[18:19] offset:32768
	;; [unrolled: 1-line block ×4, first 2 shown]
	v_xor_b32_e32 v14, 8, v119
	ds_write_b64 v14, v[16:17] offset:24576
	ds_write_b64 v119, v[10:11] offset:32768
	;; [unrolled: 1-line block ×3, first 2 shown]
.LBB338_17:                             ;   in Loop: Header=BB338_7 Depth=1
	v_mul_f32_e32 v14, s24, v118
	v_exp_f32_e32 v26, v14
	s_waitcnt vmcnt(2)
	v_mul_f32_e32 v14, 0x3fb8aa3b, v46
	v_exp_f32_e32 v28, v14
	v_mul_f32_e32 v14, 0x3fb8aa3b, v47
	v_exp_f32_e32 v29, v14
	;; [unrolled: 2-line block ×4, first 2 shown]
	v_accvgpr_read_b32 v21, a7
	v_accvgpr_read_b32 v19, a5
	v_accvgpr_read_b32 v18, a4
	v_accvgpr_read_b32 v13, a11
	v_pk_mul_f32 v[28:29], v[26:27], v[28:29] op_sel_hi:[0,1]
	v_accvgpr_read_b32 v12, a10
	v_pk_fma_f32 v[2:3], v[2:3], v[28:29], v[18:19]
	v_pk_mul_f32 v[18:19], v[26:27], v[30:31] op_sel_hi:[0,1]
	v_accvgpr_read_b32 v20, a6
	v_accvgpr_read_b32 v11, a9
	;; [unrolled: 1-line block ×3, first 2 shown]
	v_fma_f32 v76, v76, v18, v12
	v_mul_f32_e32 v12, 0x3fb8aa3b, v51
	v_pk_fma_f32 v[4:5], v[4:5], v[18:19], v[20:21]
	v_fma_f32 v74, v74, v28, v10
	v_fma_f32 v75, v75, v29, v11
	v_mul_f32_e32 v10, 0x3fb8aa3b, v42
	v_mul_f32_e32 v11, 0x3fb8aa3b, v50
	v_exp_f32_e32 v20, v12
	v_mul_f32_e32 v12, 0x3fb8aa3b, v52
	v_exp_f32_e32 v10, v10
	v_exp_f32_e32 v11, v11
	;; [unrolled: 1-line block ×3, first 2 shown]
	v_accvgpr_read_b32 v25, a15
	v_accvgpr_read_b32 v17, a3
	;; [unrolled: 1-line block ×8, first 2 shown]
	v_fmac_f32_e32 v13, v85, v19
	v_pk_mul_f32 v[10:11], v[26:27], v[10:11] op_sel_hi:[0,1]
	v_pk_mul_f32 v[18:19], v[26:27], v[20:21] op_sel_hi:[0,1]
	s_add_i32 s59, s59, 64
	v_pk_fma_f32 v[6:7], v[6:7], v[10:11], v[22:23]
	v_pk_fma_f32 v[8:9], v[8:9], v[18:19], v[24:25]
	v_fma_f32 v77, v77, v10, v14
	v_fma_f32 v78, v78, v11, v15
	;; [unrolled: 1-line block ×3, first 2 shown]
	s_cmp_eq_u32 s53, s39
	v_fmac_f32_e32 v17, v82, v19
	s_cbranch_scc1 .LBB338_19
; %bb.18:                               ;   in Loop: Header=BB338_7 Depth=1
	s_mov_b32 s64, s39
	v_mov_b32_e32 v85, v13
	v_mov_b32_e32 v82, v17
	s_branch .LBB338_7
.LBB338_19:
	v_mov_b32_e32 v16, v79
	v_mov_b32_e32 v15, v78
	;; [unrolled: 1-line block ×3, first 2 shown]
.LBB338_20:
	s_lshl_b32 s0, s53, 6
	s_sub_i32 s44, s54, s0
	v_mov_b32_e32 v12, v76
	v_mov_b32_e32 v11, v75
	;; [unrolled: 1-line block ×3, first 2 shown]
	s_cmp_gt_i32 s44, 0
	s_cbranch_scc0 .LBB338_85
; %bb.21:
	s_add_i32 s34, s0, s34
	s_ashr_i32 s3, s34, 31
	s_cmpk_lg_i32 s19, 0x80
	s_cselect_b64 s[30:31], -1, 0
	s_and_b64 vcc, exec, s[30:31]
	s_cbranch_vccz .LBB338_23
; %bb.22:
	s_mul_hi_i32 s0, s34, s18
	s_mul_i32 s1, s34, s18
	s_ashr_i32 s18, s55, 31
	s_add_u32 s42, s1, s55
	s_addc_u32 s43, s0, s18
	s_cbranch_execz .LBB338_24
	s_branch .LBB338_25
.LBB338_23:
                                        ; implicit-def: $sgpr42_sgpr43
.LBB338_24:
	s_mul_i32 s1, s55, s16
	s_mul_hi_i32 s0, s55, s16
	s_add_u32 s42, s1, s34
	s_addc_u32 s43, s0, s3
.LBB338_25:
	s_waitcnt lgkmcnt(0)
	s_add_i32 s16, s53, s58
	s_add_u32 s0, s57, s34
	v_lshlrev_b32_e32 v22, 5, v72
	v_lshlrev_b32_e32 v38, 2, v69
	s_addc_u32 s1, s56, s3
	s_mov_b32 s3, 0x7060302
	v_or_b32_e32 v25, v22, v38
	v_xor_b32_e32 v23, v72, v38
	v_perm_b32 v19, v5, v4, s3
	v_perm_b32 v18, v3, v2, s3
	;; [unrolled: 1-line block ×4, first 2 shown]
	v_lshlrev_b32_e32 v25, 1, v25
	v_xor_b32_e32 v24, v73, v38
	ds_write2st64_b64 v25, v[18:19], v[20:21] offset0:80 offset1:88
	v_lshlrev_b32_e32 v23, 1, v23
	v_lshlrev_b32_e32 v25, 8, v69
	s_lshl_b64 s[28:29], s[0:1], 8
	v_or_b32_e32 v26, v23, v25
	v_lshlrev_b32_e32 v24, 1, v24
	s_add_u32 s0, s6, s28
	ds_write_b64 v26, v[18:19]
	v_or_b32_e32 v18, v24, v25
	s_addc_u32 s1, s7, s29
	ds_write_b64 v18, v[20:21]
	v_perm_b32 v19, v13, v12, s3
	v_perm_b32 v18, v11, v10, s3
	;; [unrolled: 1-line block ×4, first 2 shown]
	v_or_b32_e32 v25, 16, v69
	s_mul_hi_i32 s3, s16, s17
	s_mul_i32 s16, s16, s17
	v_lshlrev_b32_e32 v35, 2, v25
	s_add_u32 s6, s16, s33
	v_or_b32_e32 v22, v22, v35
	s_addc_u32 s7, s3, s46
	v_lshlrev_b32_e32 v22, 1, v22
	s_ashr_i32 s3, s2, 31
	s_lshl_b64 s[6:7], s[6:7], 15
	ds_write2st64_b64 v22, v[18:19], v[20:21] offset0:80 offset1:88
	v_lshlrev_b32_e32 v22, 8, v25
	s_add_u32 s6, s40, s6
	v_or_b32_e32 v23, v23, v22
	s_addc_u32 s7, s41, s7
	s_lshl_b64 s[2:3], s[2:3], 8
	ds_write_b64 v23, v[18:19]
	v_or_b32_e32 v18, v24, v22
	s_add_u32 s2, s6, s2
	ds_write_b64 v18, v[20:21]
	v_lshrrev_b32_e32 v18, 4, v0
	s_addc_u32 s3, s7, s3
	v_lshlrev_b32_e32 v19, 1, v69
	v_lshlrev_b32_e32 v26, 4, v69
	v_mov_b32_e32 v27, 0
	v_or_b32_e32 v20, 1, v19
	v_xor_b32_e32 v19, v18, v19
	v_lshl_add_u64 v[28:29], s[2:3], 0, v[26:27]
	v_lshlrev_b32_e32 v26, 8, v18
	v_xor_b32_e32 v22, v20, v18
	v_lshl_or_b32 v18, v19, 3, v26
	s_waitcnt lgkmcnt(0)
	s_barrier
	ds_read2st64_b64 v[18:21], v18 offset1:8
	v_lshl_or_b32 v22, v22, 3, v26
	ds_read2st64_b64 v[22:25], v22 offset1:8
	v_lshl_add_u64 v[30:31], v[28:29], 0, v[26:27]
	s_movk_i32 s2, 0x1000
	s_waitcnt lgkmcnt(1)
	v_mov_b32_e32 v26, v18
	v_add_co_u32_e32 v18, vcc, s2, v30
	s_cmp_lg_u32 s44, 64
	v_mov_b32_e32 v27, v19
	v_addc_co_u32_e32 v19, vcc, 0, v31, vcc
	s_cselect_b64 s[6:7], -1, 0
	v_lshl_or_b32 v42, v1, 3, v71
	s_waitcnt lgkmcnt(0)
	v_mov_b32_e32 v28, v22
	v_mov_b32_e32 v29, v23
	;; [unrolled: 1-line block ×4, first 2 shown]
	s_mov_b32 s24, 0
	v_or_b32_e32 v36, 32, v42
	v_and_b32_e32 v34, 56, v70
	s_and_b64 vcc, exec, s[6:7]
	global_store_dwordx4 v[30:31], v[26:29], off
	global_store_dwordx4 v[18:19], v[22:25], off
	s_cbranch_vccz .LBB338_31
; %bb.26:
	s_mov_b32 s25, s24
	s_mov_b32 s26, s24
	;; [unrolled: 1-line block ×3, first 2 shown]
	v_mov_b64_e32 v[22:23], s[24:25]
	v_mov_b64_e32 v[24:25], s[26:27]
	;; [unrolled: 1-line block ×3, first 2 shown]
	v_cmp_gt_i32_e32 vcc, s44, v42
	v_mov_b64_e32 v[20:21], v[24:25]
	s_and_saveexec_b64 s[2:3], vcc
	s_cbranch_execz .LBB338_28
; %bb.27:
	v_lshlrev_b32_e32 v18, 8, v42
	v_mov_b32_e32 v19, 0
	v_lshl_add_u64 v[20:21], s[0:1], 0, v[18:19]
	v_lshlrev_b32_e32 v18, 1, v34
	v_lshl_add_u64 v[26:27], v[20:21], 0, v[18:19]
	global_load_dwordx4 v[22:25], v[26:27], off
	global_load_dwordx4 v[18:21], v[26:27], off offset:128
.LBB338_28:
	s_or_b64 exec, exec, s[2:3]
	s_mov_b32 s26, s24
	s_mov_b32 s27, s24
	;; [unrolled: 1-line block ×3, first 2 shown]
	v_mov_b64_e32 v[32:33], s[26:27]
	v_mov_b64_e32 v[30:31], s[24:25]
	v_mov_b64_e32 v[26:27], v[30:31]
	v_cmp_gt_i32_e32 vcc, s44, v36
	v_lshlrev_b32_e32 v37, 7, v36
	v_mov_b64_e32 v[28:29], v[32:33]
	s_and_saveexec_b64 s[2:3], vcc
	s_cbranch_execz .LBB338_30
; %bb.29:
	v_lshlrev_b32_e32 v26, 1, v37
	v_mov_b32_e32 v27, 0
	v_lshl_add_u64 v[28:29], s[0:1], 0, v[26:27]
	v_lshlrev_b32_e32 v26, 1, v34
	v_lshl_add_u64 v[40:41], v[28:29], 0, v[26:27]
	global_load_dwordx4 v[30:33], v[40:41], off
	global_load_dwordx4 v[26:29], v[40:41], off offset:128
.LBB338_30:
	s_or_b64 exec, exec, s[2:3]
	v_lshrrev_b32_e32 v39, 3, v34
	v_lshlrev_b32_e32 v40, 3, v42
	v_or_b32_e32 v39, v40, v39
	v_lshlrev_b32_e32 v39, 4, v39
	v_and_b32_e32 v40, 0x78, v40
	v_xor_b32_e32 v39, v39, v40
	s_branch .LBB338_33
.LBB338_31:
                                        ; implicit-def: $vgpr39
                                        ; implicit-def: $vgpr37
                                        ; implicit-def: $vgpr22_vgpr23_vgpr24_vgpr25
                                        ; implicit-def: $vgpr18_vgpr19_vgpr20_vgpr21
                                        ; implicit-def: $vgpr30_vgpr31_vgpr32_vgpr33
                                        ; implicit-def: $vgpr26_vgpr27_vgpr28_vgpr29
	s_cbranch_execz .LBB338_33
; %bb.32:
	s_waitcnt vmcnt(0)
	v_lshlrev_b32_e32 v18, 1, v34
	v_lshl_or_b32 v37, v42, 8, v18
	s_and_b32 s1, s1, 0xffff
	s_mov_b32 s3, 0x20000
	s_movk_i32 s2, 0x4000
	v_lshl_or_b32 v39, v36, 8, v18
	s_movk_i32 s16, 0x80
	buffer_load_dwordx4 v[22:25], v37, s[0:3], 0 offen
	buffer_load_dwordx4 v[18:21], v37, s[0:3], s16 offen
	;; [unrolled: 1-line block ×4, first 2 shown]
	v_lshrrev_b32_e32 v37, 3, v34
	v_lshlrev_b32_e32 v39, 3, v42
	v_or_b32_e32 v37, v39, v37
	v_lshlrev_b32_e32 v37, 4, v37
	v_and_b32_e32 v39, 0x78, v39
	v_xor_b32_e32 v39, v37, v39
	v_lshlrev_b32_e32 v37, 7, v36
.LBB338_33:
	s_lshl_b64 s[0:1], s[42:43], 8
	s_add_u32 s4, s4, s0
	s_movk_i32 s0, 0x1000
	v_and_or_b32 v36, v37, s0, v39
	s_waitcnt vmcnt(1)
	ds_write_b64 v39, v[22:23] offset:24576
	v_xor_b32_e32 v22, 8, v39
	ds_write_b64 v22, v[24:25] offset:24576
	s_waitcnt vmcnt(0)
	ds_write_b64 v39, v[18:19] offset:32768
	ds_write_b64 v22, v[20:21] offset:32768
	;; [unrolled: 1-line block ×3, first 2 shown]
	v_xor_b32_e32 v18, 8, v36
	ds_write_b64 v18, v[32:33] offset:24576
	ds_write_b64 v36, v[26:27] offset:32768
	;; [unrolled: 1-line block ×3, first 2 shown]
	v_or_b32_e32 v18, v53, v69
	v_lshlrev_b32_e32 v18, 3, v18
	v_lshrrev_b32_e32 v19, 5, v55
	s_movk_i32 s2, 0xf8
	v_and_or_b32 v19, v18, s2, v19
	v_lshlrev_b32_e32 v23, 4, v19
	v_lshlrev_b32_e32 v39, 11, v1
	v_and_b32_e32 v24, 0x78, v18
	v_or_b32_e32 v26, 32, v23
	v_and_b32_e32 v22, 0x1000, v39
	v_lshrrev_b32_e32 v19, 1, v55
	v_xor_b32_e32 v26, v26, v24
	v_xor_b32_e32 v18, v23, v24
	v_and_b32_e32 v25, 8, v19
	v_or_b32_e32 v26, v26, v22
	v_or_b32_e32 v18, v18, v22
	v_xor_b32_e32 v44, v26, v25
	v_or_b32_e32 v26, 64, v23
	v_xor_b32_e32 v43, v18, v25
	v_xor_b32_e32 v26, v26, v24
	s_waitcnt lgkmcnt(0)
	s_barrier
	v_or_b32_e32 v28, v26, v22
	ds_read_b64 v[26:27], v43 offset:24576
	v_lshl_or_b32 v36, v68, 7, v38
	v_lshlrev_b32_e32 v40, 1, v36
	v_add_u32_e32 v18, 0xa000, v40
	ds_read2_b64 v[18:21], v18 offset1:16
	v_or_b32_e32 v23, 0x60, v23
	v_xor_b32_e32 v23, v23, v24
	s_waitcnt lgkmcnt(0)
	v_mfma_f32_16x16x16_bf16 a[0:3], v[26:27], v[18:19], 0
	v_or_b32_e32 v18, 64, v36
	v_or_b32_e32 v22, v23, v22
	v_lshlrev_b32_e32 v41, 1, v18
	v_xor_b32_e32 v45, v28, v25
	v_xor_b32_e32 v46, v22, v25
	ds_read_b64 v[28:29], v44 offset:24576
	ds_read_b64 v[30:31], v45 offset:24576
	;; [unrolled: 1-line block ×3, first 2 shown]
	v_mfma_f32_16x16x16_bf16 a[4:7], v[26:27], v[20:21], 0
	ds_read2st64_b64 v[18:21], v41 offset0:82 offset1:84
	ds_read2st64_b64 v[22:25], v40 offset0:82 offset1:84
	s_addc_u32 s5, s5, s1
	s_add_i32 s0, s48, s47
	s_add_i32 s16, s35, -1
	s_add_i32 s37, s0, s49
	s_add_i32 s0, s51, s50
	;; [unrolled: 1-line block ×3, first 2 shown]
	s_ashr_i32 s0, s16, 31
	s_mul_i32 s1, s16, s23
	s_mul_hi_u32 s2, s16, s22
	s_add_i32 s1, s2, s1
	s_mul_i32 s0, s0, s22
	s_waitcnt lgkmcnt(1)
	v_mfma_f32_16x16x16_bf16 a[4:7], v[28:29], v[18:19], a[4:7]
	s_add_i32 s1, s1, s0
	s_lshl_b64 s[2:3], s[36:37], 2
	s_add_u32 s10, s10, s2
	s_waitcnt lgkmcnt(0)
	v_mfma_f32_16x16x16_bf16 a[0:3], v[28:29], v[22:23], a[0:3]
	s_addc_u32 s11, s11, s3
	s_lshl_b64 s[2:3], s[38:39], 2
	s_mul_i32 s0, s16, s22
	s_add_u32 s10, s10, s2
	ds_read_b64 v[18:19], v40 offset:44032
	v_mfma_f32_16x16x16_bf16 a[4:7], v[30:31], v[20:21], a[4:7]
	ds_read_b64 v[20:21], v41 offset:44032
	s_addc_u32 s11, s11, s3
	s_lshl_b64 s[0:1], s[0:1], 2
	v_mfma_f32_16x16x16_bf16 a[0:3], v[30:31], v[24:25], a[0:3]
	s_add_u32 s0, s10, s0
	s_addc_u32 s1, s11, s1
	s_load_dword s18, s[0:1], 0x0
	s_waitcnt lgkmcnt(0)
	v_mfma_f32_16x16x16_bf16 a[0:3], v[32:33], v[18:19], a[0:3]
	s_and_b64 vcc, exec, s[30:31]
	v_mfma_f32_16x16x16_bf16 a[4:7], v[32:33], v[20:21], a[4:7]
	s_cbranch_vccz .LBB338_44
; %bb.34:
	v_lshlrev_b32_e32 v36, 1, v42
	s_and_b64 vcc, exec, s[6:7]
	s_cbranch_vccz .LBB338_45
; %bb.35:
	v_cmp_gt_i32_e32 vcc, s44, v36
	v_mov_b32_e32 v22, 0
	v_mov_b32_e32 v18, 0
	;; [unrolled: 1-line block ×5, first 2 shown]
	s_and_saveexec_b64 s[0:1], vcc
	s_cbranch_execz .LBB338_37
; %bb.36:
	v_mad_i64_i32 v[18:19], s[2:3], s19, v36, 0
	v_lshl_add_u64 v[18:19], v[18:19], 1, s[4:5]
	v_lshlrev_b32_e32 v20, 1, v34
	v_mov_b32_e32 v21, 0
	v_lshl_add_u64 v[18:19], v[18:19], 0, v[20:21]
	global_load_dwordx4 v[18:21], v[18:19], off
.LBB338_37:
	s_or_b64 exec, exec, s[0:1]
	v_or_b32_e32 v37, 1, v36
	v_cmp_gt_i32_e64 s[0:1], s44, v37
	v_mov_b32_e32 v23, 0
	v_mov_b32_e32 v24, 0
	;; [unrolled: 1-line block ×3, first 2 shown]
	s_and_saveexec_b64 s[2:3], s[0:1]
	s_cbranch_execz .LBB338_39
; %bb.38:
	v_mad_i64_i32 v[22:23], s[24:25], s19, v37, 0
	v_lshl_add_u64 v[22:23], v[22:23], 1, s[4:5]
	v_lshlrev_b32_e32 v24, 1, v34
	v_mov_b32_e32 v25, 0
	v_lshl_add_u64 v[22:23], v[22:23], 0, v[24:25]
	global_load_dwordx4 v[22:25], v[22:23], off
.LBB338_39:
	s_or_b64 exec, exec, s[2:3]
	v_mov_b32_e32 v33, 0
	v_mov_b32_e32 v26, 0
	;; [unrolled: 1-line block ×5, first 2 shown]
	s_and_saveexec_b64 s[2:3], vcc
	s_cbranch_execz .LBB338_41
; %bb.40:
	v_mad_i64_i32 v[26:27], s[24:25], s19, v36, 0
	v_lshl_add_u64 v[26:27], v[26:27], 1, s[4:5]
	v_lshlrev_b32_e32 v28, 1, v34
	v_mov_b32_e32 v29, 0
	v_lshl_add_u64 v[26:27], v[26:27], 0, v[28:29]
	global_load_dwordx4 v[26:29], v[26:27], off offset:128
.LBB338_41:
	s_or_b64 exec, exec, s[2:3]
	v_mov_b32_e32 v32, 0
	v_mov_b32_e32 v31, 0
	;; [unrolled: 1-line block ×3, first 2 shown]
	s_and_saveexec_b64 s[2:3], s[0:1]
	s_cbranch_execz .LBB338_43
; %bb.42:
	v_mad_i64_i32 v[30:31], s[0:1], s19, v37, 0
	v_lshl_add_u64 v[30:31], v[30:31], 1, s[4:5]
	v_lshlrev_b32_e32 v32, 1, v34
	v_mov_b32_e32 v33, 0
	v_lshl_add_u64 v[30:31], v[30:31], 0, v[32:33]
	global_load_dwordx4 v[30:33], v[30:31], off offset:128
.LBB338_43:
	s_or_b64 exec, exec, s[2:3]
	s_branch .LBB338_47
.LBB338_44:
                                        ; implicit-def: $vgpr21
                                        ; implicit-def: $vgpr25
                                        ; implicit-def: $vgpr29
                                        ; implicit-def: $vgpr33
	v_lshrrev_b32_e32 v47, 2, v55
	s_branch .LBB338_48
.LBB338_45:
                                        ; implicit-def: $vgpr21
                                        ; implicit-def: $vgpr25
                                        ; implicit-def: $vgpr29
                                        ; implicit-def: $vgpr33
	s_cbranch_execz .LBB338_47
; %bb.46:
	s_waitcnt vmcnt(0)
	v_mad_u64_u32 v[18:19], s[0:1], v36, s19, v[34:35]
	v_lshlrev_b32_e32 v36, 1, v18
	s_lshl_b32 s2, s19, 7
	s_and_b32 s1, s5, 0xffff
	s_mov_b32 s3, 0x20000
	s_mov_b32 s0, s4
	v_add_lshl_u32 v37, v18, s19, 1
	s_movk_i32 s19, 0x80
	buffer_load_dwordx4 v[18:21], v36, s[0:3], 0 offen
	buffer_load_dwordx4 v[26:29], v36, s[0:3], s19 offen
	;; [unrolled: 1-line block ×4, first 2 shown]
.LBB338_47:
	v_lshrrev_b32_e32 v47, 2, v55
	s_cbranch_execnz .LBB338_60
.LBB338_48:
	s_and_b64 vcc, exec, s[6:7]
	s_cbranch_vccz .LBB338_58
; %bb.49:
	s_waitcnt vmcnt(0)
	v_lshlrev_b32_e32 v23, 1, v42
	v_cmp_gt_i32_e32 vcc, s44, v23
	v_mov_b32_e32 v22, 0
	v_lshlrev_b32_e32 v30, 9, v42
	v_mov_b32_e32 v18, 0
	v_mov_b32_e32 v19, 0
	;; [unrolled: 1-line block ×4, first 2 shown]
	s_and_saveexec_b64 s[0:1], vcc
	s_cbranch_execz .LBB338_51
; %bb.50:
	v_mov_b32_e32 v31, 0
	v_lshl_add_u64 v[18:19], s[4:5], 0, v[30:31]
	v_lshlrev_b32_e32 v20, 1, v34
	v_mov_b32_e32 v21, v31
	v_lshl_add_u64 v[18:19], v[18:19], 0, v[20:21]
	global_load_dwordx4 v[18:21], v[18:19], off
.LBB338_51:
	s_or_b64 exec, exec, s[0:1]
	v_or_b32_e32 v23, 1, v23
	v_cmp_gt_i32_e64 s[0:1], s44, v23
	v_lshlrev_b32_e32 v36, 8, v23
	v_mov_b32_e32 v23, 0
	v_mov_b32_e32 v24, 0
	;; [unrolled: 1-line block ×3, first 2 shown]
	s_and_saveexec_b64 s[2:3], s[0:1]
	s_cbranch_execz .LBB338_53
; %bb.52:
	v_mov_b32_e32 v37, 0
	v_lshl_add_u64 v[22:23], s[4:5], 0, v[36:37]
	v_lshlrev_b32_e32 v24, 1, v34
	v_mov_b32_e32 v25, v37
	v_lshl_add_u64 v[22:23], v[22:23], 0, v[24:25]
	global_load_dwordx4 v[22:25], v[22:23], off
.LBB338_53:
	s_or_b64 exec, exec, s[2:3]
	v_mov_b32_e32 v33, 0
	v_mov_b32_e32 v26, 0
	v_mov_b32_e32 v27, 0
	v_mov_b32_e32 v28, 0
	v_mov_b32_e32 v29, 0
	s_and_saveexec_b64 s[2:3], vcc
	s_cbranch_execz .LBB338_55
; %bb.54:
	v_mov_b32_e32 v31, 0
	v_lshl_add_u64 v[26:27], s[4:5], 0, v[30:31]
	v_lshlrev_b32_e32 v30, 1, v34
	v_lshl_add_u64 v[26:27], v[26:27], 0, v[30:31]
	global_load_dwordx4 v[26:29], v[26:27], off offset:128
.LBB338_55:
	s_or_b64 exec, exec, s[2:3]
	v_mov_b32_e32 v32, 0
	v_mov_b32_e32 v31, 0
	;; [unrolled: 1-line block ×3, first 2 shown]
	s_and_saveexec_b64 s[2:3], s[0:1]
	s_cbranch_execz .LBB338_57
; %bb.56:
	v_mov_b32_e32 v37, 0
	v_lshl_add_u64 v[30:31], s[4:5], 0, v[36:37]
	v_lshlrev_b32_e32 v36, 1, v34
	v_lshl_add_u64 v[30:31], v[30:31], 0, v[36:37]
	global_load_dwordx4 v[30:33], v[30:31], off offset:128
.LBB338_57:
	s_or_b64 exec, exec, s[2:3]
	s_branch .LBB338_60
.LBB338_58:
                                        ; implicit-def: $vgpr21
                                        ; implicit-def: $vgpr25
                                        ; implicit-def: $vgpr29
                                        ; implicit-def: $vgpr33
	s_cbranch_execz .LBB338_60
; %bb.59:
	s_waitcnt vmcnt(0)
	v_lshlrev_b32_e32 v18, 1, v34
	v_lshl_or_b32 v34, v42, 9, v18
	s_and_b32 s5, s5, 0xffff
	s_mov_b32 s7, 0x20000
	s_movk_i32 s6, 0x4000
	s_movk_i32 s0, 0x80
	buffer_load_dwordx4 v[18:21], v34, s[4:7], 0 offen
	buffer_load_dwordx4 v[22:25], v34, s[4:7], 0 offen offset:256
	buffer_load_dwordx4 v[26:29], v34, s[4:7], s0 offen
	buffer_load_dwordx4 v[30:33], v34, s[4:7], s0 offen offset:256
.LBB338_60:
	ds_read_b64 v[36:37], v43 offset:32768
	v_add_u32_e32 v34, 0xb000, v40
	ds_read2_b64 v[48:51], v34 offset1:16
	ds_read_b64 v[66:67], v44 offset:32768
	ds_read_b64 v[44:45], v45 offset:32768
	;; [unrolled: 1-line block ×3, first 2 shown]
	ds_read2st64_b64 v[62:65], v41 offset0:90 offset1:92
	v_and_b32_e32 v43, 6, v0
	v_and_b32_e32 v34, 12, v47
	v_xor_b32_e32 v42, v42, v43
	v_lshlrev_b32_e32 v42, 2, v42
	s_mov_b32 s0, 0x1000504
	s_waitcnt lgkmcnt(4)
	v_mfma_f32_16x16x16_bf16 a[0:3], v[36:37], v[48:49], a[0:3]
	s_mov_b32 s1, 0x3020706
	v_mfma_f32_16x16x16_bf16 a[4:7], v[36:37], v[50:51], a[4:7]
	ds_read2st64_b64 v[48:51], v40 offset0:90 offset1:92
	ds_read_b64 v[36:37], v40 offset:48128
	ds_read_b64 v[46:47], v41 offset:48128
	s_waitcnt lgkmcnt(2)
	v_mfma_f32_16x16x16_bf16 a[0:3], v[66:67], v[48:49], a[0:3]
	v_and_b32_e32 v48, 1, v0
	v_xor_b32_e32 v49, 0x440, v42
	v_cmp_eq_u32_e32 vcc, 0, v48
	v_mfma_f32_16x16x16_bf16 a[4:7], v[66:67], v[62:63], a[4:7]
	s_nop 0
	v_cndmask_b32_e32 v42, v49, v42, vcc
	v_lshl_or_b32 v42, v43, 10, v42
	v_mfma_f32_16x16x16_bf16 a[0:3], v[44:45], v[50:51], a[0:3]
	v_mfma_f32_16x16x16_bf16 a[8:11], v[44:45], v[64:65], a[4:7]
	s_waitcnt lgkmcnt(1)
	v_mfma_f32_16x16x16_bf16 a[4:7], v[68:69], v[36:37], a[0:3]
	s_waitcnt vmcnt(0)
	v_perm_b32 v36, v18, v22, s0
	v_perm_b32 v37, v26, v30, s0
	ds_write2st64_b32 v42, v36, v37 offset0:32 offset1:64
	v_xor_b32_e32 v36, 8, v42
	v_perm_b32 v18, v18, v22, s1
	v_perm_b32 v22, v26, v30, s1
	v_add_u32_e32 v26, 0x80, v36
	ds_write2st64_b32 v26, v18, v22 offset0:32 offset1:64
	v_xor_b32_e32 v18, 16, v42
	v_perm_b32 v22, v19, v23, s0
	v_perm_b32 v26, v27, v31, s0
	ds_write2st64_b32 v18, v22, v26 offset0:33 offset1:65
	v_xor_b32_e32 v18, 24, v42
	v_perm_b32 v19, v19, v23, s1
	v_perm_b32 v22, v27, v31, s1
	v_add_u32_e32 v18, 0x80, v18
	ds_write2st64_b32 v18, v19, v22 offset0:33 offset1:65
	v_xor_b32_e32 v18, 32, v42
	v_perm_b32 v19, v20, v24, s0
	v_perm_b32 v22, v28, v32, s0
	ds_write2st64_b32 v18, v19, v22 offset0:34 offset1:66
	v_xor_b32_e32 v18, 40, v42
	s_waitcnt lgkmcnt(5)
	v_mfma_f32_16x16x16_bf16 a[0:3], v[68:69], v[46:47], a[8:11]
	v_perm_b32 v19, v20, v24, s1
	v_perm_b32 v20, v28, v32, s1
	v_add_u32_e32 v18, 0x80, v18
	ds_write2st64_b32 v18, v19, v20 offset0:34 offset1:66
	v_xor_b32_e32 v18, 48, v42
	v_perm_b32 v19, v21, v25, s0
	v_perm_b32 v20, v29, v33, s0
	ds_write2st64_b32 v18, v19, v20 offset0:35 offset1:67
	v_xor_b32_e32 v18, 56, v42
	v_or_b32_e32 v32, v34, v53
	v_perm_b32 v19, v21, v25, s1
	v_perm_b32 v20, v29, v33, s1
	v_add_u32_e32 v18, 0x80, v18
	v_cmp_gt_i32_e32 vcc, s44, v32
	v_mov_b32_e32 v33, 0
	v_mov_b32_e32 v37, 0
	ds_write2st64_b32 v18, v19, v20 offset0:35 offset1:67
	s_and_saveexec_b64 s[0:1], vcc
	s_cbranch_execz .LBB338_62
; %bb.61:
	v_add_u32_e32 v18, s34, v32
	v_ashrrev_i32_e32 v19, 31, v18
	v_mul_lo_u32 v20, v19, s22
	v_mul_lo_u32 v21, v18, s23
	v_mad_u64_u32 v[18:19], s[2:3], v18, s22, 0
	v_add3_u32 v19, v19, v21, v20
	v_lshl_add_u64 v[18:19], v[18:19], 2, s[10:11]
	global_load_dword v18, v[18:19], off
	s_waitcnt vmcnt(0)
	v_sub_f32_e32 v18, s18, v18
	v_mul_f32_e32 v18, 0x3fb8aa3b, v18
	v_exp_f32_e32 v37, v18
.LBB338_62:
	s_or_b64 exec, exec, s[0:1]
	v_or_b32_e32 v26, 1, v32
	v_cmp_gt_i32_e64 s[0:1], s44, v26
	s_and_saveexec_b64 s[2:3], s[0:1]
	s_cbranch_execz .LBB338_64
; %bb.63:
	v_add_u32_e32 v18, s34, v26
	v_ashrrev_i32_e32 v19, 31, v18
	v_mul_lo_u32 v20, v19, s22
	v_mul_lo_u32 v21, v18, s23
	v_mad_u64_u32 v[18:19], s[4:5], v18, s22, 0
	v_add3_u32 v19, v19, v21, v20
	v_lshl_add_u64 v[18:19], v[18:19], 2, s[10:11]
	global_load_dword v18, v[18:19], off
	s_waitcnt vmcnt(0)
	v_sub_f32_e32 v18, s18, v18
	v_mul_f32_e32 v18, 0x3fb8aa3b, v18
	v_exp_f32_e32 v33, v18
.LBB338_64:
	s_or_b64 exec, exec, s[2:3]
	v_or_b32_e32 v27, 2, v32
	v_cmp_gt_i32_e64 s[2:3], s44, v27
	v_mov_b32_e32 v36, 0
	v_mov_b32_e32 v42, 0
	s_and_saveexec_b64 s[4:5], s[2:3]
	s_cbranch_execz .LBB338_66
; %bb.65:
	v_add_u32_e32 v18, s34, v27
	v_ashrrev_i32_e32 v19, 31, v18
	v_mul_lo_u32 v20, v19, s22
	v_mul_lo_u32 v21, v18, s23
	v_mad_u64_u32 v[18:19], s[6:7], v18, s22, 0
	v_add3_u32 v19, v19, v21, v20
	v_lshl_add_u64 v[18:19], v[18:19], 2, s[10:11]
	global_load_dword v18, v[18:19], off
	s_waitcnt vmcnt(0)
	v_sub_f32_e32 v18, s18, v18
	v_mul_f32_e32 v18, 0x3fb8aa3b, v18
	v_exp_f32_e32 v42, v18
.LBB338_66:
	s_or_b64 exec, exec, s[4:5]
	v_or_b32_e32 v43, 3, v32
	v_cmp_gt_i32_e64 s[4:5], s44, v43
	s_and_saveexec_b64 s[6:7], s[4:5]
	s_cbranch_execz .LBB338_68
; %bb.67:
	v_add_u32_e32 v18, s34, v43
	v_ashrrev_i32_e32 v19, 31, v18
	v_mul_lo_u32 v20, v19, s22
	v_mul_lo_u32 v21, v18, s23
	v_mad_u64_u32 v[18:19], s[22:23], v18, s22, 0
	v_add3_u32 v19, v19, v21, v20
	v_lshl_add_u64 v[18:19], v[18:19], 2, s[10:11]
	global_load_dword v18, v[18:19], off
	s_waitcnt vmcnt(0)
	v_sub_f32_e32 v18, s18, v18
	v_mul_f32_e32 v18, 0x3fb8aa3b, v18
	v_exp_f32_e32 v36, v18
.LBB338_68:
	s_or_b64 exec, exec, s[6:7]
	s_add_u32 s6, s8, s28
	v_accvgpr_read_b32 v21, a7
	s_addc_u32 s7, s9, s29
	v_ashrrev_i32_e32 v61, 31, v60
	v_accvgpr_read_b32 v20, a6
	v_accvgpr_read_b32 v19, a5
	;; [unrolled: 1-line block ×3, first 2 shown]
	v_lshl_add_u64 v[22:23], v[60:61], 1, s[6:7]
	v_mov_b32_e32 v29, 0
	v_lshlrev_b32_e32 v24, 8, v32
	v_mov_b32_e32 v25, 0
	s_and_saveexec_b64 s[6:7], vcc
	s_cbranch_execz .LBB338_70
; %bb.69:
	v_mov_b32_e32 v25, 0
	v_lshl_add_u64 v[30:31], v[22:23], 0, v[24:25]
	global_load_ushort v25, v[30:31], off
	s_waitcnt vmcnt(0)
	v_lshlrev_b32_e32 v25, 16, v25
	v_sub_f32_e32 v18, v25, v18
	v_mul_f32_e32 v18, v37, v18
	v_lshrrev_b32_e32 v25, 16, v18
.LBB338_70:
	s_or_b64 exec, exec, s[6:7]
	v_lshlrev_b32_e32 v28, 8, v26
	s_and_saveexec_b64 s[6:7], s[0:1]
	s_cbranch_execz .LBB338_72
; %bb.71:
	v_mov_b32_e32 v29, 0
	v_lshl_add_u64 v[30:31], v[22:23], 0, v[28:29]
	global_load_ushort v18, v[30:31], off
	s_waitcnt vmcnt(0)
	v_lshlrev_b32_e32 v18, 16, v18
	v_sub_f32_e32 v18, v18, v19
	v_mul_f32_e32 v18, v33, v18
	v_lshrrev_b32_e32 v29, 16, v18
.LBB338_72:
	s_or_b64 exec, exec, s[6:7]
	v_mov_b32_e32 v44, 0
	v_lshlrev_b32_e32 v30, 8, v27
	v_mov_b32_e32 v31, 0
	s_and_saveexec_b64 s[6:7], s[2:3]
	s_cbranch_execz .LBB338_74
; %bb.73:
	v_mov_b32_e32 v31, 0
	v_lshl_add_u64 v[18:19], v[22:23], 0, v[30:31]
	global_load_ushort v18, v[18:19], off
	s_waitcnt vmcnt(0)
	v_lshlrev_b32_e32 v18, 16, v18
	v_sub_f32_e32 v18, v18, v20
	v_mul_f32_e32 v18, v42, v18
	v_lshrrev_b32_e32 v31, 16, v18
.LBB338_74:
	s_or_b64 exec, exec, s[6:7]
	v_lshlrev_b32_e32 v26, 8, v43
	s_and_saveexec_b64 s[6:7], s[4:5]
	s_cbranch_execz .LBB338_76
; %bb.75:
	v_mov_b32_e32 v27, 0
	v_lshl_add_u64 v[18:19], v[22:23], 0, v[26:27]
	global_load_ushort v18, v[18:19], off
	s_waitcnt vmcnt(0)
	v_lshlrev_b32_e32 v18, 16, v18
	v_sub_f32_e32 v18, v18, v21
	v_mul_f32_e32 v18, v36, v18
	v_lshrrev_b32_e32 v44, 16, v18
.LBB338_76:
	s_or_b64 exec, exec, s[6:7]
	v_lshlrev_b32_e32 v43, 5, v32
	s_mov_b32 s6, 0x5040100
	v_perm_b32 v45, v44, v31, s6
	v_perm_b32 v44, v29, v25, s6
	v_or_b32_e32 v25, v43, v38
	v_accvgpr_read_b32 v21, a3
	v_lshlrev_b32_e32 v25, 1, v25
	v_accvgpr_read_b32 v20, a2
	v_accvgpr_read_b32 v19, a1
	;; [unrolled: 1-line block ×3, first 2 shown]
	ds_write_b64 v25, v[44:45] offset:45056
	v_mov_b32_e32 v29, 0
	v_mov_b32_e32 v25, 0
	s_and_saveexec_b64 s[6:7], vcc
	s_cbranch_execz .LBB338_78
; %bb.77:
	v_mov_b32_e32 v25, 0
	v_lshl_add_u64 v[24:25], v[22:23], 0, v[24:25]
	global_load_ushort v24, v[24:25], off offset:32
	s_waitcnt vmcnt(0)
	v_lshlrev_b32_e32 v24, 16, v24
	v_sub_f32_e32 v18, v24, v18
	v_mul_f32_e32 v18, v37, v18
	v_lshrrev_b32_e32 v25, 16, v18
.LBB338_78:
	s_or_b64 exec, exec, s[6:7]
	s_and_saveexec_b64 s[6:7], s[0:1]
	s_cbranch_execz .LBB338_80
; %bb.79:
	v_mov_b32_e32 v29, 0
	v_lshl_add_u64 v[28:29], v[22:23], 0, v[28:29]
	global_load_ushort v18, v[28:29], off offset:32
	s_waitcnt vmcnt(0)
	v_lshlrev_b32_e32 v18, 16, v18
	v_sub_f32_e32 v18, v18, v19
	v_mul_f32_e32 v18, v33, v18
	v_lshrrev_b32_e32 v29, 16, v18
.LBB338_80:
	s_or_b64 exec, exec, s[6:7]
	v_mov_b32_e32 v24, 0
	v_mov_b32_e32 v28, 0
	s_and_saveexec_b64 s[0:1], s[2:3]
	s_cbranch_execz .LBB338_82
; %bb.81:
	v_mov_b32_e32 v31, 0
	v_lshl_add_u64 v[18:19], v[22:23], 0, v[30:31]
	global_load_ushort v18, v[18:19], off offset:32
	s_waitcnt vmcnt(0)
	v_lshlrev_b32_e32 v18, 16, v18
	v_sub_f32_e32 v18, v18, v20
	v_mul_f32_e32 v18, v42, v18
	v_lshrrev_b32_e32 v28, 16, v18
.LBB338_82:
	s_or_b64 exec, exec, s[0:1]
	v_or_b32_e32 v19, 0xb000, v40
	v_or_b32_e32 v18, 0xb000, v41
	s_and_saveexec_b64 s[0:1], s[4:5]
	s_cbranch_execz .LBB338_84
; %bb.83:
	v_mov_b32_e32 v27, 0
	v_lshl_add_u64 v[22:23], v[22:23], 0, v[26:27]
	global_load_ushort v20, v[22:23], off offset:32
	s_waitcnt vmcnt(0)
	v_lshlrev_b32_e32 v20, 16, v20
	v_sub_f32_e32 v20, v20, v21
	v_mul_f32_e32 v20, v36, v20
	v_lshrrev_b32_e32 v24, 16, v20
.LBB338_84:
	s_or_b64 exec, exec, s[0:1]
	s_mov_b32 s0, 0x5040100
	v_or_b32_e32 v22, v43, v35
	v_perm_b32 v21, v24, v28, s0
	v_perm_b32 v20, v29, v25, s0
	v_lshlrev_b32_e32 v22, 1, v22
	s_movk_i32 s2, 0x100
	ds_write_b64 v22, v[20:21] offset:45056
	v_and_b32_e32 v20, 7, v0
	v_and_b32_e32 v21, 8, v0
	v_cmp_gt_u32_e32 vcc, s2, v0
	v_lshrrev_b32_e32 v0, 1, v0
	v_lshlrev_b32_e32 v26, 3, v20
	v_lshlrev_b32_e32 v48, 7, v20
	v_mov_b32_e32 v20, 0x4000
	v_mov_b32_e32 v22, 0x2000
	v_lshlrev_b32_e32 v24, 3, v1
	v_and_b32_e32 v0, 24, v0
	v_cndmask_b32_e32 v27, v20, v22, vcc
	v_xor_b32_e32 v20, v24, v0
	v_or_b32_e32 v22, 0x440, v20
	v_cmp_eq_u32_e32 vcc, 0, v21
	v_or_b32_e32 v28, 32, v0
	v_xor_b32_e32 v28, v24, v28
	v_cndmask_b32_e32 v20, v22, v20, vcc
	v_or_b32_e32 v20, v20, v39
	v_xor_b32_e32 v49, v20, v26
	v_or_b32_e32 v29, 0x440, v28
	v_add3_u32 v25, v27, v49, v48
	v_cndmask_b32_e32 v28, v29, v28, vcc
	v_or_b32_e32 v29, 64, v0
	v_or_b32_e32 v0, 0x60, v0
	s_waitcnt lgkmcnt(0)
	s_barrier
	v_xor_b32_e32 v29, v24, v29
	v_xor_b32_e32 v0, v24, v0
	ds_read_b64 v[24:25], v25
	v_xor_b32_e32 v30, 0x440, v29
	ds_read2_b64 v[20:23], v19 offset1:16
	v_cndmask_b32_e32 v29, v30, v29, vcc
	v_xor_b32_e32 v30, 0x440, v0
	v_or_b32_e32 v28, v28, v39
	v_or_b32_e32 v29, v29, v39
	v_cndmask_b32_e32 v0, v30, v0, vcc
	v_xor_b32_e32 v50, v28, v26
	v_xor_b32_e32 v51, v29, v26
	v_or_b32_e32 v0, v0, v39
	v_add3_u32 v28, v27, v50, v48
	v_add3_u32 v29, v27, v51, v48
	v_xor_b32_e32 v52, v0, v26
	s_mul_i32 s0, s16, s17
	s_mul_hi_i32 s1, s16, s17
	v_add3_u32 v0, v27, v52, v48
	ds_read_b64 v[26:27], v28
	ds_read_b64 v[40:41], v29
	ds_read_b64 v[42:43], v0
	s_add_u32 s0, s0, s33
	ds_read2st64_b64 v[28:31], v19 offset0:2 offset1:4
	ds_read2st64_b64 v[36:39], v18 offset0:2 offset1:4
	s_waitcnt lgkmcnt(5)
	v_mfma_f32_16x16x16_bf16 a[0:3], v[24:25], v[20:21], 0
	s_addc_u32 s1, s1, s46
	s_lshl_b64 s[0:1], s[0:1], 9
	s_add_u32 s0, s20, s0
	v_mfma_f32_16x16x16_bf16 a[4:7], v[24:25], v[22:23], 0
	s_addc_u32 s1, s21, s1
	v_lshlrev_b32_e32 v0, 2, v32
	ds_read_b64 v[44:45], v19 offset:3072
	ds_read_b64 v[46:47], v18 offset:3072
	s_waitcnt lgkmcnt(3)
	v_mfma_f32_16x16x16_bf16 a[0:3], v[26:27], v[28:29], a[0:3]
	s_waitcnt lgkmcnt(2)
	v_mfma_f32_16x16x16_bf16 a[4:7], v[26:27], v[36:37], a[4:7]
	global_load_dwordx4 v[24:27], v0, s[0:1]
	v_lshlrev_b32_e32 v0, 6, v1
	v_lshlrev_b32_e32 v1, 2, v34
	v_or3_b32 v0, v0, v1, s2
	global_load_dwordx4 v[32:35], v0, s[0:1]
	v_mfma_f32_16x16x16_bf16 a[0:3], v[40:41], v[30:31], a[0:3]
	v_mov_b32_e32 v0, 0x3fb8aa3b
	v_mul_f32_e32 v0, s18, v0
	s_waitcnt vmcnt(1)
	v_mul_f32_e32 v18, 0x3fb8aa3b, v26
	v_mfma_f32_16x16x16_bf16 a[4:7], v[40:41], v[38:39], a[4:7]
	v_exp_f32_e32 v40, v0
	v_mul_f32_e32 v0, 0x3fb8aa3b, v24
	v_exp_f32_e32 v24, v18
	s_waitcnt lgkmcnt(1)
	v_mfma_f32_16x16x16_bf16 a[0:3], v[42:43], v[44:45], a[0:3]
	v_add_u32_e32 v18, v49, v48
	v_mul_f32_e32 v19, 0x3fb8aa3b, v27
	v_mul_f32_e32 v1, 0x3fb8aa3b, v25
	v_exp_f32_e32 v0, v0
	v_exp_f32_e32 v1, v1
	v_exp_f32_e32 v25, v19
	v_pk_mul_f32 v[0:1], v[40:41], v[0:1] op_sel_hi:[0,1]
	v_accvgpr_read_b32 v27, a3
	v_accvgpr_read_b32 v26, a2
	s_waitcnt lgkmcnt(0)
	v_mfma_f32_16x16x16_bf16 a[2:5], v[42:43], v[46:47], a[4:7]
	ds_read_b64 v[42:43], v18 offset:16384
	v_accvgpr_read_b32 v19, a1
	v_accvgpr_read_b32 v18, a0
	v_pk_fma_f32 v[18:19], v[2:3], v[0:1], v[18:19]
	v_add_u32_e32 v2, v50, v48
	v_add_u32_e32 v50, v52, v48
	s_waitcnt lgkmcnt(0)
	v_mfma_f32_16x16x16_bf16 a[6:9], v[42:43], v[20:21], 0
	v_add_u32_e32 v41, v51, v48
	ds_read_b64 v[2:3], v2 offset:16384
	ds_read_b64 v[48:49], v41 offset:16384
	;; [unrolled: 1-line block ×3, first 2 shown]
	v_pk_mul_f32 v[24:25], v[40:41], v[24:25] op_sel_hi:[0,1]
	v_pk_fma_f32 v[20:21], v[4:5], v[24:25], v[26:27]
	v_accvgpr_read_b32 v4, a2
	v_mfma_f32_16x16x16_bf16 a[10:13], v[42:43], v[22:23], 0
	v_fma_f32 v26, v10, v0, v4
	v_accvgpr_read_b32 v0, a3
	v_fma_f32 v27, v11, v1, v0
	s_waitcnt lgkmcnt(2)
	v_mfma_f32_16x16x16_bf16 a[0:3], v[2:3], v[28:29], a[6:9]
	v_accvgpr_read_b32 v0, a4
	v_accvgpr_read_b32 v29, a5
	v_fma_f32 v28, v12, v24, v0
	v_mfma_f32_16x16x16_bf16 a[4:7], v[2:3], v[36:37], a[10:13]
	s_waitcnt vmcnt(0)
	v_mov_b32_e32 v0, v33
	v_mov_b32_e32 v1, v34
	;; [unrolled: 1-line block ×3, first 2 shown]
	s_waitcnt lgkmcnt(1)
	v_mfma_f32_16x16x16_bf16 a[0:3], v[48:49], v[30:31], a[0:3]
	v_mul_f32_e32 v0, 0x3fb8aa3b, v0
	v_exp_f32_e32 v5, v0
	v_mul_f32_e32 v0, 0x3fb8aa3b, v1
	v_mfma_f32_16x16x16_bf16 a[4:7], v[48:49], v[38:39], a[4:7]
	v_mul_f32_e32 v1, 0x3fb8aa3b, v2
	v_mul_f32_e32 v3, 0x3fb8aa3b, v32
	v_exp_f32_e32 v0, v0
	s_waitcnt lgkmcnt(0)
	v_mfma_f32_16x16x16_bf16 a[0:3], v[50:51], v[44:45], a[0:3]
	v_exp_f32_e32 v1, v1
	v_exp_f32_e32 v4, v3
	v_fmac_f32_e32 v29, v13, v25
	v_pk_mul_f32 v[0:1], v[40:41], v[0:1] op_sel_hi:[0,1]
	v_pk_mul_f32 v[4:5], v[40:41], v[4:5] op_sel_hi:[0,1]
	s_nop 1
	v_accvgpr_read_b32 v3, a3
	v_accvgpr_read_b32 v2, a2
	v_mfma_f32_16x16x16_bf16 a[2:5], v[50:51], v[46:47], a[4:7]
	v_pk_fma_f32 v[24:25], v[8:9], v[0:1], v[2:3]
	v_accvgpr_read_b32 v11, a1
	v_accvgpr_read_b32 v10, a0
	v_pk_fma_f32 v[22:23], v[6:7], v[4:5], v[10:11]
	s_nop 2
	v_accvgpr_read_b32 v2, a2
	v_fma_f32 v30, v14, v4, v2
	v_accvgpr_read_b32 v2, a3
	v_fma_f32 v31, v15, v5, v2
	v_accvgpr_read_b32 v2, a4
	v_accvgpr_read_b32 v33, a5
	v_fma_f32 v32, v16, v0, v2
	v_fmac_f32_e32 v33, v17, v1
	v_mov_b64_e32 v[2:3], v[18:19]
	v_mov_b64_e32 v[4:5], v[20:21]
	;; [unrolled: 1-line block ×8, first 2 shown]
.LBB338_85:
	s_add_u32 s0, s12, s14
	s_addc_u32 s1, s13, s15
	v_lshl_add_u64 v[0:1], v[56:57], 1, s[0:1]
	v_mov_b32_e32 v55, 0
	s_mov_b32 s2, 0x7060302
	v_lshl_add_u64 v[0:1], v[0:1], 0, v[54:55]
	v_perm_b32 v5, v5, v4, s2
	v_perm_b32 v4, v3, v2, s2
	v_perm_b32 v3, v9, v8, s2
	v_perm_b32 v2, v7, v6, s2
	global_store_dwordx2 v[0:1], v[4:5], off
	global_store_dwordx2 v[0:1], v[2:3], off offset:128
	v_lshl_add_u64 v[0:1], v[58:59], 1, s[0:1]
	v_lshl_add_u64 v[0:1], v[0:1], 0, v[54:55]
	v_perm_b32 v3, v13, v12, s2
	v_perm_b32 v2, v11, v10, s2
	global_store_dwordx2 v[0:1], v[2:3], off
	v_perm_b32 v3, v17, v16, s2
	v_perm_b32 v2, v15, v14, s2
	global_store_dwordx2 v[0:1], v[2:3], off offset:128
	s_endpgm
	.section	.rodata,"a",@progbits
	.p2align	6, 0x0
	.amdhsa_kernel _ZN12_GLOBAL__N_139chunk_gated_delta_rule_fwd_h_hip_kernelILi32ELb1ELb1ELb0ELb1ELb0ELb1ELb0ELb1EEEvPK12hip_bfloat16S3_S3_PKfS5_PKvPS1_S8_PvPKiSB_iiiiilll
		.amdhsa_group_segment_fixed_size 49152
		.amdhsa_private_segment_fixed_size 0
		.amdhsa_kernarg_size 136
		.amdhsa_user_sgpr_count 2
		.amdhsa_user_sgpr_dispatch_ptr 0
		.amdhsa_user_sgpr_queue_ptr 0
		.amdhsa_user_sgpr_kernarg_segment_ptr 1
		.amdhsa_user_sgpr_dispatch_id 0
		.amdhsa_user_sgpr_kernarg_preload_length 0
		.amdhsa_user_sgpr_kernarg_preload_offset 0
		.amdhsa_user_sgpr_private_segment_size 0
		.amdhsa_uses_dynamic_stack 0
		.amdhsa_enable_private_segment 0
		.amdhsa_system_sgpr_workgroup_id_x 1
		.amdhsa_system_sgpr_workgroup_id_y 1
		.amdhsa_system_sgpr_workgroup_id_z 0
		.amdhsa_system_sgpr_workgroup_info 0
		.amdhsa_system_vgpr_workitem_id 0
		.amdhsa_next_free_vgpr 172
		.amdhsa_next_free_sgpr 66
		.amdhsa_accum_offset 148
		.amdhsa_reserve_vcc 1
		.amdhsa_float_round_mode_32 0
		.amdhsa_float_round_mode_16_64 0
		.amdhsa_float_denorm_mode_32 3
		.amdhsa_float_denorm_mode_16_64 3
		.amdhsa_dx10_clamp 1
		.amdhsa_ieee_mode 1
		.amdhsa_fp16_overflow 0
		.amdhsa_tg_split 0
		.amdhsa_exception_fp_ieee_invalid_op 0
		.amdhsa_exception_fp_denorm_src 0
		.amdhsa_exception_fp_ieee_div_zero 0
		.amdhsa_exception_fp_ieee_overflow 0
		.amdhsa_exception_fp_ieee_underflow 0
		.amdhsa_exception_fp_ieee_inexact 0
		.amdhsa_exception_int_div_zero 0
	.end_amdhsa_kernel
	.section	.text._ZN12_GLOBAL__N_139chunk_gated_delta_rule_fwd_h_hip_kernelILi32ELb1ELb1ELb0ELb1ELb0ELb1ELb0ELb1EEEvPK12hip_bfloat16S3_S3_PKfS5_PKvPS1_S8_PvPKiSB_iiiiilll,"axG",@progbits,_ZN12_GLOBAL__N_139chunk_gated_delta_rule_fwd_h_hip_kernelILi32ELb1ELb1ELb0ELb1ELb0ELb1ELb0ELb1EEEvPK12hip_bfloat16S3_S3_PKfS5_PKvPS1_S8_PvPKiSB_iiiiilll,comdat
.Lfunc_end338:
	.size	_ZN12_GLOBAL__N_139chunk_gated_delta_rule_fwd_h_hip_kernelILi32ELb1ELb1ELb0ELb1ELb0ELb1ELb0ELb1EEEvPK12hip_bfloat16S3_S3_PKfS5_PKvPS1_S8_PvPKiSB_iiiiilll, .Lfunc_end338-_ZN12_GLOBAL__N_139chunk_gated_delta_rule_fwd_h_hip_kernelILi32ELb1ELb1ELb0ELb1ELb0ELb1ELb0ELb1EEEvPK12hip_bfloat16S3_S3_PKfS5_PKvPS1_S8_PvPKiSB_iiiiilll
                                        ; -- End function
	.section	.AMDGPU.csdata,"",@progbits
; Kernel info:
; codeLenInByte = 9860
; NumSgprs: 72
; NumVgprs: 146
; NumAgprs: 24
; TotalNumVgprs: 172
; ScratchSize: 0
; MemoryBound: 0
; FloatMode: 240
; IeeeMode: 1
; LDSByteSize: 49152 bytes/workgroup (compile time only)
; SGPRBlocks: 8
; VGPRBlocks: 21
; NumSGPRsForWavesPerEU: 72
; NumVGPRsForWavesPerEU: 172
; AccumOffset: 148
; Occupancy: 1
; WaveLimiterHint : 1
; COMPUTE_PGM_RSRC2:SCRATCH_EN: 0
; COMPUTE_PGM_RSRC2:USER_SGPR: 2
; COMPUTE_PGM_RSRC2:TRAP_HANDLER: 0
; COMPUTE_PGM_RSRC2:TGID_X_EN: 1
; COMPUTE_PGM_RSRC2:TGID_Y_EN: 1
; COMPUTE_PGM_RSRC2:TGID_Z_EN: 0
; COMPUTE_PGM_RSRC2:TIDIG_COMP_CNT: 0
; COMPUTE_PGM_RSRC3_GFX90A:ACCUM_OFFSET: 36
; COMPUTE_PGM_RSRC3_GFX90A:TG_SPLIT: 0
	.section	.text._ZN12_GLOBAL__N_139chunk_gated_delta_rule_fwd_h_hip_kernelILi32ELb1ELb0ELb1ELb1ELb0ELb1ELb0ELb1EEEvPK12hip_bfloat16S3_S3_PKfS5_PKvPS1_S8_PvPKiSB_iiiiilll,"axG",@progbits,_ZN12_GLOBAL__N_139chunk_gated_delta_rule_fwd_h_hip_kernelILi32ELb1ELb0ELb1ELb1ELb0ELb1ELb0ELb1EEEvPK12hip_bfloat16S3_S3_PKfS5_PKvPS1_S8_PvPKiSB_iiiiilll,comdat
	.globl	_ZN12_GLOBAL__N_139chunk_gated_delta_rule_fwd_h_hip_kernelILi32ELb1ELb0ELb1ELb1ELb0ELb1ELb0ELb1EEEvPK12hip_bfloat16S3_S3_PKfS5_PKvPS1_S8_PvPKiSB_iiiiilll ; -- Begin function _ZN12_GLOBAL__N_139chunk_gated_delta_rule_fwd_h_hip_kernelILi32ELb1ELb0ELb1ELb1ELb0ELb1ELb0ELb1EEEvPK12hip_bfloat16S3_S3_PKfS5_PKvPS1_S8_PvPKiSB_iiiiilll
	.p2align	8
	.type	_ZN12_GLOBAL__N_139chunk_gated_delta_rule_fwd_h_hip_kernelILi32ELb1ELb0ELb1ELb1ELb0ELb1ELb0ELb1EEEvPK12hip_bfloat16S3_S3_PKfS5_PKvPS1_S8_PvPKiSB_iiiiilll,@function
_ZN12_GLOBAL__N_139chunk_gated_delta_rule_fwd_h_hip_kernelILi32ELb1ELb0ELb1ELb1ELb0ELb1ELb0ELb1EEEvPK12hip_bfloat16S3_S3_PKfS5_PKvPS1_S8_PvPKiSB_iiiiilll: ; @_ZN12_GLOBAL__N_139chunk_gated_delta_rule_fwd_h_hip_kernelILi32ELb1ELb0ELb1ELb1ELb0ELb1ELb0ELb1EEEvPK12hip_bfloat16S3_S3_PKfS5_PKvPS1_S8_PvPKiSB_iiiiilll
; %bb.0:
	s_load_dwordx4 s[12:15], s[0:1], 0x5c
	s_load_dwordx4 s[4:7], s[0:1], 0x48
	s_abs_i32 s9, s3
	s_ashr_i32 s8, s3, 31
	v_and_b32_e32 v66, 15, v0
	s_waitcnt lgkmcnt(0)
	s_abs_i32 s10, s13
	v_cvt_f32_u32_e32 v1, s10
	s_sub_i32 s16, 0, s10
	s_ashr_i32 s11, s13, 31
	s_xor_b32 s8, s8, s11
	v_rcp_iflag_f32_e32 v1, v1
	v_lshrrev_b32_e32 v64, 6, v0
	v_bfe_u32 v65, v0, 4, 2
	v_mov_b32_e32 v7, 0
	v_mul_f32_e32 v1, 0x4f7ffffe, v1
	v_cvt_u32_f32_e32 v1, v1
	v_and_b32_e32 v45, 63, v0
	v_lshlrev_b32_e32 v67, 3, v0
	v_lshrrev_b32_e32 v68, 3, v45
	v_readfirstlane_b32 s17, v1
	s_mul_i32 s16, s16, s17
	s_mul_hi_u32 s16, s17, s16
	s_add_i32 s17, s17, s16
	s_mul_hi_u32 s16, s9, s17
	s_mul_i32 s17, s16, s10
	s_sub_i32 s9, s9, s17
	s_add_i32 s18, s16, 1
	s_sub_i32 s17, s9, s10
	s_cmp_ge_u32 s9, s10
	s_cselect_b32 s16, s18, s16
	s_cselect_b32 s9, s17, s9
	s_add_i32 s17, s16, 1
	s_cmp_ge_u32 s9, s10
	s_cselect_b32 s9, s17, s16
	s_xor_b32 s9, s9, s8
	s_sub_i32 s20, s9, s8
	s_mul_i32 s24, s20, s13
	s_ashr_i32 s21, s20, 31
	s_sub_i32 s49, s3, s24
	s_lshl_b64 s[8:9], s[20:21], 2
	s_add_u32 s4, s4, s8
	s_addc_u32 s5, s5, s9
	s_add_u32 s22, s6, s8
	s_addc_u32 s23, s7, s9
	s_abs_i32 s3, s14
	v_cvt_f32_u32_e32 v1, s3
	s_load_dwordx2 s[34:35], s[4:5], 0x0
	s_lshl_b32 s40, s2, 5
	s_ashr_i32 s2, s14, 31
	v_rcp_iflag_f32_e32 v1, v1
	s_xor_b32 s2, s11, s2
	s_waitcnt lgkmcnt(0)
	s_sub_i32 s52, s35, s34
	s_ashr_i32 s4, s52, 31
	v_mul_f32_e32 v1, 0x4f7ffffe, v1
	v_cvt_u32_f32_e32 v1, v1
	s_lshr_b32 s4, s4, 26
	s_add_i32 s4, s52, s4
	s_ashr_i32 s50, s4, 6
	s_sub_i32 s4, 0, s3
	v_readfirstlane_b32 s5, v1
	s_mul_i32 s4, s4, s5
	s_mul_hi_u32 s4, s5, s4
	s_add_i32 s5, s5, s4
	s_mul_hi_u32 s4, s10, s5
	s_mul_i32 s5, s4, s3
	s_sub_i32 s5, s10, s5
	s_add_i32 s6, s4, 1
	s_sub_i32 s7, s5, s3
	s_cmp_ge_u32 s5, s3
	s_cselect_b32 s4, s6, s4
	s_cselect_b32 s5, s7, s5
	s_add_i32 s6, s4, 1
	s_cmp_ge_u32 s5, s3
	s_cselect_b32 s3, s6, s4
	s_xor_b32 s3, s3, s2
	s_sub_i32 s2, s3, s2
	s_abs_i32 s3, s2
	v_cvt_f32_u32_e32 v1, s3
	s_sub_i32 s5, 0, s3
	s_abs_i32 s4, s49
	s_xor_b32 s2, s49, s2
	v_rcp_iflag_f32_e32 v1, v1
	s_ashr_i32 s2, s2, 31
	s_load_dwordx4 s[16:19], s[0:1], 0x28
	s_load_dwordx2 s[28:29], s[0:1], 0x38
	v_or_b32_e32 v46, s40, v66
	v_mul_f32_e32 v1, 0x4f7ffffe, v1
	v_cvt_u32_f32_e32 v1, v1
	v_lshlrev_b32_e32 v2, 7, v46
	v_ashrrev_i32_e32 v3, 31, v2
	s_mul_hi_i32 s54, s49, s12
	v_readfirstlane_b32 s6, v1
	s_mul_i32 s5, s5, s6
	s_mul_hi_u32 s5, s6, s5
	s_add_i32 s6, s6, s5
	s_mul_hi_u32 s5, s4, s6
	s_mul_i32 s6, s5, s3
	s_sub_i32 s4, s4, s6
	s_add_i32 s6, s5, 1
	s_sub_i32 s7, s4, s3
	s_cmp_ge_u32 s4, s3
	s_cselect_b32 s5, s6, s5
	s_cselect_b32 s4, s7, s4
	s_add_i32 s6, s5, 1
	s_cmp_ge_u32 s4, s3
	s_cselect_b32 s3, s6, s5
	s_xor_b32 s3, s3, s2
	s_sub_i32 s53, s3, s2
	s_ashr_i32 s51, s49, 31
	s_mul_hi_i32 s3, s20, s13
	s_add_u32 s2, s24, s49
	s_addc_u32 s3, s3, s51
	s_lshl_b64 s[2:3], s[2:3], 15
	s_waitcnt lgkmcnt(0)
	s_add_u32 s2, s16, s2
	s_addc_u32 s3, s17, s3
	v_lshlrev_b32_e32 v1, 4, v64
	v_lshl_add_u64 v[4:5], v[2:3], 1, s[2:3]
	v_or_b32_e32 v2, 0x800, v2
	v_lshl_or_b32 v69, v65, 2, v1
	v_ashrrev_i32_e32 v3, 31, v2
	v_lshlrev_b32_e32 v6, 1, v69
	v_lshl_add_u64 v[2:3], v[2:3], 1, s[2:3]
	v_lshl_add_u64 v[4:5], v[4:5], 0, v[6:7]
	;; [unrolled: 1-line block ×3, first 2 shown]
	global_load_dwordx2 v[8:9], v[4:5], off
	v_or_b32_e32 v70, 64, v69
	global_load_dwordx2 v[4:5], v[4:5], off offset:128
	s_nop 0
	global_load_dwordx2 v[6:7], v[2:3], off
	global_load_dwordx2 v[10:11], v[2:3], off offset:128
	s_load_dwordx8 s[4:11], s[0:1], 0x0
	s_load_dwordx2 s[30:31], s[0:1], 0x80
	s_load_dwordx4 s[24:27], s[0:1], 0x70
	s_load_dword s56, s[22:23], 0x0
	s_mul_i32 s55, s49, s12
	s_cmp_lt_i32 s52, 64
	s_waitcnt lgkmcnt(0)
	s_mul_i32 s33, s20, s25
	s_mul_hi_u32 s44, s20, s24
	s_mul_i32 s36, s20, s24
	s_mul_i32 s45, s21, s24
	;; [unrolled: 1-line block ×3, first 2 shown]
	s_mul_hi_u32 s47, s49, s26
	s_mul_i32 s48, s51, s26
	s_mul_i32 s38, s49, s26
	s_waitcnt vmcnt(3)
	v_and_b32_e32 v51, 0xffff0000, v8
	v_lshlrev_b32_e32 v50, 16, v8
	v_and_b32_e32 v55, 0xffff0000, v9
	v_lshlrev_b32_e32 v54, 16, v9
	s_waitcnt vmcnt(2)
	v_and_b32_e32 v49, 0xffff0000, v4
	v_lshlrev_b32_e32 v48, 16, v4
	v_and_b32_e32 v53, 0xffff0000, v5
	v_lshlrev_b32_e32 v52, 16, v5
	;; [unrolled: 5-line block ×4, first 2 shown]
	s_cbranch_scc1 .LBB339_3
; %bb.1:
	s_ashr_i32 s3, s34, 31
	s_add_u32 s2, s55, s34
	s_addc_u32 s3, s54, s3
	s_lshl_b64 s[2:3], s[2:3], 8
	v_and_b32_e32 v78, 56, v67
	s_add_u32 s20, s6, s2
	v_lshl_or_b32 v77, v64, 3, v68
	v_lshlrev_b32_e32 v2, 1, v78
	s_addc_u32 s2, s7, s3
	v_lshl_or_b32 v80, v77, 8, v2
	s_and_b32 s21, s2, 0xffff
	s_mov_b32 s23, 0x20000
	s_movk_i32 s22, 0x4000
	s_movk_i32 s2, 0x80
	v_or_b32_e32 v81, 0x2000, v80
	buffer_load_dwordx4 v[4:7], v80, s[20:23], 0 offen
	buffer_load_dwordx4 v[8:11], v80, s[20:23], s2 offen
	;; [unrolled: 1-line block ×4, first 2 shown]
	v_lshlrev_b32_e32 v3, 3, v77
	v_and_or_b32 v21, v0, 7, v3
	v_and_b32_e32 v3, 0x78, v3
	v_lshlrev_b32_e32 v21, 4, v21
	v_xor_b32_e32 v83, v21, v3
	v_mul_lo_u32 v20, v77, s15
	v_or_b32_e32 v84, 0x1000, v83
	v_xor_b32_e32 v3, 8, v83
	s_cmpk_eq_i32 s15, 0x80
	s_mov_b32 s57, s34
	v_xor_b32_e32 v21, 8, v84
	s_cselect_b64 s[2:3], -1, 0
	s_cmpk_lg_i32 s15, 0x80
	s_waitcnt vmcnt(3)
	ds_write_b64 v83, v[4:5] offset:24576
	ds_write_b64 v3, v[6:7] offset:24576
	s_waitcnt vmcnt(2)
	ds_write_b64 v83, v[8:9] offset:32768
	ds_write_b64 v3, v[10:11] offset:32768
	;; [unrolled: 3-line block ×4, first 2 shown]
	v_lshl_add_u32 v3, v20, 1, v78
	s_cbranch_scc0 .LBB339_29
; %bb.2:
	v_lshlrev_b32_e32 v5, 1, v3
	v_add_lshl_u32 v4, v3, s15, 1
	s_lshl_b32 s22, s15, 7
	s_load_dwordx2 s[16:17], s[0:1], 0x20
	v_lshl_or_b32 v2, v77, 9, v2
	s_cbranch_execz .LBB339_30
	s_branch .LBB339_31
.LBB339_3:
	v_mov_b32_e32 v9, v79
	v_mov_b32_e32 v5, v82
.LBB339_4:
	s_lshl_b32 s26, s50, 6
	s_sub_i32 s27, s52, s26
	s_cmp_gt_i32 s27, 0
	s_cbranch_scc0 .LBB339_84
; %bb.5:
	s_add_i32 s26, s26, s34
	s_ashr_i32 s2, s26, 31
	s_cmpk_lg_i32 s15, 0x80
	s_cselect_b64 s[22:23], -1, 0
	s_and_b64 vcc, exec, s[22:23]
	s_cbranch_vccz .LBB339_7
; %bb.6:
	s_mul_i32 s1, s26, s14
	s_ashr_i32 s3, s53, 31
	s_mul_hi_i32 s0, s26, s14
	s_add_u32 s24, s1, s53
	s_addc_u32 s25, s0, s3
	s_cbranch_execz .LBB339_8
	s_branch .LBB339_9
.LBB339_7:
                                        ; implicit-def: $sgpr24_sgpr25
.LBB339_8:
	s_mul_i32 s1, s53, s12
	s_mul_hi_i32 s0, s53, s12
	s_add_u32 s24, s1, s26
	s_addc_u32 s25, s0, s2
.LBB339_9:
	s_add_i32 s3, s50, s56
	s_add_u32 s0, s55, s26
	v_lshlrev_b32_e32 v8, 5, v69
	v_lshlrev_b32_e32 v22, 2, v66
	s_addc_u32 s1, s54, s2
	s_mov_b32 s2, 0x7060302
	v_or_b32_e32 v11, v8, v22
	v_xor_b32_e32 v4, v69, v22
	v_perm_b32 v3, v55, v54, s2
	v_perm_b32 v2, v51, v50, s2
	;; [unrolled: 1-line block ×4, first 2 shown]
	v_lshlrev_b32_e32 v11, 1, v11
	s_lshl_b64 s[20:21], s[0:1], 8
	v_xor_b32_e32 v10, v70, v22
	ds_write2st64_b64 v11, v[2:3], v[6:7] offset0:80 offset1:88
	v_lshlrev_b32_e32 v11, 1, v4
	v_lshlrev_b32_e32 v4, 8, v66
	s_add_u32 s0, s6, s20
	v_or_b32_e32 v12, v11, v4
	v_lshlrev_b32_e32 v10, 1, v10
	s_addc_u32 s1, s7, s21
	ds_write_b64 v12, v[2:3]
	v_or_b32_e32 v2, v10, v4
	s_mul_hi_i32 s6, s3, s13
	s_mul_i32 s3, s3, s13
	ds_write_b64 v2, v[6:7]
	v_perm_b32 v3, v5, v75, s2
	v_perm_b32 v2, v71, v73, s2
	;; [unrolled: 1-line block ×4, first 2 shown]
	v_or_b32_e32 v6, 16, v66
	s_add_u32 s2, s3, s49
	v_lshlrev_b32_e32 v19, 2, v6
	s_addc_u32 s3, s6, s51
	v_or_b32_e32 v7, v8, v19
	s_ashr_i32 s41, s40, 31
	s_lshl_b64 s[2:3], s[2:3], 15
	v_lshlrev_b32_e32 v7, 1, v7
	v_lshlrev_b32_e32 v6, 8, v6
	s_add_u32 s6, s18, s2
	ds_write2st64_b64 v7, v[2:3], v[4:5] offset0:80 offset1:88
	v_or_b32_e32 v7, v11, v6
	s_addc_u32 s7, s19, s3
	s_lshl_b64 s[2:3], s[40:41], 8
	ds_write_b64 v7, v[2:3]
	v_or_b32_e32 v2, v10, v6
	s_add_u32 s2, s6, s2
	ds_write_b64 v2, v[4:5]
	v_lshrrev_b32_e32 v2, 4, v0
	s_addc_u32 s3, s7, s3
	v_lshlrev_b32_e32 v3, 1, v66
	v_lshlrev_b32_e32 v10, 4, v66
	v_mov_b32_e32 v11, 0
	v_or_b32_e32 v4, 1, v3
	v_xor_b32_e32 v3, v2, v3
	v_lshl_add_u64 v[12:13], s[2:3], 0, v[10:11]
	v_lshlrev_b32_e32 v10, 8, v2
	v_xor_b32_e32 v6, v4, v2
	v_lshl_or_b32 v2, v3, 3, v10
	s_waitcnt lgkmcnt(0)
	s_barrier
	ds_read2st64_b64 v[2:5], v2 offset1:8
	v_lshl_or_b32 v6, v6, 3, v10
	ds_read2st64_b64 v[6:9], v6 offset1:8
	v_lshl_add_u64 v[14:15], v[12:13], 0, v[10:11]
	s_movk_i32 s2, 0x1000
	s_waitcnt lgkmcnt(1)
	v_mov_b32_e32 v10, v2
	v_add_co_u32_e32 v2, vcc, s2, v14
	s_cmp_lg_u32 s27, 64
	v_mov_b32_e32 v11, v3
	v_addc_co_u32_e32 v3, vcc, 0, v15, vcc
	s_cselect_b64 s[6:7], -1, 0
	v_lshl_or_b32 v23, v64, 3, v68
	s_waitcnt lgkmcnt(0)
	v_mov_b32_e32 v12, v6
	v_mov_b32_e32 v13, v7
	;; [unrolled: 1-line block ×4, first 2 shown]
	s_mov_b32 s16, 0
	v_or_b32_e32 v20, 32, v23
	v_and_b32_e32 v18, 56, v67
	s_and_b64 vcc, exec, s[6:7]
	global_store_dwordx4 v[14:15], v[10:13], off
	global_store_dwordx4 v[2:3], v[6:9], off
	s_cbranch_vccz .LBB339_15
; %bb.10:
	s_mov_b32 s17, s16
	s_mov_b32 s18, s16
	;; [unrolled: 1-line block ×3, first 2 shown]
	v_mov_b64_e32 v[6:7], s[16:17]
	v_mov_b64_e32 v[8:9], s[18:19]
	;; [unrolled: 1-line block ×3, first 2 shown]
	v_cmp_gt_i32_e32 vcc, s27, v23
	v_mov_b64_e32 v[4:5], v[8:9]
	s_and_saveexec_b64 s[2:3], vcc
	s_cbranch_execz .LBB339_12
; %bb.11:
	v_lshlrev_b32_e32 v2, 8, v23
	v_mov_b32_e32 v3, 0
	v_lshl_add_u64 v[4:5], s[0:1], 0, v[2:3]
	v_lshlrev_b32_e32 v2, 1, v18
	v_lshl_add_u64 v[10:11], v[4:5], 0, v[2:3]
	global_load_dwordx4 v[6:9], v[10:11], off
	global_load_dwordx4 v[2:5], v[10:11], off offset:128
.LBB339_12:
	s_or_b64 exec, exec, s[2:3]
	s_mov_b32 s17, s16
	s_mov_b32 s18, s16
	;; [unrolled: 1-line block ×3, first 2 shown]
	v_mov_b64_e32 v[14:15], s[16:17]
	v_mov_b64_e32 v[16:17], s[18:19]
	v_mov_b64_e32 v[10:11], v[14:15]
	v_cmp_gt_i32_e32 vcc, s27, v20
	v_lshlrev_b32_e32 v21, 7, v20
	v_mov_b64_e32 v[12:13], v[16:17]
	s_and_saveexec_b64 s[2:3], vcc
	s_cbranch_execz .LBB339_14
; %bb.13:
	v_lshlrev_b32_e32 v10, 1, v21
	v_mov_b32_e32 v11, 0
	v_lshl_add_u64 v[12:13], s[0:1], 0, v[10:11]
	v_lshlrev_b32_e32 v10, 1, v18
	v_lshl_add_u64 v[24:25], v[12:13], 0, v[10:11]
	global_load_dwordx4 v[14:17], v[24:25], off
	global_load_dwordx4 v[10:13], v[24:25], off offset:128
.LBB339_14:
	s_or_b64 exec, exec, s[2:3]
	v_lshrrev_b32_e32 v24, 3, v18
	v_lshlrev_b32_e32 v25, 3, v23
	v_or_b32_e32 v24, v25, v24
	v_lshlrev_b32_e32 v24, 4, v24
	v_and_b32_e32 v25, 0x78, v25
	v_xor_b32_e32 v24, v24, v25
	s_branch .LBB339_17
.LBB339_15:
                                        ; implicit-def: $vgpr24
                                        ; implicit-def: $vgpr21
                                        ; implicit-def: $vgpr6_vgpr7_vgpr8_vgpr9
                                        ; implicit-def: $vgpr2_vgpr3_vgpr4_vgpr5
                                        ; implicit-def: $vgpr14_vgpr15_vgpr16_vgpr17
                                        ; implicit-def: $vgpr10_vgpr11_vgpr12_vgpr13
	s_cbranch_execz .LBB339_17
; %bb.16:
	s_waitcnt vmcnt(0)
	v_lshlrev_b32_e32 v2, 1, v18
	v_lshl_or_b32 v21, v23, 8, v2
	s_and_b32 s1, s1, 0xffff
	s_mov_b32 s3, 0x20000
	s_movk_i32 s2, 0x4000
	v_lshl_or_b32 v24, v20, 8, v2
	s_movk_i32 s12, 0x80
	buffer_load_dwordx4 v[6:9], v21, s[0:3], 0 offen
	buffer_load_dwordx4 v[2:5], v21, s[0:3], s12 offen
	;; [unrolled: 1-line block ×4, first 2 shown]
	v_lshrrev_b32_e32 v21, 3, v18
	v_lshlrev_b32_e32 v24, 3, v23
	v_or_b32_e32 v21, v24, v21
	v_lshlrev_b32_e32 v21, 4, v21
	v_and_b32_e32 v24, 0x78, v24
	v_xor_b32_e32 v24, v21, v24
	v_lshlrev_b32_e32 v21, 7, v20
.LBB339_17:
	s_lshl_b64 s[0:1], s[24:25], 8
	s_add_u32 s4, s4, s0
	s_movk_i32 s0, 0x1000
	v_and_or_b32 v20, v21, s0, v24
	s_waitcnt vmcnt(1)
	ds_write_b64 v24, v[6:7] offset:24576
	v_xor_b32_e32 v6, 8, v24
	ds_write_b64 v6, v[8:9] offset:24576
	s_waitcnt vmcnt(0)
	ds_write_b64 v24, v[2:3] offset:32768
	ds_write_b64 v6, v[4:5] offset:32768
	;; [unrolled: 1-line block ×3, first 2 shown]
	v_xor_b32_e32 v2, 8, v20
	ds_write_b64 v2, v[16:17] offset:24576
	ds_write_b64 v20, v[10:11] offset:32768
	;; [unrolled: 1-line block ×3, first 2 shown]
	v_or_b32_e32 v2, v1, v66
	v_lshlrev_b32_e32 v3, 11, v64
	v_lshlrev_b32_e32 v2, 3, v2
	v_and_b32_e32 v6, 0x1000, v3
	v_lshrrev_b32_e32 v3, 5, v45
	s_movk_i32 s3, 0xf8
	v_and_or_b32 v3, v2, s3, v3
	v_lshlrev_b32_e32 v7, 4, v3
	v_and_b32_e32 v8, 0x78, v2
	v_or_b32_e32 v10, 32, v7
	v_lshrrev_b32_e32 v3, 1, v45
	v_xor_b32_e32 v10, v10, v8
	v_xor_b32_e32 v2, v7, v8
	v_and_b32_e32 v9, 8, v3
	v_or_b32_e32 v10, v10, v6
	v_or_b32_e32 v2, v2, v6
	v_xor_b32_e32 v26, v10, v9
	v_or_b32_e32 v10, 64, v7
	v_xor_b32_e32 v25, v2, v9
	v_xor_b32_e32 v10, v10, v8
	s_waitcnt lgkmcnt(0)
	s_barrier
	v_or_b32_e32 v12, v10, v6
	ds_read_b64 v[10:11], v25 offset:24576
	v_lshl_or_b32 v20, v65, 7, v22
	v_lshlrev_b32_e32 v24, 1, v20
	v_add_u32_e32 v2, 0xa000, v24
	ds_read2_b64 v[2:5], v2 offset1:16
	v_or_b32_e32 v7, 0x60, v7
	v_xor_b32_e32 v7, v7, v8
	s_waitcnt lgkmcnt(0)
	v_mfma_f32_16x16x16_bf16 a[0:3], v[10:11], v[2:3], 0
	v_or_b32_e32 v2, 64, v20
	v_or_b32_e32 v6, v7, v6
	v_lshlrev_b32_e32 v29, 1, v2
	v_xor_b32_e32 v27, v12, v9
	v_xor_b32_e32 v28, v6, v9
	ds_read_b64 v[12:13], v26 offset:24576
	ds_read_b64 v[14:15], v27 offset:24576
	;; [unrolled: 1-line block ×3, first 2 shown]
	v_mfma_f32_16x16x16_bf16 a[4:7], v[10:11], v[4:5], 0
	ds_read2st64_b64 v[2:5], v29 offset0:82 offset1:84
	ds_read2st64_b64 v[6:9], v24 offset0:82 offset1:84
	s_addc_u32 s5, s5, s1
	s_add_i32 s1, s44, s33
	s_add_i32 s0, s35, -1
	s_add_i32 s37, s1, s45
	s_add_i32 s1, s47, s46
	;; [unrolled: 1-line block ×3, first 2 shown]
	s_ashr_i32 s1, s0, 31
	s_mul_i32 s2, s0, s31
	s_mul_hi_u32 s3, s0, s30
	s_add_i32 s2, s3, s2
	s_mul_i32 s1, s1, s30
	s_waitcnt lgkmcnt(1)
	v_mfma_f32_16x16x16_bf16 a[4:7], v[12:13], v[2:3], a[4:7]
	s_add_i32 s1, s2, s1
	s_lshl_b64 s[2:3], s[36:37], 2
	s_add_u32 s10, s10, s2
	s_waitcnt lgkmcnt(0)
	v_mfma_f32_16x16x16_bf16 a[0:3], v[12:13], v[6:7], a[0:3]
	s_addc_u32 s11, s11, s3
	s_lshl_b64 s[2:3], s[38:39], 2
	s_mul_i32 s0, s0, s30
	s_add_u32 s10, s10, s2
	ds_read_b64 v[2:3], v24 offset:44032
	v_mfma_f32_16x16x16_bf16 a[4:7], v[14:15], v[4:5], a[4:7]
	ds_read_b64 v[4:5], v29 offset:44032
	s_addc_u32 s11, s11, s3
	s_lshl_b64 s[0:1], s[0:1], 2
	v_mfma_f32_16x16x16_bf16 a[0:3], v[14:15], v[8:9], a[0:3]
	s_add_u32 s0, s10, s0
	s_addc_u32 s1, s11, s1
	s_load_dword s12, s[0:1], 0x0
	s_waitcnt lgkmcnt(0)
	v_mfma_f32_16x16x16_bf16 a[0:3], v[16:17], v[2:3], a[0:3]
	s_and_b64 vcc, exec, s[22:23]
	v_mfma_f32_16x16x16_bf16 a[4:7], v[16:17], v[4:5], a[4:7]
	s_cbranch_vccz .LBB339_28
; %bb.18:
	v_lshlrev_b32_e32 v20, 1, v23
	s_and_b64 vcc, exec, s[6:7]
	s_cbranch_vccz .LBB339_44
; %bb.19:
	v_cmp_gt_i32_e32 vcc, s27, v20
	v_mov_b32_e32 v6, 0
	v_mov_b32_e32 v2, 0
	;; [unrolled: 1-line block ×5, first 2 shown]
	s_and_saveexec_b64 s[0:1], vcc
	s_cbranch_execz .LBB339_21
; %bb.20:
	v_mad_i64_i32 v[2:3], s[2:3], s15, v20, 0
	v_lshl_add_u64 v[2:3], v[2:3], 1, s[4:5]
	v_lshlrev_b32_e32 v4, 1, v18
	v_mov_b32_e32 v5, 0
	v_lshl_add_u64 v[2:3], v[2:3], 0, v[4:5]
	global_load_dwordx4 v[2:5], v[2:3], off
.LBB339_21:
	s_or_b64 exec, exec, s[0:1]
	v_or_b32_e32 v21, 1, v20
	v_cmp_gt_i32_e64 s[0:1], s27, v21
	v_mov_b32_e32 v7, 0
	v_mov_b32_e32 v8, 0
	;; [unrolled: 1-line block ×3, first 2 shown]
	s_and_saveexec_b64 s[2:3], s[0:1]
	s_cbranch_execz .LBB339_23
; %bb.22:
	v_mad_i64_i32 v[6:7], s[16:17], s15, v21, 0
	v_lshl_add_u64 v[6:7], v[6:7], 1, s[4:5]
	v_lshlrev_b32_e32 v8, 1, v18
	v_mov_b32_e32 v9, 0
	v_lshl_add_u64 v[6:7], v[6:7], 0, v[8:9]
	global_load_dwordx4 v[6:9], v[6:7], off
.LBB339_23:
	s_or_b64 exec, exec, s[2:3]
	v_mov_b32_e32 v17, 0
	v_mov_b32_e32 v10, 0
	v_mov_b32_e32 v11, 0
	v_mov_b32_e32 v12, 0
	v_mov_b32_e32 v13, 0
	s_and_saveexec_b64 s[2:3], vcc
	s_cbranch_execz .LBB339_25
; %bb.24:
	v_mad_i64_i32 v[10:11], s[16:17], s15, v20, 0
	v_lshl_add_u64 v[10:11], v[10:11], 1, s[4:5]
	v_lshlrev_b32_e32 v12, 1, v18
	v_mov_b32_e32 v13, 0
	v_lshl_add_u64 v[10:11], v[10:11], 0, v[12:13]
	global_load_dwordx4 v[10:13], v[10:11], off offset:128
.LBB339_25:
	s_or_b64 exec, exec, s[2:3]
	v_mov_b32_e32 v16, 0
	v_mov_b32_e32 v15, 0
	v_mov_b32_e32 v14, 0
	s_and_saveexec_b64 s[2:3], s[0:1]
	s_cbranch_execz .LBB339_27
; %bb.26:
	v_mad_i64_i32 v[14:15], s[0:1], s15, v21, 0
	v_lshl_add_u64 v[14:15], v[14:15], 1, s[4:5]
	v_lshlrev_b32_e32 v16, 1, v18
	v_mov_b32_e32 v17, 0
	v_lshl_add_u64 v[14:15], v[14:15], 0, v[16:17]
	global_load_dwordx4 v[14:17], v[14:15], off offset:128
.LBB339_27:
	s_or_b64 exec, exec, s[2:3]
	s_branch .LBB339_46
.LBB339_28:
                                        ; implicit-def: $vgpr5
                                        ; implicit-def: $vgpr9
                                        ; implicit-def: $vgpr13
                                        ; implicit-def: $vgpr17
	v_lshrrev_b32_e32 v30, 2, v45
	s_branch .LBB339_47
.LBB339_29:
                                        ; implicit-def: $vgpr4
                                        ; implicit-def: $vgpr5
                                        ; implicit-def: $sgpr22
	s_load_dwordx2 s[16:17], s[0:1], 0x20
	v_lshl_or_b32 v2, v77, 9, v2
.LBB339_30:
	v_or_b32_e32 v4, 0x100, v2
	s_movk_i32 s22, 0x4000
	v_mov_b32_e32 v5, v2
.LBB339_31:
	s_mul_i32 s0, s34, s14
	s_ashr_i32 s58, s53, 31
	s_mul_hi_i32 s1, s34, s14
	s_add_u32 s0, s0, s53
	s_addc_u32 s1, s1, s58
	s_lshl_b64 s[0:1], s[0:1], 8
	s_add_u32 s20, s4, s0
	s_addc_u32 s0, s5, s1
	s_and_b32 s21, s0, 0xffff
	s_movk_i32 s59, 0x80
	buffer_load_dwordx4 v[6:9], v5, s[20:23], 0 offen
	buffer_load_dwordx4 v[10:13], v5, s[20:23], s59 offen
	buffer_load_dwordx4 v[14:17], v4, s[20:23], 0 offen
	buffer_load_dwordx4 v[18:21], v4, s[20:23], s59 offen
	v_and_b32_e32 v4, 6, v0
	v_lshlrev_b32_e32 v23, 6, v69
	v_or_b32_e32 v25, 16, v66
	v_xor_b32_e32 v26, v77, v4
	v_and_b32_e32 v5, 1, v0
	v_lshl_or_b32 v29, v66, 3, v23
	v_lshl_or_b32 v23, v25, 3, v23
	v_lshlrev_b32_e32 v26, 2, v26
	v_lshlrev_b32_e32 v22, 2, v66
	v_or_b32_e32 v87, 0xa000, v23
	v_or_b32_e32 v88, 0xb000, v23
	v_xor_b32_e32 v23, 0x440, v26
	v_cmp_eq_u32_e32 vcc, 0, v5
	s_add_i32 s0, s44, s33
	v_xor_b32_e32 v27, v69, v22
	v_xor_b32_e32 v28, v70, v22
	v_cndmask_b32_e32 v5, v23, v26, vcc
	s_add_i32 s1, s47, s46
	s_add_i32 s37, s0, s45
	s_mov_b32 s60, 0x1000504
	v_lshlrev_b32_e32 v24, 8, v66
	v_lshlrev_b32_e32 v25, 8, v25
	v_lshlrev_b32_e32 v27, 1, v27
	v_lshlrev_b32_e32 v28, 1, v28
	v_lshl_or_b32 v4, v4, 10, v5
	s_add_i32 s39, s1, s48
	s_lshl_b64 s[0:1], s[36:37], 2
	s_mov_b32 s61, 0x3020706
	v_or_b32_e32 v85, 0xa000, v29
	v_or_b32_e32 v86, 0xb000, v29
	;; [unrolled: 1-line block ×5, first 2 shown]
	v_xor_b32_e32 v5, 8, v4
	v_xor_b32_e32 v24, 24, v4
	;; [unrolled: 1-line block ×4, first 2 shown]
	s_add_u32 s20, s10, s0
	v_or_b32_e32 v91, v25, v27
	v_xor_b32_e32 v23, 16, v4
	v_xor_b32_e32 v25, 32, v4
	;; [unrolled: 1-line block ×3, first 2 shown]
	v_add_u32_e32 v5, 0x80, v5
	v_add_u32_e32 v24, 0x80, v24
	;; [unrolled: 1-line block ×4, first 2 shown]
	s_addc_u32 s21, s11, s1
	s_lshl_b64 s[0:1], s[38:39], 2
	s_add_u32 s42, s20, s0
	s_movk_i32 s0, 0xf8
	s_addc_u32 s43, s21, s1
	s_ashr_i32 s41, s40, 31
	s_lshl_b32 s26, s15, 7
	s_movk_i32 s20, 0x100
	v_mov_b32_e32 v57, 0
	v_lshlrev_b32_e32 v56, 4, v66
	v_cmp_gt_u32_e32 vcc, s20, v0
	v_ashrrev_i32_e32 v47, 31, v46
	s_mov_b32 s62, 0
	s_movk_i32 s37, 0x1000
	s_movk_i32 s22, 0x4000
	s_mov_b32 s39, 0x7060302
	v_mov_b32_e32 v115, 0x3fb8aa3b
	s_waitcnt vmcnt(1)
	v_perm_b32 v29, v6, v14, s60
	s_waitcnt vmcnt(0)
	v_perm_b32 v30, v10, v18, s60
	v_perm_b32 v6, v6, v14, s61
	;; [unrolled: 1-line block ×15, first 2 shown]
	ds_write2st64_b32 v4, v29, v30 offset0:32 offset1:64
	ds_write2st64_b32 v5, v6, v10 offset0:32 offset1:64
	;; [unrolled: 1-line block ×8, first 2 shown]
	v_or_b32_e32 v4, v1, v66
	v_lshlrev_b32_e32 v4, 3, v4
	v_lshrrev_b32_e32 v7, 5, v45
	v_and_or_b32 v7, v4, s0, v7
	v_lshlrev_b32_e32 v7, 4, v7
	v_lshlrev_b32_e32 v9, 11, v64
	v_and_b32_e32 v4, 0x78, v4
	v_or_b32_e32 v12, 32, v7
	v_and_b32_e32 v6, 0x1000, v9
	v_lshrrev_b32_e32 v10, 1, v45
	v_xor_b32_e32 v12, v12, v4
	v_xor_b32_e32 v8, v7, v4
	v_and_b32_e32 v10, 8, v10
	v_or_b32_e32 v12, v12, v6
	v_or_b32_e32 v8, v8, v6
	v_lshlrev_b32_e32 v11, 7, v65
	v_xor_b32_e32 v95, v12, v10
	v_or_b32_e32 v12, 64, v7
	v_or_b32_e32 v7, 0x60, v7
	v_xor_b32_e32 v93, v8, v10
	v_or_b32_e32 v8, v11, v22
	v_xor_b32_e32 v12, v12, v4
	v_xor_b32_e32 v4, v7, v4
	s_lshl_b64 s[0:1], s[40:41], 8
	v_lshlrev_b32_e32 v8, 1, v8
	v_or_b32_e32 v12, v12, v6
	v_or_b32_e32 v4, v4, v6
	s_add_u32 s0, s18, s0
	v_lshlrev_b32_e32 v6, 1, v66
	v_or_b32_e32 v94, 0xa000, v8
	v_or_b32_e32 v96, 0xa080, v8
	;; [unrolled: 1-line block ×4, first 2 shown]
	v_lshrrev_b32_e32 v8, 4, v0
	s_addc_u32 s1, s19, s1
	v_or_b32_e32 v7, 1, v6
	v_mov_b32_e32 v17, 0x4000
	v_mov_b32_e32 v18, 0x2000
	v_lshrrev_b32_e32 v19, 1, v0
	v_xor_b32_e32 v97, v12, v10
	v_xor_b32_e32 v98, v4, v10
	v_xor_b32_e32 v10, v8, v6
	v_xor_b32_e32 v14, v7, v8
	v_lshl_add_u64 v[6:7], s[0:1], 0, v[56:57]
	v_lshlrev_b32_e32 v56, 8, v8
	v_cndmask_b32_e32 v17, v17, v18, vcc
	v_lshlrev_b32_e32 v18, 3, v64
	v_and_b32_e32 v19, 24, v19
	v_lshl_or_b32 v101, v10, 3, v56
	v_and_b32_e32 v10, 8, v0
	v_xor_b32_e32 v20, v18, v19
	v_or_b32_e32 v21, 0x440, v20
	v_cmp_eq_u32_e32 vcc, 0, v10
	v_and_b32_e32 v8, 7, v0
	v_lshl_or_b32 v102, v14, 3, v56
	v_cndmask_b32_e32 v10, v21, v20, vcc
	v_lshlrev_b32_e32 v14, 3, v8
	v_lshlrev_b32_e32 v16, 2, v0
	v_or_b32_e32 v10, v10, v9
	v_xor_b32_e32 v20, v10, v14
	v_and_or_b32 v10, v16, 60, v11
	v_mov_b32_e32 v11, 0xb000
	v_lshl_or_b32 v103, v10, 1, v11
	v_or_b32_e32 v10, 32, v19
	v_xor_b32_e32 v10, v18, v10
	v_or_b32_e32 v11, 0x440, v10
	v_cndmask_b32_e32 v10, v11, v10, vcc
	v_or_b32_e32 v10, v10, v9
	v_xor_b32_e32 v11, v10, v14
	v_or_b32_e32 v10, 64, v19
	v_xor_b32_e32 v10, v18, v10
	v_xor_b32_e32 v22, 0x440, v10
	v_cndmask_b32_e32 v10, v22, v10, vcc
	v_or_b32_e32 v10, v10, v9
	v_xor_b32_e32 v22, v10, v14
	v_or_b32_e32 v10, 0x60, v19
	v_xor_b32_e32 v10, v18, v10
	v_xor_b32_e32 v18, 0x440, v10
	v_cndmask_b32_e32 v10, v18, v10, vcc
	v_lshrrev_b32_e32 v5, 2, v45
	v_or_b32_e32 v9, v10, v9
	v_and_b32_e32 v5, 12, v5
	v_lshlrev_b32_e32 v12, 1, v3
	v_add_lshl_u32 v3, v3, s15, 1
	v_or_b32_e32 v13, 0x100, v2
	v_xor_b32_e32 v9, v9, v14
	v_lshlrev_b32_e32 v4, 7, v69
	v_lshlrev_b32_e32 v15, 7, v8
	v_or_b32_e32 v8, v5, v1
	v_add_u32_e32 v21, v17, v20
	v_add_u32_e32 v16, v17, v11
	;; [unrolled: 1-line block ×4, first 2 shown]
	v_or3_b32 v10, v1, v5, 64
	v_add_u32_e32 v5, 0x4000, v20
	v_add_u32_e32 v11, 0x4000, v11
	;; [unrolled: 1-line block ×4, first 2 shown]
	v_cndmask_b32_e64 v104, v12, v2, s[2:3]
	v_cndmask_b32_e64 v105, v3, v13, s[2:3]
	v_lshlrev_b64 v[2:3], 1, v[46:47]
	v_lshl_add_u64 v[58:59], s[8:9], 0, v[2:3]
	v_lshl_add_u64 v[60:61], s[28:29], 0, v[2:3]
	;; [unrolled: 1-line block ×3, first 2 shown]
	v_lshlrev_b32_e32 v56, 1, v4
	v_lshlrev_b32_e32 v47, 2, v8
	v_add_u32_e32 v106, v21, v15
	v_add_u32_e32 v107, v16, v15
	;; [unrolled: 1-line block ×4, first 2 shown]
	v_lshlrev_b32_e32 v110, 2, v10
	v_add_u32_e32 v111, v5, v15
	v_add_u32_e32 v112, v11, v15
	v_add_u32_e32 v113, v17, v15
	v_add_u32_e32 v114, v9, v15
	s_waitcnt lgkmcnt(0)
	s_barrier
.LBB339_32:                             ; =>This Inner Loop Header: Depth=1
	s_add_i32 s41, s62, 1
	s_cmp_lt_i32 s41, s50
	s_mov_b64 s[24:25], 0
	s_cselect_b64 s[2:3], -1, 0
	s_cmp_ge_i32 s41, s50
	s_mov_b64 s[20:21], 0
	s_cbranch_scc1 .LBB339_34
; %bb.33:                               ;   in Loop: Header=BB339_32 Depth=1
	s_add_i32 s0, s57, 64
	s_ashr_i32 s1, s0, 31
	s_add_u32 s0, s55, s0
	s_addc_u32 s1, s54, s1
	s_lshl_b64 s[0:1], s[0:1], 8
	s_add_u32 s20, s6, s0
	s_addc_u32 s21, s7, s1
.LBB339_34:                             ;   in Loop: Header=BB339_32 Depth=1
	v_cndmask_b32_e64 v2, 0, 1, s[2:3]
	v_cmp_ne_u32_e64 s[0:1], 1, v2
	s_andn2_b64 vcc, exec, s[2:3]
	s_cbranch_vccnz .LBB339_36
; %bb.35:                               ;   in Loop: Header=BB339_32 Depth=1
	s_add_i32 s2, s57, 64
	s_mul_hi_i32 s3, s2, s14
	s_mul_i32 s2, s2, s14
	s_add_u32 s2, s2, s53
	s_addc_u32 s3, s3, s58
	s_lshl_b64 s[2:3], s[2:3], 8
	s_add_u32 s24, s4, s2
	s_addc_u32 s25, s5, s3
.LBB339_36:                             ;   in Loop: Header=BB339_32 Depth=1
	v_perm_b32 v3, v55, v54, s39
	v_perm_b32 v2, v51, v50, s39
	;; [unrolled: 1-line block ×4, first 2 shown]
	ds_write_b64 v85, v[2:3]
	ds_write_b64 v86, v[4:5]
	ds_write_b64 v89, v[2:3]
	ds_write_b64 v90, v[4:5]
	v_perm_b32 v3, v82, v75, s39
	v_perm_b32 v2, v71, v73, s39
	;; [unrolled: 1-line block ×4, first 2 shown]
	ds_write_b64 v87, v[2:3]
	ds_write_b64 v88, v[4:5]
	;; [unrolled: 1-line block ×4, first 2 shown]
	s_waitcnt lgkmcnt(0)
	s_barrier
	ds_read_b64 v[6:7], v93 offset:24576
	ds_read2_b64 v[2:5], v94 offset1:16
	ds_read_b64 v[10:11], v96 offset:3072
	ds_read_b64 v[12:13], v94 offset:3072
	;; [unrolled: 1-line block ×3, first 2 shown]
	s_waitcnt lgkmcnt(3)
	v_mfma_f32_16x16x16_bf16 a[0:3], v[6:7], v[2:3], 0
	s_add_i32 s63, s57, 63
	s_ashr_i32 s2, s63, 31
	s_mul_i32 s3, s63, s31
	v_mfma_f32_16x16x16_bf16 a[4:7], v[6:7], v[4:5], 0
	ds_read2st64_b64 v[2:5], v94 offset0:2 offset1:4
	s_mul_hi_u32 s27, s63, s30
	s_add_i32 s3, s27, s3
	s_waitcnt lgkmcnt(0)
	v_mfma_f32_16x16x16_bf16 a[0:3], v[14:15], v[2:3], a[0:3]
	ds_read2st64_b64 v[6:9], v96 offset0:2 offset1:4
	ds_read_b64 v[2:3], v97 offset:24576
	s_mul_i32 s2, s2, s30
	s_add_i32 s3, s3, s2
	s_waitcnt lgkmcnt(1)
	v_mfma_f32_16x16x16_bf16 a[4:7], v[14:15], v[6:7], a[4:7]
	ds_read_b64 v[6:7], v98 offset:24576
	s_mul_i32 s2, s63, s30
	s_lshl_b64 s[2:3], s[2:3], 2
	s_waitcnt lgkmcnt(1)
	v_mfma_f32_16x16x16_bf16 a[0:3], v[2:3], v[4:5], a[0:3]
	s_add_u32 s2, s42, s2
	s_addc_u32 s3, s43, s3
	s_and_b64 vcc, exec, s[0:1]
	v_mfma_f32_16x16x16_bf16 a[8:11], v[2:3], v[8:9], a[4:7]
	v_mov_b32_e32 v118, 0
	v_mov_b32_e32 v117, 0
	v_mov_b32_e32 v116, 0
	s_waitcnt lgkmcnt(0)
	v_mfma_f32_16x16x16_bf16 a[4:7], v[6:7], v[12:13], a[0:3]
	v_mov_b32_e32 v2, 0
	v_mov_b32_e32 v3, 0
	;; [unrolled: 1-line block ×3, first 2 shown]
	v_mfma_f32_16x16x16_bf16 a[0:3], v[6:7], v[10:11], a[8:11]
	v_mov_b32_e32 v5, 0
	v_mov_b32_e32 v6, 0
	;; [unrolled: 1-line block ×13, first 2 shown]
	s_cbranch_vccnz .LBB339_38
; %bb.37:                               ;   in Loop: Header=BB339_32 Depth=1
	s_and_b32 s21, s21, 0xffff
	buffer_load_dwordx4 v[14:17], v80, s[20:23], 0 offen
	buffer_load_dwordx4 v[10:13], v80, s[20:23], s59 offen
	;; [unrolled: 1-line block ×4, first 2 shown]
	v_mov_b32_e32 v117, v83
	v_mov_b32_e32 v116, v84
.LBB339_38:                             ;   in Loop: Header=BB339_32 Depth=1
	ds_read_b64 v[26:27], v93 offset:32768
	ds_read2_b64 v[18:21], v99 offset1:16
	ds_read_b64 v[28:29], v95 offset:32768
	ds_read_b64 v[30:31], v97 offset:32768
	;; [unrolled: 1-line block ×3, first 2 shown]
	v_add_u32_e32 v34, s57, v69
	s_waitcnt lgkmcnt(3)
	v_mfma_f32_16x16x16_bf16 a[4:7], v[26:27], v[18:19], a[4:7]
	v_ashrrev_i32_e32 v18, 31, v34
	ds_read2st64_b64 v[22:25], v99 offset0:2 offset1:4
	v_mfma_f32_16x16x16_bf16 a[0:3], v[26:27], v[20:21], a[0:3]
	v_mul_lo_u32 v20, v18, s30
	v_mul_lo_u32 v21, v34, s31
	v_mad_u64_u32 v[18:19], s[20:21], v34, s30, 0
	v_add3_u32 v19, v19, v21, v20
	v_add_u32_e32 v20, 1, v34
	v_ashrrev_i32_e32 v21, 31, v20
	v_mul_lo_u32 v26, v21, s30
	v_mul_lo_u32 v27, v20, s31
	v_mad_u64_u32 v[20:21], s[20:21], v20, s30, 0
	v_add3_u32 v21, v21, v27, v26
	v_add_u32_e32 v26, 2, v34
	v_ashrrev_i32_e32 v27, 31, v26
	v_mul_lo_u32 v35, v27, s30
	v_mul_lo_u32 v36, v26, s31
	v_mad_u64_u32 v[26:27], s[20:21], v26, s30, 0
	v_add_u32_e32 v34, 3, v34
	v_add3_u32 v27, v27, v36, v35
	v_ashrrev_i32_e32 v35, 31, v34
	v_mul_lo_u32 v36, v35, s30
	v_mul_lo_u32 v37, v34, s31
	v_mad_u64_u32 v[34:35], s[20:21], v34, s30, 0
	s_ashr_i32 s21, s57, 31
	v_add3_u32 v35, v35, v37, v36
	s_add_u32 s20, s55, s57
	v_lshl_add_u64 v[18:19], v[18:19], 2, s[42:43]
	v_lshl_add_u64 v[34:35], v[34:35], 2, s[42:43]
	s_addc_u32 s21, s54, s21
	v_lshl_add_u64 v[20:21], v[20:21], 2, s[42:43]
	v_lshl_add_u64 v[26:27], v[26:27], 2, s[42:43]
	global_load_dword v36, v[18:19], off
	global_load_dword v37, v[20:21], off
	;; [unrolled: 1-line block ×3, first 2 shown]
	s_nop 0
	global_load_dword v34, v[34:35], off
	s_lshl_b64 s[20:21], s[20:21], 8
	v_lshl_add_u64 v[18:19], v[58:59], 0, s[20:21]
	v_lshl_add_u64 v[26:27], v[18:19], 0, v[56:57]
	global_load_ushort v35, v[26:27], off offset:256
	global_load_ushort v39, v[26:27], off
	ds_read2st64_b64 v[18:21], v100 offset0:2 offset1:4
	global_load_ushort v40, v[26:27], off offset:768
	global_load_ushort v41, v[26:27], off offset:512
	;; [unrolled: 1-line block ×6, first 2 shown]
	s_waitcnt lgkmcnt(1)
	v_mfma_f32_16x16x16_bf16 a[4:7], v[28:29], v[22:23], a[4:7]
	s_and_b64 vcc, exec, s[0:1]
	s_waitcnt vmcnt(7)
	v_lshlrev_b32_e32 v27, 16, v35
	s_waitcnt lgkmcnt(0)
	v_mfma_f32_16x16x16_bf16 a[0:3], v[28:29], v[18:19], a[0:3]
	v_mfma_f32_16x16x16_bf16 a[4:7], v[30:31], v[24:25], a[4:7]
	;; [unrolled: 1-line block ×3, first 2 shown]
	ds_read_b64 v[18:19], v99 offset:3072
	ds_read_b64 v[20:21], v100 offset:3072
	s_load_dword s2, s[2:3], 0x0
	s_waitcnt lgkmcnt(0)
	v_sub_f32_e32 v26, s2, v36
	v_mfma_f32_16x16x16_bf16 a[4:7], v[32:33], v[18:19], a[4:7]
	v_sub_f32_e32 v29, s2, v37
	v_sub_f32_e32 v30, s2, v38
	;; [unrolled: 1-line block ×3, first 2 shown]
	v_mul_f32_e32 v28, 0x3fb8aa3b, v26
	v_mul_f32_e32 v29, 0x3fb8aa3b, v29
	;; [unrolled: 1-line block ×4, first 2 shown]
	v_mfma_f32_16x16x16_bf16 a[0:3], v[32:33], v[20:21], a[0:3]
	v_accvgpr_read_b32 v25, a5
	v_exp_f32_e32 v28, v28
	v_exp_f32_e32 v29, v29
	;; [unrolled: 1-line block ×4, first 2 shown]
	v_accvgpr_read_b32 v24, a4
	s_waitcnt vmcnt(6)
	v_lshlrev_b32_e32 v26, 16, v39
	v_lshl_add_u64 v[18:19], v[60:61], 0, s[20:21]
	v_accvgpr_read_b32 v21, a7
	v_accvgpr_read_b32 v20, a6
	v_pk_add_f32 v[24:25], v[26:27], v[24:25] neg_lo:[0,1] neg_hi:[0,1]
	s_waitcnt vmcnt(5)
	v_lshlrev_b32_e32 v27, 16, v40
	s_waitcnt vmcnt(4)
	v_lshlrev_b32_e32 v26, 16, v41
	v_lshl_add_u64 v[18:19], v[18:19], 0, v[56:57]
	v_pk_add_f32 v[20:21], v[26:27], v[20:21] neg_lo:[0,1] neg_hi:[0,1]
	global_store_short_d16_hi v[18:19], v24, off
	global_store_short_d16_hi v[18:19], v25, off offset:256
	global_store_short_d16_hi v[18:19], v20, off offset:512
	;; [unrolled: 1-line block ×3, first 2 shown]
	v_pk_mul_f32 v[24:25], v[28:29], v[24:25]
	v_pk_mul_f32 v[20:21], v[30:31], v[20:21]
	v_accvgpr_read_b32 v27, a1
	v_perm_b32 v21, v21, v20, s39
	v_perm_b32 v20, v25, v24, s39
	s_waitcnt vmcnt(5)
	v_lshlrev_b32_e32 v25, 16, v44
	s_waitcnt vmcnt(4)
	v_lshlrev_b32_e32 v24, 16, v119
	v_accvgpr_read_b32 v26, a0
	v_accvgpr_read_b32 v23, a3
	;; [unrolled: 1-line block ×3, first 2 shown]
	v_pk_add_f32 v[24:25], v[24:25], v[26:27] neg_lo:[0,1] neg_hi:[0,1]
	v_lshlrev_b32_e32 v27, 16, v42
	v_lshlrev_b32_e32 v26, 16, v43
	v_pk_add_f32 v[22:23], v[26:27], v[22:23] neg_lo:[0,1] neg_hi:[0,1]
	global_store_short_d16_hi v[18:19], v24, off offset:32
	global_store_short_d16_hi v[18:19], v25, off offset:288
	;; [unrolled: 1-line block ×4, first 2 shown]
	v_pk_mul_f32 v[18:19], v[28:29], v[24:25]
	v_pk_mul_f32 v[22:23], v[30:31], v[22:23]
	v_mov_b32_e32 v119, 0
	v_perm_b32 v23, v23, v22, s39
	v_perm_b32 v22, v19, v18, s39
	ds_write2_b64 v86, v[20:21], v[22:23] offset1:16
	v_mov_b32_e32 v18, 0
	v_mov_b32_e32 v19, 0
	;; [unrolled: 1-line block ×16, first 2 shown]
	s_cbranch_vccnz .LBB339_40
; %bb.39:                               ;   in Loop: Header=BB339_32 Depth=1
	s_and_b32 s25, s25, 0xffff
	s_mov_b32 s27, s23
	buffer_load_dwordx4 v[30:33], v104, s[24:27], 0 offen
	buffer_load_dwordx4 v[22:25], v104, s[24:27], s59 offen
	;; [unrolled: 1-line block ×4, first 2 shown]
	v_mov_b32_e32 v118, v78
	v_mov_b32_e32 v119, v77
.LBB339_40:                             ;   in Loop: Header=BB339_32 Depth=1
	s_waitcnt lgkmcnt(0)
	s_barrier
	ds_read_b64 v[38:39], v106
	ds_read_b64 v[124:125], v103
	;; [unrolled: 1-line block ×5, first 2 shown]
	ds_read_b64 v[138:139], v100 offset:3072
	ds_read2_b64 v[34:37], v99 offset0:16 offset1:128
	s_waitcnt lgkmcnt(5)
	v_mfma_f32_16x16x16_bf16 a[0:3], v[38:39], v[124:125], 0
	ds_read2st64_b64 v[40:43], v100 offset0:2 offset1:4
	s_add_i32 s3, s56, s62
	s_mul_hi_i32 s21, s3, s13
	s_waitcnt lgkmcnt(1)
	v_mfma_f32_16x16x16_bf16 a[4:7], v[38:39], v[34:35], 0
	ds_read_b64 v[38:39], v111
	s_mul_i32 s3, s3, s13
	s_add_u32 s20, s3, s49
	s_waitcnt lgkmcnt(1)
	v_mfma_f32_16x16x16_bf16 a[4:7], v[126:127], v[40:41], a[4:7]
	s_addc_u32 s21, s21, s51
	s_lshl_b64 s[20:21], s[20:21], 15
	s_mul_i32 s24, s63, s13
	s_mul_hi_i32 s3, s63, s13
	s_add_u32 s24, s24, s49
	v_mfma_f32_16x16x16_bf16 a[8:11], v[128:129], v[42:43], a[4:7]
	s_addc_u32 s25, s3, s51
	ds_read2st64_b64 v[120:123], v99 offset0:4 offset1:6
	s_lshl_b64 s[24:25], s[24:25], 9
	s_waitcnt lgkmcnt(1)
	v_mfma_f32_16x16x16_bf16 a[4:7], v[38:39], v[124:125], 0
	s_add_u32 s24, s16, s24
	s_addc_u32 s25, s17, s25
	v_mfma_f32_16x16x16_bf16 a[0:3], v[126:127], v[36:37], a[0:3]
	ds_read_b64 v[126:127], v112
	ds_read_b64 v[134:135], v113
	ds_read_b64 v[140:141], v114
	v_mfma_f32_16x16x16_bf16 a[12:15], v[38:39], v[34:35], 0
	s_waitcnt lgkmcnt(2)
	v_mfma_f32_16x16x16_bf16 a[4:7], v[126:127], v[36:37], a[4:7]
	global_load_dwordx4 v[34:37], v110, s[24:25]
	v_mfma_f32_16x16x16_bf16 a[12:15], v[126:127], v[40:41], a[12:15]
	global_load_dwordx4 v[38:41], v47, s[24:25]
	ds_read2st64_b64 v[124:127], v101 offset1:8
	s_waitcnt lgkmcnt(0)
	v_mov_b32_e32 v132, v124
	v_mfma_f32_16x16x16_bf16 a[0:3], v[128:129], v[120:121], a[0:3]
	ds_read2st64_b64 v[128:131], v102 offset1:8
	v_mov_b32_e32 v133, v125
	v_mfma_f32_16x16x16_bf16 a[16:19], v[134:135], v[120:121], a[4:7]
	v_lshl_add_u64 v[120:121], v[62:63], 0, s[20:21]
	v_mfma_f32_16x16x16_bf16 a[20:23], v[134:135], v[42:43], a[12:15]
	v_add_co_u32_e32 v42, vcc, s37, v120
	s_waitcnt lgkmcnt(0)
	v_mov_b32_e32 v134, v128
	v_mfma_f32_16x16x16_bf16 a[4:7], v[136:137], v[122:123], a[0:3]
	v_mov_b32_e32 v135, v129
	v_mov_b32_e32 v128, v126
	;; [unrolled: 1-line block ×3, first 2 shown]
	v_mfma_f32_16x16x16_bf16 a[8:11], v[136:137], v[138:139], a[8:11]
	v_addc_co_u32_e32 v43, vcc, 0, v121, vcc
	global_store_dwordx4 v[42:43], v[128:131], off
	v_mfma_f32_16x16x16_bf16 a[12:15], v[140:141], v[122:123], a[16:19]
	s_and_b64 vcc, exec, s[0:1]
	global_store_dwordx4 v[120:121], v[132:135], off
	s_waitcnt vmcnt(3)
	v_mov_b32_e32 v44, v37
	v_mfma_f32_16x16x16_bf16 a[0:3], v[140:141], v[138:139], a[20:23]
	v_mov_b32_e32 v43, v36
	v_mov_b32_e32 v42, v35
	s_cbranch_vccnz .LBB339_42
; %bb.41:                               ;   in Loop: Header=BB339_32 Depth=1
	v_lshrrev_b32_e32 v35, 3, v118
	v_and_b32_e32 v35, 6, v35
	v_xor_b32_e32 v36, v35, v119
	v_lshlrev_b32_e32 v36, 2, v36
	v_and_b32_e32 v37, 8, v118
	v_xor_b32_e32 v118, 0x440, v36
	v_cmp_eq_u32_e32 vcc, 0, v37
	v_perm_b32 v37, v22, v18, s60
	s_nop 0
	v_cndmask_b32_e32 v36, v118, v36, vcc
	v_lshl_or_b32 v35, v35, 10, v36
	v_perm_b32 v36, v30, v26, s60
	s_barrier
	ds_write2st64_b32 v35, v36, v37 offset0:32 offset1:64
	v_xor_b32_e32 v36, 8, v35
	v_perm_b32 v26, v30, v26, s61
	v_perm_b32 v18, v22, v18, s61
	v_add_u32_e32 v22, 0x80, v36
	ds_write2st64_b32 v22, v26, v18 offset0:32 offset1:64
	v_xor_b32_e32 v18, 16, v35
	v_perm_b32 v22, v31, v27, s60
	v_perm_b32 v26, v23, v19, s60
	ds_write2st64_b32 v18, v22, v26 offset0:33 offset1:65
	v_xor_b32_e32 v18, 24, v35
	v_perm_b32 v22, v31, v27, s61
	v_perm_b32 v19, v23, v19, s61
	v_add_u32_e32 v18, 0x80, v18
	ds_write2st64_b32 v18, v22, v19 offset0:33 offset1:65
	v_xor_b32_e32 v18, 32, v35
	v_perm_b32 v19, v32, v28, s60
	v_perm_b32 v22, v24, v20, s60
	;; [unrolled: 9-line block ×3, first 2 shown]
	ds_write2st64_b32 v18, v19, v20 offset0:35 offset1:67
	v_xor_b32_e32 v18, 56, v35
	v_perm_b32 v19, v33, v29, s61
	v_perm_b32 v20, v25, v21, s61
	v_add_u32_e32 v18, 0x80, v18
	ds_write2st64_b32 v18, v19, v20 offset0:35 offset1:67
	ds_write_b64 v117, v[14:15] offset:24576
	v_xor_b32_e32 v14, 8, v117
	ds_write_b64 v14, v[16:17] offset:24576
	ds_write_b64 v117, v[10:11] offset:32768
	ds_write_b64 v14, v[12:13] offset:32768
	ds_write_b64 v116, v[6:7] offset:24576
	v_xor_b32_e32 v6, 8, v116
	ds_write_b64 v6, v[8:9] offset:24576
	ds_write_b64 v116, v[2:3] offset:32768
	;; [unrolled: 1-line block ×3, first 2 shown]
.LBB339_42:                             ;   in Loop: Header=BB339_32 Depth=1
	v_mul_f32_e32 v6, s2, v115
	v_exp_f32_e32 v18, v6
	s_waitcnt vmcnt(2)
	v_mul_f32_e32 v6, 0x3fb8aa3b, v38
	v_exp_f32_e32 v20, v6
	v_mul_f32_e32 v6, 0x3fb8aa3b, v39
	v_exp_f32_e32 v21, v6
	;; [unrolled: 2-line block ×4, first 2 shown]
	v_accvgpr_read_b32 v13, a7
	v_accvgpr_read_b32 v11, a5
	;; [unrolled: 1-line block ×4, first 2 shown]
	v_pk_mul_f32 v[20:21], v[18:19], v[20:21] op_sel_hi:[0,1]
	v_accvgpr_read_b32 v4, a10
	v_pk_fma_f32 v[50:51], v[50:51], v[20:21], v[10:11]
	v_pk_mul_f32 v[10:11], v[18:19], v[22:23] op_sel_hi:[0,1]
	v_accvgpr_read_b32 v12, a6
	v_accvgpr_read_b32 v3, a9
	v_fma_f32 v75, v75, v10, v4
	v_mul_f32_e32 v4, 0x3fb8aa3b, v43
	v_pk_fma_f32 v[54:55], v[54:55], v[10:11], v[12:13]
	v_fma_f32 v73, v73, v20, v2
	v_fma_f32 v71, v71, v21, v3
	v_mul_f32_e32 v2, 0x3fb8aa3b, v34
	v_mul_f32_e32 v3, 0x3fb8aa3b, v42
	v_exp_f32_e32 v12, v4
	v_mul_f32_e32 v4, 0x3fb8aa3b, v44
	v_exp_f32_e32 v2, v2
	v_exp_f32_e32 v3, v3
	;; [unrolled: 1-line block ×3, first 2 shown]
	v_accvgpr_read_b32 v5, a11
	v_accvgpr_read_b32 v17, a15
	;; [unrolled: 1-line block ×9, first 2 shown]
	v_fmac_f32_e32 v5, v82, v11
	v_pk_mul_f32 v[2:3], v[18:19], v[2:3] op_sel_hi:[0,1]
	v_pk_mul_f32 v[10:11], v[18:19], v[12:13] op_sel_hi:[0,1]
	s_add_i32 s57, s57, 64
	v_pk_fma_f32 v[48:49], v[48:49], v[2:3], v[14:15]
	v_pk_fma_f32 v[52:53], v[52:53], v[10:11], v[16:17]
	v_fma_f32 v74, v74, v2, v6
	v_fma_f32 v72, v72, v3, v7
	;; [unrolled: 1-line block ×3, first 2 shown]
	s_cmp_eq_u32 s50, s41
	v_fmac_f32_e32 v9, v79, v11
	s_cbranch_scc1 .LBB339_4
; %bb.43:                               ;   in Loop: Header=BB339_32 Depth=1
	s_mov_b32 s62, s41
	v_mov_b32_e32 v82, v5
	v_mov_b32_e32 v79, v9
	s_branch .LBB339_32
.LBB339_44:
                                        ; implicit-def: $vgpr5
                                        ; implicit-def: $vgpr9
                                        ; implicit-def: $vgpr13
                                        ; implicit-def: $vgpr17
	s_cbranch_execz .LBB339_46
; %bb.45:
	s_waitcnt vmcnt(0)
	v_mad_u64_u32 v[2:3], s[0:1], v20, s15, v[18:19]
	v_lshlrev_b32_e32 v20, 1, v2
	s_lshl_b32 s2, s15, 7
	s_and_b32 s1, s5, 0xffff
	s_mov_b32 s3, 0x20000
	s_mov_b32 s0, s4
	v_add_lshl_u32 v21, v2, s15, 1
	s_movk_i32 s13, 0x80
	buffer_load_dwordx4 v[2:5], v20, s[0:3], 0 offen
	buffer_load_dwordx4 v[10:13], v20, s[0:3], s13 offen
	;; [unrolled: 1-line block ×4, first 2 shown]
.LBB339_46:
	v_lshrrev_b32_e32 v30, 2, v45
	s_cbranch_execnz .LBB339_59
.LBB339_47:
	s_and_b64 vcc, exec, s[6:7]
	s_cbranch_vccz .LBB339_57
; %bb.48:
	s_waitcnt vmcnt(0)
	v_lshlrev_b32_e32 v7, 1, v23
	v_cmp_gt_i32_e32 vcc, s27, v7
	v_mov_b32_e32 v6, 0
	v_lshlrev_b32_e32 v14, 9, v23
	v_mov_b32_e32 v2, 0
	v_mov_b32_e32 v3, 0
	v_mov_b32_e32 v4, 0
	v_mov_b32_e32 v5, 0
	s_and_saveexec_b64 s[0:1], vcc
	s_cbranch_execz .LBB339_50
; %bb.49:
	v_mov_b32_e32 v15, 0
	v_lshl_add_u64 v[2:3], s[4:5], 0, v[14:15]
	v_lshlrev_b32_e32 v4, 1, v18
	v_mov_b32_e32 v5, v15
	v_lshl_add_u64 v[2:3], v[2:3], 0, v[4:5]
	global_load_dwordx4 v[2:5], v[2:3], off
.LBB339_50:
	s_or_b64 exec, exec, s[0:1]
	v_or_b32_e32 v7, 1, v7
	v_cmp_gt_i32_e64 s[0:1], s27, v7
	v_lshlrev_b32_e32 v20, 8, v7
	v_mov_b32_e32 v7, 0
	v_mov_b32_e32 v8, 0
	;; [unrolled: 1-line block ×3, first 2 shown]
	s_and_saveexec_b64 s[2:3], s[0:1]
	s_cbranch_execz .LBB339_52
; %bb.51:
	v_mov_b32_e32 v21, 0
	v_lshl_add_u64 v[6:7], s[4:5], 0, v[20:21]
	v_lshlrev_b32_e32 v8, 1, v18
	v_mov_b32_e32 v9, v21
	v_lshl_add_u64 v[6:7], v[6:7], 0, v[8:9]
	global_load_dwordx4 v[6:9], v[6:7], off
.LBB339_52:
	s_or_b64 exec, exec, s[2:3]
	v_mov_b32_e32 v17, 0
	v_mov_b32_e32 v10, 0
	;; [unrolled: 1-line block ×5, first 2 shown]
	s_and_saveexec_b64 s[2:3], vcc
	s_cbranch_execz .LBB339_54
; %bb.53:
	v_mov_b32_e32 v15, 0
	v_lshl_add_u64 v[10:11], s[4:5], 0, v[14:15]
	v_lshlrev_b32_e32 v14, 1, v18
	v_lshl_add_u64 v[10:11], v[10:11], 0, v[14:15]
	global_load_dwordx4 v[10:13], v[10:11], off offset:128
.LBB339_54:
	s_or_b64 exec, exec, s[2:3]
	v_mov_b32_e32 v16, 0
	v_mov_b32_e32 v15, 0
	;; [unrolled: 1-line block ×3, first 2 shown]
	s_and_saveexec_b64 s[2:3], s[0:1]
	s_cbranch_execz .LBB339_56
; %bb.55:
	v_mov_b32_e32 v21, 0
	v_lshl_add_u64 v[14:15], s[4:5], 0, v[20:21]
	v_lshlrev_b32_e32 v20, 1, v18
	v_lshl_add_u64 v[14:15], v[14:15], 0, v[20:21]
	global_load_dwordx4 v[14:17], v[14:15], off offset:128
.LBB339_56:
	s_or_b64 exec, exec, s[2:3]
	s_branch .LBB339_59
.LBB339_57:
                                        ; implicit-def: $vgpr5
                                        ; implicit-def: $vgpr9
                                        ; implicit-def: $vgpr13
                                        ; implicit-def: $vgpr17
	s_cbranch_execz .LBB339_59
; %bb.58:
	s_waitcnt vmcnt(0)
	v_lshlrev_b32_e32 v2, 1, v18
	v_lshl_or_b32 v18, v23, 9, v2
	s_and_b32 s5, s5, 0xffff
	s_mov_b32 s7, 0x20000
	s_movk_i32 s6, 0x4000
	s_movk_i32 s0, 0x80
	buffer_load_dwordx4 v[2:5], v18, s[4:7], 0 offen
	buffer_load_dwordx4 v[6:9], v18, s[4:7], 0 offen offset:256
	buffer_load_dwordx4 v[10:13], v18, s[4:7], s0 offen
	buffer_load_dwordx4 v[14:17], v18, s[4:7], s0 offen offset:256
.LBB339_59:
	ds_read_b64 v[20:21], v25 offset:32768
	v_add_u32_e32 v18, 0xb000, v24
	ds_read2_b64 v[32:35], v18 offset1:16
	ds_read_b64 v[40:41], v26 offset:32768
	ds_read_b64 v[26:27], v27 offset:32768
	;; [unrolled: 1-line block ×3, first 2 shown]
	v_and_b32_e32 v18, 6, v0
	v_xor_b32_e32 v23, v23, v18
	v_lshlrev_b32_e32 v23, 2, v23
	v_and_b32_e32 v0, 1, v0
	v_xor_b32_e32 v28, 0x440, v23
	v_cmp_eq_u32_e32 vcc, 0, v0
	s_waitcnt lgkmcnt(3)
	v_mfma_f32_16x16x16_bf16 a[0:3], v[20:21], v[32:33], a[0:3]
	s_mov_b32 s0, 0x1000504
	v_cndmask_b32_e32 v0, v28, v23, vcc
	v_lshl_or_b32 v0, v18, 10, v0
	v_mfma_f32_16x16x16_bf16 a[4:7], v[20:21], v[34:35], a[4:7]
	ds_read2st64_b64 v[32:35], v24 offset0:90 offset1:92
	ds_read2st64_b64 v[36:39], v29 offset0:90 offset1:92
	ds_read_b64 v[20:21], v24 offset:48128
	ds_read_b64 v[24:25], v29 offset:48128
	s_waitcnt vmcnt(0)
	v_perm_b32 v18, v2, v6, s0
	s_waitcnt lgkmcnt(3)
	v_mfma_f32_16x16x16_bf16 a[0:3], v[40:41], v[32:33], a[0:3]
	s_mov_b32 s1, 0x3020706
	v_perm_b32 v2, v2, v6, s1
	v_perm_b32 v6, v10, v14, s1
	s_waitcnt lgkmcnt(2)
	v_mfma_f32_16x16x16_bf16 a[4:7], v[40:41], v[36:37], a[4:7]
	v_mfma_f32_16x16x16_bf16 a[0:3], v[26:27], v[34:35], a[0:3]
	;; [unrolled: 1-line block ×3, first 2 shown]
	s_waitcnt lgkmcnt(1)
	v_mfma_f32_16x16x16_bf16 a[4:7], v[42:43], v[20:21], a[0:3]
	v_perm_b32 v20, v10, v14, s0
	ds_write2st64_b32 v0, v18, v20 offset0:32 offset1:64
	v_xor_b32_e32 v18, 8, v0
	v_add_u32_e32 v10, 0x80, v18
	ds_write2st64_b32 v10, v2, v6 offset0:32 offset1:64
	v_xor_b32_e32 v2, 16, v0
	v_perm_b32 v6, v3, v7, s0
	v_perm_b32 v10, v11, v15, s0
	ds_write2st64_b32 v2, v6, v10 offset0:33 offset1:65
	v_xor_b32_e32 v2, 24, v0
	v_perm_b32 v3, v3, v7, s1
	v_perm_b32 v6, v11, v15, s1
	v_add_u32_e32 v2, 0x80, v2
	ds_write2st64_b32 v2, v3, v6 offset0:33 offset1:65
	v_xor_b32_e32 v2, 32, v0
	v_perm_b32 v3, v4, v8, s0
	v_perm_b32 v6, v12, v16, s0
	s_waitcnt lgkmcnt(4)
	v_mfma_f32_16x16x16_bf16 a[0:3], v[42:43], v[24:25], a[8:11]
	ds_write2st64_b32 v2, v3, v6 offset0:34 offset1:66
	v_xor_b32_e32 v2, 40, v0
	v_perm_b32 v3, v4, v8, s1
	v_perm_b32 v4, v12, v16, s1
	v_add_u32_e32 v2, 0x80, v2
	ds_write2st64_b32 v2, v3, v4 offset0:34 offset1:66
	v_xor_b32_e32 v2, 48, v0
	v_perm_b32 v3, v5, v9, s0
	v_perm_b32 v4, v13, v17, s0
	v_xor_b32_e32 v0, 56, v0
	v_and_or_b32 v21, v30, 12, v1
	ds_write2st64_b32 v2, v3, v4 offset0:35 offset1:67
	v_perm_b32 v2, v5, v9, s1
	v_perm_b32 v3, v13, v17, s1
	v_add_u32_e32 v0, 0x80, v0
	v_cmp_gt_i32_e32 vcc, s27, v21
	v_mov_b32_e32 v16, 0
	v_mov_b32_e32 v18, 0
	ds_write2st64_b32 v0, v2, v3 offset0:35 offset1:67
	s_and_saveexec_b64 s[0:1], vcc
	s_cbranch_execz .LBB339_61
; %bb.60:
	v_add_u32_e32 v0, s26, v21
	v_ashrrev_i32_e32 v1, 31, v0
	v_mul_lo_u32 v2, v1, s30
	v_mul_lo_u32 v3, v0, s31
	v_mad_u64_u32 v[0:1], s[2:3], v0, s30, 0
	v_add3_u32 v1, v1, v3, v2
	v_lshl_add_u64 v[0:1], v[0:1], 2, s[10:11]
	global_load_dword v0, v[0:1], off
	s_waitcnt vmcnt(0)
	v_sub_f32_e32 v0, s12, v0
	v_mul_f32_e32 v0, 0x3fb8aa3b, v0
	v_exp_f32_e32 v18, v0
.LBB339_61:
	s_or_b64 exec, exec, s[0:1]
	v_or_b32_e32 v10, 1, v21
	v_cmp_gt_i32_e64 s[0:1], s27, v10
	s_and_saveexec_b64 s[2:3], s[0:1]
	s_cbranch_execz .LBB339_63
; %bb.62:
	v_add_u32_e32 v0, s26, v10
	v_ashrrev_i32_e32 v1, 31, v0
	v_mul_lo_u32 v2, v1, s30
	v_mul_lo_u32 v3, v0, s31
	v_mad_u64_u32 v[0:1], s[4:5], v0, s30, 0
	v_add3_u32 v1, v1, v3, v2
	v_lshl_add_u64 v[0:1], v[0:1], 2, s[10:11]
	global_load_dword v0, v[0:1], off
	s_waitcnt vmcnt(0)
	v_sub_f32_e32 v0, s12, v0
	v_mul_f32_e32 v0, 0x3fb8aa3b, v0
	v_exp_f32_e32 v16, v0
.LBB339_63:
	s_or_b64 exec, exec, s[2:3]
	v_or_b32_e32 v12, 2, v21
	v_cmp_gt_i32_e64 s[2:3], s27, v12
	v_mov_b32_e32 v17, 0
	v_mov_b32_e32 v20, 0
	s_and_saveexec_b64 s[4:5], s[2:3]
	s_cbranch_execz .LBB339_65
; %bb.64:
	v_add_u32_e32 v0, s26, v12
	v_ashrrev_i32_e32 v1, 31, v0
	v_mul_lo_u32 v2, v1, s30
	v_mul_lo_u32 v3, v0, s31
	v_mad_u64_u32 v[0:1], s[6:7], v0, s30, 0
	v_add3_u32 v1, v1, v3, v2
	v_lshl_add_u64 v[0:1], v[0:1], 2, s[10:11]
	global_load_dword v0, v[0:1], off
	s_waitcnt vmcnt(0)
	v_sub_f32_e32 v0, s12, v0
	v_mul_f32_e32 v0, 0x3fb8aa3b, v0
	v_exp_f32_e32 v20, v0
.LBB339_65:
	s_or_b64 exec, exec, s[4:5]
	v_or_b32_e32 v14, 3, v21
	v_cmp_gt_i32_e64 s[4:5], s27, v14
	s_and_saveexec_b64 s[6:7], s[4:5]
	s_cbranch_execz .LBB339_67
; %bb.66:
	v_add_u32_e32 v0, s26, v14
	v_ashrrev_i32_e32 v1, 31, v0
	v_mul_lo_u32 v2, v1, s30
	v_mul_lo_u32 v3, v0, s31
	v_mad_u64_u32 v[0:1], s[14:15], v0, s30, 0
	v_add3_u32 v1, v1, v3, v2
	v_lshl_add_u64 v[0:1], v[0:1], 2, s[10:11]
	global_load_dword v0, v[0:1], off
	s_waitcnt vmcnt(0)
	v_sub_f32_e32 v0, s12, v0
	v_mul_f32_e32 v0, 0x3fb8aa3b, v0
	v_exp_f32_e32 v17, v0
.LBB339_67:
	s_or_b64 exec, exec, s[6:7]
	s_add_u32 s6, s8, s20
	s_addc_u32 s7, s9, s21
	s_add_u32 s8, s28, s20
	v_ashrrev_i32_e32 v47, 31, v46
	v_accvgpr_read_b32 v0, a4
	s_addc_u32 s9, s29, s21
	v_lshlrev_b64 v[4:5], 1, v[46:47]
	v_accvgpr_read_b32 v1, a5
	v_accvgpr_read_b32 v2, a6
	;; [unrolled: 1-line block ×3, first 2 shown]
	v_lshl_add_u64 v[6:7], s[6:7], 0, v[4:5]
	v_lshl_add_u64 v[4:5], s[8:9], 0, v[4:5]
	v_mov_b32_e32 v11, 0
	v_lshlrev_b32_e32 v8, 8, v21
	v_mov_b32_e32 v9, 0
	s_and_saveexec_b64 s[6:7], vcc
	s_cbranch_execz .LBB339_69
; %bb.68:
	v_mov_b32_e32 v9, 0
	v_lshl_add_u64 v[24:25], v[6:7], 0, v[8:9]
	global_load_ushort v13, v[24:25], off
	v_lshl_add_u64 v[24:25], v[4:5], 0, v[8:9]
	s_waitcnt vmcnt(0)
	v_lshlrev_b32_e32 v9, 16, v13
	v_sub_f32_e32 v0, v9, v0
	global_store_short_d16_hi v[24:25], v0, off
	v_mul_f32_e32 v0, v18, v0
	v_lshrrev_b32_e32 v9, 16, v0
.LBB339_69:
	s_or_b64 exec, exec, s[6:7]
	v_lshlrev_b32_e32 v10, 8, v10
	s_and_saveexec_b64 s[6:7], s[0:1]
	s_cbranch_execz .LBB339_71
; %bb.70:
	v_mov_b32_e32 v11, 0
	v_lshl_add_u64 v[24:25], v[6:7], 0, v[10:11]
	global_load_ushort v0, v[24:25], off
	v_lshl_add_u64 v[24:25], v[4:5], 0, v[10:11]
	s_waitcnt vmcnt(0)
	v_lshlrev_b32_e32 v0, 16, v0
	v_sub_f32_e32 v0, v0, v1
	global_store_short_d16_hi v[24:25], v0, off
	v_mul_f32_e32 v0, v16, v0
	v_lshrrev_b32_e32 v11, 16, v0
.LBB339_71:
	s_or_b64 exec, exec, s[6:7]
	v_mov_b32_e32 v15, 0
	v_lshlrev_b32_e32 v12, 8, v12
	v_mov_b32_e32 v13, 0
	s_and_saveexec_b64 s[6:7], s[2:3]
	s_cbranch_execz .LBB339_73
; %bb.72:
	v_mov_b32_e32 v13, 0
	v_lshl_add_u64 v[0:1], v[6:7], 0, v[12:13]
	global_load_ushort v23, v[0:1], off
	v_lshl_add_u64 v[0:1], v[4:5], 0, v[12:13]
	s_waitcnt vmcnt(0)
	v_lshlrev_b32_e32 v13, 16, v23
	v_sub_f32_e32 v2, v13, v2
	global_store_short_d16_hi v[0:1], v2, off
	v_mul_f32_e32 v0, v20, v2
	v_lshrrev_b32_e32 v13, 16, v0
.LBB339_73:
	s_or_b64 exec, exec, s[6:7]
	v_lshlrev_b32_e32 v14, 8, v14
	s_and_saveexec_b64 s[6:7], s[4:5]
	s_cbranch_execz .LBB339_75
; %bb.74:
	v_mov_b32_e32 v15, 0
	v_lshl_add_u64 v[0:1], v[6:7], 0, v[14:15]
	global_load_ushort v2, v[0:1], off
	v_lshl_add_u64 v[0:1], v[4:5], 0, v[14:15]
	s_waitcnt vmcnt(0)
	v_lshlrev_b32_e32 v2, 16, v2
	v_sub_f32_e32 v2, v2, v3
	global_store_short_d16_hi v[0:1], v2, off
	v_mul_f32_e32 v0, v17, v2
	v_lshrrev_b32_e32 v15, 16, v0
.LBB339_75:
	s_or_b64 exec, exec, s[6:7]
	v_lshlrev_b32_e32 v21, 5, v21
	s_mov_b32 s6, 0x5040100
	v_perm_b32 v24, v11, v9, s6
	v_or_b32_e32 v9, v21, v22
	v_accvgpr_read_b32 v0, a0
	v_perm_b32 v25, v15, v13, s6
	v_lshlrev_b32_e32 v9, 1, v9
	v_accvgpr_read_b32 v1, a1
	v_accvgpr_read_b32 v2, a2
	;; [unrolled: 1-line block ×3, first 2 shown]
	ds_write_b64 v9, v[24:25] offset:45056
	v_mov_b32_e32 v11, 0
	v_mov_b32_e32 v9, 0
	s_and_saveexec_b64 s[6:7], vcc
	s_cbranch_execz .LBB339_77
; %bb.76:
	v_mov_b32_e32 v9, 0
	v_lshl_add_u64 v[22:23], v[6:7], 0, v[8:9]
	global_load_ushort v13, v[22:23], off offset:32
	v_lshl_add_u64 v[8:9], v[4:5], 0, v[8:9]
	s_waitcnt vmcnt(0)
	v_lshlrev_b32_e32 v13, 16, v13
	v_sub_f32_e32 v0, v13, v0
	global_store_short_d16_hi v[8:9], v0, off offset:32
	v_mul_f32_e32 v0, v18, v0
	v_lshrrev_b32_e32 v9, 16, v0
.LBB339_77:
	s_or_b64 exec, exec, s[6:7]
	s_and_saveexec_b64 s[6:7], s[0:1]
	s_cbranch_execz .LBB339_79
; %bb.78:
	v_mov_b32_e32 v11, 0
	v_lshl_add_u64 v[22:23], v[6:7], 0, v[10:11]
	global_load_ushort v0, v[22:23], off offset:32
	v_lshl_add_u64 v[10:11], v[4:5], 0, v[10:11]
	s_waitcnt vmcnt(0)
	v_lshlrev_b32_e32 v0, 16, v0
	v_sub_f32_e32 v0, v0, v1
	global_store_short_d16_hi v[10:11], v0, off offset:32
	v_mul_f32_e32 v0, v16, v0
	v_lshrrev_b32_e32 v11, 16, v0
.LBB339_79:
	s_or_b64 exec, exec, s[6:7]
	v_mov_b32_e32 v0, 0
	v_mov_b32_e32 v1, 0
	s_and_saveexec_b64 s[0:1], s[2:3]
	s_cbranch_execz .LBB339_81
; %bb.80:
	v_mov_b32_e32 v13, 0
	v_lshl_add_u64 v[22:23], v[6:7], 0, v[12:13]
	global_load_ushort v1, v[22:23], off offset:32
	v_lshl_add_u64 v[12:13], v[4:5], 0, v[12:13]
	s_waitcnt vmcnt(0)
	v_lshlrev_b32_e32 v1, 16, v1
	v_sub_f32_e32 v1, v1, v2
	global_store_short_d16_hi v[12:13], v1, off offset:32
	v_mul_f32_e32 v1, v20, v1
	v_lshrrev_b32_e32 v1, 16, v1
.LBB339_81:
	s_or_b64 exec, exec, s[0:1]
	s_and_saveexec_b64 s[0:1], s[4:5]
	s_cbranch_execz .LBB339_83
; %bb.82:
	v_mov_b32_e32 v15, 0
	v_lshl_add_u64 v[6:7], v[6:7], 0, v[14:15]
	global_load_ushort v0, v[6:7], off offset:32
	v_lshl_add_u64 v[4:5], v[4:5], 0, v[14:15]
	s_waitcnt vmcnt(0)
	v_lshlrev_b32_e32 v0, 16, v0
	v_sub_f32_e32 v0, v0, v3
	global_store_short_d16_hi v[4:5], v0, off offset:32
	v_mul_f32_e32 v0, v17, v0
	v_lshrrev_b32_e32 v0, 16, v0
.LBB339_83:
	s_or_b64 exec, exec, s[0:1]
	s_mov_b32 s0, 0x5040100
	v_or_b32_e32 v2, v21, v19
	v_perm_b32 v1, v0, v1, s0
	v_perm_b32 v0, v11, v9, s0
	v_lshlrev_b32_e32 v2, 1, v2
	ds_write_b64 v2, v[0:1] offset:45056
	s_waitcnt lgkmcnt(0)
	s_barrier
.LBB339_84:
	s_endpgm
	.section	.rodata,"a",@progbits
	.p2align	6, 0x0
	.amdhsa_kernel _ZN12_GLOBAL__N_139chunk_gated_delta_rule_fwd_h_hip_kernelILi32ELb1ELb0ELb1ELb1ELb0ELb1ELb0ELb1EEEvPK12hip_bfloat16S3_S3_PKfS5_PKvPS1_S8_PvPKiSB_iiiiilll
		.amdhsa_group_segment_fixed_size 49152
		.amdhsa_private_segment_fixed_size 0
		.amdhsa_kernarg_size 136
		.amdhsa_user_sgpr_count 2
		.amdhsa_user_sgpr_dispatch_ptr 0
		.amdhsa_user_sgpr_queue_ptr 0
		.amdhsa_user_sgpr_kernarg_segment_ptr 1
		.amdhsa_user_sgpr_dispatch_id 0
		.amdhsa_user_sgpr_kernarg_preload_length 0
		.amdhsa_user_sgpr_kernarg_preload_offset 0
		.amdhsa_user_sgpr_private_segment_size 0
		.amdhsa_uses_dynamic_stack 0
		.amdhsa_enable_private_segment 0
		.amdhsa_system_sgpr_workgroup_id_x 1
		.amdhsa_system_sgpr_workgroup_id_y 1
		.amdhsa_system_sgpr_workgroup_id_z 0
		.amdhsa_system_sgpr_workgroup_info 0
		.amdhsa_system_vgpr_workitem_id 0
		.amdhsa_next_free_vgpr 168
		.amdhsa_next_free_sgpr 64
		.amdhsa_accum_offset 144
		.amdhsa_reserve_vcc 1
		.amdhsa_float_round_mode_32 0
		.amdhsa_float_round_mode_16_64 0
		.amdhsa_float_denorm_mode_32 3
		.amdhsa_float_denorm_mode_16_64 3
		.amdhsa_dx10_clamp 1
		.amdhsa_ieee_mode 1
		.amdhsa_fp16_overflow 0
		.amdhsa_tg_split 0
		.amdhsa_exception_fp_ieee_invalid_op 0
		.amdhsa_exception_fp_denorm_src 0
		.amdhsa_exception_fp_ieee_div_zero 0
		.amdhsa_exception_fp_ieee_overflow 0
		.amdhsa_exception_fp_ieee_underflow 0
		.amdhsa_exception_fp_ieee_inexact 0
		.amdhsa_exception_int_div_zero 0
	.end_amdhsa_kernel
	.section	.text._ZN12_GLOBAL__N_139chunk_gated_delta_rule_fwd_h_hip_kernelILi32ELb1ELb0ELb1ELb1ELb0ELb1ELb0ELb1EEEvPK12hip_bfloat16S3_S3_PKfS5_PKvPS1_S8_PvPKiSB_iiiiilll,"axG",@progbits,_ZN12_GLOBAL__N_139chunk_gated_delta_rule_fwd_h_hip_kernelILi32ELb1ELb0ELb1ELb1ELb0ELb1ELb0ELb1EEEvPK12hip_bfloat16S3_S3_PKfS5_PKvPS1_S8_PvPKiSB_iiiiilll,comdat
.Lfunc_end339:
	.size	_ZN12_GLOBAL__N_139chunk_gated_delta_rule_fwd_h_hip_kernelILi32ELb1ELb0ELb1ELb1ELb0ELb1ELb0ELb1EEEvPK12hip_bfloat16S3_S3_PKfS5_PKvPS1_S8_PvPKiSB_iiiiilll, .Lfunc_end339-_ZN12_GLOBAL__N_139chunk_gated_delta_rule_fwd_h_hip_kernelILi32ELb1ELb0ELb1ELb1ELb0ELb1ELb0ELb1EEEvPK12hip_bfloat16S3_S3_PKfS5_PKvPS1_S8_PvPKiSB_iiiiilll
                                        ; -- End function
	.section	.AMDGPU.csdata,"",@progbits
; Kernel info:
; codeLenInByte = 8932
; NumSgprs: 70
; NumVgprs: 142
; NumAgprs: 24
; TotalNumVgprs: 168
; ScratchSize: 0
; MemoryBound: 0
; FloatMode: 240
; IeeeMode: 1
; LDSByteSize: 49152 bytes/workgroup (compile time only)
; SGPRBlocks: 8
; VGPRBlocks: 20
; NumSGPRsForWavesPerEU: 70
; NumVGPRsForWavesPerEU: 168
; AccumOffset: 144
; Occupancy: 1
; WaveLimiterHint : 1
; COMPUTE_PGM_RSRC2:SCRATCH_EN: 0
; COMPUTE_PGM_RSRC2:USER_SGPR: 2
; COMPUTE_PGM_RSRC2:TRAP_HANDLER: 0
; COMPUTE_PGM_RSRC2:TGID_X_EN: 1
; COMPUTE_PGM_RSRC2:TGID_Y_EN: 1
; COMPUTE_PGM_RSRC2:TGID_Z_EN: 0
; COMPUTE_PGM_RSRC2:TIDIG_COMP_CNT: 0
; COMPUTE_PGM_RSRC3_GFX90A:ACCUM_OFFSET: 35
; COMPUTE_PGM_RSRC3_GFX90A:TG_SPLIT: 0
	.section	.text._ZN12_GLOBAL__N_139chunk_gated_delta_rule_fwd_h_hip_kernelILi32ELb1ELb0ELb0ELb1ELb0ELb1ELb0ELb1EEEvPK12hip_bfloat16S3_S3_PKfS5_PKvPS1_S8_PvPKiSB_iiiiilll,"axG",@progbits,_ZN12_GLOBAL__N_139chunk_gated_delta_rule_fwd_h_hip_kernelILi32ELb1ELb0ELb0ELb1ELb0ELb1ELb0ELb1EEEvPK12hip_bfloat16S3_S3_PKfS5_PKvPS1_S8_PvPKiSB_iiiiilll,comdat
	.globl	_ZN12_GLOBAL__N_139chunk_gated_delta_rule_fwd_h_hip_kernelILi32ELb1ELb0ELb0ELb1ELb0ELb1ELb0ELb1EEEvPK12hip_bfloat16S3_S3_PKfS5_PKvPS1_S8_PvPKiSB_iiiiilll ; -- Begin function _ZN12_GLOBAL__N_139chunk_gated_delta_rule_fwd_h_hip_kernelILi32ELb1ELb0ELb0ELb1ELb0ELb1ELb0ELb1EEEvPK12hip_bfloat16S3_S3_PKfS5_PKvPS1_S8_PvPKiSB_iiiiilll
	.p2align	8
	.type	_ZN12_GLOBAL__N_139chunk_gated_delta_rule_fwd_h_hip_kernelILi32ELb1ELb0ELb0ELb1ELb0ELb1ELb0ELb1EEEvPK12hip_bfloat16S3_S3_PKfS5_PKvPS1_S8_PvPKiSB_iiiiilll,@function
_ZN12_GLOBAL__N_139chunk_gated_delta_rule_fwd_h_hip_kernelILi32ELb1ELb0ELb0ELb1ELb0ELb1ELb0ELb1EEEvPK12hip_bfloat16S3_S3_PKfS5_PKvPS1_S8_PvPKiSB_iiiiilll: ; @_ZN12_GLOBAL__N_139chunk_gated_delta_rule_fwd_h_hip_kernelILi32ELb1ELb0ELb0ELb1ELb0ELb1ELb0ELb1EEEvPK12hip_bfloat16S3_S3_PKfS5_PKvPS1_S8_PvPKiSB_iiiiilll
; %bb.0:
	s_load_dwordx4 s[12:15], s[0:1], 0x5c
	s_load_dwordx4 s[20:23], s[0:1], 0x70
	s_abs_i32 s9, s3
	s_ashr_i32 s8, s3, 31
	s_load_dwordx4 s[4:7], s[0:1], 0x48
	s_waitcnt lgkmcnt(0)
	s_abs_i32 s10, s13
	v_cvt_f32_u32_e32 v1, s10
	s_sub_i32 s16, 0, s10
	s_ashr_i32 s11, s13, 31
	s_xor_b32 s8, s8, s11
	v_rcp_iflag_f32_e32 v1, v1
	v_and_b32_e32 v64, 15, v0
	v_lshrrev_b32_e32 v62, 6, v0
	v_bfe_u32 v63, v0, 4, 2
	v_mul_f32_e32 v1, 0x4f7ffffe, v1
	v_cvt_u32_f32_e32 v1, v1
	v_mov_b32_e32 v7, 0
	v_and_b32_e32 v45, 63, v0
	v_lshlrev_b32_e32 v65, 3, v0
	v_readfirstlane_b32 s17, v1
	s_mul_i32 s16, s16, s17
	s_mul_hi_u32 s16, s17, s16
	s_add_i32 s17, s17, s16
	s_mul_hi_u32 s16, s9, s17
	s_mul_i32 s17, s16, s10
	s_sub_i32 s9, s9, s17
	s_add_i32 s18, s16, 1
	s_sub_i32 s17, s9, s10
	s_cmp_ge_u32 s9, s10
	s_cselect_b32 s16, s18, s16
	s_cselect_b32 s9, s17, s9
	s_add_i32 s17, s16, 1
	s_cmp_ge_u32 s9, s10
	s_cselect_b32 s9, s17, s16
	s_load_dwordx4 s[16:19], s[0:1], 0x28
	s_xor_b32 s9, s9, s8
	s_sub_i32 s24, s9, s8
	s_mul_i32 s28, s24, s13
	s_ashr_i32 s25, s24, 31
	s_sub_i32 s47, s3, s28
	s_lshl_b64 s[8:9], s[24:25], 2
	s_add_u32 s4, s4, s8
	s_addc_u32 s5, s5, s9
	s_add_u32 s26, s6, s8
	s_addc_u32 s27, s7, s9
	s_abs_i32 s3, s14
	v_cvt_f32_u32_e32 v1, s3
	s_load_dwordx2 s[30:31], s[4:5], 0x0
	s_lshl_b32 s38, s2, 5
	s_ashr_i32 s2, s14, 31
	v_rcp_iflag_f32_e32 v1, v1
	s_xor_b32 s2, s11, s2
	s_waitcnt lgkmcnt(0)
	s_sub_i32 s50, s31, s30
	s_ashr_i32 s4, s50, 31
	v_mul_f32_e32 v1, 0x4f7ffffe, v1
	v_cvt_u32_f32_e32 v1, v1
	s_lshr_b32 s4, s4, 26
	s_add_i32 s4, s50, s4
	s_ashr_i32 s48, s4, 6
	s_sub_i32 s4, 0, s3
	v_readfirstlane_b32 s5, v1
	s_mul_i32 s4, s4, s5
	s_mul_hi_u32 s4, s5, s4
	s_add_i32 s5, s5, s4
	s_mul_hi_u32 s4, s10, s5
	s_mul_i32 s5, s4, s3
	s_sub_i32 s5, s10, s5
	s_add_i32 s6, s4, 1
	s_sub_i32 s7, s5, s3
	s_cmp_ge_u32 s5, s3
	s_cselect_b32 s4, s6, s4
	s_cselect_b32 s5, s7, s5
	s_add_i32 s6, s4, 1
	s_cmp_ge_u32 s5, s3
	s_cselect_b32 s3, s6, s4
	s_xor_b32 s3, s3, s2
	s_sub_i32 s2, s3, s2
	s_abs_i32 s3, s2
	v_cvt_f32_u32_e32 v1, s3
	s_sub_i32 s5, 0, s3
	s_abs_i32 s4, s47
	s_xor_b32 s2, s47, s2
	v_rcp_iflag_f32_e32 v1, v1
	s_ashr_i32 s2, s2, 31
	v_or_b32_e32 v46, s38, v64
	v_lshlrev_b32_e32 v2, 7, v46
	v_mul_f32_e32 v1, 0x4f7ffffe, v1
	v_cvt_u32_f32_e32 v1, v1
	v_ashrrev_i32_e32 v3, 31, v2
	v_lshrrev_b32_e32 v66, 3, v45
	s_mul_i32 s33, s24, s21
	v_readfirstlane_b32 s6, v1
	s_mul_i32 s5, s5, s6
	s_mul_hi_u32 s5, s6, s5
	s_add_i32 s6, s6, s5
	s_mul_hi_u32 s5, s4, s6
	s_mul_i32 s6, s5, s3
	s_sub_i32 s4, s4, s6
	s_add_i32 s6, s5, 1
	s_sub_i32 s7, s4, s3
	s_cmp_ge_u32 s4, s3
	s_cselect_b32 s5, s6, s5
	s_cselect_b32 s4, s7, s4
	s_add_i32 s6, s5, 1
	s_cmp_ge_u32 s4, s3
	s_cselect_b32 s3, s6, s5
	s_xor_b32 s3, s3, s2
	s_sub_i32 s51, s3, s2
	s_ashr_i32 s49, s47, 31
	s_mul_hi_i32 s3, s24, s13
	s_add_u32 s2, s28, s47
	s_addc_u32 s3, s3, s49
	s_lshl_b64 s[2:3], s[2:3], 15
	s_add_u32 s2, s16, s2
	s_addc_u32 s3, s17, s3
	v_lshlrev_b32_e32 v1, 4, v62
	v_lshl_add_u64 v[4:5], v[2:3], 1, s[2:3]
	v_or_b32_e32 v2, 0x800, v2
	v_lshl_or_b32 v67, v63, 2, v1
	v_ashrrev_i32_e32 v3, 31, v2
	v_lshlrev_b32_e32 v6, 1, v67
	v_lshl_add_u64 v[2:3], v[2:3], 1, s[2:3]
	v_lshl_add_u64 v[4:5], v[4:5], 0, v[6:7]
	;; [unrolled: 1-line block ×3, first 2 shown]
	global_load_dwordx2 v[8:9], v[4:5], off
	v_or_b32_e32 v68, 64, v67
	global_load_dwordx2 v[4:5], v[4:5], off offset:128
	s_nop 0
	global_load_dwordx2 v[6:7], v[2:3], off
	global_load_dwordx2 v[10:11], v[2:3], off offset:128
	s_load_dwordx8 s[4:11], s[0:1], 0x0
	s_load_dwordx2 s[28:29], s[0:1], 0x80
	s_load_dword s54, s[26:27], 0x0
	s_mul_hi_u32 s42, s24, s20
	s_mul_i32 s34, s24, s20
	s_mul_i32 s43, s25, s20
	s_mul_hi_i32 s52, s47, s12
	s_mul_i32 s53, s47, s12
	s_mul_i32 s44, s47, s23
	s_mul_hi_u32 s45, s47, s22
	s_mul_i32 s46, s49, s22
	s_cmp_lt_i32 s50, 64
	s_mul_i32 s36, s47, s22
	s_waitcnt vmcnt(3)
	v_and_b32_e32 v51, 0xffff0000, v8
	v_lshlrev_b32_e32 v50, 16, v8
	v_and_b32_e32 v55, 0xffff0000, v9
	v_lshlrev_b32_e32 v54, 16, v9
	s_waitcnt vmcnt(2)
	v_and_b32_e32 v49, 0xffff0000, v4
	v_lshlrev_b32_e32 v48, 16, v4
	v_and_b32_e32 v53, 0xffff0000, v5
	v_lshlrev_b32_e32 v52, 16, v5
	;; [unrolled: 5-line block ×4, first 2 shown]
	s_cbranch_scc1 .LBB340_3
; %bb.1:
	s_ashr_i32 s3, s30, 31
	s_add_u32 s2, s53, s30
	s_addc_u32 s3, s52, s3
	s_lshl_b64 s[2:3], s[2:3], 8
	v_and_b32_e32 v76, 56, v65
	s_waitcnt lgkmcnt(0)
	s_add_u32 s20, s6, s2
	v_lshl_or_b32 v75, v62, 3, v66
	v_lshlrev_b32_e32 v2, 1, v76
	s_addc_u32 s2, s7, s3
	v_lshl_or_b32 v78, v75, 8, v2
	s_and_b32 s21, s2, 0xffff
	s_mov_b32 s23, 0x20000
	s_movk_i32 s22, 0x4000
	s_movk_i32 s2, 0x80
	v_or_b32_e32 v79, 0x2000, v78
	buffer_load_dwordx4 v[4:7], v78, s[20:23], 0 offen
	buffer_load_dwordx4 v[8:11], v78, s[20:23], s2 offen
	;; [unrolled: 1-line block ×4, first 2 shown]
	v_lshlrev_b32_e32 v3, 3, v75
	v_and_or_b32 v21, v0, 7, v3
	v_and_b32_e32 v3, 0x78, v3
	v_lshlrev_b32_e32 v21, 4, v21
	v_xor_b32_e32 v81, v21, v3
	v_mul_lo_u32 v20, v75, s15
	v_or_b32_e32 v82, 0x1000, v81
	v_xor_b32_e32 v3, 8, v81
	s_cmpk_eq_i32 s15, 0x80
	s_mov_b32 s55, s30
	v_xor_b32_e32 v21, 8, v82
	s_cselect_b64 s[2:3], -1, 0
	s_cmpk_lg_i32 s15, 0x80
	s_waitcnt vmcnt(3)
	ds_write_b64 v81, v[4:5] offset:24576
	ds_write_b64 v3, v[6:7] offset:24576
	s_waitcnt vmcnt(2)
	ds_write_b64 v81, v[8:9] offset:32768
	ds_write_b64 v3, v[10:11] offset:32768
	;; [unrolled: 3-line block ×4, first 2 shown]
	v_lshl_add_u32 v3, v20, 1, v76
	s_cbranch_scc0 .LBB340_29
; %bb.2:
	v_lshlrev_b32_e32 v5, 1, v3
	v_add_lshl_u32 v4, v3, s15, 1
	s_lshl_b32 s22, s15, 7
	s_load_dwordx2 s[16:17], s[0:1], 0x20
	v_lshl_or_b32 v2, v75, 9, v2
	s_cbranch_execz .LBB340_30
	s_branch .LBB340_31
.LBB340_3:
	v_mov_b32_e32 v9, v77
	v_mov_b32_e32 v5, v80
.LBB340_4:
	s_lshl_b32 s26, s48, 6
	s_sub_i32 s27, s50, s26
	s_cmp_gt_i32 s27, 0
	s_cbranch_scc0 .LBB340_84
; %bb.5:
	s_add_i32 s26, s26, s30
	s_ashr_i32 s2, s26, 31
	s_cmpk_lg_i32 s15, 0x80
	s_cselect_b64 s[22:23], -1, 0
	s_and_b64 vcc, exec, s[22:23]
	s_cbranch_vccz .LBB340_7
; %bb.6:
	s_mul_i32 s1, s26, s14
	s_ashr_i32 s3, s51, 31
	s_mul_hi_i32 s0, s26, s14
	s_add_u32 s24, s1, s51
	s_addc_u32 s25, s0, s3
	s_cbranch_execz .LBB340_8
	s_branch .LBB340_9
.LBB340_7:
                                        ; implicit-def: $sgpr24_sgpr25
.LBB340_8:
	s_mul_i32 s1, s51, s12
	s_mul_hi_i32 s0, s51, s12
	s_add_u32 s24, s1, s26
	s_addc_u32 s25, s0, s2
.LBB340_9:
	s_waitcnt lgkmcnt(0)
	s_add_i32 s3, s48, s54
	s_add_u32 s0, s53, s26
	v_lshlrev_b32_e32 v8, 5, v67
	v_lshlrev_b32_e32 v22, 2, v64
	s_addc_u32 s1, s52, s2
	s_mov_b32 s2, 0x7060302
	v_or_b32_e32 v11, v8, v22
	v_xor_b32_e32 v4, v67, v22
	v_perm_b32 v3, v55, v54, s2
	v_perm_b32 v2, v51, v50, s2
	;; [unrolled: 1-line block ×4, first 2 shown]
	v_lshlrev_b32_e32 v11, 1, v11
	s_lshl_b64 s[20:21], s[0:1], 8
	v_xor_b32_e32 v10, v68, v22
	ds_write2st64_b64 v11, v[2:3], v[6:7] offset0:80 offset1:88
	v_lshlrev_b32_e32 v11, 1, v4
	v_lshlrev_b32_e32 v4, 8, v64
	s_add_u32 s0, s6, s20
	v_or_b32_e32 v12, v11, v4
	v_lshlrev_b32_e32 v10, 1, v10
	s_addc_u32 s1, s7, s21
	ds_write_b64 v12, v[2:3]
	v_or_b32_e32 v2, v10, v4
	s_mul_hi_i32 s6, s3, s13
	s_mul_i32 s3, s3, s13
	ds_write_b64 v2, v[6:7]
	v_perm_b32 v3, v5, v73, s2
	v_perm_b32 v2, v69, v71, s2
	;; [unrolled: 1-line block ×4, first 2 shown]
	v_or_b32_e32 v6, 16, v64
	s_add_u32 s2, s3, s47
	v_lshlrev_b32_e32 v19, 2, v6
	s_addc_u32 s3, s6, s49
	v_or_b32_e32 v7, v8, v19
	s_ashr_i32 s39, s38, 31
	s_lshl_b64 s[2:3], s[2:3], 15
	v_lshlrev_b32_e32 v7, 1, v7
	v_lshlrev_b32_e32 v6, 8, v6
	s_add_u32 s6, s18, s2
	ds_write2st64_b64 v7, v[2:3], v[4:5] offset0:80 offset1:88
	v_or_b32_e32 v7, v11, v6
	s_addc_u32 s7, s19, s3
	s_lshl_b64 s[2:3], s[38:39], 8
	ds_write_b64 v7, v[2:3]
	v_or_b32_e32 v2, v10, v6
	s_add_u32 s2, s6, s2
	ds_write_b64 v2, v[4:5]
	v_lshrrev_b32_e32 v2, 4, v0
	s_addc_u32 s3, s7, s3
	v_lshlrev_b32_e32 v3, 1, v64
	v_lshlrev_b32_e32 v10, 4, v64
	v_mov_b32_e32 v11, 0
	v_or_b32_e32 v4, 1, v3
	v_xor_b32_e32 v3, v2, v3
	v_lshl_add_u64 v[12:13], s[2:3], 0, v[10:11]
	v_lshlrev_b32_e32 v10, 8, v2
	v_xor_b32_e32 v6, v4, v2
	v_lshl_or_b32 v2, v3, 3, v10
	s_waitcnt lgkmcnt(0)
	s_barrier
	ds_read2st64_b64 v[2:5], v2 offset1:8
	v_lshl_or_b32 v6, v6, 3, v10
	ds_read2st64_b64 v[6:9], v6 offset1:8
	v_lshl_add_u64 v[14:15], v[12:13], 0, v[10:11]
	s_movk_i32 s2, 0x1000
	s_waitcnt lgkmcnt(1)
	v_mov_b32_e32 v10, v2
	v_add_co_u32_e32 v2, vcc, s2, v14
	s_cmp_lg_u32 s27, 64
	v_mov_b32_e32 v11, v3
	v_addc_co_u32_e32 v3, vcc, 0, v15, vcc
	s_cselect_b64 s[6:7], -1, 0
	v_lshl_or_b32 v23, v62, 3, v66
	s_waitcnt lgkmcnt(0)
	v_mov_b32_e32 v12, v6
	v_mov_b32_e32 v13, v7
	;; [unrolled: 1-line block ×4, first 2 shown]
	s_mov_b32 s16, 0
	v_or_b32_e32 v20, 32, v23
	v_and_b32_e32 v18, 56, v65
	s_and_b64 vcc, exec, s[6:7]
	global_store_dwordx4 v[14:15], v[10:13], off
	global_store_dwordx4 v[2:3], v[6:9], off
	s_cbranch_vccz .LBB340_15
; %bb.10:
	s_mov_b32 s17, s16
	s_mov_b32 s18, s16
	;; [unrolled: 1-line block ×3, first 2 shown]
	v_mov_b64_e32 v[6:7], s[16:17]
	v_mov_b64_e32 v[8:9], s[18:19]
	;; [unrolled: 1-line block ×3, first 2 shown]
	v_cmp_gt_i32_e32 vcc, s27, v23
	v_mov_b64_e32 v[4:5], v[8:9]
	s_and_saveexec_b64 s[2:3], vcc
	s_cbranch_execz .LBB340_12
; %bb.11:
	v_lshlrev_b32_e32 v2, 8, v23
	v_mov_b32_e32 v3, 0
	v_lshl_add_u64 v[4:5], s[0:1], 0, v[2:3]
	v_lshlrev_b32_e32 v2, 1, v18
	v_lshl_add_u64 v[10:11], v[4:5], 0, v[2:3]
	global_load_dwordx4 v[6:9], v[10:11], off
	global_load_dwordx4 v[2:5], v[10:11], off offset:128
.LBB340_12:
	s_or_b64 exec, exec, s[2:3]
	s_mov_b32 s17, s16
	s_mov_b32 s18, s16
	;; [unrolled: 1-line block ×3, first 2 shown]
	v_mov_b64_e32 v[14:15], s[16:17]
	v_mov_b64_e32 v[16:17], s[18:19]
	;; [unrolled: 1-line block ×3, first 2 shown]
	v_cmp_gt_i32_e32 vcc, s27, v20
	v_lshlrev_b32_e32 v21, 7, v20
	v_mov_b64_e32 v[12:13], v[16:17]
	s_and_saveexec_b64 s[2:3], vcc
	s_cbranch_execz .LBB340_14
; %bb.13:
	v_lshlrev_b32_e32 v10, 1, v21
	v_mov_b32_e32 v11, 0
	v_lshl_add_u64 v[12:13], s[0:1], 0, v[10:11]
	v_lshlrev_b32_e32 v10, 1, v18
	v_lshl_add_u64 v[24:25], v[12:13], 0, v[10:11]
	global_load_dwordx4 v[14:17], v[24:25], off
	global_load_dwordx4 v[10:13], v[24:25], off offset:128
.LBB340_14:
	s_or_b64 exec, exec, s[2:3]
	v_lshrrev_b32_e32 v24, 3, v18
	v_lshlrev_b32_e32 v25, 3, v23
	v_or_b32_e32 v24, v25, v24
	v_lshlrev_b32_e32 v24, 4, v24
	v_and_b32_e32 v25, 0x78, v25
	v_xor_b32_e32 v24, v24, v25
	s_branch .LBB340_17
.LBB340_15:
                                        ; implicit-def: $vgpr24
                                        ; implicit-def: $vgpr21
                                        ; implicit-def: $vgpr6_vgpr7_vgpr8_vgpr9
                                        ; implicit-def: $vgpr2_vgpr3_vgpr4_vgpr5
                                        ; implicit-def: $vgpr14_vgpr15_vgpr16_vgpr17
                                        ; implicit-def: $vgpr10_vgpr11_vgpr12_vgpr13
	s_cbranch_execz .LBB340_17
; %bb.16:
	s_waitcnt vmcnt(0)
	v_lshlrev_b32_e32 v2, 1, v18
	v_lshl_or_b32 v21, v23, 8, v2
	s_and_b32 s1, s1, 0xffff
	s_mov_b32 s3, 0x20000
	s_movk_i32 s2, 0x4000
	v_lshl_or_b32 v24, v20, 8, v2
	s_movk_i32 s12, 0x80
	buffer_load_dwordx4 v[6:9], v21, s[0:3], 0 offen
	buffer_load_dwordx4 v[2:5], v21, s[0:3], s12 offen
	;; [unrolled: 1-line block ×4, first 2 shown]
	v_lshrrev_b32_e32 v21, 3, v18
	v_lshlrev_b32_e32 v24, 3, v23
	v_or_b32_e32 v21, v24, v21
	v_lshlrev_b32_e32 v21, 4, v21
	v_and_b32_e32 v24, 0x78, v24
	v_xor_b32_e32 v24, v21, v24
	v_lshlrev_b32_e32 v21, 7, v20
.LBB340_17:
	s_lshl_b64 s[0:1], s[24:25], 8
	s_add_u32 s4, s4, s0
	s_movk_i32 s0, 0x1000
	v_and_or_b32 v20, v21, s0, v24
	s_waitcnt vmcnt(1)
	ds_write_b64 v24, v[6:7] offset:24576
	v_xor_b32_e32 v6, 8, v24
	ds_write_b64 v6, v[8:9] offset:24576
	s_waitcnt vmcnt(0)
	ds_write_b64 v24, v[2:3] offset:32768
	ds_write_b64 v6, v[4:5] offset:32768
	;; [unrolled: 1-line block ×3, first 2 shown]
	v_xor_b32_e32 v2, 8, v20
	ds_write_b64 v2, v[16:17] offset:24576
	ds_write_b64 v20, v[10:11] offset:32768
	;; [unrolled: 1-line block ×3, first 2 shown]
	v_or_b32_e32 v2, v1, v64
	v_lshlrev_b32_e32 v3, 11, v62
	v_lshlrev_b32_e32 v2, 3, v2
	v_and_b32_e32 v6, 0x1000, v3
	v_lshrrev_b32_e32 v3, 5, v45
	s_movk_i32 s3, 0xf8
	v_and_or_b32 v3, v2, s3, v3
	v_lshlrev_b32_e32 v7, 4, v3
	v_and_b32_e32 v8, 0x78, v2
	v_or_b32_e32 v10, 32, v7
	v_lshrrev_b32_e32 v3, 1, v45
	v_xor_b32_e32 v10, v10, v8
	v_xor_b32_e32 v2, v7, v8
	v_and_b32_e32 v9, 8, v3
	v_or_b32_e32 v10, v10, v6
	v_or_b32_e32 v2, v2, v6
	v_xor_b32_e32 v26, v10, v9
	v_or_b32_e32 v10, 64, v7
	v_xor_b32_e32 v25, v2, v9
	v_xor_b32_e32 v10, v10, v8
	s_waitcnt lgkmcnt(0)
	s_barrier
	v_or_b32_e32 v12, v10, v6
	ds_read_b64 v[10:11], v25 offset:24576
	v_lshl_or_b32 v20, v63, 7, v22
	v_lshlrev_b32_e32 v24, 1, v20
	v_add_u32_e32 v2, 0xa000, v24
	ds_read2_b64 v[2:5], v2 offset1:16
	v_or_b32_e32 v7, 0x60, v7
	v_xor_b32_e32 v7, v7, v8
	s_waitcnt lgkmcnt(0)
	v_mfma_f32_16x16x16_bf16 a[0:3], v[10:11], v[2:3], 0
	v_or_b32_e32 v2, 64, v20
	v_or_b32_e32 v6, v7, v6
	v_lshlrev_b32_e32 v29, 1, v2
	v_xor_b32_e32 v27, v12, v9
	v_xor_b32_e32 v28, v6, v9
	ds_read_b64 v[12:13], v26 offset:24576
	ds_read_b64 v[14:15], v27 offset:24576
	;; [unrolled: 1-line block ×3, first 2 shown]
	v_mfma_f32_16x16x16_bf16 a[4:7], v[10:11], v[4:5], 0
	ds_read2st64_b64 v[2:5], v29 offset0:82 offset1:84
	ds_read2st64_b64 v[6:9], v24 offset0:82 offset1:84
	s_addc_u32 s5, s5, s1
	s_add_i32 s1, s42, s33
	s_add_i32 s0, s31, -1
	s_add_i32 s35, s1, s43
	s_add_i32 s1, s45, s44
	;; [unrolled: 1-line block ×3, first 2 shown]
	s_ashr_i32 s1, s0, 31
	s_mul_i32 s2, s0, s29
	s_mul_hi_u32 s3, s0, s28
	s_add_i32 s2, s3, s2
	s_mul_i32 s1, s1, s28
	s_waitcnt lgkmcnt(1)
	v_mfma_f32_16x16x16_bf16 a[4:7], v[12:13], v[2:3], a[4:7]
	s_add_i32 s1, s2, s1
	s_lshl_b64 s[2:3], s[34:35], 2
	s_add_u32 s10, s10, s2
	s_waitcnt lgkmcnt(0)
	v_mfma_f32_16x16x16_bf16 a[0:3], v[12:13], v[6:7], a[0:3]
	s_addc_u32 s11, s11, s3
	s_lshl_b64 s[2:3], s[36:37], 2
	s_mul_i32 s0, s0, s28
	s_add_u32 s10, s10, s2
	ds_read_b64 v[2:3], v24 offset:44032
	v_mfma_f32_16x16x16_bf16 a[4:7], v[14:15], v[4:5], a[4:7]
	ds_read_b64 v[4:5], v29 offset:44032
	s_addc_u32 s11, s11, s3
	s_lshl_b64 s[0:1], s[0:1], 2
	v_mfma_f32_16x16x16_bf16 a[0:3], v[14:15], v[8:9], a[0:3]
	s_add_u32 s0, s10, s0
	s_addc_u32 s1, s11, s1
	s_load_dword s12, s[0:1], 0x0
	s_waitcnt lgkmcnt(0)
	v_mfma_f32_16x16x16_bf16 a[0:3], v[16:17], v[2:3], a[0:3]
	s_and_b64 vcc, exec, s[22:23]
	v_mfma_f32_16x16x16_bf16 a[4:7], v[16:17], v[4:5], a[4:7]
	s_cbranch_vccz .LBB340_28
; %bb.18:
	v_lshlrev_b32_e32 v20, 1, v23
	s_and_b64 vcc, exec, s[6:7]
	s_cbranch_vccz .LBB340_44
; %bb.19:
	v_cmp_gt_i32_e32 vcc, s27, v20
	v_mov_b32_e32 v6, 0
	v_mov_b32_e32 v2, 0
	;; [unrolled: 1-line block ×5, first 2 shown]
	s_and_saveexec_b64 s[0:1], vcc
	s_cbranch_execz .LBB340_21
; %bb.20:
	v_mad_i64_i32 v[2:3], s[2:3], s15, v20, 0
	v_lshl_add_u64 v[2:3], v[2:3], 1, s[4:5]
	v_lshlrev_b32_e32 v4, 1, v18
	v_mov_b32_e32 v5, 0
	v_lshl_add_u64 v[2:3], v[2:3], 0, v[4:5]
	global_load_dwordx4 v[2:5], v[2:3], off
.LBB340_21:
	s_or_b64 exec, exec, s[0:1]
	v_or_b32_e32 v21, 1, v20
	v_cmp_gt_i32_e64 s[0:1], s27, v21
	v_mov_b32_e32 v7, 0
	v_mov_b32_e32 v8, 0
	;; [unrolled: 1-line block ×3, first 2 shown]
	s_and_saveexec_b64 s[2:3], s[0:1]
	s_cbranch_execz .LBB340_23
; %bb.22:
	v_mad_i64_i32 v[6:7], s[16:17], s15, v21, 0
	v_lshl_add_u64 v[6:7], v[6:7], 1, s[4:5]
	v_lshlrev_b32_e32 v8, 1, v18
	v_mov_b32_e32 v9, 0
	v_lshl_add_u64 v[6:7], v[6:7], 0, v[8:9]
	global_load_dwordx4 v[6:9], v[6:7], off
.LBB340_23:
	s_or_b64 exec, exec, s[2:3]
	v_mov_b32_e32 v17, 0
	v_mov_b32_e32 v10, 0
	;; [unrolled: 1-line block ×5, first 2 shown]
	s_and_saveexec_b64 s[2:3], vcc
	s_cbranch_execz .LBB340_25
; %bb.24:
	v_mad_i64_i32 v[10:11], s[16:17], s15, v20, 0
	v_lshl_add_u64 v[10:11], v[10:11], 1, s[4:5]
	v_lshlrev_b32_e32 v12, 1, v18
	v_mov_b32_e32 v13, 0
	v_lshl_add_u64 v[10:11], v[10:11], 0, v[12:13]
	global_load_dwordx4 v[10:13], v[10:11], off offset:128
.LBB340_25:
	s_or_b64 exec, exec, s[2:3]
	v_mov_b32_e32 v16, 0
	v_mov_b32_e32 v15, 0
	v_mov_b32_e32 v14, 0
	s_and_saveexec_b64 s[2:3], s[0:1]
	s_cbranch_execz .LBB340_27
; %bb.26:
	v_mad_i64_i32 v[14:15], s[0:1], s15, v21, 0
	v_lshl_add_u64 v[14:15], v[14:15], 1, s[4:5]
	v_lshlrev_b32_e32 v16, 1, v18
	v_mov_b32_e32 v17, 0
	v_lshl_add_u64 v[14:15], v[14:15], 0, v[16:17]
	global_load_dwordx4 v[14:17], v[14:15], off offset:128
.LBB340_27:
	s_or_b64 exec, exec, s[2:3]
	s_branch .LBB340_46
.LBB340_28:
                                        ; implicit-def: $vgpr5
                                        ; implicit-def: $vgpr9
                                        ; implicit-def: $vgpr13
                                        ; implicit-def: $vgpr17
	v_lshrrev_b32_e32 v30, 2, v45
	s_branch .LBB340_47
.LBB340_29:
                                        ; implicit-def: $vgpr4
                                        ; implicit-def: $vgpr5
                                        ; implicit-def: $sgpr22
	s_load_dwordx2 s[16:17], s[0:1], 0x20
	v_lshl_or_b32 v2, v75, 9, v2
.LBB340_30:
	v_or_b32_e32 v4, 0x100, v2
	s_movk_i32 s22, 0x4000
	v_mov_b32_e32 v5, v2
.LBB340_31:
	s_mul_i32 s0, s30, s14
	s_ashr_i32 s56, s51, 31
	s_mul_hi_i32 s1, s30, s14
	s_add_u32 s0, s0, s51
	s_addc_u32 s1, s1, s56
	s_lshl_b64 s[0:1], s[0:1], 8
	s_add_u32 s20, s4, s0
	s_addc_u32 s0, s5, s1
	s_and_b32 s21, s0, 0xffff
	s_movk_i32 s57, 0x80
	buffer_load_dwordx4 v[6:9], v5, s[20:23], 0 offen
	buffer_load_dwordx4 v[10:13], v5, s[20:23], s57 offen
	;; [unrolled: 1-line block ×4, first 2 shown]
	v_and_b32_e32 v4, 6, v0
	v_lshlrev_b32_e32 v23, 6, v67
	v_or_b32_e32 v25, 16, v64
	v_xor_b32_e32 v26, v75, v4
	v_and_b32_e32 v5, 1, v0
	v_lshl_or_b32 v29, v64, 3, v23
	v_lshl_or_b32 v23, v25, 3, v23
	v_lshlrev_b32_e32 v26, 2, v26
	v_lshlrev_b32_e32 v22, 2, v64
	v_or_b32_e32 v85, 0xa000, v23
	v_or_b32_e32 v86, 0xb000, v23
	v_xor_b32_e32 v23, 0x440, v26
	v_cmp_eq_u32_e32 vcc, 0, v5
	s_add_i32 s0, s42, s33
	v_xor_b32_e32 v27, v67, v22
	v_xor_b32_e32 v28, v68, v22
	v_cndmask_b32_e32 v5, v23, v26, vcc
	s_add_i32 s1, s45, s44
	s_add_i32 s35, s0, s43
	s_mov_b32 s58, 0x1000504
	v_lshlrev_b32_e32 v24, 8, v64
	v_lshlrev_b32_e32 v25, 8, v25
	;; [unrolled: 1-line block ×4, first 2 shown]
	v_lshl_or_b32 v4, v4, 10, v5
	s_add_i32 s37, s1, s46
	s_lshl_b64 s[0:1], s[34:35], 2
	s_mov_b32 s59, 0x3020706
	v_or_b32_e32 v83, 0xa000, v29
	v_or_b32_e32 v84, 0xb000, v29
	;; [unrolled: 1-line block ×5, first 2 shown]
	v_xor_b32_e32 v5, 8, v4
	v_xor_b32_e32 v24, 24, v4
	;; [unrolled: 1-line block ×4, first 2 shown]
	s_add_u32 s20, s10, s0
	v_or_b32_e32 v89, v25, v27
	v_xor_b32_e32 v23, 16, v4
	v_xor_b32_e32 v25, 32, v4
	;; [unrolled: 1-line block ×3, first 2 shown]
	v_add_u32_e32 v5, 0x80, v5
	v_add_u32_e32 v24, 0x80, v24
	v_add_u32_e32 v26, 0x80, v26
	v_add_u32_e32 v28, 0x80, v28
	s_addc_u32 s21, s11, s1
	s_lshl_b64 s[0:1], s[36:37], 2
	s_add_u32 s40, s20, s0
	s_movk_i32 s0, 0xf8
	s_addc_u32 s41, s21, s1
	s_ashr_i32 s39, s38, 31
	s_lshl_b32 s26, s15, 7
	s_movk_i32 s20, 0x100
	v_mov_b32_e32 v57, 0
	v_lshlrev_b32_e32 v56, 4, v64
	v_cmp_gt_u32_e32 vcc, s20, v0
	v_ashrrev_i32_e32 v47, 31, v46
	s_mov_b32 s60, 0
	s_movk_i32 s35, 0x1000
	s_movk_i32 s22, 0x4000
	v_lshl_add_u64 v[58:59], v[46:47], 1, s[8:9]
	s_mov_b32 s37, 0x7060302
	v_mov_b32_e32 v113, 0x3fb8aa3b
	s_waitcnt vmcnt(1)
	v_perm_b32 v29, v6, v14, s58
	s_waitcnt vmcnt(0)
	v_perm_b32 v30, v10, v18, s58
	v_perm_b32 v6, v6, v14, s59
	;; [unrolled: 1-line block ×15, first 2 shown]
	ds_write2st64_b32 v4, v29, v30 offset0:32 offset1:64
	ds_write2st64_b32 v5, v6, v10 offset0:32 offset1:64
	;; [unrolled: 1-line block ×8, first 2 shown]
	v_or_b32_e32 v4, v1, v64
	v_lshlrev_b32_e32 v4, 3, v4
	v_lshrrev_b32_e32 v7, 5, v45
	v_and_or_b32 v7, v4, s0, v7
	v_lshlrev_b32_e32 v7, 4, v7
	v_lshlrev_b32_e32 v9, 11, v62
	v_and_b32_e32 v4, 0x78, v4
	v_or_b32_e32 v12, 32, v7
	v_and_b32_e32 v6, 0x1000, v9
	v_lshrrev_b32_e32 v10, 1, v45
	v_xor_b32_e32 v12, v12, v4
	v_xor_b32_e32 v8, v7, v4
	v_and_b32_e32 v10, 8, v10
	v_or_b32_e32 v12, v12, v6
	v_or_b32_e32 v8, v8, v6
	v_lshlrev_b32_e32 v11, 7, v63
	v_xor_b32_e32 v93, v12, v10
	v_or_b32_e32 v12, 64, v7
	v_or_b32_e32 v7, 0x60, v7
	v_xor_b32_e32 v91, v8, v10
	v_or_b32_e32 v8, v11, v22
	v_xor_b32_e32 v12, v12, v4
	v_xor_b32_e32 v4, v7, v4
	s_lshl_b64 s[0:1], s[38:39], 8
	v_lshlrev_b32_e32 v8, 1, v8
	v_or_b32_e32 v12, v12, v6
	v_or_b32_e32 v4, v4, v6
	s_add_u32 s0, s18, s0
	v_lshlrev_b32_e32 v6, 1, v64
	v_or_b32_e32 v92, 0xa000, v8
	v_or_b32_e32 v94, 0xa080, v8
	;; [unrolled: 1-line block ×4, first 2 shown]
	v_lshrrev_b32_e32 v8, 4, v0
	s_addc_u32 s1, s19, s1
	v_or_b32_e32 v7, 1, v6
	v_mov_b32_e32 v17, 0x4000
	v_mov_b32_e32 v18, 0x2000
	v_lshrrev_b32_e32 v19, 1, v0
	v_xor_b32_e32 v95, v12, v10
	v_xor_b32_e32 v96, v4, v10
	;; [unrolled: 1-line block ×4, first 2 shown]
	v_lshl_add_u64 v[6:7], s[0:1], 0, v[56:57]
	v_lshlrev_b32_e32 v56, 8, v8
	v_cndmask_b32_e32 v17, v17, v18, vcc
	v_lshlrev_b32_e32 v18, 3, v62
	v_and_b32_e32 v19, 24, v19
	v_lshl_or_b32 v99, v10, 3, v56
	v_and_b32_e32 v10, 8, v0
	v_xor_b32_e32 v20, v18, v19
	v_or_b32_e32 v21, 0x440, v20
	v_cmp_eq_u32_e32 vcc, 0, v10
	v_and_b32_e32 v8, 7, v0
	v_lshl_or_b32 v100, v14, 3, v56
	v_cndmask_b32_e32 v10, v21, v20, vcc
	v_lshlrev_b32_e32 v14, 3, v8
	v_lshlrev_b32_e32 v16, 2, v0
	v_or_b32_e32 v10, v10, v9
	v_xor_b32_e32 v20, v10, v14
	v_and_or_b32 v10, v16, 60, v11
	v_mov_b32_e32 v11, 0xb000
	v_lshl_or_b32 v101, v10, 1, v11
	v_or_b32_e32 v10, 32, v19
	v_xor_b32_e32 v10, v18, v10
	v_or_b32_e32 v11, 0x440, v10
	v_cndmask_b32_e32 v10, v11, v10, vcc
	v_or_b32_e32 v10, v10, v9
	v_xor_b32_e32 v11, v10, v14
	v_or_b32_e32 v10, 64, v19
	v_xor_b32_e32 v10, v18, v10
	v_xor_b32_e32 v22, 0x440, v10
	v_cndmask_b32_e32 v10, v22, v10, vcc
	v_or_b32_e32 v10, v10, v9
	v_xor_b32_e32 v22, v10, v14
	v_or_b32_e32 v10, 0x60, v19
	v_xor_b32_e32 v10, v18, v10
	v_xor_b32_e32 v18, 0x440, v10
	v_cndmask_b32_e32 v10, v18, v10, vcc
	v_lshrrev_b32_e32 v5, 2, v45
	v_or_b32_e32 v9, v10, v9
	v_and_b32_e32 v5, 12, v5
	v_xor_b32_e32 v9, v9, v14
	v_lshlrev_b32_e32 v4, 7, v67
	v_lshlrev_b32_e32 v12, 1, v3
	v_add_lshl_u32 v3, v3, s15, 1
	v_or_b32_e32 v13, 0x100, v2
	v_lshlrev_b32_e32 v15, 7, v8
	v_or_b32_e32 v8, v5, v1
	v_add_u32_e32 v21, v17, v20
	v_add_u32_e32 v16, v17, v11
	;; [unrolled: 1-line block ×4, first 2 shown]
	v_or3_b32 v10, v1, v5, 64
	v_add_u32_e32 v5, 0x4000, v20
	v_add_u32_e32 v11, 0x4000, v11
	;; [unrolled: 1-line block ×4, first 2 shown]
	v_cndmask_b32_e64 v102, v12, v2, s[2:3]
	v_cndmask_b32_e64 v103, v3, v13, s[2:3]
	v_lshl_add_u64 v[60:61], v[6:7], 0, v[56:57]
	v_lshlrev_b32_e32 v56, 1, v4
	v_lshlrev_b32_e32 v47, 2, v8
	v_add_u32_e32 v104, v21, v15
	v_add_u32_e32 v105, v16, v15
	;; [unrolled: 1-line block ×4, first 2 shown]
	v_lshlrev_b32_e32 v108, 2, v10
	v_add_u32_e32 v109, v5, v15
	v_add_u32_e32 v110, v11, v15
	;; [unrolled: 1-line block ×4, first 2 shown]
	s_waitcnt lgkmcnt(0)
	s_barrier
.LBB340_32:                             ; =>This Inner Loop Header: Depth=1
	s_add_i32 s39, s60, 1
	s_cmp_lt_i32 s39, s48
	s_mov_b64 s[24:25], 0
	s_cselect_b64 s[2:3], -1, 0
	s_cmp_ge_i32 s39, s48
	s_mov_b64 s[20:21], 0
	s_cbranch_scc1 .LBB340_34
; %bb.33:                               ;   in Loop: Header=BB340_32 Depth=1
	s_add_i32 s0, s55, 64
	s_ashr_i32 s1, s0, 31
	s_add_u32 s0, s53, s0
	s_addc_u32 s1, s52, s1
	s_lshl_b64 s[0:1], s[0:1], 8
	s_add_u32 s20, s6, s0
	s_addc_u32 s21, s7, s1
.LBB340_34:                             ;   in Loop: Header=BB340_32 Depth=1
	v_cndmask_b32_e64 v2, 0, 1, s[2:3]
	v_cmp_ne_u32_e64 s[0:1], 1, v2
	s_andn2_b64 vcc, exec, s[2:3]
	s_cbranch_vccnz .LBB340_36
; %bb.35:                               ;   in Loop: Header=BB340_32 Depth=1
	s_add_i32 s2, s55, 64
	s_mul_hi_i32 s3, s2, s14
	s_mul_i32 s2, s2, s14
	s_add_u32 s2, s2, s51
	s_addc_u32 s3, s3, s56
	s_lshl_b64 s[2:3], s[2:3], 8
	s_add_u32 s24, s4, s2
	s_addc_u32 s25, s5, s3
.LBB340_36:                             ;   in Loop: Header=BB340_32 Depth=1
	v_perm_b32 v3, v55, v54, s37
	v_perm_b32 v2, v51, v50, s37
	;; [unrolled: 1-line block ×4, first 2 shown]
	ds_write_b64 v83, v[2:3]
	ds_write_b64 v84, v[4:5]
	;; [unrolled: 1-line block ×4, first 2 shown]
	v_perm_b32 v3, v80, v73, s37
	v_perm_b32 v2, v69, v71, s37
	;; [unrolled: 1-line block ×4, first 2 shown]
	ds_write_b64 v85, v[2:3]
	ds_write_b64 v86, v[4:5]
	;; [unrolled: 1-line block ×4, first 2 shown]
	s_waitcnt lgkmcnt(0)
	s_barrier
	ds_read_b64 v[6:7], v91 offset:24576
	ds_read2_b64 v[2:5], v92 offset1:16
	ds_read_b64 v[10:11], v94 offset:3072
	ds_read_b64 v[12:13], v92 offset:3072
	;; [unrolled: 1-line block ×3, first 2 shown]
	s_waitcnt lgkmcnt(3)
	v_mfma_f32_16x16x16_bf16 a[0:3], v[6:7], v[2:3], 0
	s_add_i32 s61, s55, 63
	s_ashr_i32 s2, s61, 31
	s_mul_i32 s3, s61, s29
	v_mfma_f32_16x16x16_bf16 a[4:7], v[6:7], v[4:5], 0
	ds_read2st64_b64 v[2:5], v92 offset0:2 offset1:4
	s_mul_hi_u32 s27, s61, s28
	s_add_i32 s3, s27, s3
	s_waitcnt lgkmcnt(0)
	v_mfma_f32_16x16x16_bf16 a[0:3], v[14:15], v[2:3], a[0:3]
	ds_read2st64_b64 v[6:9], v94 offset0:2 offset1:4
	ds_read_b64 v[2:3], v95 offset:24576
	s_mul_i32 s2, s2, s28
	s_add_i32 s3, s3, s2
	s_waitcnt lgkmcnt(1)
	v_mfma_f32_16x16x16_bf16 a[4:7], v[14:15], v[6:7], a[4:7]
	ds_read_b64 v[6:7], v96 offset:24576
	s_mul_i32 s2, s61, s28
	s_lshl_b64 s[2:3], s[2:3], 2
	s_waitcnt lgkmcnt(1)
	v_mfma_f32_16x16x16_bf16 a[0:3], v[2:3], v[4:5], a[0:3]
	s_add_u32 s2, s40, s2
	s_addc_u32 s3, s41, s3
	s_and_b64 vcc, exec, s[0:1]
	v_mfma_f32_16x16x16_bf16 a[4:7], v[2:3], v[8:9], a[4:7]
	v_mov_b32_e32 v116, 0
	v_mov_b32_e32 v115, 0
	;; [unrolled: 1-line block ×3, first 2 shown]
	s_waitcnt lgkmcnt(0)
	v_mfma_f32_16x16x16_bf16 a[0:3], v[6:7], v[12:13], a[0:3]
	v_mov_b32_e32 v2, 0
	v_mov_b32_e32 v3, 0
	;; [unrolled: 1-line block ×3, first 2 shown]
	v_mfma_f32_16x16x16_bf16 a[4:7], v[6:7], v[10:11], a[4:7]
	v_mov_b32_e32 v5, 0
	v_mov_b32_e32 v6, 0
	;; [unrolled: 1-line block ×13, first 2 shown]
	s_cbranch_vccnz .LBB340_38
; %bb.37:                               ;   in Loop: Header=BB340_32 Depth=1
	s_and_b32 s21, s21, 0xffff
	buffer_load_dwordx4 v[14:17], v78, s[20:23], 0 offen
	buffer_load_dwordx4 v[10:13], v78, s[20:23], s57 offen
	;; [unrolled: 1-line block ×4, first 2 shown]
	v_mov_b32_e32 v115, v81
	v_mov_b32_e32 v114, v82
.LBB340_38:                             ;   in Loop: Header=BB340_32 Depth=1
	ds_read_b64 v[22:23], v91 offset:32768
	ds_read2_b64 v[18:21], v97 offset1:16
	ds_read_b64 v[26:27], v93 offset:32768
	ds_read_b64 v[28:29], v95 offset:32768
	;; [unrolled: 1-line block ×3, first 2 shown]
	v_add_u32_e32 v32, s55, v67
	s_waitcnt lgkmcnt(3)
	v_mfma_f32_16x16x16_bf16 a[0:3], v[22:23], v[18:19], a[0:3]
	v_mul_lo_u32 v33, v32, s29
	v_mov_b32_e32 v117, 0
	v_mfma_f32_16x16x16_bf16 a[4:7], v[22:23], v[20:21], a[4:7]
	ds_read2st64_b64 v[18:21], v97 offset0:2 offset1:4
	ds_read2st64_b64 v[22:25], v98 offset0:2 offset1:4
	s_waitcnt lgkmcnt(1)
	v_mfma_f32_16x16x16_bf16 a[0:3], v[26:27], v[18:19], a[0:3]
	v_ashrrev_i32_e32 v18, 31, v32
	v_mul_lo_u32 v34, v18, s28
	v_mad_u64_u32 v[18:19], s[20:21], v32, s28, 0
	v_mfma_f32_16x16x16_bf16 a[0:3], v[28:29], v[20:21], a[0:3]
	v_add_u32_e32 v20, 1, v32
	v_ashrrev_i32_e32 v21, 31, v20
	v_add3_u32 v19, v19, v33, v34
	s_waitcnt lgkmcnt(0)
	v_mfma_f32_16x16x16_bf16 a[4:7], v[26:27], v[22:23], a[4:7]
	v_mul_lo_u32 v22, v21, s28
	v_mul_lo_u32 v23, v20, s29
	v_mad_u64_u32 v[20:21], s[20:21], v20, s28, 0
	v_add3_u32 v21, v21, v23, v22
	v_add_u32_e32 v22, 2, v32
	v_ashrrev_i32_e32 v23, 31, v22
	v_mul_lo_u32 v26, v23, s28
	v_mul_lo_u32 v27, v22, s29
	v_mad_u64_u32 v[22:23], s[20:21], v22, s28, 0
	v_add3_u32 v23, v23, v27, v26
	v_add_u32_e32 v26, 3, v32
	v_ashrrev_i32_e32 v27, 31, v26
	v_mul_lo_u32 v32, v27, s28
	v_mul_lo_u32 v33, v26, s29
	v_mad_u64_u32 v[26:27], s[20:21], v26, s28, 0
	v_add3_u32 v27, v27, v33, v32
	s_ashr_i32 s21, s55, 31
	v_lshl_add_u64 v[18:19], v[18:19], 2, s[40:41]
	v_lshl_add_u64 v[26:27], v[26:27], 2, s[40:41]
	s_add_u32 s20, s53, s55
	v_lshl_add_u64 v[20:21], v[20:21], 2, s[40:41]
	v_lshl_add_u64 v[22:23], v[22:23], 2, s[40:41]
	global_load_dword v32, v[18:19], off
	global_load_dword v33, v[20:21], off
	;; [unrolled: 1-line block ×3, first 2 shown]
	s_nop 0
	global_load_dword v26, v[26:27], off
	s_addc_u32 s21, s52, s21
	s_lshl_b64 s[20:21], s[20:21], 8
	v_lshl_add_u64 v[18:19], v[58:59], 0, s[20:21]
	v_lshl_add_u64 v[18:19], v[18:19], 0, v[56:57]
	global_load_ushort v27, v[18:19], off offset:256
	global_load_ushort v35, v[18:19], off
	global_load_ushort v36, v[18:19], off offset:768
	global_load_ushort v37, v[18:19], off offset:512
	ds_read_b64 v[20:21], v97 offset:3072
	ds_read_b64 v[22:23], v98 offset:3072
	global_load_ushort v38, v[18:19], off offset:800
	global_load_ushort v39, v[18:19], off offset:544
	;; [unrolled: 1-line block ×4, first 2 shown]
	s_load_dword s2, s[2:3], 0x0
	v_mfma_f32_16x16x16_bf16 a[4:7], v[28:29], v[24:25], a[4:7]
	s_and_b64 vcc, exec, s[0:1]
	s_waitcnt vmcnt(11) lgkmcnt(0)
	v_sub_f32_e32 v24, s2, v32
	v_mfma_f32_16x16x16_bf16 a[0:3], v[30:31], v[20:21], a[0:3]
	s_waitcnt vmcnt(10)
	v_sub_f32_e32 v29, s2, v33
	v_mul_f32_e32 v28, 0x3fb8aa3b, v24
	v_mul_f32_e32 v29, 0x3fb8aa3b, v29
	v_mfma_f32_16x16x16_bf16 a[4:7], v[30:31], v[22:23], a[4:7]
	s_waitcnt vmcnt(9)
	v_sub_f32_e32 v30, s2, v34
	s_waitcnt vmcnt(8)
	v_sub_f32_e32 v31, s2, v26
	v_mul_f32_e32 v30, 0x3fb8aa3b, v30
	v_mul_f32_e32 v31, 0x3fb8aa3b, v31
	v_exp_f32_e32 v28, v28
	v_exp_f32_e32 v29, v29
	v_exp_f32_e32 v30, v30
	v_exp_f32_e32 v31, v31
	v_accvgpr_read_b32 v23, a1
	v_accvgpr_read_b32 v19, a3
	;; [unrolled: 1-line block ×4, first 2 shown]
	s_waitcnt vmcnt(7)
	v_lshlrev_b32_e32 v25, 16, v27
	s_waitcnt vmcnt(6)
	v_lshlrev_b32_e32 v24, 16, v35
	;; [unrolled: 2-line block ×4, first 2 shown]
	v_pk_add_f32 v[22:23], v[24:25], v[22:23] neg_lo:[0,1] neg_hi:[0,1]
	v_pk_add_f32 v[18:19], v[26:27], v[18:19] neg_lo:[0,1] neg_hi:[0,1]
	v_pk_mul_f32 v[22:23], v[28:29], v[22:23]
	v_pk_mul_f32 v[18:19], v[30:31], v[18:19]
	v_accvgpr_read_b32 v25, a5
	v_perm_b32 v19, v19, v18, s37
	v_perm_b32 v18, v23, v22, s37
	s_waitcnt vmcnt(1)
	v_lshlrev_b32_e32 v23, 16, v40
	s_waitcnt vmcnt(0)
	v_lshlrev_b32_e32 v22, 16, v41
	v_accvgpr_read_b32 v24, a4
	v_accvgpr_read_b32 v21, a7
	;; [unrolled: 1-line block ×3, first 2 shown]
	v_pk_add_f32 v[22:23], v[22:23], v[24:25] neg_lo:[0,1] neg_hi:[0,1]
	v_lshlrev_b32_e32 v25, 16, v38
	v_lshlrev_b32_e32 v24, 16, v39
	v_pk_add_f32 v[20:21], v[24:25], v[20:21] neg_lo:[0,1] neg_hi:[0,1]
	v_pk_mul_f32 v[22:23], v[28:29], v[22:23]
	v_pk_mul_f32 v[20:21], v[30:31], v[20:21]
	v_mov_b32_e32 v24, 0
	v_perm_b32 v21, v21, v20, s37
	v_perm_b32 v20, v23, v22, s37
	ds_write2_b64 v84, v[18:19], v[20:21] offset1:16
	v_mov_b32_e32 v18, 0
	v_mov_b32_e32 v19, 0
	;; [unrolled: 1-line block ×15, first 2 shown]
	s_cbranch_vccnz .LBB340_40
; %bb.39:                               ;   in Loop: Header=BB340_32 Depth=1
	s_and_b32 s25, s25, 0xffff
	s_mov_b32 s27, s23
	buffer_load_dwordx4 v[30:33], v102, s[24:27], 0 offen
	buffer_load_dwordx4 v[22:25], v102, s[24:27], s57 offen
	;; [unrolled: 1-line block ×4, first 2 shown]
	v_mov_b32_e32 v116, v76
	v_mov_b32_e32 v117, v75
.LBB340_40:                             ;   in Loop: Header=BB340_32 Depth=1
	s_waitcnt lgkmcnt(0)
	s_barrier
	ds_read_b64 v[38:39], v104
	ds_read_b64 v[122:123], v101
	;; [unrolled: 1-line block ×5, first 2 shown]
	ds_read_b64 v[136:137], v98 offset:3072
	ds_read2_b64 v[34:37], v97 offset0:16 offset1:128
	s_waitcnt lgkmcnt(5)
	v_mfma_f32_16x16x16_bf16 a[0:3], v[38:39], v[122:123], 0
	ds_read2st64_b64 v[40:43], v98 offset0:2 offset1:4
	s_add_i32 s3, s54, s60
	s_mul_hi_i32 s21, s3, s13
	s_waitcnt lgkmcnt(1)
	v_mfma_f32_16x16x16_bf16 a[4:7], v[38:39], v[34:35], 0
	ds_read_b64 v[38:39], v109
	s_mul_i32 s3, s3, s13
	s_add_u32 s20, s3, s47
	s_waitcnt lgkmcnt(1)
	v_mfma_f32_16x16x16_bf16 a[4:7], v[124:125], v[40:41], a[4:7]
	s_addc_u32 s21, s21, s49
	s_lshl_b64 s[20:21], s[20:21], 15
	s_mul_i32 s24, s61, s13
	s_mul_hi_i32 s3, s61, s13
	s_add_u32 s24, s24, s47
	v_mfma_f32_16x16x16_bf16 a[8:11], v[126:127], v[42:43], a[4:7]
	s_addc_u32 s25, s3, s49
	ds_read2st64_b64 v[118:121], v97 offset0:4 offset1:6
	s_lshl_b64 s[24:25], s[24:25], 9
	s_waitcnt lgkmcnt(1)
	v_mfma_f32_16x16x16_bf16 a[4:7], v[38:39], v[122:123], 0
	s_add_u32 s24, s16, s24
	s_addc_u32 s25, s17, s25
	v_mfma_f32_16x16x16_bf16 a[0:3], v[124:125], v[36:37], a[0:3]
	ds_read_b64 v[124:125], v110
	ds_read_b64 v[132:133], v111
	;; [unrolled: 1-line block ×3, first 2 shown]
	v_mfma_f32_16x16x16_bf16 a[12:15], v[38:39], v[34:35], 0
	s_waitcnt lgkmcnt(2)
	v_mfma_f32_16x16x16_bf16 a[4:7], v[124:125], v[36:37], a[4:7]
	global_load_dwordx4 v[34:37], v108, s[24:25]
	v_mfma_f32_16x16x16_bf16 a[12:15], v[124:125], v[40:41], a[12:15]
	global_load_dwordx4 v[38:41], v47, s[24:25]
	ds_read2st64_b64 v[122:125], v99 offset1:8
	s_waitcnt lgkmcnt(0)
	v_mov_b32_e32 v130, v122
	v_mfma_f32_16x16x16_bf16 a[0:3], v[126:127], v[118:119], a[0:3]
	ds_read2st64_b64 v[126:129], v100 offset1:8
	v_mov_b32_e32 v131, v123
	v_mfma_f32_16x16x16_bf16 a[16:19], v[132:133], v[118:119], a[4:7]
	v_lshl_add_u64 v[118:119], v[60:61], 0, s[20:21]
	v_mfma_f32_16x16x16_bf16 a[20:23], v[132:133], v[42:43], a[12:15]
	v_add_co_u32_e32 v42, vcc, s35, v118
	s_waitcnt lgkmcnt(0)
	v_mov_b32_e32 v132, v126
	v_mfma_f32_16x16x16_bf16 a[4:7], v[134:135], v[120:121], a[0:3]
	v_mov_b32_e32 v133, v127
	v_mov_b32_e32 v126, v124
	;; [unrolled: 1-line block ×3, first 2 shown]
	v_mfma_f32_16x16x16_bf16 a[8:11], v[134:135], v[136:137], a[8:11]
	v_addc_co_u32_e32 v43, vcc, 0, v119, vcc
	global_store_dwordx4 v[42:43], v[126:129], off
	v_mfma_f32_16x16x16_bf16 a[12:15], v[138:139], v[120:121], a[16:19]
	s_and_b64 vcc, exec, s[0:1]
	global_store_dwordx4 v[118:119], v[130:133], off
	s_waitcnt vmcnt(3)
	v_mov_b32_e32 v44, v37
	v_mfma_f32_16x16x16_bf16 a[0:3], v[138:139], v[136:137], a[20:23]
	v_mov_b32_e32 v43, v36
	v_mov_b32_e32 v42, v35
	s_cbranch_vccnz .LBB340_42
; %bb.41:                               ;   in Loop: Header=BB340_32 Depth=1
	v_lshrrev_b32_e32 v35, 3, v116
	v_and_b32_e32 v35, 6, v35
	v_xor_b32_e32 v36, v35, v117
	v_lshlrev_b32_e32 v36, 2, v36
	v_and_b32_e32 v37, 8, v116
	v_xor_b32_e32 v116, 0x440, v36
	v_cmp_eq_u32_e32 vcc, 0, v37
	v_perm_b32 v37, v22, v18, s58
	s_nop 0
	v_cndmask_b32_e32 v36, v116, v36, vcc
	v_lshl_or_b32 v35, v35, 10, v36
	v_perm_b32 v36, v30, v26, s58
	s_barrier
	ds_write2st64_b32 v35, v36, v37 offset0:32 offset1:64
	v_xor_b32_e32 v36, 8, v35
	v_perm_b32 v26, v30, v26, s59
	v_perm_b32 v18, v22, v18, s59
	v_add_u32_e32 v22, 0x80, v36
	ds_write2st64_b32 v22, v26, v18 offset0:32 offset1:64
	v_xor_b32_e32 v18, 16, v35
	v_perm_b32 v22, v31, v27, s58
	v_perm_b32 v26, v23, v19, s58
	ds_write2st64_b32 v18, v22, v26 offset0:33 offset1:65
	v_xor_b32_e32 v18, 24, v35
	v_perm_b32 v22, v31, v27, s59
	v_perm_b32 v19, v23, v19, s59
	v_add_u32_e32 v18, 0x80, v18
	ds_write2st64_b32 v18, v22, v19 offset0:33 offset1:65
	v_xor_b32_e32 v18, 32, v35
	v_perm_b32 v19, v32, v28, s58
	v_perm_b32 v22, v24, v20, s58
	;; [unrolled: 9-line block ×3, first 2 shown]
	ds_write2st64_b32 v18, v19, v20 offset0:35 offset1:67
	v_xor_b32_e32 v18, 56, v35
	v_perm_b32 v19, v33, v29, s59
	v_perm_b32 v20, v25, v21, s59
	v_add_u32_e32 v18, 0x80, v18
	ds_write2st64_b32 v18, v19, v20 offset0:35 offset1:67
	ds_write_b64 v115, v[14:15] offset:24576
	v_xor_b32_e32 v14, 8, v115
	ds_write_b64 v14, v[16:17] offset:24576
	ds_write_b64 v115, v[10:11] offset:32768
	;; [unrolled: 1-line block ×4, first 2 shown]
	v_xor_b32_e32 v6, 8, v114
	ds_write_b64 v6, v[8:9] offset:24576
	ds_write_b64 v114, v[2:3] offset:32768
	;; [unrolled: 1-line block ×3, first 2 shown]
.LBB340_42:                             ;   in Loop: Header=BB340_32 Depth=1
	v_mul_f32_e32 v6, s2, v113
	v_exp_f32_e32 v18, v6
	s_waitcnt vmcnt(2)
	v_mul_f32_e32 v6, 0x3fb8aa3b, v38
	v_exp_f32_e32 v20, v6
	v_mul_f32_e32 v6, 0x3fb8aa3b, v39
	v_exp_f32_e32 v21, v6
	;; [unrolled: 2-line block ×4, first 2 shown]
	v_accvgpr_read_b32 v13, a7
	v_accvgpr_read_b32 v11, a5
	;; [unrolled: 1-line block ×4, first 2 shown]
	v_pk_mul_f32 v[20:21], v[18:19], v[20:21] op_sel_hi:[0,1]
	v_accvgpr_read_b32 v4, a10
	v_pk_fma_f32 v[50:51], v[50:51], v[20:21], v[10:11]
	v_pk_mul_f32 v[10:11], v[18:19], v[22:23] op_sel_hi:[0,1]
	v_accvgpr_read_b32 v12, a6
	v_accvgpr_read_b32 v3, a9
	v_fma_f32 v73, v73, v10, v4
	v_mul_f32_e32 v4, 0x3fb8aa3b, v43
	v_pk_fma_f32 v[54:55], v[54:55], v[10:11], v[12:13]
	v_fma_f32 v71, v71, v20, v2
	v_fma_f32 v69, v69, v21, v3
	v_mul_f32_e32 v2, 0x3fb8aa3b, v34
	v_mul_f32_e32 v3, 0x3fb8aa3b, v42
	v_exp_f32_e32 v12, v4
	v_mul_f32_e32 v4, 0x3fb8aa3b, v44
	v_exp_f32_e32 v2, v2
	v_exp_f32_e32 v3, v3
	;; [unrolled: 1-line block ×3, first 2 shown]
	v_accvgpr_read_b32 v5, a11
	v_accvgpr_read_b32 v17, a15
	;; [unrolled: 1-line block ×9, first 2 shown]
	v_fmac_f32_e32 v5, v80, v11
	v_pk_mul_f32 v[2:3], v[18:19], v[2:3] op_sel_hi:[0,1]
	v_pk_mul_f32 v[10:11], v[18:19], v[12:13] op_sel_hi:[0,1]
	s_add_i32 s55, s55, 64
	v_pk_fma_f32 v[48:49], v[48:49], v[2:3], v[14:15]
	v_pk_fma_f32 v[52:53], v[52:53], v[10:11], v[16:17]
	v_fma_f32 v72, v72, v2, v6
	v_fma_f32 v70, v70, v3, v7
	;; [unrolled: 1-line block ×3, first 2 shown]
	s_cmp_eq_u32 s48, s39
	v_fmac_f32_e32 v9, v77, v11
	s_cbranch_scc1 .LBB340_4
; %bb.43:                               ;   in Loop: Header=BB340_32 Depth=1
	s_mov_b32 s60, s39
	v_mov_b32_e32 v80, v5
	v_mov_b32_e32 v77, v9
	s_branch .LBB340_32
.LBB340_44:
                                        ; implicit-def: $vgpr5
                                        ; implicit-def: $vgpr9
                                        ; implicit-def: $vgpr13
                                        ; implicit-def: $vgpr17
	s_cbranch_execz .LBB340_46
; %bb.45:
	s_waitcnt vmcnt(0)
	v_mad_u64_u32 v[2:3], s[0:1], v20, s15, v[18:19]
	v_lshlrev_b32_e32 v20, 1, v2
	s_lshl_b32 s2, s15, 7
	s_and_b32 s1, s5, 0xffff
	s_mov_b32 s3, 0x20000
	s_mov_b32 s0, s4
	v_add_lshl_u32 v21, v2, s15, 1
	s_movk_i32 s13, 0x80
	buffer_load_dwordx4 v[2:5], v20, s[0:3], 0 offen
	buffer_load_dwordx4 v[10:13], v20, s[0:3], s13 offen
	;; [unrolled: 1-line block ×4, first 2 shown]
.LBB340_46:
	v_lshrrev_b32_e32 v30, 2, v45
	s_cbranch_execnz .LBB340_59
.LBB340_47:
	s_and_b64 vcc, exec, s[6:7]
	s_cbranch_vccz .LBB340_57
; %bb.48:
	s_waitcnt vmcnt(0)
	v_lshlrev_b32_e32 v7, 1, v23
	v_cmp_gt_i32_e32 vcc, s27, v7
	v_mov_b32_e32 v6, 0
	v_lshlrev_b32_e32 v14, 9, v23
	v_mov_b32_e32 v2, 0
	v_mov_b32_e32 v3, 0
	;; [unrolled: 1-line block ×4, first 2 shown]
	s_and_saveexec_b64 s[0:1], vcc
	s_cbranch_execz .LBB340_50
; %bb.49:
	v_mov_b32_e32 v15, 0
	v_lshl_add_u64 v[2:3], s[4:5], 0, v[14:15]
	v_lshlrev_b32_e32 v4, 1, v18
	v_mov_b32_e32 v5, v15
	v_lshl_add_u64 v[2:3], v[2:3], 0, v[4:5]
	global_load_dwordx4 v[2:5], v[2:3], off
.LBB340_50:
	s_or_b64 exec, exec, s[0:1]
	v_or_b32_e32 v7, 1, v7
	v_cmp_gt_i32_e64 s[0:1], s27, v7
	v_lshlrev_b32_e32 v20, 8, v7
	v_mov_b32_e32 v7, 0
	v_mov_b32_e32 v8, 0
	;; [unrolled: 1-line block ×3, first 2 shown]
	s_and_saveexec_b64 s[2:3], s[0:1]
	s_cbranch_execz .LBB340_52
; %bb.51:
	v_mov_b32_e32 v21, 0
	v_lshl_add_u64 v[6:7], s[4:5], 0, v[20:21]
	v_lshlrev_b32_e32 v8, 1, v18
	v_mov_b32_e32 v9, v21
	v_lshl_add_u64 v[6:7], v[6:7], 0, v[8:9]
	global_load_dwordx4 v[6:9], v[6:7], off
.LBB340_52:
	s_or_b64 exec, exec, s[2:3]
	v_mov_b32_e32 v17, 0
	v_mov_b32_e32 v10, 0
	;; [unrolled: 1-line block ×5, first 2 shown]
	s_and_saveexec_b64 s[2:3], vcc
	s_cbranch_execz .LBB340_54
; %bb.53:
	v_mov_b32_e32 v15, 0
	v_lshl_add_u64 v[10:11], s[4:5], 0, v[14:15]
	v_lshlrev_b32_e32 v14, 1, v18
	v_lshl_add_u64 v[10:11], v[10:11], 0, v[14:15]
	global_load_dwordx4 v[10:13], v[10:11], off offset:128
.LBB340_54:
	s_or_b64 exec, exec, s[2:3]
	v_mov_b32_e32 v16, 0
	v_mov_b32_e32 v15, 0
	;; [unrolled: 1-line block ×3, first 2 shown]
	s_and_saveexec_b64 s[2:3], s[0:1]
	s_cbranch_execz .LBB340_56
; %bb.55:
	v_mov_b32_e32 v21, 0
	v_lshl_add_u64 v[14:15], s[4:5], 0, v[20:21]
	v_lshlrev_b32_e32 v20, 1, v18
	v_lshl_add_u64 v[14:15], v[14:15], 0, v[20:21]
	global_load_dwordx4 v[14:17], v[14:15], off offset:128
.LBB340_56:
	s_or_b64 exec, exec, s[2:3]
	s_branch .LBB340_59
.LBB340_57:
                                        ; implicit-def: $vgpr5
                                        ; implicit-def: $vgpr9
                                        ; implicit-def: $vgpr13
                                        ; implicit-def: $vgpr17
	s_cbranch_execz .LBB340_59
; %bb.58:
	s_waitcnt vmcnt(0)
	v_lshlrev_b32_e32 v2, 1, v18
	v_lshl_or_b32 v18, v23, 9, v2
	s_and_b32 s5, s5, 0xffff
	s_mov_b32 s7, 0x20000
	s_movk_i32 s6, 0x4000
	s_movk_i32 s0, 0x80
	buffer_load_dwordx4 v[2:5], v18, s[4:7], 0 offen
	buffer_load_dwordx4 v[6:9], v18, s[4:7], 0 offen offset:256
	buffer_load_dwordx4 v[10:13], v18, s[4:7], s0 offen
	buffer_load_dwordx4 v[14:17], v18, s[4:7], s0 offen offset:256
.LBB340_59:
	ds_read_b64 v[20:21], v25 offset:32768
	v_add_u32_e32 v18, 0xb000, v24
	ds_read2_b64 v[32:35], v18 offset1:16
	ds_read_b64 v[40:41], v26 offset:32768
	ds_read_b64 v[26:27], v27 offset:32768
	;; [unrolled: 1-line block ×3, first 2 shown]
	v_and_b32_e32 v18, 6, v0
	v_xor_b32_e32 v23, v23, v18
	v_lshlrev_b32_e32 v23, 2, v23
	v_and_b32_e32 v0, 1, v0
	v_xor_b32_e32 v28, 0x440, v23
	v_cmp_eq_u32_e32 vcc, 0, v0
	s_waitcnt lgkmcnt(3)
	v_mfma_f32_16x16x16_bf16 a[0:3], v[20:21], v[32:33], a[0:3]
	s_mov_b32 s0, 0x1000504
	v_cndmask_b32_e32 v0, v28, v23, vcc
	v_lshl_or_b32 v0, v18, 10, v0
	v_mfma_f32_16x16x16_bf16 a[4:7], v[20:21], v[34:35], a[4:7]
	ds_read2st64_b64 v[32:35], v24 offset0:90 offset1:92
	ds_read2st64_b64 v[36:39], v29 offset0:90 offset1:92
	ds_read_b64 v[20:21], v24 offset:48128
	ds_read_b64 v[24:25], v29 offset:48128
	s_waitcnt vmcnt(0)
	v_perm_b32 v18, v2, v6, s0
	s_waitcnt lgkmcnt(3)
	v_mfma_f32_16x16x16_bf16 a[0:3], v[40:41], v[32:33], a[0:3]
	s_mov_b32 s1, 0x3020706
	v_perm_b32 v2, v2, v6, s1
	v_perm_b32 v6, v10, v14, s1
	s_waitcnt lgkmcnt(2)
	v_mfma_f32_16x16x16_bf16 a[4:7], v[40:41], v[36:37], a[4:7]
	v_mfma_f32_16x16x16_bf16 a[0:3], v[26:27], v[34:35], a[0:3]
	;; [unrolled: 1-line block ×3, first 2 shown]
	s_waitcnt lgkmcnt(1)
	v_mfma_f32_16x16x16_bf16 a[4:7], v[42:43], v[20:21], a[0:3]
	v_perm_b32 v20, v10, v14, s0
	ds_write2st64_b32 v0, v18, v20 offset0:32 offset1:64
	v_xor_b32_e32 v18, 8, v0
	v_add_u32_e32 v10, 0x80, v18
	ds_write2st64_b32 v10, v2, v6 offset0:32 offset1:64
	v_xor_b32_e32 v2, 16, v0
	v_perm_b32 v6, v3, v7, s0
	v_perm_b32 v10, v11, v15, s0
	ds_write2st64_b32 v2, v6, v10 offset0:33 offset1:65
	v_xor_b32_e32 v2, 24, v0
	v_perm_b32 v3, v3, v7, s1
	v_perm_b32 v6, v11, v15, s1
	v_add_u32_e32 v2, 0x80, v2
	ds_write2st64_b32 v2, v3, v6 offset0:33 offset1:65
	v_xor_b32_e32 v2, 32, v0
	v_perm_b32 v3, v4, v8, s0
	v_perm_b32 v6, v12, v16, s0
	ds_write2st64_b32 v2, v3, v6 offset0:34 offset1:66
	v_xor_b32_e32 v2, 40, v0
	s_waitcnt lgkmcnt(5)
	v_mfma_f32_16x16x16_bf16 a[0:3], v[42:43], v[24:25], a[8:11]
	v_perm_b32 v3, v4, v8, s1
	v_perm_b32 v4, v12, v16, s1
	v_add_u32_e32 v2, 0x80, v2
	ds_write2st64_b32 v2, v3, v4 offset0:34 offset1:66
	v_xor_b32_e32 v2, 48, v0
	v_perm_b32 v3, v5, v9, s0
	v_perm_b32 v4, v13, v17, s0
	ds_write2st64_b32 v2, v3, v4 offset0:35 offset1:67
	v_xor_b32_e32 v0, 56, v0
	v_perm_b32 v3, v13, v17, s1
	v_and_or_b32 v17, v30, 12, v1
	v_perm_b32 v2, v5, v9, s1
	v_add_u32_e32 v0, 0x80, v0
	v_cmp_gt_i32_e32 vcc, s27, v17
	v_mov_b32_e32 v14, 0
	v_mov_b32_e32 v16, 0
	ds_write2st64_b32 v0, v2, v3 offset0:35 offset1:67
	s_and_saveexec_b64 s[0:1], vcc
	s_cbranch_execz .LBB340_61
; %bb.60:
	v_add_u32_e32 v0, s26, v17
	v_ashrrev_i32_e32 v1, 31, v0
	v_mul_lo_u32 v2, v1, s28
	v_mul_lo_u32 v3, v0, s29
	v_mad_u64_u32 v[0:1], s[2:3], v0, s28, 0
	v_add3_u32 v1, v1, v3, v2
	v_lshl_add_u64 v[0:1], v[0:1], 2, s[10:11]
	global_load_dword v0, v[0:1], off
	s_waitcnt vmcnt(0)
	v_sub_f32_e32 v0, s12, v0
	v_mul_f32_e32 v0, 0x3fb8aa3b, v0
	v_exp_f32_e32 v16, v0
.LBB340_61:
	s_or_b64 exec, exec, s[0:1]
	v_or_b32_e32 v8, 1, v17
	v_cmp_gt_i32_e64 s[0:1], s27, v8
	s_and_saveexec_b64 s[2:3], s[0:1]
	s_cbranch_execz .LBB340_63
; %bb.62:
	v_add_u32_e32 v0, s26, v8
	v_ashrrev_i32_e32 v1, 31, v0
	v_mul_lo_u32 v2, v1, s28
	v_mul_lo_u32 v3, v0, s29
	v_mad_u64_u32 v[0:1], s[4:5], v0, s28, 0
	v_add3_u32 v1, v1, v3, v2
	v_lshl_add_u64 v[0:1], v[0:1], 2, s[10:11]
	global_load_dword v0, v[0:1], off
	s_waitcnt vmcnt(0)
	v_sub_f32_e32 v0, s12, v0
	v_mul_f32_e32 v0, 0x3fb8aa3b, v0
	v_exp_f32_e32 v14, v0
.LBB340_63:
	s_or_b64 exec, exec, s[2:3]
	v_or_b32_e32 v10, 2, v17
	v_cmp_gt_i32_e64 s[2:3], s27, v10
	v_mov_b32_e32 v15, 0
	v_mov_b32_e32 v18, 0
	s_and_saveexec_b64 s[4:5], s[2:3]
	s_cbranch_execz .LBB340_65
; %bb.64:
	v_add_u32_e32 v0, s26, v10
	v_ashrrev_i32_e32 v1, 31, v0
	v_mul_lo_u32 v2, v1, s28
	v_mul_lo_u32 v3, v0, s29
	v_mad_u64_u32 v[0:1], s[6:7], v0, s28, 0
	v_add3_u32 v1, v1, v3, v2
	v_lshl_add_u64 v[0:1], v[0:1], 2, s[10:11]
	global_load_dword v0, v[0:1], off
	s_waitcnt vmcnt(0)
	v_sub_f32_e32 v0, s12, v0
	v_mul_f32_e32 v0, 0x3fb8aa3b, v0
	v_exp_f32_e32 v18, v0
.LBB340_65:
	s_or_b64 exec, exec, s[4:5]
	v_or_b32_e32 v12, 3, v17
	v_cmp_gt_i32_e64 s[4:5], s27, v12
	s_and_saveexec_b64 s[6:7], s[4:5]
	s_cbranch_execz .LBB340_67
; %bb.66:
	v_add_u32_e32 v0, s26, v12
	v_ashrrev_i32_e32 v1, 31, v0
	v_mul_lo_u32 v2, v1, s28
	v_mul_lo_u32 v3, v0, s29
	v_mad_u64_u32 v[0:1], s[14:15], v0, s28, 0
	v_add3_u32 v1, v1, v3, v2
	v_lshl_add_u64 v[0:1], v[0:1], 2, s[10:11]
	global_load_dword v0, v[0:1], off
	s_waitcnt vmcnt(0)
	v_sub_f32_e32 v0, s12, v0
	v_mul_f32_e32 v0, 0x3fb8aa3b, v0
	v_exp_f32_e32 v15, v0
.LBB340_67:
	s_or_b64 exec, exec, s[6:7]
	s_add_u32 s6, s8, s20
	v_accvgpr_read_b32 v0, a4
	s_addc_u32 s7, s9, s21
	v_ashrrev_i32_e32 v47, 31, v46
	v_accvgpr_read_b32 v1, a5
	v_accvgpr_read_b32 v2, a6
	;; [unrolled: 1-line block ×3, first 2 shown]
	v_lshl_add_u64 v[4:5], v[46:47], 1, s[6:7]
	v_mov_b32_e32 v9, 0
	v_lshlrev_b32_e32 v6, 8, v17
	v_mov_b32_e32 v7, 0
	s_and_saveexec_b64 s[6:7], vcc
	s_cbranch_execz .LBB340_69
; %bb.68:
	v_mov_b32_e32 v7, 0
	v_lshl_add_u64 v[20:21], v[4:5], 0, v[6:7]
	global_load_ushort v7, v[20:21], off
	s_waitcnt vmcnt(0)
	v_lshlrev_b32_e32 v7, 16, v7
	v_sub_f32_e32 v0, v7, v0
	v_mul_f32_e32 v0, v16, v0
	v_lshrrev_b32_e32 v7, 16, v0
.LBB340_69:
	s_or_b64 exec, exec, s[6:7]
	v_lshlrev_b32_e32 v8, 8, v8
	s_and_saveexec_b64 s[6:7], s[0:1]
	s_cbranch_execz .LBB340_71
; %bb.70:
	v_mov_b32_e32 v9, 0
	v_lshl_add_u64 v[20:21], v[4:5], 0, v[8:9]
	global_load_ushort v0, v[20:21], off
	s_waitcnt vmcnt(0)
	v_lshlrev_b32_e32 v0, 16, v0
	v_sub_f32_e32 v0, v0, v1
	v_mul_f32_e32 v0, v14, v0
	v_lshrrev_b32_e32 v9, 16, v0
.LBB340_71:
	s_or_b64 exec, exec, s[6:7]
	v_mov_b32_e32 v13, 0
	v_lshlrev_b32_e32 v10, 8, v10
	v_mov_b32_e32 v11, 0
	s_and_saveexec_b64 s[6:7], s[2:3]
	s_cbranch_execz .LBB340_73
; %bb.72:
	v_mov_b32_e32 v11, 0
	v_lshl_add_u64 v[0:1], v[4:5], 0, v[10:11]
	global_load_ushort v0, v[0:1], off
	s_waitcnt vmcnt(0)
	v_lshlrev_b32_e32 v0, 16, v0
	v_sub_f32_e32 v0, v0, v2
	v_mul_f32_e32 v0, v18, v0
	v_lshrrev_b32_e32 v11, 16, v0
.LBB340_73:
	s_or_b64 exec, exec, s[6:7]
	v_lshlrev_b32_e32 v12, 8, v12
	s_and_saveexec_b64 s[6:7], s[4:5]
	s_cbranch_execz .LBB340_75
; %bb.74:
	v_mov_b32_e32 v13, 0
	v_lshl_add_u64 v[0:1], v[4:5], 0, v[12:13]
	global_load_ushort v0, v[0:1], off
	s_waitcnt vmcnt(0)
	v_lshlrev_b32_e32 v0, 16, v0
	v_sub_f32_e32 v0, v0, v3
	v_mul_f32_e32 v0, v15, v0
	v_lshrrev_b32_e32 v13, 16, v0
.LBB340_75:
	s_or_b64 exec, exec, s[6:7]
	v_lshlrev_b32_e32 v17, 5, v17
	s_mov_b32 s6, 0x5040100
	v_perm_b32 v20, v9, v7, s6
	v_or_b32_e32 v7, v17, v22
	v_accvgpr_read_b32 v0, a0
	v_perm_b32 v21, v13, v11, s6
	v_lshlrev_b32_e32 v7, 1, v7
	v_accvgpr_read_b32 v1, a1
	v_accvgpr_read_b32 v2, a2
	;; [unrolled: 1-line block ×3, first 2 shown]
	ds_write_b64 v7, v[20:21] offset:45056
	v_mov_b32_e32 v9, 0
	v_mov_b32_e32 v7, 0
	s_and_saveexec_b64 s[6:7], vcc
	s_cbranch_execz .LBB340_77
; %bb.76:
	v_mov_b32_e32 v7, 0
	v_lshl_add_u64 v[6:7], v[4:5], 0, v[6:7]
	global_load_ushort v6, v[6:7], off offset:32
	s_waitcnt vmcnt(0)
	v_lshlrev_b32_e32 v6, 16, v6
	v_sub_f32_e32 v0, v6, v0
	v_mul_f32_e32 v0, v16, v0
	v_lshrrev_b32_e32 v7, 16, v0
.LBB340_77:
	s_or_b64 exec, exec, s[6:7]
	s_and_saveexec_b64 s[6:7], s[0:1]
	s_cbranch_execz .LBB340_79
; %bb.78:
	v_mov_b32_e32 v9, 0
	v_lshl_add_u64 v[8:9], v[4:5], 0, v[8:9]
	global_load_ushort v0, v[8:9], off offset:32
	s_waitcnt vmcnt(0)
	v_lshlrev_b32_e32 v0, 16, v0
	v_sub_f32_e32 v0, v0, v1
	v_mul_f32_e32 v0, v14, v0
	v_lshrrev_b32_e32 v9, 16, v0
.LBB340_79:
	s_or_b64 exec, exec, s[6:7]
	v_mov_b32_e32 v0, 0
	v_mov_b32_e32 v1, 0
	s_and_saveexec_b64 s[0:1], s[2:3]
	s_cbranch_execz .LBB340_81
; %bb.80:
	v_mov_b32_e32 v11, 0
	v_lshl_add_u64 v[10:11], v[4:5], 0, v[10:11]
	global_load_ushort v1, v[10:11], off offset:32
	s_waitcnt vmcnt(0)
	v_lshlrev_b32_e32 v1, 16, v1
	v_sub_f32_e32 v1, v1, v2
	v_mul_f32_e32 v1, v18, v1
	v_lshrrev_b32_e32 v1, 16, v1
.LBB340_81:
	s_or_b64 exec, exec, s[0:1]
	s_and_saveexec_b64 s[0:1], s[4:5]
	s_cbranch_execz .LBB340_83
; %bb.82:
	v_mov_b32_e32 v13, 0
	v_lshl_add_u64 v[4:5], v[4:5], 0, v[12:13]
	global_load_ushort v0, v[4:5], off offset:32
	s_waitcnt vmcnt(0)
	v_lshlrev_b32_e32 v0, 16, v0
	v_sub_f32_e32 v0, v0, v3
	v_mul_f32_e32 v0, v15, v0
	v_lshrrev_b32_e32 v0, 16, v0
.LBB340_83:
	s_or_b64 exec, exec, s[0:1]
	s_mov_b32 s0, 0x5040100
	v_or_b32_e32 v2, v17, v19
	v_perm_b32 v1, v0, v1, s0
	v_perm_b32 v0, v9, v7, s0
	v_lshlrev_b32_e32 v2, 1, v2
	ds_write_b64 v2, v[0:1] offset:45056
	s_waitcnt lgkmcnt(0)
	s_barrier
.LBB340_84:
	s_endpgm
	.section	.rodata,"a",@progbits
	.p2align	6, 0x0
	.amdhsa_kernel _ZN12_GLOBAL__N_139chunk_gated_delta_rule_fwd_h_hip_kernelILi32ELb1ELb0ELb0ELb1ELb0ELb1ELb0ELb1EEEvPK12hip_bfloat16S3_S3_PKfS5_PKvPS1_S8_PvPKiSB_iiiiilll
		.amdhsa_group_segment_fixed_size 49152
		.amdhsa_private_segment_fixed_size 0
		.amdhsa_kernarg_size 136
		.amdhsa_user_sgpr_count 2
		.amdhsa_user_sgpr_dispatch_ptr 0
		.amdhsa_user_sgpr_queue_ptr 0
		.amdhsa_user_sgpr_kernarg_segment_ptr 1
		.amdhsa_user_sgpr_dispatch_id 0
		.amdhsa_user_sgpr_kernarg_preload_length 0
		.amdhsa_user_sgpr_kernarg_preload_offset 0
		.amdhsa_user_sgpr_private_segment_size 0
		.amdhsa_uses_dynamic_stack 0
		.amdhsa_enable_private_segment 0
		.amdhsa_system_sgpr_workgroup_id_x 1
		.amdhsa_system_sgpr_workgroup_id_y 1
		.amdhsa_system_sgpr_workgroup_id_z 0
		.amdhsa_system_sgpr_workgroup_info 0
		.amdhsa_system_vgpr_workitem_id 0
		.amdhsa_next_free_vgpr 164
		.amdhsa_next_free_sgpr 62
		.amdhsa_accum_offset 140
		.amdhsa_reserve_vcc 1
		.amdhsa_float_round_mode_32 0
		.amdhsa_float_round_mode_16_64 0
		.amdhsa_float_denorm_mode_32 3
		.amdhsa_float_denorm_mode_16_64 3
		.amdhsa_dx10_clamp 1
		.amdhsa_ieee_mode 1
		.amdhsa_fp16_overflow 0
		.amdhsa_tg_split 0
		.amdhsa_exception_fp_ieee_invalid_op 0
		.amdhsa_exception_fp_denorm_src 0
		.amdhsa_exception_fp_ieee_div_zero 0
		.amdhsa_exception_fp_ieee_overflow 0
		.amdhsa_exception_fp_ieee_underflow 0
		.amdhsa_exception_fp_ieee_inexact 0
		.amdhsa_exception_int_div_zero 0
	.end_amdhsa_kernel
	.section	.text._ZN12_GLOBAL__N_139chunk_gated_delta_rule_fwd_h_hip_kernelILi32ELb1ELb0ELb0ELb1ELb0ELb1ELb0ELb1EEEvPK12hip_bfloat16S3_S3_PKfS5_PKvPS1_S8_PvPKiSB_iiiiilll,"axG",@progbits,_ZN12_GLOBAL__N_139chunk_gated_delta_rule_fwd_h_hip_kernelILi32ELb1ELb0ELb0ELb1ELb0ELb1ELb0ELb1EEEvPK12hip_bfloat16S3_S3_PKfS5_PKvPS1_S8_PvPKiSB_iiiiilll,comdat
.Lfunc_end340:
	.size	_ZN12_GLOBAL__N_139chunk_gated_delta_rule_fwd_h_hip_kernelILi32ELb1ELb0ELb0ELb1ELb0ELb1ELb0ELb1EEEvPK12hip_bfloat16S3_S3_PKfS5_PKvPS1_S8_PvPKiSB_iiiiilll, .Lfunc_end340-_ZN12_GLOBAL__N_139chunk_gated_delta_rule_fwd_h_hip_kernelILi32ELb1ELb0ELb0ELb1ELb0ELb1ELb0ELb1EEEvPK12hip_bfloat16S3_S3_PKfS5_PKvPS1_S8_PvPKiSB_iiiiilll
                                        ; -- End function
	.section	.AMDGPU.csdata,"",@progbits
; Kernel info:
; codeLenInByte = 8688
; NumSgprs: 68
; NumVgprs: 140
; NumAgprs: 24
; TotalNumVgprs: 164
; ScratchSize: 0
; MemoryBound: 0
; FloatMode: 240
; IeeeMode: 1
; LDSByteSize: 49152 bytes/workgroup (compile time only)
; SGPRBlocks: 8
; VGPRBlocks: 20
; NumSGPRsForWavesPerEU: 68
; NumVGPRsForWavesPerEU: 164
; AccumOffset: 140
; Occupancy: 1
; WaveLimiterHint : 1
; COMPUTE_PGM_RSRC2:SCRATCH_EN: 0
; COMPUTE_PGM_RSRC2:USER_SGPR: 2
; COMPUTE_PGM_RSRC2:TRAP_HANDLER: 0
; COMPUTE_PGM_RSRC2:TGID_X_EN: 1
; COMPUTE_PGM_RSRC2:TGID_Y_EN: 1
; COMPUTE_PGM_RSRC2:TGID_Z_EN: 0
; COMPUTE_PGM_RSRC2:TIDIG_COMP_CNT: 0
; COMPUTE_PGM_RSRC3_GFX90A:ACCUM_OFFSET: 34
; COMPUTE_PGM_RSRC3_GFX90A:TG_SPLIT: 0
	.section	.text._ZN12_GLOBAL__N_139chunk_gated_delta_rule_fwd_h_hip_kernelILi32ELb0ELb1ELb1ELb1ELb0ELb1ELb0ELb1EEEvPK12hip_bfloat16S3_S3_PKfS5_PKvPS1_S8_PvPKiSB_iiiiilll,"axG",@progbits,_ZN12_GLOBAL__N_139chunk_gated_delta_rule_fwd_h_hip_kernelILi32ELb0ELb1ELb1ELb1ELb0ELb1ELb0ELb1EEEvPK12hip_bfloat16S3_S3_PKfS5_PKvPS1_S8_PvPKiSB_iiiiilll,comdat
	.globl	_ZN12_GLOBAL__N_139chunk_gated_delta_rule_fwd_h_hip_kernelILi32ELb0ELb1ELb1ELb1ELb0ELb1ELb0ELb1EEEvPK12hip_bfloat16S3_S3_PKfS5_PKvPS1_S8_PvPKiSB_iiiiilll ; -- Begin function _ZN12_GLOBAL__N_139chunk_gated_delta_rule_fwd_h_hip_kernelILi32ELb0ELb1ELb1ELb1ELb0ELb1ELb0ELb1EEEvPK12hip_bfloat16S3_S3_PKfS5_PKvPS1_S8_PvPKiSB_iiiiilll
	.p2align	8
	.type	_ZN12_GLOBAL__N_139chunk_gated_delta_rule_fwd_h_hip_kernelILi32ELb0ELb1ELb1ELb1ELb0ELb1ELb0ELb1EEEvPK12hip_bfloat16S3_S3_PKfS5_PKvPS1_S8_PvPKiSB_iiiiilll,@function
_ZN12_GLOBAL__N_139chunk_gated_delta_rule_fwd_h_hip_kernelILi32ELb0ELb1ELb1ELb1ELb0ELb1ELb0ELb1EEEvPK12hip_bfloat16S3_S3_PKfS5_PKvPS1_S8_PvPKiSB_iiiiilll: ; @_ZN12_GLOBAL__N_139chunk_gated_delta_rule_fwd_h_hip_kernelILi32ELb0ELb1ELb1ELb1ELb0ELb1ELb0ELb1EEEvPK12hip_bfloat16S3_S3_PKfS5_PKvPS1_S8_PvPKiSB_iiiiilll
; %bb.0:
	s_load_dwordx4 s[20:23], s[0:1], 0x5c
	s_load_dwordx2 s[40:41], s[0:1], 0x20
	s_abs_i32 s27, s3
	s_ashr_i32 s26, s3, 31
	s_load_dwordx2 s[24:25], s[0:1], 0x50
	s_load_dwordx8 s[4:11], s[0:1], 0x30
	s_load_dwordx8 s[12:19], s[0:1], 0x0
	s_waitcnt lgkmcnt(0)
	s_abs_i32 s30, s21
	v_cvt_f32_u32_e32 v1, s30
	s_sub_i32 s28, 0, s30
	s_ashr_i32 s33, s21, 31
	s_xor_b32 s26, s26, s33
	v_rcp_iflag_f32_e32 v1, v1
	v_lshrrev_b32_e32 v53, 6, v0
	v_bfe_u32 v64, v0, 4, 2
	v_lshlrev_b32_e32 v62, 4, v53
	v_mul_f32_e32 v1, 0x4f7ffffe, v1
	v_cvt_u32_f32_e32 v1, v1
	v_lshlrev_b32_e32 v18, 2, v64
	v_and_b32_e32 v63, 63, v0
	v_mov_b32_e32 v17, 0
	v_readfirstlane_b32 s29, v1
	s_mul_i32 s28, s28, s29
	s_mul_hi_u32 s28, s29, s28
	s_add_i32 s29, s29, s28
	s_mul_hi_u32 s28, s27, s29
	s_mul_i32 s29, s28, s30
	s_sub_i32 s27, s27, s29
	s_add_i32 s31, s28, 1
	s_sub_i32 s29, s27, s30
	s_cmp_ge_u32 s27, s30
	s_cselect_b32 s28, s31, s28
	s_cselect_b32 s27, s29, s27
	s_add_i32 s29, s28, 1
	s_cmp_ge_u32 s27, s30
	s_cselect_b32 s27, s29, s28
	s_xor_b32 s27, s27, s26
	s_sub_i32 s34, s27, s26
	s_mul_i32 s26, s34, s21
	s_ashr_i32 s35, s34, 31
	s_sub_i32 s48, s3, s26
	s_lshl_b64 s[26:27], s[34:35], 2
	s_add_u32 s10, s10, s26
	s_addc_u32 s11, s11, s27
	s_add_u32 s28, s24, s26
	s_addc_u32 s29, s25, s27
	s_abs_i32 s3, s22
	v_cvt_f32_u32_e32 v1, s3
	s_load_dwordx2 s[42:43], s[10:11], 0x0
	s_sub_i32 s11, 0, s3
	s_mov_b32 s49, s21
	v_rcp_iflag_f32_e32 v1, v1
	v_and_b32_e32 v65, 15, v0
	s_waitcnt lgkmcnt(0)
	s_sub_i32 s58, s43, s42
	s_ashr_i32 s10, s58, 31
	v_mul_f32_e32 v1, 0x4f7ffffe, v1
	v_cvt_u32_f32_e32 v1, v1
	s_lshr_b32 s10, s10, 26
	s_add_i32 s10, s58, s10
	s_ashr_i32 s53, s10, 6
	v_readfirstlane_b32 s24, v1
	s_mul_i32 s11, s11, s24
	s_mul_hi_u32 s11, s24, s11
	s_add_i32 s24, s24, s11
	s_mul_hi_u32 s11, s30, s24
	s_mul_i32 s24, s11, s3
	s_ashr_i32 s10, s22, 31
	s_sub_i32 s24, s30, s24
	s_xor_b32 s10, s33, s10
	s_add_i32 s25, s11, 1
	s_sub_i32 s26, s24, s3
	s_cmp_ge_u32 s24, s3
	s_cselect_b32 s11, s25, s11
	s_cselect_b32 s24, s26, s24
	s_add_i32 s25, s11, 1
	s_cmp_ge_u32 s24, s3
	s_cselect_b32 s3, s25, s11
	s_xor_b32 s3, s3, s10
	s_sub_i32 s3, s3, s10
	s_abs_i32 s30, s3
	v_cvt_f32_u32_e32 v1, s30
	s_load_dwordx2 s[10:11], s[0:1], 0x80
	s_load_dwordx4 s[24:27], s[0:1], 0x70
	s_load_dword s54, s[28:29], 0x0
	s_xor_b32 s0, s48, s3
	v_rcp_iflag_f32_e32 v1, v1
	s_sub_i32 s3, 0, s30
	s_abs_i32 s1, s48
	s_ashr_i32 s0, s0, 31
	v_mul_f32_e32 v1, 0x4f7ffffe, v1
	v_cvt_u32_f32_e32 v1, v1
	s_mul_hi_i32 s55, s48, s20
	s_mul_i32 s56, s48, s20
	v_lshrrev_b32_e32 v67, 3, v63
	v_readfirstlane_b32 s28, v1
	s_mul_i32 s3, s3, s28
	s_mul_hi_u32 s3, s28, s3
	s_add_i32 s28, s28, s3
	s_mul_hi_u32 s3, s1, s28
	s_mul_i32 s28, s3, s30
	s_sub_i32 s1, s1, s28
	s_add_i32 s28, s3, 1
	s_sub_i32 s29, s1, s30
	s_cmp_ge_u32 s1, s30
	s_cselect_b32 s3, s28, s3
	s_cselect_b32 s1, s29, s1
	s_add_i32 s28, s3, 1
	s_cmp_ge_u32 s1, s30
	s_cselect_b32 s1, s28, s3
	s_xor_b32 s1, s1, s0
	s_sub_i32 s57, s1, s0
	v_or_b32_e32 v1, v18, v62
	s_lshl_b32 s2, s2, 5
	v_or_b32_e32 v68, 64, v1
	s_cmp_lt_i32 s58, 64
	v_lshlrev_b32_e32 v66, 3, v0
	s_waitcnt lgkmcnt(0)
	s_mul_i32 s50, s34, s25
	s_mul_hi_u32 s51, s34, s24
	s_mul_i32 s52, s35, s24
	s_mul_i32 s24, s34, s24
	v_mov_b32_e32 v16, v17
	v_mov_b32_e32 v15, v17
	;; [unrolled: 1-line block ×15, first 2 shown]
	s_cbranch_scc1 .LBB341_19
; %bb.1:
	s_ashr_i32 s60, s48, 31
	s_ashr_i32 s1, s42, 31
	s_add_u32 s0, s56, s42
	s_addc_u32 s1, s55, s1
	s_lshl_b64 s[0:1], s[0:1], 8
	v_and_b32_e32 v70, 56, v66
	s_add_u32 s28, s14, s0
	v_lshl_or_b32 v69, v53, 3, v67
	v_lshlrev_b32_e32 v2, 1, v70
	s_addc_u32 s0, s15, s1
	v_lshl_or_b32 v71, v69, 8, v2
	s_and_b32 s29, s0, 0xffff
	s_mov_b32 s31, 0x20000
	s_movk_i32 s30, 0x4000
	s_movk_i32 s0, 0x80
	v_or_b32_e32 v72, 0x2000, v71
	buffer_load_dwordx4 v[4:7], v71, s[28:31], 0 offen
	buffer_load_dwordx4 v[8:11], v71, s[28:31], s0 offen
	;; [unrolled: 1-line block ×4, first 2 shown]
	v_lshlrev_b32_e32 v3, 3, v69
	v_and_or_b32 v17, v0, 7, v3
	v_and_b32_e32 v3, 0x78, v3
	v_lshlrev_b32_e32 v17, 4, v17
	v_xor_b32_e32 v73, v17, v3
	v_mul_lo_u32 v16, v69, s23
	v_or_b32_e32 v74, 0x1000, v73
	v_xor_b32_e32 v3, 8, v73
	s_cmpk_eq_i32 s23, 0x80
	s_mov_b32 s59, s42
	v_xor_b32_e32 v17, 8, v74
	s_cselect_b64 s[0:1], -1, 0
	s_cmpk_lg_i32 s23, 0x80
	s_waitcnt vmcnt(3)
	ds_write_b64 v73, v[4:5] offset:24576
	ds_write_b64 v3, v[6:7] offset:24576
	s_waitcnt vmcnt(2)
	ds_write_b64 v73, v[8:9] offset:32768
	ds_write_b64 v3, v[10:11] offset:32768
	;; [unrolled: 3-line block ×4, first 2 shown]
	v_lshl_add_u32 v3, v16, 1, v70
	s_cbranch_scc0 .LBB341_3
; %bb.2:
	v_lshlrev_b32_e32 v5, 1, v3
	v_add_lshl_u32 v4, v3, s23, 1
	s_lshl_b32 s30, s23, 7
	v_lshl_or_b32 v2, v69, 9, v2
	s_cbranch_execz .LBB341_4
	s_branch .LBB341_5
.LBB341_3:
                                        ; implicit-def: $vgpr4
                                        ; implicit-def: $vgpr5
                                        ; implicit-def: $sgpr30
	v_lshl_or_b32 v2, v69, 9, v2
.LBB341_4:
	v_or_b32_e32 v4, 0x100, v2
	s_movk_i32 s30, 0x4000
	v_mov_b32_e32 v5, v2
.LBB341_5:
	s_mul_i32 s25, s42, s22
	s_ashr_i32 s61, s57, 31
	s_mul_hi_i32 s3, s42, s22
	s_add_u32 s28, s25, s57
	s_addc_u32 s29, s3, s61
	s_lshl_b64 s[28:29], s[28:29], 8
	s_add_u32 s28, s12, s28
	s_addc_u32 s3, s13, s29
	s_and_b32 s29, s3, 0xffff
	s_movk_i32 s62, 0x80
	buffer_load_dwordx4 v[6:9], v5, s[28:31], 0 offen
	buffer_load_dwordx4 v[10:13], v5, s[28:31], s62 offen
	buffer_load_dwordx4 v[14:17], v4, s[28:31], 0 offen
	buffer_load_dwordx4 v[20:23], v4, s[28:31], s62 offen
	v_and_b32_e32 v4, 6, v0
	v_lshlrev_b32_e32 v24, 6, v1
	v_or_b32_e32 v26, 16, v65
	v_xor_b32_e32 v27, v69, v4
	v_and_b32_e32 v5, 1, v0
	v_lshl_or_b32 v30, v65, 3, v24
	v_lshl_or_b32 v24, v26, 3, v24
	v_lshlrev_b32_e32 v27, 2, v27
	v_lshlrev_b32_e32 v19, 2, v65
	s_mul_i32 s3, s48, s27
	s_mul_hi_u32 s25, s48, s26
	v_or_b32_e32 v77, 0xa000, v24
	v_or_b32_e32 v78, 0xb000, v24
	v_xor_b32_e32 v24, 0x440, v27
	v_cmp_eq_u32_e32 vcc, 0, v5
	s_add_i32 s29, s51, s50
	s_mul_i32 s28, s60, s26
	v_xor_b32_e32 v28, v1, v19
	v_xor_b32_e32 v29, v68, v19
	v_cndmask_b32_e32 v5, v24, v27, vcc
	s_add_i32 s3, s25, s3
	s_add_i32 s25, s29, s52
	s_mov_b32 s63, 0x1000504
	v_lshlrev_b32_e32 v25, 8, v65
	v_lshlrev_b32_e32 v26, 8, v26
	;; [unrolled: 1-line block ×4, first 2 shown]
	v_lshl_or_b32 v4, v4, 10, v5
	s_add_i32 s29, s3, s28
	s_lshl_b64 s[36:37], s[24:25], 2
	s_mov_b32 s64, 0x3020706
	v_or_b32_e32 v75, 0xa000, v30
	v_or_b32_e32 v76, 0xb000, v30
	;; [unrolled: 1-line block ×5, first 2 shown]
	v_xor_b32_e32 v5, 8, v4
	v_xor_b32_e32 v25, 24, v4
	;; [unrolled: 1-line block ×4, first 2 shown]
	s_mul_i32 s28, s48, s26
	s_add_u32 s3, s18, s36
	v_or_b32_e32 v81, v26, v28
	v_xor_b32_e32 v24, 16, v4
	v_xor_b32_e32 v26, 32, v4
	;; [unrolled: 1-line block ×3, first 2 shown]
	v_add_u32_e32 v5, 0x80, v5
	v_add_u32_e32 v25, 0x80, v25
	;; [unrolled: 1-line block ×4, first 2 shown]
	s_addc_u32 s25, s19, s37
	s_lshl_b64 s[28:29], s[28:29], 2
	s_add_u32 s44, s3, s28
	s_movk_i32 s3, 0xf8
	s_addc_u32 s45, s25, s29
	s_lshl_b32 s38, s23, 7
	s_movk_i32 s36, 0x100
	v_mov_b32_e32 v55, 0
	v_lshlrev_b32_e32 v54, 4, v65
	v_cmp_gt_u32_e32 vcc, s36, v0
	s_mov_b32 s65, 0
	s_movk_i32 s25, 0x1000
	s_movk_i32 s30, 0x4000
	v_add_u32_e32 v96, v62, v18
	v_mov_b32_e32 v107, 0x3fb8aa3b
	v_mov_b32_e32 v108, v55
	;; [unrolled: 1-line block ×9, first 2 shown]
	s_waitcnt vmcnt(1)
	v_perm_b32 v30, v6, v14, s63
	s_waitcnt vmcnt(0)
	v_perm_b32 v31, v10, v20, s63
	v_perm_b32 v6, v6, v14, s64
	;; [unrolled: 1-line block ×15, first 2 shown]
	ds_write2st64_b32 v4, v30, v31 offset0:32 offset1:64
	ds_write2st64_b32 v5, v6, v10 offset0:32 offset1:64
	;; [unrolled: 1-line block ×8, first 2 shown]
	v_or_b32_e32 v4, v62, v65
	v_lshlrev_b32_e32 v4, 3, v4
	v_lshrrev_b32_e32 v6, 5, v63
	v_and_or_b32 v6, v4, s3, v6
	v_lshlrev_b32_e32 v6, 4, v6
	v_lshrrev_b32_e32 v5, 2, v63
	v_lshlrev_b32_e32 v11, 11, v53
	v_and_b32_e32 v4, 0x78, v4
	v_or_b32_e32 v10, 32, v6
	v_and_b32_e32 v7, 12, v5
	v_and_b32_e32 v5, 0x1000, v11
	v_xor_b32_e32 v8, v6, v4
	v_lshrrev_b32_e32 v9, 1, v63
	v_xor_b32_e32 v10, v10, v4
	v_or_b32_e32 v8, v8, v5
	v_and_b32_e32 v9, 8, v9
	v_lshlrev_b32_e32 v12, 7, v64
	v_or_b32_e32 v10, v10, v5
	v_xor_b32_e32 v83, v8, v9
	v_or_b32_e32 v8, v12, v19
	v_xor_b32_e32 v85, v10, v9
	v_or_b32_e32 v10, 64, v6
	v_or_b32_e32 v6, 0x60, v6
	s_ashr_i32 s3, s2, 31
	v_lshlrev_b32_e32 v8, 1, v8
	v_xor_b32_e32 v10, v10, v4
	v_xor_b32_e32 v4, v6, v4
	s_lshl_b64 s[28:29], s[2:3], 8
	v_or_b32_e32 v84, 0xa000, v8
	v_or_b32_e32 v86, 0xa080, v8
	v_or_b32_e32 v10, v10, v5
	v_or_b32_e32 v4, v4, v5
	v_or_b32_e32 v89, 0xb000, v8
	v_or_b32_e32 v90, 0xb080, v8
	s_add_u32 s28, s4, s28
	v_lshlrev_b32_e32 v8, 1, v65
	v_lshlrev_b32_e32 v19, 2, v0
	v_lshrrev_b32_e32 v22, 1, v0
	v_xor_b32_e32 v87, v10, v9
	v_xor_b32_e32 v88, v4, v9
	v_lshrrev_b32_e32 v10, 4, v0
	s_addc_u32 s29, s5, s29
	v_or_b32_e32 v9, 1, v8
	v_mov_b32_e32 v20, 0x4000
	v_mov_b32_e32 v21, 0x2000
	v_and_b32_e32 v22, 24, v22
	v_and_or_b32 v12, v19, 60, v12
	v_mov_b32_e32 v19, 0xb000
	v_xor_b32_e32 v15, v10, v8
	v_xor_b32_e32 v16, v9, v10
	v_lshl_add_u64 v[8:9], s[28:29], 0, v[54:55]
	v_lshlrev_b32_e32 v54, 8, v10
	v_cndmask_b32_e32 v20, v20, v21, vcc
	v_lshlrev_b32_e32 v21, 3, v53
	v_lshl_or_b32 v93, v12, 1, v19
	v_or_b32_e32 v12, 32, v22
	v_lshl_or_b32 v91, v15, 3, v54
	v_and_b32_e32 v15, 8, v0
	v_xor_b32_e32 v12, v21, v12
	v_cmp_eq_u32_e32 vcc, 0, v15
	v_or_b32_e32 v19, 0x440, v12
	v_and_b32_e32 v10, 7, v0
	v_cndmask_b32_e32 v12, v19, v12, vcc
	v_lshl_or_b32 v92, v16, 3, v54
	v_lshlrev_b32_e32 v16, 3, v10
	v_or_b32_e32 v12, v12, v11
	v_xor_b32_e32 v19, v12, v16
	v_or_b32_e32 v12, 64, v22
	v_xor_b32_e32 v12, v21, v12
	v_xor_b32_e32 v25, 0x440, v12
	v_cndmask_b32_e32 v12, v25, v12, vcc
	v_or_b32_e32 v12, v12, v11
	v_xor_b32_e32 v25, v12, v16
	v_or_b32_e32 v12, 0x60, v22
	v_xor_b32_e32 v23, v21, v22
	v_xor_b32_e32 v12, v21, v12
	v_or_b32_e32 v24, 0x440, v23
	v_xor_b32_e32 v21, 0x440, v12
	v_cndmask_b32_e32 v15, v24, v23, vcc
	v_cndmask_b32_e32 v12, v21, v12, vcc
	v_or_b32_e32 v4, s2, v65
	v_or_b32_e32 v15, v15, v11
	;; [unrolled: 1-line block ×3, first 2 shown]
	v_ashrrev_i32_e32 v5, 31, v4
	v_lshlrev_b32_e32 v13, 1, v3
	v_add_lshl_u32 v3, v3, s23, 1
	v_or_b32_e32 v14, 0x100, v2
	v_xor_b32_e32 v15, v15, v16
	v_xor_b32_e32 v11, v11, v16
	v_lshlrev_b32_e32 v6, 7, v1
	v_lshlrev_b32_e32 v17, 7, v10
	v_or_b32_e32 v10, v7, v62
	v_add_u32_e32 v23, v20, v15
	v_add_u32_e32 v24, v20, v19
	v_add_u32_e32 v26, v20, v25
	v_add_u32_e32 v16, v20, v11
	v_or3_b32 v12, v62, v7, 64
	v_add_u32_e32 v7, 0x4000, v15
	v_add_u32_e32 v15, 0x4000, v19
	;; [unrolled: 1-line block ×4, first 2 shown]
	v_cndmask_b32_e64 v94, v13, v2, s[0:1]
	v_cndmask_b32_e64 v95, v3, v14, s[0:1]
	v_lshlrev_b64 v[2:3], 1, v[4:5]
	v_lshl_add_u64 v[56:57], s[16:17], 0, v[2:3]
	v_lshl_add_u64 v[58:59], s[6:7], 0, v[2:3]
	;; [unrolled: 1-line block ×3, first 2 shown]
	s_mov_b32 s3, 0x7060302
	v_lshlrev_b32_e32 v54, 1, v6
	v_lshlrev_b32_e32 v97, 2, v10
	v_add_u32_e32 v98, v23, v17
	v_add_u32_e32 v99, v24, v17
	;; [unrolled: 1-line block ×4, first 2 shown]
	v_lshlrev_b32_e32 v102, 2, v12
	v_add_u32_e32 v103, v7, v17
	v_add_u32_e32 v104, v15, v17
	;; [unrolled: 1-line block ×4, first 2 shown]
	v_mov_b32_e32 v2, v55
	v_mov_b32_e32 v3, v55
	;; [unrolled: 1-line block ×8, first 2 shown]
	s_waitcnt lgkmcnt(0)
	s_barrier
.LBB341_6:                              ; =>This Inner Loop Header: Depth=1
	s_add_i32 s66, s65, 1
	s_cmp_lt_i32 s66, s53
	s_mov_b64 s[36:37], 0
	s_cselect_b64 s[46:47], -1, 0
	s_cmp_ge_i32 s66, s53
	s_mov_b64 s[28:29], 0
	s_cbranch_scc1 .LBB341_8
; %bb.7:                                ;   in Loop: Header=BB341_6 Depth=1
	s_add_i32 s0, s59, 64
	s_ashr_i32 s1, s0, 31
	s_add_u32 s0, s56, s0
	s_addc_u32 s1, s55, s1
	s_lshl_b64 s[0:1], s[0:1], 8
	s_add_u32 s28, s14, s0
	s_addc_u32 s29, s15, s1
.LBB341_8:                              ;   in Loop: Header=BB341_6 Depth=1
	v_cndmask_b32_e64 v10, 0, 1, s[46:47]
	v_cmp_ne_u32_e64 s[0:1], 1, v10
	s_andn2_b64 vcc, exec, s[46:47]
	s_cbranch_vccnz .LBB341_10
; %bb.9:                                ;   in Loop: Header=BB341_6 Depth=1
	s_add_i32 s36, s59, 64
	s_mul_hi_i32 s37, s36, s22
	s_mul_i32 s36, s36, s22
	s_add_u32 s36, s36, s57
	s_addc_u32 s37, s37, s61
	s_lshl_b64 s[36:37], s[36:37], 8
	s_add_u32 s36, s12, s36
	s_addc_u32 s37, s13, s37
.LBB341_10:                             ;   in Loop: Header=BB341_6 Depth=1
	v_perm_b32 v11, v5, v4, s3
	v_perm_b32 v10, v3, v2, s3
	;; [unrolled: 1-line block ×4, first 2 shown]
	ds_write_b64 v75, v[10:11]
	ds_write_b64 v76, v[12:13]
	;; [unrolled: 1-line block ×4, first 2 shown]
	v_perm_b32 v11, v115, v110, s3
	v_perm_b32 v10, v109, v108, s3
	v_perm_b32 v13, v114, v113, s3
	v_perm_b32 v12, v112, v111, s3
	ds_write_b64 v77, v[10:11]
	ds_write_b64 v78, v[12:13]
	;; [unrolled: 1-line block ×4, first 2 shown]
	s_waitcnt lgkmcnt(0)
	s_barrier
	ds_read_b64 v[14:15], v83 offset:24576
	ds_read2_b64 v[10:13], v84 offset1:16
	ds_read_b64 v[18:19], v86 offset:3072
	ds_read_b64 v[20:21], v84 offset:3072
	;; [unrolled: 1-line block ×3, first 2 shown]
	s_waitcnt lgkmcnt(3)
	v_mfma_f32_16x16x16_bf16 a[0:3], v[14:15], v[10:11], 0
	s_add_i32 s67, s59, 63
	s_ashr_i32 s39, s67, 31
	s_mul_i32 s46, s67, s11
	v_mfma_f32_16x16x16_bf16 a[4:7], v[14:15], v[12:13], 0
	ds_read2st64_b64 v[10:13], v84 offset0:2 offset1:4
	s_mul_hi_u32 s47, s67, s10
	s_add_i32 s46, s47, s46
	s_waitcnt lgkmcnt(0)
	v_mfma_f32_16x16x16_bf16 a[0:3], v[22:23], v[10:11], a[0:3]
	ds_read2st64_b64 v[14:17], v86 offset0:2 offset1:4
	ds_read_b64 v[10:11], v87 offset:24576
	s_mul_i32 s39, s39, s10
	s_add_i32 s47, s46, s39
	s_waitcnt lgkmcnt(1)
	v_mfma_f32_16x16x16_bf16 a[4:7], v[22:23], v[14:15], a[4:7]
	ds_read_b64 v[14:15], v88 offset:24576
	s_mul_i32 s46, s67, s10
	s_lshl_b64 s[46:47], s[46:47], 2
	s_waitcnt lgkmcnt(1)
	v_mfma_f32_16x16x16_bf16 a[0:3], v[10:11], v[12:13], a[0:3]
	s_add_u32 s46, s44, s46
	s_addc_u32 s47, s45, s47
	s_and_b64 vcc, exec, s[0:1]
	v_mfma_f32_16x16x16_bf16 a[8:11], v[10:11], v[16:17], a[4:7]
	v_mov_b32_e32 v118, 0
	v_mov_b32_e32 v117, 0
	;; [unrolled: 1-line block ×3, first 2 shown]
	s_waitcnt lgkmcnt(0)
	v_mfma_f32_16x16x16_bf16 a[4:7], v[14:15], v[20:21], a[0:3]
	v_mov_b32_e32 v10, 0
	v_mov_b32_e32 v11, 0
	;; [unrolled: 1-line block ×3, first 2 shown]
	v_mfma_f32_16x16x16_bf16 a[0:3], v[14:15], v[18:19], a[8:11]
	v_mov_b32_e32 v13, 0
	v_mov_b32_e32 v14, 0
	;; [unrolled: 1-line block ×13, first 2 shown]
	s_cbranch_vccnz .LBB341_12
; %bb.11:                               ;   in Loop: Header=BB341_6 Depth=1
	s_and_b32 s29, s29, 0xffff
	buffer_load_dwordx4 v[22:25], v71, s[28:31], 0 offen
	buffer_load_dwordx4 v[18:21], v71, s[28:31], s62 offen
	;; [unrolled: 1-line block ×4, first 2 shown]
	v_mov_b32_e32 v117, v73
	v_mov_b32_e32 v116, v74
.LBB341_12:                             ;   in Loop: Header=BB341_6 Depth=1
	ds_read_b64 v[34:35], v83 offset:32768
	ds_read2_b64 v[26:29], v89 offset1:16
	ds_read_b64 v[36:37], v85 offset:32768
	ds_read_b64 v[38:39], v87 offset:32768
	;; [unrolled: 1-line block ×3, first 2 shown]
	v_add_u32_e32 v42, s59, v96
	s_waitcnt lgkmcnt(3)
	v_mfma_f32_16x16x16_bf16 a[4:7], v[34:35], v[26:27], a[4:7]
	v_ashrrev_i32_e32 v26, 31, v42
	ds_read2st64_b64 v[30:33], v89 offset0:2 offset1:4
	v_mfma_f32_16x16x16_bf16 a[0:3], v[34:35], v[28:29], a[0:3]
	v_mul_lo_u32 v28, v26, s10
	v_mul_lo_u32 v29, v42, s11
	v_mad_u64_u32 v[26:27], s[28:29], v42, s10, 0
	v_add3_u32 v27, v27, v29, v28
	v_add_u32_e32 v28, 1, v42
	v_ashrrev_i32_e32 v29, 31, v28
	v_mul_lo_u32 v34, v29, s10
	v_mul_lo_u32 v35, v28, s11
	v_mad_u64_u32 v[28:29], s[28:29], v28, s10, 0
	v_add3_u32 v29, v29, v35, v34
	v_add_u32_e32 v34, 2, v42
	v_ashrrev_i32_e32 v35, 31, v34
	v_mul_lo_u32 v43, v35, s10
	v_mul_lo_u32 v44, v34, s11
	v_mad_u64_u32 v[34:35], s[28:29], v34, s10, 0
	v_add_u32_e32 v42, 3, v42
	v_add3_u32 v35, v35, v44, v43
	v_ashrrev_i32_e32 v43, 31, v42
	v_mul_lo_u32 v44, v43, s10
	v_mul_lo_u32 v45, v42, s11
	v_mad_u64_u32 v[42:43], s[28:29], v42, s10, 0
	s_ashr_i32 s29, s59, 31
	v_add3_u32 v43, v43, v45, v44
	s_add_u32 s28, s56, s59
	v_lshl_add_u64 v[26:27], v[26:27], 2, s[44:45]
	v_lshl_add_u64 v[42:43], v[42:43], 2, s[44:45]
	s_addc_u32 s29, s55, s29
	v_lshl_add_u64 v[28:29], v[28:29], 2, s[44:45]
	v_lshl_add_u64 v[34:35], v[34:35], 2, s[44:45]
	global_load_dword v44, v[26:27], off
	global_load_dword v45, v[28:29], off
	;; [unrolled: 1-line block ×3, first 2 shown]
	s_nop 0
	global_load_dword v42, v[42:43], off
	s_lshl_b64 s[68:69], s[28:29], 8
	v_lshl_add_u64 v[26:27], v[56:57], 0, s[68:69]
	v_lshl_add_u64 v[34:35], v[26:27], 0, v[54:55]
	global_load_ushort v43, v[34:35], off offset:256
	global_load_ushort v47, v[34:35], off
	ds_read2st64_b64 v[26:29], v90 offset0:2 offset1:4
	global_load_ushort v48, v[34:35], off offset:768
	global_load_ushort v49, v[34:35], off offset:512
	;; [unrolled: 1-line block ×6, first 2 shown]
	s_waitcnt lgkmcnt(1)
	v_mfma_f32_16x16x16_bf16 a[4:7], v[36:37], v[30:31], a[4:7]
	s_and_b64 vcc, exec, s[0:1]
	s_waitcnt vmcnt(7)
	v_lshlrev_b32_e32 v35, 16, v43
	s_waitcnt lgkmcnt(0)
	v_mfma_f32_16x16x16_bf16 a[0:3], v[36:37], v[26:27], a[0:3]
	v_mfma_f32_16x16x16_bf16 a[4:7], v[38:39], v[32:33], a[4:7]
	;; [unrolled: 1-line block ×3, first 2 shown]
	ds_read_b64 v[26:27], v89 offset:3072
	ds_read_b64 v[28:29], v90 offset:3072
	s_load_dword s28, s[46:47], 0x0
	s_waitcnt lgkmcnt(0)
	v_sub_f32_e32 v34, s28, v44
	v_mfma_f32_16x16x16_bf16 a[4:7], v[40:41], v[26:27], a[4:7]
	v_sub_f32_e32 v37, s28, v45
	v_sub_f32_e32 v38, s28, v46
	;; [unrolled: 1-line block ×3, first 2 shown]
	v_mul_f32_e32 v36, 0x3fb8aa3b, v34
	v_mul_f32_e32 v37, 0x3fb8aa3b, v37
	;; [unrolled: 1-line block ×4, first 2 shown]
	v_mfma_f32_16x16x16_bf16 a[0:3], v[40:41], v[28:29], a[0:3]
	v_accvgpr_read_b32 v33, a5
	v_exp_f32_e32 v36, v36
	v_exp_f32_e32 v37, v37
	;; [unrolled: 1-line block ×4, first 2 shown]
	v_accvgpr_read_b32 v32, a4
	s_waitcnt vmcnt(6)
	v_lshlrev_b32_e32 v34, 16, v47
	v_lshl_add_u64 v[26:27], v[58:59], 0, s[68:69]
	v_accvgpr_read_b32 v29, a7
	v_accvgpr_read_b32 v28, a6
	v_pk_add_f32 v[32:33], v[34:35], v[32:33] neg_lo:[0,1] neg_hi:[0,1]
	s_waitcnt vmcnt(5)
	v_lshlrev_b32_e32 v35, 16, v48
	s_waitcnt vmcnt(4)
	v_lshlrev_b32_e32 v34, 16, v49
	v_lshl_add_u64 v[26:27], v[26:27], 0, v[54:55]
	v_pk_add_f32 v[28:29], v[34:35], v[28:29] neg_lo:[0,1] neg_hi:[0,1]
	global_store_short_d16_hi v[26:27], v32, off
	global_store_short_d16_hi v[26:27], v33, off offset:256
	global_store_short_d16_hi v[26:27], v28, off offset:512
	;; [unrolled: 1-line block ×3, first 2 shown]
	v_pk_mul_f32 v[32:33], v[36:37], v[32:33]
	v_pk_mul_f32 v[28:29], v[38:39], v[28:29]
	v_accvgpr_read_b32 v35, a1
	v_perm_b32 v29, v29, v28, s3
	v_perm_b32 v28, v33, v32, s3
	s_waitcnt vmcnt(5)
	v_lshlrev_b32_e32 v33, 16, v52
	s_waitcnt vmcnt(4)
	v_lshlrev_b32_e32 v32, 16, v119
	v_accvgpr_read_b32 v34, a0
	v_accvgpr_read_b32 v31, a3
	v_accvgpr_read_b32 v30, a2
	v_pk_add_f32 v[32:33], v[32:33], v[34:35] neg_lo:[0,1] neg_hi:[0,1]
	v_lshlrev_b32_e32 v35, 16, v50
	v_lshlrev_b32_e32 v34, 16, v51
	v_pk_add_f32 v[30:31], v[34:35], v[30:31] neg_lo:[0,1] neg_hi:[0,1]
	global_store_short_d16_hi v[26:27], v32, off offset:32
	global_store_short_d16_hi v[26:27], v33, off offset:288
	global_store_short_d16_hi v[26:27], v30, off offset:544
	global_store_short_d16_hi v[26:27], v31, off offset:800
	v_pk_mul_f32 v[26:27], v[36:37], v[32:33]
	v_pk_mul_f32 v[30:31], v[38:39], v[30:31]
	v_mov_b32_e32 v119, 0
	v_perm_b32 v31, v31, v30, s3
	v_perm_b32 v30, v27, v26, s3
	ds_write2_b64 v76, v[28:29], v[30:31] offset1:16
	v_mov_b32_e32 v26, 0
	v_mov_b32_e32 v27, 0
	;; [unrolled: 1-line block ×16, first 2 shown]
	s_cbranch_vccnz .LBB341_14
; %bb.13:                               ;   in Loop: Header=BB341_6 Depth=1
	s_and_b32 s37, s37, 0xffff
	s_mov_b32 s39, s31
	buffer_load_dwordx4 v[38:41], v94, s[36:39], 0 offen
	buffer_load_dwordx4 v[30:33], v94, s[36:39], s62 offen
	;; [unrolled: 1-line block ×4, first 2 shown]
	v_mov_b32_e32 v118, v70
	v_mov_b32_e32 v119, v69
.LBB341_14:                             ;   in Loop: Header=BB341_6 Depth=1
	s_waitcnt lgkmcnt(0)
	s_barrier
	ds_read_b64 v[46:47], v98
	ds_read_b64 v[124:125], v93
	;; [unrolled: 1-line block ×5, first 2 shown]
	ds_read_b64 v[138:139], v90 offset:3072
	ds_read2_b64 v[42:45], v89 offset0:16 offset1:128
	s_waitcnt lgkmcnt(5)
	v_mfma_f32_16x16x16_bf16 a[0:3], v[46:47], v[124:125], 0
	ds_read2st64_b64 v[48:51], v90 offset0:2 offset1:4
	s_add_i32 s29, s54, s65
	s_mul_hi_i32 s37, s29, s49
	s_waitcnt lgkmcnt(1)
	v_mfma_f32_16x16x16_bf16 a[4:7], v[46:47], v[42:43], 0
	ds_read_b64 v[46:47], v103
	s_mul_i32 s29, s29, s49
	s_add_u32 s36, s29, s48
	s_waitcnt lgkmcnt(1)
	v_mfma_f32_16x16x16_bf16 a[4:7], v[126:127], v[48:49], a[4:7]
	s_addc_u32 s37, s37, s60
	s_lshl_b64 s[36:37], s[36:37], 15
	s_mul_i32 s39, s67, s49
	s_mul_hi_i32 s29, s67, s49
	s_add_u32 s46, s39, s48
	v_mfma_f32_16x16x16_bf16 a[8:11], v[128:129], v[50:51], a[4:7]
	s_addc_u32 s47, s29, s60
	ds_read2st64_b64 v[120:123], v89 offset0:4 offset1:6
	s_lshl_b64 s[46:47], s[46:47], 9
	s_waitcnt lgkmcnt(1)
	v_mfma_f32_16x16x16_bf16 a[4:7], v[46:47], v[124:125], 0
	s_add_u32 s46, s40, s46
	s_addc_u32 s47, s41, s47
	v_mfma_f32_16x16x16_bf16 a[0:3], v[126:127], v[44:45], a[0:3]
	ds_read_b64 v[126:127], v104
	ds_read_b64 v[134:135], v105
	;; [unrolled: 1-line block ×3, first 2 shown]
	v_mfma_f32_16x16x16_bf16 a[12:15], v[46:47], v[42:43], 0
	s_waitcnt lgkmcnt(2)
	v_mfma_f32_16x16x16_bf16 a[4:7], v[126:127], v[44:45], a[4:7]
	global_load_dwordx4 v[42:45], v102, s[46:47]
	v_mfma_f32_16x16x16_bf16 a[12:15], v[126:127], v[48:49], a[12:15]
	global_load_dwordx4 v[46:49], v97, s[46:47]
	ds_read2st64_b64 v[124:127], v91 offset1:8
	s_waitcnt lgkmcnt(0)
	v_mov_b32_e32 v132, v124
	v_mfma_f32_16x16x16_bf16 a[0:3], v[128:129], v[120:121], a[0:3]
	ds_read2st64_b64 v[128:131], v92 offset1:8
	v_mov_b32_e32 v133, v125
	v_mfma_f32_16x16x16_bf16 a[16:19], v[134:135], v[120:121], a[4:7]
	v_lshl_add_u64 v[120:121], v[60:61], 0, s[36:37]
	v_mfma_f32_16x16x16_bf16 a[20:23], v[134:135], v[50:51], a[12:15]
	v_add_co_u32_e32 v50, vcc, s25, v120
	s_waitcnt lgkmcnt(0)
	v_mov_b32_e32 v134, v128
	v_mfma_f32_16x16x16_bf16 a[4:7], v[136:137], v[122:123], a[0:3]
	v_mov_b32_e32 v135, v129
	v_mov_b32_e32 v128, v126
	;; [unrolled: 1-line block ×3, first 2 shown]
	v_mfma_f32_16x16x16_bf16 a[8:11], v[136:137], v[138:139], a[8:11]
	v_addc_co_u32_e32 v51, vcc, 0, v121, vcc
	global_store_dwordx4 v[50:51], v[128:131], off
	v_mfma_f32_16x16x16_bf16 a[12:15], v[140:141], v[122:123], a[16:19]
	s_and_b64 vcc, exec, s[0:1]
	global_store_dwordx4 v[120:121], v[132:135], off
	s_waitcnt vmcnt(3)
	v_mov_b32_e32 v52, v45
	v_mfma_f32_16x16x16_bf16 a[0:3], v[140:141], v[138:139], a[20:23]
	v_mov_b32_e32 v51, v44
	v_mov_b32_e32 v50, v43
	s_cbranch_vccnz .LBB341_16
; %bb.15:                               ;   in Loop: Header=BB341_6 Depth=1
	v_lshrrev_b32_e32 v43, 3, v118
	v_and_b32_e32 v43, 6, v43
	v_xor_b32_e32 v44, v43, v119
	v_lshlrev_b32_e32 v44, 2, v44
	v_and_b32_e32 v45, 8, v118
	v_xor_b32_e32 v118, 0x440, v44
	v_cmp_eq_u32_e32 vcc, 0, v45
	v_perm_b32 v45, v30, v26, s63
	s_nop 0
	v_cndmask_b32_e32 v44, v118, v44, vcc
	v_lshl_or_b32 v43, v43, 10, v44
	v_perm_b32 v44, v38, v34, s63
	s_barrier
	ds_write2st64_b32 v43, v44, v45 offset0:32 offset1:64
	v_xor_b32_e32 v44, 8, v43
	v_perm_b32 v34, v38, v34, s64
	v_perm_b32 v26, v30, v26, s64
	v_add_u32_e32 v30, 0x80, v44
	ds_write2st64_b32 v30, v34, v26 offset0:32 offset1:64
	v_xor_b32_e32 v26, 16, v43
	v_perm_b32 v30, v39, v35, s63
	v_perm_b32 v34, v31, v27, s63
	ds_write2st64_b32 v26, v30, v34 offset0:33 offset1:65
	v_xor_b32_e32 v26, 24, v43
	v_perm_b32 v30, v39, v35, s64
	v_perm_b32 v27, v31, v27, s64
	v_add_u32_e32 v26, 0x80, v26
	ds_write2st64_b32 v26, v30, v27 offset0:33 offset1:65
	v_xor_b32_e32 v26, 32, v43
	v_perm_b32 v27, v40, v36, s63
	v_perm_b32 v30, v32, v28, s63
	ds_write2st64_b32 v26, v27, v30 offset0:34 offset1:66
	v_xor_b32_e32 v26, 40, v43
	v_perm_b32 v27, v40, v36, s64
	v_perm_b32 v28, v32, v28, s64
	v_add_u32_e32 v26, 0x80, v26
	ds_write2st64_b32 v26, v27, v28 offset0:34 offset1:66
	v_xor_b32_e32 v26, 48, v43
	v_perm_b32 v27, v41, v37, s63
	v_perm_b32 v28, v33, v29, s63
	ds_write2st64_b32 v26, v27, v28 offset0:35 offset1:67
	v_xor_b32_e32 v26, 56, v43
	v_perm_b32 v27, v41, v37, s64
	v_perm_b32 v28, v33, v29, s64
	v_add_u32_e32 v26, 0x80, v26
	ds_write2st64_b32 v26, v27, v28 offset0:35 offset1:67
	ds_write_b64 v117, v[22:23] offset:24576
	v_xor_b32_e32 v22, 8, v117
	ds_write_b64 v22, v[24:25] offset:24576
	ds_write_b64 v117, v[18:19] offset:32768
	;; [unrolled: 1-line block ×4, first 2 shown]
	v_xor_b32_e32 v14, 8, v116
	ds_write_b64 v14, v[16:17] offset:24576
	ds_write_b64 v116, v[10:11] offset:32768
	;; [unrolled: 1-line block ×3, first 2 shown]
.LBB341_16:                             ;   in Loop: Header=BB341_6 Depth=1
	v_mul_f32_e32 v14, s28, v107
	v_exp_f32_e32 v26, v14
	s_waitcnt vmcnt(2)
	v_mul_f32_e32 v14, 0x3fb8aa3b, v46
	v_exp_f32_e32 v28, v14
	v_mul_f32_e32 v14, 0x3fb8aa3b, v47
	v_exp_f32_e32 v29, v14
	;; [unrolled: 2-line block ×4, first 2 shown]
	v_accvgpr_read_b32 v21, a7
	v_accvgpr_read_b32 v19, a5
	;; [unrolled: 1-line block ×4, first 2 shown]
	v_pk_mul_f32 v[28:29], v[26:27], v[28:29] op_sel_hi:[0,1]
	v_accvgpr_read_b32 v12, a10
	v_pk_fma_f32 v[2:3], v[2:3], v[28:29], v[18:19]
	v_pk_mul_f32 v[18:19], v[26:27], v[30:31] op_sel_hi:[0,1]
	v_accvgpr_read_b32 v20, a6
	v_accvgpr_read_b32 v11, a9
	;; [unrolled: 1-line block ×3, first 2 shown]
	v_fma_f32 v110, v110, v18, v12
	v_mul_f32_e32 v12, 0x3fb8aa3b, v51
	v_pk_fma_f32 v[4:5], v[4:5], v[18:19], v[20:21]
	v_fma_f32 v108, v108, v28, v10
	v_fma_f32 v109, v109, v29, v11
	v_mul_f32_e32 v10, 0x3fb8aa3b, v42
	v_mul_f32_e32 v11, 0x3fb8aa3b, v50
	v_exp_f32_e32 v20, v12
	v_mul_f32_e32 v12, 0x3fb8aa3b, v52
	v_exp_f32_e32 v10, v10
	v_exp_f32_e32 v11, v11
	;; [unrolled: 1-line block ×3, first 2 shown]
	v_accvgpr_read_b32 v25, a15
	v_accvgpr_read_b32 v17, a3
	;; [unrolled: 1-line block ×8, first 2 shown]
	v_fmac_f32_e32 v13, v115, v19
	v_pk_mul_f32 v[10:11], v[26:27], v[10:11] op_sel_hi:[0,1]
	v_pk_mul_f32 v[18:19], v[26:27], v[20:21] op_sel_hi:[0,1]
	s_add_i32 s59, s59, 64
	v_pk_fma_f32 v[6:7], v[6:7], v[10:11], v[22:23]
	v_pk_fma_f32 v[8:9], v[8:9], v[18:19], v[24:25]
	v_fma_f32 v111, v111, v10, v14
	v_fma_f32 v112, v112, v11, v15
	;; [unrolled: 1-line block ×3, first 2 shown]
	s_cmp_eq_u32 s53, s66
	v_fmac_f32_e32 v17, v114, v19
	s_cbranch_scc1 .LBB341_18
; %bb.17:                               ;   in Loop: Header=BB341_6 Depth=1
	s_mov_b32 s65, s66
	v_mov_b32_e32 v115, v13
	v_mov_b32_e32 v114, v17
	s_branch .LBB341_6
.LBB341_18:
	v_mov_b32_e32 v16, v113
	v_mov_b32_e32 v15, v112
	;; [unrolled: 1-line block ×6, first 2 shown]
.LBB341_19:
	s_lshl_b32 s3, s53, 6
	s_sub_i32 s58, s58, s3
	s_cmp_gt_i32 s58, 0
	v_or_b32_e32 v34, s2, v65
	s_cbranch_scc1 .LBB341_21
; %bb.20:
	s_ashr_i32 s37, s48, 31
	v_or_b32_e32 v35, s2, v65
	s_cbranch_execz .LBB341_22
	s_branch .LBB341_86
.LBB341_21:
                                        ; implicit-def: $vgpr35
                                        ; implicit-def: $sgpr36_sgpr37
.LBB341_22:
	s_add_i32 s36, s3, s42
	s_ashr_i32 s3, s36, 31
	s_cmpk_lg_i32 s23, 0x80
	s_cselect_b64 s[44:45], -1, 0
	s_and_b64 vcc, exec, s[44:45]
	s_cbranch_vccz .LBB341_24
; %bb.23:
	s_mul_hi_i32 s0, s36, s22
	s_mul_i32 s1, s36, s22
	s_ashr_i32 s22, s57, 31
	s_add_u32 s46, s1, s57
	s_addc_u32 s47, s0, s22
	s_cbranch_execz .LBB341_25
	s_branch .LBB341_26
.LBB341_24:
                                        ; implicit-def: $sgpr46_sgpr47
.LBB341_25:
	s_mul_i32 s1, s57, s20
	s_mul_hi_i32 s0, s57, s20
	s_add_u32 s46, s1, s36
	s_addc_u32 s47, s0, s3
.LBB341_26:
	s_add_i32 s20, s53, s54
	s_ashr_i32 s37, s48, 31
	s_add_u32 s0, s56, s36
	v_lshlrev_b32_e32 v22, 5, v1
	v_lshlrev_b32_e32 v40, 2, v65
	s_addc_u32 s1, s55, s3
	s_mov_b32 s3, 0x7060302
	v_or_b32_e32 v25, v22, v40
	v_xor_b32_e32 v23, v1, v40
	v_perm_b32 v19, v5, v4, s3
	v_perm_b32 v18, v3, v2, s3
	;; [unrolled: 1-line block ×4, first 2 shown]
	v_lshlrev_b32_e32 v25, 1, v25
	v_xor_b32_e32 v24, v68, v40
	ds_write2st64_b64 v25, v[18:19], v[20:21] offset0:80 offset1:88
	v_lshlrev_b32_e32 v23, 1, v23
	v_lshlrev_b32_e32 v25, 8, v65
	s_lshl_b64 s[38:39], s[0:1], 8
	v_or_b32_e32 v26, v23, v25
	v_lshlrev_b32_e32 v24, 1, v24
	s_add_u32 s0, s14, s38
	ds_write_b64 v26, v[18:19]
	v_or_b32_e32 v18, v24, v25
	s_addc_u32 s1, s15, s39
	ds_write_b64 v18, v[20:21]
	v_perm_b32 v19, v13, v12, s3
	v_perm_b32 v18, v11, v10, s3
	;; [unrolled: 1-line block ×4, first 2 shown]
	v_or_b32_e32 v25, 16, v65
	s_mul_hi_i32 s3, s20, s21
	s_mul_i32 s20, s20, s21
	v_lshlrev_b32_e32 v37, 2, v25
	s_add_u32 s14, s20, s48
	v_or_b32_e32 v22, v22, v37
	s_addc_u32 s15, s3, s37
	v_lshlrev_b32_e32 v22, 1, v22
	s_ashr_i32 s3, s2, 31
	s_lshl_b64 s[14:15], s[14:15], 15
	ds_write2st64_b64 v22, v[18:19], v[20:21] offset0:80 offset1:88
	v_lshlrev_b32_e32 v22, 8, v25
	s_add_u32 s4, s4, s14
	v_or_b32_e32 v23, v23, v22
	s_addc_u32 s5, s5, s15
	s_lshl_b64 s[2:3], s[2:3], 8
	ds_write_b64 v23, v[18:19]
	v_or_b32_e32 v18, v24, v22
	s_add_u32 s2, s4, s2
	ds_write_b64 v18, v[20:21]
	v_lshrrev_b32_e32 v18, 4, v0
	s_addc_u32 s3, s5, s3
	v_lshlrev_b32_e32 v19, 1, v65
	v_lshlrev_b32_e32 v26, 4, v65
	v_mov_b32_e32 v27, 0
	v_or_b32_e32 v20, 1, v19
	v_xor_b32_e32 v19, v18, v19
	v_lshl_add_u64 v[28:29], s[2:3], 0, v[26:27]
	v_lshlrev_b32_e32 v26, 8, v18
	v_xor_b32_e32 v22, v20, v18
	v_lshl_or_b32 v18, v19, 3, v26
	s_waitcnt lgkmcnt(0)
	s_barrier
	ds_read2st64_b64 v[18:21], v18 offset1:8
	v_lshl_or_b32 v22, v22, 3, v26
	ds_read2st64_b64 v[22:25], v22 offset1:8
	v_lshl_add_u64 v[30:31], v[28:29], 0, v[26:27]
	s_movk_i32 s2, 0x1000
	s_waitcnt lgkmcnt(1)
	v_mov_b32_e32 v26, v18
	v_add_co_u32_e32 v18, vcc, s2, v30
	s_cmp_lg_u32 s58, 64
	v_mov_b32_e32 v27, v19
	v_addc_co_u32_e32 v19, vcc, 0, v31, vcc
	s_cselect_b64 s[4:5], -1, 0
	v_lshl_or_b32 v35, v53, 3, v67
	s_waitcnt lgkmcnt(0)
	v_mov_b32_e32 v28, v22
	v_mov_b32_e32 v29, v23
	;; [unrolled: 1-line block ×4, first 2 shown]
	s_mov_b32 s28, 0
	v_or_b32_e32 v38, 32, v35
	v_and_b32_e32 v36, 56, v66
	s_and_b64 vcc, exec, s[4:5]
	global_store_dwordx4 v[30:31], v[26:29], off
	global_store_dwordx4 v[18:19], v[22:25], off
	s_cbranch_vccz .LBB341_32
; %bb.27:
	s_mov_b32 s29, s28
	s_mov_b32 s30, s28
	;; [unrolled: 1-line block ×3, first 2 shown]
	v_mov_b64_e32 v[22:23], s[28:29]
	v_mov_b64_e32 v[24:25], s[30:31]
	;; [unrolled: 1-line block ×3, first 2 shown]
	v_cmp_gt_i32_e32 vcc, s58, v35
	v_mov_b64_e32 v[20:21], v[24:25]
	s_and_saveexec_b64 s[2:3], vcc
	s_cbranch_execz .LBB341_29
; %bb.28:
	v_lshlrev_b32_e32 v18, 8, v35
	v_mov_b32_e32 v19, 0
	v_lshl_add_u64 v[20:21], s[0:1], 0, v[18:19]
	v_lshlrev_b32_e32 v18, 1, v36
	v_lshl_add_u64 v[26:27], v[20:21], 0, v[18:19]
	global_load_dwordx4 v[22:25], v[26:27], off
	global_load_dwordx4 v[18:21], v[26:27], off offset:128
.LBB341_29:
	s_or_b64 exec, exec, s[2:3]
	s_mov_b32 s30, s28
	s_mov_b32 s31, s28
	;; [unrolled: 1-line block ×3, first 2 shown]
	v_mov_b64_e32 v[32:33], s[30:31]
	v_mov_b64_e32 v[30:31], s[28:29]
	;; [unrolled: 1-line block ×3, first 2 shown]
	v_cmp_gt_i32_e32 vcc, s58, v38
	v_lshlrev_b32_e32 v39, 7, v38
	v_mov_b64_e32 v[28:29], v[32:33]
	s_and_saveexec_b64 s[2:3], vcc
	s_cbranch_execz .LBB341_31
; %bb.30:
	v_lshlrev_b32_e32 v26, 1, v39
	v_mov_b32_e32 v27, 0
	v_lshl_add_u64 v[28:29], s[0:1], 0, v[26:27]
	v_lshlrev_b32_e32 v26, 1, v36
	v_lshl_add_u64 v[42:43], v[28:29], 0, v[26:27]
	global_load_dwordx4 v[30:33], v[42:43], off
	global_load_dwordx4 v[26:29], v[42:43], off offset:128
.LBB341_31:
	s_or_b64 exec, exec, s[2:3]
	v_lshrrev_b32_e32 v41, 3, v36
	v_lshlrev_b32_e32 v42, 3, v35
	v_or_b32_e32 v41, v42, v41
	v_lshlrev_b32_e32 v41, 4, v41
	v_and_b32_e32 v42, 0x78, v42
	v_xor_b32_e32 v41, v41, v42
	s_branch .LBB341_34
.LBB341_32:
                                        ; implicit-def: $vgpr41
                                        ; implicit-def: $vgpr39
                                        ; implicit-def: $vgpr22_vgpr23_vgpr24_vgpr25
                                        ; implicit-def: $vgpr18_vgpr19_vgpr20_vgpr21
                                        ; implicit-def: $vgpr30_vgpr31_vgpr32_vgpr33
                                        ; implicit-def: $vgpr26_vgpr27_vgpr28_vgpr29
	s_cbranch_execz .LBB341_34
; %bb.33:
	s_waitcnt vmcnt(0)
	v_lshlrev_b32_e32 v18, 1, v36
	v_lshl_or_b32 v39, v35, 8, v18
	s_and_b32 s1, s1, 0xffff
	s_mov_b32 s3, 0x20000
	s_movk_i32 s2, 0x4000
	v_lshl_or_b32 v41, v38, 8, v18
	s_movk_i32 s14, 0x80
	buffer_load_dwordx4 v[22:25], v39, s[0:3], 0 offen
	buffer_load_dwordx4 v[18:21], v39, s[0:3], s14 offen
	;; [unrolled: 1-line block ×4, first 2 shown]
	v_lshrrev_b32_e32 v39, 3, v36
	v_lshlrev_b32_e32 v41, 3, v35
	v_or_b32_e32 v39, v41, v39
	v_lshlrev_b32_e32 v39, 4, v39
	v_and_b32_e32 v41, 0x78, v41
	v_xor_b32_e32 v41, v39, v41
	v_lshlrev_b32_e32 v39, 7, v38
.LBB341_34:
	s_lshl_b64 s[0:1], s[46:47], 8
	s_add_u32 s12, s12, s0
	s_movk_i32 s0, 0x1000
	v_and_or_b32 v38, v39, s0, v41
	s_waitcnt vmcnt(1)
	ds_write_b64 v41, v[22:23] offset:24576
	v_xor_b32_e32 v22, 8, v41
	ds_write_b64 v22, v[24:25] offset:24576
	s_waitcnt vmcnt(0)
	ds_write_b64 v41, v[18:19] offset:32768
	ds_write_b64 v22, v[20:21] offset:32768
	;; [unrolled: 1-line block ×3, first 2 shown]
	v_xor_b32_e32 v18, 8, v38
	ds_write_b64 v18, v[32:33] offset:24576
	ds_write_b64 v38, v[26:27] offset:32768
	;; [unrolled: 1-line block ×3, first 2 shown]
	v_or_b32_e32 v18, v62, v65
	v_lshlrev_b32_e32 v18, 3, v18
	v_lshrrev_b32_e32 v19, 5, v63
	s_movk_i32 s14, 0xf8
	v_and_or_b32 v19, v18, s14, v19
	v_lshlrev_b32_e32 v23, 4, v19
	v_lshlrev_b32_e32 v41, 11, v53
	v_and_b32_e32 v24, 0x78, v18
	v_or_b32_e32 v26, 32, v23
	v_and_b32_e32 v22, 0x1000, v41
	v_lshrrev_b32_e32 v19, 1, v63
	v_xor_b32_e32 v26, v26, v24
	v_xor_b32_e32 v18, v23, v24
	v_and_b32_e32 v25, 8, v19
	v_or_b32_e32 v26, v26, v22
	v_or_b32_e32 v18, v18, v22
	v_xor_b32_e32 v45, v26, v25
	v_or_b32_e32 v26, 64, v23
	v_xor_b32_e32 v44, v18, v25
	v_xor_b32_e32 v26, v26, v24
	s_waitcnt lgkmcnt(0)
	s_barrier
	v_or_b32_e32 v28, v26, v22
	ds_read_b64 v[26:27], v44 offset:24576
	v_lshl_or_b32 v38, v64, 7, v40
	v_lshlrev_b32_e32 v42, 1, v38
	v_add_u32_e32 v18, 0xa000, v42
	ds_read2_b64 v[18:21], v18 offset1:16
	v_or_b32_e32 v23, 0x60, v23
	v_xor_b32_e32 v23, v23, v24
	s_waitcnt lgkmcnt(0)
	v_mfma_f32_16x16x16_bf16 a[0:3], v[26:27], v[18:19], 0
	v_or_b32_e32 v18, 64, v38
	v_or_b32_e32 v22, v23, v22
	v_lshlrev_b32_e32 v43, 1, v18
	v_xor_b32_e32 v46, v28, v25
	v_xor_b32_e32 v47, v22, v25
	ds_read_b64 v[28:29], v45 offset:24576
	ds_read_b64 v[30:31], v46 offset:24576
	;; [unrolled: 1-line block ×3, first 2 shown]
	v_mfma_f32_16x16x16_bf16 a[4:7], v[26:27], v[20:21], 0
	ds_read2st64_b64 v[18:21], v43 offset0:82 offset1:84
	ds_read2st64_b64 v[22:25], v42 offset0:82 offset1:84
	s_addc_u32 s13, s13, s1
	s_add_i32 s20, s43, -1
	s_add_i32 s0, s51, s50
	s_add_i32 s25, s0, s52
	s_mul_i32 s0, s48, s27
	s_mul_hi_u32 s1, s48, s26
	s_ashr_i32 s2, s20, 31
	s_mul_i32 s3, s20, s11
	s_mul_hi_u32 s14, s20, s10
	s_add_i32 s0, s1, s0
	s_mul_i32 s1, s37, s26
	s_add_i32 s3, s14, s3
	s_mul_i32 s2, s2, s10
	s_waitcnt lgkmcnt(1)
	v_mfma_f32_16x16x16_bf16 a[4:7], v[28:29], v[18:19], a[4:7]
	s_add_i32 s1, s0, s1
	s_add_i32 s3, s3, s2
	s_lshl_b64 s[14:15], s[24:25], 2
	s_waitcnt lgkmcnt(0)
	v_mfma_f32_16x16x16_bf16 a[0:3], v[28:29], v[22:23], a[0:3]
	s_mul_i32 s0, s48, s26
	s_add_u32 s14, s18, s14
	s_addc_u32 s15, s19, s15
	s_lshl_b64 s[0:1], s[0:1], 2
	s_mul_i32 s2, s20, s10
	s_add_u32 s18, s14, s0
	ds_read_b64 v[18:19], v42 offset:44032
	v_mfma_f32_16x16x16_bf16 a[4:7], v[30:31], v[20:21], a[4:7]
	ds_read_b64 v[20:21], v43 offset:44032
	s_addc_u32 s19, s15, s1
	s_lshl_b64 s[0:1], s[2:3], 2
	v_mfma_f32_16x16x16_bf16 a[0:3], v[30:31], v[24:25], a[0:3]
	s_add_u32 s0, s18, s0
	s_addc_u32 s1, s19, s1
	s_load_dword s22, s[0:1], 0x0
	s_waitcnt lgkmcnt(0)
	v_mfma_f32_16x16x16_bf16 a[0:3], v[32:33], v[18:19], a[0:3]
	s_and_b64 vcc, exec, s[44:45]
	v_mfma_f32_16x16x16_bf16 a[4:7], v[32:33], v[20:21], a[4:7]
	s_cbranch_vccz .LBB341_45
; %bb.35:
	v_lshlrev_b32_e32 v38, 1, v35
	s_and_b64 vcc, exec, s[4:5]
	s_cbranch_vccz .LBB341_46
; %bb.36:
	v_cmp_gt_i32_e32 vcc, s58, v38
	v_mov_b32_e32 v22, 0
	v_mov_b32_e32 v18, 0
	;; [unrolled: 1-line block ×5, first 2 shown]
	s_and_saveexec_b64 s[0:1], vcc
	s_cbranch_execz .LBB341_38
; %bb.37:
	v_mad_i64_i32 v[18:19], s[2:3], s23, v38, 0
	v_lshl_add_u64 v[18:19], v[18:19], 1, s[12:13]
	v_lshlrev_b32_e32 v20, 1, v36
	v_mov_b32_e32 v21, 0
	v_lshl_add_u64 v[18:19], v[18:19], 0, v[20:21]
	global_load_dwordx4 v[18:21], v[18:19], off
.LBB341_38:
	s_or_b64 exec, exec, s[0:1]
	v_or_b32_e32 v39, 1, v38
	v_cmp_gt_i32_e64 s[0:1], s58, v39
	v_mov_b32_e32 v23, 0
	v_mov_b32_e32 v24, 0
	;; [unrolled: 1-line block ×3, first 2 shown]
	s_and_saveexec_b64 s[2:3], s[0:1]
	s_cbranch_execz .LBB341_40
; %bb.39:
	v_mad_i64_i32 v[22:23], s[14:15], s23, v39, 0
	v_lshl_add_u64 v[22:23], v[22:23], 1, s[12:13]
	v_lshlrev_b32_e32 v24, 1, v36
	v_mov_b32_e32 v25, 0
	v_lshl_add_u64 v[22:23], v[22:23], 0, v[24:25]
	global_load_dwordx4 v[22:25], v[22:23], off
.LBB341_40:
	s_or_b64 exec, exec, s[2:3]
	v_mov_b32_e32 v33, 0
	v_mov_b32_e32 v26, 0
	;; [unrolled: 1-line block ×5, first 2 shown]
	s_and_saveexec_b64 s[2:3], vcc
	s_cbranch_execz .LBB341_42
; %bb.41:
	v_mad_i64_i32 v[26:27], s[14:15], s23, v38, 0
	v_lshl_add_u64 v[26:27], v[26:27], 1, s[12:13]
	v_lshlrev_b32_e32 v28, 1, v36
	v_mov_b32_e32 v29, 0
	v_lshl_add_u64 v[26:27], v[26:27], 0, v[28:29]
	global_load_dwordx4 v[26:29], v[26:27], off offset:128
.LBB341_42:
	s_or_b64 exec, exec, s[2:3]
	v_mov_b32_e32 v32, 0
	v_mov_b32_e32 v31, 0
	;; [unrolled: 1-line block ×3, first 2 shown]
	s_and_saveexec_b64 s[2:3], s[0:1]
	s_cbranch_execz .LBB341_44
; %bb.43:
	v_mad_i64_i32 v[30:31], s[0:1], s23, v39, 0
	v_lshl_add_u64 v[30:31], v[30:31], 1, s[12:13]
	v_lshlrev_b32_e32 v32, 1, v36
	v_mov_b32_e32 v33, 0
	v_lshl_add_u64 v[30:31], v[30:31], 0, v[32:33]
	global_load_dwordx4 v[30:33], v[30:31], off offset:128
.LBB341_44:
	s_or_b64 exec, exec, s[2:3]
	s_branch .LBB341_48
.LBB341_45:
                                        ; implicit-def: $vgpr21
                                        ; implicit-def: $vgpr25
                                        ; implicit-def: $vgpr29
                                        ; implicit-def: $vgpr33
	v_lshrrev_b32_e32 v48, 2, v63
	s_branch .LBB341_49
.LBB341_46:
                                        ; implicit-def: $vgpr21
                                        ; implicit-def: $vgpr25
                                        ; implicit-def: $vgpr29
                                        ; implicit-def: $vgpr33
	s_cbranch_execz .LBB341_48
; %bb.47:
	s_waitcnt vmcnt(0)
	v_mad_u64_u32 v[18:19], s[0:1], v38, s23, v[36:37]
	v_lshlrev_b32_e32 v38, 1, v18
	s_lshl_b32 s2, s23, 7
	s_and_b32 s1, s13, 0xffff
	s_mov_b32 s3, 0x20000
	s_mov_b32 s0, s12
	v_add_lshl_u32 v39, v18, s23, 1
	s_movk_i32 s14, 0x80
	buffer_load_dwordx4 v[18:21], v38, s[0:3], 0 offen
	buffer_load_dwordx4 v[26:29], v38, s[0:3], s14 offen
	;; [unrolled: 1-line block ×4, first 2 shown]
.LBB341_48:
	v_lshrrev_b32_e32 v48, 2, v63
	s_cbranch_execnz .LBB341_61
.LBB341_49:
	s_and_b64 vcc, exec, s[4:5]
	s_cbranch_vccz .LBB341_59
; %bb.50:
	s_waitcnt vmcnt(0)
	v_lshlrev_b32_e32 v23, 1, v35
	v_cmp_gt_i32_e32 vcc, s58, v23
	v_mov_b32_e32 v22, 0
	v_lshlrev_b32_e32 v30, 9, v35
	v_mov_b32_e32 v18, 0
	v_mov_b32_e32 v19, 0
	;; [unrolled: 1-line block ×4, first 2 shown]
	s_and_saveexec_b64 s[0:1], vcc
	s_cbranch_execz .LBB341_52
; %bb.51:
	v_mov_b32_e32 v31, 0
	v_lshl_add_u64 v[18:19], s[12:13], 0, v[30:31]
	v_lshlrev_b32_e32 v20, 1, v36
	v_mov_b32_e32 v21, v31
	v_lshl_add_u64 v[18:19], v[18:19], 0, v[20:21]
	global_load_dwordx4 v[18:21], v[18:19], off
.LBB341_52:
	s_or_b64 exec, exec, s[0:1]
	v_or_b32_e32 v23, 1, v23
	v_cmp_gt_i32_e64 s[0:1], s58, v23
	v_lshlrev_b32_e32 v38, 8, v23
	v_mov_b32_e32 v23, 0
	v_mov_b32_e32 v24, 0
	;; [unrolled: 1-line block ×3, first 2 shown]
	s_and_saveexec_b64 s[2:3], s[0:1]
	s_cbranch_execz .LBB341_54
; %bb.53:
	v_mov_b32_e32 v39, 0
	v_lshl_add_u64 v[22:23], s[12:13], 0, v[38:39]
	v_lshlrev_b32_e32 v24, 1, v36
	v_mov_b32_e32 v25, v39
	v_lshl_add_u64 v[22:23], v[22:23], 0, v[24:25]
	global_load_dwordx4 v[22:25], v[22:23], off
.LBB341_54:
	s_or_b64 exec, exec, s[2:3]
	v_mov_b32_e32 v33, 0
	v_mov_b32_e32 v26, 0
	v_mov_b32_e32 v27, 0
	v_mov_b32_e32 v28, 0
	v_mov_b32_e32 v29, 0
	s_and_saveexec_b64 s[2:3], vcc
	s_cbranch_execz .LBB341_56
; %bb.55:
	v_mov_b32_e32 v31, 0
	v_lshl_add_u64 v[26:27], s[12:13], 0, v[30:31]
	v_lshlrev_b32_e32 v30, 1, v36
	v_lshl_add_u64 v[26:27], v[26:27], 0, v[30:31]
	global_load_dwordx4 v[26:29], v[26:27], off offset:128
.LBB341_56:
	s_or_b64 exec, exec, s[2:3]
	v_mov_b32_e32 v32, 0
	v_mov_b32_e32 v31, 0
	;; [unrolled: 1-line block ×3, first 2 shown]
	s_and_saveexec_b64 s[2:3], s[0:1]
	s_cbranch_execz .LBB341_58
; %bb.57:
	v_mov_b32_e32 v39, 0
	v_lshl_add_u64 v[30:31], s[12:13], 0, v[38:39]
	v_lshlrev_b32_e32 v38, 1, v36
	v_lshl_add_u64 v[30:31], v[30:31], 0, v[38:39]
	global_load_dwordx4 v[30:33], v[30:31], off offset:128
.LBB341_58:
	s_or_b64 exec, exec, s[2:3]
	s_branch .LBB341_61
.LBB341_59:
                                        ; implicit-def: $vgpr21
                                        ; implicit-def: $vgpr25
                                        ; implicit-def: $vgpr29
                                        ; implicit-def: $vgpr33
	s_cbranch_execz .LBB341_61
; %bb.60:
	s_waitcnt vmcnt(0)
	v_lshlrev_b32_e32 v18, 1, v36
	v_lshl_or_b32 v36, v35, 9, v18
	s_and_b32 s13, s13, 0xffff
	s_mov_b32 s15, 0x20000
	s_movk_i32 s14, 0x4000
	s_movk_i32 s0, 0x80
	buffer_load_dwordx4 v[18:21], v36, s[12:15], 0 offen
	buffer_load_dwordx4 v[22:25], v36, s[12:15], 0 offen offset:256
	buffer_load_dwordx4 v[26:29], v36, s[12:15], s0 offen
	buffer_load_dwordx4 v[30:33], v36, s[12:15], s0 offen offset:256
.LBB341_61:
	ds_read_b64 v[38:39], v44 offset:32768
	v_add_u32_e32 v36, 0xb000, v42
	ds_read2_b64 v[54:57], v36 offset1:16
	ds_read_b64 v[50:51], v45 offset:32768
	ds_read_b64 v[58:59], v46 offset:32768
	;; [unrolled: 1-line block ×3, first 2 shown]
	ds_read2st64_b64 v[44:47], v42 offset0:90 offset1:92
	v_and_b32_e32 v36, 12, v48
	v_and_b32_e32 v48, 6, v0
	v_xor_b32_e32 v35, v35, v48
	v_lshlrev_b32_e32 v35, 2, v35
	s_mov_b32 s0, 0x1000504
	s_waitcnt lgkmcnt(4)
	v_mfma_f32_16x16x16_bf16 a[0:3], v[38:39], v[54:55], a[0:3]
	s_mov_b32 s1, 0x3020706
	v_mfma_f32_16x16x16_bf16 a[4:7], v[38:39], v[56:57], a[4:7]
	ds_read2st64_b64 v[54:57], v43 offset0:90 offset1:92
	s_waitcnt lgkmcnt(1)
	v_mfma_f32_16x16x16_bf16 a[0:3], v[50:51], v[44:45], a[0:3]
	ds_read_b64 v[38:39], v42 offset:48128
	ds_read_b64 v[44:45], v43 offset:48128
	s_waitcnt lgkmcnt(2)
	v_mfma_f32_16x16x16_bf16 a[4:7], v[50:51], v[54:55], a[4:7]
	v_mfma_f32_16x16x16_bf16 a[0:3], v[58:59], v[46:47], a[0:3]
	v_and_b32_e32 v46, 1, v0
	v_xor_b32_e32 v47, 0x440, v35
	v_cmp_eq_u32_e32 vcc, 0, v46
	v_mfma_f32_16x16x16_bf16 a[8:11], v[58:59], v[56:57], a[4:7]
	s_nop 0
	v_cndmask_b32_e32 v35, v47, v35, vcc
	v_lshl_or_b32 v35, v48, 10, v35
	s_waitcnt lgkmcnt(1)
	v_mfma_f32_16x16x16_bf16 a[4:7], v[60:61], v[38:39], a[0:3]
	s_waitcnt vmcnt(0)
	v_perm_b32 v38, v18, v22, s0
	v_perm_b32 v39, v26, v30, s0
	ds_write2st64_b32 v35, v38, v39 offset0:32 offset1:64
	v_xor_b32_e32 v38, 8, v35
	v_perm_b32 v18, v18, v22, s1
	v_perm_b32 v22, v26, v30, s1
	v_add_u32_e32 v26, 0x80, v38
	ds_write2st64_b32 v26, v18, v22 offset0:32 offset1:64
	v_xor_b32_e32 v18, 16, v35
	v_perm_b32 v22, v19, v23, s0
	v_perm_b32 v26, v27, v31, s0
	ds_write2st64_b32 v18, v22, v26 offset0:33 offset1:65
	v_xor_b32_e32 v18, 24, v35
	v_perm_b32 v19, v19, v23, s1
	v_perm_b32 v22, v27, v31, s1
	v_add_u32_e32 v18, 0x80, v18
	ds_write2st64_b32 v18, v19, v22 offset0:33 offset1:65
	v_xor_b32_e32 v18, 32, v35
	v_perm_b32 v19, v20, v24, s0
	v_perm_b32 v22, v28, v32, s0
	ds_write2st64_b32 v18, v19, v22 offset0:34 offset1:66
	v_xor_b32_e32 v18, 40, v35
	s_waitcnt lgkmcnt(5)
	v_mfma_f32_16x16x16_bf16 a[0:3], v[60:61], v[44:45], a[8:11]
	v_perm_b32 v19, v20, v24, s1
	v_perm_b32 v20, v28, v32, s1
	v_add_u32_e32 v18, 0x80, v18
	ds_write2st64_b32 v18, v19, v20 offset0:34 offset1:66
	v_xor_b32_e32 v18, 48, v35
	v_perm_b32 v19, v21, v25, s0
	v_perm_b32 v20, v29, v33, s0
	ds_write2st64_b32 v18, v19, v20 offset0:35 offset1:67
	v_xor_b32_e32 v18, 56, v35
	v_or_b32_e32 v38, v36, v62
	v_perm_b32 v19, v21, v25, s1
	v_perm_b32 v20, v29, v33, s1
	v_add_u32_e32 v18, 0x80, v18
	v_cmp_gt_i32_e32 vcc, s58, v38
	v_mov_b32_e32 v44, 0
	v_mov_b32_e32 v45, 0
	ds_write2st64_b32 v18, v19, v20 offset0:35 offset1:67
	s_and_saveexec_b64 s[0:1], vcc
	s_cbranch_execz .LBB341_63
; %bb.62:
	v_add_u32_e32 v18, s36, v38
	v_ashrrev_i32_e32 v19, 31, v18
	v_mul_lo_u32 v20, v19, s10
	v_mul_lo_u32 v21, v18, s11
	v_mad_u64_u32 v[18:19], s[2:3], v18, s10, 0
	v_add3_u32 v19, v19, v21, v20
	v_lshl_add_u64 v[18:19], v[18:19], 2, s[18:19]
	global_load_dword v18, v[18:19], off
	s_waitcnt vmcnt(0)
	v_sub_f32_e32 v18, s22, v18
	v_mul_f32_e32 v18, 0x3fb8aa3b, v18
	v_exp_f32_e32 v45, v18
.LBB341_63:
	s_or_b64 exec, exec, s[0:1]
	v_or_b32_e32 v27, 1, v38
	v_cmp_gt_i32_e64 s[2:3], s58, v27
	s_and_saveexec_b64 s[0:1], s[2:3]
	s_cbranch_execz .LBB341_65
; %bb.64:
	v_add_u32_e32 v18, s36, v27
	v_ashrrev_i32_e32 v19, 31, v18
	v_mul_lo_u32 v20, v19, s10
	v_mul_lo_u32 v21, v18, s11
	v_mad_u64_u32 v[18:19], s[4:5], v18, s10, 0
	v_add3_u32 v19, v19, v21, v20
	v_lshl_add_u64 v[18:19], v[18:19], 2, s[18:19]
	global_load_dword v18, v[18:19], off
	s_waitcnt vmcnt(0)
	v_sub_f32_e32 v18, s22, v18
	v_mul_f32_e32 v18, 0x3fb8aa3b, v18
	v_exp_f32_e32 v44, v18
.LBB341_65:
	s_or_b64 exec, exec, s[0:1]
	v_or_b32_e32 v26, 2, v38
	v_cmp_gt_i32_e64 s[4:5], s58, v26
	v_mov_b32_e32 v39, 0
	v_mov_b32_e32 v46, 0
	s_and_saveexec_b64 s[0:1], s[4:5]
	s_cbranch_execz .LBB341_67
; %bb.66:
	v_add_u32_e32 v18, s36, v26
	v_ashrrev_i32_e32 v19, 31, v18
	v_mul_lo_u32 v20, v19, s10
	v_mul_lo_u32 v21, v18, s11
	v_mad_u64_u32 v[18:19], s[12:13], v18, s10, 0
	v_add3_u32 v19, v19, v21, v20
	v_lshl_add_u64 v[18:19], v[18:19], 2, s[18:19]
	global_load_dword v18, v[18:19], off
	s_waitcnt vmcnt(0)
	v_sub_f32_e32 v18, s22, v18
	v_mul_f32_e32 v18, 0x3fb8aa3b, v18
	v_exp_f32_e32 v46, v18
.LBB341_67:
	s_or_b64 exec, exec, s[0:1]
	v_or_b32_e32 v47, 3, v38
	v_cmp_gt_i32_e64 s[0:1], s58, v47
	s_and_saveexec_b64 s[12:13], s[0:1]
	s_cbranch_execz .LBB341_69
; %bb.68:
	v_add_u32_e32 v18, s36, v47
	v_ashrrev_i32_e32 v19, 31, v18
	v_mul_lo_u32 v20, v19, s10
	v_mul_lo_u32 v21, v18, s11
	v_mad_u64_u32 v[18:19], s[10:11], v18, s10, 0
	v_add3_u32 v19, v19, v21, v20
	v_lshl_add_u64 v[18:19], v[18:19], 2, s[18:19]
	global_load_dword v18, v[18:19], off
	s_waitcnt vmcnt(0)
	v_sub_f32_e32 v18, s22, v18
	v_mul_f32_e32 v18, 0x3fb8aa3b, v18
	v_exp_f32_e32 v39, v18
.LBB341_69:
	s_or_b64 exec, exec, s[12:13]
	s_add_u32 s10, s16, s38
	s_addc_u32 s11, s17, s39
	s_add_u32 s6, s6, s38
	v_ashrrev_i32_e32 v35, 31, v34
	v_accvgpr_read_b32 v21, a7
	s_addc_u32 s7, s7, s39
	v_lshlrev_b64 v[22:23], 1, v[34:35]
	v_accvgpr_read_b32 v20, a6
	v_accvgpr_read_b32 v19, a5
	;; [unrolled: 1-line block ×3, first 2 shown]
	v_lshl_add_u64 v[24:25], s[10:11], 0, v[22:23]
	v_lshl_add_u64 v[22:23], s[6:7], 0, v[22:23]
	v_mov_b32_e32 v31, 0
	v_lshlrev_b32_e32 v28, 8, v38
	v_mov_b32_e32 v29, 0
	s_and_saveexec_b64 s[6:7], vcc
	s_cbranch_execz .LBB341_71
; %bb.70:
	v_mov_b32_e32 v29, 0
	v_lshl_add_u64 v[32:33], v[24:25], 0, v[28:29]
	global_load_ushort v30, v[32:33], off
	v_lshl_add_u64 v[32:33], v[22:23], 0, v[28:29]
	s_waitcnt vmcnt(0)
	v_lshlrev_b32_e32 v29, 16, v30
	v_sub_f32_e32 v18, v29, v18
	global_store_short_d16_hi v[32:33], v18, off
	v_mul_f32_e32 v18, v45, v18
	v_lshrrev_b32_e32 v29, 16, v18
.LBB341_71:
	s_or_b64 exec, exec, s[6:7]
	v_lshlrev_b32_e32 v30, 8, v27
	s_and_saveexec_b64 s[6:7], s[2:3]
	s_cbranch_execz .LBB341_73
; %bb.72:
	v_mov_b32_e32 v31, 0
	v_lshl_add_u64 v[32:33], v[24:25], 0, v[30:31]
	global_load_ushort v18, v[32:33], off
	v_lshl_add_u64 v[32:33], v[22:23], 0, v[30:31]
	s_waitcnt vmcnt(0)
	v_lshlrev_b32_e32 v18, 16, v18
	v_sub_f32_e32 v18, v18, v19
	global_store_short_d16_hi v[32:33], v18, off
	v_mul_f32_e32 v18, v44, v18
	v_lshrrev_b32_e32 v31, 16, v18
.LBB341_73:
	s_or_b64 exec, exec, s[6:7]
	v_mov_b32_e32 v27, 0
	v_lshlrev_b32_e32 v32, 8, v26
	v_mov_b32_e32 v33, 0
	s_and_saveexec_b64 s[6:7], s[4:5]
	s_cbranch_execz .LBB341_75
; %bb.74:
	v_mov_b32_e32 v33, 0
	v_lshl_add_u64 v[18:19], v[24:25], 0, v[32:33]
	global_load_ushort v26, v[18:19], off
	v_lshl_add_u64 v[18:19], v[22:23], 0, v[32:33]
	s_waitcnt vmcnt(0)
	v_lshlrev_b32_e32 v26, 16, v26
	v_sub_f32_e32 v20, v26, v20
	global_store_short_d16_hi v[18:19], v20, off
	v_mul_f32_e32 v18, v46, v20
	v_lshrrev_b32_e32 v33, 16, v18
.LBB341_75:
	s_or_b64 exec, exec, s[6:7]
	v_lshlrev_b32_e32 v26, 8, v47
	s_and_saveexec_b64 s[6:7], s[0:1]
	s_cbranch_execz .LBB341_77
; %bb.76:
	v_mov_b32_e32 v27, 0
	v_lshl_add_u64 v[18:19], v[24:25], 0, v[26:27]
	global_load_ushort v20, v[18:19], off
	v_lshl_add_u64 v[18:19], v[22:23], 0, v[26:27]
	s_waitcnt vmcnt(0)
	v_lshlrev_b32_e32 v20, 16, v20
	v_sub_f32_e32 v20, v20, v21
	global_store_short_d16_hi v[18:19], v20, off
	v_mul_f32_e32 v18, v39, v20
	v_lshrrev_b32_e32 v27, 16, v18
.LBB341_77:
	s_or_b64 exec, exec, s[6:7]
	v_lshlrev_b32_e32 v35, 5, v38
	s_mov_b32 s6, 0x5040100
	v_accvgpr_read_b32 v21, a3
	v_perm_b32 v49, v27, v33, s6
	v_or_b32_e32 v27, v35, v40
	v_accvgpr_read_b32 v20, a2
	v_accvgpr_read_b32 v19, a1
	v_accvgpr_read_b32 v18, a0
	v_perm_b32 v48, v31, v29, s6
	v_lshlrev_b32_e32 v27, 1, v27
	v_mov_b32_e32 v31, 0
	v_mov_b32_e32 v29, 0
	ds_write_b64 v27, v[48:49] offset:45056
	s_and_saveexec_b64 s[6:7], vcc
	s_cbranch_execz .LBB341_79
; %bb.78:
	v_mov_b32_e32 v29, 0
	v_lshl_add_u64 v[48:49], v[24:25], 0, v[28:29]
	global_load_ushort v27, v[48:49], off offset:32
	v_lshl_add_u64 v[28:29], v[22:23], 0, v[28:29]
	s_waitcnt vmcnt(0)
	v_lshlrev_b32_e32 v27, 16, v27
	v_sub_f32_e32 v18, v27, v18
	global_store_short_d16_hi v[28:29], v18, off offset:32
	v_mul_f32_e32 v18, v45, v18
	v_lshrrev_b32_e32 v29, 16, v18
.LBB341_79:
	s_or_b64 exec, exec, s[6:7]
	s_and_saveexec_b64 s[6:7], s[2:3]
	s_cbranch_execz .LBB341_81
; %bb.80:
	v_mov_b32_e32 v31, 0
	v_lshl_add_u64 v[48:49], v[24:25], 0, v[30:31]
	global_load_ushort v18, v[48:49], off offset:32
	v_lshl_add_u64 v[30:31], v[22:23], 0, v[30:31]
	s_waitcnt vmcnt(0)
	v_lshlrev_b32_e32 v18, 16, v18
	v_sub_f32_e32 v18, v18, v19
	global_store_short_d16_hi v[30:31], v18, off offset:32
	v_mul_f32_e32 v18, v44, v18
	v_lshrrev_b32_e32 v31, 16, v18
.LBB341_81:
	s_or_b64 exec, exec, s[6:7]
	v_mov_b32_e32 v27, 0
	v_mov_b32_e32 v28, 0
	s_and_saveexec_b64 s[2:3], s[4:5]
	s_cbranch_execz .LBB341_83
; %bb.82:
	v_mov_b32_e32 v33, 0
	v_lshl_add_u64 v[18:19], v[24:25], 0, v[32:33]
	global_load_ushort v28, v[18:19], off offset:32
	v_lshl_add_u64 v[18:19], v[22:23], 0, v[32:33]
	s_waitcnt vmcnt(0)
	v_lshlrev_b32_e32 v28, 16, v28
	v_sub_f32_e32 v20, v28, v20
	global_store_short_d16_hi v[18:19], v20, off offset:32
	v_mul_f32_e32 v18, v46, v20
	v_lshrrev_b32_e32 v28, 16, v18
.LBB341_83:
	s_or_b64 exec, exec, s[2:3]
	v_or_b32_e32 v19, 0xb000, v42
	v_or_b32_e32 v18, 0xb000, v43
	s_and_saveexec_b64 s[2:3], s[0:1]
	s_cbranch_execz .LBB341_85
; %bb.84:
	v_mov_b32_e32 v27, 0
	v_lshl_add_u64 v[24:25], v[24:25], 0, v[26:27]
	global_load_ushort v20, v[24:25], off offset:32
	v_lshl_add_u64 v[22:23], v[22:23], 0, v[26:27]
	s_waitcnt vmcnt(0)
	v_lshlrev_b32_e32 v20, 16, v20
	v_sub_f32_e32 v20, v20, v21
	global_store_short_d16_hi v[22:23], v20, off offset:32
	v_mul_f32_e32 v20, v39, v20
	v_lshrrev_b32_e32 v27, 16, v20
.LBB341_85:
	s_or_b64 exec, exec, s[2:3]
	s_mov_b32 s0, 0x5040100
	v_or_b32_e32 v22, v35, v37
	v_perm_b32 v21, v27, v28, s0
	v_perm_b32 v20, v31, v29, s0
	v_lshlrev_b32_e32 v22, 1, v22
	s_movk_i32 s2, 0x100
	ds_write_b64 v22, v[20:21] offset:45056
	v_and_b32_e32 v20, 7, v0
	v_and_b32_e32 v21, 8, v0
	v_cmp_gt_u32_e32 vcc, s2, v0
	v_lshrrev_b32_e32 v0, 1, v0
	v_lshlrev_b32_e32 v26, 3, v20
	v_lshlrev_b32_e32 v35, 7, v20
	v_mov_b32_e32 v20, 0x4000
	v_mov_b32_e32 v22, 0x2000
	v_lshlrev_b32_e32 v24, 3, v53
	v_and_b32_e32 v0, 24, v0
	v_cndmask_b32_e32 v27, v20, v22, vcc
	v_xor_b32_e32 v20, v24, v0
	v_or_b32_e32 v22, 0x440, v20
	v_cmp_eq_u32_e32 vcc, 0, v21
	v_or_b32_e32 v28, 32, v0
	v_xor_b32_e32 v28, v24, v28
	v_cndmask_b32_e32 v20, v22, v20, vcc
	v_or_b32_e32 v20, v20, v41
	v_xor_b32_e32 v48, v20, v26
	v_or_b32_e32 v29, 0x440, v28
	v_add3_u32 v25, v27, v48, v35
	v_cndmask_b32_e32 v28, v29, v28, vcc
	v_or_b32_e32 v29, 64, v0
	v_or_b32_e32 v0, 0x60, v0
	s_waitcnt lgkmcnt(0)
	s_barrier
	v_xor_b32_e32 v29, v24, v29
	v_xor_b32_e32 v0, v24, v0
	ds_read_b64 v[24:25], v25
	v_xor_b32_e32 v30, 0x440, v29
	ds_read2_b64 v[20:23], v19 offset1:16
	v_cndmask_b32_e32 v29, v30, v29, vcc
	v_xor_b32_e32 v30, 0x440, v0
	v_or_b32_e32 v28, v28, v41
	v_or_b32_e32 v29, v29, v41
	v_cndmask_b32_e32 v0, v30, v0, vcc
	v_xor_b32_e32 v50, v28, v26
	v_xor_b32_e32 v51, v29, v26
	v_or_b32_e32 v0, v0, v41
	v_add3_u32 v28, v27, v50, v35
	v_add3_u32 v29, v27, v51, v35
	v_xor_b32_e32 v52, v0, v26
	s_mul_i32 s0, s20, s21
	s_mul_hi_i32 s1, s20, s21
	v_add3_u32 v0, v27, v52, v35
	ds_read_b64 v[26:27], v28
	ds_read_b64 v[32:33], v29
	;; [unrolled: 1-line block ×3, first 2 shown]
	s_add_u32 s0, s0, s48
	ds_read2st64_b64 v[28:31], v19 offset0:2 offset1:4
	ds_read2st64_b64 v[40:43], v18 offset0:2 offset1:4
	s_waitcnt lgkmcnt(5)
	v_mfma_f32_16x16x16_bf16 a[0:3], v[24:25], v[20:21], 0
	s_addc_u32 s1, s1, s37
	s_lshl_b64 s[0:1], s[0:1], 9
	s_add_u32 s0, s40, s0
	v_mfma_f32_16x16x16_bf16 a[4:7], v[24:25], v[22:23], 0
	s_addc_u32 s1, s41, s1
	v_lshlrev_b32_e32 v0, 2, v38
	v_lshlrev_b32_e32 v36, 2, v36
	s_waitcnt lgkmcnt(1)
	v_mfma_f32_16x16x16_bf16 a[0:3], v[26:27], v[28:29], a[0:3]
	ds_read_b64 v[46:47], v19 offset:3072
	s_waitcnt lgkmcnt(1)
	v_mfma_f32_16x16x16_bf16 a[4:7], v[26:27], v[40:41], a[4:7]
	global_load_dwordx4 v[24:27], v0, s[0:1]
	v_lshlrev_b32_e32 v0, 6, v53
	v_or3_b32 v0, v0, v36, s2
	global_load_dwordx4 v[36:39], v0, s[0:1]
	v_mfma_f32_16x16x16_bf16 a[0:3], v[32:33], v[30:31], a[0:3]
	v_mov_b32_e32 v0, 0x3fb8aa3b
	v_mul_f32_e32 v0, s22, v0
	v_exp_f32_e32 v0, v0
	v_mfma_f32_16x16x16_bf16 a[4:7], v[32:33], v[42:43], a[4:7]
	ds_read_b64 v[32:33], v18 offset:3072
	s_waitcnt vmcnt(1)
	v_mul_f32_e32 v18, 0x3fb8aa3b, v24
	v_mul_f32_e32 v19, 0x3fb8aa3b, v25
	s_waitcnt lgkmcnt(1)
	v_mfma_f32_16x16x16_bf16 a[0:3], v[44:45], v[46:47], a[0:3]
	v_exp_f32_e32 v18, v18
	v_exp_f32_e32 v19, v19
	v_mul_f32_e32 v24, 0x3fb8aa3b, v26
	v_mul_f32_e32 v25, 0x3fb8aa3b, v27
	v_exp_f32_e32 v24, v24
	v_exp_f32_e32 v25, v25
	s_nop 0
	v_accvgpr_read_b32 v27, a3
	v_accvgpr_read_b32 v26, a2
	s_waitcnt lgkmcnt(0)
	v_mfma_f32_16x16x16_bf16 a[2:5], v[44:45], v[32:33], a[4:7]
	v_pk_mul_f32 v[44:45], v[0:1], v[18:19] op_sel_hi:[0,1]
	v_add_u32_e32 v18, v48, v35
	ds_read_b64 v[48:49], v18 offset:16384
	v_accvgpr_read_b32 v19, a1
	v_accvgpr_read_b32 v18, a0
	v_pk_fma_f32 v[18:19], v[2:3], v[44:45], v[18:19]
	v_add_u32_e32 v2, v50, v35
	v_add_u32_e32 v50, v51, v35
	s_waitcnt lgkmcnt(0)
	v_mfma_f32_16x16x16_bf16 a[6:9], v[48:49], v[20:21], 0
	v_add_u32_e32 v35, v52, v35
	ds_read_b64 v[2:3], v2 offset:16384
	ds_read_b64 v[50:51], v50 offset:16384
	;; [unrolled: 1-line block ×3, first 2 shown]
	v_pk_mul_f32 v[24:25], v[0:1], v[24:25] op_sel_hi:[0,1]
	v_pk_fma_f32 v[20:21], v[4:5], v[24:25], v[26:27]
	v_accvgpr_read_b32 v4, a2
	v_mfma_f32_16x16x16_bf16 a[10:13], v[48:49], v[22:23], 0
	v_fma_f32 v26, v10, v44, v4
	v_accvgpr_read_b32 v4, a3
	v_fma_f32 v27, v11, v45, v4
	s_waitcnt lgkmcnt(2)
	v_mfma_f32_16x16x16_bf16 a[0:3], v[2:3], v[28:29], a[6:9]
	v_accvgpr_read_b32 v4, a4
	v_accvgpr_read_b32 v29, a5
	v_fma_f32 v28, v12, v24, v4
	v_mfma_f32_16x16x16_bf16 a[4:7], v[2:3], v[40:41], a[10:13]
	s_waitcnt vmcnt(0)
	v_mov_b32_e32 v2, v37
	v_mov_b32_e32 v3, v38
	;; [unrolled: 1-line block ×3, first 2 shown]
	s_waitcnt lgkmcnt(1)
	v_mfma_f32_16x16x16_bf16 a[0:3], v[50:51], v[30:31], a[0:3]
	v_mul_f32_e32 v2, 0x3fb8aa3b, v2
	v_mul_f32_e32 v5, 0x3fb8aa3b, v36
	v_exp_f32_e32 v11, v2
	v_mfma_f32_16x16x16_bf16 a[4:7], v[50:51], v[42:43], a[4:7]
	v_mul_f32_e32 v2, 0x3fb8aa3b, v3
	v_mul_f32_e32 v3, 0x3fb8aa3b, v4
	v_exp_f32_e32 v10, v5
	s_waitcnt lgkmcnt(0)
	v_mfma_f32_16x16x16_bf16 a[0:3], v[52:53], v[46:47], a[0:3]
	v_exp_f32_e32 v2, v2
	v_exp_f32_e32 v3, v3
	v_pk_mul_f32 v[10:11], v[0:1], v[10:11] op_sel_hi:[0,1]
	v_fmac_f32_e32 v29, v13, v25
	v_mov_b32_e32 v35, v34
	v_pk_mul_f32 v[2:3], v[0:1], v[2:3] op_sel_hi:[0,1]
	s_nop 0
	v_accvgpr_read_b32 v5, a3
	v_accvgpr_read_b32 v4, a2
	v_mfma_f32_16x16x16_bf16 a[2:5], v[52:53], v[32:33], a[4:7]
	v_accvgpr_read_b32 v13, a1
	v_accvgpr_read_b32 v12, a0
	v_pk_fma_f32 v[22:23], v[6:7], v[10:11], v[12:13]
	v_pk_fma_f32 v[24:25], v[8:9], v[2:3], v[4:5]
	s_nop 2
	v_accvgpr_read_b32 v0, a2
	v_fma_f32 v30, v14, v10, v0
	v_accvgpr_read_b32 v0, a3
	v_fma_f32 v31, v15, v11, v0
	v_accvgpr_read_b32 v0, a4
	v_accvgpr_read_b32 v33, a5
	v_fma_f32 v32, v16, v2, v0
	v_fmac_f32_e32 v33, v17, v3
	v_mov_b64_e32 v[2:3], v[18:19]
	v_mov_b64_e32 v[4:5], v[20:21]
	;; [unrolled: 1-line block ×8, first 2 shown]
.LBB341_86:
	s_mul_i32 s0, s49, s35
	s_mul_hi_u32 s1, s49, s34
	s_add_i32 s0, s1, s0
	s_mul_i32 s1, s33, s34
	s_add_i32 s1, s0, s1
	s_mul_i32 s0, s49, s34
	s_add_u32 s0, s0, s48
	s_addc_u32 s1, s1, s37
	s_lshl_b64 s[0:1], s[0:1], 15
	s_add_u32 s0, s8, s0
	v_lshlrev_b32_e32 v18, 7, v35
	s_addc_u32 s1, s9, s1
	v_ashrrev_i32_e32 v19, 31, v18
	v_lshl_add_u64 v[20:21], v[18:19], 1, s[0:1]
	v_lshlrev_b32_e32 v0, 1, v1
	v_mov_b32_e32 v1, 0
	s_mov_b32 s2, 0x7060302
	v_lshl_add_u64 v[20:21], v[20:21], 0, v[0:1]
	v_perm_b32 v5, v5, v4, s2
	v_perm_b32 v4, v3, v2, s2
	;; [unrolled: 1-line block ×4, first 2 shown]
	global_store_dwordx2 v[20:21], v[2:3], off offset:128
	v_or_b32_e32 v2, 0x800, v18
	v_ashrrev_i32_e32 v3, 31, v2
	v_lshl_add_u64 v[2:3], v[2:3], 1, s[0:1]
	v_lshl_add_u64 v[0:1], v[2:3], 0, v[0:1]
	v_perm_b32 v3, v13, v12, s2
	v_perm_b32 v2, v11, v10, s2
	global_store_dwordx2 v[0:1], v[2:3], off
	v_perm_b32 v3, v17, v16, s2
	v_perm_b32 v2, v15, v14, s2
	global_store_dwordx2 v[20:21], v[4:5], off
	global_store_dwordx2 v[0:1], v[2:3], off offset:128
	s_endpgm
	.section	.rodata,"a",@progbits
	.p2align	6, 0x0
	.amdhsa_kernel _ZN12_GLOBAL__N_139chunk_gated_delta_rule_fwd_h_hip_kernelILi32ELb0ELb1ELb1ELb1ELb0ELb1ELb0ELb1EEEvPK12hip_bfloat16S3_S3_PKfS5_PKvPS1_S8_PvPKiSB_iiiiilll
		.amdhsa_group_segment_fixed_size 49152
		.amdhsa_private_segment_fixed_size 0
		.amdhsa_kernarg_size 136
		.amdhsa_user_sgpr_count 2
		.amdhsa_user_sgpr_dispatch_ptr 0
		.amdhsa_user_sgpr_queue_ptr 0
		.amdhsa_user_sgpr_kernarg_segment_ptr 1
		.amdhsa_user_sgpr_dispatch_id 0
		.amdhsa_user_sgpr_kernarg_preload_length 0
		.amdhsa_user_sgpr_kernarg_preload_offset 0
		.amdhsa_user_sgpr_private_segment_size 0
		.amdhsa_uses_dynamic_stack 0
		.amdhsa_enable_private_segment 0
		.amdhsa_system_sgpr_workgroup_id_x 1
		.amdhsa_system_sgpr_workgroup_id_y 1
		.amdhsa_system_sgpr_workgroup_id_z 0
		.amdhsa_system_sgpr_workgroup_info 0
		.amdhsa_system_vgpr_workitem_id 0
		.amdhsa_next_free_vgpr 168
		.amdhsa_next_free_sgpr 70
		.amdhsa_accum_offset 144
		.amdhsa_reserve_vcc 1
		.amdhsa_float_round_mode_32 0
		.amdhsa_float_round_mode_16_64 0
		.amdhsa_float_denorm_mode_32 3
		.amdhsa_float_denorm_mode_16_64 3
		.amdhsa_dx10_clamp 1
		.amdhsa_ieee_mode 1
		.amdhsa_fp16_overflow 0
		.amdhsa_tg_split 0
		.amdhsa_exception_fp_ieee_invalid_op 0
		.amdhsa_exception_fp_denorm_src 0
		.amdhsa_exception_fp_ieee_div_zero 0
		.amdhsa_exception_fp_ieee_overflow 0
		.amdhsa_exception_fp_ieee_underflow 0
		.amdhsa_exception_fp_ieee_inexact 0
		.amdhsa_exception_int_div_zero 0
	.end_amdhsa_kernel
	.section	.text._ZN12_GLOBAL__N_139chunk_gated_delta_rule_fwd_h_hip_kernelILi32ELb0ELb1ELb1ELb1ELb0ELb1ELb0ELb1EEEvPK12hip_bfloat16S3_S3_PKfS5_PKvPS1_S8_PvPKiSB_iiiiilll,"axG",@progbits,_ZN12_GLOBAL__N_139chunk_gated_delta_rule_fwd_h_hip_kernelILi32ELb0ELb1ELb1ELb1ELb0ELb1ELb0ELb1EEEvPK12hip_bfloat16S3_S3_PKfS5_PKvPS1_S8_PvPKiSB_iiiiilll,comdat
.Lfunc_end341:
	.size	_ZN12_GLOBAL__N_139chunk_gated_delta_rule_fwd_h_hip_kernelILi32ELb0ELb1ELb1ELb1ELb0ELb1ELb0ELb1EEEvPK12hip_bfloat16S3_S3_PKfS5_PKvPS1_S8_PvPKiSB_iiiiilll, .Lfunc_end341-_ZN12_GLOBAL__N_139chunk_gated_delta_rule_fwd_h_hip_kernelILi32ELb0ELb1ELb1ELb1ELb0ELb1ELb0ELb1EEEvPK12hip_bfloat16S3_S3_PKfS5_PKvPS1_S8_PvPKiSB_iiiiilll
                                        ; -- End function
	.section	.AMDGPU.csdata,"",@progbits
; Kernel info:
; codeLenInByte = 10080
; NumSgprs: 76
; NumVgprs: 142
; NumAgprs: 24
; TotalNumVgprs: 168
; ScratchSize: 0
; MemoryBound: 0
; FloatMode: 240
; IeeeMode: 1
; LDSByteSize: 49152 bytes/workgroup (compile time only)
; SGPRBlocks: 9
; VGPRBlocks: 20
; NumSGPRsForWavesPerEU: 76
; NumVGPRsForWavesPerEU: 168
; AccumOffset: 144
; Occupancy: 1
; WaveLimiterHint : 1
; COMPUTE_PGM_RSRC2:SCRATCH_EN: 0
; COMPUTE_PGM_RSRC2:USER_SGPR: 2
; COMPUTE_PGM_RSRC2:TRAP_HANDLER: 0
; COMPUTE_PGM_RSRC2:TGID_X_EN: 1
; COMPUTE_PGM_RSRC2:TGID_Y_EN: 1
; COMPUTE_PGM_RSRC2:TGID_Z_EN: 0
; COMPUTE_PGM_RSRC2:TIDIG_COMP_CNT: 0
; COMPUTE_PGM_RSRC3_GFX90A:ACCUM_OFFSET: 35
; COMPUTE_PGM_RSRC3_GFX90A:TG_SPLIT: 0
	.section	.text._ZN12_GLOBAL__N_139chunk_gated_delta_rule_fwd_h_hip_kernelILi32ELb0ELb1ELb0ELb1ELb0ELb1ELb0ELb1EEEvPK12hip_bfloat16S3_S3_PKfS5_PKvPS1_S8_PvPKiSB_iiiiilll,"axG",@progbits,_ZN12_GLOBAL__N_139chunk_gated_delta_rule_fwd_h_hip_kernelILi32ELb0ELb1ELb0ELb1ELb0ELb1ELb0ELb1EEEvPK12hip_bfloat16S3_S3_PKfS5_PKvPS1_S8_PvPKiSB_iiiiilll,comdat
	.globl	_ZN12_GLOBAL__N_139chunk_gated_delta_rule_fwd_h_hip_kernelILi32ELb0ELb1ELb0ELb1ELb0ELb1ELb0ELb1EEEvPK12hip_bfloat16S3_S3_PKfS5_PKvPS1_S8_PvPKiSB_iiiiilll ; -- Begin function _ZN12_GLOBAL__N_139chunk_gated_delta_rule_fwd_h_hip_kernelILi32ELb0ELb1ELb0ELb1ELb0ELb1ELb0ELb1EEEvPK12hip_bfloat16S3_S3_PKfS5_PKvPS1_S8_PvPKiSB_iiiiilll
	.p2align	8
	.type	_ZN12_GLOBAL__N_139chunk_gated_delta_rule_fwd_h_hip_kernelILi32ELb0ELb1ELb0ELb1ELb0ELb1ELb0ELb1EEEvPK12hip_bfloat16S3_S3_PKfS5_PKvPS1_S8_PvPKiSB_iiiiilll,@function
_ZN12_GLOBAL__N_139chunk_gated_delta_rule_fwd_h_hip_kernelILi32ELb0ELb1ELb0ELb1ELb0ELb1ELb0ELb1EEEvPK12hip_bfloat16S3_S3_PKfS5_PKvPS1_S8_PvPKiSB_iiiiilll: ; @_ZN12_GLOBAL__N_139chunk_gated_delta_rule_fwd_h_hip_kernelILi32ELb0ELb1ELb0ELb1ELb0ELb1ELb0ELb1EEEvPK12hip_bfloat16S3_S3_PKfS5_PKvPS1_S8_PvPKiSB_iiiiilll
; %bb.0:
	s_load_dwordx4 s[16:19], s[0:1], 0x5c
	s_load_dwordx4 s[20:23], s[0:1], 0x70
	s_abs_i32 s27, s3
	s_ashr_i32 s26, s3, 31
	s_load_dwordx8 s[4:11], s[0:1], 0x0
	s_load_dwordx2 s[36:37], s[0:1], 0x20
	s_load_dwordx2 s[40:41], s[0:1], 0x30
	s_waitcnt lgkmcnt(0)
	s_abs_i32 s28, s17
	v_cvt_f32_u32_e32 v1, s28
	s_sub_i32 s29, 0, s28
	s_ashr_i32 s33, s17, 31
	s_xor_b32 s26, s26, s33
	v_rcp_iflag_f32_e32 v1, v1
	s_load_dwordx4 s[12:15], s[0:1], 0x40
	s_load_dwordx2 s[24:25], s[0:1], 0x50
	v_lshrrev_b32_e32 v53, 6, v0
	v_bfe_u32 v62, v0, 4, 2
	v_mul_f32_e32 v1, 0x4f7ffffe, v1
	v_cvt_u32_f32_e32 v1, v1
	v_lshlrev_b32_e32 v60, 4, v53
	v_lshlrev_b32_e32 v18, 2, v62
	v_and_b32_e32 v61, 63, v0
	v_readfirstlane_b32 s30, v1
	s_mul_i32 s29, s29, s30
	s_mul_hi_u32 s29, s30, s29
	s_add_i32 s30, s30, s29
	s_mul_hi_u32 s29, s27, s30
	s_mul_i32 s30, s29, s28
	s_sub_i32 s27, s27, s30
	s_add_i32 s30, s29, 1
	s_sub_i32 s31, s27, s28
	s_cmp_ge_u32 s27, s28
	s_cselect_b32 s29, s30, s29
	s_cselect_b32 s27, s31, s27
	s_add_i32 s30, s29, 1
	s_cmp_ge_u32 s27, s28
	s_cselect_b32 s27, s30, s29
	s_xor_b32 s27, s27, s26
	s_sub_i32 s34, s27, s26
	s_mul_i32 s26, s34, s17
	s_ashr_i32 s35, s34, 31
	s_sub_i32 s46, s3, s26
	s_lshl_b64 s[26:27], s[34:35], 2
	s_waitcnt lgkmcnt(0)
	s_add_u32 s14, s14, s26
	s_addc_u32 s15, s15, s27
	s_add_u32 s24, s24, s26
	s_addc_u32 s25, s25, s27
	s_abs_i32 s3, s18
	v_cvt_f32_u32_e32 v1, s3
	s_load_dwordx2 s[38:39], s[14:15], 0x0
	s_sub_i32 s15, 0, s3
	s_load_dword s52, s[24:25], 0x0
	v_rcp_iflag_f32_e32 v1, v1
	v_mov_b32_e32 v17, 0
	s_waitcnt lgkmcnt(0)
	s_sub_i32 s56, s39, s38
	s_ashr_i32 s14, s56, 31
	v_mul_f32_e32 v1, 0x4f7ffffe, v1
	v_cvt_u32_f32_e32 v1, v1
	s_lshr_b32 s14, s14, 26
	s_add_i32 s14, s56, s14
	s_ashr_i32 s51, s14, 6
	v_readfirstlane_b32 s26, v1
	s_mul_i32 s15, s15, s26
	s_mul_hi_u32 s15, s26, s15
	s_add_i32 s26, s26, s15
	s_mul_hi_u32 s15, s28, s26
	s_mul_i32 s26, s15, s3
	s_ashr_i32 s14, s18, 31
	s_sub_i32 s26, s28, s26
	s_xor_b32 s14, s33, s14
	s_add_i32 s27, s15, 1
	s_sub_i32 s28, s26, s3
	s_cmp_ge_u32 s26, s3
	s_cselect_b32 s15, s27, s15
	s_cselect_b32 s26, s28, s26
	s_add_i32 s27, s15, 1
	s_cmp_ge_u32 s26, s3
	s_cselect_b32 s3, s27, s15
	s_xor_b32 s3, s3, s14
	s_sub_i32 s3, s3, s14
	s_abs_i32 s26, s3
	v_cvt_f32_u32_e32 v1, s26
	s_load_dwordx2 s[14:15], s[0:1], 0x80
	s_xor_b32 s0, s46, s3
	s_sub_i32 s3, 0, s26
	v_rcp_iflag_f32_e32 v1, v1
	s_abs_i32 s1, s46
	s_ashr_i32 s0, s0, 31
	s_mov_b32 s47, s17
	v_mul_f32_e32 v1, 0x4f7ffffe, v1
	v_cvt_u32_f32_e32 v1, v1
	v_and_b32_e32 v63, 15, v0
	s_mul_hi_i32 s53, s46, s16
	s_mul_i32 s54, s46, s16
	v_readfirstlane_b32 s24, v1
	s_mul_i32 s3, s3, s24
	s_mul_hi_u32 s3, s24, s3
	s_add_i32 s24, s24, s3
	s_mul_hi_u32 s3, s1, s24
	s_mul_i32 s24, s3, s26
	s_sub_i32 s1, s1, s24
	s_add_i32 s24, s3, 1
	s_sub_i32 s25, s1, s26
	s_cmp_ge_u32 s1, s26
	s_cselect_b32 s3, s24, s3
	s_cselect_b32 s1, s25, s1
	s_add_i32 s24, s3, 1
	s_cmp_ge_u32 s1, s26
	s_cselect_b32 s1, s24, s3
	s_xor_b32 s1, s1, s0
	s_sub_i32 s55, s1, s0
	v_or_b32_e32 v1, v18, v60
	s_lshl_b32 s2, s2, 5
	v_or_b32_e32 v66, 64, v1
	s_cmp_lt_i32 s56, 64
	v_lshrrev_b32_e32 v65, 3, v61
	v_lshlrev_b32_e32 v64, 3, v0
	s_mul_i32 s48, s34, s21
	s_mul_hi_u32 s49, s34, s20
	s_mul_i32 s50, s35, s20
	s_mul_i32 s20, s34, s20
	v_mov_b32_e32 v16, v17
	v_mov_b32_e32 v15, v17
	;; [unrolled: 1-line block ×15, first 2 shown]
	s_cbranch_scc1 .LBB342_19
; %bb.1:
	s_ashr_i32 s58, s46, 31
	s_ashr_i32 s1, s38, 31
	s_add_u32 s0, s54, s38
	s_addc_u32 s1, s53, s1
	s_lshl_b64 s[0:1], s[0:1], 8
	v_and_b32_e32 v68, 56, v64
	s_add_u32 s24, s6, s0
	v_lshl_or_b32 v67, v53, 3, v65
	v_lshlrev_b32_e32 v2, 1, v68
	s_addc_u32 s0, s7, s1
	v_lshl_or_b32 v69, v67, 8, v2
	s_and_b32 s25, s0, 0xffff
	s_mov_b32 s27, 0x20000
	s_movk_i32 s26, 0x4000
	s_movk_i32 s0, 0x80
	v_or_b32_e32 v70, 0x2000, v69
	buffer_load_dwordx4 v[4:7], v69, s[24:27], 0 offen
	buffer_load_dwordx4 v[8:11], v69, s[24:27], s0 offen
	;; [unrolled: 1-line block ×4, first 2 shown]
	v_lshlrev_b32_e32 v3, 3, v67
	v_and_or_b32 v17, v0, 7, v3
	v_and_b32_e32 v3, 0x78, v3
	v_lshlrev_b32_e32 v17, 4, v17
	v_xor_b32_e32 v71, v17, v3
	v_mul_lo_u32 v16, v67, s19
	v_or_b32_e32 v72, 0x1000, v71
	v_xor_b32_e32 v3, 8, v71
	s_cmpk_eq_i32 s19, 0x80
	s_mov_b32 s57, s38
	v_xor_b32_e32 v17, 8, v72
	s_cselect_b64 s[0:1], -1, 0
	s_cmpk_lg_i32 s19, 0x80
	s_waitcnt vmcnt(3)
	ds_write_b64 v71, v[4:5] offset:24576
	ds_write_b64 v3, v[6:7] offset:24576
	s_waitcnt vmcnt(2)
	ds_write_b64 v71, v[8:9] offset:32768
	ds_write_b64 v3, v[10:11] offset:32768
	;; [unrolled: 3-line block ×4, first 2 shown]
	v_lshl_add_u32 v3, v16, 1, v68
	s_cbranch_scc0 .LBB342_3
; %bb.2:
	v_lshlrev_b32_e32 v5, 1, v3
	v_add_lshl_u32 v4, v3, s19, 1
	s_lshl_b32 s26, s19, 7
	v_lshl_or_b32 v2, v67, 9, v2
	s_cbranch_execz .LBB342_4
	s_branch .LBB342_5
.LBB342_3:
                                        ; implicit-def: $vgpr4
                                        ; implicit-def: $vgpr5
                                        ; implicit-def: $sgpr26
	v_lshl_or_b32 v2, v67, 9, v2
.LBB342_4:
	v_or_b32_e32 v4, 0x100, v2
	s_movk_i32 s26, 0x4000
	v_mov_b32_e32 v5, v2
.LBB342_5:
	s_mul_i32 s21, s38, s18
	s_ashr_i32 s59, s55, 31
	s_mul_hi_i32 s3, s38, s18
	s_add_u32 s24, s21, s55
	s_addc_u32 s25, s3, s59
	s_lshl_b64 s[24:25], s[24:25], 8
	s_add_u32 s24, s4, s24
	s_addc_u32 s3, s5, s25
	s_and_b32 s25, s3, 0xffff
	s_movk_i32 s60, 0x80
	buffer_load_dwordx4 v[6:9], v5, s[24:27], 0 offen
	buffer_load_dwordx4 v[10:13], v5, s[24:27], s60 offen
	;; [unrolled: 1-line block ×4, first 2 shown]
	v_and_b32_e32 v4, 6, v0
	v_lshlrev_b32_e32 v24, 6, v1
	v_or_b32_e32 v26, 16, v63
	v_xor_b32_e32 v27, v67, v4
	v_and_b32_e32 v5, 1, v0
	v_lshl_or_b32 v30, v63, 3, v24
	v_lshl_or_b32 v24, v26, 3, v24
	v_lshlrev_b32_e32 v27, 2, v27
	v_lshlrev_b32_e32 v19, 2, v63
	s_mul_i32 s3, s46, s23
	s_mul_hi_u32 s21, s46, s22
	v_or_b32_e32 v75, 0xa000, v24
	v_or_b32_e32 v76, 0xb000, v24
	v_xor_b32_e32 v24, 0x440, v27
	v_cmp_eq_u32_e32 vcc, 0, v5
	s_add_i32 s25, s49, s48
	s_mul_i32 s24, s58, s22
	v_xor_b32_e32 v28, v1, v19
	v_xor_b32_e32 v29, v66, v19
	v_cndmask_b32_e32 v5, v24, v27, vcc
	s_add_i32 s3, s21, s3
	s_add_i32 s21, s25, s50
	s_mov_b32 s61, 0x1000504
	v_lshlrev_b32_e32 v25, 8, v63
	v_lshlrev_b32_e32 v26, 8, v26
	;; [unrolled: 1-line block ×4, first 2 shown]
	v_lshl_or_b32 v4, v4, 10, v5
	s_add_i32 s25, s3, s24
	s_lshl_b64 s[28:29], s[20:21], 2
	s_mov_b32 s62, 0x3020706
	v_or_b32_e32 v73, 0xa000, v30
	v_or_b32_e32 v74, 0xb000, v30
	;; [unrolled: 1-line block ×5, first 2 shown]
	v_xor_b32_e32 v5, 8, v4
	v_xor_b32_e32 v25, 24, v4
	;; [unrolled: 1-line block ×4, first 2 shown]
	s_mul_i32 s24, s46, s22
	s_add_u32 s3, s10, s28
	v_or_b32_e32 v79, v26, v28
	v_xor_b32_e32 v24, 16, v4
	v_xor_b32_e32 v26, 32, v4
	;; [unrolled: 1-line block ×3, first 2 shown]
	v_add_u32_e32 v5, 0x80, v5
	v_add_u32_e32 v25, 0x80, v25
	;; [unrolled: 1-line block ×4, first 2 shown]
	s_addc_u32 s21, s11, s29
	s_lshl_b64 s[24:25], s[24:25], 2
	s_add_u32 s42, s3, s24
	s_movk_i32 s3, 0xf8
	s_addc_u32 s43, s21, s25
	s_lshl_b32 s30, s19, 7
	s_movk_i32 s28, 0x100
	v_mov_b32_e32 v55, 0
	v_lshlrev_b32_e32 v54, 4, v63
	v_cmp_gt_u32_e32 vcc, s28, v0
	s_mov_b32 s63, 0
	s_movk_i32 s21, 0x1000
	s_movk_i32 s26, 0x4000
	v_add_u32_e32 v94, v60, v18
	v_mov_b32_e32 v105, 0x3fb8aa3b
	v_mov_b32_e32 v106, v55
	;; [unrolled: 1-line block ×9, first 2 shown]
	s_waitcnt vmcnt(1)
	v_perm_b32 v30, v6, v14, s61
	s_waitcnt vmcnt(0)
	v_perm_b32 v31, v10, v20, s61
	v_perm_b32 v6, v6, v14, s62
	;; [unrolled: 1-line block ×15, first 2 shown]
	ds_write2st64_b32 v4, v30, v31 offset0:32 offset1:64
	ds_write2st64_b32 v5, v6, v10 offset0:32 offset1:64
	;; [unrolled: 1-line block ×8, first 2 shown]
	v_or_b32_e32 v4, v60, v63
	v_lshlrev_b32_e32 v4, 3, v4
	v_lshrrev_b32_e32 v6, 5, v61
	v_and_or_b32 v6, v4, s3, v6
	v_lshlrev_b32_e32 v6, 4, v6
	v_lshrrev_b32_e32 v5, 2, v61
	v_lshlrev_b32_e32 v11, 11, v53
	v_and_b32_e32 v4, 0x78, v4
	v_or_b32_e32 v10, 32, v6
	v_and_b32_e32 v7, 12, v5
	v_and_b32_e32 v5, 0x1000, v11
	v_xor_b32_e32 v8, v6, v4
	v_lshrrev_b32_e32 v9, 1, v61
	v_xor_b32_e32 v10, v10, v4
	v_or_b32_e32 v8, v8, v5
	v_and_b32_e32 v9, 8, v9
	v_lshlrev_b32_e32 v12, 7, v62
	v_or_b32_e32 v10, v10, v5
	v_xor_b32_e32 v81, v8, v9
	v_or_b32_e32 v8, v12, v19
	v_xor_b32_e32 v83, v10, v9
	v_or_b32_e32 v10, 64, v6
	v_or_b32_e32 v6, 0x60, v6
	s_ashr_i32 s3, s2, 31
	v_lshlrev_b32_e32 v8, 1, v8
	v_xor_b32_e32 v10, v10, v4
	v_xor_b32_e32 v4, v6, v4
	s_lshl_b64 s[24:25], s[2:3], 8
	v_or_b32_e32 v82, 0xa000, v8
	v_or_b32_e32 v84, 0xa080, v8
	;; [unrolled: 1-line block ×6, first 2 shown]
	s_add_u32 s24, s40, s24
	v_lshlrev_b32_e32 v8, 1, v63
	v_lshlrev_b32_e32 v19, 2, v0
	v_lshrrev_b32_e32 v22, 1, v0
	v_xor_b32_e32 v85, v10, v9
	v_xor_b32_e32 v86, v4, v9
	v_lshrrev_b32_e32 v10, 4, v0
	s_addc_u32 s25, s41, s25
	v_or_b32_e32 v9, 1, v8
	v_mov_b32_e32 v20, 0x4000
	v_mov_b32_e32 v21, 0x2000
	v_and_b32_e32 v22, 24, v22
	v_and_or_b32 v12, v19, 60, v12
	v_mov_b32_e32 v19, 0xb000
	v_xor_b32_e32 v15, v10, v8
	v_xor_b32_e32 v16, v9, v10
	v_lshl_add_u64 v[8:9], s[24:25], 0, v[54:55]
	v_lshlrev_b32_e32 v54, 8, v10
	v_cndmask_b32_e32 v20, v20, v21, vcc
	v_lshlrev_b32_e32 v21, 3, v53
	v_lshl_or_b32 v91, v12, 1, v19
	v_or_b32_e32 v12, 32, v22
	v_lshl_or_b32 v89, v15, 3, v54
	v_and_b32_e32 v15, 8, v0
	v_xor_b32_e32 v12, v21, v12
	v_cmp_eq_u32_e32 vcc, 0, v15
	v_or_b32_e32 v19, 0x440, v12
	v_and_b32_e32 v10, 7, v0
	v_cndmask_b32_e32 v12, v19, v12, vcc
	v_lshl_or_b32 v90, v16, 3, v54
	v_lshlrev_b32_e32 v16, 3, v10
	v_or_b32_e32 v12, v12, v11
	v_xor_b32_e32 v19, v12, v16
	v_or_b32_e32 v12, 64, v22
	v_xor_b32_e32 v12, v21, v12
	v_xor_b32_e32 v25, 0x440, v12
	v_cndmask_b32_e32 v12, v25, v12, vcc
	v_or_b32_e32 v12, v12, v11
	v_xor_b32_e32 v25, v12, v16
	v_or_b32_e32 v12, 0x60, v22
	v_xor_b32_e32 v23, v21, v22
	v_xor_b32_e32 v12, v21, v12
	v_or_b32_e32 v24, 0x440, v23
	v_xor_b32_e32 v21, 0x440, v12
	v_cndmask_b32_e32 v15, v24, v23, vcc
	v_cndmask_b32_e32 v12, v21, v12, vcc
	v_or_b32_e32 v15, v15, v11
	v_or_b32_e32 v11, v12, v11
	v_or_b32_e32 v4, s2, v63
	v_xor_b32_e32 v15, v15, v16
	v_xor_b32_e32 v11, v11, v16
	v_lshlrev_b32_e32 v6, 7, v1
	v_ashrrev_i32_e32 v5, 31, v4
	v_lshlrev_b32_e32 v13, 1, v3
	v_add_lshl_u32 v3, v3, s19, 1
	v_or_b32_e32 v14, 0x100, v2
	v_lshlrev_b32_e32 v17, 7, v10
	v_or_b32_e32 v10, v7, v60
	v_add_u32_e32 v23, v20, v15
	v_add_u32_e32 v24, v20, v19
	;; [unrolled: 1-line block ×4, first 2 shown]
	v_or3_b32 v12, v60, v7, 64
	v_add_u32_e32 v7, 0x4000, v15
	v_add_u32_e32 v15, 0x4000, v19
	;; [unrolled: 1-line block ×4, first 2 shown]
	v_cndmask_b32_e64 v92, v13, v2, s[0:1]
	v_cndmask_b32_e64 v93, v3, v14, s[0:1]
	v_lshl_add_u64 v[56:57], v[4:5], 1, s[8:9]
	v_lshl_add_u64 v[58:59], v[8:9], 0, v[54:55]
	s_mov_b32 s3, 0x7060302
	v_lshlrev_b32_e32 v54, 1, v6
	v_lshlrev_b32_e32 v95, 2, v10
	v_add_u32_e32 v96, v23, v17
	v_add_u32_e32 v97, v24, v17
	;; [unrolled: 1-line block ×4, first 2 shown]
	v_lshlrev_b32_e32 v100, 2, v12
	v_add_u32_e32 v101, v7, v17
	v_add_u32_e32 v102, v15, v17
	;; [unrolled: 1-line block ×4, first 2 shown]
	v_mov_b32_e32 v2, v55
	v_mov_b32_e32 v3, v55
	;; [unrolled: 1-line block ×8, first 2 shown]
	s_waitcnt lgkmcnt(0)
	s_barrier
.LBB342_6:                              ; =>This Inner Loop Header: Depth=1
	s_add_i32 s64, s63, 1
	s_cmp_lt_i32 s64, s51
	s_mov_b64 s[28:29], 0
	s_cselect_b64 s[44:45], -1, 0
	s_cmp_ge_i32 s64, s51
	s_mov_b64 s[24:25], 0
	s_cbranch_scc1 .LBB342_8
; %bb.7:                                ;   in Loop: Header=BB342_6 Depth=1
	s_add_i32 s0, s57, 64
	s_ashr_i32 s1, s0, 31
	s_add_u32 s0, s54, s0
	s_addc_u32 s1, s53, s1
	s_lshl_b64 s[0:1], s[0:1], 8
	s_add_u32 s24, s6, s0
	s_addc_u32 s25, s7, s1
.LBB342_8:                              ;   in Loop: Header=BB342_6 Depth=1
	v_cndmask_b32_e64 v10, 0, 1, s[44:45]
	v_cmp_ne_u32_e64 s[0:1], 1, v10
	s_andn2_b64 vcc, exec, s[44:45]
	s_cbranch_vccnz .LBB342_10
; %bb.9:                                ;   in Loop: Header=BB342_6 Depth=1
	s_add_i32 s28, s57, 64
	s_mul_hi_i32 s29, s28, s18
	s_mul_i32 s28, s28, s18
	s_add_u32 s28, s28, s55
	s_addc_u32 s29, s29, s59
	s_lshl_b64 s[28:29], s[28:29], 8
	s_add_u32 s28, s4, s28
	s_addc_u32 s29, s5, s29
.LBB342_10:                             ;   in Loop: Header=BB342_6 Depth=1
	v_perm_b32 v11, v5, v4, s3
	v_perm_b32 v10, v3, v2, s3
	;; [unrolled: 1-line block ×4, first 2 shown]
	ds_write_b64 v73, v[10:11]
	ds_write_b64 v74, v[12:13]
	;; [unrolled: 1-line block ×4, first 2 shown]
	v_perm_b32 v11, v113, v108, s3
	v_perm_b32 v10, v107, v106, s3
	;; [unrolled: 1-line block ×4, first 2 shown]
	ds_write_b64 v75, v[10:11]
	ds_write_b64 v76, v[12:13]
	;; [unrolled: 1-line block ×4, first 2 shown]
	s_waitcnt lgkmcnt(0)
	s_barrier
	ds_read_b64 v[14:15], v81 offset:24576
	ds_read2_b64 v[10:13], v82 offset1:16
	ds_read_b64 v[18:19], v84 offset:3072
	ds_read_b64 v[20:21], v82 offset:3072
	;; [unrolled: 1-line block ×3, first 2 shown]
	s_waitcnt lgkmcnt(3)
	v_mfma_f32_16x16x16_bf16 a[0:3], v[14:15], v[10:11], 0
	s_add_i32 s65, s57, 63
	s_ashr_i32 s31, s65, 31
	s_mul_i32 s44, s65, s15
	v_mfma_f32_16x16x16_bf16 a[4:7], v[14:15], v[12:13], 0
	ds_read2st64_b64 v[10:13], v82 offset0:2 offset1:4
	s_mul_hi_u32 s45, s65, s14
	s_add_i32 s44, s45, s44
	s_waitcnt lgkmcnt(0)
	v_mfma_f32_16x16x16_bf16 a[0:3], v[22:23], v[10:11], a[0:3]
	ds_read2st64_b64 v[14:17], v84 offset0:2 offset1:4
	ds_read_b64 v[10:11], v85 offset:24576
	s_mul_i32 s31, s31, s14
	s_add_i32 s45, s44, s31
	s_waitcnt lgkmcnt(1)
	v_mfma_f32_16x16x16_bf16 a[4:7], v[22:23], v[14:15], a[4:7]
	ds_read_b64 v[14:15], v86 offset:24576
	s_mul_i32 s44, s65, s14
	s_lshl_b64 s[44:45], s[44:45], 2
	s_waitcnt lgkmcnt(1)
	v_mfma_f32_16x16x16_bf16 a[0:3], v[10:11], v[12:13], a[0:3]
	s_add_u32 s44, s42, s44
	s_addc_u32 s45, s43, s45
	s_and_b64 vcc, exec, s[0:1]
	v_mfma_f32_16x16x16_bf16 a[4:7], v[10:11], v[16:17], a[4:7]
	v_mov_b32_e32 v116, 0
	v_mov_b32_e32 v115, 0
	;; [unrolled: 1-line block ×3, first 2 shown]
	s_waitcnt lgkmcnt(0)
	v_mfma_f32_16x16x16_bf16 a[0:3], v[14:15], v[20:21], a[0:3]
	v_mov_b32_e32 v10, 0
	v_mov_b32_e32 v11, 0
	;; [unrolled: 1-line block ×3, first 2 shown]
	v_mfma_f32_16x16x16_bf16 a[4:7], v[14:15], v[18:19], a[4:7]
	v_mov_b32_e32 v13, 0
	v_mov_b32_e32 v14, 0
	;; [unrolled: 1-line block ×13, first 2 shown]
	s_cbranch_vccnz .LBB342_12
; %bb.11:                               ;   in Loop: Header=BB342_6 Depth=1
	s_and_b32 s25, s25, 0xffff
	buffer_load_dwordx4 v[22:25], v69, s[24:27], 0 offen
	buffer_load_dwordx4 v[18:21], v69, s[24:27], s60 offen
	;; [unrolled: 1-line block ×4, first 2 shown]
	v_mov_b32_e32 v115, v71
	v_mov_b32_e32 v114, v72
.LBB342_12:                             ;   in Loop: Header=BB342_6 Depth=1
	ds_read_b64 v[30:31], v81 offset:32768
	ds_read2_b64 v[26:29], v87 offset1:16
	ds_read_b64 v[34:35], v83 offset:32768
	ds_read_b64 v[36:37], v85 offset:32768
	;; [unrolled: 1-line block ×3, first 2 shown]
	v_add_u32_e32 v40, s57, v94
	s_waitcnt lgkmcnt(3)
	v_mfma_f32_16x16x16_bf16 a[0:3], v[30:31], v[26:27], a[0:3]
	v_mul_lo_u32 v41, v40, s15
	v_mov_b32_e32 v117, 0
	v_mfma_f32_16x16x16_bf16 a[4:7], v[30:31], v[28:29], a[4:7]
	ds_read2st64_b64 v[26:29], v87 offset0:2 offset1:4
	ds_read2st64_b64 v[30:33], v88 offset0:2 offset1:4
	s_waitcnt lgkmcnt(1)
	v_mfma_f32_16x16x16_bf16 a[0:3], v[34:35], v[26:27], a[0:3]
	v_ashrrev_i32_e32 v26, 31, v40
	v_mul_lo_u32 v42, v26, s14
	v_mad_u64_u32 v[26:27], s[24:25], v40, s14, 0
	v_mfma_f32_16x16x16_bf16 a[0:3], v[36:37], v[28:29], a[0:3]
	v_add_u32_e32 v28, 1, v40
	v_ashrrev_i32_e32 v29, 31, v28
	v_add3_u32 v27, v27, v41, v42
	s_waitcnt lgkmcnt(0)
	v_mfma_f32_16x16x16_bf16 a[4:7], v[34:35], v[30:31], a[4:7]
	v_mul_lo_u32 v30, v29, s14
	v_mul_lo_u32 v31, v28, s15
	v_mad_u64_u32 v[28:29], s[24:25], v28, s14, 0
	v_add3_u32 v29, v29, v31, v30
	v_add_u32_e32 v30, 2, v40
	v_ashrrev_i32_e32 v31, 31, v30
	v_mul_lo_u32 v34, v31, s14
	v_mul_lo_u32 v35, v30, s15
	v_mad_u64_u32 v[30:31], s[24:25], v30, s14, 0
	v_add3_u32 v31, v31, v35, v34
	v_add_u32_e32 v34, 3, v40
	v_ashrrev_i32_e32 v35, 31, v34
	v_mul_lo_u32 v40, v35, s14
	v_mul_lo_u32 v41, v34, s15
	v_mad_u64_u32 v[34:35], s[24:25], v34, s14, 0
	v_add3_u32 v35, v35, v41, v40
	s_ashr_i32 s25, s57, 31
	v_lshl_add_u64 v[26:27], v[26:27], 2, s[42:43]
	v_lshl_add_u64 v[34:35], v[34:35], 2, s[42:43]
	s_add_u32 s24, s54, s57
	v_lshl_add_u64 v[28:29], v[28:29], 2, s[42:43]
	v_lshl_add_u64 v[30:31], v[30:31], 2, s[42:43]
	global_load_dword v40, v[26:27], off
	global_load_dword v41, v[28:29], off
	;; [unrolled: 1-line block ×3, first 2 shown]
	s_nop 0
	global_load_dword v34, v[34:35], off
	s_addc_u32 s25, s53, s25
	s_lshl_b64 s[24:25], s[24:25], 8
	v_lshl_add_u64 v[26:27], v[56:57], 0, s[24:25]
	v_lshl_add_u64 v[26:27], v[26:27], 0, v[54:55]
	global_load_ushort v35, v[26:27], off offset:256
	global_load_ushort v43, v[26:27], off
	global_load_ushort v44, v[26:27], off offset:768
	global_load_ushort v45, v[26:27], off offset:512
	ds_read_b64 v[28:29], v87 offset:3072
	ds_read_b64 v[30:31], v88 offset:3072
	global_load_ushort v46, v[26:27], off offset:800
	global_load_ushort v47, v[26:27], off offset:544
	;; [unrolled: 1-line block ×4, first 2 shown]
	s_load_dword s24, s[44:45], 0x0
	v_mfma_f32_16x16x16_bf16 a[4:7], v[36:37], v[32:33], a[4:7]
	s_and_b64 vcc, exec, s[0:1]
	s_waitcnt vmcnt(11) lgkmcnt(0)
	v_sub_f32_e32 v32, s24, v40
	v_mfma_f32_16x16x16_bf16 a[0:3], v[38:39], v[28:29], a[0:3]
	s_waitcnt vmcnt(10)
	v_sub_f32_e32 v37, s24, v41
	v_mul_f32_e32 v36, 0x3fb8aa3b, v32
	v_mul_f32_e32 v37, 0x3fb8aa3b, v37
	v_mfma_f32_16x16x16_bf16 a[4:7], v[38:39], v[30:31], a[4:7]
	s_waitcnt vmcnt(9)
	v_sub_f32_e32 v38, s24, v42
	s_waitcnt vmcnt(8)
	v_sub_f32_e32 v39, s24, v34
	v_mul_f32_e32 v38, 0x3fb8aa3b, v38
	v_mul_f32_e32 v39, 0x3fb8aa3b, v39
	v_exp_f32_e32 v36, v36
	v_exp_f32_e32 v37, v37
	;; [unrolled: 1-line block ×4, first 2 shown]
	v_accvgpr_read_b32 v31, a1
	v_accvgpr_read_b32 v27, a3
	;; [unrolled: 1-line block ×4, first 2 shown]
	s_waitcnt vmcnt(7)
	v_lshlrev_b32_e32 v33, 16, v35
	s_waitcnt vmcnt(6)
	v_lshlrev_b32_e32 v32, 16, v43
	;; [unrolled: 2-line block ×4, first 2 shown]
	v_pk_add_f32 v[30:31], v[32:33], v[30:31] neg_lo:[0,1] neg_hi:[0,1]
	v_pk_add_f32 v[26:27], v[34:35], v[26:27] neg_lo:[0,1] neg_hi:[0,1]
	v_pk_mul_f32 v[30:31], v[36:37], v[30:31]
	v_pk_mul_f32 v[26:27], v[38:39], v[26:27]
	v_accvgpr_read_b32 v33, a5
	v_perm_b32 v27, v27, v26, s3
	v_perm_b32 v26, v31, v30, s3
	s_waitcnt vmcnt(1)
	v_lshlrev_b32_e32 v31, 16, v48
	s_waitcnt vmcnt(0)
	v_lshlrev_b32_e32 v30, 16, v49
	v_accvgpr_read_b32 v32, a4
	v_accvgpr_read_b32 v29, a7
	v_accvgpr_read_b32 v28, a6
	v_pk_add_f32 v[30:31], v[30:31], v[32:33] neg_lo:[0,1] neg_hi:[0,1]
	v_lshlrev_b32_e32 v33, 16, v46
	v_lshlrev_b32_e32 v32, 16, v47
	v_pk_add_f32 v[28:29], v[32:33], v[28:29] neg_lo:[0,1] neg_hi:[0,1]
	v_pk_mul_f32 v[30:31], v[36:37], v[30:31]
	v_pk_mul_f32 v[28:29], v[38:39], v[28:29]
	v_mov_b32_e32 v32, 0
	v_perm_b32 v29, v29, v28, s3
	v_perm_b32 v28, v31, v30, s3
	ds_write2_b64 v74, v[26:27], v[28:29] offset1:16
	v_mov_b32_e32 v26, 0
	v_mov_b32_e32 v27, 0
	;; [unrolled: 1-line block ×15, first 2 shown]
	s_cbranch_vccnz .LBB342_14
; %bb.13:                               ;   in Loop: Header=BB342_6 Depth=1
	s_and_b32 s29, s29, 0xffff
	s_mov_b32 s31, s27
	buffer_load_dwordx4 v[38:41], v92, s[28:31], 0 offen
	buffer_load_dwordx4 v[30:33], v92, s[28:31], s60 offen
	;; [unrolled: 1-line block ×4, first 2 shown]
	v_mov_b32_e32 v116, v68
	v_mov_b32_e32 v117, v67
.LBB342_14:                             ;   in Loop: Header=BB342_6 Depth=1
	s_waitcnt lgkmcnt(0)
	s_barrier
	ds_read_b64 v[46:47], v96
	ds_read_b64 v[122:123], v91
	;; [unrolled: 1-line block ×5, first 2 shown]
	ds_read_b64 v[136:137], v88 offset:3072
	ds_read2_b64 v[42:45], v87 offset0:16 offset1:128
	s_waitcnt lgkmcnt(5)
	v_mfma_f32_16x16x16_bf16 a[0:3], v[46:47], v[122:123], 0
	ds_read2st64_b64 v[48:51], v88 offset0:2 offset1:4
	s_add_i32 s25, s52, s63
	s_mul_hi_i32 s29, s25, s47
	s_waitcnt lgkmcnt(1)
	v_mfma_f32_16x16x16_bf16 a[4:7], v[46:47], v[42:43], 0
	ds_read_b64 v[46:47], v101
	s_mul_i32 s25, s25, s47
	s_add_u32 s28, s25, s46
	s_waitcnt lgkmcnt(1)
	v_mfma_f32_16x16x16_bf16 a[4:7], v[124:125], v[48:49], a[4:7]
	s_addc_u32 s29, s29, s58
	s_lshl_b64 s[28:29], s[28:29], 15
	s_mul_i32 s31, s65, s47
	s_mul_hi_i32 s25, s65, s47
	s_add_u32 s44, s31, s46
	v_mfma_f32_16x16x16_bf16 a[8:11], v[126:127], v[50:51], a[4:7]
	s_addc_u32 s45, s25, s58
	ds_read2st64_b64 v[118:121], v87 offset0:4 offset1:6
	s_lshl_b64 s[44:45], s[44:45], 9
	s_waitcnt lgkmcnt(1)
	v_mfma_f32_16x16x16_bf16 a[4:7], v[46:47], v[122:123], 0
	s_add_u32 s44, s36, s44
	s_addc_u32 s45, s37, s45
	v_mfma_f32_16x16x16_bf16 a[0:3], v[124:125], v[44:45], a[0:3]
	ds_read_b64 v[124:125], v102
	ds_read_b64 v[132:133], v103
	;; [unrolled: 1-line block ×3, first 2 shown]
	v_mfma_f32_16x16x16_bf16 a[12:15], v[46:47], v[42:43], 0
	s_waitcnt lgkmcnt(2)
	v_mfma_f32_16x16x16_bf16 a[4:7], v[124:125], v[44:45], a[4:7]
	global_load_dwordx4 v[42:45], v100, s[44:45]
	v_mfma_f32_16x16x16_bf16 a[12:15], v[124:125], v[48:49], a[12:15]
	global_load_dwordx4 v[46:49], v95, s[44:45]
	ds_read2st64_b64 v[122:125], v89 offset1:8
	s_waitcnt lgkmcnt(0)
	v_mov_b32_e32 v130, v122
	v_mfma_f32_16x16x16_bf16 a[0:3], v[126:127], v[118:119], a[0:3]
	ds_read2st64_b64 v[126:129], v90 offset1:8
	v_mov_b32_e32 v131, v123
	v_mfma_f32_16x16x16_bf16 a[16:19], v[132:133], v[118:119], a[4:7]
	v_lshl_add_u64 v[118:119], v[58:59], 0, s[28:29]
	v_mfma_f32_16x16x16_bf16 a[20:23], v[132:133], v[50:51], a[12:15]
	v_add_co_u32_e32 v50, vcc, s21, v118
	s_waitcnt lgkmcnt(0)
	v_mov_b32_e32 v132, v126
	v_mfma_f32_16x16x16_bf16 a[4:7], v[134:135], v[120:121], a[0:3]
	v_mov_b32_e32 v133, v127
	v_mov_b32_e32 v126, v124
	;; [unrolled: 1-line block ×3, first 2 shown]
	v_mfma_f32_16x16x16_bf16 a[8:11], v[134:135], v[136:137], a[8:11]
	v_addc_co_u32_e32 v51, vcc, 0, v119, vcc
	global_store_dwordx4 v[50:51], v[126:129], off
	v_mfma_f32_16x16x16_bf16 a[12:15], v[138:139], v[120:121], a[16:19]
	s_and_b64 vcc, exec, s[0:1]
	global_store_dwordx4 v[118:119], v[130:133], off
	s_waitcnt vmcnt(3)
	v_mov_b32_e32 v52, v45
	v_mfma_f32_16x16x16_bf16 a[0:3], v[138:139], v[136:137], a[20:23]
	v_mov_b32_e32 v51, v44
	v_mov_b32_e32 v50, v43
	s_cbranch_vccnz .LBB342_16
; %bb.15:                               ;   in Loop: Header=BB342_6 Depth=1
	v_lshrrev_b32_e32 v43, 3, v116
	v_and_b32_e32 v43, 6, v43
	v_xor_b32_e32 v44, v43, v117
	v_lshlrev_b32_e32 v44, 2, v44
	v_and_b32_e32 v45, 8, v116
	v_xor_b32_e32 v116, 0x440, v44
	v_cmp_eq_u32_e32 vcc, 0, v45
	v_perm_b32 v45, v30, v26, s61
	s_nop 0
	v_cndmask_b32_e32 v44, v116, v44, vcc
	v_lshl_or_b32 v43, v43, 10, v44
	v_perm_b32 v44, v38, v34, s61
	s_barrier
	ds_write2st64_b32 v43, v44, v45 offset0:32 offset1:64
	v_xor_b32_e32 v44, 8, v43
	v_perm_b32 v34, v38, v34, s62
	v_perm_b32 v26, v30, v26, s62
	v_add_u32_e32 v30, 0x80, v44
	ds_write2st64_b32 v30, v34, v26 offset0:32 offset1:64
	v_xor_b32_e32 v26, 16, v43
	v_perm_b32 v30, v39, v35, s61
	v_perm_b32 v34, v31, v27, s61
	ds_write2st64_b32 v26, v30, v34 offset0:33 offset1:65
	v_xor_b32_e32 v26, 24, v43
	v_perm_b32 v30, v39, v35, s62
	v_perm_b32 v27, v31, v27, s62
	v_add_u32_e32 v26, 0x80, v26
	ds_write2st64_b32 v26, v30, v27 offset0:33 offset1:65
	v_xor_b32_e32 v26, 32, v43
	v_perm_b32 v27, v40, v36, s61
	v_perm_b32 v30, v32, v28, s61
	;; [unrolled: 9-line block ×3, first 2 shown]
	ds_write2st64_b32 v26, v27, v28 offset0:35 offset1:67
	v_xor_b32_e32 v26, 56, v43
	v_perm_b32 v27, v41, v37, s62
	v_perm_b32 v28, v33, v29, s62
	v_add_u32_e32 v26, 0x80, v26
	ds_write2st64_b32 v26, v27, v28 offset0:35 offset1:67
	ds_write_b64 v115, v[22:23] offset:24576
	v_xor_b32_e32 v22, 8, v115
	ds_write_b64 v22, v[24:25] offset:24576
	ds_write_b64 v115, v[18:19] offset:32768
	ds_write_b64 v22, v[20:21] offset:32768
	ds_write_b64 v114, v[14:15] offset:24576
	v_xor_b32_e32 v14, 8, v114
	ds_write_b64 v14, v[16:17] offset:24576
	ds_write_b64 v114, v[10:11] offset:32768
	;; [unrolled: 1-line block ×3, first 2 shown]
.LBB342_16:                             ;   in Loop: Header=BB342_6 Depth=1
	v_mul_f32_e32 v14, s24, v105
	v_exp_f32_e32 v26, v14
	s_waitcnt vmcnt(2)
	v_mul_f32_e32 v14, 0x3fb8aa3b, v46
	v_exp_f32_e32 v28, v14
	v_mul_f32_e32 v14, 0x3fb8aa3b, v47
	v_exp_f32_e32 v29, v14
	v_mul_f32_e32 v14, 0x3fb8aa3b, v48
	v_exp_f32_e32 v30, v14
	v_mul_f32_e32 v14, 0x3fb8aa3b, v49
	v_exp_f32_e32 v31, v14
	v_accvgpr_read_b32 v21, a7
	v_accvgpr_read_b32 v19, a5
	v_accvgpr_read_b32 v18, a4
	v_accvgpr_read_b32 v13, a11
	v_pk_mul_f32 v[28:29], v[26:27], v[28:29] op_sel_hi:[0,1]
	v_accvgpr_read_b32 v12, a10
	v_pk_fma_f32 v[2:3], v[2:3], v[28:29], v[18:19]
	v_pk_mul_f32 v[18:19], v[26:27], v[30:31] op_sel_hi:[0,1]
	v_accvgpr_read_b32 v20, a6
	v_accvgpr_read_b32 v11, a9
	v_accvgpr_read_b32 v10, a8
	v_fma_f32 v108, v108, v18, v12
	v_mul_f32_e32 v12, 0x3fb8aa3b, v51
	v_pk_fma_f32 v[4:5], v[4:5], v[18:19], v[20:21]
	v_fma_f32 v106, v106, v28, v10
	v_fma_f32 v107, v107, v29, v11
	v_mul_f32_e32 v10, 0x3fb8aa3b, v42
	v_mul_f32_e32 v11, 0x3fb8aa3b, v50
	v_exp_f32_e32 v20, v12
	v_mul_f32_e32 v12, 0x3fb8aa3b, v52
	v_exp_f32_e32 v10, v10
	v_exp_f32_e32 v11, v11
	;; [unrolled: 1-line block ×3, first 2 shown]
	v_accvgpr_read_b32 v25, a15
	v_accvgpr_read_b32 v17, a3
	;; [unrolled: 1-line block ×8, first 2 shown]
	v_fmac_f32_e32 v13, v113, v19
	v_pk_mul_f32 v[10:11], v[26:27], v[10:11] op_sel_hi:[0,1]
	v_pk_mul_f32 v[18:19], v[26:27], v[20:21] op_sel_hi:[0,1]
	s_add_i32 s57, s57, 64
	v_pk_fma_f32 v[6:7], v[6:7], v[10:11], v[22:23]
	v_pk_fma_f32 v[8:9], v[8:9], v[18:19], v[24:25]
	v_fma_f32 v109, v109, v10, v14
	v_fma_f32 v110, v110, v11, v15
	;; [unrolled: 1-line block ×3, first 2 shown]
	s_cmp_eq_u32 s51, s64
	v_fmac_f32_e32 v17, v112, v19
	s_cbranch_scc1 .LBB342_18
; %bb.17:                               ;   in Loop: Header=BB342_6 Depth=1
	s_mov_b32 s63, s64
	v_mov_b32_e32 v113, v13
	v_mov_b32_e32 v112, v17
	s_branch .LBB342_6
.LBB342_18:
	v_mov_b32_e32 v16, v111
	v_mov_b32_e32 v15, v110
	;; [unrolled: 1-line block ×6, first 2 shown]
.LBB342_19:
	s_lshl_b32 s3, s51, 6
	s_sub_i32 s56, s56, s3
	s_cmp_gt_i32 s56, 0
	v_or_b32_e32 v34, s2, v63
	s_cbranch_scc1 .LBB342_21
; %bb.20:
	s_ashr_i32 s29, s46, 31
	v_or_b32_e32 v35, s2, v63
	s_cbranch_execz .LBB342_22
	s_branch .LBB342_86
.LBB342_21:
                                        ; implicit-def: $vgpr35
                                        ; implicit-def: $sgpr28_sgpr29
.LBB342_22:
	s_add_i32 s28, s3, s38
	s_ashr_i32 s3, s28, 31
	s_cmpk_lg_i32 s19, 0x80
	s_cselect_b64 s[42:43], -1, 0
	s_and_b64 vcc, exec, s[42:43]
	s_cbranch_vccz .LBB342_24
; %bb.23:
	s_mul_hi_i32 s0, s28, s18
	s_mul_i32 s1, s28, s18
	s_ashr_i32 s18, s55, 31
	s_add_u32 s44, s1, s55
	s_addc_u32 s45, s0, s18
	s_cbranch_execz .LBB342_25
	s_branch .LBB342_26
.LBB342_24:
                                        ; implicit-def: $sgpr44_sgpr45
.LBB342_25:
	s_mul_i32 s1, s55, s16
	s_mul_hi_i32 s0, s55, s16
	s_add_u32 s44, s1, s28
	s_addc_u32 s45, s0, s3
.LBB342_26:
	s_add_i32 s16, s51, s52
	s_ashr_i32 s29, s46, 31
	s_add_u32 s0, s54, s28
	v_lshlrev_b32_e32 v22, 5, v1
	v_lshlrev_b32_e32 v40, 2, v63
	s_addc_u32 s1, s53, s3
	s_mov_b32 s3, 0x7060302
	v_or_b32_e32 v25, v22, v40
	v_xor_b32_e32 v23, v1, v40
	v_perm_b32 v19, v5, v4, s3
	v_perm_b32 v18, v3, v2, s3
	;; [unrolled: 1-line block ×4, first 2 shown]
	v_lshlrev_b32_e32 v25, 1, v25
	v_xor_b32_e32 v24, v66, v40
	ds_write2st64_b64 v25, v[18:19], v[20:21] offset0:80 offset1:88
	v_lshlrev_b32_e32 v23, 1, v23
	v_lshlrev_b32_e32 v25, 8, v63
	s_lshl_b64 s[30:31], s[0:1], 8
	v_or_b32_e32 v26, v23, v25
	v_lshlrev_b32_e32 v24, 1, v24
	s_add_u32 s0, s6, s30
	ds_write_b64 v26, v[18:19]
	v_or_b32_e32 v18, v24, v25
	s_addc_u32 s1, s7, s31
	ds_write_b64 v18, v[20:21]
	v_perm_b32 v19, v13, v12, s3
	v_perm_b32 v18, v11, v10, s3
	;; [unrolled: 1-line block ×4, first 2 shown]
	v_or_b32_e32 v25, 16, v63
	s_mul_hi_i32 s3, s16, s17
	s_mul_i32 s16, s16, s17
	v_lshlrev_b32_e32 v37, 2, v25
	s_add_u32 s6, s16, s46
	v_or_b32_e32 v22, v22, v37
	s_addc_u32 s7, s3, s29
	v_lshlrev_b32_e32 v22, 1, v22
	s_ashr_i32 s3, s2, 31
	s_lshl_b64 s[6:7], s[6:7], 15
	ds_write2st64_b64 v22, v[18:19], v[20:21] offset0:80 offset1:88
	v_lshlrev_b32_e32 v22, 8, v25
	s_add_u32 s6, s40, s6
	v_or_b32_e32 v23, v23, v22
	s_addc_u32 s7, s41, s7
	s_lshl_b64 s[2:3], s[2:3], 8
	ds_write_b64 v23, v[18:19]
	v_or_b32_e32 v18, v24, v22
	s_add_u32 s2, s6, s2
	ds_write_b64 v18, v[20:21]
	v_lshrrev_b32_e32 v18, 4, v0
	s_addc_u32 s3, s7, s3
	v_lshlrev_b32_e32 v19, 1, v63
	v_lshlrev_b32_e32 v26, 4, v63
	v_mov_b32_e32 v27, 0
	v_or_b32_e32 v20, 1, v19
	v_xor_b32_e32 v19, v18, v19
	v_lshl_add_u64 v[28:29], s[2:3], 0, v[26:27]
	v_lshlrev_b32_e32 v26, 8, v18
	v_xor_b32_e32 v22, v20, v18
	v_lshl_or_b32 v18, v19, 3, v26
	s_waitcnt lgkmcnt(0)
	s_barrier
	ds_read2st64_b64 v[18:21], v18 offset1:8
	v_lshl_or_b32 v22, v22, 3, v26
	ds_read2st64_b64 v[22:25], v22 offset1:8
	v_lshl_add_u64 v[30:31], v[28:29], 0, v[26:27]
	s_movk_i32 s2, 0x1000
	s_waitcnt lgkmcnt(1)
	v_mov_b32_e32 v26, v18
	v_add_co_u32_e32 v18, vcc, s2, v30
	s_cmp_lg_u32 s56, 64
	v_mov_b32_e32 v27, v19
	v_addc_co_u32_e32 v19, vcc, 0, v31, vcc
	s_cselect_b64 s[6:7], -1, 0
	v_lshl_or_b32 v35, v53, 3, v65
	s_waitcnt lgkmcnt(0)
	v_mov_b32_e32 v28, v22
	v_mov_b32_e32 v29, v23
	;; [unrolled: 1-line block ×4, first 2 shown]
	s_mov_b32 s24, 0
	v_or_b32_e32 v38, 32, v35
	v_and_b32_e32 v36, 56, v64
	s_and_b64 vcc, exec, s[6:7]
	global_store_dwordx4 v[30:31], v[26:29], off
	global_store_dwordx4 v[18:19], v[22:25], off
	s_cbranch_vccz .LBB342_32
; %bb.27:
	s_mov_b32 s25, s24
	s_mov_b32 s26, s24
	;; [unrolled: 1-line block ×3, first 2 shown]
	v_mov_b64_e32 v[22:23], s[24:25]
	v_mov_b64_e32 v[24:25], s[26:27]
	;; [unrolled: 1-line block ×3, first 2 shown]
	v_cmp_gt_i32_e32 vcc, s56, v35
	v_mov_b64_e32 v[20:21], v[24:25]
	s_and_saveexec_b64 s[2:3], vcc
	s_cbranch_execz .LBB342_29
; %bb.28:
	v_lshlrev_b32_e32 v18, 8, v35
	v_mov_b32_e32 v19, 0
	v_lshl_add_u64 v[20:21], s[0:1], 0, v[18:19]
	v_lshlrev_b32_e32 v18, 1, v36
	v_lshl_add_u64 v[26:27], v[20:21], 0, v[18:19]
	global_load_dwordx4 v[22:25], v[26:27], off
	global_load_dwordx4 v[18:21], v[26:27], off offset:128
.LBB342_29:
	s_or_b64 exec, exec, s[2:3]
	s_mov_b32 s26, s24
	s_mov_b32 s27, s24
	;; [unrolled: 1-line block ×3, first 2 shown]
	v_mov_b64_e32 v[32:33], s[26:27]
	v_mov_b64_e32 v[30:31], s[24:25]
	;; [unrolled: 1-line block ×3, first 2 shown]
	v_cmp_gt_i32_e32 vcc, s56, v38
	v_lshlrev_b32_e32 v39, 7, v38
	v_mov_b64_e32 v[28:29], v[32:33]
	s_and_saveexec_b64 s[2:3], vcc
	s_cbranch_execz .LBB342_31
; %bb.30:
	v_lshlrev_b32_e32 v26, 1, v39
	v_mov_b32_e32 v27, 0
	v_lshl_add_u64 v[28:29], s[0:1], 0, v[26:27]
	v_lshlrev_b32_e32 v26, 1, v36
	v_lshl_add_u64 v[42:43], v[28:29], 0, v[26:27]
	global_load_dwordx4 v[30:33], v[42:43], off
	global_load_dwordx4 v[26:29], v[42:43], off offset:128
.LBB342_31:
	s_or_b64 exec, exec, s[2:3]
	v_lshrrev_b32_e32 v41, 3, v36
	v_lshlrev_b32_e32 v42, 3, v35
	v_or_b32_e32 v41, v42, v41
	v_lshlrev_b32_e32 v41, 4, v41
	v_and_b32_e32 v42, 0x78, v42
	v_xor_b32_e32 v41, v41, v42
	s_branch .LBB342_34
.LBB342_32:
                                        ; implicit-def: $vgpr41
                                        ; implicit-def: $vgpr39
                                        ; implicit-def: $vgpr22_vgpr23_vgpr24_vgpr25
                                        ; implicit-def: $vgpr18_vgpr19_vgpr20_vgpr21
                                        ; implicit-def: $vgpr30_vgpr31_vgpr32_vgpr33
                                        ; implicit-def: $vgpr26_vgpr27_vgpr28_vgpr29
	s_cbranch_execz .LBB342_34
; %bb.33:
	s_waitcnt vmcnt(0)
	v_lshlrev_b32_e32 v18, 1, v36
	v_lshl_or_b32 v39, v35, 8, v18
	s_and_b32 s1, s1, 0xffff
	s_mov_b32 s3, 0x20000
	s_movk_i32 s2, 0x4000
	v_lshl_or_b32 v41, v38, 8, v18
	s_movk_i32 s16, 0x80
	buffer_load_dwordx4 v[22:25], v39, s[0:3], 0 offen
	buffer_load_dwordx4 v[18:21], v39, s[0:3], s16 offen
	;; [unrolled: 1-line block ×4, first 2 shown]
	v_lshrrev_b32_e32 v39, 3, v36
	v_lshlrev_b32_e32 v41, 3, v35
	v_or_b32_e32 v39, v41, v39
	v_lshlrev_b32_e32 v39, 4, v39
	v_and_b32_e32 v41, 0x78, v41
	v_xor_b32_e32 v41, v39, v41
	v_lshlrev_b32_e32 v39, 7, v38
.LBB342_34:
	s_lshl_b64 s[0:1], s[44:45], 8
	s_add_u32 s4, s4, s0
	s_movk_i32 s0, 0x1000
	v_and_or_b32 v38, v39, s0, v41
	s_waitcnt vmcnt(1)
	ds_write_b64 v41, v[22:23] offset:24576
	v_xor_b32_e32 v22, 8, v41
	ds_write_b64 v22, v[24:25] offset:24576
	s_waitcnt vmcnt(0)
	ds_write_b64 v41, v[18:19] offset:32768
	ds_write_b64 v22, v[20:21] offset:32768
	;; [unrolled: 1-line block ×3, first 2 shown]
	v_xor_b32_e32 v18, 8, v38
	ds_write_b64 v18, v[32:33] offset:24576
	ds_write_b64 v38, v[26:27] offset:32768
	;; [unrolled: 1-line block ×3, first 2 shown]
	v_or_b32_e32 v18, v60, v63
	v_lshlrev_b32_e32 v18, 3, v18
	v_lshrrev_b32_e32 v19, 5, v61
	s_movk_i32 s18, 0xf8
	v_and_or_b32 v19, v18, s18, v19
	v_lshlrev_b32_e32 v23, 4, v19
	v_lshlrev_b32_e32 v41, 11, v53
	v_and_b32_e32 v24, 0x78, v18
	v_or_b32_e32 v26, 32, v23
	v_and_b32_e32 v22, 0x1000, v41
	v_lshrrev_b32_e32 v19, 1, v61
	v_xor_b32_e32 v26, v26, v24
	v_xor_b32_e32 v18, v23, v24
	v_and_b32_e32 v25, 8, v19
	v_or_b32_e32 v26, v26, v22
	v_or_b32_e32 v18, v18, v22
	v_xor_b32_e32 v45, v26, v25
	v_or_b32_e32 v26, 64, v23
	v_xor_b32_e32 v44, v18, v25
	v_xor_b32_e32 v26, v26, v24
	s_waitcnt lgkmcnt(0)
	s_barrier
	v_or_b32_e32 v28, v26, v22
	ds_read_b64 v[26:27], v44 offset:24576
	v_lshl_or_b32 v38, v62, 7, v40
	v_lshlrev_b32_e32 v42, 1, v38
	v_add_u32_e32 v18, 0xa000, v42
	ds_read2_b64 v[18:21], v18 offset1:16
	v_or_b32_e32 v23, 0x60, v23
	v_xor_b32_e32 v23, v23, v24
	s_waitcnt lgkmcnt(0)
	v_mfma_f32_16x16x16_bf16 a[0:3], v[26:27], v[18:19], 0
	v_or_b32_e32 v18, 64, v38
	v_or_b32_e32 v22, v23, v22
	v_lshlrev_b32_e32 v43, 1, v18
	v_xor_b32_e32 v46, v28, v25
	v_xor_b32_e32 v47, v22, v25
	ds_read_b64 v[28:29], v45 offset:24576
	ds_read_b64 v[30:31], v46 offset:24576
	;; [unrolled: 1-line block ×3, first 2 shown]
	v_mfma_f32_16x16x16_bf16 a[4:7], v[26:27], v[20:21], 0
	ds_read2st64_b64 v[18:21], v43 offset0:82 offset1:84
	ds_read2st64_b64 v[22:25], v42 offset0:82 offset1:84
	s_addc_u32 s5, s5, s1
	s_add_i32 s16, s39, -1
	s_add_i32 s0, s49, s48
	s_add_i32 s21, s0, s50
	s_mul_i32 s0, s46, s23
	s_mul_hi_u32 s1, s46, s22
	s_ashr_i32 s2, s16, 31
	s_mul_i32 s3, s16, s15
	s_mul_hi_u32 s18, s16, s14
	s_add_i32 s0, s1, s0
	s_mul_i32 s1, s29, s22
	s_add_i32 s3, s18, s3
	s_mul_i32 s2, s2, s14
	s_waitcnt lgkmcnt(1)
	v_mfma_f32_16x16x16_bf16 a[4:7], v[28:29], v[18:19], a[4:7]
	s_add_i32 s1, s0, s1
	s_add_i32 s3, s3, s2
	s_lshl_b64 s[20:21], s[20:21], 2
	s_waitcnt lgkmcnt(0)
	v_mfma_f32_16x16x16_bf16 a[0:3], v[28:29], v[22:23], a[0:3]
	s_mul_i32 s0, s46, s22
	s_add_u32 s10, s10, s20
	s_addc_u32 s11, s11, s21
	s_lshl_b64 s[0:1], s[0:1], 2
	s_mul_i32 s2, s16, s14
	s_add_u32 s10, s10, s0
	ds_read_b64 v[18:19], v42 offset:44032
	v_mfma_f32_16x16x16_bf16 a[4:7], v[30:31], v[20:21], a[4:7]
	ds_read_b64 v[20:21], v43 offset:44032
	s_addc_u32 s11, s11, s1
	s_lshl_b64 s[0:1], s[2:3], 2
	v_mfma_f32_16x16x16_bf16 a[0:3], v[30:31], v[24:25], a[0:3]
	s_add_u32 s0, s10, s0
	s_addc_u32 s1, s11, s1
	s_load_dword s18, s[0:1], 0x0
	s_waitcnt lgkmcnt(0)
	v_mfma_f32_16x16x16_bf16 a[0:3], v[32:33], v[18:19], a[0:3]
	s_and_b64 vcc, exec, s[42:43]
	v_mfma_f32_16x16x16_bf16 a[4:7], v[32:33], v[20:21], a[4:7]
	s_cbranch_vccz .LBB342_45
; %bb.35:
	v_lshlrev_b32_e32 v38, 1, v35
	s_and_b64 vcc, exec, s[6:7]
	s_cbranch_vccz .LBB342_46
; %bb.36:
	v_cmp_gt_i32_e32 vcc, s56, v38
	v_mov_b32_e32 v22, 0
	v_mov_b32_e32 v18, 0
	;; [unrolled: 1-line block ×5, first 2 shown]
	s_and_saveexec_b64 s[0:1], vcc
	s_cbranch_execz .LBB342_38
; %bb.37:
	v_mad_i64_i32 v[18:19], s[2:3], s19, v38, 0
	v_lshl_add_u64 v[18:19], v[18:19], 1, s[4:5]
	v_lshlrev_b32_e32 v20, 1, v36
	v_mov_b32_e32 v21, 0
	v_lshl_add_u64 v[18:19], v[18:19], 0, v[20:21]
	global_load_dwordx4 v[18:21], v[18:19], off
.LBB342_38:
	s_or_b64 exec, exec, s[0:1]
	v_or_b32_e32 v39, 1, v38
	v_cmp_gt_i32_e64 s[0:1], s56, v39
	v_mov_b32_e32 v23, 0
	v_mov_b32_e32 v24, 0
	;; [unrolled: 1-line block ×3, first 2 shown]
	s_and_saveexec_b64 s[2:3], s[0:1]
	s_cbranch_execz .LBB342_40
; %bb.39:
	v_mad_i64_i32 v[22:23], s[20:21], s19, v39, 0
	v_lshl_add_u64 v[22:23], v[22:23], 1, s[4:5]
	v_lshlrev_b32_e32 v24, 1, v36
	v_mov_b32_e32 v25, 0
	v_lshl_add_u64 v[22:23], v[22:23], 0, v[24:25]
	global_load_dwordx4 v[22:25], v[22:23], off
.LBB342_40:
	s_or_b64 exec, exec, s[2:3]
	v_mov_b32_e32 v33, 0
	v_mov_b32_e32 v26, 0
	;; [unrolled: 1-line block ×5, first 2 shown]
	s_and_saveexec_b64 s[2:3], vcc
	s_cbranch_execz .LBB342_42
; %bb.41:
	v_mad_i64_i32 v[26:27], s[20:21], s19, v38, 0
	v_lshl_add_u64 v[26:27], v[26:27], 1, s[4:5]
	v_lshlrev_b32_e32 v28, 1, v36
	v_mov_b32_e32 v29, 0
	v_lshl_add_u64 v[26:27], v[26:27], 0, v[28:29]
	global_load_dwordx4 v[26:29], v[26:27], off offset:128
.LBB342_42:
	s_or_b64 exec, exec, s[2:3]
	v_mov_b32_e32 v32, 0
	v_mov_b32_e32 v31, 0
	;; [unrolled: 1-line block ×3, first 2 shown]
	s_and_saveexec_b64 s[2:3], s[0:1]
	s_cbranch_execz .LBB342_44
; %bb.43:
	v_mad_i64_i32 v[30:31], s[0:1], s19, v39, 0
	v_lshl_add_u64 v[30:31], v[30:31], 1, s[4:5]
	v_lshlrev_b32_e32 v32, 1, v36
	v_mov_b32_e32 v33, 0
	v_lshl_add_u64 v[30:31], v[30:31], 0, v[32:33]
	global_load_dwordx4 v[30:33], v[30:31], off offset:128
.LBB342_44:
	s_or_b64 exec, exec, s[2:3]
	s_branch .LBB342_48
.LBB342_45:
                                        ; implicit-def: $vgpr21
                                        ; implicit-def: $vgpr25
                                        ; implicit-def: $vgpr29
                                        ; implicit-def: $vgpr33
	v_lshrrev_b32_e32 v48, 2, v61
	s_branch .LBB342_49
.LBB342_46:
                                        ; implicit-def: $vgpr21
                                        ; implicit-def: $vgpr25
                                        ; implicit-def: $vgpr29
                                        ; implicit-def: $vgpr33
	s_cbranch_execz .LBB342_48
; %bb.47:
	s_waitcnt vmcnt(0)
	v_mad_u64_u32 v[18:19], s[0:1], v38, s19, v[36:37]
	v_lshlrev_b32_e32 v38, 1, v18
	s_lshl_b32 s2, s19, 7
	s_and_b32 s1, s5, 0xffff
	s_mov_b32 s3, 0x20000
	s_mov_b32 s0, s4
	v_add_lshl_u32 v39, v18, s19, 1
	s_movk_i32 s19, 0x80
	buffer_load_dwordx4 v[18:21], v38, s[0:3], 0 offen
	buffer_load_dwordx4 v[26:29], v38, s[0:3], s19 offen
	;; [unrolled: 1-line block ×4, first 2 shown]
.LBB342_48:
	v_lshrrev_b32_e32 v48, 2, v61
	s_cbranch_execnz .LBB342_61
.LBB342_49:
	s_and_b64 vcc, exec, s[6:7]
	s_cbranch_vccz .LBB342_59
; %bb.50:
	s_waitcnt vmcnt(0)
	v_lshlrev_b32_e32 v23, 1, v35
	v_cmp_gt_i32_e32 vcc, s56, v23
	v_mov_b32_e32 v22, 0
	v_lshlrev_b32_e32 v30, 9, v35
	v_mov_b32_e32 v18, 0
	v_mov_b32_e32 v19, 0
	;; [unrolled: 1-line block ×4, first 2 shown]
	s_and_saveexec_b64 s[0:1], vcc
	s_cbranch_execz .LBB342_52
; %bb.51:
	v_mov_b32_e32 v31, 0
	v_lshl_add_u64 v[18:19], s[4:5], 0, v[30:31]
	v_lshlrev_b32_e32 v20, 1, v36
	v_mov_b32_e32 v21, v31
	v_lshl_add_u64 v[18:19], v[18:19], 0, v[20:21]
	global_load_dwordx4 v[18:21], v[18:19], off
.LBB342_52:
	s_or_b64 exec, exec, s[0:1]
	v_or_b32_e32 v23, 1, v23
	v_cmp_gt_i32_e64 s[0:1], s56, v23
	v_lshlrev_b32_e32 v38, 8, v23
	v_mov_b32_e32 v23, 0
	v_mov_b32_e32 v24, 0
	;; [unrolled: 1-line block ×3, first 2 shown]
	s_and_saveexec_b64 s[2:3], s[0:1]
	s_cbranch_execz .LBB342_54
; %bb.53:
	v_mov_b32_e32 v39, 0
	v_lshl_add_u64 v[22:23], s[4:5], 0, v[38:39]
	v_lshlrev_b32_e32 v24, 1, v36
	v_mov_b32_e32 v25, v39
	v_lshl_add_u64 v[22:23], v[22:23], 0, v[24:25]
	global_load_dwordx4 v[22:25], v[22:23], off
.LBB342_54:
	s_or_b64 exec, exec, s[2:3]
	v_mov_b32_e32 v33, 0
	v_mov_b32_e32 v26, 0
	;; [unrolled: 1-line block ×5, first 2 shown]
	s_and_saveexec_b64 s[2:3], vcc
	s_cbranch_execz .LBB342_56
; %bb.55:
	v_mov_b32_e32 v31, 0
	v_lshl_add_u64 v[26:27], s[4:5], 0, v[30:31]
	v_lshlrev_b32_e32 v30, 1, v36
	v_lshl_add_u64 v[26:27], v[26:27], 0, v[30:31]
	global_load_dwordx4 v[26:29], v[26:27], off offset:128
.LBB342_56:
	s_or_b64 exec, exec, s[2:3]
	v_mov_b32_e32 v32, 0
	v_mov_b32_e32 v31, 0
	;; [unrolled: 1-line block ×3, first 2 shown]
	s_and_saveexec_b64 s[2:3], s[0:1]
	s_cbranch_execz .LBB342_58
; %bb.57:
	v_mov_b32_e32 v39, 0
	v_lshl_add_u64 v[30:31], s[4:5], 0, v[38:39]
	v_lshlrev_b32_e32 v38, 1, v36
	v_lshl_add_u64 v[30:31], v[30:31], 0, v[38:39]
	global_load_dwordx4 v[30:33], v[30:31], off offset:128
.LBB342_58:
	s_or_b64 exec, exec, s[2:3]
	s_branch .LBB342_61
.LBB342_59:
                                        ; implicit-def: $vgpr21
                                        ; implicit-def: $vgpr25
                                        ; implicit-def: $vgpr29
                                        ; implicit-def: $vgpr33
	s_cbranch_execz .LBB342_61
; %bb.60:
	s_waitcnt vmcnt(0)
	v_lshlrev_b32_e32 v18, 1, v36
	v_lshl_or_b32 v36, v35, 9, v18
	s_and_b32 s5, s5, 0xffff
	s_mov_b32 s7, 0x20000
	s_movk_i32 s6, 0x4000
	s_movk_i32 s0, 0x80
	buffer_load_dwordx4 v[18:21], v36, s[4:7], 0 offen
	buffer_load_dwordx4 v[22:25], v36, s[4:7], 0 offen offset:256
	buffer_load_dwordx4 v[26:29], v36, s[4:7], s0 offen
	buffer_load_dwordx4 v[30:33], v36, s[4:7], s0 offen offset:256
.LBB342_61:
	ds_read_b64 v[38:39], v44 offset:32768
	v_add_u32_e32 v36, 0xb000, v42
	ds_read2_b64 v[54:57], v36 offset1:16
	ds_read_b64 v[50:51], v45 offset:32768
	ds_read_b64 v[58:59], v46 offset:32768
	;; [unrolled: 1-line block ×3, first 2 shown]
	ds_read2st64_b64 v[44:47], v42 offset0:90 offset1:92
	v_and_b32_e32 v36, 12, v48
	v_and_b32_e32 v48, 6, v0
	v_xor_b32_e32 v35, v35, v48
	v_lshlrev_b32_e32 v35, 2, v35
	s_mov_b32 s0, 0x1000504
	s_waitcnt lgkmcnt(4)
	v_mfma_f32_16x16x16_bf16 a[0:3], v[38:39], v[54:55], a[0:3]
	s_mov_b32 s1, 0x3020706
	v_mfma_f32_16x16x16_bf16 a[4:7], v[38:39], v[56:57], a[4:7]
	ds_read2st64_b64 v[54:57], v43 offset0:90 offset1:92
	s_waitcnt lgkmcnt(1)
	v_mfma_f32_16x16x16_bf16 a[0:3], v[50:51], v[44:45], a[0:3]
	ds_read_b64 v[38:39], v42 offset:48128
	ds_read_b64 v[44:45], v43 offset:48128
	s_waitcnt lgkmcnt(2)
	v_mfma_f32_16x16x16_bf16 a[4:7], v[50:51], v[54:55], a[4:7]
	v_mfma_f32_16x16x16_bf16 a[0:3], v[58:59], v[46:47], a[0:3]
	v_and_b32_e32 v46, 1, v0
	v_xor_b32_e32 v47, 0x440, v35
	v_cmp_eq_u32_e32 vcc, 0, v46
	v_mfma_f32_16x16x16_bf16 a[8:11], v[58:59], v[56:57], a[4:7]
	s_nop 0
	v_cndmask_b32_e32 v35, v47, v35, vcc
	v_lshl_or_b32 v35, v48, 10, v35
	s_waitcnt lgkmcnt(1)
	v_mfma_f32_16x16x16_bf16 a[4:7], v[62:63], v[38:39], a[0:3]
	s_waitcnt vmcnt(0)
	v_perm_b32 v38, v18, v22, s0
	v_perm_b32 v39, v26, v30, s0
	ds_write2st64_b32 v35, v38, v39 offset0:32 offset1:64
	v_xor_b32_e32 v38, 8, v35
	v_perm_b32 v18, v18, v22, s1
	v_perm_b32 v22, v26, v30, s1
	v_add_u32_e32 v26, 0x80, v38
	ds_write2st64_b32 v26, v18, v22 offset0:32 offset1:64
	v_xor_b32_e32 v18, 16, v35
	v_perm_b32 v22, v19, v23, s0
	v_perm_b32 v26, v27, v31, s0
	ds_write2st64_b32 v18, v22, v26 offset0:33 offset1:65
	v_xor_b32_e32 v18, 24, v35
	v_perm_b32 v19, v19, v23, s1
	v_perm_b32 v22, v27, v31, s1
	v_add_u32_e32 v18, 0x80, v18
	ds_write2st64_b32 v18, v19, v22 offset0:33 offset1:65
	v_xor_b32_e32 v18, 32, v35
	v_perm_b32 v19, v20, v24, s0
	v_perm_b32 v22, v28, v32, s0
	ds_write2st64_b32 v18, v19, v22 offset0:34 offset1:66
	v_xor_b32_e32 v18, 40, v35
	s_waitcnt lgkmcnt(5)
	v_mfma_f32_16x16x16_bf16 a[0:3], v[62:63], v[44:45], a[8:11]
	v_perm_b32 v19, v20, v24, s1
	v_perm_b32 v20, v28, v32, s1
	v_add_u32_e32 v18, 0x80, v18
	ds_write2st64_b32 v18, v19, v20 offset0:34 offset1:66
	v_xor_b32_e32 v18, 48, v35
	v_perm_b32 v19, v21, v25, s0
	v_perm_b32 v20, v29, v33, s0
	ds_write2st64_b32 v18, v19, v20 offset0:35 offset1:67
	v_xor_b32_e32 v18, 56, v35
	v_or_b32_e32 v32, v36, v60
	v_perm_b32 v19, v21, v25, s1
	v_perm_b32 v20, v29, v33, s1
	v_add_u32_e32 v18, 0x80, v18
	v_cmp_gt_i32_e32 vcc, s56, v32
	v_mov_b32_e32 v33, 0
	v_mov_b32_e32 v39, 0
	ds_write2st64_b32 v18, v19, v20 offset0:35 offset1:67
	s_and_saveexec_b64 s[0:1], vcc
	s_cbranch_execz .LBB342_63
; %bb.62:
	v_add_u32_e32 v18, s28, v32
	v_ashrrev_i32_e32 v19, 31, v18
	v_mul_lo_u32 v20, v19, s14
	v_mul_lo_u32 v21, v18, s15
	v_mad_u64_u32 v[18:19], s[2:3], v18, s14, 0
	v_add3_u32 v19, v19, v21, v20
	v_lshl_add_u64 v[18:19], v[18:19], 2, s[10:11]
	global_load_dword v18, v[18:19], off
	s_waitcnt vmcnt(0)
	v_sub_f32_e32 v18, s18, v18
	v_mul_f32_e32 v18, 0x3fb8aa3b, v18
	v_exp_f32_e32 v39, v18
.LBB342_63:
	s_or_b64 exec, exec, s[0:1]
	v_or_b32_e32 v24, 1, v32
	v_cmp_gt_i32_e64 s[0:1], s56, v24
	s_and_saveexec_b64 s[2:3], s[0:1]
	s_cbranch_execz .LBB342_65
; %bb.64:
	v_add_u32_e32 v18, s28, v24
	v_ashrrev_i32_e32 v19, 31, v18
	v_mul_lo_u32 v20, v19, s14
	v_mul_lo_u32 v21, v18, s15
	v_mad_u64_u32 v[18:19], s[4:5], v18, s14, 0
	v_add3_u32 v19, v19, v21, v20
	v_lshl_add_u64 v[18:19], v[18:19], 2, s[10:11]
	global_load_dword v18, v[18:19], off
	s_waitcnt vmcnt(0)
	v_sub_f32_e32 v18, s18, v18
	v_mul_f32_e32 v18, 0x3fb8aa3b, v18
	v_exp_f32_e32 v33, v18
.LBB342_65:
	s_or_b64 exec, exec, s[2:3]
	v_or_b32_e32 v25, 2, v32
	v_cmp_gt_i32_e64 s[2:3], s56, v25
	v_mov_b32_e32 v38, 0
	v_mov_b32_e32 v44, 0
	s_and_saveexec_b64 s[4:5], s[2:3]
	s_cbranch_execz .LBB342_67
; %bb.66:
	v_add_u32_e32 v18, s28, v25
	v_ashrrev_i32_e32 v19, 31, v18
	v_mul_lo_u32 v20, v19, s14
	v_mul_lo_u32 v21, v18, s15
	v_mad_u64_u32 v[18:19], s[6:7], v18, s14, 0
	v_add3_u32 v19, v19, v21, v20
	v_lshl_add_u64 v[18:19], v[18:19], 2, s[10:11]
	global_load_dword v18, v[18:19], off
	s_waitcnt vmcnt(0)
	v_sub_f32_e32 v18, s18, v18
	v_mul_f32_e32 v18, 0x3fb8aa3b, v18
	v_exp_f32_e32 v44, v18
.LBB342_67:
	s_or_b64 exec, exec, s[4:5]
	v_or_b32_e32 v45, 3, v32
	v_cmp_gt_i32_e64 s[4:5], s56, v45
	s_and_saveexec_b64 s[6:7], s[4:5]
	s_cbranch_execz .LBB342_69
; %bb.68:
	v_add_u32_e32 v18, s28, v45
	v_ashrrev_i32_e32 v19, 31, v18
	v_mul_lo_u32 v20, v19, s14
	v_mul_lo_u32 v21, v18, s15
	v_mad_u64_u32 v[18:19], s[14:15], v18, s14, 0
	v_add3_u32 v19, v19, v21, v20
	v_lshl_add_u64 v[18:19], v[18:19], 2, s[10:11]
	global_load_dword v18, v[18:19], off
	s_waitcnt vmcnt(0)
	v_sub_f32_e32 v18, s18, v18
	v_mul_f32_e32 v18, 0x3fb8aa3b, v18
	v_exp_f32_e32 v38, v18
.LBB342_69:
	s_or_b64 exec, exec, s[6:7]
	s_add_u32 s6, s8, s30
	v_accvgpr_read_b32 v21, a7
	s_addc_u32 s7, s9, s31
	v_ashrrev_i32_e32 v35, 31, v34
	v_accvgpr_read_b32 v20, a6
	v_accvgpr_read_b32 v19, a5
	;; [unrolled: 1-line block ×3, first 2 shown]
	v_lshl_add_u64 v[22:23], v[34:35], 1, s[6:7]
	v_mov_b32_e32 v29, 0
	v_lshlrev_b32_e32 v26, 8, v32
	v_mov_b32_e32 v27, 0
	s_and_saveexec_b64 s[6:7], vcc
	s_cbranch_execz .LBB342_71
; %bb.70:
	v_mov_b32_e32 v27, 0
	v_lshl_add_u64 v[30:31], v[22:23], 0, v[26:27]
	global_load_ushort v27, v[30:31], off
	s_waitcnt vmcnt(0)
	v_lshlrev_b32_e32 v27, 16, v27
	v_sub_f32_e32 v18, v27, v18
	v_mul_f32_e32 v18, v39, v18
	v_lshrrev_b32_e32 v27, 16, v18
.LBB342_71:
	s_or_b64 exec, exec, s[6:7]
	v_lshlrev_b32_e32 v28, 8, v24
	s_and_saveexec_b64 s[6:7], s[0:1]
	s_cbranch_execz .LBB342_73
; %bb.72:
	v_mov_b32_e32 v29, 0
	v_lshl_add_u64 v[30:31], v[22:23], 0, v[28:29]
	global_load_ushort v18, v[30:31], off
	s_waitcnt vmcnt(0)
	v_lshlrev_b32_e32 v18, 16, v18
	v_sub_f32_e32 v18, v18, v19
	v_mul_f32_e32 v18, v33, v18
	v_lshrrev_b32_e32 v29, 16, v18
.LBB342_73:
	s_or_b64 exec, exec, s[6:7]
	v_mov_b32_e32 v46, 0
	v_lshlrev_b32_e32 v30, 8, v25
	v_mov_b32_e32 v31, 0
	s_and_saveexec_b64 s[6:7], s[2:3]
	s_cbranch_execz .LBB342_75
; %bb.74:
	v_mov_b32_e32 v31, 0
	v_lshl_add_u64 v[18:19], v[22:23], 0, v[30:31]
	global_load_ushort v18, v[18:19], off
	s_waitcnt vmcnt(0)
	v_lshlrev_b32_e32 v18, 16, v18
	v_sub_f32_e32 v18, v18, v20
	v_mul_f32_e32 v18, v44, v18
	v_lshrrev_b32_e32 v31, 16, v18
.LBB342_75:
	s_or_b64 exec, exec, s[6:7]
	v_lshlrev_b32_e32 v24, 8, v45
	s_and_saveexec_b64 s[6:7], s[4:5]
	s_cbranch_execz .LBB342_77
; %bb.76:
	v_mov_b32_e32 v25, 0
	v_lshl_add_u64 v[18:19], v[22:23], 0, v[24:25]
	global_load_ushort v18, v[18:19], off
	s_waitcnt vmcnt(0)
	v_lshlrev_b32_e32 v18, 16, v18
	v_sub_f32_e32 v18, v18, v21
	v_mul_f32_e32 v18, v38, v18
	v_lshrrev_b32_e32 v46, 16, v18
.LBB342_77:
	s_or_b64 exec, exec, s[6:7]
	v_lshlrev_b32_e32 v35, 5, v32
	v_accvgpr_read_b32 v21, a3
	s_mov_b32 s6, 0x5040100
	v_or_b32_e32 v25, v35, v40
	v_accvgpr_read_b32 v20, a2
	v_accvgpr_read_b32 v19, a1
	;; [unrolled: 1-line block ×3, first 2 shown]
	v_perm_b32 v47, v46, v31, s6
	v_perm_b32 v46, v29, v27, s6
	v_lshlrev_b32_e32 v25, 1, v25
	v_mov_b32_e32 v29, 0
	v_mov_b32_e32 v27, 0
	ds_write_b64 v25, v[46:47] offset:45056
	s_and_saveexec_b64 s[6:7], vcc
	s_cbranch_execz .LBB342_79
; %bb.78:
	v_mov_b32_e32 v27, 0
	v_lshl_add_u64 v[26:27], v[22:23], 0, v[26:27]
	global_load_ushort v25, v[26:27], off offset:32
	s_waitcnt vmcnt(0)
	v_lshlrev_b32_e32 v25, 16, v25
	v_sub_f32_e32 v18, v25, v18
	v_mul_f32_e32 v18, v39, v18
	v_lshrrev_b32_e32 v27, 16, v18
.LBB342_79:
	s_or_b64 exec, exec, s[6:7]
	s_and_saveexec_b64 s[6:7], s[0:1]
	s_cbranch_execz .LBB342_81
; %bb.80:
	v_mov_b32_e32 v29, 0
	v_lshl_add_u64 v[28:29], v[22:23], 0, v[28:29]
	global_load_ushort v18, v[28:29], off offset:32
	s_waitcnt vmcnt(0)
	v_lshlrev_b32_e32 v18, 16, v18
	v_sub_f32_e32 v18, v18, v19
	v_mul_f32_e32 v18, v33, v18
	v_lshrrev_b32_e32 v29, 16, v18
.LBB342_81:
	s_or_b64 exec, exec, s[6:7]
	v_mov_b32_e32 v25, 0
	v_mov_b32_e32 v26, 0
	s_and_saveexec_b64 s[0:1], s[2:3]
	s_cbranch_execz .LBB342_83
; %bb.82:
	v_mov_b32_e32 v31, 0
	v_lshl_add_u64 v[18:19], v[22:23], 0, v[30:31]
	global_load_ushort v18, v[18:19], off offset:32
	s_waitcnt vmcnt(0)
	v_lshlrev_b32_e32 v18, 16, v18
	v_sub_f32_e32 v18, v18, v20
	v_mul_f32_e32 v18, v44, v18
	v_lshrrev_b32_e32 v26, 16, v18
.LBB342_83:
	s_or_b64 exec, exec, s[0:1]
	v_or_b32_e32 v19, 0xb000, v42
	v_or_b32_e32 v18, 0xb000, v43
	s_and_saveexec_b64 s[0:1], s[4:5]
	s_cbranch_execz .LBB342_85
; %bb.84:
	v_mov_b32_e32 v25, 0
	v_lshl_add_u64 v[22:23], v[22:23], 0, v[24:25]
	global_load_ushort v20, v[22:23], off offset:32
	s_waitcnt vmcnt(0)
	v_lshlrev_b32_e32 v20, 16, v20
	v_sub_f32_e32 v20, v20, v21
	v_mul_f32_e32 v20, v38, v20
	v_lshrrev_b32_e32 v25, 16, v20
.LBB342_85:
	s_or_b64 exec, exec, s[0:1]
	s_mov_b32 s0, 0x5040100
	v_or_b32_e32 v22, v35, v37
	v_perm_b32 v21, v25, v26, s0
	v_perm_b32 v20, v29, v27, s0
	v_lshlrev_b32_e32 v22, 1, v22
	s_movk_i32 s2, 0x100
	ds_write_b64 v22, v[20:21] offset:45056
	v_and_b32_e32 v20, 7, v0
	v_and_b32_e32 v21, 8, v0
	v_cmp_gt_u32_e32 vcc, s2, v0
	v_lshrrev_b32_e32 v0, 1, v0
	v_lshlrev_b32_e32 v26, 3, v20
	v_lshlrev_b32_e32 v35, 7, v20
	v_mov_b32_e32 v20, 0x4000
	v_mov_b32_e32 v22, 0x2000
	v_lshlrev_b32_e32 v24, 3, v53
	v_and_b32_e32 v0, 24, v0
	v_cndmask_b32_e32 v27, v20, v22, vcc
	v_xor_b32_e32 v20, v24, v0
	v_or_b32_e32 v22, 0x440, v20
	v_cmp_eq_u32_e32 vcc, 0, v21
	v_or_b32_e32 v28, 32, v0
	v_xor_b32_e32 v28, v24, v28
	v_cndmask_b32_e32 v20, v22, v20, vcc
	v_or_b32_e32 v20, v20, v41
	v_xor_b32_e32 v50, v20, v26
	v_or_b32_e32 v29, 0x440, v28
	v_add3_u32 v25, v27, v50, v35
	v_cndmask_b32_e32 v28, v29, v28, vcc
	v_or_b32_e32 v29, 64, v0
	v_or_b32_e32 v0, 0x60, v0
	s_waitcnt lgkmcnt(0)
	s_barrier
	v_xor_b32_e32 v29, v24, v29
	v_xor_b32_e32 v0, v24, v0
	ds_read_b64 v[24:25], v25
	v_xor_b32_e32 v30, 0x440, v29
	ds_read2_b64 v[20:23], v19 offset1:16
	v_cndmask_b32_e32 v29, v30, v29, vcc
	v_xor_b32_e32 v30, 0x440, v0
	v_or_b32_e32 v28, v28, v41
	v_or_b32_e32 v29, v29, v41
	v_cndmask_b32_e32 v0, v30, v0, vcc
	v_xor_b32_e32 v51, v28, v26
	v_xor_b32_e32 v52, v29, v26
	v_or_b32_e32 v0, v0, v41
	v_add3_u32 v28, v27, v51, v35
	v_add3_u32 v29, v27, v52, v35
	v_xor_b32_e32 v54, v0, v26
	s_mul_i32 s0, s16, s17
	s_mul_hi_i32 s1, s16, s17
	v_add3_u32 v0, v27, v54, v35
	ds_read_b64 v[26:27], v28
	ds_read_b64 v[46:47], v29
	;; [unrolled: 1-line block ×3, first 2 shown]
	s_add_u32 s0, s0, s46
	ds_read2st64_b64 v[28:31], v19 offset0:2 offset1:4
	ds_read2st64_b64 v[38:41], v18 offset0:2 offset1:4
	s_waitcnt lgkmcnt(5)
	v_mfma_f32_16x16x16_bf16 a[0:3], v[24:25], v[20:21], 0
	s_addc_u32 s1, s1, s29
	s_lshl_b64 s[0:1], s[0:1], 9
	s_add_u32 s0, s36, s0
	v_mfma_f32_16x16x16_bf16 a[4:7], v[24:25], v[22:23], 0
	s_addc_u32 s1, s37, s1
	v_lshlrev_b32_e32 v0, 2, v32
	v_lshlrev_b32_e32 v32, 2, v36
	s_waitcnt lgkmcnt(1)
	v_mfma_f32_16x16x16_bf16 a[0:3], v[26:27], v[28:29], a[0:3]
	ds_read_b64 v[36:37], v18 offset:3072
	s_waitcnt lgkmcnt(1)
	v_mfma_f32_16x16x16_bf16 a[4:7], v[26:27], v[38:39], a[4:7]
	global_load_dwordx4 v[24:27], v0, s[0:1]
	v_lshlrev_b32_e32 v0, 6, v53
	v_or3_b32 v0, v0, v32, s2
	global_load_dwordx4 v[42:45], v0, s[0:1]
	ds_read_b64 v[32:33], v19 offset:3072
	v_mfma_f32_16x16x16_bf16 a[0:3], v[46:47], v[30:31], a[0:3]
	v_mov_b32_e32 v0, 0x3fb8aa3b
	v_mul_f32_e32 v0, s18, v0
	v_exp_f32_e32 v0, v0
	v_mfma_f32_16x16x16_bf16 a[4:7], v[46:47], v[40:41], a[4:7]
	s_waitcnt vmcnt(1)
	v_mul_f32_e32 v18, 0x3fb8aa3b, v24
	v_mul_f32_e32 v19, 0x3fb8aa3b, v25
	v_exp_f32_e32 v18, v18
	v_exp_f32_e32 v19, v19
	s_waitcnt lgkmcnt(0)
	v_mfma_f32_16x16x16_bf16 a[0:3], v[48:49], v[32:33], a[0:3]
	v_mul_f32_e32 v24, 0x3fb8aa3b, v26
	v_mul_f32_e32 v25, 0x3fb8aa3b, v27
	v_pk_mul_f32 v[46:47], v[0:1], v[18:19] op_sel_hi:[0,1]
	v_add_u32_e32 v18, v50, v35
	v_exp_f32_e32 v24, v24
	v_exp_f32_e32 v25, v25
	v_add_u32_e32 v50, v52, v35
	v_accvgpr_read_b32 v27, a3
	v_accvgpr_read_b32 v26, a2
	v_mfma_f32_16x16x16_bf16 a[2:5], v[48:49], v[36:37], a[4:7]
	ds_read_b64 v[48:49], v18 offset:16384
	v_accvgpr_read_b32 v19, a1
	v_accvgpr_read_b32 v18, a0
	v_pk_fma_f32 v[18:19], v[2:3], v[46:47], v[18:19]
	v_add_u32_e32 v2, v51, v35
	s_waitcnt lgkmcnt(0)
	v_mfma_f32_16x16x16_bf16 a[6:9], v[48:49], v[20:21], 0
	v_add_u32_e32 v35, v54, v35
	ds_read_b64 v[2:3], v2 offset:16384
	ds_read_b64 v[50:51], v50 offset:16384
	;; [unrolled: 1-line block ×3, first 2 shown]
	v_pk_mul_f32 v[24:25], v[0:1], v[24:25] op_sel_hi:[0,1]
	v_pk_fma_f32 v[20:21], v[4:5], v[24:25], v[26:27]
	v_accvgpr_read_b32 v4, a2
	v_mfma_f32_16x16x16_bf16 a[10:13], v[48:49], v[22:23], 0
	v_fma_f32 v26, v10, v46, v4
	v_accvgpr_read_b32 v4, a3
	v_fma_f32 v27, v11, v47, v4
	s_waitcnt lgkmcnt(2)
	v_mfma_f32_16x16x16_bf16 a[0:3], v[2:3], v[28:29], a[6:9]
	v_accvgpr_read_b32 v4, a4
	v_accvgpr_read_b32 v29, a5
	v_fma_f32 v28, v12, v24, v4
	v_mfma_f32_16x16x16_bf16 a[4:7], v[2:3], v[38:39], a[10:13]
	s_waitcnt vmcnt(0)
	v_mov_b32_e32 v2, v43
	v_mov_b32_e32 v3, v44
	;; [unrolled: 1-line block ×3, first 2 shown]
	s_waitcnt lgkmcnt(1)
	v_mfma_f32_16x16x16_bf16 a[0:3], v[50:51], v[30:31], a[0:3]
	v_mul_f32_e32 v2, 0x3fb8aa3b, v2
	v_mul_f32_e32 v5, 0x3fb8aa3b, v42
	v_exp_f32_e32 v11, v2
	v_mfma_f32_16x16x16_bf16 a[4:7], v[50:51], v[40:41], a[4:7]
	v_mul_f32_e32 v2, 0x3fb8aa3b, v3
	v_mul_f32_e32 v3, 0x3fb8aa3b, v4
	v_exp_f32_e32 v10, v5
	s_waitcnt lgkmcnt(0)
	v_mfma_f32_16x16x16_bf16 a[0:3], v[52:53], v[32:33], a[0:3]
	v_exp_f32_e32 v2, v2
	v_exp_f32_e32 v3, v3
	v_pk_mul_f32 v[10:11], v[0:1], v[10:11] op_sel_hi:[0,1]
	v_fmac_f32_e32 v29, v13, v25
	v_mov_b32_e32 v35, v34
	v_pk_mul_f32 v[2:3], v[0:1], v[2:3] op_sel_hi:[0,1]
	s_nop 0
	v_accvgpr_read_b32 v5, a3
	v_accvgpr_read_b32 v4, a2
	v_mfma_f32_16x16x16_bf16 a[2:5], v[52:53], v[36:37], a[4:7]
	v_accvgpr_read_b32 v13, a1
	v_accvgpr_read_b32 v12, a0
	v_pk_fma_f32 v[22:23], v[6:7], v[10:11], v[12:13]
	v_pk_fma_f32 v[24:25], v[8:9], v[2:3], v[4:5]
	s_nop 2
	v_accvgpr_read_b32 v0, a2
	v_fma_f32 v30, v14, v10, v0
	v_accvgpr_read_b32 v0, a3
	v_fma_f32 v31, v15, v11, v0
	v_accvgpr_read_b32 v0, a4
	v_accvgpr_read_b32 v33, a5
	v_fma_f32 v32, v16, v2, v0
	v_fmac_f32_e32 v33, v17, v3
	v_mov_b64_e32 v[2:3], v[18:19]
	v_mov_b64_e32 v[4:5], v[20:21]
	v_mov_b64_e32 v[6:7], v[22:23]
	v_mov_b64_e32 v[8:9], v[24:25]
	v_mov_b64_e32 v[10:11], v[26:27]
	v_mov_b64_e32 v[12:13], v[28:29]
	v_mov_b64_e32 v[14:15], v[30:31]
	v_mov_b64_e32 v[16:17], v[32:33]
.LBB342_86:
	s_mul_i32 s0, s47, s35
	s_mul_hi_u32 s1, s47, s34
	s_add_i32 s0, s1, s0
	s_mul_i32 s1, s33, s34
	s_add_i32 s1, s0, s1
	s_mul_i32 s0, s47, s34
	s_add_u32 s0, s0, s46
	s_addc_u32 s1, s1, s29
	s_lshl_b64 s[0:1], s[0:1], 15
	s_add_u32 s0, s12, s0
	v_lshlrev_b32_e32 v18, 7, v35
	s_addc_u32 s1, s13, s1
	v_ashrrev_i32_e32 v19, 31, v18
	v_lshl_add_u64 v[20:21], v[18:19], 1, s[0:1]
	v_lshlrev_b32_e32 v0, 1, v1
	v_mov_b32_e32 v1, 0
	s_mov_b32 s2, 0x7060302
	v_lshl_add_u64 v[20:21], v[20:21], 0, v[0:1]
	v_perm_b32 v5, v5, v4, s2
	v_perm_b32 v4, v3, v2, s2
	;; [unrolled: 1-line block ×4, first 2 shown]
	global_store_dwordx2 v[20:21], v[2:3], off offset:128
	v_or_b32_e32 v2, 0x800, v18
	v_ashrrev_i32_e32 v3, 31, v2
	v_lshl_add_u64 v[2:3], v[2:3], 1, s[0:1]
	v_lshl_add_u64 v[0:1], v[2:3], 0, v[0:1]
	v_perm_b32 v3, v13, v12, s2
	v_perm_b32 v2, v11, v10, s2
	global_store_dwordx2 v[0:1], v[2:3], off
	v_perm_b32 v3, v17, v16, s2
	v_perm_b32 v2, v15, v14, s2
	global_store_dwordx2 v[20:21], v[4:5], off
	global_store_dwordx2 v[0:1], v[2:3], off offset:128
	s_endpgm
	.section	.rodata,"a",@progbits
	.p2align	6, 0x0
	.amdhsa_kernel _ZN12_GLOBAL__N_139chunk_gated_delta_rule_fwd_h_hip_kernelILi32ELb0ELb1ELb0ELb1ELb0ELb1ELb0ELb1EEEvPK12hip_bfloat16S3_S3_PKfS5_PKvPS1_S8_PvPKiSB_iiiiilll
		.amdhsa_group_segment_fixed_size 49152
		.amdhsa_private_segment_fixed_size 0
		.amdhsa_kernarg_size 136
		.amdhsa_user_sgpr_count 2
		.amdhsa_user_sgpr_dispatch_ptr 0
		.amdhsa_user_sgpr_queue_ptr 0
		.amdhsa_user_sgpr_kernarg_segment_ptr 1
		.amdhsa_user_sgpr_dispatch_id 0
		.amdhsa_user_sgpr_kernarg_preload_length 0
		.amdhsa_user_sgpr_kernarg_preload_offset 0
		.amdhsa_user_sgpr_private_segment_size 0
		.amdhsa_uses_dynamic_stack 0
		.amdhsa_enable_private_segment 0
		.amdhsa_system_sgpr_workgroup_id_x 1
		.amdhsa_system_sgpr_workgroup_id_y 1
		.amdhsa_system_sgpr_workgroup_id_z 0
		.amdhsa_system_sgpr_workgroup_info 0
		.amdhsa_system_vgpr_workitem_id 0
		.amdhsa_next_free_vgpr 164
		.amdhsa_next_free_sgpr 66
		.amdhsa_accum_offset 140
		.amdhsa_reserve_vcc 1
		.amdhsa_float_round_mode_32 0
		.amdhsa_float_round_mode_16_64 0
		.amdhsa_float_denorm_mode_32 3
		.amdhsa_float_denorm_mode_16_64 3
		.amdhsa_dx10_clamp 1
		.amdhsa_ieee_mode 1
		.amdhsa_fp16_overflow 0
		.amdhsa_tg_split 0
		.amdhsa_exception_fp_ieee_invalid_op 0
		.amdhsa_exception_fp_denorm_src 0
		.amdhsa_exception_fp_ieee_div_zero 0
		.amdhsa_exception_fp_ieee_overflow 0
		.amdhsa_exception_fp_ieee_underflow 0
		.amdhsa_exception_fp_ieee_inexact 0
		.amdhsa_exception_int_div_zero 0
	.end_amdhsa_kernel
	.section	.text._ZN12_GLOBAL__N_139chunk_gated_delta_rule_fwd_h_hip_kernelILi32ELb0ELb1ELb0ELb1ELb0ELb1ELb0ELb1EEEvPK12hip_bfloat16S3_S3_PKfS5_PKvPS1_S8_PvPKiSB_iiiiilll,"axG",@progbits,_ZN12_GLOBAL__N_139chunk_gated_delta_rule_fwd_h_hip_kernelILi32ELb0ELb1ELb0ELb1ELb0ELb1ELb0ELb1EEEvPK12hip_bfloat16S3_S3_PKfS5_PKvPS1_S8_PvPKiSB_iiiiilll,comdat
.Lfunc_end342:
	.size	_ZN12_GLOBAL__N_139chunk_gated_delta_rule_fwd_h_hip_kernelILi32ELb0ELb1ELb0ELb1ELb0ELb1ELb0ELb1EEEvPK12hip_bfloat16S3_S3_PKfS5_PKvPS1_S8_PvPKiSB_iiiiilll, .Lfunc_end342-_ZN12_GLOBAL__N_139chunk_gated_delta_rule_fwd_h_hip_kernelILi32ELb0ELb1ELb0ELb1ELb0ELb1ELb0ELb1EEEvPK12hip_bfloat16S3_S3_PKfS5_PKvPS1_S8_PvPKiSB_iiiiilll
                                        ; -- End function
	.section	.AMDGPU.csdata,"",@progbits
; Kernel info:
; codeLenInByte = 9844
; NumSgprs: 72
; NumVgprs: 140
; NumAgprs: 24
; TotalNumVgprs: 164
; ScratchSize: 0
; MemoryBound: 0
; FloatMode: 240
; IeeeMode: 1
; LDSByteSize: 49152 bytes/workgroup (compile time only)
; SGPRBlocks: 8
; VGPRBlocks: 20
; NumSGPRsForWavesPerEU: 72
; NumVGPRsForWavesPerEU: 164
; AccumOffset: 140
; Occupancy: 1
; WaveLimiterHint : 1
; COMPUTE_PGM_RSRC2:SCRATCH_EN: 0
; COMPUTE_PGM_RSRC2:USER_SGPR: 2
; COMPUTE_PGM_RSRC2:TRAP_HANDLER: 0
; COMPUTE_PGM_RSRC2:TGID_X_EN: 1
; COMPUTE_PGM_RSRC2:TGID_Y_EN: 1
; COMPUTE_PGM_RSRC2:TGID_Z_EN: 0
; COMPUTE_PGM_RSRC2:TIDIG_COMP_CNT: 0
; COMPUTE_PGM_RSRC3_GFX90A:ACCUM_OFFSET: 34
; COMPUTE_PGM_RSRC3_GFX90A:TG_SPLIT: 0
	.section	.text._ZN12_GLOBAL__N_139chunk_gated_delta_rule_fwd_h_hip_kernelILi32ELb0ELb0ELb1ELb1ELb0ELb1ELb0ELb1EEEvPK12hip_bfloat16S3_S3_PKfS5_PKvPS1_S8_PvPKiSB_iiiiilll,"axG",@progbits,_ZN12_GLOBAL__N_139chunk_gated_delta_rule_fwd_h_hip_kernelILi32ELb0ELb0ELb1ELb1ELb0ELb1ELb0ELb1EEEvPK12hip_bfloat16S3_S3_PKfS5_PKvPS1_S8_PvPKiSB_iiiiilll,comdat
	.globl	_ZN12_GLOBAL__N_139chunk_gated_delta_rule_fwd_h_hip_kernelILi32ELb0ELb0ELb1ELb1ELb0ELb1ELb0ELb1EEEvPK12hip_bfloat16S3_S3_PKfS5_PKvPS1_S8_PvPKiSB_iiiiilll ; -- Begin function _ZN12_GLOBAL__N_139chunk_gated_delta_rule_fwd_h_hip_kernelILi32ELb0ELb0ELb1ELb1ELb0ELb1ELb0ELb1EEEvPK12hip_bfloat16S3_S3_PKfS5_PKvPS1_S8_PvPKiSB_iiiiilll
	.p2align	8
	.type	_ZN12_GLOBAL__N_139chunk_gated_delta_rule_fwd_h_hip_kernelILi32ELb0ELb0ELb1ELb1ELb0ELb1ELb0ELb1EEEvPK12hip_bfloat16S3_S3_PKfS5_PKvPS1_S8_PvPKiSB_iiiiilll,@function
_ZN12_GLOBAL__N_139chunk_gated_delta_rule_fwd_h_hip_kernelILi32ELb0ELb0ELb1ELb1ELb0ELb1ELb0ELb1EEEvPK12hip_bfloat16S3_S3_PKfS5_PKvPS1_S8_PvPKiSB_iiiiilll: ; @_ZN12_GLOBAL__N_139chunk_gated_delta_rule_fwd_h_hip_kernelILi32ELb0ELb0ELb1ELb1ELb0ELb1ELb0ELb1EEEvPK12hip_bfloat16S3_S3_PKfS5_PKvPS1_S8_PvPKiSB_iiiiilll
; %bb.0:
	s_load_dwordx4 s[16:19], s[0:1], 0x5c
	s_load_dwordx4 s[20:23], s[0:1], 0x70
	s_abs_i32 s25, s3
	s_ashr_i32 s24, s3, 31
	s_load_dwordx4 s[12:15], s[0:1], 0x30
	s_load_dwordx4 s[28:31], s[0:1], 0x48
	s_waitcnt lgkmcnt(0)
	s_abs_i32 s34, s17
	v_cvt_f32_u32_e32 v1, s34
	s_sub_i32 s26, 0, s34
	s_ashr_i32 s35, s17, 31
	s_xor_b32 s24, s24, s35
	v_rcp_iflag_f32_e32 v1, v1
	s_load_dwordx8 s[4:11], s[0:1], 0x0
	v_lshrrev_b32_e32 v63, 6, v0
	v_bfe_u32 v64, v0, 4, 2
	v_mul_f32_e32 v1, 0x4f7ffffe, v1
	v_cvt_u32_f32_e32 v1, v1
	v_lshlrev_b32_e32 v2, 2, v64
	v_and_b32_e32 v62, 63, v0
	v_mov_b32_e32 v5, 0
	v_readfirstlane_b32 s27, v1
	s_mul_i32 s26, s26, s27
	s_mul_hi_u32 s26, s27, s26
	s_add_i32 s27, s27, s26
	s_mul_hi_u32 s26, s25, s27
	s_mul_i32 s27, s26, s34
	s_sub_i32 s25, s25, s27
	s_add_i32 s33, s26, 1
	s_sub_i32 s27, s25, s34
	s_cmp_ge_u32 s25, s34
	s_cselect_b32 s26, s33, s26
	s_cselect_b32 s25, s27, s25
	s_add_i32 s27, s26, 1
	s_cmp_ge_u32 s25, s34
	s_cselect_b32 s25, s27, s26
	s_xor_b32 s25, s25, s24
	s_sub_i32 s24, s25, s24
	s_mul_i32 s25, s24, s17
	s_sub_i32 s33, s3, s25
	s_ashr_i32 s25, s24, 31
	s_lshl_b64 s[26:27], s[24:25], 2
	s_add_u32 s28, s28, s26
	s_addc_u32 s29, s29, s27
	s_add_u32 s26, s30, s26
	s_addc_u32 s27, s31, s27
	s_abs_i32 s3, s18
	v_cvt_f32_u32_e32 v1, s3
	s_load_dwordx2 s[38:39], s[28:29], 0x0
	s_sub_i32 s29, 0, s3
	s_load_dword s48, s[26:27], 0x0
	v_rcp_iflag_f32_e32 v1, v1
	v_and_b32_e32 v45, 15, v0
	s_waitcnt lgkmcnt(0)
	s_sub_i32 s49, s39, s38
	s_ashr_i32 s28, s49, 31
	v_mul_f32_e32 v1, 0x4f7ffffe, v1
	v_cvt_u32_f32_e32 v1, v1
	s_lshr_b32 s28, s28, 26
	s_add_i32 s28, s49, s28
	s_ashr_i32 s47, s28, 6
	v_readfirstlane_b32 s30, v1
	s_mul_i32 s29, s29, s30
	s_mul_hi_u32 s29, s30, s29
	s_add_i32 s30, s30, s29
	s_mul_hi_u32 s29, s34, s30
	s_mul_i32 s30, s29, s3
	s_ashr_i32 s28, s18, 31
	s_sub_i32 s30, s34, s30
	s_xor_b32 s28, s35, s28
	s_add_i32 s31, s29, 1
	s_sub_i32 s34, s30, s3
	s_cmp_ge_u32 s30, s3
	s_cselect_b32 s29, s31, s29
	s_cselect_b32 s30, s34, s30
	s_add_i32 s31, s29, 1
	s_cmp_ge_u32 s30, s3
	s_cselect_b32 s3, s31, s29
	s_xor_b32 s3, s3, s28
	s_sub_i32 s3, s3, s28
	s_abs_i32 s28, s3
	v_cvt_f32_u32_e32 v1, s28
	s_sub_i32 s27, 0, s28
	s_abs_i32 s26, s33
	s_xor_b32 s3, s33, s3
	v_rcp_iflag_f32_e32 v1, v1
	s_ashr_i32 s3, s3, 31
	s_load_dwordx2 s[34:35], s[0:1], 0x80
	s_mul_hi_i32 s50, s33, s16
	v_mul_f32_e32 v1, 0x4f7ffffe, v1
	v_cvt_u32_f32_e32 v1, v1
	s_mul_i32 s51, s33, s16
	v_lshrrev_b32_e32 v66, 3, v62
	v_lshlrev_b32_e32 v65, 3, v0
	v_readfirstlane_b32 s29, v1
	s_mul_i32 s27, s27, s29
	s_mul_hi_u32 s27, s29, s27
	s_add_i32 s29, s29, s27
	s_mul_hi_u32 s27, s26, s29
	s_mul_i32 s29, s27, s28
	s_sub_i32 s26, s26, s29
	s_add_i32 s29, s27, 1
	s_sub_i32 s30, s26, s28
	s_cmp_ge_u32 s26, s28
	s_cselect_b32 s27, s29, s27
	s_cselect_b32 s26, s30, s26
	s_add_i32 s29, s27, 1
	s_cmp_ge_u32 s26, s28
	s_cselect_b32 s26, s29, s27
	s_xor_b32 s26, s26, s3
	v_lshlrev_b32_e32 v1, 4, v63
	s_sub_i32 s52, s26, s3
	v_or_b32_e32 v67, v2, v1
	s_lshl_b32 s36, s2, 5
	v_or_b32_e32 v68, 64, v67
	s_cmp_lt_i32 s49, 64
	s_mul_i32 s44, s24, s21
	s_mul_hi_u32 s45, s24, s20
	s_mul_i32 s46, s25, s20
	s_mul_i32 s20, s24, s20
	v_mov_b32_e32 v86, 0
	v_mov_b32_e32 v84, 0
	;; [unrolled: 1-line block ×15, first 2 shown]
	s_cbranch_scc1 .LBB343_18
; %bb.1:
	s_ashr_i32 s55, s33, 31
	s_ashr_i32 s3, s38, 31
	s_add_u32 s2, s51, s38
	s_addc_u32 s3, s50, s3
	s_lshl_b64 s[2:3], s[2:3], 8
	v_and_b32_e32 v70, 56, v65
	s_add_u32 s24, s6, s2
	v_lshl_or_b32 v69, v63, 3, v66
	v_lshlrev_b32_e32 v3, 1, v70
	s_addc_u32 s2, s7, s3
	v_lshl_or_b32 v71, v69, 8, v3
	s_and_b32 s25, s2, 0xffff
	s_mov_b32 s27, 0x20000
	s_movk_i32 s26, 0x4000
	s_movk_i32 s2, 0x80
	v_or_b32_e32 v72, 0x2000, v71
	buffer_load_dwordx4 v[4:7], v71, s[24:27], 0 offen
	buffer_load_dwordx4 v[8:11], v71, s[24:27], s2 offen
	;; [unrolled: 1-line block ×4, first 2 shown]
	v_lshlrev_b32_e32 v20, 3, v69
	v_and_or_b32 v22, v0, 7, v20
	v_and_b32_e32 v20, 0x78, v20
	v_lshlrev_b32_e32 v22, 4, v22
	v_xor_b32_e32 v73, v22, v20
	v_mul_lo_u32 v21, v69, s19
	v_or_b32_e32 v74, 0x1000, v73
	s_cmpk_eq_i32 s19, 0x80
	s_mov_b32 s53, s17
	s_mov_b32 s54, s38
	v_xor_b32_e32 v20, 8, v73
	v_xor_b32_e32 v22, 8, v74
	s_cselect_b64 s[2:3], -1, 0
	s_cmpk_lg_i32 s19, 0x80
	s_waitcnt vmcnt(3)
	ds_write_b64 v73, v[4:5] offset:24576
	ds_write_b64 v20, v[6:7] offset:24576
	s_waitcnt vmcnt(2)
	ds_write_b64 v73, v[8:9] offset:32768
	ds_write_b64 v20, v[10:11] offset:32768
	s_waitcnt vmcnt(1)
	ds_write_b64 v73, v[12:13] offset:28672
	ds_write_b64 v22, v[14:15] offset:24576
	s_waitcnt vmcnt(0)
	ds_write_b64 v73, v[16:17] offset:36864
	ds_write_b64 v22, v[18:19] offset:32768
	v_lshl_add_u32 v4, v21, 1, v70
	s_cbranch_scc0 .LBB343_3
; %bb.2:
	v_lshlrev_b32_e32 v6, 1, v4
	v_add_lshl_u32 v5, v4, s19, 1
	s_lshl_b32 s26, s19, 7
	s_load_dwordx2 s[40:41], s[0:1], 0x20
	v_lshl_or_b32 v3, v69, 9, v3
	s_cbranch_execz .LBB343_4
	s_branch .LBB343_5
.LBB343_3:
                                        ; implicit-def: $vgpr5
                                        ; implicit-def: $vgpr6
                                        ; implicit-def: $sgpr26
	s_load_dwordx2 s[40:41], s[0:1], 0x20
	v_lshl_or_b32 v3, v69, 9, v3
.LBB343_4:
	v_or_b32_e32 v5, 0x100, v3
	s_movk_i32 s26, 0x4000
	v_mov_b32_e32 v6, v3
.LBB343_5:
	s_mul_i32 s0, s38, s18
	s_ashr_i32 s56, s52, 31
	s_mul_hi_i32 s1, s38, s18
	s_add_u32 s0, s0, s52
	s_addc_u32 s1, s1, s56
	s_lshl_b64 s[0:1], s[0:1], 8
	s_add_u32 s24, s4, s0
	s_addc_u32 s0, s5, s1
	s_and_b32 s25, s0, 0xffff
	s_movk_i32 s57, 0x80
	buffer_load_dwordx4 v[8:11], v6, s[24:27], 0 offen
	buffer_load_dwordx4 v[12:15], v6, s[24:27], s57 offen
	;; [unrolled: 1-line block ×4, first 2 shown]
	v_and_b32_e32 v5, 6, v0
	v_lshlrev_b32_e32 v24, 6, v67
	v_or_b32_e32 v26, 16, v45
	v_xor_b32_e32 v27, v69, v5
	v_and_b32_e32 v6, 1, v0
	v_lshl_or_b32 v30, v45, 3, v24
	v_lshl_or_b32 v24, v26, 3, v24
	v_lshlrev_b32_e32 v27, 2, v27
	v_lshlrev_b32_e32 v7, 2, v45
	s_mul_i32 s0, s33, s23
	s_mul_hi_u32 s1, s33, s22
	v_or_b32_e32 v77, 0xa000, v24
	v_or_b32_e32 v78, 0xb000, v24
	v_xor_b32_e32 v24, 0x440, v27
	v_cmp_eq_u32_e32 vcc, 0, v6
	s_add_i32 s21, s45, s44
	s_mul_i32 s24, s55, s22
	v_xor_b32_e32 v28, v67, v7
	v_xor_b32_e32 v29, v68, v7
	v_cndmask_b32_e32 v6, v24, v27, vcc
	s_add_i32 s0, s1, s0
	s_add_i32 s21, s21, s46
	s_mov_b32 s58, 0x1000504
	v_lshlrev_b32_e32 v25, 8, v45
	v_lshlrev_b32_e32 v26, 8, v26
	;; [unrolled: 1-line block ×4, first 2 shown]
	v_lshl_or_b32 v5, v5, 10, v6
	s_add_i32 s1, s0, s24
	s_lshl_b64 s[24:25], s[20:21], 2
	s_mov_b32 s59, 0x3020706
	v_or_b32_e32 v75, 0xa000, v30
	v_or_b32_e32 v76, 0xb000, v30
	v_or_b32_e32 v79, v25, v28
	v_or_b32_e32 v80, v25, v29
	v_or_b32_e32 v82, v26, v29
	v_xor_b32_e32 v6, 8, v5
	v_xor_b32_e32 v25, 24, v5
	;; [unrolled: 1-line block ×4, first 2 shown]
	s_mul_i32 s0, s33, s22
	s_add_u32 s21, s10, s24
	v_or_b32_e32 v81, v26, v28
	v_xor_b32_e32 v24, 16, v5
	v_xor_b32_e32 v26, 32, v5
	;; [unrolled: 1-line block ×3, first 2 shown]
	v_add_u32_e32 v6, 0x80, v6
	v_add_u32_e32 v25, 0x80, v25
	;; [unrolled: 1-line block ×4, first 2 shown]
	s_addc_u32 s24, s11, s25
	s_lshl_b64 s[0:1], s[0:1], 2
	s_add_u32 s42, s21, s0
	s_movk_i32 s0, 0xf8
	s_addc_u32 s43, s24, s1
	s_ashr_i32 s37, s36, 31
	s_lshl_b32 s30, s19, 7
	s_movk_i32 s24, 0x100
	v_mov_b32_e32 v51, 0
	v_lshlrev_b32_e32 v50, 4, v45
	v_cmp_gt_u32_e32 vcc, s24, v0
	s_mov_b32 s60, 0
	s_movk_i32 s21, 0x1000
	s_movk_i32 s26, 0x4000
	v_add_u32_e32 v102, v1, v2
	v_mov_b32_e32 v113, 0x3fb8aa3b
	v_mov_b32_e32 v52, v51
	;; [unrolled: 1-line block ×13, first 2 shown]
	s_waitcnt vmcnt(1)
	v_perm_b32 v30, v8, v16, s58
	s_waitcnt vmcnt(0)
	v_perm_b32 v31, v12, v20, s58
	v_perm_b32 v8, v8, v16, s59
	;; [unrolled: 1-line block ×15, first 2 shown]
	ds_write2st64_b32 v5, v30, v31 offset0:32 offset1:64
	ds_write2st64_b32 v6, v8, v12 offset0:32 offset1:64
	;; [unrolled: 1-line block ×8, first 2 shown]
	v_or_b32_e32 v5, v1, v45
	v_lshlrev_b32_e32 v5, 3, v5
	v_lshrrev_b32_e32 v8, 5, v62
	v_and_or_b32 v8, v5, s0, v8
	v_lshrrev_b32_e32 v6, 2, v62
	v_lshlrev_b32_e32 v11, 11, v63
	v_lshlrev_b32_e32 v8, 4, v8
	v_and_b32_e32 v5, 0x78, v5
	v_and_b32_e32 v9, 12, v6
	;; [unrolled: 1-line block ×3, first 2 shown]
	v_xor_b32_e32 v10, v8, v5
	v_lshrrev_b32_e32 v12, 1, v62
	v_or_b32_e32 v10, v10, v6
	v_and_b32_e32 v12, 8, v12
	v_xor_b32_e32 v83, v10, v12
	v_or_b32_e32 v10, 32, v8
	v_xor_b32_e32 v10, v10, v5
	v_or_b32_e32 v10, v10, v6
	;; [unrolled: 2-line block ×3, first 2 shown]
	v_or_b32_e32 v8, 0x60, v8
	v_xor_b32_e32 v10, v10, v5
	v_xor_b32_e32 v5, v8, v5
	s_lshl_b64 s[0:1], s[36:37], 8
	v_or_b32_e32 v10, v10, v6
	v_or_b32_e32 v5, v5, v6
	v_lshlrev_b32_e32 v14, 1, v4
	v_add_lshl_u32 v15, v4, s19, 1
	s_add_u32 s0, s12, s0
	v_lshlrev_b32_e32 v4, 1, v45
	v_xor_b32_e32 v93, v10, v12
	v_xor_b32_e32 v94, v5, v12
	v_lshrrev_b32_e32 v10, 4, v0
	s_addc_u32 s1, s13, s1
	v_or_b32_e32 v5, 1, v4
	v_mov_b32_e32 v20, 0x4000
	v_mov_b32_e32 v21, 0x2000
	v_lshrrev_b32_e32 v22, 1, v0
	v_xor_b32_e32 v12, v10, v4
	v_xor_b32_e32 v17, v5, v10
	v_lshl_add_u64 v[4:5], s[0:1], 0, v[50:51]
	v_lshlrev_b32_e32 v50, 8, v10
	v_cndmask_b32_e32 v20, v20, v21, vcc
	v_lshlrev_b32_e32 v21, 3, v63
	v_and_b32_e32 v22, 24, v22
	v_lshl_or_b32 v97, v12, 3, v50
	v_and_b32_e32 v12, 8, v0
	v_xor_b32_e32 v23, v21, v22
	v_or_b32_e32 v24, 0x440, v23
	v_cmp_eq_u32_e32 vcc, 0, v12
	v_and_b32_e32 v10, 7, v0
	v_lshlrev_b32_e32 v13, 7, v64
	v_cndmask_b32_e32 v12, v24, v23, vcc
	v_lshl_or_b32 v98, v17, 3, v50
	v_lshlrev_b32_e32 v17, 3, v10
	v_lshlrev_b32_e32 v19, 2, v0
	v_or_b32_e32 v12, v12, v11
	v_or_b32_e32 v7, v13, v7
	v_xor_b32_e32 v23, v12, v17
	v_and_or_b32 v12, v19, 60, v13
	v_mov_b32_e32 v13, 0xb000
	v_lshl_or_b32 v99, v12, 1, v13
	v_or_b32_e32 v12, 32, v22
	v_xor_b32_e32 v12, v21, v12
	v_or_b32_e32 v13, 0x440, v12
	v_cndmask_b32_e32 v12, v13, v12, vcc
	v_or_b32_e32 v12, v12, v11
	v_xor_b32_e32 v13, v12, v17
	v_or_b32_e32 v12, 64, v22
	v_xor_b32_e32 v12, v21, v12
	v_xor_b32_e32 v25, 0x440, v12
	v_cndmask_b32_e32 v12, v25, v12, vcc
	v_or_b32_e32 v12, v12, v11
	v_xor_b32_e32 v25, v12, v17
	v_or_b32_e32 v12, 0x60, v22
	v_xor_b32_e32 v12, v21, v12
	v_xor_b32_e32 v21, 0x440, v12
	v_cndmask_b32_e32 v12, v21, v12, vcc
	v_lshlrev_b32_e32 v7, 1, v7
	v_or_b32_e32 v6, s36, v45
	v_or_b32_e32 v11, v12, v11
	;; [unrolled: 1-line block ×6, first 2 shown]
	v_ashrrev_i32_e32 v7, 31, v6
	v_xor_b32_e32 v11, v11, v17
	v_lshlrev_b32_e32 v8, 7, v67
	v_or_b32_e32 v16, 0x100, v3
	v_lshlrev_b32_e32 v18, 7, v10
	v_or_b32_e32 v10, v9, v1
	v_add_u32_e32 v24, v20, v23
	v_add_u32_e32 v19, v20, v13
	;; [unrolled: 1-line block ×4, first 2 shown]
	v_or3_b32 v12, v1, v9, 64
	v_add_u32_e32 v9, 0x4000, v23
	v_add_u32_e32 v13, 0x4000, v13
	;; [unrolled: 1-line block ×4, first 2 shown]
	v_lshlrev_b64 v[6:7], 1, v[6:7]
	v_cndmask_b32_e64 v100, v14, v3, s[2:3]
	v_cndmask_b32_e64 v101, v15, v16, s[2:3]
	v_lshl_add_u64 v[56:57], s[8:9], 0, v[6:7]
	v_lshl_add_u64 v[58:59], s[14:15], 0, v[6:7]
	;; [unrolled: 1-line block ×3, first 2 shown]
	s_mov_b32 s37, 0x7060302
	v_lshlrev_b32_e32 v50, 1, v8
	v_lshlrev_b32_e32 v103, 2, v10
	v_add_u32_e32 v104, v24, v18
	v_add_u32_e32 v105, v19, v18
	;; [unrolled: 1-line block ×4, first 2 shown]
	v_lshlrev_b32_e32 v108, 2, v12
	v_add_u32_e32 v109, v9, v18
	v_add_u32_e32 v110, v13, v18
	;; [unrolled: 1-line block ×4, first 2 shown]
	v_mov_b32_e32 v85, v51
	v_mov_b32_e32 v84, v51
	;; [unrolled: 1-line block ×4, first 2 shown]
	s_waitcnt lgkmcnt(0)
	s_barrier
.LBB343_6:                              ; =>This Inner Loop Header: Depth=1
	s_add_i32 s61, s60, 1
	s_cmp_lt_i32 s61, s47
	s_mov_b64 s[28:29], 0
	s_cselect_b64 s[2:3], -1, 0
	s_cmp_ge_i32 s61, s47
	s_mov_b64 s[24:25], 0
	s_cbranch_scc1 .LBB343_8
; %bb.7:                                ;   in Loop: Header=BB343_6 Depth=1
	s_add_i32 s0, s54, 64
	s_ashr_i32 s1, s0, 31
	s_add_u32 s0, s51, s0
	s_addc_u32 s1, s50, s1
	s_lshl_b64 s[0:1], s[0:1], 8
	s_add_u32 s24, s6, s0
	s_addc_u32 s25, s7, s1
.LBB343_8:                              ;   in Loop: Header=BB343_6 Depth=1
	v_cndmask_b32_e64 v2, 0, 1, s[2:3]
	v_cmp_ne_u32_e64 s[0:1], 1, v2
	s_andn2_b64 vcc, exec, s[2:3]
	s_cbranch_vccnz .LBB343_10
; %bb.9:                                ;   in Loop: Header=BB343_6 Depth=1
	s_add_i32 s2, s54, 64
	s_mul_hi_i32 s3, s2, s18
	s_mul_i32 s2, s2, s18
	s_add_u32 s2, s2, s52
	s_addc_u32 s3, s3, s56
	s_lshl_b64 s[2:3], s[2:3], 8
	s_add_u32 s28, s4, s2
	s_addc_u32 s29, s5, s3
.LBB343_10:                             ;   in Loop: Header=BB343_6 Depth=1
	v_perm_b32 v3, v55, v54, s37
	v_perm_b32 v2, v53, v52, s37
	;; [unrolled: 1-line block ×4, first 2 shown]
	ds_write_b64 v75, v[2:3]
	ds_write_b64 v76, v[4:5]
	;; [unrolled: 1-line block ×4, first 2 shown]
	v_perm_b32 v3, v115, v90, s37
	v_perm_b32 v2, v88, v89, s37
	;; [unrolled: 1-line block ×4, first 2 shown]
	ds_write_b64 v77, v[2:3]
	ds_write_b64 v78, v[4:5]
	;; [unrolled: 1-line block ×4, first 2 shown]
	s_waitcnt lgkmcnt(0)
	s_barrier
	ds_read_b64 v[6:7], v83 offset:24576
	ds_read2_b64 v[2:5], v87 offset1:16
	ds_read_b64 v[10:11], v92 offset:3072
	ds_read_b64 v[12:13], v87 offset:3072
	;; [unrolled: 1-line block ×3, first 2 shown]
	s_waitcnt lgkmcnt(3)
	v_mfma_f32_16x16x16_bf16 a[0:3], v[6:7], v[2:3], 0
	s_add_i32 s62, s54, 63
	s_ashr_i32 s2, s62, 31
	s_mul_i32 s3, s62, s35
	v_mfma_f32_16x16x16_bf16 a[4:7], v[6:7], v[4:5], 0
	ds_read2st64_b64 v[2:5], v87 offset0:2 offset1:4
	s_mul_hi_u32 s31, s62, s34
	s_add_i32 s3, s31, s3
	s_waitcnt lgkmcnt(0)
	v_mfma_f32_16x16x16_bf16 a[0:3], v[14:15], v[2:3], a[0:3]
	ds_read2st64_b64 v[6:9], v92 offset0:2 offset1:4
	ds_read_b64 v[2:3], v93 offset:24576
	s_mul_i32 s2, s2, s34
	s_add_i32 s3, s3, s2
	s_waitcnt lgkmcnt(1)
	v_mfma_f32_16x16x16_bf16 a[4:7], v[14:15], v[6:7], a[4:7]
	ds_read_b64 v[6:7], v94 offset:24576
	s_mul_i32 s2, s62, s34
	s_lshl_b64 s[2:3], s[2:3], 2
	s_waitcnt lgkmcnt(1)
	v_mfma_f32_16x16x16_bf16 a[0:3], v[2:3], v[4:5], a[0:3]
	s_add_u32 s2, s42, s2
	s_addc_u32 s3, s43, s3
	s_and_b64 vcc, exec, s[0:1]
	v_mfma_f32_16x16x16_bf16 a[8:11], v[2:3], v[8:9], a[4:7]
	v_mov_b32_e32 v118, 0
	v_mov_b32_e32 v117, 0
	;; [unrolled: 1-line block ×3, first 2 shown]
	s_waitcnt lgkmcnt(0)
	v_mfma_f32_16x16x16_bf16 a[4:7], v[6:7], v[12:13], a[0:3]
	v_mov_b32_e32 v2, 0
	v_mov_b32_e32 v3, 0
	;; [unrolled: 1-line block ×3, first 2 shown]
	v_mfma_f32_16x16x16_bf16 a[0:3], v[6:7], v[10:11], a[8:11]
	v_mov_b32_e32 v5, 0
	v_mov_b32_e32 v6, 0
	;; [unrolled: 1-line block ×13, first 2 shown]
	s_cbranch_vccnz .LBB343_12
; %bb.11:                               ;   in Loop: Header=BB343_6 Depth=1
	s_and_b32 s25, s25, 0xffff
	buffer_load_dwordx4 v[14:17], v71, s[24:27], 0 offen
	buffer_load_dwordx4 v[10:13], v71, s[24:27], s57 offen
	;; [unrolled: 1-line block ×4, first 2 shown]
	v_mov_b32_e32 v117, v73
	v_mov_b32_e32 v116, v74
.LBB343_12:                             ;   in Loop: Header=BB343_6 Depth=1
	ds_read_b64 v[26:27], v83 offset:32768
	ds_read2_b64 v[18:21], v95 offset1:16
	ds_read_b64 v[28:29], v91 offset:32768
	ds_read_b64 v[30:31], v93 offset:32768
	;; [unrolled: 1-line block ×3, first 2 shown]
	v_add_u32_e32 v34, s54, v102
	s_waitcnt lgkmcnt(3)
	v_mfma_f32_16x16x16_bf16 a[4:7], v[26:27], v[18:19], a[4:7]
	v_ashrrev_i32_e32 v18, 31, v34
	ds_read2st64_b64 v[22:25], v95 offset0:2 offset1:4
	v_mfma_f32_16x16x16_bf16 a[0:3], v[26:27], v[20:21], a[0:3]
	v_mul_lo_u32 v20, v18, s34
	v_mul_lo_u32 v21, v34, s35
	v_mad_u64_u32 v[18:19], s[24:25], v34, s34, 0
	v_add3_u32 v19, v19, v21, v20
	v_add_u32_e32 v20, 1, v34
	v_ashrrev_i32_e32 v21, 31, v20
	v_mul_lo_u32 v26, v21, s34
	v_mul_lo_u32 v27, v20, s35
	v_mad_u64_u32 v[20:21], s[24:25], v20, s34, 0
	v_add3_u32 v21, v21, v27, v26
	v_add_u32_e32 v26, 2, v34
	v_ashrrev_i32_e32 v27, 31, v26
	v_mul_lo_u32 v35, v27, s34
	v_mul_lo_u32 v36, v26, s35
	v_mad_u64_u32 v[26:27], s[24:25], v26, s34, 0
	v_add_u32_e32 v34, 3, v34
	v_add3_u32 v27, v27, v36, v35
	v_ashrrev_i32_e32 v35, 31, v34
	v_mul_lo_u32 v36, v35, s34
	v_mul_lo_u32 v37, v34, s35
	v_mad_u64_u32 v[34:35], s[24:25], v34, s34, 0
	s_ashr_i32 s25, s54, 31
	v_add3_u32 v35, v35, v37, v36
	s_add_u32 s24, s51, s54
	v_lshl_add_u64 v[18:19], v[18:19], 2, s[42:43]
	v_lshl_add_u64 v[34:35], v[34:35], 2, s[42:43]
	s_addc_u32 s25, s50, s25
	v_lshl_add_u64 v[20:21], v[20:21], 2, s[42:43]
	v_lshl_add_u64 v[26:27], v[26:27], 2, s[42:43]
	global_load_dword v36, v[18:19], off
	global_load_dword v37, v[20:21], off
	;; [unrolled: 1-line block ×3, first 2 shown]
	s_nop 0
	global_load_dword v34, v[34:35], off
	s_lshl_b64 s[24:25], s[24:25], 8
	v_lshl_add_u64 v[18:19], v[56:57], 0, s[24:25]
	v_lshl_add_u64 v[26:27], v[18:19], 0, v[50:51]
	global_load_ushort v35, v[26:27], off offset:256
	global_load_ushort v39, v[26:27], off
	ds_read2st64_b64 v[18:21], v96 offset0:2 offset1:4
	global_load_ushort v40, v[26:27], off offset:768
	global_load_ushort v41, v[26:27], off offset:512
	;; [unrolled: 1-line block ×6, first 2 shown]
	s_waitcnt lgkmcnt(1)
	v_mfma_f32_16x16x16_bf16 a[4:7], v[28:29], v[22:23], a[4:7]
	s_and_b64 vcc, exec, s[0:1]
	s_waitcnt vmcnt(7)
	v_lshlrev_b32_e32 v27, 16, v35
	s_waitcnt lgkmcnt(0)
	v_mfma_f32_16x16x16_bf16 a[0:3], v[28:29], v[18:19], a[0:3]
	v_mfma_f32_16x16x16_bf16 a[4:7], v[30:31], v[24:25], a[4:7]
	v_mfma_f32_16x16x16_bf16 a[0:3], v[30:31], v[20:21], a[0:3]
	ds_read_b64 v[18:19], v95 offset:3072
	ds_read_b64 v[20:21], v96 offset:3072
	s_load_dword s2, s[2:3], 0x0
	s_waitcnt lgkmcnt(0)
	v_sub_f32_e32 v26, s2, v36
	v_mfma_f32_16x16x16_bf16 a[4:7], v[32:33], v[18:19], a[4:7]
	v_sub_f32_e32 v29, s2, v37
	v_sub_f32_e32 v30, s2, v38
	;; [unrolled: 1-line block ×3, first 2 shown]
	v_mul_f32_e32 v28, 0x3fb8aa3b, v26
	v_mul_f32_e32 v29, 0x3fb8aa3b, v29
	;; [unrolled: 1-line block ×4, first 2 shown]
	v_mfma_f32_16x16x16_bf16 a[0:3], v[32:33], v[20:21], a[0:3]
	v_accvgpr_read_b32 v25, a5
	v_exp_f32_e32 v28, v28
	v_exp_f32_e32 v29, v29
	;; [unrolled: 1-line block ×4, first 2 shown]
	v_accvgpr_read_b32 v24, a4
	s_waitcnt vmcnt(6)
	v_lshlrev_b32_e32 v26, 16, v39
	v_lshl_add_u64 v[18:19], v[58:59], 0, s[24:25]
	v_accvgpr_read_b32 v21, a7
	v_accvgpr_read_b32 v20, a6
	v_pk_add_f32 v[24:25], v[26:27], v[24:25] neg_lo:[0,1] neg_hi:[0,1]
	s_waitcnt vmcnt(5)
	v_lshlrev_b32_e32 v27, 16, v40
	s_waitcnt vmcnt(4)
	v_lshlrev_b32_e32 v26, 16, v41
	v_lshl_add_u64 v[18:19], v[18:19], 0, v[50:51]
	v_pk_add_f32 v[20:21], v[26:27], v[20:21] neg_lo:[0,1] neg_hi:[0,1]
	global_store_short_d16_hi v[18:19], v24, off
	global_store_short_d16_hi v[18:19], v25, off offset:256
	global_store_short_d16_hi v[18:19], v20, off offset:512
	;; [unrolled: 1-line block ×3, first 2 shown]
	v_pk_mul_f32 v[24:25], v[28:29], v[24:25]
	v_pk_mul_f32 v[20:21], v[30:31], v[20:21]
	v_accvgpr_read_b32 v27, a1
	v_perm_b32 v21, v21, v20, s37
	v_perm_b32 v20, v25, v24, s37
	s_waitcnt vmcnt(5)
	v_lshlrev_b32_e32 v25, 16, v44
	s_waitcnt vmcnt(4)
	v_lshlrev_b32_e32 v24, 16, v119
	v_accvgpr_read_b32 v26, a0
	v_accvgpr_read_b32 v23, a3
	;; [unrolled: 1-line block ×3, first 2 shown]
	v_pk_add_f32 v[24:25], v[24:25], v[26:27] neg_lo:[0,1] neg_hi:[0,1]
	v_lshlrev_b32_e32 v27, 16, v42
	v_lshlrev_b32_e32 v26, 16, v43
	v_pk_add_f32 v[22:23], v[26:27], v[22:23] neg_lo:[0,1] neg_hi:[0,1]
	global_store_short_d16_hi v[18:19], v24, off offset:32
	global_store_short_d16_hi v[18:19], v25, off offset:288
	;; [unrolled: 1-line block ×4, first 2 shown]
	v_pk_mul_f32 v[18:19], v[28:29], v[24:25]
	v_pk_mul_f32 v[22:23], v[30:31], v[22:23]
	v_mov_b32_e32 v119, 0
	v_perm_b32 v23, v23, v22, s37
	v_perm_b32 v22, v19, v18, s37
	ds_write2_b64 v76, v[20:21], v[22:23] offset1:16
	v_mov_b32_e32 v18, 0
	v_mov_b32_e32 v19, 0
	;; [unrolled: 1-line block ×16, first 2 shown]
	s_cbranch_vccnz .LBB343_14
; %bb.13:                               ;   in Loop: Header=BB343_6 Depth=1
	s_and_b32 s29, s29, 0xffff
	s_mov_b32 s31, s27
	buffer_load_dwordx4 v[30:33], v100, s[28:31], 0 offen
	buffer_load_dwordx4 v[22:25], v100, s[28:31], s57 offen
	;; [unrolled: 1-line block ×4, first 2 shown]
	v_mov_b32_e32 v118, v70
	v_mov_b32_e32 v119, v69
.LBB343_14:                             ;   in Loop: Header=BB343_6 Depth=1
	s_waitcnt lgkmcnt(0)
	s_barrier
	ds_read_b64 v[38:39], v104
	ds_read_b64 v[124:125], v99
	;; [unrolled: 1-line block ×5, first 2 shown]
	ds_read_b64 v[138:139], v96 offset:3072
	ds_read2_b64 v[34:37], v95 offset0:16 offset1:128
	s_waitcnt lgkmcnt(5)
	v_mfma_f32_16x16x16_bf16 a[0:3], v[38:39], v[124:125], 0
	ds_read2st64_b64 v[40:43], v96 offset0:2 offset1:4
	s_add_i32 s3, s48, s60
	s_mul_hi_i32 s25, s3, s53
	s_waitcnt lgkmcnt(1)
	v_mfma_f32_16x16x16_bf16 a[4:7], v[38:39], v[34:35], 0
	ds_read_b64 v[38:39], v109
	s_mul_i32 s3, s3, s53
	s_add_u32 s24, s3, s33
	s_waitcnt lgkmcnt(1)
	v_mfma_f32_16x16x16_bf16 a[4:7], v[126:127], v[40:41], a[4:7]
	s_addc_u32 s25, s25, s55
	s_lshl_b64 s[24:25], s[24:25], 15
	s_mul_i32 s28, s62, s53
	s_mul_hi_i32 s3, s62, s53
	s_add_u32 s28, s28, s33
	v_mfma_f32_16x16x16_bf16 a[8:11], v[128:129], v[42:43], a[4:7]
	s_addc_u32 s29, s3, s55
	ds_read2st64_b64 v[120:123], v95 offset0:4 offset1:6
	s_lshl_b64 s[28:29], s[28:29], 9
	s_waitcnt lgkmcnt(1)
	v_mfma_f32_16x16x16_bf16 a[4:7], v[38:39], v[124:125], 0
	s_add_u32 s28, s40, s28
	s_addc_u32 s29, s41, s29
	v_mfma_f32_16x16x16_bf16 a[0:3], v[126:127], v[36:37], a[0:3]
	ds_read_b64 v[126:127], v110
	ds_read_b64 v[134:135], v111
	;; [unrolled: 1-line block ×3, first 2 shown]
	v_mfma_f32_16x16x16_bf16 a[12:15], v[38:39], v[34:35], 0
	s_waitcnt lgkmcnt(2)
	v_mfma_f32_16x16x16_bf16 a[4:7], v[126:127], v[36:37], a[4:7]
	global_load_dwordx4 v[34:37], v108, s[28:29]
	v_mfma_f32_16x16x16_bf16 a[12:15], v[126:127], v[40:41], a[12:15]
	global_load_dwordx4 v[38:41], v103, s[28:29]
	ds_read2st64_b64 v[124:127], v97 offset1:8
	s_waitcnt lgkmcnt(0)
	v_mov_b32_e32 v132, v124
	v_mfma_f32_16x16x16_bf16 a[0:3], v[128:129], v[120:121], a[0:3]
	ds_read2st64_b64 v[128:131], v98 offset1:8
	v_mov_b32_e32 v133, v125
	v_mfma_f32_16x16x16_bf16 a[16:19], v[134:135], v[120:121], a[4:7]
	v_lshl_add_u64 v[120:121], v[60:61], 0, s[24:25]
	v_mfma_f32_16x16x16_bf16 a[20:23], v[134:135], v[42:43], a[12:15]
	v_add_co_u32_e32 v42, vcc, s21, v120
	s_waitcnt lgkmcnt(0)
	v_mov_b32_e32 v134, v128
	v_mfma_f32_16x16x16_bf16 a[4:7], v[136:137], v[122:123], a[0:3]
	v_mov_b32_e32 v135, v129
	v_mov_b32_e32 v128, v126
	;; [unrolled: 1-line block ×3, first 2 shown]
	v_mfma_f32_16x16x16_bf16 a[8:11], v[136:137], v[138:139], a[8:11]
	v_addc_co_u32_e32 v43, vcc, 0, v121, vcc
	global_store_dwordx4 v[42:43], v[128:131], off
	v_mfma_f32_16x16x16_bf16 a[12:15], v[140:141], v[122:123], a[16:19]
	s_and_b64 vcc, exec, s[0:1]
	global_store_dwordx4 v[120:121], v[132:135], off
	s_waitcnt vmcnt(3)
	v_mov_b32_e32 v44, v37
	v_mfma_f32_16x16x16_bf16 a[0:3], v[140:141], v[138:139], a[20:23]
	v_mov_b32_e32 v43, v36
	v_mov_b32_e32 v42, v35
	s_cbranch_vccnz .LBB343_16
; %bb.15:                               ;   in Loop: Header=BB343_6 Depth=1
	v_lshrrev_b32_e32 v35, 3, v118
	v_and_b32_e32 v35, 6, v35
	v_xor_b32_e32 v36, v35, v119
	v_lshlrev_b32_e32 v36, 2, v36
	v_and_b32_e32 v37, 8, v118
	v_xor_b32_e32 v118, 0x440, v36
	v_cmp_eq_u32_e32 vcc, 0, v37
	v_perm_b32 v37, v22, v18, s58
	s_nop 0
	v_cndmask_b32_e32 v36, v118, v36, vcc
	v_lshl_or_b32 v35, v35, 10, v36
	v_perm_b32 v36, v30, v26, s58
	s_barrier
	ds_write2st64_b32 v35, v36, v37 offset0:32 offset1:64
	v_xor_b32_e32 v36, 8, v35
	v_perm_b32 v26, v30, v26, s59
	v_perm_b32 v18, v22, v18, s59
	v_add_u32_e32 v22, 0x80, v36
	ds_write2st64_b32 v22, v26, v18 offset0:32 offset1:64
	v_xor_b32_e32 v18, 16, v35
	v_perm_b32 v22, v31, v27, s58
	v_perm_b32 v26, v23, v19, s58
	ds_write2st64_b32 v18, v22, v26 offset0:33 offset1:65
	v_xor_b32_e32 v18, 24, v35
	v_perm_b32 v22, v31, v27, s59
	v_perm_b32 v19, v23, v19, s59
	v_add_u32_e32 v18, 0x80, v18
	ds_write2st64_b32 v18, v22, v19 offset0:33 offset1:65
	v_xor_b32_e32 v18, 32, v35
	v_perm_b32 v19, v32, v28, s58
	v_perm_b32 v22, v24, v20, s58
	;; [unrolled: 9-line block ×3, first 2 shown]
	ds_write2st64_b32 v18, v19, v20 offset0:35 offset1:67
	v_xor_b32_e32 v18, 56, v35
	v_perm_b32 v19, v33, v29, s59
	v_perm_b32 v20, v25, v21, s59
	v_add_u32_e32 v18, 0x80, v18
	ds_write2st64_b32 v18, v19, v20 offset0:35 offset1:67
	ds_write_b64 v117, v[14:15] offset:24576
	v_xor_b32_e32 v14, 8, v117
	ds_write_b64 v14, v[16:17] offset:24576
	ds_write_b64 v117, v[10:11] offset:32768
	;; [unrolled: 1-line block ×4, first 2 shown]
	v_xor_b32_e32 v6, 8, v116
	ds_write_b64 v6, v[8:9] offset:24576
	ds_write_b64 v116, v[2:3] offset:32768
	ds_write_b64 v6, v[4:5] offset:32768
.LBB343_16:                             ;   in Loop: Header=BB343_6 Depth=1
	v_mul_f32_e32 v2, s2, v113
	v_exp_f32_e32 v18, v2
	s_waitcnt vmcnt(2)
	v_mul_f32_e32 v2, 0x3fb8aa3b, v38
	v_exp_f32_e32 v20, v2
	v_mul_f32_e32 v2, 0x3fb8aa3b, v39
	v_exp_f32_e32 v21, v2
	v_mul_f32_e32 v2, 0x3fb8aa3b, v40
	v_exp_f32_e32 v22, v2
	v_mul_f32_e32 v2, 0x3fb8aa3b, v41
	v_exp_f32_e32 v23, v2
	v_accvgpr_read_b32 v13, a7
	v_accvgpr_read_b32 v11, a5
	;; [unrolled: 1-line block ×4, first 2 shown]
	v_pk_mul_f32 v[20:21], v[18:19], v[20:21] op_sel_hi:[0,1]
	v_accvgpr_read_b32 v8, a10
	v_pk_fma_f32 v[52:53], v[52:53], v[20:21], v[10:11]
	v_pk_mul_f32 v[10:11], v[18:19], v[22:23] op_sel_hi:[0,1]
	v_accvgpr_read_b32 v12, a6
	v_accvgpr_read_b32 v7, a9
	v_fma_f32 v90, v90, v10, v8
	v_mul_f32_e32 v8, 0x3fb8aa3b, v43
	v_pk_fma_f32 v[54:55], v[54:55], v[10:11], v[12:13]
	v_fma_f32 v89, v89, v20, v6
	v_fma_f32 v88, v88, v21, v7
	v_mul_f32_e32 v6, 0x3fb8aa3b, v34
	v_mul_f32_e32 v7, 0x3fb8aa3b, v42
	v_exp_f32_e32 v12, v8
	v_mul_f32_e32 v8, 0x3fb8aa3b, v44
	v_exp_f32_e32 v6, v6
	v_exp_f32_e32 v7, v7
	;; [unrolled: 1-line block ×3, first 2 shown]
	v_accvgpr_read_b32 v9, a11
	v_accvgpr_read_b32 v17, a15
	v_accvgpr_read_b32 v5, a3
	v_accvgpr_read_b32 v16, a14
	v_accvgpr_read_b32 v15, a13
	v_accvgpr_read_b32 v14, a12
	v_accvgpr_read_b32 v4, a2
	v_accvgpr_read_b32 v3, a1
	v_accvgpr_read_b32 v2, a0
	v_fmac_f32_e32 v9, v115, v11
	v_pk_mul_f32 v[6:7], v[18:19], v[6:7] op_sel_hi:[0,1]
	v_pk_mul_f32 v[10:11], v[18:19], v[12:13] op_sel_hi:[0,1]
	s_add_i32 s54, s54, 64
	v_pk_fma_f32 v[46:47], v[46:47], v[6:7], v[14:15]
	v_pk_fma_f32 v[48:49], v[48:49], v[10:11], v[16:17]
	v_fma_f32 v85, v85, v6, v2
	v_fma_f32 v84, v84, v7, v3
	;; [unrolled: 1-line block ×3, first 2 shown]
	s_cmp_eq_u32 s47, s61
	v_fmac_f32_e32 v5, v114, v11
	s_cbranch_scc1 .LBB343_18
; %bb.17:                               ;   in Loop: Header=BB343_6 Depth=1
	s_mov_b32 s60, s61
	v_mov_b32_e32 v115, v9
	v_mov_b32_e32 v114, v5
	s_branch .LBB343_6
.LBB343_18:
	s_lshl_b32 s0, s47, 6
	s_sub_i32 s42, s49, s0
	s_cmp_gt_i32 s42, 0
	s_cbranch_scc0 .LBB343_83
; %bb.19:
	s_add_i32 s38, s0, s38
	s_ashr_i32 s2, s38, 31
	s_cmpk_lg_i32 s19, 0x80
	s_cselect_b64 s[30:31], -1, 0
	s_and_b64 vcc, exec, s[30:31]
	s_cbranch_vccz .LBB343_21
; %bb.20:
	s_mul_i32 s1, s38, s18
	s_ashr_i32 s3, s52, 31
	s_mul_hi_i32 s0, s38, s18
	s_add_u32 s40, s1, s52
	s_addc_u32 s41, s0, s3
	s_cbranch_execz .LBB343_22
	s_branch .LBB343_23
.LBB343_21:
                                        ; implicit-def: $sgpr40_sgpr41
.LBB343_22:
	s_mul_i32 s1, s52, s16
	s_mul_hi_i32 s0, s52, s16
	s_add_u32 s40, s1, s38
	s_addc_u32 s41, s0, s2
.LBB343_23:
	s_add_i32 s3, s47, s48
	s_ashr_i32 s16, s33, 31
	s_add_u32 s0, s51, s38
	v_lshlrev_b32_e32 v8, 5, v67
	v_lshlrev_b32_e32 v22, 2, v45
	s_addc_u32 s1, s50, s2
	s_mov_b32 s2, 0x7060302
	v_or_b32_e32 v11, v8, v22
	v_xor_b32_e32 v4, v67, v22
	v_perm_b32 v3, v55, v54, s2
	v_perm_b32 v2, v53, v52, s2
	;; [unrolled: 1-line block ×4, first 2 shown]
	v_lshlrev_b32_e32 v11, 1, v11
	s_lshl_b64 s[28:29], s[0:1], 8
	v_xor_b32_e32 v10, v68, v22
	ds_write2st64_b64 v11, v[2:3], v[6:7] offset0:80 offset1:88
	v_lshlrev_b32_e32 v11, 1, v4
	v_lshlrev_b32_e32 v4, 8, v45
	s_add_u32 s0, s6, s28
	v_or_b32_e32 v12, v11, v4
	v_lshlrev_b32_e32 v10, 1, v10
	s_addc_u32 s1, s7, s29
	ds_write_b64 v12, v[2:3]
	v_or_b32_e32 v2, v10, v4
	s_mul_hi_i32 s6, s3, s17
	s_mul_i32 s3, s3, s17
	ds_write_b64 v2, v[6:7]
	v_perm_b32 v3, v9, v90, s2
	v_perm_b32 v2, v88, v89, s2
	;; [unrolled: 1-line block ×4, first 2 shown]
	v_or_b32_e32 v6, 16, v45
	s_add_u32 s2, s3, s33
	v_lshlrev_b32_e32 v19, 2, v6
	s_addc_u32 s3, s6, s16
	v_or_b32_e32 v7, v8, v19
	s_ashr_i32 s37, s36, 31
	s_lshl_b64 s[2:3], s[2:3], 15
	v_lshlrev_b32_e32 v7, 1, v7
	v_lshlrev_b32_e32 v6, 8, v6
	s_add_u32 s6, s12, s2
	ds_write2st64_b64 v7, v[2:3], v[4:5] offset0:80 offset1:88
	v_or_b32_e32 v7, v11, v6
	s_addc_u32 s7, s13, s3
	s_lshl_b64 s[2:3], s[36:37], 8
	ds_write_b64 v7, v[2:3]
	v_or_b32_e32 v2, v10, v6
	s_add_u32 s2, s6, s2
	ds_write_b64 v2, v[4:5]
	v_lshrrev_b32_e32 v2, 4, v0
	s_addc_u32 s3, s7, s3
	v_lshlrev_b32_e32 v3, 1, v45
	v_lshlrev_b32_e32 v10, 4, v45
	v_mov_b32_e32 v11, 0
	v_or_b32_e32 v4, 1, v3
	v_xor_b32_e32 v3, v2, v3
	v_lshl_add_u64 v[12:13], s[2:3], 0, v[10:11]
	v_lshlrev_b32_e32 v10, 8, v2
	v_xor_b32_e32 v6, v4, v2
	v_lshl_or_b32 v2, v3, 3, v10
	s_waitcnt lgkmcnt(0)
	s_barrier
	ds_read2st64_b64 v[2:5], v2 offset1:8
	v_lshl_or_b32 v6, v6, 3, v10
	ds_read2st64_b64 v[6:9], v6 offset1:8
	v_lshl_add_u64 v[14:15], v[12:13], 0, v[10:11]
	s_movk_i32 s2, 0x1000
	s_waitcnt lgkmcnt(1)
	v_mov_b32_e32 v10, v2
	v_add_co_u32_e32 v2, vcc, s2, v14
	s_cmp_lg_u32 s42, 64
	v_mov_b32_e32 v11, v3
	v_addc_co_u32_e32 v3, vcc, 0, v15, vcc
	s_cselect_b64 s[6:7], -1, 0
	v_lshl_or_b32 v23, v63, 3, v66
	s_waitcnt lgkmcnt(0)
	v_mov_b32_e32 v12, v6
	v_mov_b32_e32 v13, v7
	;; [unrolled: 1-line block ×4, first 2 shown]
	s_mov_b32 s24, 0
	v_or_b32_e32 v20, 32, v23
	v_and_b32_e32 v18, 56, v65
	s_and_b64 vcc, exec, s[6:7]
	global_store_dwordx4 v[14:15], v[10:13], off
	global_store_dwordx4 v[2:3], v[6:9], off
	s_cbranch_vccz .LBB343_29
; %bb.24:
	s_mov_b32 s25, s24
	s_mov_b32 s26, s24
	;; [unrolled: 1-line block ×3, first 2 shown]
	v_mov_b64_e32 v[6:7], s[24:25]
	v_mov_b64_e32 v[8:9], s[26:27]
	;; [unrolled: 1-line block ×3, first 2 shown]
	v_cmp_gt_i32_e32 vcc, s42, v23
	v_mov_b64_e32 v[4:5], v[8:9]
	s_and_saveexec_b64 s[2:3], vcc
	s_cbranch_execz .LBB343_26
; %bb.25:
	v_lshlrev_b32_e32 v2, 8, v23
	v_mov_b32_e32 v3, 0
	v_lshl_add_u64 v[4:5], s[0:1], 0, v[2:3]
	v_lshlrev_b32_e32 v2, 1, v18
	v_lshl_add_u64 v[10:11], v[4:5], 0, v[2:3]
	global_load_dwordx4 v[6:9], v[10:11], off
	global_load_dwordx4 v[2:5], v[10:11], off offset:128
.LBB343_26:
	s_or_b64 exec, exec, s[2:3]
	s_mov_b32 s25, s24
	s_mov_b32 s26, s24
	;; [unrolled: 1-line block ×3, first 2 shown]
	v_mov_b64_e32 v[14:15], s[24:25]
	v_mov_b64_e32 v[16:17], s[26:27]
	;; [unrolled: 1-line block ×3, first 2 shown]
	v_cmp_gt_i32_e32 vcc, s42, v20
	v_lshlrev_b32_e32 v21, 7, v20
	v_mov_b64_e32 v[12:13], v[16:17]
	s_and_saveexec_b64 s[2:3], vcc
	s_cbranch_execz .LBB343_28
; %bb.27:
	v_lshlrev_b32_e32 v10, 1, v21
	v_mov_b32_e32 v11, 0
	v_lshl_add_u64 v[12:13], s[0:1], 0, v[10:11]
	v_lshlrev_b32_e32 v10, 1, v18
	v_lshl_add_u64 v[24:25], v[12:13], 0, v[10:11]
	global_load_dwordx4 v[14:17], v[24:25], off
	global_load_dwordx4 v[10:13], v[24:25], off offset:128
.LBB343_28:
	s_or_b64 exec, exec, s[2:3]
	v_lshrrev_b32_e32 v24, 3, v18
	v_lshlrev_b32_e32 v25, 3, v23
	v_or_b32_e32 v24, v25, v24
	v_lshlrev_b32_e32 v24, 4, v24
	v_and_b32_e32 v25, 0x78, v25
	v_xor_b32_e32 v24, v24, v25
	s_branch .LBB343_31
.LBB343_29:
                                        ; implicit-def: $vgpr24
                                        ; implicit-def: $vgpr21
                                        ; implicit-def: $vgpr6_vgpr7_vgpr8_vgpr9
                                        ; implicit-def: $vgpr2_vgpr3_vgpr4_vgpr5
                                        ; implicit-def: $vgpr14_vgpr15_vgpr16_vgpr17
                                        ; implicit-def: $vgpr10_vgpr11_vgpr12_vgpr13
	s_cbranch_execz .LBB343_31
; %bb.30:
	s_waitcnt vmcnt(0)
	v_lshlrev_b32_e32 v2, 1, v18
	v_lshl_or_b32 v21, v23, 8, v2
	s_and_b32 s1, s1, 0xffff
	s_mov_b32 s3, 0x20000
	s_movk_i32 s2, 0x4000
	v_lshl_or_b32 v24, v20, 8, v2
	s_movk_i32 s12, 0x80
	buffer_load_dwordx4 v[6:9], v21, s[0:3], 0 offen
	buffer_load_dwordx4 v[2:5], v21, s[0:3], s12 offen
	;; [unrolled: 1-line block ×4, first 2 shown]
	v_lshrrev_b32_e32 v21, 3, v18
	v_lshlrev_b32_e32 v24, 3, v23
	v_or_b32_e32 v21, v24, v21
	v_lshlrev_b32_e32 v21, 4, v21
	v_and_b32_e32 v24, 0x78, v24
	v_xor_b32_e32 v24, v21, v24
	v_lshlrev_b32_e32 v21, 7, v20
.LBB343_31:
	s_lshl_b64 s[0:1], s[40:41], 8
	s_add_u32 s4, s4, s0
	s_movk_i32 s0, 0x1000
	v_and_or_b32 v20, v21, s0, v24
	s_waitcnt vmcnt(1)
	ds_write_b64 v24, v[6:7] offset:24576
	v_xor_b32_e32 v6, 8, v24
	ds_write_b64 v6, v[8:9] offset:24576
	s_waitcnt vmcnt(0)
	ds_write_b64 v24, v[2:3] offset:32768
	ds_write_b64 v6, v[4:5] offset:32768
	ds_write_b64 v20, v[14:15] offset:24576
	v_xor_b32_e32 v2, 8, v20
	ds_write_b64 v2, v[16:17] offset:24576
	ds_write_b64 v20, v[10:11] offset:32768
	ds_write_b64 v2, v[12:13] offset:32768
	v_or_b32_e32 v2, v1, v45
	v_lshlrev_b32_e32 v3, 11, v63
	v_lshlrev_b32_e32 v2, 3, v2
	v_and_b32_e32 v6, 0x1000, v3
	v_lshrrev_b32_e32 v3, 5, v62
	s_movk_i32 s13, 0xf8
	v_and_or_b32 v3, v2, s13, v3
	v_lshlrev_b32_e32 v7, 4, v3
	v_and_b32_e32 v8, 0x78, v2
	v_or_b32_e32 v10, 32, v7
	v_lshrrev_b32_e32 v3, 1, v62
	v_xor_b32_e32 v10, v10, v8
	v_xor_b32_e32 v2, v7, v8
	v_and_b32_e32 v9, 8, v3
	v_or_b32_e32 v10, v10, v6
	v_or_b32_e32 v2, v2, v6
	v_xor_b32_e32 v26, v10, v9
	v_or_b32_e32 v10, 64, v7
	v_xor_b32_e32 v25, v2, v9
	v_xor_b32_e32 v10, v10, v8
	s_waitcnt lgkmcnt(0)
	s_barrier
	v_or_b32_e32 v12, v10, v6
	ds_read_b64 v[10:11], v25 offset:24576
	v_lshl_or_b32 v20, v64, 7, v22
	v_lshlrev_b32_e32 v24, 1, v20
	v_add_u32_e32 v2, 0xa000, v24
	ds_read2_b64 v[2:5], v2 offset1:16
	v_or_b32_e32 v7, 0x60, v7
	v_xor_b32_e32 v7, v7, v8
	s_waitcnt lgkmcnt(0)
	v_mfma_f32_16x16x16_bf16 a[0:3], v[10:11], v[2:3], 0
	v_or_b32_e32 v2, 64, v20
	v_or_b32_e32 v6, v7, v6
	v_lshlrev_b32_e32 v29, 1, v2
	v_xor_b32_e32 v27, v12, v9
	v_xor_b32_e32 v28, v6, v9
	ds_read_b64 v[12:13], v26 offset:24576
	ds_read_b64 v[14:15], v27 offset:24576
	;; [unrolled: 1-line block ×3, first 2 shown]
	v_mfma_f32_16x16x16_bf16 a[4:7], v[10:11], v[4:5], 0
	ds_read2st64_b64 v[2:5], v29 offset0:82 offset1:84
	ds_read2st64_b64 v[6:9], v24 offset0:82 offset1:84
	s_addc_u32 s5, s5, s1
	s_add_i32 s2, s39, -1
	s_add_i32 s0, s45, s44
	s_add_i32 s21, s0, s46
	s_mul_i32 s0, s33, s23
	s_mul_hi_u32 s1, s33, s22
	s_ashr_i32 s3, s2, 31
	s_mul_i32 s12, s2, s35
	s_mul_hi_u32 s13, s2, s34
	s_add_i32 s0, s1, s0
	s_mul_i32 s1, s16, s22
	s_add_i32 s12, s13, s12
	s_mul_i32 s3, s3, s34
	s_waitcnt lgkmcnt(1)
	v_mfma_f32_16x16x16_bf16 a[4:7], v[12:13], v[2:3], a[4:7]
	s_add_i32 s1, s0, s1
	s_add_i32 s3, s12, s3
	s_lshl_b64 s[12:13], s[20:21], 2
	s_waitcnt lgkmcnt(0)
	v_mfma_f32_16x16x16_bf16 a[0:3], v[12:13], v[6:7], a[0:3]
	s_mul_i32 s0, s33, s22
	s_add_u32 s10, s10, s12
	s_addc_u32 s11, s11, s13
	s_lshl_b64 s[0:1], s[0:1], 2
	s_mul_i32 s2, s2, s34
	s_add_u32 s10, s10, s0
	ds_read_b64 v[2:3], v24 offset:44032
	v_mfma_f32_16x16x16_bf16 a[4:7], v[14:15], v[4:5], a[4:7]
	ds_read_b64 v[4:5], v29 offset:44032
	s_addc_u32 s11, s11, s1
	s_lshl_b64 s[0:1], s[2:3], 2
	v_mfma_f32_16x16x16_bf16 a[0:3], v[14:15], v[8:9], a[0:3]
	s_add_u32 s0, s10, s0
	s_addc_u32 s1, s11, s1
	s_load_dword s12, s[0:1], 0x0
	s_waitcnt lgkmcnt(0)
	v_mfma_f32_16x16x16_bf16 a[0:3], v[16:17], v[2:3], a[0:3]
	s_and_b64 vcc, exec, s[30:31]
	v_mfma_f32_16x16x16_bf16 a[4:7], v[16:17], v[4:5], a[4:7]
	s_cbranch_vccz .LBB343_42
; %bb.32:
	v_lshlrev_b32_e32 v20, 1, v23
	s_and_b64 vcc, exec, s[6:7]
	s_cbranch_vccz .LBB343_43
; %bb.33:
	v_cmp_gt_i32_e32 vcc, s42, v20
	v_mov_b32_e32 v6, 0
	v_mov_b32_e32 v2, 0
	;; [unrolled: 1-line block ×5, first 2 shown]
	s_and_saveexec_b64 s[0:1], vcc
	s_cbranch_execz .LBB343_35
; %bb.34:
	v_mad_i64_i32 v[2:3], s[2:3], s19, v20, 0
	v_lshl_add_u64 v[2:3], v[2:3], 1, s[4:5]
	v_lshlrev_b32_e32 v4, 1, v18
	v_mov_b32_e32 v5, 0
	v_lshl_add_u64 v[2:3], v[2:3], 0, v[4:5]
	global_load_dwordx4 v[2:5], v[2:3], off
.LBB343_35:
	s_or_b64 exec, exec, s[0:1]
	v_or_b32_e32 v21, 1, v20
	v_cmp_gt_i32_e64 s[0:1], s42, v21
	v_mov_b32_e32 v7, 0
	v_mov_b32_e32 v8, 0
	;; [unrolled: 1-line block ×3, first 2 shown]
	s_and_saveexec_b64 s[2:3], s[0:1]
	s_cbranch_execz .LBB343_37
; %bb.36:
	v_mad_i64_i32 v[6:7], s[16:17], s19, v21, 0
	v_lshl_add_u64 v[6:7], v[6:7], 1, s[4:5]
	v_lshlrev_b32_e32 v8, 1, v18
	v_mov_b32_e32 v9, 0
	v_lshl_add_u64 v[6:7], v[6:7], 0, v[8:9]
	global_load_dwordx4 v[6:9], v[6:7], off
.LBB343_37:
	s_or_b64 exec, exec, s[2:3]
	v_mov_b32_e32 v17, 0
	v_mov_b32_e32 v10, 0
	;; [unrolled: 1-line block ×5, first 2 shown]
	s_and_saveexec_b64 s[2:3], vcc
	s_cbranch_execz .LBB343_39
; %bb.38:
	v_mad_i64_i32 v[10:11], s[16:17], s19, v20, 0
	v_lshl_add_u64 v[10:11], v[10:11], 1, s[4:5]
	v_lshlrev_b32_e32 v12, 1, v18
	v_mov_b32_e32 v13, 0
	v_lshl_add_u64 v[10:11], v[10:11], 0, v[12:13]
	global_load_dwordx4 v[10:13], v[10:11], off offset:128
.LBB343_39:
	s_or_b64 exec, exec, s[2:3]
	v_mov_b32_e32 v16, 0
	v_mov_b32_e32 v15, 0
	;; [unrolled: 1-line block ×3, first 2 shown]
	s_and_saveexec_b64 s[2:3], s[0:1]
	s_cbranch_execz .LBB343_41
; %bb.40:
	v_mad_i64_i32 v[14:15], s[0:1], s19, v21, 0
	v_lshl_add_u64 v[14:15], v[14:15], 1, s[4:5]
	v_lshlrev_b32_e32 v16, 1, v18
	v_mov_b32_e32 v17, 0
	v_lshl_add_u64 v[14:15], v[14:15], 0, v[16:17]
	global_load_dwordx4 v[14:17], v[14:15], off offset:128
.LBB343_41:
	s_or_b64 exec, exec, s[2:3]
	s_branch .LBB343_45
.LBB343_42:
                                        ; implicit-def: $vgpr5
                                        ; implicit-def: $vgpr9
                                        ; implicit-def: $vgpr13
                                        ; implicit-def: $vgpr17
	v_lshrrev_b32_e32 v30, 2, v62
	s_branch .LBB343_46
.LBB343_43:
                                        ; implicit-def: $vgpr5
                                        ; implicit-def: $vgpr9
                                        ; implicit-def: $vgpr13
                                        ; implicit-def: $vgpr17
	s_cbranch_execz .LBB343_45
; %bb.44:
	s_waitcnt vmcnt(0)
	v_mad_u64_u32 v[2:3], s[0:1], v20, s19, v[18:19]
	v_lshlrev_b32_e32 v20, 1, v2
	s_lshl_b32 s2, s19, 7
	s_and_b32 s1, s5, 0xffff
	s_mov_b32 s3, 0x20000
	s_mov_b32 s0, s4
	v_add_lshl_u32 v21, v2, s19, 1
	s_movk_i32 s13, 0x80
	buffer_load_dwordx4 v[2:5], v20, s[0:3], 0 offen
	buffer_load_dwordx4 v[10:13], v20, s[0:3], s13 offen
	;; [unrolled: 1-line block ×4, first 2 shown]
.LBB343_45:
	v_lshrrev_b32_e32 v30, 2, v62
	s_cbranch_execnz .LBB343_58
.LBB343_46:
	s_and_b64 vcc, exec, s[6:7]
	s_cbranch_vccz .LBB343_56
; %bb.47:
	s_waitcnt vmcnt(0)
	v_lshlrev_b32_e32 v7, 1, v23
	v_cmp_gt_i32_e32 vcc, s42, v7
	v_mov_b32_e32 v6, 0
	v_lshlrev_b32_e32 v14, 9, v23
	v_mov_b32_e32 v2, 0
	v_mov_b32_e32 v3, 0
	;; [unrolled: 1-line block ×4, first 2 shown]
	s_and_saveexec_b64 s[0:1], vcc
	s_cbranch_execz .LBB343_49
; %bb.48:
	v_mov_b32_e32 v15, 0
	v_lshl_add_u64 v[2:3], s[4:5], 0, v[14:15]
	v_lshlrev_b32_e32 v4, 1, v18
	v_mov_b32_e32 v5, v15
	v_lshl_add_u64 v[2:3], v[2:3], 0, v[4:5]
	global_load_dwordx4 v[2:5], v[2:3], off
.LBB343_49:
	s_or_b64 exec, exec, s[0:1]
	v_or_b32_e32 v7, 1, v7
	v_cmp_gt_i32_e64 s[0:1], s42, v7
	v_lshlrev_b32_e32 v20, 8, v7
	v_mov_b32_e32 v7, 0
	v_mov_b32_e32 v8, 0
	v_mov_b32_e32 v9, 0
	s_and_saveexec_b64 s[2:3], s[0:1]
	s_cbranch_execz .LBB343_51
; %bb.50:
	v_mov_b32_e32 v21, 0
	v_lshl_add_u64 v[6:7], s[4:5], 0, v[20:21]
	v_lshlrev_b32_e32 v8, 1, v18
	v_mov_b32_e32 v9, v21
	v_lshl_add_u64 v[6:7], v[6:7], 0, v[8:9]
	global_load_dwordx4 v[6:9], v[6:7], off
.LBB343_51:
	s_or_b64 exec, exec, s[2:3]
	v_mov_b32_e32 v17, 0
	v_mov_b32_e32 v10, 0
	;; [unrolled: 1-line block ×5, first 2 shown]
	s_and_saveexec_b64 s[2:3], vcc
	s_cbranch_execz .LBB343_53
; %bb.52:
	v_mov_b32_e32 v15, 0
	v_lshl_add_u64 v[10:11], s[4:5], 0, v[14:15]
	v_lshlrev_b32_e32 v14, 1, v18
	v_lshl_add_u64 v[10:11], v[10:11], 0, v[14:15]
	global_load_dwordx4 v[10:13], v[10:11], off offset:128
.LBB343_53:
	s_or_b64 exec, exec, s[2:3]
	v_mov_b32_e32 v16, 0
	v_mov_b32_e32 v15, 0
	;; [unrolled: 1-line block ×3, first 2 shown]
	s_and_saveexec_b64 s[2:3], s[0:1]
	s_cbranch_execz .LBB343_55
; %bb.54:
	v_mov_b32_e32 v21, 0
	v_lshl_add_u64 v[14:15], s[4:5], 0, v[20:21]
	v_lshlrev_b32_e32 v20, 1, v18
	v_lshl_add_u64 v[14:15], v[14:15], 0, v[20:21]
	global_load_dwordx4 v[14:17], v[14:15], off offset:128
.LBB343_55:
	s_or_b64 exec, exec, s[2:3]
	s_branch .LBB343_58
.LBB343_56:
                                        ; implicit-def: $vgpr5
                                        ; implicit-def: $vgpr9
                                        ; implicit-def: $vgpr13
                                        ; implicit-def: $vgpr17
	s_cbranch_execz .LBB343_58
; %bb.57:
	s_waitcnt vmcnt(0)
	v_lshlrev_b32_e32 v2, 1, v18
	v_lshl_or_b32 v18, v23, 9, v2
	s_and_b32 s5, s5, 0xffff
	s_mov_b32 s7, 0x20000
	s_movk_i32 s6, 0x4000
	s_movk_i32 s0, 0x80
	buffer_load_dwordx4 v[2:5], v18, s[4:7], 0 offen
	buffer_load_dwordx4 v[6:9], v18, s[4:7], 0 offen offset:256
	buffer_load_dwordx4 v[10:13], v18, s[4:7], s0 offen
	buffer_load_dwordx4 v[14:17], v18, s[4:7], s0 offen offset:256
.LBB343_58:
	ds_read_b64 v[20:21], v25 offset:32768
	v_add_u32_e32 v18, 0xb000, v24
	ds_read2_b64 v[32:35], v18 offset1:16
	ds_read_b64 v[40:41], v26 offset:32768
	ds_read_b64 v[26:27], v27 offset:32768
	;; [unrolled: 1-line block ×3, first 2 shown]
	v_and_b32_e32 v18, 6, v0
	v_xor_b32_e32 v23, v23, v18
	v_lshlrev_b32_e32 v23, 2, v23
	v_and_b32_e32 v0, 1, v0
	v_xor_b32_e32 v28, 0x440, v23
	v_cmp_eq_u32_e32 vcc, 0, v0
	s_waitcnt lgkmcnt(3)
	v_mfma_f32_16x16x16_bf16 a[0:3], v[20:21], v[32:33], a[0:3]
	s_mov_b32 s0, 0x1000504
	v_cndmask_b32_e32 v0, v28, v23, vcc
	v_lshl_or_b32 v0, v18, 10, v0
	v_mfma_f32_16x16x16_bf16 a[4:7], v[20:21], v[34:35], a[4:7]
	ds_read2st64_b64 v[32:35], v24 offset0:90 offset1:92
	ds_read2st64_b64 v[36:39], v29 offset0:90 offset1:92
	ds_read_b64 v[20:21], v24 offset:48128
	ds_read_b64 v[24:25], v29 offset:48128
	s_waitcnt vmcnt(0)
	v_perm_b32 v18, v2, v6, s0
	s_waitcnt lgkmcnt(3)
	v_mfma_f32_16x16x16_bf16 a[0:3], v[40:41], v[32:33], a[0:3]
	s_mov_b32 s1, 0x3020706
	v_perm_b32 v2, v2, v6, s1
	v_perm_b32 v6, v10, v14, s1
	s_waitcnt lgkmcnt(2)
	v_mfma_f32_16x16x16_bf16 a[4:7], v[40:41], v[36:37], a[4:7]
	v_mfma_f32_16x16x16_bf16 a[0:3], v[26:27], v[34:35], a[0:3]
	;; [unrolled: 1-line block ×3, first 2 shown]
	s_waitcnt lgkmcnt(1)
	v_mfma_f32_16x16x16_bf16 a[4:7], v[42:43], v[20:21], a[0:3]
	v_perm_b32 v20, v10, v14, s0
	ds_write2st64_b32 v0, v18, v20 offset0:32 offset1:64
	v_xor_b32_e32 v18, 8, v0
	v_add_u32_e32 v10, 0x80, v18
	ds_write2st64_b32 v10, v2, v6 offset0:32 offset1:64
	v_xor_b32_e32 v2, 16, v0
	v_perm_b32 v6, v3, v7, s0
	v_perm_b32 v10, v11, v15, s0
	ds_write2st64_b32 v2, v6, v10 offset0:33 offset1:65
	v_xor_b32_e32 v2, 24, v0
	v_perm_b32 v3, v3, v7, s1
	v_perm_b32 v6, v11, v15, s1
	v_add_u32_e32 v2, 0x80, v2
	ds_write2st64_b32 v2, v3, v6 offset0:33 offset1:65
	v_xor_b32_e32 v2, 32, v0
	v_perm_b32 v3, v4, v8, s0
	v_perm_b32 v6, v12, v16, s0
	s_waitcnt lgkmcnt(4)
	v_mfma_f32_16x16x16_bf16 a[0:3], v[42:43], v[24:25], a[8:11]
	ds_write2st64_b32 v2, v3, v6 offset0:34 offset1:66
	v_xor_b32_e32 v2, 40, v0
	v_perm_b32 v3, v4, v8, s1
	v_perm_b32 v4, v12, v16, s1
	v_add_u32_e32 v2, 0x80, v2
	ds_write2st64_b32 v2, v3, v4 offset0:34 offset1:66
	v_xor_b32_e32 v2, 48, v0
	v_perm_b32 v3, v5, v9, s0
	v_perm_b32 v4, v13, v17, s0
	v_xor_b32_e32 v0, 56, v0
	v_and_or_b32 v21, v30, 12, v1
	ds_write2st64_b32 v2, v3, v4 offset0:35 offset1:67
	v_perm_b32 v2, v5, v9, s1
	v_perm_b32 v3, v13, v17, s1
	v_add_u32_e32 v0, 0x80, v0
	v_cmp_gt_i32_e32 vcc, s42, v21
	v_mov_b32_e32 v16, 0
	v_mov_b32_e32 v18, 0
	ds_write2st64_b32 v0, v2, v3 offset0:35 offset1:67
	s_and_saveexec_b64 s[0:1], vcc
	s_cbranch_execz .LBB343_60
; %bb.59:
	v_add_u32_e32 v0, s38, v21
	v_ashrrev_i32_e32 v1, 31, v0
	v_mul_lo_u32 v2, v1, s34
	v_mul_lo_u32 v3, v0, s35
	v_mad_u64_u32 v[0:1], s[2:3], v0, s34, 0
	v_add3_u32 v1, v1, v3, v2
	v_lshl_add_u64 v[0:1], v[0:1], 2, s[10:11]
	global_load_dword v0, v[0:1], off
	s_waitcnt vmcnt(0)
	v_sub_f32_e32 v0, s12, v0
	v_mul_f32_e32 v0, 0x3fb8aa3b, v0
	v_exp_f32_e32 v18, v0
.LBB343_60:
	s_or_b64 exec, exec, s[0:1]
	v_or_b32_e32 v10, 1, v21
	v_cmp_gt_i32_e64 s[0:1], s42, v10
	s_and_saveexec_b64 s[2:3], s[0:1]
	s_cbranch_execz .LBB343_62
; %bb.61:
	v_add_u32_e32 v0, s38, v10
	v_ashrrev_i32_e32 v1, 31, v0
	v_mul_lo_u32 v2, v1, s34
	v_mul_lo_u32 v3, v0, s35
	v_mad_u64_u32 v[0:1], s[4:5], v0, s34, 0
	v_add3_u32 v1, v1, v3, v2
	v_lshl_add_u64 v[0:1], v[0:1], 2, s[10:11]
	global_load_dword v0, v[0:1], off
	s_waitcnt vmcnt(0)
	v_sub_f32_e32 v0, s12, v0
	v_mul_f32_e32 v0, 0x3fb8aa3b, v0
	v_exp_f32_e32 v16, v0
.LBB343_62:
	s_or_b64 exec, exec, s[2:3]
	v_or_b32_e32 v12, 2, v21
	v_cmp_gt_i32_e64 s[2:3], s42, v12
	v_mov_b32_e32 v17, 0
	v_mov_b32_e32 v20, 0
	s_and_saveexec_b64 s[4:5], s[2:3]
	s_cbranch_execz .LBB343_64
; %bb.63:
	v_add_u32_e32 v0, s38, v12
	v_ashrrev_i32_e32 v1, 31, v0
	v_mul_lo_u32 v2, v1, s34
	v_mul_lo_u32 v3, v0, s35
	v_mad_u64_u32 v[0:1], s[6:7], v0, s34, 0
	v_add3_u32 v1, v1, v3, v2
	v_lshl_add_u64 v[0:1], v[0:1], 2, s[10:11]
	global_load_dword v0, v[0:1], off
	s_waitcnt vmcnt(0)
	v_sub_f32_e32 v0, s12, v0
	v_mul_f32_e32 v0, 0x3fb8aa3b, v0
	v_exp_f32_e32 v20, v0
.LBB343_64:
	s_or_b64 exec, exec, s[4:5]
	v_or_b32_e32 v14, 3, v21
	v_cmp_gt_i32_e64 s[4:5], s42, v14
	s_and_saveexec_b64 s[6:7], s[4:5]
	s_cbranch_execz .LBB343_66
; %bb.65:
	v_add_u32_e32 v0, s38, v14
	v_ashrrev_i32_e32 v1, 31, v0
	v_mul_lo_u32 v2, v1, s34
	v_mul_lo_u32 v3, v0, s35
	v_mad_u64_u32 v[0:1], s[16:17], v0, s34, 0
	v_add3_u32 v1, v1, v3, v2
	v_lshl_add_u64 v[0:1], v[0:1], 2, s[10:11]
	global_load_dword v0, v[0:1], off
	s_waitcnt vmcnt(0)
	v_sub_f32_e32 v0, s12, v0
	v_mul_f32_e32 v0, 0x3fb8aa3b, v0
	v_exp_f32_e32 v17, v0
.LBB343_66:
	s_or_b64 exec, exec, s[6:7]
	s_add_u32 s6, s8, s28
	v_or_b32_e32 v4, s36, v45
	s_addc_u32 s7, s9, s29
	s_add_u32 s8, s14, s28
	v_ashrrev_i32_e32 v5, 31, v4
	v_accvgpr_read_b32 v0, a4
	s_addc_u32 s9, s15, s29
	v_lshlrev_b64 v[4:5], 1, v[4:5]
	v_accvgpr_read_b32 v1, a5
	v_accvgpr_read_b32 v2, a6
	;; [unrolled: 1-line block ×3, first 2 shown]
	v_lshl_add_u64 v[6:7], s[6:7], 0, v[4:5]
	v_lshl_add_u64 v[4:5], s[8:9], 0, v[4:5]
	v_mov_b32_e32 v11, 0
	v_lshlrev_b32_e32 v8, 8, v21
	v_mov_b32_e32 v9, 0
	s_and_saveexec_b64 s[6:7], vcc
	s_cbranch_execz .LBB343_68
; %bb.67:
	v_mov_b32_e32 v9, 0
	v_lshl_add_u64 v[24:25], v[6:7], 0, v[8:9]
	global_load_ushort v13, v[24:25], off
	v_lshl_add_u64 v[24:25], v[4:5], 0, v[8:9]
	s_waitcnt vmcnt(0)
	v_lshlrev_b32_e32 v9, 16, v13
	v_sub_f32_e32 v0, v9, v0
	global_store_short_d16_hi v[24:25], v0, off
	v_mul_f32_e32 v0, v18, v0
	v_lshrrev_b32_e32 v9, 16, v0
.LBB343_68:
	s_or_b64 exec, exec, s[6:7]
	v_lshlrev_b32_e32 v10, 8, v10
	s_and_saveexec_b64 s[6:7], s[0:1]
	s_cbranch_execz .LBB343_70
; %bb.69:
	v_mov_b32_e32 v11, 0
	v_lshl_add_u64 v[24:25], v[6:7], 0, v[10:11]
	global_load_ushort v0, v[24:25], off
	v_lshl_add_u64 v[24:25], v[4:5], 0, v[10:11]
	s_waitcnt vmcnt(0)
	v_lshlrev_b32_e32 v0, 16, v0
	v_sub_f32_e32 v0, v0, v1
	global_store_short_d16_hi v[24:25], v0, off
	v_mul_f32_e32 v0, v16, v0
	v_lshrrev_b32_e32 v11, 16, v0
.LBB343_70:
	s_or_b64 exec, exec, s[6:7]
	v_mov_b32_e32 v15, 0
	v_lshlrev_b32_e32 v12, 8, v12
	v_mov_b32_e32 v13, 0
	s_and_saveexec_b64 s[6:7], s[2:3]
	s_cbranch_execz .LBB343_72
; %bb.71:
	v_mov_b32_e32 v13, 0
	v_lshl_add_u64 v[0:1], v[6:7], 0, v[12:13]
	global_load_ushort v23, v[0:1], off
	v_lshl_add_u64 v[0:1], v[4:5], 0, v[12:13]
	s_waitcnt vmcnt(0)
	v_lshlrev_b32_e32 v13, 16, v23
	v_sub_f32_e32 v2, v13, v2
	global_store_short_d16_hi v[0:1], v2, off
	v_mul_f32_e32 v0, v20, v2
	v_lshrrev_b32_e32 v13, 16, v0
.LBB343_72:
	s_or_b64 exec, exec, s[6:7]
	v_lshlrev_b32_e32 v14, 8, v14
	s_and_saveexec_b64 s[6:7], s[4:5]
	s_cbranch_execz .LBB343_74
; %bb.73:
	v_mov_b32_e32 v15, 0
	v_lshl_add_u64 v[0:1], v[6:7], 0, v[14:15]
	global_load_ushort v2, v[0:1], off
	v_lshl_add_u64 v[0:1], v[4:5], 0, v[14:15]
	s_waitcnt vmcnt(0)
	v_lshlrev_b32_e32 v2, 16, v2
	v_sub_f32_e32 v2, v2, v3
	global_store_short_d16_hi v[0:1], v2, off
	v_mul_f32_e32 v0, v17, v2
	v_lshrrev_b32_e32 v15, 16, v0
.LBB343_74:
	s_or_b64 exec, exec, s[6:7]
	v_lshlrev_b32_e32 v21, 5, v21
	s_mov_b32 s6, 0x5040100
	v_perm_b32 v24, v11, v9, s6
	v_or_b32_e32 v9, v21, v22
	v_accvgpr_read_b32 v0, a0
	v_perm_b32 v25, v15, v13, s6
	v_lshlrev_b32_e32 v9, 1, v9
	v_accvgpr_read_b32 v1, a1
	v_accvgpr_read_b32 v2, a2
	;; [unrolled: 1-line block ×3, first 2 shown]
	ds_write_b64 v9, v[24:25] offset:45056
	v_mov_b32_e32 v11, 0
	v_mov_b32_e32 v9, 0
	s_and_saveexec_b64 s[6:7], vcc
	s_cbranch_execz .LBB343_76
; %bb.75:
	v_mov_b32_e32 v9, 0
	v_lshl_add_u64 v[22:23], v[6:7], 0, v[8:9]
	global_load_ushort v13, v[22:23], off offset:32
	v_lshl_add_u64 v[8:9], v[4:5], 0, v[8:9]
	s_waitcnt vmcnt(0)
	v_lshlrev_b32_e32 v13, 16, v13
	v_sub_f32_e32 v0, v13, v0
	global_store_short_d16_hi v[8:9], v0, off offset:32
	v_mul_f32_e32 v0, v18, v0
	v_lshrrev_b32_e32 v9, 16, v0
.LBB343_76:
	s_or_b64 exec, exec, s[6:7]
	s_and_saveexec_b64 s[6:7], s[0:1]
	s_cbranch_execz .LBB343_78
; %bb.77:
	v_mov_b32_e32 v11, 0
	v_lshl_add_u64 v[22:23], v[6:7], 0, v[10:11]
	global_load_ushort v0, v[22:23], off offset:32
	v_lshl_add_u64 v[10:11], v[4:5], 0, v[10:11]
	s_waitcnt vmcnt(0)
	v_lshlrev_b32_e32 v0, 16, v0
	v_sub_f32_e32 v0, v0, v1
	global_store_short_d16_hi v[10:11], v0, off offset:32
	v_mul_f32_e32 v0, v16, v0
	v_lshrrev_b32_e32 v11, 16, v0
.LBB343_78:
	s_or_b64 exec, exec, s[6:7]
	v_mov_b32_e32 v0, 0
	v_mov_b32_e32 v1, 0
	s_and_saveexec_b64 s[0:1], s[2:3]
	s_cbranch_execz .LBB343_80
; %bb.79:
	v_mov_b32_e32 v13, 0
	v_lshl_add_u64 v[22:23], v[6:7], 0, v[12:13]
	global_load_ushort v1, v[22:23], off offset:32
	v_lshl_add_u64 v[12:13], v[4:5], 0, v[12:13]
	s_waitcnt vmcnt(0)
	v_lshlrev_b32_e32 v1, 16, v1
	v_sub_f32_e32 v1, v1, v2
	global_store_short_d16_hi v[12:13], v1, off offset:32
	v_mul_f32_e32 v1, v20, v1
	v_lshrrev_b32_e32 v1, 16, v1
.LBB343_80:
	s_or_b64 exec, exec, s[0:1]
	s_and_saveexec_b64 s[0:1], s[4:5]
	s_cbranch_execz .LBB343_82
; %bb.81:
	v_mov_b32_e32 v15, 0
	v_lshl_add_u64 v[6:7], v[6:7], 0, v[14:15]
	global_load_ushort v0, v[6:7], off offset:32
	v_lshl_add_u64 v[4:5], v[4:5], 0, v[14:15]
	s_waitcnt vmcnt(0)
	v_lshlrev_b32_e32 v0, 16, v0
	v_sub_f32_e32 v0, v0, v3
	global_store_short_d16_hi v[4:5], v0, off offset:32
	v_mul_f32_e32 v0, v17, v0
	v_lshrrev_b32_e32 v0, 16, v0
.LBB343_82:
	s_or_b64 exec, exec, s[0:1]
	s_mov_b32 s0, 0x5040100
	v_or_b32_e32 v2, v21, v19
	v_perm_b32 v1, v0, v1, s0
	v_perm_b32 v0, v11, v9, s0
	v_lshlrev_b32_e32 v2, 1, v2
	ds_write_b64 v2, v[0:1] offset:45056
	s_waitcnt lgkmcnt(0)
	s_barrier
.LBB343_83:
	s_endpgm
	.section	.rodata,"a",@progbits
	.p2align	6, 0x0
	.amdhsa_kernel _ZN12_GLOBAL__N_139chunk_gated_delta_rule_fwd_h_hip_kernelILi32ELb0ELb0ELb1ELb1ELb0ELb1ELb0ELb1EEEvPK12hip_bfloat16S3_S3_PKfS5_PKvPS1_S8_PvPKiSB_iiiiilll
		.amdhsa_group_segment_fixed_size 49152
		.amdhsa_private_segment_fixed_size 0
		.amdhsa_kernarg_size 136
		.amdhsa_user_sgpr_count 2
		.amdhsa_user_sgpr_dispatch_ptr 0
		.amdhsa_user_sgpr_queue_ptr 0
		.amdhsa_user_sgpr_kernarg_segment_ptr 1
		.amdhsa_user_sgpr_dispatch_id 0
		.amdhsa_user_sgpr_kernarg_preload_length 0
		.amdhsa_user_sgpr_kernarg_preload_offset 0
		.amdhsa_user_sgpr_private_segment_size 0
		.amdhsa_uses_dynamic_stack 0
		.amdhsa_enable_private_segment 0
		.amdhsa_system_sgpr_workgroup_id_x 1
		.amdhsa_system_sgpr_workgroup_id_y 1
		.amdhsa_system_sgpr_workgroup_id_z 0
		.amdhsa_system_sgpr_workgroup_info 0
		.amdhsa_system_vgpr_workitem_id 0
		.amdhsa_next_free_vgpr 168
		.amdhsa_next_free_sgpr 63
		.amdhsa_accum_offset 144
		.amdhsa_reserve_vcc 1
		.amdhsa_float_round_mode_32 0
		.amdhsa_float_round_mode_16_64 0
		.amdhsa_float_denorm_mode_32 3
		.amdhsa_float_denorm_mode_16_64 3
		.amdhsa_dx10_clamp 1
		.amdhsa_ieee_mode 1
		.amdhsa_fp16_overflow 0
		.amdhsa_tg_split 0
		.amdhsa_exception_fp_ieee_invalid_op 0
		.amdhsa_exception_fp_denorm_src 0
		.amdhsa_exception_fp_ieee_div_zero 0
		.amdhsa_exception_fp_ieee_overflow 0
		.amdhsa_exception_fp_ieee_underflow 0
		.amdhsa_exception_fp_ieee_inexact 0
		.amdhsa_exception_int_div_zero 0
	.end_amdhsa_kernel
	.section	.text._ZN12_GLOBAL__N_139chunk_gated_delta_rule_fwd_h_hip_kernelILi32ELb0ELb0ELb1ELb1ELb0ELb1ELb0ELb1EEEvPK12hip_bfloat16S3_S3_PKfS5_PKvPS1_S8_PvPKiSB_iiiiilll,"axG",@progbits,_ZN12_GLOBAL__N_139chunk_gated_delta_rule_fwd_h_hip_kernelILi32ELb0ELb0ELb1ELb1ELb0ELb1ELb0ELb1EEEvPK12hip_bfloat16S3_S3_PKfS5_PKvPS1_S8_PvPKiSB_iiiiilll,comdat
.Lfunc_end343:
	.size	_ZN12_GLOBAL__N_139chunk_gated_delta_rule_fwd_h_hip_kernelILi32ELb0ELb0ELb1ELb1ELb0ELb1ELb0ELb1EEEvPK12hip_bfloat16S3_S3_PKfS5_PKvPS1_S8_PvPKiSB_iiiiilll, .Lfunc_end343-_ZN12_GLOBAL__N_139chunk_gated_delta_rule_fwd_h_hip_kernelILi32ELb0ELb0ELb1ELb1ELb0ELb1ELb0ELb1EEEvPK12hip_bfloat16S3_S3_PKfS5_PKvPS1_S8_PvPKiSB_iiiiilll
                                        ; -- End function
	.section	.AMDGPU.csdata,"",@progbits
; Kernel info:
; codeLenInByte = 8836
; NumSgprs: 69
; NumVgprs: 142
; NumAgprs: 24
; TotalNumVgprs: 168
; ScratchSize: 0
; MemoryBound: 0
; FloatMode: 240
; IeeeMode: 1
; LDSByteSize: 49152 bytes/workgroup (compile time only)
; SGPRBlocks: 8
; VGPRBlocks: 20
; NumSGPRsForWavesPerEU: 69
; NumVGPRsForWavesPerEU: 168
; AccumOffset: 144
; Occupancy: 1
; WaveLimiterHint : 1
; COMPUTE_PGM_RSRC2:SCRATCH_EN: 0
; COMPUTE_PGM_RSRC2:USER_SGPR: 2
; COMPUTE_PGM_RSRC2:TRAP_HANDLER: 0
; COMPUTE_PGM_RSRC2:TGID_X_EN: 1
; COMPUTE_PGM_RSRC2:TGID_Y_EN: 1
; COMPUTE_PGM_RSRC2:TGID_Z_EN: 0
; COMPUTE_PGM_RSRC2:TIDIG_COMP_CNT: 0
; COMPUTE_PGM_RSRC3_GFX90A:ACCUM_OFFSET: 35
; COMPUTE_PGM_RSRC3_GFX90A:TG_SPLIT: 0
	.section	.text._ZN12_GLOBAL__N_139chunk_gated_delta_rule_fwd_h_hip_kernelILi32ELb0ELb0ELb0ELb1ELb0ELb1ELb0ELb1EEEvPK12hip_bfloat16S3_S3_PKfS5_PKvPS1_S8_PvPKiSB_iiiiilll,"axG",@progbits,_ZN12_GLOBAL__N_139chunk_gated_delta_rule_fwd_h_hip_kernelILi32ELb0ELb0ELb0ELb1ELb0ELb1ELb0ELb1EEEvPK12hip_bfloat16S3_S3_PKfS5_PKvPS1_S8_PvPKiSB_iiiiilll,comdat
	.globl	_ZN12_GLOBAL__N_139chunk_gated_delta_rule_fwd_h_hip_kernelILi32ELb0ELb0ELb0ELb1ELb0ELb1ELb0ELb1EEEvPK12hip_bfloat16S3_S3_PKfS5_PKvPS1_S8_PvPKiSB_iiiiilll ; -- Begin function _ZN12_GLOBAL__N_139chunk_gated_delta_rule_fwd_h_hip_kernelILi32ELb0ELb0ELb0ELb1ELb0ELb1ELb0ELb1EEEvPK12hip_bfloat16S3_S3_PKfS5_PKvPS1_S8_PvPKiSB_iiiiilll
	.p2align	8
	.type	_ZN12_GLOBAL__N_139chunk_gated_delta_rule_fwd_h_hip_kernelILi32ELb0ELb0ELb0ELb1ELb0ELb1ELb0ELb1EEEvPK12hip_bfloat16S3_S3_PKfS5_PKvPS1_S8_PvPKiSB_iiiiilll,@function
_ZN12_GLOBAL__N_139chunk_gated_delta_rule_fwd_h_hip_kernelILi32ELb0ELb0ELb0ELb1ELb0ELb1ELb0ELb1EEEvPK12hip_bfloat16S3_S3_PKfS5_PKvPS1_S8_PvPKiSB_iiiiilll: ; @_ZN12_GLOBAL__N_139chunk_gated_delta_rule_fwd_h_hip_kernelILi32ELb0ELb0ELb0ELb1ELb0ELb1ELb0ELb1EEEvPK12hip_bfloat16S3_S3_PKfS5_PKvPS1_S8_PvPKiSB_iiiiilll
; %bb.0:
	s_load_dwordx4 s[12:15], s[0:1], 0x5c
	s_load_dwordx4 s[16:19], s[0:1], 0x70
	s_abs_i32 s21, s3
	s_ashr_i32 s20, s3, 31
	s_load_dwordx2 s[36:37], s[0:1], 0x30
	s_load_dwordx4 s[24:27], s[0:1], 0x48
	s_waitcnt lgkmcnt(0)
	s_abs_i32 s28, s13
	v_cvt_f32_u32_e32 v1, s28
	s_sub_i32 s22, 0, s28
	s_ashr_i32 s29, s13, 31
	s_xor_b32 s20, s20, s29
	v_rcp_iflag_f32_e32 v1, v1
	s_load_dwordx8 s[4:11], s[0:1], 0x0
	v_lshrrev_b32_e32 v61, 6, v0
	v_bfe_u32 v62, v0, 4, 2
	v_mul_f32_e32 v1, 0x4f7ffffe, v1
	v_cvt_u32_f32_e32 v1, v1
	v_lshlrev_b32_e32 v2, 2, v62
	v_and_b32_e32 v60, 63, v0
	v_mov_b32_e32 v5, 0
	v_readfirstlane_b32 s23, v1
	s_mul_i32 s22, s22, s23
	s_mul_hi_u32 s22, s23, s22
	s_add_i32 s23, s23, s22
	s_mul_hi_u32 s22, s21, s23
	s_mul_i32 s23, s22, s28
	s_sub_i32 s21, s21, s23
	s_add_i32 s30, s22, 1
	s_sub_i32 s23, s21, s28
	s_cmp_ge_u32 s21, s28
	s_cselect_b32 s22, s30, s22
	s_cselect_b32 s21, s23, s21
	s_add_i32 s23, s22, 1
	s_cmp_ge_u32 s21, s28
	s_cselect_b32 s21, s23, s22
	s_xor_b32 s21, s21, s20
	s_sub_i32 s20, s21, s20
	s_mul_i32 s21, s20, s13
	s_sub_i32 s33, s3, s21
	s_ashr_i32 s21, s20, 31
	s_lshl_b64 s[22:23], s[20:21], 2
	s_add_u32 s24, s24, s22
	s_addc_u32 s25, s25, s23
	s_add_u32 s22, s26, s22
	s_addc_u32 s23, s27, s23
	s_abs_i32 s3, s14
	v_cvt_f32_u32_e32 v1, s3
	s_load_dwordx2 s[34:35], s[24:25], 0x0
	s_sub_i32 s25, 0, s3
	s_load_dword s46, s[22:23], 0x0
	v_rcp_iflag_f32_e32 v1, v1
	v_and_b32_e32 v45, 15, v0
	s_waitcnt lgkmcnt(0)
	s_sub_i32 s47, s35, s34
	s_ashr_i32 s24, s47, 31
	v_mul_f32_e32 v1, 0x4f7ffffe, v1
	v_cvt_u32_f32_e32 v1, v1
	s_lshr_b32 s24, s24, 26
	s_add_i32 s24, s47, s24
	s_ashr_i32 s45, s24, 6
	v_readfirstlane_b32 s26, v1
	s_mul_i32 s25, s25, s26
	s_mul_hi_u32 s25, s26, s25
	s_add_i32 s26, s26, s25
	s_mul_hi_u32 s25, s28, s26
	s_mul_i32 s26, s25, s3
	s_ashr_i32 s24, s14, 31
	s_sub_i32 s26, s28, s26
	s_xor_b32 s24, s29, s24
	s_add_i32 s27, s25, 1
	s_sub_i32 s28, s26, s3
	s_cmp_ge_u32 s26, s3
	s_cselect_b32 s25, s27, s25
	s_cselect_b32 s26, s28, s26
	s_add_i32 s27, s25, 1
	s_cmp_ge_u32 s26, s3
	s_cselect_b32 s3, s27, s25
	s_xor_b32 s3, s3, s24
	s_sub_i32 s3, s3, s24
	s_abs_i32 s24, s3
	v_cvt_f32_u32_e32 v1, s24
	s_sub_i32 s23, 0, s24
	s_abs_i32 s22, s33
	s_xor_b32 s3, s33, s3
	v_rcp_iflag_f32_e32 v1, v1
	s_ashr_i32 s3, s3, 31
	s_load_dwordx2 s[28:29], s[0:1], 0x80
	s_mul_hi_i32 s48, s33, s12
	v_mul_f32_e32 v1, 0x4f7ffffe, v1
	v_cvt_u32_f32_e32 v1, v1
	s_mul_i32 s49, s33, s12
	v_lshrrev_b32_e32 v64, 3, v60
	v_lshlrev_b32_e32 v63, 3, v0
	v_readfirstlane_b32 s25, v1
	s_mul_i32 s23, s23, s25
	s_mul_hi_u32 s23, s25, s23
	s_add_i32 s25, s25, s23
	s_mul_hi_u32 s23, s22, s25
	s_mul_i32 s25, s23, s24
	s_sub_i32 s22, s22, s25
	s_add_i32 s25, s23, 1
	s_sub_i32 s26, s22, s24
	s_cmp_ge_u32 s22, s24
	s_cselect_b32 s23, s25, s23
	s_cselect_b32 s22, s26, s22
	s_add_i32 s25, s23, 1
	s_cmp_ge_u32 s22, s24
	s_cselect_b32 s22, s25, s23
	s_xor_b32 s22, s22, s3
	v_lshlrev_b32_e32 v1, 4, v61
	s_sub_i32 s50, s22, s3
	v_or_b32_e32 v65, v2, v1
	s_lshl_b32 s30, s2, 5
	v_or_b32_e32 v66, 64, v65
	s_cmp_lt_i32 s47, 64
	s_mul_i32 s42, s20, s17
	s_mul_hi_u32 s43, s20, s16
	s_mul_i32 s44, s21, s16
	s_mul_i32 s16, s20, s16
	v_mov_b32_e32 v84, 0
	v_mov_b32_e32 v82, 0
	;; [unrolled: 1-line block ×15, first 2 shown]
	s_cbranch_scc1 .LBB344_18
; %bb.1:
	s_ashr_i32 s53, s33, 31
	s_ashr_i32 s3, s34, 31
	s_add_u32 s2, s49, s34
	s_addc_u32 s3, s48, s3
	s_lshl_b64 s[2:3], s[2:3], 8
	v_and_b32_e32 v68, 56, v63
	s_add_u32 s20, s6, s2
	v_lshl_or_b32 v67, v61, 3, v64
	v_lshlrev_b32_e32 v3, 1, v68
	s_addc_u32 s2, s7, s3
	v_lshl_or_b32 v69, v67, 8, v3
	s_and_b32 s21, s2, 0xffff
	s_mov_b32 s23, 0x20000
	s_movk_i32 s22, 0x4000
	s_movk_i32 s2, 0x80
	v_or_b32_e32 v70, 0x2000, v69
	buffer_load_dwordx4 v[4:7], v69, s[20:23], 0 offen
	buffer_load_dwordx4 v[8:11], v69, s[20:23], s2 offen
	;; [unrolled: 1-line block ×4, first 2 shown]
	v_lshlrev_b32_e32 v20, 3, v67
	v_and_or_b32 v22, v0, 7, v20
	v_and_b32_e32 v20, 0x78, v20
	v_lshlrev_b32_e32 v22, 4, v22
	v_xor_b32_e32 v71, v22, v20
	v_mul_lo_u32 v21, v67, s15
	v_or_b32_e32 v72, 0x1000, v71
	s_cmpk_eq_i32 s15, 0x80
	s_mov_b32 s51, s13
	s_mov_b32 s52, s34
	v_xor_b32_e32 v20, 8, v71
	v_xor_b32_e32 v22, 8, v72
	s_cselect_b64 s[2:3], -1, 0
	s_cmpk_lg_i32 s15, 0x80
	s_waitcnt vmcnt(3)
	ds_write_b64 v71, v[4:5] offset:24576
	ds_write_b64 v20, v[6:7] offset:24576
	s_waitcnt vmcnt(2)
	ds_write_b64 v71, v[8:9] offset:32768
	ds_write_b64 v20, v[10:11] offset:32768
	;; [unrolled: 3-line block ×4, first 2 shown]
	v_lshl_add_u32 v4, v21, 1, v68
	s_cbranch_scc0 .LBB344_3
; %bb.2:
	v_lshlrev_b32_e32 v6, 1, v4
	v_add_lshl_u32 v5, v4, s15, 1
	s_lshl_b32 s22, s15, 7
	s_load_dwordx2 s[38:39], s[0:1], 0x20
	v_lshl_or_b32 v3, v67, 9, v3
	s_cbranch_execz .LBB344_4
	s_branch .LBB344_5
.LBB344_3:
                                        ; implicit-def: $vgpr5
                                        ; implicit-def: $vgpr6
                                        ; implicit-def: $sgpr22
	s_load_dwordx2 s[38:39], s[0:1], 0x20
	v_lshl_or_b32 v3, v67, 9, v3
.LBB344_4:
	v_or_b32_e32 v5, 0x100, v3
	s_movk_i32 s22, 0x4000
	v_mov_b32_e32 v6, v3
.LBB344_5:
	s_mul_i32 s0, s34, s14
	s_ashr_i32 s54, s50, 31
	s_mul_hi_i32 s1, s34, s14
	s_add_u32 s0, s0, s50
	s_addc_u32 s1, s1, s54
	s_lshl_b64 s[0:1], s[0:1], 8
	s_add_u32 s20, s4, s0
	s_addc_u32 s0, s5, s1
	s_and_b32 s21, s0, 0xffff
	s_movk_i32 s55, 0x80
	buffer_load_dwordx4 v[8:11], v6, s[20:23], 0 offen
	buffer_load_dwordx4 v[12:15], v6, s[20:23], s55 offen
	;; [unrolled: 1-line block ×4, first 2 shown]
	v_and_b32_e32 v5, 6, v0
	v_lshlrev_b32_e32 v24, 6, v65
	v_or_b32_e32 v26, 16, v45
	v_xor_b32_e32 v27, v67, v5
	v_and_b32_e32 v6, 1, v0
	v_lshl_or_b32 v30, v45, 3, v24
	v_lshl_or_b32 v24, v26, 3, v24
	v_lshlrev_b32_e32 v27, 2, v27
	v_lshlrev_b32_e32 v7, 2, v45
	s_mul_i32 s0, s33, s19
	s_mul_hi_u32 s1, s33, s18
	v_or_b32_e32 v75, 0xa000, v24
	v_or_b32_e32 v76, 0xb000, v24
	v_xor_b32_e32 v24, 0x440, v27
	v_cmp_eq_u32_e32 vcc, 0, v6
	s_add_i32 s17, s43, s42
	s_mul_i32 s20, s53, s18
	v_xor_b32_e32 v28, v65, v7
	v_xor_b32_e32 v29, v66, v7
	v_cndmask_b32_e32 v6, v24, v27, vcc
	s_add_i32 s0, s1, s0
	s_add_i32 s17, s17, s44
	s_mov_b32 s56, 0x1000504
	v_lshlrev_b32_e32 v25, 8, v45
	v_lshlrev_b32_e32 v26, 8, v26
	;; [unrolled: 1-line block ×4, first 2 shown]
	v_lshl_or_b32 v5, v5, 10, v6
	s_add_i32 s1, s0, s20
	s_lshl_b64 s[20:21], s[16:17], 2
	s_mov_b32 s57, 0x3020706
	v_or_b32_e32 v73, 0xa000, v30
	v_or_b32_e32 v74, 0xb000, v30
	;; [unrolled: 1-line block ×5, first 2 shown]
	v_xor_b32_e32 v6, 8, v5
	v_xor_b32_e32 v25, 24, v5
	;; [unrolled: 1-line block ×4, first 2 shown]
	s_mul_i32 s0, s33, s18
	s_add_u32 s17, s10, s20
	v_or_b32_e32 v79, v26, v28
	v_xor_b32_e32 v24, 16, v5
	v_xor_b32_e32 v26, 32, v5
	v_xor_b32_e32 v28, 48, v5
	v_add_u32_e32 v6, 0x80, v6
	v_add_u32_e32 v25, 0x80, v25
	;; [unrolled: 1-line block ×4, first 2 shown]
	s_addc_u32 s20, s11, s21
	s_lshl_b64 s[0:1], s[0:1], 2
	s_add_u32 s40, s17, s0
	s_movk_i32 s0, 0xf8
	s_addc_u32 s41, s20, s1
	s_ashr_i32 s31, s30, 31
	s_lshl_b32 s26, s15, 7
	s_movk_i32 s20, 0x100
	v_mov_b32_e32 v51, 0
	v_lshlrev_b32_e32 v50, 4, v45
	v_cmp_gt_u32_e32 vcc, s20, v0
	s_mov_b32 s58, 0
	s_movk_i32 s17, 0x1000
	s_movk_i32 s22, 0x4000
	v_add_u32_e32 v100, v1, v2
	v_mov_b32_e32 v111, 0x3fb8aa3b
	v_mov_b32_e32 v52, v51
	;; [unrolled: 1-line block ×13, first 2 shown]
	s_waitcnt vmcnt(1)
	v_perm_b32 v30, v8, v16, s56
	s_waitcnt vmcnt(0)
	v_perm_b32 v31, v12, v20, s56
	v_perm_b32 v8, v8, v16, s57
	;; [unrolled: 1-line block ×15, first 2 shown]
	ds_write2st64_b32 v5, v30, v31 offset0:32 offset1:64
	ds_write2st64_b32 v6, v8, v12 offset0:32 offset1:64
	;; [unrolled: 1-line block ×8, first 2 shown]
	v_or_b32_e32 v5, v1, v45
	v_lshlrev_b32_e32 v5, 3, v5
	v_lshrrev_b32_e32 v8, 5, v60
	v_and_or_b32 v8, v5, s0, v8
	v_lshrrev_b32_e32 v6, 2, v60
	v_lshlrev_b32_e32 v11, 11, v61
	v_lshlrev_b32_e32 v8, 4, v8
	v_and_b32_e32 v5, 0x78, v5
	v_and_b32_e32 v9, 12, v6
	;; [unrolled: 1-line block ×3, first 2 shown]
	v_xor_b32_e32 v10, v8, v5
	v_lshrrev_b32_e32 v12, 1, v60
	v_or_b32_e32 v10, v10, v6
	v_and_b32_e32 v12, 8, v12
	v_xor_b32_e32 v81, v10, v12
	v_or_b32_e32 v10, 32, v8
	v_xor_b32_e32 v10, v10, v5
	v_or_b32_e32 v10, v10, v6
	;; [unrolled: 2-line block ×3, first 2 shown]
	v_or_b32_e32 v8, 0x60, v8
	v_xor_b32_e32 v10, v10, v5
	v_xor_b32_e32 v5, v8, v5
	s_lshl_b64 s[0:1], s[30:31], 8
	v_or_b32_e32 v10, v10, v6
	v_or_b32_e32 v5, v5, v6
	v_lshlrev_b32_e32 v14, 1, v4
	v_add_lshl_u32 v15, v4, s15, 1
	s_add_u32 s0, s36, s0
	v_lshlrev_b32_e32 v4, 1, v45
	v_xor_b32_e32 v91, v10, v12
	v_xor_b32_e32 v92, v5, v12
	v_lshrrev_b32_e32 v10, 4, v0
	s_addc_u32 s1, s37, s1
	v_or_b32_e32 v5, 1, v4
	v_mov_b32_e32 v20, 0x4000
	v_mov_b32_e32 v21, 0x2000
	v_lshrrev_b32_e32 v22, 1, v0
	v_xor_b32_e32 v12, v10, v4
	v_xor_b32_e32 v17, v5, v10
	v_lshl_add_u64 v[4:5], s[0:1], 0, v[50:51]
	v_lshlrev_b32_e32 v50, 8, v10
	v_cndmask_b32_e32 v20, v20, v21, vcc
	v_lshlrev_b32_e32 v21, 3, v61
	v_and_b32_e32 v22, 24, v22
	v_lshl_or_b32 v95, v12, 3, v50
	v_and_b32_e32 v12, 8, v0
	v_xor_b32_e32 v23, v21, v22
	v_or_b32_e32 v24, 0x440, v23
	v_cmp_eq_u32_e32 vcc, 0, v12
	v_and_b32_e32 v10, 7, v0
	v_lshlrev_b32_e32 v13, 7, v62
	v_cndmask_b32_e32 v12, v24, v23, vcc
	v_lshl_or_b32 v96, v17, 3, v50
	v_lshlrev_b32_e32 v17, 3, v10
	v_lshlrev_b32_e32 v19, 2, v0
	v_or_b32_e32 v12, v12, v11
	v_or_b32_e32 v7, v13, v7
	v_xor_b32_e32 v23, v12, v17
	v_and_or_b32 v12, v19, 60, v13
	v_mov_b32_e32 v13, 0xb000
	v_lshl_or_b32 v97, v12, 1, v13
	v_or_b32_e32 v12, 32, v22
	v_xor_b32_e32 v12, v21, v12
	v_or_b32_e32 v13, 0x440, v12
	v_cndmask_b32_e32 v12, v13, v12, vcc
	v_or_b32_e32 v12, v12, v11
	v_xor_b32_e32 v13, v12, v17
	v_or_b32_e32 v12, 64, v22
	v_xor_b32_e32 v12, v21, v12
	v_xor_b32_e32 v25, 0x440, v12
	v_cndmask_b32_e32 v12, v25, v12, vcc
	v_or_b32_e32 v12, v12, v11
	v_xor_b32_e32 v25, v12, v17
	v_or_b32_e32 v12, 0x60, v22
	v_xor_b32_e32 v12, v21, v12
	v_xor_b32_e32 v21, 0x440, v12
	v_cndmask_b32_e32 v12, v21, v12, vcc
	v_or_b32_e32 v11, v12, v11
	v_lshlrev_b32_e32 v7, 1, v7
	v_or_b32_e32 v6, s30, v45
	v_xor_b32_e32 v11, v11, v17
	v_or_b32_e32 v85, 0xa000, v7
	v_or_b32_e32 v90, 0xa080, v7
	;; [unrolled: 1-line block ×4, first 2 shown]
	v_lshlrev_b32_e32 v8, 7, v65
	v_ashrrev_i32_e32 v7, 31, v6
	v_or_b32_e32 v16, 0x100, v3
	v_lshlrev_b32_e32 v18, 7, v10
	v_or_b32_e32 v10, v9, v1
	v_add_u32_e32 v24, v20, v23
	v_add_u32_e32 v19, v20, v13
	;; [unrolled: 1-line block ×4, first 2 shown]
	v_or3_b32 v12, v1, v9, 64
	v_add_u32_e32 v9, 0x4000, v23
	v_add_u32_e32 v13, 0x4000, v13
	;; [unrolled: 1-line block ×4, first 2 shown]
	v_cndmask_b32_e64 v98, v14, v3, s[2:3]
	v_cndmask_b32_e64 v99, v15, v16, s[2:3]
	v_lshl_add_u64 v[56:57], v[6:7], 1, s[8:9]
	v_lshl_add_u64 v[58:59], v[4:5], 0, v[50:51]
	s_mov_b32 s31, 0x7060302
	v_lshlrev_b32_e32 v50, 1, v8
	v_lshlrev_b32_e32 v101, 2, v10
	v_add_u32_e32 v102, v24, v18
	v_add_u32_e32 v103, v19, v18
	;; [unrolled: 1-line block ×4, first 2 shown]
	v_lshlrev_b32_e32 v106, 2, v12
	v_add_u32_e32 v107, v9, v18
	v_add_u32_e32 v108, v13, v18
	;; [unrolled: 1-line block ×4, first 2 shown]
	v_mov_b32_e32 v83, v51
	v_mov_b32_e32 v82, v51
	;; [unrolled: 1-line block ×4, first 2 shown]
	s_waitcnt lgkmcnt(0)
	s_barrier
.LBB344_6:                              ; =>This Inner Loop Header: Depth=1
	s_add_i32 s59, s58, 1
	s_cmp_lt_i32 s59, s45
	s_mov_b64 s[24:25], 0
	s_cselect_b64 s[2:3], -1, 0
	s_cmp_ge_i32 s59, s45
	s_mov_b64 s[20:21], 0
	s_cbranch_scc1 .LBB344_8
; %bb.7:                                ;   in Loop: Header=BB344_6 Depth=1
	s_add_i32 s0, s52, 64
	s_ashr_i32 s1, s0, 31
	s_add_u32 s0, s49, s0
	s_addc_u32 s1, s48, s1
	s_lshl_b64 s[0:1], s[0:1], 8
	s_add_u32 s20, s6, s0
	s_addc_u32 s21, s7, s1
.LBB344_8:                              ;   in Loop: Header=BB344_6 Depth=1
	v_cndmask_b32_e64 v2, 0, 1, s[2:3]
	v_cmp_ne_u32_e64 s[0:1], 1, v2
	s_andn2_b64 vcc, exec, s[2:3]
	s_cbranch_vccnz .LBB344_10
; %bb.9:                                ;   in Loop: Header=BB344_6 Depth=1
	s_add_i32 s2, s52, 64
	s_mul_hi_i32 s3, s2, s14
	s_mul_i32 s2, s2, s14
	s_add_u32 s2, s2, s50
	s_addc_u32 s3, s3, s54
	s_lshl_b64 s[2:3], s[2:3], 8
	s_add_u32 s24, s4, s2
	s_addc_u32 s25, s5, s3
.LBB344_10:                             ;   in Loop: Header=BB344_6 Depth=1
	v_perm_b32 v3, v55, v54, s31
	v_perm_b32 v2, v53, v52, s31
	;; [unrolled: 1-line block ×4, first 2 shown]
	ds_write_b64 v73, v[2:3]
	ds_write_b64 v74, v[4:5]
	;; [unrolled: 1-line block ×4, first 2 shown]
	v_perm_b32 v3, v113, v88, s31
	v_perm_b32 v2, v86, v87, s31
	;; [unrolled: 1-line block ×4, first 2 shown]
	ds_write_b64 v75, v[2:3]
	ds_write_b64 v76, v[4:5]
	ds_write_b64 v79, v[2:3]
	ds_write_b64 v80, v[4:5]
	s_waitcnt lgkmcnt(0)
	s_barrier
	ds_read_b64 v[6:7], v81 offset:24576
	ds_read2_b64 v[2:5], v85 offset1:16
	ds_read_b64 v[10:11], v90 offset:3072
	ds_read_b64 v[12:13], v85 offset:3072
	;; [unrolled: 1-line block ×3, first 2 shown]
	s_waitcnt lgkmcnt(3)
	v_mfma_f32_16x16x16_bf16 a[0:3], v[6:7], v[2:3], 0
	s_add_i32 s60, s52, 63
	s_ashr_i32 s2, s60, 31
	s_mul_i32 s3, s60, s29
	v_mfma_f32_16x16x16_bf16 a[4:7], v[6:7], v[4:5], 0
	ds_read2st64_b64 v[2:5], v85 offset0:2 offset1:4
	s_mul_hi_u32 s27, s60, s28
	s_add_i32 s3, s27, s3
	s_waitcnt lgkmcnt(0)
	v_mfma_f32_16x16x16_bf16 a[0:3], v[14:15], v[2:3], a[0:3]
	ds_read2st64_b64 v[6:9], v90 offset0:2 offset1:4
	ds_read_b64 v[2:3], v91 offset:24576
	s_mul_i32 s2, s2, s28
	s_add_i32 s3, s3, s2
	s_waitcnt lgkmcnt(1)
	v_mfma_f32_16x16x16_bf16 a[4:7], v[14:15], v[6:7], a[4:7]
	ds_read_b64 v[6:7], v92 offset:24576
	s_mul_i32 s2, s60, s28
	s_lshl_b64 s[2:3], s[2:3], 2
	s_waitcnt lgkmcnt(1)
	v_mfma_f32_16x16x16_bf16 a[0:3], v[2:3], v[4:5], a[0:3]
	s_add_u32 s2, s40, s2
	s_addc_u32 s3, s41, s3
	s_and_b64 vcc, exec, s[0:1]
	v_mfma_f32_16x16x16_bf16 a[4:7], v[2:3], v[8:9], a[4:7]
	v_mov_b32_e32 v116, 0
	v_mov_b32_e32 v115, 0
	;; [unrolled: 1-line block ×3, first 2 shown]
	s_waitcnt lgkmcnt(0)
	v_mfma_f32_16x16x16_bf16 a[0:3], v[6:7], v[12:13], a[0:3]
	v_mov_b32_e32 v2, 0
	v_mov_b32_e32 v3, 0
	;; [unrolled: 1-line block ×3, first 2 shown]
	v_mfma_f32_16x16x16_bf16 a[4:7], v[6:7], v[10:11], a[4:7]
	v_mov_b32_e32 v5, 0
	v_mov_b32_e32 v6, 0
	;; [unrolled: 1-line block ×13, first 2 shown]
	s_cbranch_vccnz .LBB344_12
; %bb.11:                               ;   in Loop: Header=BB344_6 Depth=1
	s_and_b32 s21, s21, 0xffff
	buffer_load_dwordx4 v[14:17], v69, s[20:23], 0 offen
	buffer_load_dwordx4 v[10:13], v69, s[20:23], s55 offen
	;; [unrolled: 1-line block ×4, first 2 shown]
	v_mov_b32_e32 v115, v71
	v_mov_b32_e32 v114, v72
.LBB344_12:                             ;   in Loop: Header=BB344_6 Depth=1
	ds_read_b64 v[22:23], v81 offset:32768
	ds_read2_b64 v[18:21], v93 offset1:16
	ds_read_b64 v[26:27], v89 offset:32768
	ds_read_b64 v[28:29], v91 offset:32768
	ds_read_b64 v[30:31], v92 offset:32768
	v_add_u32_e32 v32, s52, v100
	s_waitcnt lgkmcnt(3)
	v_mfma_f32_16x16x16_bf16 a[0:3], v[22:23], v[18:19], a[0:3]
	v_mul_lo_u32 v33, v32, s29
	v_mov_b32_e32 v117, 0
	v_mfma_f32_16x16x16_bf16 a[4:7], v[22:23], v[20:21], a[4:7]
	ds_read2st64_b64 v[18:21], v93 offset0:2 offset1:4
	ds_read2st64_b64 v[22:25], v94 offset0:2 offset1:4
	s_waitcnt lgkmcnt(1)
	v_mfma_f32_16x16x16_bf16 a[0:3], v[26:27], v[18:19], a[0:3]
	v_ashrrev_i32_e32 v18, 31, v32
	v_mul_lo_u32 v34, v18, s28
	v_mad_u64_u32 v[18:19], s[20:21], v32, s28, 0
	v_mfma_f32_16x16x16_bf16 a[0:3], v[28:29], v[20:21], a[0:3]
	v_add_u32_e32 v20, 1, v32
	v_ashrrev_i32_e32 v21, 31, v20
	v_add3_u32 v19, v19, v33, v34
	s_waitcnt lgkmcnt(0)
	v_mfma_f32_16x16x16_bf16 a[4:7], v[26:27], v[22:23], a[4:7]
	v_mul_lo_u32 v22, v21, s28
	v_mul_lo_u32 v23, v20, s29
	v_mad_u64_u32 v[20:21], s[20:21], v20, s28, 0
	v_add3_u32 v21, v21, v23, v22
	v_add_u32_e32 v22, 2, v32
	v_ashrrev_i32_e32 v23, 31, v22
	v_mul_lo_u32 v26, v23, s28
	v_mul_lo_u32 v27, v22, s29
	v_mad_u64_u32 v[22:23], s[20:21], v22, s28, 0
	v_add3_u32 v23, v23, v27, v26
	v_add_u32_e32 v26, 3, v32
	v_ashrrev_i32_e32 v27, 31, v26
	v_mul_lo_u32 v32, v27, s28
	v_mul_lo_u32 v33, v26, s29
	v_mad_u64_u32 v[26:27], s[20:21], v26, s28, 0
	v_add3_u32 v27, v27, v33, v32
	s_ashr_i32 s21, s52, 31
	v_lshl_add_u64 v[18:19], v[18:19], 2, s[40:41]
	v_lshl_add_u64 v[26:27], v[26:27], 2, s[40:41]
	s_add_u32 s20, s49, s52
	v_lshl_add_u64 v[20:21], v[20:21], 2, s[40:41]
	v_lshl_add_u64 v[22:23], v[22:23], 2, s[40:41]
	global_load_dword v32, v[18:19], off
	global_load_dword v33, v[20:21], off
	;; [unrolled: 1-line block ×3, first 2 shown]
	s_nop 0
	global_load_dword v26, v[26:27], off
	s_addc_u32 s21, s48, s21
	s_lshl_b64 s[20:21], s[20:21], 8
	v_lshl_add_u64 v[18:19], v[56:57], 0, s[20:21]
	v_lshl_add_u64 v[18:19], v[18:19], 0, v[50:51]
	global_load_ushort v27, v[18:19], off offset:256
	global_load_ushort v35, v[18:19], off
	global_load_ushort v36, v[18:19], off offset:768
	global_load_ushort v37, v[18:19], off offset:512
	ds_read_b64 v[20:21], v93 offset:3072
	ds_read_b64 v[22:23], v94 offset:3072
	global_load_ushort v38, v[18:19], off offset:800
	global_load_ushort v39, v[18:19], off offset:544
	;; [unrolled: 1-line block ×4, first 2 shown]
	s_load_dword s2, s[2:3], 0x0
	v_mfma_f32_16x16x16_bf16 a[4:7], v[28:29], v[24:25], a[4:7]
	s_and_b64 vcc, exec, s[0:1]
	s_waitcnt vmcnt(11) lgkmcnt(0)
	v_sub_f32_e32 v24, s2, v32
	v_mfma_f32_16x16x16_bf16 a[0:3], v[30:31], v[20:21], a[0:3]
	s_waitcnt vmcnt(10)
	v_sub_f32_e32 v29, s2, v33
	v_mul_f32_e32 v28, 0x3fb8aa3b, v24
	v_mul_f32_e32 v29, 0x3fb8aa3b, v29
	v_mfma_f32_16x16x16_bf16 a[4:7], v[30:31], v[22:23], a[4:7]
	s_waitcnt vmcnt(9)
	v_sub_f32_e32 v30, s2, v34
	s_waitcnt vmcnt(8)
	v_sub_f32_e32 v31, s2, v26
	v_mul_f32_e32 v30, 0x3fb8aa3b, v30
	v_mul_f32_e32 v31, 0x3fb8aa3b, v31
	v_exp_f32_e32 v28, v28
	v_exp_f32_e32 v29, v29
	;; [unrolled: 1-line block ×4, first 2 shown]
	v_accvgpr_read_b32 v23, a1
	v_accvgpr_read_b32 v19, a3
	;; [unrolled: 1-line block ×4, first 2 shown]
	s_waitcnt vmcnt(7)
	v_lshlrev_b32_e32 v25, 16, v27
	s_waitcnt vmcnt(6)
	v_lshlrev_b32_e32 v24, 16, v35
	;; [unrolled: 2-line block ×4, first 2 shown]
	v_pk_add_f32 v[22:23], v[24:25], v[22:23] neg_lo:[0,1] neg_hi:[0,1]
	v_pk_add_f32 v[18:19], v[26:27], v[18:19] neg_lo:[0,1] neg_hi:[0,1]
	v_pk_mul_f32 v[22:23], v[28:29], v[22:23]
	v_pk_mul_f32 v[18:19], v[30:31], v[18:19]
	v_accvgpr_read_b32 v25, a5
	v_perm_b32 v19, v19, v18, s31
	v_perm_b32 v18, v23, v22, s31
	s_waitcnt vmcnt(1)
	v_lshlrev_b32_e32 v23, 16, v40
	s_waitcnt vmcnt(0)
	v_lshlrev_b32_e32 v22, 16, v41
	v_accvgpr_read_b32 v24, a4
	v_accvgpr_read_b32 v21, a7
	;; [unrolled: 1-line block ×3, first 2 shown]
	v_pk_add_f32 v[22:23], v[22:23], v[24:25] neg_lo:[0,1] neg_hi:[0,1]
	v_lshlrev_b32_e32 v25, 16, v38
	v_lshlrev_b32_e32 v24, 16, v39
	v_pk_add_f32 v[20:21], v[24:25], v[20:21] neg_lo:[0,1] neg_hi:[0,1]
	v_pk_mul_f32 v[22:23], v[28:29], v[22:23]
	v_pk_mul_f32 v[20:21], v[30:31], v[20:21]
	v_mov_b32_e32 v24, 0
	v_perm_b32 v21, v21, v20, s31
	v_perm_b32 v20, v23, v22, s31
	ds_write2_b64 v74, v[18:19], v[20:21] offset1:16
	v_mov_b32_e32 v18, 0
	v_mov_b32_e32 v19, 0
	;; [unrolled: 1-line block ×15, first 2 shown]
	s_cbranch_vccnz .LBB344_14
; %bb.13:                               ;   in Loop: Header=BB344_6 Depth=1
	s_and_b32 s25, s25, 0xffff
	s_mov_b32 s27, s23
	buffer_load_dwordx4 v[30:33], v98, s[24:27], 0 offen
	buffer_load_dwordx4 v[22:25], v98, s[24:27], s55 offen
	;; [unrolled: 1-line block ×4, first 2 shown]
	v_mov_b32_e32 v116, v68
	v_mov_b32_e32 v117, v67
.LBB344_14:                             ;   in Loop: Header=BB344_6 Depth=1
	s_waitcnt lgkmcnt(0)
	s_barrier
	ds_read_b64 v[38:39], v102
	ds_read_b64 v[122:123], v97
	;; [unrolled: 1-line block ×5, first 2 shown]
	ds_read_b64 v[136:137], v94 offset:3072
	ds_read2_b64 v[34:37], v93 offset0:16 offset1:128
	s_waitcnt lgkmcnt(5)
	v_mfma_f32_16x16x16_bf16 a[0:3], v[38:39], v[122:123], 0
	ds_read2st64_b64 v[40:43], v94 offset0:2 offset1:4
	s_add_i32 s3, s46, s58
	s_mul_hi_i32 s21, s3, s51
	s_waitcnt lgkmcnt(1)
	v_mfma_f32_16x16x16_bf16 a[4:7], v[38:39], v[34:35], 0
	ds_read_b64 v[38:39], v107
	s_mul_i32 s3, s3, s51
	s_add_u32 s20, s3, s33
	s_waitcnt lgkmcnt(1)
	v_mfma_f32_16x16x16_bf16 a[4:7], v[124:125], v[40:41], a[4:7]
	s_addc_u32 s21, s21, s53
	s_lshl_b64 s[20:21], s[20:21], 15
	s_mul_i32 s24, s60, s51
	s_mul_hi_i32 s3, s60, s51
	s_add_u32 s24, s24, s33
	v_mfma_f32_16x16x16_bf16 a[8:11], v[126:127], v[42:43], a[4:7]
	s_addc_u32 s25, s3, s53
	ds_read2st64_b64 v[118:121], v93 offset0:4 offset1:6
	s_lshl_b64 s[24:25], s[24:25], 9
	s_waitcnt lgkmcnt(1)
	v_mfma_f32_16x16x16_bf16 a[4:7], v[38:39], v[122:123], 0
	s_add_u32 s24, s38, s24
	s_addc_u32 s25, s39, s25
	v_mfma_f32_16x16x16_bf16 a[0:3], v[124:125], v[36:37], a[0:3]
	ds_read_b64 v[124:125], v108
	ds_read_b64 v[132:133], v109
	ds_read_b64 v[138:139], v110
	v_mfma_f32_16x16x16_bf16 a[12:15], v[38:39], v[34:35], 0
	s_waitcnt lgkmcnt(2)
	v_mfma_f32_16x16x16_bf16 a[4:7], v[124:125], v[36:37], a[4:7]
	global_load_dwordx4 v[34:37], v106, s[24:25]
	v_mfma_f32_16x16x16_bf16 a[12:15], v[124:125], v[40:41], a[12:15]
	global_load_dwordx4 v[38:41], v101, s[24:25]
	ds_read2st64_b64 v[122:125], v95 offset1:8
	s_waitcnt lgkmcnt(0)
	v_mov_b32_e32 v130, v122
	v_mfma_f32_16x16x16_bf16 a[0:3], v[126:127], v[118:119], a[0:3]
	ds_read2st64_b64 v[126:129], v96 offset1:8
	v_mov_b32_e32 v131, v123
	v_mfma_f32_16x16x16_bf16 a[16:19], v[132:133], v[118:119], a[4:7]
	v_lshl_add_u64 v[118:119], v[58:59], 0, s[20:21]
	v_mfma_f32_16x16x16_bf16 a[20:23], v[132:133], v[42:43], a[12:15]
	v_add_co_u32_e32 v42, vcc, s17, v118
	s_waitcnt lgkmcnt(0)
	v_mov_b32_e32 v132, v126
	v_mfma_f32_16x16x16_bf16 a[4:7], v[134:135], v[120:121], a[0:3]
	v_mov_b32_e32 v133, v127
	v_mov_b32_e32 v126, v124
	;; [unrolled: 1-line block ×3, first 2 shown]
	v_mfma_f32_16x16x16_bf16 a[8:11], v[134:135], v[136:137], a[8:11]
	v_addc_co_u32_e32 v43, vcc, 0, v119, vcc
	global_store_dwordx4 v[42:43], v[126:129], off
	v_mfma_f32_16x16x16_bf16 a[12:15], v[138:139], v[120:121], a[16:19]
	s_and_b64 vcc, exec, s[0:1]
	global_store_dwordx4 v[118:119], v[130:133], off
	s_waitcnt vmcnt(3)
	v_mov_b32_e32 v44, v37
	v_mfma_f32_16x16x16_bf16 a[0:3], v[138:139], v[136:137], a[20:23]
	v_mov_b32_e32 v43, v36
	v_mov_b32_e32 v42, v35
	s_cbranch_vccnz .LBB344_16
; %bb.15:                               ;   in Loop: Header=BB344_6 Depth=1
	v_lshrrev_b32_e32 v35, 3, v116
	v_and_b32_e32 v35, 6, v35
	v_xor_b32_e32 v36, v35, v117
	v_lshlrev_b32_e32 v36, 2, v36
	v_and_b32_e32 v37, 8, v116
	v_xor_b32_e32 v116, 0x440, v36
	v_cmp_eq_u32_e32 vcc, 0, v37
	v_perm_b32 v37, v22, v18, s56
	s_nop 0
	v_cndmask_b32_e32 v36, v116, v36, vcc
	v_lshl_or_b32 v35, v35, 10, v36
	v_perm_b32 v36, v30, v26, s56
	s_barrier
	ds_write2st64_b32 v35, v36, v37 offset0:32 offset1:64
	v_xor_b32_e32 v36, 8, v35
	v_perm_b32 v26, v30, v26, s57
	v_perm_b32 v18, v22, v18, s57
	v_add_u32_e32 v22, 0x80, v36
	ds_write2st64_b32 v22, v26, v18 offset0:32 offset1:64
	v_xor_b32_e32 v18, 16, v35
	v_perm_b32 v22, v31, v27, s56
	v_perm_b32 v26, v23, v19, s56
	ds_write2st64_b32 v18, v22, v26 offset0:33 offset1:65
	v_xor_b32_e32 v18, 24, v35
	v_perm_b32 v22, v31, v27, s57
	v_perm_b32 v19, v23, v19, s57
	v_add_u32_e32 v18, 0x80, v18
	ds_write2st64_b32 v18, v22, v19 offset0:33 offset1:65
	v_xor_b32_e32 v18, 32, v35
	v_perm_b32 v19, v32, v28, s56
	v_perm_b32 v22, v24, v20, s56
	;; [unrolled: 9-line block ×3, first 2 shown]
	ds_write2st64_b32 v18, v19, v20 offset0:35 offset1:67
	v_xor_b32_e32 v18, 56, v35
	v_perm_b32 v19, v33, v29, s57
	v_perm_b32 v20, v25, v21, s57
	v_add_u32_e32 v18, 0x80, v18
	ds_write2st64_b32 v18, v19, v20 offset0:35 offset1:67
	ds_write_b64 v115, v[14:15] offset:24576
	v_xor_b32_e32 v14, 8, v115
	ds_write_b64 v14, v[16:17] offset:24576
	ds_write_b64 v115, v[10:11] offset:32768
	;; [unrolled: 1-line block ×4, first 2 shown]
	v_xor_b32_e32 v6, 8, v114
	ds_write_b64 v6, v[8:9] offset:24576
	ds_write_b64 v114, v[2:3] offset:32768
	;; [unrolled: 1-line block ×3, first 2 shown]
.LBB344_16:                             ;   in Loop: Header=BB344_6 Depth=1
	v_mul_f32_e32 v2, s2, v111
	v_exp_f32_e32 v18, v2
	s_waitcnt vmcnt(2)
	v_mul_f32_e32 v2, 0x3fb8aa3b, v38
	v_exp_f32_e32 v20, v2
	v_mul_f32_e32 v2, 0x3fb8aa3b, v39
	v_exp_f32_e32 v21, v2
	;; [unrolled: 2-line block ×4, first 2 shown]
	v_accvgpr_read_b32 v13, a7
	v_accvgpr_read_b32 v11, a5
	;; [unrolled: 1-line block ×4, first 2 shown]
	v_pk_mul_f32 v[20:21], v[18:19], v[20:21] op_sel_hi:[0,1]
	v_accvgpr_read_b32 v8, a10
	v_pk_fma_f32 v[52:53], v[52:53], v[20:21], v[10:11]
	v_pk_mul_f32 v[10:11], v[18:19], v[22:23] op_sel_hi:[0,1]
	v_accvgpr_read_b32 v12, a6
	v_accvgpr_read_b32 v7, a9
	v_fma_f32 v88, v88, v10, v8
	v_mul_f32_e32 v8, 0x3fb8aa3b, v43
	v_pk_fma_f32 v[54:55], v[54:55], v[10:11], v[12:13]
	v_fma_f32 v87, v87, v20, v6
	v_fma_f32 v86, v86, v21, v7
	v_mul_f32_e32 v6, 0x3fb8aa3b, v34
	v_mul_f32_e32 v7, 0x3fb8aa3b, v42
	v_exp_f32_e32 v12, v8
	v_mul_f32_e32 v8, 0x3fb8aa3b, v44
	v_exp_f32_e32 v6, v6
	v_exp_f32_e32 v7, v7
	;; [unrolled: 1-line block ×3, first 2 shown]
	v_accvgpr_read_b32 v9, a11
	v_accvgpr_read_b32 v17, a15
	;; [unrolled: 1-line block ×9, first 2 shown]
	v_fmac_f32_e32 v9, v113, v11
	v_pk_mul_f32 v[6:7], v[18:19], v[6:7] op_sel_hi:[0,1]
	v_pk_mul_f32 v[10:11], v[18:19], v[12:13] op_sel_hi:[0,1]
	s_add_i32 s52, s52, 64
	v_pk_fma_f32 v[46:47], v[46:47], v[6:7], v[14:15]
	v_pk_fma_f32 v[48:49], v[48:49], v[10:11], v[16:17]
	v_fma_f32 v83, v83, v6, v2
	v_fma_f32 v82, v82, v7, v3
	;; [unrolled: 1-line block ×3, first 2 shown]
	s_cmp_eq_u32 s45, s59
	v_fmac_f32_e32 v5, v112, v11
	s_cbranch_scc1 .LBB344_18
; %bb.17:                               ;   in Loop: Header=BB344_6 Depth=1
	s_mov_b32 s58, s59
	v_mov_b32_e32 v113, v9
	v_mov_b32_e32 v112, v5
	s_branch .LBB344_6
.LBB344_18:
	s_lshl_b32 s0, s45, 6
	s_sub_i32 s40, s47, s0
	s_cmp_gt_i32 s40, 0
	s_cbranch_scc0 .LBB344_83
; %bb.19:
	s_add_i32 s34, s0, s34
	s_ashr_i32 s2, s34, 31
	s_cmpk_lg_i32 s15, 0x80
	s_cselect_b64 s[26:27], -1, 0
	s_and_b64 vcc, exec, s[26:27]
	s_cbranch_vccz .LBB344_21
; %bb.20:
	s_mul_i32 s1, s34, s14
	s_ashr_i32 s3, s50, 31
	s_mul_hi_i32 s0, s34, s14
	s_add_u32 s38, s1, s50
	s_addc_u32 s39, s0, s3
	s_cbranch_execz .LBB344_22
	s_branch .LBB344_23
.LBB344_21:
                                        ; implicit-def: $sgpr38_sgpr39
.LBB344_22:
	s_mul_i32 s1, s50, s12
	s_mul_hi_i32 s0, s50, s12
	s_add_u32 s38, s1, s34
	s_addc_u32 s39, s0, s2
.LBB344_23:
	s_add_i32 s3, s45, s46
	s_ashr_i32 s12, s33, 31
	s_add_u32 s0, s49, s34
	v_lshlrev_b32_e32 v8, 5, v65
	v_lshlrev_b32_e32 v22, 2, v45
	s_addc_u32 s1, s48, s2
	s_mov_b32 s2, 0x7060302
	v_or_b32_e32 v11, v8, v22
	v_xor_b32_e32 v4, v65, v22
	v_perm_b32 v3, v55, v54, s2
	v_perm_b32 v2, v53, v52, s2
	;; [unrolled: 1-line block ×4, first 2 shown]
	v_lshlrev_b32_e32 v11, 1, v11
	s_lshl_b64 s[24:25], s[0:1], 8
	v_xor_b32_e32 v10, v66, v22
	ds_write2st64_b64 v11, v[2:3], v[6:7] offset0:80 offset1:88
	v_lshlrev_b32_e32 v11, 1, v4
	v_lshlrev_b32_e32 v4, 8, v45
	s_add_u32 s0, s6, s24
	v_or_b32_e32 v12, v11, v4
	v_lshlrev_b32_e32 v10, 1, v10
	s_addc_u32 s1, s7, s25
	ds_write_b64 v12, v[2:3]
	v_or_b32_e32 v2, v10, v4
	s_mul_hi_i32 s6, s3, s13
	s_mul_i32 s3, s3, s13
	ds_write_b64 v2, v[6:7]
	v_perm_b32 v3, v9, v88, s2
	v_perm_b32 v2, v86, v87, s2
	;; [unrolled: 1-line block ×4, first 2 shown]
	v_or_b32_e32 v6, 16, v45
	s_add_u32 s2, s3, s33
	v_lshlrev_b32_e32 v19, 2, v6
	s_addc_u32 s3, s6, s12
	v_or_b32_e32 v7, v8, v19
	s_ashr_i32 s31, s30, 31
	s_lshl_b64 s[2:3], s[2:3], 15
	v_lshlrev_b32_e32 v7, 1, v7
	v_lshlrev_b32_e32 v6, 8, v6
	s_add_u32 s6, s36, s2
	ds_write2st64_b64 v7, v[2:3], v[4:5] offset0:80 offset1:88
	v_or_b32_e32 v7, v11, v6
	s_addc_u32 s7, s37, s3
	s_lshl_b64 s[2:3], s[30:31], 8
	ds_write_b64 v7, v[2:3]
	v_or_b32_e32 v2, v10, v6
	s_add_u32 s2, s6, s2
	ds_write_b64 v2, v[4:5]
	v_lshrrev_b32_e32 v2, 4, v0
	s_addc_u32 s3, s7, s3
	v_lshlrev_b32_e32 v3, 1, v45
	v_lshlrev_b32_e32 v10, 4, v45
	v_mov_b32_e32 v11, 0
	v_or_b32_e32 v4, 1, v3
	v_xor_b32_e32 v3, v2, v3
	v_lshl_add_u64 v[12:13], s[2:3], 0, v[10:11]
	v_lshlrev_b32_e32 v10, 8, v2
	v_xor_b32_e32 v6, v4, v2
	v_lshl_or_b32 v2, v3, 3, v10
	s_waitcnt lgkmcnt(0)
	s_barrier
	ds_read2st64_b64 v[2:5], v2 offset1:8
	v_lshl_or_b32 v6, v6, 3, v10
	ds_read2st64_b64 v[6:9], v6 offset1:8
	v_lshl_add_u64 v[14:15], v[12:13], 0, v[10:11]
	s_movk_i32 s2, 0x1000
	s_waitcnt lgkmcnt(1)
	v_mov_b32_e32 v10, v2
	v_add_co_u32_e32 v2, vcc, s2, v14
	s_cmp_lg_u32 s40, 64
	v_mov_b32_e32 v11, v3
	v_addc_co_u32_e32 v3, vcc, 0, v15, vcc
	s_cselect_b64 s[6:7], -1, 0
	v_lshl_or_b32 v23, v61, 3, v64
	s_waitcnt lgkmcnt(0)
	v_mov_b32_e32 v12, v6
	v_mov_b32_e32 v13, v7
	;; [unrolled: 1-line block ×4, first 2 shown]
	s_mov_b32 s20, 0
	v_or_b32_e32 v20, 32, v23
	v_and_b32_e32 v18, 56, v63
	s_and_b64 vcc, exec, s[6:7]
	global_store_dwordx4 v[14:15], v[10:13], off
	global_store_dwordx4 v[2:3], v[6:9], off
	s_cbranch_vccz .LBB344_29
; %bb.24:
	s_mov_b32 s21, s20
	s_mov_b32 s22, s20
	;; [unrolled: 1-line block ×3, first 2 shown]
	v_mov_b64_e32 v[6:7], s[20:21]
	v_mov_b64_e32 v[8:9], s[22:23]
	;; [unrolled: 1-line block ×3, first 2 shown]
	v_cmp_gt_i32_e32 vcc, s40, v23
	v_mov_b64_e32 v[4:5], v[8:9]
	s_and_saveexec_b64 s[2:3], vcc
	s_cbranch_execz .LBB344_26
; %bb.25:
	v_lshlrev_b32_e32 v2, 8, v23
	v_mov_b32_e32 v3, 0
	v_lshl_add_u64 v[4:5], s[0:1], 0, v[2:3]
	v_lshlrev_b32_e32 v2, 1, v18
	v_lshl_add_u64 v[10:11], v[4:5], 0, v[2:3]
	global_load_dwordx4 v[6:9], v[10:11], off
	global_load_dwordx4 v[2:5], v[10:11], off offset:128
.LBB344_26:
	s_or_b64 exec, exec, s[2:3]
	s_mov_b32 s21, s20
	s_mov_b32 s22, s20
	s_mov_b32 s23, s20
	v_mov_b64_e32 v[14:15], s[20:21]
	v_mov_b64_e32 v[16:17], s[22:23]
	;; [unrolled: 1-line block ×3, first 2 shown]
	v_cmp_gt_i32_e32 vcc, s40, v20
	v_lshlrev_b32_e32 v21, 7, v20
	v_mov_b64_e32 v[12:13], v[16:17]
	s_and_saveexec_b64 s[2:3], vcc
	s_cbranch_execz .LBB344_28
; %bb.27:
	v_lshlrev_b32_e32 v10, 1, v21
	v_mov_b32_e32 v11, 0
	v_lshl_add_u64 v[12:13], s[0:1], 0, v[10:11]
	v_lshlrev_b32_e32 v10, 1, v18
	v_lshl_add_u64 v[24:25], v[12:13], 0, v[10:11]
	global_load_dwordx4 v[14:17], v[24:25], off
	global_load_dwordx4 v[10:13], v[24:25], off offset:128
.LBB344_28:
	s_or_b64 exec, exec, s[2:3]
	v_lshrrev_b32_e32 v24, 3, v18
	v_lshlrev_b32_e32 v25, 3, v23
	v_or_b32_e32 v24, v25, v24
	v_lshlrev_b32_e32 v24, 4, v24
	v_and_b32_e32 v25, 0x78, v25
	v_xor_b32_e32 v24, v24, v25
	s_branch .LBB344_31
.LBB344_29:
                                        ; implicit-def: $vgpr24
                                        ; implicit-def: $vgpr21
                                        ; implicit-def: $vgpr6_vgpr7_vgpr8_vgpr9
                                        ; implicit-def: $vgpr2_vgpr3_vgpr4_vgpr5
                                        ; implicit-def: $vgpr14_vgpr15_vgpr16_vgpr17
                                        ; implicit-def: $vgpr10_vgpr11_vgpr12_vgpr13
	s_cbranch_execz .LBB344_31
; %bb.30:
	s_waitcnt vmcnt(0)
	v_lshlrev_b32_e32 v2, 1, v18
	v_lshl_or_b32 v21, v23, 8, v2
	s_and_b32 s1, s1, 0xffff
	s_mov_b32 s3, 0x20000
	s_movk_i32 s2, 0x4000
	v_lshl_or_b32 v24, v20, 8, v2
	s_movk_i32 s13, 0x80
	buffer_load_dwordx4 v[6:9], v21, s[0:3], 0 offen
	buffer_load_dwordx4 v[2:5], v21, s[0:3], s13 offen
	;; [unrolled: 1-line block ×4, first 2 shown]
	v_lshrrev_b32_e32 v21, 3, v18
	v_lshlrev_b32_e32 v24, 3, v23
	v_or_b32_e32 v21, v24, v21
	v_lshlrev_b32_e32 v21, 4, v21
	v_and_b32_e32 v24, 0x78, v24
	v_xor_b32_e32 v24, v21, v24
	v_lshlrev_b32_e32 v21, 7, v20
.LBB344_31:
	s_lshl_b64 s[0:1], s[38:39], 8
	s_add_u32 s4, s4, s0
	s_movk_i32 s0, 0x1000
	v_and_or_b32 v20, v21, s0, v24
	s_waitcnt vmcnt(1)
	ds_write_b64 v24, v[6:7] offset:24576
	v_xor_b32_e32 v6, 8, v24
	ds_write_b64 v6, v[8:9] offset:24576
	s_waitcnt vmcnt(0)
	ds_write_b64 v24, v[2:3] offset:32768
	ds_write_b64 v6, v[4:5] offset:32768
	;; [unrolled: 1-line block ×3, first 2 shown]
	v_xor_b32_e32 v2, 8, v20
	ds_write_b64 v2, v[16:17] offset:24576
	ds_write_b64 v20, v[10:11] offset:32768
	;; [unrolled: 1-line block ×3, first 2 shown]
	v_or_b32_e32 v2, v1, v45
	v_lshlrev_b32_e32 v3, 11, v61
	v_lshlrev_b32_e32 v2, 3, v2
	v_and_b32_e32 v6, 0x1000, v3
	v_lshrrev_b32_e32 v3, 5, v60
	s_movk_i32 s13, 0xf8
	v_and_or_b32 v3, v2, s13, v3
	v_lshlrev_b32_e32 v7, 4, v3
	v_and_b32_e32 v8, 0x78, v2
	v_or_b32_e32 v10, 32, v7
	v_lshrrev_b32_e32 v3, 1, v60
	v_xor_b32_e32 v10, v10, v8
	v_xor_b32_e32 v2, v7, v8
	v_and_b32_e32 v9, 8, v3
	v_or_b32_e32 v10, v10, v6
	v_or_b32_e32 v2, v2, v6
	v_xor_b32_e32 v26, v10, v9
	v_or_b32_e32 v10, 64, v7
	v_xor_b32_e32 v25, v2, v9
	v_xor_b32_e32 v10, v10, v8
	s_waitcnt lgkmcnt(0)
	s_barrier
	v_or_b32_e32 v12, v10, v6
	ds_read_b64 v[10:11], v25 offset:24576
	v_lshl_or_b32 v20, v62, 7, v22
	v_lshlrev_b32_e32 v24, 1, v20
	v_add_u32_e32 v2, 0xa000, v24
	ds_read2_b64 v[2:5], v2 offset1:16
	v_or_b32_e32 v7, 0x60, v7
	v_xor_b32_e32 v7, v7, v8
	s_waitcnt lgkmcnt(0)
	v_mfma_f32_16x16x16_bf16 a[0:3], v[10:11], v[2:3], 0
	v_or_b32_e32 v2, 64, v20
	v_or_b32_e32 v6, v7, v6
	v_lshlrev_b32_e32 v29, 1, v2
	v_xor_b32_e32 v27, v12, v9
	v_xor_b32_e32 v28, v6, v9
	ds_read_b64 v[12:13], v26 offset:24576
	ds_read_b64 v[14:15], v27 offset:24576
	;; [unrolled: 1-line block ×3, first 2 shown]
	v_mfma_f32_16x16x16_bf16 a[4:7], v[10:11], v[4:5], 0
	ds_read2st64_b64 v[2:5], v29 offset0:82 offset1:84
	ds_read2st64_b64 v[6:9], v24 offset0:82 offset1:84
	s_addc_u32 s5, s5, s1
	s_add_i32 s0, s43, s42
	s_add_i32 s2, s35, -1
	s_add_i32 s17, s0, s44
	s_mul_i32 s0, s33, s19
	s_mul_hi_u32 s1, s33, s18
	s_add_i32 s0, s1, s0
	s_mul_i32 s1, s12, s18
	s_ashr_i32 s3, s2, 31
	s_mul_i32 s12, s2, s29
	s_mul_hi_u32 s13, s2, s28
	s_add_i32 s12, s13, s12
	s_mul_i32 s3, s3, s28
	s_waitcnt lgkmcnt(1)
	v_mfma_f32_16x16x16_bf16 a[4:7], v[12:13], v[2:3], a[4:7]
	s_add_i32 s1, s0, s1
	s_add_i32 s3, s12, s3
	s_lshl_b64 s[12:13], s[16:17], 2
	s_waitcnt lgkmcnt(0)
	v_mfma_f32_16x16x16_bf16 a[0:3], v[12:13], v[6:7], a[0:3]
	s_mul_i32 s0, s33, s18
	s_add_u32 s10, s10, s12
	s_addc_u32 s11, s11, s13
	s_lshl_b64 s[0:1], s[0:1], 2
	s_mul_i32 s2, s2, s28
	s_add_u32 s10, s10, s0
	ds_read_b64 v[2:3], v24 offset:44032
	v_mfma_f32_16x16x16_bf16 a[4:7], v[14:15], v[4:5], a[4:7]
	ds_read_b64 v[4:5], v29 offset:44032
	s_addc_u32 s11, s11, s1
	s_lshl_b64 s[0:1], s[2:3], 2
	v_mfma_f32_16x16x16_bf16 a[0:3], v[14:15], v[8:9], a[0:3]
	s_add_u32 s0, s10, s0
	s_addc_u32 s1, s11, s1
	s_load_dword s12, s[0:1], 0x0
	s_waitcnt lgkmcnt(0)
	v_mfma_f32_16x16x16_bf16 a[0:3], v[16:17], v[2:3], a[0:3]
	s_and_b64 vcc, exec, s[26:27]
	v_mfma_f32_16x16x16_bf16 a[4:7], v[16:17], v[4:5], a[4:7]
	s_cbranch_vccz .LBB344_42
; %bb.32:
	v_lshlrev_b32_e32 v20, 1, v23
	s_and_b64 vcc, exec, s[6:7]
	s_cbranch_vccz .LBB344_43
; %bb.33:
	v_cmp_gt_i32_e32 vcc, s40, v20
	v_mov_b32_e32 v6, 0
	v_mov_b32_e32 v2, 0
	v_mov_b32_e32 v3, 0
	v_mov_b32_e32 v4, 0
	v_mov_b32_e32 v5, 0
	s_and_saveexec_b64 s[0:1], vcc
	s_cbranch_execz .LBB344_35
; %bb.34:
	v_mad_i64_i32 v[2:3], s[2:3], s15, v20, 0
	v_lshl_add_u64 v[2:3], v[2:3], 1, s[4:5]
	v_lshlrev_b32_e32 v4, 1, v18
	v_mov_b32_e32 v5, 0
	v_lshl_add_u64 v[2:3], v[2:3], 0, v[4:5]
	global_load_dwordx4 v[2:5], v[2:3], off
.LBB344_35:
	s_or_b64 exec, exec, s[0:1]
	v_or_b32_e32 v21, 1, v20
	v_cmp_gt_i32_e64 s[0:1], s40, v21
	v_mov_b32_e32 v7, 0
	v_mov_b32_e32 v8, 0
	;; [unrolled: 1-line block ×3, first 2 shown]
	s_and_saveexec_b64 s[2:3], s[0:1]
	s_cbranch_execz .LBB344_37
; %bb.36:
	v_mad_i64_i32 v[6:7], s[16:17], s15, v21, 0
	v_lshl_add_u64 v[6:7], v[6:7], 1, s[4:5]
	v_lshlrev_b32_e32 v8, 1, v18
	v_mov_b32_e32 v9, 0
	v_lshl_add_u64 v[6:7], v[6:7], 0, v[8:9]
	global_load_dwordx4 v[6:9], v[6:7], off
.LBB344_37:
	s_or_b64 exec, exec, s[2:3]
	v_mov_b32_e32 v17, 0
	v_mov_b32_e32 v10, 0
	;; [unrolled: 1-line block ×5, first 2 shown]
	s_and_saveexec_b64 s[2:3], vcc
	s_cbranch_execz .LBB344_39
; %bb.38:
	v_mad_i64_i32 v[10:11], s[16:17], s15, v20, 0
	v_lshl_add_u64 v[10:11], v[10:11], 1, s[4:5]
	v_lshlrev_b32_e32 v12, 1, v18
	v_mov_b32_e32 v13, 0
	v_lshl_add_u64 v[10:11], v[10:11], 0, v[12:13]
	global_load_dwordx4 v[10:13], v[10:11], off offset:128
.LBB344_39:
	s_or_b64 exec, exec, s[2:3]
	v_mov_b32_e32 v16, 0
	v_mov_b32_e32 v15, 0
	;; [unrolled: 1-line block ×3, first 2 shown]
	s_and_saveexec_b64 s[2:3], s[0:1]
	s_cbranch_execz .LBB344_41
; %bb.40:
	v_mad_i64_i32 v[14:15], s[0:1], s15, v21, 0
	v_lshl_add_u64 v[14:15], v[14:15], 1, s[4:5]
	v_lshlrev_b32_e32 v16, 1, v18
	v_mov_b32_e32 v17, 0
	v_lshl_add_u64 v[14:15], v[14:15], 0, v[16:17]
	global_load_dwordx4 v[14:17], v[14:15], off offset:128
.LBB344_41:
	s_or_b64 exec, exec, s[2:3]
	s_branch .LBB344_45
.LBB344_42:
                                        ; implicit-def: $vgpr5
                                        ; implicit-def: $vgpr9
                                        ; implicit-def: $vgpr13
                                        ; implicit-def: $vgpr17
	v_lshrrev_b32_e32 v30, 2, v60
	s_branch .LBB344_46
.LBB344_43:
                                        ; implicit-def: $vgpr5
                                        ; implicit-def: $vgpr9
                                        ; implicit-def: $vgpr13
                                        ; implicit-def: $vgpr17
	s_cbranch_execz .LBB344_45
; %bb.44:
	s_waitcnt vmcnt(0)
	v_mad_u64_u32 v[2:3], s[0:1], v20, s15, v[18:19]
	v_lshlrev_b32_e32 v20, 1, v2
	s_lshl_b32 s2, s15, 7
	s_and_b32 s1, s5, 0xffff
	s_mov_b32 s3, 0x20000
	s_mov_b32 s0, s4
	v_add_lshl_u32 v21, v2, s15, 1
	s_movk_i32 s13, 0x80
	buffer_load_dwordx4 v[2:5], v20, s[0:3], 0 offen
	buffer_load_dwordx4 v[10:13], v20, s[0:3], s13 offen
	;; [unrolled: 1-line block ×4, first 2 shown]
.LBB344_45:
	v_lshrrev_b32_e32 v30, 2, v60
	s_cbranch_execnz .LBB344_58
.LBB344_46:
	s_and_b64 vcc, exec, s[6:7]
	s_cbranch_vccz .LBB344_56
; %bb.47:
	s_waitcnt vmcnt(0)
	v_lshlrev_b32_e32 v7, 1, v23
	v_cmp_gt_i32_e32 vcc, s40, v7
	v_mov_b32_e32 v6, 0
	v_lshlrev_b32_e32 v14, 9, v23
	v_mov_b32_e32 v2, 0
	v_mov_b32_e32 v3, 0
	;; [unrolled: 1-line block ×4, first 2 shown]
	s_and_saveexec_b64 s[0:1], vcc
	s_cbranch_execz .LBB344_49
; %bb.48:
	v_mov_b32_e32 v15, 0
	v_lshl_add_u64 v[2:3], s[4:5], 0, v[14:15]
	v_lshlrev_b32_e32 v4, 1, v18
	v_mov_b32_e32 v5, v15
	v_lshl_add_u64 v[2:3], v[2:3], 0, v[4:5]
	global_load_dwordx4 v[2:5], v[2:3], off
.LBB344_49:
	s_or_b64 exec, exec, s[0:1]
	v_or_b32_e32 v7, 1, v7
	v_cmp_gt_i32_e64 s[0:1], s40, v7
	v_lshlrev_b32_e32 v20, 8, v7
	v_mov_b32_e32 v7, 0
	v_mov_b32_e32 v8, 0
	;; [unrolled: 1-line block ×3, first 2 shown]
	s_and_saveexec_b64 s[2:3], s[0:1]
	s_cbranch_execz .LBB344_51
; %bb.50:
	v_mov_b32_e32 v21, 0
	v_lshl_add_u64 v[6:7], s[4:5], 0, v[20:21]
	v_lshlrev_b32_e32 v8, 1, v18
	v_mov_b32_e32 v9, v21
	v_lshl_add_u64 v[6:7], v[6:7], 0, v[8:9]
	global_load_dwordx4 v[6:9], v[6:7], off
.LBB344_51:
	s_or_b64 exec, exec, s[2:3]
	v_mov_b32_e32 v17, 0
	v_mov_b32_e32 v10, 0
	;; [unrolled: 1-line block ×5, first 2 shown]
	s_and_saveexec_b64 s[2:3], vcc
	s_cbranch_execz .LBB344_53
; %bb.52:
	v_mov_b32_e32 v15, 0
	v_lshl_add_u64 v[10:11], s[4:5], 0, v[14:15]
	v_lshlrev_b32_e32 v14, 1, v18
	v_lshl_add_u64 v[10:11], v[10:11], 0, v[14:15]
	global_load_dwordx4 v[10:13], v[10:11], off offset:128
.LBB344_53:
	s_or_b64 exec, exec, s[2:3]
	v_mov_b32_e32 v16, 0
	v_mov_b32_e32 v15, 0
	;; [unrolled: 1-line block ×3, first 2 shown]
	s_and_saveexec_b64 s[2:3], s[0:1]
	s_cbranch_execz .LBB344_55
; %bb.54:
	v_mov_b32_e32 v21, 0
	v_lshl_add_u64 v[14:15], s[4:5], 0, v[20:21]
	v_lshlrev_b32_e32 v20, 1, v18
	v_lshl_add_u64 v[14:15], v[14:15], 0, v[20:21]
	global_load_dwordx4 v[14:17], v[14:15], off offset:128
.LBB344_55:
	s_or_b64 exec, exec, s[2:3]
	s_branch .LBB344_58
.LBB344_56:
                                        ; implicit-def: $vgpr5
                                        ; implicit-def: $vgpr9
                                        ; implicit-def: $vgpr13
                                        ; implicit-def: $vgpr17
	s_cbranch_execz .LBB344_58
; %bb.57:
	s_waitcnt vmcnt(0)
	v_lshlrev_b32_e32 v2, 1, v18
	v_lshl_or_b32 v18, v23, 9, v2
	s_and_b32 s5, s5, 0xffff
	s_mov_b32 s7, 0x20000
	s_movk_i32 s6, 0x4000
	s_movk_i32 s0, 0x80
	buffer_load_dwordx4 v[2:5], v18, s[4:7], 0 offen
	buffer_load_dwordx4 v[6:9], v18, s[4:7], 0 offen offset:256
	buffer_load_dwordx4 v[10:13], v18, s[4:7], s0 offen
	buffer_load_dwordx4 v[14:17], v18, s[4:7], s0 offen offset:256
.LBB344_58:
	ds_read_b64 v[20:21], v25 offset:32768
	v_add_u32_e32 v18, 0xb000, v24
	ds_read2_b64 v[32:35], v18 offset1:16
	ds_read_b64 v[40:41], v26 offset:32768
	ds_read_b64 v[26:27], v27 offset:32768
	;; [unrolled: 1-line block ×3, first 2 shown]
	v_and_b32_e32 v18, 6, v0
	v_xor_b32_e32 v23, v23, v18
	v_lshlrev_b32_e32 v23, 2, v23
	v_and_b32_e32 v0, 1, v0
	v_xor_b32_e32 v28, 0x440, v23
	v_cmp_eq_u32_e32 vcc, 0, v0
	s_waitcnt lgkmcnt(3)
	v_mfma_f32_16x16x16_bf16 a[0:3], v[20:21], v[32:33], a[0:3]
	s_mov_b32 s0, 0x1000504
	v_cndmask_b32_e32 v0, v28, v23, vcc
	v_lshl_or_b32 v0, v18, 10, v0
	v_mfma_f32_16x16x16_bf16 a[4:7], v[20:21], v[34:35], a[4:7]
	ds_read2st64_b64 v[32:35], v24 offset0:90 offset1:92
	ds_read2st64_b64 v[36:39], v29 offset0:90 offset1:92
	ds_read_b64 v[20:21], v24 offset:48128
	ds_read_b64 v[24:25], v29 offset:48128
	s_waitcnt vmcnt(0)
	v_perm_b32 v18, v2, v6, s0
	s_waitcnt lgkmcnt(3)
	v_mfma_f32_16x16x16_bf16 a[0:3], v[40:41], v[32:33], a[0:3]
	s_mov_b32 s1, 0x3020706
	v_perm_b32 v2, v2, v6, s1
	v_perm_b32 v6, v10, v14, s1
	s_waitcnt lgkmcnt(2)
	v_mfma_f32_16x16x16_bf16 a[4:7], v[40:41], v[36:37], a[4:7]
	v_mfma_f32_16x16x16_bf16 a[0:3], v[26:27], v[34:35], a[0:3]
	v_mfma_f32_16x16x16_bf16 a[8:11], v[26:27], v[38:39], a[4:7]
	s_waitcnt lgkmcnt(1)
	v_mfma_f32_16x16x16_bf16 a[4:7], v[42:43], v[20:21], a[0:3]
	v_perm_b32 v20, v10, v14, s0
	ds_write2st64_b32 v0, v18, v20 offset0:32 offset1:64
	v_xor_b32_e32 v18, 8, v0
	v_add_u32_e32 v10, 0x80, v18
	ds_write2st64_b32 v10, v2, v6 offset0:32 offset1:64
	v_xor_b32_e32 v2, 16, v0
	v_perm_b32 v6, v3, v7, s0
	v_perm_b32 v10, v11, v15, s0
	ds_write2st64_b32 v2, v6, v10 offset0:33 offset1:65
	v_xor_b32_e32 v2, 24, v0
	v_perm_b32 v3, v3, v7, s1
	v_perm_b32 v6, v11, v15, s1
	v_add_u32_e32 v2, 0x80, v2
	ds_write2st64_b32 v2, v3, v6 offset0:33 offset1:65
	v_xor_b32_e32 v2, 32, v0
	v_perm_b32 v3, v4, v8, s0
	v_perm_b32 v6, v12, v16, s0
	ds_write2st64_b32 v2, v3, v6 offset0:34 offset1:66
	v_xor_b32_e32 v2, 40, v0
	s_waitcnt lgkmcnt(5)
	v_mfma_f32_16x16x16_bf16 a[0:3], v[42:43], v[24:25], a[8:11]
	v_perm_b32 v3, v4, v8, s1
	v_perm_b32 v4, v12, v16, s1
	v_add_u32_e32 v2, 0x80, v2
	ds_write2st64_b32 v2, v3, v4 offset0:34 offset1:66
	v_xor_b32_e32 v2, 48, v0
	v_perm_b32 v3, v5, v9, s0
	v_perm_b32 v4, v13, v17, s0
	ds_write2st64_b32 v2, v3, v4 offset0:35 offset1:67
	v_xor_b32_e32 v0, 56, v0
	v_perm_b32 v3, v13, v17, s1
	v_and_or_b32 v17, v30, 12, v1
	v_perm_b32 v2, v5, v9, s1
	v_add_u32_e32 v0, 0x80, v0
	v_cmp_gt_i32_e32 vcc, s40, v17
	v_mov_b32_e32 v14, 0
	v_mov_b32_e32 v16, 0
	ds_write2st64_b32 v0, v2, v3 offset0:35 offset1:67
	s_and_saveexec_b64 s[0:1], vcc
	s_cbranch_execz .LBB344_60
; %bb.59:
	v_add_u32_e32 v0, s34, v17
	v_ashrrev_i32_e32 v1, 31, v0
	v_mul_lo_u32 v2, v1, s28
	v_mul_lo_u32 v3, v0, s29
	v_mad_u64_u32 v[0:1], s[2:3], v0, s28, 0
	v_add3_u32 v1, v1, v3, v2
	v_lshl_add_u64 v[0:1], v[0:1], 2, s[10:11]
	global_load_dword v0, v[0:1], off
	s_waitcnt vmcnt(0)
	v_sub_f32_e32 v0, s12, v0
	v_mul_f32_e32 v0, 0x3fb8aa3b, v0
	v_exp_f32_e32 v16, v0
.LBB344_60:
	s_or_b64 exec, exec, s[0:1]
	v_or_b32_e32 v8, 1, v17
	v_cmp_gt_i32_e64 s[0:1], s40, v8
	s_and_saveexec_b64 s[2:3], s[0:1]
	s_cbranch_execz .LBB344_62
; %bb.61:
	v_add_u32_e32 v0, s34, v8
	v_ashrrev_i32_e32 v1, 31, v0
	v_mul_lo_u32 v2, v1, s28
	v_mul_lo_u32 v3, v0, s29
	v_mad_u64_u32 v[0:1], s[4:5], v0, s28, 0
	v_add3_u32 v1, v1, v3, v2
	v_lshl_add_u64 v[0:1], v[0:1], 2, s[10:11]
	global_load_dword v0, v[0:1], off
	s_waitcnt vmcnt(0)
	v_sub_f32_e32 v0, s12, v0
	v_mul_f32_e32 v0, 0x3fb8aa3b, v0
	v_exp_f32_e32 v14, v0
.LBB344_62:
	s_or_b64 exec, exec, s[2:3]
	v_or_b32_e32 v10, 2, v17
	v_cmp_gt_i32_e64 s[2:3], s40, v10
	v_mov_b32_e32 v15, 0
	v_mov_b32_e32 v18, 0
	s_and_saveexec_b64 s[4:5], s[2:3]
	s_cbranch_execz .LBB344_64
; %bb.63:
	v_add_u32_e32 v0, s34, v10
	v_ashrrev_i32_e32 v1, 31, v0
	v_mul_lo_u32 v2, v1, s28
	v_mul_lo_u32 v3, v0, s29
	v_mad_u64_u32 v[0:1], s[6:7], v0, s28, 0
	v_add3_u32 v1, v1, v3, v2
	v_lshl_add_u64 v[0:1], v[0:1], 2, s[10:11]
	global_load_dword v0, v[0:1], off
	s_waitcnt vmcnt(0)
	v_sub_f32_e32 v0, s12, v0
	v_mul_f32_e32 v0, 0x3fb8aa3b, v0
	v_exp_f32_e32 v18, v0
.LBB344_64:
	s_or_b64 exec, exec, s[4:5]
	v_or_b32_e32 v12, 3, v17
	v_cmp_gt_i32_e64 s[4:5], s40, v12
	s_and_saveexec_b64 s[6:7], s[4:5]
	s_cbranch_execz .LBB344_66
; %bb.65:
	v_add_u32_e32 v0, s34, v12
	v_ashrrev_i32_e32 v1, 31, v0
	v_mul_lo_u32 v2, v1, s28
	v_mul_lo_u32 v3, v0, s29
	v_mad_u64_u32 v[0:1], s[14:15], v0, s28, 0
	v_add3_u32 v1, v1, v3, v2
	v_lshl_add_u64 v[0:1], v[0:1], 2, s[10:11]
	global_load_dword v0, v[0:1], off
	s_waitcnt vmcnt(0)
	v_sub_f32_e32 v0, s12, v0
	v_mul_f32_e32 v0, 0x3fb8aa3b, v0
	v_exp_f32_e32 v15, v0
.LBB344_66:
	s_or_b64 exec, exec, s[6:7]
	v_or_b32_e32 v4, s30, v45
	s_add_u32 s6, s8, s24
	v_accvgpr_read_b32 v0, a4
	s_addc_u32 s7, s9, s25
	v_ashrrev_i32_e32 v5, 31, v4
	v_accvgpr_read_b32 v1, a5
	v_accvgpr_read_b32 v2, a6
	v_accvgpr_read_b32 v3, a7
	v_lshl_add_u64 v[4:5], v[4:5], 1, s[6:7]
	v_mov_b32_e32 v9, 0
	v_lshlrev_b32_e32 v6, 8, v17
	v_mov_b32_e32 v7, 0
	s_and_saveexec_b64 s[6:7], vcc
	s_cbranch_execz .LBB344_68
; %bb.67:
	v_mov_b32_e32 v7, 0
	v_lshl_add_u64 v[20:21], v[4:5], 0, v[6:7]
	global_load_ushort v7, v[20:21], off
	s_waitcnt vmcnt(0)
	v_lshlrev_b32_e32 v7, 16, v7
	v_sub_f32_e32 v0, v7, v0
	v_mul_f32_e32 v0, v16, v0
	v_lshrrev_b32_e32 v7, 16, v0
.LBB344_68:
	s_or_b64 exec, exec, s[6:7]
	v_lshlrev_b32_e32 v8, 8, v8
	s_and_saveexec_b64 s[6:7], s[0:1]
	s_cbranch_execz .LBB344_70
; %bb.69:
	v_mov_b32_e32 v9, 0
	v_lshl_add_u64 v[20:21], v[4:5], 0, v[8:9]
	global_load_ushort v0, v[20:21], off
	s_waitcnt vmcnt(0)
	v_lshlrev_b32_e32 v0, 16, v0
	v_sub_f32_e32 v0, v0, v1
	v_mul_f32_e32 v0, v14, v0
	v_lshrrev_b32_e32 v9, 16, v0
.LBB344_70:
	s_or_b64 exec, exec, s[6:7]
	v_mov_b32_e32 v13, 0
	v_lshlrev_b32_e32 v10, 8, v10
	v_mov_b32_e32 v11, 0
	s_and_saveexec_b64 s[6:7], s[2:3]
	s_cbranch_execz .LBB344_72
; %bb.71:
	v_mov_b32_e32 v11, 0
	v_lshl_add_u64 v[0:1], v[4:5], 0, v[10:11]
	global_load_ushort v0, v[0:1], off
	s_waitcnt vmcnt(0)
	v_lshlrev_b32_e32 v0, 16, v0
	v_sub_f32_e32 v0, v0, v2
	v_mul_f32_e32 v0, v18, v0
	v_lshrrev_b32_e32 v11, 16, v0
.LBB344_72:
	s_or_b64 exec, exec, s[6:7]
	v_lshlrev_b32_e32 v12, 8, v12
	s_and_saveexec_b64 s[6:7], s[4:5]
	s_cbranch_execz .LBB344_74
; %bb.73:
	v_mov_b32_e32 v13, 0
	v_lshl_add_u64 v[0:1], v[4:5], 0, v[12:13]
	global_load_ushort v0, v[0:1], off
	s_waitcnt vmcnt(0)
	v_lshlrev_b32_e32 v0, 16, v0
	v_sub_f32_e32 v0, v0, v3
	v_mul_f32_e32 v0, v15, v0
	v_lshrrev_b32_e32 v13, 16, v0
.LBB344_74:
	s_or_b64 exec, exec, s[6:7]
	v_lshlrev_b32_e32 v17, 5, v17
	s_mov_b32 s6, 0x5040100
	v_perm_b32 v20, v9, v7, s6
	v_or_b32_e32 v7, v17, v22
	v_accvgpr_read_b32 v0, a0
	v_perm_b32 v21, v13, v11, s6
	v_lshlrev_b32_e32 v7, 1, v7
	v_accvgpr_read_b32 v1, a1
	v_accvgpr_read_b32 v2, a2
	v_accvgpr_read_b32 v3, a3
	ds_write_b64 v7, v[20:21] offset:45056
	v_mov_b32_e32 v9, 0
	v_mov_b32_e32 v7, 0
	s_and_saveexec_b64 s[6:7], vcc
	s_cbranch_execz .LBB344_76
; %bb.75:
	v_mov_b32_e32 v7, 0
	v_lshl_add_u64 v[6:7], v[4:5], 0, v[6:7]
	global_load_ushort v6, v[6:7], off offset:32
	s_waitcnt vmcnt(0)
	v_lshlrev_b32_e32 v6, 16, v6
	v_sub_f32_e32 v0, v6, v0
	v_mul_f32_e32 v0, v16, v0
	v_lshrrev_b32_e32 v7, 16, v0
.LBB344_76:
	s_or_b64 exec, exec, s[6:7]
	s_and_saveexec_b64 s[6:7], s[0:1]
	s_cbranch_execz .LBB344_78
; %bb.77:
	v_mov_b32_e32 v9, 0
	v_lshl_add_u64 v[8:9], v[4:5], 0, v[8:9]
	global_load_ushort v0, v[8:9], off offset:32
	s_waitcnt vmcnt(0)
	v_lshlrev_b32_e32 v0, 16, v0
	v_sub_f32_e32 v0, v0, v1
	v_mul_f32_e32 v0, v14, v0
	v_lshrrev_b32_e32 v9, 16, v0
.LBB344_78:
	s_or_b64 exec, exec, s[6:7]
	v_mov_b32_e32 v0, 0
	v_mov_b32_e32 v1, 0
	s_and_saveexec_b64 s[0:1], s[2:3]
	s_cbranch_execz .LBB344_80
; %bb.79:
	v_mov_b32_e32 v11, 0
	v_lshl_add_u64 v[10:11], v[4:5], 0, v[10:11]
	global_load_ushort v1, v[10:11], off offset:32
	s_waitcnt vmcnt(0)
	v_lshlrev_b32_e32 v1, 16, v1
	v_sub_f32_e32 v1, v1, v2
	v_mul_f32_e32 v1, v18, v1
	v_lshrrev_b32_e32 v1, 16, v1
.LBB344_80:
	s_or_b64 exec, exec, s[0:1]
	s_and_saveexec_b64 s[0:1], s[4:5]
	s_cbranch_execz .LBB344_82
; %bb.81:
	v_mov_b32_e32 v13, 0
	v_lshl_add_u64 v[4:5], v[4:5], 0, v[12:13]
	global_load_ushort v0, v[4:5], off offset:32
	s_waitcnt vmcnt(0)
	v_lshlrev_b32_e32 v0, 16, v0
	v_sub_f32_e32 v0, v0, v3
	v_mul_f32_e32 v0, v15, v0
	v_lshrrev_b32_e32 v0, 16, v0
.LBB344_82:
	s_or_b64 exec, exec, s[0:1]
	s_mov_b32 s0, 0x5040100
	v_or_b32_e32 v2, v17, v19
	v_perm_b32 v1, v0, v1, s0
	v_perm_b32 v0, v9, v7, s0
	v_lshlrev_b32_e32 v2, 1, v2
	ds_write_b64 v2, v[0:1] offset:45056
	s_waitcnt lgkmcnt(0)
	s_barrier
.LBB344_83:
	s_endpgm
	.section	.rodata,"a",@progbits
	.p2align	6, 0x0
	.amdhsa_kernel _ZN12_GLOBAL__N_139chunk_gated_delta_rule_fwd_h_hip_kernelILi32ELb0ELb0ELb0ELb1ELb0ELb1ELb0ELb1EEEvPK12hip_bfloat16S3_S3_PKfS5_PKvPS1_S8_PvPKiSB_iiiiilll
		.amdhsa_group_segment_fixed_size 49152
		.amdhsa_private_segment_fixed_size 0
		.amdhsa_kernarg_size 136
		.amdhsa_user_sgpr_count 2
		.amdhsa_user_sgpr_dispatch_ptr 0
		.amdhsa_user_sgpr_queue_ptr 0
		.amdhsa_user_sgpr_kernarg_segment_ptr 1
		.amdhsa_user_sgpr_dispatch_id 0
		.amdhsa_user_sgpr_kernarg_preload_length 0
		.amdhsa_user_sgpr_kernarg_preload_offset 0
		.amdhsa_user_sgpr_private_segment_size 0
		.amdhsa_uses_dynamic_stack 0
		.amdhsa_enable_private_segment 0
		.amdhsa_system_sgpr_workgroup_id_x 1
		.amdhsa_system_sgpr_workgroup_id_y 1
		.amdhsa_system_sgpr_workgroup_id_z 0
		.amdhsa_system_sgpr_workgroup_info 0
		.amdhsa_system_vgpr_workitem_id 0
		.amdhsa_next_free_vgpr 164
		.amdhsa_next_free_sgpr 61
		.amdhsa_accum_offset 140
		.amdhsa_reserve_vcc 1
		.amdhsa_float_round_mode_32 0
		.amdhsa_float_round_mode_16_64 0
		.amdhsa_float_denorm_mode_32 3
		.amdhsa_float_denorm_mode_16_64 3
		.amdhsa_dx10_clamp 1
		.amdhsa_ieee_mode 1
		.amdhsa_fp16_overflow 0
		.amdhsa_tg_split 0
		.amdhsa_exception_fp_ieee_invalid_op 0
		.amdhsa_exception_fp_denorm_src 0
		.amdhsa_exception_fp_ieee_div_zero 0
		.amdhsa_exception_fp_ieee_overflow 0
		.amdhsa_exception_fp_ieee_underflow 0
		.amdhsa_exception_fp_ieee_inexact 0
		.amdhsa_exception_int_div_zero 0
	.end_amdhsa_kernel
	.section	.text._ZN12_GLOBAL__N_139chunk_gated_delta_rule_fwd_h_hip_kernelILi32ELb0ELb0ELb0ELb1ELb0ELb1ELb0ELb1EEEvPK12hip_bfloat16S3_S3_PKfS5_PKvPS1_S8_PvPKiSB_iiiiilll,"axG",@progbits,_ZN12_GLOBAL__N_139chunk_gated_delta_rule_fwd_h_hip_kernelILi32ELb0ELb0ELb0ELb1ELb0ELb1ELb0ELb1EEEvPK12hip_bfloat16S3_S3_PKfS5_PKvPS1_S8_PvPKiSB_iiiiilll,comdat
.Lfunc_end344:
	.size	_ZN12_GLOBAL__N_139chunk_gated_delta_rule_fwd_h_hip_kernelILi32ELb0ELb0ELb0ELb1ELb0ELb1ELb0ELb1EEEvPK12hip_bfloat16S3_S3_PKfS5_PKvPS1_S8_PvPKiSB_iiiiilll, .Lfunc_end344-_ZN12_GLOBAL__N_139chunk_gated_delta_rule_fwd_h_hip_kernelILi32ELb0ELb0ELb0ELb1ELb0ELb1ELb0ELb1EEEvPK12hip_bfloat16S3_S3_PKfS5_PKvPS1_S8_PvPKiSB_iiiiilll
                                        ; -- End function
	.section	.AMDGPU.csdata,"",@progbits
; Kernel info:
; codeLenInByte = 8600
; NumSgprs: 67
; NumVgprs: 140
; NumAgprs: 24
; TotalNumVgprs: 164
; ScratchSize: 0
; MemoryBound: 0
; FloatMode: 240
; IeeeMode: 1
; LDSByteSize: 49152 bytes/workgroup (compile time only)
; SGPRBlocks: 8
; VGPRBlocks: 20
; NumSGPRsForWavesPerEU: 67
; NumVGPRsForWavesPerEU: 164
; AccumOffset: 140
; Occupancy: 1
; WaveLimiterHint : 1
; COMPUTE_PGM_RSRC2:SCRATCH_EN: 0
; COMPUTE_PGM_RSRC2:USER_SGPR: 2
; COMPUTE_PGM_RSRC2:TRAP_HANDLER: 0
; COMPUTE_PGM_RSRC2:TGID_X_EN: 1
; COMPUTE_PGM_RSRC2:TGID_Y_EN: 1
; COMPUTE_PGM_RSRC2:TGID_Z_EN: 0
; COMPUTE_PGM_RSRC2:TIDIG_COMP_CNT: 0
; COMPUTE_PGM_RSRC3_GFX90A:ACCUM_OFFSET: 34
; COMPUTE_PGM_RSRC3_GFX90A:TG_SPLIT: 0
	.section	.text._ZN12_GLOBAL__N_139chunk_gated_delta_rule_fwd_h_hip_kernelILi32ELb1ELb1ELb1ELb0ELb0ELb1ELb0ELb1EEEvPK12hip_bfloat16S3_S3_PKfS5_PKvPS1_S8_PvPKiSB_iiiiilll,"axG",@progbits,_ZN12_GLOBAL__N_139chunk_gated_delta_rule_fwd_h_hip_kernelILi32ELb1ELb1ELb1ELb0ELb0ELb1ELb0ELb1EEEvPK12hip_bfloat16S3_S3_PKfS5_PKvPS1_S8_PvPKiSB_iiiiilll,comdat
	.globl	_ZN12_GLOBAL__N_139chunk_gated_delta_rule_fwd_h_hip_kernelILi32ELb1ELb1ELb1ELb0ELb0ELb1ELb0ELb1EEEvPK12hip_bfloat16S3_S3_PKfS5_PKvPS1_S8_PvPKiSB_iiiiilll ; -- Begin function _ZN12_GLOBAL__N_139chunk_gated_delta_rule_fwd_h_hip_kernelILi32ELb1ELb1ELb1ELb0ELb0ELb1ELb0ELb1EEEvPK12hip_bfloat16S3_S3_PKfS5_PKvPS1_S8_PvPKiSB_iiiiilll
	.p2align	8
	.type	_ZN12_GLOBAL__N_139chunk_gated_delta_rule_fwd_h_hip_kernelILi32ELb1ELb1ELb1ELb0ELb0ELb1ELb0ELb1EEEvPK12hip_bfloat16S3_S3_PKfS5_PKvPS1_S8_PvPKiSB_iiiiilll,@function
_ZN12_GLOBAL__N_139chunk_gated_delta_rule_fwd_h_hip_kernelILi32ELb1ELb1ELb1ELb0ELb0ELb1ELb0ELb1EEEvPK12hip_bfloat16S3_S3_PKfS5_PKvPS1_S8_PvPKiSB_iiiiilll: ; @_ZN12_GLOBAL__N_139chunk_gated_delta_rule_fwd_h_hip_kernelILi32ELb1ELb1ELb1ELb0ELb0ELb1ELb0ELb1EEEvPK12hip_bfloat16S3_S3_PKfS5_PKvPS1_S8_PvPKiSB_iiiiilll
; %bb.0:
	s_load_dwordx4 s[24:27], s[0:1], 0x5c
	s_abs_i32 s6, s3
	s_ashr_i32 s5, s3, 31
	v_and_b32_e32 v71, 15, v0
	v_bfe_u32 v70, v0, 4, 2
	s_waitcnt lgkmcnt(0)
	s_abs_i32 s4, s25
	v_cvt_f32_u32_e32 v1, s4
	s_sub_i32 s8, 0, s4
	s_ashr_i32 s7, s25, 31
	s_xor_b32 s5, s5, s7
	v_rcp_iflag_f32_e32 v1, v1
	v_mov_b32_e32 v55, 0
	v_lshlrev_b32_e32 v72, 3, v0
	v_mul_f32_e32 v1, 0x4f7ffffe, v1
	v_cvt_u32_f32_e32 v1, v1
	s_nop 0
	v_readfirstlane_b32 s9, v1
	s_mul_i32 s8, s8, s9
	s_mul_hi_u32 s8, s9, s8
	s_add_i32 s9, s9, s8
	s_mul_hi_u32 s8, s6, s9
	s_mul_i32 s9, s8, s4
	s_sub_i32 s6, s6, s9
	s_add_i32 s10, s8, 1
	s_sub_i32 s9, s6, s4
	s_cmp_ge_u32 s6, s4
	s_cselect_b32 s8, s10, s8
	s_cselect_b32 s6, s9, s6
	s_add_i32 s9, s8, 1
	s_cmp_ge_u32 s6, s4
	s_cselect_b32 s6, s9, s8
	s_xor_b32 s6, s6, s5
	s_sub_i32 s59, s6, s5
	s_mul_i32 s6, s59, s25
	s_sub_i32 s33, s3, s6
	s_abs_i32 s3, s26
	v_cvt_f32_u32_e32 v1, s3
	s_add_i32 s8, s24, 63
	s_ashr_i32 s9, s8, 31
	s_lshr_b32 s5, s9, 26
	v_rcp_iflag_f32_e32 v1, v1
	s_ashr_i32 s58, s24, 31
	s_add_i32 s8, s8, s5
	s_lshr_b32 s5, s58, 26
	v_mul_f32_e32 v1, 0x4f7ffffe, v1
	v_cvt_u32_f32_e32 v1, v1
	s_add_i32 s5, s24, s5
	s_ashr_i32 s61, s26, 31
	s_ashr_i32 s28, s8, 6
	s_ashr_i32 s60, s5, 6
	s_xor_b32 s5, s7, s61
	s_sub_i32 s7, 0, s3
	v_readfirstlane_b32 s8, v1
	s_mul_i32 s7, s7, s8
	s_mul_hi_u32 s7, s8, s7
	s_add_i32 s8, s8, s7
	s_mul_hi_u32 s7, s4, s8
	s_mul_i32 s8, s7, s3
	s_sub_i32 s4, s4, s8
	s_lshl_b32 s2, s2, 5
	s_add_i32 s8, s7, 1
	s_sub_i32 s9, s4, s3
	s_cmp_ge_u32 s4, s3
	s_cselect_b32 s7, s8, s7
	s_cselect_b32 s4, s9, s4
	s_add_i32 s8, s7, 1
	s_cmp_ge_u32 s4, s3
	s_cselect_b32 s3, s8, s7
	s_xor_b32 s3, s3, s5
	s_sub_i32 s3, s3, s5
	s_abs_i32 s4, s3
	v_cvt_f32_u32_e32 v1, s4
	s_sub_i32 s7, 0, s4
	s_abs_i32 s5, s33
	s_xor_b32 s3, s33, s3
	v_rcp_iflag_f32_e32 v2, v1
	s_ashr_i32 s3, s3, 31
	s_load_dwordx8 s[8:15], s[0:1], 0x20
	v_lshrrev_b32_e32 v1, 6, v0
	v_mul_f32_e32 v2, 0x4f7ffffe, v2
	v_cvt_u32_f32_e32 v2, v2
	v_or_b32_e32 v60, s2, v71
	v_lshlrev_b32_e32 v53, 4, v1
	v_lshlrev_b32_e32 v56, 7, v60
	v_readfirstlane_b32 s16, v2
	s_mul_i32 s7, s7, s16
	s_mul_hi_u32 s7, s16, s7
	s_add_i32 s16, s16, s7
	s_mul_hi_u32 s7, s5, s16
	s_mul_i32 s16, s7, s4
	s_sub_i32 s5, s5, s16
	s_add_i32 s16, s7, 1
	s_sub_i32 s17, s5, s4
	s_cmp_ge_u32 s5, s4
	s_cselect_b32 s7, s16, s7
	s_cselect_b32 s5, s17, s5
	s_add_i32 s16, s7, 1
	s_cmp_ge_u32 s5, s4
	s_cselect_b32 s4, s16, s7
	s_xor_b32 s4, s4, s3
	s_sub_i32 s62, s4, s3
	s_ashr_i32 s3, s59, 31
	s_ashr_i32 s50, s33, 31
	s_mul_hi_i32 s4, s59, s25
	s_add_u32 s42, s6, s33
	s_addc_u32 s43, s4, s50
	s_lshl_b64 s[34:35], s[42:43], 15
	s_waitcnt lgkmcnt(0)
	s_add_u32 s4, s10, s34
	v_lshl_or_b32 v74, v70, 2, v53
	s_addc_u32 s5, s11, s35
	v_ashrrev_i32_e32 v57, 31, v56
	v_lshl_add_u64 v[2:3], v[56:57], 1, s[4:5]
	v_lshlrev_b32_e32 v54, 1, v74
	v_or_b32_e32 v58, 0x800, v56
	v_lshl_add_u64 v[2:3], v[2:3], 0, v[54:55]
	v_ashrrev_i32_e32 v59, 31, v58
	global_load_dwordx2 v[6:7], v[2:3], off
	global_load_dwordx2 v[10:11], v[2:3], off offset:128
	v_lshl_add_u64 v[2:3], v[58:59], 1, s[4:5]
	v_lshl_add_u64 v[2:3], v[2:3], 0, v[54:55]
	global_load_dwordx2 v[12:13], v[2:3], off
	global_load_dwordx2 v[14:15], v[2:3], off offset:128
	s_load_dwordx2 s[10:11], s[0:1], 0x40
	s_load_dwordx8 s[16:23], s[0:1], 0x0
	s_load_dwordx2 s[36:37], s[0:1], 0x80
	s_load_dwordx4 s[4:7], s[0:1], 0x70
	v_and_b32_e32 v55, 63, v0
	v_lshrrev_b32_e32 v73, 3, v55
	v_or_b32_e32 v75, 64, v74
	s_mul_i32 s51, s59, s24
	s_waitcnt lgkmcnt(0)
	s_mul_i32 s52, s59, s5
	s_mul_hi_u32 s53, s59, s4
	s_mul_i32 s38, s59, s4
	s_mul_i32 s63, s59, s28
	;; [unrolled: 1-line block ×3, first 2 shown]
	s_mul_hi_u32 s55, s33, s6
	s_mul_i32 s57, s3, s4
	s_mul_i32 s56, s50, s6
	s_mul_hi_u32 s64, s42, s24
	s_mul_i32 s44, s42, s24
	s_mul_i32 s43, s43, s24
	s_cmp_lt_i32 s24, 64
	s_mul_i32 s40, s33, s6
	s_waitcnt vmcnt(3)
	v_and_b32_e32 v3, 0xffff0000, v6
	v_lshlrev_b32_e32 v2, 16, v6
	v_and_b32_e32 v5, 0xffff0000, v7
	v_lshlrev_b32_e32 v4, 16, v7
	s_waitcnt vmcnt(2)
	v_and_b32_e32 v7, 0xffff0000, v10
	v_lshlrev_b32_e32 v6, 16, v10
	v_and_b32_e32 v9, 0xffff0000, v11
	v_lshlrev_b32_e32 v8, 16, v11
	s_waitcnt vmcnt(1)
	v_and_b32_e32 v77, 0xffff0000, v12
	v_lshlrev_b32_e32 v76, 16, v12
	v_and_b32_e32 v87, 0xffff0000, v13
	v_lshlrev_b32_e32 v78, 16, v13
	s_waitcnt vmcnt(0)
	v_and_b32_e32 v80, 0xffff0000, v14
	v_lshlrev_b32_e32 v79, 16, v14
	v_and_b32_e32 v85, 0xffff0000, v15
	v_lshlrev_b32_e32 v81, 16, v15
	s_cbranch_scc1 .LBB345_3
; %bb.1:
	s_add_i32 s45, s64, s43
	s_lshl_b64 s[0:1], s[44:45], 8
	v_and_b32_e32 v83, 56, v72
	s_add_u32 s4, s18, s0
	v_lshl_or_b32 v82, v1, 3, v73
	v_lshlrev_b32_e32 v10, 1, v83
	s_addc_u32 s0, s19, s1
	v_lshl_or_b32 v84, v82, 8, v10
	s_and_b32 s5, s0, 0xffff
	s_mov_b32 s7, 0x20000
	s_movk_i32 s6, 0x4000
	s_movk_i32 s0, 0x80
	v_or_b32_e32 v86, 0x2000, v84
	buffer_load_dwordx4 v[12:15], v84, s[4:7], 0 offen
	buffer_load_dwordx4 v[16:19], v84, s[4:7], s0 offen
	;; [unrolled: 1-line block ×4, first 2 shown]
	v_lshlrev_b32_e32 v11, 3, v82
	v_and_or_b32 v29, v0, 7, v11
	v_and_b32_e32 v11, 0x78, v11
	v_lshlrev_b32_e32 v29, 4, v29
	v_xor_b32_e32 v88, v29, v11
	v_mul_lo_u32 v28, v82, s27
	v_or_b32_e32 v89, 0x1000, v88
	v_xor_b32_e32 v11, 8, v88
	s_cmpk_eq_i32 s27, 0x80
	s_mov_b32 s65, s26
	v_xor_b32_e32 v29, 8, v89
	s_cselect_b64 s[0:1], -1, 0
	s_cmpk_lg_i32 s27, 0x80
	s_waitcnt vmcnt(3)
	ds_write_b64 v88, v[12:13] offset:24576
	ds_write_b64 v11, v[14:15] offset:24576
	s_waitcnt vmcnt(2)
	ds_write_b64 v88, v[16:17] offset:32768
	ds_write_b64 v11, v[18:19] offset:32768
	s_waitcnt vmcnt(1)
	ds_write_b64 v88, v[20:21] offset:28672
	ds_write_b64 v29, v[22:23] offset:24576
	s_waitcnt vmcnt(0)
	ds_write_b64 v88, v[24:25] offset:36864
	ds_write_b64 v29, v[26:27] offset:32768
	v_lshl_add_u32 v11, v28, 1, v83
	s_cbranch_scc0 .LBB345_4
; %bb.2:
	v_lshlrev_b32_e32 v13, 1, v11
	v_add_lshl_u32 v12, v11, s27, 1
	s_lshl_b32 s6, s27, 7
	v_lshl_or_b32 v10, v82, 9, v10
	s_cbranch_execz .LBB345_5
	s_branch .LBB345_6
.LBB345_3:
	v_mov_b32_e32 v17, v85
	v_mov_b32_e32 v16, v81
	;; [unrolled: 1-line block ×5, first 2 shown]
	s_branch .LBB345_20
.LBB345_4:
                                        ; implicit-def: $vgpr12
                                        ; implicit-def: $vgpr13
                                        ; implicit-def: $sgpr6
	v_lshl_or_b32 v10, v82, 9, v10
.LBB345_5:
	v_or_b32_e32 v12, 0x100, v10
	s_movk_i32 s6, 0x4000
	v_mov_b32_e32 v13, v10
.LBB345_6:
	s_mul_hi_u32 s4, s26, s24
	s_mul_i32 s5, s61, s24
	s_add_i32 s4, s4, s5
	s_mul_i32 s5, s26, s24
	s_mul_i32 s7, s5, s3
	s_mul_hi_u32 s28, s5, s59
	s_add_i32 s7, s28, s7
	s_mul_i32 s4, s4, s59
	s_add_i32 s7, s7, s4
	s_mul_i32 s5, s5, s59
	s_ashr_i32 s66, s62, 31
	s_add_u32 s4, s5, s62
	s_addc_u32 s5, s7, s66
	s_lshl_b64 s[4:5], s[4:5], 8
	s_add_u32 s4, s16, s4
	s_addc_u32 s5, s17, s5
	s_and_b32 s5, s5, 0xffff
	s_mov_b32 s7, 0x20000
	s_movk_i32 s67, 0x80
	buffer_load_dwordx4 v[14:17], v13, s[4:7], 0 offen
	buffer_load_dwordx4 v[18:21], v13, s[4:7], s67 offen
	;; [unrolled: 1-line block ×4, first 2 shown]
	v_and_b32_e32 v12, 6, v0
	v_lshlrev_b32_e32 v31, 6, v74
	v_or_b32_e32 v33, 16, v71
	v_xor_b32_e32 v34, v82, v12
	v_and_b32_e32 v13, 1, v0
	s_mul_i32 s3, s3, s24
	s_mul_hi_u32 s4, s59, s24
	v_lshl_or_b32 v37, v71, 3, v31
	v_lshl_or_b32 v31, v33, 3, v31
	v_lshlrev_b32_e32 v34, 2, v34
	v_lshlrev_b32_e32 v30, 2, v71
	v_or_b32_e32 v92, 0xa000, v31
	v_or_b32_e32 v93, 0xb000, v31
	v_xor_b32_e32 v31, 0x440, v34
	v_cmp_eq_u32_e32 vcc, 0, v13
	s_add_i32 s71, s4, s3
	s_add_i32 s3, s53, s52
	v_xor_b32_e32 v35, v74, v30
	v_xor_b32_e32 v36, v75, v30
	v_cndmask_b32_e32 v13, v31, v34, vcc
	s_add_i32 s39, s3, s57
	s_add_i32 s3, s55, s54
	s_mov_b32 s69, 0x1000504
	v_lshlrev_b32_e32 v32, 8, v71
	v_lshlrev_b32_e32 v35, 1, v35
	;; [unrolled: 1-line block ×3, first 2 shown]
	v_lshl_or_b32 v12, v12, 10, v13
	s_add_i32 s41, s3, s56
	s_lshl_b64 s[4:5], s[38:39], 2
	s_mov_b32 s70, 0x3020706
	v_or_b32_e32 v90, 0xa000, v37
	v_or_b32_e32 v91, 0xb000, v37
	;; [unrolled: 1-line block ×4, first 2 shown]
	v_xor_b32_e32 v13, 8, v12
	v_xor_b32_e32 v32, 24, v12
	;; [unrolled: 1-line block ×4, first 2 shown]
	s_add_u32 s3, s22, s4
	v_xor_b32_e32 v31, 16, v12
	v_xor_b32_e32 v34, 32, v12
	;; [unrolled: 1-line block ×3, first 2 shown]
	v_add_u32_e32 v13, 0x80, v13
	v_add_u32_e32 v32, 0x80, v32
	;; [unrolled: 1-line block ×4, first 2 shown]
	s_addc_u32 s6, s23, s5
	s_lshl_b64 s[4:5], s[40:41], 2
	s_add_u32 s46, s3, s4
	s_movk_i32 s3, 0xf8
	s_addc_u32 s47, s6, s5
	s_lshl_b32 s30, s27, 7
	s_movk_i32 s28, 0x100
	v_mov_b32_e32 v63, 0
	v_lshlrev_b32_e32 v62, 4, v71
	v_cmp_gt_u32_e32 vcc, s28, v0
	v_ashrrev_i32_e32 v61, 31, v60
	v_lshlrev_b32_e32 v33, 8, v33
	s_mov_b32 s68, 0
	v_or_b32_e32 v96, v33, v35
	v_or_b32_e32 v97, v33, v36
	s_movk_i32 s39, 0x1000
	s_movk_i32 s6, 0x4000
	s_mov_b32 s41, 0x7060302
	v_mov_b32_e32 v120, 0x3fb8aa3b
	s_mov_b32 s73, 0
	s_waitcnt vmcnt(1)
	v_perm_b32 v40, v14, v22, s69
	s_waitcnt vmcnt(0)
	v_perm_b32 v41, v18, v26, s69
	v_perm_b32 v14, v14, v22, s70
	;; [unrolled: 1-line block ×15, first 2 shown]
	ds_write2st64_b32 v12, v40, v41 offset0:32 offset1:64
	ds_write2st64_b32 v13, v14, v18 offset0:32 offset1:64
	;; [unrolled: 1-line block ×8, first 2 shown]
	v_or_b32_e32 v12, v53, v71
	v_lshlrev_b32_e32 v12, 3, v12
	v_lshrrev_b32_e32 v15, 5, v55
	v_and_or_b32 v15, v12, s3, v15
	v_lshlrev_b32_e32 v15, 4, v15
	v_lshlrev_b32_e32 v17, 11, v1
	v_and_b32_e32 v12, 0x78, v12
	v_or_b32_e32 v20, 32, v15
	v_and_b32_e32 v14, 0x1000, v17
	v_lshrrev_b32_e32 v18, 1, v55
	v_xor_b32_e32 v20, v20, v12
	v_xor_b32_e32 v16, v15, v12
	v_and_b32_e32 v18, 8, v18
	v_or_b32_e32 v20, v20, v14
	v_or_b32_e32 v16, v16, v14
	v_lshlrev_b32_e32 v19, 7, v70
	v_xor_b32_e32 v100, v20, v18
	v_or_b32_e32 v20, 64, v15
	v_or_b32_e32 v15, 0x60, v15
	s_ashr_i32 s3, s2, 31
	v_xor_b32_e32 v98, v16, v18
	v_or_b32_e32 v16, v19, v30
	v_xor_b32_e32 v20, v20, v12
	v_xor_b32_e32 v12, v15, v12
	s_lshl_b64 s[4:5], s[2:3], 8
	v_lshlrev_b32_e32 v16, 1, v16
	v_or_b32_e32 v20, v20, v14
	v_or_b32_e32 v12, v12, v14
	s_add_u32 s4, s12, s4
	v_lshlrev_b32_e32 v14, 1, v71
	v_or_b32_e32 v99, 0xa000, v16
	v_or_b32_e32 v101, 0xa080, v16
	;; [unrolled: 1-line block ×4, first 2 shown]
	v_lshrrev_b32_e32 v16, 4, v0
	s_addc_u32 s5, s13, s5
	v_or_b32_e32 v15, 1, v14
	v_mov_b32_e32 v25, 0x4000
	v_mov_b32_e32 v26, 0x2000
	v_lshrrev_b32_e32 v27, 1, v0
	v_xor_b32_e32 v102, v20, v18
	v_xor_b32_e32 v103, v12, v18
	;; [unrolled: 1-line block ×4, first 2 shown]
	v_lshl_add_u64 v[14:15], s[4:5], 0, v[62:63]
	v_lshlrev_b32_e32 v62, 8, v16
	v_cndmask_b32_e32 v25, v25, v26, vcc
	v_lshlrev_b32_e32 v26, 3, v1
	v_and_b32_e32 v27, 24, v27
	v_lshl_or_b32 v106, v18, 3, v62
	v_and_b32_e32 v18, 8, v0
	v_xor_b32_e32 v28, v26, v27
	v_or_b32_e32 v29, 0x440, v28
	v_cmp_eq_u32_e32 vcc, 0, v18
	v_and_b32_e32 v16, 7, v0
	v_lshl_or_b32 v107, v22, 3, v62
	v_cndmask_b32_e32 v18, v29, v28, vcc
	v_lshlrev_b32_e32 v22, 3, v16
	v_lshlrev_b32_e32 v24, 2, v0
	v_or_b32_e32 v18, v18, v17
	v_xor_b32_e32 v28, v18, v22
	v_and_or_b32 v18, v24, 60, v19
	v_mov_b32_e32 v19, 0xb000
	v_lshl_or_b32 v108, v18, 1, v19
	v_or_b32_e32 v18, 32, v27
	v_xor_b32_e32 v18, v26, v18
	v_or_b32_e32 v19, 0x440, v18
	v_cndmask_b32_e32 v18, v19, v18, vcc
	v_or_b32_e32 v18, v18, v17
	v_xor_b32_e32 v19, v18, v22
	v_or_b32_e32 v18, 64, v27
	v_xor_b32_e32 v18, v26, v18
	v_xor_b32_e32 v30, 0x440, v18
	v_cndmask_b32_e32 v18, v30, v18, vcc
	v_or_b32_e32 v18, v18, v17
	v_xor_b32_e32 v30, v18, v22
	v_or_b32_e32 v18, 0x60, v27
	v_xor_b32_e32 v18, v26, v18
	v_xor_b32_e32 v26, 0x440, v18
	v_cndmask_b32_e32 v18, v26, v18, vcc
	v_lshrrev_b32_e32 v13, 2, v55
	v_or_b32_e32 v17, v18, v17
	v_and_b32_e32 v13, 12, v13
	v_lshlrev_b32_e32 v20, 1, v11
	v_add_lshl_u32 v11, v11, s27, 1
	v_or_b32_e32 v21, 0x100, v10
	v_xor_b32_e32 v17, v17, v22
	v_lshlrev_b32_e32 v12, 7, v74
	v_lshlrev_b32_e32 v23, 7, v16
	v_or_b32_e32 v16, v13, v53
	v_add_u32_e32 v29, v25, v28
	v_add_u32_e32 v24, v25, v19
	;; [unrolled: 1-line block ×4, first 2 shown]
	v_or3_b32 v18, v53, v13, 64
	v_add_u32_e32 v13, 0x4000, v28
	v_add_u32_e32 v19, 0x4000, v19
	;; [unrolled: 1-line block ×4, first 2 shown]
	v_cndmask_b32_e64 v109, v20, v10, s[0:1]
	v_cndmask_b32_e64 v110, v11, v21, s[0:1]
	v_lshlrev_b64 v[10:11], 1, v[60:61]
	v_lshl_add_u64 v[64:65], s[20:21], 0, v[10:11]
	v_lshl_add_u64 v[66:67], s[14:15], 0, v[10:11]
	;; [unrolled: 1-line block ×3, first 2 shown]
	s_add_i32 s3, s51, 63
	v_lshlrev_b32_e32 v62, 1, v12
	v_lshlrev_b32_e32 v61, 2, v16
	v_add_u32_e32 v111, v29, v23
	v_add_u32_e32 v112, v24, v23
	;; [unrolled: 1-line block ×4, first 2 shown]
	v_lshlrev_b32_e32 v115, 2, v18
	v_add_u32_e32 v116, v13, v23
	v_add_u32_e32 v117, v19, v23
	;; [unrolled: 1-line block ×4, first 2 shown]
	s_waitcnt lgkmcnt(0)
	s_barrier
.LBB345_7:                              ; =>This Inner Loop Header: Depth=1
	s_add_i32 s72, s73, 1
	s_cmp_lt_i32 s72, s60
	s_mov_b64 s[28:29], 0
	s_cselect_b64 s[48:49], -1, 0
	s_cmp_ge_i32 s72, s60
	s_mov_b64 s[4:5], 0
	s_cbranch_scc1 .LBB345_9
; %bb.8:                                ;   in Loop: Header=BB345_7 Depth=1
	s_add_i32 s0, s68, 64
	s_add_u32 s0, s44, s0
	s_addc_u32 s1, s45, 0
	s_lshl_b64 s[0:1], s[0:1], 8
	s_add_u32 s4, s18, s0
	s_addc_u32 s5, s19, s1
.LBB345_9:                              ;   in Loop: Header=BB345_7 Depth=1
	v_cndmask_b32_e64 v10, 0, 1, s[48:49]
	v_cmp_ne_u32_e64 s[0:1], 1, v10
	s_andn2_b64 vcc, exec, s[48:49]
	s_cbranch_vccnz .LBB345_11
; %bb.10:                               ;   in Loop: Header=BB345_7 Depth=1
	s_add_i32 s28, s68, 64
	s_add_u32 s28, s51, s28
	s_addc_u32 s29, s71, 0
	s_mul_i32 s31, s28, s61
	s_mul_hi_u32 s48, s28, s65
	s_add_i32 s31, s48, s31
	s_mul_i32 s29, s29, s65
	s_add_i32 s31, s31, s29
	s_mul_i32 s28, s28, s65
	s_add_u32 s28, s28, s62
	s_addc_u32 s29, s31, s66
	s_lshl_b64 s[28:29], s[28:29], 8
	s_add_u32 s28, s16, s28
	s_addc_u32 s29, s17, s29
.LBB345_11:                             ;   in Loop: Header=BB345_7 Depth=1
	v_perm_b32 v11, v5, v4, s41
	v_perm_b32 v10, v3, v2, s41
	;; [unrolled: 1-line block ×4, first 2 shown]
	ds_write_b64 v90, v[10:11]
	ds_write_b64 v91, v[12:13]
	;; [unrolled: 1-line block ×4, first 2 shown]
	v_perm_b32 v11, v87, v78, s41
	v_perm_b32 v10, v77, v76, s41
	;; [unrolled: 1-line block ×4, first 2 shown]
	ds_write_b64 v92, v[10:11]
	ds_write_b64 v93, v[12:13]
	;; [unrolled: 1-line block ×4, first 2 shown]
	s_waitcnt lgkmcnt(0)
	s_barrier
	ds_read_b64 v[14:15], v98 offset:24576
	ds_read2_b64 v[10:13], v99 offset1:16
	ds_read_b64 v[18:19], v101 offset:3072
	ds_read_b64 v[20:21], v99 offset:3072
	;; [unrolled: 1-line block ×3, first 2 shown]
	s_waitcnt lgkmcnt(3)
	v_mfma_f32_16x16x16_bf16 a[0:3], v[14:15], v[10:11], 0
	s_add_i32 s31, s68, 63
	s_mul_i32 s48, s31, s37
	s_mul_hi_u32 s49, s31, s36
	v_mfma_f32_16x16x16_bf16 a[4:7], v[14:15], v[12:13], 0
	ds_read2st64_b64 v[10:13], v99 offset0:2 offset1:4
	ds_read2st64_b64 v[14:17], v101 offset0:2 offset1:4
	s_add_i32 s49, s49, s48
	s_waitcnt lgkmcnt(1)
	v_mfma_f32_16x16x16_bf16 a[0:3], v[22:23], v[10:11], a[0:3]
	s_mul_i32 s48, s31, s36
	s_lshl_b64 s[48:49], s[48:49], 2
	s_add_u32 s48, s46, s48
	s_waitcnt lgkmcnt(0)
	v_mfma_f32_16x16x16_bf16 a[4:7], v[22:23], v[14:15], a[4:7]
	ds_read_b64 v[10:11], v102 offset:24576
	ds_read_b64 v[14:15], v103 offset:24576
	s_addc_u32 s49, s47, s49
	s_and_b64 vcc, exec, s[0:1]
	s_waitcnt lgkmcnt(1)
	v_mfma_f32_16x16x16_bf16 a[0:3], v[10:11], v[12:13], a[0:3]
	v_mov_b32_e32 v123, 0
	v_mov_b32_e32 v122, 0
	;; [unrolled: 1-line block ×3, first 2 shown]
	v_mfma_f32_16x16x16_bf16 a[8:11], v[10:11], v[16:17], a[4:7]
	v_mov_b32_e32 v10, 0
	v_mov_b32_e32 v11, 0
	v_mov_b32_e32 v12, 0
	s_waitcnt lgkmcnt(0)
	v_mfma_f32_16x16x16_bf16 a[4:7], v[14:15], v[20:21], a[0:3]
	v_mov_b32_e32 v13, 0
	v_mov_b32_e32 v16, 0
	;; [unrolled: 1-line block ×3, first 2 shown]
	v_mfma_f32_16x16x16_bf16 a[0:3], v[14:15], v[18:19], a[8:11]
	v_mov_b32_e32 v14, 0
	v_mov_b32_e32 v15, 0
	;; [unrolled: 1-line block ×10, first 2 shown]
	s_cbranch_vccnz .LBB345_13
; %bb.12:                               ;   in Loop: Header=BB345_7 Depth=1
	s_and_b32 s5, s5, 0xffff
	buffer_load_dwordx4 v[22:25], v84, s[4:7], 0 offen
	buffer_load_dwordx4 v[18:21], v84, s[4:7], s67 offen
	;; [unrolled: 1-line block ×4, first 2 shown]
	v_mov_b32_e32 v122, v88
	v_mov_b32_e32 v121, v89
.LBB345_13:                             ;   in Loop: Header=BB345_7 Depth=1
	ds_read_b64 v[34:35], v98 offset:32768
	ds_read2_b64 v[26:29], v104 offset1:16
	ds_read_b64 v[36:37], v100 offset:32768
	ds_read_b64 v[38:39], v102 offset:32768
	;; [unrolled: 1-line block ×3, first 2 shown]
	v_add_u32_e32 v42, s68, v74
	s_waitcnt lgkmcnt(3)
	v_mfma_f32_16x16x16_bf16 a[4:7], v[34:35], v[26:27], a[4:7]
	v_ashrrev_i32_e32 v26, 31, v42
	ds_read2st64_b64 v[30:33], v104 offset0:2 offset1:4
	v_mfma_f32_16x16x16_bf16 a[0:3], v[34:35], v[28:29], a[0:3]
	v_mul_lo_u32 v28, v26, s36
	v_mul_lo_u32 v29, v42, s37
	v_mad_u64_u32 v[26:27], s[4:5], v42, s36, 0
	v_add3_u32 v27, v27, v29, v28
	v_add_u32_e32 v28, 1, v42
	v_ashrrev_i32_e32 v29, 31, v28
	v_mul_lo_u32 v34, v29, s36
	v_mul_lo_u32 v35, v28, s37
	v_mad_u64_u32 v[28:29], s[4:5], v28, s36, 0
	v_add3_u32 v29, v29, v35, v34
	v_add_u32_e32 v34, 2, v42
	v_ashrrev_i32_e32 v35, 31, v34
	v_mul_lo_u32 v43, v35, s36
	v_mul_lo_u32 v44, v34, s37
	v_mad_u64_u32 v[34:35], s[4:5], v34, s36, 0
	v_add_u32_e32 v42, 3, v42
	v_add3_u32 v35, v35, v44, v43
	v_ashrrev_i32_e32 v43, 31, v42
	v_mul_lo_u32 v44, v43, s36
	v_mul_lo_u32 v45, v42, s37
	v_mad_u64_u32 v[42:43], s[4:5], v42, s36, 0
	s_add_u32 s4, s44, s68
	s_addc_u32 s5, s45, 0
	s_lshl_b64 s[74:75], s[4:5], 8
	v_lshl_add_u64 v[26:27], v[26:27], 2, s[46:47]
	v_lshl_add_u64 v[28:29], v[28:29], 2, s[46:47]
	v_add3_u32 v43, v43, v45, v44
	v_lshl_add_u64 v[44:45], v[64:65], 0, s[74:75]
	v_lshl_add_u64 v[34:35], v[34:35], 2, s[46:47]
	;; [unrolled: 1-line block ×3, first 2 shown]
	global_load_dword v46, v[26:27], off
	global_load_ushort v47, v[44:45], off offset:256
	global_load_ushort v48, v[44:45], off
	v_lshl_add_u64 v[26:27], v[42:43], 2, s[46:47]
	global_load_dword v42, v[28:29], off
	global_load_dword v43, v[34:35], off
	;; [unrolled: 1-line block ×3, first 2 shown]
	ds_read2st64_b64 v[26:29], v105 offset0:2 offset1:4
	global_load_ushort v50, v[44:45], off offset:768
	global_load_ushort v51, v[44:45], off offset:512
	global_load_ushort v52, v[44:45], off offset:800
	global_load_ushort v124, v[44:45], off offset:544
	global_load_ushort v125, v[44:45], off offset:288
	s_nop 0
	global_load_ushort v44, v[44:45], off offset:32
	s_waitcnt lgkmcnt(1)
	v_mfma_f32_16x16x16_bf16 a[4:7], v[36:37], v[30:31], a[4:7]
	s_and_b64 vcc, exec, s[0:1]
	s_waitcnt vmcnt(10)
	v_lshlrev_b32_e32 v35, 16, v47
	s_waitcnt lgkmcnt(0)
	v_mfma_f32_16x16x16_bf16 a[0:3], v[36:37], v[26:27], a[0:3]
	s_waitcnt vmcnt(9)
	v_lshlrev_b32_e32 v34, 16, v48
	v_mfma_f32_16x16x16_bf16 a[4:7], v[38:39], v[32:33], a[4:7]
	v_mfma_f32_16x16x16_bf16 a[0:3], v[38:39], v[28:29], a[0:3]
	ds_read_b64 v[26:27], v104 offset:3072
	ds_read_b64 v[28:29], v105 offset:3072
	s_load_dword s4, s[48:49], 0x0
	s_waitcnt lgkmcnt(0)
	v_sub_f32_e32 v36, s4, v46
	v_mfma_f32_16x16x16_bf16 a[4:7], v[40:41], v[26:27], a[4:7]
	v_mul_f32_e32 v36, 0x3fb8aa3b, v36
	s_waitcnt vmcnt(8)
	v_sub_f32_e32 v37, s4, v42
	s_waitcnt vmcnt(7)
	v_sub_f32_e32 v38, s4, v43
	;; [unrolled: 2-line block ×3, first 2 shown]
	v_mfma_f32_16x16x16_bf16 a[0:3], v[40:41], v[28:29], a[0:3]
	v_lshl_add_u64 v[26:27], v[66:67], 0, s[74:75]
	v_lshl_add_u64 v[26:27], v[26:27], 0, v[62:63]
	v_accvgpr_read_b32 v33, a5
	v_accvgpr_read_b32 v32, a4
	v_pk_add_f32 v[32:33], v[34:35], v[32:33] neg_lo:[0,1] neg_hi:[0,1]
	v_exp_f32_e32 v34, v36
	v_mul_f32_e32 v35, 0x3fb8aa3b, v37
	v_mul_f32_e32 v36, 0x3fb8aa3b, v38
	;; [unrolled: 1-line block ×3, first 2 shown]
	v_exp_f32_e32 v35, v35
	v_exp_f32_e32 v36, v36
	;; [unrolled: 1-line block ×3, first 2 shown]
	v_accvgpr_read_b32 v29, a7
	v_accvgpr_read_b32 v28, a6
	s_waitcnt vmcnt(5)
	v_lshlrev_b32_e32 v39, 16, v50
	s_waitcnt vmcnt(4)
	v_lshlrev_b32_e32 v38, 16, v51
	v_pk_add_f32 v[28:29], v[38:39], v[28:29] neg_lo:[0,1] neg_hi:[0,1]
	global_store_short_d16_hi v[26:27], v32, off
	global_store_short_d16_hi v[26:27], v33, off offset:256
	global_store_short_d16_hi v[26:27], v28, off offset:512
	global_store_short_d16_hi v[26:27], v29, off offset:768
	v_pk_mul_f32 v[32:33], v[34:35], v[32:33]
	v_pk_mul_f32 v[28:29], v[36:37], v[28:29]
	v_accvgpr_read_b32 v39, a1
	v_perm_b32 v29, v29, v28, s41
	v_perm_b32 v28, v33, v32, s41
	s_waitcnt vmcnt(5)
	v_lshlrev_b32_e32 v33, 16, v125
	s_waitcnt vmcnt(4)
	v_lshlrev_b32_e32 v32, 16, v44
	v_accvgpr_read_b32 v38, a0
	v_accvgpr_read_b32 v31, a3
	;; [unrolled: 1-line block ×3, first 2 shown]
	v_pk_add_f32 v[32:33], v[32:33], v[38:39] neg_lo:[0,1] neg_hi:[0,1]
	v_lshlrev_b32_e32 v39, 16, v52
	v_lshlrev_b32_e32 v38, 16, v124
	v_pk_add_f32 v[30:31], v[38:39], v[30:31] neg_lo:[0,1] neg_hi:[0,1]
	global_store_short_d16_hi v[26:27], v32, off offset:32
	global_store_short_d16_hi v[26:27], v33, off offset:288
	;; [unrolled: 1-line block ×4, first 2 shown]
	v_pk_mul_f32 v[26:27], v[34:35], v[32:33]
	v_pk_mul_f32 v[30:31], v[36:37], v[30:31]
	v_mov_b32_e32 v124, 0
	v_perm_b32 v31, v31, v30, s41
	v_perm_b32 v30, v27, v26, s41
	ds_write2_b64 v91, v[28:29], v[30:31] offset1:16
	v_mov_b32_e32 v26, 0
	v_mov_b32_e32 v27, 0
	;; [unrolled: 1-line block ×16, first 2 shown]
	s_cbranch_vccnz .LBB345_15
; %bb.14:                               ;   in Loop: Header=BB345_7 Depth=1
	s_and_b32 s29, s29, 0xffff
	s_mov_b32 s31, s7
	buffer_load_dwordx4 v[38:41], v109, s[28:31], 0 offen
	buffer_load_dwordx4 v[30:33], v109, s[28:31], s67 offen
	;; [unrolled: 1-line block ×4, first 2 shown]
	v_mov_b32_e32 v123, v83
	v_mov_b32_e32 v124, v82
.LBB345_15:                             ;   in Loop: Header=BB345_7 Depth=1
	s_waitcnt lgkmcnt(0)
	s_barrier
	ds_read_b64 v[46:47], v111
	ds_read_b64 v[130:131], v108
	;; [unrolled: 1-line block ×5, first 2 shown]
	ds_read_b64 v[144:145], v105 offset:3072
	ds_read2_b64 v[42:45], v104 offset0:16 offset1:128
	s_waitcnt lgkmcnt(5)
	v_mfma_f32_16x16x16_bf16 a[0:3], v[46:47], v[130:131], 0
	ds_read2st64_b64 v[48:51], v105 offset0:2 offset1:4
	s_add_i32 s5, s63, s73
	s_mul_hi_i32 s29, s5, s25
	s_waitcnt lgkmcnt(1)
	v_mfma_f32_16x16x16_bf16 a[4:7], v[46:47], v[42:43], 0
	ds_read_b64 v[46:47], v116
	s_mul_i32 s5, s5, s25
	s_add_u32 s28, s5, s33
	s_waitcnt lgkmcnt(1)
	v_mfma_f32_16x16x16_bf16 a[4:7], v[132:133], v[48:49], a[4:7]
	s_addc_u32 s29, s29, s50
	s_add_i32 s5, s3, s68
	s_lshl_b64 s[28:29], s[28:29], 15
	s_mul_hi_i32 s31, s5, s25
	s_mul_i32 s5, s5, s25
	s_add_u32 s48, s5, s33
	v_mfma_f32_16x16x16_bf16 a[8:11], v[134:135], v[50:51], a[4:7]
	s_addc_u32 s49, s31, s50
	ds_read2st64_b64 v[126:129], v104 offset0:4 offset1:6
	s_lshl_b64 s[48:49], s[48:49], 9
	s_waitcnt lgkmcnt(1)
	v_mfma_f32_16x16x16_bf16 a[4:7], v[46:47], v[130:131], 0
	s_add_u32 s48, s8, s48
	s_addc_u32 s49, s9, s49
	v_mfma_f32_16x16x16_bf16 a[0:3], v[132:133], v[44:45], a[0:3]
	ds_read_b64 v[132:133], v117
	ds_read_b64 v[140:141], v118
	;; [unrolled: 1-line block ×3, first 2 shown]
	v_mfma_f32_16x16x16_bf16 a[12:15], v[46:47], v[42:43], 0
	s_waitcnt lgkmcnt(2)
	v_mfma_f32_16x16x16_bf16 a[4:7], v[132:133], v[44:45], a[4:7]
	global_load_dwordx4 v[42:45], v115, s[48:49]
	v_mfma_f32_16x16x16_bf16 a[12:15], v[132:133], v[48:49], a[12:15]
	global_load_dwordx4 v[46:49], v61, s[48:49]
	ds_read2st64_b64 v[130:133], v106 offset1:8
	s_waitcnt lgkmcnt(0)
	v_mov_b32_e32 v138, v130
	v_mfma_f32_16x16x16_bf16 a[0:3], v[134:135], v[126:127], a[0:3]
	ds_read2st64_b64 v[134:137], v107 offset1:8
	v_mov_b32_e32 v139, v131
	v_mfma_f32_16x16x16_bf16 a[16:19], v[140:141], v[126:127], a[4:7]
	v_lshl_add_u64 v[126:127], v[68:69], 0, s[28:29]
	v_mfma_f32_16x16x16_bf16 a[20:23], v[140:141], v[50:51], a[12:15]
	v_add_co_u32_e32 v50, vcc, s39, v126
	s_waitcnt lgkmcnt(0)
	v_mov_b32_e32 v140, v134
	v_mfma_f32_16x16x16_bf16 a[4:7], v[142:143], v[128:129], a[0:3]
	v_mov_b32_e32 v141, v135
	v_mov_b32_e32 v134, v132
	;; [unrolled: 1-line block ×3, first 2 shown]
	v_mfma_f32_16x16x16_bf16 a[8:11], v[142:143], v[144:145], a[8:11]
	v_addc_co_u32_e32 v51, vcc, 0, v127, vcc
	global_store_dwordx4 v[50:51], v[134:137], off
	v_mfma_f32_16x16x16_bf16 a[12:15], v[146:147], v[128:129], a[16:19]
	s_and_b64 vcc, exec, s[0:1]
	global_store_dwordx4 v[126:127], v[138:141], off
	s_waitcnt vmcnt(3)
	v_mov_b32_e32 v52, v45
	v_mfma_f32_16x16x16_bf16 a[0:3], v[146:147], v[144:145], a[20:23]
	v_mov_b32_e32 v51, v44
	v_mov_b32_e32 v50, v43
	s_cbranch_vccnz .LBB345_17
; %bb.16:                               ;   in Loop: Header=BB345_7 Depth=1
	v_lshrrev_b32_e32 v43, 3, v123
	v_and_b32_e32 v43, 6, v43
	v_xor_b32_e32 v44, v43, v124
	v_lshlrev_b32_e32 v44, 2, v44
	v_and_b32_e32 v45, 8, v123
	v_xor_b32_e32 v123, 0x440, v44
	v_cmp_eq_u32_e32 vcc, 0, v45
	v_perm_b32 v45, v30, v26, s69
	s_nop 0
	v_cndmask_b32_e32 v44, v123, v44, vcc
	v_lshl_or_b32 v43, v43, 10, v44
	v_perm_b32 v44, v38, v34, s69
	s_barrier
	ds_write2st64_b32 v43, v44, v45 offset0:32 offset1:64
	v_xor_b32_e32 v44, 8, v43
	v_perm_b32 v34, v38, v34, s70
	v_perm_b32 v26, v30, v26, s70
	v_add_u32_e32 v30, 0x80, v44
	ds_write2st64_b32 v30, v34, v26 offset0:32 offset1:64
	v_xor_b32_e32 v26, 16, v43
	v_perm_b32 v30, v39, v35, s69
	v_perm_b32 v34, v31, v27, s69
	ds_write2st64_b32 v26, v30, v34 offset0:33 offset1:65
	v_xor_b32_e32 v26, 24, v43
	v_perm_b32 v30, v39, v35, s70
	v_perm_b32 v27, v31, v27, s70
	v_add_u32_e32 v26, 0x80, v26
	ds_write2st64_b32 v26, v30, v27 offset0:33 offset1:65
	v_xor_b32_e32 v26, 32, v43
	v_perm_b32 v27, v40, v36, s69
	v_perm_b32 v30, v32, v28, s69
	;; [unrolled: 9-line block ×3, first 2 shown]
	ds_write2st64_b32 v26, v27, v28 offset0:35 offset1:67
	v_xor_b32_e32 v26, 56, v43
	v_perm_b32 v27, v41, v37, s70
	v_perm_b32 v28, v33, v29, s70
	v_add_u32_e32 v26, 0x80, v26
	ds_write2st64_b32 v26, v27, v28 offset0:35 offset1:67
	ds_write_b64 v122, v[22:23] offset:24576
	v_xor_b32_e32 v22, 8, v122
	ds_write_b64 v22, v[24:25] offset:24576
	ds_write_b64 v122, v[18:19] offset:32768
	;; [unrolled: 1-line block ×4, first 2 shown]
	v_xor_b32_e32 v14, 8, v121
	ds_write_b64 v14, v[16:17] offset:24576
	ds_write_b64 v121, v[10:11] offset:32768
	;; [unrolled: 1-line block ×3, first 2 shown]
.LBB345_17:                             ;   in Loop: Header=BB345_7 Depth=1
	v_mul_f32_e32 v14, s4, v120
	v_exp_f32_e32 v26, v14
	s_waitcnt vmcnt(2)
	v_mul_f32_e32 v14, 0x3fb8aa3b, v46
	v_exp_f32_e32 v28, v14
	v_mul_f32_e32 v14, 0x3fb8aa3b, v47
	v_exp_f32_e32 v29, v14
	;; [unrolled: 2-line block ×4, first 2 shown]
	v_accvgpr_read_b32 v21, a7
	v_accvgpr_read_b32 v19, a5
	;; [unrolled: 1-line block ×4, first 2 shown]
	v_pk_mul_f32 v[28:29], v[26:27], v[28:29] op_sel_hi:[0,1]
	v_accvgpr_read_b32 v12, a10
	v_pk_fma_f32 v[2:3], v[2:3], v[28:29], v[18:19]
	v_pk_mul_f32 v[18:19], v[26:27], v[30:31] op_sel_hi:[0,1]
	v_accvgpr_read_b32 v20, a6
	v_accvgpr_read_b32 v11, a9
	;; [unrolled: 1-line block ×3, first 2 shown]
	v_fma_f32 v78, v78, v18, v12
	v_mul_f32_e32 v12, 0x3fb8aa3b, v51
	v_pk_fma_f32 v[4:5], v[4:5], v[18:19], v[20:21]
	v_fma_f32 v76, v76, v28, v10
	v_fma_f32 v77, v77, v29, v11
	v_mul_f32_e32 v10, 0x3fb8aa3b, v42
	v_mul_f32_e32 v11, 0x3fb8aa3b, v50
	v_exp_f32_e32 v20, v12
	v_mul_f32_e32 v12, 0x3fb8aa3b, v52
	v_exp_f32_e32 v10, v10
	v_exp_f32_e32 v11, v11
	;; [unrolled: 1-line block ×3, first 2 shown]
	v_accvgpr_read_b32 v25, a15
	v_accvgpr_read_b32 v17, a3
	;; [unrolled: 1-line block ×8, first 2 shown]
	v_fmac_f32_e32 v13, v87, v19
	v_pk_mul_f32 v[10:11], v[26:27], v[10:11] op_sel_hi:[0,1]
	v_pk_mul_f32 v[18:19], v[26:27], v[20:21] op_sel_hi:[0,1]
	s_add_i32 s68, s68, 64
	v_pk_fma_f32 v[6:7], v[6:7], v[10:11], v[22:23]
	v_pk_fma_f32 v[8:9], v[8:9], v[18:19], v[24:25]
	v_fma_f32 v79, v79, v10, v14
	v_fma_f32 v80, v80, v11, v15
	;; [unrolled: 1-line block ×3, first 2 shown]
	s_cmp_eq_u32 s60, s72
	v_fmac_f32_e32 v17, v85, v19
	s_cbranch_scc1 .LBB345_19
; %bb.18:                               ;   in Loop: Header=BB345_7 Depth=1
	s_mov_b32 s73, s72
	v_mov_b32_e32 v87, v13
	v_mov_b32_e32 v85, v17
	s_branch .LBB345_7
.LBB345_19:
	v_mov_b32_e32 v16, v81
	v_mov_b32_e32 v15, v80
	;; [unrolled: 1-line block ×3, first 2 shown]
.LBB345_20:
	s_lshl_b32 s45, s60, 6
	s_sub_i32 s48, s24, s45
	v_mov_b32_e32 v12, v78
	v_mov_b32_e32 v11, v77
	;; [unrolled: 1-line block ×3, first 2 shown]
	s_cmp_gt_i32 s48, 0
	s_cbranch_scc0 .LBB345_85
; %bb.21:
	s_ashr_i32 s3, s45, 31
	s_cmpk_lg_i32 s27, 0x80
	s_cselect_b64 s[30:31], -1, 0
	s_and_b64 vcc, exec, s[30:31]
	s_cbranch_vccz .LBB345_23
; %bb.22:
	s_mul_hi_i32 s0, s59, s24
	s_add_u32 s1, s51, s45
	s_addc_u32 s0, s0, s3
	s_mul_i32 s4, s1, s61
	s_mul_hi_u32 s5, s1, s26
	s_add_i32 s4, s5, s4
	s_mul_i32 s0, s0, s26
	s_add_i32 s4, s4, s0
	s_mul_i32 s1, s1, s26
	s_ashr_i32 s0, s62, 31
	s_add_u32 s46, s1, s62
	s_addc_u32 s47, s4, s0
	s_cbranch_execz .LBB345_24
	s_branch .LBB345_25
.LBB345_23:
                                        ; implicit-def: $sgpr46_sgpr47
.LBB345_24:
	s_mul_hi_i32 s0, s59, s26
	s_mul_i32 s59, s59, s26
	s_ashr_i32 s1, s62, 31
	s_add_u32 s4, s59, s62
	s_addc_u32 s0, s0, s1
	s_mul_i32 s1, s4, s58
	s_mul_hi_u32 s5, s4, s24
	s_add_i32 s1, s5, s1
	s_mul_i32 s0, s0, s24
	s_add_i32 s1, s1, s0
	s_mul_i32 s4, s4, s24
	s_add_u32 s46, s4, s45
	s_addc_u32 s47, s1, s3
.LBB345_25:
	s_mul_i32 s0, s42, s58
	s_add_i32 s0, s64, s0
	s_add_i32 s4, s63, s60
	;; [unrolled: 1-line block ×3, first 2 shown]
	s_add_u32 s0, s44, s45
	v_lshlrev_b32_e32 v22, 5, v74
	v_lshlrev_b32_e32 v38, 2, v71
	s_addc_u32 s1, s1, s3
	s_mov_b32 s3, 0x7060302
	v_or_b32_e32 v25, v22, v38
	v_xor_b32_e32 v23, v74, v38
	v_perm_b32 v19, v5, v4, s3
	v_perm_b32 v18, v3, v2, s3
	;; [unrolled: 1-line block ×4, first 2 shown]
	v_lshlrev_b32_e32 v25, 1, v25
	v_xor_b32_e32 v24, v75, v38
	ds_write2st64_b64 v25, v[18:19], v[20:21] offset0:80 offset1:88
	v_lshlrev_b32_e32 v23, 1, v23
	v_lshlrev_b32_e32 v25, 8, v71
	s_lshl_b64 s[28:29], s[0:1], 8
	v_or_b32_e32 v26, v23, v25
	v_lshlrev_b32_e32 v24, 1, v24
	s_add_u32 s0, s18, s28
	ds_write_b64 v26, v[18:19]
	v_or_b32_e32 v18, v24, v25
	s_addc_u32 s1, s19, s29
	ds_write_b64 v18, v[20:21]
	v_perm_b32 v19, v13, v12, s3
	v_perm_b32 v18, v11, v10, s3
	;; [unrolled: 1-line block ×4, first 2 shown]
	v_or_b32_e32 v25, 16, v71
	s_mul_hi_i32 s3, s4, s25
	s_mul_i32 s4, s4, s25
	v_lshlrev_b32_e32 v35, 2, v25
	s_add_u32 s4, s4, s33
	v_or_b32_e32 v22, v22, v35
	s_addc_u32 s5, s3, s50
	v_lshlrev_b32_e32 v22, 1, v22
	s_ashr_i32 s3, s2, 31
	s_lshl_b64 s[4:5], s[4:5], 15
	ds_write2st64_b64 v22, v[18:19], v[20:21] offset0:80 offset1:88
	v_lshlrev_b32_e32 v22, 8, v25
	s_add_u32 s4, s12, s4
	v_or_b32_e32 v23, v23, v22
	s_addc_u32 s5, s13, s5
	s_lshl_b64 s[2:3], s[2:3], 8
	ds_write_b64 v23, v[18:19]
	v_or_b32_e32 v18, v24, v22
	s_add_u32 s2, s4, s2
	ds_write_b64 v18, v[20:21]
	v_lshrrev_b32_e32 v18, 4, v0
	s_addc_u32 s3, s5, s3
	v_lshlrev_b32_e32 v19, 1, v71
	v_lshlrev_b32_e32 v26, 4, v71
	v_mov_b32_e32 v27, 0
	v_or_b32_e32 v20, 1, v19
	v_xor_b32_e32 v19, v18, v19
	v_lshl_add_u64 v[28:29], s[2:3], 0, v[26:27]
	v_lshlrev_b32_e32 v26, 8, v18
	v_xor_b32_e32 v22, v20, v18
	v_lshl_or_b32 v18, v19, 3, v26
	s_waitcnt lgkmcnt(0)
	s_barrier
	ds_read2st64_b64 v[18:21], v18 offset1:8
	v_lshl_or_b32 v22, v22, 3, v26
	ds_read2st64_b64 v[22:25], v22 offset1:8
	v_lshl_add_u64 v[30:31], v[28:29], 0, v[26:27]
	s_movk_i32 s2, 0x1000
	s_waitcnt lgkmcnt(1)
	v_mov_b32_e32 v26, v18
	v_add_co_u32_e32 v18, vcc, s2, v30
	s_cmp_lg_u32 s48, 64
	v_mov_b32_e32 v27, v19
	v_addc_co_u32_e32 v19, vcc, 0, v31, vcc
	s_cselect_b64 s[18:19], -1, 0
	v_lshl_or_b32 v42, v1, 3, v73
	s_waitcnt lgkmcnt(0)
	v_mov_b32_e32 v28, v22
	v_mov_b32_e32 v29, v23
	v_mov_b32_e32 v22, v20
	v_mov_b32_e32 v23, v21
	s_mov_b32 s4, 0
	v_or_b32_e32 v36, 32, v42
	v_and_b32_e32 v34, 56, v72
	s_and_b64 vcc, exec, s[18:19]
	global_store_dwordx4 v[30:31], v[26:29], off
	global_store_dwordx4 v[18:19], v[22:25], off
	s_cbranch_vccz .LBB345_31
; %bb.26:
	s_mov_b32 s6, s4
	s_mov_b32 s7, s4
	;; [unrolled: 1-line block ×3, first 2 shown]
	v_mov_b64_e32 v[24:25], s[6:7]
	v_mov_b64_e32 v[22:23], s[4:5]
	;; [unrolled: 1-line block ×3, first 2 shown]
	v_cmp_gt_i32_e32 vcc, s48, v42
	v_mov_b64_e32 v[20:21], v[24:25]
	s_and_saveexec_b64 s[2:3], vcc
	s_cbranch_execz .LBB345_28
; %bb.27:
	v_lshlrev_b32_e32 v18, 8, v42
	v_mov_b32_e32 v19, 0
	v_lshl_add_u64 v[20:21], s[0:1], 0, v[18:19]
	v_lshlrev_b32_e32 v18, 1, v34
	v_lshl_add_u64 v[26:27], v[20:21], 0, v[18:19]
	global_load_dwordx4 v[22:25], v[26:27], off
	global_load_dwordx4 v[18:21], v[26:27], off offset:128
.LBB345_28:
	s_or_b64 exec, exec, s[2:3]
	s_mov_b32 s6, s4
	s_mov_b32 s7, s4
	s_mov_b32 s5, s4
	v_mov_b64_e32 v[32:33], s[6:7]
	v_mov_b64_e32 v[30:31], s[4:5]
	;; [unrolled: 1-line block ×3, first 2 shown]
	v_cmp_gt_i32_e32 vcc, s48, v36
	v_lshlrev_b32_e32 v37, 7, v36
	v_mov_b64_e32 v[28:29], v[32:33]
	s_and_saveexec_b64 s[2:3], vcc
	s_cbranch_execz .LBB345_30
; %bb.29:
	v_lshlrev_b32_e32 v26, 1, v37
	v_mov_b32_e32 v27, 0
	v_lshl_add_u64 v[28:29], s[0:1], 0, v[26:27]
	v_lshlrev_b32_e32 v26, 1, v34
	v_lshl_add_u64 v[40:41], v[28:29], 0, v[26:27]
	global_load_dwordx4 v[30:33], v[40:41], off
	global_load_dwordx4 v[26:29], v[40:41], off offset:128
.LBB345_30:
	s_or_b64 exec, exec, s[2:3]
	v_lshrrev_b32_e32 v39, 3, v34
	v_lshlrev_b32_e32 v40, 3, v42
	v_or_b32_e32 v39, v40, v39
	v_lshlrev_b32_e32 v39, 4, v39
	v_and_b32_e32 v40, 0x78, v40
	v_xor_b32_e32 v39, v39, v40
	s_branch .LBB345_33
.LBB345_31:
                                        ; implicit-def: $vgpr39
                                        ; implicit-def: $vgpr37
                                        ; implicit-def: $vgpr22_vgpr23_vgpr24_vgpr25
                                        ; implicit-def: $vgpr18_vgpr19_vgpr20_vgpr21
                                        ; implicit-def: $vgpr30_vgpr31_vgpr32_vgpr33
                                        ; implicit-def: $vgpr26_vgpr27_vgpr28_vgpr29
	s_cbranch_execz .LBB345_33
; %bb.32:
	s_waitcnt vmcnt(0)
	v_lshlrev_b32_e32 v18, 1, v34
	v_lshl_or_b32 v37, v42, 8, v18
	s_and_b32 s1, s1, 0xffff
	s_mov_b32 s3, 0x20000
	s_movk_i32 s2, 0x4000
	v_lshl_or_b32 v39, v36, 8, v18
	s_movk_i32 s4, 0x80
	buffer_load_dwordx4 v[22:25], v37, s[0:3], 0 offen
	buffer_load_dwordx4 v[18:21], v37, s[0:3], s4 offen
	;; [unrolled: 1-line block ×4, first 2 shown]
	v_lshrrev_b32_e32 v37, 3, v34
	v_lshlrev_b32_e32 v39, 3, v42
	v_or_b32_e32 v37, v39, v37
	v_lshlrev_b32_e32 v37, 4, v37
	v_and_b32_e32 v39, 0x78, v39
	v_xor_b32_e32 v39, v37, v39
	v_lshlrev_b32_e32 v37, 7, v36
.LBB345_33:
	s_lshl_b64 s[0:1], s[46:47], 8
	s_add_u32 s4, s16, s0
	s_movk_i32 s0, 0x1000
	v_and_or_b32 v36, v37, s0, v39
	s_waitcnt vmcnt(1)
	ds_write_b64 v39, v[22:23] offset:24576
	v_xor_b32_e32 v22, 8, v39
	ds_write_b64 v22, v[24:25] offset:24576
	s_waitcnt vmcnt(0)
	ds_write_b64 v39, v[18:19] offset:32768
	ds_write_b64 v22, v[20:21] offset:32768
	;; [unrolled: 1-line block ×3, first 2 shown]
	v_xor_b32_e32 v18, 8, v36
	ds_write_b64 v18, v[32:33] offset:24576
	ds_write_b64 v36, v[26:27] offset:32768
	;; [unrolled: 1-line block ×3, first 2 shown]
	v_or_b32_e32 v18, v53, v71
	v_lshlrev_b32_e32 v18, 3, v18
	v_lshrrev_b32_e32 v19, 5, v55
	s_movk_i32 s2, 0xf8
	v_and_or_b32 v19, v18, s2, v19
	v_lshlrev_b32_e32 v23, 4, v19
	v_lshlrev_b32_e32 v39, 11, v1
	v_and_b32_e32 v24, 0x78, v18
	v_or_b32_e32 v26, 32, v23
	v_and_b32_e32 v22, 0x1000, v39
	v_lshrrev_b32_e32 v19, 1, v55
	v_xor_b32_e32 v26, v26, v24
	v_xor_b32_e32 v18, v23, v24
	v_and_b32_e32 v25, 8, v19
	v_or_b32_e32 v26, v26, v22
	v_or_b32_e32 v18, v18, v22
	v_xor_b32_e32 v44, v26, v25
	v_or_b32_e32 v26, 64, v23
	v_xor_b32_e32 v43, v18, v25
	v_xor_b32_e32 v26, v26, v24
	s_waitcnt lgkmcnt(0)
	s_barrier
	v_or_b32_e32 v28, v26, v22
	ds_read_b64 v[26:27], v43 offset:24576
	v_lshl_or_b32 v36, v70, 7, v38
	v_lshlrev_b32_e32 v40, 1, v36
	v_add_u32_e32 v18, 0xa000, v40
	ds_read2_b64 v[18:21], v18 offset1:16
	v_or_b32_e32 v23, 0x60, v23
	v_xor_b32_e32 v23, v23, v24
	s_waitcnt lgkmcnt(0)
	v_mfma_f32_16x16x16_bf16 a[0:3], v[26:27], v[18:19], 0
	v_or_b32_e32 v18, 64, v36
	v_or_b32_e32 v22, v23, v22
	v_lshlrev_b32_e32 v41, 1, v18
	v_xor_b32_e32 v45, v28, v25
	v_xor_b32_e32 v46, v22, v25
	ds_read_b64 v[28:29], v44 offset:24576
	ds_read_b64 v[30:31], v45 offset:24576
	ds_read_b64 v[32:33], v46 offset:24576
	v_mfma_f32_16x16x16_bf16 a[4:7], v[26:27], v[20:21], 0
	ds_read2st64_b64 v[18:21], v41 offset0:82 offset1:84
	ds_read2st64_b64 v[22:25], v40 offset0:82 offset1:84
	s_addc_u32 s5, s17, s1
	s_add_i32 s0, s53, s52
	s_add_i32 s17, s24, -1
	s_add_i32 s39, s0, s57
	s_add_i32 s0, s55, s54
	;; [unrolled: 1-line block ×3, first 2 shown]
	s_ashr_i32 s0, s17, 31
	s_mul_i32 s1, s17, s37
	s_mul_hi_u32 s2, s17, s36
	s_add_i32 s1, s2, s1
	s_mul_i32 s0, s0, s36
	s_waitcnt lgkmcnt(1)
	v_mfma_f32_16x16x16_bf16 a[4:7], v[28:29], v[18:19], a[4:7]
	s_add_i32 s1, s1, s0
	s_lshl_b64 s[2:3], s[38:39], 2
	s_add_u32 s6, s22, s2
	s_waitcnt lgkmcnt(0)
	v_mfma_f32_16x16x16_bf16 a[0:3], v[28:29], v[22:23], a[0:3]
	s_addc_u32 s7, s23, s3
	s_lshl_b64 s[2:3], s[40:41], 2
	s_mul_i32 s0, s17, s36
	s_add_u32 s12, s6, s2
	ds_read_b64 v[18:19], v40 offset:44032
	v_mfma_f32_16x16x16_bf16 a[4:7], v[30:31], v[20:21], a[4:7]
	ds_read_b64 v[20:21], v41 offset:44032
	s_addc_u32 s13, s7, s3
	s_lshl_b64 s[0:1], s[0:1], 2
	v_mfma_f32_16x16x16_bf16 a[0:3], v[30:31], v[24:25], a[0:3]
	s_add_u32 s0, s12, s0
	s_addc_u32 s1, s13, s1
	s_load_dword s16, s[0:1], 0x0
	s_waitcnt lgkmcnt(0)
	v_mfma_f32_16x16x16_bf16 a[0:3], v[32:33], v[18:19], a[0:3]
	s_and_b64 vcc, exec, s[30:31]
	v_mfma_f32_16x16x16_bf16 a[4:7], v[32:33], v[20:21], a[4:7]
	s_cbranch_vccz .LBB345_44
; %bb.34:
	v_lshlrev_b32_e32 v36, 1, v42
	s_and_b64 vcc, exec, s[18:19]
	s_cbranch_vccz .LBB345_45
; %bb.35:
	v_cmp_gt_i32_e32 vcc, s48, v36
	v_mov_b32_e32 v22, 0
	v_mov_b32_e32 v18, 0
	;; [unrolled: 1-line block ×5, first 2 shown]
	s_and_saveexec_b64 s[0:1], vcc
	s_cbranch_execz .LBB345_37
; %bb.36:
	v_mad_i64_i32 v[18:19], s[2:3], s27, v36, 0
	v_lshl_add_u64 v[18:19], v[18:19], 1, s[4:5]
	v_lshlrev_b32_e32 v20, 1, v34
	v_mov_b32_e32 v21, 0
	v_lshl_add_u64 v[18:19], v[18:19], 0, v[20:21]
	global_load_dwordx4 v[18:21], v[18:19], off
.LBB345_37:
	s_or_b64 exec, exec, s[0:1]
	v_or_b32_e32 v37, 1, v36
	v_cmp_gt_i32_e64 s[0:1], s48, v37
	v_mov_b32_e32 v23, 0
	v_mov_b32_e32 v24, 0
	;; [unrolled: 1-line block ×3, first 2 shown]
	s_and_saveexec_b64 s[2:3], s[0:1]
	s_cbranch_execz .LBB345_39
; %bb.38:
	v_mad_i64_i32 v[22:23], s[6:7], s27, v37, 0
	v_lshl_add_u64 v[22:23], v[22:23], 1, s[4:5]
	v_lshlrev_b32_e32 v24, 1, v34
	v_mov_b32_e32 v25, 0
	v_lshl_add_u64 v[22:23], v[22:23], 0, v[24:25]
	global_load_dwordx4 v[22:25], v[22:23], off
.LBB345_39:
	s_or_b64 exec, exec, s[2:3]
	v_mov_b32_e32 v33, 0
	v_mov_b32_e32 v26, 0
	v_mov_b32_e32 v27, 0
	v_mov_b32_e32 v28, 0
	v_mov_b32_e32 v29, 0
	s_and_saveexec_b64 s[2:3], vcc
	s_cbranch_execz .LBB345_41
; %bb.40:
	v_mad_i64_i32 v[26:27], s[6:7], s27, v36, 0
	v_lshl_add_u64 v[26:27], v[26:27], 1, s[4:5]
	v_lshlrev_b32_e32 v28, 1, v34
	v_mov_b32_e32 v29, 0
	v_lshl_add_u64 v[26:27], v[26:27], 0, v[28:29]
	global_load_dwordx4 v[26:29], v[26:27], off offset:128
.LBB345_41:
	s_or_b64 exec, exec, s[2:3]
	v_mov_b32_e32 v32, 0
	v_mov_b32_e32 v31, 0
	;; [unrolled: 1-line block ×3, first 2 shown]
	s_and_saveexec_b64 s[2:3], s[0:1]
	s_cbranch_execz .LBB345_43
; %bb.42:
	v_mad_i64_i32 v[30:31], s[0:1], s27, v37, 0
	v_lshl_add_u64 v[30:31], v[30:31], 1, s[4:5]
	v_lshlrev_b32_e32 v32, 1, v34
	v_mov_b32_e32 v33, 0
	v_lshl_add_u64 v[30:31], v[30:31], 0, v[32:33]
	global_load_dwordx4 v[30:33], v[30:31], off offset:128
.LBB345_43:
	s_or_b64 exec, exec, s[2:3]
	s_branch .LBB345_47
.LBB345_44:
                                        ; implicit-def: $vgpr21
                                        ; implicit-def: $vgpr25
                                        ; implicit-def: $vgpr29
                                        ; implicit-def: $vgpr33
	v_lshrrev_b32_e32 v47, 2, v55
	s_branch .LBB345_48
.LBB345_45:
                                        ; implicit-def: $vgpr21
                                        ; implicit-def: $vgpr25
                                        ; implicit-def: $vgpr29
                                        ; implicit-def: $vgpr33
	s_cbranch_execz .LBB345_47
; %bb.46:
	s_waitcnt vmcnt(0)
	v_mad_u64_u32 v[18:19], s[0:1], v36, s27, v[34:35]
	v_lshlrev_b32_e32 v36, 1, v18
	s_lshl_b32 s2, s27, 7
	s_and_b32 s1, s5, 0xffff
	s_mov_b32 s3, 0x20000
	s_mov_b32 s0, s4
	v_add_lshl_u32 v37, v18, s27, 1
	s_movk_i32 s6, 0x80
	buffer_load_dwordx4 v[18:21], v36, s[0:3], 0 offen
	buffer_load_dwordx4 v[26:29], v36, s[0:3], s6 offen
	;; [unrolled: 1-line block ×4, first 2 shown]
.LBB345_47:
	v_lshrrev_b32_e32 v47, 2, v55
	s_cbranch_execnz .LBB345_60
.LBB345_48:
	s_and_b64 vcc, exec, s[18:19]
	s_cbranch_vccz .LBB345_58
; %bb.49:
	s_waitcnt vmcnt(0)
	v_lshlrev_b32_e32 v23, 1, v42
	v_cmp_gt_i32_e32 vcc, s48, v23
	v_mov_b32_e32 v22, 0
	v_lshlrev_b32_e32 v30, 9, v42
	v_mov_b32_e32 v18, 0
	v_mov_b32_e32 v19, 0
	;; [unrolled: 1-line block ×4, first 2 shown]
	s_and_saveexec_b64 s[0:1], vcc
	s_cbranch_execz .LBB345_51
; %bb.50:
	v_mov_b32_e32 v31, 0
	v_lshl_add_u64 v[18:19], s[4:5], 0, v[30:31]
	v_lshlrev_b32_e32 v20, 1, v34
	v_mov_b32_e32 v21, v31
	v_lshl_add_u64 v[18:19], v[18:19], 0, v[20:21]
	global_load_dwordx4 v[18:21], v[18:19], off
.LBB345_51:
	s_or_b64 exec, exec, s[0:1]
	v_or_b32_e32 v23, 1, v23
	v_cmp_gt_i32_e64 s[0:1], s48, v23
	v_lshlrev_b32_e32 v36, 8, v23
	v_mov_b32_e32 v23, 0
	v_mov_b32_e32 v24, 0
	;; [unrolled: 1-line block ×3, first 2 shown]
	s_and_saveexec_b64 s[2:3], s[0:1]
	s_cbranch_execz .LBB345_53
; %bb.52:
	v_mov_b32_e32 v37, 0
	v_lshl_add_u64 v[22:23], s[4:5], 0, v[36:37]
	v_lshlrev_b32_e32 v24, 1, v34
	v_mov_b32_e32 v25, v37
	v_lshl_add_u64 v[22:23], v[22:23], 0, v[24:25]
	global_load_dwordx4 v[22:25], v[22:23], off
.LBB345_53:
	s_or_b64 exec, exec, s[2:3]
	v_mov_b32_e32 v33, 0
	v_mov_b32_e32 v26, 0
	;; [unrolled: 1-line block ×5, first 2 shown]
	s_and_saveexec_b64 s[2:3], vcc
	s_cbranch_execz .LBB345_55
; %bb.54:
	v_mov_b32_e32 v31, 0
	v_lshl_add_u64 v[26:27], s[4:5], 0, v[30:31]
	v_lshlrev_b32_e32 v30, 1, v34
	v_lshl_add_u64 v[26:27], v[26:27], 0, v[30:31]
	global_load_dwordx4 v[26:29], v[26:27], off offset:128
.LBB345_55:
	s_or_b64 exec, exec, s[2:3]
	v_mov_b32_e32 v32, 0
	v_mov_b32_e32 v31, 0
	;; [unrolled: 1-line block ×3, first 2 shown]
	s_and_saveexec_b64 s[2:3], s[0:1]
	s_cbranch_execz .LBB345_57
; %bb.56:
	v_mov_b32_e32 v37, 0
	v_lshl_add_u64 v[30:31], s[4:5], 0, v[36:37]
	v_lshlrev_b32_e32 v36, 1, v34
	v_lshl_add_u64 v[30:31], v[30:31], 0, v[36:37]
	global_load_dwordx4 v[30:33], v[30:31], off offset:128
.LBB345_57:
	s_or_b64 exec, exec, s[2:3]
	s_branch .LBB345_60
.LBB345_58:
                                        ; implicit-def: $vgpr21
                                        ; implicit-def: $vgpr25
                                        ; implicit-def: $vgpr29
                                        ; implicit-def: $vgpr33
	s_cbranch_execz .LBB345_60
; %bb.59:
	s_waitcnt vmcnt(0)
	v_lshlrev_b32_e32 v18, 1, v34
	v_lshl_or_b32 v34, v42, 9, v18
	s_and_b32 s5, s5, 0xffff
	s_mov_b32 s7, 0x20000
	s_movk_i32 s6, 0x4000
	s_movk_i32 s0, 0x80
	buffer_load_dwordx4 v[18:21], v34, s[4:7], 0 offen
	buffer_load_dwordx4 v[22:25], v34, s[4:7], 0 offen offset:256
	buffer_load_dwordx4 v[26:29], v34, s[4:7], s0 offen
	buffer_load_dwordx4 v[30:33], v34, s[4:7], s0 offen offset:256
.LBB345_60:
	ds_read_b64 v[36:37], v43 offset:32768
	v_add_u32_e32 v34, 0xb000, v40
	ds_read2_b64 v[48:51], v34 offset1:16
	ds_read_b64 v[66:67], v44 offset:32768
	ds_read_b64 v[44:45], v45 offset:32768
	;; [unrolled: 1-line block ×3, first 2 shown]
	ds_read2st64_b64 v[62:65], v41 offset0:90 offset1:92
	v_and_b32_e32 v43, 6, v0
	v_and_b32_e32 v34, 12, v47
	v_xor_b32_e32 v42, v42, v43
	v_lshlrev_b32_e32 v42, 2, v42
	s_mov_b32 s0, 0x1000504
	s_waitcnt lgkmcnt(4)
	v_mfma_f32_16x16x16_bf16 a[0:3], v[36:37], v[48:49], a[0:3]
	s_mov_b32 s1, 0x3020706
	v_mfma_f32_16x16x16_bf16 a[4:7], v[36:37], v[50:51], a[4:7]
	ds_read2st64_b64 v[48:51], v40 offset0:90 offset1:92
	ds_read_b64 v[36:37], v40 offset:48128
	ds_read_b64 v[46:47], v41 offset:48128
	s_waitcnt lgkmcnt(2)
	v_mfma_f32_16x16x16_bf16 a[0:3], v[66:67], v[48:49], a[0:3]
	v_and_b32_e32 v48, 1, v0
	v_xor_b32_e32 v49, 0x440, v42
	v_cmp_eq_u32_e32 vcc, 0, v48
	v_mfma_f32_16x16x16_bf16 a[4:7], v[66:67], v[62:63], a[4:7]
	s_nop 0
	v_cndmask_b32_e32 v42, v49, v42, vcc
	v_lshl_or_b32 v42, v43, 10, v42
	v_mfma_f32_16x16x16_bf16 a[0:3], v[44:45], v[50:51], a[0:3]
	v_mov_b32_e32 v43, 0
	v_mfma_f32_16x16x16_bf16 a[8:11], v[44:45], v[64:65], a[4:7]
	s_waitcnt lgkmcnt(1)
	v_mfma_f32_16x16x16_bf16 a[4:7], v[68:69], v[36:37], a[0:3]
	s_waitcnt vmcnt(0)
	v_perm_b32 v36, v18, v22, s0
	v_perm_b32 v37, v26, v30, s0
	ds_write2st64_b32 v42, v36, v37 offset0:32 offset1:64
	v_xor_b32_e32 v36, 8, v42
	v_perm_b32 v18, v18, v22, s1
	v_perm_b32 v22, v26, v30, s1
	v_add_u32_e32 v26, 0x80, v36
	ds_write2st64_b32 v26, v18, v22 offset0:32 offset1:64
	v_xor_b32_e32 v18, 16, v42
	v_perm_b32 v22, v19, v23, s0
	v_perm_b32 v26, v27, v31, s0
	ds_write2st64_b32 v18, v22, v26 offset0:33 offset1:65
	v_xor_b32_e32 v18, 24, v42
	v_perm_b32 v19, v19, v23, s1
	v_perm_b32 v22, v27, v31, s1
	v_add_u32_e32 v18, 0x80, v18
	ds_write2st64_b32 v18, v19, v22 offset0:33 offset1:65
	v_xor_b32_e32 v18, 32, v42
	v_perm_b32 v19, v20, v24, s0
	v_perm_b32 v22, v28, v32, s0
	ds_write2st64_b32 v18, v19, v22 offset0:34 offset1:66
	v_xor_b32_e32 v18, 40, v42
	s_waitcnt lgkmcnt(5)
	v_mfma_f32_16x16x16_bf16 a[0:3], v[68:69], v[46:47], a[8:11]
	v_perm_b32 v19, v20, v24, s1
	v_perm_b32 v20, v28, v32, s1
	v_add_u32_e32 v18, 0x80, v18
	ds_write2st64_b32 v18, v19, v20 offset0:34 offset1:66
	v_xor_b32_e32 v18, 48, v42
	v_perm_b32 v19, v21, v25, s0
	v_perm_b32 v20, v29, v33, s0
	ds_write2st64_b32 v18, v19, v20 offset0:35 offset1:67
	v_xor_b32_e32 v18, 56, v42
	v_or_b32_e32 v36, v34, v53
	v_perm_b32 v19, v21, v25, s1
	v_perm_b32 v20, v29, v33, s1
	v_add_u32_e32 v18, 0x80, v18
	v_cmp_gt_i32_e32 vcc, s48, v36
	v_mov_b32_e32 v37, 0
	ds_write2st64_b32 v18, v19, v20 offset0:35 offset1:67
	s_and_saveexec_b64 s[0:1], vcc
	s_cbranch_execz .LBB345_62
; %bb.61:
	v_add_u32_e32 v18, s45, v36
	v_ashrrev_i32_e32 v19, 31, v18
	v_mul_lo_u32 v20, v19, s36
	v_mul_lo_u32 v21, v18, s37
	v_mad_u64_u32 v[18:19], s[2:3], v18, s36, 0
	v_add3_u32 v19, v19, v21, v20
	v_lshl_add_u64 v[18:19], v[18:19], 2, s[12:13]
	global_load_dword v18, v[18:19], off
	s_waitcnt vmcnt(0)
	v_sub_f32_e32 v18, s16, v18
	v_mul_f32_e32 v18, 0x3fb8aa3b, v18
	v_exp_f32_e32 v43, v18
.LBB345_62:
	s_or_b64 exec, exec, s[0:1]
	v_or_b32_e32 v29, 1, v36
	v_cmp_gt_i32_e64 s[0:1], s48, v29
	s_and_saveexec_b64 s[2:3], s[0:1]
	s_cbranch_execz .LBB345_64
; %bb.63:
	v_add_u32_e32 v18, s45, v29
	v_ashrrev_i32_e32 v19, 31, v18
	v_mul_lo_u32 v20, v19, s36
	v_mul_lo_u32 v21, v18, s37
	v_mad_u64_u32 v[18:19], s[4:5], v18, s36, 0
	v_add3_u32 v19, v19, v21, v20
	v_lshl_add_u64 v[18:19], v[18:19], 2, s[12:13]
	global_load_dword v18, v[18:19], off
	s_waitcnt vmcnt(0)
	v_sub_f32_e32 v18, s16, v18
	v_mul_f32_e32 v18, 0x3fb8aa3b, v18
	v_exp_f32_e32 v37, v18
.LBB345_64:
	s_or_b64 exec, exec, s[2:3]
	v_or_b32_e32 v28, 2, v36
	v_cmp_gt_i32_e64 s[2:3], s48, v28
	v_mov_b32_e32 v42, 0
	v_mov_b32_e32 v44, 0
	s_and_saveexec_b64 s[4:5], s[2:3]
	s_cbranch_execz .LBB345_66
; %bb.65:
	v_add_u32_e32 v18, s45, v28
	v_ashrrev_i32_e32 v19, 31, v18
	v_mul_lo_u32 v20, v19, s36
	v_mul_lo_u32 v21, v18, s37
	v_mad_u64_u32 v[18:19], s[6:7], v18, s36, 0
	v_add3_u32 v19, v19, v21, v20
	v_lshl_add_u64 v[18:19], v[18:19], 2, s[12:13]
	global_load_dword v18, v[18:19], off
	s_waitcnt vmcnt(0)
	v_sub_f32_e32 v18, s16, v18
	v_mul_f32_e32 v18, 0x3fb8aa3b, v18
	v_exp_f32_e32 v44, v18
.LBB345_66:
	s_or_b64 exec, exec, s[4:5]
	v_or_b32_e32 v45, 3, v36
	v_cmp_gt_i32_e64 s[4:5], s48, v45
	s_and_saveexec_b64 s[6:7], s[4:5]
	s_cbranch_execz .LBB345_68
; %bb.67:
	v_add_u32_e32 v18, s45, v45
	v_ashrrev_i32_e32 v19, 31, v18
	v_mul_lo_u32 v20, v19, s36
	v_mul_lo_u32 v21, v18, s37
	v_mad_u64_u32 v[18:19], s[18:19], v18, s36, 0
	v_add3_u32 v19, v19, v21, v20
	v_lshl_add_u64 v[18:19], v[18:19], 2, s[12:13]
	global_load_dword v18, v[18:19], off
	s_waitcnt vmcnt(0)
	v_sub_f32_e32 v18, s16, v18
	v_mul_f32_e32 v18, 0x3fb8aa3b, v18
	v_exp_f32_e32 v42, v18
.LBB345_68:
	s_or_b64 exec, exec, s[6:7]
	s_add_u32 s6, s20, s28
	s_addc_u32 s7, s21, s29
	s_add_u32 s12, s14, s28
	v_ashrrev_i32_e32 v61, 31, v60
	v_accvgpr_read_b32 v21, a7
	s_addc_u32 s13, s15, s29
	v_lshlrev_b64 v[22:23], 1, v[60:61]
	v_accvgpr_read_b32 v20, a6
	v_accvgpr_read_b32 v19, a5
	;; [unrolled: 1-line block ×3, first 2 shown]
	v_lshl_add_u64 v[24:25], s[6:7], 0, v[22:23]
	v_lshl_add_u64 v[22:23], s[12:13], 0, v[22:23]
	v_mov_b32_e32 v31, 0
	v_lshlrev_b32_e32 v26, 8, v36
	v_mov_b32_e32 v27, 0
	s_and_saveexec_b64 s[6:7], vcc
	s_cbranch_execz .LBB345_70
; %bb.69:
	v_mov_b32_e32 v27, 0
	v_lshl_add_u64 v[32:33], v[24:25], 0, v[26:27]
	global_load_ushort v30, v[32:33], off
	v_lshl_add_u64 v[32:33], v[22:23], 0, v[26:27]
	s_waitcnt vmcnt(0)
	v_lshlrev_b32_e32 v27, 16, v30
	v_sub_f32_e32 v18, v27, v18
	global_store_short_d16_hi v[32:33], v18, off
	v_mul_f32_e32 v18, v43, v18
	v_lshrrev_b32_e32 v27, 16, v18
.LBB345_70:
	s_or_b64 exec, exec, s[6:7]
	v_lshlrev_b32_e32 v30, 8, v29
	s_and_saveexec_b64 s[6:7], s[0:1]
	s_cbranch_execz .LBB345_72
; %bb.71:
	v_mov_b32_e32 v31, 0
	v_lshl_add_u64 v[32:33], v[24:25], 0, v[30:31]
	global_load_ushort v18, v[32:33], off
	v_lshl_add_u64 v[32:33], v[22:23], 0, v[30:31]
	s_waitcnt vmcnt(0)
	v_lshlrev_b32_e32 v18, 16, v18
	v_sub_f32_e32 v18, v18, v19
	global_store_short_d16_hi v[32:33], v18, off
	v_mul_f32_e32 v18, v37, v18
	v_lshrrev_b32_e32 v31, 16, v18
.LBB345_72:
	s_or_b64 exec, exec, s[6:7]
	v_mov_b32_e32 v29, 0
	v_lshlrev_b32_e32 v32, 8, v28
	v_mov_b32_e32 v33, 0
	s_and_saveexec_b64 s[6:7], s[2:3]
	s_cbranch_execz .LBB345_74
; %bb.73:
	v_mov_b32_e32 v33, 0
	v_lshl_add_u64 v[18:19], v[24:25], 0, v[32:33]
	global_load_ushort v28, v[18:19], off
	v_lshl_add_u64 v[18:19], v[22:23], 0, v[32:33]
	s_waitcnt vmcnt(0)
	v_lshlrev_b32_e32 v28, 16, v28
	v_sub_f32_e32 v20, v28, v20
	global_store_short_d16_hi v[18:19], v20, off
	v_mul_f32_e32 v18, v44, v20
	v_lshrrev_b32_e32 v33, 16, v18
.LBB345_74:
	s_or_b64 exec, exec, s[6:7]
	v_lshlrev_b32_e32 v28, 8, v45
	s_and_saveexec_b64 s[6:7], s[4:5]
	s_cbranch_execz .LBB345_76
; %bb.75:
	v_mov_b32_e32 v29, 0
	v_lshl_add_u64 v[18:19], v[24:25], 0, v[28:29]
	global_load_ushort v20, v[18:19], off
	v_lshl_add_u64 v[18:19], v[22:23], 0, v[28:29]
	s_waitcnt vmcnt(0)
	v_lshlrev_b32_e32 v20, 16, v20
	v_sub_f32_e32 v20, v20, v21
	global_store_short_d16_hi v[18:19], v20, off
	v_mul_f32_e32 v18, v42, v20
	v_lshrrev_b32_e32 v29, 16, v18
.LBB345_76:
	s_or_b64 exec, exec, s[6:7]
	v_lshlrev_b32_e32 v45, 5, v36
	s_mov_b32 s6, 0x5040100
	v_perm_b32 v46, v31, v27, s6
	v_or_b32_e32 v27, v45, v38
	v_accvgpr_read_b32 v21, a3
	v_perm_b32 v47, v29, v33, s6
	v_lshlrev_b32_e32 v27, 1, v27
	v_accvgpr_read_b32 v20, a2
	v_accvgpr_read_b32 v19, a1
	;; [unrolled: 1-line block ×3, first 2 shown]
	ds_write_b64 v27, v[46:47] offset:45056
	v_mov_b32_e32 v31, 0
	v_mov_b32_e32 v27, 0
	s_and_saveexec_b64 s[6:7], vcc
	s_cbranch_execz .LBB345_78
; %bb.77:
	v_mov_b32_e32 v27, 0
	v_lshl_add_u64 v[46:47], v[24:25], 0, v[26:27]
	global_load_ushort v29, v[46:47], off offset:32
	v_lshl_add_u64 v[26:27], v[22:23], 0, v[26:27]
	s_waitcnt vmcnt(0)
	v_lshlrev_b32_e32 v29, 16, v29
	v_sub_f32_e32 v18, v29, v18
	global_store_short_d16_hi v[26:27], v18, off offset:32
	v_mul_f32_e32 v18, v43, v18
	v_lshrrev_b32_e32 v27, 16, v18
.LBB345_78:
	s_or_b64 exec, exec, s[6:7]
	s_and_saveexec_b64 s[6:7], s[0:1]
	s_cbranch_execz .LBB345_80
; %bb.79:
	v_mov_b32_e32 v31, 0
	v_lshl_add_u64 v[46:47], v[24:25], 0, v[30:31]
	global_load_ushort v18, v[46:47], off offset:32
	v_lshl_add_u64 v[30:31], v[22:23], 0, v[30:31]
	s_waitcnt vmcnt(0)
	v_lshlrev_b32_e32 v18, 16, v18
	v_sub_f32_e32 v18, v18, v19
	global_store_short_d16_hi v[30:31], v18, off offset:32
	v_mul_f32_e32 v18, v37, v18
	v_lshrrev_b32_e32 v31, 16, v18
.LBB345_80:
	s_or_b64 exec, exec, s[6:7]
	v_mov_b32_e32 v26, 0
	v_mov_b32_e32 v30, 0
	s_and_saveexec_b64 s[0:1], s[2:3]
	s_cbranch_execz .LBB345_82
; %bb.81:
	v_mov_b32_e32 v33, 0
	v_lshl_add_u64 v[18:19], v[24:25], 0, v[32:33]
	global_load_ushort v29, v[18:19], off offset:32
	v_lshl_add_u64 v[18:19], v[22:23], 0, v[32:33]
	s_waitcnt vmcnt(0)
	v_lshlrev_b32_e32 v29, 16, v29
	v_sub_f32_e32 v20, v29, v20
	global_store_short_d16_hi v[18:19], v20, off offset:32
	v_mul_f32_e32 v18, v44, v20
	v_lshrrev_b32_e32 v30, 16, v18
.LBB345_82:
	s_or_b64 exec, exec, s[0:1]
	v_or_b32_e32 v19, 0xb000, v40
	v_or_b32_e32 v18, 0xb000, v41
	s_and_saveexec_b64 s[0:1], s[4:5]
	s_cbranch_execz .LBB345_84
; %bb.83:
	v_mov_b32_e32 v29, 0
	v_lshl_add_u64 v[24:25], v[24:25], 0, v[28:29]
	global_load_ushort v20, v[24:25], off offset:32
	v_lshl_add_u64 v[22:23], v[22:23], 0, v[28:29]
	s_waitcnt vmcnt(0)
	v_lshlrev_b32_e32 v20, 16, v20
	v_sub_f32_e32 v20, v20, v21
	global_store_short_d16_hi v[22:23], v20, off offset:32
	v_mul_f32_e32 v20, v42, v20
	v_lshrrev_b32_e32 v26, 16, v20
.LBB345_84:
	s_or_b64 exec, exec, s[0:1]
	s_mov_b32 s0, 0x5040100
	v_or_b32_e32 v22, v45, v35
	v_perm_b32 v21, v26, v30, s0
	v_perm_b32 v20, v31, v27, s0
	v_lshlrev_b32_e32 v22, 1, v22
	s_movk_i32 s2, 0x100
	ds_write_b64 v22, v[20:21] offset:45056
	v_and_b32_e32 v20, 7, v0
	v_and_b32_e32 v21, 8, v0
	v_cmp_gt_u32_e32 vcc, s2, v0
	v_lshrrev_b32_e32 v0, 1, v0
	v_lshlrev_b32_e32 v26, 3, v20
	v_lshlrev_b32_e32 v48, 7, v20
	v_mov_b32_e32 v20, 0x4000
	v_mov_b32_e32 v22, 0x2000
	v_lshlrev_b32_e32 v24, 3, v1
	v_and_b32_e32 v0, 24, v0
	v_cndmask_b32_e32 v27, v20, v22, vcc
	v_xor_b32_e32 v20, v24, v0
	v_or_b32_e32 v22, 0x440, v20
	v_cmp_eq_u32_e32 vcc, 0, v21
	v_or_b32_e32 v28, 32, v0
	v_xor_b32_e32 v28, v24, v28
	v_cndmask_b32_e32 v20, v22, v20, vcc
	v_or_b32_e32 v20, v20, v39
	v_xor_b32_e32 v49, v20, v26
	v_or_b32_e32 v29, 0x440, v28
	v_add3_u32 v25, v27, v49, v48
	v_cndmask_b32_e32 v28, v29, v28, vcc
	v_or_b32_e32 v29, 64, v0
	v_or_b32_e32 v0, 0x60, v0
	s_waitcnt lgkmcnt(0)
	s_barrier
	v_xor_b32_e32 v29, v24, v29
	v_xor_b32_e32 v0, v24, v0
	ds_read_b64 v[24:25], v25
	v_xor_b32_e32 v30, 0x440, v29
	ds_read2_b64 v[20:23], v19 offset1:16
	v_cndmask_b32_e32 v29, v30, v29, vcc
	v_xor_b32_e32 v30, 0x440, v0
	v_or_b32_e32 v28, v28, v39
	v_or_b32_e32 v29, v29, v39
	v_cndmask_b32_e32 v0, v30, v0, vcc
	s_add_i32 s0, s17, s51
	v_xor_b32_e32 v50, v28, v26
	v_xor_b32_e32 v51, v29, v26
	v_or_b32_e32 v0, v0, v39
	s_mul_hi_i32 s1, s0, s25
	v_add3_u32 v28, v27, v50, v48
	v_add3_u32 v29, v27, v51, v48
	v_xor_b32_e32 v52, v0, v26
	s_mul_i32 s0, s0, s25
	v_add3_u32 v0, v27, v52, v48
	ds_read_b64 v[26:27], v28
	ds_read_b64 v[42:43], v29
	;; [unrolled: 1-line block ×3, first 2 shown]
	s_add_u32 s0, s0, s33
	ds_read2st64_b64 v[28:31], v19 offset0:2 offset1:4
	ds_read2st64_b64 v[38:41], v18 offset0:2 offset1:4
	s_waitcnt lgkmcnt(5)
	v_mfma_f32_16x16x16_bf16 a[0:3], v[24:25], v[20:21], 0
	s_addc_u32 s1, s1, s50
	s_lshl_b64 s[0:1], s[0:1], 9
	s_add_u32 s0, s8, s0
	v_mfma_f32_16x16x16_bf16 a[4:7], v[24:25], v[22:23], 0
	s_addc_u32 s1, s9, s1
	v_lshlrev_b32_e32 v0, 2, v36
	ds_read_b64 v[36:37], v19 offset:3072
	ds_read_b64 v[46:47], v18 offset:3072
	s_waitcnt lgkmcnt(3)
	v_mfma_f32_16x16x16_bf16 a[0:3], v[26:27], v[28:29], a[0:3]
	s_waitcnt lgkmcnt(2)
	v_mfma_f32_16x16x16_bf16 a[4:7], v[26:27], v[38:39], a[4:7]
	global_load_dwordx4 v[24:27], v0, s[0:1]
	v_lshlrev_b32_e32 v0, 6, v1
	v_lshlrev_b32_e32 v1, 2, v34
	v_or3_b32 v0, v0, v1, s2
	global_load_dwordx4 v[32:35], v0, s[0:1]
	v_mfma_f32_16x16x16_bf16 a[0:3], v[42:43], v[30:31], a[0:3]
	v_mov_b32_e32 v0, 0x3fb8aa3b
	v_mul_f32_e32 v0, s16, v0
	s_waitcnt vmcnt(1)
	v_mul_f32_e32 v18, 0x3fb8aa3b, v26
	v_mfma_f32_16x16x16_bf16 a[4:7], v[42:43], v[40:41], a[4:7]
	v_exp_f32_e32 v42, v0
	v_mul_f32_e32 v0, 0x3fb8aa3b, v24
	v_exp_f32_e32 v24, v18
	s_waitcnt lgkmcnt(1)
	v_mfma_f32_16x16x16_bf16 a[0:3], v[44:45], v[36:37], a[0:3]
	v_add_u32_e32 v18, v49, v48
	v_mul_f32_e32 v19, 0x3fb8aa3b, v27
	v_mul_f32_e32 v1, 0x3fb8aa3b, v25
	v_exp_f32_e32 v0, v0
	v_exp_f32_e32 v1, v1
	;; [unrolled: 1-line block ×3, first 2 shown]
	v_pk_mul_f32 v[0:1], v[42:43], v[0:1] op_sel_hi:[0,1]
	v_accvgpr_read_b32 v27, a3
	v_accvgpr_read_b32 v26, a2
	s_waitcnt lgkmcnt(0)
	v_mfma_f32_16x16x16_bf16 a[2:5], v[44:45], v[46:47], a[4:7]
	ds_read_b64 v[44:45], v18 offset:16384
	v_accvgpr_read_b32 v19, a1
	v_accvgpr_read_b32 v18, a0
	v_pk_fma_f32 v[18:19], v[2:3], v[0:1], v[18:19]
	v_add_u32_e32 v2, v50, v48
	v_add_u32_e32 v50, v52, v48
	s_waitcnt lgkmcnt(0)
	v_mfma_f32_16x16x16_bf16 a[6:9], v[44:45], v[20:21], 0
	v_add_u32_e32 v43, v51, v48
	ds_read_b64 v[2:3], v2 offset:16384
	ds_read_b64 v[48:49], v43 offset:16384
	;; [unrolled: 1-line block ×3, first 2 shown]
	v_pk_mul_f32 v[24:25], v[42:43], v[24:25] op_sel_hi:[0,1]
	v_pk_fma_f32 v[20:21], v[4:5], v[24:25], v[26:27]
	v_accvgpr_read_b32 v4, a2
	v_mfma_f32_16x16x16_bf16 a[10:13], v[44:45], v[22:23], 0
	v_fma_f32 v26, v10, v0, v4
	v_accvgpr_read_b32 v0, a3
	v_fma_f32 v27, v11, v1, v0
	s_waitcnt lgkmcnt(2)
	v_mfma_f32_16x16x16_bf16 a[0:3], v[2:3], v[28:29], a[6:9]
	v_accvgpr_read_b32 v0, a4
	v_accvgpr_read_b32 v29, a5
	v_fma_f32 v28, v12, v24, v0
	v_mfma_f32_16x16x16_bf16 a[4:7], v[2:3], v[38:39], a[10:13]
	s_waitcnt vmcnt(0)
	v_mov_b32_e32 v0, v33
	v_mov_b32_e32 v1, v34
	;; [unrolled: 1-line block ×3, first 2 shown]
	s_waitcnt lgkmcnt(1)
	v_mfma_f32_16x16x16_bf16 a[0:3], v[48:49], v[30:31], a[0:3]
	v_mul_f32_e32 v0, 0x3fb8aa3b, v0
	v_exp_f32_e32 v5, v0
	v_mul_f32_e32 v0, 0x3fb8aa3b, v1
	v_mfma_f32_16x16x16_bf16 a[4:7], v[48:49], v[40:41], a[4:7]
	v_mul_f32_e32 v1, 0x3fb8aa3b, v2
	v_mul_f32_e32 v3, 0x3fb8aa3b, v32
	v_exp_f32_e32 v0, v0
	s_waitcnt lgkmcnt(0)
	v_mfma_f32_16x16x16_bf16 a[0:3], v[50:51], v[36:37], a[0:3]
	v_exp_f32_e32 v1, v1
	v_exp_f32_e32 v4, v3
	v_fmac_f32_e32 v29, v13, v25
	v_pk_mul_f32 v[0:1], v[42:43], v[0:1] op_sel_hi:[0,1]
	v_pk_mul_f32 v[4:5], v[42:43], v[4:5] op_sel_hi:[0,1]
	s_nop 1
	v_accvgpr_read_b32 v3, a3
	v_accvgpr_read_b32 v2, a2
	v_mfma_f32_16x16x16_bf16 a[2:5], v[50:51], v[46:47], a[4:7]
	v_pk_fma_f32 v[24:25], v[8:9], v[0:1], v[2:3]
	v_accvgpr_read_b32 v11, a1
	v_accvgpr_read_b32 v10, a0
	v_pk_fma_f32 v[22:23], v[6:7], v[4:5], v[10:11]
	s_nop 2
	v_accvgpr_read_b32 v2, a2
	v_fma_f32 v30, v14, v4, v2
	v_accvgpr_read_b32 v2, a3
	v_fma_f32 v31, v15, v5, v2
	v_accvgpr_read_b32 v2, a4
	v_accvgpr_read_b32 v33, a5
	v_fma_f32 v32, v16, v0, v2
	v_fmac_f32_e32 v33, v17, v1
	v_mov_b64_e32 v[2:3], v[18:19]
	v_mov_b64_e32 v[4:5], v[20:21]
	;; [unrolled: 1-line block ×8, first 2 shown]
.LBB345_85:
	s_add_u32 s0, s10, s34
	s_addc_u32 s1, s11, s35
	v_lshl_add_u64 v[0:1], v[56:57], 1, s[0:1]
	v_mov_b32_e32 v55, 0
	s_mov_b32 s2, 0x7060302
	v_lshl_add_u64 v[0:1], v[0:1], 0, v[54:55]
	v_perm_b32 v5, v5, v4, s2
	v_perm_b32 v4, v3, v2, s2
	;; [unrolled: 1-line block ×4, first 2 shown]
	global_store_dwordx2 v[0:1], v[4:5], off
	global_store_dwordx2 v[0:1], v[2:3], off offset:128
	v_lshl_add_u64 v[0:1], v[58:59], 1, s[0:1]
	v_lshl_add_u64 v[0:1], v[0:1], 0, v[54:55]
	v_perm_b32 v3, v13, v12, s2
	v_perm_b32 v2, v11, v10, s2
	global_store_dwordx2 v[0:1], v[2:3], off
	v_perm_b32 v3, v17, v16, s2
	v_perm_b32 v2, v15, v14, s2
	global_store_dwordx2 v[0:1], v[2:3], off offset:128
	s_endpgm
	.section	.rodata,"a",@progbits
	.p2align	6, 0x0
	.amdhsa_kernel _ZN12_GLOBAL__N_139chunk_gated_delta_rule_fwd_h_hip_kernelILi32ELb1ELb1ELb1ELb0ELb0ELb1ELb0ELb1EEEvPK12hip_bfloat16S3_S3_PKfS5_PKvPS1_S8_PvPKiSB_iiiiilll
		.amdhsa_group_segment_fixed_size 49152
		.amdhsa_private_segment_fixed_size 0
		.amdhsa_kernarg_size 136
		.amdhsa_user_sgpr_count 2
		.amdhsa_user_sgpr_dispatch_ptr 0
		.amdhsa_user_sgpr_queue_ptr 0
		.amdhsa_user_sgpr_kernarg_segment_ptr 1
		.amdhsa_user_sgpr_dispatch_id 0
		.amdhsa_user_sgpr_kernarg_preload_length 0
		.amdhsa_user_sgpr_kernarg_preload_offset 0
		.amdhsa_user_sgpr_private_segment_size 0
		.amdhsa_uses_dynamic_stack 0
		.amdhsa_enable_private_segment 0
		.amdhsa_system_sgpr_workgroup_id_x 1
		.amdhsa_system_sgpr_workgroup_id_y 1
		.amdhsa_system_sgpr_workgroup_id_z 0
		.amdhsa_system_sgpr_workgroup_info 0
		.amdhsa_system_vgpr_workitem_id 0
		.amdhsa_next_free_vgpr 172
		.amdhsa_next_free_sgpr 76
		.amdhsa_accum_offset 148
		.amdhsa_reserve_vcc 1
		.amdhsa_float_round_mode_32 0
		.amdhsa_float_round_mode_16_64 0
		.amdhsa_float_denorm_mode_32 3
		.amdhsa_float_denorm_mode_16_64 3
		.amdhsa_dx10_clamp 1
		.amdhsa_ieee_mode 1
		.amdhsa_fp16_overflow 0
		.amdhsa_tg_split 0
		.amdhsa_exception_fp_ieee_invalid_op 0
		.amdhsa_exception_fp_denorm_src 0
		.amdhsa_exception_fp_ieee_div_zero 0
		.amdhsa_exception_fp_ieee_overflow 0
		.amdhsa_exception_fp_ieee_underflow 0
		.amdhsa_exception_fp_ieee_inexact 0
		.amdhsa_exception_int_div_zero 0
	.end_amdhsa_kernel
	.section	.text._ZN12_GLOBAL__N_139chunk_gated_delta_rule_fwd_h_hip_kernelILi32ELb1ELb1ELb1ELb0ELb0ELb1ELb0ELb1EEEvPK12hip_bfloat16S3_S3_PKfS5_PKvPS1_S8_PvPKiSB_iiiiilll,"axG",@progbits,_ZN12_GLOBAL__N_139chunk_gated_delta_rule_fwd_h_hip_kernelILi32ELb1ELb1ELb1ELb0ELb0ELb1ELb0ELb1EEEvPK12hip_bfloat16S3_S3_PKfS5_PKvPS1_S8_PvPKiSB_iiiiilll,comdat
.Lfunc_end345:
	.size	_ZN12_GLOBAL__N_139chunk_gated_delta_rule_fwd_h_hip_kernelILi32ELb1ELb1ELb1ELb0ELb0ELb1ELb0ELb1EEEvPK12hip_bfloat16S3_S3_PKfS5_PKvPS1_S8_PvPKiSB_iiiiilll, .Lfunc_end345-_ZN12_GLOBAL__N_139chunk_gated_delta_rule_fwd_h_hip_kernelILi32ELb1ELb1ELb1ELb0ELb0ELb1ELb0ELb1EEEvPK12hip_bfloat16S3_S3_PKfS5_PKvPS1_S8_PvPKiSB_iiiiilll
                                        ; -- End function
	.section	.AMDGPU.csdata,"",@progbits
; Kernel info:
; codeLenInByte = 10220
; NumSgprs: 82
; NumVgprs: 148
; NumAgprs: 24
; TotalNumVgprs: 172
; ScratchSize: 0
; MemoryBound: 0
; FloatMode: 240
; IeeeMode: 1
; LDSByteSize: 49152 bytes/workgroup (compile time only)
; SGPRBlocks: 10
; VGPRBlocks: 21
; NumSGPRsForWavesPerEU: 82
; NumVGPRsForWavesPerEU: 172
; AccumOffset: 148
; Occupancy: 1
; WaveLimiterHint : 1
; COMPUTE_PGM_RSRC2:SCRATCH_EN: 0
; COMPUTE_PGM_RSRC2:USER_SGPR: 2
; COMPUTE_PGM_RSRC2:TRAP_HANDLER: 0
; COMPUTE_PGM_RSRC2:TGID_X_EN: 1
; COMPUTE_PGM_RSRC2:TGID_Y_EN: 1
; COMPUTE_PGM_RSRC2:TGID_Z_EN: 0
; COMPUTE_PGM_RSRC2:TIDIG_COMP_CNT: 0
; COMPUTE_PGM_RSRC3_GFX90A:ACCUM_OFFSET: 36
; COMPUTE_PGM_RSRC3_GFX90A:TG_SPLIT: 0
	.section	.text._ZN12_GLOBAL__N_139chunk_gated_delta_rule_fwd_h_hip_kernelILi32ELb1ELb1ELb0ELb0ELb0ELb1ELb0ELb1EEEvPK12hip_bfloat16S3_S3_PKfS5_PKvPS1_S8_PvPKiSB_iiiiilll,"axG",@progbits,_ZN12_GLOBAL__N_139chunk_gated_delta_rule_fwd_h_hip_kernelILi32ELb1ELb1ELb0ELb0ELb0ELb1ELb0ELb1EEEvPK12hip_bfloat16S3_S3_PKfS5_PKvPS1_S8_PvPKiSB_iiiiilll,comdat
	.globl	_ZN12_GLOBAL__N_139chunk_gated_delta_rule_fwd_h_hip_kernelILi32ELb1ELb1ELb0ELb0ELb0ELb1ELb0ELb1EEEvPK12hip_bfloat16S3_S3_PKfS5_PKvPS1_S8_PvPKiSB_iiiiilll ; -- Begin function _ZN12_GLOBAL__N_139chunk_gated_delta_rule_fwd_h_hip_kernelILi32ELb1ELb1ELb0ELb0ELb0ELb1ELb0ELb1EEEvPK12hip_bfloat16S3_S3_PKfS5_PKvPS1_S8_PvPKiSB_iiiiilll
	.p2align	8
	.type	_ZN12_GLOBAL__N_139chunk_gated_delta_rule_fwd_h_hip_kernelILi32ELb1ELb1ELb0ELb0ELb0ELb1ELb0ELb1EEEvPK12hip_bfloat16S3_S3_PKfS5_PKvPS1_S8_PvPKiSB_iiiiilll,@function
_ZN12_GLOBAL__N_139chunk_gated_delta_rule_fwd_h_hip_kernelILi32ELb1ELb1ELb0ELb0ELb0ELb1ELb0ELb1EEEvPK12hip_bfloat16S3_S3_PKfS5_PKvPS1_S8_PvPKiSB_iiiiilll: ; @_ZN12_GLOBAL__N_139chunk_gated_delta_rule_fwd_h_hip_kernelILi32ELb1ELb1ELb0ELb0ELb0ELb1ELb0ELb1EEEvPK12hip_bfloat16S3_S3_PKfS5_PKvPS1_S8_PvPKiSB_iiiiilll
; %bb.0:
	s_load_dwordx4 s[12:15], s[0:1], 0x5c
	s_abs_i32 s6, s3
	s_ashr_i32 s5, s3, 31
	s_load_dwordx4 s[16:19], s[0:1], 0x20
	s_load_dwordx2 s[38:39], s[0:1], 0x30
	v_and_b32_e32 v69, 15, v0
	s_waitcnt lgkmcnt(0)
	s_abs_i32 s4, s13
	v_cvt_f32_u32_e32 v1, s4
	s_sub_i32 s8, 0, s4
	s_ashr_i32 s7, s13, 31
	s_xor_b32 s5, s5, s7
	v_rcp_iflag_f32_e32 v1, v1
	v_bfe_u32 v68, v0, 4, 2
	v_mov_b32_e32 v55, 0
	v_lshlrev_b32_e32 v70, 3, v0
	v_mul_f32_e32 v1, 0x4f7ffffe, v1
	v_cvt_u32_f32_e32 v1, v1
	s_nop 0
	v_readfirstlane_b32 s9, v1
	s_mul_i32 s8, s8, s9
	s_mul_hi_u32 s8, s9, s8
	s_add_i32 s9, s9, s8
	s_mul_hi_u32 s8, s6, s9
	s_mul_i32 s9, s8, s4
	s_sub_i32 s6, s6, s9
	s_add_i32 s10, s8, 1
	s_sub_i32 s9, s6, s4
	s_cmp_ge_u32 s6, s4
	s_cselect_b32 s8, s10, s8
	s_cselect_b32 s6, s9, s6
	s_add_i32 s9, s8, 1
	s_cmp_ge_u32 s6, s4
	s_cselect_b32 s6, s9, s8
	s_xor_b32 s6, s6, s5
	s_sub_i32 s57, s6, s5
	s_mul_i32 s6, s57, s13
	s_sub_i32 s33, s3, s6
	s_abs_i32 s3, s14
	v_cvt_f32_u32_e32 v1, s3
	s_add_i32 s8, s12, 63
	s_ashr_i32 s9, s8, 31
	s_lshr_b32 s5, s9, 26
	v_rcp_iflag_f32_e32 v1, v1
	s_ashr_i32 s56, s12, 31
	s_add_i32 s8, s8, s5
	s_lshr_b32 s5, s56, 26
	v_mul_f32_e32 v1, 0x4f7ffffe, v1
	v_cvt_u32_f32_e32 v1, v1
	s_add_i32 s5, s12, s5
	s_ashr_i32 s59, s14, 31
	s_ashr_i32 s24, s8, 6
	;; [unrolled: 1-line block ×3, first 2 shown]
	s_xor_b32 s5, s7, s59
	s_sub_i32 s7, 0, s3
	v_readfirstlane_b32 s8, v1
	s_mul_i32 s7, s7, s8
	s_mul_hi_u32 s7, s8, s7
	s_add_i32 s8, s8, s7
	s_mul_hi_u32 s7, s4, s8
	s_mul_i32 s8, s7, s3
	s_sub_i32 s4, s4, s8
	s_lshl_b32 s2, s2, 5
	s_add_i32 s8, s7, 1
	s_sub_i32 s9, s4, s3
	s_cmp_ge_u32 s4, s3
	s_cselect_b32 s7, s8, s7
	s_cselect_b32 s4, s9, s4
	s_add_i32 s8, s7, 1
	s_cmp_ge_u32 s4, s3
	s_cselect_b32 s3, s8, s7
	s_xor_b32 s3, s3, s5
	s_sub_i32 s3, s3, s5
	s_abs_i32 s4, s3
	v_cvt_f32_u32_e32 v1, s4
	s_sub_i32 s7, 0, s4
	s_abs_i32 s5, s33
	s_xor_b32 s3, s33, s3
	v_rcp_iflag_f32_e32 v2, v1
	s_ashr_i32 s3, s3, 31
	v_lshrrev_b32_e32 v1, 6, v0
	v_or_b32_e32 v60, s2, v69
	v_mul_f32_e32 v2, 0x4f7ffffe, v2
	v_cvt_u32_f32_e32 v2, v2
	v_lshlrev_b32_e32 v53, 4, v1
	v_lshlrev_b32_e32 v56, 7, v60
	v_lshl_or_b32 v72, v68, 2, v53
	v_readfirstlane_b32 s8, v2
	s_mul_i32 s7, s7, s8
	s_mul_hi_u32 s7, s8, s7
	s_add_i32 s8, s8, s7
	s_mul_hi_u32 s7, s5, s8
	s_mul_i32 s8, s7, s4
	s_sub_i32 s5, s5, s8
	s_add_i32 s8, s7, 1
	s_sub_i32 s9, s5, s4
	s_cmp_ge_u32 s5, s4
	s_cselect_b32 s7, s8, s7
	s_cselect_b32 s5, s9, s5
	s_add_i32 s8, s7, 1
	s_cmp_ge_u32 s5, s4
	s_cselect_b32 s4, s8, s7
	s_xor_b32 s4, s4, s3
	s_sub_i32 s60, s4, s3
	s_ashr_i32 s3, s57, 31
	s_ashr_i32 s48, s33, 31
	s_mul_hi_i32 s4, s57, s13
	s_add_u32 s40, s6, s33
	s_addc_u32 s41, s4, s48
	s_lshl_b64 s[28:29], s[40:41], 15
	s_add_u32 s4, s18, s28
	s_addc_u32 s5, s19, s29
	v_ashrrev_i32_e32 v57, 31, v56
	v_lshl_add_u64 v[2:3], v[56:57], 1, s[4:5]
	v_lshlrev_b32_e32 v54, 1, v72
	v_or_b32_e32 v58, 0x800, v56
	v_lshl_add_u64 v[2:3], v[2:3], 0, v[54:55]
	v_ashrrev_i32_e32 v59, 31, v58
	global_load_dwordx2 v[6:7], v[2:3], off
	global_load_dwordx2 v[10:11], v[2:3], off offset:128
	v_lshl_add_u64 v[2:3], v[58:59], 1, s[4:5]
	v_lshl_add_u64 v[2:3], v[2:3], 0, v[54:55]
	global_load_dwordx2 v[12:13], v[2:3], off
	global_load_dwordx2 v[14:15], v[2:3], off offset:128
	s_load_dwordx2 s[18:19], s[0:1], 0x40
	s_load_dwordx8 s[4:11], s[0:1], 0x0
	s_load_dwordx2 s[30:31], s[0:1], 0x80
	s_load_dwordx4 s[20:23], s[0:1], 0x70
	v_and_b32_e32 v55, 63, v0
	v_lshrrev_b32_e32 v71, 3, v55
	v_or_b32_e32 v73, 64, v72
	s_mul_i32 s49, s57, s12
	s_waitcnt lgkmcnt(0)
	s_mul_i32 s50, s57, s21
	s_mul_hi_u32 s51, s57, s20
	s_mul_i32 s34, s57, s20
	s_mul_i32 s61, s57, s24
	;; [unrolled: 1-line block ×3, first 2 shown]
	s_mul_hi_u32 s53, s33, s22
	s_mul_i32 s55, s3, s20
	s_mul_i32 s54, s48, s22
	s_mul_hi_u32 s62, s40, s12
	s_mul_i32 s42, s40, s12
	s_mul_i32 s41, s41, s12
	s_cmp_lt_i32 s12, 64
	s_mul_i32 s36, s33, s22
	s_waitcnt vmcnt(3)
	v_and_b32_e32 v3, 0xffff0000, v6
	v_lshlrev_b32_e32 v2, 16, v6
	v_and_b32_e32 v5, 0xffff0000, v7
	v_lshlrev_b32_e32 v4, 16, v7
	s_waitcnt vmcnt(2)
	v_and_b32_e32 v7, 0xffff0000, v10
	v_lshlrev_b32_e32 v6, 16, v10
	v_and_b32_e32 v9, 0xffff0000, v11
	v_lshlrev_b32_e32 v8, 16, v11
	;; [unrolled: 5-line block ×4, first 2 shown]
	s_cbranch_scc1 .LBB346_3
; %bb.1:
	s_add_i32 s43, s62, s41
	s_lshl_b64 s[0:1], s[42:43], 8
	v_and_b32_e32 v81, 56, v70
	s_add_u32 s20, s6, s0
	v_lshl_or_b32 v80, v1, 3, v71
	v_lshlrev_b32_e32 v10, 1, v81
	s_addc_u32 s0, s7, s1
	v_lshl_or_b32 v82, v80, 8, v10
	s_and_b32 s21, s0, 0xffff
	s_mov_b32 s23, 0x20000
	s_movk_i32 s22, 0x4000
	s_movk_i32 s0, 0x80
	v_or_b32_e32 v84, 0x2000, v82
	buffer_load_dwordx4 v[12:15], v82, s[20:23], 0 offen
	buffer_load_dwordx4 v[16:19], v82, s[20:23], s0 offen
	;; [unrolled: 1-line block ×4, first 2 shown]
	v_lshlrev_b32_e32 v11, 3, v80
	v_and_or_b32 v29, v0, 7, v11
	v_and_b32_e32 v11, 0x78, v11
	v_lshlrev_b32_e32 v29, 4, v29
	v_xor_b32_e32 v86, v29, v11
	v_mul_lo_u32 v28, v80, s15
	v_or_b32_e32 v87, 0x1000, v86
	v_xor_b32_e32 v11, 8, v86
	s_cmpk_eq_i32 s15, 0x80
	s_mov_b32 s63, s14
	v_xor_b32_e32 v29, 8, v87
	s_cselect_b64 s[0:1], -1, 0
	s_cmpk_lg_i32 s15, 0x80
	s_waitcnt vmcnt(3)
	ds_write_b64 v86, v[12:13] offset:24576
	ds_write_b64 v11, v[14:15] offset:24576
	s_waitcnt vmcnt(2)
	ds_write_b64 v86, v[16:17] offset:32768
	ds_write_b64 v11, v[18:19] offset:32768
	;; [unrolled: 3-line block ×4, first 2 shown]
	v_lshl_add_u32 v11, v28, 1, v81
	s_cbranch_scc0 .LBB346_4
; %bb.2:
	v_lshlrev_b32_e32 v13, 1, v11
	v_add_lshl_u32 v12, v11, s15, 1
	s_lshl_b32 s22, s15, 7
	v_lshl_or_b32 v10, v80, 9, v10
	s_cbranch_execz .LBB346_5
	s_branch .LBB346_6
.LBB346_3:
	v_mov_b32_e32 v17, v83
	v_mov_b32_e32 v16, v79
	;; [unrolled: 1-line block ×5, first 2 shown]
	s_branch .LBB346_20
.LBB346_4:
                                        ; implicit-def: $vgpr12
                                        ; implicit-def: $vgpr13
                                        ; implicit-def: $sgpr22
	v_lshl_or_b32 v10, v80, 9, v10
.LBB346_5:
	v_or_b32_e32 v12, 0x100, v10
	s_movk_i32 s22, 0x4000
	v_mov_b32_e32 v13, v10
.LBB346_6:
	s_mul_hi_u32 s20, s14, s12
	s_mul_i32 s21, s59, s12
	s_add_i32 s20, s20, s21
	s_mul_i32 s21, s14, s12
	s_mul_i32 s23, s21, s3
	s_mul_hi_u32 s24, s21, s57
	s_add_i32 s23, s24, s23
	s_mul_i32 s20, s20, s57
	s_add_i32 s23, s23, s20
	s_mul_i32 s21, s21, s57
	s_ashr_i32 s64, s60, 31
	s_add_u32 s20, s21, s60
	s_addc_u32 s21, s23, s64
	s_lshl_b64 s[20:21], s[20:21], 8
	s_add_u32 s20, s4, s20
	s_addc_u32 s21, s5, s21
	s_and_b32 s21, s21, 0xffff
	s_mov_b32 s23, 0x20000
	s_movk_i32 s65, 0x80
	buffer_load_dwordx4 v[14:17], v13, s[20:23], 0 offen
	buffer_load_dwordx4 v[18:21], v13, s[20:23], s65 offen
	;; [unrolled: 1-line block ×4, first 2 shown]
	v_and_b32_e32 v12, 6, v0
	v_lshlrev_b32_e32 v31, 6, v72
	v_or_b32_e32 v33, 16, v69
	v_xor_b32_e32 v34, v80, v12
	v_and_b32_e32 v13, 1, v0
	s_mul_i32 s3, s3, s12
	s_mul_hi_u32 s20, s57, s12
	v_lshl_or_b32 v37, v69, 3, v31
	v_lshl_or_b32 v31, v33, 3, v31
	v_lshlrev_b32_e32 v34, 2, v34
	v_lshlrev_b32_e32 v30, 2, v69
	v_or_b32_e32 v90, 0xa000, v31
	v_or_b32_e32 v91, 0xb000, v31
	v_xor_b32_e32 v31, 0x440, v34
	v_cmp_eq_u32_e32 vcc, 0, v13
	s_add_i32 s69, s20, s3
	s_add_i32 s3, s51, s50
	v_xor_b32_e32 v35, v72, v30
	v_xor_b32_e32 v36, v73, v30
	v_cndmask_b32_e32 v13, v31, v34, vcc
	s_add_i32 s35, s3, s55
	s_add_i32 s3, s53, s52
	s_mov_b32 s67, 0x1000504
	v_lshlrev_b32_e32 v32, 8, v69
	v_lshlrev_b32_e32 v35, 1, v35
	;; [unrolled: 1-line block ×3, first 2 shown]
	v_lshl_or_b32 v12, v12, 10, v13
	s_add_i32 s37, s3, s54
	s_lshl_b64 s[20:21], s[34:35], 2
	s_mov_b32 s68, 0x3020706
	v_or_b32_e32 v88, 0xa000, v37
	v_or_b32_e32 v89, 0xb000, v37
	;; [unrolled: 1-line block ×4, first 2 shown]
	v_xor_b32_e32 v13, 8, v12
	v_xor_b32_e32 v32, 24, v12
	;; [unrolled: 1-line block ×4, first 2 shown]
	s_add_u32 s3, s10, s20
	v_xor_b32_e32 v31, 16, v12
	v_xor_b32_e32 v34, 32, v12
	;; [unrolled: 1-line block ×3, first 2 shown]
	v_add_u32_e32 v13, 0x80, v13
	v_add_u32_e32 v32, 0x80, v32
	;; [unrolled: 1-line block ×4, first 2 shown]
	s_addc_u32 s22, s11, s21
	s_lshl_b64 s[20:21], s[36:37], 2
	s_add_u32 s44, s3, s20
	s_movk_i32 s3, 0xf8
	s_addc_u32 s45, s22, s21
	s_lshl_b32 s26, s15, 7
	s_movk_i32 s24, 0x100
	v_mov_b32_e32 v63, 0
	v_lshlrev_b32_e32 v62, 4, v69
	v_cmp_gt_u32_e32 vcc, s24, v0
	v_lshlrev_b32_e32 v33, 8, v33
	v_ashrrev_i32_e32 v61, 31, v60
	s_mov_b32 s66, 0
	v_or_b32_e32 v94, v33, v35
	v_or_b32_e32 v95, v33, v36
	s_movk_i32 s35, 0x1000
	s_movk_i32 s22, 0x4000
	v_lshl_add_u64 v[64:65], v[60:61], 1, s[8:9]
	s_mov_b32 s37, 0x7060302
	v_mov_b32_e32 v118, 0x3fb8aa3b
	s_mov_b32 s71, 0
	s_waitcnt vmcnt(1)
	v_perm_b32 v40, v14, v22, s67
	s_waitcnt vmcnt(0)
	v_perm_b32 v41, v18, v26, s67
	v_perm_b32 v14, v14, v22, s68
	;; [unrolled: 1-line block ×15, first 2 shown]
	ds_write2st64_b32 v12, v40, v41 offset0:32 offset1:64
	ds_write2st64_b32 v13, v14, v18 offset0:32 offset1:64
	;; [unrolled: 1-line block ×8, first 2 shown]
	v_or_b32_e32 v12, v53, v69
	v_lshlrev_b32_e32 v12, 3, v12
	v_lshrrev_b32_e32 v15, 5, v55
	v_and_or_b32 v15, v12, s3, v15
	v_lshlrev_b32_e32 v15, 4, v15
	v_lshlrev_b32_e32 v17, 11, v1
	v_and_b32_e32 v12, 0x78, v12
	v_or_b32_e32 v20, 32, v15
	v_and_b32_e32 v14, 0x1000, v17
	v_lshrrev_b32_e32 v18, 1, v55
	v_xor_b32_e32 v20, v20, v12
	v_xor_b32_e32 v16, v15, v12
	v_and_b32_e32 v18, 8, v18
	v_or_b32_e32 v20, v20, v14
	v_or_b32_e32 v16, v16, v14
	v_lshlrev_b32_e32 v19, 7, v68
	v_xor_b32_e32 v98, v20, v18
	v_or_b32_e32 v20, 64, v15
	v_or_b32_e32 v15, 0x60, v15
	s_ashr_i32 s3, s2, 31
	v_xor_b32_e32 v96, v16, v18
	v_or_b32_e32 v16, v19, v30
	v_xor_b32_e32 v20, v20, v12
	v_xor_b32_e32 v12, v15, v12
	s_lshl_b64 s[20:21], s[2:3], 8
	v_lshlrev_b32_e32 v16, 1, v16
	v_or_b32_e32 v20, v20, v14
	v_or_b32_e32 v12, v12, v14
	s_add_u32 s20, s38, s20
	v_lshlrev_b32_e32 v14, 1, v69
	v_or_b32_e32 v97, 0xa000, v16
	v_or_b32_e32 v99, 0xa080, v16
	;; [unrolled: 1-line block ×4, first 2 shown]
	v_lshrrev_b32_e32 v16, 4, v0
	s_addc_u32 s21, s39, s21
	v_or_b32_e32 v15, 1, v14
	v_mov_b32_e32 v25, 0x4000
	v_mov_b32_e32 v26, 0x2000
	v_lshrrev_b32_e32 v27, 1, v0
	v_xor_b32_e32 v100, v20, v18
	v_xor_b32_e32 v101, v12, v18
	;; [unrolled: 1-line block ×4, first 2 shown]
	v_lshl_add_u64 v[14:15], s[20:21], 0, v[62:63]
	v_lshlrev_b32_e32 v62, 8, v16
	v_cndmask_b32_e32 v25, v25, v26, vcc
	v_lshlrev_b32_e32 v26, 3, v1
	v_and_b32_e32 v27, 24, v27
	v_lshl_or_b32 v104, v18, 3, v62
	v_and_b32_e32 v18, 8, v0
	v_xor_b32_e32 v28, v26, v27
	v_or_b32_e32 v29, 0x440, v28
	v_cmp_eq_u32_e32 vcc, 0, v18
	v_and_b32_e32 v16, 7, v0
	v_lshl_or_b32 v105, v22, 3, v62
	v_cndmask_b32_e32 v18, v29, v28, vcc
	v_lshlrev_b32_e32 v22, 3, v16
	v_lshlrev_b32_e32 v24, 2, v0
	v_or_b32_e32 v18, v18, v17
	v_xor_b32_e32 v28, v18, v22
	v_and_or_b32 v18, v24, 60, v19
	v_mov_b32_e32 v19, 0xb000
	v_lshl_or_b32 v106, v18, 1, v19
	v_or_b32_e32 v18, 32, v27
	v_xor_b32_e32 v18, v26, v18
	v_or_b32_e32 v19, 0x440, v18
	v_cndmask_b32_e32 v18, v19, v18, vcc
	v_or_b32_e32 v18, v18, v17
	v_xor_b32_e32 v19, v18, v22
	v_or_b32_e32 v18, 64, v27
	v_xor_b32_e32 v18, v26, v18
	v_xor_b32_e32 v30, 0x440, v18
	v_cndmask_b32_e32 v18, v30, v18, vcc
	v_or_b32_e32 v18, v18, v17
	v_xor_b32_e32 v30, v18, v22
	v_or_b32_e32 v18, 0x60, v27
	v_xor_b32_e32 v18, v26, v18
	v_xor_b32_e32 v26, 0x440, v18
	v_cndmask_b32_e32 v18, v26, v18, vcc
	v_lshrrev_b32_e32 v13, 2, v55
	v_or_b32_e32 v17, v18, v17
	v_and_b32_e32 v13, 12, v13
	v_xor_b32_e32 v17, v17, v22
	v_lshlrev_b32_e32 v12, 7, v72
	v_lshlrev_b32_e32 v20, 1, v11
	v_add_lshl_u32 v11, v11, s15, 1
	v_or_b32_e32 v21, 0x100, v10
	v_lshlrev_b32_e32 v23, 7, v16
	v_or_b32_e32 v16, v13, v53
	v_add_u32_e32 v29, v25, v28
	v_add_u32_e32 v24, v25, v19
	;; [unrolled: 1-line block ×4, first 2 shown]
	v_or3_b32 v18, v53, v13, 64
	v_add_u32_e32 v13, 0x4000, v28
	v_add_u32_e32 v19, 0x4000, v19
	;; [unrolled: 1-line block ×4, first 2 shown]
	v_cndmask_b32_e64 v107, v20, v10, s[0:1]
	v_cndmask_b32_e64 v108, v11, v21, s[0:1]
	v_lshl_add_u64 v[66:67], v[14:15], 0, v[62:63]
	s_add_i32 s3, s49, 63
	v_lshlrev_b32_e32 v62, 1, v12
	v_lshlrev_b32_e32 v61, 2, v16
	v_add_u32_e32 v109, v29, v23
	v_add_u32_e32 v110, v24, v23
	;; [unrolled: 1-line block ×4, first 2 shown]
	v_lshlrev_b32_e32 v113, 2, v18
	v_add_u32_e32 v114, v13, v23
	v_add_u32_e32 v115, v19, v23
	;; [unrolled: 1-line block ×4, first 2 shown]
	s_waitcnt lgkmcnt(0)
	s_barrier
.LBB346_7:                              ; =>This Inner Loop Header: Depth=1
	s_add_i32 s70, s71, 1
	s_cmp_lt_i32 s70, s58
	s_mov_b64 s[24:25], 0
	s_cselect_b64 s[46:47], -1, 0
	s_cmp_ge_i32 s70, s58
	s_mov_b64 s[20:21], 0
	s_cbranch_scc1 .LBB346_9
; %bb.8:                                ;   in Loop: Header=BB346_7 Depth=1
	s_add_i32 s0, s66, 64
	s_add_u32 s0, s42, s0
	s_addc_u32 s1, s43, 0
	s_lshl_b64 s[0:1], s[0:1], 8
	s_add_u32 s20, s6, s0
	s_addc_u32 s21, s7, s1
.LBB346_9:                              ;   in Loop: Header=BB346_7 Depth=1
	v_cndmask_b32_e64 v10, 0, 1, s[46:47]
	v_cmp_ne_u32_e64 s[0:1], 1, v10
	s_andn2_b64 vcc, exec, s[46:47]
	s_cbranch_vccnz .LBB346_11
; %bb.10:                               ;   in Loop: Header=BB346_7 Depth=1
	s_add_i32 s24, s66, 64
	s_add_u32 s24, s49, s24
	s_addc_u32 s25, s69, 0
	s_mul_i32 s27, s24, s59
	s_mul_hi_u32 s46, s24, s63
	s_add_i32 s27, s46, s27
	s_mul_i32 s25, s25, s63
	s_add_i32 s27, s27, s25
	s_mul_i32 s24, s24, s63
	s_add_u32 s24, s24, s60
	s_addc_u32 s25, s27, s64
	s_lshl_b64 s[24:25], s[24:25], 8
	s_add_u32 s24, s4, s24
	s_addc_u32 s25, s5, s25
.LBB346_11:                             ;   in Loop: Header=BB346_7 Depth=1
	v_perm_b32 v11, v5, v4, s37
	v_perm_b32 v10, v3, v2, s37
	;; [unrolled: 1-line block ×4, first 2 shown]
	ds_write_b64 v88, v[10:11]
	ds_write_b64 v89, v[12:13]
	ds_write_b64 v92, v[10:11]
	ds_write_b64 v93, v[12:13]
	v_perm_b32 v11, v85, v76, s37
	v_perm_b32 v10, v75, v74, s37
	;; [unrolled: 1-line block ×4, first 2 shown]
	ds_write_b64 v90, v[10:11]
	ds_write_b64 v91, v[12:13]
	;; [unrolled: 1-line block ×4, first 2 shown]
	s_waitcnt lgkmcnt(0)
	s_barrier
	ds_read_b64 v[14:15], v96 offset:24576
	ds_read2_b64 v[10:13], v97 offset1:16
	ds_read_b64 v[18:19], v99 offset:3072
	ds_read_b64 v[20:21], v97 offset:3072
	;; [unrolled: 1-line block ×3, first 2 shown]
	s_waitcnt lgkmcnt(3)
	v_mfma_f32_16x16x16_bf16 a[0:3], v[14:15], v[10:11], 0
	s_add_i32 s27, s66, 63
	s_mul_i32 s46, s27, s31
	s_mul_hi_u32 s47, s27, s30
	v_mfma_f32_16x16x16_bf16 a[4:7], v[14:15], v[12:13], 0
	ds_read2st64_b64 v[10:13], v97 offset0:2 offset1:4
	ds_read2st64_b64 v[14:17], v99 offset0:2 offset1:4
	s_add_i32 s47, s47, s46
	s_waitcnt lgkmcnt(1)
	v_mfma_f32_16x16x16_bf16 a[0:3], v[22:23], v[10:11], a[0:3]
	s_mul_i32 s46, s27, s30
	s_lshl_b64 s[46:47], s[46:47], 2
	s_add_u32 s46, s44, s46
	s_waitcnt lgkmcnt(0)
	v_mfma_f32_16x16x16_bf16 a[4:7], v[22:23], v[14:15], a[4:7]
	ds_read_b64 v[10:11], v100 offset:24576
	ds_read_b64 v[14:15], v101 offset:24576
	s_addc_u32 s47, s45, s47
	s_and_b64 vcc, exec, s[0:1]
	s_waitcnt lgkmcnt(1)
	v_mfma_f32_16x16x16_bf16 a[0:3], v[10:11], v[12:13], a[0:3]
	v_mov_b32_e32 v121, 0
	v_mov_b32_e32 v120, 0
	;; [unrolled: 1-line block ×3, first 2 shown]
	v_mfma_f32_16x16x16_bf16 a[4:7], v[10:11], v[16:17], a[4:7]
	v_mov_b32_e32 v10, 0
	v_mov_b32_e32 v11, 0
	;; [unrolled: 1-line block ×3, first 2 shown]
	s_waitcnt lgkmcnt(0)
	v_mfma_f32_16x16x16_bf16 a[0:3], v[14:15], v[20:21], a[0:3]
	v_mov_b32_e32 v13, 0
	v_mov_b32_e32 v16, 0
	;; [unrolled: 1-line block ×3, first 2 shown]
	v_mfma_f32_16x16x16_bf16 a[4:7], v[14:15], v[18:19], a[4:7]
	v_mov_b32_e32 v14, 0
	v_mov_b32_e32 v15, 0
	v_mov_b32_e32 v18, 0
	v_mov_b32_e32 v19, 0
	v_mov_b32_e32 v20, 0
	v_mov_b32_e32 v21, 0
	v_mov_b32_e32 v22, 0
	v_mov_b32_e32 v23, 0
	v_mov_b32_e32 v24, 0
	v_mov_b32_e32 v25, 0
	s_cbranch_vccnz .LBB346_13
; %bb.12:                               ;   in Loop: Header=BB346_7 Depth=1
	s_and_b32 s21, s21, 0xffff
	buffer_load_dwordx4 v[22:25], v82, s[20:23], 0 offen
	buffer_load_dwordx4 v[18:21], v82, s[20:23], s65 offen
	;; [unrolled: 1-line block ×4, first 2 shown]
	v_mov_b32_e32 v120, v86
	v_mov_b32_e32 v119, v87
.LBB346_13:                             ;   in Loop: Header=BB346_7 Depth=1
	ds_read_b64 v[30:31], v96 offset:32768
	ds_read2_b64 v[26:29], v102 offset1:16
	ds_read_b64 v[34:35], v98 offset:32768
	ds_read_b64 v[36:37], v100 offset:32768
	;; [unrolled: 1-line block ×3, first 2 shown]
	v_add_u32_e32 v40, s66, v72
	s_waitcnt lgkmcnt(3)
	v_mfma_f32_16x16x16_bf16 a[0:3], v[30:31], v[26:27], a[0:3]
	v_mul_lo_u32 v41, v40, s31
	v_mov_b32_e32 v122, 0
	v_mfma_f32_16x16x16_bf16 a[4:7], v[30:31], v[28:29], a[4:7]
	ds_read2st64_b64 v[26:29], v102 offset0:2 offset1:4
	ds_read2st64_b64 v[30:33], v103 offset0:2 offset1:4
	s_waitcnt lgkmcnt(1)
	v_mfma_f32_16x16x16_bf16 a[0:3], v[34:35], v[26:27], a[0:3]
	v_ashrrev_i32_e32 v26, 31, v40
	v_mul_lo_u32 v42, v26, s30
	v_mad_u64_u32 v[26:27], s[20:21], v40, s30, 0
	v_mfma_f32_16x16x16_bf16 a[0:3], v[36:37], v[28:29], a[0:3]
	v_add_u32_e32 v28, 1, v40
	v_ashrrev_i32_e32 v29, 31, v28
	v_add3_u32 v27, v27, v41, v42
	s_waitcnt lgkmcnt(0)
	v_mfma_f32_16x16x16_bf16 a[4:7], v[34:35], v[30:31], a[4:7]
	v_mul_lo_u32 v30, v29, s30
	v_mul_lo_u32 v31, v28, s31
	v_mad_u64_u32 v[28:29], s[20:21], v28, s30, 0
	v_add3_u32 v29, v29, v31, v30
	v_add_u32_e32 v30, 2, v40
	v_ashrrev_i32_e32 v31, 31, v30
	v_mul_lo_u32 v34, v31, s30
	v_mul_lo_u32 v35, v30, s31
	v_mad_u64_u32 v[30:31], s[20:21], v30, s30, 0
	v_add3_u32 v31, v31, v35, v34
	v_add_u32_e32 v34, 3, v40
	v_ashrrev_i32_e32 v35, 31, v34
	v_mul_lo_u32 v40, v35, s30
	v_mul_lo_u32 v41, v34, s31
	v_mad_u64_u32 v[34:35], s[20:21], v34, s30, 0
	s_add_u32 s20, s42, s66
	s_addc_u32 s21, s43, 0
	s_lshl_b64 s[20:21], s[20:21], 8
	v_lshl_add_u64 v[26:27], v[26:27], 2, s[44:45]
	v_lshl_add_u64 v[28:29], v[28:29], 2, s[44:45]
	v_add3_u32 v35, v35, v41, v40
	v_lshl_add_u64 v[40:41], v[64:65], 0, s[20:21]
	v_lshl_add_u64 v[30:31], v[30:31], 2, s[44:45]
	v_lshl_add_u64 v[40:41], v[40:41], 0, v[62:63]
	global_load_dword v42, v[26:27], off
	global_load_ushort v43, v[40:41], off offset:256
	global_load_ushort v44, v[40:41], off
	global_load_ushort v45, v[40:41], off offset:768
	global_load_ushort v46, v[40:41], off offset:512
	v_lshl_add_u64 v[26:27], v[34:35], 2, s[44:45]
	global_load_dword v47, v[28:29], off
	global_load_dword v48, v[30:31], off
	;; [unrolled: 1-line block ×3, first 2 shown]
	ds_read_b64 v[26:27], v102 offset:3072
	ds_read_b64 v[28:29], v103 offset:3072
	global_load_ushort v50, v[40:41], off offset:800
	global_load_ushort v51, v[40:41], off offset:544
	;; [unrolled: 1-line block ×3, first 2 shown]
	s_nop 0
	global_load_ushort v40, v[40:41], off offset:32
	s_load_dword s20, s[46:47], 0x0
	v_mfma_f32_16x16x16_bf16 a[4:7], v[36:37], v[32:33], a[4:7]
	s_and_b64 vcc, exec, s[0:1]
	v_mov_b32_e32 v41, 0
	s_waitcnt vmcnt(11) lgkmcnt(0)
	v_sub_f32_e32 v36, s20, v42
	v_mfma_f32_16x16x16_bf16 a[0:3], v[38:39], v[26:27], a[0:3]
	v_mul_f32_e32 v36, 0x3fb8aa3b, v36
	v_exp_f32_e32 v36, v36
	s_waitcnt vmcnt(6)
	v_sub_f32_e32 v37, s20, v47
	v_mfma_f32_16x16x16_bf16 a[4:7], v[38:39], v[28:29], a[4:7]
	s_waitcnt vmcnt(5)
	v_sub_f32_e32 v38, s20, v48
	s_waitcnt vmcnt(4)
	v_sub_f32_e32 v39, s20, v49
	v_mul_f32_e32 v37, 0x3fb8aa3b, v37
	v_mul_f32_e32 v38, 0x3fb8aa3b, v38
	;; [unrolled: 1-line block ×3, first 2 shown]
	v_exp_f32_e32 v37, v37
	v_exp_f32_e32 v38, v38
	v_exp_f32_e32 v39, v39
	v_accvgpr_read_b32 v31, a1
	v_accvgpr_read_b32 v27, a3
	;; [unrolled: 1-line block ×4, first 2 shown]
	v_lshlrev_b32_e32 v33, 16, v43
	v_lshlrev_b32_e32 v32, 16, v44
	v_lshlrev_b32_e32 v35, 16, v45
	v_lshlrev_b32_e32 v34, 16, v46
	v_pk_add_f32 v[30:31], v[32:33], v[30:31] neg_lo:[0,1] neg_hi:[0,1]
	v_pk_add_f32 v[26:27], v[34:35], v[26:27] neg_lo:[0,1] neg_hi:[0,1]
	v_pk_mul_f32 v[30:31], v[36:37], v[30:31]
	v_pk_mul_f32 v[26:27], v[38:39], v[26:27]
	v_accvgpr_read_b32 v33, a5
	v_perm_b32 v27, v27, v26, s37
	v_perm_b32 v26, v31, v30, s37
	s_waitcnt vmcnt(1)
	v_lshlrev_b32_e32 v31, 16, v52
	s_waitcnt vmcnt(0)
	v_lshlrev_b32_e32 v30, 16, v40
	v_accvgpr_read_b32 v32, a4
	v_accvgpr_read_b32 v29, a7
	;; [unrolled: 1-line block ×3, first 2 shown]
	v_pk_add_f32 v[30:31], v[30:31], v[32:33] neg_lo:[0,1] neg_hi:[0,1]
	v_lshlrev_b32_e32 v33, 16, v50
	v_lshlrev_b32_e32 v32, 16, v51
	v_pk_add_f32 v[28:29], v[32:33], v[28:29] neg_lo:[0,1] neg_hi:[0,1]
	v_pk_mul_f32 v[30:31], v[36:37], v[30:31]
	v_pk_mul_f32 v[28:29], v[38:39], v[28:29]
	v_mov_b32_e32 v32, 0
	v_perm_b32 v29, v29, v28, s37
	v_perm_b32 v28, v31, v30, s37
	ds_write2_b64 v89, v[26:27], v[28:29] offset1:16
	v_mov_b32_e32 v26, 0
	v_mov_b32_e32 v27, 0
	;; [unrolled: 1-line block ×14, first 2 shown]
	s_cbranch_vccnz .LBB346_15
; %bb.14:                               ;   in Loop: Header=BB346_7 Depth=1
	s_and_b32 s25, s25, 0xffff
	s_mov_b32 s27, s23
	buffer_load_dwordx4 v[38:41], v107, s[24:27], 0 offen
	buffer_load_dwordx4 v[30:33], v107, s[24:27], s65 offen
	;; [unrolled: 1-line block ×4, first 2 shown]
	v_mov_b32_e32 v121, v81
	v_mov_b32_e32 v122, v80
.LBB346_15:                             ;   in Loop: Header=BB346_7 Depth=1
	s_waitcnt lgkmcnt(0)
	s_barrier
	ds_read_b64 v[46:47], v109
	ds_read_b64 v[128:129], v106
	;; [unrolled: 1-line block ×5, first 2 shown]
	ds_read_b64 v[142:143], v103 offset:3072
	ds_read2_b64 v[42:45], v102 offset0:16 offset1:128
	s_waitcnt lgkmcnt(5)
	v_mfma_f32_16x16x16_bf16 a[0:3], v[46:47], v[128:129], 0
	ds_read2st64_b64 v[48:51], v103 offset0:2 offset1:4
	s_add_i32 s21, s61, s71
	s_mul_hi_i32 s25, s21, s13
	s_waitcnt lgkmcnt(1)
	v_mfma_f32_16x16x16_bf16 a[4:7], v[46:47], v[42:43], 0
	ds_read_b64 v[46:47], v114
	s_mul_i32 s21, s21, s13
	s_add_u32 s24, s21, s33
	s_waitcnt lgkmcnt(1)
	v_mfma_f32_16x16x16_bf16 a[4:7], v[130:131], v[48:49], a[4:7]
	s_addc_u32 s25, s25, s48
	s_add_i32 s21, s3, s66
	s_lshl_b64 s[24:25], s[24:25], 15
	s_mul_hi_i32 s27, s21, s13
	s_mul_i32 s21, s21, s13
	s_add_u32 s46, s21, s33
	v_mfma_f32_16x16x16_bf16 a[8:11], v[132:133], v[50:51], a[4:7]
	s_addc_u32 s47, s27, s48
	ds_read2st64_b64 v[124:127], v102 offset0:4 offset1:6
	s_lshl_b64 s[46:47], s[46:47], 9
	s_waitcnt lgkmcnt(1)
	v_mfma_f32_16x16x16_bf16 a[4:7], v[46:47], v[128:129], 0
	s_add_u32 s46, s16, s46
	s_addc_u32 s47, s17, s47
	v_mfma_f32_16x16x16_bf16 a[0:3], v[130:131], v[44:45], a[0:3]
	ds_read_b64 v[130:131], v115
	ds_read_b64 v[138:139], v116
	;; [unrolled: 1-line block ×3, first 2 shown]
	v_mfma_f32_16x16x16_bf16 a[12:15], v[46:47], v[42:43], 0
	s_waitcnt lgkmcnt(2)
	v_mfma_f32_16x16x16_bf16 a[4:7], v[130:131], v[44:45], a[4:7]
	global_load_dwordx4 v[42:45], v113, s[46:47]
	v_mfma_f32_16x16x16_bf16 a[12:15], v[130:131], v[48:49], a[12:15]
	global_load_dwordx4 v[46:49], v61, s[46:47]
	ds_read2st64_b64 v[128:131], v104 offset1:8
	s_waitcnt lgkmcnt(0)
	v_mov_b32_e32 v136, v128
	v_mfma_f32_16x16x16_bf16 a[0:3], v[132:133], v[124:125], a[0:3]
	ds_read2st64_b64 v[132:135], v105 offset1:8
	v_mov_b32_e32 v137, v129
	v_mfma_f32_16x16x16_bf16 a[16:19], v[138:139], v[124:125], a[4:7]
	v_lshl_add_u64 v[124:125], v[66:67], 0, s[24:25]
	v_mfma_f32_16x16x16_bf16 a[20:23], v[138:139], v[50:51], a[12:15]
	v_add_co_u32_e32 v50, vcc, s35, v124
	s_waitcnt lgkmcnt(0)
	v_mov_b32_e32 v138, v132
	v_mfma_f32_16x16x16_bf16 a[4:7], v[140:141], v[126:127], a[0:3]
	v_mov_b32_e32 v139, v133
	v_mov_b32_e32 v132, v130
	;; [unrolled: 1-line block ×3, first 2 shown]
	v_mfma_f32_16x16x16_bf16 a[8:11], v[140:141], v[142:143], a[8:11]
	v_addc_co_u32_e32 v51, vcc, 0, v125, vcc
	global_store_dwordx4 v[50:51], v[132:135], off
	v_mfma_f32_16x16x16_bf16 a[12:15], v[144:145], v[126:127], a[16:19]
	s_and_b64 vcc, exec, s[0:1]
	global_store_dwordx4 v[124:125], v[136:139], off
	s_waitcnt vmcnt(3)
	v_mov_b32_e32 v52, v45
	v_mfma_f32_16x16x16_bf16 a[0:3], v[144:145], v[142:143], a[20:23]
	v_mov_b32_e32 v51, v44
	v_mov_b32_e32 v50, v43
	s_cbranch_vccnz .LBB346_17
; %bb.16:                               ;   in Loop: Header=BB346_7 Depth=1
	v_lshrrev_b32_e32 v43, 3, v121
	v_and_b32_e32 v43, 6, v43
	v_xor_b32_e32 v44, v43, v122
	v_lshlrev_b32_e32 v44, 2, v44
	v_and_b32_e32 v45, 8, v121
	v_xor_b32_e32 v121, 0x440, v44
	v_cmp_eq_u32_e32 vcc, 0, v45
	v_perm_b32 v45, v30, v26, s67
	s_nop 0
	v_cndmask_b32_e32 v44, v121, v44, vcc
	v_lshl_or_b32 v43, v43, 10, v44
	v_perm_b32 v44, v38, v34, s67
	s_barrier
	ds_write2st64_b32 v43, v44, v45 offset0:32 offset1:64
	v_xor_b32_e32 v44, 8, v43
	v_perm_b32 v34, v38, v34, s68
	v_perm_b32 v26, v30, v26, s68
	v_add_u32_e32 v30, 0x80, v44
	ds_write2st64_b32 v30, v34, v26 offset0:32 offset1:64
	v_xor_b32_e32 v26, 16, v43
	v_perm_b32 v30, v39, v35, s67
	v_perm_b32 v34, v31, v27, s67
	ds_write2st64_b32 v26, v30, v34 offset0:33 offset1:65
	v_xor_b32_e32 v26, 24, v43
	v_perm_b32 v30, v39, v35, s68
	v_perm_b32 v27, v31, v27, s68
	v_add_u32_e32 v26, 0x80, v26
	ds_write2st64_b32 v26, v30, v27 offset0:33 offset1:65
	v_xor_b32_e32 v26, 32, v43
	v_perm_b32 v27, v40, v36, s67
	v_perm_b32 v30, v32, v28, s67
	;; [unrolled: 9-line block ×3, first 2 shown]
	ds_write2st64_b32 v26, v27, v28 offset0:35 offset1:67
	v_xor_b32_e32 v26, 56, v43
	v_perm_b32 v27, v41, v37, s68
	v_perm_b32 v28, v33, v29, s68
	v_add_u32_e32 v26, 0x80, v26
	ds_write2st64_b32 v26, v27, v28 offset0:35 offset1:67
	ds_write_b64 v120, v[22:23] offset:24576
	v_xor_b32_e32 v22, 8, v120
	ds_write_b64 v22, v[24:25] offset:24576
	ds_write_b64 v120, v[18:19] offset:32768
	;; [unrolled: 1-line block ×4, first 2 shown]
	v_xor_b32_e32 v14, 8, v119
	ds_write_b64 v14, v[16:17] offset:24576
	ds_write_b64 v119, v[10:11] offset:32768
	;; [unrolled: 1-line block ×3, first 2 shown]
.LBB346_17:                             ;   in Loop: Header=BB346_7 Depth=1
	v_mul_f32_e32 v14, s20, v118
	v_exp_f32_e32 v26, v14
	s_waitcnt vmcnt(2)
	v_mul_f32_e32 v14, 0x3fb8aa3b, v46
	v_exp_f32_e32 v28, v14
	v_mul_f32_e32 v14, 0x3fb8aa3b, v47
	v_exp_f32_e32 v29, v14
	;; [unrolled: 2-line block ×4, first 2 shown]
	v_accvgpr_read_b32 v21, a7
	v_accvgpr_read_b32 v19, a5
	;; [unrolled: 1-line block ×4, first 2 shown]
	v_pk_mul_f32 v[28:29], v[26:27], v[28:29] op_sel_hi:[0,1]
	v_accvgpr_read_b32 v12, a10
	v_pk_fma_f32 v[2:3], v[2:3], v[28:29], v[18:19]
	v_pk_mul_f32 v[18:19], v[26:27], v[30:31] op_sel_hi:[0,1]
	v_accvgpr_read_b32 v20, a6
	v_accvgpr_read_b32 v11, a9
	v_accvgpr_read_b32 v10, a8
	v_fma_f32 v76, v76, v18, v12
	v_mul_f32_e32 v12, 0x3fb8aa3b, v51
	v_pk_fma_f32 v[4:5], v[4:5], v[18:19], v[20:21]
	v_fma_f32 v74, v74, v28, v10
	v_fma_f32 v75, v75, v29, v11
	v_mul_f32_e32 v10, 0x3fb8aa3b, v42
	v_mul_f32_e32 v11, 0x3fb8aa3b, v50
	v_exp_f32_e32 v20, v12
	v_mul_f32_e32 v12, 0x3fb8aa3b, v52
	v_exp_f32_e32 v10, v10
	v_exp_f32_e32 v11, v11
	;; [unrolled: 1-line block ×3, first 2 shown]
	v_accvgpr_read_b32 v25, a15
	v_accvgpr_read_b32 v17, a3
	;; [unrolled: 1-line block ×8, first 2 shown]
	v_fmac_f32_e32 v13, v85, v19
	v_pk_mul_f32 v[10:11], v[26:27], v[10:11] op_sel_hi:[0,1]
	v_pk_mul_f32 v[18:19], v[26:27], v[20:21] op_sel_hi:[0,1]
	s_add_i32 s66, s66, 64
	v_pk_fma_f32 v[6:7], v[6:7], v[10:11], v[22:23]
	v_pk_fma_f32 v[8:9], v[8:9], v[18:19], v[24:25]
	v_fma_f32 v77, v77, v10, v14
	v_fma_f32 v78, v78, v11, v15
	;; [unrolled: 1-line block ×3, first 2 shown]
	s_cmp_eq_u32 s58, s70
	v_fmac_f32_e32 v17, v83, v19
	s_cbranch_scc1 .LBB346_19
; %bb.18:                               ;   in Loop: Header=BB346_7 Depth=1
	s_mov_b32 s71, s70
	v_mov_b32_e32 v85, v13
	v_mov_b32_e32 v83, v17
	s_branch .LBB346_7
.LBB346_19:
	v_mov_b32_e32 v16, v79
	v_mov_b32_e32 v15, v78
	;; [unrolled: 1-line block ×3, first 2 shown]
.LBB346_20:
	s_lshl_b32 s43, s58, 6
	s_sub_i32 s46, s12, s43
	v_mov_b32_e32 v12, v76
	v_mov_b32_e32 v11, v75
	;; [unrolled: 1-line block ×3, first 2 shown]
	s_cmp_gt_i32 s46, 0
	s_cbranch_scc0 .LBB346_85
; %bb.21:
	s_ashr_i32 s3, s43, 31
	s_cmpk_lg_i32 s15, 0x80
	s_cselect_b64 s[26:27], -1, 0
	s_and_b64 vcc, exec, s[26:27]
	s_cbranch_vccz .LBB346_23
; %bb.22:
	s_mul_hi_i32 s0, s57, s12
	s_add_u32 s1, s49, s43
	s_addc_u32 s0, s0, s3
	s_mul_i32 s20, s1, s59
	s_mul_hi_u32 s21, s1, s14
	s_add_i32 s20, s21, s20
	s_mul_i32 s0, s0, s14
	s_add_i32 s20, s20, s0
	s_mul_i32 s1, s1, s14
	s_ashr_i32 s0, s60, 31
	s_add_u32 s44, s1, s60
	s_addc_u32 s45, s20, s0
	s_cbranch_execz .LBB346_24
	s_branch .LBB346_25
.LBB346_23:
                                        ; implicit-def: $sgpr44_sgpr45
.LBB346_24:
	s_mul_hi_i32 s0, s57, s14
	s_mul_i32 s57, s57, s14
	s_ashr_i32 s1, s60, 31
	s_add_u32 s14, s57, s60
	s_addc_u32 s0, s0, s1
	s_mul_i32 s1, s14, s56
	s_mul_hi_u32 s20, s14, s12
	s_add_i32 s1, s20, s1
	s_mul_i32 s0, s0, s12
	s_add_i32 s1, s1, s0
	s_mul_i32 s14, s14, s12
	s_add_u32 s44, s14, s43
	s_addc_u32 s45, s1, s3
.LBB346_25:
	s_mul_i32 s0, s40, s56
	s_add_i32 s0, s62, s0
	s_add_i32 s14, s61, s58
	;; [unrolled: 1-line block ×3, first 2 shown]
	s_add_u32 s0, s42, s43
	v_lshlrev_b32_e32 v22, 5, v72
	v_lshlrev_b32_e32 v38, 2, v69
	s_addc_u32 s1, s1, s3
	s_mov_b32 s3, 0x7060302
	v_or_b32_e32 v25, v22, v38
	v_xor_b32_e32 v23, v72, v38
	v_perm_b32 v19, v5, v4, s3
	v_perm_b32 v18, v3, v2, s3
	;; [unrolled: 1-line block ×4, first 2 shown]
	v_lshlrev_b32_e32 v25, 1, v25
	v_xor_b32_e32 v24, v73, v38
	ds_write2st64_b64 v25, v[18:19], v[20:21] offset0:80 offset1:88
	v_lshlrev_b32_e32 v23, 1, v23
	v_lshlrev_b32_e32 v25, 8, v69
	s_lshl_b64 s[24:25], s[0:1], 8
	v_or_b32_e32 v26, v23, v25
	v_lshlrev_b32_e32 v24, 1, v24
	s_add_u32 s0, s6, s24
	ds_write_b64 v26, v[18:19]
	v_or_b32_e32 v18, v24, v25
	s_addc_u32 s1, s7, s25
	ds_write_b64 v18, v[20:21]
	v_perm_b32 v19, v13, v12, s3
	v_perm_b32 v18, v11, v10, s3
	;; [unrolled: 1-line block ×4, first 2 shown]
	v_or_b32_e32 v25, 16, v69
	s_mul_hi_i32 s3, s14, s13
	s_mul_i32 s14, s14, s13
	v_lshlrev_b32_e32 v35, 2, v25
	s_add_u32 s6, s14, s33
	v_or_b32_e32 v22, v22, v35
	s_addc_u32 s7, s3, s48
	v_lshlrev_b32_e32 v22, 1, v22
	s_ashr_i32 s3, s2, 31
	s_lshl_b64 s[6:7], s[6:7], 15
	ds_write2st64_b64 v22, v[18:19], v[20:21] offset0:80 offset1:88
	v_lshlrev_b32_e32 v22, 8, v25
	s_add_u32 s6, s38, s6
	v_or_b32_e32 v23, v23, v22
	s_addc_u32 s7, s39, s7
	s_lshl_b64 s[2:3], s[2:3], 8
	ds_write_b64 v23, v[18:19]
	v_or_b32_e32 v18, v24, v22
	s_add_u32 s2, s6, s2
	ds_write_b64 v18, v[20:21]
	v_lshrrev_b32_e32 v18, 4, v0
	s_addc_u32 s3, s7, s3
	v_lshlrev_b32_e32 v19, 1, v69
	v_lshlrev_b32_e32 v26, 4, v69
	v_mov_b32_e32 v27, 0
	v_or_b32_e32 v20, 1, v19
	v_xor_b32_e32 v19, v18, v19
	v_lshl_add_u64 v[28:29], s[2:3], 0, v[26:27]
	v_lshlrev_b32_e32 v26, 8, v18
	v_xor_b32_e32 v22, v20, v18
	v_lshl_or_b32 v18, v19, 3, v26
	s_waitcnt lgkmcnt(0)
	s_barrier
	ds_read2st64_b64 v[18:21], v18 offset1:8
	v_lshl_or_b32 v22, v22, 3, v26
	ds_read2st64_b64 v[22:25], v22 offset1:8
	v_lshl_add_u64 v[30:31], v[28:29], 0, v[26:27]
	s_movk_i32 s2, 0x1000
	s_waitcnt lgkmcnt(1)
	v_mov_b32_e32 v26, v18
	v_add_co_u32_e32 v18, vcc, s2, v30
	s_cmp_lg_u32 s46, 64
	v_mov_b32_e32 v27, v19
	v_addc_co_u32_e32 v19, vcc, 0, v31, vcc
	s_cselect_b64 s[6:7], -1, 0
	v_lshl_or_b32 v42, v1, 3, v71
	s_waitcnt lgkmcnt(0)
	v_mov_b32_e32 v28, v22
	v_mov_b32_e32 v29, v23
	;; [unrolled: 1-line block ×4, first 2 shown]
	s_mov_b32 s20, 0
	v_or_b32_e32 v36, 32, v42
	v_and_b32_e32 v34, 56, v70
	s_and_b64 vcc, exec, s[6:7]
	global_store_dwordx4 v[30:31], v[26:29], off
	global_store_dwordx4 v[18:19], v[22:25], off
	s_cbranch_vccz .LBB346_31
; %bb.26:
	s_mov_b32 s22, s20
	s_mov_b32 s23, s20
	;; [unrolled: 1-line block ×3, first 2 shown]
	v_mov_b64_e32 v[24:25], s[22:23]
	v_mov_b64_e32 v[22:23], s[20:21]
	;; [unrolled: 1-line block ×3, first 2 shown]
	v_cmp_gt_i32_e32 vcc, s46, v42
	v_mov_b64_e32 v[20:21], v[24:25]
	s_and_saveexec_b64 s[2:3], vcc
	s_cbranch_execz .LBB346_28
; %bb.27:
	v_lshlrev_b32_e32 v18, 8, v42
	v_mov_b32_e32 v19, 0
	v_lshl_add_u64 v[20:21], s[0:1], 0, v[18:19]
	v_lshlrev_b32_e32 v18, 1, v34
	v_lshl_add_u64 v[26:27], v[20:21], 0, v[18:19]
	global_load_dwordx4 v[22:25], v[26:27], off
	global_load_dwordx4 v[18:21], v[26:27], off offset:128
.LBB346_28:
	s_or_b64 exec, exec, s[2:3]
	s_mov_b32 s22, s20
	s_mov_b32 s23, s20
	;; [unrolled: 1-line block ×3, first 2 shown]
	v_mov_b64_e32 v[32:33], s[22:23]
	v_mov_b64_e32 v[30:31], s[20:21]
	;; [unrolled: 1-line block ×3, first 2 shown]
	v_cmp_gt_i32_e32 vcc, s46, v36
	v_lshlrev_b32_e32 v37, 7, v36
	v_mov_b64_e32 v[28:29], v[32:33]
	s_and_saveexec_b64 s[2:3], vcc
	s_cbranch_execz .LBB346_30
; %bb.29:
	v_lshlrev_b32_e32 v26, 1, v37
	v_mov_b32_e32 v27, 0
	v_lshl_add_u64 v[28:29], s[0:1], 0, v[26:27]
	v_lshlrev_b32_e32 v26, 1, v34
	v_lshl_add_u64 v[40:41], v[28:29], 0, v[26:27]
	global_load_dwordx4 v[30:33], v[40:41], off
	global_load_dwordx4 v[26:29], v[40:41], off offset:128
.LBB346_30:
	s_or_b64 exec, exec, s[2:3]
	v_lshrrev_b32_e32 v39, 3, v34
	v_lshlrev_b32_e32 v40, 3, v42
	v_or_b32_e32 v39, v40, v39
	v_lshlrev_b32_e32 v39, 4, v39
	v_and_b32_e32 v40, 0x78, v40
	v_xor_b32_e32 v39, v39, v40
	s_branch .LBB346_33
.LBB346_31:
                                        ; implicit-def: $vgpr39
                                        ; implicit-def: $vgpr37
                                        ; implicit-def: $vgpr22_vgpr23_vgpr24_vgpr25
                                        ; implicit-def: $vgpr18_vgpr19_vgpr20_vgpr21
                                        ; implicit-def: $vgpr30_vgpr31_vgpr32_vgpr33
                                        ; implicit-def: $vgpr26_vgpr27_vgpr28_vgpr29
	s_cbranch_execz .LBB346_33
; %bb.32:
	s_waitcnt vmcnt(0)
	v_lshlrev_b32_e32 v18, 1, v34
	v_lshl_or_b32 v37, v42, 8, v18
	s_and_b32 s1, s1, 0xffff
	s_mov_b32 s3, 0x20000
	s_movk_i32 s2, 0x4000
	v_lshl_or_b32 v39, v36, 8, v18
	s_movk_i32 s14, 0x80
	buffer_load_dwordx4 v[22:25], v37, s[0:3], 0 offen
	buffer_load_dwordx4 v[18:21], v37, s[0:3], s14 offen
	;; [unrolled: 1-line block ×4, first 2 shown]
	v_lshrrev_b32_e32 v37, 3, v34
	v_lshlrev_b32_e32 v39, 3, v42
	v_or_b32_e32 v37, v39, v37
	v_lshlrev_b32_e32 v37, 4, v37
	v_and_b32_e32 v39, 0x78, v39
	v_xor_b32_e32 v39, v37, v39
	v_lshlrev_b32_e32 v37, 7, v36
.LBB346_33:
	s_lshl_b64 s[0:1], s[44:45], 8
	s_add_u32 s4, s4, s0
	s_movk_i32 s0, 0x1000
	v_and_or_b32 v36, v37, s0, v39
	s_waitcnt vmcnt(1)
	ds_write_b64 v39, v[22:23] offset:24576
	v_xor_b32_e32 v22, 8, v39
	ds_write_b64 v22, v[24:25] offset:24576
	s_waitcnt vmcnt(0)
	ds_write_b64 v39, v[18:19] offset:32768
	ds_write_b64 v22, v[20:21] offset:32768
	;; [unrolled: 1-line block ×3, first 2 shown]
	v_xor_b32_e32 v18, 8, v36
	ds_write_b64 v18, v[32:33] offset:24576
	ds_write_b64 v36, v[26:27] offset:32768
	ds_write_b64 v18, v[28:29] offset:32768
	v_or_b32_e32 v18, v53, v69
	v_lshlrev_b32_e32 v18, 3, v18
	v_lshrrev_b32_e32 v19, 5, v55
	s_movk_i32 s2, 0xf8
	v_and_or_b32 v19, v18, s2, v19
	v_lshlrev_b32_e32 v23, 4, v19
	v_lshlrev_b32_e32 v39, 11, v1
	v_and_b32_e32 v24, 0x78, v18
	v_or_b32_e32 v26, 32, v23
	v_and_b32_e32 v22, 0x1000, v39
	v_lshrrev_b32_e32 v19, 1, v55
	v_xor_b32_e32 v26, v26, v24
	v_xor_b32_e32 v18, v23, v24
	v_and_b32_e32 v25, 8, v19
	v_or_b32_e32 v26, v26, v22
	v_or_b32_e32 v18, v18, v22
	v_xor_b32_e32 v44, v26, v25
	v_or_b32_e32 v26, 64, v23
	v_xor_b32_e32 v43, v18, v25
	v_xor_b32_e32 v26, v26, v24
	s_waitcnt lgkmcnt(0)
	s_barrier
	v_or_b32_e32 v28, v26, v22
	ds_read_b64 v[26:27], v43 offset:24576
	v_lshl_or_b32 v36, v68, 7, v38
	v_lshlrev_b32_e32 v40, 1, v36
	v_add_u32_e32 v18, 0xa000, v40
	ds_read2_b64 v[18:21], v18 offset1:16
	v_or_b32_e32 v23, 0x60, v23
	v_xor_b32_e32 v23, v23, v24
	s_waitcnt lgkmcnt(0)
	v_mfma_f32_16x16x16_bf16 a[0:3], v[26:27], v[18:19], 0
	v_or_b32_e32 v18, 64, v36
	v_or_b32_e32 v22, v23, v22
	v_lshlrev_b32_e32 v41, 1, v18
	v_xor_b32_e32 v45, v28, v25
	v_xor_b32_e32 v46, v22, v25
	ds_read_b64 v[28:29], v44 offset:24576
	ds_read_b64 v[30:31], v45 offset:24576
	;; [unrolled: 1-line block ×3, first 2 shown]
	v_mfma_f32_16x16x16_bf16 a[4:7], v[26:27], v[20:21], 0
	ds_read2st64_b64 v[18:21], v41 offset0:82 offset1:84
	ds_read2st64_b64 v[22:25], v40 offset0:82 offset1:84
	s_addc_u32 s5, s5, s1
	s_add_i32 s0, s51, s50
	s_add_i32 s14, s12, -1
	s_add_i32 s35, s0, s55
	s_add_i32 s0, s53, s52
	;; [unrolled: 1-line block ×3, first 2 shown]
	s_ashr_i32 s0, s14, 31
	s_mul_i32 s1, s14, s31
	s_mul_hi_u32 s2, s14, s30
	s_add_i32 s1, s2, s1
	s_mul_i32 s0, s0, s30
	s_waitcnt lgkmcnt(1)
	v_mfma_f32_16x16x16_bf16 a[4:7], v[28:29], v[18:19], a[4:7]
	s_add_i32 s1, s1, s0
	s_lshl_b64 s[2:3], s[34:35], 2
	s_add_u32 s10, s10, s2
	s_waitcnt lgkmcnt(0)
	v_mfma_f32_16x16x16_bf16 a[0:3], v[28:29], v[22:23], a[0:3]
	s_addc_u32 s11, s11, s3
	s_lshl_b64 s[2:3], s[36:37], 2
	s_mul_i32 s0, s14, s30
	s_add_u32 s10, s10, s2
	ds_read_b64 v[18:19], v40 offset:44032
	v_mfma_f32_16x16x16_bf16 a[4:7], v[30:31], v[20:21], a[4:7]
	ds_read_b64 v[20:21], v41 offset:44032
	s_addc_u32 s11, s11, s3
	s_lshl_b64 s[0:1], s[0:1], 2
	v_mfma_f32_16x16x16_bf16 a[0:3], v[30:31], v[24:25], a[0:3]
	s_add_u32 s0, s10, s0
	s_addc_u32 s1, s11, s1
	s_load_dword s12, s[0:1], 0x0
	s_waitcnt lgkmcnt(0)
	v_mfma_f32_16x16x16_bf16 a[0:3], v[32:33], v[18:19], a[0:3]
	s_and_b64 vcc, exec, s[26:27]
	v_mfma_f32_16x16x16_bf16 a[4:7], v[32:33], v[20:21], a[4:7]
	s_cbranch_vccz .LBB346_44
; %bb.34:
	v_lshlrev_b32_e32 v36, 1, v42
	s_and_b64 vcc, exec, s[6:7]
	s_cbranch_vccz .LBB346_45
; %bb.35:
	v_cmp_gt_i32_e32 vcc, s46, v36
	v_mov_b32_e32 v22, 0
	v_mov_b32_e32 v18, 0
	;; [unrolled: 1-line block ×5, first 2 shown]
	s_and_saveexec_b64 s[0:1], vcc
	s_cbranch_execz .LBB346_37
; %bb.36:
	v_mad_i64_i32 v[18:19], s[2:3], s15, v36, 0
	v_lshl_add_u64 v[18:19], v[18:19], 1, s[4:5]
	v_lshlrev_b32_e32 v20, 1, v34
	v_mov_b32_e32 v21, 0
	v_lshl_add_u64 v[18:19], v[18:19], 0, v[20:21]
	global_load_dwordx4 v[18:21], v[18:19], off
.LBB346_37:
	s_or_b64 exec, exec, s[0:1]
	v_or_b32_e32 v37, 1, v36
	v_cmp_gt_i32_e64 s[0:1], s46, v37
	v_mov_b32_e32 v23, 0
	v_mov_b32_e32 v24, 0
	v_mov_b32_e32 v25, 0
	s_and_saveexec_b64 s[2:3], s[0:1]
	s_cbranch_execz .LBB346_39
; %bb.38:
	v_mad_i64_i32 v[22:23], s[20:21], s15, v37, 0
	v_lshl_add_u64 v[22:23], v[22:23], 1, s[4:5]
	v_lshlrev_b32_e32 v24, 1, v34
	v_mov_b32_e32 v25, 0
	v_lshl_add_u64 v[22:23], v[22:23], 0, v[24:25]
	global_load_dwordx4 v[22:25], v[22:23], off
.LBB346_39:
	s_or_b64 exec, exec, s[2:3]
	v_mov_b32_e32 v33, 0
	v_mov_b32_e32 v26, 0
	;; [unrolled: 1-line block ×5, first 2 shown]
	s_and_saveexec_b64 s[2:3], vcc
	s_cbranch_execz .LBB346_41
; %bb.40:
	v_mad_i64_i32 v[26:27], s[20:21], s15, v36, 0
	v_lshl_add_u64 v[26:27], v[26:27], 1, s[4:5]
	v_lshlrev_b32_e32 v28, 1, v34
	v_mov_b32_e32 v29, 0
	v_lshl_add_u64 v[26:27], v[26:27], 0, v[28:29]
	global_load_dwordx4 v[26:29], v[26:27], off offset:128
.LBB346_41:
	s_or_b64 exec, exec, s[2:3]
	v_mov_b32_e32 v32, 0
	v_mov_b32_e32 v31, 0
	;; [unrolled: 1-line block ×3, first 2 shown]
	s_and_saveexec_b64 s[2:3], s[0:1]
	s_cbranch_execz .LBB346_43
; %bb.42:
	v_mad_i64_i32 v[30:31], s[0:1], s15, v37, 0
	v_lshl_add_u64 v[30:31], v[30:31], 1, s[4:5]
	v_lshlrev_b32_e32 v32, 1, v34
	v_mov_b32_e32 v33, 0
	v_lshl_add_u64 v[30:31], v[30:31], 0, v[32:33]
	global_load_dwordx4 v[30:33], v[30:31], off offset:128
.LBB346_43:
	s_or_b64 exec, exec, s[2:3]
	s_branch .LBB346_47
.LBB346_44:
                                        ; implicit-def: $vgpr21
                                        ; implicit-def: $vgpr25
                                        ; implicit-def: $vgpr29
                                        ; implicit-def: $vgpr33
	v_lshrrev_b32_e32 v47, 2, v55
	s_branch .LBB346_48
.LBB346_45:
                                        ; implicit-def: $vgpr21
                                        ; implicit-def: $vgpr25
                                        ; implicit-def: $vgpr29
                                        ; implicit-def: $vgpr33
	s_cbranch_execz .LBB346_47
; %bb.46:
	s_waitcnt vmcnt(0)
	v_mad_u64_u32 v[18:19], s[0:1], v36, s15, v[34:35]
	v_lshlrev_b32_e32 v36, 1, v18
	s_lshl_b32 s2, s15, 7
	s_and_b32 s1, s5, 0xffff
	s_mov_b32 s3, 0x20000
	s_mov_b32 s0, s4
	v_add_lshl_u32 v37, v18, s15, 1
	s_movk_i32 s15, 0x80
	buffer_load_dwordx4 v[18:21], v36, s[0:3], 0 offen
	buffer_load_dwordx4 v[26:29], v36, s[0:3], s15 offen
	;; [unrolled: 1-line block ×4, first 2 shown]
.LBB346_47:
	v_lshrrev_b32_e32 v47, 2, v55
	s_cbranch_execnz .LBB346_60
.LBB346_48:
	s_and_b64 vcc, exec, s[6:7]
	s_cbranch_vccz .LBB346_58
; %bb.49:
	s_waitcnt vmcnt(0)
	v_lshlrev_b32_e32 v23, 1, v42
	v_cmp_gt_i32_e32 vcc, s46, v23
	v_mov_b32_e32 v22, 0
	v_lshlrev_b32_e32 v30, 9, v42
	v_mov_b32_e32 v18, 0
	v_mov_b32_e32 v19, 0
	v_mov_b32_e32 v20, 0
	v_mov_b32_e32 v21, 0
	s_and_saveexec_b64 s[0:1], vcc
	s_cbranch_execz .LBB346_51
; %bb.50:
	v_mov_b32_e32 v31, 0
	v_lshl_add_u64 v[18:19], s[4:5], 0, v[30:31]
	v_lshlrev_b32_e32 v20, 1, v34
	v_mov_b32_e32 v21, v31
	v_lshl_add_u64 v[18:19], v[18:19], 0, v[20:21]
	global_load_dwordx4 v[18:21], v[18:19], off
.LBB346_51:
	s_or_b64 exec, exec, s[0:1]
	v_or_b32_e32 v23, 1, v23
	v_cmp_gt_i32_e64 s[0:1], s46, v23
	v_lshlrev_b32_e32 v36, 8, v23
	v_mov_b32_e32 v23, 0
	v_mov_b32_e32 v24, 0
	;; [unrolled: 1-line block ×3, first 2 shown]
	s_and_saveexec_b64 s[2:3], s[0:1]
	s_cbranch_execz .LBB346_53
; %bb.52:
	v_mov_b32_e32 v37, 0
	v_lshl_add_u64 v[22:23], s[4:5], 0, v[36:37]
	v_lshlrev_b32_e32 v24, 1, v34
	v_mov_b32_e32 v25, v37
	v_lshl_add_u64 v[22:23], v[22:23], 0, v[24:25]
	global_load_dwordx4 v[22:25], v[22:23], off
.LBB346_53:
	s_or_b64 exec, exec, s[2:3]
	v_mov_b32_e32 v33, 0
	v_mov_b32_e32 v26, 0
	;; [unrolled: 1-line block ×5, first 2 shown]
	s_and_saveexec_b64 s[2:3], vcc
	s_cbranch_execz .LBB346_55
; %bb.54:
	v_mov_b32_e32 v31, 0
	v_lshl_add_u64 v[26:27], s[4:5], 0, v[30:31]
	v_lshlrev_b32_e32 v30, 1, v34
	v_lshl_add_u64 v[26:27], v[26:27], 0, v[30:31]
	global_load_dwordx4 v[26:29], v[26:27], off offset:128
.LBB346_55:
	s_or_b64 exec, exec, s[2:3]
	v_mov_b32_e32 v32, 0
	v_mov_b32_e32 v31, 0
	;; [unrolled: 1-line block ×3, first 2 shown]
	s_and_saveexec_b64 s[2:3], s[0:1]
	s_cbranch_execz .LBB346_57
; %bb.56:
	v_mov_b32_e32 v37, 0
	v_lshl_add_u64 v[30:31], s[4:5], 0, v[36:37]
	v_lshlrev_b32_e32 v36, 1, v34
	v_lshl_add_u64 v[30:31], v[30:31], 0, v[36:37]
	global_load_dwordx4 v[30:33], v[30:31], off offset:128
.LBB346_57:
	s_or_b64 exec, exec, s[2:3]
	s_branch .LBB346_60
.LBB346_58:
                                        ; implicit-def: $vgpr21
                                        ; implicit-def: $vgpr25
                                        ; implicit-def: $vgpr29
                                        ; implicit-def: $vgpr33
	s_cbranch_execz .LBB346_60
; %bb.59:
	s_waitcnt vmcnt(0)
	v_lshlrev_b32_e32 v18, 1, v34
	v_lshl_or_b32 v34, v42, 9, v18
	s_and_b32 s5, s5, 0xffff
	s_mov_b32 s7, 0x20000
	s_movk_i32 s6, 0x4000
	s_movk_i32 s0, 0x80
	buffer_load_dwordx4 v[18:21], v34, s[4:7], 0 offen
	buffer_load_dwordx4 v[22:25], v34, s[4:7], 0 offen offset:256
	buffer_load_dwordx4 v[26:29], v34, s[4:7], s0 offen
	buffer_load_dwordx4 v[30:33], v34, s[4:7], s0 offen offset:256
.LBB346_60:
	ds_read_b64 v[36:37], v43 offset:32768
	v_add_u32_e32 v34, 0xb000, v40
	ds_read2_b64 v[48:51], v34 offset1:16
	ds_read_b64 v[66:67], v44 offset:32768
	ds_read_b64 v[44:45], v45 offset:32768
	;; [unrolled: 1-line block ×3, first 2 shown]
	ds_read2st64_b64 v[62:65], v41 offset0:90 offset1:92
	v_and_b32_e32 v43, 6, v0
	v_and_b32_e32 v34, 12, v47
	v_xor_b32_e32 v42, v42, v43
	v_lshlrev_b32_e32 v42, 2, v42
	s_mov_b32 s0, 0x1000504
	s_waitcnt lgkmcnt(4)
	v_mfma_f32_16x16x16_bf16 a[0:3], v[36:37], v[48:49], a[0:3]
	s_mov_b32 s1, 0x3020706
	v_mfma_f32_16x16x16_bf16 a[4:7], v[36:37], v[50:51], a[4:7]
	ds_read2st64_b64 v[48:51], v40 offset0:90 offset1:92
	ds_read_b64 v[36:37], v40 offset:48128
	ds_read_b64 v[46:47], v41 offset:48128
	s_waitcnt lgkmcnt(2)
	v_mfma_f32_16x16x16_bf16 a[0:3], v[66:67], v[48:49], a[0:3]
	v_and_b32_e32 v48, 1, v0
	v_xor_b32_e32 v49, 0x440, v42
	v_cmp_eq_u32_e32 vcc, 0, v48
	v_mfma_f32_16x16x16_bf16 a[4:7], v[66:67], v[62:63], a[4:7]
	s_nop 0
	v_cndmask_b32_e32 v42, v49, v42, vcc
	v_lshl_or_b32 v42, v43, 10, v42
	v_mfma_f32_16x16x16_bf16 a[0:3], v[44:45], v[50:51], a[0:3]
	v_mfma_f32_16x16x16_bf16 a[8:11], v[44:45], v[64:65], a[4:7]
	s_waitcnt lgkmcnt(1)
	v_mfma_f32_16x16x16_bf16 a[4:7], v[68:69], v[36:37], a[0:3]
	s_waitcnt vmcnt(0)
	v_perm_b32 v36, v18, v22, s0
	v_perm_b32 v37, v26, v30, s0
	ds_write2st64_b32 v42, v36, v37 offset0:32 offset1:64
	v_xor_b32_e32 v36, 8, v42
	v_perm_b32 v18, v18, v22, s1
	v_perm_b32 v22, v26, v30, s1
	v_add_u32_e32 v26, 0x80, v36
	ds_write2st64_b32 v26, v18, v22 offset0:32 offset1:64
	v_xor_b32_e32 v18, 16, v42
	v_perm_b32 v22, v19, v23, s0
	v_perm_b32 v26, v27, v31, s0
	ds_write2st64_b32 v18, v22, v26 offset0:33 offset1:65
	v_xor_b32_e32 v18, 24, v42
	v_perm_b32 v19, v19, v23, s1
	v_perm_b32 v22, v27, v31, s1
	v_add_u32_e32 v18, 0x80, v18
	ds_write2st64_b32 v18, v19, v22 offset0:33 offset1:65
	v_xor_b32_e32 v18, 32, v42
	v_perm_b32 v19, v20, v24, s0
	v_perm_b32 v22, v28, v32, s0
	ds_write2st64_b32 v18, v19, v22 offset0:34 offset1:66
	v_xor_b32_e32 v18, 40, v42
	s_waitcnt lgkmcnt(5)
	v_mfma_f32_16x16x16_bf16 a[0:3], v[68:69], v[46:47], a[8:11]
	v_perm_b32 v19, v20, v24, s1
	v_perm_b32 v20, v28, v32, s1
	v_add_u32_e32 v18, 0x80, v18
	ds_write2st64_b32 v18, v19, v20 offset0:34 offset1:66
	v_xor_b32_e32 v18, 48, v42
	v_perm_b32 v19, v21, v25, s0
	v_perm_b32 v20, v29, v33, s0
	ds_write2st64_b32 v18, v19, v20 offset0:35 offset1:67
	v_xor_b32_e32 v18, 56, v42
	v_or_b32_e32 v32, v34, v53
	v_perm_b32 v19, v21, v25, s1
	v_perm_b32 v20, v29, v33, s1
	v_add_u32_e32 v18, 0x80, v18
	v_cmp_gt_i32_e32 vcc, s46, v32
	v_mov_b32_e32 v33, 0
	v_mov_b32_e32 v37, 0
	ds_write2st64_b32 v18, v19, v20 offset0:35 offset1:67
	s_and_saveexec_b64 s[0:1], vcc
	s_cbranch_execz .LBB346_62
; %bb.61:
	v_add_u32_e32 v18, s43, v32
	v_ashrrev_i32_e32 v19, 31, v18
	v_mul_lo_u32 v20, v19, s30
	v_mul_lo_u32 v21, v18, s31
	v_mad_u64_u32 v[18:19], s[2:3], v18, s30, 0
	v_add3_u32 v19, v19, v21, v20
	v_lshl_add_u64 v[18:19], v[18:19], 2, s[10:11]
	global_load_dword v18, v[18:19], off
	s_waitcnt vmcnt(0)
	v_sub_f32_e32 v18, s12, v18
	v_mul_f32_e32 v18, 0x3fb8aa3b, v18
	v_exp_f32_e32 v37, v18
.LBB346_62:
	s_or_b64 exec, exec, s[0:1]
	v_or_b32_e32 v26, 1, v32
	v_cmp_gt_i32_e64 s[0:1], s46, v26
	s_and_saveexec_b64 s[2:3], s[0:1]
	s_cbranch_execz .LBB346_64
; %bb.63:
	v_add_u32_e32 v18, s43, v26
	v_ashrrev_i32_e32 v19, 31, v18
	v_mul_lo_u32 v20, v19, s30
	v_mul_lo_u32 v21, v18, s31
	v_mad_u64_u32 v[18:19], s[4:5], v18, s30, 0
	v_add3_u32 v19, v19, v21, v20
	v_lshl_add_u64 v[18:19], v[18:19], 2, s[10:11]
	global_load_dword v18, v[18:19], off
	s_waitcnt vmcnt(0)
	v_sub_f32_e32 v18, s12, v18
	v_mul_f32_e32 v18, 0x3fb8aa3b, v18
	v_exp_f32_e32 v33, v18
.LBB346_64:
	s_or_b64 exec, exec, s[2:3]
	v_or_b32_e32 v27, 2, v32
	v_cmp_gt_i32_e64 s[2:3], s46, v27
	v_mov_b32_e32 v36, 0
	v_mov_b32_e32 v42, 0
	s_and_saveexec_b64 s[4:5], s[2:3]
	s_cbranch_execz .LBB346_66
; %bb.65:
	v_add_u32_e32 v18, s43, v27
	v_ashrrev_i32_e32 v19, 31, v18
	v_mul_lo_u32 v20, v19, s30
	v_mul_lo_u32 v21, v18, s31
	v_mad_u64_u32 v[18:19], s[6:7], v18, s30, 0
	v_add3_u32 v19, v19, v21, v20
	v_lshl_add_u64 v[18:19], v[18:19], 2, s[10:11]
	global_load_dword v18, v[18:19], off
	s_waitcnt vmcnt(0)
	v_sub_f32_e32 v18, s12, v18
	v_mul_f32_e32 v18, 0x3fb8aa3b, v18
	v_exp_f32_e32 v42, v18
.LBB346_66:
	s_or_b64 exec, exec, s[4:5]
	v_or_b32_e32 v43, 3, v32
	v_cmp_gt_i32_e64 s[4:5], s46, v43
	s_and_saveexec_b64 s[6:7], s[4:5]
	s_cbranch_execz .LBB346_68
; %bb.67:
	v_add_u32_e32 v18, s43, v43
	v_ashrrev_i32_e32 v19, 31, v18
	v_mul_lo_u32 v20, v19, s30
	v_mul_lo_u32 v21, v18, s31
	v_mad_u64_u32 v[18:19], s[20:21], v18, s30, 0
	v_add3_u32 v19, v19, v21, v20
	v_lshl_add_u64 v[18:19], v[18:19], 2, s[10:11]
	global_load_dword v18, v[18:19], off
	s_waitcnt vmcnt(0)
	v_sub_f32_e32 v18, s12, v18
	v_mul_f32_e32 v18, 0x3fb8aa3b, v18
	v_exp_f32_e32 v36, v18
.LBB346_68:
	s_or_b64 exec, exec, s[6:7]
	s_add_u32 s6, s8, s24
	v_accvgpr_read_b32 v21, a7
	s_addc_u32 s7, s9, s25
	v_ashrrev_i32_e32 v61, 31, v60
	v_accvgpr_read_b32 v20, a6
	v_accvgpr_read_b32 v19, a5
	;; [unrolled: 1-line block ×3, first 2 shown]
	v_lshl_add_u64 v[22:23], v[60:61], 1, s[6:7]
	v_mov_b32_e32 v29, 0
	v_lshlrev_b32_e32 v24, 8, v32
	v_mov_b32_e32 v25, 0
	s_and_saveexec_b64 s[6:7], vcc
	s_cbranch_execz .LBB346_70
; %bb.69:
	v_mov_b32_e32 v25, 0
	v_lshl_add_u64 v[30:31], v[22:23], 0, v[24:25]
	global_load_ushort v25, v[30:31], off
	s_waitcnt vmcnt(0)
	v_lshlrev_b32_e32 v25, 16, v25
	v_sub_f32_e32 v18, v25, v18
	v_mul_f32_e32 v18, v37, v18
	v_lshrrev_b32_e32 v25, 16, v18
.LBB346_70:
	s_or_b64 exec, exec, s[6:7]
	v_lshlrev_b32_e32 v28, 8, v26
	s_and_saveexec_b64 s[6:7], s[0:1]
	s_cbranch_execz .LBB346_72
; %bb.71:
	v_mov_b32_e32 v29, 0
	v_lshl_add_u64 v[30:31], v[22:23], 0, v[28:29]
	global_load_ushort v18, v[30:31], off
	s_waitcnt vmcnt(0)
	v_lshlrev_b32_e32 v18, 16, v18
	v_sub_f32_e32 v18, v18, v19
	v_mul_f32_e32 v18, v33, v18
	v_lshrrev_b32_e32 v29, 16, v18
.LBB346_72:
	s_or_b64 exec, exec, s[6:7]
	v_mov_b32_e32 v44, 0
	v_lshlrev_b32_e32 v30, 8, v27
	v_mov_b32_e32 v31, 0
	s_and_saveexec_b64 s[6:7], s[2:3]
	s_cbranch_execz .LBB346_74
; %bb.73:
	v_mov_b32_e32 v31, 0
	v_lshl_add_u64 v[18:19], v[22:23], 0, v[30:31]
	global_load_ushort v18, v[18:19], off
	s_waitcnt vmcnt(0)
	v_lshlrev_b32_e32 v18, 16, v18
	v_sub_f32_e32 v18, v18, v20
	v_mul_f32_e32 v18, v42, v18
	v_lshrrev_b32_e32 v31, 16, v18
.LBB346_74:
	s_or_b64 exec, exec, s[6:7]
	v_lshlrev_b32_e32 v26, 8, v43
	s_and_saveexec_b64 s[6:7], s[4:5]
	s_cbranch_execz .LBB346_76
; %bb.75:
	v_mov_b32_e32 v27, 0
	v_lshl_add_u64 v[18:19], v[22:23], 0, v[26:27]
	global_load_ushort v18, v[18:19], off
	s_waitcnt vmcnt(0)
	v_lshlrev_b32_e32 v18, 16, v18
	v_sub_f32_e32 v18, v18, v21
	v_mul_f32_e32 v18, v36, v18
	v_lshrrev_b32_e32 v44, 16, v18
.LBB346_76:
	s_or_b64 exec, exec, s[6:7]
	v_lshlrev_b32_e32 v43, 5, v32
	s_mov_b32 s6, 0x5040100
	v_perm_b32 v45, v44, v31, s6
	v_perm_b32 v44, v29, v25, s6
	v_or_b32_e32 v25, v43, v38
	v_accvgpr_read_b32 v21, a3
	v_lshlrev_b32_e32 v25, 1, v25
	v_accvgpr_read_b32 v20, a2
	v_accvgpr_read_b32 v19, a1
	;; [unrolled: 1-line block ×3, first 2 shown]
	ds_write_b64 v25, v[44:45] offset:45056
	v_mov_b32_e32 v29, 0
	v_mov_b32_e32 v25, 0
	s_and_saveexec_b64 s[6:7], vcc
	s_cbranch_execz .LBB346_78
; %bb.77:
	v_mov_b32_e32 v25, 0
	v_lshl_add_u64 v[24:25], v[22:23], 0, v[24:25]
	global_load_ushort v24, v[24:25], off offset:32
	s_waitcnt vmcnt(0)
	v_lshlrev_b32_e32 v24, 16, v24
	v_sub_f32_e32 v18, v24, v18
	v_mul_f32_e32 v18, v37, v18
	v_lshrrev_b32_e32 v25, 16, v18
.LBB346_78:
	s_or_b64 exec, exec, s[6:7]
	s_and_saveexec_b64 s[6:7], s[0:1]
	s_cbranch_execz .LBB346_80
; %bb.79:
	v_mov_b32_e32 v29, 0
	v_lshl_add_u64 v[28:29], v[22:23], 0, v[28:29]
	global_load_ushort v18, v[28:29], off offset:32
	s_waitcnt vmcnt(0)
	v_lshlrev_b32_e32 v18, 16, v18
	v_sub_f32_e32 v18, v18, v19
	v_mul_f32_e32 v18, v33, v18
	v_lshrrev_b32_e32 v29, 16, v18
.LBB346_80:
	s_or_b64 exec, exec, s[6:7]
	v_mov_b32_e32 v24, 0
	v_mov_b32_e32 v28, 0
	s_and_saveexec_b64 s[0:1], s[2:3]
	s_cbranch_execz .LBB346_82
; %bb.81:
	v_mov_b32_e32 v31, 0
	v_lshl_add_u64 v[18:19], v[22:23], 0, v[30:31]
	global_load_ushort v18, v[18:19], off offset:32
	s_waitcnt vmcnt(0)
	v_lshlrev_b32_e32 v18, 16, v18
	v_sub_f32_e32 v18, v18, v20
	v_mul_f32_e32 v18, v42, v18
	v_lshrrev_b32_e32 v28, 16, v18
.LBB346_82:
	s_or_b64 exec, exec, s[0:1]
	v_or_b32_e32 v19, 0xb000, v40
	v_or_b32_e32 v18, 0xb000, v41
	s_and_saveexec_b64 s[0:1], s[4:5]
	s_cbranch_execz .LBB346_84
; %bb.83:
	v_mov_b32_e32 v27, 0
	v_lshl_add_u64 v[22:23], v[22:23], 0, v[26:27]
	global_load_ushort v20, v[22:23], off offset:32
	s_waitcnt vmcnt(0)
	v_lshlrev_b32_e32 v20, 16, v20
	v_sub_f32_e32 v20, v20, v21
	v_mul_f32_e32 v20, v36, v20
	v_lshrrev_b32_e32 v24, 16, v20
.LBB346_84:
	s_or_b64 exec, exec, s[0:1]
	s_mov_b32 s0, 0x5040100
	v_or_b32_e32 v22, v43, v35
	v_perm_b32 v21, v24, v28, s0
	v_perm_b32 v20, v29, v25, s0
	v_lshlrev_b32_e32 v22, 1, v22
	s_movk_i32 s2, 0x100
	ds_write_b64 v22, v[20:21] offset:45056
	v_and_b32_e32 v20, 7, v0
	v_and_b32_e32 v21, 8, v0
	v_cmp_gt_u32_e32 vcc, s2, v0
	v_lshrrev_b32_e32 v0, 1, v0
	v_lshlrev_b32_e32 v26, 3, v20
	v_lshlrev_b32_e32 v48, 7, v20
	v_mov_b32_e32 v20, 0x4000
	v_mov_b32_e32 v22, 0x2000
	v_lshlrev_b32_e32 v24, 3, v1
	v_and_b32_e32 v0, 24, v0
	v_cndmask_b32_e32 v27, v20, v22, vcc
	v_xor_b32_e32 v20, v24, v0
	v_or_b32_e32 v22, 0x440, v20
	v_cmp_eq_u32_e32 vcc, 0, v21
	v_or_b32_e32 v28, 32, v0
	v_xor_b32_e32 v28, v24, v28
	v_cndmask_b32_e32 v20, v22, v20, vcc
	v_or_b32_e32 v20, v20, v39
	v_xor_b32_e32 v49, v20, v26
	v_or_b32_e32 v29, 0x440, v28
	v_add3_u32 v25, v27, v49, v48
	v_cndmask_b32_e32 v28, v29, v28, vcc
	v_or_b32_e32 v29, 64, v0
	v_or_b32_e32 v0, 0x60, v0
	s_waitcnt lgkmcnt(0)
	s_barrier
	v_xor_b32_e32 v29, v24, v29
	v_xor_b32_e32 v0, v24, v0
	ds_read_b64 v[24:25], v25
	v_xor_b32_e32 v30, 0x440, v29
	ds_read2_b64 v[20:23], v19 offset1:16
	v_cndmask_b32_e32 v29, v30, v29, vcc
	v_xor_b32_e32 v30, 0x440, v0
	v_or_b32_e32 v28, v28, v39
	v_or_b32_e32 v29, v29, v39
	v_cndmask_b32_e32 v0, v30, v0, vcc
	s_add_i32 s0, s14, s49
	v_xor_b32_e32 v50, v28, v26
	v_xor_b32_e32 v51, v29, v26
	v_or_b32_e32 v0, v0, v39
	s_mul_hi_i32 s1, s0, s13
	v_add3_u32 v28, v27, v50, v48
	v_add3_u32 v29, v27, v51, v48
	v_xor_b32_e32 v52, v0, v26
	s_mul_i32 s0, s0, s13
	v_add3_u32 v0, v27, v52, v48
	ds_read_b64 v[26:27], v28
	ds_read_b64 v[40:41], v29
	;; [unrolled: 1-line block ×3, first 2 shown]
	s_add_u32 s0, s0, s33
	ds_read2st64_b64 v[28:31], v19 offset0:2 offset1:4
	ds_read2st64_b64 v[36:39], v18 offset0:2 offset1:4
	s_waitcnt lgkmcnt(5)
	v_mfma_f32_16x16x16_bf16 a[0:3], v[24:25], v[20:21], 0
	s_addc_u32 s1, s1, s48
	s_lshl_b64 s[0:1], s[0:1], 9
	s_add_u32 s0, s16, s0
	v_mfma_f32_16x16x16_bf16 a[4:7], v[24:25], v[22:23], 0
	s_addc_u32 s1, s17, s1
	v_lshlrev_b32_e32 v0, 2, v32
	ds_read_b64 v[44:45], v19 offset:3072
	ds_read_b64 v[46:47], v18 offset:3072
	s_waitcnt lgkmcnt(3)
	v_mfma_f32_16x16x16_bf16 a[0:3], v[26:27], v[28:29], a[0:3]
	s_waitcnt lgkmcnt(2)
	v_mfma_f32_16x16x16_bf16 a[4:7], v[26:27], v[36:37], a[4:7]
	global_load_dwordx4 v[24:27], v0, s[0:1]
	v_lshlrev_b32_e32 v0, 6, v1
	v_lshlrev_b32_e32 v1, 2, v34
	v_or3_b32 v0, v0, v1, s2
	global_load_dwordx4 v[32:35], v0, s[0:1]
	v_mfma_f32_16x16x16_bf16 a[0:3], v[40:41], v[30:31], a[0:3]
	v_mov_b32_e32 v0, 0x3fb8aa3b
	v_mul_f32_e32 v0, s12, v0
	s_waitcnt vmcnt(1)
	v_mul_f32_e32 v18, 0x3fb8aa3b, v26
	v_mfma_f32_16x16x16_bf16 a[4:7], v[40:41], v[38:39], a[4:7]
	v_exp_f32_e32 v40, v0
	v_mul_f32_e32 v0, 0x3fb8aa3b, v24
	v_exp_f32_e32 v24, v18
	s_waitcnt lgkmcnt(1)
	v_mfma_f32_16x16x16_bf16 a[0:3], v[42:43], v[44:45], a[0:3]
	v_add_u32_e32 v18, v49, v48
	v_mul_f32_e32 v19, 0x3fb8aa3b, v27
	v_mul_f32_e32 v1, 0x3fb8aa3b, v25
	v_exp_f32_e32 v0, v0
	v_exp_f32_e32 v1, v1
	;; [unrolled: 1-line block ×3, first 2 shown]
	v_pk_mul_f32 v[0:1], v[40:41], v[0:1] op_sel_hi:[0,1]
	v_accvgpr_read_b32 v27, a3
	v_accvgpr_read_b32 v26, a2
	s_waitcnt lgkmcnt(0)
	v_mfma_f32_16x16x16_bf16 a[2:5], v[42:43], v[46:47], a[4:7]
	ds_read_b64 v[42:43], v18 offset:16384
	v_accvgpr_read_b32 v19, a1
	v_accvgpr_read_b32 v18, a0
	v_pk_fma_f32 v[18:19], v[2:3], v[0:1], v[18:19]
	v_add_u32_e32 v2, v50, v48
	v_add_u32_e32 v50, v52, v48
	s_waitcnt lgkmcnt(0)
	v_mfma_f32_16x16x16_bf16 a[6:9], v[42:43], v[20:21], 0
	v_add_u32_e32 v41, v51, v48
	ds_read_b64 v[2:3], v2 offset:16384
	ds_read_b64 v[48:49], v41 offset:16384
	;; [unrolled: 1-line block ×3, first 2 shown]
	v_pk_mul_f32 v[24:25], v[40:41], v[24:25] op_sel_hi:[0,1]
	v_pk_fma_f32 v[20:21], v[4:5], v[24:25], v[26:27]
	v_accvgpr_read_b32 v4, a2
	v_mfma_f32_16x16x16_bf16 a[10:13], v[42:43], v[22:23], 0
	v_fma_f32 v26, v10, v0, v4
	v_accvgpr_read_b32 v0, a3
	v_fma_f32 v27, v11, v1, v0
	s_waitcnt lgkmcnt(2)
	v_mfma_f32_16x16x16_bf16 a[0:3], v[2:3], v[28:29], a[6:9]
	v_accvgpr_read_b32 v0, a4
	v_accvgpr_read_b32 v29, a5
	v_fma_f32 v28, v12, v24, v0
	v_mfma_f32_16x16x16_bf16 a[4:7], v[2:3], v[36:37], a[10:13]
	s_waitcnt vmcnt(0)
	v_mov_b32_e32 v0, v33
	v_mov_b32_e32 v1, v34
	;; [unrolled: 1-line block ×3, first 2 shown]
	s_waitcnt lgkmcnt(1)
	v_mfma_f32_16x16x16_bf16 a[0:3], v[48:49], v[30:31], a[0:3]
	v_mul_f32_e32 v0, 0x3fb8aa3b, v0
	v_exp_f32_e32 v5, v0
	v_mul_f32_e32 v0, 0x3fb8aa3b, v1
	v_mfma_f32_16x16x16_bf16 a[4:7], v[48:49], v[38:39], a[4:7]
	v_mul_f32_e32 v1, 0x3fb8aa3b, v2
	v_mul_f32_e32 v3, 0x3fb8aa3b, v32
	v_exp_f32_e32 v0, v0
	s_waitcnt lgkmcnt(0)
	v_mfma_f32_16x16x16_bf16 a[0:3], v[50:51], v[44:45], a[0:3]
	v_exp_f32_e32 v1, v1
	v_exp_f32_e32 v4, v3
	v_fmac_f32_e32 v29, v13, v25
	v_pk_mul_f32 v[0:1], v[40:41], v[0:1] op_sel_hi:[0,1]
	v_pk_mul_f32 v[4:5], v[40:41], v[4:5] op_sel_hi:[0,1]
	s_nop 1
	v_accvgpr_read_b32 v3, a3
	v_accvgpr_read_b32 v2, a2
	v_mfma_f32_16x16x16_bf16 a[2:5], v[50:51], v[46:47], a[4:7]
	v_pk_fma_f32 v[24:25], v[8:9], v[0:1], v[2:3]
	v_accvgpr_read_b32 v11, a1
	v_accvgpr_read_b32 v10, a0
	v_pk_fma_f32 v[22:23], v[6:7], v[4:5], v[10:11]
	s_nop 2
	v_accvgpr_read_b32 v2, a2
	v_fma_f32 v30, v14, v4, v2
	v_accvgpr_read_b32 v2, a3
	v_fma_f32 v31, v15, v5, v2
	v_accvgpr_read_b32 v2, a4
	v_accvgpr_read_b32 v33, a5
	v_fma_f32 v32, v16, v0, v2
	v_fmac_f32_e32 v33, v17, v1
	v_mov_b64_e32 v[2:3], v[18:19]
	v_mov_b64_e32 v[4:5], v[20:21]
	;; [unrolled: 1-line block ×8, first 2 shown]
.LBB346_85:
	s_add_u32 s0, s18, s28
	s_addc_u32 s1, s19, s29
	v_lshl_add_u64 v[0:1], v[56:57], 1, s[0:1]
	v_mov_b32_e32 v55, 0
	s_mov_b32 s2, 0x7060302
	v_lshl_add_u64 v[0:1], v[0:1], 0, v[54:55]
	v_perm_b32 v5, v5, v4, s2
	v_perm_b32 v4, v3, v2, s2
	;; [unrolled: 1-line block ×4, first 2 shown]
	global_store_dwordx2 v[0:1], v[4:5], off
	global_store_dwordx2 v[0:1], v[2:3], off offset:128
	v_lshl_add_u64 v[0:1], v[58:59], 1, s[0:1]
	v_lshl_add_u64 v[0:1], v[0:1], 0, v[54:55]
	v_perm_b32 v3, v13, v12, s2
	v_perm_b32 v2, v11, v10, s2
	global_store_dwordx2 v[0:1], v[2:3], off
	v_perm_b32 v3, v17, v16, s2
	v_perm_b32 v2, v15, v14, s2
	global_store_dwordx2 v[0:1], v[2:3], off offset:128
	s_endpgm
	.section	.rodata,"a",@progbits
	.p2align	6, 0x0
	.amdhsa_kernel _ZN12_GLOBAL__N_139chunk_gated_delta_rule_fwd_h_hip_kernelILi32ELb1ELb1ELb0ELb0ELb0ELb1ELb0ELb1EEEvPK12hip_bfloat16S3_S3_PKfS5_PKvPS1_S8_PvPKiSB_iiiiilll
		.amdhsa_group_segment_fixed_size 49152
		.amdhsa_private_segment_fixed_size 0
		.amdhsa_kernarg_size 136
		.amdhsa_user_sgpr_count 2
		.amdhsa_user_sgpr_dispatch_ptr 0
		.amdhsa_user_sgpr_queue_ptr 0
		.amdhsa_user_sgpr_kernarg_segment_ptr 1
		.amdhsa_user_sgpr_dispatch_id 0
		.amdhsa_user_sgpr_kernarg_preload_length 0
		.amdhsa_user_sgpr_kernarg_preload_offset 0
		.amdhsa_user_sgpr_private_segment_size 0
		.amdhsa_uses_dynamic_stack 0
		.amdhsa_enable_private_segment 0
		.amdhsa_system_sgpr_workgroup_id_x 1
		.amdhsa_system_sgpr_workgroup_id_y 1
		.amdhsa_system_sgpr_workgroup_id_z 0
		.amdhsa_system_sgpr_workgroup_info 0
		.amdhsa_system_vgpr_workitem_id 0
		.amdhsa_next_free_vgpr 172
		.amdhsa_next_free_sgpr 72
		.amdhsa_accum_offset 148
		.amdhsa_reserve_vcc 1
		.amdhsa_float_round_mode_32 0
		.amdhsa_float_round_mode_16_64 0
		.amdhsa_float_denorm_mode_32 3
		.amdhsa_float_denorm_mode_16_64 3
		.amdhsa_dx10_clamp 1
		.amdhsa_ieee_mode 1
		.amdhsa_fp16_overflow 0
		.amdhsa_tg_split 0
		.amdhsa_exception_fp_ieee_invalid_op 0
		.amdhsa_exception_fp_denorm_src 0
		.amdhsa_exception_fp_ieee_div_zero 0
		.amdhsa_exception_fp_ieee_overflow 0
		.amdhsa_exception_fp_ieee_underflow 0
		.amdhsa_exception_fp_ieee_inexact 0
		.amdhsa_exception_int_div_zero 0
	.end_amdhsa_kernel
	.section	.text._ZN12_GLOBAL__N_139chunk_gated_delta_rule_fwd_h_hip_kernelILi32ELb1ELb1ELb0ELb0ELb0ELb1ELb0ELb1EEEvPK12hip_bfloat16S3_S3_PKfS5_PKvPS1_S8_PvPKiSB_iiiiilll,"axG",@progbits,_ZN12_GLOBAL__N_139chunk_gated_delta_rule_fwd_h_hip_kernelILi32ELb1ELb1ELb0ELb0ELb0ELb1ELb0ELb1EEEvPK12hip_bfloat16S3_S3_PKfS5_PKvPS1_S8_PvPKiSB_iiiiilll,comdat
.Lfunc_end346:
	.size	_ZN12_GLOBAL__N_139chunk_gated_delta_rule_fwd_h_hip_kernelILi32ELb1ELb1ELb0ELb0ELb0ELb1ELb0ELb1EEEvPK12hip_bfloat16S3_S3_PKfS5_PKvPS1_S8_PvPKiSB_iiiiilll, .Lfunc_end346-_ZN12_GLOBAL__N_139chunk_gated_delta_rule_fwd_h_hip_kernelILi32ELb1ELb1ELb0ELb0ELb0ELb1ELb0ELb1EEEvPK12hip_bfloat16S3_S3_PKfS5_PKvPS1_S8_PvPKiSB_iiiiilll
                                        ; -- End function
	.section	.AMDGPU.csdata,"",@progbits
; Kernel info:
; codeLenInByte = 9960
; NumSgprs: 78
; NumVgprs: 146
; NumAgprs: 24
; TotalNumVgprs: 172
; ScratchSize: 0
; MemoryBound: 0
; FloatMode: 240
; IeeeMode: 1
; LDSByteSize: 49152 bytes/workgroup (compile time only)
; SGPRBlocks: 9
; VGPRBlocks: 21
; NumSGPRsForWavesPerEU: 78
; NumVGPRsForWavesPerEU: 172
; AccumOffset: 148
; Occupancy: 1
; WaveLimiterHint : 1
; COMPUTE_PGM_RSRC2:SCRATCH_EN: 0
; COMPUTE_PGM_RSRC2:USER_SGPR: 2
; COMPUTE_PGM_RSRC2:TRAP_HANDLER: 0
; COMPUTE_PGM_RSRC2:TGID_X_EN: 1
; COMPUTE_PGM_RSRC2:TGID_Y_EN: 1
; COMPUTE_PGM_RSRC2:TGID_Z_EN: 0
; COMPUTE_PGM_RSRC2:TIDIG_COMP_CNT: 0
; COMPUTE_PGM_RSRC3_GFX90A:ACCUM_OFFSET: 36
; COMPUTE_PGM_RSRC3_GFX90A:TG_SPLIT: 0
	.section	.text._ZN12_GLOBAL__N_139chunk_gated_delta_rule_fwd_h_hip_kernelILi32ELb1ELb0ELb1ELb0ELb0ELb1ELb0ELb1EEEvPK12hip_bfloat16S3_S3_PKfS5_PKvPS1_S8_PvPKiSB_iiiiilll,"axG",@progbits,_ZN12_GLOBAL__N_139chunk_gated_delta_rule_fwd_h_hip_kernelILi32ELb1ELb0ELb1ELb0ELb0ELb1ELb0ELb1EEEvPK12hip_bfloat16S3_S3_PKfS5_PKvPS1_S8_PvPKiSB_iiiiilll,comdat
	.globl	_ZN12_GLOBAL__N_139chunk_gated_delta_rule_fwd_h_hip_kernelILi32ELb1ELb0ELb1ELb0ELb0ELb1ELb0ELb1EEEvPK12hip_bfloat16S3_S3_PKfS5_PKvPS1_S8_PvPKiSB_iiiiilll ; -- Begin function _ZN12_GLOBAL__N_139chunk_gated_delta_rule_fwd_h_hip_kernelILi32ELb1ELb0ELb1ELb0ELb0ELb1ELb0ELb1EEEvPK12hip_bfloat16S3_S3_PKfS5_PKvPS1_S8_PvPKiSB_iiiiilll
	.p2align	8
	.type	_ZN12_GLOBAL__N_139chunk_gated_delta_rule_fwd_h_hip_kernelILi32ELb1ELb0ELb1ELb0ELb0ELb1ELb0ELb1EEEvPK12hip_bfloat16S3_S3_PKfS5_PKvPS1_S8_PvPKiSB_iiiiilll,@function
_ZN12_GLOBAL__N_139chunk_gated_delta_rule_fwd_h_hip_kernelILi32ELb1ELb0ELb1ELb0ELb0ELb1ELb0ELb1EEEvPK12hip_bfloat16S3_S3_PKfS5_PKvPS1_S8_PvPKiSB_iiiiilll: ; @_ZN12_GLOBAL__N_139chunk_gated_delta_rule_fwd_h_hip_kernelILi32ELb1ELb0ELb1ELb0ELb0ELb1ELb0ELb1EEEvPK12hip_bfloat16S3_S3_PKfS5_PKvPS1_S8_PvPKiSB_iiiiilll
; %bb.0:
	s_load_dwordx4 s[12:15], s[0:1], 0x5c
	s_load_dwordx4 s[20:23], s[0:1], 0x70
	s_abs_i32 s6, s3
	s_ashr_i32 s5, s3, 31
	s_load_dwordx4 s[16:19], s[0:1], 0x28
	s_load_dwordx2 s[28:29], s[0:1], 0x38
	s_waitcnt lgkmcnt(0)
	s_abs_i32 s4, s13
	v_cvt_f32_u32_e32 v1, s4
	s_sub_i32 s8, 0, s4
	s_ashr_i32 s7, s13, 31
	s_xor_b32 s5, s5, s7
	v_rcp_iflag_f32_e32 v1, v1
	v_and_b32_e32 v66, 15, v0
	v_lshrrev_b32_e32 v64, 6, v0
	v_bfe_u32 v65, v0, 4, 2
	v_mul_f32_e32 v1, 0x4f7ffffe, v1
	v_cvt_u32_f32_e32 v1, v1
	v_mov_b32_e32 v7, 0
	v_and_b32_e32 v45, 63, v0
	v_lshlrev_b32_e32 v67, 3, v0
	v_readfirstlane_b32 s9, v1
	s_mul_i32 s8, s8, s9
	s_mul_hi_u32 s8, s9, s8
	s_add_i32 s9, s9, s8
	s_mul_hi_u32 s8, s6, s9
	s_mul_i32 s9, s8, s4
	s_sub_i32 s6, s6, s9
	s_add_i32 s10, s8, 1
	s_sub_i32 s9, s6, s4
	s_cmp_ge_u32 s6, s4
	s_cselect_b32 s8, s10, s8
	s_cselect_b32 s6, s9, s6
	s_add_i32 s9, s8, 1
	s_cmp_ge_u32 s6, s4
	s_cselect_b32 s6, s9, s8
	s_xor_b32 s6, s6, s5
	s_add_i32 s8, s12, 63
	s_sub_i32 s53, s6, s5
	s_ashr_i32 s9, s8, 31
	s_mul_i32 s5, s53, s13
	s_sub_i32 s51, s3, s5
	s_lshr_b32 s3, s9, 26
	s_add_i32 s8, s8, s3
	s_abs_i32 s3, s14
	v_cvt_f32_u32_e32 v1, s3
	s_ashr_i32 s52, s12, 31
	s_lshr_b32 s6, s52, 26
	s_add_i32 s6, s12, s6
	v_rcp_iflag_f32_e32 v1, v1
	s_ashr_i32 s56, s14, 31
	s_ashr_i32 s54, s6, 6
	s_lshl_b32 s38, s2, 5
	v_mul_f32_e32 v1, 0x4f7ffffe, v1
	v_cvt_u32_f32_e32 v1, v1
	s_xor_b32 s2, s7, s56
	s_sub_i32 s6, 0, s3
	s_ashr_i32 s25, s8, 6
	v_readfirstlane_b32 s7, v1
	s_mul_i32 s6, s6, s7
	s_mul_hi_u32 s6, s7, s6
	s_add_i32 s7, s7, s6
	s_mul_hi_u32 s6, s4, s7
	s_mul_i32 s7, s6, s3
	s_sub_i32 s4, s4, s7
	s_add_i32 s7, s6, 1
	s_sub_i32 s8, s4, s3
	s_cmp_ge_u32 s4, s3
	s_cselect_b32 s6, s7, s6
	s_cselect_b32 s4, s8, s4
	s_add_i32 s7, s6, 1
	s_cmp_ge_u32 s4, s3
	s_cselect_b32 s3, s7, s6
	s_xor_b32 s3, s3, s2
	s_sub_i32 s2, s3, s2
	s_abs_i32 s3, s2
	v_cvt_f32_u32_e32 v1, s3
	s_sub_i32 s6, 0, s3
	s_abs_i32 s4, s51
	s_xor_b32 s2, s51, s2
	v_rcp_iflag_f32_e32 v1, v1
	s_ashr_i32 s2, s2, 31
	v_or_b32_e32 v46, s38, v66
	v_lshlrev_b32_e32 v2, 7, v46
	v_mul_f32_e32 v1, 0x4f7ffffe, v1
	v_cvt_u32_f32_e32 v1, v1
	v_ashrrev_i32_e32 v3, 31, v2
	v_lshrrev_b32_e32 v68, 3, v45
	s_mul_i32 s33, s53, s21
	v_readfirstlane_b32 s7, v1
	s_mul_i32 s6, s6, s7
	s_mul_hi_u32 s6, s7, s6
	s_add_i32 s7, s7, s6
	s_mul_hi_u32 s6, s4, s7
	s_mul_i32 s7, s6, s3
	s_sub_i32 s4, s4, s7
	s_add_i32 s7, s6, 1
	s_sub_i32 s8, s4, s3
	s_cmp_ge_u32 s4, s3
	s_cselect_b32 s6, s7, s6
	s_cselect_b32 s4, s8, s4
	s_add_i32 s7, s6, 1
	s_cmp_ge_u32 s4, s3
	s_cselect_b32 s3, s7, s6
	s_xor_b32 s3, s3, s2
	s_sub_i32 s57, s3, s2
	s_ashr_i32 s24, s53, 31
	s_ashr_i32 s55, s51, 31
	s_mul_hi_i32 s2, s53, s13
	s_add_u32 s40, s5, s51
	s_addc_u32 s41, s2, s55
	s_lshl_b64 s[2:3], s[40:41], 15
	s_add_u32 s2, s16, s2
	s_addc_u32 s3, s17, s3
	v_lshlrev_b32_e32 v1, 4, v64
	v_lshl_add_u64 v[4:5], v[2:3], 1, s[2:3]
	v_or_b32_e32 v2, 0x800, v2
	v_lshl_or_b32 v69, v65, 2, v1
	v_ashrrev_i32_e32 v3, 31, v2
	v_lshlrev_b32_e32 v6, 1, v69
	v_lshl_add_u64 v[2:3], v[2:3], 1, s[2:3]
	v_lshl_add_u64 v[4:5], v[4:5], 0, v[6:7]
	;; [unrolled: 1-line block ×3, first 2 shown]
	global_load_dwordx2 v[8:9], v[4:5], off
	v_or_b32_e32 v70, 64, v69
	global_load_dwordx2 v[4:5], v[4:5], off offset:128
	s_nop 0
	global_load_dwordx2 v[6:7], v[2:3], off
	global_load_dwordx2 v[10:11], v[2:3], off offset:128
	s_load_dwordx8 s[4:11], s[0:1], 0x0
	s_load_dwordx2 s[30:31], s[0:1], 0x80
	s_mul_hi_u32 s46, s53, s20
	s_mul_i32 s34, s53, s20
	s_mul_i32 s58, s53, s25
	;; [unrolled: 1-line block ×3, first 2 shown]
	s_mul_hi_u32 s48, s51, s22
	s_mul_i32 s50, s24, s20
	s_mul_i32 s49, s55, s22
	s_mul_hi_u32 s59, s40, s12
	s_mul_i32 s16, s40, s12
	s_mul_i32 s41, s41, s12
	s_cmp_lt_i32 s12, 64
	s_mul_i32 s36, s51, s22
	s_waitcnt vmcnt(3)
	v_and_b32_e32 v51, 0xffff0000, v8
	v_lshlrev_b32_e32 v50, 16, v8
	v_and_b32_e32 v55, 0xffff0000, v9
	v_lshlrev_b32_e32 v54, 16, v9
	s_waitcnt vmcnt(2)
	v_and_b32_e32 v49, 0xffff0000, v4
	v_lshlrev_b32_e32 v48, 16, v4
	v_and_b32_e32 v53, 0xffff0000, v5
	v_lshlrev_b32_e32 v52, 16, v5
	;; [unrolled: 5-line block ×4, first 2 shown]
	s_cbranch_scc1 .LBB347_3
; %bb.1:
	s_add_i32 s17, s59, s41
	s_lshl_b64 s[2:3], s[16:17], 8
	v_and_b32_e32 v78, 56, v67
	s_waitcnt lgkmcnt(0)
	s_add_u32 s20, s6, s2
	v_lshl_or_b32 v77, v64, 3, v68
	v_lshlrev_b32_e32 v2, 1, v78
	s_addc_u32 s2, s7, s3
	v_lshl_or_b32 v79, v77, 8, v2
	s_and_b32 s21, s2, 0xffff
	s_mov_b32 s23, 0x20000
	s_movk_i32 s22, 0x4000
	s_movk_i32 s2, 0x80
	v_or_b32_e32 v81, 0x2000, v79
	buffer_load_dwordx4 v[4:7], v79, s[20:23], 0 offen
	buffer_load_dwordx4 v[8:11], v79, s[20:23], s2 offen
	;; [unrolled: 1-line block ×4, first 2 shown]
	v_lshlrev_b32_e32 v3, 3, v77
	v_and_or_b32 v21, v0, 7, v3
	v_and_b32_e32 v3, 0x78, v3
	v_lshlrev_b32_e32 v21, 4, v21
	v_xor_b32_e32 v83, v21, v3
	v_mul_lo_u32 v20, v77, s15
	v_or_b32_e32 v84, 0x1000, v83
	v_xor_b32_e32 v3, 8, v83
	s_cmpk_eq_i32 s15, 0x80
	s_mov_b32 s60, s14
	v_xor_b32_e32 v21, 8, v84
	s_cselect_b64 s[2:3], -1, 0
	s_cmpk_lg_i32 s15, 0x80
	s_waitcnt vmcnt(3)
	ds_write_b64 v83, v[4:5] offset:24576
	ds_write_b64 v3, v[6:7] offset:24576
	s_waitcnt vmcnt(2)
	ds_write_b64 v83, v[8:9] offset:32768
	ds_write_b64 v3, v[10:11] offset:32768
	;; [unrolled: 3-line block ×4, first 2 shown]
	v_lshl_add_u32 v3, v20, 1, v78
	s_cbranch_scc0 .LBB347_29
; %bb.2:
	v_lshlrev_b32_e32 v5, 1, v3
	v_add_lshl_u32 v4, v3, s15, 1
	s_lshl_b32 s22, s15, 7
	s_load_dwordx2 s[42:43], s[0:1], 0x20
	v_lshl_or_b32 v2, v77, 9, v2
	s_cbranch_execz .LBB347_30
	s_branch .LBB347_31
.LBB347_3:
	v_mov_b32_e32 v9, v80
	v_mov_b32_e32 v5, v82
.LBB347_4:
	s_lshl_b32 s26, s54, 6
	s_sub_i32 s27, s12, s26
	s_cmp_gt_i32 s27, 0
	s_cbranch_scc0 .LBB347_84
; %bb.5:
	s_ashr_i32 s2, s26, 31
	s_cmpk_lg_i32 s15, 0x80
	s_cselect_b64 s[22:23], -1, 0
	s_and_b64 vcc, exec, s[22:23]
	s_cbranch_vccz .LBB347_7
; %bb.6:
	s_mul_i32 s1, s53, s12
	s_mul_hi_i32 s0, s53, s12
	s_add_u32 s1, s1, s26
	s_addc_u32 s0, s0, s2
	s_mul_i32 s3, s1, s56
	s_mul_hi_u32 s17, s1, s14
	s_add_i32 s3, s17, s3
	s_mul_i32 s0, s0, s14
	s_add_i32 s3, s3, s0
	s_mul_i32 s1, s1, s14
	s_ashr_i32 s0, s57, 31
	s_add_u32 s24, s1, s57
	s_addc_u32 s25, s3, s0
	s_cbranch_execz .LBB347_8
	s_branch .LBB347_9
.LBB347_7:
                                        ; implicit-def: $sgpr24_sgpr25
.LBB347_8:
	s_mul_hi_i32 s0, s53, s14
	s_mul_i32 s53, s53, s14
	s_ashr_i32 s1, s57, 31
	s_add_u32 s3, s53, s57
	s_addc_u32 s0, s0, s1
	s_mul_i32 s1, s3, s52
	s_mul_hi_u32 s14, s3, s12
	s_add_i32 s1, s14, s1
	s_mul_i32 s0, s0, s12
	s_add_i32 s1, s1, s0
	s_mul_i32 s3, s3, s12
	s_add_u32 s24, s3, s26
	s_addc_u32 s25, s1, s2
.LBB347_9:
	s_mul_i32 s0, s40, s52
	s_add_i32 s0, s59, s0
	s_add_i32 s3, s58, s54
	;; [unrolled: 1-line block ×3, first 2 shown]
	s_add_u32 s0, s16, s26
	v_lshlrev_b32_e32 v8, 5, v69
	v_lshlrev_b32_e32 v22, 2, v66
	s_addc_u32 s1, s1, s2
	s_mov_b32 s2, 0x7060302
	v_or_b32_e32 v11, v8, v22
	v_xor_b32_e32 v4, v69, v22
	v_perm_b32 v3, v55, v54, s2
	v_perm_b32 v2, v51, v50, s2
	v_perm_b32 v7, v53, v52, s2
	v_perm_b32 v6, v49, v48, s2
	v_lshlrev_b32_e32 v11, 1, v11
	s_lshl_b64 s[20:21], s[0:1], 8
	v_xor_b32_e32 v10, v70, v22
	ds_write2st64_b64 v11, v[2:3], v[6:7] offset0:80 offset1:88
	v_lshlrev_b32_e32 v11, 1, v4
	v_lshlrev_b32_e32 v4, 8, v66
	s_waitcnt lgkmcnt(0)
	s_add_u32 s0, s6, s20
	v_or_b32_e32 v12, v11, v4
	v_lshlrev_b32_e32 v10, 1, v10
	s_addc_u32 s1, s7, s21
	ds_write_b64 v12, v[2:3]
	v_or_b32_e32 v2, v10, v4
	s_mul_hi_i32 s6, s3, s13
	s_mul_i32 s3, s3, s13
	ds_write_b64 v2, v[6:7]
	v_perm_b32 v3, v5, v75, s2
	v_perm_b32 v2, v71, v73, s2
	v_perm_b32 v5, v9, v76, s2
	v_perm_b32 v4, v72, v74, s2
	v_or_b32_e32 v6, 16, v66
	s_add_u32 s2, s3, s51
	v_lshlrev_b32_e32 v19, 2, v6
	s_addc_u32 s3, s6, s55
	v_or_b32_e32 v7, v8, v19
	s_ashr_i32 s39, s38, 31
	s_lshl_b64 s[2:3], s[2:3], 15
	v_lshlrev_b32_e32 v7, 1, v7
	v_lshlrev_b32_e32 v6, 8, v6
	s_add_u32 s6, s18, s2
	ds_write2st64_b64 v7, v[2:3], v[4:5] offset0:80 offset1:88
	v_or_b32_e32 v7, v11, v6
	s_addc_u32 s7, s19, s3
	s_lshl_b64 s[2:3], s[38:39], 8
	ds_write_b64 v7, v[2:3]
	v_or_b32_e32 v2, v10, v6
	s_add_u32 s2, s6, s2
	ds_write_b64 v2, v[4:5]
	v_lshrrev_b32_e32 v2, 4, v0
	s_addc_u32 s3, s7, s3
	v_lshlrev_b32_e32 v3, 1, v66
	v_lshlrev_b32_e32 v10, 4, v66
	v_mov_b32_e32 v11, 0
	v_or_b32_e32 v4, 1, v3
	v_xor_b32_e32 v3, v2, v3
	v_lshl_add_u64 v[12:13], s[2:3], 0, v[10:11]
	v_lshlrev_b32_e32 v10, 8, v2
	v_xor_b32_e32 v6, v4, v2
	v_lshl_or_b32 v2, v3, 3, v10
	s_waitcnt lgkmcnt(0)
	s_barrier
	ds_read2st64_b64 v[2:5], v2 offset1:8
	v_lshl_or_b32 v6, v6, 3, v10
	ds_read2st64_b64 v[6:9], v6 offset1:8
	v_lshl_add_u64 v[14:15], v[12:13], 0, v[10:11]
	s_movk_i32 s2, 0x1000
	s_waitcnt lgkmcnt(1)
	v_mov_b32_e32 v10, v2
	v_add_co_u32_e32 v2, vcc, s2, v14
	s_cmp_lg_u32 s27, 64
	v_mov_b32_e32 v11, v3
	v_addc_co_u32_e32 v3, vcc, 0, v15, vcc
	s_cselect_b64 s[6:7], -1, 0
	v_lshl_or_b32 v23, v64, 3, v68
	s_waitcnt lgkmcnt(0)
	v_mov_b32_e32 v12, v6
	v_mov_b32_e32 v13, v7
	;; [unrolled: 1-line block ×4, first 2 shown]
	s_mov_b32 s16, 0
	v_or_b32_e32 v20, 32, v23
	v_and_b32_e32 v18, 56, v67
	s_and_b64 vcc, exec, s[6:7]
	global_store_dwordx4 v[14:15], v[10:13], off
	global_store_dwordx4 v[2:3], v[6:9], off
	s_cbranch_vccz .LBB347_15
; %bb.10:
	s_mov_b32 s17, s16
	s_mov_b32 s18, s16
	;; [unrolled: 1-line block ×3, first 2 shown]
	v_mov_b64_e32 v[6:7], s[16:17]
	v_mov_b64_e32 v[8:9], s[18:19]
	;; [unrolled: 1-line block ×3, first 2 shown]
	v_cmp_gt_i32_e32 vcc, s27, v23
	v_mov_b64_e32 v[4:5], v[8:9]
	s_and_saveexec_b64 s[2:3], vcc
	s_cbranch_execz .LBB347_12
; %bb.11:
	v_lshlrev_b32_e32 v2, 8, v23
	v_mov_b32_e32 v3, 0
	v_lshl_add_u64 v[4:5], s[0:1], 0, v[2:3]
	v_lshlrev_b32_e32 v2, 1, v18
	v_lshl_add_u64 v[10:11], v[4:5], 0, v[2:3]
	global_load_dwordx4 v[6:9], v[10:11], off
	global_load_dwordx4 v[2:5], v[10:11], off offset:128
.LBB347_12:
	s_or_b64 exec, exec, s[2:3]
	s_mov_b32 s17, s16
	s_mov_b32 s18, s16
	;; [unrolled: 1-line block ×3, first 2 shown]
	v_mov_b64_e32 v[14:15], s[16:17]
	v_mov_b64_e32 v[16:17], s[18:19]
	;; [unrolled: 1-line block ×3, first 2 shown]
	v_cmp_gt_i32_e32 vcc, s27, v20
	v_lshlrev_b32_e32 v21, 7, v20
	v_mov_b64_e32 v[12:13], v[16:17]
	s_and_saveexec_b64 s[2:3], vcc
	s_cbranch_execz .LBB347_14
; %bb.13:
	v_lshlrev_b32_e32 v10, 1, v21
	v_mov_b32_e32 v11, 0
	v_lshl_add_u64 v[12:13], s[0:1], 0, v[10:11]
	v_lshlrev_b32_e32 v10, 1, v18
	v_lshl_add_u64 v[24:25], v[12:13], 0, v[10:11]
	global_load_dwordx4 v[14:17], v[24:25], off
	global_load_dwordx4 v[10:13], v[24:25], off offset:128
.LBB347_14:
	s_or_b64 exec, exec, s[2:3]
	v_lshrrev_b32_e32 v24, 3, v18
	v_lshlrev_b32_e32 v25, 3, v23
	v_or_b32_e32 v24, v25, v24
	v_lshlrev_b32_e32 v24, 4, v24
	v_and_b32_e32 v25, 0x78, v25
	v_xor_b32_e32 v24, v24, v25
	s_branch .LBB347_17
.LBB347_15:
                                        ; implicit-def: $vgpr24
                                        ; implicit-def: $vgpr21
                                        ; implicit-def: $vgpr6_vgpr7_vgpr8_vgpr9
                                        ; implicit-def: $vgpr2_vgpr3_vgpr4_vgpr5
                                        ; implicit-def: $vgpr14_vgpr15_vgpr16_vgpr17
                                        ; implicit-def: $vgpr10_vgpr11_vgpr12_vgpr13
	s_cbranch_execz .LBB347_17
; %bb.16:
	s_waitcnt vmcnt(0)
	v_lshlrev_b32_e32 v2, 1, v18
	v_lshl_or_b32 v21, v23, 8, v2
	s_and_b32 s1, s1, 0xffff
	s_mov_b32 s3, 0x20000
	s_movk_i32 s2, 0x4000
	v_lshl_or_b32 v24, v20, 8, v2
	s_movk_i32 s13, 0x80
	buffer_load_dwordx4 v[6:9], v21, s[0:3], 0 offen
	buffer_load_dwordx4 v[2:5], v21, s[0:3], s13 offen
	;; [unrolled: 1-line block ×4, first 2 shown]
	v_lshrrev_b32_e32 v21, 3, v18
	v_lshlrev_b32_e32 v24, 3, v23
	v_or_b32_e32 v21, v24, v21
	v_lshlrev_b32_e32 v21, 4, v21
	v_and_b32_e32 v24, 0x78, v24
	v_xor_b32_e32 v24, v21, v24
	v_lshlrev_b32_e32 v21, 7, v20
.LBB347_17:
	s_lshl_b64 s[0:1], s[24:25], 8
	s_add_u32 s4, s4, s0
	s_movk_i32 s0, 0x1000
	v_and_or_b32 v20, v21, s0, v24
	s_waitcnt vmcnt(1)
	ds_write_b64 v24, v[6:7] offset:24576
	v_xor_b32_e32 v6, 8, v24
	ds_write_b64 v6, v[8:9] offset:24576
	s_waitcnt vmcnt(0)
	ds_write_b64 v24, v[2:3] offset:32768
	ds_write_b64 v6, v[4:5] offset:32768
	;; [unrolled: 1-line block ×3, first 2 shown]
	v_xor_b32_e32 v2, 8, v20
	ds_write_b64 v2, v[16:17] offset:24576
	ds_write_b64 v20, v[10:11] offset:32768
	;; [unrolled: 1-line block ×3, first 2 shown]
	v_or_b32_e32 v2, v1, v66
	v_lshlrev_b32_e32 v3, 11, v64
	v_lshlrev_b32_e32 v2, 3, v2
	v_and_b32_e32 v6, 0x1000, v3
	v_lshrrev_b32_e32 v3, 5, v45
	s_movk_i32 s3, 0xf8
	v_and_or_b32 v3, v2, s3, v3
	v_lshlrev_b32_e32 v7, 4, v3
	v_and_b32_e32 v8, 0x78, v2
	v_or_b32_e32 v10, 32, v7
	v_lshrrev_b32_e32 v3, 1, v45
	v_xor_b32_e32 v10, v10, v8
	v_xor_b32_e32 v2, v7, v8
	v_and_b32_e32 v9, 8, v3
	v_or_b32_e32 v10, v10, v6
	v_or_b32_e32 v2, v2, v6
	v_xor_b32_e32 v26, v10, v9
	v_or_b32_e32 v10, 64, v7
	v_xor_b32_e32 v25, v2, v9
	v_xor_b32_e32 v10, v10, v8
	s_waitcnt lgkmcnt(0)
	s_barrier
	v_or_b32_e32 v12, v10, v6
	ds_read_b64 v[10:11], v25 offset:24576
	v_lshl_or_b32 v20, v65, 7, v22
	v_lshlrev_b32_e32 v24, 1, v20
	v_add_u32_e32 v2, 0xa000, v24
	ds_read2_b64 v[2:5], v2 offset1:16
	v_or_b32_e32 v7, 0x60, v7
	v_xor_b32_e32 v7, v7, v8
	s_waitcnt lgkmcnt(0)
	v_mfma_f32_16x16x16_bf16 a[0:3], v[10:11], v[2:3], 0
	v_or_b32_e32 v2, 64, v20
	v_or_b32_e32 v6, v7, v6
	v_lshlrev_b32_e32 v29, 1, v2
	v_xor_b32_e32 v27, v12, v9
	v_xor_b32_e32 v28, v6, v9
	ds_read_b64 v[12:13], v26 offset:24576
	ds_read_b64 v[14:15], v27 offset:24576
	ds_read_b64 v[16:17], v28 offset:24576
	v_mfma_f32_16x16x16_bf16 a[4:7], v[10:11], v[4:5], 0
	ds_read2st64_b64 v[2:5], v29 offset0:82 offset1:84
	ds_read2st64_b64 v[6:9], v24 offset0:82 offset1:84
	s_addc_u32 s5, s5, s1
	s_add_i32 s1, s46, s33
	s_add_i32 s0, s12, -1
	s_add_i32 s35, s1, s50
	s_add_i32 s1, s48, s47
	;; [unrolled: 1-line block ×3, first 2 shown]
	s_ashr_i32 s1, s0, 31
	s_mul_i32 s2, s0, s31
	s_mul_hi_u32 s3, s0, s30
	s_add_i32 s2, s3, s2
	s_mul_i32 s1, s1, s30
	s_waitcnt lgkmcnt(1)
	v_mfma_f32_16x16x16_bf16 a[4:7], v[12:13], v[2:3], a[4:7]
	s_add_i32 s1, s2, s1
	s_lshl_b64 s[2:3], s[34:35], 2
	s_add_u32 s10, s10, s2
	s_waitcnt lgkmcnt(0)
	v_mfma_f32_16x16x16_bf16 a[0:3], v[12:13], v[6:7], a[0:3]
	s_addc_u32 s11, s11, s3
	s_lshl_b64 s[2:3], s[36:37], 2
	s_mul_i32 s0, s0, s30
	s_add_u32 s10, s10, s2
	ds_read_b64 v[2:3], v24 offset:44032
	v_mfma_f32_16x16x16_bf16 a[4:7], v[14:15], v[4:5], a[4:7]
	ds_read_b64 v[4:5], v29 offset:44032
	s_addc_u32 s11, s11, s3
	s_lshl_b64 s[0:1], s[0:1], 2
	v_mfma_f32_16x16x16_bf16 a[0:3], v[14:15], v[8:9], a[0:3]
	s_add_u32 s0, s10, s0
	s_addc_u32 s1, s11, s1
	s_load_dword s12, s[0:1], 0x0
	s_waitcnt lgkmcnt(0)
	v_mfma_f32_16x16x16_bf16 a[0:3], v[16:17], v[2:3], a[0:3]
	s_and_b64 vcc, exec, s[22:23]
	v_mfma_f32_16x16x16_bf16 a[4:7], v[16:17], v[4:5], a[4:7]
	s_cbranch_vccz .LBB347_28
; %bb.18:
	v_lshlrev_b32_e32 v20, 1, v23
	s_and_b64 vcc, exec, s[6:7]
	s_cbranch_vccz .LBB347_44
; %bb.19:
	v_cmp_gt_i32_e32 vcc, s27, v20
	v_mov_b32_e32 v6, 0
	v_mov_b32_e32 v2, 0
	;; [unrolled: 1-line block ×5, first 2 shown]
	s_and_saveexec_b64 s[0:1], vcc
	s_cbranch_execz .LBB347_21
; %bb.20:
	v_mad_i64_i32 v[2:3], s[2:3], s15, v20, 0
	v_lshl_add_u64 v[2:3], v[2:3], 1, s[4:5]
	v_lshlrev_b32_e32 v4, 1, v18
	v_mov_b32_e32 v5, 0
	v_lshl_add_u64 v[2:3], v[2:3], 0, v[4:5]
	global_load_dwordx4 v[2:5], v[2:3], off
.LBB347_21:
	s_or_b64 exec, exec, s[0:1]
	v_or_b32_e32 v21, 1, v20
	v_cmp_gt_i32_e64 s[0:1], s27, v21
	v_mov_b32_e32 v7, 0
	v_mov_b32_e32 v8, 0
	;; [unrolled: 1-line block ×3, first 2 shown]
	s_and_saveexec_b64 s[2:3], s[0:1]
	s_cbranch_execz .LBB347_23
; %bb.22:
	v_mad_i64_i32 v[6:7], s[16:17], s15, v21, 0
	v_lshl_add_u64 v[6:7], v[6:7], 1, s[4:5]
	v_lshlrev_b32_e32 v8, 1, v18
	v_mov_b32_e32 v9, 0
	v_lshl_add_u64 v[6:7], v[6:7], 0, v[8:9]
	global_load_dwordx4 v[6:9], v[6:7], off
.LBB347_23:
	s_or_b64 exec, exec, s[2:3]
	v_mov_b32_e32 v17, 0
	v_mov_b32_e32 v10, 0
	;; [unrolled: 1-line block ×5, first 2 shown]
	s_and_saveexec_b64 s[2:3], vcc
	s_cbranch_execz .LBB347_25
; %bb.24:
	v_mad_i64_i32 v[10:11], s[16:17], s15, v20, 0
	v_lshl_add_u64 v[10:11], v[10:11], 1, s[4:5]
	v_lshlrev_b32_e32 v12, 1, v18
	v_mov_b32_e32 v13, 0
	v_lshl_add_u64 v[10:11], v[10:11], 0, v[12:13]
	global_load_dwordx4 v[10:13], v[10:11], off offset:128
.LBB347_25:
	s_or_b64 exec, exec, s[2:3]
	v_mov_b32_e32 v16, 0
	v_mov_b32_e32 v15, 0
	;; [unrolled: 1-line block ×3, first 2 shown]
	s_and_saveexec_b64 s[2:3], s[0:1]
	s_cbranch_execz .LBB347_27
; %bb.26:
	v_mad_i64_i32 v[14:15], s[0:1], s15, v21, 0
	v_lshl_add_u64 v[14:15], v[14:15], 1, s[4:5]
	v_lshlrev_b32_e32 v16, 1, v18
	v_mov_b32_e32 v17, 0
	v_lshl_add_u64 v[14:15], v[14:15], 0, v[16:17]
	global_load_dwordx4 v[14:17], v[14:15], off offset:128
.LBB347_27:
	s_or_b64 exec, exec, s[2:3]
	s_branch .LBB347_46
.LBB347_28:
                                        ; implicit-def: $vgpr5
                                        ; implicit-def: $vgpr9
                                        ; implicit-def: $vgpr13
                                        ; implicit-def: $vgpr17
	v_lshrrev_b32_e32 v30, 2, v45
	s_branch .LBB347_47
.LBB347_29:
                                        ; implicit-def: $vgpr4
                                        ; implicit-def: $vgpr5
                                        ; implicit-def: $sgpr22
	s_load_dwordx2 s[42:43], s[0:1], 0x20
	v_lshl_or_b32 v2, v77, 9, v2
.LBB347_30:
	v_or_b32_e32 v4, 0x100, v2
	s_movk_i32 s22, 0x4000
	v_mov_b32_e32 v5, v2
.LBB347_31:
	s_mul_hi_u32 s0, s14, s12
	s_mul_i32 s1, s56, s12
	s_add_i32 s0, s0, s1
	s_mul_i32 s1, s14, s12
	s_mul_i32 s20, s1, s24
	s_mul_hi_u32 s21, s1, s53
	s_add_i32 s20, s21, s20
	s_mul_i32 s0, s0, s53
	s_add_i32 s20, s20, s0
	s_mul_i32 s1, s1, s53
	s_ashr_i32 s61, s57, 31
	s_add_u32 s0, s1, s57
	s_addc_u32 s1, s20, s61
	s_lshl_b64 s[0:1], s[0:1], 8
	s_add_u32 s20, s4, s0
	s_addc_u32 s0, s5, s1
	s_and_b32 s21, s0, 0xffff
	s_movk_i32 s62, 0x80
	buffer_load_dwordx4 v[6:9], v5, s[20:23], 0 offen
	buffer_load_dwordx4 v[10:13], v5, s[20:23], s62 offen
	;; [unrolled: 1-line block ×4, first 2 shown]
	v_and_b32_e32 v4, 6, v0
	v_lshlrev_b32_e32 v23, 6, v69
	v_or_b32_e32 v25, 16, v66
	v_xor_b32_e32 v26, v77, v4
	v_and_b32_e32 v5, 1, v0
	v_lshl_or_b32 v29, v66, 3, v23
	v_lshl_or_b32 v23, v25, 3, v23
	v_lshlrev_b32_e32 v26, 2, v26
	s_mul_i32 s24, s24, s12
	s_mul_hi_u32 s0, s53, s12
	v_lshlrev_b32_e32 v22, 2, v66
	v_or_b32_e32 v87, 0xa000, v23
	v_or_b32_e32 v88, 0xb000, v23
	v_xor_b32_e32 v23, 0x440, v26
	v_cmp_eq_u32_e32 vcc, 0, v5
	v_xor_b32_e32 v27, v69, v22
	v_xor_b32_e32 v28, v70, v22
	v_cndmask_b32_e32 v5, v23, v26, vcc
	s_add_i32 s67, s0, s24
	s_add_i32 s0, s46, s33
	s_mov_b32 s65, 0x1000504
	v_lshlrev_b32_e32 v24, 8, v66
	v_lshlrev_b32_e32 v27, 1, v27
	;; [unrolled: 1-line block ×3, first 2 shown]
	v_lshl_or_b32 v4, v4, 10, v5
	s_add_i32 s35, s0, s50
	s_add_i32 s0, s48, s47
	s_mov_b32 s66, 0x3020706
	v_or_b32_e32 v85, 0xa000, v29
	v_or_b32_e32 v86, 0xb000, v29
	;; [unrolled: 1-line block ×4, first 2 shown]
	v_xor_b32_e32 v5, 8, v4
	v_xor_b32_e32 v24, 24, v4
	;; [unrolled: 1-line block ×4, first 2 shown]
	s_add_i32 s37, s0, s49
	s_lshl_b64 s[0:1], s[34:35], 2
	v_xor_b32_e32 v23, 16, v4
	v_xor_b32_e32 v26, 32, v4
	v_xor_b32_e32 v30, 48, v4
	v_add_u32_e32 v5, 0x80, v5
	v_add_u32_e32 v24, 0x80, v24
	v_add_u32_e32 v29, 0x80, v29
	v_add_u32_e32 v31, 0x80, v31
	s_add_u32 s20, s10, s0
	s_addc_u32 s21, s11, s1
	s_lshl_b64 s[0:1], s[36:37], 2
	s_add_u32 s44, s20, s0
	s_movk_i32 s0, 0xf8
	s_addc_u32 s45, s21, s1
	s_ashr_i32 s39, s38, 31
	s_lshl_b32 s26, s15, 7
	s_movk_i32 s20, 0x100
	v_mov_b32_e32 v57, 0
	v_lshlrev_b32_e32 v56, 4, v66
	v_cmp_gt_u32_e32 vcc, s20, v0
	v_ashrrev_i32_e32 v47, 31, v46
	s_mul_i32 s63, s53, s12
	s_mov_b32 s64, 0
	s_movk_i32 s35, 0x1000
	s_movk_i32 s22, 0x4000
	v_mov_b32_e32 v115, 0x3fb8aa3b
	s_mov_b32 s69, 0
	s_waitcnt vmcnt(1)
	v_perm_b32 v32, v6, v14, s65
	s_waitcnt vmcnt(0)
	v_perm_b32 v33, v10, v18, s65
	v_perm_b32 v6, v6, v14, s66
	v_perm_b32 v10, v10, v18, s66
	v_perm_b32 v14, v7, v15, s65
	v_perm_b32 v18, v11, v19, s65
	v_perm_b32 v7, v7, v15, s66
	v_perm_b32 v11, v11, v19, s66
	v_perm_b32 v15, v8, v16, s65
	v_perm_b32 v19, v12, v20, s65
	v_perm_b32 v8, v8, v16, s66
	v_perm_b32 v12, v12, v20, s66
	v_perm_b32 v16, v9, v17, s65
	v_perm_b32 v20, v13, v21, s65
	v_perm_b32 v9, v9, v17, s66
	v_perm_b32 v13, v13, v21, s66
	ds_write2st64_b32 v4, v32, v33 offset0:32 offset1:64
	ds_write2st64_b32 v5, v6, v10 offset0:32 offset1:64
	ds_write2st64_b32 v23, v14, v18 offset0:33 offset1:65
	ds_write2st64_b32 v24, v7, v11 offset0:33 offset1:65
	ds_write2st64_b32 v26, v15, v19 offset0:34 offset1:66
	ds_write2st64_b32 v29, v8, v12 offset0:34 offset1:66
	ds_write2st64_b32 v30, v16, v20 offset0:35 offset1:67
	ds_write2st64_b32 v31, v9, v13 offset0:35 offset1:67
	v_lshlrev_b32_e32 v4, 8, v25
	v_or_b32_e32 v91, v4, v27
	v_or_b32_e32 v92, v4, v28
	;; [unrolled: 1-line block ×3, first 2 shown]
	v_lshlrev_b32_e32 v4, 3, v4
	v_lshrrev_b32_e32 v7, 5, v45
	v_and_or_b32 v7, v4, s0, v7
	v_lshlrev_b32_e32 v7, 4, v7
	v_lshlrev_b32_e32 v9, 11, v64
	v_and_b32_e32 v4, 0x78, v4
	v_or_b32_e32 v12, 32, v7
	v_and_b32_e32 v6, 0x1000, v9
	v_lshrrev_b32_e32 v10, 1, v45
	v_xor_b32_e32 v12, v12, v4
	v_xor_b32_e32 v8, v7, v4
	v_and_b32_e32 v10, 8, v10
	v_or_b32_e32 v12, v12, v6
	v_or_b32_e32 v8, v8, v6
	v_lshlrev_b32_e32 v11, 7, v65
	v_xor_b32_e32 v95, v12, v10
	v_or_b32_e32 v12, 64, v7
	v_or_b32_e32 v7, 0x60, v7
	v_xor_b32_e32 v93, v8, v10
	v_or_b32_e32 v8, v11, v22
	v_xor_b32_e32 v12, v12, v4
	v_xor_b32_e32 v4, v7, v4
	s_lshl_b64 s[0:1], s[38:39], 8
	v_lshlrev_b32_e32 v8, 1, v8
	v_or_b32_e32 v12, v12, v6
	v_or_b32_e32 v4, v4, v6
	s_add_u32 s0, s18, s0
	v_lshlrev_b32_e32 v6, 1, v66
	v_or_b32_e32 v94, 0xa000, v8
	v_or_b32_e32 v96, 0xa080, v8
	;; [unrolled: 1-line block ×4, first 2 shown]
	v_lshrrev_b32_e32 v8, 4, v0
	s_addc_u32 s1, s19, s1
	v_or_b32_e32 v7, 1, v6
	v_mov_b32_e32 v17, 0x4000
	v_mov_b32_e32 v18, 0x2000
	v_lshrrev_b32_e32 v19, 1, v0
	v_xor_b32_e32 v97, v12, v10
	v_xor_b32_e32 v98, v4, v10
	;; [unrolled: 1-line block ×4, first 2 shown]
	v_lshl_add_u64 v[6:7], s[0:1], 0, v[56:57]
	v_lshlrev_b32_e32 v56, 8, v8
	v_cndmask_b32_e32 v17, v17, v18, vcc
	v_lshlrev_b32_e32 v18, 3, v64
	v_and_b32_e32 v19, 24, v19
	v_lshl_or_b32 v101, v10, 3, v56
	v_and_b32_e32 v10, 8, v0
	v_xor_b32_e32 v20, v18, v19
	v_or_b32_e32 v21, 0x440, v20
	v_cmp_eq_u32_e32 vcc, 0, v10
	v_and_b32_e32 v8, 7, v0
	v_lshl_or_b32 v102, v14, 3, v56
	v_cndmask_b32_e32 v10, v21, v20, vcc
	v_lshlrev_b32_e32 v14, 3, v8
	v_lshlrev_b32_e32 v16, 2, v0
	v_or_b32_e32 v10, v10, v9
	v_xor_b32_e32 v20, v10, v14
	v_and_or_b32 v10, v16, 60, v11
	v_mov_b32_e32 v11, 0xb000
	v_lshl_or_b32 v103, v10, 1, v11
	v_or_b32_e32 v10, 32, v19
	v_xor_b32_e32 v10, v18, v10
	v_or_b32_e32 v11, 0x440, v10
	v_cndmask_b32_e32 v10, v11, v10, vcc
	v_or_b32_e32 v10, v10, v9
	v_xor_b32_e32 v11, v10, v14
	v_or_b32_e32 v10, 64, v19
	v_xor_b32_e32 v10, v18, v10
	v_xor_b32_e32 v22, 0x440, v10
	v_cndmask_b32_e32 v10, v22, v10, vcc
	v_or_b32_e32 v10, v10, v9
	v_xor_b32_e32 v22, v10, v14
	v_or_b32_e32 v10, 0x60, v19
	v_xor_b32_e32 v10, v18, v10
	v_xor_b32_e32 v18, 0x440, v10
	v_cndmask_b32_e32 v10, v18, v10, vcc
	v_lshrrev_b32_e32 v5, 2, v45
	v_or_b32_e32 v9, v10, v9
	v_and_b32_e32 v5, 12, v5
	v_lshlrev_b32_e32 v12, 1, v3
	v_add_lshl_u32 v3, v3, s15, 1
	v_or_b32_e32 v13, 0x100, v2
	v_xor_b32_e32 v9, v9, v14
	v_lshlrev_b32_e32 v4, 7, v69
	v_lshlrev_b32_e32 v15, 7, v8
	v_or_b32_e32 v8, v5, v1
	v_add_u32_e32 v21, v17, v20
	v_add_u32_e32 v16, v17, v11
	;; [unrolled: 1-line block ×4, first 2 shown]
	v_or3_b32 v10, v1, v5, 64
	v_add_u32_e32 v5, 0x4000, v20
	v_add_u32_e32 v11, 0x4000, v11
	;; [unrolled: 1-line block ×4, first 2 shown]
	v_cndmask_b32_e64 v104, v12, v2, s[2:3]
	v_cndmask_b32_e64 v105, v3, v13, s[2:3]
	v_lshlrev_b64 v[2:3], 1, v[46:47]
	v_lshl_add_u64 v[58:59], s[8:9], 0, v[2:3]
	v_lshl_add_u64 v[60:61], s[28:29], 0, v[2:3]
	;; [unrolled: 1-line block ×3, first 2 shown]
	s_add_i32 s37, s63, 63
	s_mov_b32 s39, 0x7060302
	v_lshlrev_b32_e32 v56, 1, v4
	v_lshlrev_b32_e32 v47, 2, v8
	v_add_u32_e32 v106, v21, v15
	v_add_u32_e32 v107, v16, v15
	v_add_u32_e32 v108, v23, v15
	v_add_u32_e32 v109, v14, v15
	v_lshlrev_b32_e32 v110, 2, v10
	v_add_u32_e32 v111, v5, v15
	v_add_u32_e32 v112, v11, v15
	;; [unrolled: 1-line block ×4, first 2 shown]
	s_waitcnt lgkmcnt(0)
	s_barrier
.LBB347_32:                             ; =>This Inner Loop Header: Depth=1
	s_add_i32 s68, s69, 1
	s_cmp_lt_i32 s68, s54
	s_mov_b64 s[24:25], 0
	s_cselect_b64 s[2:3], -1, 0
	s_cmp_ge_i32 s68, s54
	s_mov_b64 s[20:21], 0
	s_cbranch_scc1 .LBB347_34
; %bb.33:                               ;   in Loop: Header=BB347_32 Depth=1
	s_add_i32 s0, s64, 64
	s_add_u32 s0, s16, s0
	s_addc_u32 s1, s17, 0
	s_lshl_b64 s[0:1], s[0:1], 8
	s_add_u32 s20, s6, s0
	s_addc_u32 s21, s7, s1
.LBB347_34:                             ;   in Loop: Header=BB347_32 Depth=1
	v_cndmask_b32_e64 v2, 0, 1, s[2:3]
	v_cmp_ne_u32_e64 s[0:1], 1, v2
	s_andn2_b64 vcc, exec, s[2:3]
	s_cbranch_vccnz .LBB347_36
; %bb.35:                               ;   in Loop: Header=BB347_32 Depth=1
	s_add_i32 s2, s64, 64
	s_add_u32 s2, s63, s2
	s_addc_u32 s3, s67, 0
	s_mul_i32 s24, s2, s56
	s_mul_hi_u32 s25, s2, s60
	s_add_i32 s24, s25, s24
	s_mul_i32 s3, s3, s60
	s_add_i32 s24, s24, s3
	s_mul_i32 s2, s2, s60
	s_add_u32 s2, s2, s57
	s_addc_u32 s3, s24, s61
	s_lshl_b64 s[2:3], s[2:3], 8
	s_add_u32 s24, s4, s2
	s_addc_u32 s25, s5, s3
.LBB347_36:                             ;   in Loop: Header=BB347_32 Depth=1
	v_perm_b32 v3, v55, v54, s39
	v_perm_b32 v2, v51, v50, s39
	;; [unrolled: 1-line block ×4, first 2 shown]
	ds_write_b64 v85, v[2:3]
	ds_write_b64 v86, v[4:5]
	;; [unrolled: 1-line block ×4, first 2 shown]
	v_perm_b32 v3, v82, v75, s39
	v_perm_b32 v2, v71, v73, s39
	;; [unrolled: 1-line block ×4, first 2 shown]
	ds_write_b64 v87, v[2:3]
	ds_write_b64 v88, v[4:5]
	;; [unrolled: 1-line block ×4, first 2 shown]
	s_waitcnt lgkmcnt(0)
	s_barrier
	ds_read_b64 v[6:7], v93 offset:24576
	ds_read2_b64 v[2:5], v94 offset1:16
	ds_read_b64 v[10:11], v96 offset:3072
	ds_read_b64 v[12:13], v94 offset:3072
	;; [unrolled: 1-line block ×3, first 2 shown]
	s_waitcnt lgkmcnt(3)
	v_mfma_f32_16x16x16_bf16 a[0:3], v[6:7], v[2:3], 0
	s_add_i32 s2, s64, 63
	s_mul_i32 s3, s2, s31
	s_mul_hi_u32 s27, s2, s30
	v_mfma_f32_16x16x16_bf16 a[4:7], v[6:7], v[4:5], 0
	ds_read2st64_b64 v[2:5], v94 offset0:2 offset1:4
	ds_read2st64_b64 v[6:9], v96 offset0:2 offset1:4
	s_add_i32 s3, s27, s3
	s_waitcnt lgkmcnt(1)
	v_mfma_f32_16x16x16_bf16 a[0:3], v[14:15], v[2:3], a[0:3]
	s_mul_i32 s2, s2, s30
	s_lshl_b64 s[2:3], s[2:3], 2
	s_add_u32 s2, s44, s2
	s_waitcnt lgkmcnt(0)
	v_mfma_f32_16x16x16_bf16 a[4:7], v[14:15], v[6:7], a[4:7]
	ds_read_b64 v[2:3], v97 offset:24576
	ds_read_b64 v[6:7], v98 offset:24576
	s_addc_u32 s3, s45, s3
	s_and_b64 vcc, exec, s[0:1]
	s_waitcnt lgkmcnt(1)
	v_mfma_f32_16x16x16_bf16 a[0:3], v[2:3], v[4:5], a[0:3]
	v_mov_b32_e32 v118, 0
	v_mov_b32_e32 v117, 0
	;; [unrolled: 1-line block ×3, first 2 shown]
	v_mfma_f32_16x16x16_bf16 a[8:11], v[2:3], v[8:9], a[4:7]
	v_mov_b32_e32 v2, 0
	v_mov_b32_e32 v3, 0
	;; [unrolled: 1-line block ×3, first 2 shown]
	s_waitcnt lgkmcnt(0)
	v_mfma_f32_16x16x16_bf16 a[4:7], v[6:7], v[12:13], a[0:3]
	v_mov_b32_e32 v5, 0
	v_mov_b32_e32 v8, 0
	;; [unrolled: 1-line block ×3, first 2 shown]
	v_mfma_f32_16x16x16_bf16 a[0:3], v[6:7], v[10:11], a[8:11]
	v_mov_b32_e32 v6, 0
	v_mov_b32_e32 v7, 0
	;; [unrolled: 1-line block ×10, first 2 shown]
	s_cbranch_vccnz .LBB347_38
; %bb.37:                               ;   in Loop: Header=BB347_32 Depth=1
	s_and_b32 s21, s21, 0xffff
	buffer_load_dwordx4 v[14:17], v79, s[20:23], 0 offen
	buffer_load_dwordx4 v[10:13], v79, s[20:23], s62 offen
	;; [unrolled: 1-line block ×4, first 2 shown]
	v_mov_b32_e32 v117, v83
	v_mov_b32_e32 v116, v84
.LBB347_38:                             ;   in Loop: Header=BB347_32 Depth=1
	ds_read_b64 v[26:27], v93 offset:32768
	ds_read2_b64 v[18:21], v99 offset1:16
	ds_read_b64 v[28:29], v95 offset:32768
	ds_read_b64 v[30:31], v97 offset:32768
	;; [unrolled: 1-line block ×3, first 2 shown]
	v_add_u32_e32 v34, s64, v69
	s_waitcnt lgkmcnt(3)
	v_mfma_f32_16x16x16_bf16 a[4:7], v[26:27], v[18:19], a[4:7]
	v_ashrrev_i32_e32 v18, 31, v34
	ds_read2st64_b64 v[22:25], v99 offset0:2 offset1:4
	v_mfma_f32_16x16x16_bf16 a[0:3], v[26:27], v[20:21], a[0:3]
	v_mul_lo_u32 v20, v18, s30
	v_mul_lo_u32 v21, v34, s31
	v_mad_u64_u32 v[18:19], s[20:21], v34, s30, 0
	v_add3_u32 v19, v19, v21, v20
	v_add_u32_e32 v20, 1, v34
	v_ashrrev_i32_e32 v21, 31, v20
	v_mul_lo_u32 v26, v21, s30
	v_mul_lo_u32 v27, v20, s31
	v_mad_u64_u32 v[20:21], s[20:21], v20, s30, 0
	v_add3_u32 v21, v21, v27, v26
	v_add_u32_e32 v26, 2, v34
	v_ashrrev_i32_e32 v27, 31, v26
	v_mul_lo_u32 v35, v27, s30
	v_mul_lo_u32 v36, v26, s31
	v_mad_u64_u32 v[26:27], s[20:21], v26, s30, 0
	v_add_u32_e32 v34, 3, v34
	v_add3_u32 v27, v27, v36, v35
	v_ashrrev_i32_e32 v35, 31, v34
	v_mul_lo_u32 v36, v35, s30
	v_mul_lo_u32 v37, v34, s31
	v_mad_u64_u32 v[34:35], s[20:21], v34, s30, 0
	s_add_u32 s20, s16, s64
	s_addc_u32 s21, s17, 0
	s_lshl_b64 s[20:21], s[20:21], 8
	v_lshl_add_u64 v[18:19], v[18:19], 2, s[44:45]
	v_lshl_add_u64 v[20:21], v[20:21], 2, s[44:45]
	v_add3_u32 v35, v35, v37, v36
	v_lshl_add_u64 v[36:37], v[58:59], 0, s[20:21]
	v_lshl_add_u64 v[26:27], v[26:27], 2, s[44:45]
	;; [unrolled: 1-line block ×3, first 2 shown]
	global_load_dword v38, v[18:19], off
	global_load_ushort v39, v[36:37], off offset:256
	global_load_ushort v40, v[36:37], off
	v_lshl_add_u64 v[18:19], v[34:35], 2, s[44:45]
	global_load_dword v34, v[20:21], off
	global_load_dword v35, v[26:27], off
	;; [unrolled: 1-line block ×3, first 2 shown]
	ds_read2st64_b64 v[18:21], v100 offset0:2 offset1:4
	global_load_ushort v42, v[36:37], off offset:768
	global_load_ushort v43, v[36:37], off offset:512
	;; [unrolled: 1-line block ×5, first 2 shown]
	s_nop 0
	global_load_ushort v36, v[36:37], off offset:32
	s_waitcnt lgkmcnt(1)
	v_mfma_f32_16x16x16_bf16 a[4:7], v[28:29], v[22:23], a[4:7]
	s_and_b64 vcc, exec, s[0:1]
	s_waitcnt vmcnt(10)
	v_lshlrev_b32_e32 v27, 16, v39
	s_waitcnt lgkmcnt(0)
	v_mfma_f32_16x16x16_bf16 a[0:3], v[28:29], v[18:19], a[0:3]
	s_waitcnt vmcnt(9)
	v_lshlrev_b32_e32 v26, 16, v40
	v_mfma_f32_16x16x16_bf16 a[4:7], v[30:31], v[24:25], a[4:7]
	v_mfma_f32_16x16x16_bf16 a[0:3], v[30:31], v[20:21], a[0:3]
	ds_read_b64 v[18:19], v99 offset:3072
	ds_read_b64 v[20:21], v100 offset:3072
	s_load_dword s2, s[2:3], 0x0
	s_waitcnt lgkmcnt(0)
	v_sub_f32_e32 v28, s2, v38
	v_mfma_f32_16x16x16_bf16 a[4:7], v[32:33], v[18:19], a[4:7]
	v_mul_f32_e32 v28, 0x3fb8aa3b, v28
	s_waitcnt vmcnt(8)
	v_sub_f32_e32 v29, s2, v34
	s_waitcnt vmcnt(7)
	v_sub_f32_e32 v30, s2, v35
	;; [unrolled: 2-line block ×3, first 2 shown]
	v_mfma_f32_16x16x16_bf16 a[0:3], v[32:33], v[20:21], a[0:3]
	v_lshl_add_u64 v[18:19], v[60:61], 0, s[20:21]
	v_lshl_add_u64 v[18:19], v[18:19], 0, v[56:57]
	v_accvgpr_read_b32 v25, a5
	v_accvgpr_read_b32 v24, a4
	v_pk_add_f32 v[24:25], v[26:27], v[24:25] neg_lo:[0,1] neg_hi:[0,1]
	v_exp_f32_e32 v26, v28
	v_mul_f32_e32 v27, 0x3fb8aa3b, v29
	v_mul_f32_e32 v28, 0x3fb8aa3b, v30
	v_mul_f32_e32 v29, 0x3fb8aa3b, v31
	v_exp_f32_e32 v27, v27
	v_exp_f32_e32 v28, v28
	;; [unrolled: 1-line block ×3, first 2 shown]
	v_accvgpr_read_b32 v21, a7
	v_accvgpr_read_b32 v20, a6
	s_waitcnt vmcnt(5)
	v_lshlrev_b32_e32 v31, 16, v42
	s_waitcnt vmcnt(4)
	v_lshlrev_b32_e32 v30, 16, v43
	v_pk_add_f32 v[20:21], v[30:31], v[20:21] neg_lo:[0,1] neg_hi:[0,1]
	global_store_short_d16_hi v[18:19], v24, off
	global_store_short_d16_hi v[18:19], v25, off offset:256
	global_store_short_d16_hi v[18:19], v20, off offset:512
	global_store_short_d16_hi v[18:19], v21, off offset:768
	v_pk_mul_f32 v[24:25], v[26:27], v[24:25]
	v_pk_mul_f32 v[20:21], v[28:29], v[20:21]
	v_accvgpr_read_b32 v31, a1
	v_perm_b32 v21, v21, v20, s39
	v_perm_b32 v20, v25, v24, s39
	s_waitcnt vmcnt(5)
	v_lshlrev_b32_e32 v25, 16, v120
	s_waitcnt vmcnt(4)
	v_lshlrev_b32_e32 v24, 16, v36
	v_accvgpr_read_b32 v30, a0
	v_accvgpr_read_b32 v23, a3
	;; [unrolled: 1-line block ×3, first 2 shown]
	v_pk_add_f32 v[24:25], v[24:25], v[30:31] neg_lo:[0,1] neg_hi:[0,1]
	v_lshlrev_b32_e32 v31, 16, v44
	v_lshlrev_b32_e32 v30, 16, v119
	v_pk_add_f32 v[22:23], v[30:31], v[22:23] neg_lo:[0,1] neg_hi:[0,1]
	global_store_short_d16_hi v[18:19], v24, off offset:32
	global_store_short_d16_hi v[18:19], v25, off offset:288
	;; [unrolled: 1-line block ×4, first 2 shown]
	v_pk_mul_f32 v[18:19], v[26:27], v[24:25]
	v_pk_mul_f32 v[22:23], v[28:29], v[22:23]
	v_mov_b32_e32 v119, 0
	v_perm_b32 v23, v23, v22, s39
	v_perm_b32 v22, v19, v18, s39
	ds_write2_b64 v86, v[20:21], v[22:23] offset1:16
	v_mov_b32_e32 v18, 0
	v_mov_b32_e32 v19, 0
	;; [unrolled: 1-line block ×16, first 2 shown]
	s_cbranch_vccnz .LBB347_40
; %bb.39:                               ;   in Loop: Header=BB347_32 Depth=1
	s_and_b32 s25, s25, 0xffff
	s_mov_b32 s27, s23
	buffer_load_dwordx4 v[30:33], v104, s[24:27], 0 offen
	buffer_load_dwordx4 v[22:25], v104, s[24:27], s62 offen
	;; [unrolled: 1-line block ×4, first 2 shown]
	v_mov_b32_e32 v118, v78
	v_mov_b32_e32 v119, v77
.LBB347_40:                             ;   in Loop: Header=BB347_32 Depth=1
	s_waitcnt lgkmcnt(0)
	s_barrier
	ds_read_b64 v[38:39], v106
	ds_read_b64 v[124:125], v103
	;; [unrolled: 1-line block ×5, first 2 shown]
	ds_read_b64 v[138:139], v100 offset:3072
	ds_read2_b64 v[34:37], v99 offset0:16 offset1:128
	s_waitcnt lgkmcnt(5)
	v_mfma_f32_16x16x16_bf16 a[0:3], v[38:39], v[124:125], 0
	ds_read2st64_b64 v[40:43], v100 offset0:2 offset1:4
	s_add_i32 s3, s58, s69
	s_mul_hi_i32 s21, s3, s13
	s_waitcnt lgkmcnt(1)
	v_mfma_f32_16x16x16_bf16 a[4:7], v[38:39], v[34:35], 0
	ds_read_b64 v[38:39], v111
	s_mul_i32 s3, s3, s13
	s_add_u32 s20, s3, s51
	s_waitcnt lgkmcnt(1)
	v_mfma_f32_16x16x16_bf16 a[4:7], v[126:127], v[40:41], a[4:7]
	s_addc_u32 s21, s21, s55
	s_add_i32 s3, s37, s64
	s_lshl_b64 s[20:21], s[20:21], 15
	s_mul_hi_i32 s25, s3, s13
	s_mul_i32 s3, s3, s13
	s_add_u32 s24, s3, s51
	v_mfma_f32_16x16x16_bf16 a[8:11], v[128:129], v[42:43], a[4:7]
	s_addc_u32 s25, s25, s55
	ds_read2st64_b64 v[120:123], v99 offset0:4 offset1:6
	s_lshl_b64 s[24:25], s[24:25], 9
	s_waitcnt lgkmcnt(1)
	v_mfma_f32_16x16x16_bf16 a[4:7], v[38:39], v[124:125], 0
	s_add_u32 s24, s42, s24
	s_addc_u32 s25, s43, s25
	v_mfma_f32_16x16x16_bf16 a[0:3], v[126:127], v[36:37], a[0:3]
	ds_read_b64 v[126:127], v112
	ds_read_b64 v[134:135], v113
	ds_read_b64 v[140:141], v114
	v_mfma_f32_16x16x16_bf16 a[12:15], v[38:39], v[34:35], 0
	s_waitcnt lgkmcnt(2)
	v_mfma_f32_16x16x16_bf16 a[4:7], v[126:127], v[36:37], a[4:7]
	global_load_dwordx4 v[34:37], v110, s[24:25]
	v_mfma_f32_16x16x16_bf16 a[12:15], v[126:127], v[40:41], a[12:15]
	global_load_dwordx4 v[38:41], v47, s[24:25]
	ds_read2st64_b64 v[124:127], v101 offset1:8
	s_waitcnt lgkmcnt(0)
	v_mov_b32_e32 v132, v124
	v_mfma_f32_16x16x16_bf16 a[0:3], v[128:129], v[120:121], a[0:3]
	ds_read2st64_b64 v[128:131], v102 offset1:8
	v_mov_b32_e32 v133, v125
	v_mfma_f32_16x16x16_bf16 a[16:19], v[134:135], v[120:121], a[4:7]
	v_lshl_add_u64 v[120:121], v[62:63], 0, s[20:21]
	v_mfma_f32_16x16x16_bf16 a[20:23], v[134:135], v[42:43], a[12:15]
	v_add_co_u32_e32 v42, vcc, s35, v120
	s_waitcnt lgkmcnt(0)
	v_mov_b32_e32 v134, v128
	v_mfma_f32_16x16x16_bf16 a[4:7], v[136:137], v[122:123], a[0:3]
	v_mov_b32_e32 v135, v129
	v_mov_b32_e32 v128, v126
	v_mov_b32_e32 v129, v127
	v_mfma_f32_16x16x16_bf16 a[8:11], v[136:137], v[138:139], a[8:11]
	v_addc_co_u32_e32 v43, vcc, 0, v121, vcc
	global_store_dwordx4 v[42:43], v[128:131], off
	v_mfma_f32_16x16x16_bf16 a[12:15], v[140:141], v[122:123], a[16:19]
	s_and_b64 vcc, exec, s[0:1]
	global_store_dwordx4 v[120:121], v[132:135], off
	s_waitcnt vmcnt(3)
	v_mov_b32_e32 v44, v37
	v_mfma_f32_16x16x16_bf16 a[0:3], v[140:141], v[138:139], a[20:23]
	v_mov_b32_e32 v43, v36
	v_mov_b32_e32 v42, v35
	s_cbranch_vccnz .LBB347_42
; %bb.41:                               ;   in Loop: Header=BB347_32 Depth=1
	v_lshrrev_b32_e32 v35, 3, v118
	v_and_b32_e32 v35, 6, v35
	v_xor_b32_e32 v36, v35, v119
	v_lshlrev_b32_e32 v36, 2, v36
	v_and_b32_e32 v37, 8, v118
	v_xor_b32_e32 v118, 0x440, v36
	v_cmp_eq_u32_e32 vcc, 0, v37
	v_perm_b32 v37, v22, v18, s65
	s_nop 0
	v_cndmask_b32_e32 v36, v118, v36, vcc
	v_lshl_or_b32 v35, v35, 10, v36
	v_perm_b32 v36, v30, v26, s65
	s_barrier
	ds_write2st64_b32 v35, v36, v37 offset0:32 offset1:64
	v_xor_b32_e32 v36, 8, v35
	v_perm_b32 v26, v30, v26, s66
	v_perm_b32 v18, v22, v18, s66
	v_add_u32_e32 v22, 0x80, v36
	ds_write2st64_b32 v22, v26, v18 offset0:32 offset1:64
	v_xor_b32_e32 v18, 16, v35
	v_perm_b32 v22, v31, v27, s65
	v_perm_b32 v26, v23, v19, s65
	ds_write2st64_b32 v18, v22, v26 offset0:33 offset1:65
	v_xor_b32_e32 v18, 24, v35
	v_perm_b32 v22, v31, v27, s66
	v_perm_b32 v19, v23, v19, s66
	v_add_u32_e32 v18, 0x80, v18
	ds_write2st64_b32 v18, v22, v19 offset0:33 offset1:65
	v_xor_b32_e32 v18, 32, v35
	v_perm_b32 v19, v32, v28, s65
	v_perm_b32 v22, v24, v20, s65
	;; [unrolled: 9-line block ×3, first 2 shown]
	ds_write2st64_b32 v18, v19, v20 offset0:35 offset1:67
	v_xor_b32_e32 v18, 56, v35
	v_perm_b32 v19, v33, v29, s66
	v_perm_b32 v20, v25, v21, s66
	v_add_u32_e32 v18, 0x80, v18
	ds_write2st64_b32 v18, v19, v20 offset0:35 offset1:67
	ds_write_b64 v117, v[14:15] offset:24576
	v_xor_b32_e32 v14, 8, v117
	ds_write_b64 v14, v[16:17] offset:24576
	ds_write_b64 v117, v[10:11] offset:32768
	ds_write_b64 v14, v[12:13] offset:32768
	ds_write_b64 v116, v[6:7] offset:24576
	v_xor_b32_e32 v6, 8, v116
	ds_write_b64 v6, v[8:9] offset:24576
	ds_write_b64 v116, v[2:3] offset:32768
	;; [unrolled: 1-line block ×3, first 2 shown]
.LBB347_42:                             ;   in Loop: Header=BB347_32 Depth=1
	v_mul_f32_e32 v6, s2, v115
	v_exp_f32_e32 v18, v6
	s_waitcnt vmcnt(2)
	v_mul_f32_e32 v6, 0x3fb8aa3b, v38
	v_exp_f32_e32 v20, v6
	v_mul_f32_e32 v6, 0x3fb8aa3b, v39
	v_exp_f32_e32 v21, v6
	;; [unrolled: 2-line block ×4, first 2 shown]
	v_accvgpr_read_b32 v13, a7
	v_accvgpr_read_b32 v11, a5
	;; [unrolled: 1-line block ×4, first 2 shown]
	v_pk_mul_f32 v[20:21], v[18:19], v[20:21] op_sel_hi:[0,1]
	v_accvgpr_read_b32 v4, a10
	v_pk_fma_f32 v[50:51], v[50:51], v[20:21], v[10:11]
	v_pk_mul_f32 v[10:11], v[18:19], v[22:23] op_sel_hi:[0,1]
	v_accvgpr_read_b32 v12, a6
	v_accvgpr_read_b32 v3, a9
	v_fma_f32 v75, v75, v10, v4
	v_mul_f32_e32 v4, 0x3fb8aa3b, v43
	v_pk_fma_f32 v[54:55], v[54:55], v[10:11], v[12:13]
	v_fma_f32 v73, v73, v20, v2
	v_fma_f32 v71, v71, v21, v3
	v_mul_f32_e32 v2, 0x3fb8aa3b, v34
	v_mul_f32_e32 v3, 0x3fb8aa3b, v42
	v_exp_f32_e32 v12, v4
	v_mul_f32_e32 v4, 0x3fb8aa3b, v44
	v_exp_f32_e32 v2, v2
	v_exp_f32_e32 v3, v3
	;; [unrolled: 1-line block ×3, first 2 shown]
	v_accvgpr_read_b32 v5, a11
	v_accvgpr_read_b32 v17, a15
	;; [unrolled: 1-line block ×9, first 2 shown]
	v_fmac_f32_e32 v5, v82, v11
	v_pk_mul_f32 v[2:3], v[18:19], v[2:3] op_sel_hi:[0,1]
	v_pk_mul_f32 v[10:11], v[18:19], v[12:13] op_sel_hi:[0,1]
	s_add_i32 s64, s64, 64
	v_pk_fma_f32 v[48:49], v[48:49], v[2:3], v[14:15]
	v_pk_fma_f32 v[52:53], v[52:53], v[10:11], v[16:17]
	v_fma_f32 v74, v74, v2, v6
	v_fma_f32 v72, v72, v3, v7
	v_fma_f32 v76, v76, v10, v8
	s_cmp_eq_u32 s54, s68
	v_fmac_f32_e32 v9, v80, v11
	s_cbranch_scc1 .LBB347_4
; %bb.43:                               ;   in Loop: Header=BB347_32 Depth=1
	s_mov_b32 s69, s68
	v_mov_b32_e32 v82, v5
	v_mov_b32_e32 v80, v9
	s_branch .LBB347_32
.LBB347_44:
                                        ; implicit-def: $vgpr5
                                        ; implicit-def: $vgpr9
                                        ; implicit-def: $vgpr13
                                        ; implicit-def: $vgpr17
	s_cbranch_execz .LBB347_46
; %bb.45:
	s_waitcnt vmcnt(0)
	v_mad_u64_u32 v[2:3], s[0:1], v20, s15, v[18:19]
	v_lshlrev_b32_e32 v20, 1, v2
	s_lshl_b32 s2, s15, 7
	s_and_b32 s1, s5, 0xffff
	s_mov_b32 s3, 0x20000
	s_mov_b32 s0, s4
	v_add_lshl_u32 v21, v2, s15, 1
	s_movk_i32 s13, 0x80
	buffer_load_dwordx4 v[2:5], v20, s[0:3], 0 offen
	buffer_load_dwordx4 v[10:13], v20, s[0:3], s13 offen
	;; [unrolled: 1-line block ×4, first 2 shown]
.LBB347_46:
	v_lshrrev_b32_e32 v30, 2, v45
	s_cbranch_execnz .LBB347_59
.LBB347_47:
	s_and_b64 vcc, exec, s[6:7]
	s_cbranch_vccz .LBB347_57
; %bb.48:
	s_waitcnt vmcnt(0)
	v_lshlrev_b32_e32 v7, 1, v23
	v_cmp_gt_i32_e32 vcc, s27, v7
	v_mov_b32_e32 v6, 0
	v_lshlrev_b32_e32 v14, 9, v23
	v_mov_b32_e32 v2, 0
	v_mov_b32_e32 v3, 0
	;; [unrolled: 1-line block ×4, first 2 shown]
	s_and_saveexec_b64 s[0:1], vcc
	s_cbranch_execz .LBB347_50
; %bb.49:
	v_mov_b32_e32 v15, 0
	v_lshl_add_u64 v[2:3], s[4:5], 0, v[14:15]
	v_lshlrev_b32_e32 v4, 1, v18
	v_mov_b32_e32 v5, v15
	v_lshl_add_u64 v[2:3], v[2:3], 0, v[4:5]
	global_load_dwordx4 v[2:5], v[2:3], off
.LBB347_50:
	s_or_b64 exec, exec, s[0:1]
	v_or_b32_e32 v7, 1, v7
	v_cmp_gt_i32_e64 s[0:1], s27, v7
	v_lshlrev_b32_e32 v20, 8, v7
	v_mov_b32_e32 v7, 0
	v_mov_b32_e32 v8, 0
	;; [unrolled: 1-line block ×3, first 2 shown]
	s_and_saveexec_b64 s[2:3], s[0:1]
	s_cbranch_execz .LBB347_52
; %bb.51:
	v_mov_b32_e32 v21, 0
	v_lshl_add_u64 v[6:7], s[4:5], 0, v[20:21]
	v_lshlrev_b32_e32 v8, 1, v18
	v_mov_b32_e32 v9, v21
	v_lshl_add_u64 v[6:7], v[6:7], 0, v[8:9]
	global_load_dwordx4 v[6:9], v[6:7], off
.LBB347_52:
	s_or_b64 exec, exec, s[2:3]
	v_mov_b32_e32 v17, 0
	v_mov_b32_e32 v10, 0
	;; [unrolled: 1-line block ×5, first 2 shown]
	s_and_saveexec_b64 s[2:3], vcc
	s_cbranch_execz .LBB347_54
; %bb.53:
	v_mov_b32_e32 v15, 0
	v_lshl_add_u64 v[10:11], s[4:5], 0, v[14:15]
	v_lshlrev_b32_e32 v14, 1, v18
	v_lshl_add_u64 v[10:11], v[10:11], 0, v[14:15]
	global_load_dwordx4 v[10:13], v[10:11], off offset:128
.LBB347_54:
	s_or_b64 exec, exec, s[2:3]
	v_mov_b32_e32 v16, 0
	v_mov_b32_e32 v15, 0
	;; [unrolled: 1-line block ×3, first 2 shown]
	s_and_saveexec_b64 s[2:3], s[0:1]
	s_cbranch_execz .LBB347_56
; %bb.55:
	v_mov_b32_e32 v21, 0
	v_lshl_add_u64 v[14:15], s[4:5], 0, v[20:21]
	v_lshlrev_b32_e32 v20, 1, v18
	v_lshl_add_u64 v[14:15], v[14:15], 0, v[20:21]
	global_load_dwordx4 v[14:17], v[14:15], off offset:128
.LBB347_56:
	s_or_b64 exec, exec, s[2:3]
	s_branch .LBB347_59
.LBB347_57:
                                        ; implicit-def: $vgpr5
                                        ; implicit-def: $vgpr9
                                        ; implicit-def: $vgpr13
                                        ; implicit-def: $vgpr17
	s_cbranch_execz .LBB347_59
; %bb.58:
	s_waitcnt vmcnt(0)
	v_lshlrev_b32_e32 v2, 1, v18
	v_lshl_or_b32 v18, v23, 9, v2
	s_and_b32 s5, s5, 0xffff
	s_mov_b32 s7, 0x20000
	s_movk_i32 s6, 0x4000
	s_movk_i32 s0, 0x80
	buffer_load_dwordx4 v[2:5], v18, s[4:7], 0 offen
	buffer_load_dwordx4 v[6:9], v18, s[4:7], 0 offen offset:256
	buffer_load_dwordx4 v[10:13], v18, s[4:7], s0 offen
	buffer_load_dwordx4 v[14:17], v18, s[4:7], s0 offen offset:256
.LBB347_59:
	ds_read_b64 v[20:21], v25 offset:32768
	v_add_u32_e32 v18, 0xb000, v24
	ds_read2_b64 v[32:35], v18 offset1:16
	ds_read_b64 v[40:41], v26 offset:32768
	ds_read_b64 v[26:27], v27 offset:32768
	;; [unrolled: 1-line block ×3, first 2 shown]
	v_and_b32_e32 v18, 6, v0
	v_xor_b32_e32 v23, v23, v18
	v_lshlrev_b32_e32 v23, 2, v23
	v_and_b32_e32 v0, 1, v0
	v_xor_b32_e32 v28, 0x440, v23
	v_cmp_eq_u32_e32 vcc, 0, v0
	s_waitcnt lgkmcnt(3)
	v_mfma_f32_16x16x16_bf16 a[0:3], v[20:21], v[32:33], a[0:3]
	s_mov_b32 s0, 0x1000504
	v_cndmask_b32_e32 v0, v28, v23, vcc
	v_lshl_or_b32 v0, v18, 10, v0
	v_mfma_f32_16x16x16_bf16 a[4:7], v[20:21], v[34:35], a[4:7]
	ds_read2st64_b64 v[32:35], v24 offset0:90 offset1:92
	ds_read2st64_b64 v[36:39], v29 offset0:90 offset1:92
	ds_read_b64 v[20:21], v24 offset:48128
	ds_read_b64 v[24:25], v29 offset:48128
	s_waitcnt vmcnt(0)
	v_perm_b32 v18, v2, v6, s0
	s_waitcnt lgkmcnt(3)
	v_mfma_f32_16x16x16_bf16 a[0:3], v[40:41], v[32:33], a[0:3]
	s_mov_b32 s1, 0x3020706
	v_perm_b32 v2, v2, v6, s1
	v_perm_b32 v6, v10, v14, s1
	s_waitcnt lgkmcnt(2)
	v_mfma_f32_16x16x16_bf16 a[4:7], v[40:41], v[36:37], a[4:7]
	v_mfma_f32_16x16x16_bf16 a[0:3], v[26:27], v[34:35], a[0:3]
	;; [unrolled: 1-line block ×3, first 2 shown]
	s_waitcnt lgkmcnt(1)
	v_mfma_f32_16x16x16_bf16 a[4:7], v[42:43], v[20:21], a[0:3]
	v_perm_b32 v20, v10, v14, s0
	ds_write2st64_b32 v0, v18, v20 offset0:32 offset1:64
	v_xor_b32_e32 v18, 8, v0
	v_add_u32_e32 v10, 0x80, v18
	ds_write2st64_b32 v10, v2, v6 offset0:32 offset1:64
	v_xor_b32_e32 v2, 16, v0
	v_perm_b32 v6, v3, v7, s0
	v_perm_b32 v10, v11, v15, s0
	ds_write2st64_b32 v2, v6, v10 offset0:33 offset1:65
	v_xor_b32_e32 v2, 24, v0
	v_perm_b32 v3, v3, v7, s1
	v_perm_b32 v6, v11, v15, s1
	v_add_u32_e32 v2, 0x80, v2
	ds_write2st64_b32 v2, v3, v6 offset0:33 offset1:65
	v_xor_b32_e32 v2, 32, v0
	v_perm_b32 v3, v4, v8, s0
	v_perm_b32 v6, v12, v16, s0
	s_waitcnt lgkmcnt(4)
	v_mfma_f32_16x16x16_bf16 a[0:3], v[42:43], v[24:25], a[8:11]
	ds_write2st64_b32 v2, v3, v6 offset0:34 offset1:66
	v_xor_b32_e32 v2, 40, v0
	v_perm_b32 v3, v4, v8, s1
	v_perm_b32 v4, v12, v16, s1
	v_add_u32_e32 v2, 0x80, v2
	ds_write2st64_b32 v2, v3, v4 offset0:34 offset1:66
	v_xor_b32_e32 v2, 48, v0
	v_perm_b32 v3, v5, v9, s0
	v_perm_b32 v4, v13, v17, s0
	v_xor_b32_e32 v0, 56, v0
	v_and_or_b32 v21, v30, 12, v1
	ds_write2st64_b32 v2, v3, v4 offset0:35 offset1:67
	v_perm_b32 v2, v5, v9, s1
	v_perm_b32 v3, v13, v17, s1
	v_add_u32_e32 v0, 0x80, v0
	v_cmp_gt_i32_e32 vcc, s27, v21
	v_mov_b32_e32 v16, 0
	v_mov_b32_e32 v18, 0
	ds_write2st64_b32 v0, v2, v3 offset0:35 offset1:67
	s_and_saveexec_b64 s[0:1], vcc
	s_cbranch_execz .LBB347_61
; %bb.60:
	v_add_u32_e32 v0, s26, v21
	v_ashrrev_i32_e32 v1, 31, v0
	v_mul_lo_u32 v2, v1, s30
	v_mul_lo_u32 v3, v0, s31
	v_mad_u64_u32 v[0:1], s[2:3], v0, s30, 0
	v_add3_u32 v1, v1, v3, v2
	v_lshl_add_u64 v[0:1], v[0:1], 2, s[10:11]
	global_load_dword v0, v[0:1], off
	s_waitcnt vmcnt(0)
	v_sub_f32_e32 v0, s12, v0
	v_mul_f32_e32 v0, 0x3fb8aa3b, v0
	v_exp_f32_e32 v18, v0
.LBB347_61:
	s_or_b64 exec, exec, s[0:1]
	v_or_b32_e32 v10, 1, v21
	v_cmp_gt_i32_e64 s[0:1], s27, v10
	s_and_saveexec_b64 s[2:3], s[0:1]
	s_cbranch_execz .LBB347_63
; %bb.62:
	v_add_u32_e32 v0, s26, v10
	v_ashrrev_i32_e32 v1, 31, v0
	v_mul_lo_u32 v2, v1, s30
	v_mul_lo_u32 v3, v0, s31
	v_mad_u64_u32 v[0:1], s[4:5], v0, s30, 0
	v_add3_u32 v1, v1, v3, v2
	v_lshl_add_u64 v[0:1], v[0:1], 2, s[10:11]
	global_load_dword v0, v[0:1], off
	s_waitcnt vmcnt(0)
	v_sub_f32_e32 v0, s12, v0
	v_mul_f32_e32 v0, 0x3fb8aa3b, v0
	v_exp_f32_e32 v16, v0
.LBB347_63:
	s_or_b64 exec, exec, s[2:3]
	v_or_b32_e32 v12, 2, v21
	v_cmp_gt_i32_e64 s[2:3], s27, v12
	v_mov_b32_e32 v17, 0
	v_mov_b32_e32 v20, 0
	s_and_saveexec_b64 s[4:5], s[2:3]
	s_cbranch_execz .LBB347_65
; %bb.64:
	v_add_u32_e32 v0, s26, v12
	v_ashrrev_i32_e32 v1, 31, v0
	v_mul_lo_u32 v2, v1, s30
	v_mul_lo_u32 v3, v0, s31
	v_mad_u64_u32 v[0:1], s[6:7], v0, s30, 0
	v_add3_u32 v1, v1, v3, v2
	v_lshl_add_u64 v[0:1], v[0:1], 2, s[10:11]
	global_load_dword v0, v[0:1], off
	s_waitcnt vmcnt(0)
	v_sub_f32_e32 v0, s12, v0
	v_mul_f32_e32 v0, 0x3fb8aa3b, v0
	v_exp_f32_e32 v20, v0
.LBB347_65:
	s_or_b64 exec, exec, s[4:5]
	v_or_b32_e32 v14, 3, v21
	v_cmp_gt_i32_e64 s[4:5], s27, v14
	s_and_saveexec_b64 s[6:7], s[4:5]
	s_cbranch_execz .LBB347_67
; %bb.66:
	v_add_u32_e32 v0, s26, v14
	v_ashrrev_i32_e32 v1, 31, v0
	v_mul_lo_u32 v2, v1, s30
	v_mul_lo_u32 v3, v0, s31
	v_mad_u64_u32 v[0:1], s[14:15], v0, s30, 0
	v_add3_u32 v1, v1, v3, v2
	v_lshl_add_u64 v[0:1], v[0:1], 2, s[10:11]
	global_load_dword v0, v[0:1], off
	s_waitcnt vmcnt(0)
	v_sub_f32_e32 v0, s12, v0
	v_mul_f32_e32 v0, 0x3fb8aa3b, v0
	v_exp_f32_e32 v17, v0
.LBB347_67:
	s_or_b64 exec, exec, s[6:7]
	s_add_u32 s6, s8, s20
	s_addc_u32 s7, s9, s21
	s_add_u32 s8, s28, s20
	v_ashrrev_i32_e32 v47, 31, v46
	v_accvgpr_read_b32 v0, a4
	s_addc_u32 s9, s29, s21
	v_lshlrev_b64 v[4:5], 1, v[46:47]
	v_accvgpr_read_b32 v1, a5
	v_accvgpr_read_b32 v2, a6
	;; [unrolled: 1-line block ×3, first 2 shown]
	v_lshl_add_u64 v[6:7], s[6:7], 0, v[4:5]
	v_lshl_add_u64 v[4:5], s[8:9], 0, v[4:5]
	v_mov_b32_e32 v11, 0
	v_lshlrev_b32_e32 v8, 8, v21
	v_mov_b32_e32 v9, 0
	s_and_saveexec_b64 s[6:7], vcc
	s_cbranch_execz .LBB347_69
; %bb.68:
	v_mov_b32_e32 v9, 0
	v_lshl_add_u64 v[24:25], v[6:7], 0, v[8:9]
	global_load_ushort v13, v[24:25], off
	v_lshl_add_u64 v[24:25], v[4:5], 0, v[8:9]
	s_waitcnt vmcnt(0)
	v_lshlrev_b32_e32 v9, 16, v13
	v_sub_f32_e32 v0, v9, v0
	global_store_short_d16_hi v[24:25], v0, off
	v_mul_f32_e32 v0, v18, v0
	v_lshrrev_b32_e32 v9, 16, v0
.LBB347_69:
	s_or_b64 exec, exec, s[6:7]
	v_lshlrev_b32_e32 v10, 8, v10
	s_and_saveexec_b64 s[6:7], s[0:1]
	s_cbranch_execz .LBB347_71
; %bb.70:
	v_mov_b32_e32 v11, 0
	v_lshl_add_u64 v[24:25], v[6:7], 0, v[10:11]
	global_load_ushort v0, v[24:25], off
	v_lshl_add_u64 v[24:25], v[4:5], 0, v[10:11]
	s_waitcnt vmcnt(0)
	v_lshlrev_b32_e32 v0, 16, v0
	v_sub_f32_e32 v0, v0, v1
	global_store_short_d16_hi v[24:25], v0, off
	v_mul_f32_e32 v0, v16, v0
	v_lshrrev_b32_e32 v11, 16, v0
.LBB347_71:
	s_or_b64 exec, exec, s[6:7]
	v_mov_b32_e32 v15, 0
	v_lshlrev_b32_e32 v12, 8, v12
	v_mov_b32_e32 v13, 0
	s_and_saveexec_b64 s[6:7], s[2:3]
	s_cbranch_execz .LBB347_73
; %bb.72:
	v_mov_b32_e32 v13, 0
	v_lshl_add_u64 v[0:1], v[6:7], 0, v[12:13]
	global_load_ushort v23, v[0:1], off
	v_lshl_add_u64 v[0:1], v[4:5], 0, v[12:13]
	s_waitcnt vmcnt(0)
	v_lshlrev_b32_e32 v13, 16, v23
	v_sub_f32_e32 v2, v13, v2
	global_store_short_d16_hi v[0:1], v2, off
	v_mul_f32_e32 v0, v20, v2
	v_lshrrev_b32_e32 v13, 16, v0
.LBB347_73:
	s_or_b64 exec, exec, s[6:7]
	v_lshlrev_b32_e32 v14, 8, v14
	s_and_saveexec_b64 s[6:7], s[4:5]
	s_cbranch_execz .LBB347_75
; %bb.74:
	v_mov_b32_e32 v15, 0
	v_lshl_add_u64 v[0:1], v[6:7], 0, v[14:15]
	global_load_ushort v2, v[0:1], off
	v_lshl_add_u64 v[0:1], v[4:5], 0, v[14:15]
	s_waitcnt vmcnt(0)
	v_lshlrev_b32_e32 v2, 16, v2
	v_sub_f32_e32 v2, v2, v3
	global_store_short_d16_hi v[0:1], v2, off
	v_mul_f32_e32 v0, v17, v2
	v_lshrrev_b32_e32 v15, 16, v0
.LBB347_75:
	s_or_b64 exec, exec, s[6:7]
	v_lshlrev_b32_e32 v21, 5, v21
	s_mov_b32 s6, 0x5040100
	v_perm_b32 v24, v11, v9, s6
	v_or_b32_e32 v9, v21, v22
	v_accvgpr_read_b32 v0, a0
	v_perm_b32 v25, v15, v13, s6
	v_lshlrev_b32_e32 v9, 1, v9
	v_accvgpr_read_b32 v1, a1
	v_accvgpr_read_b32 v2, a2
	;; [unrolled: 1-line block ×3, first 2 shown]
	ds_write_b64 v9, v[24:25] offset:45056
	v_mov_b32_e32 v11, 0
	v_mov_b32_e32 v9, 0
	s_and_saveexec_b64 s[6:7], vcc
	s_cbranch_execz .LBB347_77
; %bb.76:
	v_mov_b32_e32 v9, 0
	v_lshl_add_u64 v[22:23], v[6:7], 0, v[8:9]
	global_load_ushort v13, v[22:23], off offset:32
	v_lshl_add_u64 v[8:9], v[4:5], 0, v[8:9]
	s_waitcnt vmcnt(0)
	v_lshlrev_b32_e32 v13, 16, v13
	v_sub_f32_e32 v0, v13, v0
	global_store_short_d16_hi v[8:9], v0, off offset:32
	v_mul_f32_e32 v0, v18, v0
	v_lshrrev_b32_e32 v9, 16, v0
.LBB347_77:
	s_or_b64 exec, exec, s[6:7]
	s_and_saveexec_b64 s[6:7], s[0:1]
	s_cbranch_execz .LBB347_79
; %bb.78:
	v_mov_b32_e32 v11, 0
	v_lshl_add_u64 v[22:23], v[6:7], 0, v[10:11]
	global_load_ushort v0, v[22:23], off offset:32
	v_lshl_add_u64 v[10:11], v[4:5], 0, v[10:11]
	s_waitcnt vmcnt(0)
	v_lshlrev_b32_e32 v0, 16, v0
	v_sub_f32_e32 v0, v0, v1
	global_store_short_d16_hi v[10:11], v0, off offset:32
	v_mul_f32_e32 v0, v16, v0
	v_lshrrev_b32_e32 v11, 16, v0
.LBB347_79:
	s_or_b64 exec, exec, s[6:7]
	v_mov_b32_e32 v0, 0
	v_mov_b32_e32 v1, 0
	s_and_saveexec_b64 s[0:1], s[2:3]
	s_cbranch_execz .LBB347_81
; %bb.80:
	v_mov_b32_e32 v13, 0
	v_lshl_add_u64 v[22:23], v[6:7], 0, v[12:13]
	global_load_ushort v1, v[22:23], off offset:32
	v_lshl_add_u64 v[12:13], v[4:5], 0, v[12:13]
	s_waitcnt vmcnt(0)
	v_lshlrev_b32_e32 v1, 16, v1
	v_sub_f32_e32 v1, v1, v2
	global_store_short_d16_hi v[12:13], v1, off offset:32
	v_mul_f32_e32 v1, v20, v1
	v_lshrrev_b32_e32 v1, 16, v1
.LBB347_81:
	s_or_b64 exec, exec, s[0:1]
	s_and_saveexec_b64 s[0:1], s[4:5]
	s_cbranch_execz .LBB347_83
; %bb.82:
	v_mov_b32_e32 v15, 0
	v_lshl_add_u64 v[6:7], v[6:7], 0, v[14:15]
	global_load_ushort v0, v[6:7], off offset:32
	v_lshl_add_u64 v[4:5], v[4:5], 0, v[14:15]
	s_waitcnt vmcnt(0)
	v_lshlrev_b32_e32 v0, 16, v0
	v_sub_f32_e32 v0, v0, v3
	global_store_short_d16_hi v[4:5], v0, off offset:32
	v_mul_f32_e32 v0, v17, v0
	v_lshrrev_b32_e32 v0, 16, v0
.LBB347_83:
	s_or_b64 exec, exec, s[0:1]
	s_mov_b32 s0, 0x5040100
	v_or_b32_e32 v2, v21, v19
	v_perm_b32 v1, v0, v1, s0
	v_perm_b32 v0, v11, v9, s0
	v_lshlrev_b32_e32 v2, 1, v2
	ds_write_b64 v2, v[0:1] offset:45056
	s_waitcnt lgkmcnt(0)
	s_barrier
.LBB347_84:
	s_endpgm
	.section	.rodata,"a",@progbits
	.p2align	6, 0x0
	.amdhsa_kernel _ZN12_GLOBAL__N_139chunk_gated_delta_rule_fwd_h_hip_kernelILi32ELb1ELb0ELb1ELb0ELb0ELb1ELb0ELb1EEEvPK12hip_bfloat16S3_S3_PKfS5_PKvPS1_S8_PvPKiSB_iiiiilll
		.amdhsa_group_segment_fixed_size 49152
		.amdhsa_private_segment_fixed_size 0
		.amdhsa_kernarg_size 136
		.amdhsa_user_sgpr_count 2
		.amdhsa_user_sgpr_dispatch_ptr 0
		.amdhsa_user_sgpr_queue_ptr 0
		.amdhsa_user_sgpr_kernarg_segment_ptr 1
		.amdhsa_user_sgpr_dispatch_id 0
		.amdhsa_user_sgpr_kernarg_preload_length 0
		.amdhsa_user_sgpr_kernarg_preload_offset 0
		.amdhsa_user_sgpr_private_segment_size 0
		.amdhsa_uses_dynamic_stack 0
		.amdhsa_enable_private_segment 0
		.amdhsa_system_sgpr_workgroup_id_x 1
		.amdhsa_system_sgpr_workgroup_id_y 1
		.amdhsa_system_sgpr_workgroup_id_z 0
		.amdhsa_system_sgpr_workgroup_info 0
		.amdhsa_system_vgpr_workitem_id 0
		.amdhsa_next_free_vgpr 168
		.amdhsa_next_free_sgpr 70
		.amdhsa_accum_offset 144
		.amdhsa_reserve_vcc 1
		.amdhsa_float_round_mode_32 0
		.amdhsa_float_round_mode_16_64 0
		.amdhsa_float_denorm_mode_32 3
		.amdhsa_float_denorm_mode_16_64 3
		.amdhsa_dx10_clamp 1
		.amdhsa_ieee_mode 1
		.amdhsa_fp16_overflow 0
		.amdhsa_tg_split 0
		.amdhsa_exception_fp_ieee_invalid_op 0
		.amdhsa_exception_fp_denorm_src 0
		.amdhsa_exception_fp_ieee_div_zero 0
		.amdhsa_exception_fp_ieee_overflow 0
		.amdhsa_exception_fp_ieee_underflow 0
		.amdhsa_exception_fp_ieee_inexact 0
		.amdhsa_exception_int_div_zero 0
	.end_amdhsa_kernel
	.section	.text._ZN12_GLOBAL__N_139chunk_gated_delta_rule_fwd_h_hip_kernelILi32ELb1ELb0ELb1ELb0ELb0ELb1ELb0ELb1EEEvPK12hip_bfloat16S3_S3_PKfS5_PKvPS1_S8_PvPKiSB_iiiiilll,"axG",@progbits,_ZN12_GLOBAL__N_139chunk_gated_delta_rule_fwd_h_hip_kernelILi32ELb1ELb0ELb1ELb0ELb0ELb1ELb0ELb1EEEvPK12hip_bfloat16S3_S3_PKfS5_PKvPS1_S8_PvPKiSB_iiiiilll,comdat
.Lfunc_end347:
	.size	_ZN12_GLOBAL__N_139chunk_gated_delta_rule_fwd_h_hip_kernelILi32ELb1ELb0ELb1ELb0ELb0ELb1ELb0ELb1EEEvPK12hip_bfloat16S3_S3_PKfS5_PKvPS1_S8_PvPKiSB_iiiiilll, .Lfunc_end347-_ZN12_GLOBAL__N_139chunk_gated_delta_rule_fwd_h_hip_kernelILi32ELb1ELb0ELb1ELb0ELb0ELb1ELb0ELb1EEEvPK12hip_bfloat16S3_S3_PKfS5_PKvPS1_S8_PvPKiSB_iiiiilll
                                        ; -- End function
	.section	.AMDGPU.csdata,"",@progbits
; Kernel info:
; codeLenInByte = 9052
; NumSgprs: 76
; NumVgprs: 142
; NumAgprs: 24
; TotalNumVgprs: 168
; ScratchSize: 0
; MemoryBound: 0
; FloatMode: 240
; IeeeMode: 1
; LDSByteSize: 49152 bytes/workgroup (compile time only)
; SGPRBlocks: 9
; VGPRBlocks: 20
; NumSGPRsForWavesPerEU: 76
; NumVGPRsForWavesPerEU: 168
; AccumOffset: 144
; Occupancy: 1
; WaveLimiterHint : 1
; COMPUTE_PGM_RSRC2:SCRATCH_EN: 0
; COMPUTE_PGM_RSRC2:USER_SGPR: 2
; COMPUTE_PGM_RSRC2:TRAP_HANDLER: 0
; COMPUTE_PGM_RSRC2:TGID_X_EN: 1
; COMPUTE_PGM_RSRC2:TGID_Y_EN: 1
; COMPUTE_PGM_RSRC2:TGID_Z_EN: 0
; COMPUTE_PGM_RSRC2:TIDIG_COMP_CNT: 0
; COMPUTE_PGM_RSRC3_GFX90A:ACCUM_OFFSET: 35
; COMPUTE_PGM_RSRC3_GFX90A:TG_SPLIT: 0
	.section	.text._ZN12_GLOBAL__N_139chunk_gated_delta_rule_fwd_h_hip_kernelILi32ELb1ELb0ELb0ELb0ELb0ELb1ELb0ELb1EEEvPK12hip_bfloat16S3_S3_PKfS5_PKvPS1_S8_PvPKiSB_iiiiilll,"axG",@progbits,_ZN12_GLOBAL__N_139chunk_gated_delta_rule_fwd_h_hip_kernelILi32ELb1ELb0ELb0ELb0ELb0ELb1ELb0ELb1EEEvPK12hip_bfloat16S3_S3_PKfS5_PKvPS1_S8_PvPKiSB_iiiiilll,comdat
	.globl	_ZN12_GLOBAL__N_139chunk_gated_delta_rule_fwd_h_hip_kernelILi32ELb1ELb0ELb0ELb0ELb0ELb1ELb0ELb1EEEvPK12hip_bfloat16S3_S3_PKfS5_PKvPS1_S8_PvPKiSB_iiiiilll ; -- Begin function _ZN12_GLOBAL__N_139chunk_gated_delta_rule_fwd_h_hip_kernelILi32ELb1ELb0ELb0ELb0ELb0ELb1ELb0ELb1EEEvPK12hip_bfloat16S3_S3_PKfS5_PKvPS1_S8_PvPKiSB_iiiiilll
	.p2align	8
	.type	_ZN12_GLOBAL__N_139chunk_gated_delta_rule_fwd_h_hip_kernelILi32ELb1ELb0ELb0ELb0ELb0ELb1ELb0ELb1EEEvPK12hip_bfloat16S3_S3_PKfS5_PKvPS1_S8_PvPKiSB_iiiiilll,@function
_ZN12_GLOBAL__N_139chunk_gated_delta_rule_fwd_h_hip_kernelILi32ELb1ELb0ELb0ELb0ELb0ELb1ELb0ELb1EEEvPK12hip_bfloat16S3_S3_PKfS5_PKvPS1_S8_PvPKiSB_iiiiilll: ; @_ZN12_GLOBAL__N_139chunk_gated_delta_rule_fwd_h_hip_kernelILi32ELb1ELb0ELb0ELb0ELb0ELb1ELb0ELb1EEEvPK12hip_bfloat16S3_S3_PKfS5_PKvPS1_S8_PvPKiSB_iiiiilll
; %bb.0:
	s_load_dwordx4 s[12:15], s[0:1], 0x5c
	s_load_dwordx4 s[16:19], s[0:1], 0x28
	s_abs_i32 s6, s3
	s_ashr_i32 s5, s3, 31
	v_and_b32_e32 v64, 15, v0
	s_waitcnt lgkmcnt(0)
	s_abs_i32 s4, s13
	v_cvt_f32_u32_e32 v1, s4
	s_sub_i32 s8, 0, s4
	s_ashr_i32 s7, s13, 31
	s_xor_b32 s5, s5, s7
	v_rcp_iflag_f32_e32 v1, v1
	v_lshrrev_b32_e32 v62, 6, v0
	v_bfe_u32 v63, v0, 4, 2
	v_mov_b32_e32 v7, 0
	v_mul_f32_e32 v1, 0x4f7ffffe, v1
	v_cvt_u32_f32_e32 v1, v1
	v_and_b32_e32 v45, 63, v0
	v_lshlrev_b32_e32 v65, 3, v0
	v_lshrrev_b32_e32 v66, 3, v45
	v_readfirstlane_b32 s9, v1
	s_mul_i32 s8, s8, s9
	s_mul_hi_u32 s8, s9, s8
	s_add_i32 s9, s9, s8
	s_mul_hi_u32 s8, s6, s9
	s_mul_i32 s9, s8, s4
	s_sub_i32 s6, s6, s9
	s_add_i32 s10, s8, 1
	s_sub_i32 s9, s6, s4
	s_cmp_ge_u32 s6, s4
	s_cselect_b32 s8, s10, s8
	s_cselect_b32 s6, s9, s6
	s_add_i32 s9, s8, 1
	s_cmp_ge_u32 s6, s4
	s_cselect_b32 s6, s9, s8
	s_xor_b32 s6, s6, s5
	s_sub_i32 s51, s6, s5
	s_mul_i32 s6, s51, s13
	s_sub_i32 s49, s3, s6
	s_abs_i32 s3, s14
	v_cvt_f32_u32_e32 v1, s3
	s_add_i32 s8, s12, 63
	s_ashr_i32 s9, s8, 31
	s_lshr_b32 s5, s9, 26
	v_rcp_iflag_f32_e32 v1, v1
	s_ashr_i32 s50, s12, 31
	s_add_i32 s8, s8, s5
	s_lshr_b32 s5, s50, 26
	v_mul_f32_e32 v1, 0x4f7ffffe, v1
	v_cvt_u32_f32_e32 v1, v1
	s_add_i32 s5, s12, s5
	s_ashr_i32 s54, s14, 31
	s_ashr_i32 s52, s5, 6
	s_lshl_b32 s36, s2, 5
	s_xor_b32 s2, s7, s54
	s_sub_i32 s5, 0, s3
	v_readfirstlane_b32 s7, v1
	s_mul_i32 s5, s5, s7
	s_mul_hi_u32 s5, s7, s5
	s_add_i32 s7, s7, s5
	s_mul_hi_u32 s5, s4, s7
	s_mul_i32 s7, s5, s3
	s_sub_i32 s4, s4, s7
	s_ashr_i32 s25, s8, 6
	s_add_i32 s7, s5, 1
	s_sub_i32 s8, s4, s3
	s_cmp_ge_u32 s4, s3
	s_cselect_b32 s5, s7, s5
	s_cselect_b32 s4, s8, s4
	s_add_i32 s7, s5, 1
	s_cmp_ge_u32 s4, s3
	s_cselect_b32 s3, s7, s5
	s_xor_b32 s3, s3, s2
	s_sub_i32 s2, s3, s2
	s_abs_i32 s3, s2
	v_cvt_f32_u32_e32 v1, s3
	s_sub_i32 s5, 0, s3
	s_abs_i32 s4, s49
	s_xor_b32 s2, s49, s2
	v_rcp_iflag_f32_e32 v1, v1
	s_ashr_i32 s2, s2, 31
	v_or_b32_e32 v46, s36, v64
	v_lshlrev_b32_e32 v2, 7, v46
	v_mul_f32_e32 v1, 0x4f7ffffe, v1
	v_cvt_u32_f32_e32 v1, v1
	v_ashrrev_i32_e32 v3, 31, v2
	s_mul_i32 s56, s51, s25
	v_readfirstlane_b32 s7, v1
	s_mul_i32 s5, s5, s7
	s_mul_hi_u32 s5, s7, s5
	s_add_i32 s7, s7, s5
	s_mul_hi_u32 s5, s4, s7
	s_mul_i32 s7, s5, s3
	s_sub_i32 s4, s4, s7
	s_add_i32 s7, s5, 1
	s_sub_i32 s8, s4, s3
	s_cmp_ge_u32 s4, s3
	s_cselect_b32 s5, s7, s5
	s_cselect_b32 s4, s8, s4
	s_add_i32 s7, s5, 1
	s_cmp_ge_u32 s4, s3
	s_cselect_b32 s3, s7, s5
	s_xor_b32 s3, s3, s2
	s_sub_i32 s55, s3, s2
	s_ashr_i32 s24, s51, 31
	s_ashr_i32 s53, s49, 31
	s_mul_hi_i32 s2, s51, s13
	s_add_u32 s38, s6, s49
	s_addc_u32 s39, s2, s53
	s_lshl_b64 s[2:3], s[38:39], 15
	s_add_u32 s2, s16, s2
	s_addc_u32 s3, s17, s3
	v_lshlrev_b32_e32 v1, 4, v62
	v_lshl_add_u64 v[4:5], v[2:3], 1, s[2:3]
	v_or_b32_e32 v2, 0x800, v2
	v_lshl_or_b32 v67, v63, 2, v1
	v_ashrrev_i32_e32 v3, 31, v2
	v_lshlrev_b32_e32 v6, 1, v67
	v_lshl_add_u64 v[2:3], v[2:3], 1, s[2:3]
	v_lshl_add_u64 v[4:5], v[4:5], 0, v[6:7]
	;; [unrolled: 1-line block ×3, first 2 shown]
	global_load_dwordx2 v[8:9], v[4:5], off
	v_or_b32_e32 v68, 64, v67
	global_load_dwordx2 v[4:5], v[4:5], off offset:128
	s_nop 0
	global_load_dwordx2 v[6:7], v[2:3], off
	global_load_dwordx2 v[10:11], v[2:3], off offset:128
	s_load_dwordx8 s[4:11], s[0:1], 0x0
	s_load_dwordx2 s[28:29], s[0:1], 0x80
	s_load_dwordx4 s[20:23], s[0:1], 0x70
	s_mul_hi_u32 s57, s38, s12
	s_mul_i32 s16, s38, s12
	s_mul_i32 s39, s39, s12
	s_cmp_lt_i32 s12, 64
	s_waitcnt lgkmcnt(0)
	s_mul_i32 s33, s51, s21
	s_mul_hi_u32 s44, s51, s20
	s_mul_i32 s30, s51, s20
	s_mul_i32 s45, s49, s23
	s_mul_hi_u32 s46, s49, s22
	s_mul_i32 s48, s24, s20
	s_mul_i32 s47, s53, s22
	s_mul_i32 s34, s49, s22
	s_waitcnt vmcnt(3)
	v_and_b32_e32 v51, 0xffff0000, v8
	v_lshlrev_b32_e32 v50, 16, v8
	v_and_b32_e32 v55, 0xffff0000, v9
	v_lshlrev_b32_e32 v54, 16, v9
	s_waitcnt vmcnt(2)
	v_and_b32_e32 v49, 0xffff0000, v4
	v_lshlrev_b32_e32 v48, 16, v4
	v_and_b32_e32 v53, 0xffff0000, v5
	v_lshlrev_b32_e32 v52, 16, v5
	;; [unrolled: 5-line block ×4, first 2 shown]
	s_cbranch_scc1 .LBB348_3
; %bb.1:
	s_add_i32 s17, s57, s39
	s_lshl_b64 s[2:3], s[16:17], 8
	v_and_b32_e32 v76, 56, v65
	s_add_u32 s20, s6, s2
	v_lshl_or_b32 v75, v62, 3, v66
	v_lshlrev_b32_e32 v2, 1, v76
	s_addc_u32 s2, s7, s3
	v_lshl_or_b32 v77, v75, 8, v2
	s_and_b32 s21, s2, 0xffff
	s_mov_b32 s23, 0x20000
	s_movk_i32 s22, 0x4000
	s_movk_i32 s2, 0x80
	v_or_b32_e32 v79, 0x2000, v77
	buffer_load_dwordx4 v[4:7], v77, s[20:23], 0 offen
	buffer_load_dwordx4 v[8:11], v77, s[20:23], s2 offen
	;; [unrolled: 1-line block ×4, first 2 shown]
	v_lshlrev_b32_e32 v3, 3, v75
	v_and_or_b32 v21, v0, 7, v3
	v_and_b32_e32 v3, 0x78, v3
	v_lshlrev_b32_e32 v21, 4, v21
	v_xor_b32_e32 v81, v21, v3
	v_mul_lo_u32 v20, v75, s15
	v_or_b32_e32 v82, 0x1000, v81
	v_xor_b32_e32 v3, 8, v81
	s_cmpk_eq_i32 s15, 0x80
	s_mov_b32 s58, s14
	v_xor_b32_e32 v21, 8, v82
	s_cselect_b64 s[2:3], -1, 0
	s_cmpk_lg_i32 s15, 0x80
	s_waitcnt vmcnt(3)
	ds_write_b64 v81, v[4:5] offset:24576
	ds_write_b64 v3, v[6:7] offset:24576
	s_waitcnt vmcnt(2)
	ds_write_b64 v81, v[8:9] offset:32768
	ds_write_b64 v3, v[10:11] offset:32768
	;; [unrolled: 3-line block ×4, first 2 shown]
	v_lshl_add_u32 v3, v20, 1, v76
	s_cbranch_scc0 .LBB348_29
; %bb.2:
	v_lshlrev_b32_e32 v5, 1, v3
	v_add_lshl_u32 v4, v3, s15, 1
	s_lshl_b32 s22, s15, 7
	s_load_dwordx2 s[40:41], s[0:1], 0x20
	v_lshl_or_b32 v2, v75, 9, v2
	s_cbranch_execz .LBB348_30
	s_branch .LBB348_31
.LBB348_3:
	v_mov_b32_e32 v9, v78
	v_mov_b32_e32 v5, v80
.LBB348_4:
	s_lshl_b32 s26, s52, 6
	s_sub_i32 s27, s12, s26
	s_cmp_gt_i32 s27, 0
	s_cbranch_scc0 .LBB348_84
; %bb.5:
	s_ashr_i32 s2, s26, 31
	s_cmpk_lg_i32 s15, 0x80
	s_cselect_b64 s[22:23], -1, 0
	s_and_b64 vcc, exec, s[22:23]
	s_cbranch_vccz .LBB348_7
; %bb.6:
	s_mul_i32 s1, s51, s12
	s_mul_hi_i32 s0, s51, s12
	s_add_u32 s1, s1, s26
	s_addc_u32 s0, s0, s2
	s_mul_i32 s3, s1, s54
	s_mul_hi_u32 s17, s1, s14
	s_add_i32 s3, s17, s3
	s_mul_i32 s0, s0, s14
	s_add_i32 s3, s3, s0
	s_mul_i32 s1, s1, s14
	s_ashr_i32 s0, s55, 31
	s_add_u32 s24, s1, s55
	s_addc_u32 s25, s3, s0
	s_cbranch_execz .LBB348_8
	s_branch .LBB348_9
.LBB348_7:
                                        ; implicit-def: $sgpr24_sgpr25
.LBB348_8:
	s_mul_hi_i32 s0, s51, s14
	s_mul_i32 s51, s51, s14
	s_ashr_i32 s1, s55, 31
	s_add_u32 s3, s51, s55
	s_addc_u32 s0, s0, s1
	s_mul_i32 s1, s3, s50
	s_mul_hi_u32 s14, s3, s12
	s_add_i32 s1, s14, s1
	s_mul_i32 s0, s0, s12
	s_add_i32 s1, s1, s0
	s_mul_i32 s3, s3, s12
	s_add_u32 s24, s3, s26
	s_addc_u32 s25, s1, s2
.LBB348_9:
	s_mul_i32 s0, s38, s50
	s_add_i32 s0, s57, s0
	s_add_i32 s3, s56, s52
	s_add_i32 s1, s0, s39
	s_add_u32 s0, s16, s26
	v_lshlrev_b32_e32 v8, 5, v67
	v_lshlrev_b32_e32 v22, 2, v64
	s_addc_u32 s1, s1, s2
	s_mov_b32 s2, 0x7060302
	v_or_b32_e32 v11, v8, v22
	v_xor_b32_e32 v4, v67, v22
	v_perm_b32 v3, v55, v54, s2
	v_perm_b32 v2, v51, v50, s2
	;; [unrolled: 1-line block ×4, first 2 shown]
	v_lshlrev_b32_e32 v11, 1, v11
	s_lshl_b64 s[20:21], s[0:1], 8
	v_xor_b32_e32 v10, v68, v22
	ds_write2st64_b64 v11, v[2:3], v[6:7] offset0:80 offset1:88
	v_lshlrev_b32_e32 v11, 1, v4
	v_lshlrev_b32_e32 v4, 8, v64
	s_add_u32 s0, s6, s20
	v_or_b32_e32 v12, v11, v4
	v_lshlrev_b32_e32 v10, 1, v10
	s_addc_u32 s1, s7, s21
	ds_write_b64 v12, v[2:3]
	v_or_b32_e32 v2, v10, v4
	s_mul_hi_i32 s6, s3, s13
	s_mul_i32 s3, s3, s13
	ds_write_b64 v2, v[6:7]
	v_perm_b32 v3, v5, v73, s2
	v_perm_b32 v2, v69, v71, s2
	;; [unrolled: 1-line block ×4, first 2 shown]
	v_or_b32_e32 v6, 16, v64
	s_add_u32 s2, s3, s49
	v_lshlrev_b32_e32 v19, 2, v6
	s_addc_u32 s3, s6, s53
	v_or_b32_e32 v7, v8, v19
	s_ashr_i32 s37, s36, 31
	s_lshl_b64 s[2:3], s[2:3], 15
	v_lshlrev_b32_e32 v7, 1, v7
	v_lshlrev_b32_e32 v6, 8, v6
	s_add_u32 s6, s18, s2
	ds_write2st64_b64 v7, v[2:3], v[4:5] offset0:80 offset1:88
	v_or_b32_e32 v7, v11, v6
	s_addc_u32 s7, s19, s3
	s_lshl_b64 s[2:3], s[36:37], 8
	ds_write_b64 v7, v[2:3]
	v_or_b32_e32 v2, v10, v6
	s_add_u32 s2, s6, s2
	ds_write_b64 v2, v[4:5]
	v_lshrrev_b32_e32 v2, 4, v0
	s_addc_u32 s3, s7, s3
	v_lshlrev_b32_e32 v3, 1, v64
	v_lshlrev_b32_e32 v10, 4, v64
	v_mov_b32_e32 v11, 0
	v_or_b32_e32 v4, 1, v3
	v_xor_b32_e32 v3, v2, v3
	v_lshl_add_u64 v[12:13], s[2:3], 0, v[10:11]
	v_lshlrev_b32_e32 v10, 8, v2
	v_xor_b32_e32 v6, v4, v2
	v_lshl_or_b32 v2, v3, 3, v10
	s_waitcnt lgkmcnt(0)
	s_barrier
	ds_read2st64_b64 v[2:5], v2 offset1:8
	v_lshl_or_b32 v6, v6, 3, v10
	ds_read2st64_b64 v[6:9], v6 offset1:8
	v_lshl_add_u64 v[14:15], v[12:13], 0, v[10:11]
	s_movk_i32 s2, 0x1000
	s_waitcnt lgkmcnt(1)
	v_mov_b32_e32 v10, v2
	v_add_co_u32_e32 v2, vcc, s2, v14
	s_cmp_lg_u32 s27, 64
	v_mov_b32_e32 v11, v3
	v_addc_co_u32_e32 v3, vcc, 0, v15, vcc
	s_cselect_b64 s[6:7], -1, 0
	v_lshl_or_b32 v23, v62, 3, v66
	s_waitcnt lgkmcnt(0)
	v_mov_b32_e32 v12, v6
	v_mov_b32_e32 v13, v7
	;; [unrolled: 1-line block ×4, first 2 shown]
	s_mov_b32 s16, 0
	v_or_b32_e32 v20, 32, v23
	v_and_b32_e32 v18, 56, v65
	s_and_b64 vcc, exec, s[6:7]
	global_store_dwordx4 v[14:15], v[10:13], off
	global_store_dwordx4 v[2:3], v[6:9], off
	s_cbranch_vccz .LBB348_15
; %bb.10:
	s_mov_b32 s17, s16
	s_mov_b32 s18, s16
	;; [unrolled: 1-line block ×3, first 2 shown]
	v_mov_b64_e32 v[6:7], s[16:17]
	v_mov_b64_e32 v[8:9], s[18:19]
	;; [unrolled: 1-line block ×3, first 2 shown]
	v_cmp_gt_i32_e32 vcc, s27, v23
	v_mov_b64_e32 v[4:5], v[8:9]
	s_and_saveexec_b64 s[2:3], vcc
	s_cbranch_execz .LBB348_12
; %bb.11:
	v_lshlrev_b32_e32 v2, 8, v23
	v_mov_b32_e32 v3, 0
	v_lshl_add_u64 v[4:5], s[0:1], 0, v[2:3]
	v_lshlrev_b32_e32 v2, 1, v18
	v_lshl_add_u64 v[10:11], v[4:5], 0, v[2:3]
	global_load_dwordx4 v[6:9], v[10:11], off
	global_load_dwordx4 v[2:5], v[10:11], off offset:128
.LBB348_12:
	s_or_b64 exec, exec, s[2:3]
	s_mov_b32 s17, s16
	s_mov_b32 s18, s16
	;; [unrolled: 1-line block ×3, first 2 shown]
	v_mov_b64_e32 v[14:15], s[16:17]
	v_mov_b64_e32 v[16:17], s[18:19]
	;; [unrolled: 1-line block ×3, first 2 shown]
	v_cmp_gt_i32_e32 vcc, s27, v20
	v_lshlrev_b32_e32 v21, 7, v20
	v_mov_b64_e32 v[12:13], v[16:17]
	s_and_saveexec_b64 s[2:3], vcc
	s_cbranch_execz .LBB348_14
; %bb.13:
	v_lshlrev_b32_e32 v10, 1, v21
	v_mov_b32_e32 v11, 0
	v_lshl_add_u64 v[12:13], s[0:1], 0, v[10:11]
	v_lshlrev_b32_e32 v10, 1, v18
	v_lshl_add_u64 v[24:25], v[12:13], 0, v[10:11]
	global_load_dwordx4 v[14:17], v[24:25], off
	global_load_dwordx4 v[10:13], v[24:25], off offset:128
.LBB348_14:
	s_or_b64 exec, exec, s[2:3]
	v_lshrrev_b32_e32 v24, 3, v18
	v_lshlrev_b32_e32 v25, 3, v23
	v_or_b32_e32 v24, v25, v24
	v_lshlrev_b32_e32 v24, 4, v24
	v_and_b32_e32 v25, 0x78, v25
	v_xor_b32_e32 v24, v24, v25
	s_branch .LBB348_17
.LBB348_15:
                                        ; implicit-def: $vgpr24
                                        ; implicit-def: $vgpr21
                                        ; implicit-def: $vgpr6_vgpr7_vgpr8_vgpr9
                                        ; implicit-def: $vgpr2_vgpr3_vgpr4_vgpr5
                                        ; implicit-def: $vgpr14_vgpr15_vgpr16_vgpr17
                                        ; implicit-def: $vgpr10_vgpr11_vgpr12_vgpr13
	s_cbranch_execz .LBB348_17
; %bb.16:
	s_waitcnt vmcnt(0)
	v_lshlrev_b32_e32 v2, 1, v18
	v_lshl_or_b32 v21, v23, 8, v2
	s_and_b32 s1, s1, 0xffff
	s_mov_b32 s3, 0x20000
	s_movk_i32 s2, 0x4000
	v_lshl_or_b32 v24, v20, 8, v2
	s_movk_i32 s13, 0x80
	buffer_load_dwordx4 v[6:9], v21, s[0:3], 0 offen
	buffer_load_dwordx4 v[2:5], v21, s[0:3], s13 offen
	buffer_load_dwordx4 v[14:17], v24, s[0:3], 0 offen
	buffer_load_dwordx4 v[10:13], v24, s[0:3], s13 offen
	v_lshrrev_b32_e32 v21, 3, v18
	v_lshlrev_b32_e32 v24, 3, v23
	v_or_b32_e32 v21, v24, v21
	v_lshlrev_b32_e32 v21, 4, v21
	v_and_b32_e32 v24, 0x78, v24
	v_xor_b32_e32 v24, v21, v24
	v_lshlrev_b32_e32 v21, 7, v20
.LBB348_17:
	s_lshl_b64 s[0:1], s[24:25], 8
	s_add_u32 s4, s4, s0
	s_movk_i32 s0, 0x1000
	v_and_or_b32 v20, v21, s0, v24
	s_waitcnt vmcnt(1)
	ds_write_b64 v24, v[6:7] offset:24576
	v_xor_b32_e32 v6, 8, v24
	ds_write_b64 v6, v[8:9] offset:24576
	s_waitcnt vmcnt(0)
	ds_write_b64 v24, v[2:3] offset:32768
	ds_write_b64 v6, v[4:5] offset:32768
	;; [unrolled: 1-line block ×3, first 2 shown]
	v_xor_b32_e32 v2, 8, v20
	ds_write_b64 v2, v[16:17] offset:24576
	ds_write_b64 v20, v[10:11] offset:32768
	;; [unrolled: 1-line block ×3, first 2 shown]
	v_or_b32_e32 v2, v1, v64
	v_lshlrev_b32_e32 v3, 11, v62
	v_lshlrev_b32_e32 v2, 3, v2
	v_and_b32_e32 v6, 0x1000, v3
	v_lshrrev_b32_e32 v3, 5, v45
	s_movk_i32 s3, 0xf8
	v_and_or_b32 v3, v2, s3, v3
	v_lshlrev_b32_e32 v7, 4, v3
	v_and_b32_e32 v8, 0x78, v2
	v_or_b32_e32 v10, 32, v7
	v_lshrrev_b32_e32 v3, 1, v45
	v_xor_b32_e32 v10, v10, v8
	v_xor_b32_e32 v2, v7, v8
	v_and_b32_e32 v9, 8, v3
	v_or_b32_e32 v10, v10, v6
	v_or_b32_e32 v2, v2, v6
	v_xor_b32_e32 v26, v10, v9
	v_or_b32_e32 v10, 64, v7
	v_xor_b32_e32 v25, v2, v9
	v_xor_b32_e32 v10, v10, v8
	s_waitcnt lgkmcnt(0)
	s_barrier
	v_or_b32_e32 v12, v10, v6
	ds_read_b64 v[10:11], v25 offset:24576
	v_lshl_or_b32 v20, v63, 7, v22
	v_lshlrev_b32_e32 v24, 1, v20
	v_add_u32_e32 v2, 0xa000, v24
	ds_read2_b64 v[2:5], v2 offset1:16
	v_or_b32_e32 v7, 0x60, v7
	v_xor_b32_e32 v7, v7, v8
	s_waitcnt lgkmcnt(0)
	v_mfma_f32_16x16x16_bf16 a[0:3], v[10:11], v[2:3], 0
	v_or_b32_e32 v2, 64, v20
	v_or_b32_e32 v6, v7, v6
	v_lshlrev_b32_e32 v29, 1, v2
	v_xor_b32_e32 v27, v12, v9
	v_xor_b32_e32 v28, v6, v9
	ds_read_b64 v[12:13], v26 offset:24576
	ds_read_b64 v[14:15], v27 offset:24576
	;; [unrolled: 1-line block ×3, first 2 shown]
	v_mfma_f32_16x16x16_bf16 a[4:7], v[10:11], v[4:5], 0
	ds_read2st64_b64 v[2:5], v29 offset0:82 offset1:84
	ds_read2st64_b64 v[6:9], v24 offset0:82 offset1:84
	s_addc_u32 s5, s5, s1
	s_add_i32 s1, s44, s33
	s_add_i32 s0, s12, -1
	s_add_i32 s31, s1, s48
	s_add_i32 s1, s46, s45
	;; [unrolled: 1-line block ×3, first 2 shown]
	s_ashr_i32 s1, s0, 31
	s_mul_i32 s2, s0, s29
	s_mul_hi_u32 s3, s0, s28
	s_add_i32 s2, s3, s2
	s_mul_i32 s1, s1, s28
	s_waitcnt lgkmcnt(1)
	v_mfma_f32_16x16x16_bf16 a[4:7], v[12:13], v[2:3], a[4:7]
	s_add_i32 s1, s2, s1
	s_lshl_b64 s[2:3], s[30:31], 2
	s_add_u32 s10, s10, s2
	s_waitcnt lgkmcnt(0)
	v_mfma_f32_16x16x16_bf16 a[0:3], v[12:13], v[6:7], a[0:3]
	s_addc_u32 s11, s11, s3
	s_lshl_b64 s[2:3], s[34:35], 2
	s_mul_i32 s0, s0, s28
	s_add_u32 s10, s10, s2
	ds_read_b64 v[2:3], v24 offset:44032
	v_mfma_f32_16x16x16_bf16 a[4:7], v[14:15], v[4:5], a[4:7]
	ds_read_b64 v[4:5], v29 offset:44032
	s_addc_u32 s11, s11, s3
	s_lshl_b64 s[0:1], s[0:1], 2
	v_mfma_f32_16x16x16_bf16 a[0:3], v[14:15], v[8:9], a[0:3]
	s_add_u32 s0, s10, s0
	s_addc_u32 s1, s11, s1
	s_load_dword s12, s[0:1], 0x0
	s_waitcnt lgkmcnt(0)
	v_mfma_f32_16x16x16_bf16 a[0:3], v[16:17], v[2:3], a[0:3]
	s_and_b64 vcc, exec, s[22:23]
	v_mfma_f32_16x16x16_bf16 a[4:7], v[16:17], v[4:5], a[4:7]
	s_cbranch_vccz .LBB348_28
; %bb.18:
	v_lshlrev_b32_e32 v20, 1, v23
	s_and_b64 vcc, exec, s[6:7]
	s_cbranch_vccz .LBB348_44
; %bb.19:
	v_cmp_gt_i32_e32 vcc, s27, v20
	v_mov_b32_e32 v6, 0
	v_mov_b32_e32 v2, 0
	v_mov_b32_e32 v3, 0
	v_mov_b32_e32 v4, 0
	v_mov_b32_e32 v5, 0
	s_and_saveexec_b64 s[0:1], vcc
	s_cbranch_execz .LBB348_21
; %bb.20:
	v_mad_i64_i32 v[2:3], s[2:3], s15, v20, 0
	v_lshl_add_u64 v[2:3], v[2:3], 1, s[4:5]
	v_lshlrev_b32_e32 v4, 1, v18
	v_mov_b32_e32 v5, 0
	v_lshl_add_u64 v[2:3], v[2:3], 0, v[4:5]
	global_load_dwordx4 v[2:5], v[2:3], off
.LBB348_21:
	s_or_b64 exec, exec, s[0:1]
	v_or_b32_e32 v21, 1, v20
	v_cmp_gt_i32_e64 s[0:1], s27, v21
	v_mov_b32_e32 v7, 0
	v_mov_b32_e32 v8, 0
	;; [unrolled: 1-line block ×3, first 2 shown]
	s_and_saveexec_b64 s[2:3], s[0:1]
	s_cbranch_execz .LBB348_23
; %bb.22:
	v_mad_i64_i32 v[6:7], s[16:17], s15, v21, 0
	v_lshl_add_u64 v[6:7], v[6:7], 1, s[4:5]
	v_lshlrev_b32_e32 v8, 1, v18
	v_mov_b32_e32 v9, 0
	v_lshl_add_u64 v[6:7], v[6:7], 0, v[8:9]
	global_load_dwordx4 v[6:9], v[6:7], off
.LBB348_23:
	s_or_b64 exec, exec, s[2:3]
	v_mov_b32_e32 v17, 0
	v_mov_b32_e32 v10, 0
	;; [unrolled: 1-line block ×5, first 2 shown]
	s_and_saveexec_b64 s[2:3], vcc
	s_cbranch_execz .LBB348_25
; %bb.24:
	v_mad_i64_i32 v[10:11], s[16:17], s15, v20, 0
	v_lshl_add_u64 v[10:11], v[10:11], 1, s[4:5]
	v_lshlrev_b32_e32 v12, 1, v18
	v_mov_b32_e32 v13, 0
	v_lshl_add_u64 v[10:11], v[10:11], 0, v[12:13]
	global_load_dwordx4 v[10:13], v[10:11], off offset:128
.LBB348_25:
	s_or_b64 exec, exec, s[2:3]
	v_mov_b32_e32 v16, 0
	v_mov_b32_e32 v15, 0
	;; [unrolled: 1-line block ×3, first 2 shown]
	s_and_saveexec_b64 s[2:3], s[0:1]
	s_cbranch_execz .LBB348_27
; %bb.26:
	v_mad_i64_i32 v[14:15], s[0:1], s15, v21, 0
	v_lshl_add_u64 v[14:15], v[14:15], 1, s[4:5]
	v_lshlrev_b32_e32 v16, 1, v18
	v_mov_b32_e32 v17, 0
	v_lshl_add_u64 v[14:15], v[14:15], 0, v[16:17]
	global_load_dwordx4 v[14:17], v[14:15], off offset:128
.LBB348_27:
	s_or_b64 exec, exec, s[2:3]
	s_branch .LBB348_46
.LBB348_28:
                                        ; implicit-def: $vgpr5
                                        ; implicit-def: $vgpr9
                                        ; implicit-def: $vgpr13
                                        ; implicit-def: $vgpr17
	v_lshrrev_b32_e32 v30, 2, v45
	s_branch .LBB348_47
.LBB348_29:
                                        ; implicit-def: $vgpr4
                                        ; implicit-def: $vgpr5
                                        ; implicit-def: $sgpr22
	s_load_dwordx2 s[40:41], s[0:1], 0x20
	v_lshl_or_b32 v2, v75, 9, v2
.LBB348_30:
	v_or_b32_e32 v4, 0x100, v2
	s_movk_i32 s22, 0x4000
	v_mov_b32_e32 v5, v2
.LBB348_31:
	s_mul_hi_u32 s0, s14, s12
	s_mul_i32 s1, s54, s12
	s_add_i32 s0, s0, s1
	s_mul_i32 s1, s14, s12
	s_mul_i32 s20, s1, s24
	s_mul_hi_u32 s21, s1, s51
	s_add_i32 s20, s21, s20
	s_mul_i32 s0, s0, s51
	s_add_i32 s20, s20, s0
	s_mul_i32 s1, s1, s51
	s_ashr_i32 s59, s55, 31
	s_add_u32 s0, s1, s55
	s_addc_u32 s1, s20, s59
	s_lshl_b64 s[0:1], s[0:1], 8
	s_add_u32 s20, s4, s0
	s_addc_u32 s0, s5, s1
	s_and_b32 s21, s0, 0xffff
	s_movk_i32 s60, 0x80
	buffer_load_dwordx4 v[6:9], v5, s[20:23], 0 offen
	buffer_load_dwordx4 v[10:13], v5, s[20:23], s60 offen
	;; [unrolled: 1-line block ×4, first 2 shown]
	v_and_b32_e32 v4, 6, v0
	v_lshlrev_b32_e32 v23, 6, v67
	v_or_b32_e32 v25, 16, v64
	v_xor_b32_e32 v26, v75, v4
	v_and_b32_e32 v5, 1, v0
	v_lshl_or_b32 v29, v64, 3, v23
	v_lshl_or_b32 v23, v25, 3, v23
	v_lshlrev_b32_e32 v26, 2, v26
	s_mul_i32 s24, s24, s12
	s_mul_hi_u32 s0, s51, s12
	v_lshlrev_b32_e32 v22, 2, v64
	v_or_b32_e32 v85, 0xa000, v23
	v_or_b32_e32 v86, 0xb000, v23
	v_xor_b32_e32 v23, 0x440, v26
	v_cmp_eq_u32_e32 vcc, 0, v5
	v_xor_b32_e32 v27, v67, v22
	v_xor_b32_e32 v28, v68, v22
	v_cndmask_b32_e32 v5, v23, v26, vcc
	s_add_i32 s65, s0, s24
	s_add_i32 s0, s44, s33
	s_mov_b32 s63, 0x1000504
	v_lshlrev_b32_e32 v24, 8, v64
	v_lshlrev_b32_e32 v27, 1, v27
	;; [unrolled: 1-line block ×3, first 2 shown]
	v_lshl_or_b32 v4, v4, 10, v5
	s_add_i32 s31, s0, s48
	s_add_i32 s0, s46, s45
	s_mov_b32 s64, 0x3020706
	v_or_b32_e32 v83, 0xa000, v29
	v_or_b32_e32 v84, 0xb000, v29
	;; [unrolled: 1-line block ×4, first 2 shown]
	v_xor_b32_e32 v5, 8, v4
	v_xor_b32_e32 v24, 24, v4
	;; [unrolled: 1-line block ×4, first 2 shown]
	s_add_i32 s35, s0, s47
	s_lshl_b64 s[0:1], s[30:31], 2
	v_xor_b32_e32 v23, 16, v4
	v_xor_b32_e32 v26, 32, v4
	;; [unrolled: 1-line block ×3, first 2 shown]
	v_add_u32_e32 v5, 0x80, v5
	v_add_u32_e32 v24, 0x80, v24
	;; [unrolled: 1-line block ×4, first 2 shown]
	s_add_u32 s20, s10, s0
	s_addc_u32 s21, s11, s1
	s_lshl_b64 s[0:1], s[34:35], 2
	s_add_u32 s42, s20, s0
	s_movk_i32 s0, 0xf8
	s_addc_u32 s43, s21, s1
	s_ashr_i32 s37, s36, 31
	s_lshl_b32 s26, s15, 7
	s_movk_i32 s20, 0x100
	v_mov_b32_e32 v57, 0
	v_lshlrev_b32_e32 v56, 4, v64
	v_cmp_gt_u32_e32 vcc, s20, v0
	s_mul_i32 s61, s51, s12
	v_ashrrev_i32_e32 v47, 31, v46
	s_mov_b32 s62, 0
	s_movk_i32 s31, 0x1000
	s_movk_i32 s22, 0x4000
	v_lshl_add_u64 v[58:59], v[46:47], 1, s[8:9]
	v_mov_b32_e32 v113, 0x3fb8aa3b
	s_mov_b32 s67, 0
	s_waitcnt vmcnt(1)
	v_perm_b32 v32, v6, v14, s63
	s_waitcnt vmcnt(0)
	v_perm_b32 v33, v10, v18, s63
	v_perm_b32 v6, v6, v14, s64
	;; [unrolled: 1-line block ×15, first 2 shown]
	ds_write2st64_b32 v4, v32, v33 offset0:32 offset1:64
	ds_write2st64_b32 v5, v6, v10 offset0:32 offset1:64
	ds_write2st64_b32 v23, v14, v18 offset0:33 offset1:65
	ds_write2st64_b32 v24, v7, v11 offset0:33 offset1:65
	ds_write2st64_b32 v26, v15, v19 offset0:34 offset1:66
	ds_write2st64_b32 v29, v8, v12 offset0:34 offset1:66
	ds_write2st64_b32 v30, v16, v20 offset0:35 offset1:67
	ds_write2st64_b32 v31, v9, v13 offset0:35 offset1:67
	v_lshlrev_b32_e32 v4, 8, v25
	v_or_b32_e32 v89, v4, v27
	v_or_b32_e32 v90, v4, v28
	;; [unrolled: 1-line block ×3, first 2 shown]
	v_lshlrev_b32_e32 v4, 3, v4
	v_lshrrev_b32_e32 v7, 5, v45
	v_and_or_b32 v7, v4, s0, v7
	v_lshlrev_b32_e32 v7, 4, v7
	v_lshlrev_b32_e32 v9, 11, v62
	v_and_b32_e32 v4, 0x78, v4
	v_or_b32_e32 v12, 32, v7
	v_and_b32_e32 v6, 0x1000, v9
	v_lshrrev_b32_e32 v10, 1, v45
	v_xor_b32_e32 v12, v12, v4
	v_xor_b32_e32 v8, v7, v4
	v_and_b32_e32 v10, 8, v10
	v_or_b32_e32 v12, v12, v6
	v_or_b32_e32 v8, v8, v6
	v_lshlrev_b32_e32 v11, 7, v63
	v_xor_b32_e32 v93, v12, v10
	v_or_b32_e32 v12, 64, v7
	v_or_b32_e32 v7, 0x60, v7
	v_xor_b32_e32 v91, v8, v10
	v_or_b32_e32 v8, v11, v22
	v_xor_b32_e32 v12, v12, v4
	v_xor_b32_e32 v4, v7, v4
	s_lshl_b64 s[0:1], s[36:37], 8
	v_lshlrev_b32_e32 v8, 1, v8
	v_or_b32_e32 v12, v12, v6
	v_or_b32_e32 v4, v4, v6
	s_add_u32 s0, s18, s0
	v_lshlrev_b32_e32 v6, 1, v64
	v_or_b32_e32 v92, 0xa000, v8
	v_or_b32_e32 v94, 0xa080, v8
	;; [unrolled: 1-line block ×4, first 2 shown]
	v_lshrrev_b32_e32 v8, 4, v0
	s_addc_u32 s1, s19, s1
	v_or_b32_e32 v7, 1, v6
	v_mov_b32_e32 v17, 0x4000
	v_mov_b32_e32 v18, 0x2000
	v_lshrrev_b32_e32 v19, 1, v0
	v_xor_b32_e32 v95, v12, v10
	v_xor_b32_e32 v96, v4, v10
	;; [unrolled: 1-line block ×4, first 2 shown]
	v_lshl_add_u64 v[6:7], s[0:1], 0, v[56:57]
	v_lshlrev_b32_e32 v56, 8, v8
	v_cndmask_b32_e32 v17, v17, v18, vcc
	v_lshlrev_b32_e32 v18, 3, v62
	v_and_b32_e32 v19, 24, v19
	v_lshl_or_b32 v99, v10, 3, v56
	v_and_b32_e32 v10, 8, v0
	v_xor_b32_e32 v20, v18, v19
	v_or_b32_e32 v21, 0x440, v20
	v_cmp_eq_u32_e32 vcc, 0, v10
	v_and_b32_e32 v8, 7, v0
	v_lshl_or_b32 v100, v14, 3, v56
	v_cndmask_b32_e32 v10, v21, v20, vcc
	v_lshlrev_b32_e32 v14, 3, v8
	v_lshlrev_b32_e32 v16, 2, v0
	v_or_b32_e32 v10, v10, v9
	v_xor_b32_e32 v20, v10, v14
	v_and_or_b32 v10, v16, 60, v11
	v_mov_b32_e32 v11, 0xb000
	v_lshl_or_b32 v101, v10, 1, v11
	v_or_b32_e32 v10, 32, v19
	v_xor_b32_e32 v10, v18, v10
	v_or_b32_e32 v11, 0x440, v10
	v_cndmask_b32_e32 v10, v11, v10, vcc
	v_or_b32_e32 v10, v10, v9
	v_xor_b32_e32 v11, v10, v14
	v_or_b32_e32 v10, 64, v19
	v_xor_b32_e32 v10, v18, v10
	v_xor_b32_e32 v22, 0x440, v10
	v_cndmask_b32_e32 v10, v22, v10, vcc
	v_or_b32_e32 v10, v10, v9
	v_xor_b32_e32 v22, v10, v14
	v_or_b32_e32 v10, 0x60, v19
	v_xor_b32_e32 v10, v18, v10
	v_xor_b32_e32 v18, 0x440, v10
	v_cndmask_b32_e32 v10, v18, v10, vcc
	v_lshrrev_b32_e32 v5, 2, v45
	v_or_b32_e32 v9, v10, v9
	v_and_b32_e32 v5, 12, v5
	v_xor_b32_e32 v9, v9, v14
	v_lshlrev_b32_e32 v4, 7, v67
	v_lshlrev_b32_e32 v12, 1, v3
	v_add_lshl_u32 v3, v3, s15, 1
	v_or_b32_e32 v13, 0x100, v2
	v_lshlrev_b32_e32 v15, 7, v8
	v_or_b32_e32 v8, v5, v1
	v_add_u32_e32 v21, v17, v20
	v_add_u32_e32 v16, v17, v11
	v_add_u32_e32 v23, v17, v22
	v_add_u32_e32 v14, v17, v9
	v_or3_b32 v10, v1, v5, 64
	v_add_u32_e32 v5, 0x4000, v20
	v_add_u32_e32 v11, 0x4000, v11
	;; [unrolled: 1-line block ×4, first 2 shown]
	v_cndmask_b32_e64 v102, v12, v2, s[2:3]
	v_cndmask_b32_e64 v103, v3, v13, s[2:3]
	v_lshl_add_u64 v[60:61], v[6:7], 0, v[56:57]
	s_add_i32 s35, s61, 63
	s_mov_b32 s37, 0x7060302
	v_lshlrev_b32_e32 v56, 1, v4
	v_lshlrev_b32_e32 v47, 2, v8
	v_add_u32_e32 v104, v21, v15
	v_add_u32_e32 v105, v16, v15
	;; [unrolled: 1-line block ×4, first 2 shown]
	v_lshlrev_b32_e32 v108, 2, v10
	v_add_u32_e32 v109, v5, v15
	v_add_u32_e32 v110, v11, v15
	;; [unrolled: 1-line block ×4, first 2 shown]
	s_waitcnt lgkmcnt(0)
	s_barrier
.LBB348_32:                             ; =>This Inner Loop Header: Depth=1
	s_add_i32 s66, s67, 1
	s_cmp_lt_i32 s66, s52
	s_mov_b64 s[24:25], 0
	s_cselect_b64 s[2:3], -1, 0
	s_cmp_ge_i32 s66, s52
	s_mov_b64 s[20:21], 0
	s_cbranch_scc1 .LBB348_34
; %bb.33:                               ;   in Loop: Header=BB348_32 Depth=1
	s_add_i32 s0, s62, 64
	s_add_u32 s0, s16, s0
	s_addc_u32 s1, s17, 0
	s_lshl_b64 s[0:1], s[0:1], 8
	s_add_u32 s20, s6, s0
	s_addc_u32 s21, s7, s1
.LBB348_34:                             ;   in Loop: Header=BB348_32 Depth=1
	v_cndmask_b32_e64 v2, 0, 1, s[2:3]
	v_cmp_ne_u32_e64 s[0:1], 1, v2
	s_andn2_b64 vcc, exec, s[2:3]
	s_cbranch_vccnz .LBB348_36
; %bb.35:                               ;   in Loop: Header=BB348_32 Depth=1
	s_add_i32 s2, s62, 64
	s_add_u32 s2, s61, s2
	s_addc_u32 s3, s65, 0
	s_mul_i32 s24, s2, s54
	s_mul_hi_u32 s25, s2, s58
	s_add_i32 s24, s25, s24
	s_mul_i32 s3, s3, s58
	s_add_i32 s24, s24, s3
	s_mul_i32 s2, s2, s58
	s_add_u32 s2, s2, s55
	s_addc_u32 s3, s24, s59
	s_lshl_b64 s[2:3], s[2:3], 8
	s_add_u32 s24, s4, s2
	s_addc_u32 s25, s5, s3
.LBB348_36:                             ;   in Loop: Header=BB348_32 Depth=1
	v_perm_b32 v3, v55, v54, s37
	v_perm_b32 v2, v51, v50, s37
	;; [unrolled: 1-line block ×4, first 2 shown]
	ds_write_b64 v83, v[2:3]
	ds_write_b64 v84, v[4:5]
	;; [unrolled: 1-line block ×4, first 2 shown]
	v_perm_b32 v3, v80, v73, s37
	v_perm_b32 v2, v69, v71, s37
	v_perm_b32 v5, v78, v74, s37
	v_perm_b32 v4, v70, v72, s37
	ds_write_b64 v85, v[2:3]
	ds_write_b64 v86, v[4:5]
	;; [unrolled: 1-line block ×4, first 2 shown]
	s_waitcnt lgkmcnt(0)
	s_barrier
	ds_read_b64 v[6:7], v91 offset:24576
	ds_read2_b64 v[2:5], v92 offset1:16
	ds_read_b64 v[10:11], v94 offset:3072
	ds_read_b64 v[12:13], v92 offset:3072
	;; [unrolled: 1-line block ×3, first 2 shown]
	s_waitcnt lgkmcnt(3)
	v_mfma_f32_16x16x16_bf16 a[0:3], v[6:7], v[2:3], 0
	s_add_i32 s2, s62, 63
	s_mul_i32 s3, s2, s29
	s_mul_hi_u32 s27, s2, s28
	v_mfma_f32_16x16x16_bf16 a[4:7], v[6:7], v[4:5], 0
	ds_read2st64_b64 v[2:5], v92 offset0:2 offset1:4
	ds_read2st64_b64 v[6:9], v94 offset0:2 offset1:4
	s_add_i32 s3, s27, s3
	s_waitcnt lgkmcnt(1)
	v_mfma_f32_16x16x16_bf16 a[0:3], v[14:15], v[2:3], a[0:3]
	s_mul_i32 s2, s2, s28
	s_lshl_b64 s[2:3], s[2:3], 2
	s_add_u32 s2, s42, s2
	s_waitcnt lgkmcnt(0)
	v_mfma_f32_16x16x16_bf16 a[4:7], v[14:15], v[6:7], a[4:7]
	ds_read_b64 v[2:3], v95 offset:24576
	ds_read_b64 v[6:7], v96 offset:24576
	s_addc_u32 s3, s43, s3
	s_and_b64 vcc, exec, s[0:1]
	s_waitcnt lgkmcnt(1)
	v_mfma_f32_16x16x16_bf16 a[0:3], v[2:3], v[4:5], a[0:3]
	v_mov_b32_e32 v116, 0
	v_mov_b32_e32 v115, 0
	;; [unrolled: 1-line block ×3, first 2 shown]
	v_mfma_f32_16x16x16_bf16 a[4:7], v[2:3], v[8:9], a[4:7]
	v_mov_b32_e32 v2, 0
	v_mov_b32_e32 v3, 0
	;; [unrolled: 1-line block ×3, first 2 shown]
	s_waitcnt lgkmcnt(0)
	v_mfma_f32_16x16x16_bf16 a[0:3], v[6:7], v[12:13], a[0:3]
	v_mov_b32_e32 v5, 0
	v_mov_b32_e32 v8, 0
	;; [unrolled: 1-line block ×3, first 2 shown]
	v_mfma_f32_16x16x16_bf16 a[4:7], v[6:7], v[10:11], a[4:7]
	v_mov_b32_e32 v6, 0
	v_mov_b32_e32 v7, 0
	;; [unrolled: 1-line block ×10, first 2 shown]
	s_cbranch_vccnz .LBB348_38
; %bb.37:                               ;   in Loop: Header=BB348_32 Depth=1
	s_and_b32 s21, s21, 0xffff
	buffer_load_dwordx4 v[14:17], v77, s[20:23], 0 offen
	buffer_load_dwordx4 v[10:13], v77, s[20:23], s60 offen
	buffer_load_dwordx4 v[6:9], v79, s[20:23], 0 offen
	buffer_load_dwordx4 v[2:5], v79, s[20:23], s60 offen
	v_mov_b32_e32 v115, v81
	v_mov_b32_e32 v114, v82
.LBB348_38:                             ;   in Loop: Header=BB348_32 Depth=1
	ds_read_b64 v[22:23], v91 offset:32768
	ds_read2_b64 v[18:21], v97 offset1:16
	ds_read_b64 v[26:27], v93 offset:32768
	ds_read_b64 v[28:29], v95 offset:32768
	;; [unrolled: 1-line block ×3, first 2 shown]
	v_add_u32_e32 v32, s62, v67
	s_waitcnt lgkmcnt(3)
	v_mfma_f32_16x16x16_bf16 a[0:3], v[22:23], v[18:19], a[0:3]
	v_mul_lo_u32 v33, v32, s29
	v_mov_b32_e32 v117, 0
	v_mfma_f32_16x16x16_bf16 a[4:7], v[22:23], v[20:21], a[4:7]
	ds_read2st64_b64 v[18:21], v97 offset0:2 offset1:4
	ds_read2st64_b64 v[22:25], v98 offset0:2 offset1:4
	s_waitcnt lgkmcnt(1)
	v_mfma_f32_16x16x16_bf16 a[0:3], v[26:27], v[18:19], a[0:3]
	v_ashrrev_i32_e32 v18, 31, v32
	v_mul_lo_u32 v34, v18, s28
	v_mad_u64_u32 v[18:19], s[20:21], v32, s28, 0
	v_mfma_f32_16x16x16_bf16 a[0:3], v[28:29], v[20:21], a[0:3]
	v_add_u32_e32 v20, 1, v32
	v_ashrrev_i32_e32 v21, 31, v20
	v_add3_u32 v19, v19, v33, v34
	s_waitcnt lgkmcnt(0)
	v_mfma_f32_16x16x16_bf16 a[4:7], v[26:27], v[22:23], a[4:7]
	v_mul_lo_u32 v22, v21, s28
	v_mul_lo_u32 v23, v20, s29
	v_mad_u64_u32 v[20:21], s[20:21], v20, s28, 0
	v_add3_u32 v21, v21, v23, v22
	v_add_u32_e32 v22, 2, v32
	v_ashrrev_i32_e32 v23, 31, v22
	v_mul_lo_u32 v26, v23, s28
	v_mul_lo_u32 v27, v22, s29
	v_mad_u64_u32 v[22:23], s[20:21], v22, s28, 0
	v_add3_u32 v23, v23, v27, v26
	v_add_u32_e32 v26, 3, v32
	v_ashrrev_i32_e32 v27, 31, v26
	v_mul_lo_u32 v32, v27, s28
	v_mul_lo_u32 v33, v26, s29
	v_mad_u64_u32 v[26:27], s[20:21], v26, s28, 0
	s_add_u32 s20, s16, s62
	s_addc_u32 s21, s17, 0
	s_lshl_b64 s[20:21], s[20:21], 8
	v_lshl_add_u64 v[18:19], v[18:19], 2, s[42:43]
	v_lshl_add_u64 v[20:21], v[20:21], 2, s[42:43]
	v_add3_u32 v27, v27, v33, v32
	v_lshl_add_u64 v[32:33], v[58:59], 0, s[20:21]
	v_lshl_add_u64 v[22:23], v[22:23], 2, s[42:43]
	;; [unrolled: 1-line block ×3, first 2 shown]
	global_load_dword v34, v[18:19], off
	global_load_ushort v35, v[32:33], off offset:256
	global_load_ushort v36, v[32:33], off
	global_load_ushort v37, v[32:33], off offset:768
	global_load_ushort v38, v[32:33], off offset:512
	v_lshl_add_u64 v[18:19], v[26:27], 2, s[42:43]
	global_load_dword v39, v[20:21], off
	global_load_dword v40, v[22:23], off
	;; [unrolled: 1-line block ×3, first 2 shown]
	ds_read_b64 v[18:19], v97 offset:3072
	ds_read_b64 v[20:21], v98 offset:3072
	global_load_ushort v42, v[32:33], off offset:800
	global_load_ushort v43, v[32:33], off offset:544
	;; [unrolled: 1-line block ×3, first 2 shown]
	s_nop 0
	global_load_ushort v32, v[32:33], off offset:32
	s_load_dword s2, s[2:3], 0x0
	v_mfma_f32_16x16x16_bf16 a[4:7], v[28:29], v[24:25], a[4:7]
	s_and_b64 vcc, exec, s[0:1]
	v_mov_b32_e32 v33, 0
	s_waitcnt vmcnt(11) lgkmcnt(0)
	v_sub_f32_e32 v28, s2, v34
	v_mfma_f32_16x16x16_bf16 a[0:3], v[30:31], v[18:19], a[0:3]
	v_mul_f32_e32 v28, 0x3fb8aa3b, v28
	v_exp_f32_e32 v28, v28
	s_waitcnt vmcnt(6)
	v_sub_f32_e32 v29, s2, v39
	v_mfma_f32_16x16x16_bf16 a[4:7], v[30:31], v[20:21], a[4:7]
	s_waitcnt vmcnt(5)
	v_sub_f32_e32 v30, s2, v40
	s_waitcnt vmcnt(4)
	v_sub_f32_e32 v31, s2, v41
	v_mul_f32_e32 v29, 0x3fb8aa3b, v29
	v_mul_f32_e32 v30, 0x3fb8aa3b, v30
	;; [unrolled: 1-line block ×3, first 2 shown]
	v_exp_f32_e32 v29, v29
	v_exp_f32_e32 v30, v30
	;; [unrolled: 1-line block ×3, first 2 shown]
	v_accvgpr_read_b32 v23, a1
	v_accvgpr_read_b32 v19, a3
	;; [unrolled: 1-line block ×4, first 2 shown]
	v_lshlrev_b32_e32 v25, 16, v35
	v_lshlrev_b32_e32 v24, 16, v36
	;; [unrolled: 1-line block ×4, first 2 shown]
	v_pk_add_f32 v[22:23], v[24:25], v[22:23] neg_lo:[0,1] neg_hi:[0,1]
	v_pk_add_f32 v[18:19], v[26:27], v[18:19] neg_lo:[0,1] neg_hi:[0,1]
	v_pk_mul_f32 v[22:23], v[28:29], v[22:23]
	v_pk_mul_f32 v[18:19], v[30:31], v[18:19]
	v_accvgpr_read_b32 v25, a5
	v_perm_b32 v19, v19, v18, s37
	v_perm_b32 v18, v23, v22, s37
	s_waitcnt vmcnt(1)
	v_lshlrev_b32_e32 v23, 16, v44
	s_waitcnt vmcnt(0)
	v_lshlrev_b32_e32 v22, 16, v32
	v_accvgpr_read_b32 v24, a4
	v_accvgpr_read_b32 v21, a7
	;; [unrolled: 1-line block ×3, first 2 shown]
	v_pk_add_f32 v[22:23], v[22:23], v[24:25] neg_lo:[0,1] neg_hi:[0,1]
	v_lshlrev_b32_e32 v25, 16, v42
	v_lshlrev_b32_e32 v24, 16, v43
	v_pk_add_f32 v[20:21], v[24:25], v[20:21] neg_lo:[0,1] neg_hi:[0,1]
	v_pk_mul_f32 v[22:23], v[28:29], v[22:23]
	v_pk_mul_f32 v[20:21], v[30:31], v[20:21]
	v_mov_b32_e32 v24, 0
	v_perm_b32 v21, v21, v20, s37
	v_perm_b32 v20, v23, v22, s37
	ds_write2_b64 v84, v[18:19], v[20:21] offset1:16
	v_mov_b32_e32 v18, 0
	v_mov_b32_e32 v19, 0
	;; [unrolled: 1-line block ×14, first 2 shown]
	s_cbranch_vccnz .LBB348_40
; %bb.39:                               ;   in Loop: Header=BB348_32 Depth=1
	s_and_b32 s25, s25, 0xffff
	s_mov_b32 s27, s23
	buffer_load_dwordx4 v[30:33], v102, s[24:27], 0 offen
	buffer_load_dwordx4 v[22:25], v102, s[24:27], s60 offen
	;; [unrolled: 1-line block ×4, first 2 shown]
	v_mov_b32_e32 v116, v76
	v_mov_b32_e32 v117, v75
.LBB348_40:                             ;   in Loop: Header=BB348_32 Depth=1
	s_waitcnt lgkmcnt(0)
	s_barrier
	ds_read_b64 v[38:39], v104
	ds_read_b64 v[122:123], v101
	;; [unrolled: 1-line block ×5, first 2 shown]
	ds_read_b64 v[136:137], v98 offset:3072
	ds_read2_b64 v[34:37], v97 offset0:16 offset1:128
	s_waitcnt lgkmcnt(5)
	v_mfma_f32_16x16x16_bf16 a[0:3], v[38:39], v[122:123], 0
	ds_read2st64_b64 v[40:43], v98 offset0:2 offset1:4
	s_add_i32 s3, s56, s67
	s_mul_hi_i32 s21, s3, s13
	s_waitcnt lgkmcnt(1)
	v_mfma_f32_16x16x16_bf16 a[4:7], v[38:39], v[34:35], 0
	ds_read_b64 v[38:39], v109
	s_mul_i32 s3, s3, s13
	s_add_u32 s20, s3, s49
	s_waitcnt lgkmcnt(1)
	v_mfma_f32_16x16x16_bf16 a[4:7], v[124:125], v[40:41], a[4:7]
	s_addc_u32 s21, s21, s53
	s_add_i32 s3, s35, s62
	s_lshl_b64 s[20:21], s[20:21], 15
	s_mul_hi_i32 s25, s3, s13
	s_mul_i32 s3, s3, s13
	s_add_u32 s24, s3, s49
	v_mfma_f32_16x16x16_bf16 a[8:11], v[126:127], v[42:43], a[4:7]
	s_addc_u32 s25, s25, s53
	ds_read2st64_b64 v[118:121], v97 offset0:4 offset1:6
	s_lshl_b64 s[24:25], s[24:25], 9
	s_waitcnt lgkmcnt(1)
	v_mfma_f32_16x16x16_bf16 a[4:7], v[38:39], v[122:123], 0
	s_add_u32 s24, s40, s24
	s_addc_u32 s25, s41, s25
	v_mfma_f32_16x16x16_bf16 a[0:3], v[124:125], v[36:37], a[0:3]
	ds_read_b64 v[124:125], v110
	ds_read_b64 v[132:133], v111
	;; [unrolled: 1-line block ×3, first 2 shown]
	v_mfma_f32_16x16x16_bf16 a[12:15], v[38:39], v[34:35], 0
	s_waitcnt lgkmcnt(2)
	v_mfma_f32_16x16x16_bf16 a[4:7], v[124:125], v[36:37], a[4:7]
	global_load_dwordx4 v[34:37], v108, s[24:25]
	v_mfma_f32_16x16x16_bf16 a[12:15], v[124:125], v[40:41], a[12:15]
	global_load_dwordx4 v[38:41], v47, s[24:25]
	ds_read2st64_b64 v[122:125], v99 offset1:8
	s_waitcnt lgkmcnt(0)
	v_mov_b32_e32 v130, v122
	v_mfma_f32_16x16x16_bf16 a[0:3], v[126:127], v[118:119], a[0:3]
	ds_read2st64_b64 v[126:129], v100 offset1:8
	v_mov_b32_e32 v131, v123
	v_mfma_f32_16x16x16_bf16 a[16:19], v[132:133], v[118:119], a[4:7]
	v_lshl_add_u64 v[118:119], v[60:61], 0, s[20:21]
	v_mfma_f32_16x16x16_bf16 a[20:23], v[132:133], v[42:43], a[12:15]
	v_add_co_u32_e32 v42, vcc, s31, v118
	s_waitcnt lgkmcnt(0)
	v_mov_b32_e32 v132, v126
	v_mfma_f32_16x16x16_bf16 a[4:7], v[134:135], v[120:121], a[0:3]
	v_mov_b32_e32 v133, v127
	v_mov_b32_e32 v126, v124
	;; [unrolled: 1-line block ×3, first 2 shown]
	v_mfma_f32_16x16x16_bf16 a[8:11], v[134:135], v[136:137], a[8:11]
	v_addc_co_u32_e32 v43, vcc, 0, v119, vcc
	global_store_dwordx4 v[42:43], v[126:129], off
	v_mfma_f32_16x16x16_bf16 a[12:15], v[138:139], v[120:121], a[16:19]
	s_and_b64 vcc, exec, s[0:1]
	global_store_dwordx4 v[118:119], v[130:133], off
	s_waitcnt vmcnt(3)
	v_mov_b32_e32 v44, v37
	v_mfma_f32_16x16x16_bf16 a[0:3], v[138:139], v[136:137], a[20:23]
	v_mov_b32_e32 v43, v36
	v_mov_b32_e32 v42, v35
	s_cbranch_vccnz .LBB348_42
; %bb.41:                               ;   in Loop: Header=BB348_32 Depth=1
	v_lshrrev_b32_e32 v35, 3, v116
	v_and_b32_e32 v35, 6, v35
	v_xor_b32_e32 v36, v35, v117
	v_lshlrev_b32_e32 v36, 2, v36
	v_and_b32_e32 v37, 8, v116
	v_xor_b32_e32 v116, 0x440, v36
	v_cmp_eq_u32_e32 vcc, 0, v37
	v_perm_b32 v37, v22, v18, s63
	s_nop 0
	v_cndmask_b32_e32 v36, v116, v36, vcc
	v_lshl_or_b32 v35, v35, 10, v36
	v_perm_b32 v36, v30, v26, s63
	s_barrier
	ds_write2st64_b32 v35, v36, v37 offset0:32 offset1:64
	v_xor_b32_e32 v36, 8, v35
	v_perm_b32 v26, v30, v26, s64
	v_perm_b32 v18, v22, v18, s64
	v_add_u32_e32 v22, 0x80, v36
	ds_write2st64_b32 v22, v26, v18 offset0:32 offset1:64
	v_xor_b32_e32 v18, 16, v35
	v_perm_b32 v22, v31, v27, s63
	v_perm_b32 v26, v23, v19, s63
	ds_write2st64_b32 v18, v22, v26 offset0:33 offset1:65
	v_xor_b32_e32 v18, 24, v35
	v_perm_b32 v22, v31, v27, s64
	v_perm_b32 v19, v23, v19, s64
	v_add_u32_e32 v18, 0x80, v18
	ds_write2st64_b32 v18, v22, v19 offset0:33 offset1:65
	v_xor_b32_e32 v18, 32, v35
	v_perm_b32 v19, v32, v28, s63
	v_perm_b32 v22, v24, v20, s63
	;; [unrolled: 9-line block ×3, first 2 shown]
	ds_write2st64_b32 v18, v19, v20 offset0:35 offset1:67
	v_xor_b32_e32 v18, 56, v35
	v_perm_b32 v19, v33, v29, s64
	v_perm_b32 v20, v25, v21, s64
	v_add_u32_e32 v18, 0x80, v18
	ds_write2st64_b32 v18, v19, v20 offset0:35 offset1:67
	ds_write_b64 v115, v[14:15] offset:24576
	v_xor_b32_e32 v14, 8, v115
	ds_write_b64 v14, v[16:17] offset:24576
	ds_write_b64 v115, v[10:11] offset:32768
	;; [unrolled: 1-line block ×4, first 2 shown]
	v_xor_b32_e32 v6, 8, v114
	ds_write_b64 v6, v[8:9] offset:24576
	ds_write_b64 v114, v[2:3] offset:32768
	;; [unrolled: 1-line block ×3, first 2 shown]
.LBB348_42:                             ;   in Loop: Header=BB348_32 Depth=1
	v_mul_f32_e32 v6, s2, v113
	v_exp_f32_e32 v18, v6
	s_waitcnt vmcnt(2)
	v_mul_f32_e32 v6, 0x3fb8aa3b, v38
	v_exp_f32_e32 v20, v6
	v_mul_f32_e32 v6, 0x3fb8aa3b, v39
	v_exp_f32_e32 v21, v6
	;; [unrolled: 2-line block ×4, first 2 shown]
	v_accvgpr_read_b32 v13, a7
	v_accvgpr_read_b32 v11, a5
	;; [unrolled: 1-line block ×4, first 2 shown]
	v_pk_mul_f32 v[20:21], v[18:19], v[20:21] op_sel_hi:[0,1]
	v_accvgpr_read_b32 v4, a10
	v_pk_fma_f32 v[50:51], v[50:51], v[20:21], v[10:11]
	v_pk_mul_f32 v[10:11], v[18:19], v[22:23] op_sel_hi:[0,1]
	v_accvgpr_read_b32 v12, a6
	v_accvgpr_read_b32 v3, a9
	v_fma_f32 v73, v73, v10, v4
	v_mul_f32_e32 v4, 0x3fb8aa3b, v43
	v_pk_fma_f32 v[54:55], v[54:55], v[10:11], v[12:13]
	v_fma_f32 v71, v71, v20, v2
	v_fma_f32 v69, v69, v21, v3
	v_mul_f32_e32 v2, 0x3fb8aa3b, v34
	v_mul_f32_e32 v3, 0x3fb8aa3b, v42
	v_exp_f32_e32 v12, v4
	v_mul_f32_e32 v4, 0x3fb8aa3b, v44
	v_exp_f32_e32 v2, v2
	v_exp_f32_e32 v3, v3
	;; [unrolled: 1-line block ×3, first 2 shown]
	v_accvgpr_read_b32 v5, a11
	v_accvgpr_read_b32 v17, a15
	;; [unrolled: 1-line block ×9, first 2 shown]
	v_fmac_f32_e32 v5, v80, v11
	v_pk_mul_f32 v[2:3], v[18:19], v[2:3] op_sel_hi:[0,1]
	v_pk_mul_f32 v[10:11], v[18:19], v[12:13] op_sel_hi:[0,1]
	s_add_i32 s62, s62, 64
	v_pk_fma_f32 v[48:49], v[48:49], v[2:3], v[14:15]
	v_pk_fma_f32 v[52:53], v[52:53], v[10:11], v[16:17]
	v_fma_f32 v72, v72, v2, v6
	v_fma_f32 v70, v70, v3, v7
	;; [unrolled: 1-line block ×3, first 2 shown]
	s_cmp_eq_u32 s52, s66
	v_fmac_f32_e32 v9, v78, v11
	s_cbranch_scc1 .LBB348_4
; %bb.43:                               ;   in Loop: Header=BB348_32 Depth=1
	s_mov_b32 s67, s66
	v_mov_b32_e32 v80, v5
	v_mov_b32_e32 v78, v9
	s_branch .LBB348_32
.LBB348_44:
                                        ; implicit-def: $vgpr5
                                        ; implicit-def: $vgpr9
                                        ; implicit-def: $vgpr13
                                        ; implicit-def: $vgpr17
	s_cbranch_execz .LBB348_46
; %bb.45:
	s_waitcnt vmcnt(0)
	v_mad_u64_u32 v[2:3], s[0:1], v20, s15, v[18:19]
	v_lshlrev_b32_e32 v20, 1, v2
	s_lshl_b32 s2, s15, 7
	s_and_b32 s1, s5, 0xffff
	s_mov_b32 s3, 0x20000
	s_mov_b32 s0, s4
	v_add_lshl_u32 v21, v2, s15, 1
	s_movk_i32 s13, 0x80
	buffer_load_dwordx4 v[2:5], v20, s[0:3], 0 offen
	buffer_load_dwordx4 v[10:13], v20, s[0:3], s13 offen
	buffer_load_dwordx4 v[6:9], v21, s[0:3], 0 offen
	buffer_load_dwordx4 v[14:17], v21, s[0:3], s13 offen
.LBB348_46:
	v_lshrrev_b32_e32 v30, 2, v45
	s_cbranch_execnz .LBB348_59
.LBB348_47:
	s_and_b64 vcc, exec, s[6:7]
	s_cbranch_vccz .LBB348_57
; %bb.48:
	s_waitcnt vmcnt(0)
	v_lshlrev_b32_e32 v7, 1, v23
	v_cmp_gt_i32_e32 vcc, s27, v7
	v_mov_b32_e32 v6, 0
	v_lshlrev_b32_e32 v14, 9, v23
	v_mov_b32_e32 v2, 0
	v_mov_b32_e32 v3, 0
	;; [unrolled: 1-line block ×4, first 2 shown]
	s_and_saveexec_b64 s[0:1], vcc
	s_cbranch_execz .LBB348_50
; %bb.49:
	v_mov_b32_e32 v15, 0
	v_lshl_add_u64 v[2:3], s[4:5], 0, v[14:15]
	v_lshlrev_b32_e32 v4, 1, v18
	v_mov_b32_e32 v5, v15
	v_lshl_add_u64 v[2:3], v[2:3], 0, v[4:5]
	global_load_dwordx4 v[2:5], v[2:3], off
.LBB348_50:
	s_or_b64 exec, exec, s[0:1]
	v_or_b32_e32 v7, 1, v7
	v_cmp_gt_i32_e64 s[0:1], s27, v7
	v_lshlrev_b32_e32 v20, 8, v7
	v_mov_b32_e32 v7, 0
	v_mov_b32_e32 v8, 0
	v_mov_b32_e32 v9, 0
	s_and_saveexec_b64 s[2:3], s[0:1]
	s_cbranch_execz .LBB348_52
; %bb.51:
	v_mov_b32_e32 v21, 0
	v_lshl_add_u64 v[6:7], s[4:5], 0, v[20:21]
	v_lshlrev_b32_e32 v8, 1, v18
	v_mov_b32_e32 v9, v21
	v_lshl_add_u64 v[6:7], v[6:7], 0, v[8:9]
	global_load_dwordx4 v[6:9], v[6:7], off
.LBB348_52:
	s_or_b64 exec, exec, s[2:3]
	v_mov_b32_e32 v17, 0
	v_mov_b32_e32 v10, 0
	;; [unrolled: 1-line block ×5, first 2 shown]
	s_and_saveexec_b64 s[2:3], vcc
	s_cbranch_execz .LBB348_54
; %bb.53:
	v_mov_b32_e32 v15, 0
	v_lshl_add_u64 v[10:11], s[4:5], 0, v[14:15]
	v_lshlrev_b32_e32 v14, 1, v18
	v_lshl_add_u64 v[10:11], v[10:11], 0, v[14:15]
	global_load_dwordx4 v[10:13], v[10:11], off offset:128
.LBB348_54:
	s_or_b64 exec, exec, s[2:3]
	v_mov_b32_e32 v16, 0
	v_mov_b32_e32 v15, 0
	;; [unrolled: 1-line block ×3, first 2 shown]
	s_and_saveexec_b64 s[2:3], s[0:1]
	s_cbranch_execz .LBB348_56
; %bb.55:
	v_mov_b32_e32 v21, 0
	v_lshl_add_u64 v[14:15], s[4:5], 0, v[20:21]
	v_lshlrev_b32_e32 v20, 1, v18
	v_lshl_add_u64 v[14:15], v[14:15], 0, v[20:21]
	global_load_dwordx4 v[14:17], v[14:15], off offset:128
.LBB348_56:
	s_or_b64 exec, exec, s[2:3]
	s_branch .LBB348_59
.LBB348_57:
                                        ; implicit-def: $vgpr5
                                        ; implicit-def: $vgpr9
                                        ; implicit-def: $vgpr13
                                        ; implicit-def: $vgpr17
	s_cbranch_execz .LBB348_59
; %bb.58:
	s_waitcnt vmcnt(0)
	v_lshlrev_b32_e32 v2, 1, v18
	v_lshl_or_b32 v18, v23, 9, v2
	s_and_b32 s5, s5, 0xffff
	s_mov_b32 s7, 0x20000
	s_movk_i32 s6, 0x4000
	s_movk_i32 s0, 0x80
	buffer_load_dwordx4 v[2:5], v18, s[4:7], 0 offen
	buffer_load_dwordx4 v[6:9], v18, s[4:7], 0 offen offset:256
	buffer_load_dwordx4 v[10:13], v18, s[4:7], s0 offen
	buffer_load_dwordx4 v[14:17], v18, s[4:7], s0 offen offset:256
.LBB348_59:
	ds_read_b64 v[20:21], v25 offset:32768
	v_add_u32_e32 v18, 0xb000, v24
	ds_read2_b64 v[32:35], v18 offset1:16
	ds_read_b64 v[40:41], v26 offset:32768
	ds_read_b64 v[26:27], v27 offset:32768
	;; [unrolled: 1-line block ×3, first 2 shown]
	v_and_b32_e32 v18, 6, v0
	v_xor_b32_e32 v23, v23, v18
	v_lshlrev_b32_e32 v23, 2, v23
	v_and_b32_e32 v0, 1, v0
	v_xor_b32_e32 v28, 0x440, v23
	v_cmp_eq_u32_e32 vcc, 0, v0
	s_waitcnt lgkmcnt(3)
	v_mfma_f32_16x16x16_bf16 a[0:3], v[20:21], v[32:33], a[0:3]
	s_mov_b32 s0, 0x1000504
	v_cndmask_b32_e32 v0, v28, v23, vcc
	v_lshl_or_b32 v0, v18, 10, v0
	v_mfma_f32_16x16x16_bf16 a[4:7], v[20:21], v[34:35], a[4:7]
	ds_read2st64_b64 v[32:35], v24 offset0:90 offset1:92
	ds_read2st64_b64 v[36:39], v29 offset0:90 offset1:92
	ds_read_b64 v[20:21], v24 offset:48128
	ds_read_b64 v[24:25], v29 offset:48128
	s_waitcnt vmcnt(0)
	v_perm_b32 v18, v2, v6, s0
	s_waitcnt lgkmcnt(3)
	v_mfma_f32_16x16x16_bf16 a[0:3], v[40:41], v[32:33], a[0:3]
	s_mov_b32 s1, 0x3020706
	v_perm_b32 v2, v2, v6, s1
	v_perm_b32 v6, v10, v14, s1
	s_waitcnt lgkmcnt(2)
	v_mfma_f32_16x16x16_bf16 a[4:7], v[40:41], v[36:37], a[4:7]
	v_mfma_f32_16x16x16_bf16 a[0:3], v[26:27], v[34:35], a[0:3]
	v_mfma_f32_16x16x16_bf16 a[8:11], v[26:27], v[38:39], a[4:7]
	s_waitcnt lgkmcnt(1)
	v_mfma_f32_16x16x16_bf16 a[4:7], v[42:43], v[20:21], a[0:3]
	v_perm_b32 v20, v10, v14, s0
	ds_write2st64_b32 v0, v18, v20 offset0:32 offset1:64
	v_xor_b32_e32 v18, 8, v0
	v_add_u32_e32 v10, 0x80, v18
	ds_write2st64_b32 v10, v2, v6 offset0:32 offset1:64
	v_xor_b32_e32 v2, 16, v0
	v_perm_b32 v6, v3, v7, s0
	v_perm_b32 v10, v11, v15, s0
	ds_write2st64_b32 v2, v6, v10 offset0:33 offset1:65
	v_xor_b32_e32 v2, 24, v0
	v_perm_b32 v3, v3, v7, s1
	v_perm_b32 v6, v11, v15, s1
	v_add_u32_e32 v2, 0x80, v2
	ds_write2st64_b32 v2, v3, v6 offset0:33 offset1:65
	v_xor_b32_e32 v2, 32, v0
	v_perm_b32 v3, v4, v8, s0
	v_perm_b32 v6, v12, v16, s0
	ds_write2st64_b32 v2, v3, v6 offset0:34 offset1:66
	v_xor_b32_e32 v2, 40, v0
	s_waitcnt lgkmcnt(5)
	v_mfma_f32_16x16x16_bf16 a[0:3], v[42:43], v[24:25], a[8:11]
	v_perm_b32 v3, v4, v8, s1
	v_perm_b32 v4, v12, v16, s1
	v_add_u32_e32 v2, 0x80, v2
	ds_write2st64_b32 v2, v3, v4 offset0:34 offset1:66
	v_xor_b32_e32 v2, 48, v0
	v_perm_b32 v3, v5, v9, s0
	v_perm_b32 v4, v13, v17, s0
	ds_write2st64_b32 v2, v3, v4 offset0:35 offset1:67
	v_xor_b32_e32 v0, 56, v0
	v_perm_b32 v3, v13, v17, s1
	v_and_or_b32 v17, v30, 12, v1
	v_perm_b32 v2, v5, v9, s1
	v_add_u32_e32 v0, 0x80, v0
	v_cmp_gt_i32_e32 vcc, s27, v17
	v_mov_b32_e32 v14, 0
	v_mov_b32_e32 v16, 0
	ds_write2st64_b32 v0, v2, v3 offset0:35 offset1:67
	s_and_saveexec_b64 s[0:1], vcc
	s_cbranch_execz .LBB348_61
; %bb.60:
	v_add_u32_e32 v0, s26, v17
	v_ashrrev_i32_e32 v1, 31, v0
	v_mul_lo_u32 v2, v1, s28
	v_mul_lo_u32 v3, v0, s29
	v_mad_u64_u32 v[0:1], s[2:3], v0, s28, 0
	v_add3_u32 v1, v1, v3, v2
	v_lshl_add_u64 v[0:1], v[0:1], 2, s[10:11]
	global_load_dword v0, v[0:1], off
	s_waitcnt vmcnt(0)
	v_sub_f32_e32 v0, s12, v0
	v_mul_f32_e32 v0, 0x3fb8aa3b, v0
	v_exp_f32_e32 v16, v0
.LBB348_61:
	s_or_b64 exec, exec, s[0:1]
	v_or_b32_e32 v8, 1, v17
	v_cmp_gt_i32_e64 s[0:1], s27, v8
	s_and_saveexec_b64 s[2:3], s[0:1]
	s_cbranch_execz .LBB348_63
; %bb.62:
	v_add_u32_e32 v0, s26, v8
	v_ashrrev_i32_e32 v1, 31, v0
	v_mul_lo_u32 v2, v1, s28
	v_mul_lo_u32 v3, v0, s29
	v_mad_u64_u32 v[0:1], s[4:5], v0, s28, 0
	v_add3_u32 v1, v1, v3, v2
	v_lshl_add_u64 v[0:1], v[0:1], 2, s[10:11]
	global_load_dword v0, v[0:1], off
	s_waitcnt vmcnt(0)
	v_sub_f32_e32 v0, s12, v0
	v_mul_f32_e32 v0, 0x3fb8aa3b, v0
	v_exp_f32_e32 v14, v0
.LBB348_63:
	s_or_b64 exec, exec, s[2:3]
	v_or_b32_e32 v10, 2, v17
	v_cmp_gt_i32_e64 s[2:3], s27, v10
	v_mov_b32_e32 v15, 0
	v_mov_b32_e32 v18, 0
	s_and_saveexec_b64 s[4:5], s[2:3]
	s_cbranch_execz .LBB348_65
; %bb.64:
	v_add_u32_e32 v0, s26, v10
	v_ashrrev_i32_e32 v1, 31, v0
	v_mul_lo_u32 v2, v1, s28
	v_mul_lo_u32 v3, v0, s29
	v_mad_u64_u32 v[0:1], s[6:7], v0, s28, 0
	v_add3_u32 v1, v1, v3, v2
	v_lshl_add_u64 v[0:1], v[0:1], 2, s[10:11]
	global_load_dword v0, v[0:1], off
	s_waitcnt vmcnt(0)
	v_sub_f32_e32 v0, s12, v0
	v_mul_f32_e32 v0, 0x3fb8aa3b, v0
	v_exp_f32_e32 v18, v0
.LBB348_65:
	s_or_b64 exec, exec, s[4:5]
	v_or_b32_e32 v12, 3, v17
	v_cmp_gt_i32_e64 s[4:5], s27, v12
	s_and_saveexec_b64 s[6:7], s[4:5]
	s_cbranch_execz .LBB348_67
; %bb.66:
	v_add_u32_e32 v0, s26, v12
	v_ashrrev_i32_e32 v1, 31, v0
	v_mul_lo_u32 v2, v1, s28
	v_mul_lo_u32 v3, v0, s29
	v_mad_u64_u32 v[0:1], s[14:15], v0, s28, 0
	v_add3_u32 v1, v1, v3, v2
	v_lshl_add_u64 v[0:1], v[0:1], 2, s[10:11]
	global_load_dword v0, v[0:1], off
	s_waitcnt vmcnt(0)
	v_sub_f32_e32 v0, s12, v0
	v_mul_f32_e32 v0, 0x3fb8aa3b, v0
	v_exp_f32_e32 v15, v0
.LBB348_67:
	s_or_b64 exec, exec, s[6:7]
	s_add_u32 s6, s8, s20
	v_accvgpr_read_b32 v0, a4
	s_addc_u32 s7, s9, s21
	v_ashrrev_i32_e32 v47, 31, v46
	v_accvgpr_read_b32 v1, a5
	v_accvgpr_read_b32 v2, a6
	;; [unrolled: 1-line block ×3, first 2 shown]
	v_lshl_add_u64 v[4:5], v[46:47], 1, s[6:7]
	v_mov_b32_e32 v9, 0
	v_lshlrev_b32_e32 v6, 8, v17
	v_mov_b32_e32 v7, 0
	s_and_saveexec_b64 s[6:7], vcc
	s_cbranch_execz .LBB348_69
; %bb.68:
	v_mov_b32_e32 v7, 0
	v_lshl_add_u64 v[20:21], v[4:5], 0, v[6:7]
	global_load_ushort v7, v[20:21], off
	s_waitcnt vmcnt(0)
	v_lshlrev_b32_e32 v7, 16, v7
	v_sub_f32_e32 v0, v7, v0
	v_mul_f32_e32 v0, v16, v0
	v_lshrrev_b32_e32 v7, 16, v0
.LBB348_69:
	s_or_b64 exec, exec, s[6:7]
	v_lshlrev_b32_e32 v8, 8, v8
	s_and_saveexec_b64 s[6:7], s[0:1]
	s_cbranch_execz .LBB348_71
; %bb.70:
	v_mov_b32_e32 v9, 0
	v_lshl_add_u64 v[20:21], v[4:5], 0, v[8:9]
	global_load_ushort v0, v[20:21], off
	s_waitcnt vmcnt(0)
	v_lshlrev_b32_e32 v0, 16, v0
	v_sub_f32_e32 v0, v0, v1
	v_mul_f32_e32 v0, v14, v0
	v_lshrrev_b32_e32 v9, 16, v0
.LBB348_71:
	s_or_b64 exec, exec, s[6:7]
	v_mov_b32_e32 v13, 0
	v_lshlrev_b32_e32 v10, 8, v10
	v_mov_b32_e32 v11, 0
	s_and_saveexec_b64 s[6:7], s[2:3]
	s_cbranch_execz .LBB348_73
; %bb.72:
	v_mov_b32_e32 v11, 0
	v_lshl_add_u64 v[0:1], v[4:5], 0, v[10:11]
	global_load_ushort v0, v[0:1], off
	s_waitcnt vmcnt(0)
	v_lshlrev_b32_e32 v0, 16, v0
	v_sub_f32_e32 v0, v0, v2
	v_mul_f32_e32 v0, v18, v0
	v_lshrrev_b32_e32 v11, 16, v0
.LBB348_73:
	s_or_b64 exec, exec, s[6:7]
	v_lshlrev_b32_e32 v12, 8, v12
	s_and_saveexec_b64 s[6:7], s[4:5]
	s_cbranch_execz .LBB348_75
; %bb.74:
	v_mov_b32_e32 v13, 0
	v_lshl_add_u64 v[0:1], v[4:5], 0, v[12:13]
	global_load_ushort v0, v[0:1], off
	s_waitcnt vmcnt(0)
	v_lshlrev_b32_e32 v0, 16, v0
	v_sub_f32_e32 v0, v0, v3
	v_mul_f32_e32 v0, v15, v0
	v_lshrrev_b32_e32 v13, 16, v0
.LBB348_75:
	s_or_b64 exec, exec, s[6:7]
	v_lshlrev_b32_e32 v17, 5, v17
	s_mov_b32 s6, 0x5040100
	v_perm_b32 v20, v9, v7, s6
	v_or_b32_e32 v7, v17, v22
	v_accvgpr_read_b32 v0, a0
	v_perm_b32 v21, v13, v11, s6
	v_lshlrev_b32_e32 v7, 1, v7
	v_accvgpr_read_b32 v1, a1
	v_accvgpr_read_b32 v2, a2
	;; [unrolled: 1-line block ×3, first 2 shown]
	ds_write_b64 v7, v[20:21] offset:45056
	v_mov_b32_e32 v9, 0
	v_mov_b32_e32 v7, 0
	s_and_saveexec_b64 s[6:7], vcc
	s_cbranch_execz .LBB348_77
; %bb.76:
	v_mov_b32_e32 v7, 0
	v_lshl_add_u64 v[6:7], v[4:5], 0, v[6:7]
	global_load_ushort v6, v[6:7], off offset:32
	s_waitcnt vmcnt(0)
	v_lshlrev_b32_e32 v6, 16, v6
	v_sub_f32_e32 v0, v6, v0
	v_mul_f32_e32 v0, v16, v0
	v_lshrrev_b32_e32 v7, 16, v0
.LBB348_77:
	s_or_b64 exec, exec, s[6:7]
	s_and_saveexec_b64 s[6:7], s[0:1]
	s_cbranch_execz .LBB348_79
; %bb.78:
	v_mov_b32_e32 v9, 0
	v_lshl_add_u64 v[8:9], v[4:5], 0, v[8:9]
	global_load_ushort v0, v[8:9], off offset:32
	s_waitcnt vmcnt(0)
	v_lshlrev_b32_e32 v0, 16, v0
	v_sub_f32_e32 v0, v0, v1
	v_mul_f32_e32 v0, v14, v0
	v_lshrrev_b32_e32 v9, 16, v0
.LBB348_79:
	s_or_b64 exec, exec, s[6:7]
	v_mov_b32_e32 v0, 0
	v_mov_b32_e32 v1, 0
	s_and_saveexec_b64 s[0:1], s[2:3]
	s_cbranch_execz .LBB348_81
; %bb.80:
	v_mov_b32_e32 v11, 0
	v_lshl_add_u64 v[10:11], v[4:5], 0, v[10:11]
	global_load_ushort v1, v[10:11], off offset:32
	s_waitcnt vmcnt(0)
	v_lshlrev_b32_e32 v1, 16, v1
	v_sub_f32_e32 v1, v1, v2
	v_mul_f32_e32 v1, v18, v1
	v_lshrrev_b32_e32 v1, 16, v1
.LBB348_81:
	s_or_b64 exec, exec, s[0:1]
	s_and_saveexec_b64 s[0:1], s[4:5]
	s_cbranch_execz .LBB348_83
; %bb.82:
	v_mov_b32_e32 v13, 0
	v_lshl_add_u64 v[4:5], v[4:5], 0, v[12:13]
	global_load_ushort v0, v[4:5], off offset:32
	s_waitcnt vmcnt(0)
	v_lshlrev_b32_e32 v0, 16, v0
	v_sub_f32_e32 v0, v0, v3
	v_mul_f32_e32 v0, v15, v0
	v_lshrrev_b32_e32 v0, 16, v0
.LBB348_83:
	s_or_b64 exec, exec, s[0:1]
	s_mov_b32 s0, 0x5040100
	v_or_b32_e32 v2, v17, v19
	v_perm_b32 v1, v0, v1, s0
	v_perm_b32 v0, v9, v7, s0
	v_lshlrev_b32_e32 v2, 1, v2
	ds_write_b64 v2, v[0:1] offset:45056
	s_waitcnt lgkmcnt(0)
	s_barrier
.LBB348_84:
	s_endpgm
	.section	.rodata,"a",@progbits
	.p2align	6, 0x0
	.amdhsa_kernel _ZN12_GLOBAL__N_139chunk_gated_delta_rule_fwd_h_hip_kernelILi32ELb1ELb0ELb0ELb0ELb0ELb1ELb0ELb1EEEvPK12hip_bfloat16S3_S3_PKfS5_PKvPS1_S8_PvPKiSB_iiiiilll
		.amdhsa_group_segment_fixed_size 49152
		.amdhsa_private_segment_fixed_size 0
		.amdhsa_kernarg_size 136
		.amdhsa_user_sgpr_count 2
		.amdhsa_user_sgpr_dispatch_ptr 0
		.amdhsa_user_sgpr_queue_ptr 0
		.amdhsa_user_sgpr_kernarg_segment_ptr 1
		.amdhsa_user_sgpr_dispatch_id 0
		.amdhsa_user_sgpr_kernarg_preload_length 0
		.amdhsa_user_sgpr_kernarg_preload_offset 0
		.amdhsa_user_sgpr_private_segment_size 0
		.amdhsa_uses_dynamic_stack 0
		.amdhsa_enable_private_segment 0
		.amdhsa_system_sgpr_workgroup_id_x 1
		.amdhsa_system_sgpr_workgroup_id_y 1
		.amdhsa_system_sgpr_workgroup_id_z 0
		.amdhsa_system_sgpr_workgroup_info 0
		.amdhsa_system_vgpr_workitem_id 0
		.amdhsa_next_free_vgpr 164
		.amdhsa_next_free_sgpr 68
		.amdhsa_accum_offset 140
		.amdhsa_reserve_vcc 1
		.amdhsa_float_round_mode_32 0
		.amdhsa_float_round_mode_16_64 0
		.amdhsa_float_denorm_mode_32 3
		.amdhsa_float_denorm_mode_16_64 3
		.amdhsa_dx10_clamp 1
		.amdhsa_ieee_mode 1
		.amdhsa_fp16_overflow 0
		.amdhsa_tg_split 0
		.amdhsa_exception_fp_ieee_invalid_op 0
		.amdhsa_exception_fp_denorm_src 0
		.amdhsa_exception_fp_ieee_div_zero 0
		.amdhsa_exception_fp_ieee_overflow 0
		.amdhsa_exception_fp_ieee_underflow 0
		.amdhsa_exception_fp_ieee_inexact 0
		.amdhsa_exception_int_div_zero 0
	.end_amdhsa_kernel
	.section	.text._ZN12_GLOBAL__N_139chunk_gated_delta_rule_fwd_h_hip_kernelILi32ELb1ELb0ELb0ELb0ELb0ELb1ELb0ELb1EEEvPK12hip_bfloat16S3_S3_PKfS5_PKvPS1_S8_PvPKiSB_iiiiilll,"axG",@progbits,_ZN12_GLOBAL__N_139chunk_gated_delta_rule_fwd_h_hip_kernelILi32ELb1ELb0ELb0ELb0ELb0ELb1ELb0ELb1EEEvPK12hip_bfloat16S3_S3_PKfS5_PKvPS1_S8_PvPKiSB_iiiiilll,comdat
.Lfunc_end348:
	.size	_ZN12_GLOBAL__N_139chunk_gated_delta_rule_fwd_h_hip_kernelILi32ELb1ELb0ELb0ELb0ELb0ELb1ELb0ELb1EEEvPK12hip_bfloat16S3_S3_PKfS5_PKvPS1_S8_PvPKiSB_iiiiilll, .Lfunc_end348-_ZN12_GLOBAL__N_139chunk_gated_delta_rule_fwd_h_hip_kernelILi32ELb1ELb0ELb0ELb0ELb0ELb1ELb0ELb1EEEvPK12hip_bfloat16S3_S3_PKfS5_PKvPS1_S8_PvPKiSB_iiiiilll
                                        ; -- End function
	.section	.AMDGPU.csdata,"",@progbits
; Kernel info:
; codeLenInByte = 8776
; NumSgprs: 74
; NumVgprs: 140
; NumAgprs: 24
; TotalNumVgprs: 164
; ScratchSize: 0
; MemoryBound: 0
; FloatMode: 240
; IeeeMode: 1
; LDSByteSize: 49152 bytes/workgroup (compile time only)
; SGPRBlocks: 9
; VGPRBlocks: 20
; NumSGPRsForWavesPerEU: 74
; NumVGPRsForWavesPerEU: 164
; AccumOffset: 140
; Occupancy: 1
; WaveLimiterHint : 1
; COMPUTE_PGM_RSRC2:SCRATCH_EN: 0
; COMPUTE_PGM_RSRC2:USER_SGPR: 2
; COMPUTE_PGM_RSRC2:TRAP_HANDLER: 0
; COMPUTE_PGM_RSRC2:TGID_X_EN: 1
; COMPUTE_PGM_RSRC2:TGID_Y_EN: 1
; COMPUTE_PGM_RSRC2:TGID_Z_EN: 0
; COMPUTE_PGM_RSRC2:TIDIG_COMP_CNT: 0
; COMPUTE_PGM_RSRC3_GFX90A:ACCUM_OFFSET: 34
; COMPUTE_PGM_RSRC3_GFX90A:TG_SPLIT: 0
	.section	.text._ZN12_GLOBAL__N_139chunk_gated_delta_rule_fwd_h_hip_kernelILi32ELb0ELb1ELb1ELb0ELb0ELb1ELb0ELb1EEEvPK12hip_bfloat16S3_S3_PKfS5_PKvPS1_S8_PvPKiSB_iiiiilll,"axG",@progbits,_ZN12_GLOBAL__N_139chunk_gated_delta_rule_fwd_h_hip_kernelILi32ELb0ELb1ELb1ELb0ELb0ELb1ELb0ELb1EEEvPK12hip_bfloat16S3_S3_PKfS5_PKvPS1_S8_PvPKiSB_iiiiilll,comdat
	.globl	_ZN12_GLOBAL__N_139chunk_gated_delta_rule_fwd_h_hip_kernelILi32ELb0ELb1ELb1ELb0ELb0ELb1ELb0ELb1EEEvPK12hip_bfloat16S3_S3_PKfS5_PKvPS1_S8_PvPKiSB_iiiiilll ; -- Begin function _ZN12_GLOBAL__N_139chunk_gated_delta_rule_fwd_h_hip_kernelILi32ELb0ELb1ELb1ELb0ELb0ELb1ELb0ELb1EEEvPK12hip_bfloat16S3_S3_PKfS5_PKvPS1_S8_PvPKiSB_iiiiilll
	.p2align	8
	.type	_ZN12_GLOBAL__N_139chunk_gated_delta_rule_fwd_h_hip_kernelILi32ELb0ELb1ELb1ELb0ELb0ELb1ELb0ELb1EEEvPK12hip_bfloat16S3_S3_PKfS5_PKvPS1_S8_PvPKiSB_iiiiilll,@function
_ZN12_GLOBAL__N_139chunk_gated_delta_rule_fwd_h_hip_kernelILi32ELb0ELb1ELb1ELb0ELb0ELb1ELb0ELb1EEEvPK12hip_bfloat16S3_S3_PKfS5_PKvPS1_S8_PvPKiSB_iiiiilll: ; @_ZN12_GLOBAL__N_139chunk_gated_delta_rule_fwd_h_hip_kernelILi32ELb0ELb1ELb1ELb0ELb0ELb1ELb0ELb1EEEvPK12hip_bfloat16S3_S3_PKfS5_PKvPS1_S8_PvPKiSB_iiiiilll
; %bb.0:
	s_load_dwordx4 s[12:15], s[0:1], 0x5c
	s_load_dwordx2 s[34:35], s[0:1], 0x40
	s_abs_i32 s22, s3
	s_ashr_i32 s21, s3, 31
	s_load_dwordx8 s[4:11], s[0:1], 0x0
	s_load_dwordx2 s[36:37], s[0:1], 0x20
	s_load_dwordx4 s[16:19], s[0:1], 0x30
	s_waitcnt lgkmcnt(0)
	s_abs_i32 s20, s13
	v_cvt_f32_u32_e32 v1, s20
	s_sub_i32 s24, 0, s20
	s_ashr_i32 s23, s13, 31
	s_xor_b32 s21, s21, s23
	v_rcp_iflag_f32_e32 v1, v1
	v_lshrrev_b32_e32 v53, 6, v0
	v_bfe_u32 v64, v0, 4, 2
	v_lshlrev_b32_e32 v62, 4, v53
	v_mul_f32_e32 v1, 0x4f7ffffe, v1
	v_cvt_u32_f32_e32 v1, v1
	v_lshlrev_b32_e32 v18, 2, v64
	v_and_b32_e32 v63, 63, v0
	v_mov_b32_e32 v17, 0
	v_readfirstlane_b32 s25, v1
	s_mul_i32 s24, s24, s25
	s_mul_hi_u32 s24, s25, s24
	s_add_i32 s25, s25, s24
	s_mul_hi_u32 s24, s22, s25
	s_mul_i32 s25, s24, s20
	s_sub_i32 s22, s22, s25
	s_add_i32 s25, s24, 1
	s_sub_i32 s26, s22, s20
	s_cmp_ge_u32 s22, s20
	s_cselect_b32 s24, s25, s24
	s_cselect_b32 s22, s26, s22
	s_add_i32 s25, s24, 1
	s_cmp_ge_u32 s22, s20
	s_cselect_b32 s22, s25, s24
	s_xor_b32 s22, s22, s21
	s_sub_i32 s52, s22, s21
	s_abs_i32 s21, s14
	v_cvt_f32_u32_e32 v1, s21
	s_ashr_i32 s51, s12, 31
	s_lshr_b32 s22, s51, 26
	s_add_i32 s22, s12, s22
	v_rcp_iflag_f32_e32 v1, v1
	s_ashr_i32 s54, s14, 31
	s_ashr_i32 s53, s22, 6
	s_xor_b32 s22, s23, s54
	v_mul_f32_e32 v1, 0x4f7ffffe, v1
	v_cvt_u32_f32_e32 v1, v1
	s_sub_i32 s23, 0, s21
	s_mul_i32 s50, s52, s13
	s_sub_i32 s33, s3, s50
	v_readfirstlane_b32 s24, v1
	s_mul_i32 s23, s23, s24
	s_mul_hi_u32 s23, s24, s23
	s_add_i32 s24, s24, s23
	s_mul_hi_u32 s23, s20, s24
	s_mul_i32 s24, s23, s21
	s_sub_i32 s20, s20, s24
	s_add_i32 s3, s12, 63
	s_add_i32 s24, s23, 1
	s_sub_i32 s25, s20, s21
	s_cmp_ge_u32 s20, s21
	s_cselect_b32 s23, s24, s23
	s_cselect_b32 s20, s25, s20
	s_add_i32 s24, s23, 1
	s_cmp_ge_u32 s20, s21
	s_cselect_b32 s20, s24, s23
	s_xor_b32 s20, s20, s22
	s_sub_i32 s24, s20, s22
	s_abs_i32 s25, s24
	v_cvt_f32_u32_e32 v1, s25
	s_load_dwordx2 s[38:39], s[0:1], 0x80
	s_load_dwordx4 s[20:23], s[0:1], 0x70
	s_xor_b32 s0, s33, s24
	s_sub_i32 s24, 0, s25
	v_rcp_iflag_f32_e32 v1, v1
	s_abs_i32 s1, s33
	s_ashr_i32 s0, s0, 31
	s_mul_i32 s48, s52, s12
	v_mul_f32_e32 v1, 0x4f7ffffe, v1
	v_cvt_u32_f32_e32 v1, v1
	v_and_b32_e32 v65, 15, v0
	s_mul_hi_i32 s56, s52, s13
	v_lshrrev_b32_e32 v67, 3, v63
	v_readfirstlane_b32 s26, v1
	s_mul_i32 s24, s24, s26
	s_mul_hi_u32 s24, s26, s24
	s_add_i32 s26, s26, s24
	s_mul_hi_u32 s24, s1, s26
	s_mul_i32 s26, s24, s25
	s_sub_i32 s1, s1, s26
	s_add_i32 s26, s24, 1
	s_sub_i32 s27, s1, s25
	s_cmp_ge_u32 s1, s25
	s_cselect_b32 s24, s26, s24
	s_cselect_b32 s1, s27, s1
	s_add_i32 s26, s24, 1
	s_cmp_ge_u32 s1, s25
	s_cselect_b32 s1, s26, s24
	s_xor_b32 s1, s1, s0
	s_sub_i32 s57, s1, s0
	s_ashr_i32 s0, s3, 31
	s_lshr_b32 s0, s0, 26
	s_add_i32 s3, s3, s0
	v_or_b32_e32 v1, v18, v62
	s_ashr_i32 s0, s3, 6
	s_lshl_b32 s2, s2, 5
	s_mul_i32 s55, s52, s0
	v_or_b32_e32 v68, 64, v1
	s_cmp_lt_i32 s12, 64
	v_lshlrev_b32_e32 v66, 3, v0
	s_waitcnt lgkmcnt(0)
	s_mul_i32 s21, s52, s21
	s_mul_hi_u32 s49, s52, s20
	s_mul_i32 s40, s52, s20
	v_mov_b32_e32 v16, v17
	v_mov_b32_e32 v15, v17
	;; [unrolled: 1-line block ×15, first 2 shown]
	s_cbranch_scc1 .LBB349_19
; %bb.1:
	s_ashr_i32 s3, s52, 31
	s_ashr_i32 s59, s33, 31
	s_add_u32 s0, s50, s33
	s_addc_u32 s1, s56, s59
	s_mul_i32 s1, s12, s1
	s_mul_hi_u32 s24, s12, s0
	s_add_i32 s43, s24, s1
	s_mul_i32 s42, s12, s0
	s_lshl_b64 s[0:1], s[42:43], 8
	v_and_b32_e32 v70, 56, v66
	s_add_u32 s24, s6, s0
	v_lshl_or_b32 v69, v53, 3, v67
	v_lshlrev_b32_e32 v2, 1, v70
	s_addc_u32 s0, s7, s1
	v_lshl_or_b32 v71, v69, 8, v2
	s_and_b32 s25, s0, 0xffff
	s_mov_b32 s27, 0x20000
	s_movk_i32 s26, 0x4000
	s_movk_i32 s0, 0x80
	v_or_b32_e32 v72, 0x2000, v71
	buffer_load_dwordx4 v[4:7], v71, s[24:27], 0 offen
	buffer_load_dwordx4 v[8:11], v71, s[24:27], s0 offen
	;; [unrolled: 1-line block ×4, first 2 shown]
	v_lshlrev_b32_e32 v3, 3, v69
	v_and_or_b32 v17, v0, 7, v3
	v_and_b32_e32 v3, 0x78, v3
	v_lshlrev_b32_e32 v17, 4, v17
	v_xor_b32_e32 v73, v17, v3
	v_mul_lo_u32 v16, v69, s15
	v_or_b32_e32 v74, 0x1000, v73
	v_xor_b32_e32 v3, 8, v73
	s_cmpk_eq_i32 s15, 0x80
	s_mov_b32 s58, s14
	v_xor_b32_e32 v17, 8, v74
	s_cselect_b64 s[0:1], -1, 0
	s_cmpk_lg_i32 s15, 0x80
	s_waitcnt vmcnt(3)
	ds_write_b64 v73, v[4:5] offset:24576
	ds_write_b64 v3, v[6:7] offset:24576
	s_waitcnt vmcnt(2)
	ds_write_b64 v73, v[8:9] offset:32768
	ds_write_b64 v3, v[10:11] offset:32768
	;; [unrolled: 3-line block ×4, first 2 shown]
	v_lshl_add_u32 v3, v16, 1, v70
	s_cbranch_scc0 .LBB349_3
; %bb.2:
	v_lshlrev_b32_e32 v5, 1, v3
	v_add_lshl_u32 v4, v3, s15, 1
	s_lshl_b32 s26, s15, 7
	v_lshl_or_b32 v2, v69, 9, v2
	s_cbranch_execz .LBB349_4
	s_branch .LBB349_5
.LBB349_3:
                                        ; implicit-def: $vgpr4
                                        ; implicit-def: $vgpr5
                                        ; implicit-def: $sgpr26
	v_lshl_or_b32 v2, v69, 9, v2
.LBB349_4:
	v_or_b32_e32 v4, 0x100, v2
	s_movk_i32 s26, 0x4000
	v_mov_b32_e32 v5, v2
.LBB349_5:
	s_mul_hi_u32 s24, s14, s12
	s_mul_i32 s25, s54, s12
	s_add_i32 s24, s24, s25
	s_mul_i32 s25, s14, s12
	s_mul_i32 s27, s25, s3
	s_mul_hi_u32 s28, s25, s52
	s_add_i32 s27, s28, s27
	s_mul_i32 s24, s24, s52
	s_add_i32 s27, s27, s24
	s_mul_i32 s25, s25, s52
	s_ashr_i32 s60, s57, 31
	s_add_u32 s24, s25, s57
	s_addc_u32 s25, s27, s60
	s_lshl_b64 s[24:25], s[24:25], 8
	s_add_u32 s24, s4, s24
	s_addc_u32 s25, s5, s25
	s_and_b32 s25, s25, 0xffff
	s_mov_b32 s27, 0x20000
	s_movk_i32 s61, 0x80
	buffer_load_dwordx4 v[6:9], v5, s[24:27], 0 offen
	buffer_load_dwordx4 v[10:13], v5, s[24:27], s61 offen
	buffer_load_dwordx4 v[14:17], v4, s[24:27], 0 offen
	buffer_load_dwordx4 v[20:23], v4, s[24:27], s61 offen
	v_and_b32_e32 v4, 6, v0
	s_mul_i32 s24, s3, s12
	s_mul_hi_u32 s25, s52, s12
	v_lshlrev_b32_e32 v24, 6, v1
	v_or_b32_e32 v26, 16, v65
	v_xor_b32_e32 v27, v69, v4
	v_and_b32_e32 v5, 1, v0
	v_lshl_or_b32 v30, v65, 3, v24
	v_lshl_or_b32 v24, v26, 3, v24
	v_lshlrev_b32_e32 v27, 2, v27
	s_add_i32 s65, s25, s24
	s_add_i32 s24, s49, s21
	s_mul_i32 s3, s3, s20
	v_lshlrev_b32_e32 v19, 2, v65
	v_or_b32_e32 v77, 0xa000, v24
	v_or_b32_e32 v78, 0xb000, v24
	v_xor_b32_e32 v24, 0x440, v27
	v_cmp_eq_u32_e32 vcc, 0, v5
	s_add_i32 s41, s24, s3
	s_mul_i32 s3, s33, s23
	s_mul_hi_u32 s24, s33, s22
	v_xor_b32_e32 v28, v1, v19
	v_xor_b32_e32 v29, v68, v19
	v_cndmask_b32_e32 v5, v24, v27, vcc
	s_add_i32 s3, s24, s3
	s_mul_i32 s24, s59, s22
	s_mov_b32 s63, 0x1000504
	v_lshlrev_b32_e32 v25, 8, v65
	v_lshlrev_b32_e32 v28, 1, v28
	;; [unrolled: 1-line block ×3, first 2 shown]
	v_lshl_or_b32 v4, v4, 10, v5
	s_add_i32 s25, s3, s24
	s_lshl_b64 s[28:29], s[40:41], 2
	s_mov_b32 s64, 0x3020706
	v_or_b32_e32 v75, 0xa000, v30
	v_or_b32_e32 v76, 0xb000, v30
	;; [unrolled: 1-line block ×4, first 2 shown]
	v_xor_b32_e32 v5, 8, v4
	v_xor_b32_e32 v25, 24, v4
	;; [unrolled: 1-line block ×4, first 2 shown]
	s_mul_i32 s24, s33, s22
	s_add_u32 s3, s10, s28
	v_xor_b32_e32 v24, 16, v4
	v_xor_b32_e32 v27, 32, v4
	;; [unrolled: 1-line block ×3, first 2 shown]
	v_add_u32_e32 v5, 0x80, v5
	v_add_u32_e32 v25, 0x80, v25
	;; [unrolled: 1-line block ×4, first 2 shown]
	s_addc_u32 s26, s11, s29
	s_lshl_b64 s[24:25], s[24:25], 2
	s_add_u32 s44, s3, s24
	s_movk_i32 s3, 0xf8
	s_addc_u32 s45, s26, s25
	s_lshl_b32 s30, s15, 7
	s_movk_i32 s28, 0x100
	v_mov_b32_e32 v55, 0
	v_lshlrev_b32_e32 v54, 4, v65
	v_cmp_gt_u32_e32 vcc, s28, v0
	v_lshlrev_b32_e32 v26, 8, v26
	v_or_b32_e32 v81, v26, v28
	v_or_b32_e32 v82, v26, v29
	s_mov_b32 s62, 0
	s_movk_i32 s41, 0x1000
	s_movk_i32 s26, 0x4000
	v_add_u32_e32 v96, v62, v18
	s_mov_b32 s66, 0x7060302
	v_mov_b32_e32 v107, 0x3fb8aa3b
	s_mov_b32 s68, 0
	v_mov_b32_e32 v108, v55
	v_mov_b32_e32 v109, v55
	;; [unrolled: 1-line block ×7, first 2 shown]
	s_waitcnt vmcnt(1)
	v_perm_b32 v33, v6, v14, s63
	s_waitcnt vmcnt(0)
	v_perm_b32 v34, v10, v20, s63
	v_perm_b32 v6, v6, v14, s64
	;; [unrolled: 1-line block ×15, first 2 shown]
	ds_write2st64_b32 v4, v33, v34 offset0:32 offset1:64
	ds_write2st64_b32 v5, v6, v10 offset0:32 offset1:64
	ds_write2st64_b32 v24, v14, v20 offset0:33 offset1:65
	ds_write2st64_b32 v25, v7, v11 offset0:33 offset1:65
	ds_write2st64_b32 v27, v15, v21 offset0:34 offset1:66
	ds_write2st64_b32 v30, v8, v12 offset0:34 offset1:66
	ds_write2st64_b32 v31, v16, v22 offset0:35 offset1:67
	ds_write2st64_b32 v32, v9, v13 offset0:35 offset1:67
	v_or_b32_e32 v4, v62, v65
	v_lshlrev_b32_e32 v4, 3, v4
	v_lshrrev_b32_e32 v6, 5, v63
	v_and_or_b32 v6, v4, s3, v6
	v_lshlrev_b32_e32 v6, 4, v6
	v_lshrrev_b32_e32 v5, 2, v63
	v_lshlrev_b32_e32 v11, 11, v53
	v_and_b32_e32 v4, 0x78, v4
	v_or_b32_e32 v10, 32, v6
	v_and_b32_e32 v7, 12, v5
	v_and_b32_e32 v5, 0x1000, v11
	v_xor_b32_e32 v8, v6, v4
	v_lshrrev_b32_e32 v9, 1, v63
	v_xor_b32_e32 v10, v10, v4
	v_or_b32_e32 v8, v8, v5
	v_and_b32_e32 v9, 8, v9
	v_lshlrev_b32_e32 v12, 7, v64
	v_or_b32_e32 v10, v10, v5
	v_xor_b32_e32 v83, v8, v9
	v_or_b32_e32 v8, v12, v19
	v_xor_b32_e32 v85, v10, v9
	v_or_b32_e32 v10, 64, v6
	v_or_b32_e32 v6, 0x60, v6
	s_ashr_i32 s3, s2, 31
	v_lshlrev_b32_e32 v8, 1, v8
	v_xor_b32_e32 v10, v10, v4
	v_xor_b32_e32 v4, v6, v4
	s_lshl_b64 s[24:25], s[2:3], 8
	v_or_b32_e32 v84, 0xa000, v8
	v_or_b32_e32 v86, 0xa080, v8
	;; [unrolled: 1-line block ×6, first 2 shown]
	s_add_u32 s24, s16, s24
	v_lshlrev_b32_e32 v8, 1, v65
	v_lshlrev_b32_e32 v19, 2, v0
	v_lshrrev_b32_e32 v22, 1, v0
	v_xor_b32_e32 v87, v10, v9
	v_xor_b32_e32 v88, v4, v9
	v_lshrrev_b32_e32 v10, 4, v0
	s_addc_u32 s25, s17, s25
	v_or_b32_e32 v9, 1, v8
	v_mov_b32_e32 v20, 0x4000
	v_mov_b32_e32 v21, 0x2000
	v_and_b32_e32 v22, 24, v22
	v_and_or_b32 v12, v19, 60, v12
	v_mov_b32_e32 v19, 0xb000
	v_xor_b32_e32 v15, v10, v8
	v_xor_b32_e32 v16, v9, v10
	v_lshl_add_u64 v[8:9], s[24:25], 0, v[54:55]
	v_lshlrev_b32_e32 v54, 8, v10
	v_cndmask_b32_e32 v20, v20, v21, vcc
	v_lshlrev_b32_e32 v21, 3, v53
	v_lshl_or_b32 v93, v12, 1, v19
	v_or_b32_e32 v12, 32, v22
	v_lshl_or_b32 v91, v15, 3, v54
	v_and_b32_e32 v15, 8, v0
	v_xor_b32_e32 v12, v21, v12
	v_cmp_eq_u32_e32 vcc, 0, v15
	v_or_b32_e32 v19, 0x440, v12
	v_and_b32_e32 v10, 7, v0
	v_cndmask_b32_e32 v12, v19, v12, vcc
	v_lshl_or_b32 v92, v16, 3, v54
	v_lshlrev_b32_e32 v16, 3, v10
	v_or_b32_e32 v12, v12, v11
	v_xor_b32_e32 v19, v12, v16
	v_or_b32_e32 v12, 64, v22
	v_xor_b32_e32 v12, v21, v12
	v_xor_b32_e32 v25, 0x440, v12
	v_cndmask_b32_e32 v12, v25, v12, vcc
	v_or_b32_e32 v12, v12, v11
	v_xor_b32_e32 v25, v12, v16
	v_or_b32_e32 v12, 0x60, v22
	v_xor_b32_e32 v23, v21, v22
	v_xor_b32_e32 v12, v21, v12
	v_or_b32_e32 v24, 0x440, v23
	v_xor_b32_e32 v21, 0x440, v12
	v_cndmask_b32_e32 v15, v24, v23, vcc
	v_cndmask_b32_e32 v12, v21, v12, vcc
	v_or_b32_e32 v4, s2, v65
	v_or_b32_e32 v15, v15, v11
	;; [unrolled: 1-line block ×3, first 2 shown]
	v_ashrrev_i32_e32 v5, 31, v4
	v_lshlrev_b32_e32 v13, 1, v3
	v_add_lshl_u32 v3, v3, s15, 1
	v_or_b32_e32 v14, 0x100, v2
	v_xor_b32_e32 v15, v15, v16
	v_xor_b32_e32 v11, v11, v16
	v_lshlrev_b32_e32 v6, 7, v1
	v_lshlrev_b32_e32 v17, 7, v10
	v_or_b32_e32 v10, v7, v62
	v_add_u32_e32 v23, v20, v15
	v_add_u32_e32 v24, v20, v19
	;; [unrolled: 1-line block ×4, first 2 shown]
	v_or3_b32 v12, v62, v7, 64
	v_add_u32_e32 v7, 0x4000, v15
	v_add_u32_e32 v15, 0x4000, v19
	;; [unrolled: 1-line block ×4, first 2 shown]
	v_cndmask_b32_e64 v94, v13, v2, s[0:1]
	v_cndmask_b32_e64 v95, v3, v14, s[0:1]
	v_lshlrev_b64 v[2:3], 1, v[4:5]
	v_lshl_add_u64 v[56:57], s[8:9], 0, v[2:3]
	v_lshl_add_u64 v[58:59], s[18:19], 0, v[2:3]
	;; [unrolled: 1-line block ×3, first 2 shown]
	s_add_i32 s3, s48, 63
	v_lshlrev_b32_e32 v54, 1, v6
	v_lshlrev_b32_e32 v97, 2, v10
	v_add_u32_e32 v98, v23, v17
	v_add_u32_e32 v99, v24, v17
	;; [unrolled: 1-line block ×4, first 2 shown]
	v_lshlrev_b32_e32 v102, 2, v12
	v_add_u32_e32 v103, v7, v17
	v_add_u32_e32 v104, v15, v17
	;; [unrolled: 1-line block ×4, first 2 shown]
	v_mov_b32_e32 v2, v55
	v_mov_b32_e32 v3, v55
	;; [unrolled: 1-line block ×9, first 2 shown]
	s_waitcnt lgkmcnt(0)
	s_barrier
.LBB349_6:                              ; =>This Inner Loop Header: Depth=1
	s_add_i32 s67, s68, 1
	s_cmp_lt_i32 s67, s53
	s_mov_b64 s[28:29], 0
	s_cselect_b64 s[46:47], -1, 0
	s_cmp_ge_i32 s67, s53
	s_mov_b64 s[24:25], 0
	s_cbranch_scc1 .LBB349_8
; %bb.7:                                ;   in Loop: Header=BB349_6 Depth=1
	s_add_i32 s0, s62, 64
	s_add_u32 s0, s42, s0
	s_addc_u32 s1, s43, 0
	s_lshl_b64 s[0:1], s[0:1], 8
	s_add_u32 s24, s6, s0
	s_addc_u32 s25, s7, s1
.LBB349_8:                              ;   in Loop: Header=BB349_6 Depth=1
	v_cndmask_b32_e64 v10, 0, 1, s[46:47]
	v_cmp_ne_u32_e64 s[0:1], 1, v10
	s_andn2_b64 vcc, exec, s[46:47]
	s_cbranch_vccnz .LBB349_10
; %bb.9:                                ;   in Loop: Header=BB349_6 Depth=1
	s_add_i32 s28, s62, 64
	s_add_u32 s28, s48, s28
	s_addc_u32 s29, s65, 0
	s_mul_i32 s31, s28, s54
	s_mul_hi_u32 s46, s28, s58
	s_add_i32 s31, s46, s31
	s_mul_i32 s29, s29, s58
	s_add_i32 s31, s31, s29
	s_mul_i32 s28, s28, s58
	s_add_u32 s28, s28, s57
	s_addc_u32 s29, s31, s60
	s_lshl_b64 s[28:29], s[28:29], 8
	s_add_u32 s28, s4, s28
	s_addc_u32 s29, s5, s29
.LBB349_10:                             ;   in Loop: Header=BB349_6 Depth=1
	v_perm_b32 v11, v5, v4, s66
	v_perm_b32 v10, v3, v2, s66
	;; [unrolled: 1-line block ×4, first 2 shown]
	ds_write_b64 v75, v[10:11]
	ds_write_b64 v76, v[12:13]
	;; [unrolled: 1-line block ×4, first 2 shown]
	v_perm_b32 v11, v115, v110, s66
	v_perm_b32 v10, v109, v108, s66
	;; [unrolled: 1-line block ×4, first 2 shown]
	ds_write_b64 v77, v[10:11]
	ds_write_b64 v78, v[12:13]
	;; [unrolled: 1-line block ×4, first 2 shown]
	s_waitcnt lgkmcnt(0)
	s_barrier
	ds_read_b64 v[14:15], v83 offset:24576
	ds_read2_b64 v[10:13], v84 offset1:16
	ds_read_b64 v[18:19], v86 offset:3072
	ds_read_b64 v[20:21], v84 offset:3072
	;; [unrolled: 1-line block ×3, first 2 shown]
	s_waitcnt lgkmcnt(3)
	v_mfma_f32_16x16x16_bf16 a[0:3], v[14:15], v[10:11], 0
	s_add_i32 s31, s62, 63
	s_mul_i32 s46, s31, s39
	s_mul_hi_u32 s47, s31, s38
	v_mfma_f32_16x16x16_bf16 a[4:7], v[14:15], v[12:13], 0
	ds_read2st64_b64 v[10:13], v84 offset0:2 offset1:4
	ds_read2st64_b64 v[14:17], v86 offset0:2 offset1:4
	s_add_i32 s47, s47, s46
	s_waitcnt lgkmcnt(1)
	v_mfma_f32_16x16x16_bf16 a[0:3], v[22:23], v[10:11], a[0:3]
	s_mul_i32 s46, s31, s38
	s_lshl_b64 s[46:47], s[46:47], 2
	s_add_u32 s46, s44, s46
	s_waitcnt lgkmcnt(0)
	v_mfma_f32_16x16x16_bf16 a[4:7], v[22:23], v[14:15], a[4:7]
	ds_read_b64 v[10:11], v87 offset:24576
	ds_read_b64 v[14:15], v88 offset:24576
	s_addc_u32 s47, s45, s47
	s_and_b64 vcc, exec, s[0:1]
	s_waitcnt lgkmcnt(1)
	v_mfma_f32_16x16x16_bf16 a[0:3], v[10:11], v[12:13], a[0:3]
	v_mov_b32_e32 v118, 0
	v_mov_b32_e32 v117, 0
	;; [unrolled: 1-line block ×3, first 2 shown]
	v_mfma_f32_16x16x16_bf16 a[8:11], v[10:11], v[16:17], a[4:7]
	v_mov_b32_e32 v10, 0
	v_mov_b32_e32 v11, 0
	;; [unrolled: 1-line block ×3, first 2 shown]
	s_waitcnt lgkmcnt(0)
	v_mfma_f32_16x16x16_bf16 a[4:7], v[14:15], v[20:21], a[0:3]
	v_mov_b32_e32 v13, 0
	v_mov_b32_e32 v16, 0
	;; [unrolled: 1-line block ×3, first 2 shown]
	v_mfma_f32_16x16x16_bf16 a[0:3], v[14:15], v[18:19], a[8:11]
	v_mov_b32_e32 v14, 0
	v_mov_b32_e32 v15, 0
	;; [unrolled: 1-line block ×10, first 2 shown]
	s_cbranch_vccnz .LBB349_12
; %bb.11:                               ;   in Loop: Header=BB349_6 Depth=1
	s_and_b32 s25, s25, 0xffff
	buffer_load_dwordx4 v[22:25], v71, s[24:27], 0 offen
	buffer_load_dwordx4 v[18:21], v71, s[24:27], s61 offen
	;; [unrolled: 1-line block ×4, first 2 shown]
	v_mov_b32_e32 v117, v73
	v_mov_b32_e32 v116, v74
.LBB349_12:                             ;   in Loop: Header=BB349_6 Depth=1
	ds_read_b64 v[34:35], v83 offset:32768
	ds_read2_b64 v[26:29], v89 offset1:16
	ds_read_b64 v[36:37], v85 offset:32768
	ds_read_b64 v[38:39], v87 offset:32768
	;; [unrolled: 1-line block ×3, first 2 shown]
	v_add_u32_e32 v42, s62, v96
	s_waitcnt lgkmcnt(3)
	v_mfma_f32_16x16x16_bf16 a[4:7], v[34:35], v[26:27], a[4:7]
	v_ashrrev_i32_e32 v26, 31, v42
	ds_read2st64_b64 v[30:33], v89 offset0:2 offset1:4
	v_mfma_f32_16x16x16_bf16 a[0:3], v[34:35], v[28:29], a[0:3]
	v_mul_lo_u32 v28, v26, s38
	v_mul_lo_u32 v29, v42, s39
	v_mad_u64_u32 v[26:27], s[24:25], v42, s38, 0
	v_add3_u32 v27, v27, v29, v28
	v_add_u32_e32 v28, 1, v42
	v_ashrrev_i32_e32 v29, 31, v28
	v_mul_lo_u32 v34, v29, s38
	v_mul_lo_u32 v35, v28, s39
	v_mad_u64_u32 v[28:29], s[24:25], v28, s38, 0
	v_add3_u32 v29, v29, v35, v34
	v_add_u32_e32 v34, 2, v42
	v_ashrrev_i32_e32 v35, 31, v34
	v_mul_lo_u32 v43, v35, s38
	v_mul_lo_u32 v44, v34, s39
	v_mad_u64_u32 v[34:35], s[24:25], v34, s38, 0
	v_add_u32_e32 v42, 3, v42
	v_add3_u32 v35, v35, v44, v43
	v_ashrrev_i32_e32 v43, 31, v42
	v_mul_lo_u32 v44, v43, s38
	v_mul_lo_u32 v45, v42, s39
	v_mad_u64_u32 v[42:43], s[24:25], v42, s38, 0
	s_add_u32 s24, s42, s62
	s_addc_u32 s25, s43, 0
	s_lshl_b64 s[70:71], s[24:25], 8
	v_lshl_add_u64 v[26:27], v[26:27], 2, s[44:45]
	v_lshl_add_u64 v[28:29], v[28:29], 2, s[44:45]
	v_add3_u32 v43, v43, v45, v44
	v_lshl_add_u64 v[44:45], v[56:57], 0, s[70:71]
	v_lshl_add_u64 v[34:35], v[34:35], 2, s[44:45]
	;; [unrolled: 1-line block ×3, first 2 shown]
	global_load_dword v46, v[26:27], off
	global_load_ushort v47, v[44:45], off offset:256
	global_load_ushort v48, v[44:45], off
	v_lshl_add_u64 v[26:27], v[42:43], 2, s[44:45]
	global_load_dword v42, v[28:29], off
	global_load_dword v43, v[34:35], off
	;; [unrolled: 1-line block ×3, first 2 shown]
	ds_read2st64_b64 v[26:29], v90 offset0:2 offset1:4
	global_load_ushort v50, v[44:45], off offset:768
	global_load_ushort v51, v[44:45], off offset:512
	;; [unrolled: 1-line block ×5, first 2 shown]
	s_nop 0
	global_load_ushort v44, v[44:45], off offset:32
	s_waitcnt lgkmcnt(1)
	v_mfma_f32_16x16x16_bf16 a[4:7], v[36:37], v[30:31], a[4:7]
	s_and_b64 vcc, exec, s[0:1]
	s_waitcnt vmcnt(10)
	v_lshlrev_b32_e32 v35, 16, v47
	s_waitcnt lgkmcnt(0)
	v_mfma_f32_16x16x16_bf16 a[0:3], v[36:37], v[26:27], a[0:3]
	s_waitcnt vmcnt(9)
	v_lshlrev_b32_e32 v34, 16, v48
	v_mfma_f32_16x16x16_bf16 a[4:7], v[38:39], v[32:33], a[4:7]
	v_mfma_f32_16x16x16_bf16 a[0:3], v[38:39], v[28:29], a[0:3]
	ds_read_b64 v[26:27], v89 offset:3072
	ds_read_b64 v[28:29], v90 offset:3072
	s_load_dword s24, s[46:47], 0x0
	s_waitcnt lgkmcnt(0)
	v_sub_f32_e32 v36, s24, v46
	v_mfma_f32_16x16x16_bf16 a[4:7], v[40:41], v[26:27], a[4:7]
	v_mul_f32_e32 v36, 0x3fb8aa3b, v36
	s_waitcnt vmcnt(8)
	v_sub_f32_e32 v37, s24, v42
	s_waitcnt vmcnt(7)
	v_sub_f32_e32 v38, s24, v43
	s_waitcnt vmcnt(6)
	v_sub_f32_e32 v39, s24, v49
	v_mfma_f32_16x16x16_bf16 a[0:3], v[40:41], v[28:29], a[0:3]
	v_lshl_add_u64 v[26:27], v[58:59], 0, s[70:71]
	v_lshl_add_u64 v[26:27], v[26:27], 0, v[54:55]
	v_accvgpr_read_b32 v33, a5
	v_accvgpr_read_b32 v32, a4
	v_pk_add_f32 v[32:33], v[34:35], v[32:33] neg_lo:[0,1] neg_hi:[0,1]
	v_exp_f32_e32 v34, v36
	v_mul_f32_e32 v35, 0x3fb8aa3b, v37
	v_mul_f32_e32 v36, 0x3fb8aa3b, v38
	;; [unrolled: 1-line block ×3, first 2 shown]
	v_exp_f32_e32 v35, v35
	v_exp_f32_e32 v36, v36
	;; [unrolled: 1-line block ×3, first 2 shown]
	v_accvgpr_read_b32 v29, a7
	v_accvgpr_read_b32 v28, a6
	s_waitcnt vmcnt(5)
	v_lshlrev_b32_e32 v39, 16, v50
	s_waitcnt vmcnt(4)
	v_lshlrev_b32_e32 v38, 16, v51
	v_pk_add_f32 v[28:29], v[38:39], v[28:29] neg_lo:[0,1] neg_hi:[0,1]
	global_store_short_d16_hi v[26:27], v32, off
	global_store_short_d16_hi v[26:27], v33, off offset:256
	global_store_short_d16_hi v[26:27], v28, off offset:512
	;; [unrolled: 1-line block ×3, first 2 shown]
	v_pk_mul_f32 v[32:33], v[34:35], v[32:33]
	v_pk_mul_f32 v[28:29], v[36:37], v[28:29]
	v_accvgpr_read_b32 v39, a1
	v_perm_b32 v29, v29, v28, s66
	v_perm_b32 v28, v33, v32, s66
	s_waitcnt vmcnt(5)
	v_lshlrev_b32_e32 v33, 16, v120
	s_waitcnt vmcnt(4)
	v_lshlrev_b32_e32 v32, 16, v44
	v_accvgpr_read_b32 v38, a0
	v_accvgpr_read_b32 v31, a3
	;; [unrolled: 1-line block ×3, first 2 shown]
	v_pk_add_f32 v[32:33], v[32:33], v[38:39] neg_lo:[0,1] neg_hi:[0,1]
	v_lshlrev_b32_e32 v39, 16, v52
	v_lshlrev_b32_e32 v38, 16, v119
	v_pk_add_f32 v[30:31], v[38:39], v[30:31] neg_lo:[0,1] neg_hi:[0,1]
	global_store_short_d16_hi v[26:27], v32, off offset:32
	global_store_short_d16_hi v[26:27], v33, off offset:288
	global_store_short_d16_hi v[26:27], v30, off offset:544
	global_store_short_d16_hi v[26:27], v31, off offset:800
	v_pk_mul_f32 v[26:27], v[34:35], v[32:33]
	v_pk_mul_f32 v[30:31], v[36:37], v[30:31]
	v_mov_b32_e32 v119, 0
	v_perm_b32 v31, v31, v30, s66
	v_perm_b32 v30, v27, v26, s66
	ds_write2_b64 v76, v[28:29], v[30:31] offset1:16
	v_mov_b32_e32 v26, 0
	v_mov_b32_e32 v27, 0
	;; [unrolled: 1-line block ×16, first 2 shown]
	s_cbranch_vccnz .LBB349_14
; %bb.13:                               ;   in Loop: Header=BB349_6 Depth=1
	s_and_b32 s29, s29, 0xffff
	s_mov_b32 s31, s27
	buffer_load_dwordx4 v[38:41], v94, s[28:31], 0 offen
	buffer_load_dwordx4 v[30:33], v94, s[28:31], s61 offen
	;; [unrolled: 1-line block ×4, first 2 shown]
	v_mov_b32_e32 v118, v70
	v_mov_b32_e32 v119, v69
.LBB349_14:                             ;   in Loop: Header=BB349_6 Depth=1
	s_waitcnt lgkmcnt(0)
	s_barrier
	ds_read_b64 v[46:47], v98
	ds_read_b64 v[124:125], v93
	;; [unrolled: 1-line block ×5, first 2 shown]
	ds_read_b64 v[138:139], v90 offset:3072
	ds_read2_b64 v[42:45], v89 offset0:16 offset1:128
	s_waitcnt lgkmcnt(5)
	v_mfma_f32_16x16x16_bf16 a[0:3], v[46:47], v[124:125], 0
	ds_read2st64_b64 v[48:51], v90 offset0:2 offset1:4
	s_add_i32 s25, s55, s68
	s_mul_hi_i32 s29, s25, s13
	s_waitcnt lgkmcnt(1)
	v_mfma_f32_16x16x16_bf16 a[4:7], v[46:47], v[42:43], 0
	ds_read_b64 v[46:47], v103
	s_mul_i32 s25, s25, s13
	s_add_u32 s28, s25, s33
	s_waitcnt lgkmcnt(1)
	v_mfma_f32_16x16x16_bf16 a[4:7], v[126:127], v[48:49], a[4:7]
	s_addc_u32 s29, s29, s59
	s_add_i32 s25, s3, s62
	s_lshl_b64 s[28:29], s[28:29], 15
	s_mul_hi_i32 s31, s25, s13
	s_mul_i32 s25, s25, s13
	s_add_u32 s46, s25, s33
	v_mfma_f32_16x16x16_bf16 a[8:11], v[128:129], v[50:51], a[4:7]
	s_addc_u32 s47, s31, s59
	ds_read2st64_b64 v[120:123], v89 offset0:4 offset1:6
	s_lshl_b64 s[46:47], s[46:47], 9
	s_waitcnt lgkmcnt(1)
	v_mfma_f32_16x16x16_bf16 a[4:7], v[46:47], v[124:125], 0
	s_add_u32 s46, s36, s46
	s_addc_u32 s47, s37, s47
	v_mfma_f32_16x16x16_bf16 a[0:3], v[126:127], v[44:45], a[0:3]
	ds_read_b64 v[126:127], v104
	ds_read_b64 v[134:135], v105
	;; [unrolled: 1-line block ×3, first 2 shown]
	v_mfma_f32_16x16x16_bf16 a[12:15], v[46:47], v[42:43], 0
	s_waitcnt lgkmcnt(2)
	v_mfma_f32_16x16x16_bf16 a[4:7], v[126:127], v[44:45], a[4:7]
	global_load_dwordx4 v[42:45], v102, s[46:47]
	v_mfma_f32_16x16x16_bf16 a[12:15], v[126:127], v[48:49], a[12:15]
	global_load_dwordx4 v[46:49], v97, s[46:47]
	ds_read2st64_b64 v[124:127], v91 offset1:8
	s_waitcnt lgkmcnt(0)
	v_mov_b32_e32 v132, v124
	v_mfma_f32_16x16x16_bf16 a[0:3], v[128:129], v[120:121], a[0:3]
	ds_read2st64_b64 v[128:131], v92 offset1:8
	v_mov_b32_e32 v133, v125
	v_mfma_f32_16x16x16_bf16 a[16:19], v[134:135], v[120:121], a[4:7]
	v_lshl_add_u64 v[120:121], v[60:61], 0, s[28:29]
	v_mfma_f32_16x16x16_bf16 a[20:23], v[134:135], v[50:51], a[12:15]
	v_add_co_u32_e32 v50, vcc, s41, v120
	s_waitcnt lgkmcnt(0)
	v_mov_b32_e32 v134, v128
	v_mfma_f32_16x16x16_bf16 a[4:7], v[136:137], v[122:123], a[0:3]
	v_mov_b32_e32 v135, v129
	v_mov_b32_e32 v128, v126
	;; [unrolled: 1-line block ×3, first 2 shown]
	v_mfma_f32_16x16x16_bf16 a[8:11], v[136:137], v[138:139], a[8:11]
	v_addc_co_u32_e32 v51, vcc, 0, v121, vcc
	global_store_dwordx4 v[50:51], v[128:131], off
	v_mfma_f32_16x16x16_bf16 a[12:15], v[140:141], v[122:123], a[16:19]
	s_and_b64 vcc, exec, s[0:1]
	global_store_dwordx4 v[120:121], v[132:135], off
	s_waitcnt vmcnt(3)
	v_mov_b32_e32 v52, v45
	v_mfma_f32_16x16x16_bf16 a[0:3], v[140:141], v[138:139], a[20:23]
	v_mov_b32_e32 v51, v44
	v_mov_b32_e32 v50, v43
	s_cbranch_vccnz .LBB349_16
; %bb.15:                               ;   in Loop: Header=BB349_6 Depth=1
	v_lshrrev_b32_e32 v43, 3, v118
	v_and_b32_e32 v43, 6, v43
	v_xor_b32_e32 v44, v43, v119
	v_lshlrev_b32_e32 v44, 2, v44
	v_and_b32_e32 v45, 8, v118
	v_xor_b32_e32 v118, 0x440, v44
	v_cmp_eq_u32_e32 vcc, 0, v45
	v_perm_b32 v45, v30, v26, s63
	s_nop 0
	v_cndmask_b32_e32 v44, v118, v44, vcc
	v_lshl_or_b32 v43, v43, 10, v44
	v_perm_b32 v44, v38, v34, s63
	s_barrier
	ds_write2st64_b32 v43, v44, v45 offset0:32 offset1:64
	v_xor_b32_e32 v44, 8, v43
	v_perm_b32 v34, v38, v34, s64
	v_perm_b32 v26, v30, v26, s64
	v_add_u32_e32 v30, 0x80, v44
	ds_write2st64_b32 v30, v34, v26 offset0:32 offset1:64
	v_xor_b32_e32 v26, 16, v43
	v_perm_b32 v30, v39, v35, s63
	v_perm_b32 v34, v31, v27, s63
	ds_write2st64_b32 v26, v30, v34 offset0:33 offset1:65
	v_xor_b32_e32 v26, 24, v43
	v_perm_b32 v30, v39, v35, s64
	v_perm_b32 v27, v31, v27, s64
	v_add_u32_e32 v26, 0x80, v26
	ds_write2st64_b32 v26, v30, v27 offset0:33 offset1:65
	v_xor_b32_e32 v26, 32, v43
	v_perm_b32 v27, v40, v36, s63
	v_perm_b32 v30, v32, v28, s63
	ds_write2st64_b32 v26, v27, v30 offset0:34 offset1:66
	v_xor_b32_e32 v26, 40, v43
	v_perm_b32 v27, v40, v36, s64
	v_perm_b32 v28, v32, v28, s64
	v_add_u32_e32 v26, 0x80, v26
	ds_write2st64_b32 v26, v27, v28 offset0:34 offset1:66
	v_xor_b32_e32 v26, 48, v43
	v_perm_b32 v27, v41, v37, s63
	v_perm_b32 v28, v33, v29, s63
	ds_write2st64_b32 v26, v27, v28 offset0:35 offset1:67
	v_xor_b32_e32 v26, 56, v43
	v_perm_b32 v27, v41, v37, s64
	v_perm_b32 v28, v33, v29, s64
	v_add_u32_e32 v26, 0x80, v26
	ds_write2st64_b32 v26, v27, v28 offset0:35 offset1:67
	ds_write_b64 v117, v[22:23] offset:24576
	v_xor_b32_e32 v22, 8, v117
	ds_write_b64 v22, v[24:25] offset:24576
	ds_write_b64 v117, v[18:19] offset:32768
	;; [unrolled: 1-line block ×4, first 2 shown]
	v_xor_b32_e32 v14, 8, v116
	ds_write_b64 v14, v[16:17] offset:24576
	ds_write_b64 v116, v[10:11] offset:32768
	;; [unrolled: 1-line block ×3, first 2 shown]
.LBB349_16:                             ;   in Loop: Header=BB349_6 Depth=1
	v_mul_f32_e32 v14, s24, v107
	v_exp_f32_e32 v26, v14
	s_waitcnt vmcnt(2)
	v_mul_f32_e32 v14, 0x3fb8aa3b, v46
	v_exp_f32_e32 v28, v14
	v_mul_f32_e32 v14, 0x3fb8aa3b, v47
	v_exp_f32_e32 v29, v14
	;; [unrolled: 2-line block ×4, first 2 shown]
	v_accvgpr_read_b32 v21, a7
	v_accvgpr_read_b32 v19, a5
	;; [unrolled: 1-line block ×4, first 2 shown]
	v_pk_mul_f32 v[28:29], v[26:27], v[28:29] op_sel_hi:[0,1]
	v_accvgpr_read_b32 v12, a10
	v_pk_fma_f32 v[2:3], v[2:3], v[28:29], v[18:19]
	v_pk_mul_f32 v[18:19], v[26:27], v[30:31] op_sel_hi:[0,1]
	v_accvgpr_read_b32 v20, a6
	v_accvgpr_read_b32 v11, a9
	;; [unrolled: 1-line block ×3, first 2 shown]
	v_fma_f32 v110, v110, v18, v12
	v_mul_f32_e32 v12, 0x3fb8aa3b, v51
	v_pk_fma_f32 v[4:5], v[4:5], v[18:19], v[20:21]
	v_fma_f32 v108, v108, v28, v10
	v_fma_f32 v109, v109, v29, v11
	v_mul_f32_e32 v10, 0x3fb8aa3b, v42
	v_mul_f32_e32 v11, 0x3fb8aa3b, v50
	v_exp_f32_e32 v20, v12
	v_mul_f32_e32 v12, 0x3fb8aa3b, v52
	v_exp_f32_e32 v10, v10
	v_exp_f32_e32 v11, v11
	;; [unrolled: 1-line block ×3, first 2 shown]
	v_accvgpr_read_b32 v25, a15
	v_accvgpr_read_b32 v17, a3
	;; [unrolled: 1-line block ×8, first 2 shown]
	v_fmac_f32_e32 v13, v115, v19
	v_pk_mul_f32 v[10:11], v[26:27], v[10:11] op_sel_hi:[0,1]
	v_pk_mul_f32 v[18:19], v[26:27], v[20:21] op_sel_hi:[0,1]
	s_add_i32 s62, s62, 64
	v_pk_fma_f32 v[6:7], v[6:7], v[10:11], v[22:23]
	v_pk_fma_f32 v[8:9], v[8:9], v[18:19], v[24:25]
	v_fma_f32 v111, v111, v10, v14
	v_fma_f32 v112, v112, v11, v15
	;; [unrolled: 1-line block ×3, first 2 shown]
	s_cmp_eq_u32 s53, s67
	v_fmac_f32_e32 v17, v114, v19
	s_cbranch_scc1 .LBB349_18
; %bb.17:                               ;   in Loop: Header=BB349_6 Depth=1
	s_mov_b32 s68, s67
	v_mov_b32_e32 v115, v13
	v_mov_b32_e32 v114, v17
	s_branch .LBB349_6
.LBB349_18:
	v_mov_b32_e32 v16, v113
	v_mov_b32_e32 v15, v112
	v_mov_b32_e32 v14, v111
	v_mov_b32_e32 v12, v110
	v_mov_b32_e32 v11, v109
	v_mov_b32_e32 v10, v108
.LBB349_19:
	s_lshl_b32 s46, s53, 6
	s_sub_i32 s47, s12, s46
	s_cmp_gt_i32 s47, 0
	v_or_b32_e32 v34, s2, v65
	s_cbranch_scc1 .LBB349_21
; %bb.20:
	s_ashr_i32 s0, s33, 31
	s_add_u32 s28, s50, s33
	s_addc_u32 s29, s56, s0
	v_or_b32_e32 v35, s2, v65
	s_cbranch_execz .LBB349_22
	s_branch .LBB349_86
.LBB349_21:
                                        ; implicit-def: $sgpr28_sgpr29
                                        ; implicit-def: $vgpr35
.LBB349_22:
	s_ashr_i32 s41, s52, 31
	s_ashr_i32 s3, s46, 31
	s_cmpk_lg_i32 s15, 0x80
	s_cselect_b64 s[42:43], -1, 0
	s_and_b64 vcc, exec, s[42:43]
	s_cbranch_vccz .LBB349_24
; %bb.23:
	s_mul_hi_i32 s0, s52, s12
	s_add_u32 s1, s48, s46
	s_addc_u32 s0, s0, s3
	s_mul_i32 s24, s1, s54
	s_mul_hi_u32 s25, s1, s14
	s_add_i32 s24, s25, s24
	s_mul_i32 s0, s0, s14
	s_add_i32 s24, s24, s0
	s_mul_i32 s1, s1, s14
	s_ashr_i32 s0, s57, 31
	s_add_u32 s44, s1, s57
	s_addc_u32 s45, s24, s0
	s_cbranch_execz .LBB349_25
	s_branch .LBB349_26
.LBB349_24:
                                        ; implicit-def: $sgpr44_sgpr45
.LBB349_25:
	s_mul_hi_i32 s0, s52, s14
	s_mul_i32 s52, s52, s14
	s_ashr_i32 s1, s57, 31
	s_add_u32 s14, s52, s57
	s_addc_u32 s0, s0, s1
	s_mul_i32 s1, s14, s51
	s_mul_hi_u32 s24, s14, s12
	s_add_i32 s1, s24, s1
	s_mul_i32 s0, s0, s12
	s_add_i32 s1, s1, s0
	s_mul_i32 s14, s14, s12
	s_add_u32 s44, s14, s46
	s_addc_u32 s45, s1, s3
.LBB349_26:
	s_add_i32 s24, s55, s53
	s_ashr_i32 s14, s33, 31
	s_add_u32 s28, s50, s33
	s_addc_u32 s29, s56, s14
	s_mul_i32 s0, s28, s51
	s_mul_hi_u32 s1, s28, s12
	s_add_i32 s0, s1, s0
	s_mul_i32 s1, s29, s12
	s_add_i32 s1, s0, s1
	s_mul_i32 s0, s28, s12
	s_add_u32 s0, s0, s46
	v_lshlrev_b32_e32 v22, 5, v1
	v_lshlrev_b32_e32 v40, 2, v65
	s_addc_u32 s1, s1, s3
	s_mov_b32 s3, 0x7060302
	v_or_b32_e32 v25, v22, v40
	v_xor_b32_e32 v23, v1, v40
	v_perm_b32 v19, v5, v4, s3
	v_perm_b32 v18, v3, v2, s3
	;; [unrolled: 1-line block ×4, first 2 shown]
	v_lshlrev_b32_e32 v25, 1, v25
	v_xor_b32_e32 v24, v68, v40
	ds_write2st64_b64 v25, v[18:19], v[20:21] offset0:80 offset1:88
	v_lshlrev_b32_e32 v23, 1, v23
	v_lshlrev_b32_e32 v25, 8, v65
	s_lshl_b64 s[30:31], s[0:1], 8
	v_or_b32_e32 v26, v23, v25
	v_lshlrev_b32_e32 v24, 1, v24
	s_add_u32 s0, s6, s30
	ds_write_b64 v26, v[18:19]
	v_or_b32_e32 v18, v24, v25
	s_addc_u32 s1, s7, s31
	ds_write_b64 v18, v[20:21]
	v_perm_b32 v19, v13, v12, s3
	v_perm_b32 v18, v11, v10, s3
	;; [unrolled: 1-line block ×4, first 2 shown]
	v_or_b32_e32 v25, 16, v65
	s_mul_hi_i32 s3, s24, s13
	s_mul_i32 s24, s24, s13
	v_lshlrev_b32_e32 v37, 2, v25
	s_add_u32 s6, s24, s33
	v_or_b32_e32 v22, v22, v37
	s_addc_u32 s7, s3, s14
	v_lshlrev_b32_e32 v22, 1, v22
	s_ashr_i32 s3, s2, 31
	s_lshl_b64 s[6:7], s[6:7], 15
	ds_write2st64_b64 v22, v[18:19], v[20:21] offset0:80 offset1:88
	v_lshlrev_b32_e32 v22, 8, v25
	s_add_u32 s6, s16, s6
	v_or_b32_e32 v23, v23, v22
	s_addc_u32 s7, s17, s7
	s_lshl_b64 s[2:3], s[2:3], 8
	ds_write_b64 v23, v[18:19]
	v_or_b32_e32 v18, v24, v22
	s_add_u32 s2, s6, s2
	ds_write_b64 v18, v[20:21]
	v_lshrrev_b32_e32 v18, 4, v0
	s_addc_u32 s3, s7, s3
	v_lshlrev_b32_e32 v19, 1, v65
	v_lshlrev_b32_e32 v26, 4, v65
	v_mov_b32_e32 v27, 0
	v_or_b32_e32 v20, 1, v19
	v_xor_b32_e32 v19, v18, v19
	v_lshl_add_u64 v[28:29], s[2:3], 0, v[26:27]
	v_lshlrev_b32_e32 v26, 8, v18
	v_xor_b32_e32 v22, v20, v18
	v_lshl_or_b32 v18, v19, 3, v26
	s_waitcnt lgkmcnt(0)
	s_barrier
	ds_read2st64_b64 v[18:21], v18 offset1:8
	v_lshl_or_b32 v22, v22, 3, v26
	ds_read2st64_b64 v[22:25], v22 offset1:8
	v_lshl_add_u64 v[30:31], v[28:29], 0, v[26:27]
	s_movk_i32 s2, 0x1000
	s_waitcnt lgkmcnt(1)
	v_mov_b32_e32 v26, v18
	v_add_co_u32_e32 v18, vcc, s2, v30
	s_cmp_lg_u32 s47, 64
	v_mov_b32_e32 v27, v19
	v_addc_co_u32_e32 v19, vcc, 0, v31, vcc
	s_cselect_b64 s[6:7], -1, 0
	v_lshl_or_b32 v35, v53, 3, v67
	s_waitcnt lgkmcnt(0)
	v_mov_b32_e32 v28, v22
	v_mov_b32_e32 v29, v23
	;; [unrolled: 1-line block ×4, first 2 shown]
	s_mov_b32 s24, 0
	v_or_b32_e32 v38, 32, v35
	v_and_b32_e32 v36, 56, v66
	s_and_b64 vcc, exec, s[6:7]
	global_store_dwordx4 v[30:31], v[26:29], off
	global_store_dwordx4 v[18:19], v[22:25], off
	s_cbranch_vccz .LBB349_32
; %bb.27:
	s_mov_b32 s25, s24
	s_mov_b32 s26, s24
	s_mov_b32 s27, s24
	v_mov_b64_e32 v[22:23], s[24:25]
	v_mov_b64_e32 v[24:25], s[26:27]
	;; [unrolled: 1-line block ×3, first 2 shown]
	v_cmp_gt_i32_e32 vcc, s47, v35
	v_mov_b64_e32 v[20:21], v[24:25]
	s_and_saveexec_b64 s[2:3], vcc
	s_cbranch_execz .LBB349_29
; %bb.28:
	v_lshlrev_b32_e32 v18, 8, v35
	v_mov_b32_e32 v19, 0
	v_lshl_add_u64 v[20:21], s[0:1], 0, v[18:19]
	v_lshlrev_b32_e32 v18, 1, v36
	v_lshl_add_u64 v[26:27], v[20:21], 0, v[18:19]
	global_load_dwordx4 v[22:25], v[26:27], off
	global_load_dwordx4 v[18:21], v[26:27], off offset:128
.LBB349_29:
	s_or_b64 exec, exec, s[2:3]
	s_mov_b32 s26, s24
	s_mov_b32 s27, s24
	;; [unrolled: 1-line block ×3, first 2 shown]
	v_mov_b64_e32 v[32:33], s[26:27]
	v_mov_b64_e32 v[30:31], s[24:25]
	;; [unrolled: 1-line block ×3, first 2 shown]
	v_cmp_gt_i32_e32 vcc, s47, v38
	v_lshlrev_b32_e32 v39, 7, v38
	v_mov_b64_e32 v[28:29], v[32:33]
	s_and_saveexec_b64 s[2:3], vcc
	s_cbranch_execz .LBB349_31
; %bb.30:
	v_lshlrev_b32_e32 v26, 1, v39
	v_mov_b32_e32 v27, 0
	v_lshl_add_u64 v[28:29], s[0:1], 0, v[26:27]
	v_lshlrev_b32_e32 v26, 1, v36
	v_lshl_add_u64 v[42:43], v[28:29], 0, v[26:27]
	global_load_dwordx4 v[30:33], v[42:43], off
	global_load_dwordx4 v[26:29], v[42:43], off offset:128
.LBB349_31:
	s_or_b64 exec, exec, s[2:3]
	v_lshrrev_b32_e32 v41, 3, v36
	v_lshlrev_b32_e32 v42, 3, v35
	v_or_b32_e32 v41, v42, v41
	v_lshlrev_b32_e32 v41, 4, v41
	v_and_b32_e32 v42, 0x78, v42
	v_xor_b32_e32 v41, v41, v42
	s_branch .LBB349_34
.LBB349_32:
                                        ; implicit-def: $vgpr41
                                        ; implicit-def: $vgpr39
                                        ; implicit-def: $vgpr22_vgpr23_vgpr24_vgpr25
                                        ; implicit-def: $vgpr18_vgpr19_vgpr20_vgpr21
                                        ; implicit-def: $vgpr30_vgpr31_vgpr32_vgpr33
                                        ; implicit-def: $vgpr26_vgpr27_vgpr28_vgpr29
	s_cbranch_execz .LBB349_34
; %bb.33:
	s_waitcnt vmcnt(0)
	v_lshlrev_b32_e32 v18, 1, v36
	v_lshl_or_b32 v39, v35, 8, v18
	s_and_b32 s1, s1, 0xffff
	s_mov_b32 s3, 0x20000
	s_movk_i32 s2, 0x4000
	v_lshl_or_b32 v41, v38, 8, v18
	s_movk_i32 s16, 0x80
	buffer_load_dwordx4 v[22:25], v39, s[0:3], 0 offen
	buffer_load_dwordx4 v[18:21], v39, s[0:3], s16 offen
	;; [unrolled: 1-line block ×4, first 2 shown]
	v_lshrrev_b32_e32 v39, 3, v36
	v_lshlrev_b32_e32 v41, 3, v35
	v_or_b32_e32 v39, v41, v39
	v_lshlrev_b32_e32 v39, 4, v39
	v_and_b32_e32 v41, 0x78, v41
	v_xor_b32_e32 v41, v39, v41
	v_lshlrev_b32_e32 v39, 7, v38
.LBB349_34:
	s_lshl_b64 s[0:1], s[44:45], 8
	s_add_u32 s4, s4, s0
	s_movk_i32 s0, 0x1000
	v_and_or_b32 v38, v39, s0, v41
	s_waitcnt vmcnt(1)
	ds_write_b64 v41, v[22:23] offset:24576
	v_xor_b32_e32 v22, 8, v41
	ds_write_b64 v22, v[24:25] offset:24576
	s_waitcnt vmcnt(0)
	ds_write_b64 v41, v[18:19] offset:32768
	ds_write_b64 v22, v[20:21] offset:32768
	;; [unrolled: 1-line block ×3, first 2 shown]
	v_xor_b32_e32 v18, 8, v38
	ds_write_b64 v18, v[32:33] offset:24576
	ds_write_b64 v38, v[26:27] offset:32768
	;; [unrolled: 1-line block ×3, first 2 shown]
	v_or_b32_e32 v18, v62, v65
	s_addc_u32 s5, s5, s1
	s_add_i32 s16, s12, -1
	v_lshlrev_b32_e32 v18, 3, v18
	v_lshrrev_b32_e32 v19, 5, v63
	s_movk_i32 s12, 0xf8
	v_and_or_b32 v19, v18, s12, v19
	v_lshlrev_b32_e32 v23, 4, v19
	v_lshlrev_b32_e32 v41, 11, v53
	v_and_b32_e32 v24, 0x78, v18
	v_or_b32_e32 v26, 32, v23
	v_and_b32_e32 v22, 0x1000, v41
	v_lshrrev_b32_e32 v19, 1, v63
	v_xor_b32_e32 v26, v26, v24
	v_xor_b32_e32 v18, v23, v24
	v_and_b32_e32 v25, 8, v19
	v_or_b32_e32 v26, v26, v22
	v_or_b32_e32 v18, v18, v22
	v_xor_b32_e32 v45, v26, v25
	v_or_b32_e32 v26, 64, v23
	v_xor_b32_e32 v44, v18, v25
	v_xor_b32_e32 v26, v26, v24
	s_waitcnt lgkmcnt(0)
	s_barrier
	v_or_b32_e32 v28, v26, v22
	ds_read_b64 v[26:27], v44 offset:24576
	v_lshl_or_b32 v38, v64, 7, v40
	v_lshlrev_b32_e32 v42, 1, v38
	v_add_u32_e32 v18, 0xa000, v42
	ds_read2_b64 v[18:21], v18 offset1:16
	v_or_b32_e32 v23, 0x60, v23
	v_xor_b32_e32 v23, v23, v24
	s_waitcnt lgkmcnt(0)
	v_mfma_f32_16x16x16_bf16 a[0:3], v[26:27], v[18:19], 0
	v_or_b32_e32 v18, 64, v38
	v_or_b32_e32 v22, v23, v22
	v_lshlrev_b32_e32 v43, 1, v18
	v_xor_b32_e32 v46, v28, v25
	v_xor_b32_e32 v47, v22, v25
	ds_read_b64 v[28:29], v45 offset:24576
	ds_read_b64 v[30:31], v46 offset:24576
	;; [unrolled: 1-line block ×3, first 2 shown]
	v_mfma_f32_16x16x16_bf16 a[4:7], v[26:27], v[20:21], 0
	ds_read2st64_b64 v[18:21], v43 offset0:82 offset1:84
	ds_read2st64_b64 v[22:25], v42 offset0:82 offset1:84
	s_add_i32 s0, s49, s21
	s_mul_i32 s41, s41, s20
	s_add_i32 s41, s0, s41
	s_mul_i32 s0, s33, s23
	s_mul_hi_u32 s1, s33, s22
	s_ashr_i32 s2, s16, 31
	s_mul_i32 s3, s16, s39
	s_mul_hi_u32 s12, s16, s38
	s_add_i32 s0, s1, s0
	s_mul_i32 s1, s14, s22
	s_add_i32 s3, s12, s3
	s_mul_i32 s2, s2, s38
	s_waitcnt lgkmcnt(1)
	v_mfma_f32_16x16x16_bf16 a[4:7], v[28:29], v[18:19], a[4:7]
	s_add_i32 s1, s0, s1
	s_add_i32 s3, s3, s2
	s_lshl_b64 s[20:21], s[40:41], 2
	s_waitcnt lgkmcnt(0)
	v_mfma_f32_16x16x16_bf16 a[0:3], v[28:29], v[22:23], a[0:3]
	s_mul_i32 s0, s33, s22
	s_add_u32 s10, s10, s20
	s_addc_u32 s11, s11, s21
	s_lshl_b64 s[0:1], s[0:1], 2
	s_mul_i32 s2, s16, s38
	s_add_u32 s10, s10, s0
	ds_read_b64 v[18:19], v42 offset:44032
	v_mfma_f32_16x16x16_bf16 a[4:7], v[30:31], v[20:21], a[4:7]
	ds_read_b64 v[20:21], v43 offset:44032
	s_addc_u32 s11, s11, s1
	s_lshl_b64 s[0:1], s[2:3], 2
	v_mfma_f32_16x16x16_bf16 a[0:3], v[30:31], v[24:25], a[0:3]
	s_add_u32 s0, s10, s0
	s_addc_u32 s1, s11, s1
	s_load_dword s12, s[0:1], 0x0
	s_waitcnt lgkmcnt(0)
	v_mfma_f32_16x16x16_bf16 a[0:3], v[32:33], v[18:19], a[0:3]
	s_and_b64 vcc, exec, s[42:43]
	v_mfma_f32_16x16x16_bf16 a[4:7], v[32:33], v[20:21], a[4:7]
	s_cbranch_vccz .LBB349_45
; %bb.35:
	v_lshlrev_b32_e32 v38, 1, v35
	s_and_b64 vcc, exec, s[6:7]
	s_cbranch_vccz .LBB349_46
; %bb.36:
	v_cmp_gt_i32_e32 vcc, s47, v38
	v_mov_b32_e32 v22, 0
	v_mov_b32_e32 v18, 0
	;; [unrolled: 1-line block ×5, first 2 shown]
	s_and_saveexec_b64 s[0:1], vcc
	s_cbranch_execz .LBB349_38
; %bb.37:
	v_mad_i64_i32 v[18:19], s[2:3], s15, v38, 0
	v_lshl_add_u64 v[18:19], v[18:19], 1, s[4:5]
	v_lshlrev_b32_e32 v20, 1, v36
	v_mov_b32_e32 v21, 0
	v_lshl_add_u64 v[18:19], v[18:19], 0, v[20:21]
	global_load_dwordx4 v[18:21], v[18:19], off
.LBB349_38:
	s_or_b64 exec, exec, s[0:1]
	v_or_b32_e32 v39, 1, v38
	v_cmp_gt_i32_e64 s[0:1], s47, v39
	v_mov_b32_e32 v23, 0
	v_mov_b32_e32 v24, 0
	;; [unrolled: 1-line block ×3, first 2 shown]
	s_and_saveexec_b64 s[2:3], s[0:1]
	s_cbranch_execz .LBB349_40
; %bb.39:
	v_mad_i64_i32 v[22:23], s[20:21], s15, v39, 0
	v_lshl_add_u64 v[22:23], v[22:23], 1, s[4:5]
	v_lshlrev_b32_e32 v24, 1, v36
	v_mov_b32_e32 v25, 0
	v_lshl_add_u64 v[22:23], v[22:23], 0, v[24:25]
	global_load_dwordx4 v[22:25], v[22:23], off
.LBB349_40:
	s_or_b64 exec, exec, s[2:3]
	v_mov_b32_e32 v33, 0
	v_mov_b32_e32 v26, 0
	;; [unrolled: 1-line block ×5, first 2 shown]
	s_and_saveexec_b64 s[2:3], vcc
	s_cbranch_execz .LBB349_42
; %bb.41:
	v_mad_i64_i32 v[26:27], s[20:21], s15, v38, 0
	v_lshl_add_u64 v[26:27], v[26:27], 1, s[4:5]
	v_lshlrev_b32_e32 v28, 1, v36
	v_mov_b32_e32 v29, 0
	v_lshl_add_u64 v[26:27], v[26:27], 0, v[28:29]
	global_load_dwordx4 v[26:29], v[26:27], off offset:128
.LBB349_42:
	s_or_b64 exec, exec, s[2:3]
	v_mov_b32_e32 v32, 0
	v_mov_b32_e32 v31, 0
	;; [unrolled: 1-line block ×3, first 2 shown]
	s_and_saveexec_b64 s[2:3], s[0:1]
	s_cbranch_execz .LBB349_44
; %bb.43:
	v_mad_i64_i32 v[30:31], s[0:1], s15, v39, 0
	v_lshl_add_u64 v[30:31], v[30:31], 1, s[4:5]
	v_lshlrev_b32_e32 v32, 1, v36
	v_mov_b32_e32 v33, 0
	v_lshl_add_u64 v[30:31], v[30:31], 0, v[32:33]
	global_load_dwordx4 v[30:33], v[30:31], off offset:128
.LBB349_44:
	s_or_b64 exec, exec, s[2:3]
	s_branch .LBB349_48
.LBB349_45:
                                        ; implicit-def: $vgpr21
                                        ; implicit-def: $vgpr25
                                        ; implicit-def: $vgpr29
                                        ; implicit-def: $vgpr33
	v_lshrrev_b32_e32 v48, 2, v63
	s_branch .LBB349_49
.LBB349_46:
                                        ; implicit-def: $vgpr21
                                        ; implicit-def: $vgpr25
                                        ; implicit-def: $vgpr29
                                        ; implicit-def: $vgpr33
	s_cbranch_execz .LBB349_48
; %bb.47:
	s_waitcnt vmcnt(0)
	v_mad_u64_u32 v[18:19], s[0:1], v38, s15, v[36:37]
	v_lshlrev_b32_e32 v38, 1, v18
	s_lshl_b32 s2, s15, 7
	s_and_b32 s1, s5, 0xffff
	s_mov_b32 s3, 0x20000
	s_mov_b32 s0, s4
	v_add_lshl_u32 v39, v18, s15, 1
	s_movk_i32 s15, 0x80
	buffer_load_dwordx4 v[18:21], v38, s[0:3], 0 offen
	buffer_load_dwordx4 v[26:29], v38, s[0:3], s15 offen
	;; [unrolled: 1-line block ×4, first 2 shown]
.LBB349_48:
	v_lshrrev_b32_e32 v48, 2, v63
	s_cbranch_execnz .LBB349_61
.LBB349_49:
	s_and_b64 vcc, exec, s[6:7]
	s_cbranch_vccz .LBB349_59
; %bb.50:
	s_waitcnt vmcnt(0)
	v_lshlrev_b32_e32 v23, 1, v35
	v_cmp_gt_i32_e32 vcc, s47, v23
	v_mov_b32_e32 v22, 0
	v_lshlrev_b32_e32 v30, 9, v35
	v_mov_b32_e32 v18, 0
	v_mov_b32_e32 v19, 0
	;; [unrolled: 1-line block ×4, first 2 shown]
	s_and_saveexec_b64 s[0:1], vcc
	s_cbranch_execz .LBB349_52
; %bb.51:
	v_mov_b32_e32 v31, 0
	v_lshl_add_u64 v[18:19], s[4:5], 0, v[30:31]
	v_lshlrev_b32_e32 v20, 1, v36
	v_mov_b32_e32 v21, v31
	v_lshl_add_u64 v[18:19], v[18:19], 0, v[20:21]
	global_load_dwordx4 v[18:21], v[18:19], off
.LBB349_52:
	s_or_b64 exec, exec, s[0:1]
	v_or_b32_e32 v23, 1, v23
	v_cmp_gt_i32_e64 s[0:1], s47, v23
	v_lshlrev_b32_e32 v38, 8, v23
	v_mov_b32_e32 v23, 0
	v_mov_b32_e32 v24, 0
	;; [unrolled: 1-line block ×3, first 2 shown]
	s_and_saveexec_b64 s[2:3], s[0:1]
	s_cbranch_execz .LBB349_54
; %bb.53:
	v_mov_b32_e32 v39, 0
	v_lshl_add_u64 v[22:23], s[4:5], 0, v[38:39]
	v_lshlrev_b32_e32 v24, 1, v36
	v_mov_b32_e32 v25, v39
	v_lshl_add_u64 v[22:23], v[22:23], 0, v[24:25]
	global_load_dwordx4 v[22:25], v[22:23], off
.LBB349_54:
	s_or_b64 exec, exec, s[2:3]
	v_mov_b32_e32 v33, 0
	v_mov_b32_e32 v26, 0
	;; [unrolled: 1-line block ×5, first 2 shown]
	s_and_saveexec_b64 s[2:3], vcc
	s_cbranch_execz .LBB349_56
; %bb.55:
	v_mov_b32_e32 v31, 0
	v_lshl_add_u64 v[26:27], s[4:5], 0, v[30:31]
	v_lshlrev_b32_e32 v30, 1, v36
	v_lshl_add_u64 v[26:27], v[26:27], 0, v[30:31]
	global_load_dwordx4 v[26:29], v[26:27], off offset:128
.LBB349_56:
	s_or_b64 exec, exec, s[2:3]
	v_mov_b32_e32 v32, 0
	v_mov_b32_e32 v31, 0
	;; [unrolled: 1-line block ×3, first 2 shown]
	s_and_saveexec_b64 s[2:3], s[0:1]
	s_cbranch_execz .LBB349_58
; %bb.57:
	v_mov_b32_e32 v39, 0
	v_lshl_add_u64 v[30:31], s[4:5], 0, v[38:39]
	v_lshlrev_b32_e32 v38, 1, v36
	v_lshl_add_u64 v[30:31], v[30:31], 0, v[38:39]
	global_load_dwordx4 v[30:33], v[30:31], off offset:128
.LBB349_58:
	s_or_b64 exec, exec, s[2:3]
	s_branch .LBB349_61
.LBB349_59:
                                        ; implicit-def: $vgpr21
                                        ; implicit-def: $vgpr25
                                        ; implicit-def: $vgpr29
                                        ; implicit-def: $vgpr33
	s_cbranch_execz .LBB349_61
; %bb.60:
	s_waitcnt vmcnt(0)
	v_lshlrev_b32_e32 v18, 1, v36
	v_lshl_or_b32 v36, v35, 9, v18
	s_and_b32 s5, s5, 0xffff
	s_mov_b32 s7, 0x20000
	s_movk_i32 s6, 0x4000
	s_movk_i32 s0, 0x80
	buffer_load_dwordx4 v[18:21], v36, s[4:7], 0 offen
	buffer_load_dwordx4 v[22:25], v36, s[4:7], 0 offen offset:256
	buffer_load_dwordx4 v[26:29], v36, s[4:7], s0 offen
	buffer_load_dwordx4 v[30:33], v36, s[4:7], s0 offen offset:256
.LBB349_61:
	ds_read_b64 v[38:39], v44 offset:32768
	v_add_u32_e32 v36, 0xb000, v42
	ds_read2_b64 v[54:57], v36 offset1:16
	ds_read_b64 v[50:51], v45 offset:32768
	ds_read_b64 v[58:59], v46 offset:32768
	ds_read_b64 v[60:61], v47 offset:32768
	ds_read2st64_b64 v[44:47], v42 offset0:90 offset1:92
	v_and_b32_e32 v36, 12, v48
	v_and_b32_e32 v48, 6, v0
	v_xor_b32_e32 v35, v35, v48
	v_lshlrev_b32_e32 v35, 2, v35
	s_mov_b32 s0, 0x1000504
	s_waitcnt lgkmcnt(4)
	v_mfma_f32_16x16x16_bf16 a[0:3], v[38:39], v[54:55], a[0:3]
	s_mov_b32 s1, 0x3020706
	v_mfma_f32_16x16x16_bf16 a[4:7], v[38:39], v[56:57], a[4:7]
	ds_read2st64_b64 v[54:57], v43 offset0:90 offset1:92
	s_waitcnt lgkmcnt(1)
	v_mfma_f32_16x16x16_bf16 a[0:3], v[50:51], v[44:45], a[0:3]
	ds_read_b64 v[38:39], v42 offset:48128
	ds_read_b64 v[44:45], v43 offset:48128
	s_waitcnt lgkmcnt(2)
	v_mfma_f32_16x16x16_bf16 a[4:7], v[50:51], v[54:55], a[4:7]
	v_mfma_f32_16x16x16_bf16 a[0:3], v[58:59], v[46:47], a[0:3]
	v_and_b32_e32 v46, 1, v0
	v_xor_b32_e32 v47, 0x440, v35
	v_cmp_eq_u32_e32 vcc, 0, v46
	v_mfma_f32_16x16x16_bf16 a[8:11], v[58:59], v[56:57], a[4:7]
	s_nop 0
	v_cndmask_b32_e32 v35, v47, v35, vcc
	v_lshl_or_b32 v35, v48, 10, v35
	s_waitcnt lgkmcnt(1)
	v_mfma_f32_16x16x16_bf16 a[4:7], v[60:61], v[38:39], a[0:3]
	s_waitcnt vmcnt(0)
	v_perm_b32 v38, v18, v22, s0
	v_perm_b32 v39, v26, v30, s0
	ds_write2st64_b32 v35, v38, v39 offset0:32 offset1:64
	v_xor_b32_e32 v38, 8, v35
	v_perm_b32 v18, v18, v22, s1
	v_perm_b32 v22, v26, v30, s1
	v_add_u32_e32 v26, 0x80, v38
	ds_write2st64_b32 v26, v18, v22 offset0:32 offset1:64
	v_xor_b32_e32 v18, 16, v35
	v_perm_b32 v22, v19, v23, s0
	v_perm_b32 v26, v27, v31, s0
	ds_write2st64_b32 v18, v22, v26 offset0:33 offset1:65
	v_xor_b32_e32 v18, 24, v35
	v_perm_b32 v19, v19, v23, s1
	v_perm_b32 v22, v27, v31, s1
	v_add_u32_e32 v18, 0x80, v18
	ds_write2st64_b32 v18, v19, v22 offset0:33 offset1:65
	v_xor_b32_e32 v18, 32, v35
	v_perm_b32 v19, v20, v24, s0
	v_perm_b32 v22, v28, v32, s0
	ds_write2st64_b32 v18, v19, v22 offset0:34 offset1:66
	v_xor_b32_e32 v18, 40, v35
	s_waitcnt lgkmcnt(5)
	v_mfma_f32_16x16x16_bf16 a[0:3], v[60:61], v[44:45], a[8:11]
	v_perm_b32 v19, v20, v24, s1
	v_perm_b32 v20, v28, v32, s1
	v_add_u32_e32 v18, 0x80, v18
	ds_write2st64_b32 v18, v19, v20 offset0:34 offset1:66
	v_xor_b32_e32 v18, 48, v35
	v_perm_b32 v19, v21, v25, s0
	v_perm_b32 v20, v29, v33, s0
	ds_write2st64_b32 v18, v19, v20 offset0:35 offset1:67
	v_xor_b32_e32 v18, 56, v35
	v_or_b32_e32 v38, v36, v62
	v_perm_b32 v19, v21, v25, s1
	v_perm_b32 v20, v29, v33, s1
	v_add_u32_e32 v18, 0x80, v18
	v_cmp_gt_i32_e32 vcc, s47, v38
	v_mov_b32_e32 v39, 0
	v_mov_b32_e32 v45, 0
	ds_write2st64_b32 v18, v19, v20 offset0:35 offset1:67
	s_and_saveexec_b64 s[0:1], vcc
	s_cbranch_execz .LBB349_63
; %bb.62:
	v_add_u32_e32 v18, s46, v38
	v_ashrrev_i32_e32 v19, 31, v18
	v_mul_lo_u32 v20, v19, s38
	v_mul_lo_u32 v21, v18, s39
	v_mad_u64_u32 v[18:19], s[2:3], v18, s38, 0
	v_add3_u32 v19, v19, v21, v20
	v_lshl_add_u64 v[18:19], v[18:19], 2, s[10:11]
	global_load_dword v18, v[18:19], off
	s_waitcnt vmcnt(0)
	v_sub_f32_e32 v18, s12, v18
	v_mul_f32_e32 v18, 0x3fb8aa3b, v18
	v_exp_f32_e32 v45, v18
.LBB349_63:
	s_or_b64 exec, exec, s[0:1]
	v_or_b32_e32 v29, 1, v38
	v_cmp_gt_i32_e64 s[0:1], s47, v29
	s_and_saveexec_b64 s[2:3], s[0:1]
	s_cbranch_execz .LBB349_65
; %bb.64:
	v_add_u32_e32 v18, s46, v29
	v_ashrrev_i32_e32 v19, 31, v18
	v_mul_lo_u32 v20, v19, s38
	v_mul_lo_u32 v21, v18, s39
	v_mad_u64_u32 v[18:19], s[4:5], v18, s38, 0
	v_add3_u32 v19, v19, v21, v20
	v_lshl_add_u64 v[18:19], v[18:19], 2, s[10:11]
	global_load_dword v18, v[18:19], off
	s_waitcnt vmcnt(0)
	v_sub_f32_e32 v18, s12, v18
	v_mul_f32_e32 v18, 0x3fb8aa3b, v18
	v_exp_f32_e32 v39, v18
.LBB349_65:
	s_or_b64 exec, exec, s[2:3]
	v_or_b32_e32 v28, 2, v38
	v_cmp_gt_i32_e64 s[2:3], s47, v28
	v_mov_b32_e32 v44, 0
	v_mov_b32_e32 v46, 0
	s_and_saveexec_b64 s[4:5], s[2:3]
	s_cbranch_execz .LBB349_67
; %bb.66:
	v_add_u32_e32 v18, s46, v28
	v_ashrrev_i32_e32 v19, 31, v18
	v_mul_lo_u32 v20, v19, s38
	v_mul_lo_u32 v21, v18, s39
	v_mad_u64_u32 v[18:19], s[6:7], v18, s38, 0
	v_add3_u32 v19, v19, v21, v20
	v_lshl_add_u64 v[18:19], v[18:19], 2, s[10:11]
	global_load_dword v18, v[18:19], off
	s_waitcnt vmcnt(0)
	v_sub_f32_e32 v18, s12, v18
	v_mul_f32_e32 v18, 0x3fb8aa3b, v18
	v_exp_f32_e32 v46, v18
.LBB349_67:
	s_or_b64 exec, exec, s[4:5]
	v_or_b32_e32 v47, 3, v38
	v_cmp_gt_i32_e64 s[4:5], s47, v47
	s_and_saveexec_b64 s[6:7], s[4:5]
	s_cbranch_execz .LBB349_69
; %bb.68:
	v_add_u32_e32 v18, s46, v47
	v_ashrrev_i32_e32 v19, 31, v18
	v_mul_lo_u32 v20, v19, s38
	v_mul_lo_u32 v21, v18, s39
	v_mad_u64_u32 v[18:19], s[20:21], v18, s38, 0
	v_add3_u32 v19, v19, v21, v20
	v_lshl_add_u64 v[18:19], v[18:19], 2, s[10:11]
	global_load_dword v18, v[18:19], off
	s_waitcnt vmcnt(0)
	v_sub_f32_e32 v18, s12, v18
	v_mul_f32_e32 v18, 0x3fb8aa3b, v18
	v_exp_f32_e32 v44, v18
.LBB349_69:
	s_or_b64 exec, exec, s[6:7]
	s_add_u32 s6, s8, s30
	s_addc_u32 s7, s9, s31
	s_add_u32 s8, s18, s30
	v_ashrrev_i32_e32 v35, 31, v34
	v_accvgpr_read_b32 v21, a7
	s_addc_u32 s9, s19, s31
	v_lshlrev_b64 v[22:23], 1, v[34:35]
	v_accvgpr_read_b32 v20, a6
	v_accvgpr_read_b32 v19, a5
	;; [unrolled: 1-line block ×3, first 2 shown]
	v_lshl_add_u64 v[24:25], s[6:7], 0, v[22:23]
	v_lshl_add_u64 v[22:23], s[8:9], 0, v[22:23]
	v_mov_b32_e32 v31, 0
	v_lshlrev_b32_e32 v26, 8, v38
	v_mov_b32_e32 v27, 0
	s_and_saveexec_b64 s[6:7], vcc
	s_cbranch_execz .LBB349_71
; %bb.70:
	v_mov_b32_e32 v27, 0
	v_lshl_add_u64 v[32:33], v[24:25], 0, v[26:27]
	global_load_ushort v30, v[32:33], off
	v_lshl_add_u64 v[32:33], v[22:23], 0, v[26:27]
	s_waitcnt vmcnt(0)
	v_lshlrev_b32_e32 v27, 16, v30
	v_sub_f32_e32 v18, v27, v18
	global_store_short_d16_hi v[32:33], v18, off
	v_mul_f32_e32 v18, v45, v18
	v_lshrrev_b32_e32 v27, 16, v18
.LBB349_71:
	s_or_b64 exec, exec, s[6:7]
	v_lshlrev_b32_e32 v30, 8, v29
	s_and_saveexec_b64 s[6:7], s[0:1]
	s_cbranch_execz .LBB349_73
; %bb.72:
	v_mov_b32_e32 v31, 0
	v_lshl_add_u64 v[32:33], v[24:25], 0, v[30:31]
	global_load_ushort v18, v[32:33], off
	v_lshl_add_u64 v[32:33], v[22:23], 0, v[30:31]
	s_waitcnt vmcnt(0)
	v_lshlrev_b32_e32 v18, 16, v18
	v_sub_f32_e32 v18, v18, v19
	global_store_short_d16_hi v[32:33], v18, off
	v_mul_f32_e32 v18, v39, v18
	v_lshrrev_b32_e32 v31, 16, v18
.LBB349_73:
	s_or_b64 exec, exec, s[6:7]
	v_mov_b32_e32 v29, 0
	v_lshlrev_b32_e32 v32, 8, v28
	v_mov_b32_e32 v33, 0
	s_and_saveexec_b64 s[6:7], s[2:3]
	s_cbranch_execz .LBB349_75
; %bb.74:
	v_mov_b32_e32 v33, 0
	v_lshl_add_u64 v[18:19], v[24:25], 0, v[32:33]
	global_load_ushort v28, v[18:19], off
	v_lshl_add_u64 v[18:19], v[22:23], 0, v[32:33]
	s_waitcnt vmcnt(0)
	v_lshlrev_b32_e32 v28, 16, v28
	v_sub_f32_e32 v20, v28, v20
	global_store_short_d16_hi v[18:19], v20, off
	v_mul_f32_e32 v18, v46, v20
	v_lshrrev_b32_e32 v33, 16, v18
.LBB349_75:
	s_or_b64 exec, exec, s[6:7]
	v_lshlrev_b32_e32 v28, 8, v47
	s_and_saveexec_b64 s[6:7], s[4:5]
	s_cbranch_execz .LBB349_77
; %bb.76:
	v_mov_b32_e32 v29, 0
	v_lshl_add_u64 v[18:19], v[24:25], 0, v[28:29]
	global_load_ushort v20, v[18:19], off
	v_lshl_add_u64 v[18:19], v[22:23], 0, v[28:29]
	s_waitcnt vmcnt(0)
	v_lshlrev_b32_e32 v20, 16, v20
	v_sub_f32_e32 v20, v20, v21
	global_store_short_d16_hi v[18:19], v20, off
	v_mul_f32_e32 v18, v44, v20
	v_lshrrev_b32_e32 v29, 16, v18
.LBB349_77:
	s_or_b64 exec, exec, s[6:7]
	v_lshlrev_b32_e32 v35, 5, v38
	s_mov_b32 s6, 0x5040100
	v_perm_b32 v48, v31, v27, s6
	v_or_b32_e32 v27, v35, v40
	v_accvgpr_read_b32 v21, a3
	v_perm_b32 v49, v29, v33, s6
	v_lshlrev_b32_e32 v27, 1, v27
	v_accvgpr_read_b32 v20, a2
	v_accvgpr_read_b32 v19, a1
	;; [unrolled: 1-line block ×3, first 2 shown]
	ds_write_b64 v27, v[48:49] offset:45056
	v_mov_b32_e32 v31, 0
	v_mov_b32_e32 v27, 0
	s_and_saveexec_b64 s[6:7], vcc
	s_cbranch_execz .LBB349_79
; %bb.78:
	v_mov_b32_e32 v27, 0
	v_lshl_add_u64 v[48:49], v[24:25], 0, v[26:27]
	global_load_ushort v29, v[48:49], off offset:32
	v_lshl_add_u64 v[26:27], v[22:23], 0, v[26:27]
	s_waitcnt vmcnt(0)
	v_lshlrev_b32_e32 v29, 16, v29
	v_sub_f32_e32 v18, v29, v18
	global_store_short_d16_hi v[26:27], v18, off offset:32
	v_mul_f32_e32 v18, v45, v18
	v_lshrrev_b32_e32 v27, 16, v18
.LBB349_79:
	s_or_b64 exec, exec, s[6:7]
	s_and_saveexec_b64 s[6:7], s[0:1]
	s_cbranch_execz .LBB349_81
; %bb.80:
	v_mov_b32_e32 v31, 0
	v_lshl_add_u64 v[48:49], v[24:25], 0, v[30:31]
	global_load_ushort v18, v[48:49], off offset:32
	v_lshl_add_u64 v[30:31], v[22:23], 0, v[30:31]
	s_waitcnt vmcnt(0)
	v_lshlrev_b32_e32 v18, 16, v18
	v_sub_f32_e32 v18, v18, v19
	global_store_short_d16_hi v[30:31], v18, off offset:32
	v_mul_f32_e32 v18, v39, v18
	v_lshrrev_b32_e32 v31, 16, v18
.LBB349_81:
	s_or_b64 exec, exec, s[6:7]
	v_mov_b32_e32 v26, 0
	v_mov_b32_e32 v30, 0
	s_and_saveexec_b64 s[0:1], s[2:3]
	s_cbranch_execz .LBB349_83
; %bb.82:
	v_mov_b32_e32 v33, 0
	v_lshl_add_u64 v[18:19], v[24:25], 0, v[32:33]
	global_load_ushort v29, v[18:19], off offset:32
	v_lshl_add_u64 v[18:19], v[22:23], 0, v[32:33]
	s_waitcnt vmcnt(0)
	v_lshlrev_b32_e32 v29, 16, v29
	v_sub_f32_e32 v20, v29, v20
	global_store_short_d16_hi v[18:19], v20, off offset:32
	v_mul_f32_e32 v18, v46, v20
	v_lshrrev_b32_e32 v30, 16, v18
.LBB349_83:
	s_or_b64 exec, exec, s[0:1]
	v_or_b32_e32 v19, 0xb000, v42
	v_or_b32_e32 v18, 0xb000, v43
	s_and_saveexec_b64 s[0:1], s[4:5]
	s_cbranch_execz .LBB349_85
; %bb.84:
	v_mov_b32_e32 v29, 0
	v_lshl_add_u64 v[24:25], v[24:25], 0, v[28:29]
	global_load_ushort v20, v[24:25], off offset:32
	v_lshl_add_u64 v[22:23], v[22:23], 0, v[28:29]
	s_waitcnt vmcnt(0)
	v_lshlrev_b32_e32 v20, 16, v20
	v_sub_f32_e32 v20, v20, v21
	global_store_short_d16_hi v[22:23], v20, off offset:32
	v_mul_f32_e32 v20, v44, v20
	v_lshrrev_b32_e32 v26, 16, v20
.LBB349_85:
	s_or_b64 exec, exec, s[0:1]
	s_mov_b32 s0, 0x5040100
	v_or_b32_e32 v22, v35, v37
	v_perm_b32 v21, v26, v30, s0
	v_perm_b32 v20, v31, v27, s0
	v_lshlrev_b32_e32 v22, 1, v22
	s_movk_i32 s2, 0x100
	ds_write_b64 v22, v[20:21] offset:45056
	v_and_b32_e32 v20, 7, v0
	v_and_b32_e32 v21, 8, v0
	v_cmp_gt_u32_e32 vcc, s2, v0
	v_lshrrev_b32_e32 v0, 1, v0
	v_lshlrev_b32_e32 v26, 3, v20
	v_lshlrev_b32_e32 v35, 7, v20
	v_mov_b32_e32 v20, 0x4000
	v_mov_b32_e32 v22, 0x2000
	v_lshlrev_b32_e32 v24, 3, v53
	v_and_b32_e32 v0, 24, v0
	v_cndmask_b32_e32 v27, v20, v22, vcc
	v_xor_b32_e32 v20, v24, v0
	v_or_b32_e32 v22, 0x440, v20
	v_cmp_eq_u32_e32 vcc, 0, v21
	v_or_b32_e32 v28, 32, v0
	v_xor_b32_e32 v28, v24, v28
	v_cndmask_b32_e32 v20, v22, v20, vcc
	v_or_b32_e32 v20, v20, v41
	v_xor_b32_e32 v48, v20, v26
	v_or_b32_e32 v29, 0x440, v28
	v_add3_u32 v25, v27, v48, v35
	v_cndmask_b32_e32 v28, v29, v28, vcc
	v_or_b32_e32 v29, 64, v0
	v_or_b32_e32 v0, 0x60, v0
	s_waitcnt lgkmcnt(0)
	s_barrier
	v_xor_b32_e32 v29, v24, v29
	v_xor_b32_e32 v0, v24, v0
	ds_read_b64 v[24:25], v25
	v_xor_b32_e32 v30, 0x440, v29
	ds_read2_b64 v[20:23], v19 offset1:16
	v_cndmask_b32_e32 v29, v30, v29, vcc
	v_xor_b32_e32 v30, 0x440, v0
	v_or_b32_e32 v28, v28, v41
	v_or_b32_e32 v29, v29, v41
	v_cndmask_b32_e32 v0, v30, v0, vcc
	s_add_i32 s0, s16, s48
	v_xor_b32_e32 v50, v28, v26
	v_xor_b32_e32 v51, v29, v26
	v_or_b32_e32 v0, v0, v41
	s_mul_hi_i32 s1, s0, s13
	v_add3_u32 v28, v27, v50, v35
	v_add3_u32 v29, v27, v51, v35
	v_xor_b32_e32 v52, v0, v26
	s_mul_i32 s0, s0, s13
	v_add3_u32 v0, v27, v52, v35
	ds_read_b64 v[26:27], v28
	ds_read_b64 v[32:33], v29
	ds_read_b64 v[44:45], v0
	s_add_u32 s0, s0, s33
	ds_read2st64_b64 v[28:31], v19 offset0:2 offset1:4
	ds_read2st64_b64 v[40:43], v18 offset0:2 offset1:4
	s_waitcnt lgkmcnt(5)
	v_mfma_f32_16x16x16_bf16 a[0:3], v[24:25], v[20:21], 0
	s_addc_u32 s1, s1, s14
	s_lshl_b64 s[0:1], s[0:1], 9
	s_add_u32 s0, s36, s0
	v_mfma_f32_16x16x16_bf16 a[4:7], v[24:25], v[22:23], 0
	s_addc_u32 s1, s37, s1
	v_lshlrev_b32_e32 v0, 2, v38
	v_lshlrev_b32_e32 v36, 2, v36
	s_waitcnt lgkmcnt(1)
	v_mfma_f32_16x16x16_bf16 a[0:3], v[26:27], v[28:29], a[0:3]
	ds_read_b64 v[46:47], v19 offset:3072
	s_waitcnt lgkmcnt(1)
	v_mfma_f32_16x16x16_bf16 a[4:7], v[26:27], v[40:41], a[4:7]
	global_load_dwordx4 v[24:27], v0, s[0:1]
	v_lshlrev_b32_e32 v0, 6, v53
	v_or3_b32 v0, v0, v36, s2
	global_load_dwordx4 v[36:39], v0, s[0:1]
	v_mfma_f32_16x16x16_bf16 a[0:3], v[32:33], v[30:31], a[0:3]
	v_mov_b32_e32 v0, 0x3fb8aa3b
	v_mul_f32_e32 v0, s12, v0
	v_exp_f32_e32 v0, v0
	v_mfma_f32_16x16x16_bf16 a[4:7], v[32:33], v[42:43], a[4:7]
	ds_read_b64 v[32:33], v18 offset:3072
	s_waitcnt vmcnt(1)
	v_mul_f32_e32 v18, 0x3fb8aa3b, v24
	v_mul_f32_e32 v19, 0x3fb8aa3b, v25
	s_waitcnt lgkmcnt(1)
	v_mfma_f32_16x16x16_bf16 a[0:3], v[44:45], v[46:47], a[0:3]
	v_exp_f32_e32 v18, v18
	v_exp_f32_e32 v19, v19
	v_mul_f32_e32 v24, 0x3fb8aa3b, v26
	v_mul_f32_e32 v25, 0x3fb8aa3b, v27
	v_exp_f32_e32 v24, v24
	v_exp_f32_e32 v25, v25
	s_nop 0
	v_accvgpr_read_b32 v27, a3
	v_accvgpr_read_b32 v26, a2
	s_waitcnt lgkmcnt(0)
	v_mfma_f32_16x16x16_bf16 a[2:5], v[44:45], v[32:33], a[4:7]
	v_pk_mul_f32 v[44:45], v[0:1], v[18:19] op_sel_hi:[0,1]
	v_add_u32_e32 v18, v48, v35
	ds_read_b64 v[48:49], v18 offset:16384
	v_accvgpr_read_b32 v19, a1
	v_accvgpr_read_b32 v18, a0
	v_pk_fma_f32 v[18:19], v[2:3], v[44:45], v[18:19]
	v_add_u32_e32 v2, v50, v35
	v_add_u32_e32 v50, v51, v35
	s_waitcnt lgkmcnt(0)
	v_mfma_f32_16x16x16_bf16 a[6:9], v[48:49], v[20:21], 0
	v_add_u32_e32 v35, v52, v35
	ds_read_b64 v[2:3], v2 offset:16384
	ds_read_b64 v[50:51], v50 offset:16384
	;; [unrolled: 1-line block ×3, first 2 shown]
	v_pk_mul_f32 v[24:25], v[0:1], v[24:25] op_sel_hi:[0,1]
	v_pk_fma_f32 v[20:21], v[4:5], v[24:25], v[26:27]
	v_accvgpr_read_b32 v4, a2
	v_mfma_f32_16x16x16_bf16 a[10:13], v[48:49], v[22:23], 0
	v_fma_f32 v26, v10, v44, v4
	v_accvgpr_read_b32 v4, a3
	v_fma_f32 v27, v11, v45, v4
	s_waitcnt lgkmcnt(2)
	v_mfma_f32_16x16x16_bf16 a[0:3], v[2:3], v[28:29], a[6:9]
	v_accvgpr_read_b32 v4, a4
	v_accvgpr_read_b32 v29, a5
	v_fma_f32 v28, v12, v24, v4
	v_mfma_f32_16x16x16_bf16 a[4:7], v[2:3], v[40:41], a[10:13]
	s_waitcnt vmcnt(0)
	v_mov_b32_e32 v2, v37
	v_mov_b32_e32 v3, v38
	;; [unrolled: 1-line block ×3, first 2 shown]
	s_waitcnt lgkmcnt(1)
	v_mfma_f32_16x16x16_bf16 a[0:3], v[50:51], v[30:31], a[0:3]
	v_mul_f32_e32 v2, 0x3fb8aa3b, v2
	v_mul_f32_e32 v5, 0x3fb8aa3b, v36
	v_exp_f32_e32 v11, v2
	v_mfma_f32_16x16x16_bf16 a[4:7], v[50:51], v[42:43], a[4:7]
	v_mul_f32_e32 v2, 0x3fb8aa3b, v3
	v_mul_f32_e32 v3, 0x3fb8aa3b, v4
	v_exp_f32_e32 v10, v5
	s_waitcnt lgkmcnt(0)
	v_mfma_f32_16x16x16_bf16 a[0:3], v[52:53], v[46:47], a[0:3]
	v_exp_f32_e32 v2, v2
	v_exp_f32_e32 v3, v3
	v_pk_mul_f32 v[10:11], v[0:1], v[10:11] op_sel_hi:[0,1]
	v_fmac_f32_e32 v29, v13, v25
	v_mov_b32_e32 v35, v34
	v_pk_mul_f32 v[2:3], v[0:1], v[2:3] op_sel_hi:[0,1]
	s_nop 0
	v_accvgpr_read_b32 v5, a3
	v_accvgpr_read_b32 v4, a2
	v_mfma_f32_16x16x16_bf16 a[2:5], v[52:53], v[32:33], a[4:7]
	v_accvgpr_read_b32 v13, a1
	v_accvgpr_read_b32 v12, a0
	v_pk_fma_f32 v[22:23], v[6:7], v[10:11], v[12:13]
	v_pk_fma_f32 v[24:25], v[8:9], v[2:3], v[4:5]
	s_nop 2
	v_accvgpr_read_b32 v0, a2
	v_fma_f32 v30, v14, v10, v0
	v_accvgpr_read_b32 v0, a3
	v_fma_f32 v31, v15, v11, v0
	v_accvgpr_read_b32 v0, a4
	v_accvgpr_read_b32 v33, a5
	v_fma_f32 v32, v16, v2, v0
	v_fmac_f32_e32 v33, v17, v3
	v_mov_b64_e32 v[2:3], v[18:19]
	v_mov_b64_e32 v[4:5], v[20:21]
	v_mov_b64_e32 v[6:7], v[22:23]
	v_mov_b64_e32 v[8:9], v[24:25]
	v_mov_b64_e32 v[10:11], v[26:27]
	v_mov_b64_e32 v[12:13], v[28:29]
	v_mov_b64_e32 v[14:15], v[30:31]
	v_mov_b64_e32 v[16:17], v[32:33]
.LBB349_86:
	s_lshl_b64 s[0:1], s[28:29], 15
	s_add_u32 s0, s34, s0
	v_lshlrev_b32_e32 v18, 7, v35
	s_addc_u32 s1, s35, s1
	v_ashrrev_i32_e32 v19, 31, v18
	v_lshl_add_u64 v[20:21], v[18:19], 1, s[0:1]
	v_lshlrev_b32_e32 v0, 1, v1
	v_mov_b32_e32 v1, 0
	s_mov_b32 s2, 0x7060302
	v_lshl_add_u64 v[20:21], v[20:21], 0, v[0:1]
	v_perm_b32 v5, v5, v4, s2
	v_perm_b32 v4, v3, v2, s2
	v_perm_b32 v3, v9, v8, s2
	v_perm_b32 v2, v7, v6, s2
	global_store_dwordx2 v[20:21], v[2:3], off offset:128
	v_or_b32_e32 v2, 0x800, v18
	v_ashrrev_i32_e32 v3, 31, v2
	v_lshl_add_u64 v[2:3], v[2:3], 1, s[0:1]
	v_lshl_add_u64 v[0:1], v[2:3], 0, v[0:1]
	v_perm_b32 v3, v13, v12, s2
	v_perm_b32 v2, v11, v10, s2
	global_store_dwordx2 v[0:1], v[2:3], off
	v_perm_b32 v3, v17, v16, s2
	v_perm_b32 v2, v15, v14, s2
	global_store_dwordx2 v[20:21], v[4:5], off
	global_store_dwordx2 v[0:1], v[2:3], off offset:128
	s_endpgm
	.section	.rodata,"a",@progbits
	.p2align	6, 0x0
	.amdhsa_kernel _ZN12_GLOBAL__N_139chunk_gated_delta_rule_fwd_h_hip_kernelILi32ELb0ELb1ELb1ELb0ELb0ELb1ELb0ELb1EEEvPK12hip_bfloat16S3_S3_PKfS5_PKvPS1_S8_PvPKiSB_iiiiilll
		.amdhsa_group_segment_fixed_size 49152
		.amdhsa_private_segment_fixed_size 0
		.amdhsa_kernarg_size 136
		.amdhsa_user_sgpr_count 2
		.amdhsa_user_sgpr_dispatch_ptr 0
		.amdhsa_user_sgpr_queue_ptr 0
		.amdhsa_user_sgpr_kernarg_segment_ptr 1
		.amdhsa_user_sgpr_dispatch_id 0
		.amdhsa_user_sgpr_kernarg_preload_length 0
		.amdhsa_user_sgpr_kernarg_preload_offset 0
		.amdhsa_user_sgpr_private_segment_size 0
		.amdhsa_uses_dynamic_stack 0
		.amdhsa_enable_private_segment 0
		.amdhsa_system_sgpr_workgroup_id_x 1
		.amdhsa_system_sgpr_workgroup_id_y 1
		.amdhsa_system_sgpr_workgroup_id_z 0
		.amdhsa_system_sgpr_workgroup_info 0
		.amdhsa_system_vgpr_workitem_id 0
		.amdhsa_next_free_vgpr 168
		.amdhsa_next_free_sgpr 72
		.amdhsa_accum_offset 144
		.amdhsa_reserve_vcc 1
		.amdhsa_float_round_mode_32 0
		.amdhsa_float_round_mode_16_64 0
		.amdhsa_float_denorm_mode_32 3
		.amdhsa_float_denorm_mode_16_64 3
		.amdhsa_dx10_clamp 1
		.amdhsa_ieee_mode 1
		.amdhsa_fp16_overflow 0
		.amdhsa_tg_split 0
		.amdhsa_exception_fp_ieee_invalid_op 0
		.amdhsa_exception_fp_denorm_src 0
		.amdhsa_exception_fp_ieee_div_zero 0
		.amdhsa_exception_fp_ieee_overflow 0
		.amdhsa_exception_fp_ieee_underflow 0
		.amdhsa_exception_fp_ieee_inexact 0
		.amdhsa_exception_int_div_zero 0
	.end_amdhsa_kernel
	.section	.text._ZN12_GLOBAL__N_139chunk_gated_delta_rule_fwd_h_hip_kernelILi32ELb0ELb1ELb1ELb0ELb0ELb1ELb0ELb1EEEvPK12hip_bfloat16S3_S3_PKfS5_PKvPS1_S8_PvPKiSB_iiiiilll,"axG",@progbits,_ZN12_GLOBAL__N_139chunk_gated_delta_rule_fwd_h_hip_kernelILi32ELb0ELb1ELb1ELb0ELb0ELb1ELb0ELb1EEEvPK12hip_bfloat16S3_S3_PKfS5_PKvPS1_S8_PvPKiSB_iiiiilll,comdat
.Lfunc_end349:
	.size	_ZN12_GLOBAL__N_139chunk_gated_delta_rule_fwd_h_hip_kernelILi32ELb0ELb1ELb1ELb0ELb0ELb1ELb0ELb1EEEvPK12hip_bfloat16S3_S3_PKfS5_PKvPS1_S8_PvPKiSB_iiiiilll, .Lfunc_end349-_ZN12_GLOBAL__N_139chunk_gated_delta_rule_fwd_h_hip_kernelILi32ELb0ELb1ELb1ELb0ELb0ELb1ELb0ELb1EEEvPK12hip_bfloat16S3_S3_PKfS5_PKvPS1_S8_PvPKiSB_iiiiilll
                                        ; -- End function
	.section	.AMDGPU.csdata,"",@progbits
; Kernel info:
; codeLenInByte = 10228
; NumSgprs: 78
; NumVgprs: 142
; NumAgprs: 24
; TotalNumVgprs: 168
; ScratchSize: 0
; MemoryBound: 0
; FloatMode: 240
; IeeeMode: 1
; LDSByteSize: 49152 bytes/workgroup (compile time only)
; SGPRBlocks: 9
; VGPRBlocks: 20
; NumSGPRsForWavesPerEU: 78
; NumVGPRsForWavesPerEU: 168
; AccumOffset: 144
; Occupancy: 1
; WaveLimiterHint : 1
; COMPUTE_PGM_RSRC2:SCRATCH_EN: 0
; COMPUTE_PGM_RSRC2:USER_SGPR: 2
; COMPUTE_PGM_RSRC2:TRAP_HANDLER: 0
; COMPUTE_PGM_RSRC2:TGID_X_EN: 1
; COMPUTE_PGM_RSRC2:TGID_Y_EN: 1
; COMPUTE_PGM_RSRC2:TGID_Z_EN: 0
; COMPUTE_PGM_RSRC2:TIDIG_COMP_CNT: 0
; COMPUTE_PGM_RSRC3_GFX90A:ACCUM_OFFSET: 35
; COMPUTE_PGM_RSRC3_GFX90A:TG_SPLIT: 0
	.section	.text._ZN12_GLOBAL__N_139chunk_gated_delta_rule_fwd_h_hip_kernelILi32ELb0ELb1ELb0ELb0ELb0ELb1ELb0ELb1EEEvPK12hip_bfloat16S3_S3_PKfS5_PKvPS1_S8_PvPKiSB_iiiiilll,"axG",@progbits,_ZN12_GLOBAL__N_139chunk_gated_delta_rule_fwd_h_hip_kernelILi32ELb0ELb1ELb0ELb0ELb0ELb1ELb0ELb1EEEvPK12hip_bfloat16S3_S3_PKfS5_PKvPS1_S8_PvPKiSB_iiiiilll,comdat
	.globl	_ZN12_GLOBAL__N_139chunk_gated_delta_rule_fwd_h_hip_kernelILi32ELb0ELb1ELb0ELb0ELb0ELb1ELb0ELb1EEEvPK12hip_bfloat16S3_S3_PKfS5_PKvPS1_S8_PvPKiSB_iiiiilll ; -- Begin function _ZN12_GLOBAL__N_139chunk_gated_delta_rule_fwd_h_hip_kernelILi32ELb0ELb1ELb0ELb0ELb0ELb1ELb0ELb1EEEvPK12hip_bfloat16S3_S3_PKfS5_PKvPS1_S8_PvPKiSB_iiiiilll
	.p2align	8
	.type	_ZN12_GLOBAL__N_139chunk_gated_delta_rule_fwd_h_hip_kernelILi32ELb0ELb1ELb0ELb0ELb0ELb1ELb0ELb1EEEvPK12hip_bfloat16S3_S3_PKfS5_PKvPS1_S8_PvPKiSB_iiiiilll,@function
_ZN12_GLOBAL__N_139chunk_gated_delta_rule_fwd_h_hip_kernelILi32ELb0ELb1ELb0ELb0ELb0ELb1ELb0ELb1EEEvPK12hip_bfloat16S3_S3_PKfS5_PKvPS1_S8_PvPKiSB_iiiiilll: ; @_ZN12_GLOBAL__N_139chunk_gated_delta_rule_fwd_h_hip_kernelILi32ELb0ELb1ELb0ELb0ELb0ELb1ELb0ELb1EEEvPK12hip_bfloat16S3_S3_PKfS5_PKvPS1_S8_PvPKiSB_iiiiilll
; %bb.0:
	s_load_dwordx4 s[12:15], s[0:1], 0x5c
	s_load_dwordx4 s[16:19], s[0:1], 0x70
	s_abs_i32 s22, s3
	s_ashr_i32 s21, s3, 31
	s_load_dwordx8 s[4:11], s[0:1], 0x0
	s_load_dwordx2 s[30:31], s[0:1], 0x20
	s_waitcnt lgkmcnt(0)
	s_abs_i32 s20, s13
	v_cvt_f32_u32_e32 v1, s20
	s_sub_i32 s24, 0, s20
	s_ashr_i32 s23, s13, 31
	s_xor_b32 s21, s21, s23
	v_rcp_iflag_f32_e32 v1, v1
	s_load_dwordx2 s[28:29], s[0:1], 0x40
	s_load_dwordx2 s[38:39], s[0:1], 0x30
	;; [unrolled: 1-line block ×3, first 2 shown]
	v_lshrrev_b32_e32 v53, 6, v0
	v_mul_f32_e32 v1, 0x4f7ffffe, v1
	v_cvt_u32_f32_e32 v1, v1
	v_bfe_u32 v62, v0, 4, 2
	v_lshlrev_b32_e32 v60, 4, v53
	v_lshlrev_b32_e32 v18, 2, v62
	v_readfirstlane_b32 s25, v1
	s_mul_i32 s24, s24, s25
	s_mul_hi_u32 s24, s25, s24
	s_add_i32 s25, s25, s24
	s_mul_hi_u32 s24, s22, s25
	s_mul_i32 s25, s24, s20
	s_sub_i32 s22, s22, s25
	s_add_i32 s25, s24, 1
	s_sub_i32 s26, s22, s20
	s_cmp_ge_u32 s22, s20
	s_cselect_b32 s24, s25, s24
	s_cselect_b32 s22, s26, s22
	s_add_i32 s25, s24, 1
	s_cmp_ge_u32 s22, s20
	s_cselect_b32 s22, s25, s24
	s_xor_b32 s22, s22, s21
	s_sub_i32 s50, s22, s21
	s_abs_i32 s21, s14
	v_cvt_f32_u32_e32 v1, s21
	s_ashr_i32 s49, s12, 31
	s_lshr_b32 s22, s49, 26
	s_add_i32 s22, s12, s22
	v_rcp_iflag_f32_e32 v1, v1
	s_ashr_i32 s52, s14, 31
	s_ashr_i32 s51, s22, 6
	s_xor_b32 s22, s23, s52
	v_mul_f32_e32 v1, 0x4f7ffffe, v1
	v_cvt_u32_f32_e32 v1, v1
	s_sub_i32 s23, 0, s21
	s_mul_i32 s48, s50, s13
	s_sub_i32 s33, s3, s48
	v_readfirstlane_b32 s24, v1
	s_mul_i32 s23, s23, s24
	s_mul_hi_u32 s23, s24, s23
	s_add_i32 s24, s24, s23
	s_mul_hi_u32 s23, s20, s24
	s_mul_i32 s24, s23, s21
	s_sub_i32 s20, s20, s24
	s_add_i32 s3, s12, 63
	s_add_i32 s24, s23, 1
	s_sub_i32 s25, s20, s21
	s_cmp_ge_u32 s20, s21
	s_cselect_b32 s23, s24, s23
	s_cselect_b32 s20, s25, s20
	s_add_i32 s24, s23, 1
	s_cmp_ge_u32 s20, s21
	s_cselect_b32 s20, s24, s23
	s_xor_b32 s20, s20, s22
	s_sub_i32 s20, s20, s22
	s_abs_i32 s21, s20
	v_cvt_f32_u32_e32 v1, s21
	s_xor_b32 s0, s33, s20
	s_sub_i32 s20, 0, s21
	s_abs_i32 s1, s33
	v_rcp_iflag_f32_e32 v1, v1
	s_ashr_i32 s0, s0, 31
	v_and_b32_e32 v61, 63, v0
	v_mov_b32_e32 v17, 0
	v_mul_f32_e32 v1, 0x4f7ffffe, v1
	v_cvt_u32_f32_e32 v1, v1
	s_mul_i32 s46, s50, s12
	v_and_b32_e32 v63, 15, v0
	s_mul_hi_i32 s54, s50, s13
	v_readfirstlane_b32 s22, v1
	s_mul_i32 s20, s20, s22
	s_mul_hi_u32 s20, s22, s20
	s_add_i32 s22, s22, s20
	s_mul_hi_u32 s20, s1, s22
	s_mul_i32 s22, s20, s21
	s_sub_i32 s1, s1, s22
	s_add_i32 s22, s20, 1
	s_sub_i32 s23, s1, s21
	s_cmp_ge_u32 s1, s21
	s_cselect_b32 s20, s22, s20
	s_cselect_b32 s1, s23, s1
	s_add_i32 s22, s20, 1
	s_cmp_ge_u32 s1, s21
	s_cselect_b32 s1, s22, s20
	s_xor_b32 s1, s1, s0
	s_sub_i32 s55, s1, s0
	s_ashr_i32 s0, s3, 31
	s_lshr_b32 s0, s0, 26
	s_add_i32 s3, s3, s0
	v_or_b32_e32 v1, v18, v60
	s_ashr_i32 s0, s3, 6
	s_lshl_b32 s2, s2, 5
	s_mul_i32 s53, s50, s0
	v_or_b32_e32 v66, 64, v1
	s_cmp_lt_i32 s12, 64
	v_lshrrev_b32_e32 v65, 3, v61
	v_lshlrev_b32_e32 v64, 3, v0
	s_mul_i32 s17, s50, s17
	s_mul_hi_u32 s47, s50, s16
	s_mul_i32 s36, s50, s16
	v_mov_b32_e32 v16, v17
	v_mov_b32_e32 v15, v17
	;; [unrolled: 1-line block ×15, first 2 shown]
	s_cbranch_scc1 .LBB350_19
; %bb.1:
	s_ashr_i32 s3, s50, 31
	s_ashr_i32 s57, s33, 31
	s_add_u32 s0, s48, s33
	s_addc_u32 s1, s54, s57
	s_mul_i32 s1, s12, s1
	s_mul_hi_u32 s20, s12, s0
	s_add_i32 s41, s20, s1
	s_mul_i32 s40, s12, s0
	s_lshl_b64 s[0:1], s[40:41], 8
	v_and_b32_e32 v68, 56, v64
	s_add_u32 s20, s6, s0
	v_lshl_or_b32 v67, v53, 3, v65
	v_lshlrev_b32_e32 v2, 1, v68
	s_addc_u32 s0, s7, s1
	v_lshl_or_b32 v69, v67, 8, v2
	s_and_b32 s21, s0, 0xffff
	s_mov_b32 s23, 0x20000
	s_movk_i32 s22, 0x4000
	s_movk_i32 s0, 0x80
	v_or_b32_e32 v70, 0x2000, v69
	buffer_load_dwordx4 v[4:7], v69, s[20:23], 0 offen
	buffer_load_dwordx4 v[8:11], v69, s[20:23], s0 offen
	;; [unrolled: 1-line block ×4, first 2 shown]
	v_lshlrev_b32_e32 v3, 3, v67
	v_and_or_b32 v17, v0, 7, v3
	v_and_b32_e32 v3, 0x78, v3
	v_lshlrev_b32_e32 v17, 4, v17
	v_xor_b32_e32 v71, v17, v3
	v_mul_lo_u32 v16, v67, s15
	v_or_b32_e32 v72, 0x1000, v71
	v_xor_b32_e32 v3, 8, v71
	s_cmpk_eq_i32 s15, 0x80
	s_mov_b32 s56, s14
	v_xor_b32_e32 v17, 8, v72
	s_cselect_b64 s[0:1], -1, 0
	s_cmpk_lg_i32 s15, 0x80
	s_waitcnt vmcnt(3)
	ds_write_b64 v71, v[4:5] offset:24576
	ds_write_b64 v3, v[6:7] offset:24576
	s_waitcnt vmcnt(2)
	ds_write_b64 v71, v[8:9] offset:32768
	ds_write_b64 v3, v[10:11] offset:32768
	;; [unrolled: 3-line block ×4, first 2 shown]
	v_lshl_add_u32 v3, v16, 1, v68
	s_cbranch_scc0 .LBB350_3
; %bb.2:
	v_lshlrev_b32_e32 v5, 1, v3
	v_add_lshl_u32 v4, v3, s15, 1
	s_lshl_b32 s22, s15, 7
	v_lshl_or_b32 v2, v67, 9, v2
	s_cbranch_execz .LBB350_4
	s_branch .LBB350_5
.LBB350_3:
                                        ; implicit-def: $vgpr4
                                        ; implicit-def: $vgpr5
                                        ; implicit-def: $sgpr22
	v_lshl_or_b32 v2, v67, 9, v2
.LBB350_4:
	v_or_b32_e32 v4, 0x100, v2
	s_movk_i32 s22, 0x4000
	v_mov_b32_e32 v5, v2
.LBB350_5:
	s_mul_hi_u32 s20, s14, s12
	s_mul_i32 s21, s52, s12
	s_add_i32 s20, s20, s21
	s_mul_i32 s21, s14, s12
	s_mul_i32 s23, s21, s3
	s_mul_hi_u32 s24, s21, s50
	s_add_i32 s23, s24, s23
	s_mul_i32 s20, s20, s50
	s_add_i32 s23, s23, s20
	s_mul_i32 s21, s21, s50
	s_ashr_i32 s58, s55, 31
	s_add_u32 s20, s21, s55
	s_addc_u32 s21, s23, s58
	s_lshl_b64 s[20:21], s[20:21], 8
	s_add_u32 s20, s4, s20
	s_addc_u32 s21, s5, s21
	s_and_b32 s21, s21, 0xffff
	s_mov_b32 s23, 0x20000
	s_movk_i32 s59, 0x80
	buffer_load_dwordx4 v[6:9], v5, s[20:23], 0 offen
	buffer_load_dwordx4 v[10:13], v5, s[20:23], s59 offen
	;; [unrolled: 1-line block ×4, first 2 shown]
	v_and_b32_e32 v4, 6, v0
	s_mul_i32 s20, s3, s12
	s_mul_hi_u32 s21, s50, s12
	v_lshlrev_b32_e32 v24, 6, v1
	v_or_b32_e32 v26, 16, v63
	v_xor_b32_e32 v27, v67, v4
	v_and_b32_e32 v5, 1, v0
	v_lshl_or_b32 v30, v63, 3, v24
	v_lshl_or_b32 v24, v26, 3, v24
	v_lshlrev_b32_e32 v27, 2, v27
	s_add_i32 s63, s21, s20
	s_add_i32 s20, s47, s17
	s_mul_i32 s3, s3, s16
	v_lshlrev_b32_e32 v19, 2, v63
	v_or_b32_e32 v75, 0xa000, v24
	v_or_b32_e32 v76, 0xb000, v24
	v_xor_b32_e32 v24, 0x440, v27
	v_cmp_eq_u32_e32 vcc, 0, v5
	s_add_i32 s37, s20, s3
	s_mul_i32 s3, s33, s19
	s_mul_hi_u32 s20, s33, s18
	v_xor_b32_e32 v28, v1, v19
	v_xor_b32_e32 v29, v66, v19
	v_cndmask_b32_e32 v5, v24, v27, vcc
	s_add_i32 s3, s20, s3
	s_mul_i32 s20, s57, s18
	s_mov_b32 s61, 0x1000504
	v_lshlrev_b32_e32 v25, 8, v63
	v_lshlrev_b32_e32 v28, 1, v28
	;; [unrolled: 1-line block ×3, first 2 shown]
	v_lshl_or_b32 v4, v4, 10, v5
	s_add_i32 s21, s3, s20
	s_lshl_b64 s[24:25], s[36:37], 2
	s_mov_b32 s62, 0x3020706
	v_or_b32_e32 v73, 0xa000, v30
	v_or_b32_e32 v74, 0xb000, v30
	;; [unrolled: 1-line block ×4, first 2 shown]
	v_xor_b32_e32 v5, 8, v4
	v_xor_b32_e32 v25, 24, v4
	;; [unrolled: 1-line block ×4, first 2 shown]
	s_mul_i32 s20, s33, s18
	s_add_u32 s3, s10, s24
	v_xor_b32_e32 v24, 16, v4
	v_xor_b32_e32 v27, 32, v4
	v_xor_b32_e32 v31, 48, v4
	v_add_u32_e32 v5, 0x80, v5
	v_add_u32_e32 v25, 0x80, v25
	;; [unrolled: 1-line block ×4, first 2 shown]
	s_addc_u32 s22, s11, s25
	s_lshl_b64 s[20:21], s[20:21], 2
	s_add_u32 s42, s3, s20
	s_movk_i32 s3, 0xf8
	s_addc_u32 s43, s22, s21
	s_lshl_b32 s26, s15, 7
	s_movk_i32 s24, 0x100
	v_mov_b32_e32 v55, 0
	v_lshlrev_b32_e32 v54, 4, v63
	v_cmp_gt_u32_e32 vcc, s24, v0
	v_lshlrev_b32_e32 v26, 8, v26
	v_or_b32_e32 v79, v26, v28
	v_or_b32_e32 v80, v26, v29
	s_mov_b32 s60, 0
	s_movk_i32 s37, 0x1000
	s_movk_i32 s22, 0x4000
	v_add_u32_e32 v94, v60, v18
	s_mov_b32 s64, 0x7060302
	v_mov_b32_e32 v105, 0x3fb8aa3b
	s_mov_b32 s66, 0
	v_mov_b32_e32 v106, v55
	v_mov_b32_e32 v107, v55
	;; [unrolled: 1-line block ×7, first 2 shown]
	s_waitcnt vmcnt(1)
	v_perm_b32 v33, v6, v14, s61
	s_waitcnt vmcnt(0)
	v_perm_b32 v34, v10, v20, s61
	v_perm_b32 v6, v6, v14, s62
	;; [unrolled: 1-line block ×15, first 2 shown]
	ds_write2st64_b32 v4, v33, v34 offset0:32 offset1:64
	ds_write2st64_b32 v5, v6, v10 offset0:32 offset1:64
	;; [unrolled: 1-line block ×8, first 2 shown]
	v_or_b32_e32 v4, v60, v63
	v_lshlrev_b32_e32 v4, 3, v4
	v_lshrrev_b32_e32 v6, 5, v61
	v_and_or_b32 v6, v4, s3, v6
	v_lshlrev_b32_e32 v6, 4, v6
	v_lshrrev_b32_e32 v5, 2, v61
	v_lshlrev_b32_e32 v11, 11, v53
	v_and_b32_e32 v4, 0x78, v4
	v_or_b32_e32 v10, 32, v6
	v_and_b32_e32 v7, 12, v5
	v_and_b32_e32 v5, 0x1000, v11
	v_xor_b32_e32 v8, v6, v4
	v_lshrrev_b32_e32 v9, 1, v61
	v_xor_b32_e32 v10, v10, v4
	v_or_b32_e32 v8, v8, v5
	v_and_b32_e32 v9, 8, v9
	v_lshlrev_b32_e32 v12, 7, v62
	v_or_b32_e32 v10, v10, v5
	v_xor_b32_e32 v81, v8, v9
	v_or_b32_e32 v8, v12, v19
	v_xor_b32_e32 v83, v10, v9
	v_or_b32_e32 v10, 64, v6
	v_or_b32_e32 v6, 0x60, v6
	s_ashr_i32 s3, s2, 31
	v_lshlrev_b32_e32 v8, 1, v8
	v_xor_b32_e32 v10, v10, v4
	v_xor_b32_e32 v4, v6, v4
	s_lshl_b64 s[20:21], s[2:3], 8
	v_or_b32_e32 v82, 0xa000, v8
	v_or_b32_e32 v84, 0xa080, v8
	;; [unrolled: 1-line block ×6, first 2 shown]
	s_waitcnt lgkmcnt(0)
	s_add_u32 s20, s38, s20
	v_lshlrev_b32_e32 v8, 1, v63
	v_lshlrev_b32_e32 v19, 2, v0
	v_lshrrev_b32_e32 v22, 1, v0
	v_xor_b32_e32 v85, v10, v9
	v_xor_b32_e32 v86, v4, v9
	v_lshrrev_b32_e32 v10, 4, v0
	s_addc_u32 s21, s39, s21
	v_or_b32_e32 v9, 1, v8
	v_mov_b32_e32 v20, 0x4000
	v_mov_b32_e32 v21, 0x2000
	v_and_b32_e32 v22, 24, v22
	v_and_or_b32 v12, v19, 60, v12
	v_mov_b32_e32 v19, 0xb000
	v_xor_b32_e32 v15, v10, v8
	v_xor_b32_e32 v16, v9, v10
	v_lshl_add_u64 v[8:9], s[20:21], 0, v[54:55]
	v_lshlrev_b32_e32 v54, 8, v10
	v_cndmask_b32_e32 v20, v20, v21, vcc
	v_lshlrev_b32_e32 v21, 3, v53
	v_lshl_or_b32 v91, v12, 1, v19
	v_or_b32_e32 v12, 32, v22
	v_lshl_or_b32 v89, v15, 3, v54
	v_and_b32_e32 v15, 8, v0
	v_xor_b32_e32 v12, v21, v12
	v_cmp_eq_u32_e32 vcc, 0, v15
	v_or_b32_e32 v19, 0x440, v12
	v_and_b32_e32 v10, 7, v0
	v_cndmask_b32_e32 v12, v19, v12, vcc
	v_lshl_or_b32 v90, v16, 3, v54
	v_lshlrev_b32_e32 v16, 3, v10
	v_or_b32_e32 v12, v12, v11
	v_xor_b32_e32 v19, v12, v16
	v_or_b32_e32 v12, 64, v22
	v_xor_b32_e32 v12, v21, v12
	v_xor_b32_e32 v25, 0x440, v12
	v_cndmask_b32_e32 v12, v25, v12, vcc
	v_or_b32_e32 v12, v12, v11
	v_xor_b32_e32 v25, v12, v16
	v_or_b32_e32 v12, 0x60, v22
	v_xor_b32_e32 v23, v21, v22
	v_xor_b32_e32 v12, v21, v12
	v_or_b32_e32 v24, 0x440, v23
	v_xor_b32_e32 v21, 0x440, v12
	v_cndmask_b32_e32 v15, v24, v23, vcc
	v_cndmask_b32_e32 v12, v21, v12, vcc
	v_or_b32_e32 v15, v15, v11
	v_or_b32_e32 v11, v12, v11
	v_or_b32_e32 v4, s2, v63
	v_xor_b32_e32 v15, v15, v16
	v_xor_b32_e32 v11, v11, v16
	v_lshlrev_b32_e32 v6, 7, v1
	v_ashrrev_i32_e32 v5, 31, v4
	v_lshlrev_b32_e32 v13, 1, v3
	v_add_lshl_u32 v3, v3, s15, 1
	v_or_b32_e32 v14, 0x100, v2
	v_lshlrev_b32_e32 v17, 7, v10
	v_or_b32_e32 v10, v7, v60
	v_add_u32_e32 v23, v20, v15
	v_add_u32_e32 v24, v20, v19
	;; [unrolled: 1-line block ×4, first 2 shown]
	v_or3_b32 v12, v60, v7, 64
	v_add_u32_e32 v7, 0x4000, v15
	v_add_u32_e32 v15, 0x4000, v19
	v_add_u32_e32 v19, 0x4000, v25
	v_add_u32_e32 v11, 0x4000, v11
	v_cndmask_b32_e64 v92, v13, v2, s[0:1]
	v_cndmask_b32_e64 v93, v3, v14, s[0:1]
	v_lshl_add_u64 v[56:57], v[4:5], 1, s[8:9]
	v_lshl_add_u64 v[58:59], v[8:9], 0, v[54:55]
	s_add_i32 s3, s46, 63
	v_lshlrev_b32_e32 v54, 1, v6
	v_lshlrev_b32_e32 v95, 2, v10
	v_add_u32_e32 v96, v23, v17
	v_add_u32_e32 v97, v24, v17
	;; [unrolled: 1-line block ×4, first 2 shown]
	v_lshlrev_b32_e32 v100, 2, v12
	v_add_u32_e32 v101, v7, v17
	v_add_u32_e32 v102, v15, v17
	;; [unrolled: 1-line block ×4, first 2 shown]
	v_mov_b32_e32 v2, v55
	v_mov_b32_e32 v3, v55
	;; [unrolled: 1-line block ×9, first 2 shown]
	s_barrier
.LBB350_6:                              ; =>This Inner Loop Header: Depth=1
	s_add_i32 s65, s66, 1
	s_cmp_lt_i32 s65, s51
	s_mov_b64 s[24:25], 0
	s_cselect_b64 s[44:45], -1, 0
	s_cmp_ge_i32 s65, s51
	s_mov_b64 s[20:21], 0
	s_cbranch_scc1 .LBB350_8
; %bb.7:                                ;   in Loop: Header=BB350_6 Depth=1
	s_add_i32 s0, s60, 64
	s_add_u32 s0, s40, s0
	s_addc_u32 s1, s41, 0
	s_lshl_b64 s[0:1], s[0:1], 8
	s_add_u32 s20, s6, s0
	s_addc_u32 s21, s7, s1
.LBB350_8:                              ;   in Loop: Header=BB350_6 Depth=1
	v_cndmask_b32_e64 v10, 0, 1, s[44:45]
	v_cmp_ne_u32_e64 s[0:1], 1, v10
	s_andn2_b64 vcc, exec, s[44:45]
	s_cbranch_vccnz .LBB350_10
; %bb.9:                                ;   in Loop: Header=BB350_6 Depth=1
	s_add_i32 s24, s60, 64
	s_add_u32 s24, s46, s24
	s_addc_u32 s25, s63, 0
	s_mul_i32 s27, s24, s52
	s_mul_hi_u32 s44, s24, s56
	s_add_i32 s27, s44, s27
	s_mul_i32 s25, s25, s56
	s_add_i32 s27, s27, s25
	s_mul_i32 s24, s24, s56
	s_add_u32 s24, s24, s55
	s_addc_u32 s25, s27, s58
	s_lshl_b64 s[24:25], s[24:25], 8
	s_add_u32 s24, s4, s24
	s_addc_u32 s25, s5, s25
.LBB350_10:                             ;   in Loop: Header=BB350_6 Depth=1
	v_perm_b32 v11, v5, v4, s64
	v_perm_b32 v10, v3, v2, s64
	v_perm_b32 v13, v9, v8, s64
	v_perm_b32 v12, v7, v6, s64
	ds_write_b64 v73, v[10:11]
	ds_write_b64 v74, v[12:13]
	;; [unrolled: 1-line block ×4, first 2 shown]
	v_perm_b32 v11, v113, v108, s64
	v_perm_b32 v10, v107, v106, s64
	;; [unrolled: 1-line block ×4, first 2 shown]
	ds_write_b64 v75, v[10:11]
	ds_write_b64 v76, v[12:13]
	;; [unrolled: 1-line block ×4, first 2 shown]
	s_waitcnt lgkmcnt(0)
	s_barrier
	ds_read_b64 v[14:15], v81 offset:24576
	ds_read2_b64 v[10:13], v82 offset1:16
	ds_read_b64 v[18:19], v84 offset:3072
	ds_read_b64 v[20:21], v82 offset:3072
	;; [unrolled: 1-line block ×3, first 2 shown]
	s_waitcnt lgkmcnt(3)
	v_mfma_f32_16x16x16_bf16 a[0:3], v[14:15], v[10:11], 0
	s_add_i32 s27, s60, 63
	s_mul_i32 s44, s27, s35
	s_mul_hi_u32 s45, s27, s34
	v_mfma_f32_16x16x16_bf16 a[4:7], v[14:15], v[12:13], 0
	ds_read2st64_b64 v[10:13], v82 offset0:2 offset1:4
	ds_read2st64_b64 v[14:17], v84 offset0:2 offset1:4
	s_add_i32 s45, s45, s44
	s_waitcnt lgkmcnt(1)
	v_mfma_f32_16x16x16_bf16 a[0:3], v[22:23], v[10:11], a[0:3]
	s_mul_i32 s44, s27, s34
	s_lshl_b64 s[44:45], s[44:45], 2
	s_add_u32 s44, s42, s44
	s_waitcnt lgkmcnt(0)
	v_mfma_f32_16x16x16_bf16 a[4:7], v[22:23], v[14:15], a[4:7]
	ds_read_b64 v[10:11], v85 offset:24576
	ds_read_b64 v[14:15], v86 offset:24576
	s_addc_u32 s45, s43, s45
	s_and_b64 vcc, exec, s[0:1]
	s_waitcnt lgkmcnt(1)
	v_mfma_f32_16x16x16_bf16 a[0:3], v[10:11], v[12:13], a[0:3]
	v_mov_b32_e32 v116, 0
	v_mov_b32_e32 v115, 0
	;; [unrolled: 1-line block ×3, first 2 shown]
	v_mfma_f32_16x16x16_bf16 a[4:7], v[10:11], v[16:17], a[4:7]
	v_mov_b32_e32 v10, 0
	v_mov_b32_e32 v11, 0
	;; [unrolled: 1-line block ×3, first 2 shown]
	s_waitcnt lgkmcnt(0)
	v_mfma_f32_16x16x16_bf16 a[0:3], v[14:15], v[20:21], a[0:3]
	v_mov_b32_e32 v13, 0
	v_mov_b32_e32 v16, 0
	;; [unrolled: 1-line block ×3, first 2 shown]
	v_mfma_f32_16x16x16_bf16 a[4:7], v[14:15], v[18:19], a[4:7]
	v_mov_b32_e32 v14, 0
	v_mov_b32_e32 v15, 0
	v_mov_b32_e32 v18, 0
	v_mov_b32_e32 v19, 0
	v_mov_b32_e32 v20, 0
	v_mov_b32_e32 v21, 0
	v_mov_b32_e32 v22, 0
	v_mov_b32_e32 v23, 0
	v_mov_b32_e32 v24, 0
	v_mov_b32_e32 v25, 0
	s_cbranch_vccnz .LBB350_12
; %bb.11:                               ;   in Loop: Header=BB350_6 Depth=1
	s_and_b32 s21, s21, 0xffff
	buffer_load_dwordx4 v[22:25], v69, s[20:23], 0 offen
	buffer_load_dwordx4 v[18:21], v69, s[20:23], s59 offen
	;; [unrolled: 1-line block ×4, first 2 shown]
	v_mov_b32_e32 v115, v71
	v_mov_b32_e32 v114, v72
.LBB350_12:                             ;   in Loop: Header=BB350_6 Depth=1
	ds_read_b64 v[30:31], v81 offset:32768
	ds_read2_b64 v[26:29], v87 offset1:16
	ds_read_b64 v[34:35], v83 offset:32768
	ds_read_b64 v[36:37], v85 offset:32768
	;; [unrolled: 1-line block ×3, first 2 shown]
	v_add_u32_e32 v40, s60, v94
	s_waitcnt lgkmcnt(3)
	v_mfma_f32_16x16x16_bf16 a[0:3], v[30:31], v[26:27], a[0:3]
	v_mul_lo_u32 v41, v40, s35
	v_mov_b32_e32 v117, 0
	v_mfma_f32_16x16x16_bf16 a[4:7], v[30:31], v[28:29], a[4:7]
	ds_read2st64_b64 v[26:29], v87 offset0:2 offset1:4
	ds_read2st64_b64 v[30:33], v88 offset0:2 offset1:4
	s_waitcnt lgkmcnt(1)
	v_mfma_f32_16x16x16_bf16 a[0:3], v[34:35], v[26:27], a[0:3]
	v_ashrrev_i32_e32 v26, 31, v40
	v_mul_lo_u32 v42, v26, s34
	v_mad_u64_u32 v[26:27], s[20:21], v40, s34, 0
	v_mfma_f32_16x16x16_bf16 a[0:3], v[36:37], v[28:29], a[0:3]
	v_add_u32_e32 v28, 1, v40
	v_ashrrev_i32_e32 v29, 31, v28
	v_add3_u32 v27, v27, v41, v42
	s_waitcnt lgkmcnt(0)
	v_mfma_f32_16x16x16_bf16 a[4:7], v[34:35], v[30:31], a[4:7]
	v_mul_lo_u32 v30, v29, s34
	v_mul_lo_u32 v31, v28, s35
	v_mad_u64_u32 v[28:29], s[20:21], v28, s34, 0
	v_add3_u32 v29, v29, v31, v30
	v_add_u32_e32 v30, 2, v40
	v_ashrrev_i32_e32 v31, 31, v30
	v_mul_lo_u32 v34, v31, s34
	v_mul_lo_u32 v35, v30, s35
	v_mad_u64_u32 v[30:31], s[20:21], v30, s34, 0
	v_add3_u32 v31, v31, v35, v34
	v_add_u32_e32 v34, 3, v40
	v_ashrrev_i32_e32 v35, 31, v34
	v_mul_lo_u32 v40, v35, s34
	v_mul_lo_u32 v41, v34, s35
	v_mad_u64_u32 v[34:35], s[20:21], v34, s34, 0
	s_add_u32 s20, s40, s60
	s_addc_u32 s21, s41, 0
	s_lshl_b64 s[20:21], s[20:21], 8
	v_lshl_add_u64 v[26:27], v[26:27], 2, s[42:43]
	v_lshl_add_u64 v[28:29], v[28:29], 2, s[42:43]
	v_add3_u32 v35, v35, v41, v40
	v_lshl_add_u64 v[40:41], v[56:57], 0, s[20:21]
	v_lshl_add_u64 v[30:31], v[30:31], 2, s[42:43]
	;; [unrolled: 1-line block ×3, first 2 shown]
	global_load_dword v42, v[26:27], off
	global_load_ushort v43, v[40:41], off offset:256
	global_load_ushort v44, v[40:41], off
	global_load_ushort v45, v[40:41], off offset:768
	global_load_ushort v46, v[40:41], off offset:512
	v_lshl_add_u64 v[26:27], v[34:35], 2, s[42:43]
	global_load_dword v47, v[28:29], off
	global_load_dword v48, v[30:31], off
	;; [unrolled: 1-line block ×3, first 2 shown]
	ds_read_b64 v[26:27], v87 offset:3072
	ds_read_b64 v[28:29], v88 offset:3072
	global_load_ushort v50, v[40:41], off offset:800
	global_load_ushort v51, v[40:41], off offset:544
	;; [unrolled: 1-line block ×3, first 2 shown]
	s_nop 0
	global_load_ushort v40, v[40:41], off offset:32
	s_load_dword s20, s[44:45], 0x0
	v_mfma_f32_16x16x16_bf16 a[4:7], v[36:37], v[32:33], a[4:7]
	s_and_b64 vcc, exec, s[0:1]
	v_mov_b32_e32 v41, 0
	s_waitcnt vmcnt(11) lgkmcnt(0)
	v_sub_f32_e32 v36, s20, v42
	v_mfma_f32_16x16x16_bf16 a[0:3], v[38:39], v[26:27], a[0:3]
	v_mul_f32_e32 v36, 0x3fb8aa3b, v36
	v_exp_f32_e32 v36, v36
	s_waitcnt vmcnt(6)
	v_sub_f32_e32 v37, s20, v47
	v_mfma_f32_16x16x16_bf16 a[4:7], v[38:39], v[28:29], a[4:7]
	s_waitcnt vmcnt(5)
	v_sub_f32_e32 v38, s20, v48
	s_waitcnt vmcnt(4)
	v_sub_f32_e32 v39, s20, v49
	v_mul_f32_e32 v37, 0x3fb8aa3b, v37
	v_mul_f32_e32 v38, 0x3fb8aa3b, v38
	;; [unrolled: 1-line block ×3, first 2 shown]
	v_exp_f32_e32 v37, v37
	v_exp_f32_e32 v38, v38
	;; [unrolled: 1-line block ×3, first 2 shown]
	v_accvgpr_read_b32 v31, a1
	v_accvgpr_read_b32 v27, a3
	;; [unrolled: 1-line block ×4, first 2 shown]
	v_lshlrev_b32_e32 v33, 16, v43
	v_lshlrev_b32_e32 v32, 16, v44
	;; [unrolled: 1-line block ×4, first 2 shown]
	v_pk_add_f32 v[30:31], v[32:33], v[30:31] neg_lo:[0,1] neg_hi:[0,1]
	v_pk_add_f32 v[26:27], v[34:35], v[26:27] neg_lo:[0,1] neg_hi:[0,1]
	v_pk_mul_f32 v[30:31], v[36:37], v[30:31]
	v_pk_mul_f32 v[26:27], v[38:39], v[26:27]
	v_accvgpr_read_b32 v33, a5
	v_perm_b32 v27, v27, v26, s64
	v_perm_b32 v26, v31, v30, s64
	s_waitcnt vmcnt(1)
	v_lshlrev_b32_e32 v31, 16, v52
	s_waitcnt vmcnt(0)
	v_lshlrev_b32_e32 v30, 16, v40
	v_accvgpr_read_b32 v32, a4
	v_accvgpr_read_b32 v29, a7
	;; [unrolled: 1-line block ×3, first 2 shown]
	v_pk_add_f32 v[30:31], v[30:31], v[32:33] neg_lo:[0,1] neg_hi:[0,1]
	v_lshlrev_b32_e32 v33, 16, v50
	v_lshlrev_b32_e32 v32, 16, v51
	v_pk_add_f32 v[28:29], v[32:33], v[28:29] neg_lo:[0,1] neg_hi:[0,1]
	v_pk_mul_f32 v[30:31], v[36:37], v[30:31]
	v_pk_mul_f32 v[28:29], v[38:39], v[28:29]
	v_mov_b32_e32 v32, 0
	v_perm_b32 v29, v29, v28, s64
	v_perm_b32 v28, v31, v30, s64
	ds_write2_b64 v74, v[26:27], v[28:29] offset1:16
	v_mov_b32_e32 v26, 0
	v_mov_b32_e32 v27, 0
	;; [unrolled: 1-line block ×14, first 2 shown]
	s_cbranch_vccnz .LBB350_14
; %bb.13:                               ;   in Loop: Header=BB350_6 Depth=1
	s_and_b32 s25, s25, 0xffff
	s_mov_b32 s27, s23
	buffer_load_dwordx4 v[38:41], v92, s[24:27], 0 offen
	buffer_load_dwordx4 v[30:33], v92, s[24:27], s59 offen
	;; [unrolled: 1-line block ×4, first 2 shown]
	v_mov_b32_e32 v116, v68
	v_mov_b32_e32 v117, v67
.LBB350_14:                             ;   in Loop: Header=BB350_6 Depth=1
	s_waitcnt lgkmcnt(0)
	s_barrier
	ds_read_b64 v[46:47], v96
	ds_read_b64 v[122:123], v91
	;; [unrolled: 1-line block ×5, first 2 shown]
	ds_read_b64 v[136:137], v88 offset:3072
	ds_read2_b64 v[42:45], v87 offset0:16 offset1:128
	s_waitcnt lgkmcnt(5)
	v_mfma_f32_16x16x16_bf16 a[0:3], v[46:47], v[122:123], 0
	ds_read2st64_b64 v[48:51], v88 offset0:2 offset1:4
	s_add_i32 s21, s53, s66
	s_mul_hi_i32 s25, s21, s13
	s_waitcnt lgkmcnt(1)
	v_mfma_f32_16x16x16_bf16 a[4:7], v[46:47], v[42:43], 0
	ds_read_b64 v[46:47], v101
	s_mul_i32 s21, s21, s13
	s_add_u32 s24, s21, s33
	s_waitcnt lgkmcnt(1)
	v_mfma_f32_16x16x16_bf16 a[4:7], v[124:125], v[48:49], a[4:7]
	s_addc_u32 s25, s25, s57
	s_add_i32 s21, s3, s60
	s_lshl_b64 s[24:25], s[24:25], 15
	s_mul_hi_i32 s27, s21, s13
	s_mul_i32 s21, s21, s13
	s_add_u32 s44, s21, s33
	v_mfma_f32_16x16x16_bf16 a[8:11], v[126:127], v[50:51], a[4:7]
	s_addc_u32 s45, s27, s57
	ds_read2st64_b64 v[118:121], v87 offset0:4 offset1:6
	s_lshl_b64 s[44:45], s[44:45], 9
	s_waitcnt lgkmcnt(1)
	v_mfma_f32_16x16x16_bf16 a[4:7], v[46:47], v[122:123], 0
	s_add_u32 s44, s30, s44
	s_addc_u32 s45, s31, s45
	v_mfma_f32_16x16x16_bf16 a[0:3], v[124:125], v[44:45], a[0:3]
	ds_read_b64 v[124:125], v102
	ds_read_b64 v[132:133], v103
	ds_read_b64 v[138:139], v104
	v_mfma_f32_16x16x16_bf16 a[12:15], v[46:47], v[42:43], 0
	s_waitcnt lgkmcnt(2)
	v_mfma_f32_16x16x16_bf16 a[4:7], v[124:125], v[44:45], a[4:7]
	global_load_dwordx4 v[42:45], v100, s[44:45]
	v_mfma_f32_16x16x16_bf16 a[12:15], v[124:125], v[48:49], a[12:15]
	global_load_dwordx4 v[46:49], v95, s[44:45]
	ds_read2st64_b64 v[122:125], v89 offset1:8
	s_waitcnt lgkmcnt(0)
	v_mov_b32_e32 v130, v122
	v_mfma_f32_16x16x16_bf16 a[0:3], v[126:127], v[118:119], a[0:3]
	ds_read2st64_b64 v[126:129], v90 offset1:8
	v_mov_b32_e32 v131, v123
	v_mfma_f32_16x16x16_bf16 a[16:19], v[132:133], v[118:119], a[4:7]
	v_lshl_add_u64 v[118:119], v[58:59], 0, s[24:25]
	v_mfma_f32_16x16x16_bf16 a[20:23], v[132:133], v[50:51], a[12:15]
	v_add_co_u32_e32 v50, vcc, s37, v118
	s_waitcnt lgkmcnt(0)
	v_mov_b32_e32 v132, v126
	v_mfma_f32_16x16x16_bf16 a[4:7], v[134:135], v[120:121], a[0:3]
	v_mov_b32_e32 v133, v127
	v_mov_b32_e32 v126, v124
	;; [unrolled: 1-line block ×3, first 2 shown]
	v_mfma_f32_16x16x16_bf16 a[8:11], v[134:135], v[136:137], a[8:11]
	v_addc_co_u32_e32 v51, vcc, 0, v119, vcc
	global_store_dwordx4 v[50:51], v[126:129], off
	v_mfma_f32_16x16x16_bf16 a[12:15], v[138:139], v[120:121], a[16:19]
	s_and_b64 vcc, exec, s[0:1]
	global_store_dwordx4 v[118:119], v[130:133], off
	s_waitcnt vmcnt(3)
	v_mov_b32_e32 v52, v45
	v_mfma_f32_16x16x16_bf16 a[0:3], v[138:139], v[136:137], a[20:23]
	v_mov_b32_e32 v51, v44
	v_mov_b32_e32 v50, v43
	s_cbranch_vccnz .LBB350_16
; %bb.15:                               ;   in Loop: Header=BB350_6 Depth=1
	v_lshrrev_b32_e32 v43, 3, v116
	v_and_b32_e32 v43, 6, v43
	v_xor_b32_e32 v44, v43, v117
	v_lshlrev_b32_e32 v44, 2, v44
	v_and_b32_e32 v45, 8, v116
	v_xor_b32_e32 v116, 0x440, v44
	v_cmp_eq_u32_e32 vcc, 0, v45
	v_perm_b32 v45, v30, v26, s61
	s_nop 0
	v_cndmask_b32_e32 v44, v116, v44, vcc
	v_lshl_or_b32 v43, v43, 10, v44
	v_perm_b32 v44, v38, v34, s61
	s_barrier
	ds_write2st64_b32 v43, v44, v45 offset0:32 offset1:64
	v_xor_b32_e32 v44, 8, v43
	v_perm_b32 v34, v38, v34, s62
	v_perm_b32 v26, v30, v26, s62
	v_add_u32_e32 v30, 0x80, v44
	ds_write2st64_b32 v30, v34, v26 offset0:32 offset1:64
	v_xor_b32_e32 v26, 16, v43
	v_perm_b32 v30, v39, v35, s61
	v_perm_b32 v34, v31, v27, s61
	ds_write2st64_b32 v26, v30, v34 offset0:33 offset1:65
	v_xor_b32_e32 v26, 24, v43
	v_perm_b32 v30, v39, v35, s62
	v_perm_b32 v27, v31, v27, s62
	v_add_u32_e32 v26, 0x80, v26
	ds_write2st64_b32 v26, v30, v27 offset0:33 offset1:65
	v_xor_b32_e32 v26, 32, v43
	v_perm_b32 v27, v40, v36, s61
	v_perm_b32 v30, v32, v28, s61
	;; [unrolled: 9-line block ×3, first 2 shown]
	ds_write2st64_b32 v26, v27, v28 offset0:35 offset1:67
	v_xor_b32_e32 v26, 56, v43
	v_perm_b32 v27, v41, v37, s62
	v_perm_b32 v28, v33, v29, s62
	v_add_u32_e32 v26, 0x80, v26
	ds_write2st64_b32 v26, v27, v28 offset0:35 offset1:67
	ds_write_b64 v115, v[22:23] offset:24576
	v_xor_b32_e32 v22, 8, v115
	ds_write_b64 v22, v[24:25] offset:24576
	ds_write_b64 v115, v[18:19] offset:32768
	;; [unrolled: 1-line block ×4, first 2 shown]
	v_xor_b32_e32 v14, 8, v114
	ds_write_b64 v14, v[16:17] offset:24576
	ds_write_b64 v114, v[10:11] offset:32768
	;; [unrolled: 1-line block ×3, first 2 shown]
.LBB350_16:                             ;   in Loop: Header=BB350_6 Depth=1
	v_mul_f32_e32 v14, s20, v105
	v_exp_f32_e32 v26, v14
	s_waitcnt vmcnt(2)
	v_mul_f32_e32 v14, 0x3fb8aa3b, v46
	v_exp_f32_e32 v28, v14
	v_mul_f32_e32 v14, 0x3fb8aa3b, v47
	v_exp_f32_e32 v29, v14
	;; [unrolled: 2-line block ×4, first 2 shown]
	v_accvgpr_read_b32 v21, a7
	v_accvgpr_read_b32 v19, a5
	;; [unrolled: 1-line block ×4, first 2 shown]
	v_pk_mul_f32 v[28:29], v[26:27], v[28:29] op_sel_hi:[0,1]
	v_accvgpr_read_b32 v12, a10
	v_pk_fma_f32 v[2:3], v[2:3], v[28:29], v[18:19]
	v_pk_mul_f32 v[18:19], v[26:27], v[30:31] op_sel_hi:[0,1]
	v_accvgpr_read_b32 v20, a6
	v_accvgpr_read_b32 v11, a9
	;; [unrolled: 1-line block ×3, first 2 shown]
	v_fma_f32 v108, v108, v18, v12
	v_mul_f32_e32 v12, 0x3fb8aa3b, v51
	v_pk_fma_f32 v[4:5], v[4:5], v[18:19], v[20:21]
	v_fma_f32 v106, v106, v28, v10
	v_fma_f32 v107, v107, v29, v11
	v_mul_f32_e32 v10, 0x3fb8aa3b, v42
	v_mul_f32_e32 v11, 0x3fb8aa3b, v50
	v_exp_f32_e32 v20, v12
	v_mul_f32_e32 v12, 0x3fb8aa3b, v52
	v_exp_f32_e32 v10, v10
	v_exp_f32_e32 v11, v11
	v_exp_f32_e32 v21, v12
	v_accvgpr_read_b32 v25, a15
	v_accvgpr_read_b32 v17, a3
	;; [unrolled: 1-line block ×8, first 2 shown]
	v_fmac_f32_e32 v13, v113, v19
	v_pk_mul_f32 v[10:11], v[26:27], v[10:11] op_sel_hi:[0,1]
	v_pk_mul_f32 v[18:19], v[26:27], v[20:21] op_sel_hi:[0,1]
	s_add_i32 s60, s60, 64
	v_pk_fma_f32 v[6:7], v[6:7], v[10:11], v[22:23]
	v_pk_fma_f32 v[8:9], v[8:9], v[18:19], v[24:25]
	v_fma_f32 v109, v109, v10, v14
	v_fma_f32 v110, v110, v11, v15
	;; [unrolled: 1-line block ×3, first 2 shown]
	s_cmp_eq_u32 s51, s65
	v_fmac_f32_e32 v17, v112, v19
	s_cbranch_scc1 .LBB350_18
; %bb.17:                               ;   in Loop: Header=BB350_6 Depth=1
	s_mov_b32 s66, s65
	v_mov_b32_e32 v113, v13
	v_mov_b32_e32 v112, v17
	s_branch .LBB350_6
.LBB350_18:
	v_mov_b32_e32 v16, v111
	v_mov_b32_e32 v15, v110
	;; [unrolled: 1-line block ×6, first 2 shown]
.LBB350_19:
	s_lshl_b32 s44, s51, 6
	s_sub_i32 s45, s12, s44
	s_cmp_gt_i32 s45, 0
	v_or_b32_e32 v34, s2, v63
	s_cbranch_scc1 .LBB350_21
; %bb.20:
	s_ashr_i32 s0, s33, 31
	s_add_u32 s24, s48, s33
	s_addc_u32 s25, s54, s0
	v_or_b32_e32 v35, s2, v63
	s_cbranch_execz .LBB350_22
	s_branch .LBB350_86
.LBB350_21:
                                        ; implicit-def: $sgpr24_sgpr25
                                        ; implicit-def: $vgpr35
.LBB350_22:
	s_ashr_i32 s37, s50, 31
	s_ashr_i32 s3, s44, 31
	s_cmpk_lg_i32 s15, 0x80
	s_cselect_b64 s[40:41], -1, 0
	s_and_b64 vcc, exec, s[40:41]
	s_cbranch_vccz .LBB350_24
; %bb.23:
	s_mul_hi_i32 s0, s50, s12
	s_add_u32 s1, s46, s44
	s_addc_u32 s0, s0, s3
	s_mul_i32 s20, s1, s52
	s_mul_hi_u32 s21, s1, s14
	s_add_i32 s20, s21, s20
	s_mul_i32 s0, s0, s14
	s_add_i32 s20, s20, s0
	s_mul_i32 s1, s1, s14
	s_ashr_i32 s0, s55, 31
	s_add_u32 s42, s1, s55
	s_addc_u32 s43, s20, s0
	s_cbranch_execz .LBB350_25
	s_branch .LBB350_26
.LBB350_24:
                                        ; implicit-def: $sgpr42_sgpr43
.LBB350_25:
	s_mul_hi_i32 s0, s50, s14
	s_mul_i32 s50, s50, s14
	s_ashr_i32 s1, s55, 31
	s_add_u32 s14, s50, s55
	s_addc_u32 s0, s0, s1
	s_mul_i32 s1, s14, s49
	s_mul_hi_u32 s20, s14, s12
	s_add_i32 s1, s20, s1
	s_mul_i32 s0, s0, s12
	s_add_i32 s1, s1, s0
	s_mul_i32 s14, s14, s12
	s_add_u32 s42, s14, s44
	s_addc_u32 s43, s1, s3
.LBB350_26:
	s_add_i32 s20, s53, s51
	s_ashr_i32 s14, s33, 31
	s_add_u32 s24, s48, s33
	s_addc_u32 s25, s54, s14
	s_mul_i32 s0, s24, s49
	s_mul_hi_u32 s1, s24, s12
	s_add_i32 s0, s1, s0
	s_mul_i32 s1, s25, s12
	s_add_i32 s1, s0, s1
	s_mul_i32 s0, s24, s12
	s_add_u32 s0, s0, s44
	v_lshlrev_b32_e32 v22, 5, v1
	v_lshlrev_b32_e32 v40, 2, v63
	s_addc_u32 s1, s1, s3
	s_mov_b32 s3, 0x7060302
	v_or_b32_e32 v25, v22, v40
	v_xor_b32_e32 v23, v1, v40
	v_perm_b32 v19, v5, v4, s3
	v_perm_b32 v18, v3, v2, s3
	;; [unrolled: 1-line block ×4, first 2 shown]
	v_lshlrev_b32_e32 v25, 1, v25
	v_xor_b32_e32 v24, v66, v40
	ds_write2st64_b64 v25, v[18:19], v[20:21] offset0:80 offset1:88
	v_lshlrev_b32_e32 v23, 1, v23
	v_lshlrev_b32_e32 v25, 8, v63
	s_lshl_b64 s[26:27], s[0:1], 8
	v_or_b32_e32 v26, v23, v25
	v_lshlrev_b32_e32 v24, 1, v24
	s_add_u32 s0, s6, s26
	ds_write_b64 v26, v[18:19]
	v_or_b32_e32 v18, v24, v25
	s_addc_u32 s1, s7, s27
	ds_write_b64 v18, v[20:21]
	v_perm_b32 v19, v13, v12, s3
	v_perm_b32 v18, v11, v10, s3
	;; [unrolled: 1-line block ×4, first 2 shown]
	v_or_b32_e32 v25, 16, v63
	s_mul_hi_i32 s3, s20, s13
	s_mul_i32 s20, s20, s13
	v_lshlrev_b32_e32 v37, 2, v25
	s_add_u32 s6, s20, s33
	v_or_b32_e32 v22, v22, v37
	s_addc_u32 s7, s3, s14
	v_lshlrev_b32_e32 v22, 1, v22
	s_ashr_i32 s3, s2, 31
	s_lshl_b64 s[6:7], s[6:7], 15
	ds_write2st64_b64 v22, v[18:19], v[20:21] offset0:80 offset1:88
	v_lshlrev_b32_e32 v22, 8, v25
	s_waitcnt lgkmcnt(0)
	s_add_u32 s6, s38, s6
	v_or_b32_e32 v23, v23, v22
	s_addc_u32 s7, s39, s7
	s_lshl_b64 s[2:3], s[2:3], 8
	ds_write_b64 v23, v[18:19]
	v_or_b32_e32 v18, v24, v22
	s_add_u32 s2, s6, s2
	ds_write_b64 v18, v[20:21]
	v_lshrrev_b32_e32 v18, 4, v0
	s_addc_u32 s3, s7, s3
	v_lshlrev_b32_e32 v19, 1, v63
	v_lshlrev_b32_e32 v26, 4, v63
	v_mov_b32_e32 v27, 0
	v_or_b32_e32 v20, 1, v19
	v_xor_b32_e32 v19, v18, v19
	v_lshl_add_u64 v[28:29], s[2:3], 0, v[26:27]
	v_lshlrev_b32_e32 v26, 8, v18
	v_xor_b32_e32 v22, v20, v18
	v_lshl_or_b32 v18, v19, 3, v26
	s_waitcnt lgkmcnt(0)
	s_barrier
	ds_read2st64_b64 v[18:21], v18 offset1:8
	v_lshl_or_b32 v22, v22, 3, v26
	ds_read2st64_b64 v[22:25], v22 offset1:8
	v_lshl_add_u64 v[30:31], v[28:29], 0, v[26:27]
	s_movk_i32 s2, 0x1000
	s_waitcnt lgkmcnt(1)
	v_mov_b32_e32 v26, v18
	v_add_co_u32_e32 v18, vcc, s2, v30
	s_cmp_lg_u32 s45, 64
	v_mov_b32_e32 v27, v19
	v_addc_co_u32_e32 v19, vcc, 0, v31, vcc
	s_cselect_b64 s[6:7], -1, 0
	v_lshl_or_b32 v35, v53, 3, v65
	s_waitcnt lgkmcnt(0)
	v_mov_b32_e32 v28, v22
	v_mov_b32_e32 v29, v23
	;; [unrolled: 1-line block ×4, first 2 shown]
	s_mov_b32 s20, 0
	v_or_b32_e32 v38, 32, v35
	v_and_b32_e32 v36, 56, v64
	s_and_b64 vcc, exec, s[6:7]
	global_store_dwordx4 v[30:31], v[26:29], off
	global_store_dwordx4 v[18:19], v[22:25], off
	s_cbranch_vccz .LBB350_32
; %bb.27:
	s_mov_b32 s22, s20
	s_mov_b32 s23, s20
	;; [unrolled: 1-line block ×3, first 2 shown]
	v_mov_b64_e32 v[24:25], s[22:23]
	v_mov_b64_e32 v[22:23], s[20:21]
	v_mov_b64_e32 v[18:19], v[22:23]
	v_cmp_gt_i32_e32 vcc, s45, v35
	v_mov_b64_e32 v[20:21], v[24:25]
	s_and_saveexec_b64 s[2:3], vcc
	s_cbranch_execz .LBB350_29
; %bb.28:
	v_lshlrev_b32_e32 v18, 8, v35
	v_mov_b32_e32 v19, 0
	v_lshl_add_u64 v[20:21], s[0:1], 0, v[18:19]
	v_lshlrev_b32_e32 v18, 1, v36
	v_lshl_add_u64 v[26:27], v[20:21], 0, v[18:19]
	global_load_dwordx4 v[22:25], v[26:27], off
	global_load_dwordx4 v[18:21], v[26:27], off offset:128
.LBB350_29:
	s_or_b64 exec, exec, s[2:3]
	s_mov_b32 s22, s20
	s_mov_b32 s23, s20
	;; [unrolled: 1-line block ×3, first 2 shown]
	v_mov_b64_e32 v[32:33], s[22:23]
	v_mov_b64_e32 v[30:31], s[20:21]
	;; [unrolled: 1-line block ×3, first 2 shown]
	v_cmp_gt_i32_e32 vcc, s45, v38
	v_lshlrev_b32_e32 v39, 7, v38
	v_mov_b64_e32 v[28:29], v[32:33]
	s_and_saveexec_b64 s[2:3], vcc
	s_cbranch_execz .LBB350_31
; %bb.30:
	v_lshlrev_b32_e32 v26, 1, v39
	v_mov_b32_e32 v27, 0
	v_lshl_add_u64 v[28:29], s[0:1], 0, v[26:27]
	v_lshlrev_b32_e32 v26, 1, v36
	v_lshl_add_u64 v[42:43], v[28:29], 0, v[26:27]
	global_load_dwordx4 v[30:33], v[42:43], off
	global_load_dwordx4 v[26:29], v[42:43], off offset:128
.LBB350_31:
	s_or_b64 exec, exec, s[2:3]
	v_lshrrev_b32_e32 v41, 3, v36
	v_lshlrev_b32_e32 v42, 3, v35
	v_or_b32_e32 v41, v42, v41
	v_lshlrev_b32_e32 v41, 4, v41
	v_and_b32_e32 v42, 0x78, v42
	v_xor_b32_e32 v41, v41, v42
	s_branch .LBB350_34
.LBB350_32:
                                        ; implicit-def: $vgpr41
                                        ; implicit-def: $vgpr39
                                        ; implicit-def: $vgpr22_vgpr23_vgpr24_vgpr25
                                        ; implicit-def: $vgpr18_vgpr19_vgpr20_vgpr21
                                        ; implicit-def: $vgpr30_vgpr31_vgpr32_vgpr33
                                        ; implicit-def: $vgpr26_vgpr27_vgpr28_vgpr29
	s_cbranch_execz .LBB350_34
; %bb.33:
	s_waitcnt vmcnt(0)
	v_lshlrev_b32_e32 v18, 1, v36
	v_lshl_or_b32 v39, v35, 8, v18
	s_and_b32 s1, s1, 0xffff
	s_mov_b32 s3, 0x20000
	s_movk_i32 s2, 0x4000
	v_lshl_or_b32 v41, v38, 8, v18
	s_movk_i32 s20, 0x80
	buffer_load_dwordx4 v[22:25], v39, s[0:3], 0 offen
	buffer_load_dwordx4 v[18:21], v39, s[0:3], s20 offen
	;; [unrolled: 1-line block ×4, first 2 shown]
	v_lshrrev_b32_e32 v39, 3, v36
	v_lshlrev_b32_e32 v41, 3, v35
	v_or_b32_e32 v39, v41, v39
	v_lshlrev_b32_e32 v39, 4, v39
	v_and_b32_e32 v41, 0x78, v41
	v_xor_b32_e32 v41, v39, v41
	v_lshlrev_b32_e32 v39, 7, v38
.LBB350_34:
	s_lshl_b64 s[0:1], s[42:43], 8
	s_add_u32 s4, s4, s0
	s_movk_i32 s0, 0x1000
	v_and_or_b32 v38, v39, s0, v41
	s_waitcnt vmcnt(1)
	ds_write_b64 v41, v[22:23] offset:24576
	v_xor_b32_e32 v22, 8, v41
	ds_write_b64 v22, v[24:25] offset:24576
	s_waitcnt vmcnt(0)
	ds_write_b64 v41, v[18:19] offset:32768
	ds_write_b64 v22, v[20:21] offset:32768
	;; [unrolled: 1-line block ×3, first 2 shown]
	v_xor_b32_e32 v18, 8, v38
	ds_write_b64 v18, v[32:33] offset:24576
	ds_write_b64 v38, v[26:27] offset:32768
	;; [unrolled: 1-line block ×3, first 2 shown]
	v_or_b32_e32 v18, v60, v63
	s_addc_u32 s5, s5, s1
	s_add_i32 s20, s12, -1
	v_lshlrev_b32_e32 v18, 3, v18
	v_lshrrev_b32_e32 v19, 5, v61
	s_movk_i32 s12, 0xf8
	v_and_or_b32 v19, v18, s12, v19
	v_lshlrev_b32_e32 v23, 4, v19
	v_lshlrev_b32_e32 v41, 11, v53
	v_and_b32_e32 v24, 0x78, v18
	v_or_b32_e32 v26, 32, v23
	v_and_b32_e32 v22, 0x1000, v41
	v_lshrrev_b32_e32 v19, 1, v61
	v_xor_b32_e32 v26, v26, v24
	v_xor_b32_e32 v18, v23, v24
	v_and_b32_e32 v25, 8, v19
	v_or_b32_e32 v26, v26, v22
	v_or_b32_e32 v18, v18, v22
	v_xor_b32_e32 v45, v26, v25
	v_or_b32_e32 v26, 64, v23
	v_xor_b32_e32 v44, v18, v25
	v_xor_b32_e32 v26, v26, v24
	s_waitcnt lgkmcnt(0)
	s_barrier
	v_or_b32_e32 v28, v26, v22
	ds_read_b64 v[26:27], v44 offset:24576
	v_lshl_or_b32 v38, v62, 7, v40
	v_lshlrev_b32_e32 v42, 1, v38
	v_add_u32_e32 v18, 0xa000, v42
	ds_read2_b64 v[18:21], v18 offset1:16
	v_or_b32_e32 v23, 0x60, v23
	v_xor_b32_e32 v23, v23, v24
	s_waitcnt lgkmcnt(0)
	v_mfma_f32_16x16x16_bf16 a[0:3], v[26:27], v[18:19], 0
	v_or_b32_e32 v18, 64, v38
	v_or_b32_e32 v22, v23, v22
	v_lshlrev_b32_e32 v43, 1, v18
	v_xor_b32_e32 v46, v28, v25
	v_xor_b32_e32 v47, v22, v25
	ds_read_b64 v[28:29], v45 offset:24576
	ds_read_b64 v[30:31], v46 offset:24576
	;; [unrolled: 1-line block ×3, first 2 shown]
	v_mfma_f32_16x16x16_bf16 a[4:7], v[26:27], v[20:21], 0
	ds_read2st64_b64 v[18:21], v43 offset0:82 offset1:84
	ds_read2st64_b64 v[22:25], v42 offset0:82 offset1:84
	s_add_i32 s0, s47, s17
	s_mul_i32 s37, s37, s16
	s_add_i32 s37, s0, s37
	s_mul_i32 s0, s33, s19
	s_mul_hi_u32 s1, s33, s18
	s_ashr_i32 s2, s20, 31
	s_mul_i32 s3, s20, s35
	s_mul_hi_u32 s12, s20, s34
	s_add_i32 s0, s1, s0
	s_mul_i32 s1, s14, s18
	s_add_i32 s3, s12, s3
	s_mul_i32 s2, s2, s34
	s_waitcnt lgkmcnt(1)
	v_mfma_f32_16x16x16_bf16 a[4:7], v[28:29], v[18:19], a[4:7]
	s_add_i32 s1, s0, s1
	s_add_i32 s3, s3, s2
	s_lshl_b64 s[16:17], s[36:37], 2
	s_waitcnt lgkmcnt(0)
	v_mfma_f32_16x16x16_bf16 a[0:3], v[28:29], v[22:23], a[0:3]
	s_mul_i32 s0, s33, s18
	s_add_u32 s10, s10, s16
	s_addc_u32 s11, s11, s17
	s_lshl_b64 s[0:1], s[0:1], 2
	s_mul_i32 s2, s20, s34
	s_add_u32 s10, s10, s0
	ds_read_b64 v[18:19], v42 offset:44032
	v_mfma_f32_16x16x16_bf16 a[4:7], v[30:31], v[20:21], a[4:7]
	ds_read_b64 v[20:21], v43 offset:44032
	s_addc_u32 s11, s11, s1
	s_lshl_b64 s[0:1], s[2:3], 2
	v_mfma_f32_16x16x16_bf16 a[0:3], v[30:31], v[24:25], a[0:3]
	s_add_u32 s0, s10, s0
	s_addc_u32 s1, s11, s1
	s_load_dword s12, s[0:1], 0x0
	s_waitcnt lgkmcnt(0)
	v_mfma_f32_16x16x16_bf16 a[0:3], v[32:33], v[18:19], a[0:3]
	s_and_b64 vcc, exec, s[40:41]
	v_mfma_f32_16x16x16_bf16 a[4:7], v[32:33], v[20:21], a[4:7]
	s_cbranch_vccz .LBB350_45
; %bb.35:
	v_lshlrev_b32_e32 v38, 1, v35
	s_and_b64 vcc, exec, s[6:7]
	s_cbranch_vccz .LBB350_46
; %bb.36:
	v_cmp_gt_i32_e32 vcc, s45, v38
	v_mov_b32_e32 v22, 0
	v_mov_b32_e32 v18, 0
	;; [unrolled: 1-line block ×5, first 2 shown]
	s_and_saveexec_b64 s[0:1], vcc
	s_cbranch_execz .LBB350_38
; %bb.37:
	v_mad_i64_i32 v[18:19], s[2:3], s15, v38, 0
	v_lshl_add_u64 v[18:19], v[18:19], 1, s[4:5]
	v_lshlrev_b32_e32 v20, 1, v36
	v_mov_b32_e32 v21, 0
	v_lshl_add_u64 v[18:19], v[18:19], 0, v[20:21]
	global_load_dwordx4 v[18:21], v[18:19], off
.LBB350_38:
	s_or_b64 exec, exec, s[0:1]
	v_or_b32_e32 v39, 1, v38
	v_cmp_gt_i32_e64 s[0:1], s45, v39
	v_mov_b32_e32 v23, 0
	v_mov_b32_e32 v24, 0
	;; [unrolled: 1-line block ×3, first 2 shown]
	s_and_saveexec_b64 s[2:3], s[0:1]
	s_cbranch_execz .LBB350_40
; %bb.39:
	v_mad_i64_i32 v[22:23], s[16:17], s15, v39, 0
	v_lshl_add_u64 v[22:23], v[22:23], 1, s[4:5]
	v_lshlrev_b32_e32 v24, 1, v36
	v_mov_b32_e32 v25, 0
	v_lshl_add_u64 v[22:23], v[22:23], 0, v[24:25]
	global_load_dwordx4 v[22:25], v[22:23], off
.LBB350_40:
	s_or_b64 exec, exec, s[2:3]
	v_mov_b32_e32 v33, 0
	v_mov_b32_e32 v26, 0
	v_mov_b32_e32 v27, 0
	v_mov_b32_e32 v28, 0
	v_mov_b32_e32 v29, 0
	s_and_saveexec_b64 s[2:3], vcc
	s_cbranch_execz .LBB350_42
; %bb.41:
	v_mad_i64_i32 v[26:27], s[16:17], s15, v38, 0
	v_lshl_add_u64 v[26:27], v[26:27], 1, s[4:5]
	v_lshlrev_b32_e32 v28, 1, v36
	v_mov_b32_e32 v29, 0
	v_lshl_add_u64 v[26:27], v[26:27], 0, v[28:29]
	global_load_dwordx4 v[26:29], v[26:27], off offset:128
.LBB350_42:
	s_or_b64 exec, exec, s[2:3]
	v_mov_b32_e32 v32, 0
	v_mov_b32_e32 v31, 0
	;; [unrolled: 1-line block ×3, first 2 shown]
	s_and_saveexec_b64 s[2:3], s[0:1]
	s_cbranch_execz .LBB350_44
; %bb.43:
	v_mad_i64_i32 v[30:31], s[0:1], s15, v39, 0
	v_lshl_add_u64 v[30:31], v[30:31], 1, s[4:5]
	v_lshlrev_b32_e32 v32, 1, v36
	v_mov_b32_e32 v33, 0
	v_lshl_add_u64 v[30:31], v[30:31], 0, v[32:33]
	global_load_dwordx4 v[30:33], v[30:31], off offset:128
.LBB350_44:
	s_or_b64 exec, exec, s[2:3]
	s_branch .LBB350_48
.LBB350_45:
                                        ; implicit-def: $vgpr21
                                        ; implicit-def: $vgpr25
                                        ; implicit-def: $vgpr29
                                        ; implicit-def: $vgpr33
	v_lshrrev_b32_e32 v48, 2, v61
	s_branch .LBB350_49
.LBB350_46:
                                        ; implicit-def: $vgpr21
                                        ; implicit-def: $vgpr25
                                        ; implicit-def: $vgpr29
                                        ; implicit-def: $vgpr33
	s_cbranch_execz .LBB350_48
; %bb.47:
	s_waitcnt vmcnt(0)
	v_mad_u64_u32 v[18:19], s[0:1], v38, s15, v[36:37]
	v_lshlrev_b32_e32 v38, 1, v18
	s_lshl_b32 s2, s15, 7
	s_and_b32 s1, s5, 0xffff
	s_mov_b32 s3, 0x20000
	s_mov_b32 s0, s4
	v_add_lshl_u32 v39, v18, s15, 1
	s_movk_i32 s15, 0x80
	buffer_load_dwordx4 v[18:21], v38, s[0:3], 0 offen
	buffer_load_dwordx4 v[26:29], v38, s[0:3], s15 offen
	;; [unrolled: 1-line block ×4, first 2 shown]
.LBB350_48:
	v_lshrrev_b32_e32 v48, 2, v61
	s_cbranch_execnz .LBB350_61
.LBB350_49:
	s_and_b64 vcc, exec, s[6:7]
	s_cbranch_vccz .LBB350_59
; %bb.50:
	s_waitcnt vmcnt(0)
	v_lshlrev_b32_e32 v23, 1, v35
	v_cmp_gt_i32_e32 vcc, s45, v23
	v_mov_b32_e32 v22, 0
	v_lshlrev_b32_e32 v30, 9, v35
	v_mov_b32_e32 v18, 0
	v_mov_b32_e32 v19, 0
	v_mov_b32_e32 v20, 0
	v_mov_b32_e32 v21, 0
	s_and_saveexec_b64 s[0:1], vcc
	s_cbranch_execz .LBB350_52
; %bb.51:
	v_mov_b32_e32 v31, 0
	v_lshl_add_u64 v[18:19], s[4:5], 0, v[30:31]
	v_lshlrev_b32_e32 v20, 1, v36
	v_mov_b32_e32 v21, v31
	v_lshl_add_u64 v[18:19], v[18:19], 0, v[20:21]
	global_load_dwordx4 v[18:21], v[18:19], off
.LBB350_52:
	s_or_b64 exec, exec, s[0:1]
	v_or_b32_e32 v23, 1, v23
	v_cmp_gt_i32_e64 s[0:1], s45, v23
	v_lshlrev_b32_e32 v38, 8, v23
	v_mov_b32_e32 v23, 0
	v_mov_b32_e32 v24, 0
	v_mov_b32_e32 v25, 0
	s_and_saveexec_b64 s[2:3], s[0:1]
	s_cbranch_execz .LBB350_54
; %bb.53:
	v_mov_b32_e32 v39, 0
	v_lshl_add_u64 v[22:23], s[4:5], 0, v[38:39]
	v_lshlrev_b32_e32 v24, 1, v36
	v_mov_b32_e32 v25, v39
	v_lshl_add_u64 v[22:23], v[22:23], 0, v[24:25]
	global_load_dwordx4 v[22:25], v[22:23], off
.LBB350_54:
	s_or_b64 exec, exec, s[2:3]
	v_mov_b32_e32 v33, 0
	v_mov_b32_e32 v26, 0
	;; [unrolled: 1-line block ×5, first 2 shown]
	s_and_saveexec_b64 s[2:3], vcc
	s_cbranch_execz .LBB350_56
; %bb.55:
	v_mov_b32_e32 v31, 0
	v_lshl_add_u64 v[26:27], s[4:5], 0, v[30:31]
	v_lshlrev_b32_e32 v30, 1, v36
	v_lshl_add_u64 v[26:27], v[26:27], 0, v[30:31]
	global_load_dwordx4 v[26:29], v[26:27], off offset:128
.LBB350_56:
	s_or_b64 exec, exec, s[2:3]
	v_mov_b32_e32 v32, 0
	v_mov_b32_e32 v31, 0
	;; [unrolled: 1-line block ×3, first 2 shown]
	s_and_saveexec_b64 s[2:3], s[0:1]
	s_cbranch_execz .LBB350_58
; %bb.57:
	v_mov_b32_e32 v39, 0
	v_lshl_add_u64 v[30:31], s[4:5], 0, v[38:39]
	v_lshlrev_b32_e32 v38, 1, v36
	v_lshl_add_u64 v[30:31], v[30:31], 0, v[38:39]
	global_load_dwordx4 v[30:33], v[30:31], off offset:128
.LBB350_58:
	s_or_b64 exec, exec, s[2:3]
	s_branch .LBB350_61
.LBB350_59:
                                        ; implicit-def: $vgpr21
                                        ; implicit-def: $vgpr25
                                        ; implicit-def: $vgpr29
                                        ; implicit-def: $vgpr33
	s_cbranch_execz .LBB350_61
; %bb.60:
	s_waitcnt vmcnt(0)
	v_lshlrev_b32_e32 v18, 1, v36
	v_lshl_or_b32 v36, v35, 9, v18
	s_and_b32 s5, s5, 0xffff
	s_mov_b32 s7, 0x20000
	s_movk_i32 s6, 0x4000
	s_movk_i32 s0, 0x80
	buffer_load_dwordx4 v[18:21], v36, s[4:7], 0 offen
	buffer_load_dwordx4 v[22:25], v36, s[4:7], 0 offen offset:256
	buffer_load_dwordx4 v[26:29], v36, s[4:7], s0 offen
	buffer_load_dwordx4 v[30:33], v36, s[4:7], s0 offen offset:256
.LBB350_61:
	ds_read_b64 v[38:39], v44 offset:32768
	v_add_u32_e32 v36, 0xb000, v42
	ds_read2_b64 v[54:57], v36 offset1:16
	ds_read_b64 v[50:51], v45 offset:32768
	ds_read_b64 v[58:59], v46 offset:32768
	;; [unrolled: 1-line block ×3, first 2 shown]
	ds_read2st64_b64 v[44:47], v42 offset0:90 offset1:92
	v_and_b32_e32 v36, 12, v48
	v_and_b32_e32 v48, 6, v0
	v_xor_b32_e32 v35, v35, v48
	v_lshlrev_b32_e32 v35, 2, v35
	s_mov_b32 s0, 0x1000504
	s_waitcnt lgkmcnt(4)
	v_mfma_f32_16x16x16_bf16 a[0:3], v[38:39], v[54:55], a[0:3]
	s_mov_b32 s1, 0x3020706
	v_mfma_f32_16x16x16_bf16 a[4:7], v[38:39], v[56:57], a[4:7]
	ds_read2st64_b64 v[54:57], v43 offset0:90 offset1:92
	s_waitcnt lgkmcnt(1)
	v_mfma_f32_16x16x16_bf16 a[0:3], v[50:51], v[44:45], a[0:3]
	ds_read_b64 v[38:39], v42 offset:48128
	ds_read_b64 v[44:45], v43 offset:48128
	s_waitcnt lgkmcnt(2)
	v_mfma_f32_16x16x16_bf16 a[4:7], v[50:51], v[54:55], a[4:7]
	v_mfma_f32_16x16x16_bf16 a[0:3], v[58:59], v[46:47], a[0:3]
	v_and_b32_e32 v46, 1, v0
	v_xor_b32_e32 v47, 0x440, v35
	v_cmp_eq_u32_e32 vcc, 0, v46
	v_mfma_f32_16x16x16_bf16 a[8:11], v[58:59], v[56:57], a[4:7]
	s_nop 0
	v_cndmask_b32_e32 v35, v47, v35, vcc
	v_lshl_or_b32 v35, v48, 10, v35
	s_waitcnt lgkmcnt(1)
	v_mfma_f32_16x16x16_bf16 a[4:7], v[62:63], v[38:39], a[0:3]
	s_waitcnt vmcnt(0)
	v_perm_b32 v38, v18, v22, s0
	v_perm_b32 v39, v26, v30, s0
	ds_write2st64_b32 v35, v38, v39 offset0:32 offset1:64
	v_xor_b32_e32 v38, 8, v35
	v_perm_b32 v18, v18, v22, s1
	v_perm_b32 v22, v26, v30, s1
	v_add_u32_e32 v26, 0x80, v38
	ds_write2st64_b32 v26, v18, v22 offset0:32 offset1:64
	v_xor_b32_e32 v18, 16, v35
	v_perm_b32 v22, v19, v23, s0
	v_perm_b32 v26, v27, v31, s0
	ds_write2st64_b32 v18, v22, v26 offset0:33 offset1:65
	v_xor_b32_e32 v18, 24, v35
	v_perm_b32 v19, v19, v23, s1
	v_perm_b32 v22, v27, v31, s1
	v_add_u32_e32 v18, 0x80, v18
	ds_write2st64_b32 v18, v19, v22 offset0:33 offset1:65
	v_xor_b32_e32 v18, 32, v35
	v_perm_b32 v19, v20, v24, s0
	v_perm_b32 v22, v28, v32, s0
	ds_write2st64_b32 v18, v19, v22 offset0:34 offset1:66
	v_xor_b32_e32 v18, 40, v35
	s_waitcnt lgkmcnt(5)
	v_mfma_f32_16x16x16_bf16 a[0:3], v[62:63], v[44:45], a[8:11]
	v_perm_b32 v19, v20, v24, s1
	v_perm_b32 v20, v28, v32, s1
	v_add_u32_e32 v18, 0x80, v18
	ds_write2st64_b32 v18, v19, v20 offset0:34 offset1:66
	v_xor_b32_e32 v18, 48, v35
	v_perm_b32 v19, v21, v25, s0
	v_perm_b32 v20, v29, v33, s0
	ds_write2st64_b32 v18, v19, v20 offset0:35 offset1:67
	v_xor_b32_e32 v18, 56, v35
	v_or_b32_e32 v32, v36, v60
	v_perm_b32 v19, v21, v25, s1
	v_perm_b32 v20, v29, v33, s1
	v_add_u32_e32 v18, 0x80, v18
	v_cmp_gt_i32_e32 vcc, s45, v32
	v_mov_b32_e32 v33, 0
	v_mov_b32_e32 v39, 0
	ds_write2st64_b32 v18, v19, v20 offset0:35 offset1:67
	s_and_saveexec_b64 s[0:1], vcc
	s_cbranch_execz .LBB350_63
; %bb.62:
	v_add_u32_e32 v18, s44, v32
	v_ashrrev_i32_e32 v19, 31, v18
	v_mul_lo_u32 v20, v19, s34
	v_mul_lo_u32 v21, v18, s35
	v_mad_u64_u32 v[18:19], s[2:3], v18, s34, 0
	v_add3_u32 v19, v19, v21, v20
	v_lshl_add_u64 v[18:19], v[18:19], 2, s[10:11]
	global_load_dword v18, v[18:19], off
	s_waitcnt vmcnt(0)
	v_sub_f32_e32 v18, s12, v18
	v_mul_f32_e32 v18, 0x3fb8aa3b, v18
	v_exp_f32_e32 v39, v18
.LBB350_63:
	s_or_b64 exec, exec, s[0:1]
	v_or_b32_e32 v26, 1, v32
	v_cmp_gt_i32_e64 s[0:1], s45, v26
	s_and_saveexec_b64 s[2:3], s[0:1]
	s_cbranch_execz .LBB350_65
; %bb.64:
	v_add_u32_e32 v18, s44, v26
	v_ashrrev_i32_e32 v19, 31, v18
	v_mul_lo_u32 v20, v19, s34
	v_mul_lo_u32 v21, v18, s35
	v_mad_u64_u32 v[18:19], s[4:5], v18, s34, 0
	v_add3_u32 v19, v19, v21, v20
	v_lshl_add_u64 v[18:19], v[18:19], 2, s[10:11]
	global_load_dword v18, v[18:19], off
	s_waitcnt vmcnt(0)
	v_sub_f32_e32 v18, s12, v18
	v_mul_f32_e32 v18, 0x3fb8aa3b, v18
	v_exp_f32_e32 v33, v18
.LBB350_65:
	s_or_b64 exec, exec, s[2:3]
	v_or_b32_e32 v27, 2, v32
	v_cmp_gt_i32_e64 s[2:3], s45, v27
	v_mov_b32_e32 v38, 0
	v_mov_b32_e32 v44, 0
	s_and_saveexec_b64 s[4:5], s[2:3]
	s_cbranch_execz .LBB350_67
; %bb.66:
	v_add_u32_e32 v18, s44, v27
	v_ashrrev_i32_e32 v19, 31, v18
	v_mul_lo_u32 v20, v19, s34
	v_mul_lo_u32 v21, v18, s35
	v_mad_u64_u32 v[18:19], s[6:7], v18, s34, 0
	v_add3_u32 v19, v19, v21, v20
	v_lshl_add_u64 v[18:19], v[18:19], 2, s[10:11]
	global_load_dword v18, v[18:19], off
	s_waitcnt vmcnt(0)
	v_sub_f32_e32 v18, s12, v18
	v_mul_f32_e32 v18, 0x3fb8aa3b, v18
	v_exp_f32_e32 v44, v18
.LBB350_67:
	s_or_b64 exec, exec, s[4:5]
	v_or_b32_e32 v45, 3, v32
	v_cmp_gt_i32_e64 s[4:5], s45, v45
	s_and_saveexec_b64 s[6:7], s[4:5]
	s_cbranch_execz .LBB350_69
; %bb.68:
	v_add_u32_e32 v18, s44, v45
	v_ashrrev_i32_e32 v19, 31, v18
	v_mul_lo_u32 v20, v19, s34
	v_mul_lo_u32 v21, v18, s35
	v_mad_u64_u32 v[18:19], s[16:17], v18, s34, 0
	v_add3_u32 v19, v19, v21, v20
	v_lshl_add_u64 v[18:19], v[18:19], 2, s[10:11]
	global_load_dword v18, v[18:19], off
	s_waitcnt vmcnt(0)
	v_sub_f32_e32 v18, s12, v18
	v_mul_f32_e32 v18, 0x3fb8aa3b, v18
	v_exp_f32_e32 v38, v18
.LBB350_69:
	s_or_b64 exec, exec, s[6:7]
	s_add_u32 s6, s8, s26
	v_accvgpr_read_b32 v21, a7
	s_addc_u32 s7, s9, s27
	v_ashrrev_i32_e32 v35, 31, v34
	v_accvgpr_read_b32 v20, a6
	v_accvgpr_read_b32 v19, a5
	;; [unrolled: 1-line block ×3, first 2 shown]
	v_lshl_add_u64 v[22:23], v[34:35], 1, s[6:7]
	v_mov_b32_e32 v29, 0
	v_lshlrev_b32_e32 v24, 8, v32
	v_mov_b32_e32 v25, 0
	s_and_saveexec_b64 s[6:7], vcc
	s_cbranch_execz .LBB350_71
; %bb.70:
	v_mov_b32_e32 v25, 0
	v_lshl_add_u64 v[30:31], v[22:23], 0, v[24:25]
	global_load_ushort v25, v[30:31], off
	s_waitcnt vmcnt(0)
	v_lshlrev_b32_e32 v25, 16, v25
	v_sub_f32_e32 v18, v25, v18
	v_mul_f32_e32 v18, v39, v18
	v_lshrrev_b32_e32 v25, 16, v18
.LBB350_71:
	s_or_b64 exec, exec, s[6:7]
	v_lshlrev_b32_e32 v28, 8, v26
	s_and_saveexec_b64 s[6:7], s[0:1]
	s_cbranch_execz .LBB350_73
; %bb.72:
	v_mov_b32_e32 v29, 0
	v_lshl_add_u64 v[30:31], v[22:23], 0, v[28:29]
	global_load_ushort v18, v[30:31], off
	s_waitcnt vmcnt(0)
	v_lshlrev_b32_e32 v18, 16, v18
	v_sub_f32_e32 v18, v18, v19
	v_mul_f32_e32 v18, v33, v18
	v_lshrrev_b32_e32 v29, 16, v18
.LBB350_73:
	s_or_b64 exec, exec, s[6:7]
	v_mov_b32_e32 v46, 0
	v_lshlrev_b32_e32 v30, 8, v27
	v_mov_b32_e32 v31, 0
	s_and_saveexec_b64 s[6:7], s[2:3]
	s_cbranch_execz .LBB350_75
; %bb.74:
	v_mov_b32_e32 v31, 0
	v_lshl_add_u64 v[18:19], v[22:23], 0, v[30:31]
	global_load_ushort v18, v[18:19], off
	s_waitcnt vmcnt(0)
	v_lshlrev_b32_e32 v18, 16, v18
	v_sub_f32_e32 v18, v18, v20
	v_mul_f32_e32 v18, v44, v18
	v_lshrrev_b32_e32 v31, 16, v18
.LBB350_75:
	s_or_b64 exec, exec, s[6:7]
	v_lshlrev_b32_e32 v26, 8, v45
	s_and_saveexec_b64 s[6:7], s[4:5]
	s_cbranch_execz .LBB350_77
; %bb.76:
	v_mov_b32_e32 v27, 0
	v_lshl_add_u64 v[18:19], v[22:23], 0, v[26:27]
	global_load_ushort v18, v[18:19], off
	s_waitcnt vmcnt(0)
	v_lshlrev_b32_e32 v18, 16, v18
	v_sub_f32_e32 v18, v18, v21
	v_mul_f32_e32 v18, v38, v18
	v_lshrrev_b32_e32 v46, 16, v18
.LBB350_77:
	s_or_b64 exec, exec, s[6:7]
	v_lshlrev_b32_e32 v35, 5, v32
	s_mov_b32 s6, 0x5040100
	v_perm_b32 v47, v46, v31, s6
	v_perm_b32 v46, v29, v25, s6
	v_or_b32_e32 v25, v35, v40
	v_accvgpr_read_b32 v21, a3
	v_lshlrev_b32_e32 v25, 1, v25
	v_accvgpr_read_b32 v20, a2
	v_accvgpr_read_b32 v19, a1
	;; [unrolled: 1-line block ×3, first 2 shown]
	ds_write_b64 v25, v[46:47] offset:45056
	v_mov_b32_e32 v29, 0
	v_mov_b32_e32 v25, 0
	s_and_saveexec_b64 s[6:7], vcc
	s_cbranch_execz .LBB350_79
; %bb.78:
	v_mov_b32_e32 v25, 0
	v_lshl_add_u64 v[24:25], v[22:23], 0, v[24:25]
	global_load_ushort v24, v[24:25], off offset:32
	s_waitcnt vmcnt(0)
	v_lshlrev_b32_e32 v24, 16, v24
	v_sub_f32_e32 v18, v24, v18
	v_mul_f32_e32 v18, v39, v18
	v_lshrrev_b32_e32 v25, 16, v18
.LBB350_79:
	s_or_b64 exec, exec, s[6:7]
	s_and_saveexec_b64 s[6:7], s[0:1]
	s_cbranch_execz .LBB350_81
; %bb.80:
	v_mov_b32_e32 v29, 0
	v_lshl_add_u64 v[28:29], v[22:23], 0, v[28:29]
	global_load_ushort v18, v[28:29], off offset:32
	s_waitcnt vmcnt(0)
	v_lshlrev_b32_e32 v18, 16, v18
	v_sub_f32_e32 v18, v18, v19
	v_mul_f32_e32 v18, v33, v18
	v_lshrrev_b32_e32 v29, 16, v18
.LBB350_81:
	s_or_b64 exec, exec, s[6:7]
	v_mov_b32_e32 v24, 0
	v_mov_b32_e32 v28, 0
	s_and_saveexec_b64 s[0:1], s[2:3]
	s_cbranch_execz .LBB350_83
; %bb.82:
	v_mov_b32_e32 v31, 0
	v_lshl_add_u64 v[18:19], v[22:23], 0, v[30:31]
	global_load_ushort v18, v[18:19], off offset:32
	s_waitcnt vmcnt(0)
	v_lshlrev_b32_e32 v18, 16, v18
	v_sub_f32_e32 v18, v18, v20
	v_mul_f32_e32 v18, v44, v18
	v_lshrrev_b32_e32 v28, 16, v18
.LBB350_83:
	s_or_b64 exec, exec, s[0:1]
	v_or_b32_e32 v19, 0xb000, v42
	v_or_b32_e32 v18, 0xb000, v43
	s_and_saveexec_b64 s[0:1], s[4:5]
	s_cbranch_execz .LBB350_85
; %bb.84:
	v_mov_b32_e32 v27, 0
	v_lshl_add_u64 v[22:23], v[22:23], 0, v[26:27]
	global_load_ushort v20, v[22:23], off offset:32
	s_waitcnt vmcnt(0)
	v_lshlrev_b32_e32 v20, 16, v20
	v_sub_f32_e32 v20, v20, v21
	v_mul_f32_e32 v20, v38, v20
	v_lshrrev_b32_e32 v24, 16, v20
.LBB350_85:
	s_or_b64 exec, exec, s[0:1]
	s_mov_b32 s0, 0x5040100
	v_or_b32_e32 v22, v35, v37
	v_perm_b32 v21, v24, v28, s0
	v_perm_b32 v20, v29, v25, s0
	v_lshlrev_b32_e32 v22, 1, v22
	s_movk_i32 s2, 0x100
	ds_write_b64 v22, v[20:21] offset:45056
	v_and_b32_e32 v20, 7, v0
	v_and_b32_e32 v21, 8, v0
	v_cmp_gt_u32_e32 vcc, s2, v0
	v_lshrrev_b32_e32 v0, 1, v0
	v_lshlrev_b32_e32 v26, 3, v20
	v_lshlrev_b32_e32 v35, 7, v20
	v_mov_b32_e32 v20, 0x4000
	v_mov_b32_e32 v22, 0x2000
	v_lshlrev_b32_e32 v24, 3, v53
	v_and_b32_e32 v0, 24, v0
	v_cndmask_b32_e32 v27, v20, v22, vcc
	v_xor_b32_e32 v20, v24, v0
	v_or_b32_e32 v22, 0x440, v20
	v_cmp_eq_u32_e32 vcc, 0, v21
	v_or_b32_e32 v28, 32, v0
	v_xor_b32_e32 v28, v24, v28
	v_cndmask_b32_e32 v20, v22, v20, vcc
	v_or_b32_e32 v20, v20, v41
	v_xor_b32_e32 v50, v20, v26
	v_or_b32_e32 v29, 0x440, v28
	v_add3_u32 v25, v27, v50, v35
	v_cndmask_b32_e32 v28, v29, v28, vcc
	v_or_b32_e32 v29, 64, v0
	v_or_b32_e32 v0, 0x60, v0
	s_waitcnt lgkmcnt(0)
	s_barrier
	v_xor_b32_e32 v29, v24, v29
	v_xor_b32_e32 v0, v24, v0
	ds_read_b64 v[24:25], v25
	v_xor_b32_e32 v30, 0x440, v29
	ds_read2_b64 v[20:23], v19 offset1:16
	v_cndmask_b32_e32 v29, v30, v29, vcc
	v_xor_b32_e32 v30, 0x440, v0
	v_or_b32_e32 v28, v28, v41
	v_or_b32_e32 v29, v29, v41
	v_cndmask_b32_e32 v0, v30, v0, vcc
	s_add_i32 s0, s20, s46
	v_xor_b32_e32 v51, v28, v26
	v_xor_b32_e32 v52, v29, v26
	v_or_b32_e32 v0, v0, v41
	s_mul_hi_i32 s1, s0, s13
	v_add3_u32 v28, v27, v51, v35
	v_add3_u32 v29, v27, v52, v35
	v_xor_b32_e32 v54, v0, v26
	s_mul_i32 s0, s0, s13
	v_add3_u32 v0, v27, v54, v35
	ds_read_b64 v[26:27], v28
	ds_read_b64 v[46:47], v29
	;; [unrolled: 1-line block ×3, first 2 shown]
	s_add_u32 s0, s0, s33
	ds_read2st64_b64 v[28:31], v19 offset0:2 offset1:4
	ds_read2st64_b64 v[38:41], v18 offset0:2 offset1:4
	s_waitcnt lgkmcnt(5)
	v_mfma_f32_16x16x16_bf16 a[0:3], v[24:25], v[20:21], 0
	s_addc_u32 s1, s1, s14
	s_lshl_b64 s[0:1], s[0:1], 9
	s_add_u32 s0, s30, s0
	v_mfma_f32_16x16x16_bf16 a[4:7], v[24:25], v[22:23], 0
	s_addc_u32 s1, s31, s1
	v_lshlrev_b32_e32 v0, 2, v32
	v_lshlrev_b32_e32 v32, 2, v36
	s_waitcnt lgkmcnt(1)
	v_mfma_f32_16x16x16_bf16 a[0:3], v[26:27], v[28:29], a[0:3]
	ds_read_b64 v[36:37], v18 offset:3072
	s_waitcnt lgkmcnt(1)
	v_mfma_f32_16x16x16_bf16 a[4:7], v[26:27], v[38:39], a[4:7]
	global_load_dwordx4 v[24:27], v0, s[0:1]
	v_lshlrev_b32_e32 v0, 6, v53
	v_or3_b32 v0, v0, v32, s2
	global_load_dwordx4 v[42:45], v0, s[0:1]
	ds_read_b64 v[32:33], v19 offset:3072
	v_mfma_f32_16x16x16_bf16 a[0:3], v[46:47], v[30:31], a[0:3]
	v_mov_b32_e32 v0, 0x3fb8aa3b
	v_mul_f32_e32 v0, s12, v0
	v_exp_f32_e32 v0, v0
	v_mfma_f32_16x16x16_bf16 a[4:7], v[46:47], v[40:41], a[4:7]
	s_waitcnt vmcnt(1)
	v_mul_f32_e32 v18, 0x3fb8aa3b, v24
	v_mul_f32_e32 v19, 0x3fb8aa3b, v25
	v_exp_f32_e32 v18, v18
	v_exp_f32_e32 v19, v19
	s_waitcnt lgkmcnt(0)
	v_mfma_f32_16x16x16_bf16 a[0:3], v[48:49], v[32:33], a[0:3]
	v_mul_f32_e32 v24, 0x3fb8aa3b, v26
	v_mul_f32_e32 v25, 0x3fb8aa3b, v27
	v_pk_mul_f32 v[46:47], v[0:1], v[18:19] op_sel_hi:[0,1]
	v_add_u32_e32 v18, v50, v35
	v_exp_f32_e32 v24, v24
	v_exp_f32_e32 v25, v25
	v_add_u32_e32 v50, v52, v35
	v_accvgpr_read_b32 v27, a3
	v_accvgpr_read_b32 v26, a2
	v_mfma_f32_16x16x16_bf16 a[2:5], v[48:49], v[36:37], a[4:7]
	ds_read_b64 v[48:49], v18 offset:16384
	v_accvgpr_read_b32 v19, a1
	v_accvgpr_read_b32 v18, a0
	v_pk_fma_f32 v[18:19], v[2:3], v[46:47], v[18:19]
	v_add_u32_e32 v2, v51, v35
	s_waitcnt lgkmcnt(0)
	v_mfma_f32_16x16x16_bf16 a[6:9], v[48:49], v[20:21], 0
	v_add_u32_e32 v35, v54, v35
	ds_read_b64 v[2:3], v2 offset:16384
	ds_read_b64 v[50:51], v50 offset:16384
	;; [unrolled: 1-line block ×3, first 2 shown]
	v_pk_mul_f32 v[24:25], v[0:1], v[24:25] op_sel_hi:[0,1]
	v_pk_fma_f32 v[20:21], v[4:5], v[24:25], v[26:27]
	v_accvgpr_read_b32 v4, a2
	v_mfma_f32_16x16x16_bf16 a[10:13], v[48:49], v[22:23], 0
	v_fma_f32 v26, v10, v46, v4
	v_accvgpr_read_b32 v4, a3
	v_fma_f32 v27, v11, v47, v4
	s_waitcnt lgkmcnt(2)
	v_mfma_f32_16x16x16_bf16 a[0:3], v[2:3], v[28:29], a[6:9]
	v_accvgpr_read_b32 v4, a4
	v_accvgpr_read_b32 v29, a5
	v_fma_f32 v28, v12, v24, v4
	v_mfma_f32_16x16x16_bf16 a[4:7], v[2:3], v[38:39], a[10:13]
	s_waitcnt vmcnt(0)
	v_mov_b32_e32 v2, v43
	v_mov_b32_e32 v3, v44
	;; [unrolled: 1-line block ×3, first 2 shown]
	s_waitcnt lgkmcnt(1)
	v_mfma_f32_16x16x16_bf16 a[0:3], v[50:51], v[30:31], a[0:3]
	v_mul_f32_e32 v2, 0x3fb8aa3b, v2
	v_mul_f32_e32 v5, 0x3fb8aa3b, v42
	v_exp_f32_e32 v11, v2
	v_mfma_f32_16x16x16_bf16 a[4:7], v[50:51], v[40:41], a[4:7]
	v_mul_f32_e32 v2, 0x3fb8aa3b, v3
	v_mul_f32_e32 v3, 0x3fb8aa3b, v4
	v_exp_f32_e32 v10, v5
	s_waitcnt lgkmcnt(0)
	v_mfma_f32_16x16x16_bf16 a[0:3], v[52:53], v[32:33], a[0:3]
	v_exp_f32_e32 v2, v2
	v_exp_f32_e32 v3, v3
	v_pk_mul_f32 v[10:11], v[0:1], v[10:11] op_sel_hi:[0,1]
	v_fmac_f32_e32 v29, v13, v25
	v_mov_b32_e32 v35, v34
	v_pk_mul_f32 v[2:3], v[0:1], v[2:3] op_sel_hi:[0,1]
	s_nop 0
	v_accvgpr_read_b32 v5, a3
	v_accvgpr_read_b32 v4, a2
	v_mfma_f32_16x16x16_bf16 a[2:5], v[52:53], v[36:37], a[4:7]
	v_accvgpr_read_b32 v13, a1
	v_accvgpr_read_b32 v12, a0
	v_pk_fma_f32 v[22:23], v[6:7], v[10:11], v[12:13]
	v_pk_fma_f32 v[24:25], v[8:9], v[2:3], v[4:5]
	s_nop 2
	v_accvgpr_read_b32 v0, a2
	v_fma_f32 v30, v14, v10, v0
	v_accvgpr_read_b32 v0, a3
	v_fma_f32 v31, v15, v11, v0
	v_accvgpr_read_b32 v0, a4
	v_accvgpr_read_b32 v33, a5
	v_fma_f32 v32, v16, v2, v0
	v_fmac_f32_e32 v33, v17, v3
	v_mov_b64_e32 v[2:3], v[18:19]
	v_mov_b64_e32 v[4:5], v[20:21]
	;; [unrolled: 1-line block ×8, first 2 shown]
.LBB350_86:
	s_lshl_b64 s[0:1], s[24:25], 15
	s_waitcnt lgkmcnt(0)
	s_add_u32 s0, s28, s0
	v_lshlrev_b32_e32 v18, 7, v35
	s_addc_u32 s1, s29, s1
	v_ashrrev_i32_e32 v19, 31, v18
	v_lshl_add_u64 v[20:21], v[18:19], 1, s[0:1]
	v_lshlrev_b32_e32 v0, 1, v1
	v_mov_b32_e32 v1, 0
	s_mov_b32 s2, 0x7060302
	v_lshl_add_u64 v[20:21], v[20:21], 0, v[0:1]
	v_perm_b32 v5, v5, v4, s2
	v_perm_b32 v4, v3, v2, s2
	;; [unrolled: 1-line block ×4, first 2 shown]
	global_store_dwordx2 v[20:21], v[2:3], off offset:128
	v_or_b32_e32 v2, 0x800, v18
	v_ashrrev_i32_e32 v3, 31, v2
	v_lshl_add_u64 v[2:3], v[2:3], 1, s[0:1]
	v_lshl_add_u64 v[0:1], v[2:3], 0, v[0:1]
	v_perm_b32 v3, v13, v12, s2
	v_perm_b32 v2, v11, v10, s2
	global_store_dwordx2 v[0:1], v[2:3], off
	v_perm_b32 v3, v17, v16, s2
	v_perm_b32 v2, v15, v14, s2
	global_store_dwordx2 v[20:21], v[4:5], off
	global_store_dwordx2 v[0:1], v[2:3], off offset:128
	s_endpgm
	.section	.rodata,"a",@progbits
	.p2align	6, 0x0
	.amdhsa_kernel _ZN12_GLOBAL__N_139chunk_gated_delta_rule_fwd_h_hip_kernelILi32ELb0ELb1ELb0ELb0ELb0ELb1ELb0ELb1EEEvPK12hip_bfloat16S3_S3_PKfS5_PKvPS1_S8_PvPKiSB_iiiiilll
		.amdhsa_group_segment_fixed_size 49152
		.amdhsa_private_segment_fixed_size 0
		.amdhsa_kernarg_size 136
		.amdhsa_user_sgpr_count 2
		.amdhsa_user_sgpr_dispatch_ptr 0
		.amdhsa_user_sgpr_queue_ptr 0
		.amdhsa_user_sgpr_kernarg_segment_ptr 1
		.amdhsa_user_sgpr_dispatch_id 0
		.amdhsa_user_sgpr_kernarg_preload_length 0
		.amdhsa_user_sgpr_kernarg_preload_offset 0
		.amdhsa_user_sgpr_private_segment_size 0
		.amdhsa_uses_dynamic_stack 0
		.amdhsa_enable_private_segment 0
		.amdhsa_system_sgpr_workgroup_id_x 1
		.amdhsa_system_sgpr_workgroup_id_y 1
		.amdhsa_system_sgpr_workgroup_id_z 0
		.amdhsa_system_sgpr_workgroup_info 0
		.amdhsa_system_vgpr_workitem_id 0
		.amdhsa_next_free_vgpr 164
		.amdhsa_next_free_sgpr 67
		.amdhsa_accum_offset 140
		.amdhsa_reserve_vcc 1
		.amdhsa_float_round_mode_32 0
		.amdhsa_float_round_mode_16_64 0
		.amdhsa_float_denorm_mode_32 3
		.amdhsa_float_denorm_mode_16_64 3
		.amdhsa_dx10_clamp 1
		.amdhsa_ieee_mode 1
		.amdhsa_fp16_overflow 0
		.amdhsa_tg_split 0
		.amdhsa_exception_fp_ieee_invalid_op 0
		.amdhsa_exception_fp_denorm_src 0
		.amdhsa_exception_fp_ieee_div_zero 0
		.amdhsa_exception_fp_ieee_overflow 0
		.amdhsa_exception_fp_ieee_underflow 0
		.amdhsa_exception_fp_ieee_inexact 0
		.amdhsa_exception_int_div_zero 0
	.end_amdhsa_kernel
	.section	.text._ZN12_GLOBAL__N_139chunk_gated_delta_rule_fwd_h_hip_kernelILi32ELb0ELb1ELb0ELb0ELb0ELb1ELb0ELb1EEEvPK12hip_bfloat16S3_S3_PKfS5_PKvPS1_S8_PvPKiSB_iiiiilll,"axG",@progbits,_ZN12_GLOBAL__N_139chunk_gated_delta_rule_fwd_h_hip_kernelILi32ELb0ELb1ELb0ELb0ELb0ELb1ELb0ELb1EEEvPK12hip_bfloat16S3_S3_PKfS5_PKvPS1_S8_PvPKiSB_iiiiilll,comdat
.Lfunc_end350:
	.size	_ZN12_GLOBAL__N_139chunk_gated_delta_rule_fwd_h_hip_kernelILi32ELb0ELb1ELb0ELb0ELb0ELb1ELb0ELb1EEEvPK12hip_bfloat16S3_S3_PKfS5_PKvPS1_S8_PvPKiSB_iiiiilll, .Lfunc_end350-_ZN12_GLOBAL__N_139chunk_gated_delta_rule_fwd_h_hip_kernelILi32ELb0ELb1ELb0ELb0ELb0ELb1ELb0ELb1EEEvPK12hip_bfloat16S3_S3_PKfS5_PKvPS1_S8_PvPKiSB_iiiiilll
                                        ; -- End function
	.section	.AMDGPU.csdata,"",@progbits
; Kernel info:
; codeLenInByte = 9960
; NumSgprs: 73
; NumVgprs: 140
; NumAgprs: 24
; TotalNumVgprs: 164
; ScratchSize: 0
; MemoryBound: 0
; FloatMode: 240
; IeeeMode: 1
; LDSByteSize: 49152 bytes/workgroup (compile time only)
; SGPRBlocks: 9
; VGPRBlocks: 20
; NumSGPRsForWavesPerEU: 73
; NumVGPRsForWavesPerEU: 164
; AccumOffset: 140
; Occupancy: 1
; WaveLimiterHint : 1
; COMPUTE_PGM_RSRC2:SCRATCH_EN: 0
; COMPUTE_PGM_RSRC2:USER_SGPR: 2
; COMPUTE_PGM_RSRC2:TRAP_HANDLER: 0
; COMPUTE_PGM_RSRC2:TGID_X_EN: 1
; COMPUTE_PGM_RSRC2:TGID_Y_EN: 1
; COMPUTE_PGM_RSRC2:TGID_Z_EN: 0
; COMPUTE_PGM_RSRC2:TIDIG_COMP_CNT: 0
; COMPUTE_PGM_RSRC3_GFX90A:ACCUM_OFFSET: 34
; COMPUTE_PGM_RSRC3_GFX90A:TG_SPLIT: 0
	.section	.text._ZN12_GLOBAL__N_139chunk_gated_delta_rule_fwd_h_hip_kernelILi32ELb0ELb0ELb1ELb0ELb0ELb1ELb0ELb1EEEvPK12hip_bfloat16S3_S3_PKfS5_PKvPS1_S8_PvPKiSB_iiiiilll,"axG",@progbits,_ZN12_GLOBAL__N_139chunk_gated_delta_rule_fwd_h_hip_kernelILi32ELb0ELb0ELb1ELb0ELb0ELb1ELb0ELb1EEEvPK12hip_bfloat16S3_S3_PKfS5_PKvPS1_S8_PvPKiSB_iiiiilll,comdat
	.globl	_ZN12_GLOBAL__N_139chunk_gated_delta_rule_fwd_h_hip_kernelILi32ELb0ELb0ELb1ELb0ELb0ELb1ELb0ELb1EEEvPK12hip_bfloat16S3_S3_PKfS5_PKvPS1_S8_PvPKiSB_iiiiilll ; -- Begin function _ZN12_GLOBAL__N_139chunk_gated_delta_rule_fwd_h_hip_kernelILi32ELb0ELb0ELb1ELb0ELb0ELb1ELb0ELb1EEEvPK12hip_bfloat16S3_S3_PKfS5_PKvPS1_S8_PvPKiSB_iiiiilll
	.p2align	8
	.type	_ZN12_GLOBAL__N_139chunk_gated_delta_rule_fwd_h_hip_kernelILi32ELb0ELb0ELb1ELb0ELb0ELb1ELb0ELb1EEEvPK12hip_bfloat16S3_S3_PKfS5_PKvPS1_S8_PvPKiSB_iiiiilll,@function
_ZN12_GLOBAL__N_139chunk_gated_delta_rule_fwd_h_hip_kernelILi32ELb0ELb0ELb1ELb0ELb0ELb1ELb0ELb1EEEvPK12hip_bfloat16S3_S3_PKfS5_PKvPS1_S8_PvPKiSB_iiiiilll: ; @_ZN12_GLOBAL__N_139chunk_gated_delta_rule_fwd_h_hip_kernelILi32ELb0ELb0ELb1ELb0ELb0ELb1ELb0ELb1EEEvPK12hip_bfloat16S3_S3_PKfS5_PKvPS1_S8_PvPKiSB_iiiiilll
; %bb.0:
	s_load_dwordx4 s[16:19], s[0:1], 0x5c
	s_load_dwordx4 s[12:15], s[0:1], 0x30
	s_abs_i32 s22, s3
	s_ashr_i32 s21, s3, 31
	s_load_dwordx8 s[4:11], s[0:1], 0x0
	s_waitcnt lgkmcnt(0)
	s_abs_i32 s20, s17
	v_cvt_f32_u32_e32 v1, s20
	s_sub_i32 s24, 0, s20
	s_ashr_i32 s23, s17, 31
	s_xor_b32 s21, s21, s23
	v_rcp_iflag_f32_e32 v1, v1
	v_lshrrev_b32_e32 v63, 6, v0
	v_bfe_u32 v64, v0, 4, 2
	v_lshlrev_b32_e32 v2, 2, v64
	v_mul_f32_e32 v1, 0x4f7ffffe, v1
	v_cvt_u32_f32_e32 v1, v1
	v_and_b32_e32 v62, 63, v0
	v_mov_b32_e32 v5, 0
	v_and_b32_e32 v45, 15, v0
	v_readfirstlane_b32 s25, v1
	s_mul_i32 s24, s24, s25
	s_mul_hi_u32 s24, s25, s24
	s_add_i32 s25, s25, s24
	s_mul_hi_u32 s24, s22, s25
	s_mul_i32 s25, s24, s20
	s_sub_i32 s22, s22, s25
	s_add_i32 s26, s24, 1
	s_sub_i32 s25, s22, s20
	s_cmp_ge_u32 s22, s20
	s_cselect_b32 s24, s26, s24
	s_cselect_b32 s22, s25, s22
	s_add_i32 s25, s24, 1
	s_cmp_ge_u32 s22, s20
	s_cselect_b32 s22, s25, s24
	s_abs_i32 s24, s18
	v_cvt_f32_u32_e32 v1, s24
	s_xor_b32 s22, s22, s21
	s_ashr_i32 s48, s16, 31
	s_sub_i32 s50, s22, s21
	v_rcp_iflag_f32_e32 v1, v1
	s_lshr_b32 s21, s48, 26
	s_add_i32 s21, s16, s21
	s_ashr_i32 s51, s18, 31
	v_mul_f32_e32 v1, 0x4f7ffffe, v1
	v_cvt_u32_f32_e32 v1, v1
	s_ashr_i32 s49, s21, 6
	s_xor_b32 s21, s23, s51
	s_sub_i32 s22, 0, s24
	v_readfirstlane_b32 s23, v1
	s_mul_i32 s22, s22, s23
	s_mul_hi_u32 s22, s23, s22
	s_add_i32 s23, s23, s22
	s_mul_hi_u32 s22, s20, s23
	s_mul_i32 s23, s22, s24
	s_mul_i32 s47, s50, s17
	s_sub_i32 s20, s20, s23
	s_sub_i32 s33, s3, s47
	s_add_i32 s3, s16, 63
	s_add_i32 s23, s22, 1
	s_sub_i32 s25, s20, s24
	s_cmp_ge_u32 s20, s24
	s_cselect_b32 s22, s23, s22
	s_cselect_b32 s20, s25, s20
	s_add_i32 s23, s22, 1
	s_cmp_ge_u32 s20, s24
	s_cselect_b32 s20, s23, s22
	s_xor_b32 s20, s20, s21
	s_sub_i32 s24, s20, s21
	s_abs_i32 s25, s24
	v_cvt_f32_u32_e32 v1, s25
	s_sub_i32 s27, 0, s25
	s_abs_i32 s26, s33
	s_xor_b32 s24, s33, s24
	v_rcp_iflag_f32_e32 v1, v1
	s_ashr_i32 s24, s24, 31
	s_load_dwordx2 s[34:35], s[0:1], 0x80
	s_load_dwordx4 s[20:23], s[0:1], 0x70
	s_mul_hi_i32 s53, s50, s17
	v_mul_f32_e32 v1, 0x4f7ffffe, v1
	v_cvt_u32_f32_e32 v1, v1
	v_lshrrev_b32_e32 v66, 3, v62
	v_lshlrev_b32_e32 v65, 3, v0
	s_waitcnt lgkmcnt(0)
	s_mul_i32 s21, s50, s21
	v_readfirstlane_b32 s28, v1
	s_mul_i32 s27, s27, s28
	s_mul_hi_u32 s27, s28, s27
	s_add_i32 s28, s28, s27
	s_mul_hi_u32 s27, s26, s28
	s_mul_i32 s28, s27, s25
	s_sub_i32 s26, s26, s28
	s_add_i32 s28, s27, 1
	s_sub_i32 s29, s26, s25
	s_cmp_ge_u32 s26, s25
	s_cselect_b32 s27, s28, s27
	s_cselect_b32 s26, s29, s26
	s_add_i32 s28, s27, 1
	s_cmp_ge_u32 s26, s25
	s_cselect_b32 s25, s28, s27
	s_xor_b32 s25, s25, s24
	s_sub_i32 s54, s25, s24
	s_ashr_i32 s24, s3, 31
	s_lshr_b32 s24, s24, 26
	v_lshlrev_b32_e32 v1, 4, v63
	s_add_i32 s3, s3, s24
	v_or_b32_e32 v67, v2, v1
	s_ashr_i32 s3, s3, 6
	s_lshl_b32 s36, s2, 5
	s_mul_i32 s52, s50, s3
	v_or_b32_e32 v68, 64, v67
	s_cmp_lt_i32 s16, 64
	s_mul_hi_u32 s46, s50, s20
	s_mul_i32 s38, s50, s20
	v_mov_b32_e32 v85, 0
	v_mov_b32_e32 v83, 0
	;; [unrolled: 1-line block ×15, first 2 shown]
	s_cbranch_scc1 .LBB351_18
; %bb.1:
	s_ashr_i32 s28, s50, 31
	s_ashr_i32 s56, s33, 31
	s_add_u32 s2, s47, s33
	s_addc_u32 s3, s53, s56
	s_mul_i32 s3, s16, s3
	s_mul_hi_u32 s24, s16, s2
	s_add_i32 s41, s24, s3
	s_mul_i32 s40, s16, s2
	s_lshl_b64 s[2:3], s[40:41], 8
	v_and_b32_e32 v70, 56, v65
	s_add_u32 s24, s6, s2
	v_lshl_or_b32 v69, v63, 3, v66
	v_lshlrev_b32_e32 v3, 1, v70
	s_addc_u32 s2, s7, s3
	v_lshl_or_b32 v71, v69, 8, v3
	s_and_b32 s25, s2, 0xffff
	s_mov_b32 s27, 0x20000
	s_movk_i32 s26, 0x4000
	s_movk_i32 s2, 0x80
	v_or_b32_e32 v72, 0x2000, v71
	buffer_load_dwordx4 v[4:7], v71, s[24:27], 0 offen
	buffer_load_dwordx4 v[8:11], v71, s[24:27], s2 offen
	;; [unrolled: 1-line block ×4, first 2 shown]
	v_lshlrev_b32_e32 v20, 3, v69
	v_and_or_b32 v22, v0, 7, v20
	v_and_b32_e32 v20, 0x78, v20
	v_lshlrev_b32_e32 v22, 4, v22
	v_xor_b32_e32 v73, v22, v20
	v_mul_lo_u32 v21, v69, s19
	v_or_b32_e32 v74, 0x1000, v73
	s_cmpk_eq_i32 s19, 0x80
	s_mov_b32 s55, s18
	v_xor_b32_e32 v20, 8, v73
	v_xor_b32_e32 v22, 8, v74
	s_cselect_b64 s[2:3], -1, 0
	s_cmpk_lg_i32 s19, 0x80
	s_waitcnt vmcnt(3)
	ds_write_b64 v73, v[4:5] offset:24576
	ds_write_b64 v20, v[6:7] offset:24576
	s_waitcnt vmcnt(2)
	ds_write_b64 v73, v[8:9] offset:32768
	ds_write_b64 v20, v[10:11] offset:32768
	;; [unrolled: 3-line block ×4, first 2 shown]
	v_lshl_add_u32 v4, v21, 1, v70
	s_cbranch_scc0 .LBB351_3
; %bb.2:
	v_lshlrev_b32_e32 v6, 1, v4
	v_add_lshl_u32 v5, v4, s19, 1
	s_lshl_b32 s26, s19, 7
	s_load_dwordx2 s[42:43], s[0:1], 0x20
	v_lshl_or_b32 v3, v69, 9, v3
	s_cbranch_execz .LBB351_4
	s_branch .LBB351_5
.LBB351_3:
                                        ; implicit-def: $vgpr5
                                        ; implicit-def: $vgpr6
                                        ; implicit-def: $sgpr26
	s_load_dwordx2 s[42:43], s[0:1], 0x20
	v_lshl_or_b32 v3, v69, 9, v3
.LBB351_4:
	v_or_b32_e32 v5, 0x100, v3
	s_movk_i32 s26, 0x4000
	v_mov_b32_e32 v6, v3
.LBB351_5:
	s_mul_hi_u32 s0, s18, s16
	s_mul_i32 s1, s51, s16
	s_add_i32 s0, s0, s1
	s_mul_i32 s1, s18, s16
	s_mul_i32 s24, s1, s28
	s_mul_hi_u32 s25, s1, s50
	s_add_i32 s24, s25, s24
	s_mul_i32 s0, s0, s50
	s_add_i32 s24, s24, s0
	s_mul_i32 s1, s1, s50
	s_ashr_i32 s57, s54, 31
	s_add_u32 s0, s1, s54
	s_addc_u32 s1, s24, s57
	s_lshl_b64 s[0:1], s[0:1], 8
	s_add_u32 s24, s4, s0
	s_addc_u32 s0, s5, s1
	s_and_b32 s25, s0, 0xffff
	s_movk_i32 s58, 0x80
	buffer_load_dwordx4 v[8:11], v6, s[24:27], 0 offen
	buffer_load_dwordx4 v[12:15], v6, s[24:27], s58 offen
	;; [unrolled: 1-line block ×4, first 2 shown]
	v_and_b32_e32 v5, 6, v0
	v_lshlrev_b32_e32 v24, 6, v67
	v_or_b32_e32 v26, 16, v45
	v_xor_b32_e32 v27, v69, v5
	v_and_b32_e32 v6, 1, v0
	s_mul_i32 s0, s28, s16
	s_mul_hi_u32 s1, s50, s16
	v_lshl_or_b32 v30, v45, 3, v24
	v_lshl_or_b32 v24, v26, 3, v24
	v_lshlrev_b32_e32 v27, 2, v27
	v_lshlrev_b32_e32 v7, 2, v45
	v_or_b32_e32 v77, 0xa000, v24
	v_or_b32_e32 v78, 0xb000, v24
	v_xor_b32_e32 v24, 0x440, v27
	v_cmp_eq_u32_e32 vcc, 0, v6
	s_add_i32 s63, s1, s0
	s_add_i32 s0, s46, s21
	s_mul_i32 s28, s28, s20
	v_xor_b32_e32 v28, v67, v7
	v_xor_b32_e32 v29, v68, v7
	v_cndmask_b32_e32 v6, v24, v27, vcc
	s_add_i32 s39, s0, s28
	s_mul_i32 s0, s33, s23
	s_mul_hi_u32 s1, s33, s22
	s_mov_b32 s61, 0x1000504
	v_lshlrev_b32_e32 v25, 8, v45
	v_lshlrev_b32_e32 v28, 1, v28
	;; [unrolled: 1-line block ×3, first 2 shown]
	v_lshl_or_b32 v5, v5, 10, v6
	s_add_i32 s0, s1, s0
	s_mul_i32 s1, s56, s22
	s_mov_b32 s62, 0x3020706
	v_or_b32_e32 v75, 0xa000, v30
	v_or_b32_e32 v76, 0xb000, v30
	;; [unrolled: 1-line block ×4, first 2 shown]
	v_xor_b32_e32 v6, 8, v5
	v_xor_b32_e32 v25, 24, v5
	;; [unrolled: 1-line block ×4, first 2 shown]
	s_add_i32 s1, s0, s1
	s_lshl_b64 s[24:25], s[38:39], 2
	v_xor_b32_e32 v24, 16, v5
	v_xor_b32_e32 v27, 32, v5
	;; [unrolled: 1-line block ×3, first 2 shown]
	v_add_u32_e32 v6, 0x80, v6
	v_add_u32_e32 v25, 0x80, v25
	;; [unrolled: 1-line block ×4, first 2 shown]
	s_mul_i32 s0, s33, s22
	s_add_u32 s24, s10, s24
	s_addc_u32 s25, s11, s25
	s_lshl_b64 s[0:1], s[0:1], 2
	s_add_u32 s44, s24, s0
	s_movk_i32 s0, 0xf8
	s_addc_u32 s45, s25, s1
	s_ashr_i32 s37, s36, 31
	s_lshl_b32 s30, s19, 7
	s_movk_i32 s24, 0x100
	v_mov_b32_e32 v55, 0
	v_lshlrev_b32_e32 v54, 4, v45
	v_cmp_gt_u32_e32 vcc, s24, v0
	s_mul_i32 s59, s50, s16
	s_mov_b32 s60, 0
	s_movk_i32 s39, 0x1000
	s_movk_i32 s26, 0x4000
	v_add_u32_e32 v102, v1, v2
	s_mov_b32 s64, 0x7060302
	v_mov_b32_e32 v113, 0x3fb8aa3b
	s_mov_b32 s66, 0
	v_mov_b32_e32 v50, v55
	v_mov_b32_e32 v51, v55
	;; [unrolled: 1-line block ×8, first 2 shown]
	s_waitcnt vmcnt(1)
	v_perm_b32 v33, v8, v16, s61
	s_waitcnt vmcnt(0)
	v_perm_b32 v34, v12, v20, s61
	v_perm_b32 v8, v8, v16, s62
	;; [unrolled: 1-line block ×15, first 2 shown]
	ds_write2st64_b32 v5, v33, v34 offset0:32 offset1:64
	ds_write2st64_b32 v6, v8, v12 offset0:32 offset1:64
	;; [unrolled: 1-line block ×8, first 2 shown]
	v_lshlrev_b32_e32 v5, 8, v26
	v_or_b32_e32 v81, v5, v28
	v_or_b32_e32 v82, v5, v29
	v_or_b32_e32 v5, v1, v45
	v_lshlrev_b32_e32 v5, 3, v5
	v_lshrrev_b32_e32 v8, 5, v62
	v_and_or_b32 v8, v5, s0, v8
	v_lshrrev_b32_e32 v6, 2, v62
	v_lshlrev_b32_e32 v11, 11, v63
	v_lshlrev_b32_e32 v8, 4, v8
	v_and_b32_e32 v5, 0x78, v5
	v_and_b32_e32 v9, 12, v6
	;; [unrolled: 1-line block ×3, first 2 shown]
	v_xor_b32_e32 v10, v8, v5
	v_lshrrev_b32_e32 v12, 1, v62
	v_or_b32_e32 v10, v10, v6
	v_and_b32_e32 v12, 8, v12
	v_xor_b32_e32 v89, v10, v12
	v_or_b32_e32 v10, 32, v8
	v_xor_b32_e32 v10, v10, v5
	v_or_b32_e32 v10, v10, v6
	;; [unrolled: 2-line block ×3, first 2 shown]
	v_or_b32_e32 v8, 0x60, v8
	v_xor_b32_e32 v10, v10, v5
	v_xor_b32_e32 v5, v8, v5
	s_lshl_b64 s[0:1], s[36:37], 8
	v_or_b32_e32 v10, v10, v6
	v_or_b32_e32 v5, v5, v6
	v_lshlrev_b32_e32 v14, 1, v4
	v_add_lshl_u32 v15, v4, s19, 1
	s_add_u32 s0, s12, s0
	v_lshlrev_b32_e32 v4, 1, v45
	v_xor_b32_e32 v93, v10, v12
	v_xor_b32_e32 v94, v5, v12
	v_lshrrev_b32_e32 v10, 4, v0
	s_addc_u32 s1, s13, s1
	v_or_b32_e32 v5, 1, v4
	v_mov_b32_e32 v20, 0x4000
	v_mov_b32_e32 v21, 0x2000
	v_lshrrev_b32_e32 v22, 1, v0
	v_xor_b32_e32 v12, v10, v4
	v_xor_b32_e32 v17, v5, v10
	v_lshl_add_u64 v[4:5], s[0:1], 0, v[54:55]
	v_lshlrev_b32_e32 v54, 8, v10
	v_cndmask_b32_e32 v20, v20, v21, vcc
	v_lshlrev_b32_e32 v21, 3, v63
	v_and_b32_e32 v22, 24, v22
	v_lshl_or_b32 v97, v12, 3, v54
	v_and_b32_e32 v12, 8, v0
	v_xor_b32_e32 v23, v21, v22
	v_or_b32_e32 v24, 0x440, v23
	v_cmp_eq_u32_e32 vcc, 0, v12
	v_and_b32_e32 v10, 7, v0
	v_lshlrev_b32_e32 v13, 7, v64
	v_cndmask_b32_e32 v12, v24, v23, vcc
	v_lshl_or_b32 v98, v17, 3, v54
	v_lshlrev_b32_e32 v17, 3, v10
	v_lshlrev_b32_e32 v19, 2, v0
	v_or_b32_e32 v12, v12, v11
	v_or_b32_e32 v7, v13, v7
	v_xor_b32_e32 v23, v12, v17
	v_and_or_b32 v12, v19, 60, v13
	v_mov_b32_e32 v13, 0xb000
	v_lshl_or_b32 v99, v12, 1, v13
	v_or_b32_e32 v12, 32, v22
	v_xor_b32_e32 v12, v21, v12
	v_or_b32_e32 v13, 0x440, v12
	v_cndmask_b32_e32 v12, v13, v12, vcc
	v_or_b32_e32 v12, v12, v11
	v_xor_b32_e32 v13, v12, v17
	v_or_b32_e32 v12, 64, v22
	v_xor_b32_e32 v12, v21, v12
	v_xor_b32_e32 v25, 0x440, v12
	v_cndmask_b32_e32 v12, v25, v12, vcc
	v_or_b32_e32 v12, v12, v11
	v_xor_b32_e32 v25, v12, v17
	v_or_b32_e32 v12, 0x60, v22
	v_xor_b32_e32 v12, v21, v12
	v_xor_b32_e32 v21, 0x440, v12
	v_cndmask_b32_e32 v12, v21, v12, vcc
	v_lshlrev_b32_e32 v7, 1, v7
	v_or_b32_e32 v6, s36, v45
	v_or_b32_e32 v11, v12, v11
	;; [unrolled: 1-line block ×6, first 2 shown]
	v_ashrrev_i32_e32 v7, 31, v6
	v_xor_b32_e32 v11, v11, v17
	v_lshlrev_b32_e32 v8, 7, v67
	v_or_b32_e32 v16, 0x100, v3
	v_lshlrev_b32_e32 v18, 7, v10
	v_or_b32_e32 v10, v9, v1
	v_add_u32_e32 v24, v20, v23
	v_add_u32_e32 v19, v20, v13
	;; [unrolled: 1-line block ×4, first 2 shown]
	v_or3_b32 v12, v1, v9, 64
	v_add_u32_e32 v9, 0x4000, v23
	v_add_u32_e32 v13, 0x4000, v13
	;; [unrolled: 1-line block ×4, first 2 shown]
	v_lshlrev_b64 v[6:7], 1, v[6:7]
	v_cndmask_b32_e64 v100, v14, v3, s[2:3]
	v_cndmask_b32_e64 v101, v15, v16, s[2:3]
	v_lshl_add_u64 v[56:57], s[8:9], 0, v[6:7]
	v_lshl_add_u64 v[58:59], s[14:15], 0, v[6:7]
	;; [unrolled: 1-line block ×3, first 2 shown]
	s_add_i32 s37, s59, 63
	v_lshlrev_b32_e32 v54, 1, v8
	v_lshlrev_b32_e32 v103, 2, v10
	v_add_u32_e32 v104, v24, v18
	v_add_u32_e32 v105, v19, v18
	;; [unrolled: 1-line block ×4, first 2 shown]
	v_lshlrev_b32_e32 v108, 2, v12
	v_add_u32_e32 v109, v9, v18
	v_add_u32_e32 v110, v13, v18
	v_add_u32_e32 v111, v20, v18
	v_add_u32_e32 v112, v11, v18
	v_mov_b32_e32 v87, v55
	v_mov_b32_e32 v86, v55
	v_mov_b32_e32 v88, v55
	v_mov_b32_e32 v115, v55
	v_mov_b32_e32 v84, v55
	v_mov_b32_e32 v83, v55
	v_mov_b32_e32 v85, v55
	v_mov_b32_e32 v114, v55
	s_waitcnt lgkmcnt(0)
	s_barrier
.LBB351_6:                              ; =>This Inner Loop Header: Depth=1
	s_add_i32 s65, s66, 1
	s_cmp_lt_i32 s65, s49
	s_mov_b64 s[28:29], 0
	s_cselect_b64 s[2:3], -1, 0
	s_cmp_ge_i32 s65, s49
	s_mov_b64 s[24:25], 0
	s_cbranch_scc1 .LBB351_8
; %bb.7:                                ;   in Loop: Header=BB351_6 Depth=1
	s_add_i32 s0, s60, 64
	s_add_u32 s0, s40, s0
	s_addc_u32 s1, s41, 0
	s_lshl_b64 s[0:1], s[0:1], 8
	s_add_u32 s24, s6, s0
	s_addc_u32 s25, s7, s1
.LBB351_8:                              ;   in Loop: Header=BB351_6 Depth=1
	v_cndmask_b32_e64 v2, 0, 1, s[2:3]
	v_cmp_ne_u32_e64 s[0:1], 1, v2
	s_andn2_b64 vcc, exec, s[2:3]
	s_cbranch_vccnz .LBB351_10
; %bb.9:                                ;   in Loop: Header=BB351_6 Depth=1
	s_add_i32 s2, s60, 64
	s_add_u32 s2, s59, s2
	s_addc_u32 s3, s63, 0
	s_mul_i32 s28, s2, s51
	s_mul_hi_u32 s29, s2, s55
	s_add_i32 s28, s29, s28
	s_mul_i32 s3, s3, s55
	s_add_i32 s28, s28, s3
	s_mul_i32 s2, s2, s55
	s_add_u32 s2, s2, s54
	s_addc_u32 s3, s28, s57
	s_lshl_b64 s[2:3], s[2:3], 8
	s_add_u32 s28, s4, s2
	s_addc_u32 s29, s5, s3
.LBB351_10:                             ;   in Loop: Header=BB351_6 Depth=1
	v_perm_b32 v3, v53, v52, s64
	v_perm_b32 v2, v51, v50, s64
	;; [unrolled: 1-line block ×4, first 2 shown]
	ds_write_b64 v75, v[2:3]
	ds_write_b64 v76, v[4:5]
	;; [unrolled: 1-line block ×4, first 2 shown]
	v_perm_b32 v3, v115, v88, s64
	v_perm_b32 v2, v86, v87, s64
	;; [unrolled: 1-line block ×4, first 2 shown]
	ds_write_b64 v77, v[2:3]
	ds_write_b64 v78, v[4:5]
	;; [unrolled: 1-line block ×4, first 2 shown]
	s_waitcnt lgkmcnt(0)
	s_barrier
	ds_read_b64 v[6:7], v89 offset:24576
	ds_read2_b64 v[2:5], v90 offset1:16
	ds_read_b64 v[10:11], v92 offset:3072
	ds_read_b64 v[12:13], v90 offset:3072
	;; [unrolled: 1-line block ×3, first 2 shown]
	s_waitcnt lgkmcnt(3)
	v_mfma_f32_16x16x16_bf16 a[0:3], v[6:7], v[2:3], 0
	s_add_i32 s2, s60, 63
	s_mul_i32 s3, s2, s35
	s_mul_hi_u32 s31, s2, s34
	v_mfma_f32_16x16x16_bf16 a[4:7], v[6:7], v[4:5], 0
	ds_read2st64_b64 v[2:5], v90 offset0:2 offset1:4
	ds_read2st64_b64 v[6:9], v92 offset0:2 offset1:4
	s_add_i32 s3, s31, s3
	s_waitcnt lgkmcnt(1)
	v_mfma_f32_16x16x16_bf16 a[0:3], v[14:15], v[2:3], a[0:3]
	s_mul_i32 s2, s2, s34
	s_lshl_b64 s[2:3], s[2:3], 2
	s_add_u32 s2, s44, s2
	s_waitcnt lgkmcnt(0)
	v_mfma_f32_16x16x16_bf16 a[4:7], v[14:15], v[6:7], a[4:7]
	ds_read_b64 v[2:3], v93 offset:24576
	ds_read_b64 v[6:7], v94 offset:24576
	s_addc_u32 s3, s45, s3
	s_and_b64 vcc, exec, s[0:1]
	s_waitcnt lgkmcnt(1)
	v_mfma_f32_16x16x16_bf16 a[0:3], v[2:3], v[4:5], a[0:3]
	v_mov_b32_e32 v118, 0
	v_mov_b32_e32 v117, 0
	;; [unrolled: 1-line block ×3, first 2 shown]
	v_mfma_f32_16x16x16_bf16 a[8:11], v[2:3], v[8:9], a[4:7]
	v_mov_b32_e32 v2, 0
	v_mov_b32_e32 v3, 0
	;; [unrolled: 1-line block ×3, first 2 shown]
	s_waitcnt lgkmcnt(0)
	v_mfma_f32_16x16x16_bf16 a[4:7], v[6:7], v[12:13], a[0:3]
	v_mov_b32_e32 v5, 0
	v_mov_b32_e32 v8, 0
	;; [unrolled: 1-line block ×3, first 2 shown]
	v_mfma_f32_16x16x16_bf16 a[0:3], v[6:7], v[10:11], a[8:11]
	v_mov_b32_e32 v6, 0
	v_mov_b32_e32 v7, 0
	;; [unrolled: 1-line block ×10, first 2 shown]
	s_cbranch_vccnz .LBB351_12
; %bb.11:                               ;   in Loop: Header=BB351_6 Depth=1
	s_and_b32 s25, s25, 0xffff
	buffer_load_dwordx4 v[14:17], v71, s[24:27], 0 offen
	buffer_load_dwordx4 v[10:13], v71, s[24:27], s58 offen
	;; [unrolled: 1-line block ×4, first 2 shown]
	v_mov_b32_e32 v117, v73
	v_mov_b32_e32 v116, v74
.LBB351_12:                             ;   in Loop: Header=BB351_6 Depth=1
	ds_read_b64 v[26:27], v89 offset:32768
	ds_read2_b64 v[18:21], v95 offset1:16
	ds_read_b64 v[28:29], v91 offset:32768
	ds_read_b64 v[30:31], v93 offset:32768
	;; [unrolled: 1-line block ×3, first 2 shown]
	v_add_u32_e32 v34, s60, v102
	s_waitcnt lgkmcnt(3)
	v_mfma_f32_16x16x16_bf16 a[4:7], v[26:27], v[18:19], a[4:7]
	v_ashrrev_i32_e32 v18, 31, v34
	ds_read2st64_b64 v[22:25], v95 offset0:2 offset1:4
	v_mfma_f32_16x16x16_bf16 a[0:3], v[26:27], v[20:21], a[0:3]
	v_mul_lo_u32 v20, v18, s34
	v_mul_lo_u32 v21, v34, s35
	v_mad_u64_u32 v[18:19], s[24:25], v34, s34, 0
	v_add3_u32 v19, v19, v21, v20
	v_add_u32_e32 v20, 1, v34
	v_ashrrev_i32_e32 v21, 31, v20
	v_mul_lo_u32 v26, v21, s34
	v_mul_lo_u32 v27, v20, s35
	v_mad_u64_u32 v[20:21], s[24:25], v20, s34, 0
	v_add3_u32 v21, v21, v27, v26
	v_add_u32_e32 v26, 2, v34
	v_ashrrev_i32_e32 v27, 31, v26
	v_mul_lo_u32 v35, v27, s34
	v_mul_lo_u32 v36, v26, s35
	v_mad_u64_u32 v[26:27], s[24:25], v26, s34, 0
	v_add_u32_e32 v34, 3, v34
	v_add3_u32 v27, v27, v36, v35
	v_ashrrev_i32_e32 v35, 31, v34
	v_mul_lo_u32 v36, v35, s34
	v_mul_lo_u32 v37, v34, s35
	v_mad_u64_u32 v[34:35], s[24:25], v34, s34, 0
	s_add_u32 s24, s40, s60
	s_addc_u32 s25, s41, 0
	s_lshl_b64 s[24:25], s[24:25], 8
	v_lshl_add_u64 v[18:19], v[18:19], 2, s[44:45]
	v_lshl_add_u64 v[20:21], v[20:21], 2, s[44:45]
	v_add3_u32 v35, v35, v37, v36
	v_lshl_add_u64 v[36:37], v[56:57], 0, s[24:25]
	v_lshl_add_u64 v[26:27], v[26:27], 2, s[44:45]
	;; [unrolled: 1-line block ×3, first 2 shown]
	global_load_dword v38, v[18:19], off
	global_load_ushort v39, v[36:37], off offset:256
	global_load_ushort v40, v[36:37], off
	v_lshl_add_u64 v[18:19], v[34:35], 2, s[44:45]
	global_load_dword v34, v[20:21], off
	global_load_dword v35, v[26:27], off
	;; [unrolled: 1-line block ×3, first 2 shown]
	ds_read2st64_b64 v[18:21], v96 offset0:2 offset1:4
	global_load_ushort v42, v[36:37], off offset:768
	global_load_ushort v43, v[36:37], off offset:512
	;; [unrolled: 1-line block ×5, first 2 shown]
	s_nop 0
	global_load_ushort v36, v[36:37], off offset:32
	s_waitcnt lgkmcnt(1)
	v_mfma_f32_16x16x16_bf16 a[4:7], v[28:29], v[22:23], a[4:7]
	s_and_b64 vcc, exec, s[0:1]
	s_waitcnt vmcnt(10)
	v_lshlrev_b32_e32 v27, 16, v39
	s_waitcnt lgkmcnt(0)
	v_mfma_f32_16x16x16_bf16 a[0:3], v[28:29], v[18:19], a[0:3]
	s_waitcnt vmcnt(9)
	v_lshlrev_b32_e32 v26, 16, v40
	v_mfma_f32_16x16x16_bf16 a[4:7], v[30:31], v[24:25], a[4:7]
	v_mfma_f32_16x16x16_bf16 a[0:3], v[30:31], v[20:21], a[0:3]
	ds_read_b64 v[18:19], v95 offset:3072
	ds_read_b64 v[20:21], v96 offset:3072
	s_load_dword s2, s[2:3], 0x0
	s_waitcnt lgkmcnt(0)
	v_sub_f32_e32 v28, s2, v38
	v_mfma_f32_16x16x16_bf16 a[4:7], v[32:33], v[18:19], a[4:7]
	v_mul_f32_e32 v28, 0x3fb8aa3b, v28
	s_waitcnt vmcnt(8)
	v_sub_f32_e32 v29, s2, v34
	s_waitcnt vmcnt(7)
	v_sub_f32_e32 v30, s2, v35
	;; [unrolled: 2-line block ×3, first 2 shown]
	v_mfma_f32_16x16x16_bf16 a[0:3], v[32:33], v[20:21], a[0:3]
	v_lshl_add_u64 v[18:19], v[58:59], 0, s[24:25]
	v_lshl_add_u64 v[18:19], v[18:19], 0, v[54:55]
	v_accvgpr_read_b32 v25, a5
	v_accvgpr_read_b32 v24, a4
	v_pk_add_f32 v[24:25], v[26:27], v[24:25] neg_lo:[0,1] neg_hi:[0,1]
	v_exp_f32_e32 v26, v28
	v_mul_f32_e32 v27, 0x3fb8aa3b, v29
	v_mul_f32_e32 v28, 0x3fb8aa3b, v30
	v_mul_f32_e32 v29, 0x3fb8aa3b, v31
	v_exp_f32_e32 v27, v27
	v_exp_f32_e32 v28, v28
	;; [unrolled: 1-line block ×3, first 2 shown]
	v_accvgpr_read_b32 v21, a7
	v_accvgpr_read_b32 v20, a6
	s_waitcnt vmcnt(5)
	v_lshlrev_b32_e32 v31, 16, v42
	s_waitcnt vmcnt(4)
	v_lshlrev_b32_e32 v30, 16, v43
	v_pk_add_f32 v[20:21], v[30:31], v[20:21] neg_lo:[0,1] neg_hi:[0,1]
	global_store_short_d16_hi v[18:19], v24, off
	global_store_short_d16_hi v[18:19], v25, off offset:256
	global_store_short_d16_hi v[18:19], v20, off offset:512
	;; [unrolled: 1-line block ×3, first 2 shown]
	v_pk_mul_f32 v[24:25], v[26:27], v[24:25]
	v_pk_mul_f32 v[20:21], v[28:29], v[20:21]
	v_accvgpr_read_b32 v31, a1
	v_perm_b32 v21, v21, v20, s64
	v_perm_b32 v20, v25, v24, s64
	s_waitcnt vmcnt(5)
	v_lshlrev_b32_e32 v25, 16, v120
	s_waitcnt vmcnt(4)
	v_lshlrev_b32_e32 v24, 16, v36
	v_accvgpr_read_b32 v30, a0
	v_accvgpr_read_b32 v23, a3
	;; [unrolled: 1-line block ×3, first 2 shown]
	v_pk_add_f32 v[24:25], v[24:25], v[30:31] neg_lo:[0,1] neg_hi:[0,1]
	v_lshlrev_b32_e32 v31, 16, v44
	v_lshlrev_b32_e32 v30, 16, v119
	v_pk_add_f32 v[22:23], v[30:31], v[22:23] neg_lo:[0,1] neg_hi:[0,1]
	global_store_short_d16_hi v[18:19], v24, off offset:32
	global_store_short_d16_hi v[18:19], v25, off offset:288
	;; [unrolled: 1-line block ×4, first 2 shown]
	v_pk_mul_f32 v[18:19], v[26:27], v[24:25]
	v_pk_mul_f32 v[22:23], v[28:29], v[22:23]
	v_mov_b32_e32 v119, 0
	v_perm_b32 v23, v23, v22, s64
	v_perm_b32 v22, v19, v18, s64
	ds_write2_b64 v76, v[20:21], v[22:23] offset1:16
	v_mov_b32_e32 v18, 0
	v_mov_b32_e32 v19, 0
	;; [unrolled: 1-line block ×16, first 2 shown]
	s_cbranch_vccnz .LBB351_14
; %bb.13:                               ;   in Loop: Header=BB351_6 Depth=1
	s_and_b32 s29, s29, 0xffff
	s_mov_b32 s31, s27
	buffer_load_dwordx4 v[30:33], v100, s[28:31], 0 offen
	buffer_load_dwordx4 v[22:25], v100, s[28:31], s58 offen
	;; [unrolled: 1-line block ×4, first 2 shown]
	v_mov_b32_e32 v118, v70
	v_mov_b32_e32 v119, v69
.LBB351_14:                             ;   in Loop: Header=BB351_6 Depth=1
	s_waitcnt lgkmcnt(0)
	s_barrier
	ds_read_b64 v[38:39], v104
	ds_read_b64 v[124:125], v99
	;; [unrolled: 1-line block ×5, first 2 shown]
	ds_read_b64 v[138:139], v96 offset:3072
	ds_read2_b64 v[34:37], v95 offset0:16 offset1:128
	s_waitcnt lgkmcnt(5)
	v_mfma_f32_16x16x16_bf16 a[0:3], v[38:39], v[124:125], 0
	ds_read2st64_b64 v[40:43], v96 offset0:2 offset1:4
	s_add_i32 s3, s52, s66
	s_mul_hi_i32 s25, s3, s17
	s_waitcnt lgkmcnt(1)
	v_mfma_f32_16x16x16_bf16 a[4:7], v[38:39], v[34:35], 0
	ds_read_b64 v[38:39], v109
	s_mul_i32 s3, s3, s17
	s_add_u32 s24, s3, s33
	s_waitcnt lgkmcnt(1)
	v_mfma_f32_16x16x16_bf16 a[4:7], v[126:127], v[40:41], a[4:7]
	s_addc_u32 s25, s25, s56
	s_add_i32 s3, s37, s60
	s_lshl_b64 s[24:25], s[24:25], 15
	s_mul_hi_i32 s29, s3, s17
	s_mul_i32 s3, s3, s17
	s_add_u32 s28, s3, s33
	v_mfma_f32_16x16x16_bf16 a[8:11], v[128:129], v[42:43], a[4:7]
	s_addc_u32 s29, s29, s56
	ds_read2st64_b64 v[120:123], v95 offset0:4 offset1:6
	s_lshl_b64 s[28:29], s[28:29], 9
	s_waitcnt lgkmcnt(1)
	v_mfma_f32_16x16x16_bf16 a[4:7], v[38:39], v[124:125], 0
	s_add_u32 s28, s42, s28
	s_addc_u32 s29, s43, s29
	v_mfma_f32_16x16x16_bf16 a[0:3], v[126:127], v[36:37], a[0:3]
	ds_read_b64 v[126:127], v110
	ds_read_b64 v[134:135], v111
	;; [unrolled: 1-line block ×3, first 2 shown]
	v_mfma_f32_16x16x16_bf16 a[12:15], v[38:39], v[34:35], 0
	s_waitcnt lgkmcnt(2)
	v_mfma_f32_16x16x16_bf16 a[4:7], v[126:127], v[36:37], a[4:7]
	global_load_dwordx4 v[34:37], v108, s[28:29]
	v_mfma_f32_16x16x16_bf16 a[12:15], v[126:127], v[40:41], a[12:15]
	global_load_dwordx4 v[38:41], v103, s[28:29]
	ds_read2st64_b64 v[124:127], v97 offset1:8
	s_waitcnt lgkmcnt(0)
	v_mov_b32_e32 v132, v124
	v_mfma_f32_16x16x16_bf16 a[0:3], v[128:129], v[120:121], a[0:3]
	ds_read2st64_b64 v[128:131], v98 offset1:8
	v_mov_b32_e32 v133, v125
	v_mfma_f32_16x16x16_bf16 a[16:19], v[134:135], v[120:121], a[4:7]
	v_lshl_add_u64 v[120:121], v[60:61], 0, s[24:25]
	v_mfma_f32_16x16x16_bf16 a[20:23], v[134:135], v[42:43], a[12:15]
	v_add_co_u32_e32 v42, vcc, s39, v120
	s_waitcnt lgkmcnt(0)
	v_mov_b32_e32 v134, v128
	v_mfma_f32_16x16x16_bf16 a[4:7], v[136:137], v[122:123], a[0:3]
	v_mov_b32_e32 v135, v129
	v_mov_b32_e32 v128, v126
	;; [unrolled: 1-line block ×3, first 2 shown]
	v_mfma_f32_16x16x16_bf16 a[8:11], v[136:137], v[138:139], a[8:11]
	v_addc_co_u32_e32 v43, vcc, 0, v121, vcc
	global_store_dwordx4 v[42:43], v[128:131], off
	v_mfma_f32_16x16x16_bf16 a[12:15], v[140:141], v[122:123], a[16:19]
	s_and_b64 vcc, exec, s[0:1]
	global_store_dwordx4 v[120:121], v[132:135], off
	s_waitcnt vmcnt(3)
	v_mov_b32_e32 v44, v37
	v_mfma_f32_16x16x16_bf16 a[0:3], v[140:141], v[138:139], a[20:23]
	v_mov_b32_e32 v43, v36
	v_mov_b32_e32 v42, v35
	s_cbranch_vccnz .LBB351_16
; %bb.15:                               ;   in Loop: Header=BB351_6 Depth=1
	v_lshrrev_b32_e32 v35, 3, v118
	v_and_b32_e32 v35, 6, v35
	v_xor_b32_e32 v36, v35, v119
	v_lshlrev_b32_e32 v36, 2, v36
	v_and_b32_e32 v37, 8, v118
	v_xor_b32_e32 v118, 0x440, v36
	v_cmp_eq_u32_e32 vcc, 0, v37
	v_perm_b32 v37, v22, v18, s61
	s_nop 0
	v_cndmask_b32_e32 v36, v118, v36, vcc
	v_lshl_or_b32 v35, v35, 10, v36
	v_perm_b32 v36, v30, v26, s61
	s_barrier
	ds_write2st64_b32 v35, v36, v37 offset0:32 offset1:64
	v_xor_b32_e32 v36, 8, v35
	v_perm_b32 v26, v30, v26, s62
	v_perm_b32 v18, v22, v18, s62
	v_add_u32_e32 v22, 0x80, v36
	ds_write2st64_b32 v22, v26, v18 offset0:32 offset1:64
	v_xor_b32_e32 v18, 16, v35
	v_perm_b32 v22, v31, v27, s61
	v_perm_b32 v26, v23, v19, s61
	ds_write2st64_b32 v18, v22, v26 offset0:33 offset1:65
	v_xor_b32_e32 v18, 24, v35
	v_perm_b32 v22, v31, v27, s62
	v_perm_b32 v19, v23, v19, s62
	v_add_u32_e32 v18, 0x80, v18
	ds_write2st64_b32 v18, v22, v19 offset0:33 offset1:65
	v_xor_b32_e32 v18, 32, v35
	v_perm_b32 v19, v32, v28, s61
	v_perm_b32 v22, v24, v20, s61
	;; [unrolled: 9-line block ×3, first 2 shown]
	ds_write2st64_b32 v18, v19, v20 offset0:35 offset1:67
	v_xor_b32_e32 v18, 56, v35
	v_perm_b32 v19, v33, v29, s62
	v_perm_b32 v20, v25, v21, s62
	v_add_u32_e32 v18, 0x80, v18
	ds_write2st64_b32 v18, v19, v20 offset0:35 offset1:67
	ds_write_b64 v117, v[14:15] offset:24576
	v_xor_b32_e32 v14, 8, v117
	ds_write_b64 v14, v[16:17] offset:24576
	ds_write_b64 v117, v[10:11] offset:32768
	;; [unrolled: 1-line block ×4, first 2 shown]
	v_xor_b32_e32 v6, 8, v116
	ds_write_b64 v6, v[8:9] offset:24576
	ds_write_b64 v116, v[2:3] offset:32768
	;; [unrolled: 1-line block ×3, first 2 shown]
.LBB351_16:                             ;   in Loop: Header=BB351_6 Depth=1
	v_mul_f32_e32 v2, s2, v113
	v_exp_f32_e32 v18, v2
	s_waitcnt vmcnt(2)
	v_mul_f32_e32 v2, 0x3fb8aa3b, v38
	v_exp_f32_e32 v20, v2
	v_mul_f32_e32 v2, 0x3fb8aa3b, v39
	v_exp_f32_e32 v21, v2
	;; [unrolled: 2-line block ×4, first 2 shown]
	v_accvgpr_read_b32 v13, a7
	v_accvgpr_read_b32 v11, a5
	;; [unrolled: 1-line block ×4, first 2 shown]
	v_pk_mul_f32 v[20:21], v[18:19], v[20:21] op_sel_hi:[0,1]
	v_accvgpr_read_b32 v8, a10
	v_pk_fma_f32 v[50:51], v[50:51], v[20:21], v[10:11]
	v_pk_mul_f32 v[10:11], v[18:19], v[22:23] op_sel_hi:[0,1]
	v_accvgpr_read_b32 v12, a6
	v_accvgpr_read_b32 v7, a9
	v_fma_f32 v88, v88, v10, v8
	v_mul_f32_e32 v8, 0x3fb8aa3b, v43
	v_pk_fma_f32 v[52:53], v[52:53], v[10:11], v[12:13]
	v_fma_f32 v87, v87, v20, v6
	v_fma_f32 v86, v86, v21, v7
	v_mul_f32_e32 v6, 0x3fb8aa3b, v34
	v_mul_f32_e32 v7, 0x3fb8aa3b, v42
	v_exp_f32_e32 v12, v8
	v_mul_f32_e32 v8, 0x3fb8aa3b, v44
	v_exp_f32_e32 v6, v6
	v_exp_f32_e32 v7, v7
	;; [unrolled: 1-line block ×3, first 2 shown]
	v_accvgpr_read_b32 v9, a11
	v_accvgpr_read_b32 v17, a15
	;; [unrolled: 1-line block ×9, first 2 shown]
	v_fmac_f32_e32 v9, v115, v11
	v_pk_mul_f32 v[6:7], v[18:19], v[6:7] op_sel_hi:[0,1]
	v_pk_mul_f32 v[10:11], v[18:19], v[12:13] op_sel_hi:[0,1]
	s_add_i32 s60, s60, 64
	v_pk_fma_f32 v[46:47], v[46:47], v[6:7], v[14:15]
	v_pk_fma_f32 v[48:49], v[48:49], v[10:11], v[16:17]
	v_fma_f32 v84, v84, v6, v2
	v_fma_f32 v83, v83, v7, v3
	;; [unrolled: 1-line block ×3, first 2 shown]
	s_cmp_eq_u32 s49, s65
	v_fmac_f32_e32 v5, v114, v11
	s_cbranch_scc1 .LBB351_18
; %bb.17:                               ;   in Loop: Header=BB351_6 Depth=1
	s_mov_b32 s66, s65
	v_mov_b32_e32 v115, v9
	v_mov_b32_e32 v114, v5
	s_branch .LBB351_6
.LBB351_18:
	s_lshl_b32 s42, s49, 6
	s_sub_i32 s43, s16, s42
	s_cmp_gt_i32 s43, 0
	s_cbranch_scc0 .LBB351_83
; %bb.19:
	s_ashr_i32 s39, s50, 31
	s_ashr_i32 s2, s42, 31
	s_cmpk_lg_i32 s19, 0x80
	s_cselect_b64 s[30:31], -1, 0
	s_and_b64 vcc, exec, s[30:31]
	s_cbranch_vccz .LBB351_21
; %bb.20:
	s_mul_i32 s1, s50, s16
	s_mul_hi_i32 s0, s50, s16
	s_add_u32 s1, s1, s42
	s_addc_u32 s0, s0, s2
	s_mul_i32 s3, s1, s51
	s_mul_hi_u32 s24, s1, s18
	s_add_i32 s3, s24, s3
	s_mul_i32 s0, s0, s18
	s_add_i32 s3, s3, s0
	s_mul_i32 s1, s1, s18
	s_ashr_i32 s0, s54, 31
	s_add_u32 s40, s1, s54
	s_addc_u32 s41, s3, s0
	s_cbranch_execz .LBB351_22
	s_branch .LBB351_23
.LBB351_21:
                                        ; implicit-def: $sgpr40_sgpr41
.LBB351_22:
	s_mul_hi_i32 s0, s50, s18
	s_mul_i32 s50, s50, s18
	s_ashr_i32 s1, s54, 31
	s_add_u32 s3, s50, s54
	s_addc_u32 s0, s0, s1
	s_mul_i32 s1, s3, s48
	s_mul_hi_u32 s18, s3, s16
	s_add_i32 s1, s18, s1
	s_mul_i32 s0, s0, s16
	s_add_i32 s1, s1, s0
	s_mul_i32 s3, s3, s16
	s_add_u32 s40, s3, s42
	s_addc_u32 s41, s1, s2
.LBB351_23:
	s_add_i32 s3, s52, s49
	s_ashr_i32 s18, s33, 31
	s_add_u32 s0, s47, s33
	s_addc_u32 s1, s53, s18
	s_mul_i32 s24, s0, s48
	s_mul_hi_u32 s25, s0, s16
	s_add_i32 s24, s25, s24
	s_mul_i32 s1, s1, s16
	s_add_i32 s24, s24, s1
	s_mul_i32 s0, s0, s16
	s_add_u32 s0, s0, s42
	v_lshlrev_b32_e32 v8, 5, v67
	v_lshlrev_b32_e32 v22, 2, v45
	s_addc_u32 s1, s24, s2
	s_mov_b32 s2, 0x7060302
	v_or_b32_e32 v11, v8, v22
	v_xor_b32_e32 v4, v67, v22
	v_perm_b32 v3, v53, v52, s2
	v_perm_b32 v2, v51, v50, s2
	v_perm_b32 v7, v49, v48, s2
	v_perm_b32 v6, v47, v46, s2
	v_lshlrev_b32_e32 v11, 1, v11
	s_lshl_b64 s[28:29], s[0:1], 8
	v_xor_b32_e32 v10, v68, v22
	ds_write2st64_b64 v11, v[2:3], v[6:7] offset0:80 offset1:88
	v_lshlrev_b32_e32 v11, 1, v4
	v_lshlrev_b32_e32 v4, 8, v45
	s_add_u32 s0, s6, s28
	v_or_b32_e32 v12, v11, v4
	v_lshlrev_b32_e32 v10, 1, v10
	s_addc_u32 s1, s7, s29
	ds_write_b64 v12, v[2:3]
	v_or_b32_e32 v2, v10, v4
	s_mul_hi_i32 s6, s3, s17
	s_mul_i32 s3, s3, s17
	ds_write_b64 v2, v[6:7]
	v_perm_b32 v3, v9, v88, s2
	v_perm_b32 v2, v86, v87, s2
	;; [unrolled: 1-line block ×4, first 2 shown]
	v_or_b32_e32 v6, 16, v45
	s_add_u32 s2, s3, s33
	v_lshlrev_b32_e32 v19, 2, v6
	s_addc_u32 s3, s6, s18
	v_or_b32_e32 v7, v8, v19
	s_ashr_i32 s37, s36, 31
	s_lshl_b64 s[2:3], s[2:3], 15
	v_lshlrev_b32_e32 v7, 1, v7
	v_lshlrev_b32_e32 v6, 8, v6
	s_add_u32 s6, s12, s2
	ds_write2st64_b64 v7, v[2:3], v[4:5] offset0:80 offset1:88
	v_or_b32_e32 v7, v11, v6
	s_addc_u32 s7, s13, s3
	s_lshl_b64 s[2:3], s[36:37], 8
	ds_write_b64 v7, v[2:3]
	v_or_b32_e32 v2, v10, v6
	s_add_u32 s2, s6, s2
	ds_write_b64 v2, v[4:5]
	v_lshrrev_b32_e32 v2, 4, v0
	s_addc_u32 s3, s7, s3
	v_lshlrev_b32_e32 v3, 1, v45
	v_lshlrev_b32_e32 v10, 4, v45
	v_mov_b32_e32 v11, 0
	v_or_b32_e32 v4, 1, v3
	v_xor_b32_e32 v3, v2, v3
	v_lshl_add_u64 v[12:13], s[2:3], 0, v[10:11]
	v_lshlrev_b32_e32 v10, 8, v2
	v_xor_b32_e32 v6, v4, v2
	v_lshl_or_b32 v2, v3, 3, v10
	s_waitcnt lgkmcnt(0)
	s_barrier
	ds_read2st64_b64 v[2:5], v2 offset1:8
	v_lshl_or_b32 v6, v6, 3, v10
	ds_read2st64_b64 v[6:9], v6 offset1:8
	v_lshl_add_u64 v[14:15], v[12:13], 0, v[10:11]
	s_movk_i32 s2, 0x1000
	s_waitcnt lgkmcnt(1)
	v_mov_b32_e32 v10, v2
	v_add_co_u32_e32 v2, vcc, s2, v14
	s_cmp_lg_u32 s43, 64
	v_mov_b32_e32 v11, v3
	v_addc_co_u32_e32 v3, vcc, 0, v15, vcc
	s_cselect_b64 s[6:7], -1, 0
	v_lshl_or_b32 v23, v63, 3, v66
	s_waitcnt lgkmcnt(0)
	v_mov_b32_e32 v12, v6
	v_mov_b32_e32 v13, v7
	;; [unrolled: 1-line block ×4, first 2 shown]
	s_mov_b32 s24, 0
	v_or_b32_e32 v20, 32, v23
	v_and_b32_e32 v18, 56, v65
	s_and_b64 vcc, exec, s[6:7]
	global_store_dwordx4 v[14:15], v[10:13], off
	global_store_dwordx4 v[2:3], v[6:9], off
	s_cbranch_vccz .LBB351_29
; %bb.24:
	s_mov_b32 s25, s24
	s_mov_b32 s26, s24
	;; [unrolled: 1-line block ×3, first 2 shown]
	v_mov_b64_e32 v[6:7], s[24:25]
	v_mov_b64_e32 v[8:9], s[26:27]
	;; [unrolled: 1-line block ×3, first 2 shown]
	v_cmp_gt_i32_e32 vcc, s43, v23
	v_mov_b64_e32 v[4:5], v[8:9]
	s_and_saveexec_b64 s[2:3], vcc
	s_cbranch_execz .LBB351_26
; %bb.25:
	v_lshlrev_b32_e32 v2, 8, v23
	v_mov_b32_e32 v3, 0
	v_lshl_add_u64 v[4:5], s[0:1], 0, v[2:3]
	v_lshlrev_b32_e32 v2, 1, v18
	v_lshl_add_u64 v[10:11], v[4:5], 0, v[2:3]
	global_load_dwordx4 v[6:9], v[10:11], off
	global_load_dwordx4 v[2:5], v[10:11], off offset:128
.LBB351_26:
	s_or_b64 exec, exec, s[2:3]
	s_mov_b32 s25, s24
	s_mov_b32 s26, s24
	;; [unrolled: 1-line block ×3, first 2 shown]
	v_mov_b64_e32 v[14:15], s[24:25]
	v_mov_b64_e32 v[16:17], s[26:27]
	;; [unrolled: 1-line block ×3, first 2 shown]
	v_cmp_gt_i32_e32 vcc, s43, v20
	v_lshlrev_b32_e32 v21, 7, v20
	v_mov_b64_e32 v[12:13], v[16:17]
	s_and_saveexec_b64 s[2:3], vcc
	s_cbranch_execz .LBB351_28
; %bb.27:
	v_lshlrev_b32_e32 v10, 1, v21
	v_mov_b32_e32 v11, 0
	v_lshl_add_u64 v[12:13], s[0:1], 0, v[10:11]
	v_lshlrev_b32_e32 v10, 1, v18
	v_lshl_add_u64 v[24:25], v[12:13], 0, v[10:11]
	global_load_dwordx4 v[14:17], v[24:25], off
	global_load_dwordx4 v[10:13], v[24:25], off offset:128
.LBB351_28:
	s_or_b64 exec, exec, s[2:3]
	v_lshrrev_b32_e32 v24, 3, v18
	v_lshlrev_b32_e32 v25, 3, v23
	v_or_b32_e32 v24, v25, v24
	v_lshlrev_b32_e32 v24, 4, v24
	v_and_b32_e32 v25, 0x78, v25
	v_xor_b32_e32 v24, v24, v25
	s_branch .LBB351_31
.LBB351_29:
                                        ; implicit-def: $vgpr24
                                        ; implicit-def: $vgpr21
                                        ; implicit-def: $vgpr6_vgpr7_vgpr8_vgpr9
                                        ; implicit-def: $vgpr2_vgpr3_vgpr4_vgpr5
                                        ; implicit-def: $vgpr14_vgpr15_vgpr16_vgpr17
                                        ; implicit-def: $vgpr10_vgpr11_vgpr12_vgpr13
	s_cbranch_execz .LBB351_31
; %bb.30:
	s_waitcnt vmcnt(0)
	v_lshlrev_b32_e32 v2, 1, v18
	v_lshl_or_b32 v21, v23, 8, v2
	s_and_b32 s1, s1, 0xffff
	s_mov_b32 s3, 0x20000
	s_movk_i32 s2, 0x4000
	v_lshl_or_b32 v24, v20, 8, v2
	s_movk_i32 s12, 0x80
	buffer_load_dwordx4 v[6:9], v21, s[0:3], 0 offen
	buffer_load_dwordx4 v[2:5], v21, s[0:3], s12 offen
	;; [unrolled: 1-line block ×4, first 2 shown]
	v_lshrrev_b32_e32 v21, 3, v18
	v_lshlrev_b32_e32 v24, 3, v23
	v_or_b32_e32 v21, v24, v21
	v_lshlrev_b32_e32 v21, 4, v21
	v_and_b32_e32 v24, 0x78, v24
	v_xor_b32_e32 v24, v21, v24
	v_lshlrev_b32_e32 v21, 7, v20
.LBB351_31:
	s_lshl_b64 s[0:1], s[40:41], 8
	s_add_u32 s4, s4, s0
	s_movk_i32 s0, 0x1000
	v_and_or_b32 v20, v21, s0, v24
	s_waitcnt vmcnt(1)
	ds_write_b64 v24, v[6:7] offset:24576
	v_xor_b32_e32 v6, 8, v24
	ds_write_b64 v6, v[8:9] offset:24576
	s_waitcnt vmcnt(0)
	ds_write_b64 v24, v[2:3] offset:32768
	ds_write_b64 v6, v[4:5] offset:32768
	;; [unrolled: 1-line block ×3, first 2 shown]
	v_xor_b32_e32 v2, 8, v20
	ds_write_b64 v2, v[16:17] offset:24576
	ds_write_b64 v20, v[10:11] offset:32768
	ds_write_b64 v2, v[12:13] offset:32768
	v_or_b32_e32 v2, v1, v45
	v_lshlrev_b32_e32 v3, 11, v63
	v_lshlrev_b32_e32 v2, 3, v2
	v_and_b32_e32 v6, 0x1000, v3
	v_lshrrev_b32_e32 v3, 5, v62
	s_movk_i32 s13, 0xf8
	v_and_or_b32 v3, v2, s13, v3
	v_lshlrev_b32_e32 v7, 4, v3
	v_and_b32_e32 v8, 0x78, v2
	v_or_b32_e32 v10, 32, v7
	v_lshrrev_b32_e32 v3, 1, v62
	v_xor_b32_e32 v10, v10, v8
	v_xor_b32_e32 v2, v7, v8
	v_and_b32_e32 v9, 8, v3
	v_or_b32_e32 v10, v10, v6
	v_or_b32_e32 v2, v2, v6
	v_xor_b32_e32 v26, v10, v9
	v_or_b32_e32 v10, 64, v7
	v_xor_b32_e32 v25, v2, v9
	v_xor_b32_e32 v10, v10, v8
	s_waitcnt lgkmcnt(0)
	s_barrier
	v_or_b32_e32 v12, v10, v6
	ds_read_b64 v[10:11], v25 offset:24576
	v_lshl_or_b32 v20, v64, 7, v22
	v_lshlrev_b32_e32 v24, 1, v20
	v_add_u32_e32 v2, 0xa000, v24
	ds_read2_b64 v[2:5], v2 offset1:16
	v_or_b32_e32 v7, 0x60, v7
	v_xor_b32_e32 v7, v7, v8
	s_waitcnt lgkmcnt(0)
	v_mfma_f32_16x16x16_bf16 a[0:3], v[10:11], v[2:3], 0
	v_or_b32_e32 v2, 64, v20
	v_or_b32_e32 v6, v7, v6
	v_lshlrev_b32_e32 v29, 1, v2
	v_xor_b32_e32 v27, v12, v9
	v_xor_b32_e32 v28, v6, v9
	ds_read_b64 v[12:13], v26 offset:24576
	ds_read_b64 v[14:15], v27 offset:24576
	;; [unrolled: 1-line block ×3, first 2 shown]
	v_mfma_f32_16x16x16_bf16 a[4:7], v[10:11], v[4:5], 0
	ds_read2st64_b64 v[2:5], v29 offset0:82 offset1:84
	ds_read2st64_b64 v[6:9], v24 offset0:82 offset1:84
	s_addc_u32 s5, s5, s1
	s_add_i32 s2, s16, -1
	s_add_i32 s0, s46, s21
	s_mul_i32 s39, s39, s20
	s_add_i32 s39, s0, s39
	s_mul_i32 s0, s33, s23
	s_mul_hi_u32 s1, s33, s22
	s_ashr_i32 s3, s2, 31
	s_mul_i32 s12, s2, s35
	s_mul_hi_u32 s13, s2, s34
	s_add_i32 s0, s1, s0
	s_mul_i32 s1, s18, s22
	s_add_i32 s12, s13, s12
	s_mul_i32 s3, s3, s34
	s_waitcnt lgkmcnt(1)
	v_mfma_f32_16x16x16_bf16 a[4:7], v[12:13], v[2:3], a[4:7]
	s_add_i32 s1, s0, s1
	s_add_i32 s3, s12, s3
	s_lshl_b64 s[12:13], s[38:39], 2
	s_waitcnt lgkmcnt(0)
	v_mfma_f32_16x16x16_bf16 a[0:3], v[12:13], v[6:7], a[0:3]
	s_mul_i32 s0, s33, s22
	s_add_u32 s10, s10, s12
	s_addc_u32 s11, s11, s13
	s_lshl_b64 s[0:1], s[0:1], 2
	s_mul_i32 s2, s2, s34
	s_add_u32 s10, s10, s0
	ds_read_b64 v[2:3], v24 offset:44032
	v_mfma_f32_16x16x16_bf16 a[4:7], v[14:15], v[4:5], a[4:7]
	ds_read_b64 v[4:5], v29 offset:44032
	s_addc_u32 s11, s11, s1
	s_lshl_b64 s[0:1], s[2:3], 2
	v_mfma_f32_16x16x16_bf16 a[0:3], v[14:15], v[8:9], a[0:3]
	s_add_u32 s0, s10, s0
	s_addc_u32 s1, s11, s1
	s_load_dword s12, s[0:1], 0x0
	s_waitcnt lgkmcnt(0)
	v_mfma_f32_16x16x16_bf16 a[0:3], v[16:17], v[2:3], a[0:3]
	s_and_b64 vcc, exec, s[30:31]
	v_mfma_f32_16x16x16_bf16 a[4:7], v[16:17], v[4:5], a[4:7]
	s_cbranch_vccz .LBB351_42
; %bb.32:
	v_lshlrev_b32_e32 v20, 1, v23
	s_and_b64 vcc, exec, s[6:7]
	s_cbranch_vccz .LBB351_43
; %bb.33:
	v_cmp_gt_i32_e32 vcc, s43, v20
	v_mov_b32_e32 v6, 0
	v_mov_b32_e32 v2, 0
	;; [unrolled: 1-line block ×5, first 2 shown]
	s_and_saveexec_b64 s[0:1], vcc
	s_cbranch_execz .LBB351_35
; %bb.34:
	v_mad_i64_i32 v[2:3], s[2:3], s19, v20, 0
	v_lshl_add_u64 v[2:3], v[2:3], 1, s[4:5]
	v_lshlrev_b32_e32 v4, 1, v18
	v_mov_b32_e32 v5, 0
	v_lshl_add_u64 v[2:3], v[2:3], 0, v[4:5]
	global_load_dwordx4 v[2:5], v[2:3], off
.LBB351_35:
	s_or_b64 exec, exec, s[0:1]
	v_or_b32_e32 v21, 1, v20
	v_cmp_gt_i32_e64 s[0:1], s43, v21
	v_mov_b32_e32 v7, 0
	v_mov_b32_e32 v8, 0
	;; [unrolled: 1-line block ×3, first 2 shown]
	s_and_saveexec_b64 s[2:3], s[0:1]
	s_cbranch_execz .LBB351_37
; %bb.36:
	v_mad_i64_i32 v[6:7], s[16:17], s19, v21, 0
	v_lshl_add_u64 v[6:7], v[6:7], 1, s[4:5]
	v_lshlrev_b32_e32 v8, 1, v18
	v_mov_b32_e32 v9, 0
	v_lshl_add_u64 v[6:7], v[6:7], 0, v[8:9]
	global_load_dwordx4 v[6:9], v[6:7], off
.LBB351_37:
	s_or_b64 exec, exec, s[2:3]
	v_mov_b32_e32 v17, 0
	v_mov_b32_e32 v10, 0
	;; [unrolled: 1-line block ×5, first 2 shown]
	s_and_saveexec_b64 s[2:3], vcc
	s_cbranch_execz .LBB351_39
; %bb.38:
	v_mad_i64_i32 v[10:11], s[16:17], s19, v20, 0
	v_lshl_add_u64 v[10:11], v[10:11], 1, s[4:5]
	v_lshlrev_b32_e32 v12, 1, v18
	v_mov_b32_e32 v13, 0
	v_lshl_add_u64 v[10:11], v[10:11], 0, v[12:13]
	global_load_dwordx4 v[10:13], v[10:11], off offset:128
.LBB351_39:
	s_or_b64 exec, exec, s[2:3]
	v_mov_b32_e32 v16, 0
	v_mov_b32_e32 v15, 0
	;; [unrolled: 1-line block ×3, first 2 shown]
	s_and_saveexec_b64 s[2:3], s[0:1]
	s_cbranch_execz .LBB351_41
; %bb.40:
	v_mad_i64_i32 v[14:15], s[0:1], s19, v21, 0
	v_lshl_add_u64 v[14:15], v[14:15], 1, s[4:5]
	v_lshlrev_b32_e32 v16, 1, v18
	v_mov_b32_e32 v17, 0
	v_lshl_add_u64 v[14:15], v[14:15], 0, v[16:17]
	global_load_dwordx4 v[14:17], v[14:15], off offset:128
.LBB351_41:
	s_or_b64 exec, exec, s[2:3]
	s_branch .LBB351_45
.LBB351_42:
                                        ; implicit-def: $vgpr5
                                        ; implicit-def: $vgpr9
                                        ; implicit-def: $vgpr13
                                        ; implicit-def: $vgpr17
	v_lshrrev_b32_e32 v30, 2, v62
	s_branch .LBB351_46
.LBB351_43:
                                        ; implicit-def: $vgpr5
                                        ; implicit-def: $vgpr9
                                        ; implicit-def: $vgpr13
                                        ; implicit-def: $vgpr17
	s_cbranch_execz .LBB351_45
; %bb.44:
	s_waitcnt vmcnt(0)
	v_mad_u64_u32 v[2:3], s[0:1], v20, s19, v[18:19]
	v_lshlrev_b32_e32 v20, 1, v2
	s_lshl_b32 s2, s19, 7
	s_and_b32 s1, s5, 0xffff
	s_mov_b32 s3, 0x20000
	s_mov_b32 s0, s4
	v_add_lshl_u32 v21, v2, s19, 1
	s_movk_i32 s13, 0x80
	buffer_load_dwordx4 v[2:5], v20, s[0:3], 0 offen
	buffer_load_dwordx4 v[10:13], v20, s[0:3], s13 offen
	;; [unrolled: 1-line block ×4, first 2 shown]
.LBB351_45:
	v_lshrrev_b32_e32 v30, 2, v62
	s_cbranch_execnz .LBB351_58
.LBB351_46:
	s_and_b64 vcc, exec, s[6:7]
	s_cbranch_vccz .LBB351_56
; %bb.47:
	s_waitcnt vmcnt(0)
	v_lshlrev_b32_e32 v7, 1, v23
	v_cmp_gt_i32_e32 vcc, s43, v7
	v_mov_b32_e32 v6, 0
	v_lshlrev_b32_e32 v14, 9, v23
	v_mov_b32_e32 v2, 0
	v_mov_b32_e32 v3, 0
	;; [unrolled: 1-line block ×4, first 2 shown]
	s_and_saveexec_b64 s[0:1], vcc
	s_cbranch_execz .LBB351_49
; %bb.48:
	v_mov_b32_e32 v15, 0
	v_lshl_add_u64 v[2:3], s[4:5], 0, v[14:15]
	v_lshlrev_b32_e32 v4, 1, v18
	v_mov_b32_e32 v5, v15
	v_lshl_add_u64 v[2:3], v[2:3], 0, v[4:5]
	global_load_dwordx4 v[2:5], v[2:3], off
.LBB351_49:
	s_or_b64 exec, exec, s[0:1]
	v_or_b32_e32 v7, 1, v7
	v_cmp_gt_i32_e64 s[0:1], s43, v7
	v_lshlrev_b32_e32 v20, 8, v7
	v_mov_b32_e32 v7, 0
	v_mov_b32_e32 v8, 0
	;; [unrolled: 1-line block ×3, first 2 shown]
	s_and_saveexec_b64 s[2:3], s[0:1]
	s_cbranch_execz .LBB351_51
; %bb.50:
	v_mov_b32_e32 v21, 0
	v_lshl_add_u64 v[6:7], s[4:5], 0, v[20:21]
	v_lshlrev_b32_e32 v8, 1, v18
	v_mov_b32_e32 v9, v21
	v_lshl_add_u64 v[6:7], v[6:7], 0, v[8:9]
	global_load_dwordx4 v[6:9], v[6:7], off
.LBB351_51:
	s_or_b64 exec, exec, s[2:3]
	v_mov_b32_e32 v17, 0
	v_mov_b32_e32 v10, 0
	v_mov_b32_e32 v11, 0
	v_mov_b32_e32 v12, 0
	v_mov_b32_e32 v13, 0
	s_and_saveexec_b64 s[2:3], vcc
	s_cbranch_execz .LBB351_53
; %bb.52:
	v_mov_b32_e32 v15, 0
	v_lshl_add_u64 v[10:11], s[4:5], 0, v[14:15]
	v_lshlrev_b32_e32 v14, 1, v18
	v_lshl_add_u64 v[10:11], v[10:11], 0, v[14:15]
	global_load_dwordx4 v[10:13], v[10:11], off offset:128
.LBB351_53:
	s_or_b64 exec, exec, s[2:3]
	v_mov_b32_e32 v16, 0
	v_mov_b32_e32 v15, 0
	;; [unrolled: 1-line block ×3, first 2 shown]
	s_and_saveexec_b64 s[2:3], s[0:1]
	s_cbranch_execz .LBB351_55
; %bb.54:
	v_mov_b32_e32 v21, 0
	v_lshl_add_u64 v[14:15], s[4:5], 0, v[20:21]
	v_lshlrev_b32_e32 v20, 1, v18
	v_lshl_add_u64 v[14:15], v[14:15], 0, v[20:21]
	global_load_dwordx4 v[14:17], v[14:15], off offset:128
.LBB351_55:
	s_or_b64 exec, exec, s[2:3]
	s_branch .LBB351_58
.LBB351_56:
                                        ; implicit-def: $vgpr5
                                        ; implicit-def: $vgpr9
                                        ; implicit-def: $vgpr13
                                        ; implicit-def: $vgpr17
	s_cbranch_execz .LBB351_58
; %bb.57:
	s_waitcnt vmcnt(0)
	v_lshlrev_b32_e32 v2, 1, v18
	v_lshl_or_b32 v18, v23, 9, v2
	s_and_b32 s5, s5, 0xffff
	s_mov_b32 s7, 0x20000
	s_movk_i32 s6, 0x4000
	s_movk_i32 s0, 0x80
	buffer_load_dwordx4 v[2:5], v18, s[4:7], 0 offen
	buffer_load_dwordx4 v[6:9], v18, s[4:7], 0 offen offset:256
	buffer_load_dwordx4 v[10:13], v18, s[4:7], s0 offen
	buffer_load_dwordx4 v[14:17], v18, s[4:7], s0 offen offset:256
.LBB351_58:
	ds_read_b64 v[20:21], v25 offset:32768
	v_add_u32_e32 v18, 0xb000, v24
	ds_read2_b64 v[32:35], v18 offset1:16
	ds_read_b64 v[40:41], v26 offset:32768
	ds_read_b64 v[26:27], v27 offset:32768
	;; [unrolled: 1-line block ×3, first 2 shown]
	v_and_b32_e32 v18, 6, v0
	v_xor_b32_e32 v23, v23, v18
	v_lshlrev_b32_e32 v23, 2, v23
	v_and_b32_e32 v0, 1, v0
	v_xor_b32_e32 v28, 0x440, v23
	v_cmp_eq_u32_e32 vcc, 0, v0
	s_waitcnt lgkmcnt(3)
	v_mfma_f32_16x16x16_bf16 a[0:3], v[20:21], v[32:33], a[0:3]
	s_mov_b32 s0, 0x1000504
	v_cndmask_b32_e32 v0, v28, v23, vcc
	v_lshl_or_b32 v0, v18, 10, v0
	v_mfma_f32_16x16x16_bf16 a[4:7], v[20:21], v[34:35], a[4:7]
	ds_read2st64_b64 v[32:35], v24 offset0:90 offset1:92
	ds_read2st64_b64 v[36:39], v29 offset0:90 offset1:92
	ds_read_b64 v[20:21], v24 offset:48128
	ds_read_b64 v[24:25], v29 offset:48128
	s_waitcnt vmcnt(0)
	v_perm_b32 v18, v2, v6, s0
	s_waitcnt lgkmcnt(3)
	v_mfma_f32_16x16x16_bf16 a[0:3], v[40:41], v[32:33], a[0:3]
	s_mov_b32 s1, 0x3020706
	v_perm_b32 v2, v2, v6, s1
	v_perm_b32 v6, v10, v14, s1
	s_waitcnt lgkmcnt(2)
	v_mfma_f32_16x16x16_bf16 a[4:7], v[40:41], v[36:37], a[4:7]
	v_mfma_f32_16x16x16_bf16 a[0:3], v[26:27], v[34:35], a[0:3]
	;; [unrolled: 1-line block ×3, first 2 shown]
	s_waitcnt lgkmcnt(1)
	v_mfma_f32_16x16x16_bf16 a[4:7], v[42:43], v[20:21], a[0:3]
	v_perm_b32 v20, v10, v14, s0
	ds_write2st64_b32 v0, v18, v20 offset0:32 offset1:64
	v_xor_b32_e32 v18, 8, v0
	v_add_u32_e32 v10, 0x80, v18
	ds_write2st64_b32 v10, v2, v6 offset0:32 offset1:64
	v_xor_b32_e32 v2, 16, v0
	v_perm_b32 v6, v3, v7, s0
	v_perm_b32 v10, v11, v15, s0
	ds_write2st64_b32 v2, v6, v10 offset0:33 offset1:65
	v_xor_b32_e32 v2, 24, v0
	v_perm_b32 v3, v3, v7, s1
	v_perm_b32 v6, v11, v15, s1
	v_add_u32_e32 v2, 0x80, v2
	ds_write2st64_b32 v2, v3, v6 offset0:33 offset1:65
	v_xor_b32_e32 v2, 32, v0
	v_perm_b32 v3, v4, v8, s0
	v_perm_b32 v6, v12, v16, s0
	s_waitcnt lgkmcnt(4)
	v_mfma_f32_16x16x16_bf16 a[0:3], v[42:43], v[24:25], a[8:11]
	ds_write2st64_b32 v2, v3, v6 offset0:34 offset1:66
	v_xor_b32_e32 v2, 40, v0
	v_perm_b32 v3, v4, v8, s1
	v_perm_b32 v4, v12, v16, s1
	v_add_u32_e32 v2, 0x80, v2
	ds_write2st64_b32 v2, v3, v4 offset0:34 offset1:66
	v_xor_b32_e32 v2, 48, v0
	v_perm_b32 v3, v5, v9, s0
	v_perm_b32 v4, v13, v17, s0
	v_xor_b32_e32 v0, 56, v0
	v_and_or_b32 v21, v30, 12, v1
	ds_write2st64_b32 v2, v3, v4 offset0:35 offset1:67
	v_perm_b32 v2, v5, v9, s1
	v_perm_b32 v3, v13, v17, s1
	v_add_u32_e32 v0, 0x80, v0
	v_cmp_gt_i32_e32 vcc, s43, v21
	v_mov_b32_e32 v16, 0
	v_mov_b32_e32 v18, 0
	ds_write2st64_b32 v0, v2, v3 offset0:35 offset1:67
	s_and_saveexec_b64 s[0:1], vcc
	s_cbranch_execz .LBB351_60
; %bb.59:
	v_add_u32_e32 v0, s42, v21
	v_ashrrev_i32_e32 v1, 31, v0
	v_mul_lo_u32 v2, v1, s34
	v_mul_lo_u32 v3, v0, s35
	v_mad_u64_u32 v[0:1], s[2:3], v0, s34, 0
	v_add3_u32 v1, v1, v3, v2
	v_lshl_add_u64 v[0:1], v[0:1], 2, s[10:11]
	global_load_dword v0, v[0:1], off
	s_waitcnt vmcnt(0)
	v_sub_f32_e32 v0, s12, v0
	v_mul_f32_e32 v0, 0x3fb8aa3b, v0
	v_exp_f32_e32 v18, v0
.LBB351_60:
	s_or_b64 exec, exec, s[0:1]
	v_or_b32_e32 v10, 1, v21
	v_cmp_gt_i32_e64 s[0:1], s43, v10
	s_and_saveexec_b64 s[2:3], s[0:1]
	s_cbranch_execz .LBB351_62
; %bb.61:
	v_add_u32_e32 v0, s42, v10
	v_ashrrev_i32_e32 v1, 31, v0
	v_mul_lo_u32 v2, v1, s34
	v_mul_lo_u32 v3, v0, s35
	v_mad_u64_u32 v[0:1], s[4:5], v0, s34, 0
	v_add3_u32 v1, v1, v3, v2
	v_lshl_add_u64 v[0:1], v[0:1], 2, s[10:11]
	global_load_dword v0, v[0:1], off
	s_waitcnt vmcnt(0)
	v_sub_f32_e32 v0, s12, v0
	v_mul_f32_e32 v0, 0x3fb8aa3b, v0
	v_exp_f32_e32 v16, v0
.LBB351_62:
	s_or_b64 exec, exec, s[2:3]
	v_or_b32_e32 v12, 2, v21
	v_cmp_gt_i32_e64 s[2:3], s43, v12
	v_mov_b32_e32 v17, 0
	v_mov_b32_e32 v20, 0
	s_and_saveexec_b64 s[4:5], s[2:3]
	s_cbranch_execz .LBB351_64
; %bb.63:
	v_add_u32_e32 v0, s42, v12
	v_ashrrev_i32_e32 v1, 31, v0
	v_mul_lo_u32 v2, v1, s34
	v_mul_lo_u32 v3, v0, s35
	v_mad_u64_u32 v[0:1], s[6:7], v0, s34, 0
	v_add3_u32 v1, v1, v3, v2
	v_lshl_add_u64 v[0:1], v[0:1], 2, s[10:11]
	global_load_dword v0, v[0:1], off
	s_waitcnt vmcnt(0)
	v_sub_f32_e32 v0, s12, v0
	v_mul_f32_e32 v0, 0x3fb8aa3b, v0
	v_exp_f32_e32 v20, v0
.LBB351_64:
	s_or_b64 exec, exec, s[4:5]
	v_or_b32_e32 v14, 3, v21
	v_cmp_gt_i32_e64 s[4:5], s43, v14
	s_and_saveexec_b64 s[6:7], s[4:5]
	s_cbranch_execz .LBB351_66
; %bb.65:
	v_add_u32_e32 v0, s42, v14
	v_ashrrev_i32_e32 v1, 31, v0
	v_mul_lo_u32 v2, v1, s34
	v_mul_lo_u32 v3, v0, s35
	v_mad_u64_u32 v[0:1], s[16:17], v0, s34, 0
	v_add3_u32 v1, v1, v3, v2
	v_lshl_add_u64 v[0:1], v[0:1], 2, s[10:11]
	global_load_dword v0, v[0:1], off
	s_waitcnt vmcnt(0)
	v_sub_f32_e32 v0, s12, v0
	v_mul_f32_e32 v0, 0x3fb8aa3b, v0
	v_exp_f32_e32 v17, v0
.LBB351_66:
	s_or_b64 exec, exec, s[6:7]
	s_add_u32 s6, s8, s28
	v_or_b32_e32 v4, s36, v45
	s_addc_u32 s7, s9, s29
	s_add_u32 s8, s14, s28
	v_ashrrev_i32_e32 v5, 31, v4
	v_accvgpr_read_b32 v0, a4
	s_addc_u32 s9, s15, s29
	v_lshlrev_b64 v[4:5], 1, v[4:5]
	v_accvgpr_read_b32 v1, a5
	v_accvgpr_read_b32 v2, a6
	;; [unrolled: 1-line block ×3, first 2 shown]
	v_lshl_add_u64 v[6:7], s[6:7], 0, v[4:5]
	v_lshl_add_u64 v[4:5], s[8:9], 0, v[4:5]
	v_mov_b32_e32 v11, 0
	v_lshlrev_b32_e32 v8, 8, v21
	v_mov_b32_e32 v9, 0
	s_and_saveexec_b64 s[6:7], vcc
	s_cbranch_execz .LBB351_68
; %bb.67:
	v_mov_b32_e32 v9, 0
	v_lshl_add_u64 v[24:25], v[6:7], 0, v[8:9]
	global_load_ushort v13, v[24:25], off
	v_lshl_add_u64 v[24:25], v[4:5], 0, v[8:9]
	s_waitcnt vmcnt(0)
	v_lshlrev_b32_e32 v9, 16, v13
	v_sub_f32_e32 v0, v9, v0
	global_store_short_d16_hi v[24:25], v0, off
	v_mul_f32_e32 v0, v18, v0
	v_lshrrev_b32_e32 v9, 16, v0
.LBB351_68:
	s_or_b64 exec, exec, s[6:7]
	v_lshlrev_b32_e32 v10, 8, v10
	s_and_saveexec_b64 s[6:7], s[0:1]
	s_cbranch_execz .LBB351_70
; %bb.69:
	v_mov_b32_e32 v11, 0
	v_lshl_add_u64 v[24:25], v[6:7], 0, v[10:11]
	global_load_ushort v0, v[24:25], off
	v_lshl_add_u64 v[24:25], v[4:5], 0, v[10:11]
	s_waitcnt vmcnt(0)
	v_lshlrev_b32_e32 v0, 16, v0
	v_sub_f32_e32 v0, v0, v1
	global_store_short_d16_hi v[24:25], v0, off
	v_mul_f32_e32 v0, v16, v0
	v_lshrrev_b32_e32 v11, 16, v0
.LBB351_70:
	s_or_b64 exec, exec, s[6:7]
	v_mov_b32_e32 v15, 0
	v_lshlrev_b32_e32 v12, 8, v12
	v_mov_b32_e32 v13, 0
	s_and_saveexec_b64 s[6:7], s[2:3]
	s_cbranch_execz .LBB351_72
; %bb.71:
	v_mov_b32_e32 v13, 0
	v_lshl_add_u64 v[0:1], v[6:7], 0, v[12:13]
	global_load_ushort v23, v[0:1], off
	v_lshl_add_u64 v[0:1], v[4:5], 0, v[12:13]
	s_waitcnt vmcnt(0)
	v_lshlrev_b32_e32 v13, 16, v23
	v_sub_f32_e32 v2, v13, v2
	global_store_short_d16_hi v[0:1], v2, off
	v_mul_f32_e32 v0, v20, v2
	v_lshrrev_b32_e32 v13, 16, v0
.LBB351_72:
	s_or_b64 exec, exec, s[6:7]
	v_lshlrev_b32_e32 v14, 8, v14
	s_and_saveexec_b64 s[6:7], s[4:5]
	s_cbranch_execz .LBB351_74
; %bb.73:
	v_mov_b32_e32 v15, 0
	v_lshl_add_u64 v[0:1], v[6:7], 0, v[14:15]
	global_load_ushort v2, v[0:1], off
	v_lshl_add_u64 v[0:1], v[4:5], 0, v[14:15]
	s_waitcnt vmcnt(0)
	v_lshlrev_b32_e32 v2, 16, v2
	v_sub_f32_e32 v2, v2, v3
	global_store_short_d16_hi v[0:1], v2, off
	v_mul_f32_e32 v0, v17, v2
	v_lshrrev_b32_e32 v15, 16, v0
.LBB351_74:
	s_or_b64 exec, exec, s[6:7]
	v_lshlrev_b32_e32 v21, 5, v21
	s_mov_b32 s6, 0x5040100
	v_perm_b32 v24, v11, v9, s6
	v_or_b32_e32 v9, v21, v22
	v_accvgpr_read_b32 v0, a0
	v_perm_b32 v25, v15, v13, s6
	v_lshlrev_b32_e32 v9, 1, v9
	v_accvgpr_read_b32 v1, a1
	v_accvgpr_read_b32 v2, a2
	;; [unrolled: 1-line block ×3, first 2 shown]
	ds_write_b64 v9, v[24:25] offset:45056
	v_mov_b32_e32 v11, 0
	v_mov_b32_e32 v9, 0
	s_and_saveexec_b64 s[6:7], vcc
	s_cbranch_execz .LBB351_76
; %bb.75:
	v_mov_b32_e32 v9, 0
	v_lshl_add_u64 v[22:23], v[6:7], 0, v[8:9]
	global_load_ushort v13, v[22:23], off offset:32
	v_lshl_add_u64 v[8:9], v[4:5], 0, v[8:9]
	s_waitcnt vmcnt(0)
	v_lshlrev_b32_e32 v13, 16, v13
	v_sub_f32_e32 v0, v13, v0
	global_store_short_d16_hi v[8:9], v0, off offset:32
	v_mul_f32_e32 v0, v18, v0
	v_lshrrev_b32_e32 v9, 16, v0
.LBB351_76:
	s_or_b64 exec, exec, s[6:7]
	s_and_saveexec_b64 s[6:7], s[0:1]
	s_cbranch_execz .LBB351_78
; %bb.77:
	v_mov_b32_e32 v11, 0
	v_lshl_add_u64 v[22:23], v[6:7], 0, v[10:11]
	global_load_ushort v0, v[22:23], off offset:32
	v_lshl_add_u64 v[10:11], v[4:5], 0, v[10:11]
	s_waitcnt vmcnt(0)
	v_lshlrev_b32_e32 v0, 16, v0
	v_sub_f32_e32 v0, v0, v1
	global_store_short_d16_hi v[10:11], v0, off offset:32
	v_mul_f32_e32 v0, v16, v0
	v_lshrrev_b32_e32 v11, 16, v0
.LBB351_78:
	s_or_b64 exec, exec, s[6:7]
	v_mov_b32_e32 v0, 0
	v_mov_b32_e32 v1, 0
	s_and_saveexec_b64 s[0:1], s[2:3]
	s_cbranch_execz .LBB351_80
; %bb.79:
	v_mov_b32_e32 v13, 0
	v_lshl_add_u64 v[22:23], v[6:7], 0, v[12:13]
	global_load_ushort v1, v[22:23], off offset:32
	v_lshl_add_u64 v[12:13], v[4:5], 0, v[12:13]
	s_waitcnt vmcnt(0)
	v_lshlrev_b32_e32 v1, 16, v1
	v_sub_f32_e32 v1, v1, v2
	global_store_short_d16_hi v[12:13], v1, off offset:32
	v_mul_f32_e32 v1, v20, v1
	v_lshrrev_b32_e32 v1, 16, v1
.LBB351_80:
	s_or_b64 exec, exec, s[0:1]
	s_and_saveexec_b64 s[0:1], s[4:5]
	s_cbranch_execz .LBB351_82
; %bb.81:
	v_mov_b32_e32 v15, 0
	v_lshl_add_u64 v[6:7], v[6:7], 0, v[14:15]
	global_load_ushort v0, v[6:7], off offset:32
	v_lshl_add_u64 v[4:5], v[4:5], 0, v[14:15]
	s_waitcnt vmcnt(0)
	v_lshlrev_b32_e32 v0, 16, v0
	v_sub_f32_e32 v0, v0, v3
	global_store_short_d16_hi v[4:5], v0, off offset:32
	v_mul_f32_e32 v0, v17, v0
	v_lshrrev_b32_e32 v0, 16, v0
.LBB351_82:
	s_or_b64 exec, exec, s[0:1]
	s_mov_b32 s0, 0x5040100
	v_or_b32_e32 v2, v21, v19
	v_perm_b32 v1, v0, v1, s0
	v_perm_b32 v0, v11, v9, s0
	v_lshlrev_b32_e32 v2, 1, v2
	ds_write_b64 v2, v[0:1] offset:45056
	s_waitcnt lgkmcnt(0)
	s_barrier
.LBB351_83:
	s_endpgm
	.section	.rodata,"a",@progbits
	.p2align	6, 0x0
	.amdhsa_kernel _ZN12_GLOBAL__N_139chunk_gated_delta_rule_fwd_h_hip_kernelILi32ELb0ELb0ELb1ELb0ELb0ELb1ELb0ELb1EEEvPK12hip_bfloat16S3_S3_PKfS5_PKvPS1_S8_PvPKiSB_iiiiilll
		.amdhsa_group_segment_fixed_size 49152
		.amdhsa_private_segment_fixed_size 0
		.amdhsa_kernarg_size 136
		.amdhsa_user_sgpr_count 2
		.amdhsa_user_sgpr_dispatch_ptr 0
		.amdhsa_user_sgpr_queue_ptr 0
		.amdhsa_user_sgpr_kernarg_segment_ptr 1
		.amdhsa_user_sgpr_dispatch_id 0
		.amdhsa_user_sgpr_kernarg_preload_length 0
		.amdhsa_user_sgpr_kernarg_preload_offset 0
		.amdhsa_user_sgpr_private_segment_size 0
		.amdhsa_uses_dynamic_stack 0
		.amdhsa_enable_private_segment 0
		.amdhsa_system_sgpr_workgroup_id_x 1
		.amdhsa_system_sgpr_workgroup_id_y 1
		.amdhsa_system_sgpr_workgroup_id_z 0
		.amdhsa_system_sgpr_workgroup_info 0
		.amdhsa_system_vgpr_workitem_id 0
		.amdhsa_next_free_vgpr 168
		.amdhsa_next_free_sgpr 67
		.amdhsa_accum_offset 144
		.amdhsa_reserve_vcc 1
		.amdhsa_float_round_mode_32 0
		.amdhsa_float_round_mode_16_64 0
		.amdhsa_float_denorm_mode_32 3
		.amdhsa_float_denorm_mode_16_64 3
		.amdhsa_dx10_clamp 1
		.amdhsa_ieee_mode 1
		.amdhsa_fp16_overflow 0
		.amdhsa_tg_split 0
		.amdhsa_exception_fp_ieee_invalid_op 0
		.amdhsa_exception_fp_denorm_src 0
		.amdhsa_exception_fp_ieee_div_zero 0
		.amdhsa_exception_fp_ieee_overflow 0
		.amdhsa_exception_fp_ieee_underflow 0
		.amdhsa_exception_fp_ieee_inexact 0
		.amdhsa_exception_int_div_zero 0
	.end_amdhsa_kernel
	.section	.text._ZN12_GLOBAL__N_139chunk_gated_delta_rule_fwd_h_hip_kernelILi32ELb0ELb0ELb1ELb0ELb0ELb1ELb0ELb1EEEvPK12hip_bfloat16S3_S3_PKfS5_PKvPS1_S8_PvPKiSB_iiiiilll,"axG",@progbits,_ZN12_GLOBAL__N_139chunk_gated_delta_rule_fwd_h_hip_kernelILi32ELb0ELb0ELb1ELb0ELb0ELb1ELb0ELb1EEEvPK12hip_bfloat16S3_S3_PKfS5_PKvPS1_S8_PvPKiSB_iiiiilll,comdat
.Lfunc_end351:
	.size	_ZN12_GLOBAL__N_139chunk_gated_delta_rule_fwd_h_hip_kernelILi32ELb0ELb0ELb1ELb0ELb0ELb1ELb0ELb1EEEvPK12hip_bfloat16S3_S3_PKfS5_PKvPS1_S8_PvPKiSB_iiiiilll, .Lfunc_end351-_ZN12_GLOBAL__N_139chunk_gated_delta_rule_fwd_h_hip_kernelILi32ELb0ELb0ELb1ELb0ELb0ELb1ELb0ELb1EEEvPK12hip_bfloat16S3_S3_PKfS5_PKvPS1_S8_PvPKiSB_iiiiilll
                                        ; -- End function
	.section	.AMDGPU.csdata,"",@progbits
; Kernel info:
; codeLenInByte = 8996
; NumSgprs: 73
; NumVgprs: 142
; NumAgprs: 24
; TotalNumVgprs: 168
; ScratchSize: 0
; MemoryBound: 0
; FloatMode: 240
; IeeeMode: 1
; LDSByteSize: 49152 bytes/workgroup (compile time only)
; SGPRBlocks: 9
; VGPRBlocks: 20
; NumSGPRsForWavesPerEU: 73
; NumVGPRsForWavesPerEU: 168
; AccumOffset: 144
; Occupancy: 1
; WaveLimiterHint : 1
; COMPUTE_PGM_RSRC2:SCRATCH_EN: 0
; COMPUTE_PGM_RSRC2:USER_SGPR: 2
; COMPUTE_PGM_RSRC2:TRAP_HANDLER: 0
; COMPUTE_PGM_RSRC2:TGID_X_EN: 1
; COMPUTE_PGM_RSRC2:TGID_Y_EN: 1
; COMPUTE_PGM_RSRC2:TGID_Z_EN: 0
; COMPUTE_PGM_RSRC2:TIDIG_COMP_CNT: 0
; COMPUTE_PGM_RSRC3_GFX90A:ACCUM_OFFSET: 35
; COMPUTE_PGM_RSRC3_GFX90A:TG_SPLIT: 0
	.section	.text._ZN12_GLOBAL__N_139chunk_gated_delta_rule_fwd_h_hip_kernelILi32ELb0ELb0ELb0ELb0ELb0ELb1ELb0ELb1EEEvPK12hip_bfloat16S3_S3_PKfS5_PKvPS1_S8_PvPKiSB_iiiiilll,"axG",@progbits,_ZN12_GLOBAL__N_139chunk_gated_delta_rule_fwd_h_hip_kernelILi32ELb0ELb0ELb0ELb0ELb0ELb1ELb0ELb1EEEvPK12hip_bfloat16S3_S3_PKfS5_PKvPS1_S8_PvPKiSB_iiiiilll,comdat
	.globl	_ZN12_GLOBAL__N_139chunk_gated_delta_rule_fwd_h_hip_kernelILi32ELb0ELb0ELb0ELb0ELb0ELb1ELb0ELb1EEEvPK12hip_bfloat16S3_S3_PKfS5_PKvPS1_S8_PvPKiSB_iiiiilll ; -- Begin function _ZN12_GLOBAL__N_139chunk_gated_delta_rule_fwd_h_hip_kernelILi32ELb0ELb0ELb0ELb0ELb0ELb1ELb0ELb1EEEvPK12hip_bfloat16S3_S3_PKfS5_PKvPS1_S8_PvPKiSB_iiiiilll
	.p2align	8
	.type	_ZN12_GLOBAL__N_139chunk_gated_delta_rule_fwd_h_hip_kernelILi32ELb0ELb0ELb0ELb0ELb0ELb1ELb0ELb1EEEvPK12hip_bfloat16S3_S3_PKfS5_PKvPS1_S8_PvPKiSB_iiiiilll,@function
_ZN12_GLOBAL__N_139chunk_gated_delta_rule_fwd_h_hip_kernelILi32ELb0ELb0ELb0ELb0ELb0ELb1ELb0ELb1EEEvPK12hip_bfloat16S3_S3_PKfS5_PKvPS1_S8_PvPKiSB_iiiiilll: ; @_ZN12_GLOBAL__N_139chunk_gated_delta_rule_fwd_h_hip_kernelILi32ELb0ELb0ELb0ELb0ELb0ELb1ELb0ELb1EEEvPK12hip_bfloat16S3_S3_PKfS5_PKvPS1_S8_PvPKiSB_iiiiilll
; %bb.0:
	s_load_dwordx4 s[12:15], s[0:1], 0x5c
	s_load_dwordx2 s[36:37], s[0:1], 0x30
	s_abs_i32 s18, s3
	s_ashr_i32 s17, s3, 31
	s_load_dwordx8 s[4:11], s[0:1], 0x0
	s_waitcnt lgkmcnt(0)
	s_abs_i32 s16, s13
	v_cvt_f32_u32_e32 v1, s16
	s_sub_i32 s20, 0, s16
	s_ashr_i32 s19, s13, 31
	s_xor_b32 s17, s17, s19
	v_rcp_iflag_f32_e32 v1, v1
	v_lshrrev_b32_e32 v61, 6, v0
	v_bfe_u32 v62, v0, 4, 2
	v_lshlrev_b32_e32 v2, 2, v62
	v_mul_f32_e32 v1, 0x4f7ffffe, v1
	v_cvt_u32_f32_e32 v1, v1
	v_and_b32_e32 v60, 63, v0
	v_mov_b32_e32 v5, 0
	v_and_b32_e32 v45, 15, v0
	v_readfirstlane_b32 s21, v1
	s_mul_i32 s20, s20, s21
	s_mul_hi_u32 s20, s21, s20
	s_add_i32 s21, s21, s20
	s_mul_hi_u32 s20, s18, s21
	s_mul_i32 s21, s20, s16
	s_sub_i32 s18, s18, s21
	s_add_i32 s22, s20, 1
	s_sub_i32 s21, s18, s16
	s_cmp_ge_u32 s18, s16
	s_cselect_b32 s20, s22, s20
	s_cselect_b32 s18, s21, s18
	s_add_i32 s21, s20, 1
	s_cmp_ge_u32 s18, s16
	s_cselect_b32 s18, s21, s20
	s_abs_i32 s20, s14
	v_cvt_f32_u32_e32 v1, s20
	s_xor_b32 s18, s18, s17
	s_ashr_i32 s46, s12, 31
	s_sub_i32 s48, s18, s17
	v_rcp_iflag_f32_e32 v1, v1
	s_lshr_b32 s17, s46, 26
	s_add_i32 s17, s12, s17
	s_ashr_i32 s49, s14, 31
	v_mul_f32_e32 v1, 0x4f7ffffe, v1
	v_cvt_u32_f32_e32 v1, v1
	s_ashr_i32 s47, s17, 6
	s_xor_b32 s17, s19, s49
	s_sub_i32 s18, 0, s20
	v_readfirstlane_b32 s19, v1
	s_mul_i32 s18, s18, s19
	s_mul_hi_u32 s18, s19, s18
	s_add_i32 s19, s19, s18
	s_mul_hi_u32 s18, s16, s19
	s_mul_i32 s19, s18, s20
	s_mul_i32 s45, s48, s13
	s_sub_i32 s16, s16, s19
	s_sub_i32 s33, s3, s45
	s_add_i32 s3, s12, 63
	s_add_i32 s19, s18, 1
	s_sub_i32 s21, s16, s20
	s_cmp_ge_u32 s16, s20
	s_cselect_b32 s18, s19, s18
	s_cselect_b32 s16, s21, s16
	s_add_i32 s19, s18, 1
	s_cmp_ge_u32 s16, s20
	s_cselect_b32 s16, s19, s18
	s_xor_b32 s16, s16, s17
	s_sub_i32 s20, s16, s17
	s_abs_i32 s21, s20
	v_cvt_f32_u32_e32 v1, s21
	s_sub_i32 s23, 0, s21
	s_abs_i32 s22, s33
	s_xor_b32 s20, s33, s20
	v_rcp_iflag_f32_e32 v1, v1
	s_ashr_i32 s20, s20, 31
	s_load_dwordx2 s[28:29], s[0:1], 0x80
	s_load_dwordx4 s[16:19], s[0:1], 0x70
	s_mul_hi_i32 s51, s48, s13
	v_mul_f32_e32 v1, 0x4f7ffffe, v1
	v_cvt_u32_f32_e32 v1, v1
	v_lshrrev_b32_e32 v64, 3, v60
	v_lshlrev_b32_e32 v63, 3, v0
	s_waitcnt lgkmcnt(0)
	s_mul_i32 s17, s48, s17
	v_readfirstlane_b32 s24, v1
	s_mul_i32 s23, s23, s24
	s_mul_hi_u32 s23, s24, s23
	s_add_i32 s24, s24, s23
	s_mul_hi_u32 s23, s22, s24
	s_mul_i32 s24, s23, s21
	s_sub_i32 s22, s22, s24
	s_add_i32 s24, s23, 1
	s_sub_i32 s25, s22, s21
	s_cmp_ge_u32 s22, s21
	s_cselect_b32 s23, s24, s23
	s_cselect_b32 s22, s25, s22
	s_add_i32 s24, s23, 1
	s_cmp_ge_u32 s22, s21
	s_cselect_b32 s21, s24, s23
	s_xor_b32 s21, s21, s20
	s_sub_i32 s52, s21, s20
	s_ashr_i32 s20, s3, 31
	s_lshr_b32 s20, s20, 26
	v_lshlrev_b32_e32 v1, 4, v61
	s_add_i32 s3, s3, s20
	v_or_b32_e32 v65, v2, v1
	s_ashr_i32 s3, s3, 6
	s_lshl_b32 s30, s2, 5
	s_mul_i32 s50, s48, s3
	v_or_b32_e32 v66, 64, v65
	s_cmp_lt_i32 s12, 64
	s_mul_hi_u32 s44, s48, s16
	s_mul_i32 s34, s48, s16
	v_mov_b32_e32 v83, 0
	v_mov_b32_e32 v81, 0
	;; [unrolled: 1-line block ×15, first 2 shown]
	s_cbranch_scc1 .LBB352_18
; %bb.1:
	s_ashr_i32 s24, s48, 31
	s_ashr_i32 s54, s33, 31
	s_add_u32 s2, s45, s33
	s_addc_u32 s3, s51, s54
	s_mul_i32 s3, s12, s3
	s_mul_hi_u32 s20, s12, s2
	s_add_i32 s39, s20, s3
	s_mul_i32 s38, s12, s2
	s_lshl_b64 s[2:3], s[38:39], 8
	v_and_b32_e32 v68, 56, v63
	s_add_u32 s20, s6, s2
	v_lshl_or_b32 v67, v61, 3, v64
	v_lshlrev_b32_e32 v3, 1, v68
	s_addc_u32 s2, s7, s3
	v_lshl_or_b32 v69, v67, 8, v3
	s_and_b32 s21, s2, 0xffff
	s_mov_b32 s23, 0x20000
	s_movk_i32 s22, 0x4000
	s_movk_i32 s2, 0x80
	v_or_b32_e32 v70, 0x2000, v69
	buffer_load_dwordx4 v[4:7], v69, s[20:23], 0 offen
	buffer_load_dwordx4 v[8:11], v69, s[20:23], s2 offen
	;; [unrolled: 1-line block ×4, first 2 shown]
	v_lshlrev_b32_e32 v20, 3, v67
	v_and_or_b32 v22, v0, 7, v20
	v_and_b32_e32 v20, 0x78, v20
	v_lshlrev_b32_e32 v22, 4, v22
	v_xor_b32_e32 v71, v22, v20
	v_mul_lo_u32 v21, v67, s15
	v_or_b32_e32 v72, 0x1000, v71
	s_cmpk_eq_i32 s15, 0x80
	s_mov_b32 s53, s14
	v_xor_b32_e32 v20, 8, v71
	v_xor_b32_e32 v22, 8, v72
	s_cselect_b64 s[2:3], -1, 0
	s_cmpk_lg_i32 s15, 0x80
	s_waitcnt vmcnt(3)
	ds_write_b64 v71, v[4:5] offset:24576
	ds_write_b64 v20, v[6:7] offset:24576
	s_waitcnt vmcnt(2)
	ds_write_b64 v71, v[8:9] offset:32768
	ds_write_b64 v20, v[10:11] offset:32768
	;; [unrolled: 3-line block ×4, first 2 shown]
	v_lshl_add_u32 v4, v21, 1, v68
	s_cbranch_scc0 .LBB352_3
; %bb.2:
	v_lshlrev_b32_e32 v6, 1, v4
	v_add_lshl_u32 v5, v4, s15, 1
	s_lshl_b32 s22, s15, 7
	s_load_dwordx2 s[40:41], s[0:1], 0x20
	v_lshl_or_b32 v3, v67, 9, v3
	s_cbranch_execz .LBB352_4
	s_branch .LBB352_5
.LBB352_3:
                                        ; implicit-def: $vgpr5
                                        ; implicit-def: $vgpr6
                                        ; implicit-def: $sgpr22
	s_load_dwordx2 s[40:41], s[0:1], 0x20
	v_lshl_or_b32 v3, v67, 9, v3
.LBB352_4:
	v_or_b32_e32 v5, 0x100, v3
	s_movk_i32 s22, 0x4000
	v_mov_b32_e32 v6, v3
.LBB352_5:
	s_mul_hi_u32 s0, s14, s12
	s_mul_i32 s1, s49, s12
	s_add_i32 s0, s0, s1
	s_mul_i32 s1, s14, s12
	s_mul_i32 s20, s1, s24
	s_mul_hi_u32 s21, s1, s48
	s_add_i32 s20, s21, s20
	s_mul_i32 s0, s0, s48
	s_add_i32 s20, s20, s0
	s_mul_i32 s1, s1, s48
	s_ashr_i32 s55, s52, 31
	s_add_u32 s0, s1, s52
	s_addc_u32 s1, s20, s55
	s_lshl_b64 s[0:1], s[0:1], 8
	s_add_u32 s20, s4, s0
	s_addc_u32 s0, s5, s1
	s_and_b32 s21, s0, 0xffff
	s_movk_i32 s56, 0x80
	buffer_load_dwordx4 v[8:11], v6, s[20:23], 0 offen
	buffer_load_dwordx4 v[12:15], v6, s[20:23], s56 offen
	;; [unrolled: 1-line block ×4, first 2 shown]
	v_and_b32_e32 v5, 6, v0
	v_lshlrev_b32_e32 v24, 6, v65
	v_or_b32_e32 v26, 16, v45
	v_xor_b32_e32 v27, v67, v5
	v_and_b32_e32 v6, 1, v0
	s_mul_i32 s0, s24, s12
	s_mul_hi_u32 s1, s48, s12
	v_lshl_or_b32 v30, v45, 3, v24
	v_lshl_or_b32 v24, v26, 3, v24
	v_lshlrev_b32_e32 v27, 2, v27
	v_lshlrev_b32_e32 v7, 2, v45
	v_or_b32_e32 v75, 0xa000, v24
	v_or_b32_e32 v76, 0xb000, v24
	v_xor_b32_e32 v24, 0x440, v27
	v_cmp_eq_u32_e32 vcc, 0, v6
	s_add_i32 s61, s1, s0
	s_add_i32 s0, s44, s17
	s_mul_i32 s24, s24, s16
	v_xor_b32_e32 v28, v65, v7
	v_xor_b32_e32 v29, v66, v7
	v_cndmask_b32_e32 v6, v24, v27, vcc
	s_add_i32 s35, s0, s24
	s_mul_i32 s0, s33, s19
	s_mul_hi_u32 s1, s33, s18
	s_mov_b32 s59, 0x1000504
	v_lshlrev_b32_e32 v25, 8, v45
	v_lshlrev_b32_e32 v28, 1, v28
	;; [unrolled: 1-line block ×3, first 2 shown]
	v_lshl_or_b32 v5, v5, 10, v6
	s_add_i32 s0, s1, s0
	s_mul_i32 s1, s54, s18
	s_mov_b32 s60, 0x3020706
	v_or_b32_e32 v73, 0xa000, v30
	v_or_b32_e32 v74, 0xb000, v30
	;; [unrolled: 1-line block ×4, first 2 shown]
	v_xor_b32_e32 v6, 8, v5
	v_xor_b32_e32 v25, 24, v5
	;; [unrolled: 1-line block ×4, first 2 shown]
	s_add_i32 s1, s0, s1
	s_lshl_b64 s[20:21], s[34:35], 2
	v_xor_b32_e32 v24, 16, v5
	v_xor_b32_e32 v27, 32, v5
	;; [unrolled: 1-line block ×3, first 2 shown]
	v_add_u32_e32 v6, 0x80, v6
	v_add_u32_e32 v25, 0x80, v25
	v_add_u32_e32 v30, 0x80, v30
	v_add_u32_e32 v32, 0x80, v32
	s_mul_i32 s0, s33, s18
	s_add_u32 s20, s10, s20
	s_addc_u32 s21, s11, s21
	s_lshl_b64 s[0:1], s[0:1], 2
	s_add_u32 s42, s20, s0
	s_movk_i32 s0, 0xf8
	s_addc_u32 s43, s21, s1
	s_ashr_i32 s31, s30, 31
	s_lshl_b32 s26, s15, 7
	s_movk_i32 s20, 0x100
	v_mov_b32_e32 v55, 0
	v_lshlrev_b32_e32 v54, 4, v45
	v_cmp_gt_u32_e32 vcc, s20, v0
	s_mul_i32 s57, s48, s12
	s_mov_b32 s58, 0
	s_movk_i32 s35, 0x1000
	s_movk_i32 s22, 0x4000
	v_add_u32_e32 v100, v1, v2
	s_mov_b32 s62, 0x7060302
	v_mov_b32_e32 v111, 0x3fb8aa3b
	s_mov_b32 s64, 0
	v_mov_b32_e32 v50, v55
	v_mov_b32_e32 v51, v55
	;; [unrolled: 1-line block ×8, first 2 shown]
	s_waitcnt vmcnt(1)
	v_perm_b32 v33, v8, v16, s59
	s_waitcnt vmcnt(0)
	v_perm_b32 v34, v12, v20, s59
	v_perm_b32 v8, v8, v16, s60
	;; [unrolled: 1-line block ×15, first 2 shown]
	ds_write2st64_b32 v5, v33, v34 offset0:32 offset1:64
	ds_write2st64_b32 v6, v8, v12 offset0:32 offset1:64
	;; [unrolled: 1-line block ×8, first 2 shown]
	v_lshlrev_b32_e32 v5, 8, v26
	v_or_b32_e32 v79, v5, v28
	v_or_b32_e32 v80, v5, v29
	;; [unrolled: 1-line block ×3, first 2 shown]
	v_lshlrev_b32_e32 v5, 3, v5
	v_lshrrev_b32_e32 v8, 5, v60
	v_and_or_b32 v8, v5, s0, v8
	v_lshrrev_b32_e32 v6, 2, v60
	v_lshlrev_b32_e32 v11, 11, v61
	v_lshlrev_b32_e32 v8, 4, v8
	v_and_b32_e32 v5, 0x78, v5
	v_and_b32_e32 v9, 12, v6
	;; [unrolled: 1-line block ×3, first 2 shown]
	v_xor_b32_e32 v10, v8, v5
	v_lshrrev_b32_e32 v12, 1, v60
	v_or_b32_e32 v10, v10, v6
	v_and_b32_e32 v12, 8, v12
	v_xor_b32_e32 v87, v10, v12
	v_or_b32_e32 v10, 32, v8
	v_xor_b32_e32 v10, v10, v5
	v_or_b32_e32 v10, v10, v6
	;; [unrolled: 2-line block ×3, first 2 shown]
	v_or_b32_e32 v8, 0x60, v8
	v_xor_b32_e32 v10, v10, v5
	v_xor_b32_e32 v5, v8, v5
	s_lshl_b64 s[0:1], s[30:31], 8
	v_or_b32_e32 v10, v10, v6
	v_or_b32_e32 v5, v5, v6
	v_lshlrev_b32_e32 v14, 1, v4
	v_add_lshl_u32 v15, v4, s15, 1
	s_add_u32 s0, s36, s0
	v_lshlrev_b32_e32 v4, 1, v45
	v_xor_b32_e32 v91, v10, v12
	v_xor_b32_e32 v92, v5, v12
	v_lshrrev_b32_e32 v10, 4, v0
	s_addc_u32 s1, s37, s1
	v_or_b32_e32 v5, 1, v4
	v_mov_b32_e32 v20, 0x4000
	v_mov_b32_e32 v21, 0x2000
	v_lshrrev_b32_e32 v22, 1, v0
	v_xor_b32_e32 v12, v10, v4
	v_xor_b32_e32 v17, v5, v10
	v_lshl_add_u64 v[4:5], s[0:1], 0, v[54:55]
	v_lshlrev_b32_e32 v54, 8, v10
	v_cndmask_b32_e32 v20, v20, v21, vcc
	v_lshlrev_b32_e32 v21, 3, v61
	v_and_b32_e32 v22, 24, v22
	v_lshl_or_b32 v95, v12, 3, v54
	v_and_b32_e32 v12, 8, v0
	v_xor_b32_e32 v23, v21, v22
	v_or_b32_e32 v24, 0x440, v23
	v_cmp_eq_u32_e32 vcc, 0, v12
	v_and_b32_e32 v10, 7, v0
	v_lshlrev_b32_e32 v13, 7, v62
	v_cndmask_b32_e32 v12, v24, v23, vcc
	v_lshl_or_b32 v96, v17, 3, v54
	v_lshlrev_b32_e32 v17, 3, v10
	v_lshlrev_b32_e32 v19, 2, v0
	v_or_b32_e32 v12, v12, v11
	v_or_b32_e32 v7, v13, v7
	v_xor_b32_e32 v23, v12, v17
	v_and_or_b32 v12, v19, 60, v13
	v_mov_b32_e32 v13, 0xb000
	v_lshl_or_b32 v97, v12, 1, v13
	v_or_b32_e32 v12, 32, v22
	v_xor_b32_e32 v12, v21, v12
	v_or_b32_e32 v13, 0x440, v12
	v_cndmask_b32_e32 v12, v13, v12, vcc
	v_or_b32_e32 v12, v12, v11
	v_xor_b32_e32 v13, v12, v17
	v_or_b32_e32 v12, 64, v22
	v_xor_b32_e32 v12, v21, v12
	v_xor_b32_e32 v25, 0x440, v12
	v_cndmask_b32_e32 v12, v25, v12, vcc
	v_or_b32_e32 v12, v12, v11
	v_xor_b32_e32 v25, v12, v17
	v_or_b32_e32 v12, 0x60, v22
	v_xor_b32_e32 v12, v21, v12
	v_xor_b32_e32 v21, 0x440, v12
	v_cndmask_b32_e32 v12, v21, v12, vcc
	v_or_b32_e32 v11, v12, v11
	v_lshlrev_b32_e32 v7, 1, v7
	v_or_b32_e32 v6, s30, v45
	v_xor_b32_e32 v11, v11, v17
	v_or_b32_e32 v88, 0xa000, v7
	v_or_b32_e32 v90, 0xa080, v7
	;; [unrolled: 1-line block ×4, first 2 shown]
	v_lshlrev_b32_e32 v8, 7, v65
	v_ashrrev_i32_e32 v7, 31, v6
	v_or_b32_e32 v16, 0x100, v3
	v_lshlrev_b32_e32 v18, 7, v10
	v_or_b32_e32 v10, v9, v1
	v_add_u32_e32 v24, v20, v23
	v_add_u32_e32 v19, v20, v13
	;; [unrolled: 1-line block ×4, first 2 shown]
	v_or3_b32 v12, v1, v9, 64
	v_add_u32_e32 v9, 0x4000, v23
	v_add_u32_e32 v13, 0x4000, v13
	;; [unrolled: 1-line block ×4, first 2 shown]
	v_cndmask_b32_e64 v98, v14, v3, s[2:3]
	v_cndmask_b32_e64 v99, v15, v16, s[2:3]
	v_lshl_add_u64 v[56:57], v[6:7], 1, s[8:9]
	v_lshl_add_u64 v[58:59], v[4:5], 0, v[54:55]
	s_add_i32 s31, s57, 63
	v_lshlrev_b32_e32 v54, 1, v8
	v_lshlrev_b32_e32 v101, 2, v10
	v_add_u32_e32 v102, v24, v18
	v_add_u32_e32 v103, v19, v18
	;; [unrolled: 1-line block ×4, first 2 shown]
	v_lshlrev_b32_e32 v106, 2, v12
	v_add_u32_e32 v107, v9, v18
	v_add_u32_e32 v108, v13, v18
	;; [unrolled: 1-line block ×4, first 2 shown]
	v_mov_b32_e32 v85, v55
	v_mov_b32_e32 v84, v55
	v_mov_b32_e32 v86, v55
	v_mov_b32_e32 v113, v55
	v_mov_b32_e32 v82, v55
	v_mov_b32_e32 v81, v55
	v_mov_b32_e32 v83, v55
	v_mov_b32_e32 v112, v55
	s_waitcnt lgkmcnt(0)
	s_barrier
.LBB352_6:                              ; =>This Inner Loop Header: Depth=1
	s_add_i32 s63, s64, 1
	s_cmp_lt_i32 s63, s47
	s_mov_b64 s[24:25], 0
	s_cselect_b64 s[2:3], -1, 0
	s_cmp_ge_i32 s63, s47
	s_mov_b64 s[20:21], 0
	s_cbranch_scc1 .LBB352_8
; %bb.7:                                ;   in Loop: Header=BB352_6 Depth=1
	s_add_i32 s0, s58, 64
	s_add_u32 s0, s38, s0
	s_addc_u32 s1, s39, 0
	s_lshl_b64 s[0:1], s[0:1], 8
	s_add_u32 s20, s6, s0
	s_addc_u32 s21, s7, s1
.LBB352_8:                              ;   in Loop: Header=BB352_6 Depth=1
	v_cndmask_b32_e64 v2, 0, 1, s[2:3]
	v_cmp_ne_u32_e64 s[0:1], 1, v2
	s_andn2_b64 vcc, exec, s[2:3]
	s_cbranch_vccnz .LBB352_10
; %bb.9:                                ;   in Loop: Header=BB352_6 Depth=1
	s_add_i32 s2, s58, 64
	s_add_u32 s2, s57, s2
	s_addc_u32 s3, s61, 0
	s_mul_i32 s24, s2, s49
	s_mul_hi_u32 s25, s2, s53
	s_add_i32 s24, s25, s24
	s_mul_i32 s3, s3, s53
	s_add_i32 s24, s24, s3
	s_mul_i32 s2, s2, s53
	s_add_u32 s2, s2, s52
	s_addc_u32 s3, s24, s55
	s_lshl_b64 s[2:3], s[2:3], 8
	s_add_u32 s24, s4, s2
	s_addc_u32 s25, s5, s3
.LBB352_10:                             ;   in Loop: Header=BB352_6 Depth=1
	v_perm_b32 v3, v53, v52, s62
	v_perm_b32 v2, v51, v50, s62
	;; [unrolled: 1-line block ×4, first 2 shown]
	ds_write_b64 v73, v[2:3]
	ds_write_b64 v74, v[4:5]
	;; [unrolled: 1-line block ×4, first 2 shown]
	v_perm_b32 v3, v113, v86, s62
	v_perm_b32 v2, v84, v85, s62
	;; [unrolled: 1-line block ×4, first 2 shown]
	ds_write_b64 v75, v[2:3]
	ds_write_b64 v76, v[4:5]
	;; [unrolled: 1-line block ×4, first 2 shown]
	s_waitcnt lgkmcnt(0)
	s_barrier
	ds_read_b64 v[6:7], v87 offset:24576
	ds_read2_b64 v[2:5], v88 offset1:16
	ds_read_b64 v[10:11], v90 offset:3072
	ds_read_b64 v[12:13], v88 offset:3072
	;; [unrolled: 1-line block ×3, first 2 shown]
	s_waitcnt lgkmcnt(3)
	v_mfma_f32_16x16x16_bf16 a[0:3], v[6:7], v[2:3], 0
	s_add_i32 s2, s58, 63
	s_mul_i32 s3, s2, s29
	s_mul_hi_u32 s27, s2, s28
	v_mfma_f32_16x16x16_bf16 a[4:7], v[6:7], v[4:5], 0
	ds_read2st64_b64 v[2:5], v88 offset0:2 offset1:4
	ds_read2st64_b64 v[6:9], v90 offset0:2 offset1:4
	s_add_i32 s3, s27, s3
	s_waitcnt lgkmcnt(1)
	v_mfma_f32_16x16x16_bf16 a[0:3], v[14:15], v[2:3], a[0:3]
	s_mul_i32 s2, s2, s28
	s_lshl_b64 s[2:3], s[2:3], 2
	s_add_u32 s2, s42, s2
	s_waitcnt lgkmcnt(0)
	v_mfma_f32_16x16x16_bf16 a[4:7], v[14:15], v[6:7], a[4:7]
	ds_read_b64 v[2:3], v91 offset:24576
	ds_read_b64 v[6:7], v92 offset:24576
	s_addc_u32 s3, s43, s3
	s_and_b64 vcc, exec, s[0:1]
	s_waitcnt lgkmcnt(1)
	v_mfma_f32_16x16x16_bf16 a[0:3], v[2:3], v[4:5], a[0:3]
	v_mov_b32_e32 v116, 0
	v_mov_b32_e32 v115, 0
	;; [unrolled: 1-line block ×3, first 2 shown]
	v_mfma_f32_16x16x16_bf16 a[4:7], v[2:3], v[8:9], a[4:7]
	v_mov_b32_e32 v2, 0
	v_mov_b32_e32 v3, 0
	;; [unrolled: 1-line block ×3, first 2 shown]
	s_waitcnt lgkmcnt(0)
	v_mfma_f32_16x16x16_bf16 a[0:3], v[6:7], v[12:13], a[0:3]
	v_mov_b32_e32 v5, 0
	v_mov_b32_e32 v8, 0
	;; [unrolled: 1-line block ×3, first 2 shown]
	v_mfma_f32_16x16x16_bf16 a[4:7], v[6:7], v[10:11], a[4:7]
	v_mov_b32_e32 v6, 0
	v_mov_b32_e32 v7, 0
	;; [unrolled: 1-line block ×10, first 2 shown]
	s_cbranch_vccnz .LBB352_12
; %bb.11:                               ;   in Loop: Header=BB352_6 Depth=1
	s_and_b32 s21, s21, 0xffff
	buffer_load_dwordx4 v[14:17], v69, s[20:23], 0 offen
	buffer_load_dwordx4 v[10:13], v69, s[20:23], s56 offen
	buffer_load_dwordx4 v[6:9], v70, s[20:23], 0 offen
	buffer_load_dwordx4 v[2:5], v70, s[20:23], s56 offen
	v_mov_b32_e32 v115, v71
	v_mov_b32_e32 v114, v72
.LBB352_12:                             ;   in Loop: Header=BB352_6 Depth=1
	ds_read_b64 v[22:23], v87 offset:32768
	ds_read2_b64 v[18:21], v93 offset1:16
	ds_read_b64 v[26:27], v89 offset:32768
	ds_read_b64 v[28:29], v91 offset:32768
	;; [unrolled: 1-line block ×3, first 2 shown]
	v_add_u32_e32 v32, s58, v100
	s_waitcnt lgkmcnt(3)
	v_mfma_f32_16x16x16_bf16 a[0:3], v[22:23], v[18:19], a[0:3]
	v_mul_lo_u32 v33, v32, s29
	v_mov_b32_e32 v117, 0
	v_mfma_f32_16x16x16_bf16 a[4:7], v[22:23], v[20:21], a[4:7]
	ds_read2st64_b64 v[18:21], v93 offset0:2 offset1:4
	ds_read2st64_b64 v[22:25], v94 offset0:2 offset1:4
	s_waitcnt lgkmcnt(1)
	v_mfma_f32_16x16x16_bf16 a[0:3], v[26:27], v[18:19], a[0:3]
	v_ashrrev_i32_e32 v18, 31, v32
	v_mul_lo_u32 v34, v18, s28
	v_mad_u64_u32 v[18:19], s[20:21], v32, s28, 0
	v_mfma_f32_16x16x16_bf16 a[0:3], v[28:29], v[20:21], a[0:3]
	v_add_u32_e32 v20, 1, v32
	v_ashrrev_i32_e32 v21, 31, v20
	v_add3_u32 v19, v19, v33, v34
	s_waitcnt lgkmcnt(0)
	v_mfma_f32_16x16x16_bf16 a[4:7], v[26:27], v[22:23], a[4:7]
	v_mul_lo_u32 v22, v21, s28
	v_mul_lo_u32 v23, v20, s29
	v_mad_u64_u32 v[20:21], s[20:21], v20, s28, 0
	v_add3_u32 v21, v21, v23, v22
	v_add_u32_e32 v22, 2, v32
	v_ashrrev_i32_e32 v23, 31, v22
	v_mul_lo_u32 v26, v23, s28
	v_mul_lo_u32 v27, v22, s29
	v_mad_u64_u32 v[22:23], s[20:21], v22, s28, 0
	v_add3_u32 v23, v23, v27, v26
	v_add_u32_e32 v26, 3, v32
	v_ashrrev_i32_e32 v27, 31, v26
	v_mul_lo_u32 v32, v27, s28
	v_mul_lo_u32 v33, v26, s29
	v_mad_u64_u32 v[26:27], s[20:21], v26, s28, 0
	s_add_u32 s20, s38, s58
	s_addc_u32 s21, s39, 0
	s_lshl_b64 s[20:21], s[20:21], 8
	v_lshl_add_u64 v[18:19], v[18:19], 2, s[42:43]
	v_lshl_add_u64 v[20:21], v[20:21], 2, s[42:43]
	v_add3_u32 v27, v27, v33, v32
	v_lshl_add_u64 v[32:33], v[56:57], 0, s[20:21]
	v_lshl_add_u64 v[22:23], v[22:23], 2, s[42:43]
	v_lshl_add_u64 v[32:33], v[32:33], 0, v[54:55]
	global_load_dword v34, v[18:19], off
	global_load_ushort v35, v[32:33], off offset:256
	global_load_ushort v36, v[32:33], off
	global_load_ushort v37, v[32:33], off offset:768
	global_load_ushort v38, v[32:33], off offset:512
	v_lshl_add_u64 v[18:19], v[26:27], 2, s[42:43]
	global_load_dword v39, v[20:21], off
	global_load_dword v40, v[22:23], off
	;; [unrolled: 1-line block ×3, first 2 shown]
	ds_read_b64 v[18:19], v93 offset:3072
	ds_read_b64 v[20:21], v94 offset:3072
	global_load_ushort v42, v[32:33], off offset:800
	global_load_ushort v43, v[32:33], off offset:544
	global_load_ushort v44, v[32:33], off offset:288
	s_nop 0
	global_load_ushort v32, v[32:33], off offset:32
	s_load_dword s2, s[2:3], 0x0
	v_mfma_f32_16x16x16_bf16 a[4:7], v[28:29], v[24:25], a[4:7]
	s_and_b64 vcc, exec, s[0:1]
	v_mov_b32_e32 v33, 0
	s_waitcnt vmcnt(11) lgkmcnt(0)
	v_sub_f32_e32 v28, s2, v34
	v_mfma_f32_16x16x16_bf16 a[0:3], v[30:31], v[18:19], a[0:3]
	v_mul_f32_e32 v28, 0x3fb8aa3b, v28
	v_exp_f32_e32 v28, v28
	s_waitcnt vmcnt(6)
	v_sub_f32_e32 v29, s2, v39
	v_mfma_f32_16x16x16_bf16 a[4:7], v[30:31], v[20:21], a[4:7]
	s_waitcnt vmcnt(5)
	v_sub_f32_e32 v30, s2, v40
	s_waitcnt vmcnt(4)
	v_sub_f32_e32 v31, s2, v41
	v_mul_f32_e32 v29, 0x3fb8aa3b, v29
	v_mul_f32_e32 v30, 0x3fb8aa3b, v30
	;; [unrolled: 1-line block ×3, first 2 shown]
	v_exp_f32_e32 v29, v29
	v_exp_f32_e32 v30, v30
	v_exp_f32_e32 v31, v31
	v_accvgpr_read_b32 v23, a1
	v_accvgpr_read_b32 v19, a3
	v_accvgpr_read_b32 v18, a2
	v_accvgpr_read_b32 v22, a0
	v_lshlrev_b32_e32 v25, 16, v35
	v_lshlrev_b32_e32 v24, 16, v36
	;; [unrolled: 1-line block ×4, first 2 shown]
	v_pk_add_f32 v[22:23], v[24:25], v[22:23] neg_lo:[0,1] neg_hi:[0,1]
	v_pk_add_f32 v[18:19], v[26:27], v[18:19] neg_lo:[0,1] neg_hi:[0,1]
	v_pk_mul_f32 v[22:23], v[28:29], v[22:23]
	v_pk_mul_f32 v[18:19], v[30:31], v[18:19]
	v_accvgpr_read_b32 v25, a5
	v_perm_b32 v19, v19, v18, s62
	v_perm_b32 v18, v23, v22, s62
	s_waitcnt vmcnt(1)
	v_lshlrev_b32_e32 v23, 16, v44
	s_waitcnt vmcnt(0)
	v_lshlrev_b32_e32 v22, 16, v32
	v_accvgpr_read_b32 v24, a4
	v_accvgpr_read_b32 v21, a7
	;; [unrolled: 1-line block ×3, first 2 shown]
	v_pk_add_f32 v[22:23], v[22:23], v[24:25] neg_lo:[0,1] neg_hi:[0,1]
	v_lshlrev_b32_e32 v25, 16, v42
	v_lshlrev_b32_e32 v24, 16, v43
	v_pk_add_f32 v[20:21], v[24:25], v[20:21] neg_lo:[0,1] neg_hi:[0,1]
	v_pk_mul_f32 v[22:23], v[28:29], v[22:23]
	v_pk_mul_f32 v[20:21], v[30:31], v[20:21]
	v_mov_b32_e32 v24, 0
	v_perm_b32 v21, v21, v20, s62
	v_perm_b32 v20, v23, v22, s62
	ds_write2_b64 v74, v[18:19], v[20:21] offset1:16
	v_mov_b32_e32 v18, 0
	v_mov_b32_e32 v19, 0
	;; [unrolled: 1-line block ×14, first 2 shown]
	s_cbranch_vccnz .LBB352_14
; %bb.13:                               ;   in Loop: Header=BB352_6 Depth=1
	s_and_b32 s25, s25, 0xffff
	s_mov_b32 s27, s23
	buffer_load_dwordx4 v[30:33], v98, s[24:27], 0 offen
	buffer_load_dwordx4 v[22:25], v98, s[24:27], s56 offen
	buffer_load_dwordx4 v[26:29], v99, s[24:27], 0 offen
	buffer_load_dwordx4 v[18:21], v99, s[24:27], s56 offen
	v_mov_b32_e32 v116, v68
	v_mov_b32_e32 v117, v67
.LBB352_14:                             ;   in Loop: Header=BB352_6 Depth=1
	s_waitcnt lgkmcnt(0)
	s_barrier
	ds_read_b64 v[38:39], v102
	ds_read_b64 v[122:123], v97
	;; [unrolled: 1-line block ×5, first 2 shown]
	ds_read_b64 v[136:137], v94 offset:3072
	ds_read2_b64 v[34:37], v93 offset0:16 offset1:128
	s_waitcnt lgkmcnt(5)
	v_mfma_f32_16x16x16_bf16 a[0:3], v[38:39], v[122:123], 0
	ds_read2st64_b64 v[40:43], v94 offset0:2 offset1:4
	s_add_i32 s3, s50, s64
	s_mul_hi_i32 s21, s3, s13
	s_waitcnt lgkmcnt(1)
	v_mfma_f32_16x16x16_bf16 a[4:7], v[38:39], v[34:35], 0
	ds_read_b64 v[38:39], v107
	s_mul_i32 s3, s3, s13
	s_add_u32 s20, s3, s33
	s_waitcnt lgkmcnt(1)
	v_mfma_f32_16x16x16_bf16 a[4:7], v[124:125], v[40:41], a[4:7]
	s_addc_u32 s21, s21, s54
	s_add_i32 s3, s31, s58
	s_lshl_b64 s[20:21], s[20:21], 15
	s_mul_hi_i32 s25, s3, s13
	s_mul_i32 s3, s3, s13
	s_add_u32 s24, s3, s33
	v_mfma_f32_16x16x16_bf16 a[8:11], v[126:127], v[42:43], a[4:7]
	s_addc_u32 s25, s25, s54
	ds_read2st64_b64 v[118:121], v93 offset0:4 offset1:6
	s_lshl_b64 s[24:25], s[24:25], 9
	s_waitcnt lgkmcnt(1)
	v_mfma_f32_16x16x16_bf16 a[4:7], v[38:39], v[122:123], 0
	s_add_u32 s24, s40, s24
	s_addc_u32 s25, s41, s25
	v_mfma_f32_16x16x16_bf16 a[0:3], v[124:125], v[36:37], a[0:3]
	ds_read_b64 v[124:125], v108
	ds_read_b64 v[132:133], v109
	;; [unrolled: 1-line block ×3, first 2 shown]
	v_mfma_f32_16x16x16_bf16 a[12:15], v[38:39], v[34:35], 0
	s_waitcnt lgkmcnt(2)
	v_mfma_f32_16x16x16_bf16 a[4:7], v[124:125], v[36:37], a[4:7]
	global_load_dwordx4 v[34:37], v106, s[24:25]
	v_mfma_f32_16x16x16_bf16 a[12:15], v[124:125], v[40:41], a[12:15]
	global_load_dwordx4 v[38:41], v101, s[24:25]
	ds_read2st64_b64 v[122:125], v95 offset1:8
	s_waitcnt lgkmcnt(0)
	v_mov_b32_e32 v130, v122
	v_mfma_f32_16x16x16_bf16 a[0:3], v[126:127], v[118:119], a[0:3]
	ds_read2st64_b64 v[126:129], v96 offset1:8
	v_mov_b32_e32 v131, v123
	v_mfma_f32_16x16x16_bf16 a[16:19], v[132:133], v[118:119], a[4:7]
	v_lshl_add_u64 v[118:119], v[58:59], 0, s[20:21]
	v_mfma_f32_16x16x16_bf16 a[20:23], v[132:133], v[42:43], a[12:15]
	v_add_co_u32_e32 v42, vcc, s35, v118
	s_waitcnt lgkmcnt(0)
	v_mov_b32_e32 v132, v126
	v_mfma_f32_16x16x16_bf16 a[4:7], v[134:135], v[120:121], a[0:3]
	v_mov_b32_e32 v133, v127
	v_mov_b32_e32 v126, v124
	;; [unrolled: 1-line block ×3, first 2 shown]
	v_mfma_f32_16x16x16_bf16 a[8:11], v[134:135], v[136:137], a[8:11]
	v_addc_co_u32_e32 v43, vcc, 0, v119, vcc
	global_store_dwordx4 v[42:43], v[126:129], off
	v_mfma_f32_16x16x16_bf16 a[12:15], v[138:139], v[120:121], a[16:19]
	s_and_b64 vcc, exec, s[0:1]
	global_store_dwordx4 v[118:119], v[130:133], off
	s_waitcnt vmcnt(3)
	v_mov_b32_e32 v44, v37
	v_mfma_f32_16x16x16_bf16 a[0:3], v[138:139], v[136:137], a[20:23]
	v_mov_b32_e32 v43, v36
	v_mov_b32_e32 v42, v35
	s_cbranch_vccnz .LBB352_16
; %bb.15:                               ;   in Loop: Header=BB352_6 Depth=1
	v_lshrrev_b32_e32 v35, 3, v116
	v_and_b32_e32 v35, 6, v35
	v_xor_b32_e32 v36, v35, v117
	v_lshlrev_b32_e32 v36, 2, v36
	v_and_b32_e32 v37, 8, v116
	v_xor_b32_e32 v116, 0x440, v36
	v_cmp_eq_u32_e32 vcc, 0, v37
	v_perm_b32 v37, v22, v18, s59
	s_nop 0
	v_cndmask_b32_e32 v36, v116, v36, vcc
	v_lshl_or_b32 v35, v35, 10, v36
	v_perm_b32 v36, v30, v26, s59
	s_barrier
	ds_write2st64_b32 v35, v36, v37 offset0:32 offset1:64
	v_xor_b32_e32 v36, 8, v35
	v_perm_b32 v26, v30, v26, s60
	v_perm_b32 v18, v22, v18, s60
	v_add_u32_e32 v22, 0x80, v36
	ds_write2st64_b32 v22, v26, v18 offset0:32 offset1:64
	v_xor_b32_e32 v18, 16, v35
	v_perm_b32 v22, v31, v27, s59
	v_perm_b32 v26, v23, v19, s59
	ds_write2st64_b32 v18, v22, v26 offset0:33 offset1:65
	v_xor_b32_e32 v18, 24, v35
	v_perm_b32 v22, v31, v27, s60
	v_perm_b32 v19, v23, v19, s60
	v_add_u32_e32 v18, 0x80, v18
	ds_write2st64_b32 v18, v22, v19 offset0:33 offset1:65
	v_xor_b32_e32 v18, 32, v35
	v_perm_b32 v19, v32, v28, s59
	v_perm_b32 v22, v24, v20, s59
	;; [unrolled: 9-line block ×3, first 2 shown]
	ds_write2st64_b32 v18, v19, v20 offset0:35 offset1:67
	v_xor_b32_e32 v18, 56, v35
	v_perm_b32 v19, v33, v29, s60
	v_perm_b32 v20, v25, v21, s60
	v_add_u32_e32 v18, 0x80, v18
	ds_write2st64_b32 v18, v19, v20 offset0:35 offset1:67
	ds_write_b64 v115, v[14:15] offset:24576
	v_xor_b32_e32 v14, 8, v115
	ds_write_b64 v14, v[16:17] offset:24576
	ds_write_b64 v115, v[10:11] offset:32768
	;; [unrolled: 1-line block ×4, first 2 shown]
	v_xor_b32_e32 v6, 8, v114
	ds_write_b64 v6, v[8:9] offset:24576
	ds_write_b64 v114, v[2:3] offset:32768
	;; [unrolled: 1-line block ×3, first 2 shown]
.LBB352_16:                             ;   in Loop: Header=BB352_6 Depth=1
	v_mul_f32_e32 v2, s2, v111
	v_exp_f32_e32 v18, v2
	s_waitcnt vmcnt(2)
	v_mul_f32_e32 v2, 0x3fb8aa3b, v38
	v_exp_f32_e32 v20, v2
	v_mul_f32_e32 v2, 0x3fb8aa3b, v39
	v_exp_f32_e32 v21, v2
	;; [unrolled: 2-line block ×4, first 2 shown]
	v_accvgpr_read_b32 v13, a7
	v_accvgpr_read_b32 v11, a5
	;; [unrolled: 1-line block ×4, first 2 shown]
	v_pk_mul_f32 v[20:21], v[18:19], v[20:21] op_sel_hi:[0,1]
	v_accvgpr_read_b32 v8, a10
	v_pk_fma_f32 v[50:51], v[50:51], v[20:21], v[10:11]
	v_pk_mul_f32 v[10:11], v[18:19], v[22:23] op_sel_hi:[0,1]
	v_accvgpr_read_b32 v12, a6
	v_accvgpr_read_b32 v7, a9
	v_fma_f32 v86, v86, v10, v8
	v_mul_f32_e32 v8, 0x3fb8aa3b, v43
	v_pk_fma_f32 v[52:53], v[52:53], v[10:11], v[12:13]
	v_fma_f32 v85, v85, v20, v6
	v_fma_f32 v84, v84, v21, v7
	v_mul_f32_e32 v6, 0x3fb8aa3b, v34
	v_mul_f32_e32 v7, 0x3fb8aa3b, v42
	v_exp_f32_e32 v12, v8
	v_mul_f32_e32 v8, 0x3fb8aa3b, v44
	v_exp_f32_e32 v6, v6
	v_exp_f32_e32 v7, v7
	;; [unrolled: 1-line block ×3, first 2 shown]
	v_accvgpr_read_b32 v9, a11
	v_accvgpr_read_b32 v17, a15
	;; [unrolled: 1-line block ×9, first 2 shown]
	v_fmac_f32_e32 v9, v113, v11
	v_pk_mul_f32 v[6:7], v[18:19], v[6:7] op_sel_hi:[0,1]
	v_pk_mul_f32 v[10:11], v[18:19], v[12:13] op_sel_hi:[0,1]
	s_add_i32 s58, s58, 64
	v_pk_fma_f32 v[46:47], v[46:47], v[6:7], v[14:15]
	v_pk_fma_f32 v[48:49], v[48:49], v[10:11], v[16:17]
	v_fma_f32 v82, v82, v6, v2
	v_fma_f32 v81, v81, v7, v3
	;; [unrolled: 1-line block ×3, first 2 shown]
	s_cmp_eq_u32 s47, s63
	v_fmac_f32_e32 v5, v112, v11
	s_cbranch_scc1 .LBB352_18
; %bb.17:                               ;   in Loop: Header=BB352_6 Depth=1
	s_mov_b32 s64, s63
	v_mov_b32_e32 v113, v9
	v_mov_b32_e32 v112, v5
	s_branch .LBB352_6
.LBB352_18:
	s_lshl_b32 s40, s47, 6
	s_sub_i32 s41, s12, s40
	s_cmp_gt_i32 s41, 0
	s_cbranch_scc0 .LBB352_83
; %bb.19:
	s_ashr_i32 s35, s48, 31
	s_ashr_i32 s2, s40, 31
	s_cmpk_lg_i32 s15, 0x80
	s_cselect_b64 s[26:27], -1, 0
	s_and_b64 vcc, exec, s[26:27]
	s_cbranch_vccz .LBB352_21
; %bb.20:
	s_mul_i32 s1, s48, s12
	s_mul_hi_i32 s0, s48, s12
	s_add_u32 s1, s1, s40
	s_addc_u32 s0, s0, s2
	s_mul_i32 s3, s1, s49
	s_mul_hi_u32 s20, s1, s14
	s_add_i32 s3, s20, s3
	s_mul_i32 s0, s0, s14
	s_add_i32 s3, s3, s0
	s_mul_i32 s1, s1, s14
	s_ashr_i32 s0, s52, 31
	s_add_u32 s38, s1, s52
	s_addc_u32 s39, s3, s0
	s_cbranch_execz .LBB352_22
	s_branch .LBB352_23
.LBB352_21:
                                        ; implicit-def: $sgpr38_sgpr39
.LBB352_22:
	s_mul_hi_i32 s0, s48, s14
	s_mul_i32 s48, s48, s14
	s_ashr_i32 s1, s52, 31
	s_add_u32 s3, s48, s52
	s_addc_u32 s0, s0, s1
	s_mul_i32 s1, s3, s46
	s_mul_hi_u32 s14, s3, s12
	s_add_i32 s1, s14, s1
	s_mul_i32 s0, s0, s12
	s_add_i32 s1, s1, s0
	s_mul_i32 s3, s3, s12
	s_add_u32 s38, s3, s40
	s_addc_u32 s39, s1, s2
.LBB352_23:
	s_add_i32 s3, s50, s47
	s_ashr_i32 s14, s33, 31
	s_add_u32 s0, s45, s33
	s_addc_u32 s1, s51, s14
	s_mul_i32 s20, s0, s46
	s_mul_hi_u32 s21, s0, s12
	s_add_i32 s20, s21, s20
	s_mul_i32 s1, s1, s12
	s_add_i32 s20, s20, s1
	s_mul_i32 s0, s0, s12
	s_add_u32 s0, s0, s40
	v_lshlrev_b32_e32 v8, 5, v65
	v_lshlrev_b32_e32 v22, 2, v45
	s_addc_u32 s1, s20, s2
	s_mov_b32 s2, 0x7060302
	v_or_b32_e32 v11, v8, v22
	v_xor_b32_e32 v4, v65, v22
	v_perm_b32 v3, v53, v52, s2
	v_perm_b32 v2, v51, v50, s2
	v_perm_b32 v7, v49, v48, s2
	v_perm_b32 v6, v47, v46, s2
	v_lshlrev_b32_e32 v11, 1, v11
	s_lshl_b64 s[24:25], s[0:1], 8
	v_xor_b32_e32 v10, v66, v22
	ds_write2st64_b64 v11, v[2:3], v[6:7] offset0:80 offset1:88
	v_lshlrev_b32_e32 v11, 1, v4
	v_lshlrev_b32_e32 v4, 8, v45
	s_add_u32 s0, s6, s24
	v_or_b32_e32 v12, v11, v4
	v_lshlrev_b32_e32 v10, 1, v10
	s_addc_u32 s1, s7, s25
	ds_write_b64 v12, v[2:3]
	v_or_b32_e32 v2, v10, v4
	s_mul_hi_i32 s6, s3, s13
	s_mul_i32 s3, s3, s13
	ds_write_b64 v2, v[6:7]
	v_perm_b32 v3, v9, v86, s2
	v_perm_b32 v2, v84, v85, s2
	;; [unrolled: 1-line block ×4, first 2 shown]
	v_or_b32_e32 v6, 16, v45
	s_add_u32 s2, s3, s33
	v_lshlrev_b32_e32 v19, 2, v6
	s_addc_u32 s3, s6, s14
	v_or_b32_e32 v7, v8, v19
	s_ashr_i32 s31, s30, 31
	s_lshl_b64 s[2:3], s[2:3], 15
	v_lshlrev_b32_e32 v7, 1, v7
	v_lshlrev_b32_e32 v6, 8, v6
	s_add_u32 s6, s36, s2
	ds_write2st64_b64 v7, v[2:3], v[4:5] offset0:80 offset1:88
	v_or_b32_e32 v7, v11, v6
	s_addc_u32 s7, s37, s3
	s_lshl_b64 s[2:3], s[30:31], 8
	ds_write_b64 v7, v[2:3]
	v_or_b32_e32 v2, v10, v6
	s_add_u32 s2, s6, s2
	ds_write_b64 v2, v[4:5]
	v_lshrrev_b32_e32 v2, 4, v0
	s_addc_u32 s3, s7, s3
	v_lshlrev_b32_e32 v3, 1, v45
	v_lshlrev_b32_e32 v10, 4, v45
	v_mov_b32_e32 v11, 0
	v_or_b32_e32 v4, 1, v3
	v_xor_b32_e32 v3, v2, v3
	v_lshl_add_u64 v[12:13], s[2:3], 0, v[10:11]
	v_lshlrev_b32_e32 v10, 8, v2
	v_xor_b32_e32 v6, v4, v2
	v_lshl_or_b32 v2, v3, 3, v10
	s_waitcnt lgkmcnt(0)
	s_barrier
	ds_read2st64_b64 v[2:5], v2 offset1:8
	v_lshl_or_b32 v6, v6, 3, v10
	ds_read2st64_b64 v[6:9], v6 offset1:8
	v_lshl_add_u64 v[14:15], v[12:13], 0, v[10:11]
	s_movk_i32 s2, 0x1000
	s_waitcnt lgkmcnt(1)
	v_mov_b32_e32 v10, v2
	v_add_co_u32_e32 v2, vcc, s2, v14
	s_cmp_lg_u32 s41, 64
	v_mov_b32_e32 v11, v3
	v_addc_co_u32_e32 v3, vcc, 0, v15, vcc
	s_cselect_b64 s[6:7], -1, 0
	v_lshl_or_b32 v23, v61, 3, v64
	s_waitcnt lgkmcnt(0)
	v_mov_b32_e32 v12, v6
	v_mov_b32_e32 v13, v7
	;; [unrolled: 1-line block ×4, first 2 shown]
	s_mov_b32 s20, 0
	v_or_b32_e32 v20, 32, v23
	v_and_b32_e32 v18, 56, v63
	s_and_b64 vcc, exec, s[6:7]
	global_store_dwordx4 v[14:15], v[10:13], off
	global_store_dwordx4 v[2:3], v[6:9], off
	s_cbranch_vccz .LBB352_29
; %bb.24:
	s_mov_b32 s21, s20
	s_mov_b32 s22, s20
	;; [unrolled: 1-line block ×3, first 2 shown]
	v_mov_b64_e32 v[6:7], s[20:21]
	v_mov_b64_e32 v[8:9], s[22:23]
	;; [unrolled: 1-line block ×3, first 2 shown]
	v_cmp_gt_i32_e32 vcc, s41, v23
	v_mov_b64_e32 v[4:5], v[8:9]
	s_and_saveexec_b64 s[2:3], vcc
	s_cbranch_execz .LBB352_26
; %bb.25:
	v_lshlrev_b32_e32 v2, 8, v23
	v_mov_b32_e32 v3, 0
	v_lshl_add_u64 v[4:5], s[0:1], 0, v[2:3]
	v_lshlrev_b32_e32 v2, 1, v18
	v_lshl_add_u64 v[10:11], v[4:5], 0, v[2:3]
	global_load_dwordx4 v[6:9], v[10:11], off
	global_load_dwordx4 v[2:5], v[10:11], off offset:128
.LBB352_26:
	s_or_b64 exec, exec, s[2:3]
	s_mov_b32 s21, s20
	s_mov_b32 s22, s20
	;; [unrolled: 1-line block ×3, first 2 shown]
	v_mov_b64_e32 v[14:15], s[20:21]
	v_mov_b64_e32 v[16:17], s[22:23]
	;; [unrolled: 1-line block ×3, first 2 shown]
	v_cmp_gt_i32_e32 vcc, s41, v20
	v_lshlrev_b32_e32 v21, 7, v20
	v_mov_b64_e32 v[12:13], v[16:17]
	s_and_saveexec_b64 s[2:3], vcc
	s_cbranch_execz .LBB352_28
; %bb.27:
	v_lshlrev_b32_e32 v10, 1, v21
	v_mov_b32_e32 v11, 0
	v_lshl_add_u64 v[12:13], s[0:1], 0, v[10:11]
	v_lshlrev_b32_e32 v10, 1, v18
	v_lshl_add_u64 v[24:25], v[12:13], 0, v[10:11]
	global_load_dwordx4 v[14:17], v[24:25], off
	global_load_dwordx4 v[10:13], v[24:25], off offset:128
.LBB352_28:
	s_or_b64 exec, exec, s[2:3]
	v_lshrrev_b32_e32 v24, 3, v18
	v_lshlrev_b32_e32 v25, 3, v23
	v_or_b32_e32 v24, v25, v24
	v_lshlrev_b32_e32 v24, 4, v24
	v_and_b32_e32 v25, 0x78, v25
	v_xor_b32_e32 v24, v24, v25
	s_branch .LBB352_31
.LBB352_29:
                                        ; implicit-def: $vgpr24
                                        ; implicit-def: $vgpr21
                                        ; implicit-def: $vgpr6_vgpr7_vgpr8_vgpr9
                                        ; implicit-def: $vgpr2_vgpr3_vgpr4_vgpr5
                                        ; implicit-def: $vgpr14_vgpr15_vgpr16_vgpr17
                                        ; implicit-def: $vgpr10_vgpr11_vgpr12_vgpr13
	s_cbranch_execz .LBB352_31
; %bb.30:
	s_waitcnt vmcnt(0)
	v_lshlrev_b32_e32 v2, 1, v18
	v_lshl_or_b32 v21, v23, 8, v2
	s_and_b32 s1, s1, 0xffff
	s_mov_b32 s3, 0x20000
	s_movk_i32 s2, 0x4000
	v_lshl_or_b32 v24, v20, 8, v2
	s_movk_i32 s13, 0x80
	buffer_load_dwordx4 v[6:9], v21, s[0:3], 0 offen
	buffer_load_dwordx4 v[2:5], v21, s[0:3], s13 offen
	;; [unrolled: 1-line block ×4, first 2 shown]
	v_lshrrev_b32_e32 v21, 3, v18
	v_lshlrev_b32_e32 v24, 3, v23
	v_or_b32_e32 v21, v24, v21
	v_lshlrev_b32_e32 v21, 4, v21
	v_and_b32_e32 v24, 0x78, v24
	v_xor_b32_e32 v24, v21, v24
	v_lshlrev_b32_e32 v21, 7, v20
.LBB352_31:
	s_lshl_b64 s[0:1], s[38:39], 8
	s_add_u32 s4, s4, s0
	s_movk_i32 s0, 0x1000
	v_and_or_b32 v20, v21, s0, v24
	s_waitcnt vmcnt(1)
	ds_write_b64 v24, v[6:7] offset:24576
	v_xor_b32_e32 v6, 8, v24
	ds_write_b64 v6, v[8:9] offset:24576
	s_waitcnt vmcnt(0)
	ds_write_b64 v24, v[2:3] offset:32768
	ds_write_b64 v6, v[4:5] offset:32768
	;; [unrolled: 1-line block ×3, first 2 shown]
	v_xor_b32_e32 v2, 8, v20
	ds_write_b64 v2, v[16:17] offset:24576
	ds_write_b64 v20, v[10:11] offset:32768
	;; [unrolled: 1-line block ×3, first 2 shown]
	v_or_b32_e32 v2, v1, v45
	v_lshlrev_b32_e32 v3, 11, v61
	v_lshlrev_b32_e32 v2, 3, v2
	v_and_b32_e32 v6, 0x1000, v3
	v_lshrrev_b32_e32 v3, 5, v60
	s_movk_i32 s13, 0xf8
	v_and_or_b32 v3, v2, s13, v3
	v_lshlrev_b32_e32 v7, 4, v3
	v_and_b32_e32 v8, 0x78, v2
	v_or_b32_e32 v10, 32, v7
	v_lshrrev_b32_e32 v3, 1, v60
	v_xor_b32_e32 v10, v10, v8
	v_xor_b32_e32 v2, v7, v8
	v_and_b32_e32 v9, 8, v3
	v_or_b32_e32 v10, v10, v6
	v_or_b32_e32 v2, v2, v6
	v_xor_b32_e32 v26, v10, v9
	v_or_b32_e32 v10, 64, v7
	v_xor_b32_e32 v25, v2, v9
	v_xor_b32_e32 v10, v10, v8
	s_waitcnt lgkmcnt(0)
	s_barrier
	v_or_b32_e32 v12, v10, v6
	ds_read_b64 v[10:11], v25 offset:24576
	v_lshl_or_b32 v20, v62, 7, v22
	v_lshlrev_b32_e32 v24, 1, v20
	v_add_u32_e32 v2, 0xa000, v24
	ds_read2_b64 v[2:5], v2 offset1:16
	v_or_b32_e32 v7, 0x60, v7
	v_xor_b32_e32 v7, v7, v8
	s_waitcnt lgkmcnt(0)
	v_mfma_f32_16x16x16_bf16 a[0:3], v[10:11], v[2:3], 0
	v_or_b32_e32 v2, 64, v20
	v_or_b32_e32 v6, v7, v6
	v_lshlrev_b32_e32 v29, 1, v2
	v_xor_b32_e32 v27, v12, v9
	v_xor_b32_e32 v28, v6, v9
	ds_read_b64 v[12:13], v26 offset:24576
	ds_read_b64 v[14:15], v27 offset:24576
	;; [unrolled: 1-line block ×3, first 2 shown]
	v_mfma_f32_16x16x16_bf16 a[4:7], v[10:11], v[4:5], 0
	ds_read2st64_b64 v[2:5], v29 offset0:82 offset1:84
	ds_read2st64_b64 v[6:9], v24 offset0:82 offset1:84
	s_addc_u32 s5, s5, s1
	s_add_i32 s2, s12, -1
	s_add_i32 s0, s44, s17
	s_mul_i32 s35, s35, s16
	s_add_i32 s35, s0, s35
	s_mul_i32 s0, s33, s19
	s_mul_hi_u32 s1, s33, s18
	s_ashr_i32 s3, s2, 31
	s_mul_i32 s12, s2, s29
	s_mul_hi_u32 s13, s2, s28
	s_add_i32 s0, s1, s0
	s_mul_i32 s1, s14, s18
	s_add_i32 s12, s13, s12
	s_mul_i32 s3, s3, s28
	s_waitcnt lgkmcnt(1)
	v_mfma_f32_16x16x16_bf16 a[4:7], v[12:13], v[2:3], a[4:7]
	s_add_i32 s1, s0, s1
	s_add_i32 s3, s12, s3
	s_lshl_b64 s[12:13], s[34:35], 2
	s_waitcnt lgkmcnt(0)
	v_mfma_f32_16x16x16_bf16 a[0:3], v[12:13], v[6:7], a[0:3]
	s_mul_i32 s0, s33, s18
	s_add_u32 s10, s10, s12
	s_addc_u32 s11, s11, s13
	s_lshl_b64 s[0:1], s[0:1], 2
	s_mul_i32 s2, s2, s28
	s_add_u32 s10, s10, s0
	ds_read_b64 v[2:3], v24 offset:44032
	v_mfma_f32_16x16x16_bf16 a[4:7], v[14:15], v[4:5], a[4:7]
	ds_read_b64 v[4:5], v29 offset:44032
	s_addc_u32 s11, s11, s1
	s_lshl_b64 s[0:1], s[2:3], 2
	v_mfma_f32_16x16x16_bf16 a[0:3], v[14:15], v[8:9], a[0:3]
	s_add_u32 s0, s10, s0
	s_addc_u32 s1, s11, s1
	s_load_dword s12, s[0:1], 0x0
	s_waitcnt lgkmcnt(0)
	v_mfma_f32_16x16x16_bf16 a[0:3], v[16:17], v[2:3], a[0:3]
	s_and_b64 vcc, exec, s[26:27]
	v_mfma_f32_16x16x16_bf16 a[4:7], v[16:17], v[4:5], a[4:7]
	s_cbranch_vccz .LBB352_42
; %bb.32:
	v_lshlrev_b32_e32 v20, 1, v23
	s_and_b64 vcc, exec, s[6:7]
	s_cbranch_vccz .LBB352_43
; %bb.33:
	v_cmp_gt_i32_e32 vcc, s41, v20
	v_mov_b32_e32 v6, 0
	v_mov_b32_e32 v2, 0
	;; [unrolled: 1-line block ×5, first 2 shown]
	s_and_saveexec_b64 s[0:1], vcc
	s_cbranch_execz .LBB352_35
; %bb.34:
	v_mad_i64_i32 v[2:3], s[2:3], s15, v20, 0
	v_lshl_add_u64 v[2:3], v[2:3], 1, s[4:5]
	v_lshlrev_b32_e32 v4, 1, v18
	v_mov_b32_e32 v5, 0
	v_lshl_add_u64 v[2:3], v[2:3], 0, v[4:5]
	global_load_dwordx4 v[2:5], v[2:3], off
.LBB352_35:
	s_or_b64 exec, exec, s[0:1]
	v_or_b32_e32 v21, 1, v20
	v_cmp_gt_i32_e64 s[0:1], s41, v21
	v_mov_b32_e32 v7, 0
	v_mov_b32_e32 v8, 0
	;; [unrolled: 1-line block ×3, first 2 shown]
	s_and_saveexec_b64 s[2:3], s[0:1]
	s_cbranch_execz .LBB352_37
; %bb.36:
	v_mad_i64_i32 v[6:7], s[16:17], s15, v21, 0
	v_lshl_add_u64 v[6:7], v[6:7], 1, s[4:5]
	v_lshlrev_b32_e32 v8, 1, v18
	v_mov_b32_e32 v9, 0
	v_lshl_add_u64 v[6:7], v[6:7], 0, v[8:9]
	global_load_dwordx4 v[6:9], v[6:7], off
.LBB352_37:
	s_or_b64 exec, exec, s[2:3]
	v_mov_b32_e32 v17, 0
	v_mov_b32_e32 v10, 0
	;; [unrolled: 1-line block ×5, first 2 shown]
	s_and_saveexec_b64 s[2:3], vcc
	s_cbranch_execz .LBB352_39
; %bb.38:
	v_mad_i64_i32 v[10:11], s[16:17], s15, v20, 0
	v_lshl_add_u64 v[10:11], v[10:11], 1, s[4:5]
	v_lshlrev_b32_e32 v12, 1, v18
	v_mov_b32_e32 v13, 0
	v_lshl_add_u64 v[10:11], v[10:11], 0, v[12:13]
	global_load_dwordx4 v[10:13], v[10:11], off offset:128
.LBB352_39:
	s_or_b64 exec, exec, s[2:3]
	v_mov_b32_e32 v16, 0
	v_mov_b32_e32 v15, 0
	;; [unrolled: 1-line block ×3, first 2 shown]
	s_and_saveexec_b64 s[2:3], s[0:1]
	s_cbranch_execz .LBB352_41
; %bb.40:
	v_mad_i64_i32 v[14:15], s[0:1], s15, v21, 0
	v_lshl_add_u64 v[14:15], v[14:15], 1, s[4:5]
	v_lshlrev_b32_e32 v16, 1, v18
	v_mov_b32_e32 v17, 0
	v_lshl_add_u64 v[14:15], v[14:15], 0, v[16:17]
	global_load_dwordx4 v[14:17], v[14:15], off offset:128
.LBB352_41:
	s_or_b64 exec, exec, s[2:3]
	s_branch .LBB352_45
.LBB352_42:
                                        ; implicit-def: $vgpr5
                                        ; implicit-def: $vgpr9
                                        ; implicit-def: $vgpr13
                                        ; implicit-def: $vgpr17
	v_lshrrev_b32_e32 v30, 2, v60
	s_branch .LBB352_46
.LBB352_43:
                                        ; implicit-def: $vgpr5
                                        ; implicit-def: $vgpr9
                                        ; implicit-def: $vgpr13
                                        ; implicit-def: $vgpr17
	s_cbranch_execz .LBB352_45
; %bb.44:
	s_waitcnt vmcnt(0)
	v_mad_u64_u32 v[2:3], s[0:1], v20, s15, v[18:19]
	v_lshlrev_b32_e32 v20, 1, v2
	s_lshl_b32 s2, s15, 7
	s_and_b32 s1, s5, 0xffff
	s_mov_b32 s3, 0x20000
	s_mov_b32 s0, s4
	v_add_lshl_u32 v21, v2, s15, 1
	s_movk_i32 s13, 0x80
	buffer_load_dwordx4 v[2:5], v20, s[0:3], 0 offen
	buffer_load_dwordx4 v[10:13], v20, s[0:3], s13 offen
	;; [unrolled: 1-line block ×4, first 2 shown]
.LBB352_45:
	v_lshrrev_b32_e32 v30, 2, v60
	s_cbranch_execnz .LBB352_58
.LBB352_46:
	s_and_b64 vcc, exec, s[6:7]
	s_cbranch_vccz .LBB352_56
; %bb.47:
	s_waitcnt vmcnt(0)
	v_lshlrev_b32_e32 v7, 1, v23
	v_cmp_gt_i32_e32 vcc, s41, v7
	v_mov_b32_e32 v6, 0
	v_lshlrev_b32_e32 v14, 9, v23
	v_mov_b32_e32 v2, 0
	v_mov_b32_e32 v3, 0
	;; [unrolled: 1-line block ×4, first 2 shown]
	s_and_saveexec_b64 s[0:1], vcc
	s_cbranch_execz .LBB352_49
; %bb.48:
	v_mov_b32_e32 v15, 0
	v_lshl_add_u64 v[2:3], s[4:5], 0, v[14:15]
	v_lshlrev_b32_e32 v4, 1, v18
	v_mov_b32_e32 v5, v15
	v_lshl_add_u64 v[2:3], v[2:3], 0, v[4:5]
	global_load_dwordx4 v[2:5], v[2:3], off
.LBB352_49:
	s_or_b64 exec, exec, s[0:1]
	v_or_b32_e32 v7, 1, v7
	v_cmp_gt_i32_e64 s[0:1], s41, v7
	v_lshlrev_b32_e32 v20, 8, v7
	v_mov_b32_e32 v7, 0
	v_mov_b32_e32 v8, 0
	v_mov_b32_e32 v9, 0
	s_and_saveexec_b64 s[2:3], s[0:1]
	s_cbranch_execz .LBB352_51
; %bb.50:
	v_mov_b32_e32 v21, 0
	v_lshl_add_u64 v[6:7], s[4:5], 0, v[20:21]
	v_lshlrev_b32_e32 v8, 1, v18
	v_mov_b32_e32 v9, v21
	v_lshl_add_u64 v[6:7], v[6:7], 0, v[8:9]
	global_load_dwordx4 v[6:9], v[6:7], off
.LBB352_51:
	s_or_b64 exec, exec, s[2:3]
	v_mov_b32_e32 v17, 0
	v_mov_b32_e32 v10, 0
	v_mov_b32_e32 v11, 0
	v_mov_b32_e32 v12, 0
	v_mov_b32_e32 v13, 0
	s_and_saveexec_b64 s[2:3], vcc
	s_cbranch_execz .LBB352_53
; %bb.52:
	v_mov_b32_e32 v15, 0
	v_lshl_add_u64 v[10:11], s[4:5], 0, v[14:15]
	v_lshlrev_b32_e32 v14, 1, v18
	v_lshl_add_u64 v[10:11], v[10:11], 0, v[14:15]
	global_load_dwordx4 v[10:13], v[10:11], off offset:128
.LBB352_53:
	s_or_b64 exec, exec, s[2:3]
	v_mov_b32_e32 v16, 0
	v_mov_b32_e32 v15, 0
	;; [unrolled: 1-line block ×3, first 2 shown]
	s_and_saveexec_b64 s[2:3], s[0:1]
	s_cbranch_execz .LBB352_55
; %bb.54:
	v_mov_b32_e32 v21, 0
	v_lshl_add_u64 v[14:15], s[4:5], 0, v[20:21]
	v_lshlrev_b32_e32 v20, 1, v18
	v_lshl_add_u64 v[14:15], v[14:15], 0, v[20:21]
	global_load_dwordx4 v[14:17], v[14:15], off offset:128
.LBB352_55:
	s_or_b64 exec, exec, s[2:3]
	s_branch .LBB352_58
.LBB352_56:
                                        ; implicit-def: $vgpr5
                                        ; implicit-def: $vgpr9
                                        ; implicit-def: $vgpr13
                                        ; implicit-def: $vgpr17
	s_cbranch_execz .LBB352_58
; %bb.57:
	s_waitcnt vmcnt(0)
	v_lshlrev_b32_e32 v2, 1, v18
	v_lshl_or_b32 v18, v23, 9, v2
	s_and_b32 s5, s5, 0xffff
	s_mov_b32 s7, 0x20000
	s_movk_i32 s6, 0x4000
	s_movk_i32 s0, 0x80
	buffer_load_dwordx4 v[2:5], v18, s[4:7], 0 offen
	buffer_load_dwordx4 v[6:9], v18, s[4:7], 0 offen offset:256
	buffer_load_dwordx4 v[10:13], v18, s[4:7], s0 offen
	buffer_load_dwordx4 v[14:17], v18, s[4:7], s0 offen offset:256
.LBB352_58:
	ds_read_b64 v[20:21], v25 offset:32768
	v_add_u32_e32 v18, 0xb000, v24
	ds_read2_b64 v[32:35], v18 offset1:16
	ds_read_b64 v[40:41], v26 offset:32768
	ds_read_b64 v[26:27], v27 offset:32768
	;; [unrolled: 1-line block ×3, first 2 shown]
	v_and_b32_e32 v18, 6, v0
	v_xor_b32_e32 v23, v23, v18
	v_lshlrev_b32_e32 v23, 2, v23
	v_and_b32_e32 v0, 1, v0
	v_xor_b32_e32 v28, 0x440, v23
	v_cmp_eq_u32_e32 vcc, 0, v0
	s_waitcnt lgkmcnt(3)
	v_mfma_f32_16x16x16_bf16 a[0:3], v[20:21], v[32:33], a[0:3]
	s_mov_b32 s0, 0x1000504
	v_cndmask_b32_e32 v0, v28, v23, vcc
	v_lshl_or_b32 v0, v18, 10, v0
	v_mfma_f32_16x16x16_bf16 a[4:7], v[20:21], v[34:35], a[4:7]
	ds_read2st64_b64 v[32:35], v24 offset0:90 offset1:92
	ds_read2st64_b64 v[36:39], v29 offset0:90 offset1:92
	ds_read_b64 v[20:21], v24 offset:48128
	ds_read_b64 v[24:25], v29 offset:48128
	s_waitcnt vmcnt(0)
	v_perm_b32 v18, v2, v6, s0
	s_waitcnt lgkmcnt(3)
	v_mfma_f32_16x16x16_bf16 a[0:3], v[40:41], v[32:33], a[0:3]
	s_mov_b32 s1, 0x3020706
	v_perm_b32 v2, v2, v6, s1
	v_perm_b32 v6, v10, v14, s1
	s_waitcnt lgkmcnt(2)
	v_mfma_f32_16x16x16_bf16 a[4:7], v[40:41], v[36:37], a[4:7]
	v_mfma_f32_16x16x16_bf16 a[0:3], v[26:27], v[34:35], a[0:3]
	;; [unrolled: 1-line block ×3, first 2 shown]
	s_waitcnt lgkmcnt(1)
	v_mfma_f32_16x16x16_bf16 a[4:7], v[42:43], v[20:21], a[0:3]
	v_perm_b32 v20, v10, v14, s0
	ds_write2st64_b32 v0, v18, v20 offset0:32 offset1:64
	v_xor_b32_e32 v18, 8, v0
	v_add_u32_e32 v10, 0x80, v18
	ds_write2st64_b32 v10, v2, v6 offset0:32 offset1:64
	v_xor_b32_e32 v2, 16, v0
	v_perm_b32 v6, v3, v7, s0
	v_perm_b32 v10, v11, v15, s0
	ds_write2st64_b32 v2, v6, v10 offset0:33 offset1:65
	v_xor_b32_e32 v2, 24, v0
	v_perm_b32 v3, v3, v7, s1
	v_perm_b32 v6, v11, v15, s1
	v_add_u32_e32 v2, 0x80, v2
	ds_write2st64_b32 v2, v3, v6 offset0:33 offset1:65
	v_xor_b32_e32 v2, 32, v0
	v_perm_b32 v3, v4, v8, s0
	v_perm_b32 v6, v12, v16, s0
	ds_write2st64_b32 v2, v3, v6 offset0:34 offset1:66
	v_xor_b32_e32 v2, 40, v0
	s_waitcnt lgkmcnt(5)
	v_mfma_f32_16x16x16_bf16 a[0:3], v[42:43], v[24:25], a[8:11]
	v_perm_b32 v3, v4, v8, s1
	v_perm_b32 v4, v12, v16, s1
	v_add_u32_e32 v2, 0x80, v2
	ds_write2st64_b32 v2, v3, v4 offset0:34 offset1:66
	v_xor_b32_e32 v2, 48, v0
	v_perm_b32 v3, v5, v9, s0
	v_perm_b32 v4, v13, v17, s0
	ds_write2st64_b32 v2, v3, v4 offset0:35 offset1:67
	v_xor_b32_e32 v0, 56, v0
	v_perm_b32 v3, v13, v17, s1
	v_and_or_b32 v17, v30, 12, v1
	v_perm_b32 v2, v5, v9, s1
	v_add_u32_e32 v0, 0x80, v0
	v_cmp_gt_i32_e32 vcc, s41, v17
	v_mov_b32_e32 v14, 0
	v_mov_b32_e32 v16, 0
	ds_write2st64_b32 v0, v2, v3 offset0:35 offset1:67
	s_and_saveexec_b64 s[0:1], vcc
	s_cbranch_execz .LBB352_60
; %bb.59:
	v_add_u32_e32 v0, s40, v17
	v_ashrrev_i32_e32 v1, 31, v0
	v_mul_lo_u32 v2, v1, s28
	v_mul_lo_u32 v3, v0, s29
	v_mad_u64_u32 v[0:1], s[2:3], v0, s28, 0
	v_add3_u32 v1, v1, v3, v2
	v_lshl_add_u64 v[0:1], v[0:1], 2, s[10:11]
	global_load_dword v0, v[0:1], off
	s_waitcnt vmcnt(0)
	v_sub_f32_e32 v0, s12, v0
	v_mul_f32_e32 v0, 0x3fb8aa3b, v0
	v_exp_f32_e32 v16, v0
.LBB352_60:
	s_or_b64 exec, exec, s[0:1]
	v_or_b32_e32 v8, 1, v17
	v_cmp_gt_i32_e64 s[0:1], s41, v8
	s_and_saveexec_b64 s[2:3], s[0:1]
	s_cbranch_execz .LBB352_62
; %bb.61:
	v_add_u32_e32 v0, s40, v8
	v_ashrrev_i32_e32 v1, 31, v0
	v_mul_lo_u32 v2, v1, s28
	v_mul_lo_u32 v3, v0, s29
	v_mad_u64_u32 v[0:1], s[4:5], v0, s28, 0
	v_add3_u32 v1, v1, v3, v2
	v_lshl_add_u64 v[0:1], v[0:1], 2, s[10:11]
	global_load_dword v0, v[0:1], off
	s_waitcnt vmcnt(0)
	v_sub_f32_e32 v0, s12, v0
	v_mul_f32_e32 v0, 0x3fb8aa3b, v0
	v_exp_f32_e32 v14, v0
.LBB352_62:
	s_or_b64 exec, exec, s[2:3]
	v_or_b32_e32 v10, 2, v17
	v_cmp_gt_i32_e64 s[2:3], s41, v10
	v_mov_b32_e32 v15, 0
	v_mov_b32_e32 v18, 0
	s_and_saveexec_b64 s[4:5], s[2:3]
	s_cbranch_execz .LBB352_64
; %bb.63:
	v_add_u32_e32 v0, s40, v10
	v_ashrrev_i32_e32 v1, 31, v0
	v_mul_lo_u32 v2, v1, s28
	v_mul_lo_u32 v3, v0, s29
	v_mad_u64_u32 v[0:1], s[6:7], v0, s28, 0
	v_add3_u32 v1, v1, v3, v2
	v_lshl_add_u64 v[0:1], v[0:1], 2, s[10:11]
	global_load_dword v0, v[0:1], off
	s_waitcnt vmcnt(0)
	v_sub_f32_e32 v0, s12, v0
	v_mul_f32_e32 v0, 0x3fb8aa3b, v0
	v_exp_f32_e32 v18, v0
.LBB352_64:
	s_or_b64 exec, exec, s[4:5]
	v_or_b32_e32 v12, 3, v17
	v_cmp_gt_i32_e64 s[4:5], s41, v12
	s_and_saveexec_b64 s[6:7], s[4:5]
	s_cbranch_execz .LBB352_66
; %bb.65:
	v_add_u32_e32 v0, s40, v12
	v_ashrrev_i32_e32 v1, 31, v0
	v_mul_lo_u32 v2, v1, s28
	v_mul_lo_u32 v3, v0, s29
	v_mad_u64_u32 v[0:1], s[14:15], v0, s28, 0
	v_add3_u32 v1, v1, v3, v2
	v_lshl_add_u64 v[0:1], v[0:1], 2, s[10:11]
	global_load_dword v0, v[0:1], off
	s_waitcnt vmcnt(0)
	v_sub_f32_e32 v0, s12, v0
	v_mul_f32_e32 v0, 0x3fb8aa3b, v0
	v_exp_f32_e32 v15, v0
.LBB352_66:
	s_or_b64 exec, exec, s[6:7]
	v_or_b32_e32 v4, s30, v45
	s_add_u32 s6, s8, s24
	v_accvgpr_read_b32 v0, a4
	s_addc_u32 s7, s9, s25
	v_ashrrev_i32_e32 v5, 31, v4
	v_accvgpr_read_b32 v1, a5
	v_accvgpr_read_b32 v2, a6
	;; [unrolled: 1-line block ×3, first 2 shown]
	v_lshl_add_u64 v[4:5], v[4:5], 1, s[6:7]
	v_mov_b32_e32 v9, 0
	v_lshlrev_b32_e32 v6, 8, v17
	v_mov_b32_e32 v7, 0
	s_and_saveexec_b64 s[6:7], vcc
	s_cbranch_execz .LBB352_68
; %bb.67:
	v_mov_b32_e32 v7, 0
	v_lshl_add_u64 v[20:21], v[4:5], 0, v[6:7]
	global_load_ushort v7, v[20:21], off
	s_waitcnt vmcnt(0)
	v_lshlrev_b32_e32 v7, 16, v7
	v_sub_f32_e32 v0, v7, v0
	v_mul_f32_e32 v0, v16, v0
	v_lshrrev_b32_e32 v7, 16, v0
.LBB352_68:
	s_or_b64 exec, exec, s[6:7]
	v_lshlrev_b32_e32 v8, 8, v8
	s_and_saveexec_b64 s[6:7], s[0:1]
	s_cbranch_execz .LBB352_70
; %bb.69:
	v_mov_b32_e32 v9, 0
	v_lshl_add_u64 v[20:21], v[4:5], 0, v[8:9]
	global_load_ushort v0, v[20:21], off
	s_waitcnt vmcnt(0)
	v_lshlrev_b32_e32 v0, 16, v0
	v_sub_f32_e32 v0, v0, v1
	v_mul_f32_e32 v0, v14, v0
	v_lshrrev_b32_e32 v9, 16, v0
.LBB352_70:
	s_or_b64 exec, exec, s[6:7]
	v_mov_b32_e32 v13, 0
	v_lshlrev_b32_e32 v10, 8, v10
	v_mov_b32_e32 v11, 0
	s_and_saveexec_b64 s[6:7], s[2:3]
	s_cbranch_execz .LBB352_72
; %bb.71:
	v_mov_b32_e32 v11, 0
	v_lshl_add_u64 v[0:1], v[4:5], 0, v[10:11]
	global_load_ushort v0, v[0:1], off
	s_waitcnt vmcnt(0)
	v_lshlrev_b32_e32 v0, 16, v0
	v_sub_f32_e32 v0, v0, v2
	v_mul_f32_e32 v0, v18, v0
	v_lshrrev_b32_e32 v11, 16, v0
.LBB352_72:
	s_or_b64 exec, exec, s[6:7]
	v_lshlrev_b32_e32 v12, 8, v12
	s_and_saveexec_b64 s[6:7], s[4:5]
	s_cbranch_execz .LBB352_74
; %bb.73:
	v_mov_b32_e32 v13, 0
	v_lshl_add_u64 v[0:1], v[4:5], 0, v[12:13]
	global_load_ushort v0, v[0:1], off
	s_waitcnt vmcnt(0)
	v_lshlrev_b32_e32 v0, 16, v0
	v_sub_f32_e32 v0, v0, v3
	v_mul_f32_e32 v0, v15, v0
	v_lshrrev_b32_e32 v13, 16, v0
.LBB352_74:
	s_or_b64 exec, exec, s[6:7]
	v_lshlrev_b32_e32 v17, 5, v17
	s_mov_b32 s6, 0x5040100
	v_perm_b32 v20, v9, v7, s6
	v_or_b32_e32 v7, v17, v22
	v_accvgpr_read_b32 v0, a0
	v_perm_b32 v21, v13, v11, s6
	v_lshlrev_b32_e32 v7, 1, v7
	v_accvgpr_read_b32 v1, a1
	v_accvgpr_read_b32 v2, a2
	;; [unrolled: 1-line block ×3, first 2 shown]
	ds_write_b64 v7, v[20:21] offset:45056
	v_mov_b32_e32 v9, 0
	v_mov_b32_e32 v7, 0
	s_and_saveexec_b64 s[6:7], vcc
	s_cbranch_execz .LBB352_76
; %bb.75:
	v_mov_b32_e32 v7, 0
	v_lshl_add_u64 v[6:7], v[4:5], 0, v[6:7]
	global_load_ushort v6, v[6:7], off offset:32
	s_waitcnt vmcnt(0)
	v_lshlrev_b32_e32 v6, 16, v6
	v_sub_f32_e32 v0, v6, v0
	v_mul_f32_e32 v0, v16, v0
	v_lshrrev_b32_e32 v7, 16, v0
.LBB352_76:
	s_or_b64 exec, exec, s[6:7]
	s_and_saveexec_b64 s[6:7], s[0:1]
	s_cbranch_execz .LBB352_78
; %bb.77:
	v_mov_b32_e32 v9, 0
	v_lshl_add_u64 v[8:9], v[4:5], 0, v[8:9]
	global_load_ushort v0, v[8:9], off offset:32
	s_waitcnt vmcnt(0)
	v_lshlrev_b32_e32 v0, 16, v0
	v_sub_f32_e32 v0, v0, v1
	v_mul_f32_e32 v0, v14, v0
	v_lshrrev_b32_e32 v9, 16, v0
.LBB352_78:
	s_or_b64 exec, exec, s[6:7]
	v_mov_b32_e32 v0, 0
	v_mov_b32_e32 v1, 0
	s_and_saveexec_b64 s[0:1], s[2:3]
	s_cbranch_execz .LBB352_80
; %bb.79:
	v_mov_b32_e32 v11, 0
	v_lshl_add_u64 v[10:11], v[4:5], 0, v[10:11]
	global_load_ushort v1, v[10:11], off offset:32
	s_waitcnt vmcnt(0)
	v_lshlrev_b32_e32 v1, 16, v1
	v_sub_f32_e32 v1, v1, v2
	v_mul_f32_e32 v1, v18, v1
	v_lshrrev_b32_e32 v1, 16, v1
.LBB352_80:
	s_or_b64 exec, exec, s[0:1]
	s_and_saveexec_b64 s[0:1], s[4:5]
	s_cbranch_execz .LBB352_82
; %bb.81:
	v_mov_b32_e32 v13, 0
	v_lshl_add_u64 v[4:5], v[4:5], 0, v[12:13]
	global_load_ushort v0, v[4:5], off offset:32
	s_waitcnt vmcnt(0)
	v_lshlrev_b32_e32 v0, 16, v0
	v_sub_f32_e32 v0, v0, v3
	v_mul_f32_e32 v0, v15, v0
	v_lshrrev_b32_e32 v0, 16, v0
.LBB352_82:
	s_or_b64 exec, exec, s[0:1]
	s_mov_b32 s0, 0x5040100
	v_or_b32_e32 v2, v17, v19
	v_perm_b32 v1, v0, v1, s0
	v_perm_b32 v0, v9, v7, s0
	v_lshlrev_b32_e32 v2, 1, v2
	ds_write_b64 v2, v[0:1] offset:45056
	s_waitcnt lgkmcnt(0)
	s_barrier
.LBB352_83:
	s_endpgm
	.section	.rodata,"a",@progbits
	.p2align	6, 0x0
	.amdhsa_kernel _ZN12_GLOBAL__N_139chunk_gated_delta_rule_fwd_h_hip_kernelILi32ELb0ELb0ELb0ELb0ELb0ELb1ELb0ELb1EEEvPK12hip_bfloat16S3_S3_PKfS5_PKvPS1_S8_PvPKiSB_iiiiilll
		.amdhsa_group_segment_fixed_size 49152
		.amdhsa_private_segment_fixed_size 0
		.amdhsa_kernarg_size 136
		.amdhsa_user_sgpr_count 2
		.amdhsa_user_sgpr_dispatch_ptr 0
		.amdhsa_user_sgpr_queue_ptr 0
		.amdhsa_user_sgpr_kernarg_segment_ptr 1
		.amdhsa_user_sgpr_dispatch_id 0
		.amdhsa_user_sgpr_kernarg_preload_length 0
		.amdhsa_user_sgpr_kernarg_preload_offset 0
		.amdhsa_user_sgpr_private_segment_size 0
		.amdhsa_uses_dynamic_stack 0
		.amdhsa_enable_private_segment 0
		.amdhsa_system_sgpr_workgroup_id_x 1
		.amdhsa_system_sgpr_workgroup_id_y 1
		.amdhsa_system_sgpr_workgroup_id_z 0
		.amdhsa_system_sgpr_workgroup_info 0
		.amdhsa_system_vgpr_workitem_id 0
		.amdhsa_next_free_vgpr 164
		.amdhsa_next_free_sgpr 65
		.amdhsa_accum_offset 140
		.amdhsa_reserve_vcc 1
		.amdhsa_float_round_mode_32 0
		.amdhsa_float_round_mode_16_64 0
		.amdhsa_float_denorm_mode_32 3
		.amdhsa_float_denorm_mode_16_64 3
		.amdhsa_dx10_clamp 1
		.amdhsa_ieee_mode 1
		.amdhsa_fp16_overflow 0
		.amdhsa_tg_split 0
		.amdhsa_exception_fp_ieee_invalid_op 0
		.amdhsa_exception_fp_denorm_src 0
		.amdhsa_exception_fp_ieee_div_zero 0
		.amdhsa_exception_fp_ieee_overflow 0
		.amdhsa_exception_fp_ieee_underflow 0
		.amdhsa_exception_fp_ieee_inexact 0
		.amdhsa_exception_int_div_zero 0
	.end_amdhsa_kernel
	.section	.text._ZN12_GLOBAL__N_139chunk_gated_delta_rule_fwd_h_hip_kernelILi32ELb0ELb0ELb0ELb0ELb0ELb1ELb0ELb1EEEvPK12hip_bfloat16S3_S3_PKfS5_PKvPS1_S8_PvPKiSB_iiiiilll,"axG",@progbits,_ZN12_GLOBAL__N_139chunk_gated_delta_rule_fwd_h_hip_kernelILi32ELb0ELb0ELb0ELb0ELb0ELb1ELb0ELb1EEEvPK12hip_bfloat16S3_S3_PKfS5_PKvPS1_S8_PvPKiSB_iiiiilll,comdat
.Lfunc_end352:
	.size	_ZN12_GLOBAL__N_139chunk_gated_delta_rule_fwd_h_hip_kernelILi32ELb0ELb0ELb0ELb0ELb0ELb1ELb0ELb1EEEvPK12hip_bfloat16S3_S3_PKfS5_PKvPS1_S8_PvPKiSB_iiiiilll, .Lfunc_end352-_ZN12_GLOBAL__N_139chunk_gated_delta_rule_fwd_h_hip_kernelILi32ELb0ELb0ELb0ELb0ELb0ELb1ELb0ELb1EEEvPK12hip_bfloat16S3_S3_PKfS5_PKvPS1_S8_PvPKiSB_iiiiilll
                                        ; -- End function
	.section	.AMDGPU.csdata,"",@progbits
; Kernel info:
; codeLenInByte = 8732
; NumSgprs: 71
; NumVgprs: 140
; NumAgprs: 24
; TotalNumVgprs: 164
; ScratchSize: 0
; MemoryBound: 0
; FloatMode: 240
; IeeeMode: 1
; LDSByteSize: 49152 bytes/workgroup (compile time only)
; SGPRBlocks: 8
; VGPRBlocks: 20
; NumSGPRsForWavesPerEU: 71
; NumVGPRsForWavesPerEU: 164
; AccumOffset: 140
; Occupancy: 1
; WaveLimiterHint : 1
; COMPUTE_PGM_RSRC2:SCRATCH_EN: 0
; COMPUTE_PGM_RSRC2:USER_SGPR: 2
; COMPUTE_PGM_RSRC2:TRAP_HANDLER: 0
; COMPUTE_PGM_RSRC2:TGID_X_EN: 1
; COMPUTE_PGM_RSRC2:TGID_Y_EN: 1
; COMPUTE_PGM_RSRC2:TGID_Z_EN: 0
; COMPUTE_PGM_RSRC2:TIDIG_COMP_CNT: 0
; COMPUTE_PGM_RSRC3_GFX90A:ACCUM_OFFSET: 34
; COMPUTE_PGM_RSRC3_GFX90A:TG_SPLIT: 0
	.section	.text._ZN12_GLOBAL__N_139chunk_gated_delta_rule_fwd_h_hip_kernelILi32ELb1ELb1ELb1ELb1ELb0ELb0ELb1ELb1EEEvPK12hip_bfloat16S3_S3_PKfS5_PKvPS1_S8_PvPKiSB_iiiiilll,"axG",@progbits,_ZN12_GLOBAL__N_139chunk_gated_delta_rule_fwd_h_hip_kernelILi32ELb1ELb1ELb1ELb1ELb0ELb0ELb1ELb1EEEvPK12hip_bfloat16S3_S3_PKfS5_PKvPS1_S8_PvPKiSB_iiiiilll,comdat
	.globl	_ZN12_GLOBAL__N_139chunk_gated_delta_rule_fwd_h_hip_kernelILi32ELb1ELb1ELb1ELb1ELb0ELb0ELb1ELb1EEEvPK12hip_bfloat16S3_S3_PKfS5_PKvPS1_S8_PvPKiSB_iiiiilll ; -- Begin function _ZN12_GLOBAL__N_139chunk_gated_delta_rule_fwd_h_hip_kernelILi32ELb1ELb1ELb1ELb1ELb0ELb0ELb1ELb1EEEvPK12hip_bfloat16S3_S3_PKfS5_PKvPS1_S8_PvPKiSB_iiiiilll
	.p2align	8
	.type	_ZN12_GLOBAL__N_139chunk_gated_delta_rule_fwd_h_hip_kernelILi32ELb1ELb1ELb1ELb1ELb0ELb0ELb1ELb1EEEvPK12hip_bfloat16S3_S3_PKfS5_PKvPS1_S8_PvPKiSB_iiiiilll,@function
_ZN12_GLOBAL__N_139chunk_gated_delta_rule_fwd_h_hip_kernelILi32ELb1ELb1ELb1ELb1ELb0ELb0ELb1ELb1EEEvPK12hip_bfloat16S3_S3_PKfS5_PKvPS1_S8_PvPKiSB_iiiiilll: ; @_ZN12_GLOBAL__N_139chunk_gated_delta_rule_fwd_h_hip_kernelILi32ELb1ELb1ELb1ELb1ELb0ELb0ELb1ELb1EEEvPK12hip_bfloat16S3_S3_PKfS5_PKvPS1_S8_PvPKiSB_iiiiilll
; %bb.0:
	s_load_dwordx4 s[20:23], s[0:1], 0x5c
	s_load_dwordx4 s[4:7], s[0:1], 0x48
	s_abs_i32 s9, s3
	s_ashr_i32 s8, s3, 31
	v_and_b32_e32 v68, 15, v0
	s_waitcnt lgkmcnt(0)
	s_abs_i32 s10, s21
	v_cvt_f32_u32_e32 v1, s10
	s_sub_i32 s12, 0, s10
	s_ashr_i32 s11, s21, 31
	s_xor_b32 s8, s8, s11
	v_rcp_iflag_f32_e32 v1, v1
	v_bfe_u32 v67, v0, 4, 2
	v_mov_b32_e32 v51, 0
	v_lshlrev_b32_e32 v69, 3, v0
	v_mul_f32_e32 v1, 0x4f7ffffe, v1
	v_cvt_u32_f32_e32 v1, v1
	s_nop 0
	v_readfirstlane_b32 s13, v1
	s_mul_i32 s12, s12, s13
	s_mul_hi_u32 s12, s13, s12
	s_add_i32 s13, s13, s12
	s_mul_hi_u32 s12, s9, s13
	s_mul_i32 s13, s12, s10
	s_sub_i32 s9, s9, s13
	s_add_i32 s14, s12, 1
	s_sub_i32 s13, s9, s10
	s_cmp_ge_u32 s9, s10
	s_cselect_b32 s12, s14, s12
	s_cselect_b32 s9, s13, s9
	s_add_i32 s13, s12, 1
	s_cmp_ge_u32 s9, s10
	s_cselect_b32 s9, s13, s12
	s_xor_b32 s9, s9, s8
	s_sub_i32 s28, s9, s8
	s_mul_i32 s12, s28, s21
	s_ashr_i32 s29, s28, 31
	s_sub_i32 s51, s3, s12
	s_lshl_b64 s[8:9], s[28:29], 2
	s_add_u32 s4, s4, s8
	s_addc_u32 s5, s5, s9
	s_add_u32 s30, s6, s8
	s_addc_u32 s31, s7, s9
	s_abs_i32 s3, s22
	v_cvt_f32_u32_e32 v1, s3
	s_load_dwordx2 s[38:39], s[4:5], 0x0
	s_sub_i32 s5, 0, s3
	s_lshl_b32 s2, s2, 5
	v_rcp_iflag_f32_e32 v1, v1
	v_or_b32_e32 v56, s2, v68
	s_waitcnt lgkmcnt(0)
	s_sub_i32 s54, s39, s38
	s_ashr_i32 s4, s54, 31
	v_mul_f32_e32 v1, 0x4f7ffffe, v1
	v_cvt_u32_f32_e32 v1, v1
	s_lshr_b32 s4, s4, 26
	s_add_i32 s4, s54, s4
	s_ashr_i32 s52, s4, 6
	v_readfirstlane_b32 s6, v1
	s_mul_i32 s5, s5, s6
	s_mul_hi_u32 s5, s6, s5
	s_add_i32 s6, s6, s5
	s_mul_hi_u32 s5, s10, s6
	s_mul_i32 s6, s5, s3
	s_ashr_i32 s4, s22, 31
	s_sub_i32 s6, s10, s6
	s_xor_b32 s4, s11, s4
	s_add_i32 s7, s5, 1
	s_sub_i32 s8, s6, s3
	s_cmp_ge_u32 s6, s3
	s_cselect_b32 s5, s7, s5
	s_cselect_b32 s6, s8, s6
	s_add_i32 s7, s5, 1
	s_cmp_ge_u32 s6, s3
	s_cselect_b32 s3, s7, s5
	s_xor_b32 s3, s3, s4
	s_sub_i32 s3, s3, s4
	s_abs_i32 s13, s3
	v_cvt_f32_u32_e32 v1, s13
	s_sub_i32 s15, 0, s13
	s_abs_i32 s14, s51
	s_xor_b32 s3, s51, s3
	v_rcp_iflag_f32_e32 v2, v1
	s_ashr_i32 s3, s3, 31
	s_load_dwordx8 s[4:11], s[0:1], 0x28
	v_lshrrev_b32_e32 v1, 6, v0
	v_mul_f32_e32 v2, 0x4f7ffffe, v2
	v_cvt_u32_f32_e32 v2, v2
	v_lshlrev_b32_e32 v52, 7, v56
	v_lshlrev_b32_e32 v66, 4, v1
	v_or_b32_e32 v54, 0x800, v52
	v_readfirstlane_b32 s16, v2
	s_mul_i32 s15, s15, s16
	s_mul_hi_u32 s15, s16, s15
	s_add_i32 s16, s16, s15
	s_mul_hi_u32 s15, s14, s16
	s_mul_i32 s16, s15, s13
	s_sub_i32 s14, s14, s16
	s_add_i32 s16, s15, 1
	s_sub_i32 s17, s14, s13
	s_cmp_ge_u32 s14, s13
	s_cselect_b32 s15, s16, s15
	s_cselect_b32 s14, s17, s14
	s_add_i32 s16, s15, 1
	s_cmp_ge_u32 s14, s13
	s_cselect_b32 s13, s16, s15
	s_xor_b32 s13, s13, s3
	s_sub_i32 s55, s13, s3
	s_ashr_i32 s53, s51, 31
	s_mul_hi_i32 s3, s28, s21
	s_add_u32 s12, s12, s51
	s_addc_u32 s13, s3, s53
	s_lshl_b64 s[34:35], s[12:13], 15
	s_waitcnt lgkmcnt(0)
	s_add_u32 s4, s4, s34
	v_lshl_or_b32 v71, v67, 2, v66
	s_addc_u32 s5, s5, s35
	v_ashrrev_i32_e32 v53, 31, v52
	v_ashrrev_i32_e32 v55, 31, v54
	v_lshl_add_u64 v[2:3], v[52:53], 1, s[4:5]
	v_lshlrev_b32_e32 v50, 1, v71
	v_lshl_add_u64 v[6:7], v[54:55], 1, s[4:5]
	v_lshl_add_u64 v[2:3], v[2:3], 0, v[50:51]
	;; [unrolled: 1-line block ×3, first 2 shown]
	global_load_dwordx2 v[4:5], v[2:3], off
	v_and_b32_e32 v51, 63, v0
	global_load_dwordx2 v[2:3], v[2:3], off offset:128
	s_nop 0
	global_load_dwordx2 v[8:9], v[6:7], off
	global_load_dwordx2 v[10:11], v[6:7], off offset:128
	s_load_dwordx8 s[12:19], s[0:1], 0x0
	s_load_dwordx2 s[36:37], s[0:1], 0x80
	s_load_dwordx4 s[24:27], s[0:1], 0x70
	s_load_dword s58, s[30:31], 0x0
	v_lshrrev_b32_e32 v70, 3, v51
	v_or_b32_e32 v72, 64, v71
	s_mul_hi_i32 s56, s51, s20
	s_waitcnt lgkmcnt(0)
	s_mul_i32 s33, s28, s25
	s_mul_hi_u32 s46, s28, s24
	s_mul_i32 s40, s28, s24
	s_mul_i32 s47, s29, s24
	;; [unrolled: 1-line block ×4, first 2 shown]
	s_mul_hi_u32 s49, s51, s26
	s_mul_i32 s50, s53, s26
	s_cmp_lt_i32 s54, 64
	s_mul_i32 s42, s51, s26
	s_waitcnt vmcnt(3)
	v_and_b32_e32 v19, 0xffff0000, v4
	v_lshlrev_b32_e32 v18, 16, v4
	v_and_b32_e32 v21, 0xffff0000, v5
	v_lshlrev_b32_e32 v20, 16, v5
	s_waitcnt vmcnt(2)
	v_and_b32_e32 v23, 0xffff0000, v2
	v_lshlrev_b32_e32 v22, 16, v2
	v_and_b32_e32 v25, 0xffff0000, v3
	v_lshlrev_b32_e32 v24, 16, v3
	s_waitcnt vmcnt(1)
	v_and_b32_e32 v27, 0xffff0000, v8
	v_lshlrev_b32_e32 v26, 16, v8
	v_and_b32_e32 v29, 0xffff0000, v9
	v_lshlrev_b32_e32 v28, 16, v9
	s_waitcnt vmcnt(0)
	v_and_b32_e32 v31, 0xffff0000, v10
	v_lshlrev_b32_e32 v30, 16, v10
	v_and_b32_e32 v33, 0xffff0000, v11
	v_lshlrev_b32_e32 v32, 16, v11
	s_cbranch_scc1 .LBB353_3
; %bb.1:
	s_ashr_i32 s1, s38, 31
	s_add_u32 s0, s57, s38
	s_addc_u32 s1, s56, s1
	s_lshl_b64 s[0:1], s[0:1], 8
	v_and_b32_e32 v74, 56, v69
	s_add_u32 s24, s14, s0
	v_lshl_or_b32 v73, v1, 3, v70
	v_lshlrev_b32_e32 v2, 1, v74
	s_addc_u32 s0, s15, s1
	v_lshl_or_b32 v75, v73, 8, v2
	s_and_b32 s25, s0, 0xffff
	s_mov_b32 s27, 0x20000
	s_movk_i32 s26, 0x4000
	s_movk_i32 s0, 0x80
	v_or_b32_e32 v76, 0x2000, v75
	buffer_load_dwordx4 v[4:7], v75, s[24:27], 0 offen
	buffer_load_dwordx4 v[8:11], v75, s[24:27], s0 offen
	;; [unrolled: 1-line block ×4, first 2 shown]
	v_lshlrev_b32_e32 v3, 3, v73
	v_and_or_b32 v17, v0, 7, v3
	v_and_b32_e32 v3, 0x78, v3
	v_lshlrev_b32_e32 v17, 4, v17
	v_xor_b32_e32 v77, v17, v3
	v_mul_lo_u32 v16, v73, s23
	v_or_b32_e32 v78, 0x1000, v77
	v_xor_b32_e32 v3, 8, v77
	s_cmpk_eq_i32 s23, 0x80
	s_mov_b32 s59, s38
	v_xor_b32_e32 v17, 8, v78
	s_cselect_b64 s[0:1], -1, 0
	s_cmpk_lg_i32 s23, 0x80
	s_waitcnt vmcnt(3)
	ds_write_b64 v77, v[4:5] offset:24576
	ds_write_b64 v3, v[6:7] offset:24576
	s_waitcnt vmcnt(2)
	ds_write_b64 v77, v[8:9] offset:32768
	ds_write_b64 v3, v[10:11] offset:32768
	;; [unrolled: 3-line block ×4, first 2 shown]
	v_lshl_add_u32 v3, v16, 1, v74
	s_cbranch_scc0 .LBB353_29
; %bb.2:
	v_lshlrev_b32_e32 v5, 1, v3
	v_add_lshl_u32 v4, v3, s23, 1
	s_lshl_b32 s26, s23, 7
	v_lshl_or_b32 v2, v73, 9, v2
	s_cbranch_execz .LBB353_30
	s_branch .LBB353_31
.LBB353_3:
	v_mov_b64_e32 v[2:3], v[18:19]
	v_mov_b64_e32 v[4:5], v[20:21]
	;; [unrolled: 1-line block ×8, first 2 shown]
.LBB353_4:
	s_lshl_b32 s30, s52, 6
	s_sub_i32 s31, s54, s30
	s_cmp_gt_i32 s31, 0
	s_cbranch_scc0 .LBB353_83
; %bb.5:
	s_add_i32 s30, s30, s38
	s_ashr_i32 s3, s30, 31
	s_cmpk_lg_i32 s23, 0x80
	s_cselect_b64 s[26:27], -1, 0
	s_and_b64 vcc, exec, s[26:27]
	s_cbranch_vccz .LBB353_7
; %bb.6:
	s_mul_i32 s1, s30, s22
	s_ashr_i32 s4, s55, 31
	s_mul_hi_i32 s0, s30, s22
	s_add_u32 s28, s1, s55
	s_addc_u32 s29, s0, s4
	s_cbranch_execz .LBB353_8
	s_branch .LBB353_9
.LBB353_7:
                                        ; implicit-def: $sgpr28_sgpr29
.LBB353_8:
	s_mul_i32 s1, s55, s20
	s_mul_hi_i32 s0, s55, s20
	s_add_u32 s28, s1, s30
	s_addc_u32 s29, s0, s3
.LBB353_9:
	s_add_i32 s4, s52, s58
	s_add_u32 s0, s57, s30
	v_lshlrev_b32_e32 v22, 5, v71
	v_lshlrev_b32_e32 v38, 2, v68
	s_addc_u32 s1, s56, s3
	s_mov_b32 s3, 0x7060302
	v_or_b32_e32 v25, v22, v38
	v_xor_b32_e32 v23, v71, v38
	v_perm_b32 v19, v5, v4, s3
	v_perm_b32 v18, v3, v2, s3
	;; [unrolled: 1-line block ×4, first 2 shown]
	v_lshlrev_b32_e32 v25, 1, v25
	v_xor_b32_e32 v24, v72, v38
	ds_write2st64_b64 v25, v[18:19], v[20:21] offset0:80 offset1:88
	v_lshlrev_b32_e32 v23, 1, v23
	v_lshlrev_b32_e32 v25, 8, v68
	s_lshl_b64 s[24:25], s[0:1], 8
	v_or_b32_e32 v26, v23, v25
	v_lshlrev_b32_e32 v24, 1, v24
	s_add_u32 s0, s14, s24
	ds_write_b64 v26, v[18:19]
	v_or_b32_e32 v18, v24, v25
	s_addc_u32 s1, s15, s25
	ds_write_b64 v18, v[20:21]
	v_perm_b32 v19, v13, v12, s3
	v_perm_b32 v18, v11, v10, s3
	v_perm_b32 v21, v17, v16, s3
	v_perm_b32 v20, v15, v14, s3
	v_or_b32_e32 v25, 16, v68
	s_mul_hi_i32 s3, s4, s21
	s_mul_i32 s4, s4, s21
	v_lshlrev_b32_e32 v35, 2, v25
	s_add_u32 s4, s4, s51
	v_or_b32_e32 v22, v22, v35
	s_addc_u32 s5, s3, s53
	v_lshlrev_b32_e32 v22, 1, v22
	s_ashr_i32 s3, s2, 31
	s_lshl_b64 s[4:5], s[4:5], 15
	ds_write2st64_b64 v22, v[18:19], v[20:21] offset0:80 offset1:88
	v_lshlrev_b32_e32 v22, 8, v25
	s_add_u32 s4, s6, s4
	v_or_b32_e32 v23, v23, v22
	s_addc_u32 s5, s7, s5
	s_lshl_b64 s[2:3], s[2:3], 8
	ds_write_b64 v23, v[18:19]
	v_or_b32_e32 v18, v24, v22
	s_add_u32 s2, s4, s2
	ds_write_b64 v18, v[20:21]
	v_lshrrev_b32_e32 v18, 4, v0
	s_addc_u32 s3, s5, s3
	v_lshlrev_b32_e32 v19, 1, v68
	v_lshlrev_b32_e32 v26, 4, v68
	v_mov_b32_e32 v27, 0
	v_or_b32_e32 v20, 1, v19
	v_xor_b32_e32 v19, v18, v19
	v_lshl_add_u64 v[28:29], s[2:3], 0, v[26:27]
	v_lshlrev_b32_e32 v26, 8, v18
	v_xor_b32_e32 v22, v20, v18
	v_lshl_or_b32 v18, v19, 3, v26
	s_waitcnt lgkmcnt(0)
	s_barrier
	ds_read2st64_b64 v[18:21], v18 offset1:8
	v_lshl_or_b32 v22, v22, 3, v26
	ds_read2st64_b64 v[22:25], v22 offset1:8
	v_lshl_add_u64 v[30:31], v[28:29], 0, v[26:27]
	s_movk_i32 s2, 0x1000
	s_waitcnt lgkmcnt(1)
	v_mov_b32_e32 v26, v18
	v_add_co_u32_e32 v18, vcc, s2, v30
	s_cmp_lg_u32 s31, 64
	v_mov_b32_e32 v27, v19
	v_addc_co_u32_e32 v19, vcc, 0, v31, vcc
	s_cselect_b64 s[14:15], -1, 0
	v_lshl_or_b32 v42, v1, 3, v70
	s_waitcnt lgkmcnt(0)
	v_mov_b32_e32 v28, v22
	v_mov_b32_e32 v29, v23
	;; [unrolled: 1-line block ×4, first 2 shown]
	s_mov_b32 s4, 0
	v_or_b32_e32 v36, 32, v42
	v_and_b32_e32 v34, 56, v69
	s_and_b64 vcc, exec, s[14:15]
	global_store_dwordx4 v[30:31], v[26:29], off
	global_store_dwordx4 v[18:19], v[22:25], off
	s_cbranch_vccz .LBB353_15
; %bb.10:
	s_mov_b32 s6, s4
	s_mov_b32 s7, s4
	;; [unrolled: 1-line block ×3, first 2 shown]
	v_mov_b64_e32 v[24:25], s[6:7]
	v_mov_b64_e32 v[22:23], s[4:5]
	;; [unrolled: 1-line block ×3, first 2 shown]
	v_cmp_gt_i32_e32 vcc, s31, v42
	v_mov_b64_e32 v[20:21], v[24:25]
	s_and_saveexec_b64 s[2:3], vcc
	s_cbranch_execz .LBB353_12
; %bb.11:
	v_lshlrev_b32_e32 v18, 8, v42
	v_mov_b32_e32 v19, 0
	v_lshl_add_u64 v[20:21], s[0:1], 0, v[18:19]
	v_lshlrev_b32_e32 v18, 1, v34
	v_lshl_add_u64 v[26:27], v[20:21], 0, v[18:19]
	global_load_dwordx4 v[22:25], v[26:27], off
	global_load_dwordx4 v[18:21], v[26:27], off offset:128
.LBB353_12:
	s_or_b64 exec, exec, s[2:3]
	s_mov_b32 s6, s4
	s_mov_b32 s7, s4
	;; [unrolled: 1-line block ×3, first 2 shown]
	v_mov_b64_e32 v[32:33], s[6:7]
	v_mov_b64_e32 v[30:31], s[4:5]
	v_mov_b64_e32 v[26:27], v[30:31]
	v_cmp_gt_i32_e32 vcc, s31, v36
	v_lshlrev_b32_e32 v37, 7, v36
	v_mov_b64_e32 v[28:29], v[32:33]
	s_and_saveexec_b64 s[2:3], vcc
	s_cbranch_execz .LBB353_14
; %bb.13:
	v_lshlrev_b32_e32 v26, 1, v37
	v_mov_b32_e32 v27, 0
	v_lshl_add_u64 v[28:29], s[0:1], 0, v[26:27]
	v_lshlrev_b32_e32 v26, 1, v34
	v_lshl_add_u64 v[40:41], v[28:29], 0, v[26:27]
	global_load_dwordx4 v[30:33], v[40:41], off
	global_load_dwordx4 v[26:29], v[40:41], off offset:128
.LBB353_14:
	s_or_b64 exec, exec, s[2:3]
	v_lshrrev_b32_e32 v39, 3, v34
	v_lshlrev_b32_e32 v40, 3, v42
	v_or_b32_e32 v39, v40, v39
	v_lshlrev_b32_e32 v39, 4, v39
	v_and_b32_e32 v40, 0x78, v40
	v_xor_b32_e32 v39, v39, v40
	s_branch .LBB353_17
.LBB353_15:
                                        ; implicit-def: $vgpr39
                                        ; implicit-def: $vgpr37
                                        ; implicit-def: $vgpr22_vgpr23_vgpr24_vgpr25
                                        ; implicit-def: $vgpr18_vgpr19_vgpr20_vgpr21
                                        ; implicit-def: $vgpr30_vgpr31_vgpr32_vgpr33
                                        ; implicit-def: $vgpr26_vgpr27_vgpr28_vgpr29
	s_cbranch_execz .LBB353_17
; %bb.16:
	s_waitcnt vmcnt(0)
	v_lshlrev_b32_e32 v18, 1, v34
	v_lshl_or_b32 v37, v42, 8, v18
	s_and_b32 s1, s1, 0xffff
	s_mov_b32 s3, 0x20000
	s_movk_i32 s2, 0x4000
	v_lshl_or_b32 v39, v36, 8, v18
	s_movk_i32 s4, 0x80
	buffer_load_dwordx4 v[22:25], v37, s[0:3], 0 offen
	buffer_load_dwordx4 v[18:21], v37, s[0:3], s4 offen
	;; [unrolled: 1-line block ×4, first 2 shown]
	v_lshrrev_b32_e32 v37, 3, v34
	v_lshlrev_b32_e32 v39, 3, v42
	v_or_b32_e32 v37, v39, v37
	v_lshlrev_b32_e32 v37, 4, v37
	v_and_b32_e32 v39, 0x78, v39
	v_xor_b32_e32 v39, v37, v39
	v_lshlrev_b32_e32 v37, 7, v36
.LBB353_17:
	s_lshl_b64 s[0:1], s[28:29], 8
	s_add_u32 s4, s12, s0
	s_movk_i32 s0, 0x1000
	v_and_or_b32 v36, v37, s0, v39
	s_waitcnt vmcnt(1)
	ds_write_b64 v39, v[22:23] offset:24576
	v_xor_b32_e32 v22, 8, v39
	ds_write_b64 v22, v[24:25] offset:24576
	s_waitcnt vmcnt(0)
	ds_write_b64 v39, v[18:19] offset:32768
	ds_write_b64 v22, v[20:21] offset:32768
	;; [unrolled: 1-line block ×3, first 2 shown]
	v_xor_b32_e32 v18, 8, v36
	ds_write_b64 v18, v[32:33] offset:24576
	ds_write_b64 v36, v[26:27] offset:32768
	;; [unrolled: 1-line block ×3, first 2 shown]
	v_or_b32_e32 v18, v66, v68
	v_lshlrev_b32_e32 v18, 3, v18
	v_lshrrev_b32_e32 v19, 5, v51
	s_movk_i32 s3, 0xf8
	v_and_or_b32 v19, v18, s3, v19
	v_lshlrev_b32_e32 v23, 4, v19
	v_lshlrev_b32_e32 v39, 11, v1
	v_and_b32_e32 v24, 0x78, v18
	v_or_b32_e32 v26, 32, v23
	v_and_b32_e32 v22, 0x1000, v39
	v_lshrrev_b32_e32 v19, 1, v51
	v_xor_b32_e32 v26, v26, v24
	v_xor_b32_e32 v18, v23, v24
	v_and_b32_e32 v25, 8, v19
	v_or_b32_e32 v26, v26, v22
	v_or_b32_e32 v18, v18, v22
	v_xor_b32_e32 v44, v26, v25
	v_or_b32_e32 v26, 64, v23
	v_xor_b32_e32 v43, v18, v25
	v_xor_b32_e32 v26, v26, v24
	s_waitcnt lgkmcnt(0)
	s_barrier
	v_or_b32_e32 v28, v26, v22
	ds_read_b64 v[26:27], v43 offset:24576
	v_lshl_or_b32 v36, v67, 7, v38
	v_lshlrev_b32_e32 v40, 1, v36
	v_add_u32_e32 v18, 0xa000, v40
	ds_read2_b64 v[18:21], v18 offset1:16
	v_or_b32_e32 v23, 0x60, v23
	v_xor_b32_e32 v23, v23, v24
	s_waitcnt lgkmcnt(0)
	v_mfma_f32_16x16x16_bf16 a[0:3], v[26:27], v[18:19], 0
	v_or_b32_e32 v18, 64, v36
	v_or_b32_e32 v22, v23, v22
	v_lshlrev_b32_e32 v41, 1, v18
	v_xor_b32_e32 v45, v28, v25
	v_xor_b32_e32 v46, v22, v25
	ds_read_b64 v[28:29], v44 offset:24576
	ds_read_b64 v[30:31], v45 offset:24576
	;; [unrolled: 1-line block ×3, first 2 shown]
	v_mfma_f32_16x16x16_bf16 a[4:7], v[26:27], v[20:21], 0
	ds_read2st64_b64 v[18:21], v41 offset0:82 offset1:84
	ds_read2st64_b64 v[22:25], v40 offset0:82 offset1:84
	s_addc_u32 s5, s13, s1
	s_add_i32 s1, s46, s33
	s_add_i32 s0, s39, -1
	s_add_i32 s41, s1, s47
	s_add_i32 s1, s49, s48
	;; [unrolled: 1-line block ×3, first 2 shown]
	s_ashr_i32 s1, s0, 31
	s_mul_i32 s2, s0, s37
	s_mul_hi_u32 s3, s0, s36
	s_add_i32 s2, s3, s2
	s_mul_i32 s1, s1, s36
	s_waitcnt lgkmcnt(1)
	v_mfma_f32_16x16x16_bf16 a[4:7], v[28:29], v[18:19], a[4:7]
	s_add_i32 s1, s2, s1
	s_lshl_b64 s[2:3], s[40:41], 2
	s_add_u32 s6, s18, s2
	s_waitcnt lgkmcnt(0)
	v_mfma_f32_16x16x16_bf16 a[0:3], v[28:29], v[22:23], a[0:3]
	s_addc_u32 s7, s19, s3
	s_lshl_b64 s[2:3], s[42:43], 2
	s_mul_i32 s0, s0, s36
	s_add_u32 s12, s6, s2
	ds_read_b64 v[18:19], v40 offset:44032
	v_mfma_f32_16x16x16_bf16 a[4:7], v[30:31], v[20:21], a[4:7]
	ds_read_b64 v[20:21], v41 offset:44032
	s_addc_u32 s13, s7, s3
	s_lshl_b64 s[0:1], s[0:1], 2
	v_mfma_f32_16x16x16_bf16 a[0:3], v[30:31], v[24:25], a[0:3]
	s_add_u32 s0, s12, s0
	s_addc_u32 s1, s13, s1
	s_load_dword s18, s[0:1], 0x0
	s_waitcnt lgkmcnt(0)
	v_mfma_f32_16x16x16_bf16 a[0:3], v[32:33], v[18:19], a[0:3]
	s_and_b64 vcc, exec, s[26:27]
	v_mfma_f32_16x16x16_bf16 a[4:7], v[32:33], v[20:21], a[4:7]
	s_cbranch_vccz .LBB353_28
; %bb.18:
	v_lshlrev_b32_e32 v36, 1, v42
	s_and_b64 vcc, exec, s[14:15]
	s_cbranch_vccz .LBB353_43
; %bb.19:
	v_cmp_gt_i32_e32 vcc, s31, v36
	v_mov_b32_e32 v22, 0
	v_mov_b32_e32 v18, 0
	;; [unrolled: 1-line block ×5, first 2 shown]
	s_and_saveexec_b64 s[0:1], vcc
	s_cbranch_execz .LBB353_21
; %bb.20:
	v_mad_i64_i32 v[18:19], s[2:3], s23, v36, 0
	v_lshl_add_u64 v[18:19], v[18:19], 1, s[4:5]
	v_lshlrev_b32_e32 v20, 1, v34
	v_mov_b32_e32 v21, 0
	v_lshl_add_u64 v[18:19], v[18:19], 0, v[20:21]
	global_load_dwordx4 v[18:21], v[18:19], off
.LBB353_21:
	s_or_b64 exec, exec, s[0:1]
	v_or_b32_e32 v37, 1, v36
	v_cmp_gt_i32_e64 s[0:1], s31, v37
	v_mov_b32_e32 v23, 0
	v_mov_b32_e32 v24, 0
	v_mov_b32_e32 v25, 0
	s_and_saveexec_b64 s[2:3], s[0:1]
	s_cbranch_execz .LBB353_23
; %bb.22:
	v_mad_i64_i32 v[22:23], s[6:7], s23, v37, 0
	v_lshl_add_u64 v[22:23], v[22:23], 1, s[4:5]
	v_lshlrev_b32_e32 v24, 1, v34
	v_mov_b32_e32 v25, 0
	v_lshl_add_u64 v[22:23], v[22:23], 0, v[24:25]
	global_load_dwordx4 v[22:25], v[22:23], off
.LBB353_23:
	s_or_b64 exec, exec, s[2:3]
	v_mov_b32_e32 v33, 0
	v_mov_b32_e32 v26, 0
	;; [unrolled: 1-line block ×5, first 2 shown]
	s_and_saveexec_b64 s[2:3], vcc
	s_cbranch_execz .LBB353_25
; %bb.24:
	v_mad_i64_i32 v[26:27], s[6:7], s23, v36, 0
	v_lshl_add_u64 v[26:27], v[26:27], 1, s[4:5]
	v_lshlrev_b32_e32 v28, 1, v34
	v_mov_b32_e32 v29, 0
	v_lshl_add_u64 v[26:27], v[26:27], 0, v[28:29]
	global_load_dwordx4 v[26:29], v[26:27], off offset:128
.LBB353_25:
	s_or_b64 exec, exec, s[2:3]
	v_mov_b32_e32 v32, 0
	v_mov_b32_e32 v31, 0
	v_mov_b32_e32 v30, 0
	s_and_saveexec_b64 s[2:3], s[0:1]
	s_cbranch_execz .LBB353_27
; %bb.26:
	v_mad_i64_i32 v[30:31], s[0:1], s23, v37, 0
	v_lshl_add_u64 v[30:31], v[30:31], 1, s[4:5]
	v_lshlrev_b32_e32 v32, 1, v34
	v_mov_b32_e32 v33, 0
	v_lshl_add_u64 v[30:31], v[30:31], 0, v[32:33]
	global_load_dwordx4 v[30:33], v[30:31], off offset:128
.LBB353_27:
	s_or_b64 exec, exec, s[2:3]
	s_branch .LBB353_45
.LBB353_28:
                                        ; implicit-def: $vgpr21
                                        ; implicit-def: $vgpr25
                                        ; implicit-def: $vgpr29
                                        ; implicit-def: $vgpr33
	v_lshrrev_b32_e32 v47, 2, v51
	s_branch .LBB353_46
.LBB353_29:
                                        ; implicit-def: $vgpr4
                                        ; implicit-def: $vgpr5
                                        ; implicit-def: $sgpr26
	v_lshl_or_b32 v2, v73, 9, v2
.LBB353_30:
	v_or_b32_e32 v4, 0x100, v2
	s_movk_i32 s26, 0x4000
	v_mov_b32_e32 v5, v2
.LBB353_31:
	s_mul_i32 s4, s38, s22
	s_ashr_i32 s60, s55, 31
	s_mul_hi_i32 s3, s38, s22
	s_add_u32 s4, s4, s55
	s_addc_u32 s5, s3, s60
	s_lshl_b64 s[4:5], s[4:5], 8
	s_add_u32 s24, s12, s4
	s_addc_u32 s3, s13, s5
	s_and_b32 s25, s3, 0xffff
	s_movk_i32 s61, 0x80
	buffer_load_dwordx4 v[6:9], v5, s[24:27], 0 offen
	buffer_load_dwordx4 v[10:13], v5, s[24:27], s61 offen
	;; [unrolled: 1-line block ×4, first 2 shown]
	v_and_b32_e32 v4, 6, v0
	v_lshlrev_b32_e32 v39, 6, v71
	v_or_b32_e32 v41, 16, v68
	v_xor_b32_e32 v42, v73, v4
	v_and_b32_e32 v5, 1, v0
	v_lshl_or_b32 v45, v68, 3, v39
	v_lshl_or_b32 v39, v41, 3, v39
	v_lshlrev_b32_e32 v42, 2, v42
	v_lshlrev_b32_e32 v38, 2, v68
	v_or_b32_e32 v81, 0xa000, v39
	v_or_b32_e32 v82, 0xb000, v39
	v_xor_b32_e32 v39, 0x440, v42
	v_cmp_eq_u32_e32 vcc, 0, v5
	s_add_i32 s3, s46, s33
	v_xor_b32_e32 v43, v71, v38
	v_xor_b32_e32 v44, v72, v38
	v_cndmask_b32_e32 v5, v39, v42, vcc
	s_add_i32 s4, s49, s48
	s_add_i32 s41, s3, s47
	s_mov_b32 s62, 0x1000504
	v_lshlrev_b32_e32 v40, 8, v68
	v_lshlrev_b32_e32 v41, 8, v41
	;; [unrolled: 1-line block ×4, first 2 shown]
	v_lshl_or_b32 v4, v4, 10, v5
	s_add_i32 s43, s4, s50
	s_lshl_b64 s[4:5], s[40:41], 2
	s_mov_b32 s63, 0x3020706
	v_or_b32_e32 v79, 0xa000, v45
	v_or_b32_e32 v80, 0xb000, v45
	;; [unrolled: 1-line block ×5, first 2 shown]
	v_xor_b32_e32 v5, 8, v4
	v_xor_b32_e32 v40, 24, v4
	;; [unrolled: 1-line block ×4, first 2 shown]
	s_add_u32 s3, s18, s4
	v_or_b32_e32 v85, v41, v43
	v_xor_b32_e32 v39, 16, v4
	v_xor_b32_e32 v41, 32, v4
	v_xor_b32_e32 v43, 48, v4
	v_add_u32_e32 v5, 0x80, v5
	v_add_u32_e32 v40, 0x80, v40
	v_add_u32_e32 v42, 0x80, v42
	v_add_u32_e32 v44, 0x80, v44
	s_addc_u32 s24, s19, s5
	s_lshl_b64 s[4:5], s[42:43], 2
	s_add_u32 s4, s3, s4
	s_movk_i32 s3, 0xf8
	s_addc_u32 s5, s24, s5
	s_lshl_b32 s30, s23, 7
	s_movk_i32 s28, 0x100
	v_mov_b32_e32 v59, 0
	v_lshlrev_b32_e32 v58, 4, v68
	v_cmp_gt_u32_e32 vcc, s28, v0
	v_ashrrev_i32_e32 v57, 31, v56
	s_mov_b32 s64, 0
	s_movk_i32 s41, 0x1000
	s_movk_i32 s26, 0x4000
	v_mov_b32_e32 v107, 0x3fb8aa3b
	s_waitcnt vmcnt(1)
	v_perm_b32 v45, v6, v14, s62
	s_waitcnt vmcnt(0)
	v_perm_b32 v46, v10, v34, s62
	v_perm_b32 v6, v6, v14, s63
	;; [unrolled: 1-line block ×15, first 2 shown]
	ds_write2st64_b32 v4, v45, v46 offset0:32 offset1:64
	ds_write2st64_b32 v5, v6, v10 offset0:32 offset1:64
	;; [unrolled: 1-line block ×8, first 2 shown]
	v_or_b32_e32 v4, v66, v68
	v_lshlrev_b32_e32 v4, 3, v4
	v_lshrrev_b32_e32 v7, 5, v51
	v_and_or_b32 v7, v4, s3, v7
	v_lshlrev_b32_e32 v7, 4, v7
	v_lshlrev_b32_e32 v5, 11, v1
	v_and_b32_e32 v4, 0x78, v4
	v_or_b32_e32 v12, 32, v7
	v_and_b32_e32 v6, 0x1000, v5
	v_lshrrev_b32_e32 v9, 1, v0
	v_xor_b32_e32 v12, v12, v4
	v_and_b32_e32 v10, 8, v9
	v_or_b32_e32 v12, v12, v6
	v_xor_b32_e32 v8, v7, v4
	v_xor_b32_e32 v89, v12, v10
	v_or_b32_e32 v12, 64, v7
	v_or_b32_e32 v7, 0x60, v7
	s_ashr_i32 s3, s2, 31
	v_xor_b32_e32 v12, v12, v4
	v_xor_b32_e32 v4, v7, v4
	s_lshl_b64 s[24:25], s[2:3], 8
	v_or_b32_e32 v8, v8, v6
	v_or_b32_e32 v12, v12, v6
	;; [unrolled: 1-line block ×3, first 2 shown]
	s_add_u32 s24, s6, s24
	v_lshlrev_b32_e32 v6, 1, v68
	v_xor_b32_e32 v91, v12, v10
	v_lshrrev_b32_e32 v12, 4, v0
	s_addc_u32 s25, s7, s25
	v_or_b32_e32 v7, 1, v6
	v_mov_b32_e32 v16, 0x4000
	v_mov_b32_e32 v17, 0x2000
	v_xor_b32_e32 v13, v12, v6
	v_xor_b32_e32 v14, v7, v12
	v_lshl_add_u64 v[6:7], s[24:25], 0, v[58:59]
	v_lshlrev_b32_e32 v58, 8, v12
	v_cndmask_b32_e32 v16, v16, v17, vcc
	v_lshlrev_b32_e32 v17, 3, v1
	v_and_b32_e32 v9, 24, v9
	v_lshl_or_b32 v95, v13, 3, v58
	v_and_b32_e32 v13, 8, v0
	v_xor_b32_e32 v34, v17, v9
	v_or_b32_e32 v35, 0x440, v34
	v_cmp_eq_u32_e32 vcc, 0, v13
	v_and_b32_e32 v12, 7, v0
	v_xor_b32_e32 v87, v8, v10
	v_cndmask_b32_e32 v13, v35, v34, vcc
	v_lshlrev_b32_e32 v8, 7, v67
	v_lshl_or_b32 v96, v14, 3, v58
	v_lshlrev_b32_e32 v14, 3, v12
	v_lshlrev_b32_e32 v12, 7, v12
	;; [unrolled: 1-line block ×3, first 2 shown]
	v_or_b32_e32 v13, v13, v5
	v_or_b32_e32 v11, v8, v38
	v_xad_u32 v97, v13, v14, v12
	v_and_or_b32 v8, v15, 60, v8
	v_mov_b32_e32 v13, 0xb000
	v_lshl_or_b32 v98, v8, 1, v13
	v_or_b32_e32 v8, 32, v9
	v_xor_b32_e32 v8, v17, v8
	v_or_b32_e32 v13, 0x440, v8
	v_cndmask_b32_e32 v8, v13, v8, vcc
	v_or_b32_e32 v8, v8, v5
	v_xad_u32 v99, v8, v14, v12
	v_or_b32_e32 v8, 64, v9
	v_xor_b32_e32 v8, v17, v8
	v_xor_b32_e32 v13, 0x440, v8
	v_cndmask_b32_e32 v8, v13, v8, vcc
	v_or_b32_e32 v8, v8, v5
	v_xad_u32 v100, v8, v14, v12
	v_or_b32_e32 v8, 0x60, v9
	v_xor_b32_e32 v8, v17, v8
	v_xor_b32_e32 v9, 0x440, v8
	v_lshlrev_b32_e32 v11, 1, v11
	v_cndmask_b32_e32 v8, v9, v8, vcc
	v_or_b32_e32 v88, 0xa000, v11
	v_or_b32_e32 v90, 0xa080, v11
	v_xor_b32_e32 v92, v4, v10
	v_or_b32_e32 v93, 0xb000, v11
	v_or_b32_e32 v94, 0xb080, v11
	v_lshlrev_b32_e32 v10, 1, v3
	v_add_lshl_u32 v3, v3, s23, 1
	v_or_b32_e32 v11, 0x100, v2
	v_or_b32_e32 v5, v8, v5
	v_lshlrev_b32_e32 v4, 7, v71
	v_xad_u32 v101, v5, v14, v12
	v_cndmask_b32_e64 v102, v10, v2, s[0:1]
	v_cndmask_b32_e64 v103, v3, v11, s[0:1]
	v_lshlrev_b64 v[2:3], 1, v[56:57]
	v_lshl_add_u64 v[60:61], s[16:17], 0, v[2:3]
	v_lshl_add_u64 v[62:63], s[8:9], 0, v[2:3]
	;; [unrolled: 1-line block ×3, first 2 shown]
	s_mov_b32 s3, 0x7060302
	v_lshlrev_b32_e32 v58, 1, v4
	v_add_u32_e32 v57, v16, v97
	v_add_u32_e32 v104, v16, v99
	;; [unrolled: 1-line block ×4, first 2 shown]
	s_waitcnt lgkmcnt(0)
	s_barrier
	s_branch .LBB353_33
.LBB353_32:                             ;   in Loop: Header=BB353_33 Depth=1
	v_mul_f32_e32 v6, s24, v107
	s_waitcnt vmcnt(2)
	v_exp_f32_e32 v34, v6
	s_nop 1
	v_accvgpr_read_b32 v17, a15
	v_accvgpr_read_b32 v2, a4
	;; [unrolled: 1-line block ×16, first 2 shown]
	v_fma_f32 v16, v32, v34, v16
	v_fmac_f32_e32 v17, v33, v34
	v_fma_f32 v2, v18, v34, v2
	v_fma_f32 v3, v19, v34, v3
	v_fma_f32 v4, v20, v34, v4
	v_fmac_f32_e32 v5, v21, v34
	v_fma_f32 v10, v26, v34, v10
	v_fma_f32 v11, v27, v34, v11
	;; [unrolled: 4-line block ×4, first 2 shown]
	s_add_i32 s59, s59, 64
	v_mov_b64_e32 v[32:33], v[16:17]
	s_cmp_eq_u32 s52, s43
	s_mov_b32 s64, s43
	v_mov_b64_e32 v[30:31], v[14:15]
	v_mov_b64_e32 v[28:29], v[12:13]
	;; [unrolled: 1-line block ×7, first 2 shown]
	s_cbranch_scc1 .LBB353_4
.LBB353_33:                             ; =>This Inner Loop Header: Depth=1
	s_add_i32 s43, s64, 1
	s_cmp_lt_i32 s43, s52
	s_mov_b64 s[28:29], 0
	s_cselect_b64 s[44:45], -1, 0
	s_cmp_ge_i32 s43, s52
	s_mov_b64 s[24:25], 0
	s_cbranch_scc1 .LBB353_35
; %bb.34:                               ;   in Loop: Header=BB353_33 Depth=1
	s_add_i32 s0, s59, 64
	s_ashr_i32 s1, s0, 31
	s_add_u32 s0, s57, s0
	s_addc_u32 s1, s56, s1
	s_lshl_b64 s[0:1], s[0:1], 8
	s_add_u32 s24, s14, s0
	s_addc_u32 s25, s15, s1
.LBB353_35:                             ;   in Loop: Header=BB353_33 Depth=1
	v_cndmask_b32_e64 v2, 0, 1, s[44:45]
	v_cmp_ne_u32_e64 s[0:1], 1, v2
	s_andn2_b64 vcc, exec, s[44:45]
	s_cbranch_vccnz .LBB353_37
; %bb.36:                               ;   in Loop: Header=BB353_33 Depth=1
	s_add_i32 s28, s59, 64
	s_mul_hi_i32 s29, s28, s22
	s_mul_i32 s28, s28, s22
	s_add_u32 s28, s28, s55
	s_addc_u32 s29, s29, s60
	s_lshl_b64 s[28:29], s[28:29], 8
	s_add_u32 s28, s12, s28
	s_addc_u32 s29, s13, s29
.LBB353_37:                             ;   in Loop: Header=BB353_33 Depth=1
	v_perm_b32 v3, v21, v20, s3
	v_perm_b32 v2, v19, v18, s3
	;; [unrolled: 1-line block ×4, first 2 shown]
	ds_write_b64 v79, v[2:3]
	ds_write_b64 v80, v[4:5]
	;; [unrolled: 1-line block ×4, first 2 shown]
	v_perm_b32 v3, v29, v28, s3
	v_perm_b32 v2, v27, v26, s3
	;; [unrolled: 1-line block ×4, first 2 shown]
	ds_write_b64 v81, v[2:3]
	ds_write_b64 v82, v[4:5]
	;; [unrolled: 1-line block ×4, first 2 shown]
	s_waitcnt lgkmcnt(0)
	s_barrier
	ds_read_b64 v[6:7], v87 offset:24576
	ds_read2_b64 v[2:5], v88 offset1:16
	ds_read_b64 v[10:11], v90 offset:3072
	ds_read_b64 v[12:13], v88 offset:3072
	;; [unrolled: 1-line block ×3, first 2 shown]
	s_waitcnt lgkmcnt(3)
	v_mfma_f32_16x16x16_bf16 a[0:3], v[6:7], v[2:3], 0
	s_add_i32 s31, s59, 63
	s_ashr_i32 s44, s31, 31
	s_mul_i32 s45, s31, s37
	v_mfma_f32_16x16x16_bf16 a[4:7], v[6:7], v[4:5], 0
	ds_read2st64_b64 v[2:5], v88 offset0:2 offset1:4
	s_mul_hi_u32 s65, s31, s36
	s_add_i32 s45, s65, s45
	s_waitcnt lgkmcnt(0)
	v_mfma_f32_16x16x16_bf16 a[0:3], v[14:15], v[2:3], a[0:3]
	ds_read2st64_b64 v[6:9], v90 offset0:2 offset1:4
	ds_read_b64 v[2:3], v91 offset:24576
	s_mul_i32 s44, s44, s36
	s_add_i32 s45, s45, s44
	s_waitcnt lgkmcnt(1)
	v_mfma_f32_16x16x16_bf16 a[4:7], v[14:15], v[6:7], a[4:7]
	ds_read_b64 v[6:7], v92 offset:24576
	s_mul_i32 s44, s31, s36
	s_lshl_b64 s[44:45], s[44:45], 2
	s_waitcnt lgkmcnt(1)
	v_mfma_f32_16x16x16_bf16 a[0:3], v[2:3], v[4:5], a[0:3]
	s_add_u32 s44, s4, s44
	s_addc_u32 s45, s5, s45
	s_and_b64 vcc, exec, s[0:1]
	v_mfma_f32_16x16x16_bf16 a[8:11], v[2:3], v[8:9], a[4:7]
	v_mov_b32_e32 v110, 0
	v_mov_b32_e32 v109, 0
	;; [unrolled: 1-line block ×3, first 2 shown]
	s_waitcnt lgkmcnt(0)
	v_mfma_f32_16x16x16_bf16 a[4:7], v[6:7], v[12:13], a[0:3]
	v_mov_b32_e32 v2, 0
	v_mov_b32_e32 v3, 0
	;; [unrolled: 1-line block ×3, first 2 shown]
	v_mfma_f32_16x16x16_bf16 a[0:3], v[6:7], v[10:11], a[8:11]
	v_mov_b32_e32 v5, 0
	v_mov_b32_e32 v6, 0
	;; [unrolled: 1-line block ×13, first 2 shown]
	s_cbranch_vccnz .LBB353_39
; %bb.38:                               ;   in Loop: Header=BB353_33 Depth=1
	s_and_b32 s25, s25, 0xffff
	buffer_load_dwordx4 v[14:17], v75, s[24:27], 0 offen
	buffer_load_dwordx4 v[10:13], v75, s[24:27], s61 offen
	;; [unrolled: 1-line block ×4, first 2 shown]
	v_mov_b32_e32 v109, v77
	v_mov_b32_e32 v108, v78
.LBB353_39:                             ;   in Loop: Header=BB353_33 Depth=1
	ds_read_b64 v[42:43], v87 offset:32768
	ds_read2_b64 v[34:37], v93 offset1:16
	ds_read_b64 v[44:45], v89 offset:32768
	ds_read_b64 v[46:47], v91 offset:32768
	ds_read_b64 v[48:49], v92 offset:32768
	v_add_u32_e32 v111, s59, v71
	s_waitcnt lgkmcnt(3)
	v_mfma_f32_16x16x16_bf16 a[4:7], v[42:43], v[34:35], a[4:7]
	v_ashrrev_i32_e32 v34, 31, v111
	ds_read2st64_b64 v[38:41], v93 offset0:2 offset1:4
	v_mfma_f32_16x16x16_bf16 a[0:3], v[42:43], v[36:37], a[0:3]
	v_mul_lo_u32 v36, v34, s36
	v_mul_lo_u32 v37, v111, s37
	v_mad_u64_u32 v[34:35], s[24:25], v111, s36, 0
	v_add3_u32 v35, v35, v37, v36
	v_add_u32_e32 v36, 1, v111
	v_ashrrev_i32_e32 v37, 31, v36
	v_mul_lo_u32 v42, v37, s36
	v_mul_lo_u32 v43, v36, s37
	v_mad_u64_u32 v[36:37], s[24:25], v36, s36, 0
	v_add3_u32 v37, v37, v43, v42
	v_add_u32_e32 v42, 2, v111
	v_ashrrev_i32_e32 v43, 31, v42
	v_mul_lo_u32 v112, v43, s36
	v_mul_lo_u32 v113, v42, s37
	v_mad_u64_u32 v[42:43], s[24:25], v42, s36, 0
	v_add_u32_e32 v111, 3, v111
	v_add3_u32 v43, v43, v113, v112
	v_ashrrev_i32_e32 v112, 31, v111
	v_mul_lo_u32 v114, v112, s36
	v_mad_u64_u32 v[112:113], s[24:25], v111, s36, 0
	v_mul_lo_u32 v115, v111, s37
	s_ashr_i32 s25, s59, 31
	v_add3_u32 v113, v113, v115, v114
	s_add_u32 s24, s57, s59
	v_lshl_add_u64 v[34:35], v[34:35], 2, s[4:5]
	v_lshl_add_u64 v[112:113], v[112:113], 2, s[4:5]
	s_addc_u32 s25, s56, s25
	v_lshl_add_u64 v[36:37], v[36:37], 2, s[4:5]
	v_lshl_add_u64 v[42:43], v[42:43], 2, s[4:5]
	global_load_dword v111, v[34:35], off
	global_load_dword v114, v[36:37], off
	;; [unrolled: 1-line block ×3, first 2 shown]
	s_nop 0
	global_load_dword v112, v[112:113], off
	s_lshl_b64 s[66:67], s[24:25], 8
	v_lshl_add_u64 v[34:35], v[60:61], 0, s[66:67]
	v_lshl_add_u64 v[42:43], v[34:35], 0, v[58:59]
	global_load_ushort v113, v[42:43], off offset:256
	global_load_ushort v116, v[42:43], off
	ds_read2st64_b64 v[34:37], v94 offset0:2 offset1:4
	global_load_ushort v117, v[42:43], off offset:768
	global_load_ushort v118, v[42:43], off offset:512
	;; [unrolled: 1-line block ×6, first 2 shown]
	s_waitcnt lgkmcnt(1)
	v_mfma_f32_16x16x16_bf16 a[4:7], v[44:45], v[38:39], a[4:7]
	s_and_b64 vcc, exec, s[0:1]
	s_waitcnt vmcnt(7)
	v_lshlrev_b32_e32 v43, 16, v113
	s_waitcnt lgkmcnt(0)
	v_mfma_f32_16x16x16_bf16 a[0:3], v[44:45], v[34:35], a[0:3]
	v_mfma_f32_16x16x16_bf16 a[4:7], v[46:47], v[40:41], a[4:7]
	;; [unrolled: 1-line block ×3, first 2 shown]
	ds_read_b64 v[34:35], v93 offset:3072
	ds_read_b64 v[36:37], v94 offset:3072
	s_load_dword s24, s[44:45], 0x0
	s_waitcnt lgkmcnt(0)
	v_sub_f32_e32 v42, s24, v111
	v_mfma_f32_16x16x16_bf16 a[4:7], v[48:49], v[34:35], a[4:7]
	v_sub_f32_e32 v45, s24, v114
	v_sub_f32_e32 v46, s24, v115
	;; [unrolled: 1-line block ×3, first 2 shown]
	v_mul_f32_e32 v44, 0x3fb8aa3b, v42
	v_mul_f32_e32 v45, 0x3fb8aa3b, v45
	;; [unrolled: 1-line block ×4, first 2 shown]
	v_mfma_f32_16x16x16_bf16 a[0:3], v[48:49], v[36:37], a[0:3]
	v_accvgpr_read_b32 v41, a5
	v_exp_f32_e32 v44, v44
	v_exp_f32_e32 v45, v45
	;; [unrolled: 1-line block ×4, first 2 shown]
	v_accvgpr_read_b32 v40, a4
	s_waitcnt vmcnt(6)
	v_lshlrev_b32_e32 v42, 16, v116
	v_lshl_add_u64 v[34:35], v[62:63], 0, s[66:67]
	v_accvgpr_read_b32 v37, a7
	v_accvgpr_read_b32 v36, a6
	v_pk_add_f32 v[40:41], v[42:43], v[40:41] neg_lo:[0,1] neg_hi:[0,1]
	s_waitcnt vmcnt(5)
	v_lshlrev_b32_e32 v43, 16, v117
	s_waitcnt vmcnt(4)
	v_lshlrev_b32_e32 v42, 16, v118
	v_lshl_add_u64 v[34:35], v[34:35], 0, v[58:59]
	v_pk_add_f32 v[36:37], v[42:43], v[36:37] neg_lo:[0,1] neg_hi:[0,1]
	global_store_short_d16_hi v[34:35], v40, off
	global_store_short_d16_hi v[34:35], v41, off offset:256
	global_store_short_d16_hi v[34:35], v36, off offset:512
	;; [unrolled: 1-line block ×3, first 2 shown]
	v_pk_mul_f32 v[40:41], v[44:45], v[40:41]
	v_pk_mul_f32 v[36:37], v[46:47], v[36:37]
	v_accvgpr_read_b32 v43, a1
	v_perm_b32 v37, v37, v36, s3
	v_perm_b32 v36, v41, v40, s3
	s_waitcnt vmcnt(5)
	v_lshlrev_b32_e32 v41, 16, v121
	s_waitcnt vmcnt(4)
	v_lshlrev_b32_e32 v40, 16, v122
	v_accvgpr_read_b32 v42, a0
	v_accvgpr_read_b32 v39, a3
	;; [unrolled: 1-line block ×3, first 2 shown]
	v_pk_add_f32 v[40:41], v[40:41], v[42:43] neg_lo:[0,1] neg_hi:[0,1]
	v_lshlrev_b32_e32 v43, 16, v119
	v_lshlrev_b32_e32 v42, 16, v120
	v_pk_add_f32 v[38:39], v[42:43], v[38:39] neg_lo:[0,1] neg_hi:[0,1]
	global_store_short_d16_hi v[34:35], v40, off offset:32
	global_store_short_d16_hi v[34:35], v41, off offset:288
	;; [unrolled: 1-line block ×4, first 2 shown]
	v_pk_mul_f32 v[34:35], v[44:45], v[40:41]
	v_pk_mul_f32 v[38:39], v[46:47], v[38:39]
	v_mov_b32_e32 v111, 0
	v_perm_b32 v39, v39, v38, s3
	v_perm_b32 v38, v35, v34, s3
	ds_write2_b64 v80, v[36:37], v[38:39] offset1:16
	v_mov_b32_e32 v34, 0
	v_mov_b32_e32 v35, 0
	;; [unrolled: 1-line block ×16, first 2 shown]
	s_cbranch_vccnz .LBB353_41
; %bb.40:                               ;   in Loop: Header=BB353_33 Depth=1
	s_and_b32 s29, s29, 0xffff
	s_mov_b32 s31, s27
	buffer_load_dwordx4 v[46:49], v102, s[28:31], 0 offen
	buffer_load_dwordx4 v[38:41], v102, s[28:31], s61 offen
	;; [unrolled: 1-line block ×4, first 2 shown]
	v_mov_b32_e32 v110, v74
	v_mov_b32_e32 v111, v73
.LBB353_41:                             ;   in Loop: Header=BB353_33 Depth=1
	s_waitcnt lgkmcnt(0)
	s_barrier
	ds_read_b64 v[116:117], v57
	ds_read_b64 v[124:125], v98
	;; [unrolled: 1-line block ×5, first 2 shown]
	ds_read_b64 v[130:131], v99 offset:16384
	ds_read_b64 v[132:133], v97 offset:16384
	ds_read2_b64 v[112:115], v93 offset0:16 offset1:128
	s_waitcnt lgkmcnt(6)
	v_mfma_f32_16x16x16_bf16 a[0:3], v[116:117], v[124:125], 0
	ds_read_b64 v[134:135], v94 offset:3072
	ds_read_b64 v[136:137], v101 offset:16384
	s_add_i32 s25, s58, s64
	s_waitcnt lgkmcnt(2)
	v_mfma_f32_16x16x16_bf16 a[4:7], v[116:117], v[112:113], 0
	ds_read2st64_b64 v[116:119], v94 offset0:2 offset1:4
	s_mul_hi_i32 s29, s25, s21
	s_mul_i32 s25, s25, s21
	v_mfma_f32_16x16x16_bf16 a[0:3], v[120:121], v[114:115], a[0:3]
	s_add_u32 s28, s25, s51
	s_addc_u32 s29, s29, s53
	s_lshl_b64 s[28:29], s[28:29], 15
	s_waitcnt lgkmcnt(0)
	v_mfma_f32_16x16x16_bf16 a[4:7], v[120:121], v[116:117], a[4:7]
	ds_read2st64_b64 v[120:123], v93 offset0:4 offset1:6
	s_waitcnt lgkmcnt(0)
	v_mfma_f32_16x16x16_bf16 a[0:3], v[126:127], v[120:121], a[0:3]
	v_mfma_f32_16x16x16_bf16 a[8:11], v[126:127], v[118:119], a[4:7]
	;; [unrolled: 1-line block ×5, first 2 shown]
	ds_read2st64_b64 v[124:127], v96 offset1:8
	v_mfma_f32_16x16x16_bf16 a[12:15], v[132:133], v[112:113], 0
	ds_read_b64 v[132:133], v100 offset:16384
	v_mfma_f32_16x16x16_bf16 a[8:11], v[130:131], v[114:115], a[8:11]
	ds_read2st64_b64 v[112:115], v95 offset1:8
	s_waitcnt lgkmcnt(0)
	v_mov_b32_e32 v128, v112
	v_mfma_f32_16x16x16_bf16 a[12:15], v[130:131], v[116:117], a[12:15]
	v_lshl_add_u64 v[116:117], v[64:65], 0, s[28:29]
	v_add_co_u32_e32 v112, vcc, s41, v116
	v_mfma_f32_16x16x16_bf16 a[8:11], v[132:133], v[120:121], a[8:11]
	v_mov_b32_e32 v129, v113
	v_addc_co_u32_e32 v113, vcc, 0, v117, vcc
	v_mfma_f32_16x16x16_bf16 a[12:15], v[132:133], v[118:119], a[12:15]
	v_mov_b32_e32 v130, v124
	v_mov_b32_e32 v131, v125
	;; [unrolled: 1-line block ×3, first 2 shown]
	v_mfma_f32_16x16x16_bf16 a[8:11], v[136:137], v[122:123], a[8:11]
	v_mov_b32_e32 v125, v115
	s_and_b64 vcc, exec, s[0:1]
	global_store_dwordx4 v[116:117], v[128:131], off
	v_mfma_f32_16x16x16_bf16 a[12:15], v[136:137], v[134:135], a[12:15]
	global_store_dwordx4 v[112:113], v[124:127], off
	s_cbranch_vccnz .LBB353_32
; %bb.42:                               ;   in Loop: Header=BB353_33 Depth=1
	v_lshrrev_b32_e32 v112, 3, v110
	v_and_b32_e32 v112, 6, v112
	v_xor_b32_e32 v111, v112, v111
	v_lshlrev_b32_e32 v111, 2, v111
	v_and_b32_e32 v110, 8, v110
	v_xor_b32_e32 v113, 0x440, v111
	v_cmp_eq_u32_e32 vcc, 0, v110
	s_barrier
	s_nop 0
	v_cndmask_b32_e32 v110, v113, v111, vcc
	v_lshl_or_b32 v110, v112, 10, v110
	s_waitcnt vmcnt(3)
	v_perm_b32 v111, v46, v42, s62
	s_waitcnt vmcnt(2)
	v_perm_b32 v112, v38, v34, s62
	ds_write2st64_b32 v110, v111, v112 offset0:32 offset1:64
	v_xor_b32_e32 v111, 8, v110
	v_perm_b32 v42, v46, v42, s63
	v_perm_b32 v34, v38, v34, s63
	v_add_u32_e32 v38, 0x80, v111
	ds_write2st64_b32 v38, v42, v34 offset0:32 offset1:64
	v_xor_b32_e32 v34, 16, v110
	v_perm_b32 v38, v47, v43, s62
	v_perm_b32 v42, v39, v35, s62
	ds_write2st64_b32 v34, v38, v42 offset0:33 offset1:65
	v_xor_b32_e32 v34, 24, v110
	v_perm_b32 v38, v47, v43, s63
	v_perm_b32 v35, v39, v35, s63
	v_add_u32_e32 v34, 0x80, v34
	ds_write2st64_b32 v34, v38, v35 offset0:33 offset1:65
	v_xor_b32_e32 v34, 32, v110
	v_perm_b32 v35, v48, v44, s62
	;; [unrolled: 9-line block ×3, first 2 shown]
	v_perm_b32 v36, v41, v37, s62
	ds_write2st64_b32 v34, v35, v36 offset0:35 offset1:67
	v_xor_b32_e32 v34, 56, v110
	v_perm_b32 v35, v49, v45, s63
	v_perm_b32 v36, v41, v37, s63
	v_add_u32_e32 v34, 0x80, v34
	ds_write2st64_b32 v34, v35, v36 offset0:35 offset1:67
	ds_write_b64 v109, v[14:15] offset:24576
	v_xor_b32_e32 v14, 8, v109
	ds_write_b64 v14, v[16:17] offset:24576
	ds_write_b64 v109, v[10:11] offset:32768
	;; [unrolled: 1-line block ×4, first 2 shown]
	v_xor_b32_e32 v6, 8, v108
	ds_write_b64 v6, v[8:9] offset:24576
	ds_write_b64 v108, v[2:3] offset:32768
	;; [unrolled: 1-line block ×3, first 2 shown]
	s_branch .LBB353_32
.LBB353_43:
                                        ; implicit-def: $vgpr21
                                        ; implicit-def: $vgpr25
                                        ; implicit-def: $vgpr29
                                        ; implicit-def: $vgpr33
	s_cbranch_execz .LBB353_45
; %bb.44:
	s_waitcnt vmcnt(0)
	v_mad_u64_u32 v[18:19], s[0:1], v36, s23, v[34:35]
	v_lshlrev_b32_e32 v36, 1, v18
	s_lshl_b32 s2, s23, 7
	s_and_b32 s1, s5, 0xffff
	s_mov_b32 s3, 0x20000
	s_mov_b32 s0, s4
	v_add_lshl_u32 v37, v18, s23, 1
	s_movk_i32 s6, 0x80
	buffer_load_dwordx4 v[18:21], v36, s[0:3], 0 offen
	buffer_load_dwordx4 v[26:29], v36, s[0:3], s6 offen
	;; [unrolled: 1-line block ×4, first 2 shown]
.LBB353_45:
	v_lshrrev_b32_e32 v47, 2, v51
	s_cbranch_execnz .LBB353_58
.LBB353_46:
	s_and_b64 vcc, exec, s[14:15]
	s_cbranch_vccz .LBB353_56
; %bb.47:
	s_waitcnt vmcnt(0)
	v_lshlrev_b32_e32 v23, 1, v42
	v_cmp_gt_i32_e32 vcc, s31, v23
	v_mov_b32_e32 v22, 0
	v_lshlrev_b32_e32 v30, 9, v42
	v_mov_b32_e32 v18, 0
	v_mov_b32_e32 v19, 0
	v_mov_b32_e32 v20, 0
	v_mov_b32_e32 v21, 0
	s_and_saveexec_b64 s[0:1], vcc
	s_cbranch_execz .LBB353_49
; %bb.48:
	v_mov_b32_e32 v31, 0
	v_lshl_add_u64 v[18:19], s[4:5], 0, v[30:31]
	v_lshlrev_b32_e32 v20, 1, v34
	v_mov_b32_e32 v21, v31
	v_lshl_add_u64 v[18:19], v[18:19], 0, v[20:21]
	global_load_dwordx4 v[18:21], v[18:19], off
.LBB353_49:
	s_or_b64 exec, exec, s[0:1]
	v_or_b32_e32 v23, 1, v23
	v_cmp_gt_i32_e64 s[0:1], s31, v23
	v_lshlrev_b32_e32 v36, 8, v23
	v_mov_b32_e32 v23, 0
	v_mov_b32_e32 v24, 0
	v_mov_b32_e32 v25, 0
	s_and_saveexec_b64 s[2:3], s[0:1]
	s_cbranch_execz .LBB353_51
; %bb.50:
	v_mov_b32_e32 v37, 0
	v_lshl_add_u64 v[22:23], s[4:5], 0, v[36:37]
	v_lshlrev_b32_e32 v24, 1, v34
	v_mov_b32_e32 v25, v37
	v_lshl_add_u64 v[22:23], v[22:23], 0, v[24:25]
	global_load_dwordx4 v[22:25], v[22:23], off
.LBB353_51:
	s_or_b64 exec, exec, s[2:3]
	v_mov_b32_e32 v33, 0
	v_mov_b32_e32 v26, 0
	;; [unrolled: 1-line block ×5, first 2 shown]
	s_and_saveexec_b64 s[2:3], vcc
	s_cbranch_execz .LBB353_53
; %bb.52:
	v_mov_b32_e32 v31, 0
	v_lshl_add_u64 v[26:27], s[4:5], 0, v[30:31]
	v_lshlrev_b32_e32 v30, 1, v34
	v_lshl_add_u64 v[26:27], v[26:27], 0, v[30:31]
	global_load_dwordx4 v[26:29], v[26:27], off offset:128
.LBB353_53:
	s_or_b64 exec, exec, s[2:3]
	v_mov_b32_e32 v32, 0
	v_mov_b32_e32 v31, 0
	v_mov_b32_e32 v30, 0
	s_and_saveexec_b64 s[2:3], s[0:1]
	s_cbranch_execz .LBB353_55
; %bb.54:
	v_mov_b32_e32 v37, 0
	v_lshl_add_u64 v[30:31], s[4:5], 0, v[36:37]
	v_lshlrev_b32_e32 v36, 1, v34
	v_lshl_add_u64 v[30:31], v[30:31], 0, v[36:37]
	global_load_dwordx4 v[30:33], v[30:31], off offset:128
.LBB353_55:
	s_or_b64 exec, exec, s[2:3]
	s_branch .LBB353_58
.LBB353_56:
                                        ; implicit-def: $vgpr21
                                        ; implicit-def: $vgpr25
                                        ; implicit-def: $vgpr29
                                        ; implicit-def: $vgpr33
	s_cbranch_execz .LBB353_58
; %bb.57:
	s_waitcnt vmcnt(0)
	v_lshlrev_b32_e32 v18, 1, v34
	v_lshl_or_b32 v34, v42, 9, v18
	s_and_b32 s5, s5, 0xffff
	s_mov_b32 s7, 0x20000
	s_movk_i32 s6, 0x4000
	s_movk_i32 s0, 0x80
	buffer_load_dwordx4 v[18:21], v34, s[4:7], 0 offen
	buffer_load_dwordx4 v[22:25], v34, s[4:7], 0 offen offset:256
	buffer_load_dwordx4 v[26:29], v34, s[4:7], s0 offen
	buffer_load_dwordx4 v[30:33], v34, s[4:7], s0 offen offset:256
.LBB353_58:
	ds_read_b64 v[36:37], v43 offset:32768
	v_add_u32_e32 v34, 0xb000, v40
	ds_read2_b64 v[58:61], v34 offset1:16
	ds_read_b64 v[48:49], v44 offset:32768
	ds_read_b64 v[44:45], v45 offset:32768
	;; [unrolled: 1-line block ×3, first 2 shown]
	v_and_b32_e32 v34, 6, v0
	v_xor_b32_e32 v42, v42, v34
	v_lshlrev_b32_e32 v42, 2, v42
	v_and_b32_e32 v43, 1, v0
	v_xor_b32_e32 v46, 0x440, v42
	v_cmp_eq_u32_e32 vcc, 0, v43
	s_waitcnt lgkmcnt(3)
	v_mfma_f32_16x16x16_bf16 a[0:3], v[36:37], v[58:59], a[0:3]
	s_mov_b32 s0, 0x1000504
	v_cndmask_b32_e32 v42, v46, v42, vcc
	v_lshl_or_b32 v34, v34, 10, v42
	v_mfma_f32_16x16x16_bf16 a[4:7], v[36:37], v[60:61], a[4:7]
	ds_read2st64_b64 v[58:61], v40 offset0:90 offset1:92
	ds_read2st64_b64 v[62:65], v41 offset0:90 offset1:92
	s_waitcnt vmcnt(0)
	v_perm_b32 v42, v18, v22, s0
	s_mov_b32 s1, 0x3020706
	s_waitcnt lgkmcnt(1)
	v_mfma_f32_16x16x16_bf16 a[0:3], v[48:49], v[58:59], a[0:3]
	ds_read_b64 v[36:37], v40 offset:48128
	ds_read_b64 v[58:59], v41 offset:48128
	v_perm_b32 v18, v18, v22, s1
	v_perm_b32 v22, v26, v30, s1
	s_waitcnt lgkmcnt(2)
	v_mfma_f32_16x16x16_bf16 a[4:7], v[48:49], v[62:63], a[4:7]
	v_and_or_b32 v43, v47, 12, v66
	v_cmp_gt_i32_e32 vcc, s31, v43
	v_mfma_f32_16x16x16_bf16 a[0:3], v[44:45], v[60:61], a[0:3]
	v_mfma_f32_16x16x16_bf16 a[8:11], v[44:45], v[64:65], a[4:7]
	s_waitcnt lgkmcnt(1)
	v_mfma_f32_16x16x16_bf16 a[4:7], v[68:69], v[36:37], a[0:3]
	v_perm_b32 v36, v26, v30, s0
	ds_write2st64_b32 v34, v42, v36 offset0:32 offset1:64
	v_xor_b32_e32 v36, 8, v34
	v_add_u32_e32 v26, 0x80, v36
	ds_write2st64_b32 v26, v18, v22 offset0:32 offset1:64
	v_xor_b32_e32 v18, 16, v34
	v_perm_b32 v22, v19, v23, s0
	v_perm_b32 v26, v27, v31, s0
	ds_write2st64_b32 v18, v22, v26 offset0:33 offset1:65
	v_xor_b32_e32 v18, 24, v34
	v_perm_b32 v19, v19, v23, s1
	v_perm_b32 v22, v27, v31, s1
	v_add_u32_e32 v18, 0x80, v18
	ds_write2st64_b32 v18, v19, v22 offset0:33 offset1:65
	v_xor_b32_e32 v18, 32, v34
	v_perm_b32 v19, v20, v24, s0
	v_perm_b32 v22, v28, v32, s0
	ds_write2st64_b32 v18, v19, v22 offset0:34 offset1:66
	v_xor_b32_e32 v18, 40, v34
	s_waitcnt lgkmcnt(5)
	v_mfma_f32_16x16x16_bf16 a[0:3], v[68:69], v[58:59], a[8:11]
	v_perm_b32 v19, v20, v24, s1
	v_perm_b32 v20, v28, v32, s1
	v_add_u32_e32 v18, 0x80, v18
	ds_write2st64_b32 v18, v19, v20 offset0:34 offset1:66
	v_xor_b32_e32 v18, 48, v34
	v_perm_b32 v19, v21, v25, s0
	v_perm_b32 v20, v29, v33, s0
	ds_write2st64_b32 v18, v19, v20 offset0:35 offset1:67
	v_xor_b32_e32 v18, 56, v34
	v_perm_b32 v19, v21, v25, s1
	v_perm_b32 v20, v29, v33, s1
	v_add_u32_e32 v18, 0x80, v18
	v_mov_b32_e32 v34, 0
	v_mov_b32_e32 v37, 0
	ds_write2st64_b32 v18, v19, v20 offset0:35 offset1:67
	s_and_saveexec_b64 s[0:1], vcc
	s_cbranch_execz .LBB353_60
; %bb.59:
	v_add_u32_e32 v18, s30, v43
	v_ashrrev_i32_e32 v19, 31, v18
	v_mul_lo_u32 v20, v19, s36
	v_mul_lo_u32 v21, v18, s37
	v_mad_u64_u32 v[18:19], s[2:3], v18, s36, 0
	v_add3_u32 v19, v19, v21, v20
	v_lshl_add_u64 v[18:19], v[18:19], 2, s[12:13]
	global_load_dword v18, v[18:19], off
	s_waitcnt vmcnt(0)
	v_sub_f32_e32 v18, s18, v18
	v_mul_f32_e32 v18, 0x3fb8aa3b, v18
	v_exp_f32_e32 v37, v18
.LBB353_60:
	s_or_b64 exec, exec, s[0:1]
	v_or_b32_e32 v29, 1, v43
	v_cmp_gt_i32_e64 s[0:1], s31, v29
	s_and_saveexec_b64 s[2:3], s[0:1]
	s_cbranch_execz .LBB353_62
; %bb.61:
	v_add_u32_e32 v18, s30, v29
	v_ashrrev_i32_e32 v19, 31, v18
	v_mul_lo_u32 v20, v19, s36
	v_mul_lo_u32 v21, v18, s37
	v_mad_u64_u32 v[18:19], s[4:5], v18, s36, 0
	v_add3_u32 v19, v19, v21, v20
	v_lshl_add_u64 v[18:19], v[18:19], 2, s[12:13]
	global_load_dword v18, v[18:19], off
	s_waitcnt vmcnt(0)
	v_sub_f32_e32 v18, s18, v18
	v_mul_f32_e32 v18, 0x3fb8aa3b, v18
	v_exp_f32_e32 v34, v18
.LBB353_62:
	s_or_b64 exec, exec, s[2:3]
	v_or_b32_e32 v28, 2, v43
	v_cmp_gt_i32_e64 s[2:3], s31, v28
	v_mov_b32_e32 v36, 0
	v_mov_b32_e32 v42, 0
	s_and_saveexec_b64 s[4:5], s[2:3]
	s_cbranch_execz .LBB353_64
; %bb.63:
	v_add_u32_e32 v18, s30, v28
	v_ashrrev_i32_e32 v19, 31, v18
	v_mul_lo_u32 v20, v19, s36
	v_mul_lo_u32 v21, v18, s37
	v_mad_u64_u32 v[18:19], s[6:7], v18, s36, 0
	v_add3_u32 v19, v19, v21, v20
	v_lshl_add_u64 v[18:19], v[18:19], 2, s[12:13]
	global_load_dword v18, v[18:19], off
	s_waitcnt vmcnt(0)
	v_sub_f32_e32 v18, s18, v18
	v_mul_f32_e32 v18, 0x3fb8aa3b, v18
	v_exp_f32_e32 v42, v18
.LBB353_64:
	s_or_b64 exec, exec, s[4:5]
	v_or_b32_e32 v44, 3, v43
	v_cmp_gt_i32_e64 s[4:5], s31, v44
	s_and_saveexec_b64 s[6:7], s[4:5]
	s_cbranch_execz .LBB353_66
; %bb.65:
	v_add_u32_e32 v18, s30, v44
	v_ashrrev_i32_e32 v19, 31, v18
	v_mul_lo_u32 v20, v19, s36
	v_mul_lo_u32 v21, v18, s37
	v_mad_u64_u32 v[18:19], s[14:15], v18, s36, 0
	v_add3_u32 v19, v19, v21, v20
	v_lshl_add_u64 v[18:19], v[18:19], 2, s[12:13]
	global_load_dword v18, v[18:19], off
	s_waitcnt vmcnt(0)
	v_sub_f32_e32 v18, s18, v18
	v_mul_f32_e32 v18, 0x3fb8aa3b, v18
	v_exp_f32_e32 v36, v18
.LBB353_66:
	s_or_b64 exec, exec, s[6:7]
	s_add_u32 s6, s16, s24
	s_addc_u32 s7, s17, s25
	s_add_u32 s8, s8, s24
	v_ashrrev_i32_e32 v57, 31, v56
	v_accvgpr_read_b32 v21, a7
	s_addc_u32 s9, s9, s25
	v_lshlrev_b64 v[22:23], 1, v[56:57]
	v_accvgpr_read_b32 v20, a6
	v_accvgpr_read_b32 v19, a5
	;; [unrolled: 1-line block ×3, first 2 shown]
	v_lshl_add_u64 v[24:25], s[6:7], 0, v[22:23]
	v_lshl_add_u64 v[22:23], s[8:9], 0, v[22:23]
	v_mov_b32_e32 v31, 0
	v_lshlrev_b32_e32 v26, 8, v43
	v_mov_b32_e32 v27, 0
	s_and_saveexec_b64 s[6:7], vcc
	s_cbranch_execz .LBB353_68
; %bb.67:
	v_mov_b32_e32 v27, 0
	v_lshl_add_u64 v[32:33], v[24:25], 0, v[26:27]
	global_load_ushort v30, v[32:33], off
	v_lshl_add_u64 v[32:33], v[22:23], 0, v[26:27]
	s_waitcnt vmcnt(0)
	v_lshlrev_b32_e32 v27, 16, v30
	v_sub_f32_e32 v18, v27, v18
	global_store_short_d16_hi v[32:33], v18, off
	v_mul_f32_e32 v18, v37, v18
	v_lshrrev_b32_e32 v27, 16, v18
.LBB353_68:
	s_or_b64 exec, exec, s[6:7]
	v_lshlrev_b32_e32 v30, 8, v29
	s_and_saveexec_b64 s[6:7], s[0:1]
	s_cbranch_execz .LBB353_70
; %bb.69:
	v_mov_b32_e32 v31, 0
	v_lshl_add_u64 v[32:33], v[24:25], 0, v[30:31]
	global_load_ushort v18, v[32:33], off
	v_lshl_add_u64 v[32:33], v[22:23], 0, v[30:31]
	s_waitcnt vmcnt(0)
	v_lshlrev_b32_e32 v18, 16, v18
	v_sub_f32_e32 v18, v18, v19
	global_store_short_d16_hi v[32:33], v18, off
	v_mul_f32_e32 v18, v34, v18
	v_lshrrev_b32_e32 v31, 16, v18
.LBB353_70:
	s_or_b64 exec, exec, s[6:7]
	v_mov_b32_e32 v29, 0
	v_lshlrev_b32_e32 v32, 8, v28
	v_mov_b32_e32 v33, 0
	s_and_saveexec_b64 s[6:7], s[2:3]
	s_cbranch_execz .LBB353_72
; %bb.71:
	v_mov_b32_e32 v33, 0
	v_lshl_add_u64 v[18:19], v[24:25], 0, v[32:33]
	global_load_ushort v28, v[18:19], off
	v_lshl_add_u64 v[18:19], v[22:23], 0, v[32:33]
	s_waitcnt vmcnt(0)
	v_lshlrev_b32_e32 v28, 16, v28
	v_sub_f32_e32 v20, v28, v20
	global_store_short_d16_hi v[18:19], v20, off
	v_mul_f32_e32 v18, v42, v20
	v_lshrrev_b32_e32 v33, 16, v18
.LBB353_72:
	s_or_b64 exec, exec, s[6:7]
	v_lshlrev_b32_e32 v28, 8, v44
	s_and_saveexec_b64 s[6:7], s[4:5]
	s_cbranch_execz .LBB353_74
; %bb.73:
	v_mov_b32_e32 v29, 0
	v_lshl_add_u64 v[18:19], v[24:25], 0, v[28:29]
	global_load_ushort v20, v[18:19], off
	v_lshl_add_u64 v[18:19], v[22:23], 0, v[28:29]
	s_waitcnt vmcnt(0)
	v_lshlrev_b32_e32 v20, 16, v20
	v_sub_f32_e32 v20, v20, v21
	global_store_short_d16_hi v[18:19], v20, off
	v_mul_f32_e32 v18, v36, v20
	v_lshrrev_b32_e32 v29, 16, v18
.LBB353_74:
	s_or_b64 exec, exec, s[6:7]
	v_lshlrev_b32_e32 v43, 5, v43
	s_mov_b32 s6, 0x5040100
	v_perm_b32 v44, v31, v27, s6
	v_or_b32_e32 v27, v43, v38
	v_accvgpr_read_b32 v21, a3
	v_perm_b32 v45, v29, v33, s6
	v_lshlrev_b32_e32 v27, 1, v27
	v_accvgpr_read_b32 v20, a2
	v_accvgpr_read_b32 v19, a1
	v_accvgpr_read_b32 v18, a0
	ds_write_b64 v27, v[44:45] offset:45056
	v_mov_b32_e32 v31, 0
	v_mov_b32_e32 v27, 0
	s_and_saveexec_b64 s[6:7], vcc
	s_cbranch_execz .LBB353_76
; %bb.75:
	v_mov_b32_e32 v27, 0
	v_lshl_add_u64 v[44:45], v[24:25], 0, v[26:27]
	global_load_ushort v29, v[44:45], off offset:32
	v_lshl_add_u64 v[26:27], v[22:23], 0, v[26:27]
	s_waitcnt vmcnt(0)
	v_lshlrev_b32_e32 v29, 16, v29
	v_sub_f32_e32 v18, v29, v18
	global_store_short_d16_hi v[26:27], v18, off offset:32
	v_mul_f32_e32 v18, v37, v18
	v_lshrrev_b32_e32 v27, 16, v18
.LBB353_76:
	s_or_b64 exec, exec, s[6:7]
	s_and_saveexec_b64 s[6:7], s[0:1]
	s_cbranch_execz .LBB353_78
; %bb.77:
	v_mov_b32_e32 v31, 0
	v_lshl_add_u64 v[44:45], v[24:25], 0, v[30:31]
	global_load_ushort v18, v[44:45], off offset:32
	v_lshl_add_u64 v[30:31], v[22:23], 0, v[30:31]
	s_waitcnt vmcnt(0)
	v_lshlrev_b32_e32 v18, 16, v18
	v_sub_f32_e32 v18, v18, v19
	global_store_short_d16_hi v[30:31], v18, off offset:32
	v_mul_f32_e32 v18, v34, v18
	v_lshrrev_b32_e32 v31, 16, v18
.LBB353_78:
	s_or_b64 exec, exec, s[6:7]
	v_mov_b32_e32 v26, 0
	v_mov_b32_e32 v30, 0
	s_and_saveexec_b64 s[0:1], s[2:3]
	s_cbranch_execz .LBB353_80
; %bb.79:
	v_mov_b32_e32 v33, 0
	v_lshl_add_u64 v[18:19], v[24:25], 0, v[32:33]
	global_load_ushort v29, v[18:19], off offset:32
	v_lshl_add_u64 v[18:19], v[22:23], 0, v[32:33]
	s_waitcnt vmcnt(0)
	v_lshlrev_b32_e32 v29, 16, v29
	v_sub_f32_e32 v20, v29, v20
	global_store_short_d16_hi v[18:19], v20, off offset:32
	v_mul_f32_e32 v18, v42, v20
	v_lshrrev_b32_e32 v30, 16, v18
.LBB353_80:
	s_or_b64 exec, exec, s[0:1]
	v_or_b32_e32 v19, 0xb000, v40
	v_or_b32_e32 v18, 0xb000, v41
	s_and_saveexec_b64 s[0:1], s[4:5]
	s_cbranch_execz .LBB353_82
; %bb.81:
	v_mov_b32_e32 v29, 0
	v_lshl_add_u64 v[24:25], v[24:25], 0, v[28:29]
	global_load_ushort v20, v[24:25], off offset:32
	v_lshl_add_u64 v[22:23], v[22:23], 0, v[28:29]
	s_waitcnt vmcnt(0)
	v_lshlrev_b32_e32 v20, 16, v20
	v_sub_f32_e32 v20, v20, v21
	global_store_short_d16_hi v[22:23], v20, off offset:32
	v_mul_f32_e32 v20, v36, v20
	v_lshrrev_b32_e32 v26, 16, v20
.LBB353_82:
	s_or_b64 exec, exec, s[0:1]
	s_mov_b32 s0, 0x5040100
	v_or_b32_e32 v22, v43, v35
	v_perm_b32 v21, v26, v30, s0
	v_perm_b32 v20, v31, v27, s0
	v_lshlrev_b32_e32 v22, 1, v22
	s_movk_i32 s0, 0x100
	ds_write_b64 v22, v[20:21] offset:45056
	v_and_b32_e32 v20, 7, v0
	v_and_b32_e32 v21, 8, v0
	v_cmp_gt_u32_e32 vcc, s0, v0
	v_lshrrev_b32_e32 v0, 1, v0
	v_lshlrev_b32_e32 v37, 3, v1
	v_and_b32_e32 v38, 24, v0
	v_lshlrev_b32_e32 v34, 3, v20
	v_lshlrev_b32_e32 v35, 7, v20
	v_mov_b32_e32 v20, 0x4000
	v_mov_b32_e32 v22, 0x2000
	v_xor_b32_e32 v0, v37, v38
	v_cndmask_b32_e32 v36, v20, v22, vcc
	v_or_b32_e32 v1, 0x440, v0
	v_cmp_eq_u32_e32 vcc, 0, v21
	s_waitcnt lgkmcnt(0)
	s_barrier
	v_cndmask_b32_e32 v0, v1, v0, vcc
	v_or_b32_e32 v0, v0, v39
	v_xad_u32 v40, v0, v34, v35
	v_add_u32_e32 v0, v36, v40
	ds_read_b64 v[0:1], v0
	ds_read2_b64 v[20:23], v19 offset1:16
	v_or_b32_e32 v24, 32, v38
	v_xor_b32_e32 v24, v37, v24
	v_or_b32_e32 v25, 0x440, v24
	v_cndmask_b32_e32 v24, v25, v24, vcc
	s_waitcnt lgkmcnt(0)
	v_mfma_f32_16x16x16_bf16 a[0:3], v[0:1], v[20:21], 0
	v_or_b32_e32 v24, v24, v39
	v_xad_u32 v41, v24, v34, v35
	v_add_u32_e32 v24, v36, v41
	v_mfma_f32_16x16x16_bf16 a[4:7], v[0:1], v[22:23], 0
	v_or_b32_e32 v0, 64, v38
	v_xor_b32_e32 v0, v37, v0
	v_xor_b32_e32 v1, 0x440, v0
	ds_read_b64 v[32:33], v24
	v_cndmask_b32_e32 v0, v1, v0, vcc
	v_or_b32_e32 v0, v0, v39
	v_xad_u32 v42, v0, v34, v35
	v_add_u32_e32 v0, v36, v42
	ds_read_b64 v[0:1], v0
	ds_read2st64_b64 v[24:27], v19 offset0:2 offset1:4
	ds_read2st64_b64 v[28:31], v18 offset0:2 offset1:4
	s_waitcnt lgkmcnt(1)
	v_mfma_f32_16x16x16_bf16 a[0:3], v[32:33], v[24:25], a[0:3]
	s_waitcnt lgkmcnt(0)
	v_mfma_f32_16x16x16_bf16 a[4:7], v[32:33], v[28:29], a[4:7]
	v_or_b32_e32 v32, 0x60, v38
	v_xor_b32_e32 v32, v37, v32
	v_xor_b32_e32 v33, 0x440, v32
	v_cndmask_b32_e32 v32, v33, v32, vcc
	v_or_b32_e32 v32, v32, v39
	v_xad_u32 v37, v32, v34, v35
	v_add_u32_e32 v32, v36, v37
	ds_read_b64 v[32:33], v32
	v_mfma_f32_16x16x16_bf16 a[0:3], v[0:1], v[26:27], a[0:3]
	v_mov_b32_e32 v36, 0x3fb8aa3b
	v_mfma_f32_16x16x16_bf16 a[4:7], v[0:1], v[30:31], a[4:7]
	ds_read_b64 v[0:1], v19 offset:3072
	ds_read_b64 v[34:35], v18 offset:3072
	ds_read_b64 v[18:19], v40 offset:16384
	s_waitcnt lgkmcnt(2)
	v_mfma_f32_16x16x16_bf16 a[0:3], v[32:33], v[0:1], a[0:3]
	s_waitcnt lgkmcnt(1)
	v_mfma_f32_16x16x16_bf16 a[4:7], v[32:33], v[34:35], a[4:7]
	ds_read_b64 v[32:33], v41 offset:16384
	s_waitcnt lgkmcnt(1)
	v_mfma_f32_16x16x16_bf16 a[8:11], v[18:19], v[20:21], 0
	v_mul_f32_e32 v20, s18, v36
	v_exp_f32_e32 v36, v20
	v_accvgpr_read_b32 v21, a3
	v_mfma_f32_16x16x16_bf16 a[12:15], v[18:19], v[22:23], 0
	ds_read_b64 v[22:23], v42 offset:16384
	v_accvgpr_read_b32 v18, a0
	v_fma_f32 v18, v2, v36, v18
	v_accvgpr_read_b32 v2, a1
	v_fma_f32 v19, v3, v36, v2
	;; [unrolled: 2-line block ×3, first 2 shown]
	ds_read_b64 v[2:3], v37 offset:16384
	s_waitcnt lgkmcnt(2)
	v_mfma_f32_16x16x16_bf16 a[8:11], v[32:33], v[24:25], a[8:11]
	v_accvgpr_read_b32 v4, a4
	v_fmac_f32_e32 v21, v5, v36
	v_mfma_f32_16x16x16_bf16 a[12:15], v[32:33], v[28:29], a[12:15]
	v_accvgpr_read_b32 v29, a7
	v_fmac_f32_e32 v29, v13, v36
	s_waitcnt lgkmcnt(1)
	v_mfma_f32_16x16x16_bf16 a[0:3], v[22:23], v[26:27], a[8:11]
	v_fma_f32 v26, v10, v36, v4
	v_accvgpr_read_b32 v4, a5
	v_fma_f32 v27, v11, v36, v4
	v_mfma_f32_16x16x16_bf16 a[8:11], v[22:23], v[30:31], a[12:15]
	v_accvgpr_read_b32 v4, a6
	v_fma_f32 v28, v12, v36, v4
	s_waitcnt lgkmcnt(0)
	v_mfma_f32_16x16x16_bf16 a[0:3], v[2:3], v[0:1], a[0:3]
	v_mfma_f32_16x16x16_bf16 a[4:7], v[2:3], v[34:35], a[8:11]
	s_nop 5
	v_accvgpr_read_b32 v0, a0
	v_fma_f32 v22, v6, v36, v0
	v_accvgpr_read_b32 v0, a1
	v_fma_f32 v23, v7, v36, v0
	;; [unrolled: 2-line block ×4, first 2 shown]
	v_accvgpr_read_b32 v0, a5
	v_accvgpr_read_b32 v25, a3
	v_fma_f32 v31, v15, v36, v0
	v_accvgpr_read_b32 v0, a6
	v_accvgpr_read_b32 v33, a7
	v_fmac_f32_e32 v25, v9, v36
	v_fma_f32 v32, v16, v36, v0
	v_fmac_f32_e32 v33, v17, v36
	v_mov_b64_e32 v[2:3], v[18:19]
	v_mov_b64_e32 v[4:5], v[20:21]
	;; [unrolled: 1-line block ×8, first 2 shown]
.LBB353_83:
	s_add_u32 s0, s10, s34
	s_addc_u32 s1, s11, s35
	v_lshl_add_u64 v[0:1], v[52:53], 1, s[0:1]
	v_mov_b32_e32 v51, 0
	s_mov_b32 s2, 0x7060302
	v_lshl_add_u64 v[0:1], v[0:1], 0, v[50:51]
	v_perm_b32 v5, v5, v4, s2
	v_perm_b32 v4, v3, v2, s2
	;; [unrolled: 1-line block ×4, first 2 shown]
	global_store_dwordx2 v[0:1], v[4:5], off
	global_store_dwordx2 v[0:1], v[2:3], off offset:128
	v_lshl_add_u64 v[0:1], v[54:55], 1, s[0:1]
	v_lshl_add_u64 v[0:1], v[0:1], 0, v[50:51]
	v_perm_b32 v3, v13, v12, s2
	v_perm_b32 v2, v11, v10, s2
	global_store_dwordx2 v[0:1], v[2:3], off
	v_perm_b32 v3, v17, v16, s2
	v_perm_b32 v2, v15, v14, s2
	global_store_dwordx2 v[0:1], v[2:3], off offset:128
	s_endpgm
	.section	.rodata,"a",@progbits
	.p2align	6, 0x0
	.amdhsa_kernel _ZN12_GLOBAL__N_139chunk_gated_delta_rule_fwd_h_hip_kernelILi32ELb1ELb1ELb1ELb1ELb0ELb0ELb1ELb1EEEvPK12hip_bfloat16S3_S3_PKfS5_PKvPS1_S8_PvPKiSB_iiiiilll
		.amdhsa_group_segment_fixed_size 49152
		.amdhsa_private_segment_fixed_size 0
		.amdhsa_kernarg_size 136
		.amdhsa_user_sgpr_count 2
		.amdhsa_user_sgpr_dispatch_ptr 0
		.amdhsa_user_sgpr_queue_ptr 0
		.amdhsa_user_sgpr_kernarg_segment_ptr 1
		.amdhsa_user_sgpr_dispatch_id 0
		.amdhsa_user_sgpr_kernarg_preload_length 0
		.amdhsa_user_sgpr_kernarg_preload_offset 0
		.amdhsa_user_sgpr_private_segment_size 0
		.amdhsa_uses_dynamic_stack 0
		.amdhsa_enable_private_segment 0
		.amdhsa_system_sgpr_workgroup_id_x 1
		.amdhsa_system_sgpr_workgroup_id_y 1
		.amdhsa_system_sgpr_workgroup_id_z 0
		.amdhsa_system_sgpr_workgroup_info 0
		.amdhsa_system_vgpr_workitem_id 0
		.amdhsa_next_free_vgpr 156
		.amdhsa_next_free_sgpr 68
		.amdhsa_accum_offset 140
		.amdhsa_reserve_vcc 1
		.amdhsa_float_round_mode_32 0
		.amdhsa_float_round_mode_16_64 0
		.amdhsa_float_denorm_mode_32 3
		.amdhsa_float_denorm_mode_16_64 3
		.amdhsa_dx10_clamp 1
		.amdhsa_ieee_mode 1
		.amdhsa_fp16_overflow 0
		.amdhsa_tg_split 0
		.amdhsa_exception_fp_ieee_invalid_op 0
		.amdhsa_exception_fp_denorm_src 0
		.amdhsa_exception_fp_ieee_div_zero 0
		.amdhsa_exception_fp_ieee_overflow 0
		.amdhsa_exception_fp_ieee_underflow 0
		.amdhsa_exception_fp_ieee_inexact 0
		.amdhsa_exception_int_div_zero 0
	.end_amdhsa_kernel
	.section	.text._ZN12_GLOBAL__N_139chunk_gated_delta_rule_fwd_h_hip_kernelILi32ELb1ELb1ELb1ELb1ELb0ELb0ELb1ELb1EEEvPK12hip_bfloat16S3_S3_PKfS5_PKvPS1_S8_PvPKiSB_iiiiilll,"axG",@progbits,_ZN12_GLOBAL__N_139chunk_gated_delta_rule_fwd_h_hip_kernelILi32ELb1ELb1ELb1ELb1ELb0ELb0ELb1ELb1EEEvPK12hip_bfloat16S3_S3_PKfS5_PKvPS1_S8_PvPKiSB_iiiiilll,comdat
.Lfunc_end353:
	.size	_ZN12_GLOBAL__N_139chunk_gated_delta_rule_fwd_h_hip_kernelILi32ELb1ELb1ELb1ELb1ELb0ELb0ELb1ELb1EEEvPK12hip_bfloat16S3_S3_PKfS5_PKvPS1_S8_PvPKiSB_iiiiilll, .Lfunc_end353-_ZN12_GLOBAL__N_139chunk_gated_delta_rule_fwd_h_hip_kernelILi32ELb1ELb1ELb1ELb1ELb0ELb0ELb1ELb1EEEvPK12hip_bfloat16S3_S3_PKfS5_PKvPS1_S8_PvPKiSB_iiiiilll
                                        ; -- End function
	.section	.AMDGPU.csdata,"",@progbits
; Kernel info:
; codeLenInByte = 9652
; NumSgprs: 74
; NumVgprs: 138
; NumAgprs: 16
; TotalNumVgprs: 156
; ScratchSize: 0
; MemoryBound: 0
; FloatMode: 240
; IeeeMode: 1
; LDSByteSize: 49152 bytes/workgroup (compile time only)
; SGPRBlocks: 9
; VGPRBlocks: 19
; NumSGPRsForWavesPerEU: 74
; NumVGPRsForWavesPerEU: 156
; AccumOffset: 140
; Occupancy: 1
; WaveLimiterHint : 1
; COMPUTE_PGM_RSRC2:SCRATCH_EN: 0
; COMPUTE_PGM_RSRC2:USER_SGPR: 2
; COMPUTE_PGM_RSRC2:TRAP_HANDLER: 0
; COMPUTE_PGM_RSRC2:TGID_X_EN: 1
; COMPUTE_PGM_RSRC2:TGID_Y_EN: 1
; COMPUTE_PGM_RSRC2:TGID_Z_EN: 0
; COMPUTE_PGM_RSRC2:TIDIG_COMP_CNT: 0
; COMPUTE_PGM_RSRC3_GFX90A:ACCUM_OFFSET: 34
; COMPUTE_PGM_RSRC3_GFX90A:TG_SPLIT: 0
	.section	.text._ZN12_GLOBAL__N_139chunk_gated_delta_rule_fwd_h_hip_kernelILi32ELb1ELb1ELb0ELb1ELb0ELb0ELb1ELb1EEEvPK12hip_bfloat16S3_S3_PKfS5_PKvPS1_S8_PvPKiSB_iiiiilll,"axG",@progbits,_ZN12_GLOBAL__N_139chunk_gated_delta_rule_fwd_h_hip_kernelILi32ELb1ELb1ELb0ELb1ELb0ELb0ELb1ELb1EEEvPK12hip_bfloat16S3_S3_PKfS5_PKvPS1_S8_PvPKiSB_iiiiilll,comdat
	.globl	_ZN12_GLOBAL__N_139chunk_gated_delta_rule_fwd_h_hip_kernelILi32ELb1ELb1ELb0ELb1ELb0ELb0ELb1ELb1EEEvPK12hip_bfloat16S3_S3_PKfS5_PKvPS1_S8_PvPKiSB_iiiiilll ; -- Begin function _ZN12_GLOBAL__N_139chunk_gated_delta_rule_fwd_h_hip_kernelILi32ELb1ELb1ELb0ELb1ELb0ELb0ELb1ELb1EEEvPK12hip_bfloat16S3_S3_PKfS5_PKvPS1_S8_PvPKiSB_iiiiilll
	.p2align	8
	.type	_ZN12_GLOBAL__N_139chunk_gated_delta_rule_fwd_h_hip_kernelILi32ELb1ELb1ELb0ELb1ELb0ELb0ELb1ELb1EEEvPK12hip_bfloat16S3_S3_PKfS5_PKvPS1_S8_PvPKiSB_iiiiilll,@function
_ZN12_GLOBAL__N_139chunk_gated_delta_rule_fwd_h_hip_kernelILi32ELb1ELb1ELb0ELb1ELb0ELb0ELb1ELb1EEEvPK12hip_bfloat16S3_S3_PKfS5_PKvPS1_S8_PvPKiSB_iiiiilll: ; @_ZN12_GLOBAL__N_139chunk_gated_delta_rule_fwd_h_hip_kernelILi32ELb1ELb1ELb0ELb1ELb0ELb0ELb1ELb1EEEvPK12hip_bfloat16S3_S3_PKfS5_PKvPS1_S8_PvPKiSB_iiiiilll
; %bb.0:
	s_load_dwordx4 s[16:19], s[0:1], 0x5c
	s_load_dwordx2 s[4:5], s[0:1], 0x50
	s_abs_i32 s7, s3
	s_ashr_i32 s6, s3, 31
	s_load_dwordx4 s[12:15], s[0:1], 0x40
	s_load_dwordx4 s[20:23], s[0:1], 0x28
	s_waitcnt lgkmcnt(0)
	s_abs_i32 s10, s17
	v_cvt_f32_u32_e32 v1, s10
	s_sub_i32 s8, 0, s10
	s_ashr_i32 s11, s17, 31
	s_xor_b32 s6, s6, s11
	v_rcp_iflag_f32_e32 v1, v1
	v_and_b32_e32 v66, 15, v0
	v_bfe_u32 v65, v0, 4, 2
	v_mov_b32_e32 v51, 0
	v_mul_f32_e32 v1, 0x4f7ffffe, v1
	v_cvt_u32_f32_e32 v1, v1
	v_lshlrev_b32_e32 v67, 3, v0
	v_readfirstlane_b32 s9, v1
	s_mul_i32 s8, s8, s9
	s_mul_hi_u32 s8, s9, s8
	s_add_i32 s9, s9, s8
	s_mul_hi_u32 s8, s7, s9
	s_mul_i32 s9, s8, s10
	s_sub_i32 s7, s7, s9
	s_add_i32 s24, s8, 1
	s_sub_i32 s9, s7, s10
	s_cmp_ge_u32 s7, s10
	s_cselect_b32 s8, s24, s8
	s_cselect_b32 s7, s9, s7
	s_add_i32 s9, s8, 1
	s_cmp_ge_u32 s7, s10
	s_cselect_b32 s7, s9, s8
	s_xor_b32 s7, s7, s6
	s_sub_i32 s28, s7, s6
	s_mul_i32 s24, s28, s17
	s_ashr_i32 s29, s28, 31
	s_sub_i32 s49, s3, s24
	s_lshl_b64 s[6:7], s[28:29], 2
	s_add_u32 s8, s14, s6
	s_addc_u32 s9, s15, s7
	s_add_u32 s30, s4, s6
	s_addc_u32 s31, s5, s7
	s_abs_i32 s3, s18
	v_cvt_f32_u32_e32 v1, s3
	s_load_dwordx2 s[36:37], s[8:9], 0x0
	s_sub_i32 s5, 0, s3
	s_lshl_b32 s2, s2, 5
	v_rcp_iflag_f32_e32 v1, v1
	v_or_b32_e32 v56, s2, v66
	s_waitcnt lgkmcnt(0)
	s_sub_i32 s52, s37, s36
	s_ashr_i32 s4, s52, 31
	v_mul_f32_e32 v1, 0x4f7ffffe, v1
	v_cvt_u32_f32_e32 v1, v1
	s_lshr_b32 s4, s4, 26
	s_add_i32 s4, s52, s4
	s_ashr_i32 s50, s4, 6
	v_readfirstlane_b32 s6, v1
	s_mul_i32 s5, s5, s6
	s_mul_hi_u32 s5, s6, s5
	s_add_i32 s6, s6, s5
	s_mul_hi_u32 s5, s10, s6
	s_mul_i32 s6, s5, s3
	s_ashr_i32 s4, s18, 31
	s_sub_i32 s6, s10, s6
	s_xor_b32 s4, s11, s4
	s_add_i32 s7, s5, 1
	s_sub_i32 s8, s6, s3
	s_cmp_ge_u32 s6, s3
	s_cselect_b32 s5, s7, s5
	s_cselect_b32 s6, s8, s6
	s_add_i32 s7, s5, 1
	s_cmp_ge_u32 s6, s3
	s_cselect_b32 s3, s7, s5
	s_xor_b32 s3, s3, s4
	s_sub_i32 s3, s3, s4
	s_abs_i32 s4, s3
	v_cvt_f32_u32_e32 v1, s4
	s_sub_i32 s6, 0, s4
	s_abs_i32 s5, s49
	s_xor_b32 s3, s49, s3
	v_rcp_iflag_f32_e32 v2, v1
	s_ashr_i32 s3, s3, 31
	v_lshrrev_b32_e32 v1, 6, v0
	v_lshlrev_b32_e32 v52, 7, v56
	v_mul_f32_e32 v2, 0x4f7ffffe, v2
	v_cvt_u32_f32_e32 v2, v2
	v_lshlrev_b32_e32 v64, 4, v1
	v_or_b32_e32 v54, 0x800, v52
	v_lshl_or_b32 v69, v65, 2, v64
	v_readfirstlane_b32 s7, v2
	s_mul_i32 s6, s6, s7
	s_mul_hi_u32 s6, s7, s6
	s_add_i32 s7, s7, s6
	s_mul_hi_u32 s6, s5, s7
	s_mul_i32 s7, s6, s4
	s_sub_i32 s5, s5, s7
	s_add_i32 s7, s6, 1
	s_sub_i32 s8, s5, s4
	s_cmp_ge_u32 s5, s4
	s_cselect_b32 s6, s7, s6
	s_cselect_b32 s5, s8, s5
	s_add_i32 s7, s6, 1
	s_cmp_ge_u32 s5, s4
	s_cselect_b32 s4, s7, s6
	s_xor_b32 s4, s4, s3
	s_sub_i32 s53, s4, s3
	s_ashr_i32 s51, s49, 31
	s_mul_hi_i32 s3, s28, s17
	s_add_u32 s4, s24, s49
	s_addc_u32 s5, s3, s51
	s_lshl_b64 s[14:15], s[4:5], 15
	s_add_u32 s4, s20, s14
	s_addc_u32 s5, s21, s15
	v_ashrrev_i32_e32 v53, 31, v52
	v_ashrrev_i32_e32 v55, 31, v54
	v_lshl_add_u64 v[2:3], v[52:53], 1, s[4:5]
	v_lshlrev_b32_e32 v50, 1, v69
	v_lshl_add_u64 v[6:7], v[54:55], 1, s[4:5]
	v_lshl_add_u64 v[2:3], v[2:3], 0, v[50:51]
	;; [unrolled: 1-line block ×3, first 2 shown]
	global_load_dwordx2 v[4:5], v[2:3], off
	v_and_b32_e32 v51, 63, v0
	global_load_dwordx2 v[2:3], v[2:3], off offset:128
	s_nop 0
	global_load_dwordx2 v[8:9], v[6:7], off
	global_load_dwordx2 v[10:11], v[6:7], off offset:128
	s_load_dwordx8 s[4:11], s[0:1], 0x0
	s_load_dwordx2 s[34:35], s[0:1], 0x80
	s_load_dwordx4 s[24:27], s[0:1], 0x70
	s_load_dword s56, s[30:31], 0x0
	v_lshrrev_b32_e32 v68, 3, v51
	v_or_b32_e32 v70, 64, v69
	s_mul_hi_i32 s54, s49, s16
	s_waitcnt lgkmcnt(0)
	s_mul_i32 s33, s28, s25
	s_mul_hi_u32 s44, s28, s24
	s_mul_i32 s38, s28, s24
	s_mul_i32 s45, s29, s24
	;; [unrolled: 1-line block ×4, first 2 shown]
	s_mul_hi_u32 s47, s49, s26
	s_mul_i32 s48, s51, s26
	s_cmp_lt_i32 s52, 64
	s_mul_i32 s40, s49, s26
	s_waitcnt vmcnt(3)
	v_and_b32_e32 v19, 0xffff0000, v4
	v_lshlrev_b32_e32 v18, 16, v4
	v_and_b32_e32 v21, 0xffff0000, v5
	v_lshlrev_b32_e32 v20, 16, v5
	s_waitcnt vmcnt(2)
	v_and_b32_e32 v23, 0xffff0000, v2
	v_lshlrev_b32_e32 v22, 16, v2
	v_and_b32_e32 v25, 0xffff0000, v3
	v_lshlrev_b32_e32 v24, 16, v3
	s_waitcnt vmcnt(1)
	v_and_b32_e32 v27, 0xffff0000, v8
	v_lshlrev_b32_e32 v26, 16, v8
	v_and_b32_e32 v29, 0xffff0000, v9
	v_lshlrev_b32_e32 v28, 16, v9
	s_waitcnt vmcnt(0)
	v_and_b32_e32 v31, 0xffff0000, v10
	v_lshlrev_b32_e32 v30, 16, v10
	v_and_b32_e32 v33, 0xffff0000, v11
	v_lshlrev_b32_e32 v32, 16, v11
	s_cbranch_scc1 .LBB354_3
; %bb.1:
	s_ashr_i32 s1, s36, 31
	s_add_u32 s0, s55, s36
	s_addc_u32 s1, s54, s1
	s_lshl_b64 s[0:1], s[0:1], 8
	v_and_b32_e32 v72, 56, v67
	s_add_u32 s24, s6, s0
	v_lshl_or_b32 v71, v1, 3, v68
	v_lshlrev_b32_e32 v2, 1, v72
	s_addc_u32 s0, s7, s1
	v_lshl_or_b32 v73, v71, 8, v2
	s_and_b32 s25, s0, 0xffff
	s_mov_b32 s27, 0x20000
	s_movk_i32 s26, 0x4000
	s_movk_i32 s0, 0x80
	v_or_b32_e32 v74, 0x2000, v73
	buffer_load_dwordx4 v[4:7], v73, s[24:27], 0 offen
	buffer_load_dwordx4 v[8:11], v73, s[24:27], s0 offen
	;; [unrolled: 1-line block ×4, first 2 shown]
	v_lshlrev_b32_e32 v3, 3, v71
	v_and_or_b32 v17, v0, 7, v3
	v_and_b32_e32 v3, 0x78, v3
	v_lshlrev_b32_e32 v17, 4, v17
	v_xor_b32_e32 v75, v17, v3
	v_mul_lo_u32 v16, v71, s19
	v_or_b32_e32 v76, 0x1000, v75
	v_xor_b32_e32 v3, 8, v75
	s_cmpk_eq_i32 s19, 0x80
	s_mov_b32 s57, s36
	v_xor_b32_e32 v17, 8, v76
	s_cselect_b64 s[0:1], -1, 0
	s_cmpk_lg_i32 s19, 0x80
	s_waitcnt vmcnt(3)
	ds_write_b64 v75, v[4:5] offset:24576
	ds_write_b64 v3, v[6:7] offset:24576
	s_waitcnt vmcnt(2)
	ds_write_b64 v75, v[8:9] offset:32768
	ds_write_b64 v3, v[10:11] offset:32768
	;; [unrolled: 3-line block ×4, first 2 shown]
	v_lshl_add_u32 v3, v16, 1, v72
	s_cbranch_scc0 .LBB354_29
; %bb.2:
	v_lshlrev_b32_e32 v5, 1, v3
	v_add_lshl_u32 v4, v3, s19, 1
	s_lshl_b32 s26, s19, 7
	v_lshl_or_b32 v2, v71, 9, v2
	s_cbranch_execz .LBB354_30
	s_branch .LBB354_31
.LBB354_3:
	v_mov_b64_e32 v[2:3], v[18:19]
	v_mov_b64_e32 v[4:5], v[20:21]
	;; [unrolled: 1-line block ×8, first 2 shown]
.LBB354_4:
	s_lshl_b32 s30, s50, 6
	s_sub_i32 s31, s52, s30
	s_cmp_gt_i32 s31, 0
	s_cbranch_scc0 .LBB354_83
; %bb.5:
	s_add_i32 s30, s30, s36
	s_ashr_i32 s3, s30, 31
	s_cmpk_lg_i32 s19, 0x80
	s_cselect_b64 s[26:27], -1, 0
	s_and_b64 vcc, exec, s[26:27]
	s_cbranch_vccz .LBB354_7
; %bb.6:
	s_mul_hi_i32 s0, s30, s18
	s_mul_i32 s1, s30, s18
	s_ashr_i32 s18, s53, 31
	s_add_u32 s28, s1, s53
	s_addc_u32 s29, s0, s18
	s_cbranch_execz .LBB354_8
	s_branch .LBB354_9
.LBB354_7:
                                        ; implicit-def: $sgpr28_sgpr29
.LBB354_8:
	s_mul_i32 s1, s53, s16
	s_mul_hi_i32 s0, s53, s16
	s_add_u32 s28, s1, s30
	s_addc_u32 s29, s0, s3
.LBB354_9:
	s_add_i32 s16, s50, s56
	s_add_u32 s0, s55, s30
	v_lshlrev_b32_e32 v22, 5, v69
	v_lshlrev_b32_e32 v38, 2, v66
	s_addc_u32 s1, s54, s3
	s_mov_b32 s3, 0x7060302
	v_or_b32_e32 v25, v22, v38
	v_xor_b32_e32 v23, v69, v38
	v_perm_b32 v19, v5, v4, s3
	v_perm_b32 v18, v3, v2, s3
	;; [unrolled: 1-line block ×4, first 2 shown]
	v_lshlrev_b32_e32 v25, 1, v25
	v_xor_b32_e32 v24, v70, v38
	ds_write2st64_b64 v25, v[18:19], v[20:21] offset0:80 offset1:88
	v_lshlrev_b32_e32 v23, 1, v23
	v_lshlrev_b32_e32 v25, 8, v66
	s_lshl_b64 s[24:25], s[0:1], 8
	v_or_b32_e32 v26, v23, v25
	v_lshlrev_b32_e32 v24, 1, v24
	s_add_u32 s0, s6, s24
	ds_write_b64 v26, v[18:19]
	v_or_b32_e32 v18, v24, v25
	s_addc_u32 s1, s7, s25
	ds_write_b64 v18, v[20:21]
	v_perm_b32 v19, v13, v12, s3
	v_perm_b32 v18, v11, v10, s3
	;; [unrolled: 1-line block ×4, first 2 shown]
	v_or_b32_e32 v25, 16, v66
	s_mul_hi_i32 s3, s16, s17
	s_mul_i32 s16, s16, s17
	v_lshlrev_b32_e32 v35, 2, v25
	s_add_u32 s6, s16, s49
	v_or_b32_e32 v22, v22, v35
	s_addc_u32 s7, s3, s51
	v_lshlrev_b32_e32 v22, 1, v22
	s_ashr_i32 s3, s2, 31
	s_lshl_b64 s[6:7], s[6:7], 15
	ds_write2st64_b64 v22, v[18:19], v[20:21] offset0:80 offset1:88
	v_lshlrev_b32_e32 v22, 8, v25
	s_add_u32 s6, s22, s6
	v_or_b32_e32 v23, v23, v22
	s_addc_u32 s7, s23, s7
	s_lshl_b64 s[2:3], s[2:3], 8
	ds_write_b64 v23, v[18:19]
	v_or_b32_e32 v18, v24, v22
	s_add_u32 s2, s6, s2
	ds_write_b64 v18, v[20:21]
	v_lshrrev_b32_e32 v18, 4, v0
	s_addc_u32 s3, s7, s3
	v_lshlrev_b32_e32 v19, 1, v66
	v_lshlrev_b32_e32 v26, 4, v66
	v_mov_b32_e32 v27, 0
	v_or_b32_e32 v20, 1, v19
	v_xor_b32_e32 v19, v18, v19
	v_lshl_add_u64 v[28:29], s[2:3], 0, v[26:27]
	v_lshlrev_b32_e32 v26, 8, v18
	v_xor_b32_e32 v22, v20, v18
	v_lshl_or_b32 v18, v19, 3, v26
	s_waitcnt lgkmcnt(0)
	s_barrier
	ds_read2st64_b64 v[18:21], v18 offset1:8
	v_lshl_or_b32 v22, v22, 3, v26
	ds_read2st64_b64 v[22:25], v22 offset1:8
	v_lshl_add_u64 v[30:31], v[28:29], 0, v[26:27]
	s_movk_i32 s2, 0x1000
	s_waitcnt lgkmcnt(1)
	v_mov_b32_e32 v26, v18
	v_add_co_u32_e32 v18, vcc, s2, v30
	s_cmp_lg_u32 s31, 64
	v_mov_b32_e32 v27, v19
	v_addc_co_u32_e32 v19, vcc, 0, v31, vcc
	s_cselect_b64 s[6:7], -1, 0
	v_lshl_or_b32 v42, v1, 3, v68
	s_waitcnt lgkmcnt(0)
	v_mov_b32_e32 v28, v22
	v_mov_b32_e32 v29, v23
	;; [unrolled: 1-line block ×4, first 2 shown]
	s_mov_b32 s20, 0
	v_or_b32_e32 v36, 32, v42
	v_and_b32_e32 v34, 56, v67
	s_and_b64 vcc, exec, s[6:7]
	global_store_dwordx4 v[30:31], v[26:29], off
	global_store_dwordx4 v[18:19], v[22:25], off
	s_cbranch_vccz .LBB354_15
; %bb.10:
	s_mov_b32 s22, s20
	s_mov_b32 s23, s20
	s_mov_b32 s21, s20
	v_mov_b64_e32 v[24:25], s[22:23]
	v_mov_b64_e32 v[22:23], s[20:21]
	;; [unrolled: 1-line block ×3, first 2 shown]
	v_cmp_gt_i32_e32 vcc, s31, v42
	v_mov_b64_e32 v[20:21], v[24:25]
	s_and_saveexec_b64 s[2:3], vcc
	s_cbranch_execz .LBB354_12
; %bb.11:
	v_lshlrev_b32_e32 v18, 8, v42
	v_mov_b32_e32 v19, 0
	v_lshl_add_u64 v[20:21], s[0:1], 0, v[18:19]
	v_lshlrev_b32_e32 v18, 1, v34
	v_lshl_add_u64 v[26:27], v[20:21], 0, v[18:19]
	global_load_dwordx4 v[22:25], v[26:27], off
	global_load_dwordx4 v[18:21], v[26:27], off offset:128
.LBB354_12:
	s_or_b64 exec, exec, s[2:3]
	s_mov_b32 s22, s20
	s_mov_b32 s23, s20
	;; [unrolled: 1-line block ×3, first 2 shown]
	v_mov_b64_e32 v[32:33], s[22:23]
	v_mov_b64_e32 v[30:31], s[20:21]
	;; [unrolled: 1-line block ×3, first 2 shown]
	v_cmp_gt_i32_e32 vcc, s31, v36
	v_lshlrev_b32_e32 v37, 7, v36
	v_mov_b64_e32 v[28:29], v[32:33]
	s_and_saveexec_b64 s[2:3], vcc
	s_cbranch_execz .LBB354_14
; %bb.13:
	v_lshlrev_b32_e32 v26, 1, v37
	v_mov_b32_e32 v27, 0
	v_lshl_add_u64 v[28:29], s[0:1], 0, v[26:27]
	v_lshlrev_b32_e32 v26, 1, v34
	v_lshl_add_u64 v[40:41], v[28:29], 0, v[26:27]
	global_load_dwordx4 v[30:33], v[40:41], off
	global_load_dwordx4 v[26:29], v[40:41], off offset:128
.LBB354_14:
	s_or_b64 exec, exec, s[2:3]
	v_lshrrev_b32_e32 v39, 3, v34
	v_lshlrev_b32_e32 v40, 3, v42
	v_or_b32_e32 v39, v40, v39
	v_lshlrev_b32_e32 v39, 4, v39
	v_and_b32_e32 v40, 0x78, v40
	v_xor_b32_e32 v39, v39, v40
	s_branch .LBB354_17
.LBB354_15:
                                        ; implicit-def: $vgpr39
                                        ; implicit-def: $vgpr37
                                        ; implicit-def: $vgpr22_vgpr23_vgpr24_vgpr25
                                        ; implicit-def: $vgpr18_vgpr19_vgpr20_vgpr21
                                        ; implicit-def: $vgpr30_vgpr31_vgpr32_vgpr33
                                        ; implicit-def: $vgpr26_vgpr27_vgpr28_vgpr29
	s_cbranch_execz .LBB354_17
; %bb.16:
	s_waitcnt vmcnt(0)
	v_lshlrev_b32_e32 v18, 1, v34
	v_lshl_or_b32 v37, v42, 8, v18
	s_and_b32 s1, s1, 0xffff
	s_mov_b32 s3, 0x20000
	s_movk_i32 s2, 0x4000
	v_lshl_or_b32 v39, v36, 8, v18
	s_movk_i32 s16, 0x80
	buffer_load_dwordx4 v[22:25], v37, s[0:3], 0 offen
	buffer_load_dwordx4 v[18:21], v37, s[0:3], s16 offen
	;; [unrolled: 1-line block ×4, first 2 shown]
	v_lshrrev_b32_e32 v37, 3, v34
	v_lshlrev_b32_e32 v39, 3, v42
	v_or_b32_e32 v37, v39, v37
	v_lshlrev_b32_e32 v37, 4, v37
	v_and_b32_e32 v39, 0x78, v39
	v_xor_b32_e32 v39, v37, v39
	v_lshlrev_b32_e32 v37, 7, v36
.LBB354_17:
	s_lshl_b64 s[0:1], s[28:29], 8
	s_add_u32 s4, s4, s0
	s_movk_i32 s0, 0x1000
	v_and_or_b32 v36, v37, s0, v39
	s_waitcnt vmcnt(1)
	ds_write_b64 v39, v[22:23] offset:24576
	v_xor_b32_e32 v22, 8, v39
	ds_write_b64 v22, v[24:25] offset:24576
	s_waitcnt vmcnt(0)
	ds_write_b64 v39, v[18:19] offset:32768
	ds_write_b64 v22, v[20:21] offset:32768
	;; [unrolled: 1-line block ×3, first 2 shown]
	v_xor_b32_e32 v18, 8, v36
	ds_write_b64 v18, v[32:33] offset:24576
	ds_write_b64 v36, v[26:27] offset:32768
	;; [unrolled: 1-line block ×3, first 2 shown]
	v_or_b32_e32 v18, v64, v66
	v_lshlrev_b32_e32 v18, 3, v18
	v_lshrrev_b32_e32 v19, 5, v51
	s_movk_i32 s3, 0xf8
	v_and_or_b32 v19, v18, s3, v19
	v_lshlrev_b32_e32 v23, 4, v19
	v_lshlrev_b32_e32 v39, 11, v1
	v_and_b32_e32 v24, 0x78, v18
	v_or_b32_e32 v26, 32, v23
	v_and_b32_e32 v22, 0x1000, v39
	v_lshrrev_b32_e32 v19, 1, v51
	v_xor_b32_e32 v26, v26, v24
	v_xor_b32_e32 v18, v23, v24
	v_and_b32_e32 v25, 8, v19
	v_or_b32_e32 v26, v26, v22
	v_or_b32_e32 v18, v18, v22
	v_xor_b32_e32 v44, v26, v25
	v_or_b32_e32 v26, 64, v23
	v_xor_b32_e32 v43, v18, v25
	v_xor_b32_e32 v26, v26, v24
	s_waitcnt lgkmcnt(0)
	s_barrier
	v_or_b32_e32 v28, v26, v22
	ds_read_b64 v[26:27], v43 offset:24576
	v_lshl_or_b32 v36, v65, 7, v38
	v_lshlrev_b32_e32 v40, 1, v36
	v_add_u32_e32 v18, 0xa000, v40
	ds_read2_b64 v[18:21], v18 offset1:16
	v_or_b32_e32 v23, 0x60, v23
	v_xor_b32_e32 v23, v23, v24
	s_waitcnt lgkmcnt(0)
	v_mfma_f32_16x16x16_bf16 a[0:3], v[26:27], v[18:19], 0
	v_or_b32_e32 v18, 64, v36
	v_or_b32_e32 v22, v23, v22
	v_lshlrev_b32_e32 v41, 1, v18
	v_xor_b32_e32 v45, v28, v25
	v_xor_b32_e32 v46, v22, v25
	ds_read_b64 v[28:29], v44 offset:24576
	ds_read_b64 v[30:31], v45 offset:24576
	;; [unrolled: 1-line block ×3, first 2 shown]
	v_mfma_f32_16x16x16_bf16 a[4:7], v[26:27], v[20:21], 0
	ds_read2st64_b64 v[18:21], v41 offset0:82 offset1:84
	ds_read2st64_b64 v[22:25], v40 offset0:82 offset1:84
	s_addc_u32 s5, s5, s1
	s_add_i32 s1, s44, s33
	s_add_i32 s0, s37, -1
	s_add_i32 s39, s1, s45
	s_add_i32 s1, s47, s46
	;; [unrolled: 1-line block ×3, first 2 shown]
	s_ashr_i32 s1, s0, 31
	s_mul_i32 s2, s0, s35
	s_mul_hi_u32 s3, s0, s34
	s_add_i32 s2, s3, s2
	s_mul_i32 s1, s1, s34
	s_waitcnt lgkmcnt(1)
	v_mfma_f32_16x16x16_bf16 a[4:7], v[28:29], v[18:19], a[4:7]
	s_add_i32 s1, s2, s1
	s_lshl_b64 s[2:3], s[38:39], 2
	s_add_u32 s10, s10, s2
	s_waitcnt lgkmcnt(0)
	v_mfma_f32_16x16x16_bf16 a[0:3], v[28:29], v[22:23], a[0:3]
	s_addc_u32 s11, s11, s3
	s_lshl_b64 s[2:3], s[40:41], 2
	s_mul_i32 s0, s0, s34
	s_add_u32 s10, s10, s2
	ds_read_b64 v[18:19], v40 offset:44032
	v_mfma_f32_16x16x16_bf16 a[4:7], v[30:31], v[20:21], a[4:7]
	ds_read_b64 v[20:21], v41 offset:44032
	s_addc_u32 s11, s11, s3
	s_lshl_b64 s[0:1], s[0:1], 2
	v_mfma_f32_16x16x16_bf16 a[0:3], v[30:31], v[24:25], a[0:3]
	s_add_u32 s0, s10, s0
	s_addc_u32 s1, s11, s1
	s_load_dword s16, s[0:1], 0x0
	s_waitcnt lgkmcnt(0)
	v_mfma_f32_16x16x16_bf16 a[0:3], v[32:33], v[18:19], a[0:3]
	s_and_b64 vcc, exec, s[26:27]
	v_mfma_f32_16x16x16_bf16 a[4:7], v[32:33], v[20:21], a[4:7]
	s_cbranch_vccz .LBB354_28
; %bb.18:
	v_lshlrev_b32_e32 v36, 1, v42
	s_and_b64 vcc, exec, s[6:7]
	s_cbranch_vccz .LBB354_43
; %bb.19:
	v_cmp_gt_i32_e32 vcc, s31, v36
	v_mov_b32_e32 v22, 0
	v_mov_b32_e32 v18, 0
	;; [unrolled: 1-line block ×5, first 2 shown]
	s_and_saveexec_b64 s[0:1], vcc
	s_cbranch_execz .LBB354_21
; %bb.20:
	v_mad_i64_i32 v[18:19], s[2:3], s19, v36, 0
	v_lshl_add_u64 v[18:19], v[18:19], 1, s[4:5]
	v_lshlrev_b32_e32 v20, 1, v34
	v_mov_b32_e32 v21, 0
	v_lshl_add_u64 v[18:19], v[18:19], 0, v[20:21]
	global_load_dwordx4 v[18:21], v[18:19], off
.LBB354_21:
	s_or_b64 exec, exec, s[0:1]
	v_or_b32_e32 v37, 1, v36
	v_cmp_gt_i32_e64 s[0:1], s31, v37
	v_mov_b32_e32 v23, 0
	v_mov_b32_e32 v24, 0
	;; [unrolled: 1-line block ×3, first 2 shown]
	s_and_saveexec_b64 s[2:3], s[0:1]
	s_cbranch_execz .LBB354_23
; %bb.22:
	v_mad_i64_i32 v[22:23], s[20:21], s19, v37, 0
	v_lshl_add_u64 v[22:23], v[22:23], 1, s[4:5]
	v_lshlrev_b32_e32 v24, 1, v34
	v_mov_b32_e32 v25, 0
	v_lshl_add_u64 v[22:23], v[22:23], 0, v[24:25]
	global_load_dwordx4 v[22:25], v[22:23], off
.LBB354_23:
	s_or_b64 exec, exec, s[2:3]
	v_mov_b32_e32 v33, 0
	v_mov_b32_e32 v26, 0
	;; [unrolled: 1-line block ×5, first 2 shown]
	s_and_saveexec_b64 s[2:3], vcc
	s_cbranch_execz .LBB354_25
; %bb.24:
	v_mad_i64_i32 v[26:27], s[20:21], s19, v36, 0
	v_lshl_add_u64 v[26:27], v[26:27], 1, s[4:5]
	v_lshlrev_b32_e32 v28, 1, v34
	v_mov_b32_e32 v29, 0
	v_lshl_add_u64 v[26:27], v[26:27], 0, v[28:29]
	global_load_dwordx4 v[26:29], v[26:27], off offset:128
.LBB354_25:
	s_or_b64 exec, exec, s[2:3]
	v_mov_b32_e32 v32, 0
	v_mov_b32_e32 v31, 0
	v_mov_b32_e32 v30, 0
	s_and_saveexec_b64 s[2:3], s[0:1]
	s_cbranch_execz .LBB354_27
; %bb.26:
	v_mad_i64_i32 v[30:31], s[0:1], s19, v37, 0
	v_lshl_add_u64 v[30:31], v[30:31], 1, s[4:5]
	v_lshlrev_b32_e32 v32, 1, v34
	v_mov_b32_e32 v33, 0
	v_lshl_add_u64 v[30:31], v[30:31], 0, v[32:33]
	global_load_dwordx4 v[30:33], v[30:31], off offset:128
.LBB354_27:
	s_or_b64 exec, exec, s[2:3]
	s_branch .LBB354_45
.LBB354_28:
                                        ; implicit-def: $vgpr21
                                        ; implicit-def: $vgpr25
                                        ; implicit-def: $vgpr29
                                        ; implicit-def: $vgpr33
	v_lshrrev_b32_e32 v47, 2, v51
	s_branch .LBB354_46
.LBB354_29:
                                        ; implicit-def: $vgpr4
                                        ; implicit-def: $vgpr5
                                        ; implicit-def: $sgpr26
	v_lshl_or_b32 v2, v71, 9, v2
.LBB354_30:
	v_or_b32_e32 v4, 0x100, v2
	s_movk_i32 s26, 0x4000
	v_mov_b32_e32 v5, v2
.LBB354_31:
	s_mul_i32 s20, s36, s18
	s_ashr_i32 s58, s53, 31
	s_mul_hi_i32 s3, s36, s18
	s_add_u32 s20, s20, s53
	s_addc_u32 s21, s3, s58
	s_lshl_b64 s[20:21], s[20:21], 8
	s_add_u32 s24, s4, s20
	s_addc_u32 s3, s5, s21
	s_and_b32 s25, s3, 0xffff
	s_movk_i32 s59, 0x80
	buffer_load_dwordx4 v[6:9], v5, s[24:27], 0 offen
	buffer_load_dwordx4 v[10:13], v5, s[24:27], s59 offen
	;; [unrolled: 1-line block ×4, first 2 shown]
	v_and_b32_e32 v4, 6, v0
	v_lshlrev_b32_e32 v39, 6, v69
	v_or_b32_e32 v41, 16, v66
	v_xor_b32_e32 v42, v71, v4
	v_and_b32_e32 v5, 1, v0
	v_lshl_or_b32 v45, v66, 3, v39
	v_lshl_or_b32 v39, v41, 3, v39
	v_lshlrev_b32_e32 v42, 2, v42
	v_lshlrev_b32_e32 v38, 2, v66
	v_or_b32_e32 v79, 0xa000, v39
	v_or_b32_e32 v80, 0xb000, v39
	v_xor_b32_e32 v39, 0x440, v42
	v_cmp_eq_u32_e32 vcc, 0, v5
	s_add_i32 s3, s44, s33
	v_xor_b32_e32 v43, v69, v38
	v_xor_b32_e32 v44, v70, v38
	v_cndmask_b32_e32 v5, v39, v42, vcc
	s_add_i32 s20, s47, s46
	s_add_i32 s39, s3, s45
	s_mov_b32 s60, 0x1000504
	v_lshlrev_b32_e32 v40, 8, v66
	v_lshlrev_b32_e32 v41, 8, v41
	v_lshlrev_b32_e32 v43, 1, v43
	v_lshlrev_b32_e32 v44, 1, v44
	v_lshl_or_b32 v4, v4, 10, v5
	s_add_i32 s41, s20, s48
	s_lshl_b64 s[20:21], s[38:39], 2
	s_mov_b32 s61, 0x3020706
	v_or_b32_e32 v77, 0xa000, v45
	v_or_b32_e32 v78, 0xb000, v45
	;; [unrolled: 1-line block ×5, first 2 shown]
	v_xor_b32_e32 v5, 8, v4
	v_xor_b32_e32 v40, 24, v4
	v_xor_b32_e32 v42, 40, v4
	v_xor_b32_e32 v44, 56, v4
	s_add_u32 s3, s10, s20
	v_or_b32_e32 v83, v41, v43
	v_xor_b32_e32 v39, 16, v4
	v_xor_b32_e32 v41, 32, v4
	;; [unrolled: 1-line block ×3, first 2 shown]
	v_add_u32_e32 v5, 0x80, v5
	v_add_u32_e32 v40, 0x80, v40
	;; [unrolled: 1-line block ×4, first 2 shown]
	s_addc_u32 s24, s11, s21
	s_lshl_b64 s[20:21], s[40:41], 2
	s_add_u32 s20, s3, s20
	s_movk_i32 s3, 0xf8
	s_addc_u32 s21, s24, s21
	s_lshl_b32 s30, s19, 7
	s_movk_i32 s28, 0x100
	v_mov_b32_e32 v59, 0
	v_lshlrev_b32_e32 v58, 4, v66
	v_cmp_gt_u32_e32 vcc, s28, v0
	v_ashrrev_i32_e32 v57, 31, v56
	s_mov_b32 s62, 0
	s_movk_i32 s39, 0x1000
	s_movk_i32 s26, 0x4000
	v_lshl_add_u64 v[60:61], v[56:57], 1, s[8:9]
	v_mov_b32_e32 v105, 0x3fb8aa3b
	s_waitcnt vmcnt(1)
	v_perm_b32 v45, v6, v14, s60
	s_waitcnt vmcnt(0)
	v_perm_b32 v46, v10, v34, s60
	v_perm_b32 v6, v6, v14, s61
	;; [unrolled: 1-line block ×15, first 2 shown]
	ds_write2st64_b32 v4, v45, v46 offset0:32 offset1:64
	ds_write2st64_b32 v5, v6, v10 offset0:32 offset1:64
	;; [unrolled: 1-line block ×8, first 2 shown]
	v_or_b32_e32 v4, v64, v66
	v_lshlrev_b32_e32 v4, 3, v4
	v_lshrrev_b32_e32 v7, 5, v51
	v_and_or_b32 v7, v4, s3, v7
	v_lshlrev_b32_e32 v7, 4, v7
	v_lshlrev_b32_e32 v5, 11, v1
	v_and_b32_e32 v4, 0x78, v4
	v_or_b32_e32 v12, 32, v7
	v_and_b32_e32 v6, 0x1000, v5
	v_lshrrev_b32_e32 v9, 1, v0
	v_xor_b32_e32 v12, v12, v4
	v_and_b32_e32 v10, 8, v9
	v_or_b32_e32 v12, v12, v6
	v_xor_b32_e32 v8, v7, v4
	v_xor_b32_e32 v87, v12, v10
	v_or_b32_e32 v12, 64, v7
	v_or_b32_e32 v7, 0x60, v7
	s_ashr_i32 s3, s2, 31
	v_xor_b32_e32 v12, v12, v4
	v_xor_b32_e32 v4, v7, v4
	s_lshl_b64 s[24:25], s[2:3], 8
	v_or_b32_e32 v8, v8, v6
	v_or_b32_e32 v12, v12, v6
	;; [unrolled: 1-line block ×3, first 2 shown]
	s_add_u32 s24, s22, s24
	v_lshlrev_b32_e32 v6, 1, v66
	v_xor_b32_e32 v89, v12, v10
	v_lshrrev_b32_e32 v12, 4, v0
	s_addc_u32 s25, s23, s25
	v_or_b32_e32 v7, 1, v6
	v_mov_b32_e32 v16, 0x4000
	v_mov_b32_e32 v17, 0x2000
	v_xor_b32_e32 v13, v12, v6
	v_xor_b32_e32 v14, v7, v12
	v_lshl_add_u64 v[6:7], s[24:25], 0, v[58:59]
	v_lshlrev_b32_e32 v58, 8, v12
	v_cndmask_b32_e32 v16, v16, v17, vcc
	v_lshlrev_b32_e32 v17, 3, v1
	v_and_b32_e32 v9, 24, v9
	v_lshl_or_b32 v93, v13, 3, v58
	v_and_b32_e32 v13, 8, v0
	v_xor_b32_e32 v34, v17, v9
	v_or_b32_e32 v35, 0x440, v34
	v_cmp_eq_u32_e32 vcc, 0, v13
	v_and_b32_e32 v12, 7, v0
	v_xor_b32_e32 v85, v8, v10
	v_cndmask_b32_e32 v13, v35, v34, vcc
	v_lshlrev_b32_e32 v8, 7, v65
	v_lshl_or_b32 v94, v14, 3, v58
	v_lshlrev_b32_e32 v14, 3, v12
	v_lshlrev_b32_e32 v12, 7, v12
	;; [unrolled: 1-line block ×3, first 2 shown]
	v_or_b32_e32 v13, v13, v5
	v_or_b32_e32 v11, v8, v38
	v_xad_u32 v95, v13, v14, v12
	v_and_or_b32 v8, v15, 60, v8
	v_mov_b32_e32 v13, 0xb000
	v_lshl_or_b32 v96, v8, 1, v13
	v_or_b32_e32 v8, 32, v9
	v_xor_b32_e32 v8, v17, v8
	v_or_b32_e32 v13, 0x440, v8
	v_cndmask_b32_e32 v8, v13, v8, vcc
	v_or_b32_e32 v8, v8, v5
	v_xad_u32 v97, v8, v14, v12
	v_or_b32_e32 v8, 64, v9
	v_xor_b32_e32 v8, v17, v8
	v_xor_b32_e32 v13, 0x440, v8
	v_cndmask_b32_e32 v8, v13, v8, vcc
	v_or_b32_e32 v8, v8, v5
	v_xad_u32 v98, v8, v14, v12
	v_or_b32_e32 v8, 0x60, v9
	v_xor_b32_e32 v8, v17, v8
	v_xor_b32_e32 v9, 0x440, v8
	v_cndmask_b32_e32 v8, v9, v8, vcc
	v_lshlrev_b32_e32 v11, 1, v11
	v_or_b32_e32 v5, v8, v5
	v_or_b32_e32 v86, 0xa000, v11
	v_or_b32_e32 v88, 0xa080, v11
	v_xor_b32_e32 v90, v4, v10
	v_or_b32_e32 v91, 0xb000, v11
	v_or_b32_e32 v92, 0xb080, v11
	v_lshlrev_b32_e32 v4, 7, v69
	v_lshlrev_b32_e32 v10, 1, v3
	v_add_lshl_u32 v3, v3, s19, 1
	v_or_b32_e32 v11, 0x100, v2
	v_xad_u32 v99, v5, v14, v12
	v_cndmask_b32_e64 v100, v10, v2, s[0:1]
	v_cndmask_b32_e64 v101, v3, v11, s[0:1]
	v_lshl_add_u64 v[62:63], v[6:7], 0, v[58:59]
	s_mov_b32 s3, 0x7060302
	v_lshlrev_b32_e32 v58, 1, v4
	v_add_u32_e32 v57, v16, v95
	v_add_u32_e32 v102, v16, v97
	;; [unrolled: 1-line block ×4, first 2 shown]
	s_waitcnt lgkmcnt(0)
	s_barrier
	s_branch .LBB354_33
.LBB354_32:                             ;   in Loop: Header=BB354_33 Depth=1
	v_mul_f32_e32 v6, s24, v105
	s_waitcnt vmcnt(2)
	v_exp_f32_e32 v34, v6
	s_nop 1
	v_accvgpr_read_b32 v17, a15
	v_accvgpr_read_b32 v2, a4
	;; [unrolled: 1-line block ×16, first 2 shown]
	v_fma_f32 v16, v32, v34, v16
	v_fmac_f32_e32 v17, v33, v34
	v_fma_f32 v2, v18, v34, v2
	v_fma_f32 v3, v19, v34, v3
	v_fma_f32 v4, v20, v34, v4
	v_fmac_f32_e32 v5, v21, v34
	v_fma_f32 v10, v26, v34, v10
	v_fma_f32 v11, v27, v34, v11
	;; [unrolled: 4-line block ×4, first 2 shown]
	s_add_i32 s57, s57, 64
	v_mov_b64_e32 v[32:33], v[16:17]
	s_cmp_eq_u32 s50, s41
	s_mov_b32 s62, s41
	v_mov_b64_e32 v[30:31], v[14:15]
	v_mov_b64_e32 v[28:29], v[12:13]
	;; [unrolled: 1-line block ×7, first 2 shown]
	s_cbranch_scc1 .LBB354_4
.LBB354_33:                             ; =>This Inner Loop Header: Depth=1
	s_add_i32 s41, s62, 1
	s_cmp_lt_i32 s41, s50
	s_mov_b64 s[28:29], 0
	s_cselect_b64 s[42:43], -1, 0
	s_cmp_ge_i32 s41, s50
	s_mov_b64 s[24:25], 0
	s_cbranch_scc1 .LBB354_35
; %bb.34:                               ;   in Loop: Header=BB354_33 Depth=1
	s_add_i32 s0, s57, 64
	s_ashr_i32 s1, s0, 31
	s_add_u32 s0, s55, s0
	s_addc_u32 s1, s54, s1
	s_lshl_b64 s[0:1], s[0:1], 8
	s_add_u32 s24, s6, s0
	s_addc_u32 s25, s7, s1
.LBB354_35:                             ;   in Loop: Header=BB354_33 Depth=1
	v_cndmask_b32_e64 v2, 0, 1, s[42:43]
	v_cmp_ne_u32_e64 s[0:1], 1, v2
	s_andn2_b64 vcc, exec, s[42:43]
	s_cbranch_vccnz .LBB354_37
; %bb.36:                               ;   in Loop: Header=BB354_33 Depth=1
	s_add_i32 s28, s57, 64
	s_mul_hi_i32 s29, s28, s18
	s_mul_i32 s28, s28, s18
	s_add_u32 s28, s28, s53
	s_addc_u32 s29, s29, s58
	s_lshl_b64 s[28:29], s[28:29], 8
	s_add_u32 s28, s4, s28
	s_addc_u32 s29, s5, s29
.LBB354_37:                             ;   in Loop: Header=BB354_33 Depth=1
	v_perm_b32 v3, v21, v20, s3
	v_perm_b32 v2, v19, v18, s3
	;; [unrolled: 1-line block ×4, first 2 shown]
	ds_write_b64 v77, v[2:3]
	ds_write_b64 v78, v[4:5]
	;; [unrolled: 1-line block ×4, first 2 shown]
	v_perm_b32 v3, v29, v28, s3
	v_perm_b32 v2, v27, v26, s3
	;; [unrolled: 1-line block ×4, first 2 shown]
	ds_write_b64 v79, v[2:3]
	ds_write_b64 v80, v[4:5]
	;; [unrolled: 1-line block ×4, first 2 shown]
	s_waitcnt lgkmcnt(0)
	s_barrier
	ds_read_b64 v[6:7], v85 offset:24576
	ds_read2_b64 v[2:5], v86 offset1:16
	ds_read_b64 v[10:11], v88 offset:3072
	ds_read_b64 v[12:13], v86 offset:3072
	ds_read_b64 v[14:15], v87 offset:24576
	s_waitcnt lgkmcnt(3)
	v_mfma_f32_16x16x16_bf16 a[0:3], v[6:7], v[2:3], 0
	s_add_i32 s31, s57, 63
	s_ashr_i32 s42, s31, 31
	s_mul_i32 s43, s31, s35
	v_mfma_f32_16x16x16_bf16 a[4:7], v[6:7], v[4:5], 0
	ds_read2st64_b64 v[2:5], v86 offset0:2 offset1:4
	s_mul_hi_u32 s63, s31, s34
	s_add_i32 s43, s63, s43
	s_waitcnt lgkmcnt(0)
	v_mfma_f32_16x16x16_bf16 a[0:3], v[14:15], v[2:3], a[0:3]
	ds_read2st64_b64 v[6:9], v88 offset0:2 offset1:4
	ds_read_b64 v[2:3], v89 offset:24576
	s_mul_i32 s42, s42, s34
	s_add_i32 s43, s43, s42
	s_waitcnt lgkmcnt(1)
	v_mfma_f32_16x16x16_bf16 a[4:7], v[14:15], v[6:7], a[4:7]
	ds_read_b64 v[6:7], v90 offset:24576
	s_mul_i32 s42, s31, s34
	s_lshl_b64 s[42:43], s[42:43], 2
	s_waitcnt lgkmcnt(1)
	v_mfma_f32_16x16x16_bf16 a[0:3], v[2:3], v[4:5], a[0:3]
	s_add_u32 s42, s20, s42
	s_addc_u32 s43, s21, s43
	s_and_b64 vcc, exec, s[0:1]
	v_mfma_f32_16x16x16_bf16 a[4:7], v[2:3], v[8:9], a[4:7]
	v_mov_b32_e32 v108, 0
	v_mov_b32_e32 v107, 0
	;; [unrolled: 1-line block ×3, first 2 shown]
	s_waitcnt lgkmcnt(0)
	v_mfma_f32_16x16x16_bf16 a[0:3], v[6:7], v[12:13], a[0:3]
	v_mov_b32_e32 v2, 0
	v_mov_b32_e32 v3, 0
	;; [unrolled: 1-line block ×3, first 2 shown]
	v_mfma_f32_16x16x16_bf16 a[4:7], v[6:7], v[10:11], a[4:7]
	v_mov_b32_e32 v5, 0
	v_mov_b32_e32 v6, 0
	;; [unrolled: 1-line block ×13, first 2 shown]
	s_cbranch_vccnz .LBB354_39
; %bb.38:                               ;   in Loop: Header=BB354_33 Depth=1
	s_and_b32 s25, s25, 0xffff
	buffer_load_dwordx4 v[14:17], v73, s[24:27], 0 offen
	buffer_load_dwordx4 v[10:13], v73, s[24:27], s59 offen
	;; [unrolled: 1-line block ×4, first 2 shown]
	v_mov_b32_e32 v107, v75
	v_mov_b32_e32 v106, v76
.LBB354_39:                             ;   in Loop: Header=BB354_33 Depth=1
	ds_read_b64 v[38:39], v85 offset:32768
	ds_read2_b64 v[34:37], v91 offset1:16
	ds_read_b64 v[42:43], v87 offset:32768
	ds_read_b64 v[44:45], v89 offset:32768
	;; [unrolled: 1-line block ×3, first 2 shown]
	v_add_u32_e32 v48, s57, v69
	s_waitcnt lgkmcnt(3)
	v_mfma_f32_16x16x16_bf16 a[0:3], v[38:39], v[34:35], a[0:3]
	v_mul_lo_u32 v49, v48, s35
	v_mfma_f32_16x16x16_bf16 a[4:7], v[38:39], v[36:37], a[4:7]
	ds_read2st64_b64 v[34:37], v91 offset0:2 offset1:4
	ds_read2st64_b64 v[38:41], v92 offset0:2 offset1:4
	s_waitcnt lgkmcnt(1)
	v_mfma_f32_16x16x16_bf16 a[0:3], v[42:43], v[34:35], a[0:3]
	v_ashrrev_i32_e32 v34, 31, v48
	v_mul_lo_u32 v109, v34, s34
	v_mad_u64_u32 v[34:35], s[24:25], v48, s34, 0
	v_mfma_f32_16x16x16_bf16 a[0:3], v[44:45], v[36:37], a[0:3]
	v_add_u32_e32 v36, 1, v48
	v_ashrrev_i32_e32 v37, 31, v36
	v_add3_u32 v35, v35, v49, v109
	s_waitcnt lgkmcnt(0)
	v_mfma_f32_16x16x16_bf16 a[4:7], v[42:43], v[38:39], a[4:7]
	v_mul_lo_u32 v38, v37, s34
	v_mul_lo_u32 v39, v36, s35
	v_mad_u64_u32 v[36:37], s[24:25], v36, s34, 0
	v_add3_u32 v37, v37, v39, v38
	v_add_u32_e32 v38, 2, v48
	v_ashrrev_i32_e32 v39, 31, v38
	v_mul_lo_u32 v42, v39, s34
	v_mul_lo_u32 v43, v38, s35
	v_mad_u64_u32 v[38:39], s[24:25], v38, s34, 0
	v_add3_u32 v39, v39, v43, v42
	v_add_u32_e32 v42, 3, v48
	v_ashrrev_i32_e32 v43, 31, v42
	v_mul_lo_u32 v48, v43, s34
	v_mul_lo_u32 v49, v42, s35
	v_mad_u64_u32 v[42:43], s[24:25], v42, s34, 0
	v_add3_u32 v43, v43, v49, v48
	s_ashr_i32 s25, s57, 31
	v_lshl_add_u64 v[34:35], v[34:35], 2, s[20:21]
	v_lshl_add_u64 v[42:43], v[42:43], 2, s[20:21]
	s_add_u32 s24, s55, s57
	v_lshl_add_u64 v[36:37], v[36:37], 2, s[20:21]
	v_lshl_add_u64 v[38:39], v[38:39], 2, s[20:21]
	global_load_dword v48, v[34:35], off
	global_load_dword v49, v[36:37], off
	;; [unrolled: 1-line block ×3, first 2 shown]
	s_nop 0
	global_load_dword v42, v[42:43], off
	s_addc_u32 s25, s54, s25
	s_lshl_b64 s[24:25], s[24:25], 8
	v_lshl_add_u64 v[34:35], v[60:61], 0, s[24:25]
	v_lshl_add_u64 v[34:35], v[34:35], 0, v[58:59]
	global_load_ushort v43, v[34:35], off offset:256
	global_load_ushort v110, v[34:35], off
	global_load_ushort v111, v[34:35], off offset:768
	global_load_ushort v112, v[34:35], off offset:512
	ds_read_b64 v[36:37], v91 offset:3072
	ds_read_b64 v[38:39], v92 offset:3072
	global_load_ushort v113, v[34:35], off offset:800
	global_load_ushort v114, v[34:35], off offset:544
	;; [unrolled: 1-line block ×4, first 2 shown]
	s_load_dword s24, s[42:43], 0x0
	v_mfma_f32_16x16x16_bf16 a[4:7], v[44:45], v[40:41], a[4:7]
	s_and_b64 vcc, exec, s[0:1]
	s_waitcnt vmcnt(11) lgkmcnt(0)
	v_sub_f32_e32 v40, s24, v48
	v_mfma_f32_16x16x16_bf16 a[0:3], v[46:47], v[36:37], a[0:3]
	s_waitcnt vmcnt(10)
	v_sub_f32_e32 v45, s24, v49
	v_mul_f32_e32 v44, 0x3fb8aa3b, v40
	v_mul_f32_e32 v45, 0x3fb8aa3b, v45
	v_mfma_f32_16x16x16_bf16 a[4:7], v[46:47], v[38:39], a[4:7]
	s_waitcnt vmcnt(9)
	v_sub_f32_e32 v46, s24, v109
	s_waitcnt vmcnt(8)
	v_sub_f32_e32 v47, s24, v42
	v_mul_f32_e32 v46, 0x3fb8aa3b, v46
	v_mul_f32_e32 v47, 0x3fb8aa3b, v47
	v_exp_f32_e32 v44, v44
	v_exp_f32_e32 v45, v45
	;; [unrolled: 1-line block ×4, first 2 shown]
	v_accvgpr_read_b32 v39, a1
	v_accvgpr_read_b32 v35, a3
	;; [unrolled: 1-line block ×4, first 2 shown]
	s_waitcnt vmcnt(7)
	v_lshlrev_b32_e32 v41, 16, v43
	s_waitcnt vmcnt(6)
	v_lshlrev_b32_e32 v40, 16, v110
	;; [unrolled: 2-line block ×4, first 2 shown]
	v_pk_add_f32 v[38:39], v[40:41], v[38:39] neg_lo:[0,1] neg_hi:[0,1]
	v_pk_add_f32 v[34:35], v[42:43], v[34:35] neg_lo:[0,1] neg_hi:[0,1]
	v_pk_mul_f32 v[38:39], v[44:45], v[38:39]
	v_pk_mul_f32 v[34:35], v[46:47], v[34:35]
	v_accvgpr_read_b32 v41, a5
	v_perm_b32 v35, v35, v34, s3
	v_perm_b32 v34, v39, v38, s3
	s_waitcnt vmcnt(1)
	v_lshlrev_b32_e32 v39, 16, v115
	s_waitcnt vmcnt(0)
	v_lshlrev_b32_e32 v38, 16, v116
	v_accvgpr_read_b32 v40, a4
	v_accvgpr_read_b32 v37, a7
	;; [unrolled: 1-line block ×3, first 2 shown]
	v_pk_add_f32 v[38:39], v[38:39], v[40:41] neg_lo:[0,1] neg_hi:[0,1]
	v_lshlrev_b32_e32 v41, 16, v113
	v_lshlrev_b32_e32 v40, 16, v114
	v_pk_add_f32 v[36:37], v[40:41], v[36:37] neg_lo:[0,1] neg_hi:[0,1]
	v_pk_mul_f32 v[38:39], v[44:45], v[38:39]
	v_pk_mul_f32 v[36:37], v[46:47], v[36:37]
	v_mov_b32_e32 v109, 0
	v_perm_b32 v37, v37, v36, s3
	v_perm_b32 v36, v39, v38, s3
	ds_write2_b64 v78, v[34:35], v[36:37] offset1:16
	v_mov_b32_e32 v34, 0
	v_mov_b32_e32 v35, 0
	;; [unrolled: 1-line block ×16, first 2 shown]
	s_cbranch_vccnz .LBB354_41
; %bb.40:                               ;   in Loop: Header=BB354_33 Depth=1
	s_and_b32 s29, s29, 0xffff
	s_mov_b32 s31, s27
	buffer_load_dwordx4 v[46:49], v100, s[28:31], 0 offen
	buffer_load_dwordx4 v[38:41], v100, s[28:31], s59 offen
	;; [unrolled: 1-line block ×4, first 2 shown]
	v_mov_b32_e32 v108, v72
	v_mov_b32_e32 v109, v71
.LBB354_41:                             ;   in Loop: Header=BB354_33 Depth=1
	s_waitcnt lgkmcnt(0)
	s_barrier
	ds_read_b64 v[114:115], v57
	ds_read_b64 v[122:123], v96
	ds_read_b64 v[118:119], v102
	ds_read_b64 v[124:125], v103
	ds_read_b64 v[126:127], v104
	ds_read_b64 v[128:129], v97 offset:16384
	ds_read_b64 v[130:131], v95 offset:16384
	ds_read2_b64 v[110:113], v91 offset0:16 offset1:128
	s_waitcnt lgkmcnt(6)
	v_mfma_f32_16x16x16_bf16 a[0:3], v[114:115], v[122:123], 0
	ds_read_b64 v[132:133], v92 offset:3072
	ds_read_b64 v[134:135], v99 offset:16384
	s_add_i32 s25, s56, s62
	s_waitcnt lgkmcnt(2)
	v_mfma_f32_16x16x16_bf16 a[4:7], v[114:115], v[110:111], 0
	ds_read2st64_b64 v[114:117], v92 offset0:2 offset1:4
	s_mul_hi_i32 s29, s25, s17
	s_mul_i32 s25, s25, s17
	v_mfma_f32_16x16x16_bf16 a[0:3], v[118:119], v[112:113], a[0:3]
	s_add_u32 s28, s25, s49
	s_addc_u32 s29, s29, s51
	s_lshl_b64 s[28:29], s[28:29], 15
	s_waitcnt lgkmcnt(0)
	v_mfma_f32_16x16x16_bf16 a[4:7], v[118:119], v[114:115], a[4:7]
	ds_read2st64_b64 v[118:121], v91 offset0:4 offset1:6
	s_waitcnt lgkmcnt(0)
	v_mfma_f32_16x16x16_bf16 a[0:3], v[124:125], v[118:119], a[0:3]
	v_mfma_f32_16x16x16_bf16 a[8:11], v[124:125], v[116:117], a[4:7]
	;; [unrolled: 1-line block ×5, first 2 shown]
	ds_read2st64_b64 v[122:125], v94 offset1:8
	v_mfma_f32_16x16x16_bf16 a[12:15], v[130:131], v[110:111], 0
	ds_read_b64 v[130:131], v98 offset:16384
	v_mfma_f32_16x16x16_bf16 a[8:11], v[128:129], v[112:113], a[8:11]
	ds_read2st64_b64 v[110:113], v93 offset1:8
	s_waitcnt lgkmcnt(0)
	v_mov_b32_e32 v126, v110
	v_mfma_f32_16x16x16_bf16 a[12:15], v[128:129], v[114:115], a[12:15]
	v_lshl_add_u64 v[114:115], v[62:63], 0, s[28:29]
	v_add_co_u32_e32 v110, vcc, s39, v114
	v_mfma_f32_16x16x16_bf16 a[8:11], v[130:131], v[118:119], a[8:11]
	v_mov_b32_e32 v127, v111
	v_addc_co_u32_e32 v111, vcc, 0, v115, vcc
	v_mfma_f32_16x16x16_bf16 a[12:15], v[130:131], v[116:117], a[12:15]
	v_mov_b32_e32 v128, v122
	v_mov_b32_e32 v129, v123
	v_mov_b32_e32 v122, v112
	v_mfma_f32_16x16x16_bf16 a[8:11], v[134:135], v[120:121], a[8:11]
	v_mov_b32_e32 v123, v113
	s_and_b64 vcc, exec, s[0:1]
	global_store_dwordx4 v[114:115], v[126:129], off
	v_mfma_f32_16x16x16_bf16 a[12:15], v[134:135], v[132:133], a[12:15]
	global_store_dwordx4 v[110:111], v[122:125], off
	s_cbranch_vccnz .LBB354_32
; %bb.42:                               ;   in Loop: Header=BB354_33 Depth=1
	v_lshrrev_b32_e32 v110, 3, v108
	v_and_b32_e32 v110, 6, v110
	v_xor_b32_e32 v109, v110, v109
	v_lshlrev_b32_e32 v109, 2, v109
	v_and_b32_e32 v108, 8, v108
	v_xor_b32_e32 v111, 0x440, v109
	v_cmp_eq_u32_e32 vcc, 0, v108
	s_barrier
	s_nop 0
	v_cndmask_b32_e32 v108, v111, v109, vcc
	v_lshl_or_b32 v108, v110, 10, v108
	s_waitcnt vmcnt(3)
	v_perm_b32 v109, v46, v42, s60
	s_waitcnt vmcnt(2)
	v_perm_b32 v110, v38, v34, s60
	ds_write2st64_b32 v108, v109, v110 offset0:32 offset1:64
	v_xor_b32_e32 v109, 8, v108
	v_perm_b32 v42, v46, v42, s61
	v_perm_b32 v34, v38, v34, s61
	v_add_u32_e32 v38, 0x80, v109
	ds_write2st64_b32 v38, v42, v34 offset0:32 offset1:64
	v_xor_b32_e32 v34, 16, v108
	v_perm_b32 v38, v47, v43, s60
	v_perm_b32 v42, v39, v35, s60
	ds_write2st64_b32 v34, v38, v42 offset0:33 offset1:65
	v_xor_b32_e32 v34, 24, v108
	v_perm_b32 v38, v47, v43, s61
	v_perm_b32 v35, v39, v35, s61
	v_add_u32_e32 v34, 0x80, v34
	ds_write2st64_b32 v34, v38, v35 offset0:33 offset1:65
	v_xor_b32_e32 v34, 32, v108
	v_perm_b32 v35, v48, v44, s60
	;; [unrolled: 9-line block ×3, first 2 shown]
	v_perm_b32 v36, v41, v37, s60
	ds_write2st64_b32 v34, v35, v36 offset0:35 offset1:67
	v_xor_b32_e32 v34, 56, v108
	v_perm_b32 v35, v49, v45, s61
	v_perm_b32 v36, v41, v37, s61
	v_add_u32_e32 v34, 0x80, v34
	ds_write2st64_b32 v34, v35, v36 offset0:35 offset1:67
	ds_write_b64 v107, v[14:15] offset:24576
	v_xor_b32_e32 v14, 8, v107
	ds_write_b64 v14, v[16:17] offset:24576
	ds_write_b64 v107, v[10:11] offset:32768
	;; [unrolled: 1-line block ×4, first 2 shown]
	v_xor_b32_e32 v6, 8, v106
	ds_write_b64 v6, v[8:9] offset:24576
	ds_write_b64 v106, v[2:3] offset:32768
	;; [unrolled: 1-line block ×3, first 2 shown]
	s_branch .LBB354_32
.LBB354_43:
                                        ; implicit-def: $vgpr21
                                        ; implicit-def: $vgpr25
                                        ; implicit-def: $vgpr29
                                        ; implicit-def: $vgpr33
	s_cbranch_execz .LBB354_45
; %bb.44:
	s_waitcnt vmcnt(0)
	v_mad_u64_u32 v[18:19], s[0:1], v36, s19, v[34:35]
	v_lshlrev_b32_e32 v36, 1, v18
	s_lshl_b32 s2, s19, 7
	s_and_b32 s1, s5, 0xffff
	s_mov_b32 s3, 0x20000
	s_mov_b32 s0, s4
	v_add_lshl_u32 v37, v18, s19, 1
	s_movk_i32 s17, 0x80
	buffer_load_dwordx4 v[18:21], v36, s[0:3], 0 offen
	buffer_load_dwordx4 v[26:29], v36, s[0:3], s17 offen
	;; [unrolled: 1-line block ×4, first 2 shown]
.LBB354_45:
	v_lshrrev_b32_e32 v47, 2, v51
	s_cbranch_execnz .LBB354_58
.LBB354_46:
	s_and_b64 vcc, exec, s[6:7]
	s_cbranch_vccz .LBB354_56
; %bb.47:
	s_waitcnt vmcnt(0)
	v_lshlrev_b32_e32 v23, 1, v42
	v_cmp_gt_i32_e32 vcc, s31, v23
	v_mov_b32_e32 v22, 0
	v_lshlrev_b32_e32 v30, 9, v42
	v_mov_b32_e32 v18, 0
	v_mov_b32_e32 v19, 0
	;; [unrolled: 1-line block ×4, first 2 shown]
	s_and_saveexec_b64 s[0:1], vcc
	s_cbranch_execz .LBB354_49
; %bb.48:
	v_mov_b32_e32 v31, 0
	v_lshl_add_u64 v[18:19], s[4:5], 0, v[30:31]
	v_lshlrev_b32_e32 v20, 1, v34
	v_mov_b32_e32 v21, v31
	v_lshl_add_u64 v[18:19], v[18:19], 0, v[20:21]
	global_load_dwordx4 v[18:21], v[18:19], off
.LBB354_49:
	s_or_b64 exec, exec, s[0:1]
	v_or_b32_e32 v23, 1, v23
	v_cmp_gt_i32_e64 s[0:1], s31, v23
	v_lshlrev_b32_e32 v36, 8, v23
	v_mov_b32_e32 v23, 0
	v_mov_b32_e32 v24, 0
	;; [unrolled: 1-line block ×3, first 2 shown]
	s_and_saveexec_b64 s[2:3], s[0:1]
	s_cbranch_execz .LBB354_51
; %bb.50:
	v_mov_b32_e32 v37, 0
	v_lshl_add_u64 v[22:23], s[4:5], 0, v[36:37]
	v_lshlrev_b32_e32 v24, 1, v34
	v_mov_b32_e32 v25, v37
	v_lshl_add_u64 v[22:23], v[22:23], 0, v[24:25]
	global_load_dwordx4 v[22:25], v[22:23], off
.LBB354_51:
	s_or_b64 exec, exec, s[2:3]
	v_mov_b32_e32 v33, 0
	v_mov_b32_e32 v26, 0
	;; [unrolled: 1-line block ×5, first 2 shown]
	s_and_saveexec_b64 s[2:3], vcc
	s_cbranch_execz .LBB354_53
; %bb.52:
	v_mov_b32_e32 v31, 0
	v_lshl_add_u64 v[26:27], s[4:5], 0, v[30:31]
	v_lshlrev_b32_e32 v30, 1, v34
	v_lshl_add_u64 v[26:27], v[26:27], 0, v[30:31]
	global_load_dwordx4 v[26:29], v[26:27], off offset:128
.LBB354_53:
	s_or_b64 exec, exec, s[2:3]
	v_mov_b32_e32 v32, 0
	v_mov_b32_e32 v31, 0
	;; [unrolled: 1-line block ×3, first 2 shown]
	s_and_saveexec_b64 s[2:3], s[0:1]
	s_cbranch_execz .LBB354_55
; %bb.54:
	v_mov_b32_e32 v37, 0
	v_lshl_add_u64 v[30:31], s[4:5], 0, v[36:37]
	v_lshlrev_b32_e32 v36, 1, v34
	v_lshl_add_u64 v[30:31], v[30:31], 0, v[36:37]
	global_load_dwordx4 v[30:33], v[30:31], off offset:128
.LBB354_55:
	s_or_b64 exec, exec, s[2:3]
	s_branch .LBB354_58
.LBB354_56:
                                        ; implicit-def: $vgpr21
                                        ; implicit-def: $vgpr25
                                        ; implicit-def: $vgpr29
                                        ; implicit-def: $vgpr33
	s_cbranch_execz .LBB354_58
; %bb.57:
	s_waitcnt vmcnt(0)
	v_lshlrev_b32_e32 v18, 1, v34
	v_lshl_or_b32 v34, v42, 9, v18
	s_and_b32 s5, s5, 0xffff
	s_mov_b32 s7, 0x20000
	s_movk_i32 s6, 0x4000
	s_movk_i32 s0, 0x80
	buffer_load_dwordx4 v[18:21], v34, s[4:7], 0 offen
	buffer_load_dwordx4 v[22:25], v34, s[4:7], 0 offen offset:256
	buffer_load_dwordx4 v[26:29], v34, s[4:7], s0 offen
	buffer_load_dwordx4 v[30:33], v34, s[4:7], s0 offen offset:256
.LBB354_58:
	ds_read_b64 v[36:37], v43 offset:32768
	v_add_u32_e32 v34, 0xb000, v40
	ds_read2_b64 v[58:61], v34 offset1:16
	ds_read_b64 v[48:49], v44 offset:32768
	ds_read_b64 v[44:45], v45 offset:32768
	;; [unrolled: 1-line block ×3, first 2 shown]
	v_and_b32_e32 v34, 6, v0
	v_xor_b32_e32 v42, v42, v34
	v_lshlrev_b32_e32 v42, 2, v42
	v_and_b32_e32 v43, 1, v0
	v_xor_b32_e32 v46, 0x440, v42
	v_cmp_eq_u32_e32 vcc, 0, v43
	s_waitcnt lgkmcnt(3)
	v_mfma_f32_16x16x16_bf16 a[0:3], v[36:37], v[58:59], a[0:3]
	s_mov_b32 s0, 0x1000504
	v_cndmask_b32_e32 v42, v46, v42, vcc
	v_lshl_or_b32 v34, v34, 10, v42
	v_mfma_f32_16x16x16_bf16 a[4:7], v[36:37], v[60:61], a[4:7]
	ds_read2st64_b64 v[58:61], v40 offset0:90 offset1:92
	ds_read2st64_b64 v[66:69], v41 offset0:90 offset1:92
	s_waitcnt vmcnt(0)
	v_perm_b32 v42, v18, v22, s0
	s_mov_b32 s1, 0x3020706
	s_waitcnt lgkmcnt(1)
	v_mfma_f32_16x16x16_bf16 a[0:3], v[48:49], v[58:59], a[0:3]
	ds_read_b64 v[36:37], v40 offset:48128
	ds_read_b64 v[58:59], v41 offset:48128
	v_perm_b32 v18, v18, v22, s1
	v_perm_b32 v22, v26, v30, s1
	s_waitcnt lgkmcnt(2)
	v_mfma_f32_16x16x16_bf16 a[4:7], v[48:49], v[66:67], a[4:7]
	v_mfma_f32_16x16x16_bf16 a[0:3], v[44:45], v[60:61], a[0:3]
	;; [unrolled: 1-line block ×3, first 2 shown]
	s_waitcnt lgkmcnt(1)
	v_mfma_f32_16x16x16_bf16 a[4:7], v[62:63], v[36:37], a[0:3]
	v_perm_b32 v36, v26, v30, s0
	ds_write2st64_b32 v34, v42, v36 offset0:32 offset1:64
	v_xor_b32_e32 v36, 8, v34
	v_add_u32_e32 v26, 0x80, v36
	ds_write2st64_b32 v26, v18, v22 offset0:32 offset1:64
	v_xor_b32_e32 v18, 16, v34
	v_perm_b32 v22, v19, v23, s0
	v_perm_b32 v26, v27, v31, s0
	ds_write2st64_b32 v18, v22, v26 offset0:33 offset1:65
	v_xor_b32_e32 v18, 24, v34
	v_perm_b32 v19, v19, v23, s1
	v_perm_b32 v22, v27, v31, s1
	v_add_u32_e32 v18, 0x80, v18
	ds_write2st64_b32 v18, v19, v22 offset0:33 offset1:65
	v_xor_b32_e32 v18, 32, v34
	v_perm_b32 v19, v20, v24, s0
	v_perm_b32 v22, v28, v32, s0
	ds_write2st64_b32 v18, v19, v22 offset0:34 offset1:66
	v_xor_b32_e32 v18, 40, v34
	s_waitcnt lgkmcnt(5)
	v_mfma_f32_16x16x16_bf16 a[0:3], v[62:63], v[58:59], a[8:11]
	v_perm_b32 v19, v20, v24, s1
	v_perm_b32 v20, v28, v32, s1
	v_add_u32_e32 v18, 0x80, v18
	ds_write2st64_b32 v18, v19, v20 offset0:34 offset1:66
	v_xor_b32_e32 v18, 48, v34
	v_perm_b32 v19, v21, v25, s0
	v_perm_b32 v20, v29, v33, s0
	ds_write2st64_b32 v18, v19, v20 offset0:35 offset1:67
	v_xor_b32_e32 v18, 56, v34
	v_and_or_b32 v36, v47, 12, v64
	v_perm_b32 v19, v21, v25, s1
	v_perm_b32 v20, v29, v33, s1
	v_add_u32_e32 v18, 0x80, v18
	v_cmp_gt_i32_e32 vcc, s31, v36
	v_mov_b32_e32 v32, 0
	v_mov_b32_e32 v34, 0
	ds_write2st64_b32 v18, v19, v20 offset0:35 offset1:67
	s_and_saveexec_b64 s[0:1], vcc
	s_cbranch_execz .LBB354_60
; %bb.59:
	v_add_u32_e32 v18, s30, v36
	v_ashrrev_i32_e32 v19, 31, v18
	v_mul_lo_u32 v20, v19, s34
	v_mul_lo_u32 v21, v18, s35
	v_mad_u64_u32 v[18:19], s[2:3], v18, s34, 0
	v_add3_u32 v19, v19, v21, v20
	v_lshl_add_u64 v[18:19], v[18:19], 2, s[10:11]
	global_load_dword v18, v[18:19], off
	s_waitcnt vmcnt(0)
	v_sub_f32_e32 v18, s16, v18
	v_mul_f32_e32 v18, 0x3fb8aa3b, v18
	v_exp_f32_e32 v34, v18
.LBB354_60:
	s_or_b64 exec, exec, s[0:1]
	v_or_b32_e32 v26, 1, v36
	v_cmp_gt_i32_e64 s[0:1], s31, v26
	s_and_saveexec_b64 s[2:3], s[0:1]
	s_cbranch_execz .LBB354_62
; %bb.61:
	v_add_u32_e32 v18, s30, v26
	v_ashrrev_i32_e32 v19, 31, v18
	v_mul_lo_u32 v20, v19, s34
	v_mul_lo_u32 v21, v18, s35
	v_mad_u64_u32 v[18:19], s[4:5], v18, s34, 0
	v_add3_u32 v19, v19, v21, v20
	v_lshl_add_u64 v[18:19], v[18:19], 2, s[10:11]
	global_load_dword v18, v[18:19], off
	s_waitcnt vmcnt(0)
	v_sub_f32_e32 v18, s16, v18
	v_mul_f32_e32 v18, 0x3fb8aa3b, v18
	v_exp_f32_e32 v32, v18
.LBB354_62:
	s_or_b64 exec, exec, s[2:3]
	v_or_b32_e32 v27, 2, v36
	v_cmp_gt_i32_e64 s[2:3], s31, v27
	v_mov_b32_e32 v33, 0
	v_mov_b32_e32 v37, 0
	s_and_saveexec_b64 s[4:5], s[2:3]
	s_cbranch_execz .LBB354_64
; %bb.63:
	v_add_u32_e32 v18, s30, v27
	v_ashrrev_i32_e32 v19, 31, v18
	v_mul_lo_u32 v20, v19, s34
	v_mul_lo_u32 v21, v18, s35
	v_mad_u64_u32 v[18:19], s[6:7], v18, s34, 0
	v_add3_u32 v19, v19, v21, v20
	v_lshl_add_u64 v[18:19], v[18:19], 2, s[10:11]
	global_load_dword v18, v[18:19], off
	s_waitcnt vmcnt(0)
	v_sub_f32_e32 v18, s16, v18
	v_mul_f32_e32 v18, 0x3fb8aa3b, v18
	v_exp_f32_e32 v37, v18
.LBB354_64:
	s_or_b64 exec, exec, s[4:5]
	v_or_b32_e32 v42, 3, v36
	v_cmp_gt_i32_e64 s[4:5], s31, v42
	s_and_saveexec_b64 s[6:7], s[4:5]
	s_cbranch_execz .LBB354_66
; %bb.65:
	v_add_u32_e32 v18, s30, v42
	v_ashrrev_i32_e32 v19, 31, v18
	v_mul_lo_u32 v20, v19, s34
	v_mul_lo_u32 v21, v18, s35
	v_mad_u64_u32 v[18:19], s[18:19], v18, s34, 0
	v_add3_u32 v19, v19, v21, v20
	v_lshl_add_u64 v[18:19], v[18:19], 2, s[10:11]
	global_load_dword v18, v[18:19], off
	s_waitcnt vmcnt(0)
	v_sub_f32_e32 v18, s16, v18
	v_mul_f32_e32 v18, 0x3fb8aa3b, v18
	v_exp_f32_e32 v33, v18
.LBB354_66:
	s_or_b64 exec, exec, s[6:7]
	s_add_u32 s6, s8, s24
	v_accvgpr_read_b32 v21, a7
	s_addc_u32 s7, s9, s25
	v_ashrrev_i32_e32 v57, 31, v56
	v_accvgpr_read_b32 v20, a6
	v_accvgpr_read_b32 v19, a5
	;; [unrolled: 1-line block ×3, first 2 shown]
	v_lshl_add_u64 v[22:23], v[56:57], 1, s[6:7]
	v_mov_b32_e32 v29, 0
	v_lshlrev_b32_e32 v24, 8, v36
	v_mov_b32_e32 v25, 0
	s_and_saveexec_b64 s[6:7], vcc
	s_cbranch_execz .LBB354_68
; %bb.67:
	v_mov_b32_e32 v25, 0
	v_lshl_add_u64 v[30:31], v[22:23], 0, v[24:25]
	global_load_ushort v25, v[30:31], off
	s_waitcnt vmcnt(0)
	v_lshlrev_b32_e32 v25, 16, v25
	v_sub_f32_e32 v18, v25, v18
	v_mul_f32_e32 v18, v34, v18
	v_lshrrev_b32_e32 v25, 16, v18
.LBB354_68:
	s_or_b64 exec, exec, s[6:7]
	v_lshlrev_b32_e32 v28, 8, v26
	s_and_saveexec_b64 s[6:7], s[0:1]
	s_cbranch_execz .LBB354_70
; %bb.69:
	v_mov_b32_e32 v29, 0
	v_lshl_add_u64 v[30:31], v[22:23], 0, v[28:29]
	global_load_ushort v18, v[30:31], off
	s_waitcnt vmcnt(0)
	v_lshlrev_b32_e32 v18, 16, v18
	v_sub_f32_e32 v18, v18, v19
	v_mul_f32_e32 v18, v32, v18
	v_lshrrev_b32_e32 v29, 16, v18
.LBB354_70:
	s_or_b64 exec, exec, s[6:7]
	v_mov_b32_e32 v43, 0
	v_lshlrev_b32_e32 v30, 8, v27
	v_mov_b32_e32 v31, 0
	s_and_saveexec_b64 s[6:7], s[2:3]
	s_cbranch_execz .LBB354_72
; %bb.71:
	v_mov_b32_e32 v31, 0
	v_lshl_add_u64 v[18:19], v[22:23], 0, v[30:31]
	global_load_ushort v18, v[18:19], off
	s_waitcnt vmcnt(0)
	v_lshlrev_b32_e32 v18, 16, v18
	v_sub_f32_e32 v18, v18, v20
	v_mul_f32_e32 v18, v37, v18
	v_lshrrev_b32_e32 v31, 16, v18
.LBB354_72:
	s_or_b64 exec, exec, s[6:7]
	v_lshlrev_b32_e32 v26, 8, v42
	s_and_saveexec_b64 s[6:7], s[4:5]
	s_cbranch_execz .LBB354_74
; %bb.73:
	v_mov_b32_e32 v27, 0
	v_lshl_add_u64 v[18:19], v[22:23], 0, v[26:27]
	global_load_ushort v18, v[18:19], off
	s_waitcnt vmcnt(0)
	v_lshlrev_b32_e32 v18, 16, v18
	v_sub_f32_e32 v18, v18, v21
	v_mul_f32_e32 v18, v33, v18
	v_lshrrev_b32_e32 v43, 16, v18
.LBB354_74:
	s_or_b64 exec, exec, s[6:7]
	v_lshlrev_b32_e32 v36, 5, v36
	s_mov_b32 s6, 0x5040100
	v_perm_b32 v42, v29, v25, s6
	v_or_b32_e32 v25, v36, v38
	v_accvgpr_read_b32 v21, a3
	v_perm_b32 v43, v43, v31, s6
	v_lshlrev_b32_e32 v25, 1, v25
	v_accvgpr_read_b32 v20, a2
	v_accvgpr_read_b32 v19, a1
	;; [unrolled: 1-line block ×3, first 2 shown]
	ds_write_b64 v25, v[42:43] offset:45056
	v_mov_b32_e32 v29, 0
	v_mov_b32_e32 v25, 0
	s_and_saveexec_b64 s[6:7], vcc
	s_cbranch_execz .LBB354_76
; %bb.75:
	v_mov_b32_e32 v25, 0
	v_lshl_add_u64 v[24:25], v[22:23], 0, v[24:25]
	global_load_ushort v24, v[24:25], off offset:32
	s_waitcnt vmcnt(0)
	v_lshlrev_b32_e32 v24, 16, v24
	v_sub_f32_e32 v18, v24, v18
	v_mul_f32_e32 v18, v34, v18
	v_lshrrev_b32_e32 v25, 16, v18
.LBB354_76:
	s_or_b64 exec, exec, s[6:7]
	s_and_saveexec_b64 s[6:7], s[0:1]
	s_cbranch_execz .LBB354_78
; %bb.77:
	v_mov_b32_e32 v29, 0
	v_lshl_add_u64 v[28:29], v[22:23], 0, v[28:29]
	global_load_ushort v18, v[28:29], off offset:32
	s_waitcnt vmcnt(0)
	v_lshlrev_b32_e32 v18, 16, v18
	v_sub_f32_e32 v18, v18, v19
	v_mul_f32_e32 v18, v32, v18
	v_lshrrev_b32_e32 v29, 16, v18
.LBB354_78:
	s_or_b64 exec, exec, s[6:7]
	v_mov_b32_e32 v24, 0
	v_mov_b32_e32 v28, 0
	s_and_saveexec_b64 s[0:1], s[2:3]
	s_cbranch_execz .LBB354_80
; %bb.79:
	v_mov_b32_e32 v31, 0
	v_lshl_add_u64 v[18:19], v[22:23], 0, v[30:31]
	global_load_ushort v18, v[18:19], off offset:32
	s_waitcnt vmcnt(0)
	v_lshlrev_b32_e32 v18, 16, v18
	v_sub_f32_e32 v18, v18, v20
	v_mul_f32_e32 v18, v37, v18
	v_lshrrev_b32_e32 v28, 16, v18
.LBB354_80:
	s_or_b64 exec, exec, s[0:1]
	v_or_b32_e32 v19, 0xb000, v40
	v_or_b32_e32 v18, 0xb000, v41
	s_and_saveexec_b64 s[0:1], s[4:5]
	s_cbranch_execz .LBB354_82
; %bb.81:
	v_mov_b32_e32 v27, 0
	v_lshl_add_u64 v[22:23], v[22:23], 0, v[26:27]
	global_load_ushort v20, v[22:23], off offset:32
	s_waitcnt vmcnt(0)
	v_lshlrev_b32_e32 v20, 16, v20
	v_sub_f32_e32 v20, v20, v21
	v_mul_f32_e32 v20, v33, v20
	v_lshrrev_b32_e32 v24, 16, v20
.LBB354_82:
	s_or_b64 exec, exec, s[0:1]
	s_mov_b32 s0, 0x5040100
	v_or_b32_e32 v22, v36, v35
	v_perm_b32 v21, v24, v28, s0
	v_perm_b32 v20, v29, v25, s0
	v_lshlrev_b32_e32 v22, 1, v22
	s_movk_i32 s0, 0x100
	ds_write_b64 v22, v[20:21] offset:45056
	v_and_b32_e32 v20, 7, v0
	v_and_b32_e32 v21, 8, v0
	v_cmp_gt_u32_e32 vcc, s0, v0
	v_lshrrev_b32_e32 v0, 1, v0
	v_lshlrev_b32_e32 v37, 3, v1
	v_and_b32_e32 v38, 24, v0
	v_lshlrev_b32_e32 v34, 3, v20
	v_lshlrev_b32_e32 v35, 7, v20
	v_mov_b32_e32 v20, 0x4000
	v_mov_b32_e32 v22, 0x2000
	v_xor_b32_e32 v0, v37, v38
	v_cndmask_b32_e32 v36, v20, v22, vcc
	v_or_b32_e32 v1, 0x440, v0
	v_cmp_eq_u32_e32 vcc, 0, v21
	s_waitcnt lgkmcnt(0)
	s_barrier
	v_cndmask_b32_e32 v0, v1, v0, vcc
	v_or_b32_e32 v0, v0, v39
	v_xad_u32 v40, v0, v34, v35
	v_add_u32_e32 v0, v36, v40
	ds_read_b64 v[0:1], v0
	ds_read2_b64 v[20:23], v19 offset1:16
	v_or_b32_e32 v24, 32, v38
	v_xor_b32_e32 v24, v37, v24
	v_or_b32_e32 v25, 0x440, v24
	v_cndmask_b32_e32 v24, v25, v24, vcc
	s_waitcnt lgkmcnt(0)
	v_mfma_f32_16x16x16_bf16 a[0:3], v[0:1], v[20:21], 0
	v_or_b32_e32 v24, v24, v39
	v_xad_u32 v41, v24, v34, v35
	v_add_u32_e32 v24, v36, v41
	v_mfma_f32_16x16x16_bf16 a[4:7], v[0:1], v[22:23], 0
	v_or_b32_e32 v0, 64, v38
	v_xor_b32_e32 v0, v37, v0
	v_xor_b32_e32 v1, 0x440, v0
	ds_read_b64 v[32:33], v24
	v_cndmask_b32_e32 v0, v1, v0, vcc
	v_or_b32_e32 v0, v0, v39
	v_xad_u32 v42, v0, v34, v35
	v_add_u32_e32 v0, v36, v42
	ds_read_b64 v[0:1], v0
	ds_read2st64_b64 v[24:27], v19 offset0:2 offset1:4
	ds_read2st64_b64 v[28:31], v18 offset0:2 offset1:4
	s_waitcnt lgkmcnt(1)
	v_mfma_f32_16x16x16_bf16 a[0:3], v[32:33], v[24:25], a[0:3]
	s_waitcnt lgkmcnt(0)
	v_mfma_f32_16x16x16_bf16 a[4:7], v[32:33], v[28:29], a[4:7]
	v_or_b32_e32 v32, 0x60, v38
	v_xor_b32_e32 v32, v37, v32
	v_xor_b32_e32 v33, 0x440, v32
	v_cndmask_b32_e32 v32, v33, v32, vcc
	v_or_b32_e32 v32, v32, v39
	v_xad_u32 v37, v32, v34, v35
	v_add_u32_e32 v32, v36, v37
	ds_read_b64 v[32:33], v32
	v_mfma_f32_16x16x16_bf16 a[0:3], v[0:1], v[26:27], a[0:3]
	v_mov_b32_e32 v36, 0x3fb8aa3b
	v_mfma_f32_16x16x16_bf16 a[4:7], v[0:1], v[30:31], a[4:7]
	ds_read_b64 v[0:1], v19 offset:3072
	ds_read_b64 v[34:35], v18 offset:3072
	;; [unrolled: 1-line block ×3, first 2 shown]
	s_waitcnt lgkmcnt(2)
	v_mfma_f32_16x16x16_bf16 a[0:3], v[32:33], v[0:1], a[0:3]
	s_waitcnt lgkmcnt(1)
	v_mfma_f32_16x16x16_bf16 a[4:7], v[32:33], v[34:35], a[4:7]
	ds_read_b64 v[32:33], v41 offset:16384
	s_waitcnt lgkmcnt(1)
	v_mfma_f32_16x16x16_bf16 a[8:11], v[18:19], v[20:21], 0
	v_mul_f32_e32 v20, s16, v36
	v_exp_f32_e32 v36, v20
	v_accvgpr_read_b32 v21, a3
	v_mfma_f32_16x16x16_bf16 a[12:15], v[18:19], v[22:23], 0
	ds_read_b64 v[22:23], v42 offset:16384
	v_accvgpr_read_b32 v18, a0
	v_fma_f32 v18, v2, v36, v18
	v_accvgpr_read_b32 v2, a1
	v_fma_f32 v19, v3, v36, v2
	;; [unrolled: 2-line block ×3, first 2 shown]
	ds_read_b64 v[2:3], v37 offset:16384
	s_waitcnt lgkmcnt(2)
	v_mfma_f32_16x16x16_bf16 a[8:11], v[32:33], v[24:25], a[8:11]
	v_accvgpr_read_b32 v4, a4
	v_fmac_f32_e32 v21, v5, v36
	v_mfma_f32_16x16x16_bf16 a[12:15], v[32:33], v[28:29], a[12:15]
	v_accvgpr_read_b32 v29, a7
	v_fmac_f32_e32 v29, v13, v36
	s_waitcnt lgkmcnt(1)
	v_mfma_f32_16x16x16_bf16 a[0:3], v[22:23], v[26:27], a[8:11]
	v_fma_f32 v26, v10, v36, v4
	v_accvgpr_read_b32 v4, a5
	v_fma_f32 v27, v11, v36, v4
	v_mfma_f32_16x16x16_bf16 a[8:11], v[22:23], v[30:31], a[12:15]
	v_accvgpr_read_b32 v4, a6
	v_fma_f32 v28, v12, v36, v4
	s_waitcnt lgkmcnt(0)
	v_mfma_f32_16x16x16_bf16 a[0:3], v[2:3], v[0:1], a[0:3]
	v_mfma_f32_16x16x16_bf16 a[4:7], v[2:3], v[34:35], a[8:11]
	s_nop 5
	v_accvgpr_read_b32 v0, a0
	v_fma_f32 v22, v6, v36, v0
	v_accvgpr_read_b32 v0, a1
	v_fma_f32 v23, v7, v36, v0
	;; [unrolled: 2-line block ×4, first 2 shown]
	v_accvgpr_read_b32 v0, a5
	v_accvgpr_read_b32 v25, a3
	v_fma_f32 v31, v15, v36, v0
	v_accvgpr_read_b32 v0, a6
	v_accvgpr_read_b32 v33, a7
	v_fmac_f32_e32 v25, v9, v36
	v_fma_f32 v32, v16, v36, v0
	v_fmac_f32_e32 v33, v17, v36
	v_mov_b64_e32 v[2:3], v[18:19]
	v_mov_b64_e32 v[4:5], v[20:21]
	;; [unrolled: 1-line block ×8, first 2 shown]
.LBB354_83:
	s_add_u32 s0, s12, s14
	s_addc_u32 s1, s13, s15
	v_lshl_add_u64 v[0:1], v[52:53], 1, s[0:1]
	v_mov_b32_e32 v51, 0
	s_mov_b32 s2, 0x7060302
	v_lshl_add_u64 v[0:1], v[0:1], 0, v[50:51]
	v_perm_b32 v5, v5, v4, s2
	v_perm_b32 v4, v3, v2, s2
	;; [unrolled: 1-line block ×4, first 2 shown]
	global_store_dwordx2 v[0:1], v[4:5], off
	global_store_dwordx2 v[0:1], v[2:3], off offset:128
	v_lshl_add_u64 v[0:1], v[54:55], 1, s[0:1]
	v_lshl_add_u64 v[0:1], v[0:1], 0, v[50:51]
	v_perm_b32 v3, v13, v12, s2
	v_perm_b32 v2, v11, v10, s2
	global_store_dwordx2 v[0:1], v[2:3], off
	v_perm_b32 v3, v17, v16, s2
	v_perm_b32 v2, v15, v14, s2
	global_store_dwordx2 v[0:1], v[2:3], off offset:128
	s_endpgm
	.section	.rodata,"a",@progbits
	.p2align	6, 0x0
	.amdhsa_kernel _ZN12_GLOBAL__N_139chunk_gated_delta_rule_fwd_h_hip_kernelILi32ELb1ELb1ELb0ELb1ELb0ELb0ELb1ELb1EEEvPK12hip_bfloat16S3_S3_PKfS5_PKvPS1_S8_PvPKiSB_iiiiilll
		.amdhsa_group_segment_fixed_size 49152
		.amdhsa_private_segment_fixed_size 0
		.amdhsa_kernarg_size 136
		.amdhsa_user_sgpr_count 2
		.amdhsa_user_sgpr_dispatch_ptr 0
		.amdhsa_user_sgpr_queue_ptr 0
		.amdhsa_user_sgpr_kernarg_segment_ptr 1
		.amdhsa_user_sgpr_dispatch_id 0
		.amdhsa_user_sgpr_kernarg_preload_length 0
		.amdhsa_user_sgpr_kernarg_preload_offset 0
		.amdhsa_user_sgpr_private_segment_size 0
		.amdhsa_uses_dynamic_stack 0
		.amdhsa_enable_private_segment 0
		.amdhsa_system_sgpr_workgroup_id_x 1
		.amdhsa_system_sgpr_workgroup_id_y 1
		.amdhsa_system_sgpr_workgroup_id_z 0
		.amdhsa_system_sgpr_workgroup_info 0
		.amdhsa_system_vgpr_workitem_id 0
		.amdhsa_next_free_vgpr 152
		.amdhsa_next_free_sgpr 64
		.amdhsa_accum_offset 136
		.amdhsa_reserve_vcc 1
		.amdhsa_float_round_mode_32 0
		.amdhsa_float_round_mode_16_64 0
		.amdhsa_float_denorm_mode_32 3
		.amdhsa_float_denorm_mode_16_64 3
		.amdhsa_dx10_clamp 1
		.amdhsa_ieee_mode 1
		.amdhsa_fp16_overflow 0
		.amdhsa_tg_split 0
		.amdhsa_exception_fp_ieee_invalid_op 0
		.amdhsa_exception_fp_denorm_src 0
		.amdhsa_exception_fp_ieee_div_zero 0
		.amdhsa_exception_fp_ieee_overflow 0
		.amdhsa_exception_fp_ieee_underflow 0
		.amdhsa_exception_fp_ieee_inexact 0
		.amdhsa_exception_int_div_zero 0
	.end_amdhsa_kernel
	.section	.text._ZN12_GLOBAL__N_139chunk_gated_delta_rule_fwd_h_hip_kernelILi32ELb1ELb1ELb0ELb1ELb0ELb0ELb1ELb1EEEvPK12hip_bfloat16S3_S3_PKfS5_PKvPS1_S8_PvPKiSB_iiiiilll,"axG",@progbits,_ZN12_GLOBAL__N_139chunk_gated_delta_rule_fwd_h_hip_kernelILi32ELb1ELb1ELb0ELb1ELb0ELb0ELb1ELb1EEEvPK12hip_bfloat16S3_S3_PKfS5_PKvPS1_S8_PvPKiSB_iiiiilll,comdat
.Lfunc_end354:
	.size	_ZN12_GLOBAL__N_139chunk_gated_delta_rule_fwd_h_hip_kernelILi32ELb1ELb1ELb0ELb1ELb0ELb0ELb1ELb1EEEvPK12hip_bfloat16S3_S3_PKfS5_PKvPS1_S8_PvPKiSB_iiiiilll, .Lfunc_end354-_ZN12_GLOBAL__N_139chunk_gated_delta_rule_fwd_h_hip_kernelILi32ELb1ELb1ELb0ELb1ELb0ELb0ELb1ELb1EEEvPK12hip_bfloat16S3_S3_PKfS5_PKvPS1_S8_PvPKiSB_iiiiilll
                                        ; -- End function
	.section	.AMDGPU.csdata,"",@progbits
; Kernel info:
; codeLenInByte = 9416
; NumSgprs: 70
; NumVgprs: 136
; NumAgprs: 16
; TotalNumVgprs: 152
; ScratchSize: 0
; MemoryBound: 0
; FloatMode: 240
; IeeeMode: 1
; LDSByteSize: 49152 bytes/workgroup (compile time only)
; SGPRBlocks: 8
; VGPRBlocks: 18
; NumSGPRsForWavesPerEU: 70
; NumVGPRsForWavesPerEU: 152
; AccumOffset: 136
; Occupancy: 1
; WaveLimiterHint : 1
; COMPUTE_PGM_RSRC2:SCRATCH_EN: 0
; COMPUTE_PGM_RSRC2:USER_SGPR: 2
; COMPUTE_PGM_RSRC2:TRAP_HANDLER: 0
; COMPUTE_PGM_RSRC2:TGID_X_EN: 1
; COMPUTE_PGM_RSRC2:TGID_Y_EN: 1
; COMPUTE_PGM_RSRC2:TGID_Z_EN: 0
; COMPUTE_PGM_RSRC2:TIDIG_COMP_CNT: 0
; COMPUTE_PGM_RSRC3_GFX90A:ACCUM_OFFSET: 33
; COMPUTE_PGM_RSRC3_GFX90A:TG_SPLIT: 0
	.section	.text._ZN12_GLOBAL__N_139chunk_gated_delta_rule_fwd_h_hip_kernelILi32ELb1ELb0ELb1ELb1ELb0ELb0ELb1ELb1EEEvPK12hip_bfloat16S3_S3_PKfS5_PKvPS1_S8_PvPKiSB_iiiiilll,"axG",@progbits,_ZN12_GLOBAL__N_139chunk_gated_delta_rule_fwd_h_hip_kernelILi32ELb1ELb0ELb1ELb1ELb0ELb0ELb1ELb1EEEvPK12hip_bfloat16S3_S3_PKfS5_PKvPS1_S8_PvPKiSB_iiiiilll,comdat
	.globl	_ZN12_GLOBAL__N_139chunk_gated_delta_rule_fwd_h_hip_kernelILi32ELb1ELb0ELb1ELb1ELb0ELb0ELb1ELb1EEEvPK12hip_bfloat16S3_S3_PKfS5_PKvPS1_S8_PvPKiSB_iiiiilll ; -- Begin function _ZN12_GLOBAL__N_139chunk_gated_delta_rule_fwd_h_hip_kernelILi32ELb1ELb0ELb1ELb1ELb0ELb0ELb1ELb1EEEvPK12hip_bfloat16S3_S3_PKfS5_PKvPS1_S8_PvPKiSB_iiiiilll
	.p2align	8
	.type	_ZN12_GLOBAL__N_139chunk_gated_delta_rule_fwd_h_hip_kernelILi32ELb1ELb0ELb1ELb1ELb0ELb0ELb1ELb1EEEvPK12hip_bfloat16S3_S3_PKfS5_PKvPS1_S8_PvPKiSB_iiiiilll,@function
_ZN12_GLOBAL__N_139chunk_gated_delta_rule_fwd_h_hip_kernelILi32ELb1ELb0ELb1ELb1ELb0ELb0ELb1ELb1EEEvPK12hip_bfloat16S3_S3_PKfS5_PKvPS1_S8_PvPKiSB_iiiiilll: ; @_ZN12_GLOBAL__N_139chunk_gated_delta_rule_fwd_h_hip_kernelILi32ELb1ELb0ELb1ELb1ELb0ELb0ELb1ELb1EEEvPK12hip_bfloat16S3_S3_PKfS5_PKvPS1_S8_PvPKiSB_iiiiilll
; %bb.0:
	s_load_dwordx4 s[12:15], s[0:1], 0x5c
	s_load_dwordx4 s[4:7], s[0:1], 0x48
	s_abs_i32 s9, s3
	s_ashr_i32 s8, s3, 31
	v_and_b32_e32 v63, 15, v0
	s_waitcnt lgkmcnt(0)
	s_abs_i32 s10, s13
	v_cvt_f32_u32_e32 v1, s10
	s_sub_i32 s16, 0, s10
	s_ashr_i32 s11, s13, 31
	s_xor_b32 s8, s8, s11
	v_rcp_iflag_f32_e32 v1, v1
	v_lshrrev_b32_e32 v61, 6, v0
	v_bfe_u32 v62, v0, 4, 2
	v_mov_b32_e32 v7, 0
	v_mul_f32_e32 v1, 0x4f7ffffe, v1
	v_cvt_u32_f32_e32 v1, v1
	v_and_b32_e32 v60, 63, v0
	v_lshlrev_b32_e32 v64, 3, v0
	v_lshrrev_b32_e32 v65, 3, v60
	v_readfirstlane_b32 s17, v1
	s_mul_i32 s16, s16, s17
	s_mul_hi_u32 s16, s17, s16
	s_add_i32 s17, s17, s16
	s_mul_hi_u32 s16, s9, s17
	s_mul_i32 s17, s16, s10
	s_sub_i32 s9, s9, s17
	s_add_i32 s18, s16, 1
	s_sub_i32 s17, s9, s10
	s_cmp_ge_u32 s9, s10
	s_cselect_b32 s16, s18, s16
	s_cselect_b32 s9, s17, s9
	s_add_i32 s17, s16, 1
	s_cmp_ge_u32 s9, s10
	s_cselect_b32 s9, s17, s16
	s_xor_b32 s9, s9, s8
	s_sub_i32 s20, s9, s8
	s_mul_i32 s24, s20, s13
	s_ashr_i32 s21, s20, 31
	s_sub_i32 s47, s3, s24
	s_lshl_b64 s[8:9], s[20:21], 2
	s_add_u32 s4, s4, s8
	s_addc_u32 s5, s5, s9
	s_add_u32 s22, s6, s8
	s_addc_u32 s23, s7, s9
	s_abs_i32 s3, s14
	v_cvt_f32_u32_e32 v1, s3
	s_load_dwordx2 s[34:35], s[4:5], 0x0
	s_sub_i32 s5, 0, s3
	s_lshl_b32 s2, s2, 5
	v_rcp_iflag_f32_e32 v1, v1
	s_load_dwordx4 s[16:19], s[0:1], 0x28
	s_load_dwordx2 s[28:29], s[0:1], 0x38
	s_waitcnt lgkmcnt(0)
	s_sub_i32 s50, s35, s34
	s_ashr_i32 s4, s50, 31
	v_mul_f32_e32 v1, 0x4f7ffffe, v1
	v_cvt_u32_f32_e32 v1, v1
	s_lshr_b32 s4, s4, 26
	s_add_i32 s4, s50, s4
	s_ashr_i32 s48, s4, 6
	v_readfirstlane_b32 s6, v1
	s_mul_i32 s5, s5, s6
	s_mul_hi_u32 s5, s6, s5
	s_add_i32 s6, s6, s5
	s_mul_hi_u32 s5, s10, s6
	s_mul_i32 s6, s5, s3
	s_ashr_i32 s4, s14, 31
	s_sub_i32 s6, s10, s6
	s_xor_b32 s4, s11, s4
	s_add_i32 s7, s5, 1
	s_sub_i32 s8, s6, s3
	s_cmp_ge_u32 s6, s3
	s_cselect_b32 s5, s7, s5
	s_cselect_b32 s6, s8, s6
	s_add_i32 s7, s5, 1
	s_cmp_ge_u32 s6, s3
	s_cselect_b32 s3, s7, s5
	s_xor_b32 s3, s3, s4
	s_sub_i32 s3, s3, s4
	s_abs_i32 s4, s3
	v_cvt_f32_u32_e32 v1, s4
	s_sub_i32 s6, 0, s4
	s_abs_i32 s5, s47
	s_xor_b32 s3, s47, s3
	v_rcp_iflag_f32_e32 v1, v1
	s_ashr_i32 s3, s3, 31
	v_or_b32_e32 v50, s2, v63
	v_lshlrev_b32_e32 v2, 7, v50
	v_mul_f32_e32 v1, 0x4f7ffffe, v1
	v_cvt_u32_f32_e32 v1, v1
	v_ashrrev_i32_e32 v3, 31, v2
	s_mul_hi_i32 s52, s47, s12
	s_mul_i32 s53, s47, s12
	v_readfirstlane_b32 s7, v1
	s_mul_i32 s6, s6, s7
	s_mul_hi_u32 s6, s7, s6
	s_add_i32 s7, s7, s6
	s_mul_hi_u32 s6, s5, s7
	s_mul_i32 s7, s6, s4
	s_sub_i32 s5, s5, s7
	s_add_i32 s7, s6, 1
	s_sub_i32 s8, s5, s4
	s_cmp_ge_u32 s5, s4
	s_cselect_b32 s6, s7, s6
	s_cselect_b32 s5, s8, s5
	s_add_i32 s7, s6, 1
	s_cmp_ge_u32 s5, s4
	s_cselect_b32 s4, s7, s6
	s_xor_b32 s4, s4, s3
	s_sub_i32 s51, s4, s3
	s_ashr_i32 s49, s47, 31
	s_mul_hi_i32 s3, s20, s13
	s_add_u32 s4, s24, s47
	s_addc_u32 s5, s3, s49
	s_lshl_b64 s[4:5], s[4:5], 15
	s_add_u32 s4, s16, s4
	s_addc_u32 s5, s17, s5
	v_lshlrev_b32_e32 v1, 4, v61
	v_lshl_add_u64 v[4:5], v[2:3], 1, s[4:5]
	v_or_b32_e32 v2, 0x800, v2
	v_lshl_or_b32 v66, v62, 2, v1
	v_ashrrev_i32_e32 v3, 31, v2
	v_lshlrev_b32_e32 v6, 1, v66
	v_lshl_add_u64 v[2:3], v[2:3], 1, s[4:5]
	v_lshl_add_u64 v[4:5], v[4:5], 0, v[6:7]
	;; [unrolled: 1-line block ×3, first 2 shown]
	global_load_dwordx2 v[8:9], v[4:5], off
	v_or_b32_e32 v67, 64, v66
	global_load_dwordx2 v[4:5], v[4:5], off offset:128
	s_nop 0
	global_load_dwordx2 v[6:7], v[2:3], off
	global_load_dwordx2 v[10:11], v[2:3], off offset:128
	s_load_dwordx8 s[4:11], s[0:1], 0x0
	s_load_dwordx2 s[30:31], s[0:1], 0x80
	s_load_dwordx4 s[24:27], s[0:1], 0x70
	s_load_dword s54, s[22:23], 0x0
	s_cmp_lt_i32 s50, 64
	s_waitcnt lgkmcnt(0)
	s_mul_i32 s33, s20, s25
	s_mul_hi_u32 s42, s20, s24
	s_mul_i32 s36, s20, s24
	s_mul_i32 s43, s21, s24
	;; [unrolled: 1-line block ×3, first 2 shown]
	s_mul_hi_u32 s45, s47, s26
	s_mul_i32 s46, s49, s26
	s_mul_i32 s38, s47, s26
	s_waitcnt vmcnt(3)
	v_and_b32_e32 v19, 0xffff0000, v8
	v_lshlrev_b32_e32 v18, 16, v8
	v_and_b32_e32 v21, 0xffff0000, v9
	v_lshlrev_b32_e32 v20, 16, v9
	s_waitcnt vmcnt(2)
	v_and_b32_e32 v23, 0xffff0000, v4
	v_lshlrev_b32_e32 v22, 16, v4
	v_and_b32_e32 v25, 0xffff0000, v5
	v_lshlrev_b32_e32 v24, 16, v5
	;; [unrolled: 5-line block ×4, first 2 shown]
	s_cbranch_scc1 .LBB355_17
; %bb.1:
	s_ashr_i32 s1, s34, 31
	s_add_u32 s0, s53, s34
	s_addc_u32 s1, s52, s1
	s_lshl_b64 s[0:1], s[0:1], 8
	v_and_b32_e32 v69, 56, v64
	s_add_u32 s20, s6, s0
	v_lshl_or_b32 v68, v61, 3, v65
	v_lshlrev_b32_e32 v2, 1, v69
	s_addc_u32 s0, s7, s1
	v_lshl_or_b32 v70, v68, 8, v2
	s_and_b32 s21, s0, 0xffff
	s_mov_b32 s23, 0x20000
	s_movk_i32 s22, 0x4000
	s_movk_i32 s0, 0x80
	v_or_b32_e32 v71, 0x2000, v70
	buffer_load_dwordx4 v[4:7], v70, s[20:23], 0 offen
	buffer_load_dwordx4 v[8:11], v70, s[20:23], s0 offen
	;; [unrolled: 1-line block ×4, first 2 shown]
	v_lshlrev_b32_e32 v3, 3, v68
	v_and_or_b32 v17, v0, 7, v3
	v_and_b32_e32 v3, 0x78, v3
	v_lshlrev_b32_e32 v17, 4, v17
	v_xor_b32_e32 v72, v17, v3
	v_mul_lo_u32 v16, v68, s15
	v_or_b32_e32 v73, 0x1000, v72
	v_xor_b32_e32 v3, 8, v72
	s_cmpk_eq_i32 s15, 0x80
	s_mov_b32 s55, s34
	v_xor_b32_e32 v17, 8, v73
	s_cselect_b64 s[0:1], -1, 0
	s_cmpk_lg_i32 s15, 0x80
	s_waitcnt vmcnt(3)
	ds_write_b64 v72, v[4:5] offset:24576
	ds_write_b64 v3, v[6:7] offset:24576
	s_waitcnt vmcnt(2)
	ds_write_b64 v72, v[8:9] offset:32768
	ds_write_b64 v3, v[10:11] offset:32768
	;; [unrolled: 3-line block ×4, first 2 shown]
	v_lshl_add_u32 v3, v16, 1, v69
	s_cbranch_scc0 .LBB355_3
; %bb.2:
	v_lshlrev_b32_e32 v5, 1, v3
	v_add_lshl_u32 v4, v3, s15, 1
	s_lshl_b32 s22, s15, 7
	v_lshl_or_b32 v2, v68, 9, v2
	s_cbranch_execz .LBB355_4
	s_branch .LBB355_5
.LBB355_3:
                                        ; implicit-def: $vgpr4
                                        ; implicit-def: $vgpr5
                                        ; implicit-def: $sgpr22
	v_lshl_or_b32 v2, v68, 9, v2
.LBB355_4:
	v_or_b32_e32 v4, 0x100, v2
	s_movk_i32 s22, 0x4000
	v_mov_b32_e32 v5, v2
.LBB355_5:
	s_mul_i32 s16, s34, s14
	s_ashr_i32 s56, s51, 31
	s_mul_hi_i32 s3, s34, s14
	s_add_u32 s16, s16, s51
	s_addc_u32 s17, s3, s56
	s_lshl_b64 s[16:17], s[16:17], 8
	s_add_u32 s20, s4, s16
	s_addc_u32 s3, s5, s17
	s_and_b32 s21, s3, 0xffff
	s_movk_i32 s57, 0x80
	buffer_load_dwordx4 v[6:9], v5, s[20:23], 0 offen
	buffer_load_dwordx4 v[10:13], v5, s[20:23], s57 offen
	;; [unrolled: 1-line block ×4, first 2 shown]
	v_and_b32_e32 v4, 6, v0
	v_lshlrev_b32_e32 v39, 6, v66
	v_or_b32_e32 v41, 16, v63
	v_xor_b32_e32 v42, v68, v4
	v_and_b32_e32 v5, 1, v0
	v_lshl_or_b32 v45, v63, 3, v39
	v_lshl_or_b32 v39, v41, 3, v39
	v_lshlrev_b32_e32 v42, 2, v42
	v_lshlrev_b32_e32 v38, 2, v63
	v_or_b32_e32 v76, 0xa000, v39
	v_or_b32_e32 v77, 0xb000, v39
	v_xor_b32_e32 v39, 0x440, v42
	v_cmp_eq_u32_e32 vcc, 0, v5
	s_add_i32 s3, s42, s33
	v_xor_b32_e32 v43, v66, v38
	v_xor_b32_e32 v44, v67, v38
	v_cndmask_b32_e32 v5, v39, v42, vcc
	s_add_i32 s16, s45, s44
	s_add_i32 s37, s3, s43
	s_mov_b32 s58, 0x1000504
	v_lshlrev_b32_e32 v40, 8, v63
	v_lshlrev_b32_e32 v41, 8, v41
	;; [unrolled: 1-line block ×4, first 2 shown]
	v_lshl_or_b32 v4, v4, 10, v5
	s_add_i32 s39, s16, s46
	s_lshl_b64 s[16:17], s[36:37], 2
	s_mov_b32 s59, 0x3020706
	v_or_b32_e32 v74, 0xa000, v45
	v_or_b32_e32 v75, 0xb000, v45
	;; [unrolled: 1-line block ×5, first 2 shown]
	v_xor_b32_e32 v5, 8, v4
	v_xor_b32_e32 v40, 24, v4
	;; [unrolled: 1-line block ×4, first 2 shown]
	s_add_u32 s3, s10, s16
	v_or_b32_e32 v80, v41, v43
	v_xor_b32_e32 v39, 16, v4
	v_xor_b32_e32 v41, 32, v4
	;; [unrolled: 1-line block ×3, first 2 shown]
	v_add_u32_e32 v5, 0x80, v5
	v_add_u32_e32 v40, 0x80, v40
	;; [unrolled: 1-line block ×4, first 2 shown]
	s_addc_u32 s20, s11, s17
	s_lshl_b64 s[16:17], s[38:39], 2
	s_add_u32 s16, s3, s16
	s_movk_i32 s3, 0xf8
	s_addc_u32 s17, s20, s17
	s_lshl_b32 s26, s15, 7
	s_movk_i32 s24, 0x100
	v_mov_b32_e32 v53, 0
	v_lshlrev_b32_e32 v52, 4, v63
	v_cmp_gt_u32_e32 vcc, s24, v0
	v_ashrrev_i32_e32 v51, 31, v50
	s_mov_b32 s60, 0
	s_movk_i32 s37, 0x1000
	s_movk_i32 s22, 0x4000
	v_mov_b32_e32 v102, 0x3fb8aa3b
	s_waitcnt vmcnt(1)
	v_perm_b32 v45, v6, v14, s58
	s_waitcnt vmcnt(0)
	v_perm_b32 v46, v10, v34, s58
	v_perm_b32 v6, v6, v14, s59
	;; [unrolled: 1-line block ×15, first 2 shown]
	ds_write2st64_b32 v4, v45, v46 offset0:32 offset1:64
	ds_write2st64_b32 v5, v6, v10 offset0:32 offset1:64
	;; [unrolled: 1-line block ×8, first 2 shown]
	v_or_b32_e32 v4, v1, v63
	v_lshlrev_b32_e32 v4, 3, v4
	v_lshrrev_b32_e32 v7, 5, v60
	v_and_or_b32 v7, v4, s3, v7
	v_lshlrev_b32_e32 v7, 4, v7
	v_lshlrev_b32_e32 v5, 11, v61
	v_and_b32_e32 v4, 0x78, v4
	v_or_b32_e32 v12, 32, v7
	v_and_b32_e32 v6, 0x1000, v5
	v_lshrrev_b32_e32 v9, 1, v0
	v_xor_b32_e32 v12, v12, v4
	v_and_b32_e32 v10, 8, v9
	v_or_b32_e32 v12, v12, v6
	v_xor_b32_e32 v8, v7, v4
	v_xor_b32_e32 v84, v12, v10
	v_or_b32_e32 v12, 64, v7
	v_or_b32_e32 v7, 0x60, v7
	s_ashr_i32 s3, s2, 31
	v_xor_b32_e32 v12, v12, v4
	v_xor_b32_e32 v4, v7, v4
	s_lshl_b64 s[20:21], s[2:3], 8
	v_or_b32_e32 v8, v8, v6
	v_or_b32_e32 v12, v12, v6
	v_or_b32_e32 v4, v4, v6
	s_add_u32 s20, s18, s20
	v_lshlrev_b32_e32 v6, 1, v63
	v_xor_b32_e32 v86, v12, v10
	v_lshrrev_b32_e32 v12, 4, v0
	s_addc_u32 s21, s19, s21
	v_or_b32_e32 v7, 1, v6
	v_mov_b32_e32 v16, 0x4000
	v_mov_b32_e32 v17, 0x2000
	v_xor_b32_e32 v13, v12, v6
	v_xor_b32_e32 v14, v7, v12
	v_lshl_add_u64 v[6:7], s[20:21], 0, v[52:53]
	v_lshlrev_b32_e32 v52, 8, v12
	v_cndmask_b32_e32 v16, v16, v17, vcc
	v_lshlrev_b32_e32 v17, 3, v61
	v_and_b32_e32 v9, 24, v9
	v_lshl_or_b32 v90, v13, 3, v52
	v_and_b32_e32 v13, 8, v0
	v_xor_b32_e32 v34, v17, v9
	v_or_b32_e32 v35, 0x440, v34
	v_cmp_eq_u32_e32 vcc, 0, v13
	v_and_b32_e32 v12, 7, v0
	v_xor_b32_e32 v82, v8, v10
	v_cndmask_b32_e32 v13, v35, v34, vcc
	v_lshlrev_b32_e32 v8, 7, v62
	v_lshl_or_b32 v91, v14, 3, v52
	v_lshlrev_b32_e32 v14, 3, v12
	v_lshlrev_b32_e32 v12, 7, v12
	;; [unrolled: 1-line block ×3, first 2 shown]
	v_or_b32_e32 v13, v13, v5
	v_or_b32_e32 v11, v8, v38
	v_xad_u32 v92, v13, v14, v12
	v_and_or_b32 v8, v15, 60, v8
	v_mov_b32_e32 v13, 0xb000
	v_lshl_or_b32 v93, v8, 1, v13
	v_or_b32_e32 v8, 32, v9
	v_xor_b32_e32 v8, v17, v8
	v_or_b32_e32 v13, 0x440, v8
	v_cndmask_b32_e32 v8, v13, v8, vcc
	v_or_b32_e32 v8, v8, v5
	v_xad_u32 v94, v8, v14, v12
	v_or_b32_e32 v8, 64, v9
	v_xor_b32_e32 v8, v17, v8
	v_xor_b32_e32 v13, 0x440, v8
	v_cndmask_b32_e32 v8, v13, v8, vcc
	v_or_b32_e32 v8, v8, v5
	v_xad_u32 v95, v8, v14, v12
	v_or_b32_e32 v8, 0x60, v9
	v_xor_b32_e32 v8, v17, v8
	v_xor_b32_e32 v9, 0x440, v8
	v_lshlrev_b32_e32 v11, 1, v11
	v_cndmask_b32_e32 v8, v9, v8, vcc
	v_or_b32_e32 v83, 0xa000, v11
	v_or_b32_e32 v85, 0xa080, v11
	v_xor_b32_e32 v87, v4, v10
	v_or_b32_e32 v88, 0xb000, v11
	v_or_b32_e32 v89, 0xb080, v11
	v_lshlrev_b32_e32 v10, 1, v3
	v_add_lshl_u32 v3, v3, s15, 1
	v_or_b32_e32 v11, 0x100, v2
	v_or_b32_e32 v5, v8, v5
	v_lshlrev_b32_e32 v4, 7, v66
	v_xad_u32 v96, v5, v14, v12
	v_cndmask_b32_e64 v97, v10, v2, s[0:1]
	v_cndmask_b32_e64 v98, v3, v11, s[0:1]
	v_lshlrev_b64 v[2:3], 1, v[50:51]
	v_lshl_add_u64 v[54:55], s[8:9], 0, v[2:3]
	v_lshl_add_u64 v[56:57], s[28:29], 0, v[2:3]
	;; [unrolled: 1-line block ×3, first 2 shown]
	v_lshlrev_b32_e32 v52, 1, v4
	v_add_u32_e32 v51, v16, v92
	v_add_u32_e32 v99, v16, v94
	;; [unrolled: 1-line block ×4, first 2 shown]
	v_mov_b64_e32 v[2:3], v[18:19]
	s_mov_b32 s3, 0x7060302
	v_mov_b64_e32 v[4:5], v[20:21]
	v_mov_b64_e32 v[6:7], v[22:23]
	;; [unrolled: 1-line block ×7, first 2 shown]
	s_waitcnt lgkmcnt(0)
	s_barrier
	s_branch .LBB355_7
.LBB355_6:                              ;   in Loop: Header=BB355_7 Depth=1
	v_mul_f32_e32 v22, s20, v102
	s_waitcnt vmcnt(2)
	v_exp_f32_e32 v34, v22
	v_accvgpr_read_b32 v21, a7
	v_accvgpr_read_b32 v19, a5
	;; [unrolled: 1-line block ×16, first 2 shown]
	v_fma_f32 v18, v2, v34, v18
	v_fma_f32 v19, v3, v34, v19
	v_fma_f32 v20, v4, v34, v20
	v_fmac_f32_e32 v21, v5, v34
	v_fma_f32 v26, v10, v34, v26
	v_fma_f32 v27, v11, v34, v27
	v_fma_f32 v28, v12, v34, v28
	v_fmac_f32_e32 v29, v13, v34
	;; [unrolled: 4-line block ×4, first 2 shown]
	s_add_i32 s55, s55, 64
	v_mov_b64_e32 v[2:3], v[18:19]
	s_cmp_eq_u32 s48, s39
	s_mov_b32 s60, s39
	v_mov_b64_e32 v[4:5], v[20:21]
	v_mov_b64_e32 v[6:7], v[22:23]
	;; [unrolled: 1-line block ×7, first 2 shown]
	s_cbranch_scc1 .LBB355_17
.LBB355_7:                              ; =>This Inner Loop Header: Depth=1
	s_add_i32 s39, s60, 1
	s_cmp_lt_i32 s39, s48
	s_mov_b64 s[24:25], 0
	s_cselect_b64 s[40:41], -1, 0
	s_cmp_ge_i32 s39, s48
	s_mov_b64 s[20:21], 0
	s_cbranch_scc1 .LBB355_9
; %bb.8:                                ;   in Loop: Header=BB355_7 Depth=1
	s_add_i32 s0, s55, 64
	s_ashr_i32 s1, s0, 31
	s_add_u32 s0, s53, s0
	s_addc_u32 s1, s52, s1
	s_lshl_b64 s[0:1], s[0:1], 8
	s_add_u32 s20, s6, s0
	s_addc_u32 s21, s7, s1
.LBB355_9:                              ;   in Loop: Header=BB355_7 Depth=1
	v_cndmask_b32_e64 v18, 0, 1, s[40:41]
	v_cmp_ne_u32_e64 s[0:1], 1, v18
	s_andn2_b64 vcc, exec, s[40:41]
	s_cbranch_vccnz .LBB355_11
; %bb.10:                               ;   in Loop: Header=BB355_7 Depth=1
	s_add_i32 s24, s55, 64
	s_mul_hi_i32 s25, s24, s14
	s_mul_i32 s24, s24, s14
	s_add_u32 s24, s24, s51
	s_addc_u32 s25, s25, s56
	s_lshl_b64 s[24:25], s[24:25], 8
	s_add_u32 s24, s4, s24
	s_addc_u32 s25, s5, s25
.LBB355_11:                             ;   in Loop: Header=BB355_7 Depth=1
	v_perm_b32 v19, v5, v4, s3
	v_perm_b32 v18, v3, v2, s3
	;; [unrolled: 1-line block ×4, first 2 shown]
	ds_write_b64 v74, v[18:19]
	ds_write_b64 v75, v[20:21]
	;; [unrolled: 1-line block ×4, first 2 shown]
	v_perm_b32 v19, v13, v12, s3
	v_perm_b32 v18, v11, v10, s3
	;; [unrolled: 1-line block ×4, first 2 shown]
	ds_write_b64 v76, v[18:19]
	ds_write_b64 v77, v[20:21]
	;; [unrolled: 1-line block ×4, first 2 shown]
	s_waitcnt lgkmcnt(0)
	s_barrier
	ds_read_b64 v[22:23], v82 offset:24576
	ds_read2_b64 v[18:21], v83 offset1:16
	ds_read_b64 v[26:27], v85 offset:3072
	ds_read_b64 v[28:29], v83 offset:3072
	;; [unrolled: 1-line block ×3, first 2 shown]
	s_waitcnt lgkmcnt(3)
	v_mfma_f32_16x16x16_bf16 a[0:3], v[22:23], v[18:19], 0
	s_add_i32 s27, s55, 63
	s_ashr_i32 s40, s27, 31
	s_mul_i32 s41, s27, s31
	v_mfma_f32_16x16x16_bf16 a[4:7], v[22:23], v[20:21], 0
	ds_read2st64_b64 v[18:21], v83 offset0:2 offset1:4
	s_mul_hi_u32 s61, s27, s30
	s_add_i32 s41, s61, s41
	s_waitcnt lgkmcnt(0)
	v_mfma_f32_16x16x16_bf16 a[0:3], v[30:31], v[18:19], a[0:3]
	ds_read2st64_b64 v[22:25], v85 offset0:2 offset1:4
	ds_read_b64 v[18:19], v86 offset:24576
	s_mul_i32 s40, s40, s30
	s_add_i32 s41, s41, s40
	s_waitcnt lgkmcnt(1)
	v_mfma_f32_16x16x16_bf16 a[4:7], v[30:31], v[22:23], a[4:7]
	ds_read_b64 v[22:23], v87 offset:24576
	s_mul_i32 s40, s27, s30
	s_lshl_b64 s[40:41], s[40:41], 2
	s_waitcnt lgkmcnt(1)
	v_mfma_f32_16x16x16_bf16 a[0:3], v[18:19], v[20:21], a[0:3]
	s_add_u32 s40, s16, s40
	s_addc_u32 s41, s17, s41
	s_and_b64 vcc, exec, s[0:1]
	v_mfma_f32_16x16x16_bf16 a[8:11], v[18:19], v[24:25], a[4:7]
	v_mov_b32_e32 v105, 0
	v_mov_b32_e32 v104, 0
	v_mov_b32_e32 v103, 0
	s_waitcnt lgkmcnt(0)
	v_mfma_f32_16x16x16_bf16 a[4:7], v[22:23], v[28:29], a[0:3]
	v_mov_b32_e32 v18, 0
	v_mov_b32_e32 v19, 0
	;; [unrolled: 1-line block ×3, first 2 shown]
	v_mfma_f32_16x16x16_bf16 a[0:3], v[22:23], v[26:27], a[8:11]
	v_mov_b32_e32 v21, 0
	v_mov_b32_e32 v22, 0
	v_mov_b32_e32 v23, 0
	v_mov_b32_e32 v24, 0
	v_mov_b32_e32 v25, 0
	v_mov_b32_e32 v26, 0
	v_mov_b32_e32 v27, 0
	v_mov_b32_e32 v28, 0
	v_mov_b32_e32 v29, 0
	v_mov_b32_e32 v30, 0
	v_mov_b32_e32 v31, 0
	v_mov_b32_e32 v32, 0
	v_mov_b32_e32 v33, 0
	s_cbranch_vccnz .LBB355_13
; %bb.12:                               ;   in Loop: Header=BB355_7 Depth=1
	s_and_b32 s21, s21, 0xffff
	buffer_load_dwordx4 v[30:33], v70, s[20:23], 0 offen
	buffer_load_dwordx4 v[26:29], v70, s[20:23], s57 offen
	;; [unrolled: 1-line block ×4, first 2 shown]
	v_mov_b32_e32 v104, v72
	v_mov_b32_e32 v103, v73
.LBB355_13:                             ;   in Loop: Header=BB355_7 Depth=1
	ds_read_b64 v[42:43], v82 offset:32768
	ds_read2_b64 v[34:37], v88 offset1:16
	ds_read_b64 v[44:45], v84 offset:32768
	ds_read_b64 v[46:47], v86 offset:32768
	;; [unrolled: 1-line block ×3, first 2 shown]
	v_add_u32_e32 v106, s55, v66
	s_waitcnt lgkmcnt(3)
	v_mfma_f32_16x16x16_bf16 a[4:7], v[42:43], v[34:35], a[4:7]
	v_ashrrev_i32_e32 v34, 31, v106
	ds_read2st64_b64 v[38:41], v88 offset0:2 offset1:4
	v_mfma_f32_16x16x16_bf16 a[0:3], v[42:43], v[36:37], a[0:3]
	v_mul_lo_u32 v36, v34, s30
	v_mul_lo_u32 v37, v106, s31
	v_mad_u64_u32 v[34:35], s[20:21], v106, s30, 0
	v_add3_u32 v35, v35, v37, v36
	v_add_u32_e32 v36, 1, v106
	v_ashrrev_i32_e32 v37, 31, v36
	v_mul_lo_u32 v42, v37, s30
	v_mul_lo_u32 v43, v36, s31
	v_mad_u64_u32 v[36:37], s[20:21], v36, s30, 0
	v_add3_u32 v37, v37, v43, v42
	v_add_u32_e32 v42, 2, v106
	v_ashrrev_i32_e32 v43, 31, v42
	v_mul_lo_u32 v107, v43, s30
	v_mul_lo_u32 v108, v42, s31
	v_mad_u64_u32 v[42:43], s[20:21], v42, s30, 0
	v_add_u32_e32 v106, 3, v106
	v_add3_u32 v43, v43, v108, v107
	v_ashrrev_i32_e32 v107, 31, v106
	v_mul_lo_u32 v108, v107, s30
	v_mul_lo_u32 v109, v106, s31
	v_mad_u64_u32 v[106:107], s[20:21], v106, s30, 0
	s_ashr_i32 s21, s55, 31
	v_add3_u32 v107, v107, v109, v108
	s_add_u32 s20, s53, s55
	v_lshl_add_u64 v[34:35], v[34:35], 2, s[16:17]
	v_lshl_add_u64 v[106:107], v[106:107], 2, s[16:17]
	s_addc_u32 s21, s52, s21
	v_lshl_add_u64 v[36:37], v[36:37], 2, s[16:17]
	v_lshl_add_u64 v[42:43], v[42:43], 2, s[16:17]
	global_load_dword v108, v[34:35], off
	global_load_dword v109, v[36:37], off
	;; [unrolled: 1-line block ×3, first 2 shown]
	s_nop 0
	global_load_dword v106, v[106:107], off
	s_lshl_b64 s[62:63], s[20:21], 8
	v_lshl_add_u64 v[34:35], v[54:55], 0, s[62:63]
	v_lshl_add_u64 v[42:43], v[34:35], 0, v[52:53]
	global_load_ushort v107, v[42:43], off offset:256
	global_load_ushort v111, v[42:43], off
	ds_read2st64_b64 v[34:37], v89 offset0:2 offset1:4
	global_load_ushort v112, v[42:43], off offset:768
	global_load_ushort v113, v[42:43], off offset:512
	;; [unrolled: 1-line block ×6, first 2 shown]
	s_waitcnt lgkmcnt(1)
	v_mfma_f32_16x16x16_bf16 a[4:7], v[44:45], v[38:39], a[4:7]
	s_and_b64 vcc, exec, s[0:1]
	s_waitcnt vmcnt(7)
	v_lshlrev_b32_e32 v43, 16, v107
	s_waitcnt lgkmcnt(0)
	v_mfma_f32_16x16x16_bf16 a[0:3], v[44:45], v[34:35], a[0:3]
	v_mfma_f32_16x16x16_bf16 a[4:7], v[46:47], v[40:41], a[4:7]
	;; [unrolled: 1-line block ×3, first 2 shown]
	ds_read_b64 v[34:35], v88 offset:3072
	ds_read_b64 v[36:37], v89 offset:3072
	s_load_dword s20, s[40:41], 0x0
	s_waitcnt lgkmcnt(0)
	v_sub_f32_e32 v42, s20, v108
	v_mfma_f32_16x16x16_bf16 a[4:7], v[48:49], v[34:35], a[4:7]
	v_sub_f32_e32 v45, s20, v109
	v_sub_f32_e32 v46, s20, v110
	;; [unrolled: 1-line block ×3, first 2 shown]
	v_mul_f32_e32 v44, 0x3fb8aa3b, v42
	v_mul_f32_e32 v45, 0x3fb8aa3b, v45
	;; [unrolled: 1-line block ×4, first 2 shown]
	v_mfma_f32_16x16x16_bf16 a[0:3], v[48:49], v[36:37], a[0:3]
	v_accvgpr_read_b32 v41, a5
	v_exp_f32_e32 v44, v44
	v_exp_f32_e32 v45, v45
	;; [unrolled: 1-line block ×4, first 2 shown]
	v_accvgpr_read_b32 v40, a4
	s_waitcnt vmcnt(6)
	v_lshlrev_b32_e32 v42, 16, v111
	v_lshl_add_u64 v[34:35], v[56:57], 0, s[62:63]
	v_accvgpr_read_b32 v37, a7
	v_accvgpr_read_b32 v36, a6
	v_pk_add_f32 v[40:41], v[42:43], v[40:41] neg_lo:[0,1] neg_hi:[0,1]
	s_waitcnt vmcnt(5)
	v_lshlrev_b32_e32 v43, 16, v112
	s_waitcnt vmcnt(4)
	v_lshlrev_b32_e32 v42, 16, v113
	v_lshl_add_u64 v[34:35], v[34:35], 0, v[52:53]
	v_pk_add_f32 v[36:37], v[42:43], v[36:37] neg_lo:[0,1] neg_hi:[0,1]
	global_store_short_d16_hi v[34:35], v40, off
	global_store_short_d16_hi v[34:35], v41, off offset:256
	global_store_short_d16_hi v[34:35], v36, off offset:512
	;; [unrolled: 1-line block ×3, first 2 shown]
	v_pk_mul_f32 v[40:41], v[44:45], v[40:41]
	v_pk_mul_f32 v[36:37], v[46:47], v[36:37]
	v_accvgpr_read_b32 v43, a1
	v_perm_b32 v37, v37, v36, s3
	v_perm_b32 v36, v41, v40, s3
	s_waitcnt vmcnt(5)
	v_lshlrev_b32_e32 v41, 16, v116
	s_waitcnt vmcnt(4)
	v_lshlrev_b32_e32 v40, 16, v117
	v_accvgpr_read_b32 v42, a0
	v_accvgpr_read_b32 v39, a3
	;; [unrolled: 1-line block ×3, first 2 shown]
	v_pk_add_f32 v[40:41], v[40:41], v[42:43] neg_lo:[0,1] neg_hi:[0,1]
	v_lshlrev_b32_e32 v43, 16, v114
	v_lshlrev_b32_e32 v42, 16, v115
	v_pk_add_f32 v[38:39], v[42:43], v[38:39] neg_lo:[0,1] neg_hi:[0,1]
	global_store_short_d16_hi v[34:35], v40, off offset:32
	global_store_short_d16_hi v[34:35], v41, off offset:288
	;; [unrolled: 1-line block ×4, first 2 shown]
	v_pk_mul_f32 v[34:35], v[44:45], v[40:41]
	v_pk_mul_f32 v[38:39], v[46:47], v[38:39]
	v_mov_b32_e32 v106, 0
	v_perm_b32 v39, v39, v38, s3
	v_perm_b32 v38, v35, v34, s3
	ds_write2_b64 v75, v[36:37], v[38:39] offset1:16
	v_mov_b32_e32 v34, 0
	v_mov_b32_e32 v35, 0
	;; [unrolled: 1-line block ×16, first 2 shown]
	s_cbranch_vccnz .LBB355_15
; %bb.14:                               ;   in Loop: Header=BB355_7 Depth=1
	s_and_b32 s25, s25, 0xffff
	s_mov_b32 s27, s23
	buffer_load_dwordx4 v[46:49], v97, s[24:27], 0 offen
	buffer_load_dwordx4 v[38:41], v97, s[24:27], s57 offen
	;; [unrolled: 1-line block ×4, first 2 shown]
	v_mov_b32_e32 v105, v69
	v_mov_b32_e32 v106, v68
.LBB355_15:                             ;   in Loop: Header=BB355_7 Depth=1
	s_waitcnt lgkmcnt(0)
	s_barrier
	ds_read_b64 v[112:113], v51
	ds_read_b64 v[120:121], v93
	ds_read_b64 v[116:117], v99
	ds_read_b64 v[122:123], v100
	ds_read_b64 v[124:125], v101
	ds_read_b64 v[126:127], v94 offset:16384
	ds_read_b64 v[128:129], v92 offset:16384
	ds_read2_b64 v[108:111], v88 offset0:16 offset1:128
	s_waitcnt lgkmcnt(6)
	v_mfma_f32_16x16x16_bf16 a[0:3], v[112:113], v[120:121], 0
	ds_read_b64 v[130:131], v89 offset:3072
	ds_read_b64 v[132:133], v96 offset:16384
	s_add_i32 s21, s54, s60
	s_waitcnt lgkmcnt(2)
	v_mfma_f32_16x16x16_bf16 a[4:7], v[112:113], v[108:109], 0
	ds_read2st64_b64 v[112:115], v89 offset0:2 offset1:4
	s_mul_hi_i32 s25, s21, s13
	s_mul_i32 s21, s21, s13
	v_mfma_f32_16x16x16_bf16 a[0:3], v[116:117], v[110:111], a[0:3]
	s_add_u32 s24, s21, s47
	s_addc_u32 s25, s25, s49
	s_lshl_b64 s[24:25], s[24:25], 15
	s_waitcnt lgkmcnt(0)
	v_mfma_f32_16x16x16_bf16 a[4:7], v[116:117], v[112:113], a[4:7]
	ds_read2st64_b64 v[116:119], v88 offset0:4 offset1:6
	s_waitcnt lgkmcnt(0)
	v_mfma_f32_16x16x16_bf16 a[0:3], v[122:123], v[116:117], a[0:3]
	v_mfma_f32_16x16x16_bf16 a[8:11], v[122:123], v[114:115], a[4:7]
	;; [unrolled: 1-line block ×5, first 2 shown]
	ds_read2st64_b64 v[120:123], v91 offset1:8
	v_mfma_f32_16x16x16_bf16 a[12:15], v[128:129], v[108:109], 0
	ds_read_b64 v[128:129], v95 offset:16384
	v_mfma_f32_16x16x16_bf16 a[8:11], v[126:127], v[110:111], a[8:11]
	ds_read2st64_b64 v[108:111], v90 offset1:8
	s_waitcnt lgkmcnt(0)
	v_mov_b32_e32 v124, v108
	v_mfma_f32_16x16x16_bf16 a[12:15], v[126:127], v[112:113], a[12:15]
	v_lshl_add_u64 v[112:113], v[58:59], 0, s[24:25]
	v_add_co_u32_e32 v108, vcc, s37, v112
	v_mfma_f32_16x16x16_bf16 a[8:11], v[128:129], v[116:117], a[8:11]
	v_mov_b32_e32 v125, v109
	v_addc_co_u32_e32 v109, vcc, 0, v113, vcc
	v_mfma_f32_16x16x16_bf16 a[12:15], v[128:129], v[114:115], a[12:15]
	v_mov_b32_e32 v126, v120
	v_mov_b32_e32 v127, v121
	;; [unrolled: 1-line block ×3, first 2 shown]
	v_mfma_f32_16x16x16_bf16 a[8:11], v[132:133], v[118:119], a[8:11]
	v_mov_b32_e32 v121, v111
	s_and_b64 vcc, exec, s[0:1]
	global_store_dwordx4 v[112:113], v[124:127], off
	v_mfma_f32_16x16x16_bf16 a[12:15], v[132:133], v[130:131], a[12:15]
	global_store_dwordx4 v[108:109], v[120:123], off
	s_cbranch_vccnz .LBB355_6
; %bb.16:                               ;   in Loop: Header=BB355_7 Depth=1
	v_lshrrev_b32_e32 v107, 3, v105
	v_and_b32_e32 v107, 6, v107
	v_xor_b32_e32 v106, v107, v106
	v_lshlrev_b32_e32 v106, 2, v106
	v_and_b32_e32 v105, 8, v105
	v_xor_b32_e32 v108, 0x440, v106
	v_cmp_eq_u32_e32 vcc, 0, v105
	s_barrier
	s_nop 0
	v_cndmask_b32_e32 v105, v108, v106, vcc
	v_lshl_or_b32 v105, v107, 10, v105
	s_waitcnt vmcnt(3)
	v_perm_b32 v106, v46, v42, s58
	s_waitcnt vmcnt(2)
	v_perm_b32 v107, v38, v34, s58
	ds_write2st64_b32 v105, v106, v107 offset0:32 offset1:64
	v_xor_b32_e32 v106, 8, v105
	v_perm_b32 v42, v46, v42, s59
	v_perm_b32 v34, v38, v34, s59
	v_add_u32_e32 v38, 0x80, v106
	ds_write2st64_b32 v38, v42, v34 offset0:32 offset1:64
	v_xor_b32_e32 v34, 16, v105
	v_perm_b32 v38, v47, v43, s58
	v_perm_b32 v42, v39, v35, s58
	ds_write2st64_b32 v34, v38, v42 offset0:33 offset1:65
	v_xor_b32_e32 v34, 24, v105
	v_perm_b32 v38, v47, v43, s59
	v_perm_b32 v35, v39, v35, s59
	v_add_u32_e32 v34, 0x80, v34
	ds_write2st64_b32 v34, v38, v35 offset0:33 offset1:65
	v_xor_b32_e32 v34, 32, v105
	v_perm_b32 v35, v48, v44, s58
	;; [unrolled: 9-line block ×3, first 2 shown]
	v_perm_b32 v36, v41, v37, s58
	ds_write2st64_b32 v34, v35, v36 offset0:35 offset1:67
	v_xor_b32_e32 v34, 56, v105
	v_perm_b32 v35, v49, v45, s59
	v_perm_b32 v36, v41, v37, s59
	v_add_u32_e32 v34, 0x80, v34
	ds_write2st64_b32 v34, v35, v36 offset0:35 offset1:67
	ds_write_b64 v104, v[30:31] offset:24576
	v_xor_b32_e32 v30, 8, v104
	ds_write_b64 v30, v[32:33] offset:24576
	ds_write_b64 v104, v[26:27] offset:32768
	;; [unrolled: 1-line block ×4, first 2 shown]
	v_xor_b32_e32 v22, 8, v103
	ds_write_b64 v22, v[24:25] offset:24576
	ds_write_b64 v103, v[18:19] offset:32768
	;; [unrolled: 1-line block ×3, first 2 shown]
	s_branch .LBB355_6
.LBB355_17:
	s_lshl_b32 s26, s48, 6
	s_sub_i32 s27, s50, s26
	s_cmp_gt_i32 s27, 0
	s_cbranch_scc0 .LBB355_82
; %bb.18:
	s_add_i32 s26, s26, s34
	s_ashr_i32 s3, s26, 31
	s_cmpk_lg_i32 s15, 0x80
	s_cselect_b64 s[22:23], -1, 0
	s_and_b64 vcc, exec, s[22:23]
	s_cbranch_vccz .LBB355_20
; %bb.19:
	s_mul_hi_i32 s0, s26, s14
	s_mul_i32 s1, s26, s14
	s_ashr_i32 s14, s51, 31
	s_add_u32 s24, s1, s51
	s_addc_u32 s25, s0, s14
	s_cbranch_execz .LBB355_21
	s_branch .LBB355_22
.LBB355_20:
                                        ; implicit-def: $sgpr24_sgpr25
.LBB355_21:
	s_mul_i32 s1, s51, s12
	s_mul_hi_i32 s0, s51, s12
	s_add_u32 s24, s1, s26
	s_addc_u32 s25, s0, s3
.LBB355_22:
	s_add_i32 s12, s48, s54
	s_add_u32 s0, s53, s26
	v_lshlrev_b32_e32 v6, 5, v66
	v_lshlrev_b32_e32 v34, 2, v63
	s_addc_u32 s1, s52, s3
	s_mov_b32 s3, 0x7060302
	v_or_b32_e32 v9, v6, v34
	v_xor_b32_e32 v7, v66, v34
	v_perm_b32 v3, v21, v20, s3
	v_perm_b32 v2, v19, v18, s3
	;; [unrolled: 1-line block ×4, first 2 shown]
	v_lshlrev_b32_e32 v9, 1, v9
	v_xor_b32_e32 v8, v67, v34
	ds_write2st64_b64 v9, v[2:3], v[4:5] offset0:80 offset1:88
	v_lshlrev_b32_e32 v7, 1, v7
	v_lshlrev_b32_e32 v9, 8, v63
	s_lshl_b64 s[20:21], s[0:1], 8
	v_or_b32_e32 v10, v7, v9
	v_lshlrev_b32_e32 v8, 1, v8
	s_add_u32 s0, s6, s20
	ds_write_b64 v10, v[2:3]
	v_or_b32_e32 v2, v8, v9
	s_addc_u32 s1, s7, s21
	ds_write_b64 v2, v[4:5]
	v_perm_b32 v3, v29, v28, s3
	v_perm_b32 v2, v27, v26, s3
	;; [unrolled: 1-line block ×4, first 2 shown]
	v_or_b32_e32 v9, 16, v63
	s_mul_hi_i32 s3, s12, s13
	s_mul_i32 s12, s12, s13
	v_lshlrev_b32_e32 v19, 2, v9
	s_add_u32 s6, s12, s47
	v_or_b32_e32 v6, v6, v19
	s_addc_u32 s7, s3, s49
	v_lshlrev_b32_e32 v6, 1, v6
	s_ashr_i32 s3, s2, 31
	s_lshl_b64 s[6:7], s[6:7], 15
	ds_write2st64_b64 v6, v[2:3], v[4:5] offset0:80 offset1:88
	v_lshlrev_b32_e32 v6, 8, v9
	s_add_u32 s6, s18, s6
	v_or_b32_e32 v7, v7, v6
	s_addc_u32 s7, s19, s7
	s_lshl_b64 s[2:3], s[2:3], 8
	ds_write_b64 v7, v[2:3]
	v_or_b32_e32 v2, v8, v6
	s_add_u32 s2, s6, s2
	ds_write_b64 v2, v[4:5]
	v_lshrrev_b32_e32 v2, 4, v0
	s_addc_u32 s3, s7, s3
	v_lshlrev_b32_e32 v3, 1, v63
	v_lshlrev_b32_e32 v10, 4, v63
	v_mov_b32_e32 v11, 0
	v_or_b32_e32 v4, 1, v3
	v_xor_b32_e32 v3, v2, v3
	v_lshl_add_u64 v[12:13], s[2:3], 0, v[10:11]
	v_lshlrev_b32_e32 v10, 8, v2
	v_xor_b32_e32 v6, v4, v2
	v_lshl_or_b32 v2, v3, 3, v10
	s_waitcnt lgkmcnt(0)
	s_barrier
	ds_read2st64_b64 v[2:5], v2 offset1:8
	v_lshl_or_b32 v6, v6, 3, v10
	ds_read2st64_b64 v[6:9], v6 offset1:8
	v_lshl_add_u64 v[14:15], v[12:13], 0, v[10:11]
	s_movk_i32 s2, 0x1000
	s_waitcnt lgkmcnt(1)
	v_mov_b32_e32 v10, v2
	v_add_co_u32_e32 v2, vcc, s2, v14
	s_cmp_lg_u32 s27, 64
	v_mov_b32_e32 v11, v3
	v_addc_co_u32_e32 v3, vcc, 0, v15, vcc
	s_cselect_b64 s[6:7], -1, 0
	v_lshl_or_b32 v22, v61, 3, v65
	s_waitcnt lgkmcnt(0)
	v_mov_b32_e32 v12, v6
	v_mov_b32_e32 v13, v7
	;; [unrolled: 1-line block ×4, first 2 shown]
	s_mov_b32 s16, 0
	v_or_b32_e32 v20, 32, v22
	v_and_b32_e32 v18, 56, v64
	s_and_b64 vcc, exec, s[6:7]
	global_store_dwordx4 v[14:15], v[10:13], off
	global_store_dwordx4 v[2:3], v[6:9], off
	s_cbranch_vccz .LBB355_28
; %bb.23:
	s_mov_b32 s17, s16
	s_mov_b32 s18, s16
	;; [unrolled: 1-line block ×3, first 2 shown]
	v_mov_b64_e32 v[6:7], s[16:17]
	v_mov_b64_e32 v[8:9], s[18:19]
	;; [unrolled: 1-line block ×3, first 2 shown]
	v_cmp_gt_i32_e32 vcc, s27, v22
	v_mov_b64_e32 v[4:5], v[8:9]
	s_and_saveexec_b64 s[2:3], vcc
	s_cbranch_execz .LBB355_25
; %bb.24:
	v_lshlrev_b32_e32 v2, 8, v22
	v_mov_b32_e32 v3, 0
	v_lshl_add_u64 v[4:5], s[0:1], 0, v[2:3]
	v_lshlrev_b32_e32 v2, 1, v18
	v_lshl_add_u64 v[10:11], v[4:5], 0, v[2:3]
	global_load_dwordx4 v[6:9], v[10:11], off
	global_load_dwordx4 v[2:5], v[10:11], off offset:128
.LBB355_25:
	s_or_b64 exec, exec, s[2:3]
	s_mov_b32 s17, s16
	s_mov_b32 s18, s16
	;; [unrolled: 1-line block ×3, first 2 shown]
	v_mov_b64_e32 v[14:15], s[16:17]
	v_mov_b64_e32 v[16:17], s[18:19]
	;; [unrolled: 1-line block ×3, first 2 shown]
	v_cmp_gt_i32_e32 vcc, s27, v20
	v_lshlrev_b32_e32 v21, 7, v20
	v_mov_b64_e32 v[12:13], v[16:17]
	s_and_saveexec_b64 s[2:3], vcc
	s_cbranch_execz .LBB355_27
; %bb.26:
	v_lshlrev_b32_e32 v10, 1, v21
	v_mov_b32_e32 v11, 0
	v_lshl_add_u64 v[12:13], s[0:1], 0, v[10:11]
	v_lshlrev_b32_e32 v10, 1, v18
	v_lshl_add_u64 v[24:25], v[12:13], 0, v[10:11]
	global_load_dwordx4 v[14:17], v[24:25], off
	global_load_dwordx4 v[10:13], v[24:25], off offset:128
.LBB355_27:
	s_or_b64 exec, exec, s[2:3]
	v_lshrrev_b32_e32 v23, 3, v18
	v_lshlrev_b32_e32 v24, 3, v22
	v_or_b32_e32 v23, v24, v23
	v_lshlrev_b32_e32 v23, 4, v23
	v_and_b32_e32 v24, 0x78, v24
	v_xor_b32_e32 v23, v23, v24
	s_branch .LBB355_30
.LBB355_28:
                                        ; implicit-def: $vgpr23
                                        ; implicit-def: $vgpr21
                                        ; implicit-def: $vgpr6_vgpr7_vgpr8_vgpr9
                                        ; implicit-def: $vgpr2_vgpr3_vgpr4_vgpr5
                                        ; implicit-def: $vgpr14_vgpr15_vgpr16_vgpr17
                                        ; implicit-def: $vgpr10_vgpr11_vgpr12_vgpr13
	s_cbranch_execz .LBB355_30
; %bb.29:
	s_waitcnt vmcnt(0)
	v_lshlrev_b32_e32 v2, 1, v18
	v_lshl_or_b32 v21, v22, 8, v2
	s_and_b32 s1, s1, 0xffff
	s_mov_b32 s3, 0x20000
	s_movk_i32 s2, 0x4000
	v_lshl_or_b32 v23, v20, 8, v2
	s_movk_i32 s12, 0x80
	buffer_load_dwordx4 v[6:9], v21, s[0:3], 0 offen
	buffer_load_dwordx4 v[2:5], v21, s[0:3], s12 offen
	buffer_load_dwordx4 v[14:17], v23, s[0:3], 0 offen
	buffer_load_dwordx4 v[10:13], v23, s[0:3], s12 offen
	v_lshrrev_b32_e32 v21, 3, v18
	v_lshlrev_b32_e32 v23, 3, v22
	v_or_b32_e32 v21, v23, v21
	v_lshlrev_b32_e32 v21, 4, v21
	v_and_b32_e32 v23, 0x78, v23
	v_xor_b32_e32 v23, v21, v23
	v_lshlrev_b32_e32 v21, 7, v20
.LBB355_30:
	s_lshl_b64 s[0:1], s[24:25], 8
	s_add_u32 s4, s4, s0
	s_movk_i32 s0, 0x1000
	v_and_or_b32 v20, v21, s0, v23
	s_waitcnt vmcnt(1)
	ds_write_b64 v23, v[6:7] offset:24576
	v_xor_b32_e32 v6, 8, v23
	ds_write_b64 v6, v[8:9] offset:24576
	s_waitcnt vmcnt(0)
	ds_write_b64 v23, v[2:3] offset:32768
	ds_write_b64 v6, v[4:5] offset:32768
	ds_write_b64 v20, v[14:15] offset:24576
	v_xor_b32_e32 v2, 8, v20
	ds_write_b64 v2, v[16:17] offset:24576
	ds_write_b64 v20, v[10:11] offset:32768
	;; [unrolled: 1-line block ×3, first 2 shown]
	v_or_b32_e32 v2, v1, v63
	v_lshlrev_b32_e32 v3, 11, v61
	v_lshlrev_b32_e32 v2, 3, v2
	v_and_b32_e32 v6, 0x1000, v3
	v_lshrrev_b32_e32 v3, 5, v60
	s_movk_i32 s3, 0xf8
	v_and_or_b32 v3, v2, s3, v3
	v_lshlrev_b32_e32 v7, 4, v3
	v_and_b32_e32 v8, 0x78, v2
	v_or_b32_e32 v10, 32, v7
	v_lshrrev_b32_e32 v3, 1, v60
	v_xor_b32_e32 v10, v10, v8
	v_xor_b32_e32 v2, v7, v8
	v_and_b32_e32 v9, 8, v3
	v_or_b32_e32 v10, v10, v6
	v_or_b32_e32 v2, v2, v6
	v_xor_b32_e32 v25, v10, v9
	v_or_b32_e32 v10, 64, v7
	v_xor_b32_e32 v24, v2, v9
	v_xor_b32_e32 v10, v10, v8
	s_waitcnt lgkmcnt(0)
	s_barrier
	v_or_b32_e32 v12, v10, v6
	ds_read_b64 v[10:11], v24 offset:24576
	v_lshl_or_b32 v20, v62, 7, v34
	v_lshlrev_b32_e32 v23, 1, v20
	v_add_u32_e32 v2, 0xa000, v23
	ds_read2_b64 v[2:5], v2 offset1:16
	v_or_b32_e32 v7, 0x60, v7
	v_xor_b32_e32 v7, v7, v8
	s_waitcnt lgkmcnt(0)
	v_mfma_f32_16x16x16_bf16 a[0:3], v[10:11], v[2:3], 0
	v_or_b32_e32 v2, 64, v20
	v_or_b32_e32 v6, v7, v6
	v_lshlrev_b32_e32 v28, 1, v2
	v_xor_b32_e32 v26, v12, v9
	v_xor_b32_e32 v27, v6, v9
	ds_read_b64 v[12:13], v25 offset:24576
	ds_read_b64 v[14:15], v26 offset:24576
	;; [unrolled: 1-line block ×3, first 2 shown]
	v_mfma_f32_16x16x16_bf16 a[4:7], v[10:11], v[4:5], 0
	ds_read2st64_b64 v[2:5], v28 offset0:82 offset1:84
	ds_read2st64_b64 v[6:9], v23 offset0:82 offset1:84
	s_addc_u32 s5, s5, s1
	s_add_i32 s1, s42, s33
	s_add_i32 s0, s35, -1
	s_add_i32 s37, s1, s43
	s_add_i32 s1, s45, s44
	;; [unrolled: 1-line block ×3, first 2 shown]
	s_ashr_i32 s1, s0, 31
	s_mul_i32 s2, s0, s31
	s_mul_hi_u32 s3, s0, s30
	s_add_i32 s2, s3, s2
	s_mul_i32 s1, s1, s30
	s_waitcnt lgkmcnt(1)
	v_mfma_f32_16x16x16_bf16 a[4:7], v[12:13], v[2:3], a[4:7]
	s_add_i32 s1, s2, s1
	s_lshl_b64 s[2:3], s[36:37], 2
	s_add_u32 s10, s10, s2
	s_waitcnt lgkmcnt(0)
	v_mfma_f32_16x16x16_bf16 a[0:3], v[12:13], v[6:7], a[0:3]
	s_addc_u32 s11, s11, s3
	s_lshl_b64 s[2:3], s[38:39], 2
	s_mul_i32 s0, s0, s30
	s_add_u32 s10, s10, s2
	ds_read_b64 v[2:3], v23 offset:44032
	v_mfma_f32_16x16x16_bf16 a[4:7], v[14:15], v[4:5], a[4:7]
	ds_read_b64 v[4:5], v28 offset:44032
	s_addc_u32 s11, s11, s3
	s_lshl_b64 s[0:1], s[0:1], 2
	v_mfma_f32_16x16x16_bf16 a[0:3], v[14:15], v[8:9], a[0:3]
	s_add_u32 s0, s10, s0
	s_addc_u32 s1, s11, s1
	s_load_dword s12, s[0:1], 0x0
	s_waitcnt lgkmcnt(0)
	v_mfma_f32_16x16x16_bf16 a[0:3], v[16:17], v[2:3], a[0:3]
	s_and_b64 vcc, exec, s[22:23]
	v_mfma_f32_16x16x16_bf16 a[4:7], v[16:17], v[4:5], a[4:7]
	s_cbranch_vccz .LBB355_41
; %bb.31:
	v_lshlrev_b32_e32 v20, 1, v22
	s_and_b64 vcc, exec, s[6:7]
	s_cbranch_vccz .LBB355_42
; %bb.32:
	v_cmp_gt_i32_e32 vcc, s27, v20
	v_mov_b32_e32 v6, 0
	v_mov_b32_e32 v2, 0
	;; [unrolled: 1-line block ×5, first 2 shown]
	s_and_saveexec_b64 s[0:1], vcc
	s_cbranch_execz .LBB355_34
; %bb.33:
	v_mad_i64_i32 v[2:3], s[2:3], s15, v20, 0
	v_lshl_add_u64 v[2:3], v[2:3], 1, s[4:5]
	v_lshlrev_b32_e32 v4, 1, v18
	v_mov_b32_e32 v5, 0
	v_lshl_add_u64 v[2:3], v[2:3], 0, v[4:5]
	global_load_dwordx4 v[2:5], v[2:3], off
.LBB355_34:
	s_or_b64 exec, exec, s[0:1]
	v_or_b32_e32 v21, 1, v20
	v_cmp_gt_i32_e64 s[0:1], s27, v21
	v_mov_b32_e32 v7, 0
	v_mov_b32_e32 v8, 0
	;; [unrolled: 1-line block ×3, first 2 shown]
	s_and_saveexec_b64 s[2:3], s[0:1]
	s_cbranch_execz .LBB355_36
; %bb.35:
	v_mad_i64_i32 v[6:7], s[16:17], s15, v21, 0
	v_lshl_add_u64 v[6:7], v[6:7], 1, s[4:5]
	v_lshlrev_b32_e32 v8, 1, v18
	v_mov_b32_e32 v9, 0
	v_lshl_add_u64 v[6:7], v[6:7], 0, v[8:9]
	global_load_dwordx4 v[6:9], v[6:7], off
.LBB355_36:
	s_or_b64 exec, exec, s[2:3]
	v_mov_b32_e32 v17, 0
	v_mov_b32_e32 v10, 0
	;; [unrolled: 1-line block ×5, first 2 shown]
	s_and_saveexec_b64 s[2:3], vcc
	s_cbranch_execz .LBB355_38
; %bb.37:
	v_mad_i64_i32 v[10:11], s[16:17], s15, v20, 0
	v_lshl_add_u64 v[10:11], v[10:11], 1, s[4:5]
	v_lshlrev_b32_e32 v12, 1, v18
	v_mov_b32_e32 v13, 0
	v_lshl_add_u64 v[10:11], v[10:11], 0, v[12:13]
	global_load_dwordx4 v[10:13], v[10:11], off offset:128
.LBB355_38:
	s_or_b64 exec, exec, s[2:3]
	v_mov_b32_e32 v16, 0
	v_mov_b32_e32 v15, 0
	;; [unrolled: 1-line block ×3, first 2 shown]
	s_and_saveexec_b64 s[2:3], s[0:1]
	s_cbranch_execz .LBB355_40
; %bb.39:
	v_mad_i64_i32 v[14:15], s[0:1], s15, v21, 0
	v_lshl_add_u64 v[14:15], v[14:15], 1, s[4:5]
	v_lshlrev_b32_e32 v16, 1, v18
	v_mov_b32_e32 v17, 0
	v_lshl_add_u64 v[14:15], v[14:15], 0, v[16:17]
	global_load_dwordx4 v[14:17], v[14:15], off offset:128
.LBB355_40:
	s_or_b64 exec, exec, s[2:3]
	s_branch .LBB355_44
.LBB355_41:
                                        ; implicit-def: $vgpr5
                                        ; implicit-def: $vgpr9
                                        ; implicit-def: $vgpr13
                                        ; implicit-def: $vgpr17
	v_lshrrev_b32_e32 v29, 2, v60
	s_branch .LBB355_45
.LBB355_42:
                                        ; implicit-def: $vgpr5
                                        ; implicit-def: $vgpr9
                                        ; implicit-def: $vgpr13
                                        ; implicit-def: $vgpr17
	s_cbranch_execz .LBB355_44
; %bb.43:
	s_waitcnt vmcnt(0)
	v_mad_u64_u32 v[2:3], s[0:1], v20, s15, v[18:19]
	v_lshlrev_b32_e32 v20, 1, v2
	s_lshl_b32 s2, s15, 7
	s_and_b32 s1, s5, 0xffff
	s_mov_b32 s3, 0x20000
	s_mov_b32 s0, s4
	v_add_lshl_u32 v21, v2, s15, 1
	s_movk_i32 s13, 0x80
	buffer_load_dwordx4 v[2:5], v20, s[0:3], 0 offen
	buffer_load_dwordx4 v[10:13], v20, s[0:3], s13 offen
	;; [unrolled: 1-line block ×4, first 2 shown]
.LBB355_44:
	v_lshrrev_b32_e32 v29, 2, v60
	s_cbranch_execnz .LBB355_57
.LBB355_45:
	s_and_b64 vcc, exec, s[6:7]
	s_cbranch_vccz .LBB355_55
; %bb.46:
	s_waitcnt vmcnt(0)
	v_lshlrev_b32_e32 v7, 1, v22
	v_cmp_gt_i32_e32 vcc, s27, v7
	v_mov_b32_e32 v6, 0
	v_lshlrev_b32_e32 v14, 9, v22
	v_mov_b32_e32 v2, 0
	v_mov_b32_e32 v3, 0
	;; [unrolled: 1-line block ×4, first 2 shown]
	s_and_saveexec_b64 s[0:1], vcc
	s_cbranch_execz .LBB355_48
; %bb.47:
	v_mov_b32_e32 v15, 0
	v_lshl_add_u64 v[2:3], s[4:5], 0, v[14:15]
	v_lshlrev_b32_e32 v4, 1, v18
	v_mov_b32_e32 v5, v15
	v_lshl_add_u64 v[2:3], v[2:3], 0, v[4:5]
	global_load_dwordx4 v[2:5], v[2:3], off
.LBB355_48:
	s_or_b64 exec, exec, s[0:1]
	v_or_b32_e32 v7, 1, v7
	v_cmp_gt_i32_e64 s[0:1], s27, v7
	v_lshlrev_b32_e32 v20, 8, v7
	v_mov_b32_e32 v7, 0
	v_mov_b32_e32 v8, 0
	;; [unrolled: 1-line block ×3, first 2 shown]
	s_and_saveexec_b64 s[2:3], s[0:1]
	s_cbranch_execz .LBB355_50
; %bb.49:
	v_mov_b32_e32 v21, 0
	v_lshl_add_u64 v[6:7], s[4:5], 0, v[20:21]
	v_lshlrev_b32_e32 v8, 1, v18
	v_mov_b32_e32 v9, v21
	v_lshl_add_u64 v[6:7], v[6:7], 0, v[8:9]
	global_load_dwordx4 v[6:9], v[6:7], off
.LBB355_50:
	s_or_b64 exec, exec, s[2:3]
	v_mov_b32_e32 v17, 0
	v_mov_b32_e32 v10, 0
	;; [unrolled: 1-line block ×5, first 2 shown]
	s_and_saveexec_b64 s[2:3], vcc
	s_cbranch_execz .LBB355_52
; %bb.51:
	v_mov_b32_e32 v15, 0
	v_lshl_add_u64 v[10:11], s[4:5], 0, v[14:15]
	v_lshlrev_b32_e32 v14, 1, v18
	v_lshl_add_u64 v[10:11], v[10:11], 0, v[14:15]
	global_load_dwordx4 v[10:13], v[10:11], off offset:128
.LBB355_52:
	s_or_b64 exec, exec, s[2:3]
	v_mov_b32_e32 v16, 0
	v_mov_b32_e32 v15, 0
	;; [unrolled: 1-line block ×3, first 2 shown]
	s_and_saveexec_b64 s[2:3], s[0:1]
	s_cbranch_execz .LBB355_54
; %bb.53:
	v_mov_b32_e32 v21, 0
	v_lshl_add_u64 v[14:15], s[4:5], 0, v[20:21]
	v_lshlrev_b32_e32 v20, 1, v18
	v_lshl_add_u64 v[14:15], v[14:15], 0, v[20:21]
	global_load_dwordx4 v[14:17], v[14:15], off offset:128
.LBB355_54:
	s_or_b64 exec, exec, s[2:3]
	s_branch .LBB355_57
.LBB355_55:
                                        ; implicit-def: $vgpr5
                                        ; implicit-def: $vgpr9
                                        ; implicit-def: $vgpr13
                                        ; implicit-def: $vgpr17
	s_cbranch_execz .LBB355_57
; %bb.56:
	s_waitcnt vmcnt(0)
	v_lshlrev_b32_e32 v2, 1, v18
	v_lshl_or_b32 v18, v22, 9, v2
	s_and_b32 s5, s5, 0xffff
	s_mov_b32 s7, 0x20000
	s_movk_i32 s6, 0x4000
	s_movk_i32 s0, 0x80
	buffer_load_dwordx4 v[2:5], v18, s[4:7], 0 offen
	buffer_load_dwordx4 v[6:9], v18, s[4:7], 0 offen offset:256
	buffer_load_dwordx4 v[10:13], v18, s[4:7], s0 offen
	buffer_load_dwordx4 v[14:17], v18, s[4:7], s0 offen offset:256
.LBB355_57:
	ds_read_b64 v[20:21], v24 offset:32768
	v_add_u32_e32 v18, 0xb000, v23
	ds_read2_b64 v[30:33], v18 offset1:16
	ds_read_b64 v[36:37], v25 offset:32768
	ds_read_b64 v[38:39], v26 offset:32768
	;; [unrolled: 1-line block ×3, first 2 shown]
	v_and_b32_e32 v18, 6, v0
	v_xor_b32_e32 v22, v22, v18
	v_lshlrev_b32_e32 v22, 2, v22
	v_and_b32_e32 v0, 1, v0
	v_cmp_eq_u32_e32 vcc, 0, v0
	s_mov_b32 s0, 0x1000504
	s_waitcnt lgkmcnt(3)
	v_mfma_f32_16x16x16_bf16 a[0:3], v[20:21], v[30:31], a[0:3]
	s_mov_b32 s1, 0x3020706
	v_mfma_f32_16x16x16_bf16 a[4:7], v[20:21], v[32:33], a[4:7]
	ds_read2st64_b64 v[24:27], v23 offset0:90 offset1:92
	ds_read2st64_b64 v[30:33], v28 offset0:90 offset1:92
	s_waitcnt lgkmcnt(1)
	v_mfma_f32_16x16x16_bf16 a[0:3], v[36:37], v[24:25], a[0:3]
	ds_read_b64 v[20:21], v23 offset:48128
	ds_read_b64 v[24:25], v28 offset:48128
	v_xor_b32_e32 v23, 0x440, v22
	v_cndmask_b32_e32 v0, v23, v22, vcc
	s_waitcnt lgkmcnt(2)
	v_mfma_f32_16x16x16_bf16 a[4:7], v[36:37], v[30:31], a[4:7]
	v_lshl_or_b32 v0, v18, 10, v0
	s_waitcnt vmcnt(0)
	v_perm_b32 v18, v2, v6, s0
	v_perm_b32 v2, v2, v6, s1
	v_mfma_f32_16x16x16_bf16 a[0:3], v[38:39], v[26:27], a[0:3]
	v_perm_b32 v6, v10, v14, s1
	v_mfma_f32_16x16x16_bf16 a[8:11], v[38:39], v[32:33], a[4:7]
	s_waitcnt lgkmcnt(1)
	v_mfma_f32_16x16x16_bf16 a[4:7], v[40:41], v[20:21], a[0:3]
	v_perm_b32 v20, v10, v14, s0
	ds_write2st64_b32 v0, v18, v20 offset0:32 offset1:64
	v_xor_b32_e32 v18, 8, v0
	v_add_u32_e32 v10, 0x80, v18
	ds_write2st64_b32 v10, v2, v6 offset0:32 offset1:64
	v_xor_b32_e32 v2, 16, v0
	v_perm_b32 v6, v3, v7, s0
	v_perm_b32 v10, v11, v15, s0
	ds_write2st64_b32 v2, v6, v10 offset0:33 offset1:65
	v_xor_b32_e32 v2, 24, v0
	v_perm_b32 v3, v3, v7, s1
	v_perm_b32 v6, v11, v15, s1
	v_add_u32_e32 v2, 0x80, v2
	ds_write2st64_b32 v2, v3, v6 offset0:33 offset1:65
	v_xor_b32_e32 v2, 32, v0
	v_perm_b32 v3, v4, v8, s0
	v_perm_b32 v6, v12, v16, s0
	s_waitcnt lgkmcnt(4)
	v_mfma_f32_16x16x16_bf16 a[0:3], v[40:41], v[24:25], a[8:11]
	ds_write2st64_b32 v2, v3, v6 offset0:34 offset1:66
	v_xor_b32_e32 v2, 40, v0
	v_perm_b32 v3, v4, v8, s1
	v_perm_b32 v4, v12, v16, s1
	v_add_u32_e32 v2, 0x80, v2
	ds_write2st64_b32 v2, v3, v4 offset0:34 offset1:66
	v_xor_b32_e32 v2, 48, v0
	v_perm_b32 v3, v5, v9, s0
	v_perm_b32 v4, v13, v17, s0
	v_xor_b32_e32 v0, 56, v0
	v_and_or_b32 v21, v29, 12, v1
	ds_write2st64_b32 v2, v3, v4 offset0:35 offset1:67
	v_perm_b32 v2, v5, v9, s1
	v_perm_b32 v3, v13, v17, s1
	v_add_u32_e32 v0, 0x80, v0
	v_cmp_gt_i32_e32 vcc, s27, v21
	v_mov_b32_e32 v16, 0
	v_mov_b32_e32 v18, 0
	ds_write2st64_b32 v0, v2, v3 offset0:35 offset1:67
	s_and_saveexec_b64 s[0:1], vcc
	s_cbranch_execz .LBB355_59
; %bb.58:
	v_add_u32_e32 v0, s26, v21
	v_ashrrev_i32_e32 v1, 31, v0
	v_mul_lo_u32 v2, v1, s30
	v_mul_lo_u32 v3, v0, s31
	v_mad_u64_u32 v[0:1], s[2:3], v0, s30, 0
	v_add3_u32 v1, v1, v3, v2
	v_lshl_add_u64 v[0:1], v[0:1], 2, s[10:11]
	global_load_dword v0, v[0:1], off
	s_waitcnt vmcnt(0)
	v_sub_f32_e32 v0, s12, v0
	v_mul_f32_e32 v0, 0x3fb8aa3b, v0
	v_exp_f32_e32 v18, v0
.LBB355_59:
	s_or_b64 exec, exec, s[0:1]
	v_or_b32_e32 v10, 1, v21
	v_cmp_gt_i32_e64 s[0:1], s27, v10
	s_and_saveexec_b64 s[2:3], s[0:1]
	s_cbranch_execz .LBB355_61
; %bb.60:
	v_add_u32_e32 v0, s26, v10
	v_ashrrev_i32_e32 v1, 31, v0
	v_mul_lo_u32 v2, v1, s30
	v_mul_lo_u32 v3, v0, s31
	v_mad_u64_u32 v[0:1], s[4:5], v0, s30, 0
	v_add3_u32 v1, v1, v3, v2
	v_lshl_add_u64 v[0:1], v[0:1], 2, s[10:11]
	global_load_dword v0, v[0:1], off
	s_waitcnt vmcnt(0)
	v_sub_f32_e32 v0, s12, v0
	v_mul_f32_e32 v0, 0x3fb8aa3b, v0
	v_exp_f32_e32 v16, v0
.LBB355_61:
	s_or_b64 exec, exec, s[2:3]
	v_or_b32_e32 v12, 2, v21
	v_cmp_gt_i32_e64 s[2:3], s27, v12
	v_mov_b32_e32 v17, 0
	v_mov_b32_e32 v20, 0
	s_and_saveexec_b64 s[4:5], s[2:3]
	s_cbranch_execz .LBB355_63
; %bb.62:
	v_add_u32_e32 v0, s26, v12
	v_ashrrev_i32_e32 v1, 31, v0
	v_mul_lo_u32 v2, v1, s30
	v_mul_lo_u32 v3, v0, s31
	v_mad_u64_u32 v[0:1], s[6:7], v0, s30, 0
	v_add3_u32 v1, v1, v3, v2
	v_lshl_add_u64 v[0:1], v[0:1], 2, s[10:11]
	global_load_dword v0, v[0:1], off
	s_waitcnt vmcnt(0)
	v_sub_f32_e32 v0, s12, v0
	v_mul_f32_e32 v0, 0x3fb8aa3b, v0
	v_exp_f32_e32 v20, v0
.LBB355_63:
	s_or_b64 exec, exec, s[4:5]
	v_or_b32_e32 v14, 3, v21
	v_cmp_gt_i32_e64 s[4:5], s27, v14
	s_and_saveexec_b64 s[6:7], s[4:5]
	s_cbranch_execz .LBB355_65
; %bb.64:
	v_add_u32_e32 v0, s26, v14
	v_ashrrev_i32_e32 v1, 31, v0
	v_mul_lo_u32 v2, v1, s30
	v_mul_lo_u32 v3, v0, s31
	v_mad_u64_u32 v[0:1], s[14:15], v0, s30, 0
	v_add3_u32 v1, v1, v3, v2
	v_lshl_add_u64 v[0:1], v[0:1], 2, s[10:11]
	global_load_dword v0, v[0:1], off
	s_waitcnt vmcnt(0)
	v_sub_f32_e32 v0, s12, v0
	v_mul_f32_e32 v0, 0x3fb8aa3b, v0
	v_exp_f32_e32 v17, v0
.LBB355_65:
	s_or_b64 exec, exec, s[6:7]
	s_add_u32 s6, s8, s20
	s_addc_u32 s7, s9, s21
	s_add_u32 s8, s28, s20
	v_ashrrev_i32_e32 v51, 31, v50
	v_accvgpr_read_b32 v0, a4
	s_addc_u32 s9, s29, s21
	v_lshlrev_b64 v[4:5], 1, v[50:51]
	v_accvgpr_read_b32 v1, a5
	v_accvgpr_read_b32 v2, a6
	;; [unrolled: 1-line block ×3, first 2 shown]
	v_lshl_add_u64 v[6:7], s[6:7], 0, v[4:5]
	v_lshl_add_u64 v[4:5], s[8:9], 0, v[4:5]
	v_mov_b32_e32 v11, 0
	v_lshlrev_b32_e32 v8, 8, v21
	v_mov_b32_e32 v9, 0
	s_and_saveexec_b64 s[6:7], vcc
	s_cbranch_execz .LBB355_67
; %bb.66:
	v_mov_b32_e32 v9, 0
	v_lshl_add_u64 v[22:23], v[6:7], 0, v[8:9]
	global_load_ushort v13, v[22:23], off
	v_lshl_add_u64 v[22:23], v[4:5], 0, v[8:9]
	s_waitcnt vmcnt(0)
	v_lshlrev_b32_e32 v9, 16, v13
	v_sub_f32_e32 v0, v9, v0
	global_store_short_d16_hi v[22:23], v0, off
	v_mul_f32_e32 v0, v18, v0
	v_lshrrev_b32_e32 v9, 16, v0
.LBB355_67:
	s_or_b64 exec, exec, s[6:7]
	v_lshlrev_b32_e32 v10, 8, v10
	s_and_saveexec_b64 s[6:7], s[0:1]
	s_cbranch_execz .LBB355_69
; %bb.68:
	v_mov_b32_e32 v11, 0
	v_lshl_add_u64 v[22:23], v[6:7], 0, v[10:11]
	global_load_ushort v0, v[22:23], off
	v_lshl_add_u64 v[22:23], v[4:5], 0, v[10:11]
	s_waitcnt vmcnt(0)
	v_lshlrev_b32_e32 v0, 16, v0
	v_sub_f32_e32 v0, v0, v1
	global_store_short_d16_hi v[22:23], v0, off
	v_mul_f32_e32 v0, v16, v0
	v_lshrrev_b32_e32 v11, 16, v0
.LBB355_69:
	s_or_b64 exec, exec, s[6:7]
	v_mov_b32_e32 v15, 0
	v_lshlrev_b32_e32 v12, 8, v12
	v_mov_b32_e32 v13, 0
	s_and_saveexec_b64 s[6:7], s[2:3]
	s_cbranch_execz .LBB355_71
; %bb.70:
	v_mov_b32_e32 v13, 0
	v_lshl_add_u64 v[0:1], v[6:7], 0, v[12:13]
	global_load_ushort v22, v[0:1], off
	v_lshl_add_u64 v[0:1], v[4:5], 0, v[12:13]
	s_waitcnt vmcnt(0)
	v_lshlrev_b32_e32 v13, 16, v22
	v_sub_f32_e32 v2, v13, v2
	global_store_short_d16_hi v[0:1], v2, off
	v_mul_f32_e32 v0, v20, v2
	v_lshrrev_b32_e32 v13, 16, v0
.LBB355_71:
	s_or_b64 exec, exec, s[6:7]
	v_lshlrev_b32_e32 v14, 8, v14
	s_and_saveexec_b64 s[6:7], s[4:5]
	s_cbranch_execz .LBB355_73
; %bb.72:
	v_mov_b32_e32 v15, 0
	v_lshl_add_u64 v[0:1], v[6:7], 0, v[14:15]
	global_load_ushort v2, v[0:1], off
	v_lshl_add_u64 v[0:1], v[4:5], 0, v[14:15]
	s_waitcnt vmcnt(0)
	v_lshlrev_b32_e32 v2, 16, v2
	v_sub_f32_e32 v2, v2, v3
	global_store_short_d16_hi v[0:1], v2, off
	v_mul_f32_e32 v0, v17, v2
	v_lshrrev_b32_e32 v15, 16, v0
.LBB355_73:
	s_or_b64 exec, exec, s[6:7]
	v_lshlrev_b32_e32 v21, 5, v21
	s_mov_b32 s6, 0x5040100
	v_perm_b32 v22, v11, v9, s6
	v_or_b32_e32 v9, v21, v34
	v_accvgpr_read_b32 v0, a0
	v_perm_b32 v23, v15, v13, s6
	v_lshlrev_b32_e32 v9, 1, v9
	v_accvgpr_read_b32 v1, a1
	v_accvgpr_read_b32 v2, a2
	;; [unrolled: 1-line block ×3, first 2 shown]
	ds_write_b64 v9, v[22:23] offset:45056
	v_mov_b32_e32 v11, 0
	v_mov_b32_e32 v9, 0
	s_and_saveexec_b64 s[6:7], vcc
	s_cbranch_execz .LBB355_75
; %bb.74:
	v_mov_b32_e32 v9, 0
	v_lshl_add_u64 v[22:23], v[6:7], 0, v[8:9]
	global_load_ushort v13, v[22:23], off offset:32
	v_lshl_add_u64 v[8:9], v[4:5], 0, v[8:9]
	s_waitcnt vmcnt(0)
	v_lshlrev_b32_e32 v13, 16, v13
	v_sub_f32_e32 v0, v13, v0
	global_store_short_d16_hi v[8:9], v0, off offset:32
	v_mul_f32_e32 v0, v18, v0
	v_lshrrev_b32_e32 v9, 16, v0
.LBB355_75:
	s_or_b64 exec, exec, s[6:7]
	s_and_saveexec_b64 s[6:7], s[0:1]
	s_cbranch_execz .LBB355_77
; %bb.76:
	v_mov_b32_e32 v11, 0
	v_lshl_add_u64 v[22:23], v[6:7], 0, v[10:11]
	global_load_ushort v0, v[22:23], off offset:32
	v_lshl_add_u64 v[10:11], v[4:5], 0, v[10:11]
	s_waitcnt vmcnt(0)
	v_lshlrev_b32_e32 v0, 16, v0
	v_sub_f32_e32 v0, v0, v1
	global_store_short_d16_hi v[10:11], v0, off offset:32
	v_mul_f32_e32 v0, v16, v0
	v_lshrrev_b32_e32 v11, 16, v0
.LBB355_77:
	s_or_b64 exec, exec, s[6:7]
	v_mov_b32_e32 v0, 0
	v_mov_b32_e32 v1, 0
	s_and_saveexec_b64 s[0:1], s[2:3]
	s_cbranch_execz .LBB355_79
; %bb.78:
	v_mov_b32_e32 v13, 0
	v_lshl_add_u64 v[22:23], v[6:7], 0, v[12:13]
	global_load_ushort v1, v[22:23], off offset:32
	v_lshl_add_u64 v[12:13], v[4:5], 0, v[12:13]
	s_waitcnt vmcnt(0)
	v_lshlrev_b32_e32 v1, 16, v1
	v_sub_f32_e32 v1, v1, v2
	global_store_short_d16_hi v[12:13], v1, off offset:32
	v_mul_f32_e32 v1, v20, v1
	v_lshrrev_b32_e32 v1, 16, v1
.LBB355_79:
	s_or_b64 exec, exec, s[0:1]
	s_and_saveexec_b64 s[0:1], s[4:5]
	s_cbranch_execz .LBB355_81
; %bb.80:
	v_mov_b32_e32 v15, 0
	v_lshl_add_u64 v[6:7], v[6:7], 0, v[14:15]
	global_load_ushort v0, v[6:7], off offset:32
	v_lshl_add_u64 v[4:5], v[4:5], 0, v[14:15]
	s_waitcnt vmcnt(0)
	v_lshlrev_b32_e32 v0, 16, v0
	v_sub_f32_e32 v0, v0, v3
	global_store_short_d16_hi v[4:5], v0, off offset:32
	v_mul_f32_e32 v0, v17, v0
	v_lshrrev_b32_e32 v0, 16, v0
.LBB355_81:
	s_or_b64 exec, exec, s[0:1]
	s_mov_b32 s0, 0x5040100
	v_or_b32_e32 v2, v21, v19
	v_perm_b32 v1, v0, v1, s0
	v_perm_b32 v0, v11, v9, s0
	v_lshlrev_b32_e32 v2, 1, v2
	ds_write_b64 v2, v[0:1] offset:45056
	s_waitcnt lgkmcnt(0)
	s_barrier
.LBB355_82:
	s_endpgm
	.section	.rodata,"a",@progbits
	.p2align	6, 0x0
	.amdhsa_kernel _ZN12_GLOBAL__N_139chunk_gated_delta_rule_fwd_h_hip_kernelILi32ELb1ELb0ELb1ELb1ELb0ELb0ELb1ELb1EEEvPK12hip_bfloat16S3_S3_PKfS5_PKvPS1_S8_PvPKiSB_iiiiilll
		.amdhsa_group_segment_fixed_size 49152
		.amdhsa_private_segment_fixed_size 0
		.amdhsa_kernarg_size 136
		.amdhsa_user_sgpr_count 2
		.amdhsa_user_sgpr_dispatch_ptr 0
		.amdhsa_user_sgpr_queue_ptr 0
		.amdhsa_user_sgpr_kernarg_segment_ptr 1
		.amdhsa_user_sgpr_dispatch_id 0
		.amdhsa_user_sgpr_kernarg_preload_length 0
		.amdhsa_user_sgpr_kernarg_preload_offset 0
		.amdhsa_user_sgpr_private_segment_size 0
		.amdhsa_uses_dynamic_stack 0
		.amdhsa_enable_private_segment 0
		.amdhsa_system_sgpr_workgroup_id_x 1
		.amdhsa_system_sgpr_workgroup_id_y 1
		.amdhsa_system_sgpr_workgroup_id_z 0
		.amdhsa_system_sgpr_workgroup_info 0
		.amdhsa_system_vgpr_workitem_id 0
		.amdhsa_next_free_vgpr 152
		.amdhsa_next_free_sgpr 64
		.amdhsa_accum_offset 136
		.amdhsa_reserve_vcc 1
		.amdhsa_float_round_mode_32 0
		.amdhsa_float_round_mode_16_64 0
		.amdhsa_float_denorm_mode_32 3
		.amdhsa_float_denorm_mode_16_64 3
		.amdhsa_dx10_clamp 1
		.amdhsa_ieee_mode 1
		.amdhsa_fp16_overflow 0
		.amdhsa_tg_split 0
		.amdhsa_exception_fp_ieee_invalid_op 0
		.amdhsa_exception_fp_denorm_src 0
		.amdhsa_exception_fp_ieee_div_zero 0
		.amdhsa_exception_fp_ieee_overflow 0
		.amdhsa_exception_fp_ieee_underflow 0
		.amdhsa_exception_fp_ieee_inexact 0
		.amdhsa_exception_int_div_zero 0
	.end_amdhsa_kernel
	.section	.text._ZN12_GLOBAL__N_139chunk_gated_delta_rule_fwd_h_hip_kernelILi32ELb1ELb0ELb1ELb1ELb0ELb0ELb1ELb1EEEvPK12hip_bfloat16S3_S3_PKfS5_PKvPS1_S8_PvPKiSB_iiiiilll,"axG",@progbits,_ZN12_GLOBAL__N_139chunk_gated_delta_rule_fwd_h_hip_kernelILi32ELb1ELb0ELb1ELb1ELb0ELb0ELb1ELb1EEEvPK12hip_bfloat16S3_S3_PKfS5_PKvPS1_S8_PvPKiSB_iiiiilll,comdat
.Lfunc_end355:
	.size	_ZN12_GLOBAL__N_139chunk_gated_delta_rule_fwd_h_hip_kernelILi32ELb1ELb0ELb1ELb1ELb0ELb0ELb1ELb1EEEvPK12hip_bfloat16S3_S3_PKfS5_PKvPS1_S8_PvPKiSB_iiiiilll, .Lfunc_end355-_ZN12_GLOBAL__N_139chunk_gated_delta_rule_fwd_h_hip_kernelILi32ELb1ELb0ELb1ELb1ELb0ELb0ELb1ELb1EEEvPK12hip_bfloat16S3_S3_PKfS5_PKvPS1_S8_PvPKiSB_iiiiilll
                                        ; -- End function
	.section	.AMDGPU.csdata,"",@progbits
; Kernel info:
; codeLenInByte = 8720
; NumSgprs: 70
; NumVgprs: 134
; NumAgprs: 16
; TotalNumVgprs: 152
; ScratchSize: 0
; MemoryBound: 0
; FloatMode: 240
; IeeeMode: 1
; LDSByteSize: 49152 bytes/workgroup (compile time only)
; SGPRBlocks: 8
; VGPRBlocks: 18
; NumSGPRsForWavesPerEU: 70
; NumVGPRsForWavesPerEU: 152
; AccumOffset: 136
; Occupancy: 1
; WaveLimiterHint : 1
; COMPUTE_PGM_RSRC2:SCRATCH_EN: 0
; COMPUTE_PGM_RSRC2:USER_SGPR: 2
; COMPUTE_PGM_RSRC2:TRAP_HANDLER: 0
; COMPUTE_PGM_RSRC2:TGID_X_EN: 1
; COMPUTE_PGM_RSRC2:TGID_Y_EN: 1
; COMPUTE_PGM_RSRC2:TGID_Z_EN: 0
; COMPUTE_PGM_RSRC2:TIDIG_COMP_CNT: 0
; COMPUTE_PGM_RSRC3_GFX90A:ACCUM_OFFSET: 33
; COMPUTE_PGM_RSRC3_GFX90A:TG_SPLIT: 0
	.section	.text._ZN12_GLOBAL__N_139chunk_gated_delta_rule_fwd_h_hip_kernelILi32ELb1ELb0ELb0ELb1ELb0ELb0ELb1ELb1EEEvPK12hip_bfloat16S3_S3_PKfS5_PKvPS1_S8_PvPKiSB_iiiiilll,"axG",@progbits,_ZN12_GLOBAL__N_139chunk_gated_delta_rule_fwd_h_hip_kernelILi32ELb1ELb0ELb0ELb1ELb0ELb0ELb1ELb1EEEvPK12hip_bfloat16S3_S3_PKfS5_PKvPS1_S8_PvPKiSB_iiiiilll,comdat
	.globl	_ZN12_GLOBAL__N_139chunk_gated_delta_rule_fwd_h_hip_kernelILi32ELb1ELb0ELb0ELb1ELb0ELb0ELb1ELb1EEEvPK12hip_bfloat16S3_S3_PKfS5_PKvPS1_S8_PvPKiSB_iiiiilll ; -- Begin function _ZN12_GLOBAL__N_139chunk_gated_delta_rule_fwd_h_hip_kernelILi32ELb1ELb0ELb0ELb1ELb0ELb0ELb1ELb1EEEvPK12hip_bfloat16S3_S3_PKfS5_PKvPS1_S8_PvPKiSB_iiiiilll
	.p2align	8
	.type	_ZN12_GLOBAL__N_139chunk_gated_delta_rule_fwd_h_hip_kernelILi32ELb1ELb0ELb0ELb1ELb0ELb0ELb1ELb1EEEvPK12hip_bfloat16S3_S3_PKfS5_PKvPS1_S8_PvPKiSB_iiiiilll,@function
_ZN12_GLOBAL__N_139chunk_gated_delta_rule_fwd_h_hip_kernelILi32ELb1ELb0ELb0ELb1ELb0ELb0ELb1ELb1EEEvPK12hip_bfloat16S3_S3_PKfS5_PKvPS1_S8_PvPKiSB_iiiiilll: ; @_ZN12_GLOBAL__N_139chunk_gated_delta_rule_fwd_h_hip_kernelILi32ELb1ELb0ELb0ELb1ELb0ELb0ELb1ELb1EEEvPK12hip_bfloat16S3_S3_PKfS5_PKvPS1_S8_PvPKiSB_iiiiilll
; %bb.0:
	s_load_dwordx4 s[12:15], s[0:1], 0x5c
	s_load_dwordx4 s[20:23], s[0:1], 0x70
	s_abs_i32 s9, s3
	s_ashr_i32 s8, s3, 31
	s_load_dwordx4 s[4:7], s[0:1], 0x48
	s_waitcnt lgkmcnt(0)
	s_abs_i32 s10, s13
	v_cvt_f32_u32_e32 v1, s10
	s_sub_i32 s16, 0, s10
	s_ashr_i32 s11, s13, 31
	s_xor_b32 s8, s8, s11
	v_rcp_iflag_f32_e32 v1, v1
	v_and_b32_e32 v61, 15, v0
	v_lshrrev_b32_e32 v59, 6, v0
	v_bfe_u32 v60, v0, 4, 2
	v_mul_f32_e32 v1, 0x4f7ffffe, v1
	v_cvt_u32_f32_e32 v1, v1
	v_mov_b32_e32 v7, 0
	v_and_b32_e32 v58, 63, v0
	v_lshlrev_b32_e32 v62, 3, v0
	v_readfirstlane_b32 s17, v1
	s_mul_i32 s16, s16, s17
	s_mul_hi_u32 s16, s17, s16
	s_add_i32 s17, s17, s16
	s_mul_hi_u32 s16, s9, s17
	s_mul_i32 s17, s16, s10
	s_sub_i32 s9, s9, s17
	s_add_i32 s18, s16, 1
	s_sub_i32 s17, s9, s10
	s_cmp_ge_u32 s9, s10
	s_cselect_b32 s16, s18, s16
	s_cselect_b32 s9, s17, s9
	s_add_i32 s17, s16, 1
	s_cmp_ge_u32 s9, s10
	s_cselect_b32 s9, s17, s16
	s_load_dwordx4 s[16:19], s[0:1], 0x28
	s_xor_b32 s9, s9, s8
	s_sub_i32 s24, s9, s8
	s_mul_i32 s28, s24, s13
	s_ashr_i32 s25, s24, 31
	s_sub_i32 s45, s3, s28
	s_lshl_b64 s[8:9], s[24:25], 2
	s_add_u32 s4, s4, s8
	s_addc_u32 s5, s5, s9
	s_add_u32 s26, s6, s8
	s_addc_u32 s27, s7, s9
	s_abs_i32 s3, s14
	v_cvt_f32_u32_e32 v1, s3
	s_load_dwordx2 s[30:31], s[4:5], 0x0
	s_sub_i32 s5, 0, s3
	s_lshl_b32 s2, s2, 5
	v_rcp_iflag_f32_e32 v1, v1
	v_or_b32_e32 v50, s2, v61
	s_waitcnt lgkmcnt(0)
	s_sub_i32 s48, s31, s30
	s_ashr_i32 s4, s48, 31
	v_mul_f32_e32 v1, 0x4f7ffffe, v1
	v_cvt_u32_f32_e32 v1, v1
	s_lshr_b32 s4, s4, 26
	s_add_i32 s4, s48, s4
	s_ashr_i32 s46, s4, 6
	v_readfirstlane_b32 s6, v1
	s_mul_i32 s5, s5, s6
	s_mul_hi_u32 s5, s6, s5
	s_add_i32 s6, s6, s5
	s_mul_hi_u32 s5, s10, s6
	s_mul_i32 s6, s5, s3
	s_ashr_i32 s4, s14, 31
	s_sub_i32 s6, s10, s6
	s_xor_b32 s4, s11, s4
	s_add_i32 s7, s5, 1
	s_sub_i32 s8, s6, s3
	s_cmp_ge_u32 s6, s3
	s_cselect_b32 s5, s7, s5
	s_cselect_b32 s6, s8, s6
	s_add_i32 s7, s5, 1
	s_cmp_ge_u32 s6, s3
	s_cselect_b32 s3, s7, s5
	s_xor_b32 s3, s3, s4
	s_sub_i32 s3, s3, s4
	s_abs_i32 s4, s3
	v_cvt_f32_u32_e32 v1, s4
	s_sub_i32 s6, 0, s4
	s_abs_i32 s5, s45
	s_xor_b32 s3, s45, s3
	v_rcp_iflag_f32_e32 v1, v1
	s_ashr_i32 s3, s3, 31
	v_lshlrev_b32_e32 v2, 7, v50
	v_ashrrev_i32_e32 v3, 31, v2
	v_mul_f32_e32 v1, 0x4f7ffffe, v1
	v_cvt_u32_f32_e32 v1, v1
	v_lshrrev_b32_e32 v63, 3, v58
	s_mul_i32 s33, s24, s21
	s_mul_hi_u32 s40, s24, s20
	v_readfirstlane_b32 s7, v1
	s_mul_i32 s6, s6, s7
	s_mul_hi_u32 s6, s7, s6
	s_add_i32 s7, s7, s6
	s_mul_hi_u32 s6, s5, s7
	s_mul_i32 s7, s6, s4
	s_sub_i32 s5, s5, s7
	s_add_i32 s7, s6, 1
	s_sub_i32 s8, s5, s4
	s_cmp_ge_u32 s5, s4
	s_cselect_b32 s6, s7, s6
	s_cselect_b32 s5, s8, s5
	s_add_i32 s7, s6, 1
	s_cmp_ge_u32 s5, s4
	s_cselect_b32 s4, s7, s6
	s_xor_b32 s4, s4, s3
	s_sub_i32 s49, s4, s3
	s_ashr_i32 s47, s45, 31
	s_mul_hi_i32 s3, s24, s13
	s_add_u32 s4, s28, s45
	s_addc_u32 s5, s3, s47
	s_lshl_b64 s[4:5], s[4:5], 15
	s_add_u32 s4, s16, s4
	s_addc_u32 s5, s17, s5
	v_lshlrev_b32_e32 v1, 4, v59
	v_lshl_add_u64 v[4:5], v[2:3], 1, s[4:5]
	v_or_b32_e32 v2, 0x800, v2
	v_lshl_or_b32 v64, v60, 2, v1
	v_ashrrev_i32_e32 v3, 31, v2
	v_lshlrev_b32_e32 v6, 1, v64
	v_lshl_add_u64 v[2:3], v[2:3], 1, s[4:5]
	v_lshl_add_u64 v[4:5], v[4:5], 0, v[6:7]
	;; [unrolled: 1-line block ×3, first 2 shown]
	global_load_dwordx2 v[8:9], v[4:5], off
	v_or_b32_e32 v65, 64, v64
	global_load_dwordx2 v[4:5], v[4:5], off offset:128
	s_nop 0
	global_load_dwordx2 v[6:7], v[2:3], off
	global_load_dwordx2 v[10:11], v[2:3], off offset:128
	s_load_dwordx8 s[4:11], s[0:1], 0x0
	s_load_dwordx2 s[28:29], s[0:1], 0x80
	s_load_dword s52, s[26:27], 0x0
	s_mul_i32 s34, s24, s20
	s_mul_i32 s41, s25, s20
	s_mul_hi_i32 s50, s45, s12
	s_mul_i32 s51, s45, s12
	s_mul_i32 s42, s45, s23
	s_mul_hi_u32 s43, s45, s22
	s_mul_i32 s44, s47, s22
	s_cmp_lt_i32 s48, 64
	s_mul_i32 s36, s45, s22
	s_waitcnt vmcnt(3)
	v_and_b32_e32 v19, 0xffff0000, v8
	v_lshlrev_b32_e32 v18, 16, v8
	v_and_b32_e32 v21, 0xffff0000, v9
	v_lshlrev_b32_e32 v20, 16, v9
	s_waitcnt vmcnt(2)
	v_and_b32_e32 v23, 0xffff0000, v4
	v_lshlrev_b32_e32 v22, 16, v4
	v_and_b32_e32 v25, 0xffff0000, v5
	v_lshlrev_b32_e32 v24, 16, v5
	;; [unrolled: 5-line block ×4, first 2 shown]
	s_cbranch_scc1 .LBB356_17
; %bb.1:
	s_ashr_i32 s1, s30, 31
	s_add_u32 s0, s51, s30
	s_addc_u32 s1, s50, s1
	s_lshl_b64 s[0:1], s[0:1], 8
	v_and_b32_e32 v67, 56, v62
	s_waitcnt lgkmcnt(0)
	s_add_u32 s20, s6, s0
	v_lshl_or_b32 v66, v59, 3, v63
	v_lshlrev_b32_e32 v2, 1, v67
	s_addc_u32 s0, s7, s1
	v_lshl_or_b32 v68, v66, 8, v2
	s_and_b32 s21, s0, 0xffff
	s_mov_b32 s23, 0x20000
	s_movk_i32 s22, 0x4000
	s_movk_i32 s0, 0x80
	v_or_b32_e32 v69, 0x2000, v68
	buffer_load_dwordx4 v[4:7], v68, s[20:23], 0 offen
	buffer_load_dwordx4 v[8:11], v68, s[20:23], s0 offen
	;; [unrolled: 1-line block ×4, first 2 shown]
	v_lshlrev_b32_e32 v3, 3, v66
	v_and_or_b32 v17, v0, 7, v3
	v_and_b32_e32 v3, 0x78, v3
	v_lshlrev_b32_e32 v17, 4, v17
	v_xor_b32_e32 v70, v17, v3
	v_mul_lo_u32 v16, v66, s15
	v_or_b32_e32 v71, 0x1000, v70
	v_xor_b32_e32 v3, 8, v70
	s_cmpk_eq_i32 s15, 0x80
	s_mov_b32 s53, s30
	v_xor_b32_e32 v17, 8, v71
	s_cselect_b64 s[0:1], -1, 0
	s_cmpk_lg_i32 s15, 0x80
	s_waitcnt vmcnt(3)
	ds_write_b64 v70, v[4:5] offset:24576
	ds_write_b64 v3, v[6:7] offset:24576
	s_waitcnt vmcnt(2)
	ds_write_b64 v70, v[8:9] offset:32768
	ds_write_b64 v3, v[10:11] offset:32768
	;; [unrolled: 3-line block ×4, first 2 shown]
	v_lshl_add_u32 v3, v16, 1, v67
	s_cbranch_scc0 .LBB356_3
; %bb.2:
	v_lshlrev_b32_e32 v5, 1, v3
	v_add_lshl_u32 v4, v3, s15, 1
	s_lshl_b32 s22, s15, 7
	v_lshl_or_b32 v2, v66, 9, v2
	s_cbranch_execz .LBB356_4
	s_branch .LBB356_5
.LBB356_3:
                                        ; implicit-def: $vgpr4
                                        ; implicit-def: $vgpr5
                                        ; implicit-def: $sgpr22
	v_lshl_or_b32 v2, v66, 9, v2
.LBB356_4:
	v_or_b32_e32 v4, 0x100, v2
	s_movk_i32 s22, 0x4000
	v_mov_b32_e32 v5, v2
.LBB356_5:
	s_mul_i32 s16, s30, s14
	s_ashr_i32 s54, s49, 31
	s_mul_hi_i32 s3, s30, s14
	s_add_u32 s16, s16, s49
	s_addc_u32 s17, s3, s54
	s_lshl_b64 s[16:17], s[16:17], 8
	s_add_u32 s20, s4, s16
	s_addc_u32 s3, s5, s17
	s_and_b32 s21, s3, 0xffff
	s_movk_i32 s55, 0x80
	buffer_load_dwordx4 v[6:9], v5, s[20:23], 0 offen
	buffer_load_dwordx4 v[10:13], v5, s[20:23], s55 offen
	;; [unrolled: 1-line block ×4, first 2 shown]
	v_and_b32_e32 v4, 6, v0
	v_lshlrev_b32_e32 v39, 6, v64
	v_or_b32_e32 v41, 16, v61
	v_xor_b32_e32 v42, v66, v4
	v_and_b32_e32 v5, 1, v0
	v_lshl_or_b32 v45, v61, 3, v39
	v_lshl_or_b32 v39, v41, 3, v39
	v_lshlrev_b32_e32 v42, 2, v42
	v_lshlrev_b32_e32 v38, 2, v61
	v_or_b32_e32 v74, 0xa000, v39
	v_or_b32_e32 v75, 0xb000, v39
	v_xor_b32_e32 v39, 0x440, v42
	v_cmp_eq_u32_e32 vcc, 0, v5
	s_add_i32 s3, s40, s33
	v_xor_b32_e32 v43, v64, v38
	v_xor_b32_e32 v44, v65, v38
	v_cndmask_b32_e32 v5, v39, v42, vcc
	s_add_i32 s16, s43, s42
	s_add_i32 s35, s3, s41
	s_mov_b32 s56, 0x1000504
	v_lshlrev_b32_e32 v40, 8, v61
	v_lshlrev_b32_e32 v41, 8, v41
	;; [unrolled: 1-line block ×4, first 2 shown]
	v_lshl_or_b32 v4, v4, 10, v5
	s_add_i32 s37, s16, s44
	s_lshl_b64 s[16:17], s[34:35], 2
	s_mov_b32 s57, 0x3020706
	v_or_b32_e32 v72, 0xa000, v45
	v_or_b32_e32 v73, 0xb000, v45
	;; [unrolled: 1-line block ×5, first 2 shown]
	v_xor_b32_e32 v5, 8, v4
	v_xor_b32_e32 v40, 24, v4
	;; [unrolled: 1-line block ×4, first 2 shown]
	s_add_u32 s3, s10, s16
	v_or_b32_e32 v78, v41, v43
	v_xor_b32_e32 v39, 16, v4
	v_xor_b32_e32 v41, 32, v4
	;; [unrolled: 1-line block ×3, first 2 shown]
	v_add_u32_e32 v5, 0x80, v5
	v_add_u32_e32 v40, 0x80, v40
	;; [unrolled: 1-line block ×4, first 2 shown]
	s_addc_u32 s20, s11, s17
	s_lshl_b64 s[16:17], s[36:37], 2
	s_add_u32 s16, s3, s16
	s_movk_i32 s3, 0xf8
	s_addc_u32 s17, s20, s17
	s_lshl_b32 s26, s15, 7
	s_movk_i32 s24, 0x100
	v_mov_b32_e32 v53, 0
	v_lshlrev_b32_e32 v52, 4, v61
	v_cmp_gt_u32_e32 vcc, s24, v0
	v_ashrrev_i32_e32 v51, 31, v50
	v_lshl_add_u64 v[54:55], v[50:51], 1, s[8:9]
	s_mov_b32 s58, 0
	s_movk_i32 s35, 0x1000
	s_movk_i32 s22, 0x4000
	v_mov_b32_e32 v100, 0x3fb8aa3b
	s_waitcnt vmcnt(1)
	v_perm_b32 v45, v6, v14, s56
	s_waitcnt vmcnt(0)
	v_perm_b32 v46, v10, v34, s56
	v_perm_b32 v6, v6, v14, s57
	;; [unrolled: 1-line block ×15, first 2 shown]
	ds_write2st64_b32 v4, v45, v46 offset0:32 offset1:64
	ds_write2st64_b32 v5, v6, v10 offset0:32 offset1:64
	;; [unrolled: 1-line block ×8, first 2 shown]
	v_or_b32_e32 v4, v1, v61
	v_lshlrev_b32_e32 v4, 3, v4
	v_lshrrev_b32_e32 v7, 5, v58
	v_and_or_b32 v7, v4, s3, v7
	v_lshlrev_b32_e32 v7, 4, v7
	v_lshlrev_b32_e32 v5, 11, v59
	v_and_b32_e32 v4, 0x78, v4
	v_or_b32_e32 v12, 32, v7
	v_and_b32_e32 v6, 0x1000, v5
	v_lshrrev_b32_e32 v9, 1, v0
	v_xor_b32_e32 v12, v12, v4
	v_and_b32_e32 v10, 8, v9
	v_or_b32_e32 v12, v12, v6
	v_xor_b32_e32 v8, v7, v4
	v_xor_b32_e32 v82, v12, v10
	v_or_b32_e32 v12, 64, v7
	v_or_b32_e32 v7, 0x60, v7
	s_ashr_i32 s3, s2, 31
	v_xor_b32_e32 v12, v12, v4
	v_xor_b32_e32 v4, v7, v4
	s_lshl_b64 s[20:21], s[2:3], 8
	v_or_b32_e32 v8, v8, v6
	v_or_b32_e32 v12, v12, v6
	;; [unrolled: 1-line block ×3, first 2 shown]
	s_add_u32 s20, s18, s20
	v_lshlrev_b32_e32 v6, 1, v61
	v_xor_b32_e32 v84, v12, v10
	v_lshrrev_b32_e32 v12, 4, v0
	s_addc_u32 s21, s19, s21
	v_or_b32_e32 v7, 1, v6
	v_mov_b32_e32 v16, 0x4000
	v_mov_b32_e32 v17, 0x2000
	v_xor_b32_e32 v13, v12, v6
	v_xor_b32_e32 v14, v7, v12
	v_lshl_add_u64 v[6:7], s[20:21], 0, v[52:53]
	v_lshlrev_b32_e32 v52, 8, v12
	v_cndmask_b32_e32 v16, v16, v17, vcc
	v_lshlrev_b32_e32 v17, 3, v59
	v_and_b32_e32 v9, 24, v9
	v_lshl_or_b32 v88, v13, 3, v52
	v_and_b32_e32 v13, 8, v0
	v_xor_b32_e32 v34, v17, v9
	v_or_b32_e32 v35, 0x440, v34
	v_cmp_eq_u32_e32 vcc, 0, v13
	v_and_b32_e32 v12, 7, v0
	v_xor_b32_e32 v80, v8, v10
	v_cndmask_b32_e32 v13, v35, v34, vcc
	v_lshlrev_b32_e32 v8, 7, v60
	v_lshl_or_b32 v89, v14, 3, v52
	v_lshlrev_b32_e32 v14, 3, v12
	v_lshlrev_b32_e32 v12, 7, v12
	;; [unrolled: 1-line block ×3, first 2 shown]
	v_or_b32_e32 v13, v13, v5
	v_or_b32_e32 v11, v8, v38
	v_xad_u32 v90, v13, v14, v12
	v_and_or_b32 v8, v15, 60, v8
	v_mov_b32_e32 v13, 0xb000
	v_lshl_or_b32 v91, v8, 1, v13
	v_or_b32_e32 v8, 32, v9
	v_xor_b32_e32 v8, v17, v8
	v_or_b32_e32 v13, 0x440, v8
	v_cndmask_b32_e32 v8, v13, v8, vcc
	v_or_b32_e32 v8, v8, v5
	v_xad_u32 v92, v8, v14, v12
	v_or_b32_e32 v8, 64, v9
	v_xor_b32_e32 v8, v17, v8
	v_xor_b32_e32 v13, 0x440, v8
	v_cndmask_b32_e32 v8, v13, v8, vcc
	v_or_b32_e32 v8, v8, v5
	v_xad_u32 v93, v8, v14, v12
	v_or_b32_e32 v8, 0x60, v9
	v_xor_b32_e32 v8, v17, v8
	v_xor_b32_e32 v9, 0x440, v8
	v_cndmask_b32_e32 v8, v9, v8, vcc
	v_lshlrev_b32_e32 v11, 1, v11
	v_or_b32_e32 v5, v8, v5
	v_or_b32_e32 v81, 0xa000, v11
	;; [unrolled: 1-line block ×3, first 2 shown]
	v_xor_b32_e32 v85, v4, v10
	v_or_b32_e32 v86, 0xb000, v11
	v_or_b32_e32 v87, 0xb080, v11
	v_lshlrev_b32_e32 v4, 7, v64
	v_lshlrev_b32_e32 v10, 1, v3
	v_add_lshl_u32 v3, v3, s15, 1
	v_or_b32_e32 v11, 0x100, v2
	v_xad_u32 v94, v5, v14, v12
	v_cndmask_b32_e64 v95, v10, v2, s[0:1]
	v_cndmask_b32_e64 v96, v3, v11, s[0:1]
	v_lshl_add_u64 v[56:57], v[6:7], 0, v[52:53]
	v_lshlrev_b32_e32 v52, 1, v4
	v_add_u32_e32 v51, v16, v90
	v_add_u32_e32 v97, v16, v92
	;; [unrolled: 1-line block ×4, first 2 shown]
	v_mov_b64_e32 v[2:3], v[18:19]
	s_mov_b32 s3, 0x7060302
	v_mov_b64_e32 v[4:5], v[20:21]
	v_mov_b64_e32 v[6:7], v[22:23]
	;; [unrolled: 1-line block ×7, first 2 shown]
	s_waitcnt lgkmcnt(0)
	s_barrier
	s_branch .LBB356_7
.LBB356_6:                              ;   in Loop: Header=BB356_7 Depth=1
	v_mul_f32_e32 v22, s20, v100
	s_waitcnt vmcnt(2)
	v_exp_f32_e32 v34, v22
	v_accvgpr_read_b32 v21, a7
	v_accvgpr_read_b32 v19, a5
	;; [unrolled: 1-line block ×16, first 2 shown]
	v_fma_f32 v18, v2, v34, v18
	v_fma_f32 v19, v3, v34, v19
	v_fma_f32 v20, v4, v34, v20
	v_fmac_f32_e32 v21, v5, v34
	v_fma_f32 v26, v10, v34, v26
	v_fma_f32 v27, v11, v34, v27
	v_fma_f32 v28, v12, v34, v28
	v_fmac_f32_e32 v29, v13, v34
	;; [unrolled: 4-line block ×4, first 2 shown]
	s_add_i32 s53, s53, 64
	v_mov_b64_e32 v[2:3], v[18:19]
	s_cmp_eq_u32 s46, s37
	s_mov_b32 s58, s37
	v_mov_b64_e32 v[4:5], v[20:21]
	v_mov_b64_e32 v[6:7], v[22:23]
	;; [unrolled: 1-line block ×7, first 2 shown]
	s_cbranch_scc1 .LBB356_17
.LBB356_7:                              ; =>This Inner Loop Header: Depth=1
	s_add_i32 s37, s58, 1
	s_cmp_lt_i32 s37, s46
	s_mov_b64 s[24:25], 0
	s_cselect_b64 s[38:39], -1, 0
	s_cmp_ge_i32 s37, s46
	s_mov_b64 s[20:21], 0
	s_cbranch_scc1 .LBB356_9
; %bb.8:                                ;   in Loop: Header=BB356_7 Depth=1
	s_add_i32 s0, s53, 64
	s_ashr_i32 s1, s0, 31
	s_add_u32 s0, s51, s0
	s_addc_u32 s1, s50, s1
	s_lshl_b64 s[0:1], s[0:1], 8
	s_add_u32 s20, s6, s0
	s_addc_u32 s21, s7, s1
.LBB356_9:                              ;   in Loop: Header=BB356_7 Depth=1
	v_cndmask_b32_e64 v18, 0, 1, s[38:39]
	v_cmp_ne_u32_e64 s[0:1], 1, v18
	s_andn2_b64 vcc, exec, s[38:39]
	s_cbranch_vccnz .LBB356_11
; %bb.10:                               ;   in Loop: Header=BB356_7 Depth=1
	s_add_i32 s24, s53, 64
	s_mul_hi_i32 s25, s24, s14
	s_mul_i32 s24, s24, s14
	s_add_u32 s24, s24, s49
	s_addc_u32 s25, s25, s54
	s_lshl_b64 s[24:25], s[24:25], 8
	s_add_u32 s24, s4, s24
	s_addc_u32 s25, s5, s25
.LBB356_11:                             ;   in Loop: Header=BB356_7 Depth=1
	v_perm_b32 v19, v5, v4, s3
	v_perm_b32 v18, v3, v2, s3
	;; [unrolled: 1-line block ×4, first 2 shown]
	ds_write_b64 v72, v[18:19]
	ds_write_b64 v73, v[20:21]
	;; [unrolled: 1-line block ×4, first 2 shown]
	v_perm_b32 v19, v13, v12, s3
	v_perm_b32 v18, v11, v10, s3
	;; [unrolled: 1-line block ×4, first 2 shown]
	ds_write_b64 v74, v[18:19]
	ds_write_b64 v75, v[20:21]
	;; [unrolled: 1-line block ×4, first 2 shown]
	s_waitcnt lgkmcnt(0)
	s_barrier
	ds_read_b64 v[22:23], v80 offset:24576
	ds_read2_b64 v[18:21], v81 offset1:16
	ds_read_b64 v[26:27], v83 offset:3072
	ds_read_b64 v[28:29], v81 offset:3072
	;; [unrolled: 1-line block ×3, first 2 shown]
	s_waitcnt lgkmcnt(3)
	v_mfma_f32_16x16x16_bf16 a[0:3], v[22:23], v[18:19], 0
	s_add_i32 s27, s53, 63
	s_ashr_i32 s38, s27, 31
	s_mul_i32 s39, s27, s29
	v_mfma_f32_16x16x16_bf16 a[4:7], v[22:23], v[20:21], 0
	ds_read2st64_b64 v[18:21], v81 offset0:2 offset1:4
	s_mul_hi_u32 s59, s27, s28
	s_add_i32 s39, s59, s39
	s_waitcnt lgkmcnt(0)
	v_mfma_f32_16x16x16_bf16 a[0:3], v[30:31], v[18:19], a[0:3]
	ds_read2st64_b64 v[22:25], v83 offset0:2 offset1:4
	ds_read_b64 v[18:19], v84 offset:24576
	s_mul_i32 s38, s38, s28
	s_add_i32 s39, s39, s38
	s_waitcnt lgkmcnt(1)
	v_mfma_f32_16x16x16_bf16 a[4:7], v[30:31], v[22:23], a[4:7]
	ds_read_b64 v[22:23], v85 offset:24576
	s_mul_i32 s38, s27, s28
	s_lshl_b64 s[38:39], s[38:39], 2
	s_waitcnt lgkmcnt(1)
	v_mfma_f32_16x16x16_bf16 a[0:3], v[18:19], v[20:21], a[0:3]
	s_add_u32 s38, s16, s38
	s_addc_u32 s39, s17, s39
	s_and_b64 vcc, exec, s[0:1]
	v_mfma_f32_16x16x16_bf16 a[4:7], v[18:19], v[24:25], a[4:7]
	v_mov_b32_e32 v103, 0
	v_mov_b32_e32 v102, 0
	;; [unrolled: 1-line block ×3, first 2 shown]
	s_waitcnt lgkmcnt(0)
	v_mfma_f32_16x16x16_bf16 a[0:3], v[22:23], v[28:29], a[0:3]
	v_mov_b32_e32 v18, 0
	v_mov_b32_e32 v19, 0
	;; [unrolled: 1-line block ×3, first 2 shown]
	v_mfma_f32_16x16x16_bf16 a[4:7], v[22:23], v[26:27], a[4:7]
	v_mov_b32_e32 v21, 0
	v_mov_b32_e32 v22, 0
	;; [unrolled: 1-line block ×13, first 2 shown]
	s_cbranch_vccnz .LBB356_13
; %bb.12:                               ;   in Loop: Header=BB356_7 Depth=1
	s_and_b32 s21, s21, 0xffff
	buffer_load_dwordx4 v[30:33], v68, s[20:23], 0 offen
	buffer_load_dwordx4 v[26:29], v68, s[20:23], s55 offen
	;; [unrolled: 1-line block ×4, first 2 shown]
	v_mov_b32_e32 v102, v70
	v_mov_b32_e32 v101, v71
.LBB356_13:                             ;   in Loop: Header=BB356_7 Depth=1
	ds_read_b64 v[38:39], v80 offset:32768
	ds_read2_b64 v[34:37], v86 offset1:16
	ds_read_b64 v[42:43], v82 offset:32768
	ds_read_b64 v[44:45], v84 offset:32768
	;; [unrolled: 1-line block ×3, first 2 shown]
	v_add_u32_e32 v48, s53, v64
	s_waitcnt lgkmcnt(3)
	v_mfma_f32_16x16x16_bf16 a[0:3], v[38:39], v[34:35], a[0:3]
	v_mul_lo_u32 v49, v48, s29
	v_mfma_f32_16x16x16_bf16 a[4:7], v[38:39], v[36:37], a[4:7]
	ds_read2st64_b64 v[34:37], v86 offset0:2 offset1:4
	ds_read2st64_b64 v[38:41], v87 offset0:2 offset1:4
	s_waitcnt lgkmcnt(1)
	v_mfma_f32_16x16x16_bf16 a[0:3], v[42:43], v[34:35], a[0:3]
	v_ashrrev_i32_e32 v34, 31, v48
	v_mul_lo_u32 v104, v34, s28
	v_mad_u64_u32 v[34:35], s[20:21], v48, s28, 0
	v_mfma_f32_16x16x16_bf16 a[0:3], v[44:45], v[36:37], a[0:3]
	v_add_u32_e32 v36, 1, v48
	v_ashrrev_i32_e32 v37, 31, v36
	v_add3_u32 v35, v35, v49, v104
	s_waitcnt lgkmcnt(0)
	v_mfma_f32_16x16x16_bf16 a[4:7], v[42:43], v[38:39], a[4:7]
	v_mul_lo_u32 v38, v37, s28
	v_mul_lo_u32 v39, v36, s29
	v_mad_u64_u32 v[36:37], s[20:21], v36, s28, 0
	v_add3_u32 v37, v37, v39, v38
	v_add_u32_e32 v38, 2, v48
	v_ashrrev_i32_e32 v39, 31, v38
	v_mul_lo_u32 v42, v39, s28
	v_mul_lo_u32 v43, v38, s29
	v_mad_u64_u32 v[38:39], s[20:21], v38, s28, 0
	v_add3_u32 v39, v39, v43, v42
	v_add_u32_e32 v42, 3, v48
	v_ashrrev_i32_e32 v43, 31, v42
	v_mul_lo_u32 v48, v43, s28
	v_mul_lo_u32 v49, v42, s29
	v_mad_u64_u32 v[42:43], s[20:21], v42, s28, 0
	v_add3_u32 v43, v43, v49, v48
	s_ashr_i32 s21, s53, 31
	v_lshl_add_u64 v[34:35], v[34:35], 2, s[16:17]
	v_lshl_add_u64 v[42:43], v[42:43], 2, s[16:17]
	s_add_u32 s20, s51, s53
	v_lshl_add_u64 v[36:37], v[36:37], 2, s[16:17]
	v_lshl_add_u64 v[38:39], v[38:39], 2, s[16:17]
	global_load_dword v48, v[34:35], off
	global_load_dword v49, v[36:37], off
	global_load_dword v104, v[38:39], off
	s_nop 0
	global_load_dword v42, v[42:43], off
	s_addc_u32 s21, s50, s21
	s_lshl_b64 s[20:21], s[20:21], 8
	v_lshl_add_u64 v[34:35], v[54:55], 0, s[20:21]
	v_lshl_add_u64 v[34:35], v[34:35], 0, v[52:53]
	global_load_ushort v43, v[34:35], off offset:256
	global_load_ushort v105, v[34:35], off
	global_load_ushort v106, v[34:35], off offset:768
	global_load_ushort v107, v[34:35], off offset:512
	ds_read_b64 v[36:37], v86 offset:3072
	ds_read_b64 v[38:39], v87 offset:3072
	global_load_ushort v108, v[34:35], off offset:800
	global_load_ushort v109, v[34:35], off offset:544
	;; [unrolled: 1-line block ×4, first 2 shown]
	s_load_dword s20, s[38:39], 0x0
	v_mfma_f32_16x16x16_bf16 a[4:7], v[44:45], v[40:41], a[4:7]
	s_and_b64 vcc, exec, s[0:1]
	s_waitcnt vmcnt(11) lgkmcnt(0)
	v_sub_f32_e32 v40, s20, v48
	v_mfma_f32_16x16x16_bf16 a[0:3], v[46:47], v[36:37], a[0:3]
	s_waitcnt vmcnt(10)
	v_sub_f32_e32 v45, s20, v49
	v_mul_f32_e32 v44, 0x3fb8aa3b, v40
	v_mul_f32_e32 v45, 0x3fb8aa3b, v45
	v_mfma_f32_16x16x16_bf16 a[4:7], v[46:47], v[38:39], a[4:7]
	s_waitcnt vmcnt(9)
	v_sub_f32_e32 v46, s20, v104
	s_waitcnt vmcnt(8)
	v_sub_f32_e32 v47, s20, v42
	v_mul_f32_e32 v46, 0x3fb8aa3b, v46
	v_mul_f32_e32 v47, 0x3fb8aa3b, v47
	v_exp_f32_e32 v44, v44
	v_exp_f32_e32 v45, v45
	;; [unrolled: 1-line block ×4, first 2 shown]
	v_accvgpr_read_b32 v39, a1
	v_accvgpr_read_b32 v35, a3
	;; [unrolled: 1-line block ×4, first 2 shown]
	s_waitcnt vmcnt(7)
	v_lshlrev_b32_e32 v41, 16, v43
	s_waitcnt vmcnt(6)
	v_lshlrev_b32_e32 v40, 16, v105
	;; [unrolled: 2-line block ×4, first 2 shown]
	v_pk_add_f32 v[38:39], v[40:41], v[38:39] neg_lo:[0,1] neg_hi:[0,1]
	v_pk_add_f32 v[34:35], v[42:43], v[34:35] neg_lo:[0,1] neg_hi:[0,1]
	v_pk_mul_f32 v[38:39], v[44:45], v[38:39]
	v_pk_mul_f32 v[34:35], v[46:47], v[34:35]
	v_accvgpr_read_b32 v41, a5
	v_perm_b32 v35, v35, v34, s3
	v_perm_b32 v34, v39, v38, s3
	s_waitcnt vmcnt(1)
	v_lshlrev_b32_e32 v39, 16, v110
	s_waitcnt vmcnt(0)
	v_lshlrev_b32_e32 v38, 16, v111
	v_accvgpr_read_b32 v40, a4
	v_accvgpr_read_b32 v37, a7
	;; [unrolled: 1-line block ×3, first 2 shown]
	v_pk_add_f32 v[38:39], v[38:39], v[40:41] neg_lo:[0,1] neg_hi:[0,1]
	v_lshlrev_b32_e32 v41, 16, v108
	v_lshlrev_b32_e32 v40, 16, v109
	v_pk_add_f32 v[36:37], v[40:41], v[36:37] neg_lo:[0,1] neg_hi:[0,1]
	v_pk_mul_f32 v[38:39], v[44:45], v[38:39]
	v_pk_mul_f32 v[36:37], v[46:47], v[36:37]
	v_mov_b32_e32 v104, 0
	v_perm_b32 v37, v37, v36, s3
	v_perm_b32 v36, v39, v38, s3
	ds_write2_b64 v73, v[34:35], v[36:37] offset1:16
	v_mov_b32_e32 v34, 0
	v_mov_b32_e32 v35, 0
	;; [unrolled: 1-line block ×16, first 2 shown]
	s_cbranch_vccnz .LBB356_15
; %bb.14:                               ;   in Loop: Header=BB356_7 Depth=1
	s_and_b32 s25, s25, 0xffff
	s_mov_b32 s27, s23
	buffer_load_dwordx4 v[46:49], v95, s[24:27], 0 offen
	buffer_load_dwordx4 v[38:41], v95, s[24:27], s55 offen
	buffer_load_dwordx4 v[42:45], v96, s[24:27], 0 offen
	buffer_load_dwordx4 v[34:37], v96, s[24:27], s55 offen
	v_mov_b32_e32 v103, v67
	v_mov_b32_e32 v104, v66
.LBB356_15:                             ;   in Loop: Header=BB356_7 Depth=1
	s_waitcnt lgkmcnt(0)
	s_barrier
	ds_read_b64 v[110:111], v51
	ds_read_b64 v[118:119], v91
	;; [unrolled: 1-line block ×5, first 2 shown]
	ds_read_b64 v[124:125], v92 offset:16384
	ds_read_b64 v[126:127], v90 offset:16384
	ds_read2_b64 v[106:109], v86 offset0:16 offset1:128
	s_waitcnt lgkmcnt(6)
	v_mfma_f32_16x16x16_bf16 a[0:3], v[110:111], v[118:119], 0
	ds_read_b64 v[128:129], v87 offset:3072
	ds_read_b64 v[130:131], v94 offset:16384
	s_add_i32 s21, s52, s58
	s_waitcnt lgkmcnt(2)
	v_mfma_f32_16x16x16_bf16 a[4:7], v[110:111], v[106:107], 0
	ds_read2st64_b64 v[110:113], v87 offset0:2 offset1:4
	s_mul_hi_i32 s25, s21, s13
	s_mul_i32 s21, s21, s13
	v_mfma_f32_16x16x16_bf16 a[0:3], v[114:115], v[108:109], a[0:3]
	s_add_u32 s24, s21, s45
	s_addc_u32 s25, s25, s47
	s_lshl_b64 s[24:25], s[24:25], 15
	s_waitcnt lgkmcnt(0)
	v_mfma_f32_16x16x16_bf16 a[4:7], v[114:115], v[110:111], a[4:7]
	ds_read2st64_b64 v[114:117], v86 offset0:4 offset1:6
	s_waitcnt lgkmcnt(0)
	v_mfma_f32_16x16x16_bf16 a[0:3], v[120:121], v[114:115], a[0:3]
	v_mfma_f32_16x16x16_bf16 a[8:11], v[120:121], v[112:113], a[4:7]
	;; [unrolled: 1-line block ×5, first 2 shown]
	ds_read2st64_b64 v[118:121], v89 offset1:8
	v_mfma_f32_16x16x16_bf16 a[12:15], v[126:127], v[106:107], 0
	ds_read_b64 v[126:127], v93 offset:16384
	v_mfma_f32_16x16x16_bf16 a[8:11], v[124:125], v[108:109], a[8:11]
	ds_read2st64_b64 v[106:109], v88 offset1:8
	s_waitcnt lgkmcnt(0)
	v_mov_b32_e32 v122, v106
	v_mfma_f32_16x16x16_bf16 a[12:15], v[124:125], v[110:111], a[12:15]
	v_lshl_add_u64 v[110:111], v[56:57], 0, s[24:25]
	v_add_co_u32_e32 v106, vcc, s35, v110
	v_mfma_f32_16x16x16_bf16 a[8:11], v[126:127], v[114:115], a[8:11]
	v_mov_b32_e32 v123, v107
	v_addc_co_u32_e32 v107, vcc, 0, v111, vcc
	v_mfma_f32_16x16x16_bf16 a[12:15], v[126:127], v[112:113], a[12:15]
	v_mov_b32_e32 v124, v118
	v_mov_b32_e32 v125, v119
	;; [unrolled: 1-line block ×3, first 2 shown]
	v_mfma_f32_16x16x16_bf16 a[8:11], v[130:131], v[116:117], a[8:11]
	v_mov_b32_e32 v119, v109
	s_and_b64 vcc, exec, s[0:1]
	global_store_dwordx4 v[110:111], v[122:125], off
	v_mfma_f32_16x16x16_bf16 a[12:15], v[130:131], v[128:129], a[12:15]
	global_store_dwordx4 v[106:107], v[118:121], off
	s_cbranch_vccnz .LBB356_6
; %bb.16:                               ;   in Loop: Header=BB356_7 Depth=1
	v_lshrrev_b32_e32 v105, 3, v103
	v_and_b32_e32 v105, 6, v105
	v_xor_b32_e32 v104, v105, v104
	v_lshlrev_b32_e32 v104, 2, v104
	v_and_b32_e32 v103, 8, v103
	v_xor_b32_e32 v106, 0x440, v104
	v_cmp_eq_u32_e32 vcc, 0, v103
	s_barrier
	s_nop 0
	v_cndmask_b32_e32 v103, v106, v104, vcc
	v_lshl_or_b32 v103, v105, 10, v103
	s_waitcnt vmcnt(3)
	v_perm_b32 v104, v46, v42, s56
	s_waitcnt vmcnt(2)
	v_perm_b32 v105, v38, v34, s56
	ds_write2st64_b32 v103, v104, v105 offset0:32 offset1:64
	v_xor_b32_e32 v104, 8, v103
	v_perm_b32 v42, v46, v42, s57
	v_perm_b32 v34, v38, v34, s57
	v_add_u32_e32 v38, 0x80, v104
	ds_write2st64_b32 v38, v42, v34 offset0:32 offset1:64
	v_xor_b32_e32 v34, 16, v103
	v_perm_b32 v38, v47, v43, s56
	v_perm_b32 v42, v39, v35, s56
	ds_write2st64_b32 v34, v38, v42 offset0:33 offset1:65
	v_xor_b32_e32 v34, 24, v103
	v_perm_b32 v38, v47, v43, s57
	v_perm_b32 v35, v39, v35, s57
	v_add_u32_e32 v34, 0x80, v34
	ds_write2st64_b32 v34, v38, v35 offset0:33 offset1:65
	v_xor_b32_e32 v34, 32, v103
	v_perm_b32 v35, v48, v44, s56
	;; [unrolled: 9-line block ×3, first 2 shown]
	v_perm_b32 v36, v41, v37, s56
	ds_write2st64_b32 v34, v35, v36 offset0:35 offset1:67
	v_xor_b32_e32 v34, 56, v103
	v_perm_b32 v35, v49, v45, s57
	v_perm_b32 v36, v41, v37, s57
	v_add_u32_e32 v34, 0x80, v34
	ds_write2st64_b32 v34, v35, v36 offset0:35 offset1:67
	ds_write_b64 v102, v[30:31] offset:24576
	v_xor_b32_e32 v30, 8, v102
	ds_write_b64 v30, v[32:33] offset:24576
	ds_write_b64 v102, v[26:27] offset:32768
	;; [unrolled: 1-line block ×4, first 2 shown]
	v_xor_b32_e32 v22, 8, v101
	ds_write_b64 v22, v[24:25] offset:24576
	ds_write_b64 v101, v[18:19] offset:32768
	;; [unrolled: 1-line block ×3, first 2 shown]
	s_branch .LBB356_6
.LBB356_17:
	s_lshl_b32 s26, s46, 6
	s_sub_i32 s27, s48, s26
	s_cmp_gt_i32 s27, 0
	s_cbranch_scc0 .LBB356_82
; %bb.18:
	s_add_i32 s26, s26, s30
	s_ashr_i32 s3, s26, 31
	s_cmpk_lg_i32 s15, 0x80
	s_cselect_b64 s[22:23], -1, 0
	s_and_b64 vcc, exec, s[22:23]
	s_cbranch_vccz .LBB356_20
; %bb.19:
	s_mul_hi_i32 s0, s26, s14
	s_mul_i32 s1, s26, s14
	s_ashr_i32 s14, s49, 31
	s_add_u32 s24, s1, s49
	s_addc_u32 s25, s0, s14
	s_cbranch_execz .LBB356_21
	s_branch .LBB356_22
.LBB356_20:
                                        ; implicit-def: $sgpr24_sgpr25
.LBB356_21:
	s_mul_i32 s1, s49, s12
	s_mul_hi_i32 s0, s49, s12
	s_add_u32 s24, s1, s26
	s_addc_u32 s25, s0, s3
.LBB356_22:
	s_waitcnt lgkmcnt(0)
	s_add_i32 s12, s46, s52
	s_add_u32 s0, s51, s26
	v_lshlrev_b32_e32 v6, 5, v64
	v_lshlrev_b32_e32 v34, 2, v61
	s_addc_u32 s1, s50, s3
	s_mov_b32 s3, 0x7060302
	v_or_b32_e32 v9, v6, v34
	v_xor_b32_e32 v7, v64, v34
	v_perm_b32 v3, v21, v20, s3
	v_perm_b32 v2, v19, v18, s3
	;; [unrolled: 1-line block ×4, first 2 shown]
	v_lshlrev_b32_e32 v9, 1, v9
	v_xor_b32_e32 v8, v65, v34
	ds_write2st64_b64 v9, v[2:3], v[4:5] offset0:80 offset1:88
	v_lshlrev_b32_e32 v7, 1, v7
	v_lshlrev_b32_e32 v9, 8, v61
	s_lshl_b64 s[20:21], s[0:1], 8
	v_or_b32_e32 v10, v7, v9
	v_lshlrev_b32_e32 v8, 1, v8
	s_add_u32 s0, s6, s20
	ds_write_b64 v10, v[2:3]
	v_or_b32_e32 v2, v8, v9
	s_addc_u32 s1, s7, s21
	ds_write_b64 v2, v[4:5]
	v_perm_b32 v3, v29, v28, s3
	v_perm_b32 v2, v27, v26, s3
	;; [unrolled: 1-line block ×4, first 2 shown]
	v_or_b32_e32 v9, 16, v61
	s_mul_hi_i32 s3, s12, s13
	s_mul_i32 s12, s12, s13
	v_lshlrev_b32_e32 v19, 2, v9
	s_add_u32 s6, s12, s45
	v_or_b32_e32 v6, v6, v19
	s_addc_u32 s7, s3, s47
	v_lshlrev_b32_e32 v6, 1, v6
	s_ashr_i32 s3, s2, 31
	s_lshl_b64 s[6:7], s[6:7], 15
	ds_write2st64_b64 v6, v[2:3], v[4:5] offset0:80 offset1:88
	v_lshlrev_b32_e32 v6, 8, v9
	s_add_u32 s6, s18, s6
	v_or_b32_e32 v7, v7, v6
	s_addc_u32 s7, s19, s7
	s_lshl_b64 s[2:3], s[2:3], 8
	ds_write_b64 v7, v[2:3]
	v_or_b32_e32 v2, v8, v6
	s_add_u32 s2, s6, s2
	ds_write_b64 v2, v[4:5]
	v_lshrrev_b32_e32 v2, 4, v0
	s_addc_u32 s3, s7, s3
	v_lshlrev_b32_e32 v3, 1, v61
	v_lshlrev_b32_e32 v10, 4, v61
	v_mov_b32_e32 v11, 0
	v_or_b32_e32 v4, 1, v3
	v_xor_b32_e32 v3, v2, v3
	v_lshl_add_u64 v[12:13], s[2:3], 0, v[10:11]
	v_lshlrev_b32_e32 v10, 8, v2
	v_xor_b32_e32 v6, v4, v2
	v_lshl_or_b32 v2, v3, 3, v10
	s_waitcnt lgkmcnt(0)
	s_barrier
	ds_read2st64_b64 v[2:5], v2 offset1:8
	v_lshl_or_b32 v6, v6, 3, v10
	ds_read2st64_b64 v[6:9], v6 offset1:8
	v_lshl_add_u64 v[14:15], v[12:13], 0, v[10:11]
	s_movk_i32 s2, 0x1000
	s_waitcnt lgkmcnt(1)
	v_mov_b32_e32 v10, v2
	v_add_co_u32_e32 v2, vcc, s2, v14
	s_cmp_lg_u32 s27, 64
	v_mov_b32_e32 v11, v3
	v_addc_co_u32_e32 v3, vcc, 0, v15, vcc
	s_cselect_b64 s[6:7], -1, 0
	v_lshl_or_b32 v22, v59, 3, v63
	s_waitcnt lgkmcnt(0)
	v_mov_b32_e32 v12, v6
	v_mov_b32_e32 v13, v7
	;; [unrolled: 1-line block ×4, first 2 shown]
	s_mov_b32 s16, 0
	v_or_b32_e32 v20, 32, v22
	v_and_b32_e32 v18, 56, v62
	s_and_b64 vcc, exec, s[6:7]
	global_store_dwordx4 v[14:15], v[10:13], off
	global_store_dwordx4 v[2:3], v[6:9], off
	s_cbranch_vccz .LBB356_28
; %bb.23:
	s_mov_b32 s17, s16
	s_mov_b32 s18, s16
	;; [unrolled: 1-line block ×3, first 2 shown]
	v_mov_b64_e32 v[6:7], s[16:17]
	v_mov_b64_e32 v[8:9], s[18:19]
	;; [unrolled: 1-line block ×3, first 2 shown]
	v_cmp_gt_i32_e32 vcc, s27, v22
	v_mov_b64_e32 v[4:5], v[8:9]
	s_and_saveexec_b64 s[2:3], vcc
	s_cbranch_execz .LBB356_25
; %bb.24:
	v_lshlrev_b32_e32 v2, 8, v22
	v_mov_b32_e32 v3, 0
	v_lshl_add_u64 v[4:5], s[0:1], 0, v[2:3]
	v_lshlrev_b32_e32 v2, 1, v18
	v_lshl_add_u64 v[10:11], v[4:5], 0, v[2:3]
	global_load_dwordx4 v[6:9], v[10:11], off
	global_load_dwordx4 v[2:5], v[10:11], off offset:128
.LBB356_25:
	s_or_b64 exec, exec, s[2:3]
	s_mov_b32 s17, s16
	s_mov_b32 s18, s16
	;; [unrolled: 1-line block ×3, first 2 shown]
	v_mov_b64_e32 v[14:15], s[16:17]
	v_mov_b64_e32 v[16:17], s[18:19]
	v_mov_b64_e32 v[10:11], v[14:15]
	v_cmp_gt_i32_e32 vcc, s27, v20
	v_lshlrev_b32_e32 v21, 7, v20
	v_mov_b64_e32 v[12:13], v[16:17]
	s_and_saveexec_b64 s[2:3], vcc
	s_cbranch_execz .LBB356_27
; %bb.26:
	v_lshlrev_b32_e32 v10, 1, v21
	v_mov_b32_e32 v11, 0
	v_lshl_add_u64 v[12:13], s[0:1], 0, v[10:11]
	v_lshlrev_b32_e32 v10, 1, v18
	v_lshl_add_u64 v[24:25], v[12:13], 0, v[10:11]
	global_load_dwordx4 v[14:17], v[24:25], off
	global_load_dwordx4 v[10:13], v[24:25], off offset:128
.LBB356_27:
	s_or_b64 exec, exec, s[2:3]
	v_lshrrev_b32_e32 v23, 3, v18
	v_lshlrev_b32_e32 v24, 3, v22
	v_or_b32_e32 v23, v24, v23
	v_lshlrev_b32_e32 v23, 4, v23
	v_and_b32_e32 v24, 0x78, v24
	v_xor_b32_e32 v23, v23, v24
	s_branch .LBB356_30
.LBB356_28:
                                        ; implicit-def: $vgpr23
                                        ; implicit-def: $vgpr21
                                        ; implicit-def: $vgpr6_vgpr7_vgpr8_vgpr9
                                        ; implicit-def: $vgpr2_vgpr3_vgpr4_vgpr5
                                        ; implicit-def: $vgpr14_vgpr15_vgpr16_vgpr17
                                        ; implicit-def: $vgpr10_vgpr11_vgpr12_vgpr13
	s_cbranch_execz .LBB356_30
; %bb.29:
	s_waitcnt vmcnt(0)
	v_lshlrev_b32_e32 v2, 1, v18
	v_lshl_or_b32 v21, v22, 8, v2
	s_and_b32 s1, s1, 0xffff
	s_mov_b32 s3, 0x20000
	s_movk_i32 s2, 0x4000
	v_lshl_or_b32 v23, v20, 8, v2
	s_movk_i32 s12, 0x80
	buffer_load_dwordx4 v[6:9], v21, s[0:3], 0 offen
	buffer_load_dwordx4 v[2:5], v21, s[0:3], s12 offen
	;; [unrolled: 1-line block ×4, first 2 shown]
	v_lshrrev_b32_e32 v21, 3, v18
	v_lshlrev_b32_e32 v23, 3, v22
	v_or_b32_e32 v21, v23, v21
	v_lshlrev_b32_e32 v21, 4, v21
	v_and_b32_e32 v23, 0x78, v23
	v_xor_b32_e32 v23, v21, v23
	v_lshlrev_b32_e32 v21, 7, v20
.LBB356_30:
	s_lshl_b64 s[0:1], s[24:25], 8
	s_add_u32 s4, s4, s0
	s_movk_i32 s0, 0x1000
	v_and_or_b32 v20, v21, s0, v23
	s_waitcnt vmcnt(1)
	ds_write_b64 v23, v[6:7] offset:24576
	v_xor_b32_e32 v6, 8, v23
	ds_write_b64 v6, v[8:9] offset:24576
	s_waitcnt vmcnt(0)
	ds_write_b64 v23, v[2:3] offset:32768
	ds_write_b64 v6, v[4:5] offset:32768
	;; [unrolled: 1-line block ×3, first 2 shown]
	v_xor_b32_e32 v2, 8, v20
	ds_write_b64 v2, v[16:17] offset:24576
	ds_write_b64 v20, v[10:11] offset:32768
	;; [unrolled: 1-line block ×3, first 2 shown]
	v_or_b32_e32 v2, v1, v61
	v_lshlrev_b32_e32 v3, 11, v59
	v_lshlrev_b32_e32 v2, 3, v2
	v_and_b32_e32 v6, 0x1000, v3
	v_lshrrev_b32_e32 v3, 5, v58
	s_movk_i32 s3, 0xf8
	v_and_or_b32 v3, v2, s3, v3
	v_lshlrev_b32_e32 v7, 4, v3
	v_and_b32_e32 v8, 0x78, v2
	v_or_b32_e32 v10, 32, v7
	v_lshrrev_b32_e32 v3, 1, v58
	v_xor_b32_e32 v10, v10, v8
	v_xor_b32_e32 v2, v7, v8
	v_and_b32_e32 v9, 8, v3
	v_or_b32_e32 v10, v10, v6
	v_or_b32_e32 v2, v2, v6
	v_xor_b32_e32 v25, v10, v9
	v_or_b32_e32 v10, 64, v7
	v_xor_b32_e32 v24, v2, v9
	v_xor_b32_e32 v10, v10, v8
	s_waitcnt lgkmcnt(0)
	s_barrier
	v_or_b32_e32 v12, v10, v6
	ds_read_b64 v[10:11], v24 offset:24576
	v_lshl_or_b32 v20, v60, 7, v34
	v_lshlrev_b32_e32 v23, 1, v20
	v_add_u32_e32 v2, 0xa000, v23
	ds_read2_b64 v[2:5], v2 offset1:16
	v_or_b32_e32 v7, 0x60, v7
	v_xor_b32_e32 v7, v7, v8
	s_waitcnt lgkmcnt(0)
	v_mfma_f32_16x16x16_bf16 a[0:3], v[10:11], v[2:3], 0
	v_or_b32_e32 v2, 64, v20
	v_or_b32_e32 v6, v7, v6
	v_lshlrev_b32_e32 v28, 1, v2
	v_xor_b32_e32 v26, v12, v9
	v_xor_b32_e32 v27, v6, v9
	ds_read_b64 v[12:13], v25 offset:24576
	ds_read_b64 v[14:15], v26 offset:24576
	;; [unrolled: 1-line block ×3, first 2 shown]
	v_mfma_f32_16x16x16_bf16 a[4:7], v[10:11], v[4:5], 0
	ds_read2st64_b64 v[2:5], v28 offset0:82 offset1:84
	ds_read2st64_b64 v[6:9], v23 offset0:82 offset1:84
	s_addc_u32 s5, s5, s1
	s_add_i32 s1, s40, s33
	s_add_i32 s0, s31, -1
	s_add_i32 s35, s1, s41
	s_add_i32 s1, s43, s42
	;; [unrolled: 1-line block ×3, first 2 shown]
	s_ashr_i32 s1, s0, 31
	s_mul_i32 s2, s0, s29
	s_mul_hi_u32 s3, s0, s28
	s_add_i32 s2, s3, s2
	s_mul_i32 s1, s1, s28
	s_waitcnt lgkmcnt(1)
	v_mfma_f32_16x16x16_bf16 a[4:7], v[12:13], v[2:3], a[4:7]
	s_add_i32 s1, s2, s1
	s_lshl_b64 s[2:3], s[34:35], 2
	s_add_u32 s10, s10, s2
	s_waitcnt lgkmcnt(0)
	v_mfma_f32_16x16x16_bf16 a[0:3], v[12:13], v[6:7], a[0:3]
	s_addc_u32 s11, s11, s3
	s_lshl_b64 s[2:3], s[36:37], 2
	s_mul_i32 s0, s0, s28
	s_add_u32 s10, s10, s2
	ds_read_b64 v[2:3], v23 offset:44032
	v_mfma_f32_16x16x16_bf16 a[4:7], v[14:15], v[4:5], a[4:7]
	ds_read_b64 v[4:5], v28 offset:44032
	s_addc_u32 s11, s11, s3
	s_lshl_b64 s[0:1], s[0:1], 2
	v_mfma_f32_16x16x16_bf16 a[0:3], v[14:15], v[8:9], a[0:3]
	s_add_u32 s0, s10, s0
	s_addc_u32 s1, s11, s1
	s_load_dword s12, s[0:1], 0x0
	s_waitcnt lgkmcnt(0)
	v_mfma_f32_16x16x16_bf16 a[0:3], v[16:17], v[2:3], a[0:3]
	s_and_b64 vcc, exec, s[22:23]
	v_mfma_f32_16x16x16_bf16 a[4:7], v[16:17], v[4:5], a[4:7]
	s_cbranch_vccz .LBB356_41
; %bb.31:
	v_lshlrev_b32_e32 v20, 1, v22
	s_and_b64 vcc, exec, s[6:7]
	s_cbranch_vccz .LBB356_42
; %bb.32:
	v_cmp_gt_i32_e32 vcc, s27, v20
	v_mov_b32_e32 v6, 0
	v_mov_b32_e32 v2, 0
	;; [unrolled: 1-line block ×5, first 2 shown]
	s_and_saveexec_b64 s[0:1], vcc
	s_cbranch_execz .LBB356_34
; %bb.33:
	v_mad_i64_i32 v[2:3], s[2:3], s15, v20, 0
	v_lshl_add_u64 v[2:3], v[2:3], 1, s[4:5]
	v_lshlrev_b32_e32 v4, 1, v18
	v_mov_b32_e32 v5, 0
	v_lshl_add_u64 v[2:3], v[2:3], 0, v[4:5]
	global_load_dwordx4 v[2:5], v[2:3], off
.LBB356_34:
	s_or_b64 exec, exec, s[0:1]
	v_or_b32_e32 v21, 1, v20
	v_cmp_gt_i32_e64 s[0:1], s27, v21
	v_mov_b32_e32 v7, 0
	v_mov_b32_e32 v8, 0
	;; [unrolled: 1-line block ×3, first 2 shown]
	s_and_saveexec_b64 s[2:3], s[0:1]
	s_cbranch_execz .LBB356_36
; %bb.35:
	v_mad_i64_i32 v[6:7], s[16:17], s15, v21, 0
	v_lshl_add_u64 v[6:7], v[6:7], 1, s[4:5]
	v_lshlrev_b32_e32 v8, 1, v18
	v_mov_b32_e32 v9, 0
	v_lshl_add_u64 v[6:7], v[6:7], 0, v[8:9]
	global_load_dwordx4 v[6:9], v[6:7], off
.LBB356_36:
	s_or_b64 exec, exec, s[2:3]
	v_mov_b32_e32 v17, 0
	v_mov_b32_e32 v10, 0
	;; [unrolled: 1-line block ×5, first 2 shown]
	s_and_saveexec_b64 s[2:3], vcc
	s_cbranch_execz .LBB356_38
; %bb.37:
	v_mad_i64_i32 v[10:11], s[16:17], s15, v20, 0
	v_lshl_add_u64 v[10:11], v[10:11], 1, s[4:5]
	v_lshlrev_b32_e32 v12, 1, v18
	v_mov_b32_e32 v13, 0
	v_lshl_add_u64 v[10:11], v[10:11], 0, v[12:13]
	global_load_dwordx4 v[10:13], v[10:11], off offset:128
.LBB356_38:
	s_or_b64 exec, exec, s[2:3]
	v_mov_b32_e32 v16, 0
	v_mov_b32_e32 v15, 0
	;; [unrolled: 1-line block ×3, first 2 shown]
	s_and_saveexec_b64 s[2:3], s[0:1]
	s_cbranch_execz .LBB356_40
; %bb.39:
	v_mad_i64_i32 v[14:15], s[0:1], s15, v21, 0
	v_lshl_add_u64 v[14:15], v[14:15], 1, s[4:5]
	v_lshlrev_b32_e32 v16, 1, v18
	v_mov_b32_e32 v17, 0
	v_lshl_add_u64 v[14:15], v[14:15], 0, v[16:17]
	global_load_dwordx4 v[14:17], v[14:15], off offset:128
.LBB356_40:
	s_or_b64 exec, exec, s[2:3]
	s_branch .LBB356_44
.LBB356_41:
                                        ; implicit-def: $vgpr5
                                        ; implicit-def: $vgpr9
                                        ; implicit-def: $vgpr13
                                        ; implicit-def: $vgpr17
	v_lshrrev_b32_e32 v29, 2, v58
	s_branch .LBB356_45
.LBB356_42:
                                        ; implicit-def: $vgpr5
                                        ; implicit-def: $vgpr9
                                        ; implicit-def: $vgpr13
                                        ; implicit-def: $vgpr17
	s_cbranch_execz .LBB356_44
; %bb.43:
	s_waitcnt vmcnt(0)
	v_mad_u64_u32 v[2:3], s[0:1], v20, s15, v[18:19]
	v_lshlrev_b32_e32 v20, 1, v2
	s_lshl_b32 s2, s15, 7
	s_and_b32 s1, s5, 0xffff
	s_mov_b32 s3, 0x20000
	s_mov_b32 s0, s4
	v_add_lshl_u32 v21, v2, s15, 1
	s_movk_i32 s13, 0x80
	buffer_load_dwordx4 v[2:5], v20, s[0:3], 0 offen
	buffer_load_dwordx4 v[10:13], v20, s[0:3], s13 offen
	;; [unrolled: 1-line block ×4, first 2 shown]
.LBB356_44:
	v_lshrrev_b32_e32 v29, 2, v58
	s_cbranch_execnz .LBB356_57
.LBB356_45:
	s_and_b64 vcc, exec, s[6:7]
	s_cbranch_vccz .LBB356_55
; %bb.46:
	s_waitcnt vmcnt(0)
	v_lshlrev_b32_e32 v7, 1, v22
	v_cmp_gt_i32_e32 vcc, s27, v7
	v_mov_b32_e32 v6, 0
	v_lshlrev_b32_e32 v14, 9, v22
	v_mov_b32_e32 v2, 0
	v_mov_b32_e32 v3, 0
	;; [unrolled: 1-line block ×4, first 2 shown]
	s_and_saveexec_b64 s[0:1], vcc
	s_cbranch_execz .LBB356_48
; %bb.47:
	v_mov_b32_e32 v15, 0
	v_lshl_add_u64 v[2:3], s[4:5], 0, v[14:15]
	v_lshlrev_b32_e32 v4, 1, v18
	v_mov_b32_e32 v5, v15
	v_lshl_add_u64 v[2:3], v[2:3], 0, v[4:5]
	global_load_dwordx4 v[2:5], v[2:3], off
.LBB356_48:
	s_or_b64 exec, exec, s[0:1]
	v_or_b32_e32 v7, 1, v7
	v_cmp_gt_i32_e64 s[0:1], s27, v7
	v_lshlrev_b32_e32 v20, 8, v7
	v_mov_b32_e32 v7, 0
	v_mov_b32_e32 v8, 0
	;; [unrolled: 1-line block ×3, first 2 shown]
	s_and_saveexec_b64 s[2:3], s[0:1]
	s_cbranch_execz .LBB356_50
; %bb.49:
	v_mov_b32_e32 v21, 0
	v_lshl_add_u64 v[6:7], s[4:5], 0, v[20:21]
	v_lshlrev_b32_e32 v8, 1, v18
	v_mov_b32_e32 v9, v21
	v_lshl_add_u64 v[6:7], v[6:7], 0, v[8:9]
	global_load_dwordx4 v[6:9], v[6:7], off
.LBB356_50:
	s_or_b64 exec, exec, s[2:3]
	v_mov_b32_e32 v17, 0
	v_mov_b32_e32 v10, 0
	;; [unrolled: 1-line block ×5, first 2 shown]
	s_and_saveexec_b64 s[2:3], vcc
	s_cbranch_execz .LBB356_52
; %bb.51:
	v_mov_b32_e32 v15, 0
	v_lshl_add_u64 v[10:11], s[4:5], 0, v[14:15]
	v_lshlrev_b32_e32 v14, 1, v18
	v_lshl_add_u64 v[10:11], v[10:11], 0, v[14:15]
	global_load_dwordx4 v[10:13], v[10:11], off offset:128
.LBB356_52:
	s_or_b64 exec, exec, s[2:3]
	v_mov_b32_e32 v16, 0
	v_mov_b32_e32 v15, 0
	;; [unrolled: 1-line block ×3, first 2 shown]
	s_and_saveexec_b64 s[2:3], s[0:1]
	s_cbranch_execz .LBB356_54
; %bb.53:
	v_mov_b32_e32 v21, 0
	v_lshl_add_u64 v[14:15], s[4:5], 0, v[20:21]
	v_lshlrev_b32_e32 v20, 1, v18
	v_lshl_add_u64 v[14:15], v[14:15], 0, v[20:21]
	global_load_dwordx4 v[14:17], v[14:15], off offset:128
.LBB356_54:
	s_or_b64 exec, exec, s[2:3]
	s_branch .LBB356_57
.LBB356_55:
                                        ; implicit-def: $vgpr5
                                        ; implicit-def: $vgpr9
                                        ; implicit-def: $vgpr13
                                        ; implicit-def: $vgpr17
	s_cbranch_execz .LBB356_57
; %bb.56:
	s_waitcnt vmcnt(0)
	v_lshlrev_b32_e32 v2, 1, v18
	v_lshl_or_b32 v18, v22, 9, v2
	s_and_b32 s5, s5, 0xffff
	s_mov_b32 s7, 0x20000
	s_movk_i32 s6, 0x4000
	s_movk_i32 s0, 0x80
	buffer_load_dwordx4 v[2:5], v18, s[4:7], 0 offen
	buffer_load_dwordx4 v[6:9], v18, s[4:7], 0 offen offset:256
	buffer_load_dwordx4 v[10:13], v18, s[4:7], s0 offen
	buffer_load_dwordx4 v[14:17], v18, s[4:7], s0 offen offset:256
.LBB356_57:
	ds_read_b64 v[20:21], v24 offset:32768
	v_add_u32_e32 v18, 0xb000, v23
	ds_read2_b64 v[30:33], v18 offset1:16
	ds_read_b64 v[36:37], v25 offset:32768
	ds_read_b64 v[38:39], v26 offset:32768
	;; [unrolled: 1-line block ×3, first 2 shown]
	v_and_b32_e32 v18, 6, v0
	v_xor_b32_e32 v22, v22, v18
	v_lshlrev_b32_e32 v22, 2, v22
	v_and_b32_e32 v0, 1, v0
	v_cmp_eq_u32_e32 vcc, 0, v0
	s_mov_b32 s0, 0x1000504
	s_waitcnt lgkmcnt(3)
	v_mfma_f32_16x16x16_bf16 a[0:3], v[20:21], v[30:31], a[0:3]
	s_mov_b32 s1, 0x3020706
	v_mfma_f32_16x16x16_bf16 a[4:7], v[20:21], v[32:33], a[4:7]
	ds_read2st64_b64 v[24:27], v23 offset0:90 offset1:92
	ds_read2st64_b64 v[30:33], v28 offset0:90 offset1:92
	s_waitcnt lgkmcnt(1)
	v_mfma_f32_16x16x16_bf16 a[0:3], v[36:37], v[24:25], a[0:3]
	ds_read_b64 v[20:21], v23 offset:48128
	ds_read_b64 v[24:25], v28 offset:48128
	v_xor_b32_e32 v23, 0x440, v22
	v_cndmask_b32_e32 v0, v23, v22, vcc
	s_waitcnt lgkmcnt(2)
	v_mfma_f32_16x16x16_bf16 a[4:7], v[36:37], v[30:31], a[4:7]
	v_lshl_or_b32 v0, v18, 10, v0
	s_waitcnt vmcnt(0)
	v_perm_b32 v18, v2, v6, s0
	v_perm_b32 v2, v2, v6, s1
	v_mfma_f32_16x16x16_bf16 a[0:3], v[38:39], v[26:27], a[0:3]
	v_perm_b32 v6, v10, v14, s1
	v_mfma_f32_16x16x16_bf16 a[8:11], v[38:39], v[32:33], a[4:7]
	s_waitcnt lgkmcnt(1)
	v_mfma_f32_16x16x16_bf16 a[4:7], v[40:41], v[20:21], a[0:3]
	v_perm_b32 v20, v10, v14, s0
	ds_write2st64_b32 v0, v18, v20 offset0:32 offset1:64
	v_xor_b32_e32 v18, 8, v0
	v_add_u32_e32 v10, 0x80, v18
	ds_write2st64_b32 v10, v2, v6 offset0:32 offset1:64
	v_xor_b32_e32 v2, 16, v0
	v_perm_b32 v6, v3, v7, s0
	v_perm_b32 v10, v11, v15, s0
	ds_write2st64_b32 v2, v6, v10 offset0:33 offset1:65
	v_xor_b32_e32 v2, 24, v0
	v_perm_b32 v3, v3, v7, s1
	v_perm_b32 v6, v11, v15, s1
	v_add_u32_e32 v2, 0x80, v2
	ds_write2st64_b32 v2, v3, v6 offset0:33 offset1:65
	v_xor_b32_e32 v2, 32, v0
	v_perm_b32 v3, v4, v8, s0
	v_perm_b32 v6, v12, v16, s0
	ds_write2st64_b32 v2, v3, v6 offset0:34 offset1:66
	v_xor_b32_e32 v2, 40, v0
	s_waitcnt lgkmcnt(5)
	v_mfma_f32_16x16x16_bf16 a[0:3], v[40:41], v[24:25], a[8:11]
	v_perm_b32 v3, v4, v8, s1
	v_perm_b32 v4, v12, v16, s1
	v_add_u32_e32 v2, 0x80, v2
	ds_write2st64_b32 v2, v3, v4 offset0:34 offset1:66
	v_xor_b32_e32 v2, 48, v0
	v_perm_b32 v3, v5, v9, s0
	v_perm_b32 v4, v13, v17, s0
	ds_write2st64_b32 v2, v3, v4 offset0:35 offset1:67
	v_xor_b32_e32 v0, 56, v0
	v_perm_b32 v3, v13, v17, s1
	v_and_or_b32 v17, v29, 12, v1
	v_perm_b32 v2, v5, v9, s1
	v_add_u32_e32 v0, 0x80, v0
	v_cmp_gt_i32_e32 vcc, s27, v17
	v_mov_b32_e32 v14, 0
	v_mov_b32_e32 v16, 0
	ds_write2st64_b32 v0, v2, v3 offset0:35 offset1:67
	s_and_saveexec_b64 s[0:1], vcc
	s_cbranch_execz .LBB356_59
; %bb.58:
	v_add_u32_e32 v0, s26, v17
	v_ashrrev_i32_e32 v1, 31, v0
	v_mul_lo_u32 v2, v1, s28
	v_mul_lo_u32 v3, v0, s29
	v_mad_u64_u32 v[0:1], s[2:3], v0, s28, 0
	v_add3_u32 v1, v1, v3, v2
	v_lshl_add_u64 v[0:1], v[0:1], 2, s[10:11]
	global_load_dword v0, v[0:1], off
	s_waitcnt vmcnt(0)
	v_sub_f32_e32 v0, s12, v0
	v_mul_f32_e32 v0, 0x3fb8aa3b, v0
	v_exp_f32_e32 v16, v0
.LBB356_59:
	s_or_b64 exec, exec, s[0:1]
	v_or_b32_e32 v8, 1, v17
	v_cmp_gt_i32_e64 s[0:1], s27, v8
	s_and_saveexec_b64 s[2:3], s[0:1]
	s_cbranch_execz .LBB356_61
; %bb.60:
	v_add_u32_e32 v0, s26, v8
	v_ashrrev_i32_e32 v1, 31, v0
	v_mul_lo_u32 v2, v1, s28
	v_mul_lo_u32 v3, v0, s29
	v_mad_u64_u32 v[0:1], s[4:5], v0, s28, 0
	v_add3_u32 v1, v1, v3, v2
	v_lshl_add_u64 v[0:1], v[0:1], 2, s[10:11]
	global_load_dword v0, v[0:1], off
	s_waitcnt vmcnt(0)
	v_sub_f32_e32 v0, s12, v0
	v_mul_f32_e32 v0, 0x3fb8aa3b, v0
	v_exp_f32_e32 v14, v0
.LBB356_61:
	s_or_b64 exec, exec, s[2:3]
	v_or_b32_e32 v10, 2, v17
	v_cmp_gt_i32_e64 s[2:3], s27, v10
	v_mov_b32_e32 v15, 0
	v_mov_b32_e32 v18, 0
	s_and_saveexec_b64 s[4:5], s[2:3]
	s_cbranch_execz .LBB356_63
; %bb.62:
	v_add_u32_e32 v0, s26, v10
	v_ashrrev_i32_e32 v1, 31, v0
	v_mul_lo_u32 v2, v1, s28
	v_mul_lo_u32 v3, v0, s29
	v_mad_u64_u32 v[0:1], s[6:7], v0, s28, 0
	v_add3_u32 v1, v1, v3, v2
	v_lshl_add_u64 v[0:1], v[0:1], 2, s[10:11]
	global_load_dword v0, v[0:1], off
	s_waitcnt vmcnt(0)
	v_sub_f32_e32 v0, s12, v0
	v_mul_f32_e32 v0, 0x3fb8aa3b, v0
	v_exp_f32_e32 v18, v0
.LBB356_63:
	s_or_b64 exec, exec, s[4:5]
	v_or_b32_e32 v12, 3, v17
	v_cmp_gt_i32_e64 s[4:5], s27, v12
	s_and_saveexec_b64 s[6:7], s[4:5]
	s_cbranch_execz .LBB356_65
; %bb.64:
	v_add_u32_e32 v0, s26, v12
	v_ashrrev_i32_e32 v1, 31, v0
	v_mul_lo_u32 v2, v1, s28
	v_mul_lo_u32 v3, v0, s29
	v_mad_u64_u32 v[0:1], s[14:15], v0, s28, 0
	v_add3_u32 v1, v1, v3, v2
	v_lshl_add_u64 v[0:1], v[0:1], 2, s[10:11]
	global_load_dword v0, v[0:1], off
	s_waitcnt vmcnt(0)
	v_sub_f32_e32 v0, s12, v0
	v_mul_f32_e32 v0, 0x3fb8aa3b, v0
	v_exp_f32_e32 v15, v0
.LBB356_65:
	s_or_b64 exec, exec, s[6:7]
	s_add_u32 s6, s8, s20
	v_accvgpr_read_b32 v0, a4
	s_addc_u32 s7, s9, s21
	v_ashrrev_i32_e32 v51, 31, v50
	v_accvgpr_read_b32 v1, a5
	v_accvgpr_read_b32 v2, a6
	;; [unrolled: 1-line block ×3, first 2 shown]
	v_lshl_add_u64 v[4:5], v[50:51], 1, s[6:7]
	v_mov_b32_e32 v9, 0
	v_lshlrev_b32_e32 v6, 8, v17
	v_mov_b32_e32 v7, 0
	s_and_saveexec_b64 s[6:7], vcc
	s_cbranch_execz .LBB356_67
; %bb.66:
	v_mov_b32_e32 v7, 0
	v_lshl_add_u64 v[20:21], v[4:5], 0, v[6:7]
	global_load_ushort v7, v[20:21], off
	s_waitcnt vmcnt(0)
	v_lshlrev_b32_e32 v7, 16, v7
	v_sub_f32_e32 v0, v7, v0
	v_mul_f32_e32 v0, v16, v0
	v_lshrrev_b32_e32 v7, 16, v0
.LBB356_67:
	s_or_b64 exec, exec, s[6:7]
	v_lshlrev_b32_e32 v8, 8, v8
	s_and_saveexec_b64 s[6:7], s[0:1]
	s_cbranch_execz .LBB356_69
; %bb.68:
	v_mov_b32_e32 v9, 0
	v_lshl_add_u64 v[20:21], v[4:5], 0, v[8:9]
	global_load_ushort v0, v[20:21], off
	s_waitcnt vmcnt(0)
	v_lshlrev_b32_e32 v0, 16, v0
	v_sub_f32_e32 v0, v0, v1
	v_mul_f32_e32 v0, v14, v0
	v_lshrrev_b32_e32 v9, 16, v0
.LBB356_69:
	s_or_b64 exec, exec, s[6:7]
	v_mov_b32_e32 v13, 0
	v_lshlrev_b32_e32 v10, 8, v10
	v_mov_b32_e32 v11, 0
	s_and_saveexec_b64 s[6:7], s[2:3]
	s_cbranch_execz .LBB356_71
; %bb.70:
	v_mov_b32_e32 v11, 0
	v_lshl_add_u64 v[0:1], v[4:5], 0, v[10:11]
	global_load_ushort v0, v[0:1], off
	s_waitcnt vmcnt(0)
	v_lshlrev_b32_e32 v0, 16, v0
	v_sub_f32_e32 v0, v0, v2
	v_mul_f32_e32 v0, v18, v0
	v_lshrrev_b32_e32 v11, 16, v0
.LBB356_71:
	s_or_b64 exec, exec, s[6:7]
	v_lshlrev_b32_e32 v12, 8, v12
	s_and_saveexec_b64 s[6:7], s[4:5]
	s_cbranch_execz .LBB356_73
; %bb.72:
	v_mov_b32_e32 v13, 0
	v_lshl_add_u64 v[0:1], v[4:5], 0, v[12:13]
	global_load_ushort v0, v[0:1], off
	s_waitcnt vmcnt(0)
	v_lshlrev_b32_e32 v0, 16, v0
	v_sub_f32_e32 v0, v0, v3
	v_mul_f32_e32 v0, v15, v0
	v_lshrrev_b32_e32 v13, 16, v0
.LBB356_73:
	s_or_b64 exec, exec, s[6:7]
	v_lshlrev_b32_e32 v17, 5, v17
	s_mov_b32 s6, 0x5040100
	v_perm_b32 v20, v9, v7, s6
	v_or_b32_e32 v7, v17, v34
	v_accvgpr_read_b32 v0, a0
	v_perm_b32 v21, v13, v11, s6
	v_lshlrev_b32_e32 v7, 1, v7
	v_accvgpr_read_b32 v1, a1
	v_accvgpr_read_b32 v2, a2
	;; [unrolled: 1-line block ×3, first 2 shown]
	ds_write_b64 v7, v[20:21] offset:45056
	v_mov_b32_e32 v9, 0
	v_mov_b32_e32 v7, 0
	s_and_saveexec_b64 s[6:7], vcc
	s_cbranch_execz .LBB356_75
; %bb.74:
	v_mov_b32_e32 v7, 0
	v_lshl_add_u64 v[6:7], v[4:5], 0, v[6:7]
	global_load_ushort v6, v[6:7], off offset:32
	s_waitcnt vmcnt(0)
	v_lshlrev_b32_e32 v6, 16, v6
	v_sub_f32_e32 v0, v6, v0
	v_mul_f32_e32 v0, v16, v0
	v_lshrrev_b32_e32 v7, 16, v0
.LBB356_75:
	s_or_b64 exec, exec, s[6:7]
	s_and_saveexec_b64 s[6:7], s[0:1]
	s_cbranch_execz .LBB356_77
; %bb.76:
	v_mov_b32_e32 v9, 0
	v_lshl_add_u64 v[8:9], v[4:5], 0, v[8:9]
	global_load_ushort v0, v[8:9], off offset:32
	s_waitcnt vmcnt(0)
	v_lshlrev_b32_e32 v0, 16, v0
	v_sub_f32_e32 v0, v0, v1
	v_mul_f32_e32 v0, v14, v0
	v_lshrrev_b32_e32 v9, 16, v0
.LBB356_77:
	s_or_b64 exec, exec, s[6:7]
	v_mov_b32_e32 v0, 0
	v_mov_b32_e32 v1, 0
	s_and_saveexec_b64 s[0:1], s[2:3]
	s_cbranch_execz .LBB356_79
; %bb.78:
	v_mov_b32_e32 v11, 0
	v_lshl_add_u64 v[10:11], v[4:5], 0, v[10:11]
	global_load_ushort v1, v[10:11], off offset:32
	s_waitcnt vmcnt(0)
	v_lshlrev_b32_e32 v1, 16, v1
	v_sub_f32_e32 v1, v1, v2
	v_mul_f32_e32 v1, v18, v1
	v_lshrrev_b32_e32 v1, 16, v1
.LBB356_79:
	s_or_b64 exec, exec, s[0:1]
	s_and_saveexec_b64 s[0:1], s[4:5]
	s_cbranch_execz .LBB356_81
; %bb.80:
	v_mov_b32_e32 v13, 0
	v_lshl_add_u64 v[4:5], v[4:5], 0, v[12:13]
	global_load_ushort v0, v[4:5], off offset:32
	s_waitcnt vmcnt(0)
	v_lshlrev_b32_e32 v0, 16, v0
	v_sub_f32_e32 v0, v0, v3
	v_mul_f32_e32 v0, v15, v0
	v_lshrrev_b32_e32 v0, 16, v0
.LBB356_81:
	s_or_b64 exec, exec, s[0:1]
	s_mov_b32 s0, 0x5040100
	v_or_b32_e32 v2, v17, v19
	v_perm_b32 v1, v0, v1, s0
	v_perm_b32 v0, v9, v7, s0
	v_lshlrev_b32_e32 v2, 1, v2
	ds_write_b64 v2, v[0:1] offset:45056
	s_waitcnt lgkmcnt(0)
	s_barrier
.LBB356_82:
	s_endpgm
	.section	.rodata,"a",@progbits
	.p2align	6, 0x0
	.amdhsa_kernel _ZN12_GLOBAL__N_139chunk_gated_delta_rule_fwd_h_hip_kernelILi32ELb1ELb0ELb0ELb1ELb0ELb0ELb1ELb1EEEvPK12hip_bfloat16S3_S3_PKfS5_PKvPS1_S8_PvPKiSB_iiiiilll
		.amdhsa_group_segment_fixed_size 49152
		.amdhsa_private_segment_fixed_size 0
		.amdhsa_kernarg_size 136
		.amdhsa_user_sgpr_count 2
		.amdhsa_user_sgpr_dispatch_ptr 0
		.amdhsa_user_sgpr_queue_ptr 0
		.amdhsa_user_sgpr_kernarg_segment_ptr 1
		.amdhsa_user_sgpr_dispatch_id 0
		.amdhsa_user_sgpr_kernarg_preload_length 0
		.amdhsa_user_sgpr_kernarg_preload_offset 0
		.amdhsa_user_sgpr_private_segment_size 0
		.amdhsa_uses_dynamic_stack 0
		.amdhsa_enable_private_segment 0
		.amdhsa_system_sgpr_workgroup_id_x 1
		.amdhsa_system_sgpr_workgroup_id_y 1
		.amdhsa_system_sgpr_workgroup_id_z 0
		.amdhsa_system_sgpr_workgroup_info 0
		.amdhsa_system_vgpr_workitem_id 0
		.amdhsa_next_free_vgpr 148
		.amdhsa_next_free_sgpr 60
		.amdhsa_accum_offset 132
		.amdhsa_reserve_vcc 1
		.amdhsa_float_round_mode_32 0
		.amdhsa_float_round_mode_16_64 0
		.amdhsa_float_denorm_mode_32 3
		.amdhsa_float_denorm_mode_16_64 3
		.amdhsa_dx10_clamp 1
		.amdhsa_ieee_mode 1
		.amdhsa_fp16_overflow 0
		.amdhsa_tg_split 0
		.amdhsa_exception_fp_ieee_invalid_op 0
		.amdhsa_exception_fp_denorm_src 0
		.amdhsa_exception_fp_ieee_div_zero 0
		.amdhsa_exception_fp_ieee_overflow 0
		.amdhsa_exception_fp_ieee_underflow 0
		.amdhsa_exception_fp_ieee_inexact 0
		.amdhsa_exception_int_div_zero 0
	.end_amdhsa_kernel
	.section	.text._ZN12_GLOBAL__N_139chunk_gated_delta_rule_fwd_h_hip_kernelILi32ELb1ELb0ELb0ELb1ELb0ELb0ELb1ELb1EEEvPK12hip_bfloat16S3_S3_PKfS5_PKvPS1_S8_PvPKiSB_iiiiilll,"axG",@progbits,_ZN12_GLOBAL__N_139chunk_gated_delta_rule_fwd_h_hip_kernelILi32ELb1ELb0ELb0ELb1ELb0ELb0ELb1ELb1EEEvPK12hip_bfloat16S3_S3_PKfS5_PKvPS1_S8_PvPKiSB_iiiiilll,comdat
.Lfunc_end356:
	.size	_ZN12_GLOBAL__N_139chunk_gated_delta_rule_fwd_h_hip_kernelILi32ELb1ELb0ELb0ELb1ELb0ELb0ELb1ELb1EEEvPK12hip_bfloat16S3_S3_PKfS5_PKvPS1_S8_PvPKiSB_iiiiilll, .Lfunc_end356-_ZN12_GLOBAL__N_139chunk_gated_delta_rule_fwd_h_hip_kernelILi32ELb1ELb0ELb0ELb1ELb0ELb0ELb1ELb1EEEvPK12hip_bfloat16S3_S3_PKfS5_PKvPS1_S8_PvPKiSB_iiiiilll
                                        ; -- End function
	.section	.AMDGPU.csdata,"",@progbits
; Kernel info:
; codeLenInByte = 8480
; NumSgprs: 66
; NumVgprs: 132
; NumAgprs: 16
; TotalNumVgprs: 148
; ScratchSize: 0
; MemoryBound: 0
; FloatMode: 240
; IeeeMode: 1
; LDSByteSize: 49152 bytes/workgroup (compile time only)
; SGPRBlocks: 8
; VGPRBlocks: 18
; NumSGPRsForWavesPerEU: 66
; NumVGPRsForWavesPerEU: 148
; AccumOffset: 132
; Occupancy: 1
; WaveLimiterHint : 1
; COMPUTE_PGM_RSRC2:SCRATCH_EN: 0
; COMPUTE_PGM_RSRC2:USER_SGPR: 2
; COMPUTE_PGM_RSRC2:TRAP_HANDLER: 0
; COMPUTE_PGM_RSRC2:TGID_X_EN: 1
; COMPUTE_PGM_RSRC2:TGID_Y_EN: 1
; COMPUTE_PGM_RSRC2:TGID_Z_EN: 0
; COMPUTE_PGM_RSRC2:TIDIG_COMP_CNT: 0
; COMPUTE_PGM_RSRC3_GFX90A:ACCUM_OFFSET: 32
; COMPUTE_PGM_RSRC3_GFX90A:TG_SPLIT: 0
	.section	.text._ZN12_GLOBAL__N_139chunk_gated_delta_rule_fwd_h_hip_kernelILi32ELb0ELb1ELb1ELb1ELb0ELb0ELb1ELb1EEEvPK12hip_bfloat16S3_S3_PKfS5_PKvPS1_S8_PvPKiSB_iiiiilll,"axG",@progbits,_ZN12_GLOBAL__N_139chunk_gated_delta_rule_fwd_h_hip_kernelILi32ELb0ELb1ELb1ELb1ELb0ELb0ELb1ELb1EEEvPK12hip_bfloat16S3_S3_PKfS5_PKvPS1_S8_PvPKiSB_iiiiilll,comdat
	.globl	_ZN12_GLOBAL__N_139chunk_gated_delta_rule_fwd_h_hip_kernelILi32ELb0ELb1ELb1ELb1ELb0ELb0ELb1ELb1EEEvPK12hip_bfloat16S3_S3_PKfS5_PKvPS1_S8_PvPKiSB_iiiiilll ; -- Begin function _ZN12_GLOBAL__N_139chunk_gated_delta_rule_fwd_h_hip_kernelILi32ELb0ELb1ELb1ELb1ELb0ELb0ELb1ELb1EEEvPK12hip_bfloat16S3_S3_PKfS5_PKvPS1_S8_PvPKiSB_iiiiilll
	.p2align	8
	.type	_ZN12_GLOBAL__N_139chunk_gated_delta_rule_fwd_h_hip_kernelILi32ELb0ELb1ELb1ELb1ELb0ELb0ELb1ELb1EEEvPK12hip_bfloat16S3_S3_PKfS5_PKvPS1_S8_PvPKiSB_iiiiilll,@function
_ZN12_GLOBAL__N_139chunk_gated_delta_rule_fwd_h_hip_kernelILi32ELb0ELb1ELb1ELb1ELb0ELb0ELb1ELb1EEEvPK12hip_bfloat16S3_S3_PKfS5_PKvPS1_S8_PvPKiSB_iiiiilll: ; @_ZN12_GLOBAL__N_139chunk_gated_delta_rule_fwd_h_hip_kernelILi32ELb0ELb1ELb1ELb1ELb0ELb0ELb1ELb1EEEvPK12hip_bfloat16S3_S3_PKfS5_PKvPS1_S8_PvPKiSB_iiiiilll
; %bb.0:
	s_load_dwordx4 s[36:39], s[0:1], 0x5c
	s_abs_i32 s7, s3
	s_ashr_i32 s6, s3, 31
	s_load_dwordx2 s[4:5], s[0:1], 0x50
	s_load_dwordx8 s[16:23], s[0:1], 0x30
	s_load_dwordx8 s[24:31], s[0:1], 0x0
	v_lshrrev_b32_e32 v58, 6, v0
	s_waitcnt lgkmcnt(0)
	s_abs_i32 s10, s37
	v_cvt_f32_u32_e32 v1, s10
	s_sub_i32 s8, 0, s10
	s_ashr_i32 s50, s37, 31
	s_xor_b32 s6, s6, s50
	v_rcp_iflag_f32_e32 v1, v1
	v_bfe_u32 v61, v0, 4, 2
	v_lshlrev_b32_e32 v59, 4, v58
	v_lshlrev_b32_e32 v18, 2, v61
	v_mul_f32_e32 v1, 0x4f7ffffe, v1
	v_cvt_u32_f32_e32 v1, v1
	v_and_b32_e32 v60, 63, v0
	s_mov_b32 s33, s37
	v_and_b32_e32 v62, 15, v0
	v_readfirstlane_b32 s9, v1
	s_mul_i32 s8, s8, s9
	s_mul_hi_u32 s8, s9, s8
	s_add_i32 s9, s9, s8
	s_mul_hi_u32 s8, s7, s9
	s_mul_i32 s9, s8, s10
	s_sub_i32 s7, s7, s9
	s_add_i32 s11, s8, 1
	s_sub_i32 s9, s7, s10
	s_cmp_ge_u32 s7, s10
	s_cselect_b32 s8, s11, s8
	s_cselect_b32 s7, s9, s7
	s_add_i32 s9, s8, 1
	s_cmp_ge_u32 s7, s10
	s_cselect_b32 s7, s9, s8
	s_xor_b32 s7, s7, s6
	s_sub_i32 s34, s7, s6
	s_mul_i32 s6, s34, s37
	s_ashr_i32 s35, s34, 31
	s_sub_i32 s51, s3, s6
	s_lshl_b64 s[6:7], s[34:35], 2
	s_add_u32 s8, s22, s6
	s_addc_u32 s9, s23, s7
	s_add_u32 s4, s4, s6
	s_addc_u32 s5, s5, s7
	s_abs_i32 s3, s38
	v_cvt_f32_u32_e32 v1, s3
	s_load_dwordx2 s[44:45], s[8:9], 0x0
	s_load_dwordx2 s[22:23], s[0:1], 0x80
	s_load_dwordx4 s[40:43], s[0:1], 0x70
	s_sub_i32 s1, 0, s3
	v_rcp_iflag_f32_e32 v1, v1
	s_load_dword s57, s[4:5], 0x0
	s_waitcnt lgkmcnt(0)
	s_sub_i32 s48, s45, s44
	s_ashr_i32 s0, s48, 31
	v_mul_f32_e32 v1, 0x4f7ffffe, v1
	v_cvt_u32_f32_e32 v1, v1
	s_lshr_b32 s0, s0, 26
	s_add_i32 s0, s48, s0
	s_ashr_i32 s55, s0, 6
	v_readfirstlane_b32 s6, v1
	s_mul_i32 s1, s1, s6
	s_mul_hi_u32 s1, s6, s1
	s_add_i32 s6, s6, s1
	s_mul_hi_u32 s1, s10, s6
	s_mul_i32 s6, s1, s3
	s_ashr_i32 s0, s38, 31
	s_sub_i32 s6, s10, s6
	s_xor_b32 s0, s50, s0
	s_add_i32 s7, s1, 1
	s_sub_i32 s8, s6, s3
	s_cmp_ge_u32 s6, s3
	s_cselect_b32 s1, s7, s1
	s_cselect_b32 s6, s8, s6
	s_add_i32 s7, s1, 1
	s_cmp_ge_u32 s6, s3
	s_cselect_b32 s1, s7, s1
	s_xor_b32 s1, s1, s0
	s_sub_i32 s1, s1, s0
	s_abs_i32 s3, s1
	v_cvt_f32_u32_e32 v1, s3
	s_sub_i32 s5, 0, s3
	s_abs_i32 s4, s51
	s_xor_b32 s1, s51, s1
	v_rcp_iflag_f32_e32 v1, v1
	s_ashr_i32 s1, s1, 31
	s_mov_b32 s0, 0
	s_mov_b32 s14, s0
	v_mul_f32_e32 v1, 0x4f7ffffe, v1
	v_cvt_u32_f32_e32 v1, v1
	s_mov_b32 s15, s0
	s_mov_b32 s8, s0
	;; [unrolled: 1-line block ×3, first 2 shown]
	v_readfirstlane_b32 s6, v1
	s_mul_i32 s5, s5, s6
	s_mul_hi_u32 s5, s6, s5
	s_add_i32 s6, s6, s5
	s_mul_hi_u32 s5, s4, s6
	s_mul_i32 s6, s5, s3
	s_sub_i32 s4, s4, s6
	s_add_i32 s6, s5, 1
	s_sub_i32 s7, s4, s3
	s_cmp_ge_u32 s4, s3
	s_cselect_b32 s5, s6, s5
	s_cselect_b32 s4, s7, s4
	s_add_i32 s6, s5, 1
	s_cmp_ge_u32 s4, s3
	s_cselect_b32 s3, s6, s5
	s_xor_b32 s3, s3, s1
	s_sub_i32 s58, s3, s1
	v_or_b32_e32 v1, v18, v59
	s_lshl_b32 s46, s2, 5
	s_mov_b32 s1, s0
	s_mov_b32 s2, s0
	s_mov_b32 s3, s0
	s_mov_b32 s4, s0
	s_mov_b32 s5, s0
	s_mov_b32 s6, s0
	s_mov_b32 s7, s0
	s_mov_b32 s10, s0
	s_mov_b32 s11, s0
	s_mov_b32 s12, s0
	s_mov_b32 s13, s0
	v_mov_b64_e32 v[16:17], s[14:15]
	v_or_b32_e32 v65, 64, v1
	s_cmp_lt_i32 s48, 64
	v_mov_b64_e32 v[14:15], s[12:13]
	v_mov_b64_e32 v[12:13], s[10:11]
	;; [unrolled: 1-line block ×7, first 2 shown]
	s_mul_hi_i32 s59, s51, s36
	s_mul_i32 s60, s51, s36
	v_lshrrev_b32_e32 v64, 3, v60
	v_lshlrev_b32_e32 v63, 3, v0
	s_mul_i32 s52, s34, s41
	s_mul_hi_u32 s53, s34, s40
	s_mul_i32 s54, s35, s40
	s_mul_i32 s12, s34, s40
	s_cbranch_scc1 .LBB357_19
; %bb.1:
	s_ashr_i32 s40, s51, 31
	s_ashr_i32 s1, s44, 31
	s_add_u32 s0, s60, s44
	s_addc_u32 s1, s59, s1
	s_lshl_b64 s[0:1], s[0:1], 8
	v_and_b32_e32 v9, 56, v63
	s_add_u32 s0, s26, s0
	v_lshl_or_b32 v5, v58, 3, v64
	v_lshlrev_b32_e32 v2, 1, v9
	s_addc_u32 s1, s27, s1
	v_lshl_or_b32 v13, v5, 8, v2
	s_and_b32 s1, s1, 0xffff
	s_mov_b32 s3, 0x20000
	s_movk_i32 s2, 0x4000
	s_movk_i32 s4, 0x80
	v_or_b32_e32 v17, 0x2000, v13
	buffer_load_dwordx4 v[20:23], v13, s[0:3], 0 offen
	buffer_load_dwordx4 v[24:27], v13, s[0:3], s4 offen
	;; [unrolled: 1-line block ×4, first 2 shown]
	v_lshlrev_b32_e32 v3, 3, v5
	v_and_or_b32 v6, v0, 7, v3
	v_and_b32_e32 v3, 0x78, v3
	v_lshlrev_b32_e32 v6, 4, v6
	v_xor_b32_e32 v66, v6, v3
	v_mul_lo_u32 v4, v5, s39
	v_or_b32_e32 v67, 0x1000, v66
	v_xor_b32_e32 v3, 8, v66
	s_cmpk_eq_i32 s39, 0x80
	s_mov_b32 s49, s44
	v_xor_b32_e32 v6, 8, v67
	s_cselect_b64 s[0:1], -1, 0
	s_cmpk_lg_i32 s39, 0x80
	s_waitcnt vmcnt(3)
	ds_write_b64 v66, v[20:21] offset:24576
	ds_write_b64 v3, v[22:23] offset:24576
	s_waitcnt vmcnt(2)
	ds_write_b64 v66, v[24:25] offset:32768
	ds_write_b64 v3, v[26:27] offset:32768
	s_waitcnt vmcnt(1)
	ds_write_b64 v66, v[28:29] offset:28672
	ds_write_b64 v6, v[30:31] offset:24576
	s_waitcnt vmcnt(0)
	ds_write_b64 v66, v[32:33] offset:36864
	ds_write_b64 v6, v[34:35] offset:32768
	v_lshl_add_u32 v3, v4, 1, v9
	s_cbranch_scc0 .LBB357_3
; %bb.2:
	v_lshlrev_b32_e32 v6, 1, v3
	v_add_lshl_u32 v4, v3, s39, 1
	s_lshl_b32 s6, s39, 7
	v_lshl_or_b32 v2, v5, 9, v2
	s_cbranch_execz .LBB357_4
	s_branch .LBB357_5
.LBB357_3:
                                        ; implicit-def: $vgpr4
                                        ; implicit-def: $vgpr6
                                        ; implicit-def: $sgpr6
	v_lshl_or_b32 v2, v5, 9, v2
.LBB357_4:
	v_or_b32_e32 v4, 0x100, v2
	s_movk_i32 s6, 0x4000
	v_mov_b32_e32 v6, v2
.LBB357_5:
	s_mul_i32 s2, s44, s38
	s_ashr_i32 s41, s58, 31
	s_mul_hi_i32 s3, s44, s38
	s_add_u32 s2, s2, s58
	s_addc_u32 s3, s3, s41
	s_lshl_b64 s[2:3], s[2:3], 8
	s_add_u32 s4, s24, s2
	s_addc_u32 s2, s25, s3
	s_and_b32 s5, s2, 0xffff
	s_mov_b32 s7, 0x20000
	s_movk_i32 s56, 0x80
	buffer_load_dwordx4 v[20:23], v6, s[4:7], 0 offen
	buffer_load_dwordx4 v[24:27], v6, s[4:7], s56 offen
	;; [unrolled: 1-line block ×4, first 2 shown]
	v_and_b32_e32 v4, 6, v0
	v_lshlrev_b32_e32 v8, 6, v1
	v_or_b32_e32 v11, 16, v62
	v_xor_b32_e32 v12, v5, v4
	v_and_b32_e32 v6, 1, v0
	v_lshl_or_b32 v16, v62, 3, v8
	v_lshl_or_b32 v8, v11, 3, v8
	v_lshlrev_b32_e32 v12, 2, v12
	v_lshlrev_b32_e32 v7, 2, v62
	s_mul_i32 s2, s51, s43
	s_mul_hi_u32 s3, s51, s42
	v_or_b32_e32 v70, 0xa000, v8
	v_or_b32_e32 v71, 0xb000, v8
	v_xor_b32_e32 v8, 0x440, v12
	v_cmp_eq_u32_e32 vcc, 0, v6
	s_add_i32 s5, s53, s52
	s_mul_i32 s4, s40, s42
	v_xor_b32_e32 v14, v1, v7
	v_xor_b32_e32 v15, v65, v7
	v_cndmask_b32_e32 v6, v8, v12, vcc
	s_add_i32 s2, s3, s2
	s_add_i32 s13, s5, s54
	s_mov_b32 s61, 0x1000504
	v_lshlrev_b32_e32 v10, 8, v62
	v_lshlrev_b32_e32 v11, 8, v11
	;; [unrolled: 1-line block ×4, first 2 shown]
	v_lshl_or_b32 v4, v4, 10, v6
	s_add_i32 s3, s2, s4
	s_lshl_b64 s[4:5], s[12:13], 2
	s_mov_b32 s62, 0x3020706
	v_or_b32_e32 v68, 0xa000, v16
	v_or_b32_e32 v69, 0xb000, v16
	;; [unrolled: 1-line block ×5, first 2 shown]
	v_xor_b32_e32 v6, 8, v4
	v_xor_b32_e32 v10, 24, v4
	;; [unrolled: 1-line block ×4, first 2 shown]
	s_mul_i32 s2, s51, s42
	s_add_u32 s4, s30, s4
	v_or_b32_e32 v74, v11, v14
	v_xor_b32_e32 v8, 16, v4
	v_xor_b32_e32 v11, 32, v4
	v_xor_b32_e32 v14, 48, v4
	v_add_u32_e32 v6, 0x80, v6
	v_add_u32_e32 v10, 0x80, v10
	;; [unrolled: 1-line block ×4, first 2 shown]
	s_addc_u32 s5, s31, s5
	s_lshl_b64 s[2:3], s[2:3], 2
	s_add_u32 s2, s4, s2
	s_movk_i32 s4, 0xf8
	s_addc_u32 s3, s5, s3
	s_ashr_i32 s47, s46, 31
	s_lshl_b32 s10, s39, 7
	s_movk_i32 s8, 0x100
	v_mov_b32_e32 v51, 0
	v_lshlrev_b32_e32 v50, 4, v62
	v_cmp_gt_u32_e32 vcc, s8, v0
	s_mov_b32 s63, 0
	s_movk_i32 s13, 0x1000
	s_movk_i32 s6, 0x4000
	v_add_u32_e32 v93, v59, v18
	v_mov_b32_e32 v98, 0x3fb8aa3b
	v_mov_b32_e32 v100, v51
	;; [unrolled: 1-line block ×5, first 2 shown]
	s_waitcnt vmcnt(1)
	v_perm_b32 v16, v20, v28, s61
	s_waitcnt vmcnt(0)
	v_perm_b32 v19, v24, v32, s61
	v_perm_b32 v20, v20, v28, s62
	;; [unrolled: 1-line block ×15, first 2 shown]
	ds_write2st64_b32 v4, v16, v19 offset0:32 offset1:64
	ds_write2st64_b32 v6, v20, v24 offset0:32 offset1:64
	;; [unrolled: 1-line block ×8, first 2 shown]
	v_or_b32_e32 v4, v59, v62
	v_lshlrev_b32_e32 v4, 3, v4
	v_lshrrev_b32_e32 v10, 5, v60
	v_and_or_b32 v10, v4, s4, v10
	v_lshlrev_b32_e32 v8, 11, v58
	v_lshlrev_b32_e32 v10, 4, v10
	v_and_b32_e32 v4, 0x78, v4
	v_and_b32_e32 v6, 0x1000, v8
	v_xor_b32_e32 v11, v10, v4
	v_lshrrev_b32_e32 v12, 1, v0
	v_or_b32_e32 v11, v11, v6
	v_and_b32_e32 v14, 8, v12
	v_xor_b32_e32 v76, v11, v14
	v_or_b32_e32 v11, 32, v10
	v_xor_b32_e32 v11, v11, v4
	v_or_b32_e32 v11, v11, v6
	;; [unrolled: 2-line block ×4, first 2 shown]
	s_lshl_b64 s[4:5], s[46:47], 8
	v_or_b32_e32 v11, v11, v6
	v_xor_b32_e32 v4, v10, v4
	s_add_u32 s4, s16, s4
	v_lshlrev_b32_e32 v10, 1, v62
	v_xor_b32_e32 v80, v11, v14
	v_lshrrev_b32_e32 v19, 4, v0
	s_addc_u32 s5, s17, s5
	v_or_b32_e32 v11, 1, v10
	v_mov_b32_e32 v23, 0x4000
	v_mov_b32_e32 v24, 0x2000
	v_xor_b32_e32 v20, v19, v10
	v_xor_b32_e32 v21, v11, v19
	v_lshl_add_u64 v[10:11], s[4:5], 0, v[50:51]
	v_lshlrev_b32_e32 v50, 8, v19
	v_cndmask_b32_e32 v23, v23, v24, vcc
	v_lshlrev_b32_e32 v24, 3, v58
	v_and_b32_e32 v12, 24, v12
	v_lshl_or_b32 v84, v20, 3, v50
	v_and_b32_e32 v20, 8, v0
	v_xor_b32_e32 v25, v24, v12
	v_or_b32_e32 v26, 0x440, v25
	v_cmp_eq_u32_e32 vcc, 0, v20
	v_and_b32_e32 v19, 7, v0
	v_lshlrev_b32_e32 v15, 7, v61
	v_cndmask_b32_e32 v20, v26, v25, vcc
	v_lshl_or_b32 v85, v21, 3, v50
	v_lshlrev_b32_e32 v21, 3, v19
	v_lshlrev_b32_e32 v19, 7, v19
	;; [unrolled: 1-line block ×3, first 2 shown]
	v_or_b32_e32 v20, v20, v8
	v_or_b32_e32 v7, v15, v7
	v_xad_u32 v86, v20, v21, v19
	v_and_or_b32 v15, v22, 60, v15
	v_mov_b32_e32 v20, 0xb000
	v_lshl_or_b32 v87, v15, 1, v20
	v_or_b32_e32 v15, 32, v12
	v_xor_b32_e32 v15, v24, v15
	v_or_b32_e32 v20, 0x440, v15
	v_cndmask_b32_e32 v15, v20, v15, vcc
	v_or_b32_e32 v15, v15, v8
	v_xad_u32 v88, v15, v21, v19
	v_or_b32_e32 v15, 64, v12
	v_xor_b32_e32 v15, v24, v15
	v_xor_b32_e32 v20, 0x440, v15
	v_cndmask_b32_e32 v15, v20, v15, vcc
	v_or_b32_e32 v12, 0x60, v12
	v_or_b32_e32 v15, v15, v8
	v_xor_b32_e32 v12, v24, v12
	v_xad_u32 v89, v15, v21, v19
	v_xor_b32_e32 v15, 0x440, v12
	v_lshlrev_b32_e32 v7, 1, v7
	v_or_b32_e32 v4, v4, v6
	v_or_b32_e32 v6, s46, v62
	v_cndmask_b32_e32 v12, v15, v12, vcc
	v_or_b32_e32 v77, 0xa000, v7
	v_or_b32_e32 v79, 0xa080, v7
	v_xor_b32_e32 v81, v4, v14
	v_or_b32_e32 v82, 0xb000, v7
	v_or_b32_e32 v83, 0xb080, v7
	v_ashrrev_i32_e32 v7, 31, v6
	v_lshlrev_b32_e32 v14, 1, v3
	v_add_lshl_u32 v3, v3, s39, 1
	v_or_b32_e32 v16, 0x100, v2
	v_or_b32_e32 v8, v12, v8
	v_lshlrev_b32_e32 v4, 7, v1
	v_xad_u32 v90, v8, v21, v19
	v_cndmask_b32_e64 v91, v14, v2, s[0:1]
	v_cndmask_b32_e64 v92, v3, v16, s[0:1]
	v_lshlrev_b64 v[2:3], 1, v[6:7]
	v_lshl_add_u64 v[52:53], s[28:29], 0, v[2:3]
	v_lshl_add_u64 v[54:55], s[18:19], 0, v[2:3]
	;; [unrolled: 1-line block ×3, first 2 shown]
	s_mov_b32 s47, 0x7060302
	v_lshlrev_b32_e32 v50, 1, v4
	v_add_u32_e32 v94, v23, v86
	v_add_u32_e32 v95, v23, v88
	;; [unrolled: 1-line block ×4, first 2 shown]
	v_mov_b32_e32 v2, v51
	v_mov_b32_e32 v3, v51
	;; [unrolled: 1-line block ×12, first 2 shown]
	s_waitcnt lgkmcnt(0)
	s_barrier
.LBB357_6:                              ; =>This Inner Loop Header: Depth=1
	s_add_i32 s64, s63, 1
	s_cmp_lt_i32 s64, s55
	s_mov_b64 s[8:9], 0
	s_cselect_b64 s[14:15], -1, 0
	s_cmp_ge_i32 s64, s55
	s_mov_b64 s[4:5], 0
	s_cbranch_scc1 .LBB357_8
; %bb.7:                                ;   in Loop: Header=BB357_6 Depth=1
	s_add_i32 s0, s49, 64
	s_ashr_i32 s1, s0, 31
	s_add_u32 s0, s60, s0
	s_addc_u32 s1, s59, s1
	s_lshl_b64 s[0:1], s[0:1], 8
	s_add_u32 s4, s26, s0
	s_addc_u32 s5, s27, s1
.LBB357_8:                              ;   in Loop: Header=BB357_6 Depth=1
	v_cndmask_b32_e64 v18, 0, 1, s[14:15]
	v_cmp_ne_u32_e64 s[0:1], 1, v18
	s_andn2_b64 vcc, exec, s[14:15]
	s_cbranch_vccnz .LBB357_10
; %bb.9:                                ;   in Loop: Header=BB357_6 Depth=1
	s_add_i32 s8, s49, 64
	s_mul_hi_i32 s9, s8, s38
	s_mul_i32 s8, s8, s38
	s_add_u32 s8, s8, s58
	s_addc_u32 s9, s9, s41
	s_lshl_b64 s[8:9], s[8:9], 8
	s_add_u32 s8, s24, s8
	s_addc_u32 s9, s25, s9
.LBB357_10:                             ;   in Loop: Header=BB357_6 Depth=1
	v_perm_b32 v19, v100, v4, s47
	v_perm_b32 v18, v3, v2, s47
	;; [unrolled: 1-line block ×4, first 2 shown]
	ds_write_b64 v68, v[18:19]
	ds_write_b64 v69, v[20:21]
	;; [unrolled: 1-line block ×4, first 2 shown]
	v_perm_b32 v19, v102, v12, s47
	v_perm_b32 v18, v11, v10, s47
	;; [unrolled: 1-line block ×4, first 2 shown]
	ds_write_b64 v70, v[18:19]
	ds_write_b64 v71, v[20:21]
	;; [unrolled: 1-line block ×4, first 2 shown]
	s_waitcnt lgkmcnt(0)
	s_barrier
	ds_read_b64 v[22:23], v76 offset:24576
	ds_read2_b64 v[18:21], v77 offset1:16
	ds_read_b64 v[26:27], v79 offset:3072
	ds_read_b64 v[28:29], v77 offset:3072
	;; [unrolled: 1-line block ×3, first 2 shown]
	s_waitcnt lgkmcnt(3)
	v_mfma_f32_16x16x16_bf16 a[0:3], v[22:23], v[18:19], 0
	s_add_i32 s11, s49, 63
	s_ashr_i32 s14, s11, 31
	s_mul_i32 s15, s11, s23
	v_mfma_f32_16x16x16_bf16 a[4:7], v[22:23], v[20:21], 0
	ds_read2st64_b64 v[18:21], v77 offset0:2 offset1:4
	s_mul_hi_u32 s65, s11, s22
	s_add_i32 s15, s65, s15
	s_waitcnt lgkmcnt(0)
	v_mfma_f32_16x16x16_bf16 a[0:3], v[30:31], v[18:19], a[0:3]
	ds_read2st64_b64 v[22:25], v79 offset0:2 offset1:4
	ds_read_b64 v[18:19], v80 offset:24576
	s_mul_i32 s14, s14, s22
	s_add_i32 s15, s15, s14
	s_waitcnt lgkmcnt(1)
	v_mfma_f32_16x16x16_bf16 a[4:7], v[30:31], v[22:23], a[4:7]
	ds_read_b64 v[22:23], v81 offset:24576
	s_mul_i32 s14, s11, s22
	s_lshl_b64 s[14:15], s[14:15], 2
	s_waitcnt lgkmcnt(1)
	v_mfma_f32_16x16x16_bf16 a[0:3], v[18:19], v[20:21], a[0:3]
	s_add_u32 s14, s2, s14
	s_addc_u32 s15, s3, s15
	s_and_b64 vcc, exec, s[0:1]
	v_mfma_f32_16x16x16_bf16 a[8:11], v[18:19], v[24:25], a[4:7]
	v_mov_b32_e32 v105, 0
	v_mov_b32_e32 v104, 0
	;; [unrolled: 1-line block ×3, first 2 shown]
	s_waitcnt lgkmcnt(0)
	v_mfma_f32_16x16x16_bf16 a[4:7], v[22:23], v[28:29], a[0:3]
	v_mov_b32_e32 v18, 0
	v_mov_b32_e32 v19, 0
	;; [unrolled: 1-line block ×3, first 2 shown]
	v_mfma_f32_16x16x16_bf16 a[0:3], v[22:23], v[26:27], a[8:11]
	v_mov_b32_e32 v21, 0
	v_mov_b32_e32 v22, 0
	;; [unrolled: 1-line block ×13, first 2 shown]
	s_cbranch_vccnz .LBB357_12
; %bb.11:                               ;   in Loop: Header=BB357_6 Depth=1
	s_and_b32 s5, s5, 0xffff
	buffer_load_dwordx4 v[30:33], v13, s[4:7], 0 offen
	buffer_load_dwordx4 v[26:29], v13, s[4:7], s56 offen
	;; [unrolled: 1-line block ×4, first 2 shown]
	v_mov_b32_e32 v104, v66
	v_mov_b32_e32 v103, v67
.LBB357_12:                             ;   in Loop: Header=BB357_6 Depth=1
	ds_read_b64 v[42:43], v76 offset:32768
	ds_read2_b64 v[34:37], v82 offset1:16
	ds_read_b64 v[44:45], v78 offset:32768
	ds_read_b64 v[46:47], v80 offset:32768
	ds_read_b64 v[48:49], v81 offset:32768
	v_add_u32_e32 v106, s49, v93
	s_waitcnt lgkmcnt(3)
	v_mfma_f32_16x16x16_bf16 a[4:7], v[42:43], v[34:35], a[4:7]
	v_ashrrev_i32_e32 v34, 31, v106
	ds_read2st64_b64 v[38:41], v82 offset0:2 offset1:4
	v_mfma_f32_16x16x16_bf16 a[0:3], v[42:43], v[36:37], a[0:3]
	v_mul_lo_u32 v36, v34, s22
	v_mul_lo_u32 v37, v106, s23
	v_mad_u64_u32 v[34:35], s[4:5], v106, s22, 0
	v_add3_u32 v35, v35, v37, v36
	v_add_u32_e32 v36, 1, v106
	v_ashrrev_i32_e32 v37, 31, v36
	v_mul_lo_u32 v42, v37, s22
	v_mul_lo_u32 v43, v36, s23
	v_mad_u64_u32 v[36:37], s[4:5], v36, s22, 0
	v_add3_u32 v37, v37, v43, v42
	v_add_u32_e32 v42, 2, v106
	v_ashrrev_i32_e32 v43, 31, v42
	v_mul_lo_u32 v107, v43, s22
	v_mul_lo_u32 v108, v42, s23
	v_mad_u64_u32 v[42:43], s[4:5], v42, s22, 0
	v_add_u32_e32 v106, 3, v106
	v_add3_u32 v43, v43, v108, v107
	v_ashrrev_i32_e32 v107, 31, v106
	v_mul_lo_u32 v108, v107, s22
	v_mul_lo_u32 v109, v106, s23
	v_mad_u64_u32 v[106:107], s[4:5], v106, s22, 0
	s_ashr_i32 s5, s49, 31
	v_add3_u32 v107, v107, v109, v108
	s_add_u32 s4, s60, s49
	v_lshl_add_u64 v[34:35], v[34:35], 2, s[2:3]
	v_lshl_add_u64 v[106:107], v[106:107], 2, s[2:3]
	s_addc_u32 s5, s59, s5
	v_lshl_add_u64 v[36:37], v[36:37], 2, s[2:3]
	v_lshl_add_u64 v[42:43], v[42:43], 2, s[2:3]
	global_load_dword v108, v[34:35], off
	global_load_dword v109, v[36:37], off
	global_load_dword v110, v[42:43], off
	s_nop 0
	global_load_dword v106, v[106:107], off
	s_lshl_b64 s[66:67], s[4:5], 8
	v_lshl_add_u64 v[34:35], v[52:53], 0, s[66:67]
	v_lshl_add_u64 v[42:43], v[34:35], 0, v[50:51]
	global_load_ushort v107, v[42:43], off offset:256
	global_load_ushort v111, v[42:43], off
	ds_read2st64_b64 v[34:37], v83 offset0:2 offset1:4
	global_load_ushort v112, v[42:43], off offset:768
	global_load_ushort v113, v[42:43], off offset:512
	;; [unrolled: 1-line block ×6, first 2 shown]
	s_waitcnt lgkmcnt(1)
	v_mfma_f32_16x16x16_bf16 a[4:7], v[44:45], v[38:39], a[4:7]
	s_and_b64 vcc, exec, s[0:1]
	s_waitcnt vmcnt(7)
	v_lshlrev_b32_e32 v43, 16, v107
	s_waitcnt lgkmcnt(0)
	v_mfma_f32_16x16x16_bf16 a[0:3], v[44:45], v[34:35], a[0:3]
	v_mfma_f32_16x16x16_bf16 a[4:7], v[46:47], v[40:41], a[4:7]
	;; [unrolled: 1-line block ×3, first 2 shown]
	ds_read_b64 v[34:35], v82 offset:3072
	ds_read_b64 v[36:37], v83 offset:3072
	s_load_dword s4, s[14:15], 0x0
	s_waitcnt lgkmcnt(0)
	v_sub_f32_e32 v42, s4, v108
	v_mfma_f32_16x16x16_bf16 a[4:7], v[48:49], v[34:35], a[4:7]
	v_sub_f32_e32 v45, s4, v109
	v_sub_f32_e32 v46, s4, v110
	;; [unrolled: 1-line block ×3, first 2 shown]
	v_mul_f32_e32 v44, 0x3fb8aa3b, v42
	v_mul_f32_e32 v45, 0x3fb8aa3b, v45
	;; [unrolled: 1-line block ×4, first 2 shown]
	v_mfma_f32_16x16x16_bf16 a[0:3], v[48:49], v[36:37], a[0:3]
	v_accvgpr_read_b32 v41, a5
	v_exp_f32_e32 v44, v44
	v_exp_f32_e32 v45, v45
	;; [unrolled: 1-line block ×4, first 2 shown]
	v_accvgpr_read_b32 v40, a4
	s_waitcnt vmcnt(6)
	v_lshlrev_b32_e32 v42, 16, v111
	v_lshl_add_u64 v[34:35], v[54:55], 0, s[66:67]
	v_accvgpr_read_b32 v37, a7
	v_accvgpr_read_b32 v36, a6
	v_pk_add_f32 v[40:41], v[42:43], v[40:41] neg_lo:[0,1] neg_hi:[0,1]
	s_waitcnt vmcnt(5)
	v_lshlrev_b32_e32 v43, 16, v112
	s_waitcnt vmcnt(4)
	v_lshlrev_b32_e32 v42, 16, v113
	v_lshl_add_u64 v[34:35], v[34:35], 0, v[50:51]
	v_pk_add_f32 v[36:37], v[42:43], v[36:37] neg_lo:[0,1] neg_hi:[0,1]
	global_store_short_d16_hi v[34:35], v40, off
	global_store_short_d16_hi v[34:35], v41, off offset:256
	global_store_short_d16_hi v[34:35], v36, off offset:512
	;; [unrolled: 1-line block ×3, first 2 shown]
	v_pk_mul_f32 v[40:41], v[44:45], v[40:41]
	v_pk_mul_f32 v[36:37], v[46:47], v[36:37]
	v_accvgpr_read_b32 v43, a1
	v_perm_b32 v37, v37, v36, s47
	v_perm_b32 v36, v41, v40, s47
	s_waitcnt vmcnt(5)
	v_lshlrev_b32_e32 v41, 16, v116
	s_waitcnt vmcnt(4)
	v_lshlrev_b32_e32 v40, 16, v117
	v_accvgpr_read_b32 v42, a0
	v_accvgpr_read_b32 v39, a3
	;; [unrolled: 1-line block ×3, first 2 shown]
	v_pk_add_f32 v[40:41], v[40:41], v[42:43] neg_lo:[0,1] neg_hi:[0,1]
	v_lshlrev_b32_e32 v43, 16, v114
	v_lshlrev_b32_e32 v42, 16, v115
	v_pk_add_f32 v[38:39], v[42:43], v[38:39] neg_lo:[0,1] neg_hi:[0,1]
	global_store_short_d16_hi v[34:35], v40, off offset:32
	global_store_short_d16_hi v[34:35], v41, off offset:288
	;; [unrolled: 1-line block ×4, first 2 shown]
	v_pk_mul_f32 v[34:35], v[44:45], v[40:41]
	v_pk_mul_f32 v[38:39], v[46:47], v[38:39]
	v_mov_b32_e32 v106, 0
	v_perm_b32 v39, v39, v38, s47
	v_perm_b32 v38, v35, v34, s47
	ds_write2_b64 v69, v[36:37], v[38:39] offset1:16
	v_mov_b32_e32 v34, 0
	v_mov_b32_e32 v35, 0
	;; [unrolled: 1-line block ×16, first 2 shown]
	s_cbranch_vccnz .LBB357_14
; %bb.13:                               ;   in Loop: Header=BB357_6 Depth=1
	s_and_b32 s9, s9, 0xffff
	s_mov_b32 s11, s7
	buffer_load_dwordx4 v[46:49], v91, s[8:11], 0 offen
	buffer_load_dwordx4 v[38:41], v91, s[8:11], s56 offen
	;; [unrolled: 1-line block ×4, first 2 shown]
	v_mov_b32_e32 v105, v9
	v_mov_b32_e32 v106, v5
.LBB357_14:                             ;   in Loop: Header=BB357_6 Depth=1
	s_waitcnt lgkmcnt(0)
	s_barrier
	ds_read_b64 v[112:113], v94
	ds_read_b64 v[120:121], v87
	;; [unrolled: 1-line block ×5, first 2 shown]
	ds_read_b64 v[126:127], v88 offset:16384
	ds_read_b64 v[128:129], v86 offset:16384
	ds_read2_b64 v[108:111], v82 offset0:16 offset1:128
	s_waitcnt lgkmcnt(6)
	v_mfma_f32_16x16x16_bf16 a[0:3], v[112:113], v[120:121], 0
	ds_read_b64 v[130:131], v83 offset:3072
	ds_read_b64 v[132:133], v90 offset:16384
	s_add_i32 s5, s57, s63
	s_waitcnt lgkmcnt(2)
	v_mfma_f32_16x16x16_bf16 a[4:7], v[112:113], v[108:109], 0
	ds_read2st64_b64 v[112:115], v83 offset0:2 offset1:4
	s_mul_hi_i32 s9, s5, s33
	s_mul_i32 s5, s5, s33
	v_mfma_f32_16x16x16_bf16 a[0:3], v[116:117], v[110:111], a[0:3]
	s_add_u32 s8, s5, s51
	s_addc_u32 s9, s9, s40
	s_lshl_b64 s[8:9], s[8:9], 15
	s_waitcnt lgkmcnt(0)
	v_mfma_f32_16x16x16_bf16 a[4:7], v[116:117], v[112:113], a[4:7]
	ds_read2st64_b64 v[116:119], v82 offset0:4 offset1:6
	s_waitcnt lgkmcnt(0)
	v_mfma_f32_16x16x16_bf16 a[0:3], v[122:123], v[116:117], a[0:3]
	v_mfma_f32_16x16x16_bf16 a[8:11], v[122:123], v[114:115], a[4:7]
	;; [unrolled: 1-line block ×5, first 2 shown]
	ds_read2st64_b64 v[120:123], v85 offset1:8
	v_mfma_f32_16x16x16_bf16 a[12:15], v[128:129], v[108:109], 0
	ds_read_b64 v[128:129], v89 offset:16384
	v_mfma_f32_16x16x16_bf16 a[8:11], v[126:127], v[110:111], a[8:11]
	ds_read2st64_b64 v[108:111], v84 offset1:8
	s_waitcnt lgkmcnt(0)
	v_mov_b32_e32 v124, v108
	v_mfma_f32_16x16x16_bf16 a[12:15], v[126:127], v[112:113], a[12:15]
	v_lshl_add_u64 v[112:113], v[56:57], 0, s[8:9]
	v_add_co_u32_e32 v108, vcc, s13, v112
	v_mfma_f32_16x16x16_bf16 a[8:11], v[128:129], v[116:117], a[8:11]
	v_mov_b32_e32 v125, v109
	v_addc_co_u32_e32 v109, vcc, 0, v113, vcc
	v_mfma_f32_16x16x16_bf16 a[12:15], v[128:129], v[114:115], a[12:15]
	v_mov_b32_e32 v126, v120
	v_mov_b32_e32 v127, v121
	;; [unrolled: 1-line block ×3, first 2 shown]
	v_mfma_f32_16x16x16_bf16 a[8:11], v[132:133], v[118:119], a[8:11]
	v_mov_b32_e32 v121, v111
	s_and_b64 vcc, exec, s[0:1]
	global_store_dwordx4 v[112:113], v[124:127], off
	v_mfma_f32_16x16x16_bf16 a[12:15], v[132:133], v[130:131], a[12:15]
	global_store_dwordx4 v[108:109], v[120:123], off
	s_cbranch_vccnz .LBB357_16
; %bb.15:                               ;   in Loop: Header=BB357_6 Depth=1
	v_lshrrev_b32_e32 v107, 3, v105
	v_and_b32_e32 v107, 6, v107
	v_xor_b32_e32 v106, v107, v106
	v_lshlrev_b32_e32 v106, 2, v106
	v_and_b32_e32 v105, 8, v105
	v_xor_b32_e32 v108, 0x440, v106
	v_cmp_eq_u32_e32 vcc, 0, v105
	s_barrier
	s_nop 0
	v_cndmask_b32_e32 v105, v108, v106, vcc
	v_lshl_or_b32 v105, v107, 10, v105
	s_waitcnt vmcnt(3)
	v_perm_b32 v106, v46, v42, s61
	s_waitcnt vmcnt(2)
	v_perm_b32 v107, v38, v34, s61
	ds_write2st64_b32 v105, v106, v107 offset0:32 offset1:64
	v_xor_b32_e32 v106, 8, v105
	v_perm_b32 v42, v46, v42, s62
	v_perm_b32 v34, v38, v34, s62
	v_add_u32_e32 v38, 0x80, v106
	ds_write2st64_b32 v38, v42, v34 offset0:32 offset1:64
	v_xor_b32_e32 v34, 16, v105
	v_perm_b32 v38, v47, v43, s61
	v_perm_b32 v42, v39, v35, s61
	ds_write2st64_b32 v34, v38, v42 offset0:33 offset1:65
	v_xor_b32_e32 v34, 24, v105
	v_perm_b32 v38, v47, v43, s62
	v_perm_b32 v35, v39, v35, s62
	v_add_u32_e32 v34, 0x80, v34
	ds_write2st64_b32 v34, v38, v35 offset0:33 offset1:65
	v_xor_b32_e32 v34, 32, v105
	v_perm_b32 v35, v48, v44, s61
	;; [unrolled: 9-line block ×3, first 2 shown]
	v_perm_b32 v36, v41, v37, s61
	ds_write2st64_b32 v34, v35, v36 offset0:35 offset1:67
	v_xor_b32_e32 v34, 56, v105
	v_perm_b32 v35, v49, v45, s62
	v_perm_b32 v36, v41, v37, s62
	v_add_u32_e32 v34, 0x80, v34
	ds_write2st64_b32 v34, v35, v36 offset0:35 offset1:67
	ds_write_b64 v104, v[30:31] offset:24576
	v_xor_b32_e32 v30, 8, v104
	ds_write_b64 v30, v[32:33] offset:24576
	ds_write_b64 v104, v[26:27] offset:32768
	;; [unrolled: 1-line block ×4, first 2 shown]
	v_xor_b32_e32 v22, 8, v103
	ds_write_b64 v22, v[24:25] offset:24576
	ds_write_b64 v103, v[18:19] offset:32768
	;; [unrolled: 1-line block ×3, first 2 shown]
.LBB357_16:                             ;   in Loop: Header=BB357_6 Depth=1
	v_mul_f32_e32 v18, s4, v98
	s_waitcnt vmcnt(2)
	v_exp_f32_e32 v34, v18
	v_accvgpr_read_b32 v33, a7
	v_accvgpr_read_b32 v25, a3
	;; [unrolled: 1-line block ×16, first 2 shown]
	s_add_i32 s49, s49, 64
	v_fma_f32 v2, v2, v34, v30
	v_fma_f32 v3, v3, v34, v31
	v_fma_f32 v4, v4, v34, v32
	v_fmac_f32_e32 v33, v100, v34
	v_fma_f32 v10, v10, v34, v22
	v_fma_f32 v11, v11, v34, v23
	v_fma_f32 v12, v12, v34, v24
	v_fmac_f32_e32 v25, v102, v34
	;; [unrolled: 4-line block ×3, first 2 shown]
	v_fma_f32 v14, v14, v34, v18
	v_fma_f32 v15, v15, v34, v19
	;; [unrolled: 1-line block ×3, first 2 shown]
	s_cmp_eq_u32 s55, s64
	v_fmac_f32_e32 v21, v101, v34
	s_cbranch_scc1 .LBB357_18
; %bb.17:                               ;   in Loop: Header=BB357_6 Depth=1
	s_mov_b32 s63, s64
	v_mov_b32_e32 v100, v33
	v_mov_b32_e32 v99, v29
	;; [unrolled: 1-line block ×4, first 2 shown]
	s_branch .LBB357_6
.LBB357_18:
	v_mov_b32_e32 v5, v33
	v_mov_b32_e32 v9, v29
	;; [unrolled: 1-line block ×4, first 2 shown]
.LBB357_19:
	s_lshl_b32 s2, s55, 6
	s_sub_i32 s56, s48, s2
	s_cmp_gt_i32 s56, 0
	v_or_b32_e32 v34, s46, v62
	s_cbranch_scc1 .LBB357_21
; %bb.20:
	s_ashr_i32 s9, s51, 31
	v_or_b32_e32 v18, s46, v62
	s_cbranch_execz .LBB357_22
	s_branch .LBB357_86
.LBB357_21:
                                        ; implicit-def: $vgpr18
                                        ; implicit-def: $sgpr8_sgpr9
.LBB357_22:
	s_add_i32 s8, s2, s44
	s_ashr_i32 s2, s8, 31
	s_cmpk_lg_i32 s39, 0x80
	s_cselect_b64 s[40:41], -1, 0
	s_and_b64 vcc, exec, s[40:41]
	s_cbranch_vccz .LBB357_24
; %bb.23:
	s_mul_i32 s1, s8, s38
	s_ashr_i32 s3, s58, 31
	s_mul_hi_i32 s0, s8, s38
	s_add_u32 s48, s1, s58
	s_addc_u32 s49, s0, s3
	s_cbranch_execz .LBB357_25
	s_branch .LBB357_26
.LBB357_24:
                                        ; implicit-def: $sgpr48_sgpr49
.LBB357_25:
	s_mul_i32 s1, s58, s36
	s_mul_hi_i32 s0, s58, s36
	s_add_u32 s48, s1, s8
	s_addc_u32 s49, s0, s2
.LBB357_26:
	s_add_i32 s3, s55, s57
	s_ashr_i32 s9, s51, 31
	s_add_u32 s0, s60, s8
	v_lshlrev_b32_e32 v22, 5, v1
	v_lshlrev_b32_e32 v40, 2, v62
	s_addc_u32 s1, s59, s2
	s_mov_b32 s2, 0x7060302
	v_or_b32_e32 v25, v22, v40
	v_xor_b32_e32 v23, v1, v40
	v_perm_b32 v19, v5, v4, s2
	v_perm_b32 v18, v3, v2, s2
	;; [unrolled: 1-line block ×4, first 2 shown]
	v_lshlrev_b32_e32 v25, 1, v25
	s_lshl_b64 s[10:11], s[0:1], 8
	v_xor_b32_e32 v24, v65, v40
	ds_write2st64_b64 v25, v[18:19], v[20:21] offset0:80 offset1:88
	v_lshlrev_b32_e32 v23, 1, v23
	v_lshlrev_b32_e32 v25, 8, v62
	s_add_u32 s0, s26, s10
	v_or_b32_e32 v26, v23, v25
	v_lshlrev_b32_e32 v24, 1, v24
	s_addc_u32 s1, s27, s11
	ds_write_b64 v26, v[18:19]
	v_or_b32_e32 v18, v24, v25
	v_or_b32_e32 v25, 16, v62
	s_mul_hi_i32 s4, s3, s37
	s_mul_i32 s3, s3, s37
	ds_write_b64 v18, v[20:21]
	v_perm_b32 v19, v13, v12, s2
	v_perm_b32 v18, v11, v10, s2
	;; [unrolled: 1-line block ×4, first 2 shown]
	v_lshlrev_b32_e32 v37, 2, v25
	s_add_u32 s2, s3, s51
	v_or_b32_e32 v22, v22, v37
	s_addc_u32 s3, s4, s9
	v_lshlrev_b32_e32 v22, 1, v22
	s_ashr_i32 s47, s46, 31
	s_lshl_b64 s[2:3], s[2:3], 15
	ds_write2st64_b64 v22, v[18:19], v[20:21] offset0:80 offset1:88
	v_lshlrev_b32_e32 v22, 8, v25
	s_add_u32 s4, s16, s2
	v_or_b32_e32 v23, v23, v22
	s_addc_u32 s5, s17, s3
	s_lshl_b64 s[2:3], s[46:47], 8
	ds_write_b64 v23, v[18:19]
	v_or_b32_e32 v18, v24, v22
	s_add_u32 s2, s4, s2
	ds_write_b64 v18, v[20:21]
	v_lshrrev_b32_e32 v18, 4, v0
	s_addc_u32 s3, s5, s3
	v_lshlrev_b32_e32 v19, 1, v62
	v_lshlrev_b32_e32 v26, 4, v62
	v_mov_b32_e32 v27, 0
	v_or_b32_e32 v20, 1, v19
	v_xor_b32_e32 v19, v18, v19
	v_lshl_add_u64 v[28:29], s[2:3], 0, v[26:27]
	v_lshlrev_b32_e32 v26, 8, v18
	v_xor_b32_e32 v22, v20, v18
	v_lshl_or_b32 v18, v19, 3, v26
	s_waitcnt lgkmcnt(0)
	s_barrier
	ds_read2st64_b64 v[18:21], v18 offset1:8
	v_lshl_or_b32 v22, v22, 3, v26
	ds_read2st64_b64 v[22:25], v22 offset1:8
	v_lshl_add_u64 v[30:31], v[28:29], 0, v[26:27]
	s_movk_i32 s2, 0x1000
	s_waitcnt lgkmcnt(1)
	v_mov_b32_e32 v26, v18
	v_add_co_u32_e32 v18, vcc, s2, v30
	s_cmp_lg_u32 s56, 64
	v_mov_b32_e32 v27, v19
	v_addc_co_u32_e32 v19, vcc, 0, v31, vcc
	s_cselect_b64 s[14:15], -1, 0
	v_lshl_or_b32 v35, v58, 3, v64
	s_waitcnt lgkmcnt(0)
	v_mov_b32_e32 v28, v22
	v_mov_b32_e32 v29, v23
	;; [unrolled: 1-line block ×4, first 2 shown]
	s_mov_b32 s4, 0
	v_or_b32_e32 v38, 32, v35
	v_and_b32_e32 v36, 56, v63
	s_and_b64 vcc, exec, s[14:15]
	global_store_dwordx4 v[30:31], v[26:29], off
	global_store_dwordx4 v[18:19], v[22:25], off
	s_cbranch_vccz .LBB357_32
; %bb.27:
	s_mov_b32 s6, s4
	s_mov_b32 s7, s4
	;; [unrolled: 1-line block ×3, first 2 shown]
	v_mov_b64_e32 v[24:25], s[6:7]
	v_mov_b64_e32 v[22:23], s[4:5]
	;; [unrolled: 1-line block ×3, first 2 shown]
	v_cmp_gt_i32_e32 vcc, s56, v35
	v_mov_b64_e32 v[20:21], v[24:25]
	s_and_saveexec_b64 s[2:3], vcc
	s_cbranch_execz .LBB357_29
; %bb.28:
	v_lshlrev_b32_e32 v18, 8, v35
	v_mov_b32_e32 v19, 0
	v_lshl_add_u64 v[20:21], s[0:1], 0, v[18:19]
	v_lshlrev_b32_e32 v18, 1, v36
	v_lshl_add_u64 v[26:27], v[20:21], 0, v[18:19]
	global_load_dwordx4 v[22:25], v[26:27], off
	global_load_dwordx4 v[18:21], v[26:27], off offset:128
.LBB357_29:
	s_or_b64 exec, exec, s[2:3]
	s_mov_b32 s6, s4
	s_mov_b32 s7, s4
	;; [unrolled: 1-line block ×3, first 2 shown]
	v_mov_b64_e32 v[32:33], s[6:7]
	v_mov_b64_e32 v[30:31], s[4:5]
	;; [unrolled: 1-line block ×3, first 2 shown]
	v_cmp_gt_i32_e32 vcc, s56, v38
	v_lshlrev_b32_e32 v39, 7, v38
	v_mov_b64_e32 v[28:29], v[32:33]
	s_and_saveexec_b64 s[2:3], vcc
	s_cbranch_execz .LBB357_31
; %bb.30:
	v_lshlrev_b32_e32 v26, 1, v39
	v_mov_b32_e32 v27, 0
	v_lshl_add_u64 v[28:29], s[0:1], 0, v[26:27]
	v_lshlrev_b32_e32 v26, 1, v36
	v_lshl_add_u64 v[42:43], v[28:29], 0, v[26:27]
	global_load_dwordx4 v[30:33], v[42:43], off
	global_load_dwordx4 v[26:29], v[42:43], off offset:128
.LBB357_31:
	s_or_b64 exec, exec, s[2:3]
	v_lshrrev_b32_e32 v41, 3, v36
	v_lshlrev_b32_e32 v42, 3, v35
	v_or_b32_e32 v41, v42, v41
	v_lshlrev_b32_e32 v41, 4, v41
	v_and_b32_e32 v42, 0x78, v42
	v_xor_b32_e32 v41, v41, v42
	s_branch .LBB357_34
.LBB357_32:
                                        ; implicit-def: $vgpr41
                                        ; implicit-def: $vgpr39
                                        ; implicit-def: $vgpr22_vgpr23_vgpr24_vgpr25
                                        ; implicit-def: $vgpr18_vgpr19_vgpr20_vgpr21
                                        ; implicit-def: $vgpr30_vgpr31_vgpr32_vgpr33
                                        ; implicit-def: $vgpr26_vgpr27_vgpr28_vgpr29
	s_cbranch_execz .LBB357_34
; %bb.33:
	s_waitcnt vmcnt(0)
	v_lshlrev_b32_e32 v18, 1, v36
	v_lshl_or_b32 v39, v35, 8, v18
	s_and_b32 s1, s1, 0xffff
	s_mov_b32 s3, 0x20000
	s_movk_i32 s2, 0x4000
	v_lshl_or_b32 v41, v38, 8, v18
	s_movk_i32 s4, 0x80
	buffer_load_dwordx4 v[22:25], v39, s[0:3], 0 offen
	buffer_load_dwordx4 v[18:21], v39, s[0:3], s4 offen
	;; [unrolled: 1-line block ×4, first 2 shown]
	v_lshrrev_b32_e32 v39, 3, v36
	v_lshlrev_b32_e32 v41, 3, v35
	v_or_b32_e32 v39, v41, v39
	v_lshlrev_b32_e32 v39, 4, v39
	v_and_b32_e32 v41, 0x78, v41
	v_xor_b32_e32 v41, v39, v41
	v_lshlrev_b32_e32 v39, 7, v38
.LBB357_34:
	s_lshl_b64 s[0:1], s[48:49], 8
	s_add_u32 s4, s24, s0
	s_movk_i32 s0, 0x1000
	v_and_or_b32 v38, v39, s0, v41
	s_waitcnt vmcnt(1)
	ds_write_b64 v41, v[22:23] offset:24576
	v_xor_b32_e32 v22, 8, v41
	ds_write_b64 v22, v[24:25] offset:24576
	s_waitcnt vmcnt(0)
	ds_write_b64 v41, v[18:19] offset:32768
	ds_write_b64 v22, v[20:21] offset:32768
	;; [unrolled: 1-line block ×3, first 2 shown]
	v_xor_b32_e32 v18, 8, v38
	ds_write_b64 v18, v[32:33] offset:24576
	ds_write_b64 v38, v[26:27] offset:32768
	;; [unrolled: 1-line block ×3, first 2 shown]
	v_or_b32_e32 v18, v59, v62
	v_lshlrev_b32_e32 v18, 3, v18
	v_lshrrev_b32_e32 v19, 5, v60
	s_movk_i32 s7, 0xf8
	v_and_or_b32 v19, v18, s7, v19
	v_lshlrev_b32_e32 v23, 4, v19
	v_lshlrev_b32_e32 v41, 11, v58
	v_and_b32_e32 v24, 0x78, v18
	v_or_b32_e32 v26, 32, v23
	v_and_b32_e32 v22, 0x1000, v41
	v_lshrrev_b32_e32 v19, 1, v60
	v_xor_b32_e32 v26, v26, v24
	v_xor_b32_e32 v18, v23, v24
	v_and_b32_e32 v25, 8, v19
	v_or_b32_e32 v26, v26, v22
	v_or_b32_e32 v18, v18, v22
	v_xor_b32_e32 v45, v26, v25
	v_or_b32_e32 v26, 64, v23
	v_xor_b32_e32 v44, v18, v25
	v_xor_b32_e32 v26, v26, v24
	s_waitcnt lgkmcnt(0)
	s_barrier
	v_or_b32_e32 v28, v26, v22
	ds_read_b64 v[26:27], v44 offset:24576
	v_lshl_or_b32 v38, v61, 7, v40
	v_lshlrev_b32_e32 v42, 1, v38
	v_add_u32_e32 v18, 0xa000, v42
	ds_read2_b64 v[18:21], v18 offset1:16
	v_or_b32_e32 v23, 0x60, v23
	v_xor_b32_e32 v23, v23, v24
	s_waitcnt lgkmcnt(0)
	v_mfma_f32_16x16x16_bf16 a[0:3], v[26:27], v[18:19], 0
	v_or_b32_e32 v18, 64, v38
	v_or_b32_e32 v22, v23, v22
	v_lshlrev_b32_e32 v43, 1, v18
	v_xor_b32_e32 v46, v28, v25
	v_xor_b32_e32 v47, v22, v25
	ds_read_b64 v[28:29], v45 offset:24576
	ds_read_b64 v[30:31], v46 offset:24576
	ds_read_b64 v[32:33], v47 offset:24576
	v_mfma_f32_16x16x16_bf16 a[4:7], v[26:27], v[20:21], 0
	ds_read2st64_b64 v[18:21], v43 offset0:82 offset1:84
	ds_read2st64_b64 v[22:25], v42 offset0:82 offset1:84
	s_addc_u32 s5, s25, s1
	s_add_i32 s2, s45, -1
	s_add_i32 s0, s53, s52
	s_add_i32 s13, s0, s54
	s_mul_i32 s0, s51, s43
	s_mul_hi_u32 s1, s51, s42
	s_ashr_i32 s3, s2, 31
	s_mul_i32 s6, s2, s23
	s_mul_hi_u32 s7, s2, s22
	s_add_i32 s0, s1, s0
	s_mul_i32 s1, s9, s42
	s_add_i32 s6, s7, s6
	s_mul_i32 s3, s3, s22
	s_waitcnt lgkmcnt(1)
	v_mfma_f32_16x16x16_bf16 a[4:7], v[28:29], v[18:19], a[4:7]
	s_add_i32 s1, s0, s1
	s_add_i32 s3, s6, s3
	s_lshl_b64 s[6:7], s[12:13], 2
	s_waitcnt lgkmcnt(0)
	v_mfma_f32_16x16x16_bf16 a[0:3], v[28:29], v[22:23], a[0:3]
	s_mul_i32 s0, s51, s42
	s_add_u32 s6, s30, s6
	s_addc_u32 s7, s31, s7
	s_lshl_b64 s[0:1], s[0:1], 2
	s_mul_i32 s2, s2, s22
	s_add_u32 s12, s6, s0
	ds_read_b64 v[18:19], v42 offset:44032
	v_mfma_f32_16x16x16_bf16 a[4:7], v[30:31], v[20:21], a[4:7]
	ds_read_b64 v[20:21], v43 offset:44032
	s_addc_u32 s13, s7, s1
	s_lshl_b64 s[0:1], s[2:3], 2
	v_mfma_f32_16x16x16_bf16 a[0:3], v[30:31], v[24:25], a[0:3]
	s_add_u32 s0, s12, s0
	s_addc_u32 s1, s13, s1
	s_load_dword s16, s[0:1], 0x0
	s_waitcnt lgkmcnt(0)
	v_mfma_f32_16x16x16_bf16 a[0:3], v[32:33], v[18:19], a[0:3]
	s_and_b64 vcc, exec, s[40:41]
	v_mfma_f32_16x16x16_bf16 a[4:7], v[32:33], v[20:21], a[4:7]
	s_cbranch_vccz .LBB357_45
; %bb.35:
	v_lshlrev_b32_e32 v38, 1, v35
	s_and_b64 vcc, exec, s[14:15]
	s_cbranch_vccz .LBB357_46
; %bb.36:
	v_cmp_gt_i32_e32 vcc, s56, v38
	v_mov_b32_e32 v22, 0
	v_mov_b32_e32 v18, 0
	;; [unrolled: 1-line block ×5, first 2 shown]
	s_and_saveexec_b64 s[0:1], vcc
	s_cbranch_execz .LBB357_38
; %bb.37:
	v_mad_i64_i32 v[18:19], s[2:3], s39, v38, 0
	v_lshl_add_u64 v[18:19], v[18:19], 1, s[4:5]
	v_lshlrev_b32_e32 v20, 1, v36
	v_mov_b32_e32 v21, 0
	v_lshl_add_u64 v[18:19], v[18:19], 0, v[20:21]
	global_load_dwordx4 v[18:21], v[18:19], off
.LBB357_38:
	s_or_b64 exec, exec, s[0:1]
	v_or_b32_e32 v39, 1, v38
	v_cmp_gt_i32_e64 s[0:1], s56, v39
	v_mov_b32_e32 v23, 0
	v_mov_b32_e32 v24, 0
	;; [unrolled: 1-line block ×3, first 2 shown]
	s_and_saveexec_b64 s[2:3], s[0:1]
	s_cbranch_execz .LBB357_40
; %bb.39:
	v_mad_i64_i32 v[22:23], s[6:7], s39, v39, 0
	v_lshl_add_u64 v[22:23], v[22:23], 1, s[4:5]
	v_lshlrev_b32_e32 v24, 1, v36
	v_mov_b32_e32 v25, 0
	v_lshl_add_u64 v[22:23], v[22:23], 0, v[24:25]
	global_load_dwordx4 v[22:25], v[22:23], off
.LBB357_40:
	s_or_b64 exec, exec, s[2:3]
	v_mov_b32_e32 v33, 0
	v_mov_b32_e32 v26, 0
	;; [unrolled: 1-line block ×5, first 2 shown]
	s_and_saveexec_b64 s[2:3], vcc
	s_cbranch_execz .LBB357_42
; %bb.41:
	v_mad_i64_i32 v[26:27], s[6:7], s39, v38, 0
	v_lshl_add_u64 v[26:27], v[26:27], 1, s[4:5]
	v_lshlrev_b32_e32 v28, 1, v36
	v_mov_b32_e32 v29, 0
	v_lshl_add_u64 v[26:27], v[26:27], 0, v[28:29]
	global_load_dwordx4 v[26:29], v[26:27], off offset:128
.LBB357_42:
	s_or_b64 exec, exec, s[2:3]
	v_mov_b32_e32 v32, 0
	v_mov_b32_e32 v31, 0
	;; [unrolled: 1-line block ×3, first 2 shown]
	s_and_saveexec_b64 s[2:3], s[0:1]
	s_cbranch_execz .LBB357_44
; %bb.43:
	v_mad_i64_i32 v[30:31], s[0:1], s39, v39, 0
	v_lshl_add_u64 v[30:31], v[30:31], 1, s[4:5]
	v_lshlrev_b32_e32 v32, 1, v36
	v_mov_b32_e32 v33, 0
	v_lshl_add_u64 v[30:31], v[30:31], 0, v[32:33]
	global_load_dwordx4 v[30:33], v[30:31], off offset:128
.LBB357_44:
	s_or_b64 exec, exec, s[2:3]
	s_branch .LBB357_48
.LBB357_45:
                                        ; implicit-def: $vgpr21
                                        ; implicit-def: $vgpr25
                                        ; implicit-def: $vgpr29
                                        ; implicit-def: $vgpr33
	v_lshrrev_b32_e32 v48, 2, v60
	s_branch .LBB357_49
.LBB357_46:
                                        ; implicit-def: $vgpr21
                                        ; implicit-def: $vgpr25
                                        ; implicit-def: $vgpr29
                                        ; implicit-def: $vgpr33
	s_cbranch_execz .LBB357_48
; %bb.47:
	s_waitcnt vmcnt(0)
	v_mad_u64_u32 v[18:19], s[0:1], v38, s39, v[36:37]
	v_lshlrev_b32_e32 v38, 1, v18
	s_lshl_b32 s2, s39, 7
	s_and_b32 s1, s5, 0xffff
	s_mov_b32 s3, 0x20000
	s_mov_b32 s0, s4
	v_add_lshl_u32 v39, v18, s39, 1
	s_movk_i32 s6, 0x80
	buffer_load_dwordx4 v[18:21], v38, s[0:3], 0 offen
	buffer_load_dwordx4 v[26:29], v38, s[0:3], s6 offen
	;; [unrolled: 1-line block ×4, first 2 shown]
.LBB357_48:
	v_lshrrev_b32_e32 v48, 2, v60
	s_cbranch_execnz .LBB357_61
.LBB357_49:
	s_and_b64 vcc, exec, s[14:15]
	s_cbranch_vccz .LBB357_59
; %bb.50:
	s_waitcnt vmcnt(0)
	v_lshlrev_b32_e32 v23, 1, v35
	v_cmp_gt_i32_e32 vcc, s56, v23
	v_mov_b32_e32 v22, 0
	v_lshlrev_b32_e32 v30, 9, v35
	v_mov_b32_e32 v18, 0
	v_mov_b32_e32 v19, 0
	;; [unrolled: 1-line block ×4, first 2 shown]
	s_and_saveexec_b64 s[0:1], vcc
	s_cbranch_execz .LBB357_52
; %bb.51:
	v_mov_b32_e32 v31, 0
	v_lshl_add_u64 v[18:19], s[4:5], 0, v[30:31]
	v_lshlrev_b32_e32 v20, 1, v36
	v_mov_b32_e32 v21, v31
	v_lshl_add_u64 v[18:19], v[18:19], 0, v[20:21]
	global_load_dwordx4 v[18:21], v[18:19], off
.LBB357_52:
	s_or_b64 exec, exec, s[0:1]
	v_or_b32_e32 v23, 1, v23
	v_cmp_gt_i32_e64 s[0:1], s56, v23
	v_lshlrev_b32_e32 v38, 8, v23
	v_mov_b32_e32 v23, 0
	v_mov_b32_e32 v24, 0
	;; [unrolled: 1-line block ×3, first 2 shown]
	s_and_saveexec_b64 s[2:3], s[0:1]
	s_cbranch_execz .LBB357_54
; %bb.53:
	v_mov_b32_e32 v39, 0
	v_lshl_add_u64 v[22:23], s[4:5], 0, v[38:39]
	v_lshlrev_b32_e32 v24, 1, v36
	v_mov_b32_e32 v25, v39
	v_lshl_add_u64 v[22:23], v[22:23], 0, v[24:25]
	global_load_dwordx4 v[22:25], v[22:23], off
.LBB357_54:
	s_or_b64 exec, exec, s[2:3]
	v_mov_b32_e32 v33, 0
	v_mov_b32_e32 v26, 0
	v_mov_b32_e32 v27, 0
	v_mov_b32_e32 v28, 0
	v_mov_b32_e32 v29, 0
	s_and_saveexec_b64 s[2:3], vcc
	s_cbranch_execz .LBB357_56
; %bb.55:
	v_mov_b32_e32 v31, 0
	v_lshl_add_u64 v[26:27], s[4:5], 0, v[30:31]
	v_lshlrev_b32_e32 v30, 1, v36
	v_lshl_add_u64 v[26:27], v[26:27], 0, v[30:31]
	global_load_dwordx4 v[26:29], v[26:27], off offset:128
.LBB357_56:
	s_or_b64 exec, exec, s[2:3]
	v_mov_b32_e32 v32, 0
	v_mov_b32_e32 v31, 0
	;; [unrolled: 1-line block ×3, first 2 shown]
	s_and_saveexec_b64 s[2:3], s[0:1]
	s_cbranch_execz .LBB357_58
; %bb.57:
	v_mov_b32_e32 v39, 0
	v_lshl_add_u64 v[30:31], s[4:5], 0, v[38:39]
	v_lshlrev_b32_e32 v38, 1, v36
	v_lshl_add_u64 v[30:31], v[30:31], 0, v[38:39]
	global_load_dwordx4 v[30:33], v[30:31], off offset:128
.LBB357_58:
	s_or_b64 exec, exec, s[2:3]
	s_branch .LBB357_61
.LBB357_59:
                                        ; implicit-def: $vgpr21
                                        ; implicit-def: $vgpr25
                                        ; implicit-def: $vgpr29
                                        ; implicit-def: $vgpr33
	s_cbranch_execz .LBB357_61
; %bb.60:
	s_waitcnt vmcnt(0)
	v_lshlrev_b32_e32 v18, 1, v36
	v_lshl_or_b32 v36, v35, 9, v18
	s_and_b32 s5, s5, 0xffff
	s_mov_b32 s7, 0x20000
	s_movk_i32 s6, 0x4000
	s_movk_i32 s0, 0x80
	buffer_load_dwordx4 v[18:21], v36, s[4:7], 0 offen
	buffer_load_dwordx4 v[22:25], v36, s[4:7], 0 offen offset:256
	buffer_load_dwordx4 v[26:29], v36, s[4:7], s0 offen
	buffer_load_dwordx4 v[30:33], v36, s[4:7], s0 offen offset:256
.LBB357_61:
	ds_read_b64 v[38:39], v44 offset:32768
	v_add_u32_e32 v36, 0xb000, v42
	ds_read2_b64 v[50:53], v36 offset1:16
	ds_read_b64 v[54:55], v45 offset:32768
	ds_read_b64 v[56:57], v46 offset:32768
	;; [unrolled: 1-line block ×3, first 2 shown]
	v_and_b32_e32 v36, 6, v0
	v_xor_b32_e32 v35, v35, v36
	v_lshlrev_b32_e32 v35, 2, v35
	v_and_b32_e32 v49, 1, v0
	v_cmp_eq_u32_e32 vcc, 0, v49
	s_mov_b32 s0, 0x1000504
	s_waitcnt lgkmcnt(3)
	v_mfma_f32_16x16x16_bf16 a[0:3], v[38:39], v[50:51], a[0:3]
	s_mov_b32 s1, 0x3020706
	v_mfma_f32_16x16x16_bf16 a[4:7], v[38:39], v[52:53], a[4:7]
	ds_read2st64_b64 v[44:47], v42 offset0:90 offset1:92
	ds_read2st64_b64 v[50:53], v43 offset0:90 offset1:92
	s_waitcnt lgkmcnt(1)
	v_mfma_f32_16x16x16_bf16 a[0:3], v[54:55], v[44:45], a[0:3]
	ds_read_b64 v[38:39], v42 offset:48128
	ds_read_b64 v[44:45], v43 offset:48128
	s_waitcnt lgkmcnt(2)
	v_mfma_f32_16x16x16_bf16 a[4:7], v[54:55], v[50:51], a[4:7]
	v_mfma_f32_16x16x16_bf16 a[0:3], v[56:57], v[46:47], a[0:3]
	v_xor_b32_e32 v46, 0x440, v35
	v_cndmask_b32_e32 v35, v46, v35, vcc
	v_lshl_or_b32 v35, v36, 10, v35
	v_mfma_f32_16x16x16_bf16 a[8:11], v[56:57], v[52:53], a[4:7]
	s_waitcnt vmcnt(0)
	v_perm_b32 v36, v18, v22, s0
	v_perm_b32 v18, v18, v22, s1
	;; [unrolled: 1-line block ×3, first 2 shown]
	s_waitcnt lgkmcnt(1)
	v_mfma_f32_16x16x16_bf16 a[4:7], v[60:61], v[38:39], a[0:3]
	v_perm_b32 v38, v26, v30, s0
	ds_write2st64_b32 v35, v36, v38 offset0:32 offset1:64
	v_xor_b32_e32 v36, 8, v35
	v_add_u32_e32 v26, 0x80, v36
	ds_write2st64_b32 v26, v18, v22 offset0:32 offset1:64
	v_xor_b32_e32 v18, 16, v35
	v_perm_b32 v22, v19, v23, s0
	v_perm_b32 v26, v27, v31, s0
	ds_write2st64_b32 v18, v22, v26 offset0:33 offset1:65
	v_xor_b32_e32 v18, 24, v35
	v_perm_b32 v19, v19, v23, s1
	v_perm_b32 v22, v27, v31, s1
	v_add_u32_e32 v18, 0x80, v18
	ds_write2st64_b32 v18, v19, v22 offset0:33 offset1:65
	v_xor_b32_e32 v18, 32, v35
	v_perm_b32 v19, v20, v24, s0
	v_perm_b32 v22, v28, v32, s0
	ds_write2st64_b32 v18, v19, v22 offset0:34 offset1:66
	v_xor_b32_e32 v18, 40, v35
	s_waitcnt lgkmcnt(5)
	v_mfma_f32_16x16x16_bf16 a[0:3], v[60:61], v[44:45], a[8:11]
	v_perm_b32 v19, v20, v24, s1
	v_perm_b32 v20, v28, v32, s1
	v_add_u32_e32 v18, 0x80, v18
	ds_write2st64_b32 v18, v19, v20 offset0:34 offset1:66
	v_xor_b32_e32 v18, 48, v35
	v_perm_b32 v19, v21, v25, s0
	v_perm_b32 v20, v29, v33, s0
	ds_write2st64_b32 v18, v19, v20 offset0:35 offset1:67
	v_xor_b32_e32 v18, 56, v35
	v_and_or_b32 v45, v48, 12, v59
	v_perm_b32 v19, v21, v25, s1
	v_perm_b32 v20, v29, v33, s1
	v_add_u32_e32 v18, 0x80, v18
	v_cmp_gt_i32_e32 vcc, s56, v45
	v_mov_b32_e32 v36, 0
	v_mov_b32_e32 v39, 0
	ds_write2st64_b32 v18, v19, v20 offset0:35 offset1:67
	s_and_saveexec_b64 s[0:1], vcc
	s_cbranch_execz .LBB357_63
; %bb.62:
	v_add_u32_e32 v18, s8, v45
	v_ashrrev_i32_e32 v19, 31, v18
	v_mul_lo_u32 v20, v19, s22
	v_mul_lo_u32 v21, v18, s23
	v_mad_u64_u32 v[18:19], s[2:3], v18, s22, 0
	v_add3_u32 v19, v19, v21, v20
	v_lshl_add_u64 v[18:19], v[18:19], 2, s[12:13]
	global_load_dword v18, v[18:19], off
	s_waitcnt vmcnt(0)
	v_sub_f32_e32 v18, s16, v18
	v_mul_f32_e32 v18, 0x3fb8aa3b, v18
	v_exp_f32_e32 v39, v18
.LBB357_63:
	s_or_b64 exec, exec, s[0:1]
	v_or_b32_e32 v29, 1, v45
	v_cmp_gt_i32_e64 s[0:1], s56, v29
	s_and_saveexec_b64 s[2:3], s[0:1]
	s_cbranch_execz .LBB357_65
; %bb.64:
	v_add_u32_e32 v18, s8, v29
	v_ashrrev_i32_e32 v19, 31, v18
	v_mul_lo_u32 v20, v19, s22
	v_mul_lo_u32 v21, v18, s23
	v_mad_u64_u32 v[18:19], s[4:5], v18, s22, 0
	v_add3_u32 v19, v19, v21, v20
	v_lshl_add_u64 v[18:19], v[18:19], 2, s[12:13]
	global_load_dword v18, v[18:19], off
	s_waitcnt vmcnt(0)
	v_sub_f32_e32 v18, s16, v18
	v_mul_f32_e32 v18, 0x3fb8aa3b, v18
	v_exp_f32_e32 v36, v18
.LBB357_65:
	s_or_b64 exec, exec, s[2:3]
	v_or_b32_e32 v28, 2, v45
	v_cmp_gt_i32_e64 s[2:3], s56, v28
	v_mov_b32_e32 v38, 0
	v_mov_b32_e32 v44, 0
	s_and_saveexec_b64 s[4:5], s[2:3]
	s_cbranch_execz .LBB357_67
; %bb.66:
	v_add_u32_e32 v18, s8, v28
	v_ashrrev_i32_e32 v19, 31, v18
	v_mul_lo_u32 v20, v19, s22
	v_mul_lo_u32 v21, v18, s23
	v_mad_u64_u32 v[18:19], s[6:7], v18, s22, 0
	v_add3_u32 v19, v19, v21, v20
	v_lshl_add_u64 v[18:19], v[18:19], 2, s[12:13]
	global_load_dword v18, v[18:19], off
	s_waitcnt vmcnt(0)
	v_sub_f32_e32 v18, s16, v18
	v_mul_f32_e32 v18, 0x3fb8aa3b, v18
	v_exp_f32_e32 v44, v18
.LBB357_67:
	s_or_b64 exec, exec, s[4:5]
	v_or_b32_e32 v46, 3, v45
	v_cmp_gt_i32_e64 s[4:5], s56, v46
	s_and_saveexec_b64 s[6:7], s[4:5]
	s_cbranch_execz .LBB357_69
; %bb.68:
	v_add_u32_e32 v18, s8, v46
	v_ashrrev_i32_e32 v19, 31, v18
	v_mul_lo_u32 v20, v19, s22
	v_mul_lo_u32 v21, v18, s23
	v_mad_u64_u32 v[18:19], s[14:15], v18, s22, 0
	v_add3_u32 v19, v19, v21, v20
	v_lshl_add_u64 v[18:19], v[18:19], 2, s[12:13]
	global_load_dword v18, v[18:19], off
	s_waitcnt vmcnt(0)
	v_sub_f32_e32 v18, s16, v18
	v_mul_f32_e32 v18, 0x3fb8aa3b, v18
	v_exp_f32_e32 v38, v18
.LBB357_69:
	s_or_b64 exec, exec, s[6:7]
	s_add_u32 s6, s28, s10
	s_addc_u32 s7, s29, s11
	s_add_u32 s10, s18, s10
	v_ashrrev_i32_e32 v35, 31, v34
	v_accvgpr_read_b32 v21, a7
	s_addc_u32 s11, s19, s11
	v_lshlrev_b64 v[22:23], 1, v[34:35]
	v_accvgpr_read_b32 v20, a6
	v_accvgpr_read_b32 v19, a5
	;; [unrolled: 1-line block ×3, first 2 shown]
	v_lshl_add_u64 v[24:25], s[6:7], 0, v[22:23]
	v_lshl_add_u64 v[22:23], s[10:11], 0, v[22:23]
	v_mov_b32_e32 v31, 0
	v_lshlrev_b32_e32 v26, 8, v45
	v_mov_b32_e32 v27, 0
	s_and_saveexec_b64 s[6:7], vcc
	s_cbranch_execz .LBB357_71
; %bb.70:
	v_mov_b32_e32 v27, 0
	v_lshl_add_u64 v[32:33], v[24:25], 0, v[26:27]
	global_load_ushort v30, v[32:33], off
	v_lshl_add_u64 v[32:33], v[22:23], 0, v[26:27]
	s_waitcnt vmcnt(0)
	v_lshlrev_b32_e32 v27, 16, v30
	v_sub_f32_e32 v18, v27, v18
	global_store_short_d16_hi v[32:33], v18, off
	v_mul_f32_e32 v18, v39, v18
	v_lshrrev_b32_e32 v27, 16, v18
.LBB357_71:
	s_or_b64 exec, exec, s[6:7]
	v_lshlrev_b32_e32 v30, 8, v29
	s_and_saveexec_b64 s[6:7], s[0:1]
	s_cbranch_execz .LBB357_73
; %bb.72:
	v_mov_b32_e32 v31, 0
	v_lshl_add_u64 v[32:33], v[24:25], 0, v[30:31]
	global_load_ushort v18, v[32:33], off
	v_lshl_add_u64 v[32:33], v[22:23], 0, v[30:31]
	s_waitcnt vmcnt(0)
	v_lshlrev_b32_e32 v18, 16, v18
	v_sub_f32_e32 v18, v18, v19
	global_store_short_d16_hi v[32:33], v18, off
	v_mul_f32_e32 v18, v36, v18
	v_lshrrev_b32_e32 v31, 16, v18
.LBB357_73:
	s_or_b64 exec, exec, s[6:7]
	v_mov_b32_e32 v29, 0
	v_lshlrev_b32_e32 v32, 8, v28
	v_mov_b32_e32 v33, 0
	s_and_saveexec_b64 s[6:7], s[2:3]
	s_cbranch_execz .LBB357_75
; %bb.74:
	v_mov_b32_e32 v33, 0
	v_lshl_add_u64 v[18:19], v[24:25], 0, v[32:33]
	global_load_ushort v28, v[18:19], off
	v_lshl_add_u64 v[18:19], v[22:23], 0, v[32:33]
	s_waitcnt vmcnt(0)
	v_lshlrev_b32_e32 v28, 16, v28
	v_sub_f32_e32 v20, v28, v20
	global_store_short_d16_hi v[18:19], v20, off
	v_mul_f32_e32 v18, v44, v20
	v_lshrrev_b32_e32 v33, 16, v18
.LBB357_75:
	s_or_b64 exec, exec, s[6:7]
	v_lshlrev_b32_e32 v28, 8, v46
	s_and_saveexec_b64 s[6:7], s[4:5]
	s_cbranch_execz .LBB357_77
; %bb.76:
	v_mov_b32_e32 v29, 0
	v_lshl_add_u64 v[18:19], v[24:25], 0, v[28:29]
	global_load_ushort v20, v[18:19], off
	v_lshl_add_u64 v[18:19], v[22:23], 0, v[28:29]
	s_waitcnt vmcnt(0)
	v_lshlrev_b32_e32 v20, 16, v20
	v_sub_f32_e32 v20, v20, v21
	global_store_short_d16_hi v[18:19], v20, off
	v_mul_f32_e32 v18, v38, v20
	v_lshrrev_b32_e32 v29, 16, v18
.LBB357_77:
	s_or_b64 exec, exec, s[6:7]
	v_lshlrev_b32_e32 v35, 5, v45
	s_mov_b32 s6, 0x5040100
	v_perm_b32 v46, v31, v27, s6
	v_or_b32_e32 v27, v35, v40
	v_accvgpr_read_b32 v21, a3
	v_perm_b32 v47, v29, v33, s6
	v_lshlrev_b32_e32 v27, 1, v27
	v_accvgpr_read_b32 v20, a2
	v_accvgpr_read_b32 v19, a1
	;; [unrolled: 1-line block ×3, first 2 shown]
	ds_write_b64 v27, v[46:47] offset:45056
	v_mov_b32_e32 v31, 0
	v_mov_b32_e32 v27, 0
	s_and_saveexec_b64 s[6:7], vcc
	s_cbranch_execz .LBB357_79
; %bb.78:
	v_mov_b32_e32 v27, 0
	v_lshl_add_u64 v[46:47], v[24:25], 0, v[26:27]
	global_load_ushort v29, v[46:47], off offset:32
	v_lshl_add_u64 v[26:27], v[22:23], 0, v[26:27]
	s_waitcnt vmcnt(0)
	v_lshlrev_b32_e32 v29, 16, v29
	v_sub_f32_e32 v18, v29, v18
	global_store_short_d16_hi v[26:27], v18, off offset:32
	v_mul_f32_e32 v18, v39, v18
	v_lshrrev_b32_e32 v27, 16, v18
.LBB357_79:
	s_or_b64 exec, exec, s[6:7]
	s_and_saveexec_b64 s[6:7], s[0:1]
	s_cbranch_execz .LBB357_81
; %bb.80:
	v_mov_b32_e32 v31, 0
	v_lshl_add_u64 v[46:47], v[24:25], 0, v[30:31]
	global_load_ushort v18, v[46:47], off offset:32
	v_lshl_add_u64 v[30:31], v[22:23], 0, v[30:31]
	s_waitcnt vmcnt(0)
	v_lshlrev_b32_e32 v18, 16, v18
	v_sub_f32_e32 v18, v18, v19
	global_store_short_d16_hi v[30:31], v18, off offset:32
	v_mul_f32_e32 v18, v36, v18
	v_lshrrev_b32_e32 v31, 16, v18
.LBB357_81:
	s_or_b64 exec, exec, s[6:7]
	v_mov_b32_e32 v26, 0
	v_mov_b32_e32 v30, 0
	s_and_saveexec_b64 s[0:1], s[2:3]
	s_cbranch_execz .LBB357_83
; %bb.82:
	v_mov_b32_e32 v33, 0
	v_lshl_add_u64 v[18:19], v[24:25], 0, v[32:33]
	global_load_ushort v29, v[18:19], off offset:32
	v_lshl_add_u64 v[18:19], v[22:23], 0, v[32:33]
	s_waitcnt vmcnt(0)
	v_lshlrev_b32_e32 v29, 16, v29
	v_sub_f32_e32 v20, v29, v20
	global_store_short_d16_hi v[18:19], v20, off offset:32
	v_mul_f32_e32 v18, v44, v20
	v_lshrrev_b32_e32 v30, 16, v18
.LBB357_83:
	s_or_b64 exec, exec, s[0:1]
	v_or_b32_e32 v19, 0xb000, v42
	v_or_b32_e32 v18, 0xb000, v43
	s_and_saveexec_b64 s[0:1], s[4:5]
	s_cbranch_execz .LBB357_85
; %bb.84:
	v_mov_b32_e32 v29, 0
	v_lshl_add_u64 v[24:25], v[24:25], 0, v[28:29]
	global_load_ushort v20, v[24:25], off offset:32
	v_lshl_add_u64 v[22:23], v[22:23], 0, v[28:29]
	s_waitcnt vmcnt(0)
	v_lshlrev_b32_e32 v20, 16, v20
	v_sub_f32_e32 v20, v20, v21
	global_store_short_d16_hi v[22:23], v20, off offset:32
	v_mul_f32_e32 v20, v38, v20
	v_lshrrev_b32_e32 v26, 16, v20
.LBB357_85:
	s_or_b64 exec, exec, s[0:1]
	s_mov_b32 s0, 0x5040100
	v_or_b32_e32 v22, v35, v37
	v_perm_b32 v21, v26, v30, s0
	v_perm_b32 v20, v31, v27, s0
	v_lshlrev_b32_e32 v22, 1, v22
	s_movk_i32 s0, 0x100
	ds_write_b64 v22, v[20:21] offset:45056
	v_and_b32_e32 v20, 7, v0
	v_and_b32_e32 v21, 8, v0
	v_cmp_gt_u32_e32 vcc, s0, v0
	v_lshrrev_b32_e32 v0, 1, v0
	v_lshlrev_b32_e32 v35, 3, v20
	v_lshlrev_b32_e32 v36, 7, v20
	v_mov_b32_e32 v20, 0x4000
	v_mov_b32_e32 v22, 0x2000
	v_lshlrev_b32_e32 v38, 3, v58
	v_and_b32_e32 v0, 24, v0
	v_cndmask_b32_e32 v37, v20, v22, vcc
	v_xor_b32_e32 v20, v38, v0
	v_or_b32_e32 v26, 32, v0
	v_or_b32_e32 v22, 0x440, v20
	v_cmp_eq_u32_e32 vcc, 0, v21
	v_xor_b32_e32 v26, v38, v26
	v_or_b32_e32 v27, 0x440, v26
	v_cndmask_b32_e32 v20, v22, v20, vcc
	v_or_b32_e32 v20, v20, v41
	v_cndmask_b32_e32 v26, v27, v26, vcc
	v_xad_u32 v40, v20, v35, v36
	v_or_b32_e32 v26, v26, v41
	v_add_u32_e32 v20, v37, v40
	v_xad_u32 v42, v26, v35, v36
	s_waitcnt lgkmcnt(0)
	s_barrier
	ds_read_b64 v[24:25], v20
	ds_read2_b64 v[20:23], v19 offset1:16
	v_add_u32_e32 v26, v37, v42
	ds_read_b64 v[32:33], v26
	s_waitcnt lgkmcnt(1)
	v_mfma_f32_16x16x16_bf16 a[0:3], v[24:25], v[20:21], 0
	ds_read2st64_b64 v[28:31], v18 offset0:2 offset1:4
	v_mfma_f32_16x16x16_bf16 a[4:7], v[24:25], v[22:23], 0
	ds_read2st64_b64 v[24:27], v19 offset0:2 offset1:4
	s_waitcnt lgkmcnt(0)
	v_mfma_f32_16x16x16_bf16 a[0:3], v[32:33], v[24:25], a[0:3]
	v_mfma_f32_16x16x16_bf16 a[4:7], v[32:33], v[28:29], a[4:7]
	v_or_b32_e32 v32, 64, v0
	v_xor_b32_e32 v32, v38, v32
	v_xor_b32_e32 v33, 0x440, v32
	v_cndmask_b32_e32 v32, v33, v32, vcc
	v_or_b32_e32 v32, v32, v41
	v_or_b32_e32 v0, 0x60, v0
	v_xad_u32 v43, v32, v35, v36
	v_xor_b32_e32 v0, v38, v0
	v_add_u32_e32 v32, v37, v43
	v_xor_b32_e32 v38, 0x440, v0
	ds_read_b64 v[32:33], v32
	v_cndmask_b32_e32 v0, v38, v0, vcc
	v_or_b32_e32 v0, v0, v41
	v_xad_u32 v0, v0, v35, v36
	v_add_u32_e32 v35, v37, v0
	ds_read_b64 v[36:37], v35
	s_waitcnt lgkmcnt(1)
	v_mfma_f32_16x16x16_bf16 a[0:3], v[32:33], v[26:27], a[0:3]
	v_mov_b32_e32 v35, 0x3fb8aa3b
	v_mfma_f32_16x16x16_bf16 a[4:7], v[32:33], v[30:31], a[4:7]
	ds_read_b64 v[32:33], v19 offset:3072
	ds_read_b64 v[38:39], v18 offset:3072
	;; [unrolled: 1-line block ×3, first 2 shown]
	s_waitcnt lgkmcnt(2)
	v_mfma_f32_16x16x16_bf16 a[0:3], v[36:37], v[32:33], a[0:3]
	s_waitcnt lgkmcnt(1)
	v_mfma_f32_16x16x16_bf16 a[4:7], v[36:37], v[38:39], a[4:7]
	ds_read_b64 v[36:37], v42 offset:16384
	s_waitcnt lgkmcnt(1)
	v_mfma_f32_16x16x16_bf16 a[8:11], v[18:19], v[20:21], 0
	v_mul_f32_e32 v20, s16, v35
	v_exp_f32_e32 v35, v20
	v_accvgpr_read_b32 v21, a3
	v_mfma_f32_16x16x16_bf16 a[12:15], v[18:19], v[22:23], 0
	ds_read_b64 v[22:23], v43 offset:16384
	v_accvgpr_read_b32 v18, a0
	v_fma_f32 v18, v2, v35, v18
	v_accvgpr_read_b32 v2, a1
	v_fma_f32 v19, v3, v35, v2
	;; [unrolled: 2-line block ×3, first 2 shown]
	ds_read_b64 v[2:3], v0 offset:16384
	s_waitcnt lgkmcnt(2)
	v_mfma_f32_16x16x16_bf16 a[8:11], v[36:37], v[24:25], a[8:11]
	v_accvgpr_read_b32 v0, a4
	v_fmac_f32_e32 v21, v5, v35
	v_mfma_f32_16x16x16_bf16 a[12:15], v[36:37], v[28:29], a[12:15]
	v_accvgpr_read_b32 v29, a7
	v_fmac_f32_e32 v29, v13, v35
	s_waitcnt lgkmcnt(1)
	v_mfma_f32_16x16x16_bf16 a[0:3], v[22:23], v[26:27], a[8:11]
	v_fma_f32 v26, v10, v35, v0
	v_accvgpr_read_b32 v0, a5
	v_fma_f32 v27, v11, v35, v0
	v_mfma_f32_16x16x16_bf16 a[8:11], v[22:23], v[30:31], a[12:15]
	v_accvgpr_read_b32 v0, a6
	v_fma_f32 v28, v12, v35, v0
	s_waitcnt lgkmcnt(0)
	v_mfma_f32_16x16x16_bf16 a[0:3], v[2:3], v[32:33], a[0:3]
	v_mfma_f32_16x16x16_bf16 a[4:7], v[2:3], v[38:39], a[8:11]
	s_nop 5
	v_accvgpr_read_b32 v0, a0
	v_fma_f32 v22, v6, v35, v0
	v_accvgpr_read_b32 v0, a1
	v_fma_f32 v23, v7, v35, v0
	;; [unrolled: 2-line block ×4, first 2 shown]
	v_accvgpr_read_b32 v0, a5
	v_accvgpr_read_b32 v25, a3
	v_fma_f32 v31, v15, v35, v0
	v_accvgpr_read_b32 v0, a6
	v_accvgpr_read_b32 v33, a7
	v_fmac_f32_e32 v25, v9, v35
	v_fma_f32 v32, v16, v35, v0
	v_fmac_f32_e32 v33, v17, v35
	v_mov_b64_e32 v[2:3], v[18:19]
	v_mov_b64_e32 v[4:5], v[20:21]
	v_mov_b64_e32 v[6:7], v[22:23]
	v_mov_b64_e32 v[8:9], v[24:25]
	v_mov_b64_e32 v[10:11], v[26:27]
	v_mov_b64_e32 v[12:13], v[28:29]
	v_mov_b64_e32 v[14:15], v[30:31]
	v_mov_b64_e32 v[16:17], v[32:33]
	v_mov_b32_e32 v18, v34
.LBB357_86:
	s_mul_i32 s0, s33, s35
	s_mul_hi_u32 s1, s33, s34
	s_add_i32 s0, s1, s0
	s_mul_i32 s1, s50, s34
	s_add_i32 s1, s0, s1
	s_mul_i32 s0, s33, s34
	s_add_u32 s0, s0, s51
	s_addc_u32 s1, s1, s9
	s_lshl_b64 s[0:1], s[0:1], 15
	s_add_u32 s0, s20, s0
	v_lshlrev_b32_e32 v18, 7, v18
	s_addc_u32 s1, s21, s1
	v_ashrrev_i32_e32 v19, 31, v18
	v_lshl_add_u64 v[20:21], v[18:19], 1, s[0:1]
	v_lshlrev_b32_e32 v0, 1, v1
	v_mov_b32_e32 v1, 0
	s_mov_b32 s2, 0x7060302
	v_lshl_add_u64 v[20:21], v[20:21], 0, v[0:1]
	v_perm_b32 v5, v5, v4, s2
	v_perm_b32 v4, v3, v2, s2
	;; [unrolled: 1-line block ×4, first 2 shown]
	global_store_dwordx2 v[20:21], v[2:3], off offset:128
	v_or_b32_e32 v2, 0x800, v18
	v_ashrrev_i32_e32 v3, 31, v2
	v_lshl_add_u64 v[2:3], v[2:3], 1, s[0:1]
	v_lshl_add_u64 v[0:1], v[2:3], 0, v[0:1]
	v_perm_b32 v3, v13, v12, s2
	v_perm_b32 v2, v11, v10, s2
	global_store_dwordx2 v[0:1], v[2:3], off
	v_perm_b32 v3, v17, v16, s2
	v_perm_b32 v2, v15, v14, s2
	global_store_dwordx2 v[20:21], v[4:5], off
	global_store_dwordx2 v[0:1], v[2:3], off offset:128
	s_endpgm
	.section	.rodata,"a",@progbits
	.p2align	6, 0x0
	.amdhsa_kernel _ZN12_GLOBAL__N_139chunk_gated_delta_rule_fwd_h_hip_kernelILi32ELb0ELb1ELb1ELb1ELb0ELb0ELb1ELb1EEEvPK12hip_bfloat16S3_S3_PKfS5_PKvPS1_S8_PvPKiSB_iiiiilll
		.amdhsa_group_segment_fixed_size 49152
		.amdhsa_private_segment_fixed_size 0
		.amdhsa_kernarg_size 136
		.amdhsa_user_sgpr_count 2
		.amdhsa_user_sgpr_dispatch_ptr 0
		.amdhsa_user_sgpr_queue_ptr 0
		.amdhsa_user_sgpr_kernarg_segment_ptr 1
		.amdhsa_user_sgpr_dispatch_id 0
		.amdhsa_user_sgpr_kernarg_preload_length 0
		.amdhsa_user_sgpr_kernarg_preload_offset 0
		.amdhsa_user_sgpr_private_segment_size 0
		.amdhsa_uses_dynamic_stack 0
		.amdhsa_enable_private_segment 0
		.amdhsa_system_sgpr_workgroup_id_x 1
		.amdhsa_system_sgpr_workgroup_id_y 1
		.amdhsa_system_sgpr_workgroup_id_z 0
		.amdhsa_system_sgpr_workgroup_info 0
		.amdhsa_system_vgpr_workitem_id 0
		.amdhsa_next_free_vgpr 152
		.amdhsa_next_free_sgpr 68
		.amdhsa_accum_offset 136
		.amdhsa_reserve_vcc 1
		.amdhsa_float_round_mode_32 0
		.amdhsa_float_round_mode_16_64 0
		.amdhsa_float_denorm_mode_32 3
		.amdhsa_float_denorm_mode_16_64 3
		.amdhsa_dx10_clamp 1
		.amdhsa_ieee_mode 1
		.amdhsa_fp16_overflow 0
		.amdhsa_tg_split 0
		.amdhsa_exception_fp_ieee_invalid_op 0
		.amdhsa_exception_fp_denorm_src 0
		.amdhsa_exception_fp_ieee_div_zero 0
		.amdhsa_exception_fp_ieee_overflow 0
		.amdhsa_exception_fp_ieee_underflow 0
		.amdhsa_exception_fp_ieee_inexact 0
		.amdhsa_exception_int_div_zero 0
	.end_amdhsa_kernel
	.section	.text._ZN12_GLOBAL__N_139chunk_gated_delta_rule_fwd_h_hip_kernelILi32ELb0ELb1ELb1ELb1ELb0ELb0ELb1ELb1EEEvPK12hip_bfloat16S3_S3_PKfS5_PKvPS1_S8_PvPKiSB_iiiiilll,"axG",@progbits,_ZN12_GLOBAL__N_139chunk_gated_delta_rule_fwd_h_hip_kernelILi32ELb0ELb1ELb1ELb1ELb0ELb0ELb1ELb1EEEvPK12hip_bfloat16S3_S3_PKfS5_PKvPS1_S8_PvPKiSB_iiiiilll,comdat
.Lfunc_end357:
	.size	_ZN12_GLOBAL__N_139chunk_gated_delta_rule_fwd_h_hip_kernelILi32ELb0ELb1ELb1ELb1ELb0ELb0ELb1ELb1EEEvPK12hip_bfloat16S3_S3_PKfS5_PKvPS1_S8_PvPKiSB_iiiiilll, .Lfunc_end357-_ZN12_GLOBAL__N_139chunk_gated_delta_rule_fwd_h_hip_kernelILi32ELb0ELb1ELb1ELb1ELb0ELb0ELb1ELb1EEEvPK12hip_bfloat16S3_S3_PKfS5_PKvPS1_S8_PvPKiSB_iiiiilll
                                        ; -- End function
	.section	.AMDGPU.csdata,"",@progbits
; Kernel info:
; codeLenInByte = 9648
; NumSgprs: 74
; NumVgprs: 134
; NumAgprs: 16
; TotalNumVgprs: 152
; ScratchSize: 0
; MemoryBound: 0
; FloatMode: 240
; IeeeMode: 1
; LDSByteSize: 49152 bytes/workgroup (compile time only)
; SGPRBlocks: 9
; VGPRBlocks: 18
; NumSGPRsForWavesPerEU: 74
; NumVGPRsForWavesPerEU: 152
; AccumOffset: 136
; Occupancy: 1
; WaveLimiterHint : 1
; COMPUTE_PGM_RSRC2:SCRATCH_EN: 0
; COMPUTE_PGM_RSRC2:USER_SGPR: 2
; COMPUTE_PGM_RSRC2:TRAP_HANDLER: 0
; COMPUTE_PGM_RSRC2:TGID_X_EN: 1
; COMPUTE_PGM_RSRC2:TGID_Y_EN: 1
; COMPUTE_PGM_RSRC2:TGID_Z_EN: 0
; COMPUTE_PGM_RSRC2:TIDIG_COMP_CNT: 0
; COMPUTE_PGM_RSRC3_GFX90A:ACCUM_OFFSET: 33
; COMPUTE_PGM_RSRC3_GFX90A:TG_SPLIT: 0
	.section	.text._ZN12_GLOBAL__N_139chunk_gated_delta_rule_fwd_h_hip_kernelILi32ELb0ELb1ELb0ELb1ELb0ELb0ELb1ELb1EEEvPK12hip_bfloat16S3_S3_PKfS5_PKvPS1_S8_PvPKiSB_iiiiilll,"axG",@progbits,_ZN12_GLOBAL__N_139chunk_gated_delta_rule_fwd_h_hip_kernelILi32ELb0ELb1ELb0ELb1ELb0ELb0ELb1ELb1EEEvPK12hip_bfloat16S3_S3_PKfS5_PKvPS1_S8_PvPKiSB_iiiiilll,comdat
	.globl	_ZN12_GLOBAL__N_139chunk_gated_delta_rule_fwd_h_hip_kernelILi32ELb0ELb1ELb0ELb1ELb0ELb0ELb1ELb1EEEvPK12hip_bfloat16S3_S3_PKfS5_PKvPS1_S8_PvPKiSB_iiiiilll ; -- Begin function _ZN12_GLOBAL__N_139chunk_gated_delta_rule_fwd_h_hip_kernelILi32ELb0ELb1ELb0ELb1ELb0ELb0ELb1ELb1EEEvPK12hip_bfloat16S3_S3_PKfS5_PKvPS1_S8_PvPKiSB_iiiiilll
	.p2align	8
	.type	_ZN12_GLOBAL__N_139chunk_gated_delta_rule_fwd_h_hip_kernelILi32ELb0ELb1ELb0ELb1ELb0ELb0ELb1ELb1EEEvPK12hip_bfloat16S3_S3_PKfS5_PKvPS1_S8_PvPKiSB_iiiiilll,@function
_ZN12_GLOBAL__N_139chunk_gated_delta_rule_fwd_h_hip_kernelILi32ELb0ELb1ELb0ELb1ELb0ELb0ELb1ELb1EEEvPK12hip_bfloat16S3_S3_PKfS5_PKvPS1_S8_PvPKiSB_iiiiilll: ; @_ZN12_GLOBAL__N_139chunk_gated_delta_rule_fwd_h_hip_kernelILi32ELb0ELb1ELb0ELb1ELb0ELb0ELb1ELb1EEEvPK12hip_bfloat16S3_S3_PKfS5_PKvPS1_S8_PvPKiSB_iiiiilll
; %bb.0:
	s_load_dwordx4 s[28:31], s[0:1], 0x5c
	s_load_dwordx2 s[4:5], s[0:1], 0x50
	s_abs_i32 s7, s3
	s_ashr_i32 s6, s3, 31
	s_load_dwordx8 s[16:23], s[0:1], 0x0
	s_load_dwordx4 s[24:27], s[0:1], 0x40
	s_load_dwordx2 s[42:43], s[0:1], 0x30
	s_waitcnt lgkmcnt(0)
	s_abs_i32 s10, s29
	v_cvt_f32_u32_e32 v1, s10
	s_sub_i32 s8, 0, s10
	s_ashr_i32 s48, s29, 31
	s_xor_b32 s6, s6, s48
	v_rcp_iflag_f32_e32 v1, v1
	v_lshrrev_b32_e32 v56, 6, v0
	v_bfe_u32 v59, v0, 4, 2
	v_lshlrev_b32_e32 v57, 4, v56
	v_mul_f32_e32 v1, 0x4f7ffffe, v1
	v_cvt_u32_f32_e32 v1, v1
	v_lshlrev_b32_e32 v18, 2, v59
	v_and_b32_e32 v58, 63, v0
	s_mov_b32 s33, s29
	v_readfirstlane_b32 s9, v1
	s_mul_i32 s8, s8, s9
	s_mul_hi_u32 s8, s9, s8
	s_add_i32 s9, s9, s8
	s_mul_hi_u32 s8, s7, s9
	s_mul_i32 s9, s8, s10
	s_sub_i32 s7, s7, s9
	s_add_i32 s9, s8, 1
	s_sub_i32 s11, s7, s10
	s_cmp_ge_u32 s7, s10
	s_cselect_b32 s8, s9, s8
	s_cselect_b32 s7, s11, s7
	s_add_i32 s9, s8, 1
	s_cmp_ge_u32 s7, s10
	s_cselect_b32 s7, s9, s8
	s_xor_b32 s7, s7, s6
	s_sub_i32 s34, s7, s6
	s_mul_i32 s6, s34, s29
	s_ashr_i32 s35, s34, 31
	s_sub_i32 s49, s3, s6
	s_lshl_b64 s[6:7], s[34:35], 2
	s_add_u32 s8, s26, s6
	s_addc_u32 s9, s27, s7
	s_add_u32 s4, s4, s6
	s_addc_u32 s5, s5, s7
	s_abs_i32 s3, s30
	v_cvt_f32_u32_e32 v1, s3
	s_load_dwordx2 s[40:41], s[8:9], 0x0
	s_load_dwordx2 s[26:27], s[0:1], 0x80
	s_load_dwordx4 s[36:39], s[0:1], 0x70
	s_sub_i32 s1, 0, s3
	v_rcp_iflag_f32_e32 v1, v1
	s_load_dword s55, s[4:5], 0x0
	s_waitcnt lgkmcnt(0)
	s_sub_i32 s46, s41, s40
	s_ashr_i32 s0, s46, 31
	v_mul_f32_e32 v1, 0x4f7ffffe, v1
	v_cvt_u32_f32_e32 v1, v1
	s_lshr_b32 s0, s0, 26
	s_add_i32 s0, s46, s0
	s_ashr_i32 s53, s0, 6
	v_readfirstlane_b32 s6, v1
	s_mul_i32 s1, s1, s6
	s_mul_hi_u32 s1, s6, s1
	s_add_i32 s6, s6, s1
	s_mul_hi_u32 s1, s10, s6
	s_mul_i32 s6, s1, s3
	s_ashr_i32 s0, s30, 31
	s_sub_i32 s6, s10, s6
	s_xor_b32 s0, s48, s0
	s_add_i32 s7, s1, 1
	s_sub_i32 s8, s6, s3
	s_cmp_ge_u32 s6, s3
	s_cselect_b32 s1, s7, s1
	s_cselect_b32 s6, s8, s6
	s_add_i32 s7, s1, 1
	s_cmp_ge_u32 s6, s3
	s_cselect_b32 s1, s7, s1
	s_xor_b32 s1, s1, s0
	s_sub_i32 s1, s1, s0
	s_abs_i32 s3, s1
	v_cvt_f32_u32_e32 v1, s3
	s_sub_i32 s5, 0, s3
	s_abs_i32 s4, s49
	s_xor_b32 s1, s49, s1
	v_rcp_iflag_f32_e32 v1, v1
	s_ashr_i32 s1, s1, 31
	s_mov_b32 s0, 0
	s_mov_b32 s14, s0
	v_mul_f32_e32 v1, 0x4f7ffffe, v1
	v_cvt_u32_f32_e32 v1, v1
	s_mov_b32 s15, s0
	s_mov_b32 s8, s0
	;; [unrolled: 1-line block ×3, first 2 shown]
	v_readfirstlane_b32 s6, v1
	s_mul_i32 s5, s5, s6
	s_mul_hi_u32 s5, s6, s5
	s_add_i32 s6, s6, s5
	s_mul_hi_u32 s5, s4, s6
	s_mul_i32 s6, s5, s3
	s_sub_i32 s4, s4, s6
	s_add_i32 s6, s5, 1
	s_sub_i32 s7, s4, s3
	s_cmp_ge_u32 s4, s3
	s_cselect_b32 s5, s6, s5
	s_cselect_b32 s4, s7, s4
	s_add_i32 s6, s5, 1
	s_cmp_ge_u32 s4, s3
	s_cselect_b32 s3, s6, s5
	s_xor_b32 s3, s3, s1
	s_sub_i32 s56, s3, s1
	v_or_b32_e32 v1, v18, v57
	s_lshl_b32 s44, s2, 5
	s_mov_b32 s1, s0
	s_mov_b32 s2, s0
	;; [unrolled: 1-line block ×11, first 2 shown]
	v_mov_b64_e32 v[16:17], s[14:15]
	v_and_b32_e32 v60, 15, v0
	v_or_b32_e32 v63, 64, v1
	s_cmp_lt_i32 s46, 64
	v_mov_b64_e32 v[14:15], s[12:13]
	v_mov_b64_e32 v[12:13], s[10:11]
	;; [unrolled: 1-line block ×7, first 2 shown]
	s_mul_hi_i32 s57, s49, s28
	s_mul_i32 s58, s49, s28
	v_lshrrev_b32_e32 v62, 3, v58
	v_lshlrev_b32_e32 v61, 3, v0
	s_mul_i32 s50, s34, s37
	s_mul_hi_u32 s51, s34, s36
	s_mul_i32 s52, s35, s36
	s_mul_i32 s12, s34, s36
	s_cbranch_scc1 .LBB358_19
; %bb.1:
	s_ashr_i32 s36, s49, 31
	s_ashr_i32 s1, s40, 31
	s_add_u32 s0, s58, s40
	s_addc_u32 s1, s57, s1
	s_lshl_b64 s[0:1], s[0:1], 8
	v_and_b32_e32 v9, 56, v61
	s_add_u32 s0, s18, s0
	v_lshl_or_b32 v5, v56, 3, v62
	v_lshlrev_b32_e32 v2, 1, v9
	s_addc_u32 s1, s19, s1
	v_lshl_or_b32 v13, v5, 8, v2
	s_and_b32 s1, s1, 0xffff
	s_mov_b32 s3, 0x20000
	s_movk_i32 s2, 0x4000
	s_movk_i32 s4, 0x80
	v_or_b32_e32 v17, 0x2000, v13
	buffer_load_dwordx4 v[20:23], v13, s[0:3], 0 offen
	buffer_load_dwordx4 v[24:27], v13, s[0:3], s4 offen
	;; [unrolled: 1-line block ×4, first 2 shown]
	v_lshlrev_b32_e32 v3, 3, v5
	v_and_or_b32 v6, v0, 7, v3
	v_and_b32_e32 v3, 0x78, v3
	v_lshlrev_b32_e32 v6, 4, v6
	v_xor_b32_e32 v64, v6, v3
	v_mul_lo_u32 v4, v5, s31
	v_or_b32_e32 v65, 0x1000, v64
	v_xor_b32_e32 v3, 8, v64
	s_cmpk_eq_i32 s31, 0x80
	s_mov_b32 s47, s40
	v_xor_b32_e32 v6, 8, v65
	s_cselect_b64 s[0:1], -1, 0
	s_cmpk_lg_i32 s31, 0x80
	s_waitcnt vmcnt(3)
	ds_write_b64 v64, v[20:21] offset:24576
	ds_write_b64 v3, v[22:23] offset:24576
	s_waitcnt vmcnt(2)
	ds_write_b64 v64, v[24:25] offset:32768
	ds_write_b64 v3, v[26:27] offset:32768
	;; [unrolled: 3-line block ×4, first 2 shown]
	v_lshl_add_u32 v3, v4, 1, v9
	s_cbranch_scc0 .LBB358_3
; %bb.2:
	v_lshlrev_b32_e32 v6, 1, v3
	v_add_lshl_u32 v4, v3, s31, 1
	s_lshl_b32 s6, s31, 7
	v_lshl_or_b32 v2, v5, 9, v2
	s_cbranch_execz .LBB358_4
	s_branch .LBB358_5
.LBB358_3:
                                        ; implicit-def: $vgpr4
                                        ; implicit-def: $vgpr6
                                        ; implicit-def: $sgpr6
	v_lshl_or_b32 v2, v5, 9, v2
.LBB358_4:
	v_or_b32_e32 v4, 0x100, v2
	s_movk_i32 s6, 0x4000
	v_mov_b32_e32 v6, v2
.LBB358_5:
	s_mul_i32 s2, s40, s30
	s_ashr_i32 s37, s56, 31
	s_mul_hi_i32 s3, s40, s30
	s_add_u32 s2, s2, s56
	s_addc_u32 s3, s3, s37
	s_lshl_b64 s[2:3], s[2:3], 8
	s_add_u32 s4, s16, s2
	s_addc_u32 s2, s17, s3
	s_and_b32 s5, s2, 0xffff
	s_mov_b32 s7, 0x20000
	s_movk_i32 s54, 0x80
	buffer_load_dwordx4 v[20:23], v6, s[4:7], 0 offen
	buffer_load_dwordx4 v[24:27], v6, s[4:7], s54 offen
	;; [unrolled: 1-line block ×4, first 2 shown]
	v_and_b32_e32 v4, 6, v0
	v_lshlrev_b32_e32 v8, 6, v1
	v_or_b32_e32 v11, 16, v60
	v_xor_b32_e32 v12, v5, v4
	v_and_b32_e32 v6, 1, v0
	v_lshl_or_b32 v16, v60, 3, v8
	v_lshl_or_b32 v8, v11, 3, v8
	v_lshlrev_b32_e32 v12, 2, v12
	v_lshlrev_b32_e32 v7, 2, v60
	s_mul_i32 s2, s49, s39
	s_mul_hi_u32 s3, s49, s38
	v_or_b32_e32 v68, 0xa000, v8
	v_or_b32_e32 v69, 0xb000, v8
	v_xor_b32_e32 v8, 0x440, v12
	v_cmp_eq_u32_e32 vcc, 0, v6
	s_add_i32 s5, s51, s50
	s_mul_i32 s4, s36, s38
	v_xor_b32_e32 v14, v1, v7
	v_xor_b32_e32 v15, v63, v7
	v_cndmask_b32_e32 v6, v8, v12, vcc
	s_add_i32 s2, s3, s2
	s_add_i32 s13, s5, s52
	s_mov_b32 s59, 0x1000504
	v_lshlrev_b32_e32 v10, 8, v60
	v_lshlrev_b32_e32 v11, 8, v11
	;; [unrolled: 1-line block ×4, first 2 shown]
	v_lshl_or_b32 v4, v4, 10, v6
	s_add_i32 s3, s2, s4
	s_lshl_b64 s[4:5], s[12:13], 2
	s_mov_b32 s60, 0x3020706
	v_or_b32_e32 v66, 0xa000, v16
	v_or_b32_e32 v67, 0xb000, v16
	v_or_b32_e32 v70, v10, v14
	v_or_b32_e32 v71, v10, v15
	v_or_b32_e32 v73, v11, v15
	v_xor_b32_e32 v6, 8, v4
	v_xor_b32_e32 v10, 24, v4
	;; [unrolled: 1-line block ×4, first 2 shown]
	s_mul_i32 s2, s49, s38
	s_add_u32 s4, s22, s4
	v_or_b32_e32 v72, v11, v14
	v_xor_b32_e32 v8, 16, v4
	v_xor_b32_e32 v11, 32, v4
	;; [unrolled: 1-line block ×3, first 2 shown]
	v_add_u32_e32 v6, 0x80, v6
	v_add_u32_e32 v10, 0x80, v10
	;; [unrolled: 1-line block ×4, first 2 shown]
	s_addc_u32 s5, s23, s5
	s_lshl_b64 s[2:3], s[2:3], 2
	s_add_u32 s2, s4, s2
	s_movk_i32 s4, 0xf8
	s_addc_u32 s3, s5, s3
	s_ashr_i32 s45, s44, 31
	s_lshl_b32 s10, s31, 7
	s_movk_i32 s8, 0x100
	v_mov_b32_e32 v51, 0
	v_lshlrev_b32_e32 v50, 4, v60
	v_cmp_gt_u32_e32 vcc, s8, v0
	s_mov_b32 s61, 0
	s_movk_i32 s13, 0x1000
	s_movk_i32 s6, 0x4000
	v_add_u32_e32 v91, v57, v18
	v_mov_b32_e32 v96, 0x3fb8aa3b
	v_mov_b32_e32 v98, v51
	;; [unrolled: 1-line block ×5, first 2 shown]
	s_waitcnt vmcnt(1)
	v_perm_b32 v16, v20, v28, s59
	s_waitcnt vmcnt(0)
	v_perm_b32 v19, v24, v32, s59
	v_perm_b32 v20, v20, v28, s60
	v_perm_b32 v24, v24, v32, s60
	v_perm_b32 v28, v21, v29, s59
	v_perm_b32 v32, v25, v33, s59
	v_perm_b32 v21, v21, v29, s60
	v_perm_b32 v25, v25, v33, s60
	v_perm_b32 v29, v22, v30, s59
	v_perm_b32 v33, v26, v34, s59
	v_perm_b32 v22, v22, v30, s60
	v_perm_b32 v26, v26, v34, s60
	v_perm_b32 v30, v23, v31, s59
	v_perm_b32 v34, v27, v35, s59
	v_perm_b32 v23, v23, v31, s60
	v_perm_b32 v27, v27, v35, s60
	ds_write2st64_b32 v4, v16, v19 offset0:32 offset1:64
	ds_write2st64_b32 v6, v20, v24 offset0:32 offset1:64
	;; [unrolled: 1-line block ×8, first 2 shown]
	v_or_b32_e32 v4, v57, v60
	v_lshlrev_b32_e32 v4, 3, v4
	v_lshrrev_b32_e32 v10, 5, v58
	v_and_or_b32 v10, v4, s4, v10
	v_lshlrev_b32_e32 v8, 11, v56
	v_lshlrev_b32_e32 v10, 4, v10
	v_and_b32_e32 v4, 0x78, v4
	v_and_b32_e32 v6, 0x1000, v8
	v_xor_b32_e32 v11, v10, v4
	v_lshrrev_b32_e32 v12, 1, v0
	v_or_b32_e32 v11, v11, v6
	v_and_b32_e32 v14, 8, v12
	v_xor_b32_e32 v74, v11, v14
	v_or_b32_e32 v11, 32, v10
	v_xor_b32_e32 v11, v11, v4
	v_or_b32_e32 v11, v11, v6
	;; [unrolled: 2-line block ×4, first 2 shown]
	s_lshl_b64 s[4:5], s[44:45], 8
	v_or_b32_e32 v11, v11, v6
	v_xor_b32_e32 v4, v10, v4
	s_add_u32 s4, s42, s4
	v_lshlrev_b32_e32 v10, 1, v60
	v_xor_b32_e32 v78, v11, v14
	v_lshrrev_b32_e32 v19, 4, v0
	s_addc_u32 s5, s43, s5
	v_or_b32_e32 v11, 1, v10
	v_mov_b32_e32 v23, 0x4000
	v_mov_b32_e32 v24, 0x2000
	v_xor_b32_e32 v20, v19, v10
	v_xor_b32_e32 v21, v11, v19
	v_lshl_add_u64 v[10:11], s[4:5], 0, v[50:51]
	v_lshlrev_b32_e32 v50, 8, v19
	v_cndmask_b32_e32 v23, v23, v24, vcc
	v_lshlrev_b32_e32 v24, 3, v56
	v_and_b32_e32 v12, 24, v12
	v_lshl_or_b32 v82, v20, 3, v50
	v_and_b32_e32 v20, 8, v0
	v_xor_b32_e32 v25, v24, v12
	v_or_b32_e32 v26, 0x440, v25
	v_cmp_eq_u32_e32 vcc, 0, v20
	v_and_b32_e32 v19, 7, v0
	v_lshlrev_b32_e32 v15, 7, v59
	v_cndmask_b32_e32 v20, v26, v25, vcc
	v_lshl_or_b32 v83, v21, 3, v50
	v_lshlrev_b32_e32 v21, 3, v19
	v_lshlrev_b32_e32 v19, 7, v19
	;; [unrolled: 1-line block ×3, first 2 shown]
	v_or_b32_e32 v20, v20, v8
	v_or_b32_e32 v7, v15, v7
	v_xad_u32 v84, v20, v21, v19
	v_and_or_b32 v15, v22, 60, v15
	v_mov_b32_e32 v20, 0xb000
	v_lshl_or_b32 v85, v15, 1, v20
	v_or_b32_e32 v15, 32, v12
	v_xor_b32_e32 v15, v24, v15
	v_or_b32_e32 v20, 0x440, v15
	v_cndmask_b32_e32 v15, v20, v15, vcc
	v_or_b32_e32 v15, v15, v8
	v_xad_u32 v86, v15, v21, v19
	v_or_b32_e32 v15, 64, v12
	v_xor_b32_e32 v15, v24, v15
	v_xor_b32_e32 v20, 0x440, v15
	v_cndmask_b32_e32 v15, v20, v15, vcc
	v_or_b32_e32 v12, 0x60, v12
	v_or_b32_e32 v15, v15, v8
	v_xor_b32_e32 v12, v24, v12
	v_xad_u32 v87, v15, v21, v19
	v_xor_b32_e32 v15, 0x440, v12
	v_cndmask_b32_e32 v12, v15, v12, vcc
	v_lshlrev_b32_e32 v7, 1, v7
	v_or_b32_e32 v4, v4, v6
	v_or_b32_e32 v6, s44, v60
	;; [unrolled: 1-line block ×5, first 2 shown]
	v_xor_b32_e32 v79, v4, v14
	v_or_b32_e32 v80, 0xb000, v7
	v_or_b32_e32 v81, 0xb080, v7
	v_lshlrev_b32_e32 v4, 7, v1
	v_ashrrev_i32_e32 v7, 31, v6
	v_lshlrev_b32_e32 v14, 1, v3
	v_add_lshl_u32 v3, v3, s31, 1
	v_or_b32_e32 v16, 0x100, v2
	v_xad_u32 v88, v8, v21, v19
	v_cndmask_b32_e64 v89, v14, v2, s[0:1]
	v_cndmask_b32_e64 v90, v3, v16, s[0:1]
	v_lshl_add_u64 v[52:53], v[6:7], 1, s[20:21]
	v_lshl_add_u64 v[54:55], v[10:11], 0, v[50:51]
	s_mov_b32 s45, 0x7060302
	v_lshlrev_b32_e32 v50, 1, v4
	v_add_u32_e32 v92, v23, v84
	v_add_u32_e32 v93, v23, v86
	;; [unrolled: 1-line block ×4, first 2 shown]
	v_mov_b32_e32 v2, v51
	v_mov_b32_e32 v3, v51
	v_mov_b32_e32 v4, v51
	v_mov_b32_e32 v6, v51
	v_mov_b32_e32 v7, v51
	v_mov_b32_e32 v8, v51
	v_mov_b32_e32 v10, v51
	v_mov_b32_e32 v11, v51
	v_mov_b32_e32 v12, v51
	v_mov_b32_e32 v14, v51
	v_mov_b32_e32 v15, v51
	v_mov_b32_e32 v16, v51
	s_waitcnt lgkmcnt(0)
	s_barrier
.LBB358_6:                              ; =>This Inner Loop Header: Depth=1
	s_add_i32 s62, s61, 1
	s_cmp_lt_i32 s62, s53
	s_mov_b64 s[8:9], 0
	s_cselect_b64 s[14:15], -1, 0
	s_cmp_ge_i32 s62, s53
	s_mov_b64 s[4:5], 0
	s_cbranch_scc1 .LBB358_8
; %bb.7:                                ;   in Loop: Header=BB358_6 Depth=1
	s_add_i32 s0, s47, 64
	s_ashr_i32 s1, s0, 31
	s_add_u32 s0, s58, s0
	s_addc_u32 s1, s57, s1
	s_lshl_b64 s[0:1], s[0:1], 8
	s_add_u32 s4, s18, s0
	s_addc_u32 s5, s19, s1
.LBB358_8:                              ;   in Loop: Header=BB358_6 Depth=1
	v_cndmask_b32_e64 v18, 0, 1, s[14:15]
	v_cmp_ne_u32_e64 s[0:1], 1, v18
	s_andn2_b64 vcc, exec, s[14:15]
	s_cbranch_vccnz .LBB358_10
; %bb.9:                                ;   in Loop: Header=BB358_6 Depth=1
	s_add_i32 s8, s47, 64
	s_mul_hi_i32 s9, s8, s30
	s_mul_i32 s8, s8, s30
	s_add_u32 s8, s8, s56
	s_addc_u32 s9, s9, s37
	s_lshl_b64 s[8:9], s[8:9], 8
	s_add_u32 s8, s16, s8
	s_addc_u32 s9, s17, s9
.LBB358_10:                             ;   in Loop: Header=BB358_6 Depth=1
	v_perm_b32 v19, v98, v4, s45
	v_perm_b32 v18, v3, v2, s45
	;; [unrolled: 1-line block ×4, first 2 shown]
	ds_write_b64 v66, v[18:19]
	ds_write_b64 v67, v[20:21]
	;; [unrolled: 1-line block ×4, first 2 shown]
	v_perm_b32 v19, v100, v12, s45
	v_perm_b32 v18, v11, v10, s45
	;; [unrolled: 1-line block ×4, first 2 shown]
	ds_write_b64 v68, v[18:19]
	ds_write_b64 v69, v[20:21]
	;; [unrolled: 1-line block ×4, first 2 shown]
	s_waitcnt lgkmcnt(0)
	s_barrier
	ds_read_b64 v[22:23], v74 offset:24576
	ds_read2_b64 v[18:21], v75 offset1:16
	ds_read_b64 v[26:27], v77 offset:3072
	ds_read_b64 v[28:29], v75 offset:3072
	;; [unrolled: 1-line block ×3, first 2 shown]
	s_waitcnt lgkmcnt(3)
	v_mfma_f32_16x16x16_bf16 a[0:3], v[22:23], v[18:19], 0
	s_add_i32 s11, s47, 63
	s_ashr_i32 s14, s11, 31
	s_mul_i32 s15, s11, s27
	v_mfma_f32_16x16x16_bf16 a[4:7], v[22:23], v[20:21], 0
	ds_read2st64_b64 v[18:21], v75 offset0:2 offset1:4
	s_mul_hi_u32 s63, s11, s26
	s_add_i32 s15, s63, s15
	s_waitcnt lgkmcnt(0)
	v_mfma_f32_16x16x16_bf16 a[0:3], v[30:31], v[18:19], a[0:3]
	ds_read2st64_b64 v[22:25], v77 offset0:2 offset1:4
	ds_read_b64 v[18:19], v78 offset:24576
	s_mul_i32 s14, s14, s26
	s_add_i32 s15, s15, s14
	s_waitcnt lgkmcnt(1)
	v_mfma_f32_16x16x16_bf16 a[4:7], v[30:31], v[22:23], a[4:7]
	ds_read_b64 v[22:23], v79 offset:24576
	s_mul_i32 s14, s11, s26
	s_lshl_b64 s[14:15], s[14:15], 2
	s_waitcnt lgkmcnt(1)
	v_mfma_f32_16x16x16_bf16 a[0:3], v[18:19], v[20:21], a[0:3]
	s_add_u32 s14, s2, s14
	s_addc_u32 s15, s3, s15
	s_and_b64 vcc, exec, s[0:1]
	v_mfma_f32_16x16x16_bf16 a[4:7], v[18:19], v[24:25], a[4:7]
	v_mov_b32_e32 v103, 0
	v_mov_b32_e32 v102, 0
	;; [unrolled: 1-line block ×3, first 2 shown]
	s_waitcnt lgkmcnt(0)
	v_mfma_f32_16x16x16_bf16 a[0:3], v[22:23], v[28:29], a[0:3]
	v_mov_b32_e32 v18, 0
	v_mov_b32_e32 v19, 0
	v_mov_b32_e32 v20, 0
	v_mfma_f32_16x16x16_bf16 a[4:7], v[22:23], v[26:27], a[4:7]
	v_mov_b32_e32 v21, 0
	v_mov_b32_e32 v22, 0
	;; [unrolled: 1-line block ×13, first 2 shown]
	s_cbranch_vccnz .LBB358_12
; %bb.11:                               ;   in Loop: Header=BB358_6 Depth=1
	s_and_b32 s5, s5, 0xffff
	buffer_load_dwordx4 v[30:33], v13, s[4:7], 0 offen
	buffer_load_dwordx4 v[26:29], v13, s[4:7], s54 offen
	;; [unrolled: 1-line block ×4, first 2 shown]
	v_mov_b32_e32 v102, v64
	v_mov_b32_e32 v101, v65
.LBB358_12:                             ;   in Loop: Header=BB358_6 Depth=1
	ds_read_b64 v[38:39], v74 offset:32768
	ds_read2_b64 v[34:37], v80 offset1:16
	ds_read_b64 v[42:43], v76 offset:32768
	ds_read_b64 v[44:45], v78 offset:32768
	;; [unrolled: 1-line block ×3, first 2 shown]
	v_add_u32_e32 v48, s47, v91
	s_waitcnt lgkmcnt(3)
	v_mfma_f32_16x16x16_bf16 a[0:3], v[38:39], v[34:35], a[0:3]
	v_mul_lo_u32 v49, v48, s27
	v_mfma_f32_16x16x16_bf16 a[4:7], v[38:39], v[36:37], a[4:7]
	ds_read2st64_b64 v[34:37], v80 offset0:2 offset1:4
	ds_read2st64_b64 v[38:41], v81 offset0:2 offset1:4
	s_waitcnt lgkmcnt(1)
	v_mfma_f32_16x16x16_bf16 a[0:3], v[42:43], v[34:35], a[0:3]
	v_ashrrev_i32_e32 v34, 31, v48
	v_mul_lo_u32 v104, v34, s26
	v_mad_u64_u32 v[34:35], s[4:5], v48, s26, 0
	v_mfma_f32_16x16x16_bf16 a[0:3], v[44:45], v[36:37], a[0:3]
	v_add_u32_e32 v36, 1, v48
	v_ashrrev_i32_e32 v37, 31, v36
	v_add3_u32 v35, v35, v49, v104
	s_waitcnt lgkmcnt(0)
	v_mfma_f32_16x16x16_bf16 a[4:7], v[42:43], v[38:39], a[4:7]
	v_mul_lo_u32 v38, v37, s26
	v_mul_lo_u32 v39, v36, s27
	v_mad_u64_u32 v[36:37], s[4:5], v36, s26, 0
	v_add3_u32 v37, v37, v39, v38
	v_add_u32_e32 v38, 2, v48
	v_ashrrev_i32_e32 v39, 31, v38
	v_mul_lo_u32 v42, v39, s26
	v_mul_lo_u32 v43, v38, s27
	v_mad_u64_u32 v[38:39], s[4:5], v38, s26, 0
	v_add3_u32 v39, v39, v43, v42
	v_add_u32_e32 v42, 3, v48
	v_ashrrev_i32_e32 v43, 31, v42
	v_mul_lo_u32 v48, v43, s26
	v_mul_lo_u32 v49, v42, s27
	v_mad_u64_u32 v[42:43], s[4:5], v42, s26, 0
	v_add3_u32 v43, v43, v49, v48
	s_ashr_i32 s5, s47, 31
	v_lshl_add_u64 v[34:35], v[34:35], 2, s[2:3]
	v_lshl_add_u64 v[42:43], v[42:43], 2, s[2:3]
	s_add_u32 s4, s58, s47
	v_lshl_add_u64 v[36:37], v[36:37], 2, s[2:3]
	v_lshl_add_u64 v[38:39], v[38:39], 2, s[2:3]
	global_load_dword v48, v[34:35], off
	global_load_dword v49, v[36:37], off
	;; [unrolled: 1-line block ×3, first 2 shown]
	s_nop 0
	global_load_dword v42, v[42:43], off
	s_addc_u32 s5, s57, s5
	s_lshl_b64 s[4:5], s[4:5], 8
	v_lshl_add_u64 v[34:35], v[52:53], 0, s[4:5]
	v_lshl_add_u64 v[34:35], v[34:35], 0, v[50:51]
	global_load_ushort v43, v[34:35], off offset:256
	global_load_ushort v105, v[34:35], off
	global_load_ushort v106, v[34:35], off offset:768
	global_load_ushort v107, v[34:35], off offset:512
	ds_read_b64 v[36:37], v80 offset:3072
	ds_read_b64 v[38:39], v81 offset:3072
	global_load_ushort v108, v[34:35], off offset:800
	global_load_ushort v109, v[34:35], off offset:544
	;; [unrolled: 1-line block ×4, first 2 shown]
	s_load_dword s4, s[14:15], 0x0
	v_mfma_f32_16x16x16_bf16 a[4:7], v[44:45], v[40:41], a[4:7]
	s_and_b64 vcc, exec, s[0:1]
	s_waitcnt vmcnt(11) lgkmcnt(0)
	v_sub_f32_e32 v40, s4, v48
	v_mfma_f32_16x16x16_bf16 a[0:3], v[46:47], v[36:37], a[0:3]
	s_waitcnt vmcnt(10)
	v_sub_f32_e32 v45, s4, v49
	v_mul_f32_e32 v44, 0x3fb8aa3b, v40
	v_mul_f32_e32 v45, 0x3fb8aa3b, v45
	v_mfma_f32_16x16x16_bf16 a[4:7], v[46:47], v[38:39], a[4:7]
	s_waitcnt vmcnt(9)
	v_sub_f32_e32 v46, s4, v104
	s_waitcnt vmcnt(8)
	v_sub_f32_e32 v47, s4, v42
	v_mul_f32_e32 v46, 0x3fb8aa3b, v46
	v_mul_f32_e32 v47, 0x3fb8aa3b, v47
	v_exp_f32_e32 v44, v44
	v_exp_f32_e32 v45, v45
	;; [unrolled: 1-line block ×4, first 2 shown]
	v_accvgpr_read_b32 v39, a1
	v_accvgpr_read_b32 v35, a3
	;; [unrolled: 1-line block ×4, first 2 shown]
	s_waitcnt vmcnt(7)
	v_lshlrev_b32_e32 v41, 16, v43
	s_waitcnt vmcnt(6)
	v_lshlrev_b32_e32 v40, 16, v105
	;; [unrolled: 2-line block ×4, first 2 shown]
	v_pk_add_f32 v[38:39], v[40:41], v[38:39] neg_lo:[0,1] neg_hi:[0,1]
	v_pk_add_f32 v[34:35], v[42:43], v[34:35] neg_lo:[0,1] neg_hi:[0,1]
	v_pk_mul_f32 v[38:39], v[44:45], v[38:39]
	v_pk_mul_f32 v[34:35], v[46:47], v[34:35]
	v_accvgpr_read_b32 v41, a5
	v_perm_b32 v35, v35, v34, s45
	v_perm_b32 v34, v39, v38, s45
	s_waitcnt vmcnt(1)
	v_lshlrev_b32_e32 v39, 16, v110
	s_waitcnt vmcnt(0)
	v_lshlrev_b32_e32 v38, 16, v111
	v_accvgpr_read_b32 v40, a4
	v_accvgpr_read_b32 v37, a7
	;; [unrolled: 1-line block ×3, first 2 shown]
	v_pk_add_f32 v[38:39], v[38:39], v[40:41] neg_lo:[0,1] neg_hi:[0,1]
	v_lshlrev_b32_e32 v41, 16, v108
	v_lshlrev_b32_e32 v40, 16, v109
	v_pk_add_f32 v[36:37], v[40:41], v[36:37] neg_lo:[0,1] neg_hi:[0,1]
	v_pk_mul_f32 v[38:39], v[44:45], v[38:39]
	v_pk_mul_f32 v[36:37], v[46:47], v[36:37]
	v_mov_b32_e32 v104, 0
	v_perm_b32 v37, v37, v36, s45
	v_perm_b32 v36, v39, v38, s45
	ds_write2_b64 v67, v[34:35], v[36:37] offset1:16
	v_mov_b32_e32 v34, 0
	v_mov_b32_e32 v35, 0
	;; [unrolled: 1-line block ×16, first 2 shown]
	s_cbranch_vccnz .LBB358_14
; %bb.13:                               ;   in Loop: Header=BB358_6 Depth=1
	s_and_b32 s9, s9, 0xffff
	s_mov_b32 s11, s7
	buffer_load_dwordx4 v[46:49], v89, s[8:11], 0 offen
	buffer_load_dwordx4 v[38:41], v89, s[8:11], s54 offen
	;; [unrolled: 1-line block ×4, first 2 shown]
	v_mov_b32_e32 v103, v9
	v_mov_b32_e32 v104, v5
.LBB358_14:                             ;   in Loop: Header=BB358_6 Depth=1
	s_waitcnt lgkmcnt(0)
	s_barrier
	ds_read_b64 v[110:111], v92
	ds_read_b64 v[118:119], v85
	;; [unrolled: 1-line block ×5, first 2 shown]
	ds_read_b64 v[124:125], v86 offset:16384
	ds_read_b64 v[126:127], v84 offset:16384
	ds_read2_b64 v[106:109], v80 offset0:16 offset1:128
	s_waitcnt lgkmcnt(6)
	v_mfma_f32_16x16x16_bf16 a[0:3], v[110:111], v[118:119], 0
	ds_read_b64 v[128:129], v81 offset:3072
	ds_read_b64 v[130:131], v88 offset:16384
	s_add_i32 s5, s55, s61
	s_waitcnt lgkmcnt(2)
	v_mfma_f32_16x16x16_bf16 a[4:7], v[110:111], v[106:107], 0
	ds_read2st64_b64 v[110:113], v81 offset0:2 offset1:4
	s_mul_hi_i32 s9, s5, s33
	s_mul_i32 s5, s5, s33
	v_mfma_f32_16x16x16_bf16 a[0:3], v[114:115], v[108:109], a[0:3]
	s_add_u32 s8, s5, s49
	s_addc_u32 s9, s9, s36
	s_lshl_b64 s[8:9], s[8:9], 15
	s_waitcnt lgkmcnt(0)
	v_mfma_f32_16x16x16_bf16 a[4:7], v[114:115], v[110:111], a[4:7]
	ds_read2st64_b64 v[114:117], v80 offset0:4 offset1:6
	s_waitcnt lgkmcnt(0)
	v_mfma_f32_16x16x16_bf16 a[0:3], v[120:121], v[114:115], a[0:3]
	v_mfma_f32_16x16x16_bf16 a[8:11], v[120:121], v[112:113], a[4:7]
	;; [unrolled: 1-line block ×5, first 2 shown]
	ds_read2st64_b64 v[118:121], v83 offset1:8
	v_mfma_f32_16x16x16_bf16 a[12:15], v[126:127], v[106:107], 0
	ds_read_b64 v[126:127], v87 offset:16384
	v_mfma_f32_16x16x16_bf16 a[8:11], v[124:125], v[108:109], a[8:11]
	ds_read2st64_b64 v[106:109], v82 offset1:8
	s_waitcnt lgkmcnt(0)
	v_mov_b32_e32 v122, v106
	v_mfma_f32_16x16x16_bf16 a[12:15], v[124:125], v[110:111], a[12:15]
	v_lshl_add_u64 v[110:111], v[54:55], 0, s[8:9]
	v_add_co_u32_e32 v106, vcc, s13, v110
	v_mfma_f32_16x16x16_bf16 a[8:11], v[126:127], v[114:115], a[8:11]
	v_mov_b32_e32 v123, v107
	v_addc_co_u32_e32 v107, vcc, 0, v111, vcc
	v_mfma_f32_16x16x16_bf16 a[12:15], v[126:127], v[112:113], a[12:15]
	v_mov_b32_e32 v124, v118
	v_mov_b32_e32 v125, v119
	;; [unrolled: 1-line block ×3, first 2 shown]
	v_mfma_f32_16x16x16_bf16 a[8:11], v[130:131], v[116:117], a[8:11]
	v_mov_b32_e32 v119, v109
	s_and_b64 vcc, exec, s[0:1]
	global_store_dwordx4 v[110:111], v[122:125], off
	v_mfma_f32_16x16x16_bf16 a[12:15], v[130:131], v[128:129], a[12:15]
	global_store_dwordx4 v[106:107], v[118:121], off
	s_cbranch_vccnz .LBB358_16
; %bb.15:                               ;   in Loop: Header=BB358_6 Depth=1
	v_lshrrev_b32_e32 v105, 3, v103
	v_and_b32_e32 v105, 6, v105
	v_xor_b32_e32 v104, v105, v104
	v_lshlrev_b32_e32 v104, 2, v104
	v_and_b32_e32 v103, 8, v103
	v_xor_b32_e32 v106, 0x440, v104
	v_cmp_eq_u32_e32 vcc, 0, v103
	s_barrier
	s_nop 0
	v_cndmask_b32_e32 v103, v106, v104, vcc
	v_lshl_or_b32 v103, v105, 10, v103
	s_waitcnt vmcnt(3)
	v_perm_b32 v104, v46, v42, s59
	s_waitcnt vmcnt(2)
	v_perm_b32 v105, v38, v34, s59
	ds_write2st64_b32 v103, v104, v105 offset0:32 offset1:64
	v_xor_b32_e32 v104, 8, v103
	v_perm_b32 v42, v46, v42, s60
	v_perm_b32 v34, v38, v34, s60
	v_add_u32_e32 v38, 0x80, v104
	ds_write2st64_b32 v38, v42, v34 offset0:32 offset1:64
	v_xor_b32_e32 v34, 16, v103
	v_perm_b32 v38, v47, v43, s59
	v_perm_b32 v42, v39, v35, s59
	ds_write2st64_b32 v34, v38, v42 offset0:33 offset1:65
	v_xor_b32_e32 v34, 24, v103
	v_perm_b32 v38, v47, v43, s60
	v_perm_b32 v35, v39, v35, s60
	v_add_u32_e32 v34, 0x80, v34
	ds_write2st64_b32 v34, v38, v35 offset0:33 offset1:65
	v_xor_b32_e32 v34, 32, v103
	v_perm_b32 v35, v48, v44, s59
	;; [unrolled: 9-line block ×3, first 2 shown]
	v_perm_b32 v36, v41, v37, s59
	ds_write2st64_b32 v34, v35, v36 offset0:35 offset1:67
	v_xor_b32_e32 v34, 56, v103
	v_perm_b32 v35, v49, v45, s60
	v_perm_b32 v36, v41, v37, s60
	v_add_u32_e32 v34, 0x80, v34
	ds_write2st64_b32 v34, v35, v36 offset0:35 offset1:67
	ds_write_b64 v102, v[30:31] offset:24576
	v_xor_b32_e32 v30, 8, v102
	ds_write_b64 v30, v[32:33] offset:24576
	ds_write_b64 v102, v[26:27] offset:32768
	;; [unrolled: 1-line block ×4, first 2 shown]
	v_xor_b32_e32 v22, 8, v101
	ds_write_b64 v22, v[24:25] offset:24576
	ds_write_b64 v101, v[18:19] offset:32768
	;; [unrolled: 1-line block ×3, first 2 shown]
.LBB358_16:                             ;   in Loop: Header=BB358_6 Depth=1
	v_mul_f32_e32 v18, s4, v96
	s_waitcnt vmcnt(2)
	v_exp_f32_e32 v34, v18
	v_accvgpr_read_b32 v33, a7
	v_accvgpr_read_b32 v25, a3
	;; [unrolled: 1-line block ×16, first 2 shown]
	s_add_i32 s47, s47, 64
	v_fma_f32 v2, v2, v34, v30
	v_fma_f32 v3, v3, v34, v31
	v_fma_f32 v4, v4, v34, v32
	v_fmac_f32_e32 v33, v98, v34
	v_fma_f32 v10, v10, v34, v22
	v_fma_f32 v11, v11, v34, v23
	v_fma_f32 v12, v12, v34, v24
	v_fmac_f32_e32 v25, v100, v34
	;; [unrolled: 4-line block ×3, first 2 shown]
	v_fma_f32 v14, v14, v34, v18
	v_fma_f32 v15, v15, v34, v19
	;; [unrolled: 1-line block ×3, first 2 shown]
	s_cmp_eq_u32 s53, s62
	v_fmac_f32_e32 v21, v99, v34
	s_cbranch_scc1 .LBB358_18
; %bb.17:                               ;   in Loop: Header=BB358_6 Depth=1
	s_mov_b32 s61, s62
	v_mov_b32_e32 v98, v33
	v_mov_b32_e32 v97, v29
	;; [unrolled: 1-line block ×4, first 2 shown]
	s_branch .LBB358_6
.LBB358_18:
	v_mov_b32_e32 v5, v33
	v_mov_b32_e32 v9, v29
	;; [unrolled: 1-line block ×4, first 2 shown]
.LBB358_19:
	s_lshl_b32 s2, s53, 6
	s_sub_i32 s54, s46, s2
	s_cmp_gt_i32 s54, 0
	v_or_b32_e32 v34, s44, v60
	s_cbranch_scc1 .LBB358_21
; %bb.20:
	s_ashr_i32 s9, s49, 31
	v_or_b32_e32 v18, s44, v60
	s_cbranch_execz .LBB358_22
	s_branch .LBB358_86
.LBB358_21:
                                        ; implicit-def: $vgpr18
                                        ; implicit-def: $sgpr8_sgpr9
.LBB358_22:
	s_add_i32 s8, s2, s40
	s_ashr_i32 s2, s8, 31
	s_cmpk_lg_i32 s31, 0x80
	s_cselect_b64 s[36:37], -1, 0
	s_and_b64 vcc, exec, s[36:37]
	s_cbranch_vccz .LBB358_24
; %bb.23:
	s_mul_i32 s1, s8, s30
	s_ashr_i32 s3, s56, 31
	s_mul_hi_i32 s0, s8, s30
	s_add_u32 s46, s1, s56
	s_addc_u32 s47, s0, s3
	s_cbranch_execz .LBB358_25
	s_branch .LBB358_26
.LBB358_24:
                                        ; implicit-def: $sgpr46_sgpr47
.LBB358_25:
	s_mul_i32 s1, s56, s28
	s_mul_hi_i32 s0, s56, s28
	s_add_u32 s46, s1, s8
	s_addc_u32 s47, s0, s2
.LBB358_26:
	s_add_i32 s3, s53, s55
	s_ashr_i32 s9, s49, 31
	s_add_u32 s0, s58, s8
	v_lshlrev_b32_e32 v22, 5, v1
	v_lshlrev_b32_e32 v40, 2, v60
	s_addc_u32 s1, s57, s2
	s_mov_b32 s2, 0x7060302
	v_or_b32_e32 v25, v22, v40
	v_xor_b32_e32 v23, v1, v40
	v_perm_b32 v19, v5, v4, s2
	v_perm_b32 v18, v3, v2, s2
	;; [unrolled: 1-line block ×4, first 2 shown]
	v_lshlrev_b32_e32 v25, 1, v25
	s_lshl_b64 s[10:11], s[0:1], 8
	v_xor_b32_e32 v24, v63, v40
	ds_write2st64_b64 v25, v[18:19], v[20:21] offset0:80 offset1:88
	v_lshlrev_b32_e32 v23, 1, v23
	v_lshlrev_b32_e32 v25, 8, v60
	s_add_u32 s0, s18, s10
	v_or_b32_e32 v26, v23, v25
	v_lshlrev_b32_e32 v24, 1, v24
	s_addc_u32 s1, s19, s11
	ds_write_b64 v26, v[18:19]
	v_or_b32_e32 v18, v24, v25
	v_or_b32_e32 v25, 16, v60
	s_mul_hi_i32 s4, s3, s29
	s_mul_i32 s3, s3, s29
	ds_write_b64 v18, v[20:21]
	v_perm_b32 v19, v13, v12, s2
	v_perm_b32 v18, v11, v10, s2
	;; [unrolled: 1-line block ×4, first 2 shown]
	v_lshlrev_b32_e32 v37, 2, v25
	s_add_u32 s2, s3, s49
	v_or_b32_e32 v22, v22, v37
	s_addc_u32 s3, s4, s9
	v_lshlrev_b32_e32 v22, 1, v22
	s_ashr_i32 s45, s44, 31
	s_lshl_b64 s[2:3], s[2:3], 15
	ds_write2st64_b64 v22, v[18:19], v[20:21] offset0:80 offset1:88
	v_lshlrev_b32_e32 v22, 8, v25
	s_add_u32 s4, s42, s2
	v_or_b32_e32 v23, v23, v22
	s_addc_u32 s5, s43, s3
	s_lshl_b64 s[2:3], s[44:45], 8
	ds_write_b64 v23, v[18:19]
	v_or_b32_e32 v18, v24, v22
	s_add_u32 s2, s4, s2
	ds_write_b64 v18, v[20:21]
	v_lshrrev_b32_e32 v18, 4, v0
	s_addc_u32 s3, s5, s3
	v_lshlrev_b32_e32 v19, 1, v60
	v_lshlrev_b32_e32 v26, 4, v60
	v_mov_b32_e32 v27, 0
	v_or_b32_e32 v20, 1, v19
	v_xor_b32_e32 v19, v18, v19
	v_lshl_add_u64 v[28:29], s[2:3], 0, v[26:27]
	v_lshlrev_b32_e32 v26, 8, v18
	v_xor_b32_e32 v22, v20, v18
	v_lshl_or_b32 v18, v19, 3, v26
	s_waitcnt lgkmcnt(0)
	s_barrier
	ds_read2st64_b64 v[18:21], v18 offset1:8
	v_lshl_or_b32 v22, v22, 3, v26
	ds_read2st64_b64 v[22:25], v22 offset1:8
	v_lshl_add_u64 v[30:31], v[28:29], 0, v[26:27]
	s_movk_i32 s2, 0x1000
	s_waitcnt lgkmcnt(1)
	v_mov_b32_e32 v26, v18
	v_add_co_u32_e32 v18, vcc, s2, v30
	s_cmp_lg_u32 s54, 64
	v_mov_b32_e32 v27, v19
	v_addc_co_u32_e32 v19, vcc, 0, v31, vcc
	s_cselect_b64 s[14:15], -1, 0
	v_lshl_or_b32 v35, v56, 3, v62
	s_waitcnt lgkmcnt(0)
	v_mov_b32_e32 v28, v22
	v_mov_b32_e32 v29, v23
	;; [unrolled: 1-line block ×4, first 2 shown]
	s_mov_b32 s4, 0
	v_or_b32_e32 v38, 32, v35
	v_and_b32_e32 v36, 56, v61
	s_and_b64 vcc, exec, s[14:15]
	global_store_dwordx4 v[30:31], v[26:29], off
	global_store_dwordx4 v[18:19], v[22:25], off
	s_cbranch_vccz .LBB358_32
; %bb.27:
	s_mov_b32 s6, s4
	s_mov_b32 s7, s4
	;; [unrolled: 1-line block ×3, first 2 shown]
	v_mov_b64_e32 v[24:25], s[6:7]
	v_mov_b64_e32 v[22:23], s[4:5]
	;; [unrolled: 1-line block ×3, first 2 shown]
	v_cmp_gt_i32_e32 vcc, s54, v35
	v_mov_b64_e32 v[20:21], v[24:25]
	s_and_saveexec_b64 s[2:3], vcc
	s_cbranch_execz .LBB358_29
; %bb.28:
	v_lshlrev_b32_e32 v18, 8, v35
	v_mov_b32_e32 v19, 0
	v_lshl_add_u64 v[20:21], s[0:1], 0, v[18:19]
	v_lshlrev_b32_e32 v18, 1, v36
	v_lshl_add_u64 v[26:27], v[20:21], 0, v[18:19]
	global_load_dwordx4 v[22:25], v[26:27], off
	global_load_dwordx4 v[18:21], v[26:27], off offset:128
.LBB358_29:
	s_or_b64 exec, exec, s[2:3]
	s_mov_b32 s6, s4
	s_mov_b32 s7, s4
	;; [unrolled: 1-line block ×3, first 2 shown]
	v_mov_b64_e32 v[32:33], s[6:7]
	v_mov_b64_e32 v[30:31], s[4:5]
	;; [unrolled: 1-line block ×3, first 2 shown]
	v_cmp_gt_i32_e32 vcc, s54, v38
	v_lshlrev_b32_e32 v39, 7, v38
	v_mov_b64_e32 v[28:29], v[32:33]
	s_and_saveexec_b64 s[2:3], vcc
	s_cbranch_execz .LBB358_31
; %bb.30:
	v_lshlrev_b32_e32 v26, 1, v39
	v_mov_b32_e32 v27, 0
	v_lshl_add_u64 v[28:29], s[0:1], 0, v[26:27]
	v_lshlrev_b32_e32 v26, 1, v36
	v_lshl_add_u64 v[42:43], v[28:29], 0, v[26:27]
	global_load_dwordx4 v[30:33], v[42:43], off
	global_load_dwordx4 v[26:29], v[42:43], off offset:128
.LBB358_31:
	s_or_b64 exec, exec, s[2:3]
	v_lshrrev_b32_e32 v41, 3, v36
	v_lshlrev_b32_e32 v42, 3, v35
	v_or_b32_e32 v41, v42, v41
	v_lshlrev_b32_e32 v41, 4, v41
	v_and_b32_e32 v42, 0x78, v42
	v_xor_b32_e32 v41, v41, v42
	s_branch .LBB358_34
.LBB358_32:
                                        ; implicit-def: $vgpr41
                                        ; implicit-def: $vgpr39
                                        ; implicit-def: $vgpr22_vgpr23_vgpr24_vgpr25
                                        ; implicit-def: $vgpr18_vgpr19_vgpr20_vgpr21
                                        ; implicit-def: $vgpr30_vgpr31_vgpr32_vgpr33
                                        ; implicit-def: $vgpr26_vgpr27_vgpr28_vgpr29
	s_cbranch_execz .LBB358_34
; %bb.33:
	s_waitcnt vmcnt(0)
	v_lshlrev_b32_e32 v18, 1, v36
	v_lshl_or_b32 v39, v35, 8, v18
	s_and_b32 s1, s1, 0xffff
	s_mov_b32 s3, 0x20000
	s_movk_i32 s2, 0x4000
	v_lshl_or_b32 v41, v38, 8, v18
	s_movk_i32 s4, 0x80
	buffer_load_dwordx4 v[22:25], v39, s[0:3], 0 offen
	buffer_load_dwordx4 v[18:21], v39, s[0:3], s4 offen
	;; [unrolled: 1-line block ×4, first 2 shown]
	v_lshrrev_b32_e32 v39, 3, v36
	v_lshlrev_b32_e32 v41, 3, v35
	v_or_b32_e32 v39, v41, v39
	v_lshlrev_b32_e32 v39, 4, v39
	v_and_b32_e32 v41, 0x78, v41
	v_xor_b32_e32 v41, v39, v41
	v_lshlrev_b32_e32 v39, 7, v38
.LBB358_34:
	s_lshl_b64 s[0:1], s[46:47], 8
	s_add_u32 s4, s16, s0
	s_movk_i32 s0, 0x1000
	v_and_or_b32 v38, v39, s0, v41
	s_waitcnt vmcnt(1)
	ds_write_b64 v41, v[22:23] offset:24576
	v_xor_b32_e32 v22, 8, v41
	ds_write_b64 v22, v[24:25] offset:24576
	s_waitcnt vmcnt(0)
	ds_write_b64 v41, v[18:19] offset:32768
	ds_write_b64 v22, v[20:21] offset:32768
	;; [unrolled: 1-line block ×3, first 2 shown]
	v_xor_b32_e32 v18, 8, v38
	ds_write_b64 v18, v[32:33] offset:24576
	ds_write_b64 v38, v[26:27] offset:32768
	ds_write_b64 v18, v[28:29] offset:32768
	v_or_b32_e32 v18, v57, v60
	v_lshlrev_b32_e32 v18, 3, v18
	v_lshrrev_b32_e32 v19, 5, v58
	s_movk_i32 s7, 0xf8
	v_and_or_b32 v19, v18, s7, v19
	v_lshlrev_b32_e32 v23, 4, v19
	v_lshlrev_b32_e32 v41, 11, v56
	v_and_b32_e32 v24, 0x78, v18
	v_or_b32_e32 v26, 32, v23
	v_and_b32_e32 v22, 0x1000, v41
	v_lshrrev_b32_e32 v19, 1, v58
	v_xor_b32_e32 v26, v26, v24
	v_xor_b32_e32 v18, v23, v24
	v_and_b32_e32 v25, 8, v19
	v_or_b32_e32 v26, v26, v22
	v_or_b32_e32 v18, v18, v22
	v_xor_b32_e32 v45, v26, v25
	v_or_b32_e32 v26, 64, v23
	v_xor_b32_e32 v44, v18, v25
	v_xor_b32_e32 v26, v26, v24
	s_waitcnt lgkmcnt(0)
	s_barrier
	v_or_b32_e32 v28, v26, v22
	ds_read_b64 v[26:27], v44 offset:24576
	v_lshl_or_b32 v38, v59, 7, v40
	v_lshlrev_b32_e32 v42, 1, v38
	v_add_u32_e32 v18, 0xa000, v42
	ds_read2_b64 v[18:21], v18 offset1:16
	v_or_b32_e32 v23, 0x60, v23
	v_xor_b32_e32 v23, v23, v24
	s_waitcnt lgkmcnt(0)
	v_mfma_f32_16x16x16_bf16 a[0:3], v[26:27], v[18:19], 0
	v_or_b32_e32 v18, 64, v38
	v_or_b32_e32 v22, v23, v22
	v_lshlrev_b32_e32 v43, 1, v18
	v_xor_b32_e32 v46, v28, v25
	v_xor_b32_e32 v47, v22, v25
	ds_read_b64 v[28:29], v45 offset:24576
	ds_read_b64 v[30:31], v46 offset:24576
	;; [unrolled: 1-line block ×3, first 2 shown]
	v_mfma_f32_16x16x16_bf16 a[4:7], v[26:27], v[20:21], 0
	ds_read2st64_b64 v[18:21], v43 offset0:82 offset1:84
	ds_read2st64_b64 v[22:25], v42 offset0:82 offset1:84
	s_addc_u32 s5, s17, s1
	s_add_i32 s2, s41, -1
	s_add_i32 s0, s51, s50
	s_add_i32 s13, s0, s52
	s_mul_i32 s0, s49, s39
	s_mul_hi_u32 s1, s49, s38
	s_ashr_i32 s3, s2, 31
	s_mul_i32 s6, s2, s27
	s_mul_hi_u32 s7, s2, s26
	s_add_i32 s0, s1, s0
	s_mul_i32 s1, s9, s38
	s_add_i32 s6, s7, s6
	s_mul_i32 s3, s3, s26
	s_waitcnt lgkmcnt(1)
	v_mfma_f32_16x16x16_bf16 a[4:7], v[28:29], v[18:19], a[4:7]
	s_add_i32 s1, s0, s1
	s_add_i32 s3, s6, s3
	s_lshl_b64 s[6:7], s[12:13], 2
	s_waitcnt lgkmcnt(0)
	v_mfma_f32_16x16x16_bf16 a[0:3], v[28:29], v[22:23], a[0:3]
	s_mul_i32 s0, s49, s38
	s_add_u32 s6, s22, s6
	s_addc_u32 s7, s23, s7
	s_lshl_b64 s[0:1], s[0:1], 2
	s_mul_i32 s2, s2, s26
	s_add_u32 s12, s6, s0
	ds_read_b64 v[18:19], v42 offset:44032
	v_mfma_f32_16x16x16_bf16 a[4:7], v[30:31], v[20:21], a[4:7]
	ds_read_b64 v[20:21], v43 offset:44032
	s_addc_u32 s13, s7, s1
	s_lshl_b64 s[0:1], s[2:3], 2
	v_mfma_f32_16x16x16_bf16 a[0:3], v[30:31], v[24:25], a[0:3]
	s_add_u32 s0, s12, s0
	s_addc_u32 s1, s13, s1
	s_load_dword s16, s[0:1], 0x0
	s_waitcnt lgkmcnt(0)
	v_mfma_f32_16x16x16_bf16 a[0:3], v[32:33], v[18:19], a[0:3]
	s_and_b64 vcc, exec, s[36:37]
	v_mfma_f32_16x16x16_bf16 a[4:7], v[32:33], v[20:21], a[4:7]
	s_cbranch_vccz .LBB358_45
; %bb.35:
	v_lshlrev_b32_e32 v38, 1, v35
	s_and_b64 vcc, exec, s[14:15]
	s_cbranch_vccz .LBB358_46
; %bb.36:
	v_cmp_gt_i32_e32 vcc, s54, v38
	v_mov_b32_e32 v22, 0
	v_mov_b32_e32 v18, 0
	;; [unrolled: 1-line block ×5, first 2 shown]
	s_and_saveexec_b64 s[0:1], vcc
	s_cbranch_execz .LBB358_38
; %bb.37:
	v_mad_i64_i32 v[18:19], s[2:3], s31, v38, 0
	v_lshl_add_u64 v[18:19], v[18:19], 1, s[4:5]
	v_lshlrev_b32_e32 v20, 1, v36
	v_mov_b32_e32 v21, 0
	v_lshl_add_u64 v[18:19], v[18:19], 0, v[20:21]
	global_load_dwordx4 v[18:21], v[18:19], off
.LBB358_38:
	s_or_b64 exec, exec, s[0:1]
	v_or_b32_e32 v39, 1, v38
	v_cmp_gt_i32_e64 s[0:1], s54, v39
	v_mov_b32_e32 v23, 0
	v_mov_b32_e32 v24, 0
	;; [unrolled: 1-line block ×3, first 2 shown]
	s_and_saveexec_b64 s[2:3], s[0:1]
	s_cbranch_execz .LBB358_40
; %bb.39:
	v_mad_i64_i32 v[22:23], s[6:7], s31, v39, 0
	v_lshl_add_u64 v[22:23], v[22:23], 1, s[4:5]
	v_lshlrev_b32_e32 v24, 1, v36
	v_mov_b32_e32 v25, 0
	v_lshl_add_u64 v[22:23], v[22:23], 0, v[24:25]
	global_load_dwordx4 v[22:25], v[22:23], off
.LBB358_40:
	s_or_b64 exec, exec, s[2:3]
	v_mov_b32_e32 v33, 0
	v_mov_b32_e32 v26, 0
	;; [unrolled: 1-line block ×5, first 2 shown]
	s_and_saveexec_b64 s[2:3], vcc
	s_cbranch_execz .LBB358_42
; %bb.41:
	v_mad_i64_i32 v[26:27], s[6:7], s31, v38, 0
	v_lshl_add_u64 v[26:27], v[26:27], 1, s[4:5]
	v_lshlrev_b32_e32 v28, 1, v36
	v_mov_b32_e32 v29, 0
	v_lshl_add_u64 v[26:27], v[26:27], 0, v[28:29]
	global_load_dwordx4 v[26:29], v[26:27], off offset:128
.LBB358_42:
	s_or_b64 exec, exec, s[2:3]
	v_mov_b32_e32 v32, 0
	v_mov_b32_e32 v31, 0
	;; [unrolled: 1-line block ×3, first 2 shown]
	s_and_saveexec_b64 s[2:3], s[0:1]
	s_cbranch_execz .LBB358_44
; %bb.43:
	v_mad_i64_i32 v[30:31], s[0:1], s31, v39, 0
	v_lshl_add_u64 v[30:31], v[30:31], 1, s[4:5]
	v_lshlrev_b32_e32 v32, 1, v36
	v_mov_b32_e32 v33, 0
	v_lshl_add_u64 v[30:31], v[30:31], 0, v[32:33]
	global_load_dwordx4 v[30:33], v[30:31], off offset:128
.LBB358_44:
	s_or_b64 exec, exec, s[2:3]
	s_branch .LBB358_48
.LBB358_45:
                                        ; implicit-def: $vgpr21
                                        ; implicit-def: $vgpr25
                                        ; implicit-def: $vgpr29
                                        ; implicit-def: $vgpr33
	v_lshrrev_b32_e32 v48, 2, v58
	s_branch .LBB358_49
.LBB358_46:
                                        ; implicit-def: $vgpr21
                                        ; implicit-def: $vgpr25
                                        ; implicit-def: $vgpr29
                                        ; implicit-def: $vgpr33
	s_cbranch_execz .LBB358_48
; %bb.47:
	s_waitcnt vmcnt(0)
	v_mad_u64_u32 v[18:19], s[0:1], v38, s31, v[36:37]
	v_lshlrev_b32_e32 v38, 1, v18
	s_lshl_b32 s2, s31, 7
	s_and_b32 s1, s5, 0xffff
	s_mov_b32 s3, 0x20000
	s_mov_b32 s0, s4
	v_add_lshl_u32 v39, v18, s31, 1
	s_movk_i32 s6, 0x80
	buffer_load_dwordx4 v[18:21], v38, s[0:3], 0 offen
	buffer_load_dwordx4 v[26:29], v38, s[0:3], s6 offen
	;; [unrolled: 1-line block ×4, first 2 shown]
.LBB358_48:
	v_lshrrev_b32_e32 v48, 2, v58
	s_cbranch_execnz .LBB358_61
.LBB358_49:
	s_and_b64 vcc, exec, s[14:15]
	s_cbranch_vccz .LBB358_59
; %bb.50:
	s_waitcnt vmcnt(0)
	v_lshlrev_b32_e32 v23, 1, v35
	v_cmp_gt_i32_e32 vcc, s54, v23
	v_mov_b32_e32 v22, 0
	v_lshlrev_b32_e32 v30, 9, v35
	v_mov_b32_e32 v18, 0
	v_mov_b32_e32 v19, 0
	;; [unrolled: 1-line block ×4, first 2 shown]
	s_and_saveexec_b64 s[0:1], vcc
	s_cbranch_execz .LBB358_52
; %bb.51:
	v_mov_b32_e32 v31, 0
	v_lshl_add_u64 v[18:19], s[4:5], 0, v[30:31]
	v_lshlrev_b32_e32 v20, 1, v36
	v_mov_b32_e32 v21, v31
	v_lshl_add_u64 v[18:19], v[18:19], 0, v[20:21]
	global_load_dwordx4 v[18:21], v[18:19], off
.LBB358_52:
	s_or_b64 exec, exec, s[0:1]
	v_or_b32_e32 v23, 1, v23
	v_cmp_gt_i32_e64 s[0:1], s54, v23
	v_lshlrev_b32_e32 v38, 8, v23
	v_mov_b32_e32 v23, 0
	v_mov_b32_e32 v24, 0
	;; [unrolled: 1-line block ×3, first 2 shown]
	s_and_saveexec_b64 s[2:3], s[0:1]
	s_cbranch_execz .LBB358_54
; %bb.53:
	v_mov_b32_e32 v39, 0
	v_lshl_add_u64 v[22:23], s[4:5], 0, v[38:39]
	v_lshlrev_b32_e32 v24, 1, v36
	v_mov_b32_e32 v25, v39
	v_lshl_add_u64 v[22:23], v[22:23], 0, v[24:25]
	global_load_dwordx4 v[22:25], v[22:23], off
.LBB358_54:
	s_or_b64 exec, exec, s[2:3]
	v_mov_b32_e32 v33, 0
	v_mov_b32_e32 v26, 0
	;; [unrolled: 1-line block ×5, first 2 shown]
	s_and_saveexec_b64 s[2:3], vcc
	s_cbranch_execz .LBB358_56
; %bb.55:
	v_mov_b32_e32 v31, 0
	v_lshl_add_u64 v[26:27], s[4:5], 0, v[30:31]
	v_lshlrev_b32_e32 v30, 1, v36
	v_lshl_add_u64 v[26:27], v[26:27], 0, v[30:31]
	global_load_dwordx4 v[26:29], v[26:27], off offset:128
.LBB358_56:
	s_or_b64 exec, exec, s[2:3]
	v_mov_b32_e32 v32, 0
	v_mov_b32_e32 v31, 0
	;; [unrolled: 1-line block ×3, first 2 shown]
	s_and_saveexec_b64 s[2:3], s[0:1]
	s_cbranch_execz .LBB358_58
; %bb.57:
	v_mov_b32_e32 v39, 0
	v_lshl_add_u64 v[30:31], s[4:5], 0, v[38:39]
	v_lshlrev_b32_e32 v38, 1, v36
	v_lshl_add_u64 v[30:31], v[30:31], 0, v[38:39]
	global_load_dwordx4 v[30:33], v[30:31], off offset:128
.LBB358_58:
	s_or_b64 exec, exec, s[2:3]
	s_branch .LBB358_61
.LBB358_59:
                                        ; implicit-def: $vgpr21
                                        ; implicit-def: $vgpr25
                                        ; implicit-def: $vgpr29
                                        ; implicit-def: $vgpr33
	s_cbranch_execz .LBB358_61
; %bb.60:
	s_waitcnt vmcnt(0)
	v_lshlrev_b32_e32 v18, 1, v36
	v_lshl_or_b32 v36, v35, 9, v18
	s_and_b32 s5, s5, 0xffff
	s_mov_b32 s7, 0x20000
	s_movk_i32 s6, 0x4000
	s_movk_i32 s0, 0x80
	buffer_load_dwordx4 v[18:21], v36, s[4:7], 0 offen
	buffer_load_dwordx4 v[22:25], v36, s[4:7], 0 offen offset:256
	buffer_load_dwordx4 v[26:29], v36, s[4:7], s0 offen
	buffer_load_dwordx4 v[30:33], v36, s[4:7], s0 offen offset:256
.LBB358_61:
	ds_read_b64 v[38:39], v44 offset:32768
	v_add_u32_e32 v36, 0xb000, v42
	ds_read2_b64 v[50:53], v36 offset1:16
	ds_read_b64 v[54:55], v45 offset:32768
	ds_read_b64 v[58:59], v46 offset:32768
	;; [unrolled: 1-line block ×3, first 2 shown]
	v_and_b32_e32 v36, 6, v0
	v_xor_b32_e32 v35, v35, v36
	v_lshlrev_b32_e32 v35, 2, v35
	v_and_b32_e32 v49, 1, v0
	v_cmp_eq_u32_e32 vcc, 0, v49
	s_mov_b32 s0, 0x1000504
	s_waitcnt lgkmcnt(3)
	v_mfma_f32_16x16x16_bf16 a[0:3], v[38:39], v[50:51], a[0:3]
	s_mov_b32 s1, 0x3020706
	v_mfma_f32_16x16x16_bf16 a[4:7], v[38:39], v[52:53], a[4:7]
	ds_read2st64_b64 v[44:47], v42 offset0:90 offset1:92
	ds_read2st64_b64 v[50:53], v43 offset0:90 offset1:92
	s_waitcnt lgkmcnt(1)
	v_mfma_f32_16x16x16_bf16 a[0:3], v[54:55], v[44:45], a[0:3]
	ds_read_b64 v[38:39], v42 offset:48128
	ds_read_b64 v[44:45], v43 offset:48128
	s_waitcnt lgkmcnt(2)
	v_mfma_f32_16x16x16_bf16 a[4:7], v[54:55], v[50:51], a[4:7]
	v_mfma_f32_16x16x16_bf16 a[0:3], v[58:59], v[46:47], a[0:3]
	v_xor_b32_e32 v46, 0x440, v35
	v_cndmask_b32_e32 v35, v46, v35, vcc
	v_lshl_or_b32 v35, v36, 10, v35
	v_mfma_f32_16x16x16_bf16 a[8:11], v[58:59], v[52:53], a[4:7]
	s_waitcnt vmcnt(0)
	v_perm_b32 v36, v18, v22, s0
	v_perm_b32 v18, v18, v22, s1
	v_perm_b32 v22, v26, v30, s1
	s_waitcnt lgkmcnt(1)
	v_mfma_f32_16x16x16_bf16 a[4:7], v[60:61], v[38:39], a[0:3]
	v_perm_b32 v38, v26, v30, s0
	ds_write2st64_b32 v35, v36, v38 offset0:32 offset1:64
	v_xor_b32_e32 v36, 8, v35
	v_add_u32_e32 v26, 0x80, v36
	ds_write2st64_b32 v26, v18, v22 offset0:32 offset1:64
	v_xor_b32_e32 v18, 16, v35
	v_perm_b32 v22, v19, v23, s0
	v_perm_b32 v26, v27, v31, s0
	ds_write2st64_b32 v18, v22, v26 offset0:33 offset1:65
	v_xor_b32_e32 v18, 24, v35
	v_perm_b32 v19, v19, v23, s1
	v_perm_b32 v22, v27, v31, s1
	v_add_u32_e32 v18, 0x80, v18
	ds_write2st64_b32 v18, v19, v22 offset0:33 offset1:65
	v_xor_b32_e32 v18, 32, v35
	v_perm_b32 v19, v20, v24, s0
	v_perm_b32 v22, v28, v32, s0
	ds_write2st64_b32 v18, v19, v22 offset0:34 offset1:66
	v_xor_b32_e32 v18, 40, v35
	s_waitcnt lgkmcnt(5)
	v_mfma_f32_16x16x16_bf16 a[0:3], v[60:61], v[44:45], a[8:11]
	v_perm_b32 v19, v20, v24, s1
	v_perm_b32 v20, v28, v32, s1
	v_add_u32_e32 v18, 0x80, v18
	ds_write2st64_b32 v18, v19, v20 offset0:34 offset1:66
	v_xor_b32_e32 v18, 48, v35
	v_perm_b32 v19, v21, v25, s0
	v_perm_b32 v20, v29, v33, s0
	ds_write2st64_b32 v18, v19, v20 offset0:35 offset1:67
	v_xor_b32_e32 v18, 56, v35
	v_and_or_b32 v38, v48, 12, v57
	v_perm_b32 v19, v21, v25, s1
	v_perm_b32 v20, v29, v33, s1
	v_add_u32_e32 v18, 0x80, v18
	v_cmp_gt_i32_e32 vcc, s54, v38
	v_mov_b32_e32 v32, 0
	v_mov_b32_e32 v36, 0
	ds_write2st64_b32 v18, v19, v20 offset0:35 offset1:67
	s_and_saveexec_b64 s[0:1], vcc
	s_cbranch_execz .LBB358_63
; %bb.62:
	v_add_u32_e32 v18, s8, v38
	v_ashrrev_i32_e32 v19, 31, v18
	v_mul_lo_u32 v20, v19, s26
	v_mul_lo_u32 v21, v18, s27
	v_mad_u64_u32 v[18:19], s[2:3], v18, s26, 0
	v_add3_u32 v19, v19, v21, v20
	v_lshl_add_u64 v[18:19], v[18:19], 2, s[12:13]
	global_load_dword v18, v[18:19], off
	s_waitcnt vmcnt(0)
	v_sub_f32_e32 v18, s16, v18
	v_mul_f32_e32 v18, 0x3fb8aa3b, v18
	v_exp_f32_e32 v36, v18
.LBB358_63:
	s_or_b64 exec, exec, s[0:1]
	v_or_b32_e32 v26, 1, v38
	v_cmp_gt_i32_e64 s[0:1], s54, v26
	s_and_saveexec_b64 s[2:3], s[0:1]
	s_cbranch_execz .LBB358_65
; %bb.64:
	v_add_u32_e32 v18, s8, v26
	v_ashrrev_i32_e32 v19, 31, v18
	v_mul_lo_u32 v20, v19, s26
	v_mul_lo_u32 v21, v18, s27
	v_mad_u64_u32 v[18:19], s[4:5], v18, s26, 0
	v_add3_u32 v19, v19, v21, v20
	v_lshl_add_u64 v[18:19], v[18:19], 2, s[12:13]
	global_load_dword v18, v[18:19], off
	s_waitcnt vmcnt(0)
	v_sub_f32_e32 v18, s16, v18
	v_mul_f32_e32 v18, 0x3fb8aa3b, v18
	v_exp_f32_e32 v32, v18
.LBB358_65:
	s_or_b64 exec, exec, s[2:3]
	v_or_b32_e32 v27, 2, v38
	v_cmp_gt_i32_e64 s[2:3], s54, v27
	v_mov_b32_e32 v33, 0
	v_mov_b32_e32 v39, 0
	s_and_saveexec_b64 s[4:5], s[2:3]
	s_cbranch_execz .LBB358_67
; %bb.66:
	v_add_u32_e32 v18, s8, v27
	v_ashrrev_i32_e32 v19, 31, v18
	v_mul_lo_u32 v20, v19, s26
	v_mul_lo_u32 v21, v18, s27
	v_mad_u64_u32 v[18:19], s[6:7], v18, s26, 0
	v_add3_u32 v19, v19, v21, v20
	v_lshl_add_u64 v[18:19], v[18:19], 2, s[12:13]
	global_load_dword v18, v[18:19], off
	s_waitcnt vmcnt(0)
	v_sub_f32_e32 v18, s16, v18
	v_mul_f32_e32 v18, 0x3fb8aa3b, v18
	v_exp_f32_e32 v39, v18
.LBB358_67:
	s_or_b64 exec, exec, s[4:5]
	v_or_b32_e32 v44, 3, v38
	v_cmp_gt_i32_e64 s[4:5], s54, v44
	s_and_saveexec_b64 s[6:7], s[4:5]
	s_cbranch_execz .LBB358_69
; %bb.68:
	v_add_u32_e32 v18, s8, v44
	v_ashrrev_i32_e32 v19, 31, v18
	v_mul_lo_u32 v20, v19, s26
	v_mul_lo_u32 v21, v18, s27
	v_mad_u64_u32 v[18:19], s[14:15], v18, s26, 0
	v_add3_u32 v19, v19, v21, v20
	v_lshl_add_u64 v[18:19], v[18:19], 2, s[12:13]
	global_load_dword v18, v[18:19], off
	s_waitcnt vmcnt(0)
	v_sub_f32_e32 v18, s16, v18
	v_mul_f32_e32 v18, 0x3fb8aa3b, v18
	v_exp_f32_e32 v33, v18
.LBB358_69:
	s_or_b64 exec, exec, s[6:7]
	s_add_u32 s6, s20, s10
	v_accvgpr_read_b32 v21, a7
	s_addc_u32 s7, s21, s11
	v_ashrrev_i32_e32 v35, 31, v34
	v_accvgpr_read_b32 v20, a6
	v_accvgpr_read_b32 v19, a5
	v_accvgpr_read_b32 v18, a4
	v_lshl_add_u64 v[22:23], v[34:35], 1, s[6:7]
	v_mov_b32_e32 v29, 0
	v_lshlrev_b32_e32 v24, 8, v38
	v_mov_b32_e32 v25, 0
	s_and_saveexec_b64 s[6:7], vcc
	s_cbranch_execz .LBB358_71
; %bb.70:
	v_mov_b32_e32 v25, 0
	v_lshl_add_u64 v[30:31], v[22:23], 0, v[24:25]
	global_load_ushort v25, v[30:31], off
	s_waitcnt vmcnt(0)
	v_lshlrev_b32_e32 v25, 16, v25
	v_sub_f32_e32 v18, v25, v18
	v_mul_f32_e32 v18, v36, v18
	v_lshrrev_b32_e32 v25, 16, v18
.LBB358_71:
	s_or_b64 exec, exec, s[6:7]
	v_lshlrev_b32_e32 v28, 8, v26
	s_and_saveexec_b64 s[6:7], s[0:1]
	s_cbranch_execz .LBB358_73
; %bb.72:
	v_mov_b32_e32 v29, 0
	v_lshl_add_u64 v[30:31], v[22:23], 0, v[28:29]
	global_load_ushort v18, v[30:31], off
	s_waitcnt vmcnt(0)
	v_lshlrev_b32_e32 v18, 16, v18
	v_sub_f32_e32 v18, v18, v19
	v_mul_f32_e32 v18, v32, v18
	v_lshrrev_b32_e32 v29, 16, v18
.LBB358_73:
	s_or_b64 exec, exec, s[6:7]
	v_mov_b32_e32 v45, 0
	v_lshlrev_b32_e32 v30, 8, v27
	v_mov_b32_e32 v31, 0
	s_and_saveexec_b64 s[6:7], s[2:3]
	s_cbranch_execz .LBB358_75
; %bb.74:
	v_mov_b32_e32 v31, 0
	v_lshl_add_u64 v[18:19], v[22:23], 0, v[30:31]
	global_load_ushort v18, v[18:19], off
	s_waitcnt vmcnt(0)
	v_lshlrev_b32_e32 v18, 16, v18
	v_sub_f32_e32 v18, v18, v20
	v_mul_f32_e32 v18, v39, v18
	v_lshrrev_b32_e32 v31, 16, v18
.LBB358_75:
	s_or_b64 exec, exec, s[6:7]
	v_lshlrev_b32_e32 v26, 8, v44
	s_and_saveexec_b64 s[6:7], s[4:5]
	s_cbranch_execz .LBB358_77
; %bb.76:
	v_mov_b32_e32 v27, 0
	v_lshl_add_u64 v[18:19], v[22:23], 0, v[26:27]
	global_load_ushort v18, v[18:19], off
	s_waitcnt vmcnt(0)
	v_lshlrev_b32_e32 v18, 16, v18
	v_sub_f32_e32 v18, v18, v21
	v_mul_f32_e32 v18, v33, v18
	v_lshrrev_b32_e32 v45, 16, v18
.LBB358_77:
	s_or_b64 exec, exec, s[6:7]
	v_lshlrev_b32_e32 v35, 5, v38
	s_mov_b32 s6, 0x5040100
	v_perm_b32 v44, v29, v25, s6
	v_or_b32_e32 v25, v35, v40
	v_accvgpr_read_b32 v21, a3
	v_perm_b32 v45, v45, v31, s6
	v_lshlrev_b32_e32 v25, 1, v25
	v_accvgpr_read_b32 v20, a2
	v_accvgpr_read_b32 v19, a1
	;; [unrolled: 1-line block ×3, first 2 shown]
	ds_write_b64 v25, v[44:45] offset:45056
	v_mov_b32_e32 v29, 0
	v_mov_b32_e32 v25, 0
	s_and_saveexec_b64 s[6:7], vcc
	s_cbranch_execz .LBB358_79
; %bb.78:
	v_mov_b32_e32 v25, 0
	v_lshl_add_u64 v[24:25], v[22:23], 0, v[24:25]
	global_load_ushort v24, v[24:25], off offset:32
	s_waitcnt vmcnt(0)
	v_lshlrev_b32_e32 v24, 16, v24
	v_sub_f32_e32 v18, v24, v18
	v_mul_f32_e32 v18, v36, v18
	v_lshrrev_b32_e32 v25, 16, v18
.LBB358_79:
	s_or_b64 exec, exec, s[6:7]
	s_and_saveexec_b64 s[6:7], s[0:1]
	s_cbranch_execz .LBB358_81
; %bb.80:
	v_mov_b32_e32 v29, 0
	v_lshl_add_u64 v[28:29], v[22:23], 0, v[28:29]
	global_load_ushort v18, v[28:29], off offset:32
	s_waitcnt vmcnt(0)
	v_lshlrev_b32_e32 v18, 16, v18
	v_sub_f32_e32 v18, v18, v19
	v_mul_f32_e32 v18, v32, v18
	v_lshrrev_b32_e32 v29, 16, v18
.LBB358_81:
	s_or_b64 exec, exec, s[6:7]
	v_mov_b32_e32 v24, 0
	v_mov_b32_e32 v28, 0
	s_and_saveexec_b64 s[0:1], s[2:3]
	s_cbranch_execz .LBB358_83
; %bb.82:
	v_mov_b32_e32 v31, 0
	v_lshl_add_u64 v[18:19], v[22:23], 0, v[30:31]
	global_load_ushort v18, v[18:19], off offset:32
	s_waitcnt vmcnt(0)
	v_lshlrev_b32_e32 v18, 16, v18
	v_sub_f32_e32 v18, v18, v20
	v_mul_f32_e32 v18, v39, v18
	v_lshrrev_b32_e32 v28, 16, v18
.LBB358_83:
	s_or_b64 exec, exec, s[0:1]
	v_or_b32_e32 v19, 0xb000, v42
	v_or_b32_e32 v18, 0xb000, v43
	s_and_saveexec_b64 s[0:1], s[4:5]
	s_cbranch_execz .LBB358_85
; %bb.84:
	v_mov_b32_e32 v27, 0
	v_lshl_add_u64 v[22:23], v[22:23], 0, v[26:27]
	global_load_ushort v20, v[22:23], off offset:32
	s_waitcnt vmcnt(0)
	v_lshlrev_b32_e32 v20, 16, v20
	v_sub_f32_e32 v20, v20, v21
	v_mul_f32_e32 v20, v33, v20
	v_lshrrev_b32_e32 v24, 16, v20
.LBB358_85:
	s_or_b64 exec, exec, s[0:1]
	s_mov_b32 s0, 0x5040100
	v_or_b32_e32 v22, v35, v37
	v_perm_b32 v21, v24, v28, s0
	v_perm_b32 v20, v29, v25, s0
	v_lshlrev_b32_e32 v22, 1, v22
	s_movk_i32 s0, 0x100
	ds_write_b64 v22, v[20:21] offset:45056
	v_and_b32_e32 v20, 7, v0
	v_and_b32_e32 v21, 8, v0
	v_cmp_gt_u32_e32 vcc, s0, v0
	v_lshrrev_b32_e32 v0, 1, v0
	v_lshlrev_b32_e32 v35, 3, v20
	v_lshlrev_b32_e32 v36, 7, v20
	v_mov_b32_e32 v20, 0x4000
	v_mov_b32_e32 v22, 0x2000
	v_lshlrev_b32_e32 v38, 3, v56
	v_and_b32_e32 v0, 24, v0
	v_cndmask_b32_e32 v37, v20, v22, vcc
	v_xor_b32_e32 v20, v38, v0
	v_or_b32_e32 v26, 32, v0
	v_or_b32_e32 v22, 0x440, v20
	v_cmp_eq_u32_e32 vcc, 0, v21
	v_xor_b32_e32 v26, v38, v26
	v_or_b32_e32 v27, 0x440, v26
	v_cndmask_b32_e32 v20, v22, v20, vcc
	v_or_b32_e32 v20, v20, v41
	v_cndmask_b32_e32 v26, v27, v26, vcc
	v_xad_u32 v40, v20, v35, v36
	v_or_b32_e32 v26, v26, v41
	v_add_u32_e32 v20, v37, v40
	v_xad_u32 v42, v26, v35, v36
	s_waitcnt lgkmcnt(0)
	s_barrier
	ds_read_b64 v[24:25], v20
	ds_read2_b64 v[20:23], v19 offset1:16
	v_add_u32_e32 v26, v37, v42
	ds_read_b64 v[32:33], v26
	s_waitcnt lgkmcnt(1)
	v_mfma_f32_16x16x16_bf16 a[0:3], v[24:25], v[20:21], 0
	ds_read2st64_b64 v[28:31], v18 offset0:2 offset1:4
	v_mfma_f32_16x16x16_bf16 a[4:7], v[24:25], v[22:23], 0
	ds_read2st64_b64 v[24:27], v19 offset0:2 offset1:4
	s_waitcnt lgkmcnt(0)
	v_mfma_f32_16x16x16_bf16 a[0:3], v[32:33], v[24:25], a[0:3]
	v_mfma_f32_16x16x16_bf16 a[4:7], v[32:33], v[28:29], a[4:7]
	v_or_b32_e32 v32, 64, v0
	v_xor_b32_e32 v32, v38, v32
	v_xor_b32_e32 v33, 0x440, v32
	v_cndmask_b32_e32 v32, v33, v32, vcc
	v_or_b32_e32 v32, v32, v41
	v_or_b32_e32 v0, 0x60, v0
	v_xad_u32 v43, v32, v35, v36
	v_xor_b32_e32 v0, v38, v0
	v_add_u32_e32 v32, v37, v43
	v_xor_b32_e32 v38, 0x440, v0
	ds_read_b64 v[32:33], v32
	v_cndmask_b32_e32 v0, v38, v0, vcc
	v_or_b32_e32 v0, v0, v41
	v_xad_u32 v0, v0, v35, v36
	v_add_u32_e32 v35, v37, v0
	ds_read_b64 v[36:37], v35
	s_waitcnt lgkmcnt(1)
	v_mfma_f32_16x16x16_bf16 a[0:3], v[32:33], v[26:27], a[0:3]
	v_mov_b32_e32 v35, 0x3fb8aa3b
	v_mfma_f32_16x16x16_bf16 a[4:7], v[32:33], v[30:31], a[4:7]
	ds_read_b64 v[32:33], v19 offset:3072
	ds_read_b64 v[38:39], v18 offset:3072
	;; [unrolled: 1-line block ×3, first 2 shown]
	s_waitcnt lgkmcnt(2)
	v_mfma_f32_16x16x16_bf16 a[0:3], v[36:37], v[32:33], a[0:3]
	s_waitcnt lgkmcnt(1)
	v_mfma_f32_16x16x16_bf16 a[4:7], v[36:37], v[38:39], a[4:7]
	ds_read_b64 v[36:37], v42 offset:16384
	s_waitcnt lgkmcnt(1)
	v_mfma_f32_16x16x16_bf16 a[8:11], v[18:19], v[20:21], 0
	v_mul_f32_e32 v20, s16, v35
	v_exp_f32_e32 v35, v20
	v_accvgpr_read_b32 v21, a3
	v_mfma_f32_16x16x16_bf16 a[12:15], v[18:19], v[22:23], 0
	ds_read_b64 v[22:23], v43 offset:16384
	v_accvgpr_read_b32 v18, a0
	v_fma_f32 v18, v2, v35, v18
	v_accvgpr_read_b32 v2, a1
	v_fma_f32 v19, v3, v35, v2
	;; [unrolled: 2-line block ×3, first 2 shown]
	ds_read_b64 v[2:3], v0 offset:16384
	s_waitcnt lgkmcnt(2)
	v_mfma_f32_16x16x16_bf16 a[8:11], v[36:37], v[24:25], a[8:11]
	v_accvgpr_read_b32 v0, a4
	v_fmac_f32_e32 v21, v5, v35
	v_mfma_f32_16x16x16_bf16 a[12:15], v[36:37], v[28:29], a[12:15]
	v_accvgpr_read_b32 v29, a7
	v_fmac_f32_e32 v29, v13, v35
	s_waitcnt lgkmcnt(1)
	v_mfma_f32_16x16x16_bf16 a[0:3], v[22:23], v[26:27], a[8:11]
	v_fma_f32 v26, v10, v35, v0
	v_accvgpr_read_b32 v0, a5
	v_fma_f32 v27, v11, v35, v0
	v_mfma_f32_16x16x16_bf16 a[8:11], v[22:23], v[30:31], a[12:15]
	v_accvgpr_read_b32 v0, a6
	v_fma_f32 v28, v12, v35, v0
	s_waitcnt lgkmcnt(0)
	v_mfma_f32_16x16x16_bf16 a[0:3], v[2:3], v[32:33], a[0:3]
	v_mfma_f32_16x16x16_bf16 a[4:7], v[2:3], v[38:39], a[8:11]
	s_nop 5
	v_accvgpr_read_b32 v0, a0
	v_fma_f32 v22, v6, v35, v0
	v_accvgpr_read_b32 v0, a1
	v_fma_f32 v23, v7, v35, v0
	;; [unrolled: 2-line block ×4, first 2 shown]
	v_accvgpr_read_b32 v0, a5
	v_accvgpr_read_b32 v25, a3
	v_fma_f32 v31, v15, v35, v0
	v_accvgpr_read_b32 v0, a6
	v_accvgpr_read_b32 v33, a7
	v_fmac_f32_e32 v25, v9, v35
	v_fma_f32 v32, v16, v35, v0
	v_fmac_f32_e32 v33, v17, v35
	v_mov_b64_e32 v[2:3], v[18:19]
	v_mov_b64_e32 v[4:5], v[20:21]
	;; [unrolled: 1-line block ×8, first 2 shown]
	v_mov_b32_e32 v18, v34
.LBB358_86:
	s_mul_i32 s0, s33, s35
	s_mul_hi_u32 s1, s33, s34
	s_add_i32 s0, s1, s0
	s_mul_i32 s1, s48, s34
	s_add_i32 s1, s0, s1
	s_mul_i32 s0, s33, s34
	s_add_u32 s0, s0, s49
	s_addc_u32 s1, s1, s9
	s_lshl_b64 s[0:1], s[0:1], 15
	s_add_u32 s0, s24, s0
	v_lshlrev_b32_e32 v18, 7, v18
	s_addc_u32 s1, s25, s1
	v_ashrrev_i32_e32 v19, 31, v18
	v_lshl_add_u64 v[20:21], v[18:19], 1, s[0:1]
	v_lshlrev_b32_e32 v0, 1, v1
	v_mov_b32_e32 v1, 0
	s_mov_b32 s2, 0x7060302
	v_lshl_add_u64 v[20:21], v[20:21], 0, v[0:1]
	v_perm_b32 v5, v5, v4, s2
	v_perm_b32 v4, v3, v2, s2
	;; [unrolled: 1-line block ×4, first 2 shown]
	global_store_dwordx2 v[20:21], v[2:3], off offset:128
	v_or_b32_e32 v2, 0x800, v18
	v_ashrrev_i32_e32 v3, 31, v2
	v_lshl_add_u64 v[2:3], v[2:3], 1, s[0:1]
	v_lshl_add_u64 v[0:1], v[2:3], 0, v[0:1]
	v_perm_b32 v3, v13, v12, s2
	v_perm_b32 v2, v11, v10, s2
	global_store_dwordx2 v[0:1], v[2:3], off
	v_perm_b32 v3, v17, v16, s2
	v_perm_b32 v2, v15, v14, s2
	global_store_dwordx2 v[20:21], v[4:5], off
	global_store_dwordx2 v[0:1], v[2:3], off offset:128
	s_endpgm
	.section	.rodata,"a",@progbits
	.p2align	6, 0x0
	.amdhsa_kernel _ZN12_GLOBAL__N_139chunk_gated_delta_rule_fwd_h_hip_kernelILi32ELb0ELb1ELb0ELb1ELb0ELb0ELb1ELb1EEEvPK12hip_bfloat16S3_S3_PKfS5_PKvPS1_S8_PvPKiSB_iiiiilll
		.amdhsa_group_segment_fixed_size 49152
		.amdhsa_private_segment_fixed_size 0
		.amdhsa_kernarg_size 136
		.amdhsa_user_sgpr_count 2
		.amdhsa_user_sgpr_dispatch_ptr 0
		.amdhsa_user_sgpr_queue_ptr 0
		.amdhsa_user_sgpr_kernarg_segment_ptr 1
		.amdhsa_user_sgpr_dispatch_id 0
		.amdhsa_user_sgpr_kernarg_preload_length 0
		.amdhsa_user_sgpr_kernarg_preload_offset 0
		.amdhsa_user_sgpr_private_segment_size 0
		.amdhsa_uses_dynamic_stack 0
		.amdhsa_enable_private_segment 0
		.amdhsa_system_sgpr_workgroup_id_x 1
		.amdhsa_system_sgpr_workgroup_id_y 1
		.amdhsa_system_sgpr_workgroup_id_z 0
		.amdhsa_system_sgpr_workgroup_info 0
		.amdhsa_system_vgpr_workitem_id 0
		.amdhsa_next_free_vgpr 148
		.amdhsa_next_free_sgpr 64
		.amdhsa_accum_offset 132
		.amdhsa_reserve_vcc 1
		.amdhsa_float_round_mode_32 0
		.amdhsa_float_round_mode_16_64 0
		.amdhsa_float_denorm_mode_32 3
		.amdhsa_float_denorm_mode_16_64 3
		.amdhsa_dx10_clamp 1
		.amdhsa_ieee_mode 1
		.amdhsa_fp16_overflow 0
		.amdhsa_tg_split 0
		.amdhsa_exception_fp_ieee_invalid_op 0
		.amdhsa_exception_fp_denorm_src 0
		.amdhsa_exception_fp_ieee_div_zero 0
		.amdhsa_exception_fp_ieee_overflow 0
		.amdhsa_exception_fp_ieee_underflow 0
		.amdhsa_exception_fp_ieee_inexact 0
		.amdhsa_exception_int_div_zero 0
	.end_amdhsa_kernel
	.section	.text._ZN12_GLOBAL__N_139chunk_gated_delta_rule_fwd_h_hip_kernelILi32ELb0ELb1ELb0ELb1ELb0ELb0ELb1ELb1EEEvPK12hip_bfloat16S3_S3_PKfS5_PKvPS1_S8_PvPKiSB_iiiiilll,"axG",@progbits,_ZN12_GLOBAL__N_139chunk_gated_delta_rule_fwd_h_hip_kernelILi32ELb0ELb1ELb0ELb1ELb0ELb0ELb1ELb1EEEvPK12hip_bfloat16S3_S3_PKfS5_PKvPS1_S8_PvPKiSB_iiiiilll,comdat
.Lfunc_end358:
	.size	_ZN12_GLOBAL__N_139chunk_gated_delta_rule_fwd_h_hip_kernelILi32ELb0ELb1ELb0ELb1ELb0ELb0ELb1ELb1EEEvPK12hip_bfloat16S3_S3_PKfS5_PKvPS1_S8_PvPKiSB_iiiiilll, .Lfunc_end358-_ZN12_GLOBAL__N_139chunk_gated_delta_rule_fwd_h_hip_kernelILi32ELb0ELb1ELb0ELb1ELb0ELb0ELb1ELb1EEEvPK12hip_bfloat16S3_S3_PKfS5_PKvPS1_S8_PvPKiSB_iiiiilll
                                        ; -- End function
	.section	.AMDGPU.csdata,"",@progbits
; Kernel info:
; codeLenInByte = 9420
; NumSgprs: 70
; NumVgprs: 132
; NumAgprs: 16
; TotalNumVgprs: 148
; ScratchSize: 0
; MemoryBound: 0
; FloatMode: 240
; IeeeMode: 1
; LDSByteSize: 49152 bytes/workgroup (compile time only)
; SGPRBlocks: 8
; VGPRBlocks: 18
; NumSGPRsForWavesPerEU: 70
; NumVGPRsForWavesPerEU: 148
; AccumOffset: 132
; Occupancy: 1
; WaveLimiterHint : 1
; COMPUTE_PGM_RSRC2:SCRATCH_EN: 0
; COMPUTE_PGM_RSRC2:USER_SGPR: 2
; COMPUTE_PGM_RSRC2:TRAP_HANDLER: 0
; COMPUTE_PGM_RSRC2:TGID_X_EN: 1
; COMPUTE_PGM_RSRC2:TGID_Y_EN: 1
; COMPUTE_PGM_RSRC2:TGID_Z_EN: 0
; COMPUTE_PGM_RSRC2:TIDIG_COMP_CNT: 0
; COMPUTE_PGM_RSRC3_GFX90A:ACCUM_OFFSET: 32
; COMPUTE_PGM_RSRC3_GFX90A:TG_SPLIT: 0
	.section	.text._ZN12_GLOBAL__N_139chunk_gated_delta_rule_fwd_h_hip_kernelILi32ELb0ELb0ELb1ELb1ELb0ELb0ELb1ELb1EEEvPK12hip_bfloat16S3_S3_PKfS5_PKvPS1_S8_PvPKiSB_iiiiilll,"axG",@progbits,_ZN12_GLOBAL__N_139chunk_gated_delta_rule_fwd_h_hip_kernelILi32ELb0ELb0ELb1ELb1ELb0ELb0ELb1ELb1EEEvPK12hip_bfloat16S3_S3_PKfS5_PKvPS1_S8_PvPKiSB_iiiiilll,comdat
	.globl	_ZN12_GLOBAL__N_139chunk_gated_delta_rule_fwd_h_hip_kernelILi32ELb0ELb0ELb1ELb1ELb0ELb0ELb1ELb1EEEvPK12hip_bfloat16S3_S3_PKfS5_PKvPS1_S8_PvPKiSB_iiiiilll ; -- Begin function _ZN12_GLOBAL__N_139chunk_gated_delta_rule_fwd_h_hip_kernelILi32ELb0ELb0ELb1ELb1ELb0ELb0ELb1ELb1EEEvPK12hip_bfloat16S3_S3_PKfS5_PKvPS1_S8_PvPKiSB_iiiiilll
	.p2align	8
	.type	_ZN12_GLOBAL__N_139chunk_gated_delta_rule_fwd_h_hip_kernelILi32ELb0ELb0ELb1ELb1ELb0ELb0ELb1ELb1EEEvPK12hip_bfloat16S3_S3_PKfS5_PKvPS1_S8_PvPKiSB_iiiiilll,@function
_ZN12_GLOBAL__N_139chunk_gated_delta_rule_fwd_h_hip_kernelILi32ELb0ELb0ELb1ELb1ELb0ELb0ELb1ELb1EEEvPK12hip_bfloat16S3_S3_PKfS5_PKvPS1_S8_PvPKiSB_iiiiilll: ; @_ZN12_GLOBAL__N_139chunk_gated_delta_rule_fwd_h_hip_kernelILi32ELb0ELb0ELb1ELb1ELb0ELb0ELb1ELb1EEEvPK12hip_bfloat16S3_S3_PKfS5_PKvPS1_S8_PvPKiSB_iiiiilll
; %bb.0:
	s_load_dwordx4 s[16:19], s[0:1], 0x5c
	s_load_dwordx4 s[20:23], s[0:1], 0x70
	s_abs_i32 s25, s3
	s_ashr_i32 s24, s3, 31
	s_load_dwordx4 s[12:15], s[0:1], 0x30
	s_load_dwordx4 s[28:31], s[0:1], 0x48
	s_waitcnt lgkmcnt(0)
	s_abs_i32 s34, s17
	v_cvt_f32_u32_e32 v1, s34
	s_sub_i32 s26, 0, s34
	s_ashr_i32 s35, s17, 31
	s_xor_b32 s24, s24, s35
	v_rcp_iflag_f32_e32 v1, v1
	s_load_dwordx8 s[4:11], s[0:1], 0x0
	v_lshrrev_b32_e32 v44, 6, v0
	v_bfe_u32 v45, v0, 4, 2
	v_mul_f32_e32 v1, 0x4f7ffffe, v1
	v_cvt_u32_f32_e32 v1, v1
	v_lshlrev_b32_e32 v2, 2, v45
	v_and_b32_e32 v43, 63, v0
	v_and_b32_e32 v42, 15, v0
	v_readfirstlane_b32 s27, v1
	s_mul_i32 s26, s26, s27
	s_mul_hi_u32 s26, s27, s26
	s_add_i32 s27, s27, s26
	s_mul_hi_u32 s26, s25, s27
	s_mul_i32 s27, s26, s34
	s_sub_i32 s25, s25, s27
	s_add_i32 s33, s26, 1
	s_sub_i32 s27, s25, s34
	s_cmp_ge_u32 s25, s34
	s_cselect_b32 s26, s33, s26
	s_cselect_b32 s25, s27, s25
	s_add_i32 s27, s26, 1
	s_cmp_ge_u32 s25, s34
	s_cselect_b32 s25, s27, s26
	s_xor_b32 s25, s25, s24
	s_sub_i32 s24, s25, s24
	s_mul_i32 s25, s24, s17
	s_sub_i32 s33, s3, s25
	s_ashr_i32 s25, s24, 31
	s_lshl_b64 s[26:27], s[24:25], 2
	s_add_u32 s28, s28, s26
	s_addc_u32 s29, s29, s27
	s_add_u32 s26, s30, s26
	s_addc_u32 s27, s31, s27
	s_abs_i32 s3, s18
	v_cvt_f32_u32_e32 v1, s3
	s_load_dwordx2 s[38:39], s[28:29], 0x0
	s_sub_i32 s29, 0, s3
	s_load_dword s46, s[26:27], 0x0
	v_rcp_iflag_f32_e32 v1, v1
	v_mov_b32_e32 v3, 0
	s_waitcnt lgkmcnt(0)
	s_sub_i32 s47, s39, s38
	s_ashr_i32 s28, s47, 31
	v_mul_f32_e32 v1, 0x4f7ffffe, v1
	v_cvt_u32_f32_e32 v1, v1
	s_lshr_b32 s28, s28, 26
	s_add_i32 s28, s47, s28
	s_ashr_i32 s45, s28, 6
	v_readfirstlane_b32 s30, v1
	s_mul_i32 s29, s29, s30
	s_mul_hi_u32 s29, s30, s29
	s_add_i32 s30, s30, s29
	s_mul_hi_u32 s29, s34, s30
	s_mul_i32 s30, s29, s3
	s_ashr_i32 s28, s18, 31
	s_sub_i32 s30, s34, s30
	s_xor_b32 s28, s35, s28
	s_add_i32 s31, s29, 1
	s_sub_i32 s34, s30, s3
	s_cmp_ge_u32 s30, s3
	s_cselect_b32 s29, s31, s29
	s_cselect_b32 s30, s34, s30
	s_add_i32 s31, s29, 1
	s_cmp_ge_u32 s30, s3
	s_cselect_b32 s3, s31, s29
	s_xor_b32 s3, s3, s28
	s_sub_i32 s3, s3, s28
	s_abs_i32 s28, s3
	v_cvt_f32_u32_e32 v1, s28
	s_load_dwordx2 s[34:35], s[0:1], 0x80
	s_xor_b32 s0, s33, s3
	s_sub_i32 s3, 0, s28
	v_rcp_iflag_f32_e32 v1, v1
	s_abs_i32 s1, s33
	s_ashr_i32 s0, s0, 31
	s_mul_hi_i32 s48, s33, s16
	v_mul_f32_e32 v1, 0x4f7ffffe, v1
	v_cvt_u32_f32_e32 v1, v1
	s_mul_i32 s49, s33, s16
	v_lshrrev_b32_e32 v47, 3, v43
	v_lshlrev_b32_e32 v46, 3, v0
	v_readfirstlane_b32 s26, v1
	s_mul_i32 s3, s3, s26
	s_mul_hi_u32 s3, s26, s3
	s_add_i32 s26, s26, s3
	s_mul_hi_u32 s3, s1, s26
	s_mul_i32 s26, s3, s28
	s_sub_i32 s1, s1, s26
	s_add_i32 s26, s3, 1
	s_sub_i32 s27, s1, s28
	s_cmp_ge_u32 s1, s28
	s_cselect_b32 s3, s26, s3
	s_cselect_b32 s1, s27, s1
	s_add_i32 s26, s3, 1
	s_cmp_ge_u32 s1, s28
	s_cselect_b32 s1, s26, s3
	s_xor_b32 s1, s1, s0
	v_lshlrev_b32_e32 v1, 4, v44
	s_sub_i32 s50, s1, s0
	v_or_b32_e32 v48, v2, v1
	s_lshl_b32 s36, s2, 5
	v_or_b32_e32 v49, 64, v48
	s_cmp_lt_i32 s47, 64
	s_mul_i32 s42, s24, s21
	s_mul_hi_u32 s43, s24, s20
	s_mul_i32 s44, s25, s20
	s_mul_i32 s20, s24, s20
	v_mov_b32_e32 v66, 0
	v_mov_b32_e32 v64, 0
	;; [unrolled: 1-line block ×15, first 2 shown]
	s_cbranch_scc1 .LBB359_18
; %bb.1:
	s_ashr_i32 s53, s33, 31
	s_ashr_i32 s1, s38, 31
	s_add_u32 s0, s49, s38
	s_addc_u32 s1, s48, s1
	s_lshl_b64 s[0:1], s[0:1], 8
	v_and_b32_e32 v51, 56, v46
	s_add_u32 s0, s6, s0
	v_lshl_or_b32 v50, v44, 3, v47
	v_lshlrev_b32_e32 v3, 1, v51
	s_addc_u32 s1, s7, s1
	v_lshl_or_b32 v52, v50, 8, v3
	s_and_b32 s1, s1, 0xffff
	s_mov_b32 s3, 0x20000
	s_movk_i32 s2, 0x4000
	s_movk_i32 s21, 0x80
	v_or_b32_e32 v53, 0x2000, v52
	buffer_load_dwordx4 v[4:7], v52, s[0:3], 0 offen
	buffer_load_dwordx4 v[8:11], v52, s[0:3], s21 offen
	;; [unrolled: 1-line block ×4, first 2 shown]
	v_lshlrev_b32_e32 v20, 3, v50
	v_and_or_b32 v22, v0, 7, v20
	v_and_b32_e32 v20, 0x78, v20
	v_lshlrev_b32_e32 v22, 4, v22
	v_xor_b32_e32 v54, v22, v20
	v_mul_lo_u32 v21, v50, s19
	v_or_b32_e32 v55, 0x1000, v54
	s_cmpk_eq_i32 s19, 0x80
	s_mov_b32 s51, s17
	s_mov_b32 s52, s38
	v_xor_b32_e32 v20, 8, v54
	v_xor_b32_e32 v22, 8, v55
	s_cselect_b64 s[0:1], -1, 0
	s_cmpk_lg_i32 s19, 0x80
	s_waitcnt vmcnt(3)
	ds_write_b64 v54, v[4:5] offset:24576
	ds_write_b64 v20, v[6:7] offset:24576
	s_waitcnt vmcnt(2)
	ds_write_b64 v54, v[8:9] offset:32768
	ds_write_b64 v20, v[10:11] offset:32768
	;; [unrolled: 3-line block ×4, first 2 shown]
	v_lshl_add_u32 v4, v21, 1, v51
	s_cbranch_scc0 .LBB359_3
; %bb.2:
	v_lshlrev_b32_e32 v6, 1, v4
	v_add_lshl_u32 v5, v4, s19, 1
	s_lshl_b32 s26, s19, 7
	v_lshl_or_b32 v3, v50, 9, v3
	s_cbranch_execz .LBB359_4
	s_branch .LBB359_5
.LBB359_3:
                                        ; implicit-def: $vgpr5
                                        ; implicit-def: $vgpr6
                                        ; implicit-def: $sgpr26
	v_lshl_or_b32 v3, v50, 9, v3
.LBB359_4:
	v_or_b32_e32 v5, 0x100, v3
	s_movk_i32 s26, 0x4000
	v_mov_b32_e32 v6, v3
.LBB359_5:
	s_mul_i32 s2, s38, s18
	s_ashr_i32 s54, s50, 31
	s_mul_hi_i32 s3, s38, s18
	s_add_u32 s2, s2, s50
	s_addc_u32 s3, s3, s54
	s_lshl_b64 s[2:3], s[2:3], 8
	s_add_u32 s24, s4, s2
	s_addc_u32 s2, s5, s3
	s_and_b32 s25, s2, 0xffff
	s_mov_b32 s27, 0x20000
	s_movk_i32 s55, 0x80
	buffer_load_dwordx4 v[8:11], v6, s[24:27], 0 offen
	buffer_load_dwordx4 v[12:15], v6, s[24:27], s55 offen
	;; [unrolled: 1-line block ×4, first 2 shown]
	v_and_b32_e32 v5, 6, v0
	v_lshlrev_b32_e32 v24, 6, v48
	v_or_b32_e32 v26, 16, v42
	v_xor_b32_e32 v27, v50, v5
	v_and_b32_e32 v6, 1, v0
	s_mul_i32 s2, s33, s23
	s_mul_hi_u32 s3, s33, s22
	v_lshl_or_b32 v30, v42, 3, v24
	v_lshl_or_b32 v24, v26, 3, v24
	v_lshlrev_b32_e32 v27, 2, v27
	s_add_i32 s21, s43, s42
	v_lshlrev_b32_e32 v7, 2, v42
	s_mul_i32 s24, s53, s22
	v_or_b32_e32 v58, 0xa000, v24
	v_or_b32_e32 v59, 0xb000, v24
	v_xor_b32_e32 v24, 0x440, v27
	v_cmp_eq_u32_e32 vcc, 0, v6
	s_add_i32 s2, s3, s2
	s_add_i32 s21, s21, s44
	v_xor_b32_e32 v28, v48, v7
	v_xor_b32_e32 v29, v49, v7
	v_cndmask_b32_e32 v6, v24, v27, vcc
	s_add_i32 s3, s2, s24
	s_lshl_b64 s[24:25], s[20:21], 2
	s_mov_b32 s56, 0x1000504
	v_lshlrev_b32_e32 v25, 8, v42
	v_lshlrev_b32_e32 v26, 8, v26
	;; [unrolled: 1-line block ×4, first 2 shown]
	v_lshl_or_b32 v5, v5, 10, v6
	s_mul_i32 s2, s33, s22
	s_add_u32 s21, s10, s24
	s_mov_b32 s57, 0x3020706
	v_or_b32_e32 v56, 0xa000, v30
	v_or_b32_e32 v57, 0xb000, v30
	;; [unrolled: 1-line block ×5, first 2 shown]
	v_xor_b32_e32 v6, 8, v5
	v_xor_b32_e32 v25, 24, v5
	;; [unrolled: 1-line block ×4, first 2 shown]
	s_addc_u32 s24, s11, s25
	s_lshl_b64 s[2:3], s[2:3], 2
	v_or_b32_e32 v62, v26, v28
	v_xor_b32_e32 v24, 16, v5
	v_xor_b32_e32 v26, 32, v5
	;; [unrolled: 1-line block ×3, first 2 shown]
	v_add_u32_e32 v6, 0x80, v6
	v_add_u32_e32 v25, 0x80, v25
	;; [unrolled: 1-line block ×4, first 2 shown]
	s_add_u32 s2, s21, s2
	s_addc_u32 s3, s24, s3
	s_movk_i32 s24, 0xf8
	s_ashr_i32 s37, s36, 31
	s_lshl_b32 s30, s19, 7
	s_movk_i32 s28, 0x100
	v_mov_b32_e32 v35, 0
	v_lshlrev_b32_e32 v34, 4, v42
	v_cmp_gt_u32_e32 vcc, s28, v0
	s_mov_b32 s58, 0
	s_movk_i32 s21, 0x1000
	s_movk_i32 s26, 0x4000
	v_add_u32_e32 v93, v1, v2
	v_mov_b32_e32 v94, 0x3fb8aa3b
	v_mov_b32_e32 v76, v35
	;; [unrolled: 1-line block ×13, first 2 shown]
	s_waitcnt vmcnt(1)
	v_perm_b32 v30, v8, v16, s56
	s_waitcnt vmcnt(0)
	v_perm_b32 v31, v12, v20, s56
	v_perm_b32 v8, v8, v16, s57
	;; [unrolled: 1-line block ×15, first 2 shown]
	ds_write2st64_b32 v5, v30, v31 offset0:32 offset1:64
	ds_write2st64_b32 v6, v8, v12 offset0:32 offset1:64
	;; [unrolled: 1-line block ×8, first 2 shown]
	v_or_b32_e32 v5, v1, v42
	v_lshlrev_b32_e32 v5, 3, v5
	v_lshrrev_b32_e32 v8, 5, v43
	v_and_or_b32 v8, v5, s24, v8
	v_lshlrev_b32_e32 v8, 4, v8
	v_lshlrev_b32_e32 v9, 11, v44
	v_and_b32_e32 v5, 0x78, v5
	v_or_b32_e32 v13, 32, v8
	v_and_b32_e32 v6, 0x1000, v9
	v_lshrrev_b32_e32 v11, 1, v0
	v_xor_b32_e32 v13, v13, v5
	v_and_b32_e32 v12, 8, v11
	v_or_b32_e32 v13, v13, v6
	v_xor_b32_e32 v10, v8, v5
	v_xor_b32_e32 v78, v13, v12
	v_or_b32_e32 v13, 64, v8
	v_or_b32_e32 v8, 0x60, v8
	v_xor_b32_e32 v13, v13, v5
	v_xor_b32_e32 v5, v8, v5
	v_or_b32_e32 v10, v10, v6
	v_or_b32_e32 v13, v13, v6
	;; [unrolled: 1-line block ×3, first 2 shown]
	s_lshl_b64 s[24:25], s[36:37], 8
	v_xor_b32_e32 v70, v10, v12
	v_xor_b32_e32 v80, v13, v12
	;; [unrolled: 1-line block ×3, first 2 shown]
	v_lshlrev_b32_e32 v12, 1, v4
	v_add_lshl_u32 v13, v4, s19, 1
	s_add_u32 s24, s12, s24
	v_lshlrev_b32_e32 v4, 1, v42
	v_lshrrev_b32_e32 v15, 4, v0
	s_addc_u32 s25, s13, s25
	v_or_b32_e32 v5, 1, v4
	v_mov_b32_e32 v19, 0x4000
	v_mov_b32_e32 v20, 0x2000
	v_xor_b32_e32 v16, v15, v4
	v_xor_b32_e32 v17, v5, v15
	v_lshl_add_u64 v[4:5], s[24:25], 0, v[34:35]
	v_lshlrev_b32_e32 v34, 8, v15
	v_cndmask_b32_e32 v19, v19, v20, vcc
	v_lshlrev_b32_e32 v20, 3, v44
	v_and_b32_e32 v11, 24, v11
	v_lshl_or_b32 v84, v16, 3, v34
	v_and_b32_e32 v16, 8, v0
	v_xor_b32_e32 v21, v20, v11
	v_or_b32_e32 v22, 0x440, v21
	v_cmp_eq_u32_e32 vcc, 0, v16
	v_and_b32_e32 v15, 7, v0
	v_lshlrev_b32_e32 v10, 7, v45
	v_cndmask_b32_e32 v16, v22, v21, vcc
	v_lshl_or_b32 v85, v17, 3, v34
	v_lshlrev_b32_e32 v17, 3, v15
	v_lshlrev_b32_e32 v15, 7, v15
	;; [unrolled: 1-line block ×3, first 2 shown]
	v_or_b32_e32 v16, v16, v9
	v_or_b32_e32 v7, v10, v7
	v_xad_u32 v86, v16, v17, v15
	v_and_or_b32 v10, v18, 60, v10
	v_mov_b32_e32 v16, 0xb000
	v_lshl_or_b32 v87, v10, 1, v16
	v_or_b32_e32 v10, 32, v11
	v_xor_b32_e32 v10, v20, v10
	v_or_b32_e32 v16, 0x440, v10
	v_cndmask_b32_e32 v10, v16, v10, vcc
	v_or_b32_e32 v10, v10, v9
	v_xad_u32 v88, v10, v17, v15
	v_or_b32_e32 v10, 64, v11
	v_xor_b32_e32 v10, v20, v10
	v_xor_b32_e32 v16, 0x440, v10
	v_cndmask_b32_e32 v10, v16, v10, vcc
	v_or_b32_e32 v10, v10, v9
	v_xad_u32 v89, v10, v17, v15
	v_or_b32_e32 v10, 0x60, v11
	v_xor_b32_e32 v10, v20, v10
	v_xor_b32_e32 v11, 0x440, v10
	v_lshlrev_b32_e32 v7, 1, v7
	v_or_b32_e32 v6, s36, v42
	v_cndmask_b32_e32 v10, v11, v10, vcc
	v_or_b32_e32 v74, 0xa000, v7
	v_or_b32_e32 v79, 0xa080, v7
	;; [unrolled: 1-line block ×4, first 2 shown]
	v_ashrrev_i32_e32 v7, 31, v6
	v_or_b32_e32 v9, v10, v9
	v_lshlrev_b32_e32 v8, 7, v48
	v_or_b32_e32 v14, 0x100, v3
	v_xad_u32 v90, v9, v17, v15
	v_lshlrev_b64 v[6:7], 1, v[6:7]
	v_cndmask_b32_e64 v91, v12, v3, s[0:1]
	v_cndmask_b32_e64 v92, v13, v14, s[0:1]
	v_lshl_add_u64 v[36:37], s[8:9], 0, v[6:7]
	v_lshl_add_u64 v[38:39], s[14:15], 0, v[6:7]
	;; [unrolled: 1-line block ×3, first 2 shown]
	s_mov_b32 s37, 0x7060302
	v_lshlrev_b32_e32 v34, 1, v8
	v_add_u32_e32 v95, v19, v86
	v_add_u32_e32 v96, v19, v88
	;; [unrolled: 1-line block ×4, first 2 shown]
	v_mov_b32_e32 v65, v35
	v_mov_b32_e32 v64, v35
	v_mov_b32_e32 v66, v35
	v_mov_b32_e32 v100, v35
	s_waitcnt lgkmcnt(0)
	s_barrier
.LBB359_6:                              ; =>This Inner Loop Header: Depth=1
	s_add_i32 s59, s58, 1
	s_cmp_lt_i32 s59, s45
	s_mov_b64 s[28:29], 0
	s_cselect_b64 s[40:41], -1, 0
	s_cmp_ge_i32 s59, s45
	s_mov_b64 s[24:25], 0
	s_cbranch_scc1 .LBB359_8
; %bb.7:                                ;   in Loop: Header=BB359_6 Depth=1
	s_add_i32 s0, s52, 64
	s_ashr_i32 s1, s0, 31
	s_add_u32 s0, s49, s0
	s_addc_u32 s1, s48, s1
	s_lshl_b64 s[0:1], s[0:1], 8
	s_add_u32 s24, s6, s0
	s_addc_u32 s25, s7, s1
.LBB359_8:                              ;   in Loop: Header=BB359_6 Depth=1
	v_cndmask_b32_e64 v2, 0, 1, s[40:41]
	v_cmp_ne_u32_e64 s[0:1], 1, v2
	s_andn2_b64 vcc, exec, s[40:41]
	s_cbranch_vccnz .LBB359_10
; %bb.9:                                ;   in Loop: Header=BB359_6 Depth=1
	s_add_i32 s28, s52, 64
	s_mul_hi_i32 s29, s28, s18
	s_mul_i32 s28, s28, s18
	s_add_u32 s28, s28, s50
	s_addc_u32 s29, s29, s54
	s_lshl_b64 s[28:29], s[28:29], 8
	s_add_u32 s28, s4, s28
	s_addc_u32 s29, s5, s29
.LBB359_10:                             ;   in Loop: Header=BB359_6 Depth=1
	v_perm_b32 v3, v101, v77, s37
	v_perm_b32 v2, v75, v76, s37
	;; [unrolled: 1-line block ×4, first 2 shown]
	ds_write_b64 v56, v[2:3]
	ds_write_b64 v57, v[4:5]
	;; [unrolled: 1-line block ×4, first 2 shown]
	v_perm_b32 v3, v102, v69, s37
	v_perm_b32 v2, v67, v68, s37
	;; [unrolled: 1-line block ×4, first 2 shown]
	ds_write_b64 v58, v[2:3]
	ds_write_b64 v59, v[4:5]
	;; [unrolled: 1-line block ×4, first 2 shown]
	s_waitcnt lgkmcnt(0)
	s_barrier
	ds_read_b64 v[6:7], v70 offset:24576
	ds_read2_b64 v[2:5], v74 offset1:16
	ds_read_b64 v[10:11], v79 offset:3072
	ds_read_b64 v[12:13], v74 offset:3072
	ds_read_b64 v[14:15], v78 offset:24576
	s_waitcnt lgkmcnt(3)
	v_mfma_f32_16x16x16_bf16 a[0:3], v[6:7], v[2:3], 0
	s_add_i32 s31, s52, 63
	s_ashr_i32 s40, s31, 31
	s_mul_i32 s41, s31, s35
	v_mfma_f32_16x16x16_bf16 a[4:7], v[6:7], v[4:5], 0
	ds_read2st64_b64 v[2:5], v74 offset0:2 offset1:4
	s_mul_hi_u32 s60, s31, s34
	s_add_i32 s41, s60, s41
	s_waitcnt lgkmcnt(0)
	v_mfma_f32_16x16x16_bf16 a[0:3], v[14:15], v[2:3], a[0:3]
	ds_read2st64_b64 v[6:9], v79 offset0:2 offset1:4
	ds_read_b64 v[2:3], v80 offset:24576
	s_mul_i32 s40, s40, s34
	s_add_i32 s41, s41, s40
	s_waitcnt lgkmcnt(1)
	v_mfma_f32_16x16x16_bf16 a[4:7], v[14:15], v[6:7], a[4:7]
	ds_read_b64 v[6:7], v81 offset:24576
	s_mul_i32 s40, s31, s34
	s_lshl_b64 s[40:41], s[40:41], 2
	s_waitcnt lgkmcnt(1)
	v_mfma_f32_16x16x16_bf16 a[0:3], v[2:3], v[4:5], a[0:3]
	s_add_u32 s40, s2, s40
	s_addc_u32 s41, s3, s41
	s_and_b64 vcc, exec, s[0:1]
	v_mfma_f32_16x16x16_bf16 a[8:11], v[2:3], v[8:9], a[4:7]
	v_mov_b32_e32 v105, 0
	v_mov_b32_e32 v104, 0
	;; [unrolled: 1-line block ×3, first 2 shown]
	s_waitcnt lgkmcnt(0)
	v_mfma_f32_16x16x16_bf16 a[4:7], v[6:7], v[12:13], a[0:3]
	v_mov_b32_e32 v2, 0
	v_mov_b32_e32 v3, 0
	;; [unrolled: 1-line block ×3, first 2 shown]
	v_mfma_f32_16x16x16_bf16 a[0:3], v[6:7], v[10:11], a[8:11]
	v_mov_b32_e32 v5, 0
	v_mov_b32_e32 v6, 0
	;; [unrolled: 1-line block ×13, first 2 shown]
	s_cbranch_vccnz .LBB359_12
; %bb.11:                               ;   in Loop: Header=BB359_6 Depth=1
	s_and_b32 s25, s25, 0xffff
	buffer_load_dwordx4 v[14:17], v52, s[24:27], 0 offen
	buffer_load_dwordx4 v[10:13], v52, s[24:27], s55 offen
	;; [unrolled: 1-line block ×4, first 2 shown]
	v_mov_b32_e32 v104, v54
	v_mov_b32_e32 v103, v55
.LBB359_12:                             ;   in Loop: Header=BB359_6 Depth=1
	s_waitcnt vmcnt(3)
	ds_read_b64 v[26:27], v70 offset:32768
	s_waitcnt vmcnt(2)
	ds_read2_b64 v[18:21], v82 offset1:16
	ds_read_b64 v[28:29], v78 offset:32768
	ds_read_b64 v[30:31], v80 offset:32768
	;; [unrolled: 1-line block ×3, first 2 shown]
	v_add_u32_e32 v106, s52, v93
	s_waitcnt lgkmcnt(3)
	v_mfma_f32_16x16x16_bf16 a[4:7], v[26:27], v[18:19], a[4:7]
	v_ashrrev_i32_e32 v18, 31, v106
	ds_read2st64_b64 v[22:25], v82 offset0:2 offset1:4
	v_mfma_f32_16x16x16_bf16 a[0:3], v[26:27], v[20:21], a[0:3]
	v_mul_lo_u32 v20, v18, s34
	v_mul_lo_u32 v21, v106, s35
	v_mad_u64_u32 v[18:19], s[24:25], v106, s34, 0
	v_add3_u32 v19, v19, v21, v20
	v_add_u32_e32 v20, 1, v106
	v_ashrrev_i32_e32 v21, 31, v20
	v_mul_lo_u32 v26, v21, s34
	v_mul_lo_u32 v27, v20, s35
	v_mad_u64_u32 v[20:21], s[24:25], v20, s34, 0
	v_add3_u32 v21, v21, v27, v26
	v_add_u32_e32 v26, 2, v106
	v_ashrrev_i32_e32 v27, 31, v26
	v_mul_lo_u32 v107, v27, s34
	v_mul_lo_u32 v108, v26, s35
	v_mad_u64_u32 v[26:27], s[24:25], v26, s34, 0
	v_add_u32_e32 v106, 3, v106
	v_add3_u32 v27, v27, v108, v107
	v_ashrrev_i32_e32 v107, 31, v106
	v_mul_lo_u32 v108, v107, s34
	v_mul_lo_u32 v109, v106, s35
	v_mad_u64_u32 v[106:107], s[24:25], v106, s34, 0
	s_ashr_i32 s25, s52, 31
	v_add3_u32 v107, v107, v109, v108
	s_add_u32 s24, s49, s52
	v_lshl_add_u64 v[18:19], v[18:19], 2, s[2:3]
	v_lshl_add_u64 v[106:107], v[106:107], 2, s[2:3]
	s_addc_u32 s25, s48, s25
	v_lshl_add_u64 v[20:21], v[20:21], 2, s[2:3]
	v_lshl_add_u64 v[26:27], v[26:27], 2, s[2:3]
	global_load_dword v108, v[18:19], off
	global_load_dword v109, v[20:21], off
	;; [unrolled: 1-line block ×3, first 2 shown]
	s_nop 0
	global_load_dword v106, v[106:107], off
	s_lshl_b64 s[60:61], s[24:25], 8
	v_lshl_add_u64 v[18:19], v[36:37], 0, s[60:61]
	v_lshl_add_u64 v[26:27], v[18:19], 0, v[34:35]
	global_load_ushort v107, v[26:27], off offset:256
	global_load_ushort v111, v[26:27], off
	ds_read2st64_b64 v[18:21], v83 offset0:2 offset1:4
	global_load_ushort v112, v[26:27], off offset:768
	global_load_ushort v113, v[26:27], off offset:512
	;; [unrolled: 1-line block ×6, first 2 shown]
	s_waitcnt lgkmcnt(1)
	v_mfma_f32_16x16x16_bf16 a[4:7], v[28:29], v[22:23], a[4:7]
	s_and_b64 vcc, exec, s[0:1]
	s_waitcnt vmcnt(7)
	v_lshlrev_b32_e32 v27, 16, v107
	s_waitcnt lgkmcnt(0)
	v_mfma_f32_16x16x16_bf16 a[0:3], v[28:29], v[18:19], a[0:3]
	v_mfma_f32_16x16x16_bf16 a[4:7], v[30:31], v[24:25], a[4:7]
	;; [unrolled: 1-line block ×3, first 2 shown]
	ds_read_b64 v[18:19], v82 offset:3072
	ds_read_b64 v[20:21], v83 offset:3072
	s_load_dword s24, s[40:41], 0x0
	s_waitcnt lgkmcnt(0)
	v_sub_f32_e32 v26, s24, v108
	v_mfma_f32_16x16x16_bf16 a[4:7], v[32:33], v[18:19], a[4:7]
	v_sub_f32_e32 v29, s24, v109
	v_sub_f32_e32 v30, s24, v110
	;; [unrolled: 1-line block ×3, first 2 shown]
	v_mul_f32_e32 v28, 0x3fb8aa3b, v26
	v_mul_f32_e32 v29, 0x3fb8aa3b, v29
	;; [unrolled: 1-line block ×4, first 2 shown]
	v_mfma_f32_16x16x16_bf16 a[0:3], v[32:33], v[20:21], a[0:3]
	v_accvgpr_read_b32 v25, a5
	v_exp_f32_e32 v28, v28
	v_exp_f32_e32 v29, v29
	v_exp_f32_e32 v30, v30
	v_exp_f32_e32 v31, v31
	v_accvgpr_read_b32 v24, a4
	s_waitcnt vmcnt(6)
	v_lshlrev_b32_e32 v26, 16, v111
	v_lshl_add_u64 v[18:19], v[38:39], 0, s[60:61]
	v_accvgpr_read_b32 v21, a7
	v_accvgpr_read_b32 v20, a6
	v_pk_add_f32 v[24:25], v[26:27], v[24:25] neg_lo:[0,1] neg_hi:[0,1]
	s_waitcnt vmcnt(5)
	v_lshlrev_b32_e32 v27, 16, v112
	s_waitcnt vmcnt(4)
	v_lshlrev_b32_e32 v26, 16, v113
	v_lshl_add_u64 v[18:19], v[18:19], 0, v[34:35]
	v_pk_add_f32 v[20:21], v[26:27], v[20:21] neg_lo:[0,1] neg_hi:[0,1]
	global_store_short_d16_hi v[18:19], v24, off
	global_store_short_d16_hi v[18:19], v25, off offset:256
	global_store_short_d16_hi v[18:19], v20, off offset:512
	;; [unrolled: 1-line block ×3, first 2 shown]
	v_pk_mul_f32 v[24:25], v[28:29], v[24:25]
	v_pk_mul_f32 v[20:21], v[30:31], v[20:21]
	v_accvgpr_read_b32 v27, a1
	v_perm_b32 v21, v21, v20, s37
	v_perm_b32 v20, v25, v24, s37
	s_waitcnt vmcnt(5)
	v_lshlrev_b32_e32 v25, 16, v116
	s_waitcnt vmcnt(4)
	v_lshlrev_b32_e32 v24, 16, v117
	v_accvgpr_read_b32 v26, a0
	v_accvgpr_read_b32 v23, a3
	;; [unrolled: 1-line block ×3, first 2 shown]
	v_pk_add_f32 v[24:25], v[24:25], v[26:27] neg_lo:[0,1] neg_hi:[0,1]
	v_lshlrev_b32_e32 v27, 16, v114
	v_lshlrev_b32_e32 v26, 16, v115
	v_pk_add_f32 v[22:23], v[26:27], v[22:23] neg_lo:[0,1] neg_hi:[0,1]
	global_store_short_d16_hi v[18:19], v24, off offset:32
	global_store_short_d16_hi v[18:19], v25, off offset:288
	global_store_short_d16_hi v[18:19], v22, off offset:544
	global_store_short_d16_hi v[18:19], v23, off offset:800
	v_pk_mul_f32 v[18:19], v[28:29], v[24:25]
	v_pk_mul_f32 v[22:23], v[30:31], v[22:23]
	v_mov_b32_e32 v106, 0
	v_perm_b32 v23, v23, v22, s37
	v_perm_b32 v22, v19, v18, s37
	ds_write2_b64 v57, v[20:21], v[22:23] offset1:16
	v_mov_b32_e32 v18, 0
	v_mov_b32_e32 v19, 0
	;; [unrolled: 1-line block ×16, first 2 shown]
	s_cbranch_vccnz .LBB359_14
; %bb.13:                               ;   in Loop: Header=BB359_6 Depth=1
	s_and_b32 s29, s29, 0xffff
	s_mov_b32 s31, s27
	buffer_load_dwordx4 v[30:33], v91, s[28:31], 0 offen
	buffer_load_dwordx4 v[22:25], v91, s[28:31], s55 offen
	;; [unrolled: 1-line block ×4, first 2 shown]
	v_mov_b32_e32 v105, v51
	v_mov_b32_e32 v106, v50
.LBB359_14:                             ;   in Loop: Header=BB359_6 Depth=1
	s_waitcnt lgkmcnt(0)
	s_barrier
	ds_read_b64 v[112:113], v95
	ds_read_b64 v[120:121], v87
	;; [unrolled: 1-line block ×5, first 2 shown]
	ds_read_b64 v[126:127], v88 offset:16384
	ds_read_b64 v[128:129], v86 offset:16384
	ds_read2_b64 v[108:111], v82 offset0:16 offset1:128
	s_waitcnt lgkmcnt(6)
	v_mfma_f32_16x16x16_bf16 a[0:3], v[112:113], v[120:121], 0
	ds_read_b64 v[130:131], v83 offset:3072
	ds_read_b64 v[132:133], v90 offset:16384
	s_add_i32 s25, s46, s58
	s_waitcnt lgkmcnt(2)
	v_mfma_f32_16x16x16_bf16 a[4:7], v[112:113], v[108:109], 0
	ds_read2st64_b64 v[112:115], v83 offset0:2 offset1:4
	s_mul_hi_i32 s29, s25, s51
	s_mul_i32 s25, s25, s51
	v_mfma_f32_16x16x16_bf16 a[0:3], v[116:117], v[110:111], a[0:3]
	s_add_u32 s28, s25, s33
	s_addc_u32 s29, s29, s53
	s_lshl_b64 s[28:29], s[28:29], 15
	s_waitcnt lgkmcnt(0)
	v_mfma_f32_16x16x16_bf16 a[4:7], v[116:117], v[112:113], a[4:7]
	ds_read2st64_b64 v[116:119], v82 offset0:4 offset1:6
	s_waitcnt lgkmcnt(0)
	v_mfma_f32_16x16x16_bf16 a[0:3], v[122:123], v[116:117], a[0:3]
	v_mfma_f32_16x16x16_bf16 a[8:11], v[122:123], v[114:115], a[4:7]
	;; [unrolled: 1-line block ×5, first 2 shown]
	ds_read2st64_b64 v[120:123], v85 offset1:8
	v_mfma_f32_16x16x16_bf16 a[12:15], v[128:129], v[108:109], 0
	ds_read_b64 v[128:129], v89 offset:16384
	v_mfma_f32_16x16x16_bf16 a[8:11], v[126:127], v[110:111], a[8:11]
	ds_read2st64_b64 v[108:111], v84 offset1:8
	s_waitcnt lgkmcnt(0)
	v_mov_b32_e32 v124, v108
	v_mfma_f32_16x16x16_bf16 a[12:15], v[126:127], v[112:113], a[12:15]
	v_lshl_add_u64 v[112:113], v[40:41], 0, s[28:29]
	v_add_co_u32_e32 v108, vcc, s21, v112
	v_mfma_f32_16x16x16_bf16 a[8:11], v[128:129], v[116:117], a[8:11]
	v_mov_b32_e32 v125, v109
	v_addc_co_u32_e32 v109, vcc, 0, v113, vcc
	v_mfma_f32_16x16x16_bf16 a[16:19], v[128:129], v[114:115], a[12:15]
	v_mov_b32_e32 v126, v120
	v_mov_b32_e32 v127, v121
	;; [unrolled: 1-line block ×3, first 2 shown]
	v_mfma_f32_16x16x16_bf16 a[12:15], v[132:133], v[118:119], a[8:11]
	v_mov_b32_e32 v121, v111
	s_and_b64 vcc, exec, s[0:1]
	global_store_dwordx4 v[112:113], v[124:127], off
	v_mfma_f32_16x16x16_bf16 a[8:11], v[132:133], v[130:131], a[16:19]
	global_store_dwordx4 v[108:109], v[120:123], off
	s_cbranch_vccnz .LBB359_16
; %bb.15:                               ;   in Loop: Header=BB359_6 Depth=1
	v_lshrrev_b32_e32 v107, 3, v105
	v_and_b32_e32 v107, 6, v107
	v_xor_b32_e32 v106, v107, v106
	v_lshlrev_b32_e32 v106, 2, v106
	v_and_b32_e32 v105, 8, v105
	v_xor_b32_e32 v108, 0x440, v106
	v_cmp_eq_u32_e32 vcc, 0, v105
	s_barrier
	s_nop 0
	v_cndmask_b32_e32 v105, v108, v106, vcc
	v_lshl_or_b32 v105, v107, 10, v105
	s_waitcnt vmcnt(3)
	v_perm_b32 v106, v30, v26, s56
	s_waitcnt vmcnt(2)
	v_perm_b32 v107, v22, v18, s56
	ds_write2st64_b32 v105, v106, v107 offset0:32 offset1:64
	v_xor_b32_e32 v106, 8, v105
	v_perm_b32 v26, v30, v26, s57
	v_perm_b32 v18, v22, v18, s57
	v_add_u32_e32 v22, 0x80, v106
	ds_write2st64_b32 v22, v26, v18 offset0:32 offset1:64
	v_xor_b32_e32 v18, 16, v105
	v_perm_b32 v22, v31, v27, s56
	v_perm_b32 v26, v23, v19, s56
	ds_write2st64_b32 v18, v22, v26 offset0:33 offset1:65
	v_xor_b32_e32 v18, 24, v105
	v_perm_b32 v22, v31, v27, s57
	v_perm_b32 v19, v23, v19, s57
	v_add_u32_e32 v18, 0x80, v18
	ds_write2st64_b32 v18, v22, v19 offset0:33 offset1:65
	v_xor_b32_e32 v18, 32, v105
	v_perm_b32 v19, v32, v28, s56
	v_perm_b32 v22, v24, v20, s56
	ds_write2st64_b32 v18, v19, v22 offset0:34 offset1:66
	v_xor_b32_e32 v18, 40, v105
	v_perm_b32 v19, v32, v28, s57
	v_perm_b32 v20, v24, v20, s57
	v_add_u32_e32 v18, 0x80, v18
	ds_write2st64_b32 v18, v19, v20 offset0:34 offset1:66
	v_xor_b32_e32 v18, 48, v105
	v_perm_b32 v19, v33, v29, s56
	v_perm_b32 v20, v25, v21, s56
	ds_write2st64_b32 v18, v19, v20 offset0:35 offset1:67
	v_xor_b32_e32 v18, 56, v105
	v_perm_b32 v19, v33, v29, s57
	v_perm_b32 v20, v25, v21, s57
	v_add_u32_e32 v18, 0x80, v18
	ds_write2st64_b32 v18, v19, v20 offset0:35 offset1:67
	ds_write_b64 v104, v[14:15] offset:24576
	v_xor_b32_e32 v14, 8, v104
	ds_write_b64 v14, v[16:17] offset:24576
	ds_write_b64 v104, v[10:11] offset:32768
	;; [unrolled: 1-line block ×4, first 2 shown]
	v_xor_b32_e32 v6, 8, v103
	ds_write_b64 v6, v[8:9] offset:24576
	ds_write_b64 v103, v[2:3] offset:32768
	;; [unrolled: 1-line block ×3, first 2 shown]
.LBB359_16:                             ;   in Loop: Header=BB359_6 Depth=1
	v_mul_f32_e32 v2, s24, v94
	v_exp_f32_e32 v2, v2
	v_accvgpr_read_b32 v3, a4
	v_accvgpr_read_b32 v4, a5
	;; [unrolled: 1-line block ×3, first 2 shown]
	v_fma_f32 v76, v76, v2, v3
	v_accvgpr_read_b32 v3, a6
	v_fma_f32 v77, v77, v2, v3
	v_accvgpr_read_b32 v3, a0
	;; [unrolled: 2-line block ×11, first 2 shown]
	v_accvgpr_read_b32 v6, a15
	v_fma_f32 v66, v66, v2, v3
	v_accvgpr_read_b32 v3, a11
	s_add_i32 s52, s52, 64
	v_fmac_f32_e32 v5, v101, v2
	v_fmac_f32_e32 v4, v102, v2
	;; [unrolled: 1-line block ×3, first 2 shown]
	s_cmp_eq_u32 s45, s59
	v_fmac_f32_e32 v3, v100, v2
	s_cbranch_scc1 .LBB359_18
; %bb.17:                               ;   in Loop: Header=BB359_6 Depth=1
	s_mov_b32 s58, s59
	v_mov_b32_e32 v101, v5
	v_mov_b32_e32 v99, v6
	;; [unrolled: 1-line block ×4, first 2 shown]
	s_branch .LBB359_6
.LBB359_18:
	s_lshl_b32 s0, s45, 6
	s_sub_i32 s47, s47, s0
	s_cmp_gt_i32 s47, 0
	s_cbranch_scc0 .LBB359_83
; %bb.19:
	s_add_i32 s38, s0, s38
	s_ashr_i32 s2, s38, 31
	s_cmpk_lg_i32 s19, 0x80
	s_cselect_b64 s[30:31], -1, 0
	s_and_b64 vcc, exec, s[30:31]
	s_cbranch_vccz .LBB359_21
; %bb.20:
	s_mul_i32 s1, s38, s18
	s_ashr_i32 s3, s50, 31
	s_mul_hi_i32 s0, s38, s18
	s_add_u32 s40, s1, s50
	s_addc_u32 s41, s0, s3
	s_cbranch_execz .LBB359_22
	s_branch .LBB359_23
.LBB359_21:
                                        ; implicit-def: $sgpr40_sgpr41
.LBB359_22:
	s_mul_i32 s1, s50, s16
	s_mul_hi_i32 s0, s50, s16
	s_add_u32 s40, s1, s38
	s_addc_u32 s41, s0, s2
.LBB359_23:
	s_add_i32 s3, s45, s46
	s_ashr_i32 s16, s33, 31
	s_add_u32 s0, s49, s38
	s_addc_u32 s1, s48, s2
	v_lshlrev_b32_e32 v10, 5, v48
	s_waitcnt vmcnt(4)
	v_lshlrev_b32_e32 v22, 2, v42
	s_mov_b32 s2, 0x7060302
	v_xor_b32_e32 v2, v48, v22
	v_perm_b32 v9, v5, v77, s2
	v_or_b32_e32 v5, v10, v22
	v_perm_b32 v8, v75, v76, s2
	v_perm_b32 v7, v6, v73, s2
	;; [unrolled: 1-line block ×3, first 2 shown]
	v_lshlrev_b32_e32 v5, 1, v5
	v_lshlrev_b32_e32 v12, 1, v2
	;; [unrolled: 1-line block ×3, first 2 shown]
	s_lshl_b64 s[28:29], s[0:1], 8
	v_xor_b32_e32 v11, v49, v22
	ds_write2st64_b64 v5, v[8:9], v[6:7] offset0:80 offset1:88
	v_or_b32_e32 v5, v12, v2
	s_add_u32 s0, s6, s28
	ds_write_b64 v5, v[8:9]
	v_lshlrev_b32_e32 v8, 1, v11
	s_addc_u32 s1, s7, s29
	v_or_b32_e32 v2, v8, v2
	s_mul_hi_i32 s6, s3, s17
	s_mul_i32 s3, s3, s17
	ds_write_b64 v2, v[6:7]
	v_perm_b32 v5, v4, v69, s2
	v_perm_b32 v4, v67, v68, s2
	;; [unrolled: 1-line block ×4, first 2 shown]
	v_or_b32_e32 v6, 16, v42
	s_add_u32 s2, s3, s33
	s_waitcnt vmcnt(2)
	v_lshlrev_b32_e32 v19, 2, v6
	s_addc_u32 s3, s6, s16
	v_or_b32_e32 v7, v10, v19
	s_ashr_i32 s37, s36, 31
	s_lshl_b64 s[2:3], s[2:3], 15
	v_lshlrev_b32_e32 v7, 1, v7
	v_lshlrev_b32_e32 v6, 8, v6
	s_add_u32 s6, s12, s2
	ds_write2st64_b64 v7, v[4:5], v[2:3] offset0:80 offset1:88
	v_or_b32_e32 v7, v12, v6
	s_addc_u32 s7, s13, s3
	s_lshl_b64 s[2:3], s[36:37], 8
	ds_write_b64 v7, v[4:5]
	v_or_b32_e32 v4, v8, v6
	s_add_u32 s2, s6, s2
	ds_write_b64 v4, v[2:3]
	v_lshrrev_b32_e32 v2, 4, v0
	s_addc_u32 s3, s7, s3
	v_lshlrev_b32_e32 v3, 1, v42
	v_lshlrev_b32_e32 v10, 4, v42
	v_mov_b32_e32 v11, 0
	v_or_b32_e32 v4, 1, v3
	v_xor_b32_e32 v3, v2, v3
	v_lshl_add_u64 v[12:13], s[2:3], 0, v[10:11]
	v_lshlrev_b32_e32 v10, 8, v2
	v_xor_b32_e32 v6, v4, v2
	v_lshl_or_b32 v2, v3, 3, v10
	s_waitcnt lgkmcnt(0)
	s_barrier
	ds_read2st64_b64 v[2:5], v2 offset1:8
	v_lshl_or_b32 v6, v6, 3, v10
	ds_read2st64_b64 v[6:9], v6 offset1:8
	v_lshl_add_u64 v[14:15], v[12:13], 0, v[10:11]
	s_movk_i32 s2, 0x1000
	s_waitcnt lgkmcnt(1)
	v_mov_b32_e32 v10, v2
	v_add_co_u32_e32 v2, vcc, s2, v14
	s_cmp_lg_u32 s47, 64
	v_mov_b32_e32 v11, v3
	v_addc_co_u32_e32 v3, vcc, 0, v15, vcc
	s_cselect_b64 s[6:7], -1, 0
	v_lshl_or_b32 v23, v44, 3, v47
	s_waitcnt lgkmcnt(0)
	v_mov_b32_e32 v12, v6
	v_mov_b32_e32 v13, v7
	;; [unrolled: 1-line block ×4, first 2 shown]
	s_mov_b32 s24, 0
	v_or_b32_e32 v20, 32, v23
	v_and_b32_e32 v18, 56, v46
	s_and_b64 vcc, exec, s[6:7]
	global_store_dwordx4 v[14:15], v[10:13], off
	global_store_dwordx4 v[2:3], v[6:9], off
	s_cbranch_vccz .LBB359_29
; %bb.24:
	s_mov_b32 s25, s24
	s_mov_b32 s26, s24
	;; [unrolled: 1-line block ×3, first 2 shown]
	v_mov_b64_e32 v[6:7], s[24:25]
	v_mov_b64_e32 v[8:9], s[26:27]
	;; [unrolled: 1-line block ×3, first 2 shown]
	v_cmp_gt_i32_e32 vcc, s47, v23
	v_mov_b64_e32 v[4:5], v[8:9]
	s_and_saveexec_b64 s[2:3], vcc
	s_cbranch_execz .LBB359_26
; %bb.25:
	v_lshlrev_b32_e32 v2, 8, v23
	v_mov_b32_e32 v3, 0
	v_lshl_add_u64 v[4:5], s[0:1], 0, v[2:3]
	v_lshlrev_b32_e32 v2, 1, v18
	v_lshl_add_u64 v[10:11], v[4:5], 0, v[2:3]
	global_load_dwordx4 v[6:9], v[10:11], off
	global_load_dwordx4 v[2:5], v[10:11], off offset:128
.LBB359_26:
	s_or_b64 exec, exec, s[2:3]
	s_mov_b32 s25, s24
	s_mov_b32 s26, s24
	;; [unrolled: 1-line block ×3, first 2 shown]
	v_mov_b64_e32 v[14:15], s[24:25]
	v_mov_b64_e32 v[16:17], s[26:27]
	;; [unrolled: 1-line block ×3, first 2 shown]
	v_cmp_gt_i32_e32 vcc, s47, v20
	v_lshlrev_b32_e32 v21, 7, v20
	v_mov_b64_e32 v[12:13], v[16:17]
	s_and_saveexec_b64 s[2:3], vcc
	s_cbranch_execz .LBB359_28
; %bb.27:
	v_lshlrev_b32_e32 v10, 1, v21
	v_mov_b32_e32 v11, 0
	v_lshl_add_u64 v[12:13], s[0:1], 0, v[10:11]
	v_lshlrev_b32_e32 v10, 1, v18
	v_lshl_add_u64 v[24:25], v[12:13], 0, v[10:11]
	global_load_dwordx4 v[14:17], v[24:25], off
	global_load_dwordx4 v[10:13], v[24:25], off offset:128
.LBB359_28:
	s_or_b64 exec, exec, s[2:3]
	v_lshrrev_b32_e32 v24, 3, v18
	v_lshlrev_b32_e32 v25, 3, v23
	v_or_b32_e32 v24, v25, v24
	v_lshlrev_b32_e32 v24, 4, v24
	v_and_b32_e32 v25, 0x78, v25
	v_xor_b32_e32 v24, v24, v25
	s_branch .LBB359_31
.LBB359_29:
                                        ; implicit-def: $vgpr24
                                        ; implicit-def: $vgpr21
                                        ; implicit-def: $vgpr6_vgpr7_vgpr8_vgpr9
                                        ; implicit-def: $vgpr2_vgpr3_vgpr4_vgpr5
                                        ; implicit-def: $vgpr14_vgpr15_vgpr16_vgpr17
                                        ; implicit-def: $vgpr10_vgpr11_vgpr12_vgpr13
	s_cbranch_execz .LBB359_31
; %bb.30:
	s_waitcnt vmcnt(0)
	v_lshlrev_b32_e32 v2, 1, v18
	v_lshl_or_b32 v21, v23, 8, v2
	s_and_b32 s1, s1, 0xffff
	s_mov_b32 s3, 0x20000
	s_movk_i32 s2, 0x4000
	v_lshl_or_b32 v24, v20, 8, v2
	s_movk_i32 s12, 0x80
	buffer_load_dwordx4 v[6:9], v21, s[0:3], 0 offen
	buffer_load_dwordx4 v[2:5], v21, s[0:3], s12 offen
	;; [unrolled: 1-line block ×4, first 2 shown]
	v_lshrrev_b32_e32 v21, 3, v18
	v_lshlrev_b32_e32 v24, 3, v23
	v_or_b32_e32 v21, v24, v21
	v_lshlrev_b32_e32 v21, 4, v21
	v_and_b32_e32 v24, 0x78, v24
	v_xor_b32_e32 v24, v21, v24
	v_lshlrev_b32_e32 v21, 7, v20
.LBB359_31:
	s_lshl_b64 s[0:1], s[40:41], 8
	s_add_u32 s4, s4, s0
	s_movk_i32 s0, 0x1000
	v_and_or_b32 v20, v21, s0, v24
	s_waitcnt vmcnt(1)
	ds_write_b64 v24, v[6:7] offset:24576
	v_xor_b32_e32 v6, 8, v24
	ds_write_b64 v6, v[8:9] offset:24576
	s_waitcnt vmcnt(0)
	ds_write_b64 v24, v[2:3] offset:32768
	ds_write_b64 v6, v[4:5] offset:32768
	;; [unrolled: 1-line block ×3, first 2 shown]
	v_xor_b32_e32 v2, 8, v20
	ds_write_b64 v2, v[16:17] offset:24576
	ds_write_b64 v20, v[10:11] offset:32768
	;; [unrolled: 1-line block ×3, first 2 shown]
	v_or_b32_e32 v2, v1, v42
	v_lshlrev_b32_e32 v3, 11, v44
	v_lshlrev_b32_e32 v2, 3, v2
	v_and_b32_e32 v6, 0x1000, v3
	v_lshrrev_b32_e32 v3, 5, v43
	s_movk_i32 s13, 0xf8
	v_and_or_b32 v3, v2, s13, v3
	v_lshlrev_b32_e32 v7, 4, v3
	v_and_b32_e32 v8, 0x78, v2
	v_or_b32_e32 v10, 32, v7
	v_lshrrev_b32_e32 v3, 1, v43
	v_xor_b32_e32 v10, v10, v8
	v_xor_b32_e32 v2, v7, v8
	v_and_b32_e32 v9, 8, v3
	v_or_b32_e32 v10, v10, v6
	v_or_b32_e32 v2, v2, v6
	v_xor_b32_e32 v26, v10, v9
	v_or_b32_e32 v10, 64, v7
	v_xor_b32_e32 v25, v2, v9
	v_xor_b32_e32 v10, v10, v8
	s_waitcnt lgkmcnt(0)
	s_barrier
	v_or_b32_e32 v12, v10, v6
	ds_read_b64 v[10:11], v25 offset:24576
	v_lshl_or_b32 v20, v45, 7, v22
	v_lshlrev_b32_e32 v24, 1, v20
	v_add_u32_e32 v2, 0xa000, v24
	ds_read2_b64 v[2:5], v2 offset1:16
	v_or_b32_e32 v7, 0x60, v7
	v_xor_b32_e32 v7, v7, v8
	s_waitcnt lgkmcnt(0)
	v_mfma_f32_16x16x16_bf16 a[0:3], v[10:11], v[2:3], 0
	v_or_b32_e32 v2, 64, v20
	v_or_b32_e32 v6, v7, v6
	v_lshlrev_b32_e32 v29, 1, v2
	v_xor_b32_e32 v27, v12, v9
	v_xor_b32_e32 v28, v6, v9
	ds_read_b64 v[12:13], v26 offset:24576
	ds_read_b64 v[14:15], v27 offset:24576
	;; [unrolled: 1-line block ×3, first 2 shown]
	v_mfma_f32_16x16x16_bf16 a[4:7], v[10:11], v[4:5], 0
	ds_read2st64_b64 v[2:5], v29 offset0:82 offset1:84
	ds_read2st64_b64 v[6:9], v24 offset0:82 offset1:84
	s_addc_u32 s5, s5, s1
	s_add_i32 s2, s39, -1
	s_add_i32 s0, s43, s42
	s_add_i32 s21, s0, s44
	s_mul_i32 s0, s33, s23
	s_mul_hi_u32 s1, s33, s22
	s_ashr_i32 s3, s2, 31
	s_mul_i32 s12, s2, s35
	s_mul_hi_u32 s13, s2, s34
	s_add_i32 s0, s1, s0
	s_mul_i32 s1, s16, s22
	s_add_i32 s12, s13, s12
	s_mul_i32 s3, s3, s34
	s_waitcnt lgkmcnt(1)
	v_mfma_f32_16x16x16_bf16 a[4:7], v[12:13], v[2:3], a[4:7]
	s_add_i32 s1, s0, s1
	s_add_i32 s3, s12, s3
	s_lshl_b64 s[12:13], s[20:21], 2
	s_waitcnt lgkmcnt(0)
	v_mfma_f32_16x16x16_bf16 a[0:3], v[12:13], v[6:7], a[0:3]
	s_mul_i32 s0, s33, s22
	s_add_u32 s10, s10, s12
	s_addc_u32 s11, s11, s13
	s_lshl_b64 s[0:1], s[0:1], 2
	s_mul_i32 s2, s2, s34
	s_add_u32 s10, s10, s0
	ds_read_b64 v[2:3], v24 offset:44032
	v_mfma_f32_16x16x16_bf16 a[4:7], v[14:15], v[4:5], a[4:7]
	ds_read_b64 v[4:5], v29 offset:44032
	s_addc_u32 s11, s11, s1
	s_lshl_b64 s[0:1], s[2:3], 2
	v_mfma_f32_16x16x16_bf16 a[0:3], v[14:15], v[8:9], a[0:3]
	s_add_u32 s0, s10, s0
	s_addc_u32 s1, s11, s1
	s_load_dword s12, s[0:1], 0x0
	s_waitcnt lgkmcnt(0)
	v_mfma_f32_16x16x16_bf16 a[0:3], v[16:17], v[2:3], a[0:3]
	s_and_b64 vcc, exec, s[30:31]
	v_mfma_f32_16x16x16_bf16 a[4:7], v[16:17], v[4:5], a[4:7]
	s_cbranch_vccz .LBB359_42
; %bb.32:
	v_lshlrev_b32_e32 v20, 1, v23
	s_and_b64 vcc, exec, s[6:7]
	s_cbranch_vccz .LBB359_43
; %bb.33:
	v_cmp_gt_i32_e32 vcc, s47, v20
	v_mov_b32_e32 v6, 0
	v_mov_b32_e32 v2, 0
	;; [unrolled: 1-line block ×5, first 2 shown]
	s_and_saveexec_b64 s[0:1], vcc
	s_cbranch_execz .LBB359_35
; %bb.34:
	v_mad_i64_i32 v[2:3], s[2:3], s19, v20, 0
	v_lshl_add_u64 v[2:3], v[2:3], 1, s[4:5]
	v_lshlrev_b32_e32 v4, 1, v18
	v_mov_b32_e32 v5, 0
	v_lshl_add_u64 v[2:3], v[2:3], 0, v[4:5]
	global_load_dwordx4 v[2:5], v[2:3], off
.LBB359_35:
	s_or_b64 exec, exec, s[0:1]
	v_or_b32_e32 v21, 1, v20
	v_cmp_gt_i32_e64 s[0:1], s47, v21
	v_mov_b32_e32 v7, 0
	v_mov_b32_e32 v8, 0
	;; [unrolled: 1-line block ×3, first 2 shown]
	s_and_saveexec_b64 s[2:3], s[0:1]
	s_cbranch_execz .LBB359_37
; %bb.36:
	v_mad_i64_i32 v[6:7], s[16:17], s19, v21, 0
	v_lshl_add_u64 v[6:7], v[6:7], 1, s[4:5]
	v_lshlrev_b32_e32 v8, 1, v18
	v_mov_b32_e32 v9, 0
	v_lshl_add_u64 v[6:7], v[6:7], 0, v[8:9]
	global_load_dwordx4 v[6:9], v[6:7], off
.LBB359_37:
	s_or_b64 exec, exec, s[2:3]
	v_mov_b32_e32 v17, 0
	v_mov_b32_e32 v10, 0
	;; [unrolled: 1-line block ×5, first 2 shown]
	s_and_saveexec_b64 s[2:3], vcc
	s_cbranch_execz .LBB359_39
; %bb.38:
	v_mad_i64_i32 v[10:11], s[16:17], s19, v20, 0
	v_lshl_add_u64 v[10:11], v[10:11], 1, s[4:5]
	v_lshlrev_b32_e32 v12, 1, v18
	v_mov_b32_e32 v13, 0
	v_lshl_add_u64 v[10:11], v[10:11], 0, v[12:13]
	global_load_dwordx4 v[10:13], v[10:11], off offset:128
.LBB359_39:
	s_or_b64 exec, exec, s[2:3]
	v_mov_b32_e32 v16, 0
	v_mov_b32_e32 v15, 0
	;; [unrolled: 1-line block ×3, first 2 shown]
	s_and_saveexec_b64 s[2:3], s[0:1]
	s_cbranch_execz .LBB359_41
; %bb.40:
	v_mad_i64_i32 v[14:15], s[0:1], s19, v21, 0
	v_lshl_add_u64 v[14:15], v[14:15], 1, s[4:5]
	v_lshlrev_b32_e32 v16, 1, v18
	v_mov_b32_e32 v17, 0
	v_lshl_add_u64 v[14:15], v[14:15], 0, v[16:17]
	global_load_dwordx4 v[14:17], v[14:15], off offset:128
.LBB359_41:
	s_or_b64 exec, exec, s[2:3]
	s_branch .LBB359_45
.LBB359_42:
                                        ; implicit-def: $vgpr5
                                        ; implicit-def: $vgpr9
                                        ; implicit-def: $vgpr13
                                        ; implicit-def: $vgpr17
	v_lshrrev_b32_e32 v30, 2, v43
	s_branch .LBB359_46
.LBB359_43:
                                        ; implicit-def: $vgpr5
                                        ; implicit-def: $vgpr9
                                        ; implicit-def: $vgpr13
                                        ; implicit-def: $vgpr17
	s_cbranch_execz .LBB359_45
; %bb.44:
	s_waitcnt vmcnt(0)
	v_mad_u64_u32 v[2:3], s[0:1], v20, s19, v[18:19]
	v_lshlrev_b32_e32 v20, 1, v2
	s_lshl_b32 s2, s19, 7
	s_and_b32 s1, s5, 0xffff
	s_mov_b32 s3, 0x20000
	s_mov_b32 s0, s4
	v_add_lshl_u32 v21, v2, s19, 1
	s_movk_i32 s13, 0x80
	buffer_load_dwordx4 v[2:5], v20, s[0:3], 0 offen
	buffer_load_dwordx4 v[10:13], v20, s[0:3], s13 offen
	;; [unrolled: 1-line block ×4, first 2 shown]
.LBB359_45:
	v_lshrrev_b32_e32 v30, 2, v43
	s_cbranch_execnz .LBB359_58
.LBB359_46:
	s_and_b64 vcc, exec, s[6:7]
	s_cbranch_vccz .LBB359_56
; %bb.47:
	s_waitcnt vmcnt(0)
	v_lshlrev_b32_e32 v7, 1, v23
	v_cmp_gt_i32_e32 vcc, s47, v7
	v_mov_b32_e32 v6, 0
	v_lshlrev_b32_e32 v14, 9, v23
	v_mov_b32_e32 v2, 0
	v_mov_b32_e32 v3, 0
	;; [unrolled: 1-line block ×4, first 2 shown]
	s_and_saveexec_b64 s[0:1], vcc
	s_cbranch_execz .LBB359_49
; %bb.48:
	v_mov_b32_e32 v15, 0
	v_lshl_add_u64 v[2:3], s[4:5], 0, v[14:15]
	v_lshlrev_b32_e32 v4, 1, v18
	v_mov_b32_e32 v5, v15
	v_lshl_add_u64 v[2:3], v[2:3], 0, v[4:5]
	global_load_dwordx4 v[2:5], v[2:3], off
.LBB359_49:
	s_or_b64 exec, exec, s[0:1]
	v_or_b32_e32 v7, 1, v7
	v_cmp_gt_i32_e64 s[0:1], s47, v7
	v_lshlrev_b32_e32 v20, 8, v7
	v_mov_b32_e32 v7, 0
	v_mov_b32_e32 v8, 0
	;; [unrolled: 1-line block ×3, first 2 shown]
	s_and_saveexec_b64 s[2:3], s[0:1]
	s_cbranch_execz .LBB359_51
; %bb.50:
	v_mov_b32_e32 v21, 0
	v_lshl_add_u64 v[6:7], s[4:5], 0, v[20:21]
	v_lshlrev_b32_e32 v8, 1, v18
	v_mov_b32_e32 v9, v21
	v_lshl_add_u64 v[6:7], v[6:7], 0, v[8:9]
	global_load_dwordx4 v[6:9], v[6:7], off
.LBB359_51:
	s_or_b64 exec, exec, s[2:3]
	v_mov_b32_e32 v17, 0
	v_mov_b32_e32 v10, 0
	;; [unrolled: 1-line block ×5, first 2 shown]
	s_and_saveexec_b64 s[2:3], vcc
	s_cbranch_execz .LBB359_53
; %bb.52:
	v_mov_b32_e32 v15, 0
	v_lshl_add_u64 v[10:11], s[4:5], 0, v[14:15]
	v_lshlrev_b32_e32 v14, 1, v18
	v_lshl_add_u64 v[10:11], v[10:11], 0, v[14:15]
	global_load_dwordx4 v[10:13], v[10:11], off offset:128
.LBB359_53:
	s_or_b64 exec, exec, s[2:3]
	v_mov_b32_e32 v16, 0
	v_mov_b32_e32 v15, 0
	;; [unrolled: 1-line block ×3, first 2 shown]
	s_and_saveexec_b64 s[2:3], s[0:1]
	s_cbranch_execz .LBB359_55
; %bb.54:
	v_mov_b32_e32 v21, 0
	v_lshl_add_u64 v[14:15], s[4:5], 0, v[20:21]
	v_lshlrev_b32_e32 v20, 1, v18
	v_lshl_add_u64 v[14:15], v[14:15], 0, v[20:21]
	global_load_dwordx4 v[14:17], v[14:15], off offset:128
.LBB359_55:
	s_or_b64 exec, exec, s[2:3]
	s_branch .LBB359_58
.LBB359_56:
                                        ; implicit-def: $vgpr5
                                        ; implicit-def: $vgpr9
                                        ; implicit-def: $vgpr13
                                        ; implicit-def: $vgpr17
	s_cbranch_execz .LBB359_58
; %bb.57:
	s_waitcnt vmcnt(0)
	v_lshlrev_b32_e32 v2, 1, v18
	v_lshl_or_b32 v18, v23, 9, v2
	s_and_b32 s5, s5, 0xffff
	s_mov_b32 s7, 0x20000
	s_movk_i32 s6, 0x4000
	s_movk_i32 s0, 0x80
	buffer_load_dwordx4 v[2:5], v18, s[4:7], 0 offen
	buffer_load_dwordx4 v[6:9], v18, s[4:7], 0 offen offset:256
	buffer_load_dwordx4 v[10:13], v18, s[4:7], s0 offen
	buffer_load_dwordx4 v[14:17], v18, s[4:7], s0 offen offset:256
.LBB359_58:
	ds_read_b64 v[20:21], v25 offset:32768
	v_add_u32_e32 v18, 0xb000, v24
	ds_read2_b64 v[32:35], v18 offset1:16
	ds_read_b64 v[40:41], v26 offset:32768
	ds_read_b64 v[26:27], v27 offset:32768
	;; [unrolled: 1-line block ×3, first 2 shown]
	v_and_b32_e32 v18, 6, v0
	v_xor_b32_e32 v23, v23, v18
	v_lshlrev_b32_e32 v23, 2, v23
	v_and_b32_e32 v0, 1, v0
	v_xor_b32_e32 v28, 0x440, v23
	v_cmp_eq_u32_e32 vcc, 0, v0
	s_waitcnt lgkmcnt(3)
	v_mfma_f32_16x16x16_bf16 a[0:3], v[20:21], v[32:33], a[0:3]
	s_mov_b32 s0, 0x1000504
	v_cndmask_b32_e32 v0, v28, v23, vcc
	v_lshl_or_b32 v0, v18, 10, v0
	v_mfma_f32_16x16x16_bf16 a[4:7], v[20:21], v[34:35], a[4:7]
	ds_read2st64_b64 v[32:35], v24 offset0:90 offset1:92
	ds_read2st64_b64 v[36:39], v29 offset0:90 offset1:92
	ds_read_b64 v[20:21], v24 offset:48128
	ds_read_b64 v[24:25], v29 offset:48128
	s_waitcnt vmcnt(0)
	v_perm_b32 v18, v2, v6, s0
	s_waitcnt lgkmcnt(3)
	v_mfma_f32_16x16x16_bf16 a[0:3], v[40:41], v[32:33], a[0:3]
	s_mov_b32 s1, 0x3020706
	v_perm_b32 v2, v2, v6, s1
	v_perm_b32 v6, v10, v14, s1
	s_waitcnt lgkmcnt(2)
	v_mfma_f32_16x16x16_bf16 a[4:7], v[40:41], v[36:37], a[4:7]
	v_mfma_f32_16x16x16_bf16 a[0:3], v[26:27], v[34:35], a[0:3]
	;; [unrolled: 1-line block ×3, first 2 shown]
	s_waitcnt lgkmcnt(1)
	v_mfma_f32_16x16x16_bf16 a[4:7], v[44:45], v[20:21], a[0:3]
	v_perm_b32 v20, v10, v14, s0
	ds_write2st64_b32 v0, v18, v20 offset0:32 offset1:64
	v_xor_b32_e32 v18, 8, v0
	v_add_u32_e32 v10, 0x80, v18
	ds_write2st64_b32 v10, v2, v6 offset0:32 offset1:64
	v_xor_b32_e32 v2, 16, v0
	v_perm_b32 v6, v3, v7, s0
	v_perm_b32 v10, v11, v15, s0
	ds_write2st64_b32 v2, v6, v10 offset0:33 offset1:65
	v_xor_b32_e32 v2, 24, v0
	v_perm_b32 v3, v3, v7, s1
	v_perm_b32 v6, v11, v15, s1
	v_add_u32_e32 v2, 0x80, v2
	ds_write2st64_b32 v2, v3, v6 offset0:33 offset1:65
	v_xor_b32_e32 v2, 32, v0
	v_perm_b32 v3, v4, v8, s0
	v_perm_b32 v6, v12, v16, s0
	s_waitcnt lgkmcnt(4)
	v_mfma_f32_16x16x16_bf16 a[0:3], v[44:45], v[24:25], a[8:11]
	ds_write2st64_b32 v2, v3, v6 offset0:34 offset1:66
	v_xor_b32_e32 v2, 40, v0
	v_perm_b32 v3, v4, v8, s1
	v_perm_b32 v4, v12, v16, s1
	v_add_u32_e32 v2, 0x80, v2
	ds_write2st64_b32 v2, v3, v4 offset0:34 offset1:66
	v_xor_b32_e32 v2, 48, v0
	v_perm_b32 v3, v5, v9, s0
	v_perm_b32 v4, v13, v17, s0
	v_xor_b32_e32 v0, 56, v0
	v_and_or_b32 v21, v30, 12, v1
	ds_write2st64_b32 v2, v3, v4 offset0:35 offset1:67
	v_perm_b32 v2, v5, v9, s1
	v_perm_b32 v3, v13, v17, s1
	v_add_u32_e32 v0, 0x80, v0
	v_cmp_gt_i32_e32 vcc, s47, v21
	v_mov_b32_e32 v16, 0
	v_mov_b32_e32 v18, 0
	ds_write2st64_b32 v0, v2, v3 offset0:35 offset1:67
	s_and_saveexec_b64 s[0:1], vcc
	s_cbranch_execz .LBB359_60
; %bb.59:
	v_add_u32_e32 v0, s38, v21
	v_ashrrev_i32_e32 v1, 31, v0
	v_mul_lo_u32 v2, v1, s34
	v_mul_lo_u32 v3, v0, s35
	v_mad_u64_u32 v[0:1], s[2:3], v0, s34, 0
	v_add3_u32 v1, v1, v3, v2
	v_lshl_add_u64 v[0:1], v[0:1], 2, s[10:11]
	global_load_dword v0, v[0:1], off
	s_waitcnt vmcnt(0)
	v_sub_f32_e32 v0, s12, v0
	v_mul_f32_e32 v0, 0x3fb8aa3b, v0
	v_exp_f32_e32 v18, v0
.LBB359_60:
	s_or_b64 exec, exec, s[0:1]
	v_or_b32_e32 v10, 1, v21
	v_cmp_gt_i32_e64 s[0:1], s47, v10
	s_and_saveexec_b64 s[2:3], s[0:1]
	s_cbranch_execz .LBB359_62
; %bb.61:
	v_add_u32_e32 v0, s38, v10
	v_ashrrev_i32_e32 v1, 31, v0
	v_mul_lo_u32 v2, v1, s34
	v_mul_lo_u32 v3, v0, s35
	v_mad_u64_u32 v[0:1], s[4:5], v0, s34, 0
	v_add3_u32 v1, v1, v3, v2
	v_lshl_add_u64 v[0:1], v[0:1], 2, s[10:11]
	global_load_dword v0, v[0:1], off
	s_waitcnt vmcnt(0)
	v_sub_f32_e32 v0, s12, v0
	v_mul_f32_e32 v0, 0x3fb8aa3b, v0
	v_exp_f32_e32 v16, v0
.LBB359_62:
	s_or_b64 exec, exec, s[2:3]
	v_or_b32_e32 v12, 2, v21
	v_cmp_gt_i32_e64 s[2:3], s47, v12
	v_mov_b32_e32 v17, 0
	v_mov_b32_e32 v20, 0
	s_and_saveexec_b64 s[4:5], s[2:3]
	s_cbranch_execz .LBB359_64
; %bb.63:
	v_add_u32_e32 v0, s38, v12
	v_ashrrev_i32_e32 v1, 31, v0
	v_mul_lo_u32 v2, v1, s34
	v_mul_lo_u32 v3, v0, s35
	v_mad_u64_u32 v[0:1], s[6:7], v0, s34, 0
	v_add3_u32 v1, v1, v3, v2
	v_lshl_add_u64 v[0:1], v[0:1], 2, s[10:11]
	global_load_dword v0, v[0:1], off
	s_waitcnt vmcnt(0)
	v_sub_f32_e32 v0, s12, v0
	v_mul_f32_e32 v0, 0x3fb8aa3b, v0
	v_exp_f32_e32 v20, v0
.LBB359_64:
	s_or_b64 exec, exec, s[4:5]
	v_or_b32_e32 v14, 3, v21
	v_cmp_gt_i32_e64 s[4:5], s47, v14
	s_and_saveexec_b64 s[6:7], s[4:5]
	s_cbranch_execz .LBB359_66
; %bb.65:
	v_add_u32_e32 v0, s38, v14
	v_ashrrev_i32_e32 v1, 31, v0
	v_mul_lo_u32 v2, v1, s34
	v_mul_lo_u32 v3, v0, s35
	v_mad_u64_u32 v[0:1], s[16:17], v0, s34, 0
	v_add3_u32 v1, v1, v3, v2
	v_lshl_add_u64 v[0:1], v[0:1], 2, s[10:11]
	global_load_dword v0, v[0:1], off
	s_waitcnt vmcnt(0)
	v_sub_f32_e32 v0, s12, v0
	v_mul_f32_e32 v0, 0x3fb8aa3b, v0
	v_exp_f32_e32 v17, v0
.LBB359_66:
	s_or_b64 exec, exec, s[6:7]
	s_add_u32 s6, s8, s28
	v_or_b32_e32 v4, s36, v42
	s_addc_u32 s7, s9, s29
	s_add_u32 s8, s14, s28
	v_ashrrev_i32_e32 v5, 31, v4
	v_accvgpr_read_b32 v0, a4
	s_addc_u32 s9, s15, s29
	v_lshlrev_b64 v[4:5], 1, v[4:5]
	v_accvgpr_read_b32 v1, a5
	v_accvgpr_read_b32 v2, a6
	;; [unrolled: 1-line block ×3, first 2 shown]
	v_lshl_add_u64 v[6:7], s[6:7], 0, v[4:5]
	v_lshl_add_u64 v[4:5], s[8:9], 0, v[4:5]
	v_mov_b32_e32 v11, 0
	v_lshlrev_b32_e32 v8, 8, v21
	v_mov_b32_e32 v9, 0
	s_and_saveexec_b64 s[6:7], vcc
	s_cbranch_execz .LBB359_68
; %bb.67:
	v_mov_b32_e32 v9, 0
	v_lshl_add_u64 v[24:25], v[6:7], 0, v[8:9]
	global_load_ushort v13, v[24:25], off
	v_lshl_add_u64 v[24:25], v[4:5], 0, v[8:9]
	s_waitcnt vmcnt(0)
	v_lshlrev_b32_e32 v9, 16, v13
	v_sub_f32_e32 v0, v9, v0
	global_store_short_d16_hi v[24:25], v0, off
	v_mul_f32_e32 v0, v18, v0
	v_lshrrev_b32_e32 v9, 16, v0
.LBB359_68:
	s_or_b64 exec, exec, s[6:7]
	v_lshlrev_b32_e32 v10, 8, v10
	s_and_saveexec_b64 s[6:7], s[0:1]
	s_cbranch_execz .LBB359_70
; %bb.69:
	v_mov_b32_e32 v11, 0
	v_lshl_add_u64 v[24:25], v[6:7], 0, v[10:11]
	global_load_ushort v0, v[24:25], off
	v_lshl_add_u64 v[24:25], v[4:5], 0, v[10:11]
	s_waitcnt vmcnt(0)
	v_lshlrev_b32_e32 v0, 16, v0
	v_sub_f32_e32 v0, v0, v1
	global_store_short_d16_hi v[24:25], v0, off
	v_mul_f32_e32 v0, v16, v0
	v_lshrrev_b32_e32 v11, 16, v0
.LBB359_70:
	s_or_b64 exec, exec, s[6:7]
	v_mov_b32_e32 v15, 0
	v_lshlrev_b32_e32 v12, 8, v12
	v_mov_b32_e32 v13, 0
	s_and_saveexec_b64 s[6:7], s[2:3]
	s_cbranch_execz .LBB359_72
; %bb.71:
	v_mov_b32_e32 v13, 0
	v_lshl_add_u64 v[0:1], v[6:7], 0, v[12:13]
	global_load_ushort v23, v[0:1], off
	v_lshl_add_u64 v[0:1], v[4:5], 0, v[12:13]
	s_waitcnt vmcnt(0)
	v_lshlrev_b32_e32 v13, 16, v23
	v_sub_f32_e32 v2, v13, v2
	global_store_short_d16_hi v[0:1], v2, off
	v_mul_f32_e32 v0, v20, v2
	v_lshrrev_b32_e32 v13, 16, v0
.LBB359_72:
	s_or_b64 exec, exec, s[6:7]
	v_lshlrev_b32_e32 v14, 8, v14
	s_and_saveexec_b64 s[6:7], s[4:5]
	s_cbranch_execz .LBB359_74
; %bb.73:
	v_mov_b32_e32 v15, 0
	v_lshl_add_u64 v[0:1], v[6:7], 0, v[14:15]
	global_load_ushort v2, v[0:1], off
	v_lshl_add_u64 v[0:1], v[4:5], 0, v[14:15]
	s_waitcnt vmcnt(0)
	v_lshlrev_b32_e32 v2, 16, v2
	v_sub_f32_e32 v2, v2, v3
	global_store_short_d16_hi v[0:1], v2, off
	v_mul_f32_e32 v0, v17, v2
	v_lshrrev_b32_e32 v15, 16, v0
.LBB359_74:
	s_or_b64 exec, exec, s[6:7]
	v_lshlrev_b32_e32 v21, 5, v21
	s_mov_b32 s6, 0x5040100
	v_perm_b32 v24, v11, v9, s6
	v_or_b32_e32 v9, v21, v22
	v_accvgpr_read_b32 v0, a0
	v_perm_b32 v25, v15, v13, s6
	v_lshlrev_b32_e32 v9, 1, v9
	v_accvgpr_read_b32 v1, a1
	v_accvgpr_read_b32 v2, a2
	;; [unrolled: 1-line block ×3, first 2 shown]
	ds_write_b64 v9, v[24:25] offset:45056
	v_mov_b32_e32 v11, 0
	v_mov_b32_e32 v9, 0
	s_and_saveexec_b64 s[6:7], vcc
	s_cbranch_execz .LBB359_76
; %bb.75:
	v_mov_b32_e32 v9, 0
	v_lshl_add_u64 v[22:23], v[6:7], 0, v[8:9]
	global_load_ushort v13, v[22:23], off offset:32
	v_lshl_add_u64 v[8:9], v[4:5], 0, v[8:9]
	s_waitcnt vmcnt(0)
	v_lshlrev_b32_e32 v13, 16, v13
	v_sub_f32_e32 v0, v13, v0
	global_store_short_d16_hi v[8:9], v0, off offset:32
	v_mul_f32_e32 v0, v18, v0
	v_lshrrev_b32_e32 v9, 16, v0
.LBB359_76:
	s_or_b64 exec, exec, s[6:7]
	s_and_saveexec_b64 s[6:7], s[0:1]
	s_cbranch_execz .LBB359_78
; %bb.77:
	v_mov_b32_e32 v11, 0
	v_lshl_add_u64 v[22:23], v[6:7], 0, v[10:11]
	global_load_ushort v0, v[22:23], off offset:32
	v_lshl_add_u64 v[10:11], v[4:5], 0, v[10:11]
	s_waitcnt vmcnt(0)
	v_lshlrev_b32_e32 v0, 16, v0
	v_sub_f32_e32 v0, v0, v1
	global_store_short_d16_hi v[10:11], v0, off offset:32
	v_mul_f32_e32 v0, v16, v0
	v_lshrrev_b32_e32 v11, 16, v0
.LBB359_78:
	s_or_b64 exec, exec, s[6:7]
	v_mov_b32_e32 v0, 0
	v_mov_b32_e32 v1, 0
	s_and_saveexec_b64 s[0:1], s[2:3]
	s_cbranch_execz .LBB359_80
; %bb.79:
	v_mov_b32_e32 v13, 0
	v_lshl_add_u64 v[22:23], v[6:7], 0, v[12:13]
	global_load_ushort v1, v[22:23], off offset:32
	v_lshl_add_u64 v[12:13], v[4:5], 0, v[12:13]
	s_waitcnt vmcnt(0)
	v_lshlrev_b32_e32 v1, 16, v1
	v_sub_f32_e32 v1, v1, v2
	global_store_short_d16_hi v[12:13], v1, off offset:32
	v_mul_f32_e32 v1, v20, v1
	v_lshrrev_b32_e32 v1, 16, v1
.LBB359_80:
	s_or_b64 exec, exec, s[0:1]
	s_and_saveexec_b64 s[0:1], s[4:5]
	s_cbranch_execz .LBB359_82
; %bb.81:
	v_mov_b32_e32 v15, 0
	v_lshl_add_u64 v[6:7], v[6:7], 0, v[14:15]
	global_load_ushort v0, v[6:7], off offset:32
	v_lshl_add_u64 v[4:5], v[4:5], 0, v[14:15]
	s_waitcnt vmcnt(0)
	v_lshlrev_b32_e32 v0, 16, v0
	v_sub_f32_e32 v0, v0, v3
	global_store_short_d16_hi v[4:5], v0, off offset:32
	v_mul_f32_e32 v0, v17, v0
	v_lshrrev_b32_e32 v0, 16, v0
.LBB359_82:
	s_or_b64 exec, exec, s[0:1]
	s_mov_b32 s0, 0x5040100
	v_or_b32_e32 v2, v21, v19
	v_perm_b32 v1, v0, v1, s0
	v_perm_b32 v0, v11, v9, s0
	v_lshlrev_b32_e32 v2, 1, v2
	ds_write_b64 v2, v[0:1] offset:45056
	s_waitcnt lgkmcnt(0)
	s_barrier
.LBB359_83:
	s_endpgm
	.section	.rodata,"a",@progbits
	.p2align	6, 0x0
	.amdhsa_kernel _ZN12_GLOBAL__N_139chunk_gated_delta_rule_fwd_h_hip_kernelILi32ELb0ELb0ELb1ELb1ELb0ELb0ELb1ELb1EEEvPK12hip_bfloat16S3_S3_PKfS5_PKvPS1_S8_PvPKiSB_iiiiilll
		.amdhsa_group_segment_fixed_size 49152
		.amdhsa_private_segment_fixed_size 0
		.amdhsa_kernarg_size 136
		.amdhsa_user_sgpr_count 2
		.amdhsa_user_sgpr_dispatch_ptr 0
		.amdhsa_user_sgpr_queue_ptr 0
		.amdhsa_user_sgpr_kernarg_segment_ptr 1
		.amdhsa_user_sgpr_dispatch_id 0
		.amdhsa_user_sgpr_kernarg_preload_length 0
		.amdhsa_user_sgpr_kernarg_preload_offset 0
		.amdhsa_user_sgpr_private_segment_size 0
		.amdhsa_uses_dynamic_stack 0
		.amdhsa_enable_private_segment 0
		.amdhsa_system_sgpr_workgroup_id_x 1
		.amdhsa_system_sgpr_workgroup_id_y 1
		.amdhsa_system_sgpr_workgroup_id_z 0
		.amdhsa_system_sgpr_workgroup_info 0
		.amdhsa_system_vgpr_workitem_id 0
		.amdhsa_next_free_vgpr 156
		.amdhsa_next_free_sgpr 62
		.amdhsa_accum_offset 136
		.amdhsa_reserve_vcc 1
		.amdhsa_float_round_mode_32 0
		.amdhsa_float_round_mode_16_64 0
		.amdhsa_float_denorm_mode_32 3
		.amdhsa_float_denorm_mode_16_64 3
		.amdhsa_dx10_clamp 1
		.amdhsa_ieee_mode 1
		.amdhsa_fp16_overflow 0
		.amdhsa_tg_split 0
		.amdhsa_exception_fp_ieee_invalid_op 0
		.amdhsa_exception_fp_denorm_src 0
		.amdhsa_exception_fp_ieee_div_zero 0
		.amdhsa_exception_fp_ieee_overflow 0
		.amdhsa_exception_fp_ieee_underflow 0
		.amdhsa_exception_fp_ieee_inexact 0
		.amdhsa_exception_int_div_zero 0
	.end_amdhsa_kernel
	.section	.text._ZN12_GLOBAL__N_139chunk_gated_delta_rule_fwd_h_hip_kernelILi32ELb0ELb0ELb1ELb1ELb0ELb0ELb1ELb1EEEvPK12hip_bfloat16S3_S3_PKfS5_PKvPS1_S8_PvPKiSB_iiiiilll,"axG",@progbits,_ZN12_GLOBAL__N_139chunk_gated_delta_rule_fwd_h_hip_kernelILi32ELb0ELb0ELb1ELb1ELb0ELb0ELb1ELb1EEEvPK12hip_bfloat16S3_S3_PKfS5_PKvPS1_S8_PvPKiSB_iiiiilll,comdat
.Lfunc_end359:
	.size	_ZN12_GLOBAL__N_139chunk_gated_delta_rule_fwd_h_hip_kernelILi32ELb0ELb0ELb1ELb1ELb0ELb0ELb1ELb1EEEvPK12hip_bfloat16S3_S3_PKfS5_PKvPS1_S8_PvPKiSB_iiiiilll, .Lfunc_end359-_ZN12_GLOBAL__N_139chunk_gated_delta_rule_fwd_h_hip_kernelILi32ELb0ELb0ELb1ELb1ELb0ELb0ELb1ELb1EEEvPK12hip_bfloat16S3_S3_PKfS5_PKvPS1_S8_PvPKiSB_iiiiilll
                                        ; -- End function
	.section	.AMDGPU.csdata,"",@progbits
; Kernel info:
; codeLenInByte = 8604
; NumSgprs: 68
; NumVgprs: 134
; NumAgprs: 20
; TotalNumVgprs: 156
; ScratchSize: 0
; MemoryBound: 0
; FloatMode: 240
; IeeeMode: 1
; LDSByteSize: 49152 bytes/workgroup (compile time only)
; SGPRBlocks: 8
; VGPRBlocks: 19
; NumSGPRsForWavesPerEU: 68
; NumVGPRsForWavesPerEU: 156
; AccumOffset: 136
; Occupancy: 1
; WaveLimiterHint : 1
; COMPUTE_PGM_RSRC2:SCRATCH_EN: 0
; COMPUTE_PGM_RSRC2:USER_SGPR: 2
; COMPUTE_PGM_RSRC2:TRAP_HANDLER: 0
; COMPUTE_PGM_RSRC2:TGID_X_EN: 1
; COMPUTE_PGM_RSRC2:TGID_Y_EN: 1
; COMPUTE_PGM_RSRC2:TGID_Z_EN: 0
; COMPUTE_PGM_RSRC2:TIDIG_COMP_CNT: 0
; COMPUTE_PGM_RSRC3_GFX90A:ACCUM_OFFSET: 33
; COMPUTE_PGM_RSRC3_GFX90A:TG_SPLIT: 0
	.section	.text._ZN12_GLOBAL__N_139chunk_gated_delta_rule_fwd_h_hip_kernelILi32ELb0ELb0ELb0ELb1ELb0ELb0ELb1ELb1EEEvPK12hip_bfloat16S3_S3_PKfS5_PKvPS1_S8_PvPKiSB_iiiiilll,"axG",@progbits,_ZN12_GLOBAL__N_139chunk_gated_delta_rule_fwd_h_hip_kernelILi32ELb0ELb0ELb0ELb1ELb0ELb0ELb1ELb1EEEvPK12hip_bfloat16S3_S3_PKfS5_PKvPS1_S8_PvPKiSB_iiiiilll,comdat
	.globl	_ZN12_GLOBAL__N_139chunk_gated_delta_rule_fwd_h_hip_kernelILi32ELb0ELb0ELb0ELb1ELb0ELb0ELb1ELb1EEEvPK12hip_bfloat16S3_S3_PKfS5_PKvPS1_S8_PvPKiSB_iiiiilll ; -- Begin function _ZN12_GLOBAL__N_139chunk_gated_delta_rule_fwd_h_hip_kernelILi32ELb0ELb0ELb0ELb1ELb0ELb0ELb1ELb1EEEvPK12hip_bfloat16S3_S3_PKfS5_PKvPS1_S8_PvPKiSB_iiiiilll
	.p2align	8
	.type	_ZN12_GLOBAL__N_139chunk_gated_delta_rule_fwd_h_hip_kernelILi32ELb0ELb0ELb0ELb1ELb0ELb0ELb1ELb1EEEvPK12hip_bfloat16S3_S3_PKfS5_PKvPS1_S8_PvPKiSB_iiiiilll,@function
_ZN12_GLOBAL__N_139chunk_gated_delta_rule_fwd_h_hip_kernelILi32ELb0ELb0ELb0ELb1ELb0ELb0ELb1ELb1EEEvPK12hip_bfloat16S3_S3_PKfS5_PKvPS1_S8_PvPKiSB_iiiiilll: ; @_ZN12_GLOBAL__N_139chunk_gated_delta_rule_fwd_h_hip_kernelILi32ELb0ELb0ELb0ELb1ELb0ELb0ELb1ELb1EEEvPK12hip_bfloat16S3_S3_PKfS5_PKvPS1_S8_PvPKiSB_iiiiilll
; %bb.0:
	s_load_dwordx4 s[12:15], s[0:1], 0x5c
	s_load_dwordx4 s[16:19], s[0:1], 0x70
	s_abs_i32 s21, s3
	s_ashr_i32 s20, s3, 31
	s_load_dwordx2 s[36:37], s[0:1], 0x30
	s_load_dwordx4 s[24:27], s[0:1], 0x48
	s_waitcnt lgkmcnt(0)
	s_abs_i32 s28, s13
	v_cvt_f32_u32_e32 v1, s28
	s_sub_i32 s22, 0, s28
	s_ashr_i32 s29, s13, 31
	s_xor_b32 s20, s20, s29
	v_rcp_iflag_f32_e32 v1, v1
	s_load_dwordx8 s[4:11], s[0:1], 0x0
	v_lshrrev_b32_e32 v42, 6, v0
	v_bfe_u32 v43, v0, 4, 2
	v_mul_f32_e32 v1, 0x4f7ffffe, v1
	v_cvt_u32_f32_e32 v1, v1
	v_lshlrev_b32_e32 v2, 2, v43
	v_and_b32_e32 v41, 63, v0
	v_and_b32_e32 v40, 15, v0
	v_readfirstlane_b32 s23, v1
	s_mul_i32 s22, s22, s23
	s_mul_hi_u32 s22, s23, s22
	s_add_i32 s23, s23, s22
	s_mul_hi_u32 s22, s21, s23
	s_mul_i32 s23, s22, s28
	s_sub_i32 s21, s21, s23
	s_add_i32 s30, s22, 1
	s_sub_i32 s23, s21, s28
	s_cmp_ge_u32 s21, s28
	s_cselect_b32 s22, s30, s22
	s_cselect_b32 s21, s23, s21
	s_add_i32 s23, s22, 1
	s_cmp_ge_u32 s21, s28
	s_cselect_b32 s21, s23, s22
	s_xor_b32 s21, s21, s20
	s_sub_i32 s20, s21, s20
	s_mul_i32 s21, s20, s13
	s_sub_i32 s33, s3, s21
	s_ashr_i32 s21, s20, 31
	s_lshl_b64 s[22:23], s[20:21], 2
	s_add_u32 s24, s24, s22
	s_addc_u32 s25, s25, s23
	s_add_u32 s22, s26, s22
	s_addc_u32 s23, s27, s23
	s_abs_i32 s3, s14
	v_cvt_f32_u32_e32 v1, s3
	s_load_dwordx2 s[34:35], s[24:25], 0x0
	s_sub_i32 s25, 0, s3
	s_load_dword s44, s[22:23], 0x0
	v_rcp_iflag_f32_e32 v1, v1
	v_mov_b32_e32 v3, 0
	s_waitcnt lgkmcnt(0)
	s_sub_i32 s45, s35, s34
	s_ashr_i32 s24, s45, 31
	v_mul_f32_e32 v1, 0x4f7ffffe, v1
	v_cvt_u32_f32_e32 v1, v1
	s_lshr_b32 s24, s24, 26
	s_add_i32 s24, s45, s24
	s_ashr_i32 s43, s24, 6
	v_readfirstlane_b32 s26, v1
	s_mul_i32 s25, s25, s26
	s_mul_hi_u32 s25, s26, s25
	s_add_i32 s26, s26, s25
	s_mul_hi_u32 s25, s28, s26
	s_mul_i32 s26, s25, s3
	s_ashr_i32 s24, s14, 31
	s_sub_i32 s26, s28, s26
	s_xor_b32 s24, s29, s24
	s_add_i32 s27, s25, 1
	s_sub_i32 s28, s26, s3
	s_cmp_ge_u32 s26, s3
	s_cselect_b32 s25, s27, s25
	s_cselect_b32 s26, s28, s26
	s_add_i32 s27, s25, 1
	s_cmp_ge_u32 s26, s3
	s_cselect_b32 s3, s27, s25
	s_xor_b32 s3, s3, s24
	s_sub_i32 s3, s3, s24
	s_abs_i32 s24, s3
	v_cvt_f32_u32_e32 v1, s24
	s_load_dwordx2 s[28:29], s[0:1], 0x80
	s_xor_b32 s0, s33, s3
	s_sub_i32 s3, 0, s24
	v_rcp_iflag_f32_e32 v1, v1
	s_abs_i32 s1, s33
	s_ashr_i32 s0, s0, 31
	s_mul_hi_i32 s46, s33, s12
	v_mul_f32_e32 v1, 0x4f7ffffe, v1
	v_cvt_u32_f32_e32 v1, v1
	s_mul_i32 s47, s33, s12
	v_lshrrev_b32_e32 v45, 3, v41
	v_lshlrev_b32_e32 v44, 3, v0
	v_readfirstlane_b32 s22, v1
	s_mul_i32 s3, s3, s22
	s_mul_hi_u32 s3, s22, s3
	s_add_i32 s22, s22, s3
	s_mul_hi_u32 s3, s1, s22
	s_mul_i32 s22, s3, s24
	s_sub_i32 s1, s1, s22
	s_add_i32 s22, s3, 1
	s_sub_i32 s23, s1, s24
	s_cmp_ge_u32 s1, s24
	s_cselect_b32 s3, s22, s3
	s_cselect_b32 s1, s23, s1
	s_add_i32 s22, s3, 1
	s_cmp_ge_u32 s1, s24
	s_cselect_b32 s1, s22, s3
	s_xor_b32 s1, s1, s0
	v_lshlrev_b32_e32 v1, 4, v42
	s_sub_i32 s48, s1, s0
	v_or_b32_e32 v46, v2, v1
	s_lshl_b32 s30, s2, 5
	v_or_b32_e32 v47, 64, v46
	s_cmp_lt_i32 s45, 64
	s_mul_i32 s40, s20, s17
	s_mul_hi_u32 s41, s20, s16
	s_mul_i32 s42, s21, s16
	s_mul_i32 s16, s20, s16
	v_mov_b32_e32 v64, 0
	v_mov_b32_e32 v62, 0
	;; [unrolled: 1-line block ×15, first 2 shown]
	s_cbranch_scc1 .LBB360_18
; %bb.1:
	s_ashr_i32 s51, s33, 31
	s_ashr_i32 s1, s34, 31
	s_add_u32 s0, s47, s34
	s_addc_u32 s1, s46, s1
	s_lshl_b64 s[0:1], s[0:1], 8
	v_and_b32_e32 v49, 56, v44
	s_add_u32 s0, s6, s0
	v_lshl_or_b32 v48, v42, 3, v45
	v_lshlrev_b32_e32 v3, 1, v49
	s_addc_u32 s1, s7, s1
	v_lshl_or_b32 v50, v48, 8, v3
	s_and_b32 s1, s1, 0xffff
	s_mov_b32 s3, 0x20000
	s_movk_i32 s2, 0x4000
	s_movk_i32 s17, 0x80
	v_or_b32_e32 v51, 0x2000, v50
	buffer_load_dwordx4 v[4:7], v50, s[0:3], 0 offen
	buffer_load_dwordx4 v[8:11], v50, s[0:3], s17 offen
	;; [unrolled: 1-line block ×4, first 2 shown]
	v_lshlrev_b32_e32 v20, 3, v48
	v_and_or_b32 v22, v0, 7, v20
	v_and_b32_e32 v20, 0x78, v20
	v_lshlrev_b32_e32 v22, 4, v22
	v_xor_b32_e32 v52, v22, v20
	v_mul_lo_u32 v21, v48, s15
	v_or_b32_e32 v53, 0x1000, v52
	s_cmpk_eq_i32 s15, 0x80
	s_mov_b32 s49, s13
	s_mov_b32 s50, s34
	v_xor_b32_e32 v20, 8, v52
	v_xor_b32_e32 v22, 8, v53
	s_cselect_b64 s[0:1], -1, 0
	s_cmpk_lg_i32 s15, 0x80
	s_waitcnt vmcnt(3)
	ds_write_b64 v52, v[4:5] offset:24576
	ds_write_b64 v20, v[6:7] offset:24576
	s_waitcnt vmcnt(2)
	ds_write_b64 v52, v[8:9] offset:32768
	ds_write_b64 v20, v[10:11] offset:32768
	;; [unrolled: 3-line block ×4, first 2 shown]
	v_lshl_add_u32 v4, v21, 1, v49
	s_cbranch_scc0 .LBB360_3
; %bb.2:
	v_lshlrev_b32_e32 v6, 1, v4
	v_add_lshl_u32 v5, v4, s15, 1
	s_lshl_b32 s22, s15, 7
	v_lshl_or_b32 v3, v48, 9, v3
	s_cbranch_execz .LBB360_4
	s_branch .LBB360_5
.LBB360_3:
                                        ; implicit-def: $vgpr5
                                        ; implicit-def: $vgpr6
                                        ; implicit-def: $sgpr22
	v_lshl_or_b32 v3, v48, 9, v3
.LBB360_4:
	v_or_b32_e32 v5, 0x100, v3
	s_movk_i32 s22, 0x4000
	v_mov_b32_e32 v6, v3
.LBB360_5:
	s_mul_i32 s2, s34, s14
	s_ashr_i32 s52, s48, 31
	s_mul_hi_i32 s3, s34, s14
	s_add_u32 s2, s2, s48
	s_addc_u32 s3, s3, s52
	s_lshl_b64 s[2:3], s[2:3], 8
	s_add_u32 s20, s4, s2
	s_addc_u32 s2, s5, s3
	s_and_b32 s21, s2, 0xffff
	s_mov_b32 s23, 0x20000
	s_movk_i32 s53, 0x80
	buffer_load_dwordx4 v[8:11], v6, s[20:23], 0 offen
	buffer_load_dwordx4 v[12:15], v6, s[20:23], s53 offen
	;; [unrolled: 1-line block ×4, first 2 shown]
	v_and_b32_e32 v5, 6, v0
	v_lshlrev_b32_e32 v24, 6, v46
	v_or_b32_e32 v26, 16, v40
	v_xor_b32_e32 v27, v48, v5
	v_and_b32_e32 v6, 1, v0
	s_mul_i32 s2, s33, s19
	s_mul_hi_u32 s3, s33, s18
	v_lshl_or_b32 v30, v40, 3, v24
	v_lshl_or_b32 v24, v26, 3, v24
	v_lshlrev_b32_e32 v27, 2, v27
	s_add_i32 s17, s41, s40
	v_lshlrev_b32_e32 v7, 2, v40
	s_mul_i32 s20, s51, s18
	v_or_b32_e32 v56, 0xa000, v24
	v_or_b32_e32 v57, 0xb000, v24
	v_xor_b32_e32 v24, 0x440, v27
	v_cmp_eq_u32_e32 vcc, 0, v6
	s_add_i32 s2, s3, s2
	s_add_i32 s17, s17, s42
	v_xor_b32_e32 v28, v46, v7
	v_xor_b32_e32 v29, v47, v7
	v_cndmask_b32_e32 v6, v24, v27, vcc
	s_add_i32 s3, s2, s20
	s_lshl_b64 s[20:21], s[16:17], 2
	s_mov_b32 s54, 0x1000504
	v_lshlrev_b32_e32 v25, 8, v40
	v_lshlrev_b32_e32 v26, 8, v26
	;; [unrolled: 1-line block ×4, first 2 shown]
	v_lshl_or_b32 v5, v5, 10, v6
	s_mul_i32 s2, s33, s18
	s_add_u32 s17, s10, s20
	s_mov_b32 s55, 0x3020706
	v_or_b32_e32 v54, 0xa000, v30
	v_or_b32_e32 v55, 0xb000, v30
	;; [unrolled: 1-line block ×5, first 2 shown]
	v_xor_b32_e32 v6, 8, v5
	v_xor_b32_e32 v25, 24, v5
	;; [unrolled: 1-line block ×4, first 2 shown]
	s_addc_u32 s20, s11, s21
	s_lshl_b64 s[2:3], s[2:3], 2
	v_or_b32_e32 v60, v26, v28
	v_xor_b32_e32 v24, 16, v5
	v_xor_b32_e32 v26, 32, v5
	v_xor_b32_e32 v28, 48, v5
	v_add_u32_e32 v6, 0x80, v6
	v_add_u32_e32 v25, 0x80, v25
	;; [unrolled: 1-line block ×4, first 2 shown]
	s_add_u32 s2, s17, s2
	s_addc_u32 s3, s20, s3
	s_movk_i32 s20, 0xf8
	s_ashr_i32 s31, s30, 31
	s_lshl_b32 s26, s15, 7
	s_movk_i32 s24, 0x100
	v_mov_b32_e32 v35, 0
	v_lshlrev_b32_e32 v34, 4, v40
	v_cmp_gt_u32_e32 vcc, s24, v0
	s_mov_b32 s56, 0
	s_movk_i32 s17, 0x1000
	s_movk_i32 s22, 0x4000
	v_add_u32_e32 v91, v1, v2
	v_mov_b32_e32 v92, 0x3fb8aa3b
	v_mov_b32_e32 v73, v35
	;; [unrolled: 1-line block ×13, first 2 shown]
	s_waitcnt vmcnt(1)
	v_perm_b32 v30, v8, v16, s54
	s_waitcnt vmcnt(0)
	v_perm_b32 v31, v12, v20, s54
	v_perm_b32 v8, v8, v16, s55
	;; [unrolled: 1-line block ×15, first 2 shown]
	ds_write2st64_b32 v5, v30, v31 offset0:32 offset1:64
	ds_write2st64_b32 v6, v8, v12 offset0:32 offset1:64
	;; [unrolled: 1-line block ×8, first 2 shown]
	v_or_b32_e32 v5, v1, v40
	v_lshlrev_b32_e32 v5, 3, v5
	v_lshrrev_b32_e32 v8, 5, v41
	v_and_or_b32 v8, v5, s20, v8
	v_lshlrev_b32_e32 v8, 4, v8
	v_lshlrev_b32_e32 v9, 11, v42
	v_and_b32_e32 v5, 0x78, v5
	v_or_b32_e32 v13, 32, v8
	v_and_b32_e32 v6, 0x1000, v9
	v_lshrrev_b32_e32 v11, 1, v0
	v_xor_b32_e32 v13, v13, v5
	v_and_b32_e32 v12, 8, v11
	v_or_b32_e32 v13, v13, v6
	v_xor_b32_e32 v10, v8, v5
	v_xor_b32_e32 v76, v13, v12
	v_or_b32_e32 v13, 64, v8
	v_or_b32_e32 v8, 0x60, v8
	v_xor_b32_e32 v13, v13, v5
	v_xor_b32_e32 v5, v8, v5
	v_or_b32_e32 v10, v10, v6
	v_or_b32_e32 v13, v13, v6
	;; [unrolled: 1-line block ×3, first 2 shown]
	s_lshl_b64 s[20:21], s[30:31], 8
	v_xor_b32_e32 v70, v10, v12
	v_xor_b32_e32 v78, v13, v12
	;; [unrolled: 1-line block ×3, first 2 shown]
	v_lshlrev_b32_e32 v12, 1, v4
	v_add_lshl_u32 v13, v4, s15, 1
	s_add_u32 s20, s36, s20
	v_lshlrev_b32_e32 v4, 1, v40
	v_lshrrev_b32_e32 v15, 4, v0
	s_addc_u32 s21, s37, s21
	v_or_b32_e32 v5, 1, v4
	v_mov_b32_e32 v19, 0x4000
	v_mov_b32_e32 v20, 0x2000
	v_xor_b32_e32 v16, v15, v4
	v_xor_b32_e32 v17, v5, v15
	v_lshl_add_u64 v[4:5], s[20:21], 0, v[34:35]
	v_lshlrev_b32_e32 v34, 8, v15
	v_cndmask_b32_e32 v19, v19, v20, vcc
	v_lshlrev_b32_e32 v20, 3, v42
	v_and_b32_e32 v11, 24, v11
	v_lshl_or_b32 v82, v16, 3, v34
	v_and_b32_e32 v16, 8, v0
	v_xor_b32_e32 v21, v20, v11
	v_or_b32_e32 v22, 0x440, v21
	v_cmp_eq_u32_e32 vcc, 0, v16
	v_and_b32_e32 v15, 7, v0
	v_lshlrev_b32_e32 v10, 7, v43
	v_cndmask_b32_e32 v16, v22, v21, vcc
	v_lshl_or_b32 v83, v17, 3, v34
	v_lshlrev_b32_e32 v17, 3, v15
	v_lshlrev_b32_e32 v15, 7, v15
	;; [unrolled: 1-line block ×3, first 2 shown]
	v_or_b32_e32 v16, v16, v9
	v_or_b32_e32 v7, v10, v7
	v_xad_u32 v84, v16, v17, v15
	v_and_or_b32 v10, v18, 60, v10
	v_mov_b32_e32 v16, 0xb000
	v_lshl_or_b32 v85, v10, 1, v16
	v_or_b32_e32 v10, 32, v11
	v_xor_b32_e32 v10, v20, v10
	v_or_b32_e32 v16, 0x440, v10
	v_cndmask_b32_e32 v10, v16, v10, vcc
	v_or_b32_e32 v10, v10, v9
	v_xad_u32 v86, v10, v17, v15
	v_or_b32_e32 v10, 64, v11
	v_xor_b32_e32 v10, v20, v10
	v_xor_b32_e32 v16, 0x440, v10
	v_cndmask_b32_e32 v10, v16, v10, vcc
	v_or_b32_e32 v10, v10, v9
	v_xad_u32 v87, v10, v17, v15
	v_or_b32_e32 v10, 0x60, v11
	v_xor_b32_e32 v10, v20, v10
	v_xor_b32_e32 v11, 0x440, v10
	v_cndmask_b32_e32 v10, v11, v10, vcc
	v_lshlrev_b32_e32 v7, 1, v7
	v_or_b32_e32 v6, s30, v40
	v_or_b32_e32 v9, v10, v9
	;; [unrolled: 1-line block ×6, first 2 shown]
	v_lshlrev_b32_e32 v8, 7, v46
	v_ashrrev_i32_e32 v7, 31, v6
	v_or_b32_e32 v14, 0x100, v3
	v_xad_u32 v88, v9, v17, v15
	v_cndmask_b32_e64 v89, v12, v3, s[0:1]
	v_cndmask_b32_e64 v90, v13, v14, s[0:1]
	v_lshl_add_u64 v[36:37], v[6:7], 1, s[8:9]
	v_lshl_add_u64 v[38:39], v[4:5], 0, v[34:35]
	s_mov_b32 s31, 0x7060302
	v_lshlrev_b32_e32 v34, 1, v8
	v_add_u32_e32 v93, v19, v84
	v_add_u32_e32 v94, v19, v86
	;; [unrolled: 1-line block ×4, first 2 shown]
	v_mov_b32_e32 v63, v35
	v_mov_b32_e32 v62, v35
	;; [unrolled: 1-line block ×4, first 2 shown]
	s_waitcnt lgkmcnt(0)
	s_barrier
.LBB360_6:                              ; =>This Inner Loop Header: Depth=1
	s_add_i32 s57, s56, 1
	s_cmp_lt_i32 s57, s43
	s_mov_b64 s[24:25], 0
	s_cselect_b64 s[38:39], -1, 0
	s_cmp_ge_i32 s57, s43
	s_mov_b64 s[20:21], 0
	s_cbranch_scc1 .LBB360_8
; %bb.7:                                ;   in Loop: Header=BB360_6 Depth=1
	s_add_i32 s0, s50, 64
	s_ashr_i32 s1, s0, 31
	s_add_u32 s0, s47, s0
	s_addc_u32 s1, s46, s1
	s_lshl_b64 s[0:1], s[0:1], 8
	s_add_u32 s20, s6, s0
	s_addc_u32 s21, s7, s1
.LBB360_8:                              ;   in Loop: Header=BB360_6 Depth=1
	v_cndmask_b32_e64 v2, 0, 1, s[38:39]
	v_cmp_ne_u32_e64 s[0:1], 1, v2
	s_andn2_b64 vcc, exec, s[38:39]
	s_cbranch_vccnz .LBB360_10
; %bb.9:                                ;   in Loop: Header=BB360_6 Depth=1
	s_add_i32 s24, s50, 64
	s_mul_hi_i32 s25, s24, s14
	s_mul_i32 s24, s24, s14
	s_add_u32 s24, s24, s48
	s_addc_u32 s25, s25, s52
	s_lshl_b64 s[24:25], s[24:25], 8
	s_add_u32 s24, s4, s24
	s_addc_u32 s25, s5, s25
.LBB360_10:                             ;   in Loop: Header=BB360_6 Depth=1
	v_perm_b32 v3, v99, v75, s31
	v_perm_b32 v2, v72, v73, s31
	;; [unrolled: 1-line block ×4, first 2 shown]
	ds_write_b64 v54, v[2:3]
	ds_write_b64 v55, v[4:5]
	;; [unrolled: 1-line block ×4, first 2 shown]
	v_perm_b32 v3, v100, v67, s31
	v_perm_b32 v2, v65, v66, s31
	;; [unrolled: 1-line block ×4, first 2 shown]
	ds_write_b64 v56, v[2:3]
	ds_write_b64 v57, v[4:5]
	;; [unrolled: 1-line block ×4, first 2 shown]
	s_waitcnt lgkmcnt(0)
	s_barrier
	ds_read_b64 v[6:7], v70 offset:24576
	ds_read2_b64 v[2:5], v74 offset1:16
	ds_read_b64 v[10:11], v77 offset:3072
	ds_read_b64 v[12:13], v74 offset:3072
	;; [unrolled: 1-line block ×3, first 2 shown]
	s_waitcnt lgkmcnt(3)
	v_mfma_f32_16x16x16_bf16 a[0:3], v[6:7], v[2:3], 0
	s_add_i32 s27, s50, 63
	s_ashr_i32 s38, s27, 31
	s_mul_i32 s39, s27, s29
	v_mfma_f32_16x16x16_bf16 a[4:7], v[6:7], v[4:5], 0
	ds_read2st64_b64 v[2:5], v74 offset0:2 offset1:4
	s_mul_hi_u32 s58, s27, s28
	s_add_i32 s39, s58, s39
	s_waitcnt lgkmcnt(0)
	v_mfma_f32_16x16x16_bf16 a[0:3], v[14:15], v[2:3], a[0:3]
	ds_read2st64_b64 v[6:9], v77 offset0:2 offset1:4
	ds_read_b64 v[2:3], v78 offset:24576
	s_mul_i32 s38, s38, s28
	s_add_i32 s39, s39, s38
	s_waitcnt lgkmcnt(1)
	v_mfma_f32_16x16x16_bf16 a[4:7], v[14:15], v[6:7], a[4:7]
	ds_read_b64 v[6:7], v79 offset:24576
	s_mul_i32 s38, s27, s28
	s_lshl_b64 s[38:39], s[38:39], 2
	s_waitcnt lgkmcnt(1)
	v_mfma_f32_16x16x16_bf16 a[0:3], v[2:3], v[4:5], a[0:3]
	s_add_u32 s38, s2, s38
	s_addc_u32 s39, s3, s39
	s_and_b64 vcc, exec, s[0:1]
	v_mfma_f32_16x16x16_bf16 a[4:7], v[2:3], v[8:9], a[4:7]
	v_mov_b32_e32 v103, 0
	v_mov_b32_e32 v102, 0
	;; [unrolled: 1-line block ×3, first 2 shown]
	s_waitcnt lgkmcnt(0)
	v_mfma_f32_16x16x16_bf16 a[0:3], v[6:7], v[12:13], a[0:3]
	v_mov_b32_e32 v2, 0
	v_mov_b32_e32 v3, 0
	;; [unrolled: 1-line block ×3, first 2 shown]
	v_mfma_f32_16x16x16_bf16 a[4:7], v[6:7], v[10:11], a[4:7]
	v_mov_b32_e32 v5, 0
	v_mov_b32_e32 v6, 0
	;; [unrolled: 1-line block ×13, first 2 shown]
	s_cbranch_vccnz .LBB360_12
; %bb.11:                               ;   in Loop: Header=BB360_6 Depth=1
	s_and_b32 s21, s21, 0xffff
	buffer_load_dwordx4 v[14:17], v50, s[20:23], 0 offen
	buffer_load_dwordx4 v[10:13], v50, s[20:23], s53 offen
	;; [unrolled: 1-line block ×4, first 2 shown]
	v_mov_b32_e32 v102, v52
	v_mov_b32_e32 v101, v53
.LBB360_12:                             ;   in Loop: Header=BB360_6 Depth=1
	s_waitcnt vmcnt(4)
	ds_read_b64 v[22:23], v70 offset:32768
	s_waitcnt vmcnt(2)
	ds_read2_b64 v[18:21], v80 offset1:16
	ds_read_b64 v[26:27], v76 offset:32768
	ds_read_b64 v[28:29], v78 offset:32768
	;; [unrolled: 1-line block ×3, first 2 shown]
	v_add_u32_e32 v32, s50, v91
	s_waitcnt lgkmcnt(3)
	v_mfma_f32_16x16x16_bf16 a[0:3], v[22:23], v[18:19], a[0:3]
	v_mul_lo_u32 v33, v32, s29
	v_mfma_f32_16x16x16_bf16 a[4:7], v[22:23], v[20:21], a[4:7]
	ds_read2st64_b64 v[18:21], v80 offset0:2 offset1:4
	ds_read2st64_b64 v[22:25], v81 offset0:2 offset1:4
	s_waitcnt lgkmcnt(1)
	v_mfma_f32_16x16x16_bf16 a[0:3], v[26:27], v[18:19], a[0:3]
	v_ashrrev_i32_e32 v18, 31, v32
	v_mul_lo_u32 v104, v18, s28
	v_mad_u64_u32 v[18:19], s[20:21], v32, s28, 0
	v_mfma_f32_16x16x16_bf16 a[0:3], v[28:29], v[20:21], a[0:3]
	v_add_u32_e32 v20, 1, v32
	v_ashrrev_i32_e32 v21, 31, v20
	v_add3_u32 v19, v19, v33, v104
	s_waitcnt lgkmcnt(0)
	v_mfma_f32_16x16x16_bf16 a[4:7], v[26:27], v[22:23], a[4:7]
	v_mul_lo_u32 v22, v21, s28
	v_mul_lo_u32 v23, v20, s29
	v_mad_u64_u32 v[20:21], s[20:21], v20, s28, 0
	v_add3_u32 v21, v21, v23, v22
	v_add_u32_e32 v22, 2, v32
	v_ashrrev_i32_e32 v23, 31, v22
	v_mul_lo_u32 v26, v23, s28
	v_mul_lo_u32 v27, v22, s29
	v_mad_u64_u32 v[22:23], s[20:21], v22, s28, 0
	v_add3_u32 v23, v23, v27, v26
	v_add_u32_e32 v26, 3, v32
	v_ashrrev_i32_e32 v27, 31, v26
	v_mul_lo_u32 v32, v27, s28
	v_mul_lo_u32 v33, v26, s29
	v_mad_u64_u32 v[26:27], s[20:21], v26, s28, 0
	v_add3_u32 v27, v27, v33, v32
	s_ashr_i32 s21, s50, 31
	v_lshl_add_u64 v[18:19], v[18:19], 2, s[2:3]
	v_lshl_add_u64 v[26:27], v[26:27], 2, s[2:3]
	s_add_u32 s20, s47, s50
	v_lshl_add_u64 v[20:21], v[20:21], 2, s[2:3]
	v_lshl_add_u64 v[22:23], v[22:23], 2, s[2:3]
	global_load_dword v32, v[18:19], off
	global_load_dword v33, v[20:21], off
	global_load_dword v104, v[22:23], off
	s_nop 0
	global_load_dword v26, v[26:27], off
	s_addc_u32 s21, s46, s21
	s_lshl_b64 s[20:21], s[20:21], 8
	v_lshl_add_u64 v[18:19], v[36:37], 0, s[20:21]
	v_lshl_add_u64 v[18:19], v[18:19], 0, v[34:35]
	global_load_ushort v27, v[18:19], off offset:256
	global_load_ushort v105, v[18:19], off
	global_load_ushort v106, v[18:19], off offset:768
	global_load_ushort v107, v[18:19], off offset:512
	ds_read_b64 v[20:21], v80 offset:3072
	ds_read_b64 v[22:23], v81 offset:3072
	global_load_ushort v108, v[18:19], off offset:800
	global_load_ushort v109, v[18:19], off offset:544
	;; [unrolled: 1-line block ×4, first 2 shown]
	s_load_dword s20, s[38:39], 0x0
	v_mfma_f32_16x16x16_bf16 a[4:7], v[28:29], v[24:25], a[4:7]
	s_and_b64 vcc, exec, s[0:1]
	s_waitcnt vmcnt(11) lgkmcnt(0)
	v_sub_f32_e32 v24, s20, v32
	v_mfma_f32_16x16x16_bf16 a[0:3], v[30:31], v[20:21], a[0:3]
	s_waitcnt vmcnt(10)
	v_sub_f32_e32 v29, s20, v33
	v_mul_f32_e32 v28, 0x3fb8aa3b, v24
	v_mul_f32_e32 v29, 0x3fb8aa3b, v29
	v_mfma_f32_16x16x16_bf16 a[4:7], v[30:31], v[22:23], a[4:7]
	s_waitcnt vmcnt(9)
	v_sub_f32_e32 v30, s20, v104
	s_waitcnt vmcnt(8)
	v_sub_f32_e32 v31, s20, v26
	v_mul_f32_e32 v30, 0x3fb8aa3b, v30
	v_mul_f32_e32 v31, 0x3fb8aa3b, v31
	v_exp_f32_e32 v28, v28
	v_exp_f32_e32 v29, v29
	;; [unrolled: 1-line block ×4, first 2 shown]
	v_accvgpr_read_b32 v23, a1
	v_accvgpr_read_b32 v19, a3
	;; [unrolled: 1-line block ×4, first 2 shown]
	s_waitcnt vmcnt(7)
	v_lshlrev_b32_e32 v25, 16, v27
	s_waitcnt vmcnt(6)
	v_lshlrev_b32_e32 v24, 16, v105
	;; [unrolled: 2-line block ×4, first 2 shown]
	v_pk_add_f32 v[22:23], v[24:25], v[22:23] neg_lo:[0,1] neg_hi:[0,1]
	v_pk_add_f32 v[18:19], v[26:27], v[18:19] neg_lo:[0,1] neg_hi:[0,1]
	v_pk_mul_f32 v[22:23], v[28:29], v[22:23]
	v_pk_mul_f32 v[18:19], v[30:31], v[18:19]
	v_accvgpr_read_b32 v25, a5
	v_perm_b32 v19, v19, v18, s31
	v_perm_b32 v18, v23, v22, s31
	s_waitcnt vmcnt(1)
	v_lshlrev_b32_e32 v23, 16, v110
	s_waitcnt vmcnt(0)
	v_lshlrev_b32_e32 v22, 16, v111
	v_accvgpr_read_b32 v24, a4
	v_accvgpr_read_b32 v21, a7
	;; [unrolled: 1-line block ×3, first 2 shown]
	v_pk_add_f32 v[22:23], v[22:23], v[24:25] neg_lo:[0,1] neg_hi:[0,1]
	v_lshlrev_b32_e32 v25, 16, v108
	v_lshlrev_b32_e32 v24, 16, v109
	v_pk_add_f32 v[20:21], v[24:25], v[20:21] neg_lo:[0,1] neg_hi:[0,1]
	v_pk_mul_f32 v[22:23], v[28:29], v[22:23]
	v_pk_mul_f32 v[20:21], v[30:31], v[20:21]
	v_mov_b32_e32 v104, 0
	v_perm_b32 v21, v21, v20, s31
	v_perm_b32 v20, v23, v22, s31
	ds_write2_b64 v55, v[18:19], v[20:21] offset1:16
	v_mov_b32_e32 v18, 0
	v_mov_b32_e32 v19, 0
	;; [unrolled: 1-line block ×16, first 2 shown]
	s_cbranch_vccnz .LBB360_14
; %bb.13:                               ;   in Loop: Header=BB360_6 Depth=1
	s_and_b32 s25, s25, 0xffff
	s_mov_b32 s27, s23
	buffer_load_dwordx4 v[30:33], v89, s[24:27], 0 offen
	buffer_load_dwordx4 v[22:25], v89, s[24:27], s53 offen
	;; [unrolled: 1-line block ×4, first 2 shown]
	v_mov_b32_e32 v103, v49
	v_mov_b32_e32 v104, v48
.LBB360_14:                             ;   in Loop: Header=BB360_6 Depth=1
	s_waitcnt lgkmcnt(0)
	s_barrier
	ds_read_b64 v[110:111], v93
	ds_read_b64 v[118:119], v85
	;; [unrolled: 1-line block ×5, first 2 shown]
	ds_read_b64 v[124:125], v86 offset:16384
	ds_read_b64 v[126:127], v84 offset:16384
	ds_read2_b64 v[106:109], v80 offset0:16 offset1:128
	s_waitcnt lgkmcnt(6)
	v_mfma_f32_16x16x16_bf16 a[0:3], v[110:111], v[118:119], 0
	ds_read_b64 v[128:129], v81 offset:3072
	ds_read_b64 v[130:131], v88 offset:16384
	s_add_i32 s21, s44, s56
	s_waitcnt lgkmcnt(2)
	v_mfma_f32_16x16x16_bf16 a[4:7], v[110:111], v[106:107], 0
	ds_read2st64_b64 v[110:113], v81 offset0:2 offset1:4
	s_mul_hi_i32 s25, s21, s49
	s_mul_i32 s21, s21, s49
	v_mfma_f32_16x16x16_bf16 a[0:3], v[114:115], v[108:109], a[0:3]
	s_add_u32 s24, s21, s33
	s_addc_u32 s25, s25, s51
	s_lshl_b64 s[24:25], s[24:25], 15
	s_waitcnt lgkmcnt(0)
	v_mfma_f32_16x16x16_bf16 a[4:7], v[114:115], v[110:111], a[4:7]
	ds_read2st64_b64 v[114:117], v80 offset0:4 offset1:6
	s_waitcnt lgkmcnt(0)
	v_mfma_f32_16x16x16_bf16 a[0:3], v[120:121], v[114:115], a[0:3]
	v_mfma_f32_16x16x16_bf16 a[8:11], v[120:121], v[112:113], a[4:7]
	;; [unrolled: 1-line block ×5, first 2 shown]
	ds_read2st64_b64 v[118:121], v83 offset1:8
	v_mfma_f32_16x16x16_bf16 a[12:15], v[126:127], v[106:107], 0
	ds_read_b64 v[126:127], v87 offset:16384
	v_mfma_f32_16x16x16_bf16 a[8:11], v[124:125], v[108:109], a[8:11]
	ds_read2st64_b64 v[106:109], v82 offset1:8
	s_waitcnt lgkmcnt(0)
	v_mov_b32_e32 v122, v106
	v_mfma_f32_16x16x16_bf16 a[12:15], v[124:125], v[110:111], a[12:15]
	v_lshl_add_u64 v[110:111], v[38:39], 0, s[24:25]
	v_add_co_u32_e32 v106, vcc, s17, v110
	v_mfma_f32_16x16x16_bf16 a[8:11], v[126:127], v[114:115], a[8:11]
	v_mov_b32_e32 v123, v107
	v_addc_co_u32_e32 v107, vcc, 0, v111, vcc
	v_mfma_f32_16x16x16_bf16 a[16:19], v[126:127], v[112:113], a[12:15]
	v_mov_b32_e32 v124, v118
	v_mov_b32_e32 v125, v119
	;; [unrolled: 1-line block ×3, first 2 shown]
	v_mfma_f32_16x16x16_bf16 a[12:15], v[130:131], v[116:117], a[8:11]
	v_mov_b32_e32 v119, v109
	s_and_b64 vcc, exec, s[0:1]
	global_store_dwordx4 v[110:111], v[122:125], off
	v_mfma_f32_16x16x16_bf16 a[8:11], v[130:131], v[128:129], a[16:19]
	global_store_dwordx4 v[106:107], v[118:121], off
	s_cbranch_vccnz .LBB360_16
; %bb.15:                               ;   in Loop: Header=BB360_6 Depth=1
	v_lshrrev_b32_e32 v105, 3, v103
	v_and_b32_e32 v105, 6, v105
	v_xor_b32_e32 v104, v105, v104
	v_lshlrev_b32_e32 v104, 2, v104
	v_and_b32_e32 v103, 8, v103
	v_xor_b32_e32 v106, 0x440, v104
	v_cmp_eq_u32_e32 vcc, 0, v103
	s_barrier
	s_nop 0
	v_cndmask_b32_e32 v103, v106, v104, vcc
	v_lshl_or_b32 v103, v105, 10, v103
	s_waitcnt vmcnt(3)
	v_perm_b32 v104, v30, v26, s54
	s_waitcnt vmcnt(2)
	v_perm_b32 v105, v22, v18, s54
	ds_write2st64_b32 v103, v104, v105 offset0:32 offset1:64
	v_xor_b32_e32 v104, 8, v103
	v_perm_b32 v26, v30, v26, s55
	v_perm_b32 v18, v22, v18, s55
	v_add_u32_e32 v22, 0x80, v104
	ds_write2st64_b32 v22, v26, v18 offset0:32 offset1:64
	v_xor_b32_e32 v18, 16, v103
	v_perm_b32 v22, v31, v27, s54
	v_perm_b32 v26, v23, v19, s54
	ds_write2st64_b32 v18, v22, v26 offset0:33 offset1:65
	v_xor_b32_e32 v18, 24, v103
	v_perm_b32 v22, v31, v27, s55
	v_perm_b32 v19, v23, v19, s55
	v_add_u32_e32 v18, 0x80, v18
	ds_write2st64_b32 v18, v22, v19 offset0:33 offset1:65
	v_xor_b32_e32 v18, 32, v103
	v_perm_b32 v19, v32, v28, s54
	;; [unrolled: 9-line block ×3, first 2 shown]
	v_perm_b32 v20, v25, v21, s54
	ds_write2st64_b32 v18, v19, v20 offset0:35 offset1:67
	v_xor_b32_e32 v18, 56, v103
	v_perm_b32 v19, v33, v29, s55
	v_perm_b32 v20, v25, v21, s55
	v_add_u32_e32 v18, 0x80, v18
	ds_write2st64_b32 v18, v19, v20 offset0:35 offset1:67
	ds_write_b64 v102, v[14:15] offset:24576
	v_xor_b32_e32 v14, 8, v102
	ds_write_b64 v14, v[16:17] offset:24576
	ds_write_b64 v102, v[10:11] offset:32768
	;; [unrolled: 1-line block ×4, first 2 shown]
	v_xor_b32_e32 v6, 8, v101
	ds_write_b64 v6, v[8:9] offset:24576
	ds_write_b64 v101, v[2:3] offset:32768
	;; [unrolled: 1-line block ×3, first 2 shown]
.LBB360_16:                             ;   in Loop: Header=BB360_6 Depth=1
	v_mul_f32_e32 v2, s20, v92
	v_exp_f32_e32 v2, v2
	v_accvgpr_read_b32 v3, a4
	v_accvgpr_read_b32 v4, a5
	;; [unrolled: 1-line block ×3, first 2 shown]
	v_fma_f32 v73, v73, v2, v3
	v_accvgpr_read_b32 v3, a6
	v_fma_f32 v75, v75, v2, v3
	v_accvgpr_read_b32 v3, a0
	;; [unrolled: 2-line block ×11, first 2 shown]
	v_accvgpr_read_b32 v6, a15
	v_fma_f32 v64, v64, v2, v3
	v_accvgpr_read_b32 v3, a11
	s_add_i32 s50, s50, 64
	v_fmac_f32_e32 v5, v99, v2
	v_fmac_f32_e32 v4, v100, v2
	;; [unrolled: 1-line block ×3, first 2 shown]
	s_cmp_eq_u32 s43, s57
	v_fmac_f32_e32 v3, v98, v2
	s_cbranch_scc1 .LBB360_18
; %bb.17:                               ;   in Loop: Header=BB360_6 Depth=1
	s_mov_b32 s56, s57
	v_mov_b32_e32 v99, v5
	v_mov_b32_e32 v97, v6
	v_mov_b32_e32 v100, v4
	v_mov_b32_e32 v98, v3
	s_branch .LBB360_6
.LBB360_18:
	s_lshl_b32 s0, s43, 6
	s_sub_i32 s45, s45, s0
	s_cmp_gt_i32 s45, 0
	s_cbranch_scc0 .LBB360_83
; %bb.19:
	s_add_i32 s34, s0, s34
	s_ashr_i32 s2, s34, 31
	s_cmpk_lg_i32 s15, 0x80
	s_cselect_b64 s[26:27], -1, 0
	s_and_b64 vcc, exec, s[26:27]
	s_cbranch_vccz .LBB360_21
; %bb.20:
	s_mul_i32 s1, s34, s14
	s_ashr_i32 s3, s48, 31
	s_mul_hi_i32 s0, s34, s14
	s_add_u32 s38, s1, s48
	s_addc_u32 s39, s0, s3
	s_cbranch_execz .LBB360_22
	s_branch .LBB360_23
.LBB360_21:
                                        ; implicit-def: $sgpr38_sgpr39
.LBB360_22:
	s_mul_i32 s1, s48, s12
	s_mul_hi_i32 s0, s48, s12
	s_add_u32 s38, s1, s34
	s_addc_u32 s39, s0, s2
.LBB360_23:
	s_add_i32 s3, s43, s44
	s_ashr_i32 s12, s33, 31
	s_add_u32 s0, s47, s34
	s_addc_u32 s1, s46, s2
	v_lshlrev_b32_e32 v10, 5, v46
	s_waitcnt vmcnt(4)
	v_lshlrev_b32_e32 v22, 2, v40
	s_mov_b32 s2, 0x7060302
	v_xor_b32_e32 v2, v46, v22
	v_perm_b32 v9, v5, v75, s2
	v_or_b32_e32 v5, v10, v22
	v_perm_b32 v8, v72, v73, s2
	v_perm_b32 v7, v6, v71, s2
	;; [unrolled: 1-line block ×3, first 2 shown]
	v_lshlrev_b32_e32 v5, 1, v5
	v_lshlrev_b32_e32 v12, 1, v2
	;; [unrolled: 1-line block ×3, first 2 shown]
	s_lshl_b64 s[24:25], s[0:1], 8
	v_xor_b32_e32 v11, v47, v22
	ds_write2st64_b64 v5, v[8:9], v[6:7] offset0:80 offset1:88
	v_or_b32_e32 v5, v12, v2
	s_add_u32 s0, s6, s24
	ds_write_b64 v5, v[8:9]
	v_lshlrev_b32_e32 v8, 1, v11
	s_addc_u32 s1, s7, s25
	v_or_b32_e32 v2, v8, v2
	s_mul_hi_i32 s6, s3, s13
	s_mul_i32 s3, s3, s13
	ds_write_b64 v2, v[6:7]
	v_perm_b32 v5, v4, v67, s2
	v_perm_b32 v4, v65, v66, s2
	;; [unrolled: 1-line block ×4, first 2 shown]
	v_or_b32_e32 v6, 16, v40
	s_add_u32 s2, s3, s33
	s_waitcnt vmcnt(2)
	v_lshlrev_b32_e32 v19, 2, v6
	s_addc_u32 s3, s6, s12
	v_or_b32_e32 v7, v10, v19
	s_ashr_i32 s31, s30, 31
	s_lshl_b64 s[2:3], s[2:3], 15
	v_lshlrev_b32_e32 v7, 1, v7
	v_lshlrev_b32_e32 v6, 8, v6
	s_add_u32 s6, s36, s2
	ds_write2st64_b64 v7, v[4:5], v[2:3] offset0:80 offset1:88
	v_or_b32_e32 v7, v12, v6
	s_addc_u32 s7, s37, s3
	s_lshl_b64 s[2:3], s[30:31], 8
	ds_write_b64 v7, v[4:5]
	v_or_b32_e32 v4, v8, v6
	s_add_u32 s2, s6, s2
	ds_write_b64 v4, v[2:3]
	v_lshrrev_b32_e32 v2, 4, v0
	s_addc_u32 s3, s7, s3
	v_lshlrev_b32_e32 v3, 1, v40
	v_lshlrev_b32_e32 v10, 4, v40
	v_mov_b32_e32 v11, 0
	v_or_b32_e32 v4, 1, v3
	v_xor_b32_e32 v3, v2, v3
	v_lshl_add_u64 v[12:13], s[2:3], 0, v[10:11]
	v_lshlrev_b32_e32 v10, 8, v2
	v_xor_b32_e32 v6, v4, v2
	v_lshl_or_b32 v2, v3, 3, v10
	s_waitcnt lgkmcnt(0)
	s_barrier
	ds_read2st64_b64 v[2:5], v2 offset1:8
	v_lshl_or_b32 v6, v6, 3, v10
	ds_read2st64_b64 v[6:9], v6 offset1:8
	v_lshl_add_u64 v[14:15], v[12:13], 0, v[10:11]
	s_movk_i32 s2, 0x1000
	s_waitcnt lgkmcnt(1)
	v_mov_b32_e32 v10, v2
	v_add_co_u32_e32 v2, vcc, s2, v14
	s_cmp_lg_u32 s45, 64
	v_mov_b32_e32 v11, v3
	v_addc_co_u32_e32 v3, vcc, 0, v15, vcc
	s_cselect_b64 s[6:7], -1, 0
	v_lshl_or_b32 v23, v42, 3, v45
	s_waitcnt lgkmcnt(0)
	v_mov_b32_e32 v12, v6
	v_mov_b32_e32 v13, v7
	;; [unrolled: 1-line block ×4, first 2 shown]
	s_mov_b32 s20, 0
	v_or_b32_e32 v20, 32, v23
	v_and_b32_e32 v18, 56, v44
	s_and_b64 vcc, exec, s[6:7]
	global_store_dwordx4 v[14:15], v[10:13], off
	global_store_dwordx4 v[2:3], v[6:9], off
	s_cbranch_vccz .LBB360_29
; %bb.24:
	s_mov_b32 s21, s20
	s_mov_b32 s22, s20
	;; [unrolled: 1-line block ×3, first 2 shown]
	v_mov_b64_e32 v[6:7], s[20:21]
	v_mov_b64_e32 v[8:9], s[22:23]
	;; [unrolled: 1-line block ×3, first 2 shown]
	v_cmp_gt_i32_e32 vcc, s45, v23
	v_mov_b64_e32 v[4:5], v[8:9]
	s_and_saveexec_b64 s[2:3], vcc
	s_cbranch_execz .LBB360_26
; %bb.25:
	v_lshlrev_b32_e32 v2, 8, v23
	v_mov_b32_e32 v3, 0
	v_lshl_add_u64 v[4:5], s[0:1], 0, v[2:3]
	v_lshlrev_b32_e32 v2, 1, v18
	v_lshl_add_u64 v[10:11], v[4:5], 0, v[2:3]
	global_load_dwordx4 v[6:9], v[10:11], off
	global_load_dwordx4 v[2:5], v[10:11], off offset:128
.LBB360_26:
	s_or_b64 exec, exec, s[2:3]
	s_mov_b32 s21, s20
	s_mov_b32 s22, s20
	;; [unrolled: 1-line block ×3, first 2 shown]
	v_mov_b64_e32 v[14:15], s[20:21]
	v_mov_b64_e32 v[16:17], s[22:23]
	;; [unrolled: 1-line block ×3, first 2 shown]
	v_cmp_gt_i32_e32 vcc, s45, v20
	v_lshlrev_b32_e32 v21, 7, v20
	v_mov_b64_e32 v[12:13], v[16:17]
	s_and_saveexec_b64 s[2:3], vcc
	s_cbranch_execz .LBB360_28
; %bb.27:
	v_lshlrev_b32_e32 v10, 1, v21
	v_mov_b32_e32 v11, 0
	v_lshl_add_u64 v[12:13], s[0:1], 0, v[10:11]
	v_lshlrev_b32_e32 v10, 1, v18
	v_lshl_add_u64 v[24:25], v[12:13], 0, v[10:11]
	global_load_dwordx4 v[14:17], v[24:25], off
	global_load_dwordx4 v[10:13], v[24:25], off offset:128
.LBB360_28:
	s_or_b64 exec, exec, s[2:3]
	v_lshrrev_b32_e32 v24, 3, v18
	v_lshlrev_b32_e32 v25, 3, v23
	v_or_b32_e32 v24, v25, v24
	v_lshlrev_b32_e32 v24, 4, v24
	v_and_b32_e32 v25, 0x78, v25
	v_xor_b32_e32 v24, v24, v25
	s_branch .LBB360_31
.LBB360_29:
                                        ; implicit-def: $vgpr24
                                        ; implicit-def: $vgpr21
                                        ; implicit-def: $vgpr6_vgpr7_vgpr8_vgpr9
                                        ; implicit-def: $vgpr2_vgpr3_vgpr4_vgpr5
                                        ; implicit-def: $vgpr14_vgpr15_vgpr16_vgpr17
                                        ; implicit-def: $vgpr10_vgpr11_vgpr12_vgpr13
	s_cbranch_execz .LBB360_31
; %bb.30:
	s_waitcnt vmcnt(0)
	v_lshlrev_b32_e32 v2, 1, v18
	v_lshl_or_b32 v21, v23, 8, v2
	s_and_b32 s1, s1, 0xffff
	s_mov_b32 s3, 0x20000
	s_movk_i32 s2, 0x4000
	v_lshl_or_b32 v24, v20, 8, v2
	s_movk_i32 s13, 0x80
	buffer_load_dwordx4 v[6:9], v21, s[0:3], 0 offen
	buffer_load_dwordx4 v[2:5], v21, s[0:3], s13 offen
	;; [unrolled: 1-line block ×4, first 2 shown]
	v_lshrrev_b32_e32 v21, 3, v18
	v_lshlrev_b32_e32 v24, 3, v23
	v_or_b32_e32 v21, v24, v21
	v_lshlrev_b32_e32 v21, 4, v21
	v_and_b32_e32 v24, 0x78, v24
	v_xor_b32_e32 v24, v21, v24
	v_lshlrev_b32_e32 v21, 7, v20
.LBB360_31:
	s_lshl_b64 s[0:1], s[38:39], 8
	s_add_u32 s4, s4, s0
	s_movk_i32 s0, 0x1000
	v_and_or_b32 v20, v21, s0, v24
	s_waitcnt vmcnt(1)
	ds_write_b64 v24, v[6:7] offset:24576
	v_xor_b32_e32 v6, 8, v24
	ds_write_b64 v6, v[8:9] offset:24576
	s_waitcnt vmcnt(0)
	ds_write_b64 v24, v[2:3] offset:32768
	ds_write_b64 v6, v[4:5] offset:32768
	;; [unrolled: 1-line block ×3, first 2 shown]
	v_xor_b32_e32 v2, 8, v20
	ds_write_b64 v2, v[16:17] offset:24576
	ds_write_b64 v20, v[10:11] offset:32768
	;; [unrolled: 1-line block ×3, first 2 shown]
	v_or_b32_e32 v2, v1, v40
	v_lshlrev_b32_e32 v3, 11, v42
	v_lshlrev_b32_e32 v2, 3, v2
	v_and_b32_e32 v6, 0x1000, v3
	v_lshrrev_b32_e32 v3, 5, v41
	s_movk_i32 s13, 0xf8
	v_and_or_b32 v3, v2, s13, v3
	v_lshlrev_b32_e32 v7, 4, v3
	v_and_b32_e32 v8, 0x78, v2
	v_or_b32_e32 v10, 32, v7
	v_lshrrev_b32_e32 v3, 1, v41
	v_xor_b32_e32 v10, v10, v8
	v_xor_b32_e32 v2, v7, v8
	v_and_b32_e32 v9, 8, v3
	v_or_b32_e32 v10, v10, v6
	v_or_b32_e32 v2, v2, v6
	v_xor_b32_e32 v26, v10, v9
	v_or_b32_e32 v10, 64, v7
	v_xor_b32_e32 v25, v2, v9
	v_xor_b32_e32 v10, v10, v8
	s_waitcnt lgkmcnt(0)
	s_barrier
	v_or_b32_e32 v12, v10, v6
	ds_read_b64 v[10:11], v25 offset:24576
	v_lshl_or_b32 v20, v43, 7, v22
	v_lshlrev_b32_e32 v24, 1, v20
	v_add_u32_e32 v2, 0xa000, v24
	ds_read2_b64 v[2:5], v2 offset1:16
	v_or_b32_e32 v7, 0x60, v7
	v_xor_b32_e32 v7, v7, v8
	s_waitcnt lgkmcnt(0)
	v_mfma_f32_16x16x16_bf16 a[0:3], v[10:11], v[2:3], 0
	v_or_b32_e32 v2, 64, v20
	v_or_b32_e32 v6, v7, v6
	v_lshlrev_b32_e32 v29, 1, v2
	v_xor_b32_e32 v27, v12, v9
	v_xor_b32_e32 v28, v6, v9
	ds_read_b64 v[12:13], v26 offset:24576
	ds_read_b64 v[14:15], v27 offset:24576
	;; [unrolled: 1-line block ×3, first 2 shown]
	v_mfma_f32_16x16x16_bf16 a[4:7], v[10:11], v[4:5], 0
	ds_read2st64_b64 v[2:5], v29 offset0:82 offset1:84
	ds_read2st64_b64 v[6:9], v24 offset0:82 offset1:84
	s_addc_u32 s5, s5, s1
	s_add_i32 s0, s41, s40
	s_add_i32 s2, s35, -1
	s_add_i32 s17, s0, s42
	s_mul_i32 s0, s33, s19
	s_mul_hi_u32 s1, s33, s18
	s_add_i32 s0, s1, s0
	s_mul_i32 s1, s12, s18
	s_ashr_i32 s3, s2, 31
	s_mul_i32 s12, s2, s29
	s_mul_hi_u32 s13, s2, s28
	s_add_i32 s12, s13, s12
	s_mul_i32 s3, s3, s28
	s_waitcnt lgkmcnt(1)
	v_mfma_f32_16x16x16_bf16 a[4:7], v[12:13], v[2:3], a[4:7]
	s_add_i32 s1, s0, s1
	s_add_i32 s3, s12, s3
	s_lshl_b64 s[12:13], s[16:17], 2
	s_waitcnt lgkmcnt(0)
	v_mfma_f32_16x16x16_bf16 a[0:3], v[12:13], v[6:7], a[0:3]
	s_mul_i32 s0, s33, s18
	s_add_u32 s10, s10, s12
	s_addc_u32 s11, s11, s13
	s_lshl_b64 s[0:1], s[0:1], 2
	s_mul_i32 s2, s2, s28
	s_add_u32 s10, s10, s0
	ds_read_b64 v[2:3], v24 offset:44032
	v_mfma_f32_16x16x16_bf16 a[4:7], v[14:15], v[4:5], a[4:7]
	ds_read_b64 v[4:5], v29 offset:44032
	s_addc_u32 s11, s11, s1
	s_lshl_b64 s[0:1], s[2:3], 2
	v_mfma_f32_16x16x16_bf16 a[0:3], v[14:15], v[8:9], a[0:3]
	s_add_u32 s0, s10, s0
	s_addc_u32 s1, s11, s1
	s_load_dword s12, s[0:1], 0x0
	s_waitcnt lgkmcnt(0)
	v_mfma_f32_16x16x16_bf16 a[0:3], v[16:17], v[2:3], a[0:3]
	s_and_b64 vcc, exec, s[26:27]
	v_mfma_f32_16x16x16_bf16 a[4:7], v[16:17], v[4:5], a[4:7]
	s_cbranch_vccz .LBB360_42
; %bb.32:
	v_lshlrev_b32_e32 v20, 1, v23
	s_and_b64 vcc, exec, s[6:7]
	s_cbranch_vccz .LBB360_43
; %bb.33:
	v_cmp_gt_i32_e32 vcc, s45, v20
	v_mov_b32_e32 v6, 0
	v_mov_b32_e32 v2, 0
	;; [unrolled: 1-line block ×5, first 2 shown]
	s_and_saveexec_b64 s[0:1], vcc
	s_cbranch_execz .LBB360_35
; %bb.34:
	v_mad_i64_i32 v[2:3], s[2:3], s15, v20, 0
	v_lshl_add_u64 v[2:3], v[2:3], 1, s[4:5]
	v_lshlrev_b32_e32 v4, 1, v18
	v_mov_b32_e32 v5, 0
	v_lshl_add_u64 v[2:3], v[2:3], 0, v[4:5]
	global_load_dwordx4 v[2:5], v[2:3], off
.LBB360_35:
	s_or_b64 exec, exec, s[0:1]
	v_or_b32_e32 v21, 1, v20
	v_cmp_gt_i32_e64 s[0:1], s45, v21
	v_mov_b32_e32 v7, 0
	v_mov_b32_e32 v8, 0
	;; [unrolled: 1-line block ×3, first 2 shown]
	s_and_saveexec_b64 s[2:3], s[0:1]
	s_cbranch_execz .LBB360_37
; %bb.36:
	v_mad_i64_i32 v[6:7], s[16:17], s15, v21, 0
	v_lshl_add_u64 v[6:7], v[6:7], 1, s[4:5]
	v_lshlrev_b32_e32 v8, 1, v18
	v_mov_b32_e32 v9, 0
	v_lshl_add_u64 v[6:7], v[6:7], 0, v[8:9]
	global_load_dwordx4 v[6:9], v[6:7], off
.LBB360_37:
	s_or_b64 exec, exec, s[2:3]
	v_mov_b32_e32 v17, 0
	v_mov_b32_e32 v10, 0
	;; [unrolled: 1-line block ×5, first 2 shown]
	s_and_saveexec_b64 s[2:3], vcc
	s_cbranch_execz .LBB360_39
; %bb.38:
	v_mad_i64_i32 v[10:11], s[16:17], s15, v20, 0
	v_lshl_add_u64 v[10:11], v[10:11], 1, s[4:5]
	v_lshlrev_b32_e32 v12, 1, v18
	v_mov_b32_e32 v13, 0
	v_lshl_add_u64 v[10:11], v[10:11], 0, v[12:13]
	global_load_dwordx4 v[10:13], v[10:11], off offset:128
.LBB360_39:
	s_or_b64 exec, exec, s[2:3]
	v_mov_b32_e32 v16, 0
	v_mov_b32_e32 v15, 0
	;; [unrolled: 1-line block ×3, first 2 shown]
	s_and_saveexec_b64 s[2:3], s[0:1]
	s_cbranch_execz .LBB360_41
; %bb.40:
	v_mad_i64_i32 v[14:15], s[0:1], s15, v21, 0
	v_lshl_add_u64 v[14:15], v[14:15], 1, s[4:5]
	v_lshlrev_b32_e32 v16, 1, v18
	v_mov_b32_e32 v17, 0
	v_lshl_add_u64 v[14:15], v[14:15], 0, v[16:17]
	global_load_dwordx4 v[14:17], v[14:15], off offset:128
.LBB360_41:
	s_or_b64 exec, exec, s[2:3]
	s_branch .LBB360_45
.LBB360_42:
                                        ; implicit-def: $vgpr5
                                        ; implicit-def: $vgpr9
                                        ; implicit-def: $vgpr13
                                        ; implicit-def: $vgpr17
	v_lshrrev_b32_e32 v30, 2, v41
	s_branch .LBB360_46
.LBB360_43:
                                        ; implicit-def: $vgpr5
                                        ; implicit-def: $vgpr9
                                        ; implicit-def: $vgpr13
                                        ; implicit-def: $vgpr17
	s_cbranch_execz .LBB360_45
; %bb.44:
	s_waitcnt vmcnt(0)
	v_mad_u64_u32 v[2:3], s[0:1], v20, s15, v[18:19]
	v_lshlrev_b32_e32 v20, 1, v2
	s_lshl_b32 s2, s15, 7
	s_and_b32 s1, s5, 0xffff
	s_mov_b32 s3, 0x20000
	s_mov_b32 s0, s4
	v_add_lshl_u32 v21, v2, s15, 1
	s_movk_i32 s13, 0x80
	buffer_load_dwordx4 v[2:5], v20, s[0:3], 0 offen
	buffer_load_dwordx4 v[10:13], v20, s[0:3], s13 offen
	;; [unrolled: 1-line block ×4, first 2 shown]
.LBB360_45:
	v_lshrrev_b32_e32 v30, 2, v41
	s_cbranch_execnz .LBB360_58
.LBB360_46:
	s_and_b64 vcc, exec, s[6:7]
	s_cbranch_vccz .LBB360_56
; %bb.47:
	s_waitcnt vmcnt(0)
	v_lshlrev_b32_e32 v7, 1, v23
	v_cmp_gt_i32_e32 vcc, s45, v7
	v_mov_b32_e32 v6, 0
	v_lshlrev_b32_e32 v14, 9, v23
	v_mov_b32_e32 v2, 0
	v_mov_b32_e32 v3, 0
	;; [unrolled: 1-line block ×4, first 2 shown]
	s_and_saveexec_b64 s[0:1], vcc
	s_cbranch_execz .LBB360_49
; %bb.48:
	v_mov_b32_e32 v15, 0
	v_lshl_add_u64 v[2:3], s[4:5], 0, v[14:15]
	v_lshlrev_b32_e32 v4, 1, v18
	v_mov_b32_e32 v5, v15
	v_lshl_add_u64 v[2:3], v[2:3], 0, v[4:5]
	global_load_dwordx4 v[2:5], v[2:3], off
.LBB360_49:
	s_or_b64 exec, exec, s[0:1]
	v_or_b32_e32 v7, 1, v7
	v_cmp_gt_i32_e64 s[0:1], s45, v7
	v_lshlrev_b32_e32 v20, 8, v7
	v_mov_b32_e32 v7, 0
	v_mov_b32_e32 v8, 0
	;; [unrolled: 1-line block ×3, first 2 shown]
	s_and_saveexec_b64 s[2:3], s[0:1]
	s_cbranch_execz .LBB360_51
; %bb.50:
	v_mov_b32_e32 v21, 0
	v_lshl_add_u64 v[6:7], s[4:5], 0, v[20:21]
	v_lshlrev_b32_e32 v8, 1, v18
	v_mov_b32_e32 v9, v21
	v_lshl_add_u64 v[6:7], v[6:7], 0, v[8:9]
	global_load_dwordx4 v[6:9], v[6:7], off
.LBB360_51:
	s_or_b64 exec, exec, s[2:3]
	v_mov_b32_e32 v17, 0
	v_mov_b32_e32 v10, 0
	;; [unrolled: 1-line block ×5, first 2 shown]
	s_and_saveexec_b64 s[2:3], vcc
	s_cbranch_execz .LBB360_53
; %bb.52:
	v_mov_b32_e32 v15, 0
	v_lshl_add_u64 v[10:11], s[4:5], 0, v[14:15]
	v_lshlrev_b32_e32 v14, 1, v18
	v_lshl_add_u64 v[10:11], v[10:11], 0, v[14:15]
	global_load_dwordx4 v[10:13], v[10:11], off offset:128
.LBB360_53:
	s_or_b64 exec, exec, s[2:3]
	v_mov_b32_e32 v16, 0
	v_mov_b32_e32 v15, 0
	;; [unrolled: 1-line block ×3, first 2 shown]
	s_and_saveexec_b64 s[2:3], s[0:1]
	s_cbranch_execz .LBB360_55
; %bb.54:
	v_mov_b32_e32 v21, 0
	v_lshl_add_u64 v[14:15], s[4:5], 0, v[20:21]
	v_lshlrev_b32_e32 v20, 1, v18
	v_lshl_add_u64 v[14:15], v[14:15], 0, v[20:21]
	global_load_dwordx4 v[14:17], v[14:15], off offset:128
.LBB360_55:
	s_or_b64 exec, exec, s[2:3]
	s_branch .LBB360_58
.LBB360_56:
                                        ; implicit-def: $vgpr5
                                        ; implicit-def: $vgpr9
                                        ; implicit-def: $vgpr13
                                        ; implicit-def: $vgpr17
	s_cbranch_execz .LBB360_58
; %bb.57:
	s_waitcnt vmcnt(0)
	v_lshlrev_b32_e32 v2, 1, v18
	v_lshl_or_b32 v18, v23, 9, v2
	s_and_b32 s5, s5, 0xffff
	s_mov_b32 s7, 0x20000
	s_movk_i32 s6, 0x4000
	s_movk_i32 s0, 0x80
	buffer_load_dwordx4 v[2:5], v18, s[4:7], 0 offen
	buffer_load_dwordx4 v[6:9], v18, s[4:7], 0 offen offset:256
	buffer_load_dwordx4 v[10:13], v18, s[4:7], s0 offen
	buffer_load_dwordx4 v[14:17], v18, s[4:7], s0 offen offset:256
.LBB360_58:
	ds_read_b64 v[20:21], v25 offset:32768
	v_add_u32_e32 v18, 0xb000, v24
	ds_read2_b64 v[32:35], v18 offset1:16
	ds_read_b64 v[42:43], v26 offset:32768
	ds_read_b64 v[26:27], v27 offset:32768
	;; [unrolled: 1-line block ×3, first 2 shown]
	v_and_b32_e32 v18, 6, v0
	v_xor_b32_e32 v23, v23, v18
	v_lshlrev_b32_e32 v23, 2, v23
	v_and_b32_e32 v0, 1, v0
	v_xor_b32_e32 v28, 0x440, v23
	v_cmp_eq_u32_e32 vcc, 0, v0
	s_waitcnt lgkmcnt(3)
	v_mfma_f32_16x16x16_bf16 a[0:3], v[20:21], v[32:33], a[0:3]
	s_mov_b32 s0, 0x1000504
	v_cndmask_b32_e32 v0, v28, v23, vcc
	v_lshl_or_b32 v0, v18, 10, v0
	v_mfma_f32_16x16x16_bf16 a[4:7], v[20:21], v[34:35], a[4:7]
	ds_read2st64_b64 v[32:35], v24 offset0:90 offset1:92
	ds_read2st64_b64 v[36:39], v29 offset0:90 offset1:92
	ds_read_b64 v[20:21], v24 offset:48128
	ds_read_b64 v[24:25], v29 offset:48128
	s_waitcnt vmcnt(0)
	v_perm_b32 v18, v2, v6, s0
	s_waitcnt lgkmcnt(3)
	v_mfma_f32_16x16x16_bf16 a[0:3], v[42:43], v[32:33], a[0:3]
	s_mov_b32 s1, 0x3020706
	v_perm_b32 v2, v2, v6, s1
	v_perm_b32 v6, v10, v14, s1
	s_waitcnt lgkmcnt(2)
	v_mfma_f32_16x16x16_bf16 a[4:7], v[42:43], v[36:37], a[4:7]
	v_mfma_f32_16x16x16_bf16 a[0:3], v[26:27], v[34:35], a[0:3]
	;; [unrolled: 1-line block ×3, first 2 shown]
	s_waitcnt lgkmcnt(1)
	v_mfma_f32_16x16x16_bf16 a[4:7], v[44:45], v[20:21], a[0:3]
	v_perm_b32 v20, v10, v14, s0
	ds_write2st64_b32 v0, v18, v20 offset0:32 offset1:64
	v_xor_b32_e32 v18, 8, v0
	v_add_u32_e32 v10, 0x80, v18
	ds_write2st64_b32 v10, v2, v6 offset0:32 offset1:64
	v_xor_b32_e32 v2, 16, v0
	v_perm_b32 v6, v3, v7, s0
	v_perm_b32 v10, v11, v15, s0
	ds_write2st64_b32 v2, v6, v10 offset0:33 offset1:65
	v_xor_b32_e32 v2, 24, v0
	v_perm_b32 v3, v3, v7, s1
	v_perm_b32 v6, v11, v15, s1
	v_add_u32_e32 v2, 0x80, v2
	ds_write2st64_b32 v2, v3, v6 offset0:33 offset1:65
	v_xor_b32_e32 v2, 32, v0
	v_perm_b32 v3, v4, v8, s0
	v_perm_b32 v6, v12, v16, s0
	ds_write2st64_b32 v2, v3, v6 offset0:34 offset1:66
	v_xor_b32_e32 v2, 40, v0
	s_waitcnt lgkmcnt(5)
	v_mfma_f32_16x16x16_bf16 a[0:3], v[44:45], v[24:25], a[8:11]
	v_perm_b32 v3, v4, v8, s1
	v_perm_b32 v4, v12, v16, s1
	v_add_u32_e32 v2, 0x80, v2
	ds_write2st64_b32 v2, v3, v4 offset0:34 offset1:66
	v_xor_b32_e32 v2, 48, v0
	v_perm_b32 v3, v5, v9, s0
	v_perm_b32 v4, v13, v17, s0
	ds_write2st64_b32 v2, v3, v4 offset0:35 offset1:67
	v_xor_b32_e32 v0, 56, v0
	v_perm_b32 v3, v13, v17, s1
	v_and_or_b32 v17, v30, 12, v1
	v_perm_b32 v2, v5, v9, s1
	v_add_u32_e32 v0, 0x80, v0
	v_cmp_gt_i32_e32 vcc, s45, v17
	v_mov_b32_e32 v14, 0
	v_mov_b32_e32 v16, 0
	ds_write2st64_b32 v0, v2, v3 offset0:35 offset1:67
	s_and_saveexec_b64 s[0:1], vcc
	s_cbranch_execz .LBB360_60
; %bb.59:
	v_add_u32_e32 v0, s34, v17
	v_ashrrev_i32_e32 v1, 31, v0
	v_mul_lo_u32 v2, v1, s28
	v_mul_lo_u32 v3, v0, s29
	v_mad_u64_u32 v[0:1], s[2:3], v0, s28, 0
	v_add3_u32 v1, v1, v3, v2
	v_lshl_add_u64 v[0:1], v[0:1], 2, s[10:11]
	global_load_dword v0, v[0:1], off
	s_waitcnt vmcnt(0)
	v_sub_f32_e32 v0, s12, v0
	v_mul_f32_e32 v0, 0x3fb8aa3b, v0
	v_exp_f32_e32 v16, v0
.LBB360_60:
	s_or_b64 exec, exec, s[0:1]
	v_or_b32_e32 v8, 1, v17
	v_cmp_gt_i32_e64 s[0:1], s45, v8
	s_and_saveexec_b64 s[2:3], s[0:1]
	s_cbranch_execz .LBB360_62
; %bb.61:
	v_add_u32_e32 v0, s34, v8
	v_ashrrev_i32_e32 v1, 31, v0
	v_mul_lo_u32 v2, v1, s28
	v_mul_lo_u32 v3, v0, s29
	v_mad_u64_u32 v[0:1], s[4:5], v0, s28, 0
	v_add3_u32 v1, v1, v3, v2
	v_lshl_add_u64 v[0:1], v[0:1], 2, s[10:11]
	global_load_dword v0, v[0:1], off
	s_waitcnt vmcnt(0)
	v_sub_f32_e32 v0, s12, v0
	v_mul_f32_e32 v0, 0x3fb8aa3b, v0
	v_exp_f32_e32 v14, v0
.LBB360_62:
	s_or_b64 exec, exec, s[2:3]
	v_or_b32_e32 v10, 2, v17
	v_cmp_gt_i32_e64 s[2:3], s45, v10
	v_mov_b32_e32 v15, 0
	v_mov_b32_e32 v18, 0
	s_and_saveexec_b64 s[4:5], s[2:3]
	s_cbranch_execz .LBB360_64
; %bb.63:
	v_add_u32_e32 v0, s34, v10
	v_ashrrev_i32_e32 v1, 31, v0
	v_mul_lo_u32 v2, v1, s28
	v_mul_lo_u32 v3, v0, s29
	v_mad_u64_u32 v[0:1], s[6:7], v0, s28, 0
	v_add3_u32 v1, v1, v3, v2
	v_lshl_add_u64 v[0:1], v[0:1], 2, s[10:11]
	global_load_dword v0, v[0:1], off
	s_waitcnt vmcnt(0)
	v_sub_f32_e32 v0, s12, v0
	v_mul_f32_e32 v0, 0x3fb8aa3b, v0
	v_exp_f32_e32 v18, v0
.LBB360_64:
	s_or_b64 exec, exec, s[4:5]
	v_or_b32_e32 v12, 3, v17
	v_cmp_gt_i32_e64 s[4:5], s45, v12
	s_and_saveexec_b64 s[6:7], s[4:5]
	s_cbranch_execz .LBB360_66
; %bb.65:
	v_add_u32_e32 v0, s34, v12
	v_ashrrev_i32_e32 v1, 31, v0
	v_mul_lo_u32 v2, v1, s28
	v_mul_lo_u32 v3, v0, s29
	v_mad_u64_u32 v[0:1], s[14:15], v0, s28, 0
	v_add3_u32 v1, v1, v3, v2
	v_lshl_add_u64 v[0:1], v[0:1], 2, s[10:11]
	global_load_dword v0, v[0:1], off
	s_waitcnt vmcnt(0)
	v_sub_f32_e32 v0, s12, v0
	v_mul_f32_e32 v0, 0x3fb8aa3b, v0
	v_exp_f32_e32 v15, v0
.LBB360_66:
	s_or_b64 exec, exec, s[6:7]
	v_or_b32_e32 v4, s30, v40
	s_add_u32 s6, s8, s24
	v_accvgpr_read_b32 v0, a4
	s_addc_u32 s7, s9, s25
	v_ashrrev_i32_e32 v5, 31, v4
	v_accvgpr_read_b32 v1, a5
	v_accvgpr_read_b32 v2, a6
	;; [unrolled: 1-line block ×3, first 2 shown]
	v_lshl_add_u64 v[4:5], v[4:5], 1, s[6:7]
	v_mov_b32_e32 v9, 0
	v_lshlrev_b32_e32 v6, 8, v17
	v_mov_b32_e32 v7, 0
	s_and_saveexec_b64 s[6:7], vcc
	s_cbranch_execz .LBB360_68
; %bb.67:
	v_mov_b32_e32 v7, 0
	v_lshl_add_u64 v[20:21], v[4:5], 0, v[6:7]
	global_load_ushort v7, v[20:21], off
	s_waitcnt vmcnt(0)
	v_lshlrev_b32_e32 v7, 16, v7
	v_sub_f32_e32 v0, v7, v0
	v_mul_f32_e32 v0, v16, v0
	v_lshrrev_b32_e32 v7, 16, v0
.LBB360_68:
	s_or_b64 exec, exec, s[6:7]
	v_lshlrev_b32_e32 v8, 8, v8
	s_and_saveexec_b64 s[6:7], s[0:1]
	s_cbranch_execz .LBB360_70
; %bb.69:
	v_mov_b32_e32 v9, 0
	v_lshl_add_u64 v[20:21], v[4:5], 0, v[8:9]
	global_load_ushort v0, v[20:21], off
	s_waitcnt vmcnt(0)
	v_lshlrev_b32_e32 v0, 16, v0
	v_sub_f32_e32 v0, v0, v1
	v_mul_f32_e32 v0, v14, v0
	v_lshrrev_b32_e32 v9, 16, v0
.LBB360_70:
	s_or_b64 exec, exec, s[6:7]
	v_mov_b32_e32 v13, 0
	v_lshlrev_b32_e32 v10, 8, v10
	v_mov_b32_e32 v11, 0
	s_and_saveexec_b64 s[6:7], s[2:3]
	s_cbranch_execz .LBB360_72
; %bb.71:
	v_mov_b32_e32 v11, 0
	v_lshl_add_u64 v[0:1], v[4:5], 0, v[10:11]
	global_load_ushort v0, v[0:1], off
	s_waitcnt vmcnt(0)
	v_lshlrev_b32_e32 v0, 16, v0
	v_sub_f32_e32 v0, v0, v2
	v_mul_f32_e32 v0, v18, v0
	v_lshrrev_b32_e32 v11, 16, v0
.LBB360_72:
	s_or_b64 exec, exec, s[6:7]
	v_lshlrev_b32_e32 v12, 8, v12
	s_and_saveexec_b64 s[6:7], s[4:5]
	s_cbranch_execz .LBB360_74
; %bb.73:
	v_mov_b32_e32 v13, 0
	v_lshl_add_u64 v[0:1], v[4:5], 0, v[12:13]
	global_load_ushort v0, v[0:1], off
	s_waitcnt vmcnt(0)
	v_lshlrev_b32_e32 v0, 16, v0
	v_sub_f32_e32 v0, v0, v3
	v_mul_f32_e32 v0, v15, v0
	v_lshrrev_b32_e32 v13, 16, v0
.LBB360_74:
	s_or_b64 exec, exec, s[6:7]
	v_lshlrev_b32_e32 v17, 5, v17
	s_mov_b32 s6, 0x5040100
	v_perm_b32 v20, v9, v7, s6
	v_or_b32_e32 v7, v17, v22
	v_accvgpr_read_b32 v0, a0
	v_perm_b32 v21, v13, v11, s6
	v_lshlrev_b32_e32 v7, 1, v7
	v_accvgpr_read_b32 v1, a1
	v_accvgpr_read_b32 v2, a2
	;; [unrolled: 1-line block ×3, first 2 shown]
	ds_write_b64 v7, v[20:21] offset:45056
	v_mov_b32_e32 v9, 0
	v_mov_b32_e32 v7, 0
	s_and_saveexec_b64 s[6:7], vcc
	s_cbranch_execz .LBB360_76
; %bb.75:
	v_mov_b32_e32 v7, 0
	v_lshl_add_u64 v[6:7], v[4:5], 0, v[6:7]
	global_load_ushort v6, v[6:7], off offset:32
	s_waitcnt vmcnt(0)
	v_lshlrev_b32_e32 v6, 16, v6
	v_sub_f32_e32 v0, v6, v0
	v_mul_f32_e32 v0, v16, v0
	v_lshrrev_b32_e32 v7, 16, v0
.LBB360_76:
	s_or_b64 exec, exec, s[6:7]
	s_and_saveexec_b64 s[6:7], s[0:1]
	s_cbranch_execz .LBB360_78
; %bb.77:
	v_mov_b32_e32 v9, 0
	v_lshl_add_u64 v[8:9], v[4:5], 0, v[8:9]
	global_load_ushort v0, v[8:9], off offset:32
	s_waitcnt vmcnt(0)
	v_lshlrev_b32_e32 v0, 16, v0
	v_sub_f32_e32 v0, v0, v1
	v_mul_f32_e32 v0, v14, v0
	v_lshrrev_b32_e32 v9, 16, v0
.LBB360_78:
	s_or_b64 exec, exec, s[6:7]
	v_mov_b32_e32 v0, 0
	v_mov_b32_e32 v1, 0
	s_and_saveexec_b64 s[0:1], s[2:3]
	s_cbranch_execz .LBB360_80
; %bb.79:
	v_mov_b32_e32 v11, 0
	v_lshl_add_u64 v[10:11], v[4:5], 0, v[10:11]
	global_load_ushort v1, v[10:11], off offset:32
	s_waitcnt vmcnt(0)
	v_lshlrev_b32_e32 v1, 16, v1
	v_sub_f32_e32 v1, v1, v2
	v_mul_f32_e32 v1, v18, v1
	v_lshrrev_b32_e32 v1, 16, v1
.LBB360_80:
	s_or_b64 exec, exec, s[0:1]
	s_and_saveexec_b64 s[0:1], s[4:5]
	s_cbranch_execz .LBB360_82
; %bb.81:
	v_mov_b32_e32 v13, 0
	v_lshl_add_u64 v[4:5], v[4:5], 0, v[12:13]
	global_load_ushort v0, v[4:5], off offset:32
	s_waitcnt vmcnt(0)
	v_lshlrev_b32_e32 v0, 16, v0
	v_sub_f32_e32 v0, v0, v3
	v_mul_f32_e32 v0, v15, v0
	v_lshrrev_b32_e32 v0, 16, v0
.LBB360_82:
	s_or_b64 exec, exec, s[0:1]
	s_mov_b32 s0, 0x5040100
	v_or_b32_e32 v2, v17, v19
	v_perm_b32 v1, v0, v1, s0
	v_perm_b32 v0, v9, v7, s0
	v_lshlrev_b32_e32 v2, 1, v2
	ds_write_b64 v2, v[0:1] offset:45056
	s_waitcnt lgkmcnt(0)
	s_barrier
.LBB360_83:
	s_endpgm
	.section	.rodata,"a",@progbits
	.p2align	6, 0x0
	.amdhsa_kernel _ZN12_GLOBAL__N_139chunk_gated_delta_rule_fwd_h_hip_kernelILi32ELb0ELb0ELb0ELb1ELb0ELb0ELb1ELb1EEEvPK12hip_bfloat16S3_S3_PKfS5_PKvPS1_S8_PvPKiSB_iiiiilll
		.amdhsa_group_segment_fixed_size 49152
		.amdhsa_private_segment_fixed_size 0
		.amdhsa_kernarg_size 136
		.amdhsa_user_sgpr_count 2
		.amdhsa_user_sgpr_dispatch_ptr 0
		.amdhsa_user_sgpr_queue_ptr 0
		.amdhsa_user_sgpr_kernarg_segment_ptr 1
		.amdhsa_user_sgpr_dispatch_id 0
		.amdhsa_user_sgpr_kernarg_preload_length 0
		.amdhsa_user_sgpr_kernarg_preload_offset 0
		.amdhsa_user_sgpr_private_segment_size 0
		.amdhsa_uses_dynamic_stack 0
		.amdhsa_enable_private_segment 0
		.amdhsa_system_sgpr_workgroup_id_x 1
		.amdhsa_system_sgpr_workgroup_id_y 1
		.amdhsa_system_sgpr_workgroup_id_z 0
		.amdhsa_system_sgpr_workgroup_info 0
		.amdhsa_system_vgpr_workitem_id 0
		.amdhsa_next_free_vgpr 152
		.amdhsa_next_free_sgpr 59
		.amdhsa_accum_offset 132
		.amdhsa_reserve_vcc 1
		.amdhsa_float_round_mode_32 0
		.amdhsa_float_round_mode_16_64 0
		.amdhsa_float_denorm_mode_32 3
		.amdhsa_float_denorm_mode_16_64 3
		.amdhsa_dx10_clamp 1
		.amdhsa_ieee_mode 1
		.amdhsa_fp16_overflow 0
		.amdhsa_tg_split 0
		.amdhsa_exception_fp_ieee_invalid_op 0
		.amdhsa_exception_fp_denorm_src 0
		.amdhsa_exception_fp_ieee_div_zero 0
		.amdhsa_exception_fp_ieee_overflow 0
		.amdhsa_exception_fp_ieee_underflow 0
		.amdhsa_exception_fp_ieee_inexact 0
		.amdhsa_exception_int_div_zero 0
	.end_amdhsa_kernel
	.section	.text._ZN12_GLOBAL__N_139chunk_gated_delta_rule_fwd_h_hip_kernelILi32ELb0ELb0ELb0ELb1ELb0ELb0ELb1ELb1EEEvPK12hip_bfloat16S3_S3_PKfS5_PKvPS1_S8_PvPKiSB_iiiiilll,"axG",@progbits,_ZN12_GLOBAL__N_139chunk_gated_delta_rule_fwd_h_hip_kernelILi32ELb0ELb0ELb0ELb1ELb0ELb0ELb1ELb1EEEvPK12hip_bfloat16S3_S3_PKfS5_PKvPS1_S8_PvPKiSB_iiiiilll,comdat
.Lfunc_end360:
	.size	_ZN12_GLOBAL__N_139chunk_gated_delta_rule_fwd_h_hip_kernelILi32ELb0ELb0ELb0ELb1ELb0ELb0ELb1ELb1EEEvPK12hip_bfloat16S3_S3_PKfS5_PKvPS1_S8_PvPKiSB_iiiiilll, .Lfunc_end360-_ZN12_GLOBAL__N_139chunk_gated_delta_rule_fwd_h_hip_kernelILi32ELb0ELb0ELb0ELb1ELb0ELb0ELb1ELb1EEEvPK12hip_bfloat16S3_S3_PKfS5_PKvPS1_S8_PvPKiSB_iiiiilll
                                        ; -- End function
	.section	.AMDGPU.csdata,"",@progbits
; Kernel info:
; codeLenInByte = 8368
; NumSgprs: 65
; NumVgprs: 132
; NumAgprs: 20
; TotalNumVgprs: 152
; ScratchSize: 0
; MemoryBound: 0
; FloatMode: 240
; IeeeMode: 1
; LDSByteSize: 49152 bytes/workgroup (compile time only)
; SGPRBlocks: 8
; VGPRBlocks: 18
; NumSGPRsForWavesPerEU: 65
; NumVGPRsForWavesPerEU: 152
; AccumOffset: 132
; Occupancy: 1
; WaveLimiterHint : 1
; COMPUTE_PGM_RSRC2:SCRATCH_EN: 0
; COMPUTE_PGM_RSRC2:USER_SGPR: 2
; COMPUTE_PGM_RSRC2:TRAP_HANDLER: 0
; COMPUTE_PGM_RSRC2:TGID_X_EN: 1
; COMPUTE_PGM_RSRC2:TGID_Y_EN: 1
; COMPUTE_PGM_RSRC2:TGID_Z_EN: 0
; COMPUTE_PGM_RSRC2:TIDIG_COMP_CNT: 0
; COMPUTE_PGM_RSRC3_GFX90A:ACCUM_OFFSET: 32
; COMPUTE_PGM_RSRC3_GFX90A:TG_SPLIT: 0
	.section	.text._ZN12_GLOBAL__N_139chunk_gated_delta_rule_fwd_h_hip_kernelILi32ELb1ELb1ELb1ELb0ELb0ELb0ELb1ELb1EEEvPK12hip_bfloat16S3_S3_PKfS5_PKvPS1_S8_PvPKiSB_iiiiilll,"axG",@progbits,_ZN12_GLOBAL__N_139chunk_gated_delta_rule_fwd_h_hip_kernelILi32ELb1ELb1ELb1ELb0ELb0ELb0ELb1ELb1EEEvPK12hip_bfloat16S3_S3_PKfS5_PKvPS1_S8_PvPKiSB_iiiiilll,comdat
	.globl	_ZN12_GLOBAL__N_139chunk_gated_delta_rule_fwd_h_hip_kernelILi32ELb1ELb1ELb1ELb0ELb0ELb0ELb1ELb1EEEvPK12hip_bfloat16S3_S3_PKfS5_PKvPS1_S8_PvPKiSB_iiiiilll ; -- Begin function _ZN12_GLOBAL__N_139chunk_gated_delta_rule_fwd_h_hip_kernelILi32ELb1ELb1ELb1ELb0ELb0ELb0ELb1ELb1EEEvPK12hip_bfloat16S3_S3_PKfS5_PKvPS1_S8_PvPKiSB_iiiiilll
	.p2align	8
	.type	_ZN12_GLOBAL__N_139chunk_gated_delta_rule_fwd_h_hip_kernelILi32ELb1ELb1ELb1ELb0ELb0ELb0ELb1ELb1EEEvPK12hip_bfloat16S3_S3_PKfS5_PKvPS1_S8_PvPKiSB_iiiiilll,@function
_ZN12_GLOBAL__N_139chunk_gated_delta_rule_fwd_h_hip_kernelILi32ELb1ELb1ELb1ELb0ELb0ELb0ELb1ELb1EEEvPK12hip_bfloat16S3_S3_PKfS5_PKvPS1_S8_PvPKiSB_iiiiilll: ; @_ZN12_GLOBAL__N_139chunk_gated_delta_rule_fwd_h_hip_kernelILi32ELb1ELb1ELb1ELb0ELb0ELb0ELb1ELb1EEEvPK12hip_bfloat16S3_S3_PKfS5_PKvPS1_S8_PvPKiSB_iiiiilll
; %bb.0:
	s_load_dwordx4 s[20:23], s[0:1], 0x5c
	s_load_dwordx4 s[24:27], s[0:1], 0x70
	s_abs_i32 s6, s3
	s_ashr_i32 s5, s3, 31
	v_and_b32_e32 v68, 15, v0
	s_waitcnt lgkmcnt(0)
	s_abs_i32 s4, s21
	v_cvt_f32_u32_e32 v1, s4
	s_sub_i32 s8, 0, s4
	s_ashr_i32 s7, s21, 31
	s_xor_b32 s5, s5, s7
	v_rcp_iflag_f32_e32 v1, v1
	v_bfe_u32 v67, v0, 4, 2
	v_mov_b32_e32 v51, 0
	v_lshlrev_b32_e32 v69, 3, v0
	v_mul_f32_e32 v1, 0x4f7ffffe, v1
	v_cvt_u32_f32_e32 v1, v1
	s_nop 0
	v_readfirstlane_b32 s9, v1
	s_mul_i32 s8, s8, s9
	s_mul_hi_u32 s8, s9, s8
	s_add_i32 s9, s9, s8
	s_mul_hi_u32 s8, s6, s9
	s_mul_i32 s9, s8, s4
	s_sub_i32 s6, s6, s9
	s_add_i32 s10, s8, 1
	s_sub_i32 s9, s6, s4
	s_cmp_ge_u32 s6, s4
	s_cselect_b32 s8, s10, s8
	s_cselect_b32 s6, s9, s6
	s_add_i32 s9, s8, 1
	s_cmp_ge_u32 s6, s4
	s_cselect_b32 s6, s9, s8
	s_xor_b32 s6, s6, s5
	s_add_i32 s8, s20, 63
	s_sub_i32 s55, s6, s5
	s_ashr_i32 s9, s8, 31
	s_mul_i32 s12, s55, s21
	s_sub_i32 s53, s3, s12
	s_lshr_b32 s3, s9, 26
	s_add_i32 s8, s8, s3
	s_abs_i32 s3, s22
	v_cvt_f32_u32_e32 v1, s3
	s_ashr_i32 s54, s20, 31
	s_lshr_b32 s5, s54, 26
	s_add_i32 s5, s20, s5
	v_rcp_iflag_f32_e32 v1, v1
	s_ashr_i32 s58, s22, 31
	s_ashr_i32 s56, s5, 6
	s_xor_b32 s5, s7, s58
	v_mul_f32_e32 v1, 0x4f7ffffe, v1
	v_cvt_u32_f32_e32 v1, v1
	s_sub_i32 s6, 0, s3
	s_ashr_i32 s28, s8, 6
	s_lshl_b32 s2, s2, 5
	v_readfirstlane_b32 s7, v1
	s_mul_i32 s6, s6, s7
	s_mul_hi_u32 s6, s7, s6
	s_add_i32 s7, s7, s6
	s_mul_hi_u32 s6, s4, s7
	s_mul_i32 s7, s6, s3
	s_sub_i32 s4, s4, s7
	s_add_i32 s7, s6, 1
	s_sub_i32 s8, s4, s3
	s_cmp_ge_u32 s4, s3
	s_cselect_b32 s6, s7, s6
	s_cselect_b32 s4, s8, s4
	s_add_i32 s7, s6, 1
	s_cmp_ge_u32 s4, s3
	s_cselect_b32 s3, s7, s6
	s_xor_b32 s3, s3, s5
	s_sub_i32 s3, s3, s5
	s_abs_i32 s13, s3
	v_cvt_f32_u32_e32 v1, s13
	s_sub_i32 s15, 0, s13
	s_abs_i32 s14, s53
	s_xor_b32 s3, s53, s3
	v_rcp_iflag_f32_e32 v2, v1
	s_ashr_i32 s3, s3, 31
	s_load_dwordx8 s[4:11], s[0:1], 0x28
	v_or_b32_e32 v56, s2, v68
	v_mul_f32_e32 v2, 0x4f7ffffe, v2
	v_cvt_u32_f32_e32 v2, v2
	v_lshrrev_b32_e32 v1, 6, v0
	v_lshlrev_b32_e32 v52, 7, v56
	v_lshlrev_b32_e32 v66, 4, v1
	v_readfirstlane_b32 s16, v2
	s_mul_i32 s15, s15, s16
	s_mul_hi_u32 s15, s16, s15
	s_add_i32 s16, s16, s15
	s_mul_hi_u32 s15, s14, s16
	s_mul_i32 s16, s15, s13
	s_sub_i32 s14, s14, s16
	s_add_i32 s16, s15, 1
	s_sub_i32 s17, s14, s13
	s_cmp_ge_u32 s14, s13
	s_cselect_b32 s15, s16, s15
	s_cselect_b32 s14, s17, s14
	s_add_i32 s16, s15, 1
	s_cmp_ge_u32 s14, s13
	s_cselect_b32 s13, s16, s15
	s_xor_b32 s13, s13, s3
	s_sub_i32 s59, s13, s3
	s_ashr_i32 s3, s55, 31
	s_ashr_i32 s57, s53, 31
	s_mul_hi_i32 s13, s55, s21
	s_add_u32 s42, s12, s53
	s_addc_u32 s43, s13, s57
	s_lshl_b64 s[34:35], s[42:43], 15
	s_waitcnt lgkmcnt(0)
	s_add_u32 s4, s4, s34
	v_or_b32_e32 v54, 0x800, v52
	v_lshl_or_b32 v71, v67, 2, v66
	s_addc_u32 s5, s5, s35
	v_ashrrev_i32_e32 v53, 31, v52
	v_ashrrev_i32_e32 v55, 31, v54
	v_lshl_add_u64 v[2:3], v[52:53], 1, s[4:5]
	v_lshlrev_b32_e32 v50, 1, v71
	v_lshl_add_u64 v[6:7], v[54:55], 1, s[4:5]
	v_lshl_add_u64 v[2:3], v[2:3], 0, v[50:51]
	;; [unrolled: 1-line block ×3, first 2 shown]
	global_load_dwordx2 v[4:5], v[2:3], off
	v_and_b32_e32 v51, 63, v0
	global_load_dwordx2 v[2:3], v[2:3], off offset:128
	s_nop 0
	global_load_dwordx2 v[8:9], v[6:7], off
	global_load_dwordx2 v[10:11], v[6:7], off offset:128
	s_load_dwordx8 s[12:19], s[0:1], 0x0
	s_load_dwordx2 s[36:37], s[0:1], 0x80
	v_lshrrev_b32_e32 v70, 3, v51
	v_or_b32_e32 v72, 64, v71
	s_mul_i32 s33, s55, s25
	s_mul_hi_u32 s48, s55, s24
	s_mul_i32 s38, s55, s24
	s_mul_i32 s60, s55, s28
	;; [unrolled: 1-line block ×3, first 2 shown]
	s_mul_hi_u32 s50, s53, s26
	s_mul_i32 s52, s3, s24
	s_mul_i32 s51, s57, s26
	s_mul_hi_u32 s61, s42, s20
	s_mul_i32 s4, s42, s20
	s_mul_i32 s43, s43, s20
	s_cmp_lt_i32 s20, 64
	s_mul_i32 s40, s53, s26
	s_waitcnt vmcnt(3)
	v_and_b32_e32 v19, 0xffff0000, v4
	v_lshlrev_b32_e32 v18, 16, v4
	v_and_b32_e32 v21, 0xffff0000, v5
	v_lshlrev_b32_e32 v20, 16, v5
	s_waitcnt vmcnt(2)
	v_and_b32_e32 v23, 0xffff0000, v2
	v_lshlrev_b32_e32 v22, 16, v2
	v_and_b32_e32 v25, 0xffff0000, v3
	v_lshlrev_b32_e32 v24, 16, v3
	;; [unrolled: 5-line block ×4, first 2 shown]
	s_cbranch_scc1 .LBB361_3
; %bb.1:
	s_add_i32 s5, s61, s43
	s_lshl_b64 s[0:1], s[4:5], 8
	v_and_b32_e32 v74, 56, v69
	s_waitcnt lgkmcnt(0)
	s_add_u32 s24, s14, s0
	v_lshl_or_b32 v73, v1, 3, v70
	v_lshlrev_b32_e32 v2, 1, v74
	s_addc_u32 s0, s15, s1
	v_lshl_or_b32 v75, v73, 8, v2
	s_and_b32 s25, s0, 0xffff
	s_mov_b32 s27, 0x20000
	s_movk_i32 s26, 0x4000
	s_movk_i32 s0, 0x80
	v_or_b32_e32 v76, 0x2000, v75
	buffer_load_dwordx4 v[4:7], v75, s[24:27], 0 offen
	buffer_load_dwordx4 v[8:11], v75, s[24:27], s0 offen
	buffer_load_dwordx4 v[12:15], v76, s[24:27], 0 offen
	buffer_load_dwordx4 v[34:37], v76, s[24:27], s0 offen
	v_lshlrev_b32_e32 v3, 3, v73
	v_and_or_b32 v17, v0, 7, v3
	v_and_b32_e32 v3, 0x78, v3
	v_lshlrev_b32_e32 v17, 4, v17
	v_xor_b32_e32 v77, v17, v3
	v_mul_lo_u32 v16, v73, s23
	v_or_b32_e32 v78, 0x1000, v77
	v_xor_b32_e32 v3, 8, v77
	s_cmpk_eq_i32 s23, 0x80
	s_mov_b32 s62, s22
	v_xor_b32_e32 v17, 8, v78
	s_cselect_b64 s[0:1], -1, 0
	s_cmpk_lg_i32 s23, 0x80
	s_waitcnt vmcnt(3)
	ds_write_b64 v77, v[4:5] offset:24576
	ds_write_b64 v3, v[6:7] offset:24576
	s_waitcnt vmcnt(2)
	ds_write_b64 v77, v[8:9] offset:32768
	ds_write_b64 v3, v[10:11] offset:32768
	;; [unrolled: 3-line block ×4, first 2 shown]
	v_lshl_add_u32 v3, v16, 1, v74
	s_cbranch_scc0 .LBB361_29
; %bb.2:
	v_lshlrev_b32_e32 v5, 1, v3
	v_add_lshl_u32 v4, v3, s23, 1
	s_lshl_b32 s26, s23, 7
	v_lshl_or_b32 v2, v73, 9, v2
	s_cbranch_execz .LBB361_30
	s_branch .LBB361_31
.LBB361_3:
	v_mov_b64_e32 v[2:3], v[18:19]
	v_mov_b64_e32 v[4:5], v[20:21]
	;; [unrolled: 1-line block ×8, first 2 shown]
.LBB361_4:
	s_lshl_b32 s30, s56, 6
	s_sub_i32 s31, s20, s30
	s_cmp_gt_i32 s31, 0
	s_cbranch_scc0 .LBB361_83
; %bb.5:
	s_ashr_i32 s3, s30, 31
	s_cmpk_lg_i32 s23, 0x80
	s_cselect_b64 s[26:27], -1, 0
	s_and_b64 vcc, exec, s[26:27]
	s_cbranch_vccz .LBB361_7
; %bb.6:
	s_mul_i32 s1, s55, s20
	s_mul_hi_i32 s0, s55, s20
	s_add_u32 s1, s1, s30
	s_addc_u32 s0, s0, s3
	s_mul_i32 s5, s1, s58
	s_mul_hi_u32 s24, s1, s22
	s_add_i32 s5, s24, s5
	s_mul_i32 s0, s0, s22
	s_add_i32 s5, s5, s0
	s_mul_i32 s1, s1, s22
	s_ashr_i32 s0, s59, 31
	s_add_u32 s28, s1, s59
	s_addc_u32 s29, s5, s0
	s_cbranch_execz .LBB361_8
	s_branch .LBB361_9
.LBB361_7:
                                        ; implicit-def: $sgpr28_sgpr29
.LBB361_8:
	s_mul_hi_i32 s0, s55, s22
	s_mul_i32 s55, s55, s22
	s_ashr_i32 s1, s59, 31
	s_add_u32 s5, s55, s59
	s_addc_u32 s0, s0, s1
	s_mul_i32 s1, s5, s54
	s_mul_hi_u32 s22, s5, s20
	s_add_i32 s1, s22, s1
	s_mul_i32 s0, s0, s20
	s_add_i32 s1, s1, s0
	s_mul_i32 s5, s5, s20
	s_add_u32 s28, s5, s30
	s_addc_u32 s29, s1, s3
.LBB361_9:
	s_mul_i32 s0, s42, s54
	s_add_i32 s0, s61, s0
	s_add_i32 s5, s60, s56
	;; [unrolled: 1-line block ×3, first 2 shown]
	s_add_u32 s0, s4, s30
	v_lshlrev_b32_e32 v22, 5, v71
	v_lshlrev_b32_e32 v38, 2, v68
	s_addc_u32 s1, s1, s3
	s_mov_b32 s3, 0x7060302
	v_or_b32_e32 v25, v22, v38
	v_xor_b32_e32 v23, v71, v38
	v_perm_b32 v19, v5, v4, s3
	v_perm_b32 v18, v3, v2, s3
	;; [unrolled: 1-line block ×4, first 2 shown]
	v_lshlrev_b32_e32 v25, 1, v25
	v_xor_b32_e32 v24, v72, v38
	ds_write2st64_b64 v25, v[18:19], v[20:21] offset0:80 offset1:88
	v_lshlrev_b32_e32 v23, 1, v23
	v_lshlrev_b32_e32 v25, 8, v68
	s_lshl_b64 s[24:25], s[0:1], 8
	v_or_b32_e32 v26, v23, v25
	v_lshlrev_b32_e32 v24, 1, v24
	s_waitcnt lgkmcnt(0)
	s_add_u32 s0, s14, s24
	ds_write_b64 v26, v[18:19]
	v_or_b32_e32 v18, v24, v25
	s_addc_u32 s1, s15, s25
	ds_write_b64 v18, v[20:21]
	v_perm_b32 v19, v13, v12, s3
	v_perm_b32 v18, v11, v10, s3
	;; [unrolled: 1-line block ×4, first 2 shown]
	v_or_b32_e32 v25, 16, v68
	s_mul_hi_i32 s3, s5, s21
	s_mul_i32 s5, s5, s21
	v_lshlrev_b32_e32 v35, 2, v25
	s_add_u32 s4, s5, s53
	v_or_b32_e32 v22, v22, v35
	s_addc_u32 s5, s3, s57
	v_lshlrev_b32_e32 v22, 1, v22
	s_ashr_i32 s3, s2, 31
	s_lshl_b64 s[4:5], s[4:5], 15
	ds_write2st64_b64 v22, v[18:19], v[20:21] offset0:80 offset1:88
	v_lshlrev_b32_e32 v22, 8, v25
	s_add_u32 s4, s6, s4
	v_or_b32_e32 v23, v23, v22
	s_addc_u32 s5, s7, s5
	s_lshl_b64 s[2:3], s[2:3], 8
	ds_write_b64 v23, v[18:19]
	v_or_b32_e32 v18, v24, v22
	s_add_u32 s2, s4, s2
	ds_write_b64 v18, v[20:21]
	v_lshrrev_b32_e32 v18, 4, v0
	s_addc_u32 s3, s5, s3
	v_lshlrev_b32_e32 v19, 1, v68
	v_lshlrev_b32_e32 v26, 4, v68
	v_mov_b32_e32 v27, 0
	v_or_b32_e32 v20, 1, v19
	v_xor_b32_e32 v19, v18, v19
	v_lshl_add_u64 v[28:29], s[2:3], 0, v[26:27]
	v_lshlrev_b32_e32 v26, 8, v18
	v_xor_b32_e32 v22, v20, v18
	v_lshl_or_b32 v18, v19, 3, v26
	s_waitcnt lgkmcnt(0)
	s_barrier
	ds_read2st64_b64 v[18:21], v18 offset1:8
	v_lshl_or_b32 v22, v22, 3, v26
	ds_read2st64_b64 v[22:25], v22 offset1:8
	v_lshl_add_u64 v[30:31], v[28:29], 0, v[26:27]
	s_movk_i32 s2, 0x1000
	s_waitcnt lgkmcnt(1)
	v_mov_b32_e32 v26, v18
	v_add_co_u32_e32 v18, vcc, s2, v30
	s_cmp_lg_u32 s31, 64
	v_mov_b32_e32 v27, v19
	v_addc_co_u32_e32 v19, vcc, 0, v31, vcc
	s_cselect_b64 s[14:15], -1, 0
	v_lshl_or_b32 v42, v1, 3, v70
	s_waitcnt lgkmcnt(0)
	v_mov_b32_e32 v28, v22
	v_mov_b32_e32 v29, v23
	;; [unrolled: 1-line block ×4, first 2 shown]
	s_mov_b32 s4, 0
	v_or_b32_e32 v36, 32, v42
	v_and_b32_e32 v34, 56, v69
	s_and_b64 vcc, exec, s[14:15]
	global_store_dwordx4 v[30:31], v[26:29], off
	global_store_dwordx4 v[18:19], v[22:25], off
	s_cbranch_vccz .LBB361_15
; %bb.10:
	s_mov_b32 s6, s4
	s_mov_b32 s7, s4
	;; [unrolled: 1-line block ×3, first 2 shown]
	v_mov_b64_e32 v[24:25], s[6:7]
	v_mov_b64_e32 v[22:23], s[4:5]
	;; [unrolled: 1-line block ×3, first 2 shown]
	v_cmp_gt_i32_e32 vcc, s31, v42
	v_mov_b64_e32 v[20:21], v[24:25]
	s_and_saveexec_b64 s[2:3], vcc
	s_cbranch_execz .LBB361_12
; %bb.11:
	v_lshlrev_b32_e32 v18, 8, v42
	v_mov_b32_e32 v19, 0
	v_lshl_add_u64 v[20:21], s[0:1], 0, v[18:19]
	v_lshlrev_b32_e32 v18, 1, v34
	v_lshl_add_u64 v[26:27], v[20:21], 0, v[18:19]
	global_load_dwordx4 v[22:25], v[26:27], off
	global_load_dwordx4 v[18:21], v[26:27], off offset:128
.LBB361_12:
	s_or_b64 exec, exec, s[2:3]
	s_mov_b32 s6, s4
	s_mov_b32 s7, s4
	;; [unrolled: 1-line block ×3, first 2 shown]
	v_mov_b64_e32 v[32:33], s[6:7]
	v_mov_b64_e32 v[30:31], s[4:5]
	;; [unrolled: 1-line block ×3, first 2 shown]
	v_cmp_gt_i32_e32 vcc, s31, v36
	v_lshlrev_b32_e32 v37, 7, v36
	v_mov_b64_e32 v[28:29], v[32:33]
	s_and_saveexec_b64 s[2:3], vcc
	s_cbranch_execz .LBB361_14
; %bb.13:
	v_lshlrev_b32_e32 v26, 1, v37
	v_mov_b32_e32 v27, 0
	v_lshl_add_u64 v[28:29], s[0:1], 0, v[26:27]
	v_lshlrev_b32_e32 v26, 1, v34
	v_lshl_add_u64 v[40:41], v[28:29], 0, v[26:27]
	global_load_dwordx4 v[30:33], v[40:41], off
	global_load_dwordx4 v[26:29], v[40:41], off offset:128
.LBB361_14:
	s_or_b64 exec, exec, s[2:3]
	v_lshrrev_b32_e32 v39, 3, v34
	v_lshlrev_b32_e32 v40, 3, v42
	v_or_b32_e32 v39, v40, v39
	v_lshlrev_b32_e32 v39, 4, v39
	v_and_b32_e32 v40, 0x78, v40
	v_xor_b32_e32 v39, v39, v40
	s_branch .LBB361_17
.LBB361_15:
                                        ; implicit-def: $vgpr39
                                        ; implicit-def: $vgpr37
                                        ; implicit-def: $vgpr22_vgpr23_vgpr24_vgpr25
                                        ; implicit-def: $vgpr18_vgpr19_vgpr20_vgpr21
                                        ; implicit-def: $vgpr30_vgpr31_vgpr32_vgpr33
                                        ; implicit-def: $vgpr26_vgpr27_vgpr28_vgpr29
	s_cbranch_execz .LBB361_17
; %bb.16:
	s_waitcnt vmcnt(0)
	v_lshlrev_b32_e32 v18, 1, v34
	v_lshl_or_b32 v37, v42, 8, v18
	s_and_b32 s1, s1, 0xffff
	s_mov_b32 s3, 0x20000
	s_movk_i32 s2, 0x4000
	v_lshl_or_b32 v39, v36, 8, v18
	s_movk_i32 s4, 0x80
	buffer_load_dwordx4 v[22:25], v37, s[0:3], 0 offen
	buffer_load_dwordx4 v[18:21], v37, s[0:3], s4 offen
	;; [unrolled: 1-line block ×4, first 2 shown]
	v_lshrrev_b32_e32 v37, 3, v34
	v_lshlrev_b32_e32 v39, 3, v42
	v_or_b32_e32 v37, v39, v37
	v_lshlrev_b32_e32 v37, 4, v37
	v_and_b32_e32 v39, 0x78, v39
	v_xor_b32_e32 v39, v37, v39
	v_lshlrev_b32_e32 v37, 7, v36
.LBB361_17:
	s_lshl_b64 s[0:1], s[28:29], 8
	s_add_u32 s4, s12, s0
	s_movk_i32 s0, 0x1000
	v_and_or_b32 v36, v37, s0, v39
	s_waitcnt vmcnt(1)
	ds_write_b64 v39, v[22:23] offset:24576
	v_xor_b32_e32 v22, 8, v39
	ds_write_b64 v22, v[24:25] offset:24576
	s_waitcnt vmcnt(0)
	ds_write_b64 v39, v[18:19] offset:32768
	ds_write_b64 v22, v[20:21] offset:32768
	;; [unrolled: 1-line block ×3, first 2 shown]
	v_xor_b32_e32 v18, 8, v36
	ds_write_b64 v18, v[32:33] offset:24576
	ds_write_b64 v36, v[26:27] offset:32768
	;; [unrolled: 1-line block ×3, first 2 shown]
	v_or_b32_e32 v18, v66, v68
	v_lshlrev_b32_e32 v18, 3, v18
	v_lshrrev_b32_e32 v19, 5, v51
	s_movk_i32 s3, 0xf8
	v_and_or_b32 v19, v18, s3, v19
	v_lshlrev_b32_e32 v23, 4, v19
	v_lshlrev_b32_e32 v39, 11, v1
	v_and_b32_e32 v24, 0x78, v18
	v_or_b32_e32 v26, 32, v23
	v_and_b32_e32 v22, 0x1000, v39
	v_lshrrev_b32_e32 v19, 1, v51
	v_xor_b32_e32 v26, v26, v24
	v_xor_b32_e32 v18, v23, v24
	v_and_b32_e32 v25, 8, v19
	v_or_b32_e32 v26, v26, v22
	v_or_b32_e32 v18, v18, v22
	v_xor_b32_e32 v44, v26, v25
	v_or_b32_e32 v26, 64, v23
	v_xor_b32_e32 v43, v18, v25
	v_xor_b32_e32 v26, v26, v24
	s_waitcnt lgkmcnt(0)
	s_barrier
	v_or_b32_e32 v28, v26, v22
	ds_read_b64 v[26:27], v43 offset:24576
	v_lshl_or_b32 v36, v67, 7, v38
	v_lshlrev_b32_e32 v40, 1, v36
	v_add_u32_e32 v18, 0xa000, v40
	ds_read2_b64 v[18:21], v18 offset1:16
	v_or_b32_e32 v23, 0x60, v23
	v_xor_b32_e32 v23, v23, v24
	s_waitcnt lgkmcnt(0)
	v_mfma_f32_16x16x16_bf16 a[0:3], v[26:27], v[18:19], 0
	v_or_b32_e32 v18, 64, v36
	v_or_b32_e32 v22, v23, v22
	v_lshlrev_b32_e32 v41, 1, v18
	v_xor_b32_e32 v45, v28, v25
	v_xor_b32_e32 v46, v22, v25
	ds_read_b64 v[28:29], v44 offset:24576
	ds_read_b64 v[30:31], v45 offset:24576
	;; [unrolled: 1-line block ×3, first 2 shown]
	v_mfma_f32_16x16x16_bf16 a[4:7], v[26:27], v[20:21], 0
	ds_read2st64_b64 v[18:21], v41 offset0:82 offset1:84
	ds_read2st64_b64 v[22:25], v40 offset0:82 offset1:84
	s_addc_u32 s5, s13, s1
	s_add_i32 s1, s48, s33
	s_add_i32 s0, s20, -1
	s_add_i32 s39, s1, s52
	s_add_i32 s1, s50, s49
	;; [unrolled: 1-line block ×3, first 2 shown]
	s_ashr_i32 s1, s0, 31
	s_mul_i32 s2, s0, s37
	s_mul_hi_u32 s3, s0, s36
	s_add_i32 s2, s3, s2
	s_mul_i32 s1, s1, s36
	s_waitcnt lgkmcnt(1)
	v_mfma_f32_16x16x16_bf16 a[4:7], v[28:29], v[18:19], a[4:7]
	s_add_i32 s1, s2, s1
	s_lshl_b64 s[2:3], s[38:39], 2
	s_add_u32 s6, s18, s2
	s_waitcnt lgkmcnt(0)
	v_mfma_f32_16x16x16_bf16 a[0:3], v[28:29], v[22:23], a[0:3]
	s_addc_u32 s7, s19, s3
	s_lshl_b64 s[2:3], s[40:41], 2
	s_mul_i32 s0, s0, s36
	s_add_u32 s12, s6, s2
	ds_read_b64 v[18:19], v40 offset:44032
	v_mfma_f32_16x16x16_bf16 a[4:7], v[30:31], v[20:21], a[4:7]
	ds_read_b64 v[20:21], v41 offset:44032
	s_addc_u32 s13, s7, s3
	s_lshl_b64 s[0:1], s[0:1], 2
	v_mfma_f32_16x16x16_bf16 a[0:3], v[30:31], v[24:25], a[0:3]
	s_add_u32 s0, s12, s0
	s_addc_u32 s1, s13, s1
	s_load_dword s18, s[0:1], 0x0
	s_waitcnt lgkmcnt(0)
	v_mfma_f32_16x16x16_bf16 a[0:3], v[32:33], v[18:19], a[0:3]
	s_and_b64 vcc, exec, s[26:27]
	v_mfma_f32_16x16x16_bf16 a[4:7], v[32:33], v[20:21], a[4:7]
	s_cbranch_vccz .LBB361_28
; %bb.18:
	v_lshlrev_b32_e32 v36, 1, v42
	s_and_b64 vcc, exec, s[14:15]
	s_cbranch_vccz .LBB361_43
; %bb.19:
	v_cmp_gt_i32_e32 vcc, s31, v36
	v_mov_b32_e32 v22, 0
	v_mov_b32_e32 v18, 0
	;; [unrolled: 1-line block ×5, first 2 shown]
	s_and_saveexec_b64 s[0:1], vcc
	s_cbranch_execz .LBB361_21
; %bb.20:
	v_mad_i64_i32 v[18:19], s[2:3], s23, v36, 0
	v_lshl_add_u64 v[18:19], v[18:19], 1, s[4:5]
	v_lshlrev_b32_e32 v20, 1, v34
	v_mov_b32_e32 v21, 0
	v_lshl_add_u64 v[18:19], v[18:19], 0, v[20:21]
	global_load_dwordx4 v[18:21], v[18:19], off
.LBB361_21:
	s_or_b64 exec, exec, s[0:1]
	v_or_b32_e32 v37, 1, v36
	v_cmp_gt_i32_e64 s[0:1], s31, v37
	v_mov_b32_e32 v23, 0
	v_mov_b32_e32 v24, 0
	;; [unrolled: 1-line block ×3, first 2 shown]
	s_and_saveexec_b64 s[2:3], s[0:1]
	s_cbranch_execz .LBB361_23
; %bb.22:
	v_mad_i64_i32 v[22:23], s[6:7], s23, v37, 0
	v_lshl_add_u64 v[22:23], v[22:23], 1, s[4:5]
	v_lshlrev_b32_e32 v24, 1, v34
	v_mov_b32_e32 v25, 0
	v_lshl_add_u64 v[22:23], v[22:23], 0, v[24:25]
	global_load_dwordx4 v[22:25], v[22:23], off
.LBB361_23:
	s_or_b64 exec, exec, s[2:3]
	v_mov_b32_e32 v33, 0
	v_mov_b32_e32 v26, 0
	;; [unrolled: 1-line block ×5, first 2 shown]
	s_and_saveexec_b64 s[2:3], vcc
	s_cbranch_execz .LBB361_25
; %bb.24:
	v_mad_i64_i32 v[26:27], s[6:7], s23, v36, 0
	v_lshl_add_u64 v[26:27], v[26:27], 1, s[4:5]
	v_lshlrev_b32_e32 v28, 1, v34
	v_mov_b32_e32 v29, 0
	v_lshl_add_u64 v[26:27], v[26:27], 0, v[28:29]
	global_load_dwordx4 v[26:29], v[26:27], off offset:128
.LBB361_25:
	s_or_b64 exec, exec, s[2:3]
	v_mov_b32_e32 v32, 0
	v_mov_b32_e32 v31, 0
	;; [unrolled: 1-line block ×3, first 2 shown]
	s_and_saveexec_b64 s[2:3], s[0:1]
	s_cbranch_execz .LBB361_27
; %bb.26:
	v_mad_i64_i32 v[30:31], s[0:1], s23, v37, 0
	v_lshl_add_u64 v[30:31], v[30:31], 1, s[4:5]
	v_lshlrev_b32_e32 v32, 1, v34
	v_mov_b32_e32 v33, 0
	v_lshl_add_u64 v[30:31], v[30:31], 0, v[32:33]
	global_load_dwordx4 v[30:33], v[30:31], off offset:128
.LBB361_27:
	s_or_b64 exec, exec, s[2:3]
	s_branch .LBB361_45
.LBB361_28:
                                        ; implicit-def: $vgpr21
                                        ; implicit-def: $vgpr25
                                        ; implicit-def: $vgpr29
                                        ; implicit-def: $vgpr33
	v_lshrrev_b32_e32 v47, 2, v51
	s_branch .LBB361_46
.LBB361_29:
                                        ; implicit-def: $vgpr4
                                        ; implicit-def: $vgpr5
                                        ; implicit-def: $sgpr26
	v_lshl_or_b32 v2, v73, 9, v2
.LBB361_30:
	v_or_b32_e32 v4, 0x100, v2
	s_movk_i32 s26, 0x4000
	v_mov_b32_e32 v5, v2
.LBB361_31:
	s_mul_hi_u32 s24, s22, s20
	s_mul_i32 s25, s58, s20
	s_add_i32 s24, s24, s25
	s_mul_i32 s25, s22, s20
	s_mul_i32 s27, s25, s3
	s_mul_hi_u32 s28, s25, s55
	s_add_i32 s27, s28, s27
	s_mul_i32 s24, s24, s55
	s_add_i32 s27, s27, s24
	s_mul_i32 s25, s25, s55
	s_ashr_i32 s63, s59, 31
	s_add_u32 s24, s25, s59
	s_addc_u32 s25, s27, s63
	s_lshl_b64 s[24:25], s[24:25], 8
	s_add_u32 s24, s12, s24
	s_addc_u32 s25, s13, s25
	s_and_b32 s25, s25, 0xffff
	s_mov_b32 s27, 0x20000
	s_movk_i32 s64, 0x80
	buffer_load_dwordx4 v[6:9], v5, s[24:27], 0 offen
	buffer_load_dwordx4 v[10:13], v5, s[24:27], s64 offen
	;; [unrolled: 1-line block ×4, first 2 shown]
	v_and_b32_e32 v4, 6, v0
	v_lshlrev_b32_e32 v39, 6, v71
	v_or_b32_e32 v41, 16, v68
	v_xor_b32_e32 v42, v73, v4
	v_and_b32_e32 v5, 1, v0
	v_lshl_or_b32 v45, v68, 3, v39
	v_lshl_or_b32 v39, v41, 3, v39
	v_lshlrev_b32_e32 v42, 2, v42
	s_mul_i32 s3, s3, s20
	s_mul_hi_u32 s24, s55, s20
	v_lshlrev_b32_e32 v38, 2, v68
	v_or_b32_e32 v81, 0xa000, v39
	v_or_b32_e32 v82, 0xb000, v39
	v_xor_b32_e32 v39, 0x440, v42
	v_cmp_eq_u32_e32 vcc, 0, v5
	v_xor_b32_e32 v43, v71, v38
	v_xor_b32_e32 v44, v72, v38
	v_cndmask_b32_e32 v5, v39, v42, vcc
	s_add_i32 s69, s24, s3
	s_add_i32 s3, s48, s33
	s_mov_b32 s66, 0x1000504
	v_lshlrev_b32_e32 v40, 8, v68
	v_lshlrev_b32_e32 v43, 1, v43
	v_lshlrev_b32_e32 v44, 1, v44
	v_lshl_or_b32 v4, v4, 10, v5
	s_add_i32 s39, s3, s52
	s_add_i32 s3, s50, s49
	s_mov_b32 s67, 0x3020706
	v_or_b32_e32 v79, 0xa000, v45
	v_or_b32_e32 v80, 0xb000, v45
	;; [unrolled: 1-line block ×4, first 2 shown]
	v_xor_b32_e32 v5, 8, v4
	v_xor_b32_e32 v40, 24, v4
	v_xor_b32_e32 v45, 40, v4
	v_xor_b32_e32 v47, 56, v4
	s_add_i32 s41, s3, s51
	s_lshl_b64 s[24:25], s[38:39], 2
	v_xor_b32_e32 v39, 16, v4
	v_xor_b32_e32 v42, 32, v4
	;; [unrolled: 1-line block ×3, first 2 shown]
	v_add_u32_e32 v5, 0x80, v5
	v_add_u32_e32 v40, 0x80, v40
	;; [unrolled: 1-line block ×4, first 2 shown]
	s_add_u32 s3, s18, s24
	s_addc_u32 s26, s19, s25
	s_lshl_b64 s[24:25], s[40:41], 2
	s_add_u32 s44, s3, s24
	s_movk_i32 s3, 0xf8
	s_addc_u32 s45, s26, s25
	s_lshl_b32 s30, s23, 7
	s_movk_i32 s28, 0x100
	v_mov_b32_e32 v59, 0
	v_lshlrev_b32_e32 v58, 4, v68
	v_cmp_gt_u32_e32 vcc, s28, v0
	v_ashrrev_i32_e32 v57, 31, v56
	s_mov_b32 s65, 0
	s_mul_i32 s68, s55, s20
	s_movk_i32 s39, 0x1000
	s_movk_i32 s26, 0x4000
	v_mov_b32_e32 v107, 0x3fb8aa3b
	s_mov_b32 s70, 0
	s_waitcnt vmcnt(1)
	v_perm_b32 v48, v6, v14, s66
	s_waitcnt vmcnt(0)
	v_perm_b32 v49, v10, v34, s66
	v_perm_b32 v6, v6, v14, s67
	;; [unrolled: 1-line block ×15, first 2 shown]
	ds_write2st64_b32 v4, v48, v49 offset0:32 offset1:64
	ds_write2st64_b32 v5, v6, v10 offset0:32 offset1:64
	;; [unrolled: 1-line block ×8, first 2 shown]
	v_lshlrev_b32_e32 v4, 8, v41
	v_or_b32_e32 v85, v4, v43
	v_or_b32_e32 v86, v4, v44
	;; [unrolled: 1-line block ×3, first 2 shown]
	v_lshlrev_b32_e32 v4, 3, v4
	v_lshrrev_b32_e32 v7, 5, v51
	v_and_or_b32 v7, v4, s3, v7
	v_lshlrev_b32_e32 v7, 4, v7
	v_lshlrev_b32_e32 v5, 11, v1
	v_and_b32_e32 v4, 0x78, v4
	v_or_b32_e32 v12, 32, v7
	v_and_b32_e32 v6, 0x1000, v5
	v_lshrrev_b32_e32 v9, 1, v0
	v_xor_b32_e32 v12, v12, v4
	v_and_b32_e32 v10, 8, v9
	v_or_b32_e32 v12, v12, v6
	v_xor_b32_e32 v8, v7, v4
	v_xor_b32_e32 v89, v12, v10
	v_or_b32_e32 v12, 64, v7
	v_or_b32_e32 v7, 0x60, v7
	s_ashr_i32 s3, s2, 31
	v_xor_b32_e32 v12, v12, v4
	v_xor_b32_e32 v4, v7, v4
	s_lshl_b64 s[24:25], s[2:3], 8
	v_or_b32_e32 v8, v8, v6
	v_or_b32_e32 v12, v12, v6
	;; [unrolled: 1-line block ×3, first 2 shown]
	s_add_u32 s24, s6, s24
	v_lshlrev_b32_e32 v6, 1, v68
	v_xor_b32_e32 v91, v12, v10
	v_lshrrev_b32_e32 v12, 4, v0
	s_addc_u32 s25, s7, s25
	v_or_b32_e32 v7, 1, v6
	v_mov_b32_e32 v16, 0x4000
	v_mov_b32_e32 v17, 0x2000
	v_xor_b32_e32 v13, v12, v6
	v_xor_b32_e32 v14, v7, v12
	v_lshl_add_u64 v[6:7], s[24:25], 0, v[58:59]
	v_lshlrev_b32_e32 v58, 8, v12
	v_cndmask_b32_e32 v16, v16, v17, vcc
	v_lshlrev_b32_e32 v17, 3, v1
	v_and_b32_e32 v9, 24, v9
	v_lshl_or_b32 v95, v13, 3, v58
	v_and_b32_e32 v13, 8, v0
	v_xor_b32_e32 v34, v17, v9
	v_or_b32_e32 v35, 0x440, v34
	v_cmp_eq_u32_e32 vcc, 0, v13
	v_and_b32_e32 v12, 7, v0
	v_xor_b32_e32 v87, v8, v10
	v_cndmask_b32_e32 v13, v35, v34, vcc
	v_lshlrev_b32_e32 v8, 7, v67
	v_lshl_or_b32 v96, v14, 3, v58
	v_lshlrev_b32_e32 v14, 3, v12
	v_lshlrev_b32_e32 v12, 7, v12
	;; [unrolled: 1-line block ×3, first 2 shown]
	v_or_b32_e32 v13, v13, v5
	v_or_b32_e32 v11, v8, v38
	v_xad_u32 v97, v13, v14, v12
	v_and_or_b32 v8, v15, 60, v8
	v_mov_b32_e32 v13, 0xb000
	v_lshl_or_b32 v98, v8, 1, v13
	v_or_b32_e32 v8, 32, v9
	v_xor_b32_e32 v8, v17, v8
	v_or_b32_e32 v13, 0x440, v8
	v_cndmask_b32_e32 v8, v13, v8, vcc
	v_or_b32_e32 v8, v8, v5
	v_xad_u32 v99, v8, v14, v12
	v_or_b32_e32 v8, 64, v9
	v_xor_b32_e32 v8, v17, v8
	v_xor_b32_e32 v13, 0x440, v8
	v_cndmask_b32_e32 v8, v13, v8, vcc
	v_or_b32_e32 v8, v8, v5
	v_xad_u32 v100, v8, v14, v12
	v_or_b32_e32 v8, 0x60, v9
	v_xor_b32_e32 v8, v17, v8
	v_xor_b32_e32 v9, 0x440, v8
	v_lshlrev_b32_e32 v11, 1, v11
	v_cndmask_b32_e32 v8, v9, v8, vcc
	v_or_b32_e32 v88, 0xa000, v11
	v_or_b32_e32 v90, 0xa080, v11
	v_xor_b32_e32 v92, v4, v10
	v_or_b32_e32 v93, 0xb000, v11
	v_or_b32_e32 v94, 0xb080, v11
	v_lshlrev_b32_e32 v10, 1, v3
	v_add_lshl_u32 v3, v3, s23, 1
	v_or_b32_e32 v11, 0x100, v2
	v_or_b32_e32 v5, v8, v5
	v_lshlrev_b32_e32 v4, 7, v71
	v_xad_u32 v101, v5, v14, v12
	v_cndmask_b32_e64 v102, v10, v2, s[0:1]
	v_cndmask_b32_e64 v103, v3, v11, s[0:1]
	v_lshlrev_b64 v[2:3], 1, v[56:57]
	v_lshl_add_u64 v[60:61], s[16:17], 0, v[2:3]
	v_lshl_add_u64 v[62:63], s[8:9], 0, v[2:3]
	;; [unrolled: 1-line block ×3, first 2 shown]
	s_mov_b32 s3, 0x7060302
	v_lshlrev_b32_e32 v58, 1, v4
	v_add_u32_e32 v57, v16, v97
	v_add_u32_e32 v104, v16, v99
	;; [unrolled: 1-line block ×4, first 2 shown]
	s_waitcnt lgkmcnt(0)
	s_barrier
	s_branch .LBB361_33
.LBB361_32:                             ;   in Loop: Header=BB361_33 Depth=1
	v_mul_f32_e32 v6, s24, v107
	s_waitcnt vmcnt(2)
	v_exp_f32_e32 v34, v6
	s_nop 1
	v_accvgpr_read_b32 v17, a15
	v_accvgpr_read_b32 v2, a4
	;; [unrolled: 1-line block ×16, first 2 shown]
	v_fma_f32 v16, v32, v34, v16
	v_fmac_f32_e32 v17, v33, v34
	v_fma_f32 v2, v18, v34, v2
	v_fma_f32 v3, v19, v34, v3
	v_fma_f32 v4, v20, v34, v4
	v_fmac_f32_e32 v5, v21, v34
	v_fma_f32 v10, v26, v34, v10
	v_fma_f32 v11, v27, v34, v11
	;; [unrolled: 4-line block ×4, first 2 shown]
	s_add_i32 s65, s65, 64
	v_mov_b64_e32 v[32:33], v[16:17]
	s_cmp_eq_u32 s56, s41
	s_mov_b32 s70, s41
	v_mov_b64_e32 v[30:31], v[14:15]
	v_mov_b64_e32 v[28:29], v[12:13]
	;; [unrolled: 1-line block ×7, first 2 shown]
	s_cbranch_scc1 .LBB361_4
.LBB361_33:                             ; =>This Inner Loop Header: Depth=1
	s_add_i32 s41, s70, 1
	s_cmp_lt_i32 s41, s56
	s_mov_b64 s[28:29], 0
	s_cselect_b64 s[46:47], -1, 0
	s_cmp_ge_i32 s41, s56
	s_mov_b64 s[24:25], 0
	s_cbranch_scc1 .LBB361_35
; %bb.34:                               ;   in Loop: Header=BB361_33 Depth=1
	s_add_i32 s0, s65, 64
	s_add_u32 s0, s4, s0
	s_addc_u32 s1, s5, 0
	s_lshl_b64 s[0:1], s[0:1], 8
	s_add_u32 s24, s14, s0
	s_addc_u32 s25, s15, s1
.LBB361_35:                             ;   in Loop: Header=BB361_33 Depth=1
	v_cndmask_b32_e64 v2, 0, 1, s[46:47]
	v_cmp_ne_u32_e64 s[0:1], 1, v2
	s_andn2_b64 vcc, exec, s[46:47]
	s_cbranch_vccnz .LBB361_37
; %bb.36:                               ;   in Loop: Header=BB361_33 Depth=1
	s_add_i32 s28, s65, 64
	s_add_u32 s28, s68, s28
	s_addc_u32 s29, s69, 0
	s_mul_i32 s31, s28, s58
	s_mul_hi_u32 s46, s28, s62
	s_add_i32 s31, s46, s31
	s_mul_i32 s29, s29, s62
	s_add_i32 s31, s31, s29
	s_mul_i32 s28, s28, s62
	s_add_u32 s28, s28, s59
	s_addc_u32 s29, s31, s63
	s_lshl_b64 s[28:29], s[28:29], 8
	s_add_u32 s28, s12, s28
	s_addc_u32 s29, s13, s29
.LBB361_37:                             ;   in Loop: Header=BB361_33 Depth=1
	v_perm_b32 v3, v21, v20, s3
	v_perm_b32 v2, v19, v18, s3
	;; [unrolled: 1-line block ×4, first 2 shown]
	ds_write_b64 v79, v[2:3]
	ds_write_b64 v80, v[4:5]
	;; [unrolled: 1-line block ×4, first 2 shown]
	v_perm_b32 v3, v29, v28, s3
	v_perm_b32 v2, v27, v26, s3
	;; [unrolled: 1-line block ×4, first 2 shown]
	ds_write_b64 v81, v[2:3]
	ds_write_b64 v82, v[4:5]
	;; [unrolled: 1-line block ×4, first 2 shown]
	s_waitcnt lgkmcnt(0)
	s_barrier
	ds_read_b64 v[6:7], v87 offset:24576
	ds_read2_b64 v[2:5], v88 offset1:16
	ds_read_b64 v[10:11], v90 offset:3072
	ds_read_b64 v[12:13], v88 offset:3072
	;; [unrolled: 1-line block ×3, first 2 shown]
	s_waitcnt lgkmcnt(3)
	v_mfma_f32_16x16x16_bf16 a[0:3], v[6:7], v[2:3], 0
	s_add_i32 s31, s65, 63
	s_mul_i32 s46, s31, s37
	s_mul_hi_u32 s47, s31, s36
	v_mfma_f32_16x16x16_bf16 a[4:7], v[6:7], v[4:5], 0
	ds_read2st64_b64 v[2:5], v88 offset0:2 offset1:4
	ds_read2st64_b64 v[6:9], v90 offset0:2 offset1:4
	s_add_i32 s47, s47, s46
	s_waitcnt lgkmcnt(1)
	v_mfma_f32_16x16x16_bf16 a[0:3], v[14:15], v[2:3], a[0:3]
	s_mul_i32 s46, s31, s36
	s_lshl_b64 s[46:47], s[46:47], 2
	s_add_u32 s46, s44, s46
	s_waitcnt lgkmcnt(0)
	v_mfma_f32_16x16x16_bf16 a[4:7], v[14:15], v[6:7], a[4:7]
	ds_read_b64 v[2:3], v91 offset:24576
	ds_read_b64 v[6:7], v92 offset:24576
	s_addc_u32 s47, s45, s47
	s_and_b64 vcc, exec, s[0:1]
	s_waitcnt lgkmcnt(1)
	v_mfma_f32_16x16x16_bf16 a[0:3], v[2:3], v[4:5], a[0:3]
	v_mov_b32_e32 v110, 0
	v_mov_b32_e32 v109, 0
	;; [unrolled: 1-line block ×3, first 2 shown]
	v_mfma_f32_16x16x16_bf16 a[8:11], v[2:3], v[8:9], a[4:7]
	v_mov_b32_e32 v2, 0
	v_mov_b32_e32 v3, 0
	;; [unrolled: 1-line block ×3, first 2 shown]
	s_waitcnt lgkmcnt(0)
	v_mfma_f32_16x16x16_bf16 a[4:7], v[6:7], v[12:13], a[0:3]
	v_mov_b32_e32 v5, 0
	v_mov_b32_e32 v8, 0
	;; [unrolled: 1-line block ×3, first 2 shown]
	v_mfma_f32_16x16x16_bf16 a[0:3], v[6:7], v[10:11], a[8:11]
	v_mov_b32_e32 v6, 0
	v_mov_b32_e32 v7, 0
	;; [unrolled: 1-line block ×10, first 2 shown]
	s_cbranch_vccnz .LBB361_39
; %bb.38:                               ;   in Loop: Header=BB361_33 Depth=1
	s_and_b32 s25, s25, 0xffff
	buffer_load_dwordx4 v[14:17], v75, s[24:27], 0 offen
	buffer_load_dwordx4 v[10:13], v75, s[24:27], s64 offen
	;; [unrolled: 1-line block ×4, first 2 shown]
	v_mov_b32_e32 v109, v77
	v_mov_b32_e32 v108, v78
.LBB361_39:                             ;   in Loop: Header=BB361_33 Depth=1
	ds_read_b64 v[42:43], v87 offset:32768
	ds_read2_b64 v[34:37], v93 offset1:16
	ds_read_b64 v[44:45], v89 offset:32768
	ds_read_b64 v[46:47], v91 offset:32768
	;; [unrolled: 1-line block ×3, first 2 shown]
	v_add_u32_e32 v111, s65, v71
	s_waitcnt lgkmcnt(3)
	v_mfma_f32_16x16x16_bf16 a[4:7], v[42:43], v[34:35], a[4:7]
	v_ashrrev_i32_e32 v34, 31, v111
	ds_read2st64_b64 v[38:41], v93 offset0:2 offset1:4
	v_mfma_f32_16x16x16_bf16 a[0:3], v[42:43], v[36:37], a[0:3]
	v_mul_lo_u32 v36, v34, s36
	v_mul_lo_u32 v37, v111, s37
	v_mad_u64_u32 v[34:35], s[24:25], v111, s36, 0
	v_add3_u32 v35, v35, v37, v36
	v_add_u32_e32 v36, 1, v111
	v_ashrrev_i32_e32 v37, 31, v36
	v_mul_lo_u32 v42, v37, s36
	v_mul_lo_u32 v43, v36, s37
	v_mad_u64_u32 v[36:37], s[24:25], v36, s36, 0
	v_add3_u32 v37, v37, v43, v42
	v_add_u32_e32 v42, 2, v111
	v_ashrrev_i32_e32 v43, 31, v42
	v_mul_lo_u32 v112, v43, s36
	v_mul_lo_u32 v113, v42, s37
	v_mad_u64_u32 v[42:43], s[24:25], v42, s36, 0
	v_add_u32_e32 v111, 3, v111
	v_add3_u32 v43, v43, v113, v112
	v_ashrrev_i32_e32 v112, 31, v111
	v_mul_lo_u32 v114, v112, s36
	v_mad_u64_u32 v[112:113], s[24:25], v111, s36, 0
	s_add_u32 s24, s4, s65
	s_addc_u32 s25, s5, 0
	v_mul_lo_u32 v115, v111, s37
	s_lshl_b64 s[72:73], s[24:25], 8
	v_lshl_add_u64 v[34:35], v[34:35], 2, s[44:45]
	v_lshl_add_u64 v[36:37], v[36:37], 2, s[44:45]
	v_add3_u32 v113, v113, v115, v114
	v_lshl_add_u64 v[114:115], v[60:61], 0, s[72:73]
	v_lshl_add_u64 v[42:43], v[42:43], 2, s[44:45]
	;; [unrolled: 1-line block ×3, first 2 shown]
	global_load_dword v111, v[34:35], off
	global_load_ushort v116, v[114:115], off offset:256
	global_load_ushort v117, v[114:115], off
	v_lshl_add_u64 v[34:35], v[112:113], 2, s[44:45]
	global_load_dword v112, v[36:37], off
	global_load_dword v113, v[42:43], off
	;; [unrolled: 1-line block ×3, first 2 shown]
	ds_read2st64_b64 v[34:37], v94 offset0:2 offset1:4
	global_load_ushort v119, v[114:115], off offset:768
	global_load_ushort v120, v[114:115], off offset:512
	;; [unrolled: 1-line block ×5, first 2 shown]
	s_nop 0
	global_load_ushort v114, v[114:115], off offset:32
	s_waitcnt lgkmcnt(1)
	v_mfma_f32_16x16x16_bf16 a[4:7], v[44:45], v[38:39], a[4:7]
	s_and_b64 vcc, exec, s[0:1]
	s_waitcnt vmcnt(10)
	v_lshlrev_b32_e32 v43, 16, v116
	s_waitcnt lgkmcnt(0)
	v_mfma_f32_16x16x16_bf16 a[0:3], v[44:45], v[34:35], a[0:3]
	s_waitcnt vmcnt(9)
	v_lshlrev_b32_e32 v42, 16, v117
	v_mfma_f32_16x16x16_bf16 a[4:7], v[46:47], v[40:41], a[4:7]
	v_mfma_f32_16x16x16_bf16 a[0:3], v[46:47], v[36:37], a[0:3]
	ds_read_b64 v[34:35], v93 offset:3072
	ds_read_b64 v[36:37], v94 offset:3072
	s_load_dword s24, s[46:47], 0x0
	s_waitcnt lgkmcnt(0)
	v_sub_f32_e32 v44, s24, v111
	v_mfma_f32_16x16x16_bf16 a[4:7], v[48:49], v[34:35], a[4:7]
	v_mul_f32_e32 v44, 0x3fb8aa3b, v44
	s_waitcnt vmcnt(8)
	v_sub_f32_e32 v45, s24, v112
	s_waitcnt vmcnt(7)
	v_sub_f32_e32 v46, s24, v113
	;; [unrolled: 2-line block ×3, first 2 shown]
	v_mfma_f32_16x16x16_bf16 a[0:3], v[48:49], v[36:37], a[0:3]
	v_lshl_add_u64 v[34:35], v[62:63], 0, s[72:73]
	v_lshl_add_u64 v[34:35], v[34:35], 0, v[58:59]
	v_accvgpr_read_b32 v41, a5
	v_accvgpr_read_b32 v40, a4
	v_pk_add_f32 v[40:41], v[42:43], v[40:41] neg_lo:[0,1] neg_hi:[0,1]
	v_exp_f32_e32 v42, v44
	v_mul_f32_e32 v43, 0x3fb8aa3b, v45
	v_mul_f32_e32 v44, 0x3fb8aa3b, v46
	;; [unrolled: 1-line block ×3, first 2 shown]
	v_exp_f32_e32 v43, v43
	v_exp_f32_e32 v44, v44
	;; [unrolled: 1-line block ×3, first 2 shown]
	v_accvgpr_read_b32 v37, a7
	v_accvgpr_read_b32 v36, a6
	s_waitcnt vmcnt(5)
	v_lshlrev_b32_e32 v47, 16, v119
	s_waitcnt vmcnt(4)
	v_lshlrev_b32_e32 v46, 16, v120
	v_pk_add_f32 v[36:37], v[46:47], v[36:37] neg_lo:[0,1] neg_hi:[0,1]
	global_store_short_d16_hi v[34:35], v40, off
	global_store_short_d16_hi v[34:35], v41, off offset:256
	global_store_short_d16_hi v[34:35], v36, off offset:512
	;; [unrolled: 1-line block ×3, first 2 shown]
	v_pk_mul_f32 v[40:41], v[42:43], v[40:41]
	v_pk_mul_f32 v[36:37], v[44:45], v[36:37]
	v_accvgpr_read_b32 v47, a1
	v_perm_b32 v37, v37, v36, s3
	v_perm_b32 v36, v41, v40, s3
	s_waitcnt vmcnt(5)
	v_lshlrev_b32_e32 v41, 16, v123
	s_waitcnt vmcnt(4)
	v_lshlrev_b32_e32 v40, 16, v114
	v_accvgpr_read_b32 v46, a0
	v_accvgpr_read_b32 v39, a3
	;; [unrolled: 1-line block ×3, first 2 shown]
	v_pk_add_f32 v[40:41], v[40:41], v[46:47] neg_lo:[0,1] neg_hi:[0,1]
	v_lshlrev_b32_e32 v47, 16, v121
	v_lshlrev_b32_e32 v46, 16, v122
	v_pk_add_f32 v[38:39], v[46:47], v[38:39] neg_lo:[0,1] neg_hi:[0,1]
	global_store_short_d16_hi v[34:35], v40, off offset:32
	global_store_short_d16_hi v[34:35], v41, off offset:288
	;; [unrolled: 1-line block ×4, first 2 shown]
	v_pk_mul_f32 v[34:35], v[42:43], v[40:41]
	v_pk_mul_f32 v[38:39], v[44:45], v[38:39]
	v_mov_b32_e32 v111, 0
	v_perm_b32 v39, v39, v38, s3
	v_perm_b32 v38, v35, v34, s3
	ds_write2_b64 v80, v[36:37], v[38:39] offset1:16
	v_mov_b32_e32 v34, 0
	v_mov_b32_e32 v35, 0
	;; [unrolled: 1-line block ×16, first 2 shown]
	s_cbranch_vccnz .LBB361_41
; %bb.40:                               ;   in Loop: Header=BB361_33 Depth=1
	s_and_b32 s29, s29, 0xffff
	s_mov_b32 s31, s27
	buffer_load_dwordx4 v[46:49], v102, s[28:31], 0 offen
	buffer_load_dwordx4 v[38:41], v102, s[28:31], s64 offen
	;; [unrolled: 1-line block ×4, first 2 shown]
	v_mov_b32_e32 v110, v74
	v_mov_b32_e32 v111, v73
.LBB361_41:                             ;   in Loop: Header=BB361_33 Depth=1
	s_waitcnt lgkmcnt(0)
	s_barrier
	ds_read_b64 v[116:117], v57
	ds_read_b64 v[124:125], v98
	;; [unrolled: 1-line block ×5, first 2 shown]
	ds_read_b64 v[130:131], v99 offset:16384
	ds_read_b64 v[132:133], v97 offset:16384
	ds_read2_b64 v[112:115], v93 offset0:16 offset1:128
	s_waitcnt lgkmcnt(6)
	v_mfma_f32_16x16x16_bf16 a[0:3], v[116:117], v[124:125], 0
	ds_read_b64 v[134:135], v94 offset:3072
	ds_read_b64 v[136:137], v101 offset:16384
	s_add_i32 s25, s60, s70
	s_waitcnt lgkmcnt(2)
	v_mfma_f32_16x16x16_bf16 a[4:7], v[116:117], v[112:113], 0
	ds_read2st64_b64 v[116:119], v94 offset0:2 offset1:4
	s_mul_hi_i32 s29, s25, s21
	s_mul_i32 s25, s25, s21
	v_mfma_f32_16x16x16_bf16 a[0:3], v[120:121], v[114:115], a[0:3]
	s_add_u32 s28, s25, s53
	s_addc_u32 s29, s29, s57
	s_lshl_b64 s[28:29], s[28:29], 15
	s_waitcnt lgkmcnt(0)
	v_mfma_f32_16x16x16_bf16 a[4:7], v[120:121], v[116:117], a[4:7]
	ds_read2st64_b64 v[120:123], v93 offset0:4 offset1:6
	s_waitcnt lgkmcnt(0)
	v_mfma_f32_16x16x16_bf16 a[0:3], v[126:127], v[120:121], a[0:3]
	v_mfma_f32_16x16x16_bf16 a[8:11], v[126:127], v[118:119], a[4:7]
	;; [unrolled: 1-line block ×5, first 2 shown]
	ds_read2st64_b64 v[124:127], v96 offset1:8
	v_mfma_f32_16x16x16_bf16 a[12:15], v[132:133], v[112:113], 0
	ds_read_b64 v[132:133], v100 offset:16384
	v_mfma_f32_16x16x16_bf16 a[8:11], v[130:131], v[114:115], a[8:11]
	ds_read2st64_b64 v[112:115], v95 offset1:8
	s_waitcnt lgkmcnt(0)
	v_mov_b32_e32 v128, v112
	v_mfma_f32_16x16x16_bf16 a[12:15], v[130:131], v[116:117], a[12:15]
	v_lshl_add_u64 v[116:117], v[64:65], 0, s[28:29]
	v_add_co_u32_e32 v112, vcc, s39, v116
	v_mfma_f32_16x16x16_bf16 a[8:11], v[132:133], v[120:121], a[8:11]
	v_mov_b32_e32 v129, v113
	v_addc_co_u32_e32 v113, vcc, 0, v117, vcc
	v_mfma_f32_16x16x16_bf16 a[12:15], v[132:133], v[118:119], a[12:15]
	v_mov_b32_e32 v130, v124
	v_mov_b32_e32 v131, v125
	;; [unrolled: 1-line block ×3, first 2 shown]
	v_mfma_f32_16x16x16_bf16 a[8:11], v[136:137], v[122:123], a[8:11]
	v_mov_b32_e32 v125, v115
	s_and_b64 vcc, exec, s[0:1]
	global_store_dwordx4 v[116:117], v[128:131], off
	v_mfma_f32_16x16x16_bf16 a[12:15], v[136:137], v[134:135], a[12:15]
	global_store_dwordx4 v[112:113], v[124:127], off
	s_cbranch_vccnz .LBB361_32
; %bb.42:                               ;   in Loop: Header=BB361_33 Depth=1
	v_lshrrev_b32_e32 v112, 3, v110
	v_and_b32_e32 v112, 6, v112
	v_xor_b32_e32 v111, v112, v111
	v_lshlrev_b32_e32 v111, 2, v111
	v_and_b32_e32 v110, 8, v110
	v_xor_b32_e32 v113, 0x440, v111
	v_cmp_eq_u32_e32 vcc, 0, v110
	s_barrier
	s_nop 0
	v_cndmask_b32_e32 v110, v113, v111, vcc
	v_lshl_or_b32 v110, v112, 10, v110
	s_waitcnt vmcnt(3)
	v_perm_b32 v111, v46, v42, s66
	s_waitcnt vmcnt(2)
	v_perm_b32 v112, v38, v34, s66
	ds_write2st64_b32 v110, v111, v112 offset0:32 offset1:64
	v_xor_b32_e32 v111, 8, v110
	v_perm_b32 v42, v46, v42, s67
	v_perm_b32 v34, v38, v34, s67
	v_add_u32_e32 v38, 0x80, v111
	ds_write2st64_b32 v38, v42, v34 offset0:32 offset1:64
	v_xor_b32_e32 v34, 16, v110
	v_perm_b32 v38, v47, v43, s66
	v_perm_b32 v42, v39, v35, s66
	ds_write2st64_b32 v34, v38, v42 offset0:33 offset1:65
	v_xor_b32_e32 v34, 24, v110
	v_perm_b32 v38, v47, v43, s67
	v_perm_b32 v35, v39, v35, s67
	v_add_u32_e32 v34, 0x80, v34
	ds_write2st64_b32 v34, v38, v35 offset0:33 offset1:65
	v_xor_b32_e32 v34, 32, v110
	v_perm_b32 v35, v48, v44, s66
	;; [unrolled: 9-line block ×3, first 2 shown]
	v_perm_b32 v36, v41, v37, s66
	ds_write2st64_b32 v34, v35, v36 offset0:35 offset1:67
	v_xor_b32_e32 v34, 56, v110
	v_perm_b32 v35, v49, v45, s67
	v_perm_b32 v36, v41, v37, s67
	v_add_u32_e32 v34, 0x80, v34
	ds_write2st64_b32 v34, v35, v36 offset0:35 offset1:67
	ds_write_b64 v109, v[14:15] offset:24576
	v_xor_b32_e32 v14, 8, v109
	ds_write_b64 v14, v[16:17] offset:24576
	ds_write_b64 v109, v[10:11] offset:32768
	;; [unrolled: 1-line block ×4, first 2 shown]
	v_xor_b32_e32 v6, 8, v108
	ds_write_b64 v6, v[8:9] offset:24576
	ds_write_b64 v108, v[2:3] offset:32768
	;; [unrolled: 1-line block ×3, first 2 shown]
	s_branch .LBB361_32
.LBB361_43:
                                        ; implicit-def: $vgpr21
                                        ; implicit-def: $vgpr25
                                        ; implicit-def: $vgpr29
                                        ; implicit-def: $vgpr33
	s_cbranch_execz .LBB361_45
; %bb.44:
	s_waitcnt vmcnt(0)
	v_mad_u64_u32 v[18:19], s[0:1], v36, s23, v[34:35]
	v_lshlrev_b32_e32 v36, 1, v18
	s_lshl_b32 s2, s23, 7
	s_and_b32 s1, s5, 0xffff
	s_mov_b32 s3, 0x20000
	s_mov_b32 s0, s4
	v_add_lshl_u32 v37, v18, s23, 1
	s_movk_i32 s6, 0x80
	buffer_load_dwordx4 v[18:21], v36, s[0:3], 0 offen
	buffer_load_dwordx4 v[26:29], v36, s[0:3], s6 offen
	;; [unrolled: 1-line block ×4, first 2 shown]
.LBB361_45:
	v_lshrrev_b32_e32 v47, 2, v51
	s_cbranch_execnz .LBB361_58
.LBB361_46:
	s_and_b64 vcc, exec, s[14:15]
	s_cbranch_vccz .LBB361_56
; %bb.47:
	s_waitcnt vmcnt(0)
	v_lshlrev_b32_e32 v23, 1, v42
	v_cmp_gt_i32_e32 vcc, s31, v23
	v_mov_b32_e32 v22, 0
	v_lshlrev_b32_e32 v30, 9, v42
	v_mov_b32_e32 v18, 0
	v_mov_b32_e32 v19, 0
	;; [unrolled: 1-line block ×4, first 2 shown]
	s_and_saveexec_b64 s[0:1], vcc
	s_cbranch_execz .LBB361_49
; %bb.48:
	v_mov_b32_e32 v31, 0
	v_lshl_add_u64 v[18:19], s[4:5], 0, v[30:31]
	v_lshlrev_b32_e32 v20, 1, v34
	v_mov_b32_e32 v21, v31
	v_lshl_add_u64 v[18:19], v[18:19], 0, v[20:21]
	global_load_dwordx4 v[18:21], v[18:19], off
.LBB361_49:
	s_or_b64 exec, exec, s[0:1]
	v_or_b32_e32 v23, 1, v23
	v_cmp_gt_i32_e64 s[0:1], s31, v23
	v_lshlrev_b32_e32 v36, 8, v23
	v_mov_b32_e32 v23, 0
	v_mov_b32_e32 v24, 0
	;; [unrolled: 1-line block ×3, first 2 shown]
	s_and_saveexec_b64 s[2:3], s[0:1]
	s_cbranch_execz .LBB361_51
; %bb.50:
	v_mov_b32_e32 v37, 0
	v_lshl_add_u64 v[22:23], s[4:5], 0, v[36:37]
	v_lshlrev_b32_e32 v24, 1, v34
	v_mov_b32_e32 v25, v37
	v_lshl_add_u64 v[22:23], v[22:23], 0, v[24:25]
	global_load_dwordx4 v[22:25], v[22:23], off
.LBB361_51:
	s_or_b64 exec, exec, s[2:3]
	v_mov_b32_e32 v33, 0
	v_mov_b32_e32 v26, 0
	;; [unrolled: 1-line block ×5, first 2 shown]
	s_and_saveexec_b64 s[2:3], vcc
	s_cbranch_execz .LBB361_53
; %bb.52:
	v_mov_b32_e32 v31, 0
	v_lshl_add_u64 v[26:27], s[4:5], 0, v[30:31]
	v_lshlrev_b32_e32 v30, 1, v34
	v_lshl_add_u64 v[26:27], v[26:27], 0, v[30:31]
	global_load_dwordx4 v[26:29], v[26:27], off offset:128
.LBB361_53:
	s_or_b64 exec, exec, s[2:3]
	v_mov_b32_e32 v32, 0
	v_mov_b32_e32 v31, 0
	;; [unrolled: 1-line block ×3, first 2 shown]
	s_and_saveexec_b64 s[2:3], s[0:1]
	s_cbranch_execz .LBB361_55
; %bb.54:
	v_mov_b32_e32 v37, 0
	v_lshl_add_u64 v[30:31], s[4:5], 0, v[36:37]
	v_lshlrev_b32_e32 v36, 1, v34
	v_lshl_add_u64 v[30:31], v[30:31], 0, v[36:37]
	global_load_dwordx4 v[30:33], v[30:31], off offset:128
.LBB361_55:
	s_or_b64 exec, exec, s[2:3]
	s_branch .LBB361_58
.LBB361_56:
                                        ; implicit-def: $vgpr21
                                        ; implicit-def: $vgpr25
                                        ; implicit-def: $vgpr29
                                        ; implicit-def: $vgpr33
	s_cbranch_execz .LBB361_58
; %bb.57:
	s_waitcnt vmcnt(0)
	v_lshlrev_b32_e32 v18, 1, v34
	v_lshl_or_b32 v34, v42, 9, v18
	s_and_b32 s5, s5, 0xffff
	s_mov_b32 s7, 0x20000
	s_movk_i32 s6, 0x4000
	s_movk_i32 s0, 0x80
	buffer_load_dwordx4 v[18:21], v34, s[4:7], 0 offen
	buffer_load_dwordx4 v[22:25], v34, s[4:7], 0 offen offset:256
	buffer_load_dwordx4 v[26:29], v34, s[4:7], s0 offen
	buffer_load_dwordx4 v[30:33], v34, s[4:7], s0 offen offset:256
.LBB361_58:
	ds_read_b64 v[36:37], v43 offset:32768
	v_add_u32_e32 v34, 0xb000, v40
	ds_read2_b64 v[58:61], v34 offset1:16
	ds_read_b64 v[48:49], v44 offset:32768
	ds_read_b64 v[44:45], v45 offset:32768
	;; [unrolled: 1-line block ×3, first 2 shown]
	v_and_b32_e32 v34, 6, v0
	v_xor_b32_e32 v42, v42, v34
	v_lshlrev_b32_e32 v42, 2, v42
	v_and_b32_e32 v43, 1, v0
	v_xor_b32_e32 v46, 0x440, v42
	v_cmp_eq_u32_e32 vcc, 0, v43
	s_waitcnt lgkmcnt(3)
	v_mfma_f32_16x16x16_bf16 a[0:3], v[36:37], v[58:59], a[0:3]
	s_mov_b32 s0, 0x1000504
	v_cndmask_b32_e32 v42, v46, v42, vcc
	v_lshl_or_b32 v34, v34, 10, v42
	v_mfma_f32_16x16x16_bf16 a[4:7], v[36:37], v[60:61], a[4:7]
	ds_read2st64_b64 v[58:61], v40 offset0:90 offset1:92
	ds_read2st64_b64 v[62:65], v41 offset0:90 offset1:92
	s_waitcnt vmcnt(0)
	v_perm_b32 v42, v18, v22, s0
	s_mov_b32 s1, 0x3020706
	s_waitcnt lgkmcnt(1)
	v_mfma_f32_16x16x16_bf16 a[0:3], v[48:49], v[58:59], a[0:3]
	ds_read_b64 v[36:37], v40 offset:48128
	ds_read_b64 v[58:59], v41 offset:48128
	v_perm_b32 v18, v18, v22, s1
	v_perm_b32 v22, v26, v30, s1
	s_waitcnt lgkmcnt(2)
	v_mfma_f32_16x16x16_bf16 a[4:7], v[48:49], v[62:63], a[4:7]
	v_and_or_b32 v43, v47, 12, v66
	v_cmp_gt_i32_e32 vcc, s31, v43
	v_mfma_f32_16x16x16_bf16 a[0:3], v[44:45], v[60:61], a[0:3]
	v_mfma_f32_16x16x16_bf16 a[8:11], v[44:45], v[64:65], a[4:7]
	s_waitcnt lgkmcnt(1)
	v_mfma_f32_16x16x16_bf16 a[4:7], v[68:69], v[36:37], a[0:3]
	v_perm_b32 v36, v26, v30, s0
	ds_write2st64_b32 v34, v42, v36 offset0:32 offset1:64
	v_xor_b32_e32 v36, 8, v34
	v_add_u32_e32 v26, 0x80, v36
	ds_write2st64_b32 v26, v18, v22 offset0:32 offset1:64
	v_xor_b32_e32 v18, 16, v34
	v_perm_b32 v22, v19, v23, s0
	v_perm_b32 v26, v27, v31, s0
	ds_write2st64_b32 v18, v22, v26 offset0:33 offset1:65
	v_xor_b32_e32 v18, 24, v34
	v_perm_b32 v19, v19, v23, s1
	v_perm_b32 v22, v27, v31, s1
	v_add_u32_e32 v18, 0x80, v18
	ds_write2st64_b32 v18, v19, v22 offset0:33 offset1:65
	v_xor_b32_e32 v18, 32, v34
	v_perm_b32 v19, v20, v24, s0
	v_perm_b32 v22, v28, v32, s0
	ds_write2st64_b32 v18, v19, v22 offset0:34 offset1:66
	v_xor_b32_e32 v18, 40, v34
	s_waitcnt lgkmcnt(5)
	v_mfma_f32_16x16x16_bf16 a[0:3], v[68:69], v[58:59], a[8:11]
	v_perm_b32 v19, v20, v24, s1
	v_perm_b32 v20, v28, v32, s1
	v_add_u32_e32 v18, 0x80, v18
	ds_write2st64_b32 v18, v19, v20 offset0:34 offset1:66
	v_xor_b32_e32 v18, 48, v34
	v_perm_b32 v19, v21, v25, s0
	v_perm_b32 v20, v29, v33, s0
	ds_write2st64_b32 v18, v19, v20 offset0:35 offset1:67
	v_xor_b32_e32 v18, 56, v34
	v_perm_b32 v19, v21, v25, s1
	v_perm_b32 v20, v29, v33, s1
	v_add_u32_e32 v18, 0x80, v18
	v_mov_b32_e32 v34, 0
	v_mov_b32_e32 v37, 0
	ds_write2st64_b32 v18, v19, v20 offset0:35 offset1:67
	s_and_saveexec_b64 s[0:1], vcc
	s_cbranch_execz .LBB361_60
; %bb.59:
	v_add_u32_e32 v18, s30, v43
	v_ashrrev_i32_e32 v19, 31, v18
	v_mul_lo_u32 v20, v19, s36
	v_mul_lo_u32 v21, v18, s37
	v_mad_u64_u32 v[18:19], s[2:3], v18, s36, 0
	v_add3_u32 v19, v19, v21, v20
	v_lshl_add_u64 v[18:19], v[18:19], 2, s[12:13]
	global_load_dword v18, v[18:19], off
	s_waitcnt vmcnt(0)
	v_sub_f32_e32 v18, s18, v18
	v_mul_f32_e32 v18, 0x3fb8aa3b, v18
	v_exp_f32_e32 v37, v18
.LBB361_60:
	s_or_b64 exec, exec, s[0:1]
	v_or_b32_e32 v29, 1, v43
	v_cmp_gt_i32_e64 s[0:1], s31, v29
	s_and_saveexec_b64 s[2:3], s[0:1]
	s_cbranch_execz .LBB361_62
; %bb.61:
	v_add_u32_e32 v18, s30, v29
	v_ashrrev_i32_e32 v19, 31, v18
	v_mul_lo_u32 v20, v19, s36
	v_mul_lo_u32 v21, v18, s37
	v_mad_u64_u32 v[18:19], s[4:5], v18, s36, 0
	v_add3_u32 v19, v19, v21, v20
	v_lshl_add_u64 v[18:19], v[18:19], 2, s[12:13]
	global_load_dword v18, v[18:19], off
	s_waitcnt vmcnt(0)
	v_sub_f32_e32 v18, s18, v18
	v_mul_f32_e32 v18, 0x3fb8aa3b, v18
	v_exp_f32_e32 v34, v18
.LBB361_62:
	s_or_b64 exec, exec, s[2:3]
	v_or_b32_e32 v28, 2, v43
	v_cmp_gt_i32_e64 s[2:3], s31, v28
	v_mov_b32_e32 v36, 0
	v_mov_b32_e32 v42, 0
	s_and_saveexec_b64 s[4:5], s[2:3]
	s_cbranch_execz .LBB361_64
; %bb.63:
	v_add_u32_e32 v18, s30, v28
	v_ashrrev_i32_e32 v19, 31, v18
	v_mul_lo_u32 v20, v19, s36
	v_mul_lo_u32 v21, v18, s37
	v_mad_u64_u32 v[18:19], s[6:7], v18, s36, 0
	v_add3_u32 v19, v19, v21, v20
	v_lshl_add_u64 v[18:19], v[18:19], 2, s[12:13]
	global_load_dword v18, v[18:19], off
	s_waitcnt vmcnt(0)
	v_sub_f32_e32 v18, s18, v18
	v_mul_f32_e32 v18, 0x3fb8aa3b, v18
	v_exp_f32_e32 v42, v18
.LBB361_64:
	s_or_b64 exec, exec, s[4:5]
	v_or_b32_e32 v44, 3, v43
	v_cmp_gt_i32_e64 s[4:5], s31, v44
	s_and_saveexec_b64 s[6:7], s[4:5]
	s_cbranch_execz .LBB361_66
; %bb.65:
	v_add_u32_e32 v18, s30, v44
	v_ashrrev_i32_e32 v19, 31, v18
	v_mul_lo_u32 v20, v19, s36
	v_mul_lo_u32 v21, v18, s37
	v_mad_u64_u32 v[18:19], s[14:15], v18, s36, 0
	v_add3_u32 v19, v19, v21, v20
	v_lshl_add_u64 v[18:19], v[18:19], 2, s[12:13]
	global_load_dword v18, v[18:19], off
	s_waitcnt vmcnt(0)
	v_sub_f32_e32 v18, s18, v18
	v_mul_f32_e32 v18, 0x3fb8aa3b, v18
	v_exp_f32_e32 v36, v18
.LBB361_66:
	s_or_b64 exec, exec, s[6:7]
	s_add_u32 s6, s16, s24
	s_addc_u32 s7, s17, s25
	s_add_u32 s8, s8, s24
	v_ashrrev_i32_e32 v57, 31, v56
	v_accvgpr_read_b32 v21, a7
	s_addc_u32 s9, s9, s25
	v_lshlrev_b64 v[22:23], 1, v[56:57]
	v_accvgpr_read_b32 v20, a6
	v_accvgpr_read_b32 v19, a5
	;; [unrolled: 1-line block ×3, first 2 shown]
	v_lshl_add_u64 v[24:25], s[6:7], 0, v[22:23]
	v_lshl_add_u64 v[22:23], s[8:9], 0, v[22:23]
	v_mov_b32_e32 v31, 0
	v_lshlrev_b32_e32 v26, 8, v43
	v_mov_b32_e32 v27, 0
	s_and_saveexec_b64 s[6:7], vcc
	s_cbranch_execz .LBB361_68
; %bb.67:
	v_mov_b32_e32 v27, 0
	v_lshl_add_u64 v[32:33], v[24:25], 0, v[26:27]
	global_load_ushort v30, v[32:33], off
	v_lshl_add_u64 v[32:33], v[22:23], 0, v[26:27]
	s_waitcnt vmcnt(0)
	v_lshlrev_b32_e32 v27, 16, v30
	v_sub_f32_e32 v18, v27, v18
	global_store_short_d16_hi v[32:33], v18, off
	v_mul_f32_e32 v18, v37, v18
	v_lshrrev_b32_e32 v27, 16, v18
.LBB361_68:
	s_or_b64 exec, exec, s[6:7]
	v_lshlrev_b32_e32 v30, 8, v29
	s_and_saveexec_b64 s[6:7], s[0:1]
	s_cbranch_execz .LBB361_70
; %bb.69:
	v_mov_b32_e32 v31, 0
	v_lshl_add_u64 v[32:33], v[24:25], 0, v[30:31]
	global_load_ushort v18, v[32:33], off
	v_lshl_add_u64 v[32:33], v[22:23], 0, v[30:31]
	s_waitcnt vmcnt(0)
	v_lshlrev_b32_e32 v18, 16, v18
	v_sub_f32_e32 v18, v18, v19
	global_store_short_d16_hi v[32:33], v18, off
	v_mul_f32_e32 v18, v34, v18
	v_lshrrev_b32_e32 v31, 16, v18
.LBB361_70:
	s_or_b64 exec, exec, s[6:7]
	v_mov_b32_e32 v29, 0
	v_lshlrev_b32_e32 v32, 8, v28
	v_mov_b32_e32 v33, 0
	s_and_saveexec_b64 s[6:7], s[2:3]
	s_cbranch_execz .LBB361_72
; %bb.71:
	v_mov_b32_e32 v33, 0
	v_lshl_add_u64 v[18:19], v[24:25], 0, v[32:33]
	global_load_ushort v28, v[18:19], off
	v_lshl_add_u64 v[18:19], v[22:23], 0, v[32:33]
	s_waitcnt vmcnt(0)
	v_lshlrev_b32_e32 v28, 16, v28
	v_sub_f32_e32 v20, v28, v20
	global_store_short_d16_hi v[18:19], v20, off
	v_mul_f32_e32 v18, v42, v20
	v_lshrrev_b32_e32 v33, 16, v18
.LBB361_72:
	s_or_b64 exec, exec, s[6:7]
	v_lshlrev_b32_e32 v28, 8, v44
	s_and_saveexec_b64 s[6:7], s[4:5]
	s_cbranch_execz .LBB361_74
; %bb.73:
	v_mov_b32_e32 v29, 0
	v_lshl_add_u64 v[18:19], v[24:25], 0, v[28:29]
	global_load_ushort v20, v[18:19], off
	v_lshl_add_u64 v[18:19], v[22:23], 0, v[28:29]
	s_waitcnt vmcnt(0)
	v_lshlrev_b32_e32 v20, 16, v20
	v_sub_f32_e32 v20, v20, v21
	global_store_short_d16_hi v[18:19], v20, off
	v_mul_f32_e32 v18, v36, v20
	v_lshrrev_b32_e32 v29, 16, v18
.LBB361_74:
	s_or_b64 exec, exec, s[6:7]
	v_lshlrev_b32_e32 v43, 5, v43
	s_mov_b32 s6, 0x5040100
	v_perm_b32 v44, v31, v27, s6
	v_or_b32_e32 v27, v43, v38
	v_accvgpr_read_b32 v21, a3
	v_perm_b32 v45, v29, v33, s6
	v_lshlrev_b32_e32 v27, 1, v27
	v_accvgpr_read_b32 v20, a2
	v_accvgpr_read_b32 v19, a1
	;; [unrolled: 1-line block ×3, first 2 shown]
	ds_write_b64 v27, v[44:45] offset:45056
	v_mov_b32_e32 v31, 0
	v_mov_b32_e32 v27, 0
	s_and_saveexec_b64 s[6:7], vcc
	s_cbranch_execz .LBB361_76
; %bb.75:
	v_mov_b32_e32 v27, 0
	v_lshl_add_u64 v[44:45], v[24:25], 0, v[26:27]
	global_load_ushort v29, v[44:45], off offset:32
	v_lshl_add_u64 v[26:27], v[22:23], 0, v[26:27]
	s_waitcnt vmcnt(0)
	v_lshlrev_b32_e32 v29, 16, v29
	v_sub_f32_e32 v18, v29, v18
	global_store_short_d16_hi v[26:27], v18, off offset:32
	v_mul_f32_e32 v18, v37, v18
	v_lshrrev_b32_e32 v27, 16, v18
.LBB361_76:
	s_or_b64 exec, exec, s[6:7]
	s_and_saveexec_b64 s[6:7], s[0:1]
	s_cbranch_execz .LBB361_78
; %bb.77:
	v_mov_b32_e32 v31, 0
	v_lshl_add_u64 v[44:45], v[24:25], 0, v[30:31]
	global_load_ushort v18, v[44:45], off offset:32
	v_lshl_add_u64 v[30:31], v[22:23], 0, v[30:31]
	s_waitcnt vmcnt(0)
	v_lshlrev_b32_e32 v18, 16, v18
	v_sub_f32_e32 v18, v18, v19
	global_store_short_d16_hi v[30:31], v18, off offset:32
	v_mul_f32_e32 v18, v34, v18
	v_lshrrev_b32_e32 v31, 16, v18
.LBB361_78:
	s_or_b64 exec, exec, s[6:7]
	v_mov_b32_e32 v26, 0
	v_mov_b32_e32 v30, 0
	s_and_saveexec_b64 s[0:1], s[2:3]
	s_cbranch_execz .LBB361_80
; %bb.79:
	v_mov_b32_e32 v33, 0
	v_lshl_add_u64 v[18:19], v[24:25], 0, v[32:33]
	global_load_ushort v29, v[18:19], off offset:32
	v_lshl_add_u64 v[18:19], v[22:23], 0, v[32:33]
	s_waitcnt vmcnt(0)
	v_lshlrev_b32_e32 v29, 16, v29
	v_sub_f32_e32 v20, v29, v20
	global_store_short_d16_hi v[18:19], v20, off offset:32
	v_mul_f32_e32 v18, v42, v20
	v_lshrrev_b32_e32 v30, 16, v18
.LBB361_80:
	s_or_b64 exec, exec, s[0:1]
	v_or_b32_e32 v19, 0xb000, v40
	v_or_b32_e32 v18, 0xb000, v41
	s_and_saveexec_b64 s[0:1], s[4:5]
	s_cbranch_execz .LBB361_82
; %bb.81:
	v_mov_b32_e32 v29, 0
	v_lshl_add_u64 v[24:25], v[24:25], 0, v[28:29]
	global_load_ushort v20, v[24:25], off offset:32
	v_lshl_add_u64 v[22:23], v[22:23], 0, v[28:29]
	s_waitcnt vmcnt(0)
	v_lshlrev_b32_e32 v20, 16, v20
	v_sub_f32_e32 v20, v20, v21
	global_store_short_d16_hi v[22:23], v20, off offset:32
	v_mul_f32_e32 v20, v36, v20
	v_lshrrev_b32_e32 v26, 16, v20
.LBB361_82:
	s_or_b64 exec, exec, s[0:1]
	s_mov_b32 s0, 0x5040100
	v_or_b32_e32 v22, v43, v35
	v_perm_b32 v21, v26, v30, s0
	v_perm_b32 v20, v31, v27, s0
	v_lshlrev_b32_e32 v22, 1, v22
	s_movk_i32 s0, 0x100
	ds_write_b64 v22, v[20:21] offset:45056
	v_and_b32_e32 v20, 7, v0
	v_and_b32_e32 v21, 8, v0
	v_cmp_gt_u32_e32 vcc, s0, v0
	v_lshrrev_b32_e32 v0, 1, v0
	v_lshlrev_b32_e32 v37, 3, v1
	v_and_b32_e32 v38, 24, v0
	v_lshlrev_b32_e32 v34, 3, v20
	v_lshlrev_b32_e32 v35, 7, v20
	v_mov_b32_e32 v20, 0x4000
	v_mov_b32_e32 v22, 0x2000
	v_xor_b32_e32 v0, v37, v38
	v_cndmask_b32_e32 v36, v20, v22, vcc
	v_or_b32_e32 v1, 0x440, v0
	v_cmp_eq_u32_e32 vcc, 0, v21
	s_waitcnt lgkmcnt(0)
	s_barrier
	v_cndmask_b32_e32 v0, v1, v0, vcc
	v_or_b32_e32 v0, v0, v39
	v_xad_u32 v40, v0, v34, v35
	v_add_u32_e32 v0, v36, v40
	ds_read_b64 v[0:1], v0
	ds_read2_b64 v[20:23], v19 offset1:16
	v_or_b32_e32 v24, 32, v38
	v_xor_b32_e32 v24, v37, v24
	v_or_b32_e32 v25, 0x440, v24
	v_cndmask_b32_e32 v24, v25, v24, vcc
	s_waitcnt lgkmcnt(0)
	v_mfma_f32_16x16x16_bf16 a[0:3], v[0:1], v[20:21], 0
	v_or_b32_e32 v24, v24, v39
	v_xad_u32 v41, v24, v34, v35
	v_add_u32_e32 v24, v36, v41
	v_mfma_f32_16x16x16_bf16 a[4:7], v[0:1], v[22:23], 0
	v_or_b32_e32 v0, 64, v38
	v_xor_b32_e32 v0, v37, v0
	v_xor_b32_e32 v1, 0x440, v0
	ds_read_b64 v[32:33], v24
	v_cndmask_b32_e32 v0, v1, v0, vcc
	v_or_b32_e32 v0, v0, v39
	v_xad_u32 v42, v0, v34, v35
	v_add_u32_e32 v0, v36, v42
	ds_read_b64 v[0:1], v0
	ds_read2st64_b64 v[24:27], v19 offset0:2 offset1:4
	ds_read2st64_b64 v[28:31], v18 offset0:2 offset1:4
	s_waitcnt lgkmcnt(1)
	v_mfma_f32_16x16x16_bf16 a[0:3], v[32:33], v[24:25], a[0:3]
	s_waitcnt lgkmcnt(0)
	v_mfma_f32_16x16x16_bf16 a[4:7], v[32:33], v[28:29], a[4:7]
	v_or_b32_e32 v32, 0x60, v38
	v_xor_b32_e32 v32, v37, v32
	v_xor_b32_e32 v33, 0x440, v32
	v_cndmask_b32_e32 v32, v33, v32, vcc
	v_or_b32_e32 v32, v32, v39
	v_xad_u32 v37, v32, v34, v35
	v_add_u32_e32 v32, v36, v37
	ds_read_b64 v[32:33], v32
	v_mfma_f32_16x16x16_bf16 a[0:3], v[0:1], v[26:27], a[0:3]
	v_mov_b32_e32 v36, 0x3fb8aa3b
	v_mfma_f32_16x16x16_bf16 a[4:7], v[0:1], v[30:31], a[4:7]
	ds_read_b64 v[0:1], v19 offset:3072
	ds_read_b64 v[34:35], v18 offset:3072
	;; [unrolled: 1-line block ×3, first 2 shown]
	s_waitcnt lgkmcnt(2)
	v_mfma_f32_16x16x16_bf16 a[0:3], v[32:33], v[0:1], a[0:3]
	s_waitcnt lgkmcnt(1)
	v_mfma_f32_16x16x16_bf16 a[4:7], v[32:33], v[34:35], a[4:7]
	ds_read_b64 v[32:33], v41 offset:16384
	s_waitcnt lgkmcnt(1)
	v_mfma_f32_16x16x16_bf16 a[8:11], v[18:19], v[20:21], 0
	v_mul_f32_e32 v20, s18, v36
	v_exp_f32_e32 v36, v20
	v_accvgpr_read_b32 v21, a3
	v_mfma_f32_16x16x16_bf16 a[12:15], v[18:19], v[22:23], 0
	ds_read_b64 v[22:23], v42 offset:16384
	v_accvgpr_read_b32 v18, a0
	v_fma_f32 v18, v2, v36, v18
	v_accvgpr_read_b32 v2, a1
	v_fma_f32 v19, v3, v36, v2
	;; [unrolled: 2-line block ×3, first 2 shown]
	ds_read_b64 v[2:3], v37 offset:16384
	s_waitcnt lgkmcnt(2)
	v_mfma_f32_16x16x16_bf16 a[8:11], v[32:33], v[24:25], a[8:11]
	v_accvgpr_read_b32 v4, a4
	v_fmac_f32_e32 v21, v5, v36
	v_mfma_f32_16x16x16_bf16 a[12:15], v[32:33], v[28:29], a[12:15]
	v_accvgpr_read_b32 v29, a7
	v_fmac_f32_e32 v29, v13, v36
	s_waitcnt lgkmcnt(1)
	v_mfma_f32_16x16x16_bf16 a[0:3], v[22:23], v[26:27], a[8:11]
	v_fma_f32 v26, v10, v36, v4
	v_accvgpr_read_b32 v4, a5
	v_fma_f32 v27, v11, v36, v4
	v_mfma_f32_16x16x16_bf16 a[8:11], v[22:23], v[30:31], a[12:15]
	v_accvgpr_read_b32 v4, a6
	v_fma_f32 v28, v12, v36, v4
	s_waitcnt lgkmcnt(0)
	v_mfma_f32_16x16x16_bf16 a[0:3], v[2:3], v[0:1], a[0:3]
	v_mfma_f32_16x16x16_bf16 a[4:7], v[2:3], v[34:35], a[8:11]
	s_nop 5
	v_accvgpr_read_b32 v0, a0
	v_fma_f32 v22, v6, v36, v0
	v_accvgpr_read_b32 v0, a1
	v_fma_f32 v23, v7, v36, v0
	;; [unrolled: 2-line block ×4, first 2 shown]
	v_accvgpr_read_b32 v0, a5
	v_accvgpr_read_b32 v25, a3
	v_fma_f32 v31, v15, v36, v0
	v_accvgpr_read_b32 v0, a6
	v_accvgpr_read_b32 v33, a7
	v_fmac_f32_e32 v25, v9, v36
	v_fma_f32 v32, v16, v36, v0
	v_fmac_f32_e32 v33, v17, v36
	v_mov_b64_e32 v[2:3], v[18:19]
	v_mov_b64_e32 v[4:5], v[20:21]
	;; [unrolled: 1-line block ×8, first 2 shown]
.LBB361_83:
	s_add_u32 s0, s10, s34
	s_addc_u32 s1, s11, s35
	v_lshl_add_u64 v[0:1], v[52:53], 1, s[0:1]
	v_mov_b32_e32 v51, 0
	s_mov_b32 s2, 0x7060302
	v_lshl_add_u64 v[0:1], v[0:1], 0, v[50:51]
	v_perm_b32 v5, v5, v4, s2
	v_perm_b32 v4, v3, v2, s2
	v_perm_b32 v3, v9, v8, s2
	v_perm_b32 v2, v7, v6, s2
	global_store_dwordx2 v[0:1], v[4:5], off
	global_store_dwordx2 v[0:1], v[2:3], off offset:128
	v_lshl_add_u64 v[0:1], v[54:55], 1, s[0:1]
	v_lshl_add_u64 v[0:1], v[0:1], 0, v[50:51]
	v_perm_b32 v3, v13, v12, s2
	v_perm_b32 v2, v11, v10, s2
	global_store_dwordx2 v[0:1], v[2:3], off
	v_perm_b32 v3, v17, v16, s2
	v_perm_b32 v2, v15, v14, s2
	global_store_dwordx2 v[0:1], v[2:3], off offset:128
	s_endpgm
	.section	.rodata,"a",@progbits
	.p2align	6, 0x0
	.amdhsa_kernel _ZN12_GLOBAL__N_139chunk_gated_delta_rule_fwd_h_hip_kernelILi32ELb1ELb1ELb1ELb0ELb0ELb0ELb1ELb1EEEvPK12hip_bfloat16S3_S3_PKfS5_PKvPS1_S8_PvPKiSB_iiiiilll
		.amdhsa_group_segment_fixed_size 49152
		.amdhsa_private_segment_fixed_size 0
		.amdhsa_kernarg_size 136
		.amdhsa_user_sgpr_count 2
		.amdhsa_user_sgpr_dispatch_ptr 0
		.amdhsa_user_sgpr_queue_ptr 0
		.amdhsa_user_sgpr_kernarg_segment_ptr 1
		.amdhsa_user_sgpr_dispatch_id 0
		.amdhsa_user_sgpr_kernarg_preload_length 0
		.amdhsa_user_sgpr_kernarg_preload_offset 0
		.amdhsa_user_sgpr_private_segment_size 0
		.amdhsa_uses_dynamic_stack 0
		.amdhsa_enable_private_segment 0
		.amdhsa_system_sgpr_workgroup_id_x 1
		.amdhsa_system_sgpr_workgroup_id_y 1
		.amdhsa_system_sgpr_workgroup_id_z 0
		.amdhsa_system_sgpr_workgroup_info 0
		.amdhsa_system_vgpr_workitem_id 0
		.amdhsa_next_free_vgpr 156
		.amdhsa_next_free_sgpr 74
		.amdhsa_accum_offset 140
		.amdhsa_reserve_vcc 1
		.amdhsa_float_round_mode_32 0
		.amdhsa_float_round_mode_16_64 0
		.amdhsa_float_denorm_mode_32 3
		.amdhsa_float_denorm_mode_16_64 3
		.amdhsa_dx10_clamp 1
		.amdhsa_ieee_mode 1
		.amdhsa_fp16_overflow 0
		.amdhsa_tg_split 0
		.amdhsa_exception_fp_ieee_invalid_op 0
		.amdhsa_exception_fp_denorm_src 0
		.amdhsa_exception_fp_ieee_div_zero 0
		.amdhsa_exception_fp_ieee_overflow 0
		.amdhsa_exception_fp_ieee_underflow 0
		.amdhsa_exception_fp_ieee_inexact 0
		.amdhsa_exception_int_div_zero 0
	.end_amdhsa_kernel
	.section	.text._ZN12_GLOBAL__N_139chunk_gated_delta_rule_fwd_h_hip_kernelILi32ELb1ELb1ELb1ELb0ELb0ELb0ELb1ELb1EEEvPK12hip_bfloat16S3_S3_PKfS5_PKvPS1_S8_PvPKiSB_iiiiilll,"axG",@progbits,_ZN12_GLOBAL__N_139chunk_gated_delta_rule_fwd_h_hip_kernelILi32ELb1ELb1ELb1ELb0ELb0ELb0ELb1ELb1EEEvPK12hip_bfloat16S3_S3_PKfS5_PKvPS1_S8_PvPKiSB_iiiiilll,comdat
.Lfunc_end361:
	.size	_ZN12_GLOBAL__N_139chunk_gated_delta_rule_fwd_h_hip_kernelILi32ELb1ELb1ELb1ELb0ELb0ELb0ELb1ELb1EEEvPK12hip_bfloat16S3_S3_PKfS5_PKvPS1_S8_PvPKiSB_iiiiilll, .Lfunc_end361-_ZN12_GLOBAL__N_139chunk_gated_delta_rule_fwd_h_hip_kernelILi32ELb1ELb1ELb1ELb0ELb0ELb0ELb1ELb1EEEvPK12hip_bfloat16S3_S3_PKfS5_PKvPS1_S8_PvPKiSB_iiiiilll
                                        ; -- End function
	.section	.AMDGPU.csdata,"",@progbits
; Kernel info:
; codeLenInByte = 9776
; NumSgprs: 80
; NumVgprs: 138
; NumAgprs: 16
; TotalNumVgprs: 156
; ScratchSize: 0
; MemoryBound: 0
; FloatMode: 240
; IeeeMode: 1
; LDSByteSize: 49152 bytes/workgroup (compile time only)
; SGPRBlocks: 9
; VGPRBlocks: 19
; NumSGPRsForWavesPerEU: 80
; NumVGPRsForWavesPerEU: 156
; AccumOffset: 140
; Occupancy: 1
; WaveLimiterHint : 1
; COMPUTE_PGM_RSRC2:SCRATCH_EN: 0
; COMPUTE_PGM_RSRC2:USER_SGPR: 2
; COMPUTE_PGM_RSRC2:TRAP_HANDLER: 0
; COMPUTE_PGM_RSRC2:TGID_X_EN: 1
; COMPUTE_PGM_RSRC2:TGID_Y_EN: 1
; COMPUTE_PGM_RSRC2:TGID_Z_EN: 0
; COMPUTE_PGM_RSRC2:TIDIG_COMP_CNT: 0
; COMPUTE_PGM_RSRC3_GFX90A:ACCUM_OFFSET: 34
; COMPUTE_PGM_RSRC3_GFX90A:TG_SPLIT: 0
	.section	.text._ZN12_GLOBAL__N_139chunk_gated_delta_rule_fwd_h_hip_kernelILi32ELb1ELb1ELb0ELb0ELb0ELb0ELb1ELb1EEEvPK12hip_bfloat16S3_S3_PKfS5_PKvPS1_S8_PvPKiSB_iiiiilll,"axG",@progbits,_ZN12_GLOBAL__N_139chunk_gated_delta_rule_fwd_h_hip_kernelILi32ELb1ELb1ELb0ELb0ELb0ELb0ELb1ELb1EEEvPK12hip_bfloat16S3_S3_PKfS5_PKvPS1_S8_PvPKiSB_iiiiilll,comdat
	.globl	_ZN12_GLOBAL__N_139chunk_gated_delta_rule_fwd_h_hip_kernelILi32ELb1ELb1ELb0ELb0ELb0ELb0ELb1ELb1EEEvPK12hip_bfloat16S3_S3_PKfS5_PKvPS1_S8_PvPKiSB_iiiiilll ; -- Begin function _ZN12_GLOBAL__N_139chunk_gated_delta_rule_fwd_h_hip_kernelILi32ELb1ELb1ELb0ELb0ELb0ELb0ELb1ELb1EEEvPK12hip_bfloat16S3_S3_PKfS5_PKvPS1_S8_PvPKiSB_iiiiilll
	.p2align	8
	.type	_ZN12_GLOBAL__N_139chunk_gated_delta_rule_fwd_h_hip_kernelILi32ELb1ELb1ELb0ELb0ELb0ELb0ELb1ELb1EEEvPK12hip_bfloat16S3_S3_PKfS5_PKvPS1_S8_PvPKiSB_iiiiilll,@function
_ZN12_GLOBAL__N_139chunk_gated_delta_rule_fwd_h_hip_kernelILi32ELb1ELb1ELb0ELb0ELb0ELb0ELb1ELb1EEEvPK12hip_bfloat16S3_S3_PKfS5_PKvPS1_S8_PvPKiSB_iiiiilll: ; @_ZN12_GLOBAL__N_139chunk_gated_delta_rule_fwd_h_hip_kernelILi32ELb1ELb1ELb0ELb0ELb0ELb0ELb1ELb1EEEvPK12hip_bfloat16S3_S3_PKfS5_PKvPS1_S8_PvPKiSB_iiiiilll
; %bb.0:
	s_load_dwordx4 s[12:15], s[0:1], 0x5c
	s_load_dwordx4 s[20:23], s[0:1], 0x70
	s_abs_i32 s6, s3
	s_ashr_i32 s5, s3, 31
	s_load_dwordx4 s[16:19], s[0:1], 0x28
	s_waitcnt lgkmcnt(0)
	s_abs_i32 s4, s13
	v_cvt_f32_u32_e32 v1, s4
	s_sub_i32 s8, 0, s4
	s_ashr_i32 s7, s13, 31
	s_xor_b32 s5, s5, s7
	v_rcp_iflag_f32_e32 v1, v1
	v_and_b32_e32 v66, 15, v0
	v_bfe_u32 v65, v0, 4, 2
	v_mov_b32_e32 v51, 0
	v_mul_f32_e32 v1, 0x4f7ffffe, v1
	v_cvt_u32_f32_e32 v1, v1
	v_lshlrev_b32_e32 v67, 3, v0
	v_readfirstlane_b32 s9, v1
	s_mul_i32 s8, s8, s9
	s_mul_hi_u32 s8, s9, s8
	s_add_i32 s9, s9, s8
	s_mul_hi_u32 s8, s6, s9
	s_mul_i32 s9, s8, s4
	s_sub_i32 s6, s6, s9
	s_add_i32 s10, s8, 1
	s_sub_i32 s9, s6, s4
	s_cmp_ge_u32 s6, s4
	s_cselect_b32 s8, s10, s8
	s_cselect_b32 s6, s9, s6
	s_add_i32 s9, s8, 1
	s_cmp_ge_u32 s6, s4
	s_cselect_b32 s6, s9, s8
	s_xor_b32 s6, s6, s5
	s_add_i32 s8, s12, 63
	s_sub_i32 s53, s6, s5
	s_ashr_i32 s9, s8, 31
	s_mul_i32 s5, s53, s13
	s_sub_i32 s51, s3, s5
	s_lshr_b32 s3, s9, 26
	s_add_i32 s8, s8, s3
	s_abs_i32 s3, s14
	v_cvt_f32_u32_e32 v1, s3
	s_ashr_i32 s52, s12, 31
	s_lshr_b32 s6, s52, 26
	s_add_i32 s6, s12, s6
	v_rcp_iflag_f32_e32 v1, v1
	s_ashr_i32 s56, s14, 31
	s_ashr_i32 s24, s8, 6
	;; [unrolled: 1-line block ×3, first 2 shown]
	v_mul_f32_e32 v1, 0x4f7ffffe, v1
	v_cvt_u32_f32_e32 v1, v1
	s_xor_b32 s6, s7, s56
	s_sub_i32 s7, 0, s3
	s_lshl_b32 s2, s2, 5
	v_readfirstlane_b32 s8, v1
	s_mul_i32 s7, s7, s8
	s_mul_hi_u32 s7, s8, s7
	s_add_i32 s8, s8, s7
	s_mul_hi_u32 s7, s4, s8
	s_mul_i32 s8, s7, s3
	s_sub_i32 s4, s4, s8
	s_add_i32 s8, s7, 1
	s_sub_i32 s9, s4, s3
	s_cmp_ge_u32 s4, s3
	s_cselect_b32 s7, s8, s7
	s_cselect_b32 s4, s9, s4
	s_add_i32 s8, s7, 1
	s_cmp_ge_u32 s4, s3
	s_cselect_b32 s3, s8, s7
	s_xor_b32 s3, s3, s6
	s_sub_i32 s3, s3, s6
	s_abs_i32 s4, s3
	v_cvt_f32_u32_e32 v1, s4
	s_sub_i32 s7, 0, s4
	s_abs_i32 s6, s51
	s_xor_b32 s3, s51, s3
	v_rcp_iflag_f32_e32 v2, v1
	s_ashr_i32 s3, s3, 31
	v_or_b32_e32 v56, s2, v66
	v_lshrrev_b32_e32 v1, 6, v0
	v_mul_f32_e32 v2, 0x4f7ffffe, v2
	v_cvt_u32_f32_e32 v2, v2
	v_lshlrev_b32_e32 v52, 7, v56
	v_lshlrev_b32_e32 v64, 4, v1
	v_or_b32_e32 v54, 0x800, v52
	v_readfirstlane_b32 s8, v2
	s_mul_i32 s7, s7, s8
	s_mul_hi_u32 s7, s8, s7
	s_add_i32 s8, s8, s7
	s_mul_hi_u32 s7, s6, s8
	s_mul_i32 s8, s7, s4
	s_sub_i32 s6, s6, s8
	s_add_i32 s8, s7, 1
	s_sub_i32 s9, s6, s4
	s_cmp_ge_u32 s6, s4
	s_cselect_b32 s7, s8, s7
	s_cselect_b32 s6, s9, s6
	s_add_i32 s8, s7, 1
	s_cmp_ge_u32 s6, s4
	s_cselect_b32 s4, s8, s7
	s_xor_b32 s4, s4, s3
	s_sub_i32 s57, s4, s3
	s_ashr_i32 s3, s53, 31
	s_ashr_i32 s55, s51, 31
	s_mul_hi_i32 s4, s53, s13
	s_add_u32 s40, s5, s51
	s_addc_u32 s41, s4, s55
	s_lshl_b64 s[28:29], s[40:41], 15
	s_add_u32 s4, s16, s28
	v_lshl_or_b32 v69, v65, 2, v64
	s_addc_u32 s5, s17, s29
	v_ashrrev_i32_e32 v53, 31, v52
	v_ashrrev_i32_e32 v55, 31, v54
	v_lshl_add_u64 v[2:3], v[52:53], 1, s[4:5]
	v_lshlrev_b32_e32 v50, 1, v69
	v_lshl_add_u64 v[6:7], v[54:55], 1, s[4:5]
	v_lshl_add_u64 v[2:3], v[2:3], 0, v[50:51]
	;; [unrolled: 1-line block ×3, first 2 shown]
	global_load_dwordx2 v[4:5], v[2:3], off
	v_and_b32_e32 v51, 63, v0
	global_load_dwordx2 v[2:3], v[2:3], off offset:128
	s_nop 0
	global_load_dwordx2 v[8:9], v[6:7], off
	global_load_dwordx2 v[10:11], v[6:7], off offset:128
	s_load_dwordx2 s[30:31], s[0:1], 0x40
	s_load_dwordx8 s[4:11], s[0:1], 0x0
	s_load_dwordx2 s[34:35], s[0:1], 0x80
	v_lshrrev_b32_e32 v68, 3, v51
	v_or_b32_e32 v70, 64, v69
	s_mul_i32 s33, s53, s21
	s_mul_hi_u32 s46, s53, s20
	s_mul_i32 s36, s53, s20
	s_mul_i32 s58, s53, s24
	;; [unrolled: 1-line block ×3, first 2 shown]
	s_mul_hi_u32 s48, s51, s22
	s_mul_i32 s50, s3, s20
	s_mul_i32 s49, s55, s22
	s_mul_hi_u32 s59, s40, s12
	s_mul_i32 s16, s40, s12
	s_mul_i32 s41, s41, s12
	s_cmp_lt_i32 s12, 64
	s_mul_i32 s38, s51, s22
	s_waitcnt vmcnt(3)
	v_and_b32_e32 v19, 0xffff0000, v4
	v_lshlrev_b32_e32 v18, 16, v4
	v_and_b32_e32 v21, 0xffff0000, v5
	v_lshlrev_b32_e32 v20, 16, v5
	s_waitcnt vmcnt(2)
	v_and_b32_e32 v23, 0xffff0000, v2
	v_lshlrev_b32_e32 v22, 16, v2
	v_and_b32_e32 v25, 0xffff0000, v3
	v_lshlrev_b32_e32 v24, 16, v3
	;; [unrolled: 5-line block ×4, first 2 shown]
	s_cbranch_scc1 .LBB362_3
; %bb.1:
	s_add_i32 s17, s59, s41
	s_lshl_b64 s[0:1], s[16:17], 8
	v_and_b32_e32 v72, 56, v67
	s_waitcnt lgkmcnt(0)
	s_add_u32 s20, s6, s0
	v_lshl_or_b32 v71, v1, 3, v68
	v_lshlrev_b32_e32 v2, 1, v72
	s_addc_u32 s0, s7, s1
	v_lshl_or_b32 v73, v71, 8, v2
	s_and_b32 s21, s0, 0xffff
	s_mov_b32 s23, 0x20000
	s_movk_i32 s22, 0x4000
	s_movk_i32 s0, 0x80
	v_or_b32_e32 v74, 0x2000, v73
	buffer_load_dwordx4 v[4:7], v73, s[20:23], 0 offen
	buffer_load_dwordx4 v[8:11], v73, s[20:23], s0 offen
	;; [unrolled: 1-line block ×4, first 2 shown]
	v_lshlrev_b32_e32 v3, 3, v71
	v_and_or_b32 v17, v0, 7, v3
	v_and_b32_e32 v3, 0x78, v3
	v_lshlrev_b32_e32 v17, 4, v17
	v_xor_b32_e32 v75, v17, v3
	v_mul_lo_u32 v16, v71, s15
	v_or_b32_e32 v76, 0x1000, v75
	v_xor_b32_e32 v3, 8, v75
	s_cmpk_eq_i32 s15, 0x80
	s_mov_b32 s60, s14
	v_xor_b32_e32 v17, 8, v76
	s_cselect_b64 s[0:1], -1, 0
	s_cmpk_lg_i32 s15, 0x80
	s_waitcnt vmcnt(3)
	ds_write_b64 v75, v[4:5] offset:24576
	ds_write_b64 v3, v[6:7] offset:24576
	s_waitcnt vmcnt(2)
	ds_write_b64 v75, v[8:9] offset:32768
	ds_write_b64 v3, v[10:11] offset:32768
	;; [unrolled: 3-line block ×4, first 2 shown]
	v_lshl_add_u32 v3, v16, 1, v72
	s_cbranch_scc0 .LBB362_29
; %bb.2:
	v_lshlrev_b32_e32 v5, 1, v3
	v_add_lshl_u32 v4, v3, s15, 1
	s_lshl_b32 s22, s15, 7
	v_lshl_or_b32 v2, v71, 9, v2
	s_cbranch_execz .LBB362_30
	s_branch .LBB362_31
.LBB362_3:
	v_mov_b64_e32 v[2:3], v[18:19]
	v_mov_b64_e32 v[4:5], v[20:21]
	;; [unrolled: 1-line block ×8, first 2 shown]
.LBB362_4:
	s_lshl_b32 s26, s54, 6
	s_sub_i32 s27, s12, s26
	s_cmp_gt_i32 s27, 0
	s_cbranch_scc0 .LBB362_83
; %bb.5:
	s_ashr_i32 s3, s26, 31
	s_cmpk_lg_i32 s15, 0x80
	s_cselect_b64 s[22:23], -1, 0
	s_and_b64 vcc, exec, s[22:23]
	s_cbranch_vccz .LBB362_7
; %bb.6:
	s_mul_i32 s1, s53, s12
	s_mul_hi_i32 s0, s53, s12
	s_add_u32 s1, s1, s26
	s_addc_u32 s0, s0, s3
	s_mul_i32 s17, s1, s56
	s_mul_hi_u32 s20, s1, s14
	s_add_i32 s17, s20, s17
	s_mul_i32 s0, s0, s14
	s_add_i32 s17, s17, s0
	s_mul_i32 s1, s1, s14
	s_ashr_i32 s0, s57, 31
	s_add_u32 s24, s1, s57
	s_addc_u32 s25, s17, s0
	s_cbranch_execz .LBB362_8
	s_branch .LBB362_9
.LBB362_7:
                                        ; implicit-def: $sgpr24_sgpr25
.LBB362_8:
	s_mul_hi_i32 s0, s53, s14
	s_mul_i32 s53, s53, s14
	s_ashr_i32 s1, s57, 31
	s_add_u32 s14, s53, s57
	s_addc_u32 s0, s0, s1
	s_mul_i32 s1, s14, s52
	s_mul_hi_u32 s17, s14, s12
	s_add_i32 s1, s17, s1
	s_mul_i32 s0, s0, s12
	s_add_i32 s1, s1, s0
	s_mul_i32 s14, s14, s12
	s_add_u32 s24, s14, s26
	s_addc_u32 s25, s1, s3
.LBB362_9:
	s_mul_i32 s0, s40, s52
	s_add_i32 s0, s59, s0
	s_add_i32 s14, s58, s54
	;; [unrolled: 1-line block ×3, first 2 shown]
	s_add_u32 s0, s16, s26
	v_lshlrev_b32_e32 v22, 5, v69
	v_lshlrev_b32_e32 v38, 2, v66
	s_addc_u32 s1, s1, s3
	s_mov_b32 s3, 0x7060302
	v_or_b32_e32 v25, v22, v38
	v_xor_b32_e32 v23, v69, v38
	v_perm_b32 v19, v5, v4, s3
	v_perm_b32 v18, v3, v2, s3
	;; [unrolled: 1-line block ×4, first 2 shown]
	v_lshlrev_b32_e32 v25, 1, v25
	v_xor_b32_e32 v24, v70, v38
	ds_write2st64_b64 v25, v[18:19], v[20:21] offset0:80 offset1:88
	v_lshlrev_b32_e32 v23, 1, v23
	v_lshlrev_b32_e32 v25, 8, v66
	s_lshl_b64 s[20:21], s[0:1], 8
	v_or_b32_e32 v26, v23, v25
	v_lshlrev_b32_e32 v24, 1, v24
	s_waitcnt lgkmcnt(0)
	s_add_u32 s0, s6, s20
	ds_write_b64 v26, v[18:19]
	v_or_b32_e32 v18, v24, v25
	s_addc_u32 s1, s7, s21
	ds_write_b64 v18, v[20:21]
	v_perm_b32 v19, v13, v12, s3
	v_perm_b32 v18, v11, v10, s3
	;; [unrolled: 1-line block ×4, first 2 shown]
	v_or_b32_e32 v25, 16, v66
	s_mul_hi_i32 s3, s14, s13
	s_mul_i32 s14, s14, s13
	v_lshlrev_b32_e32 v35, 2, v25
	s_add_u32 s6, s14, s51
	v_or_b32_e32 v22, v22, v35
	s_addc_u32 s7, s3, s55
	v_lshlrev_b32_e32 v22, 1, v22
	s_ashr_i32 s3, s2, 31
	s_lshl_b64 s[6:7], s[6:7], 15
	ds_write2st64_b64 v22, v[18:19], v[20:21] offset0:80 offset1:88
	v_lshlrev_b32_e32 v22, 8, v25
	s_add_u32 s6, s18, s6
	v_or_b32_e32 v23, v23, v22
	s_addc_u32 s7, s19, s7
	s_lshl_b64 s[2:3], s[2:3], 8
	ds_write_b64 v23, v[18:19]
	v_or_b32_e32 v18, v24, v22
	s_add_u32 s2, s6, s2
	ds_write_b64 v18, v[20:21]
	v_lshrrev_b32_e32 v18, 4, v0
	s_addc_u32 s3, s7, s3
	v_lshlrev_b32_e32 v19, 1, v66
	v_lshlrev_b32_e32 v26, 4, v66
	v_mov_b32_e32 v27, 0
	v_or_b32_e32 v20, 1, v19
	v_xor_b32_e32 v19, v18, v19
	v_lshl_add_u64 v[28:29], s[2:3], 0, v[26:27]
	v_lshlrev_b32_e32 v26, 8, v18
	v_xor_b32_e32 v22, v20, v18
	v_lshl_or_b32 v18, v19, 3, v26
	s_waitcnt lgkmcnt(0)
	s_barrier
	ds_read2st64_b64 v[18:21], v18 offset1:8
	v_lshl_or_b32 v22, v22, 3, v26
	ds_read2st64_b64 v[22:25], v22 offset1:8
	v_lshl_add_u64 v[30:31], v[28:29], 0, v[26:27]
	s_movk_i32 s2, 0x1000
	s_waitcnt lgkmcnt(1)
	v_mov_b32_e32 v26, v18
	v_add_co_u32_e32 v18, vcc, s2, v30
	s_cmp_lg_u32 s27, 64
	v_mov_b32_e32 v27, v19
	v_addc_co_u32_e32 v19, vcc, 0, v31, vcc
	s_cselect_b64 s[6:7], -1, 0
	v_lshl_or_b32 v42, v1, 3, v68
	s_waitcnt lgkmcnt(0)
	v_mov_b32_e32 v28, v22
	v_mov_b32_e32 v29, v23
	v_mov_b32_e32 v22, v20
	v_mov_b32_e32 v23, v21
	s_mov_b32 s16, 0
	v_or_b32_e32 v36, 32, v42
	v_and_b32_e32 v34, 56, v67
	s_and_b64 vcc, exec, s[6:7]
	global_store_dwordx4 v[30:31], v[26:29], off
	global_store_dwordx4 v[18:19], v[22:25], off
	s_cbranch_vccz .LBB362_15
; %bb.10:
	s_mov_b32 s18, s16
	s_mov_b32 s19, s16
	;; [unrolled: 1-line block ×3, first 2 shown]
	v_mov_b64_e32 v[24:25], s[18:19]
	v_mov_b64_e32 v[22:23], s[16:17]
	v_mov_b64_e32 v[18:19], v[22:23]
	v_cmp_gt_i32_e32 vcc, s27, v42
	v_mov_b64_e32 v[20:21], v[24:25]
	s_and_saveexec_b64 s[2:3], vcc
	s_cbranch_execz .LBB362_12
; %bb.11:
	v_lshlrev_b32_e32 v18, 8, v42
	v_mov_b32_e32 v19, 0
	v_lshl_add_u64 v[20:21], s[0:1], 0, v[18:19]
	v_lshlrev_b32_e32 v18, 1, v34
	v_lshl_add_u64 v[26:27], v[20:21], 0, v[18:19]
	global_load_dwordx4 v[22:25], v[26:27], off
	global_load_dwordx4 v[18:21], v[26:27], off offset:128
.LBB362_12:
	s_or_b64 exec, exec, s[2:3]
	s_mov_b32 s18, s16
	s_mov_b32 s19, s16
	;; [unrolled: 1-line block ×3, first 2 shown]
	v_mov_b64_e32 v[32:33], s[18:19]
	v_mov_b64_e32 v[30:31], s[16:17]
	;; [unrolled: 1-line block ×3, first 2 shown]
	v_cmp_gt_i32_e32 vcc, s27, v36
	v_lshlrev_b32_e32 v37, 7, v36
	v_mov_b64_e32 v[28:29], v[32:33]
	s_and_saveexec_b64 s[2:3], vcc
	s_cbranch_execz .LBB362_14
; %bb.13:
	v_lshlrev_b32_e32 v26, 1, v37
	v_mov_b32_e32 v27, 0
	v_lshl_add_u64 v[28:29], s[0:1], 0, v[26:27]
	v_lshlrev_b32_e32 v26, 1, v34
	v_lshl_add_u64 v[40:41], v[28:29], 0, v[26:27]
	global_load_dwordx4 v[30:33], v[40:41], off
	global_load_dwordx4 v[26:29], v[40:41], off offset:128
.LBB362_14:
	s_or_b64 exec, exec, s[2:3]
	v_lshrrev_b32_e32 v39, 3, v34
	v_lshlrev_b32_e32 v40, 3, v42
	v_or_b32_e32 v39, v40, v39
	v_lshlrev_b32_e32 v39, 4, v39
	v_and_b32_e32 v40, 0x78, v40
	v_xor_b32_e32 v39, v39, v40
	s_branch .LBB362_17
.LBB362_15:
                                        ; implicit-def: $vgpr39
                                        ; implicit-def: $vgpr37
                                        ; implicit-def: $vgpr22_vgpr23_vgpr24_vgpr25
                                        ; implicit-def: $vgpr18_vgpr19_vgpr20_vgpr21
                                        ; implicit-def: $vgpr30_vgpr31_vgpr32_vgpr33
                                        ; implicit-def: $vgpr26_vgpr27_vgpr28_vgpr29
	s_cbranch_execz .LBB362_17
; %bb.16:
	s_waitcnt vmcnt(0)
	v_lshlrev_b32_e32 v18, 1, v34
	v_lshl_or_b32 v37, v42, 8, v18
	s_and_b32 s1, s1, 0xffff
	s_mov_b32 s3, 0x20000
	s_movk_i32 s2, 0x4000
	v_lshl_or_b32 v39, v36, 8, v18
	s_movk_i32 s13, 0x80
	buffer_load_dwordx4 v[22:25], v37, s[0:3], 0 offen
	buffer_load_dwordx4 v[18:21], v37, s[0:3], s13 offen
	;; [unrolled: 1-line block ×4, first 2 shown]
	v_lshrrev_b32_e32 v37, 3, v34
	v_lshlrev_b32_e32 v39, 3, v42
	v_or_b32_e32 v37, v39, v37
	v_lshlrev_b32_e32 v37, 4, v37
	v_and_b32_e32 v39, 0x78, v39
	v_xor_b32_e32 v39, v37, v39
	v_lshlrev_b32_e32 v37, 7, v36
.LBB362_17:
	s_lshl_b64 s[0:1], s[24:25], 8
	s_add_u32 s4, s4, s0
	s_movk_i32 s0, 0x1000
	v_and_or_b32 v36, v37, s0, v39
	s_waitcnt vmcnt(1)
	ds_write_b64 v39, v[22:23] offset:24576
	v_xor_b32_e32 v22, 8, v39
	ds_write_b64 v22, v[24:25] offset:24576
	s_waitcnt vmcnt(0)
	ds_write_b64 v39, v[18:19] offset:32768
	ds_write_b64 v22, v[20:21] offset:32768
	ds_write_b64 v36, v[30:31] offset:24576
	v_xor_b32_e32 v18, 8, v36
	ds_write_b64 v18, v[32:33] offset:24576
	ds_write_b64 v36, v[26:27] offset:32768
	;; [unrolled: 1-line block ×3, first 2 shown]
	v_or_b32_e32 v18, v64, v66
	v_lshlrev_b32_e32 v18, 3, v18
	v_lshrrev_b32_e32 v19, 5, v51
	s_movk_i32 s3, 0xf8
	v_and_or_b32 v19, v18, s3, v19
	v_lshlrev_b32_e32 v23, 4, v19
	v_lshlrev_b32_e32 v39, 11, v1
	v_and_b32_e32 v24, 0x78, v18
	v_or_b32_e32 v26, 32, v23
	v_and_b32_e32 v22, 0x1000, v39
	v_lshrrev_b32_e32 v19, 1, v51
	v_xor_b32_e32 v26, v26, v24
	v_xor_b32_e32 v18, v23, v24
	v_and_b32_e32 v25, 8, v19
	v_or_b32_e32 v26, v26, v22
	v_or_b32_e32 v18, v18, v22
	v_xor_b32_e32 v44, v26, v25
	v_or_b32_e32 v26, 64, v23
	v_xor_b32_e32 v43, v18, v25
	v_xor_b32_e32 v26, v26, v24
	s_waitcnt lgkmcnt(0)
	s_barrier
	v_or_b32_e32 v28, v26, v22
	ds_read_b64 v[26:27], v43 offset:24576
	v_lshl_or_b32 v36, v65, 7, v38
	v_lshlrev_b32_e32 v40, 1, v36
	v_add_u32_e32 v18, 0xa000, v40
	ds_read2_b64 v[18:21], v18 offset1:16
	v_or_b32_e32 v23, 0x60, v23
	v_xor_b32_e32 v23, v23, v24
	s_waitcnt lgkmcnt(0)
	v_mfma_f32_16x16x16_bf16 a[0:3], v[26:27], v[18:19], 0
	v_or_b32_e32 v18, 64, v36
	v_or_b32_e32 v22, v23, v22
	v_lshlrev_b32_e32 v41, 1, v18
	v_xor_b32_e32 v45, v28, v25
	v_xor_b32_e32 v46, v22, v25
	ds_read_b64 v[28:29], v44 offset:24576
	ds_read_b64 v[30:31], v45 offset:24576
	;; [unrolled: 1-line block ×3, first 2 shown]
	v_mfma_f32_16x16x16_bf16 a[4:7], v[26:27], v[20:21], 0
	ds_read2st64_b64 v[18:21], v41 offset0:82 offset1:84
	ds_read2st64_b64 v[22:25], v40 offset0:82 offset1:84
	s_addc_u32 s5, s5, s1
	s_add_i32 s1, s46, s33
	s_add_i32 s0, s12, -1
	s_add_i32 s37, s1, s50
	s_add_i32 s1, s48, s47
	;; [unrolled: 1-line block ×3, first 2 shown]
	s_ashr_i32 s1, s0, 31
	s_mul_i32 s2, s0, s35
	s_mul_hi_u32 s3, s0, s34
	s_add_i32 s2, s3, s2
	s_mul_i32 s1, s1, s34
	s_waitcnt lgkmcnt(1)
	v_mfma_f32_16x16x16_bf16 a[4:7], v[28:29], v[18:19], a[4:7]
	s_add_i32 s1, s2, s1
	s_lshl_b64 s[2:3], s[36:37], 2
	s_add_u32 s10, s10, s2
	s_waitcnt lgkmcnt(0)
	v_mfma_f32_16x16x16_bf16 a[0:3], v[28:29], v[22:23], a[0:3]
	s_addc_u32 s11, s11, s3
	s_lshl_b64 s[2:3], s[38:39], 2
	s_mul_i32 s0, s0, s34
	s_add_u32 s10, s10, s2
	ds_read_b64 v[18:19], v40 offset:44032
	v_mfma_f32_16x16x16_bf16 a[4:7], v[30:31], v[20:21], a[4:7]
	ds_read_b64 v[20:21], v41 offset:44032
	s_addc_u32 s11, s11, s3
	s_lshl_b64 s[0:1], s[0:1], 2
	v_mfma_f32_16x16x16_bf16 a[0:3], v[30:31], v[24:25], a[0:3]
	s_add_u32 s0, s10, s0
	s_addc_u32 s1, s11, s1
	s_load_dword s12, s[0:1], 0x0
	s_waitcnt lgkmcnt(0)
	v_mfma_f32_16x16x16_bf16 a[0:3], v[32:33], v[18:19], a[0:3]
	s_and_b64 vcc, exec, s[22:23]
	v_mfma_f32_16x16x16_bf16 a[4:7], v[32:33], v[20:21], a[4:7]
	s_cbranch_vccz .LBB362_28
; %bb.18:
	v_lshlrev_b32_e32 v36, 1, v42
	s_and_b64 vcc, exec, s[6:7]
	s_cbranch_vccz .LBB362_43
; %bb.19:
	v_cmp_gt_i32_e32 vcc, s27, v36
	v_mov_b32_e32 v22, 0
	v_mov_b32_e32 v18, 0
	;; [unrolled: 1-line block ×5, first 2 shown]
	s_and_saveexec_b64 s[0:1], vcc
	s_cbranch_execz .LBB362_21
; %bb.20:
	v_mad_i64_i32 v[18:19], s[2:3], s15, v36, 0
	v_lshl_add_u64 v[18:19], v[18:19], 1, s[4:5]
	v_lshlrev_b32_e32 v20, 1, v34
	v_mov_b32_e32 v21, 0
	v_lshl_add_u64 v[18:19], v[18:19], 0, v[20:21]
	global_load_dwordx4 v[18:21], v[18:19], off
.LBB362_21:
	s_or_b64 exec, exec, s[0:1]
	v_or_b32_e32 v37, 1, v36
	v_cmp_gt_i32_e64 s[0:1], s27, v37
	v_mov_b32_e32 v23, 0
	v_mov_b32_e32 v24, 0
	;; [unrolled: 1-line block ×3, first 2 shown]
	s_and_saveexec_b64 s[2:3], s[0:1]
	s_cbranch_execz .LBB362_23
; %bb.22:
	v_mad_i64_i32 v[22:23], s[16:17], s15, v37, 0
	v_lshl_add_u64 v[22:23], v[22:23], 1, s[4:5]
	v_lshlrev_b32_e32 v24, 1, v34
	v_mov_b32_e32 v25, 0
	v_lshl_add_u64 v[22:23], v[22:23], 0, v[24:25]
	global_load_dwordx4 v[22:25], v[22:23], off
.LBB362_23:
	s_or_b64 exec, exec, s[2:3]
	v_mov_b32_e32 v33, 0
	v_mov_b32_e32 v26, 0
	;; [unrolled: 1-line block ×5, first 2 shown]
	s_and_saveexec_b64 s[2:3], vcc
	s_cbranch_execz .LBB362_25
; %bb.24:
	v_mad_i64_i32 v[26:27], s[16:17], s15, v36, 0
	v_lshl_add_u64 v[26:27], v[26:27], 1, s[4:5]
	v_lshlrev_b32_e32 v28, 1, v34
	v_mov_b32_e32 v29, 0
	v_lshl_add_u64 v[26:27], v[26:27], 0, v[28:29]
	global_load_dwordx4 v[26:29], v[26:27], off offset:128
.LBB362_25:
	s_or_b64 exec, exec, s[2:3]
	v_mov_b32_e32 v32, 0
	v_mov_b32_e32 v31, 0
	;; [unrolled: 1-line block ×3, first 2 shown]
	s_and_saveexec_b64 s[2:3], s[0:1]
	s_cbranch_execz .LBB362_27
; %bb.26:
	v_mad_i64_i32 v[30:31], s[0:1], s15, v37, 0
	v_lshl_add_u64 v[30:31], v[30:31], 1, s[4:5]
	v_lshlrev_b32_e32 v32, 1, v34
	v_mov_b32_e32 v33, 0
	v_lshl_add_u64 v[30:31], v[30:31], 0, v[32:33]
	global_load_dwordx4 v[30:33], v[30:31], off offset:128
.LBB362_27:
	s_or_b64 exec, exec, s[2:3]
	s_branch .LBB362_45
.LBB362_28:
                                        ; implicit-def: $vgpr21
                                        ; implicit-def: $vgpr25
                                        ; implicit-def: $vgpr29
                                        ; implicit-def: $vgpr33
	v_lshrrev_b32_e32 v47, 2, v51
	s_branch .LBB362_46
.LBB362_29:
                                        ; implicit-def: $vgpr4
                                        ; implicit-def: $vgpr5
                                        ; implicit-def: $sgpr22
	v_lshl_or_b32 v2, v71, 9, v2
.LBB362_30:
	v_or_b32_e32 v4, 0x100, v2
	s_movk_i32 s22, 0x4000
	v_mov_b32_e32 v5, v2
.LBB362_31:
	s_mul_hi_u32 s20, s14, s12
	s_mul_i32 s21, s56, s12
	s_add_i32 s20, s20, s21
	s_mul_i32 s21, s14, s12
	s_mul_i32 s23, s21, s3
	s_mul_hi_u32 s24, s21, s53
	s_add_i32 s23, s24, s23
	s_mul_i32 s20, s20, s53
	s_add_i32 s23, s23, s20
	s_mul_i32 s21, s21, s53
	s_ashr_i32 s61, s57, 31
	s_add_u32 s20, s21, s57
	s_addc_u32 s21, s23, s61
	s_lshl_b64 s[20:21], s[20:21], 8
	s_add_u32 s20, s4, s20
	s_addc_u32 s21, s5, s21
	s_and_b32 s21, s21, 0xffff
	s_mov_b32 s23, 0x20000
	s_movk_i32 s62, 0x80
	buffer_load_dwordx4 v[6:9], v5, s[20:23], 0 offen
	buffer_load_dwordx4 v[10:13], v5, s[20:23], s62 offen
	;; [unrolled: 1-line block ×4, first 2 shown]
	v_and_b32_e32 v4, 6, v0
	v_lshlrev_b32_e32 v39, 6, v69
	v_or_b32_e32 v41, 16, v66
	v_xor_b32_e32 v42, v71, v4
	v_and_b32_e32 v5, 1, v0
	v_lshl_or_b32 v45, v66, 3, v39
	v_lshl_or_b32 v39, v41, 3, v39
	v_lshlrev_b32_e32 v42, 2, v42
	s_mul_i32 s3, s3, s12
	s_mul_hi_u32 s20, s53, s12
	v_lshlrev_b32_e32 v38, 2, v66
	v_or_b32_e32 v79, 0xa000, v39
	v_or_b32_e32 v80, 0xb000, v39
	v_xor_b32_e32 v39, 0x440, v42
	v_cmp_eq_u32_e32 vcc, 0, v5
	v_xor_b32_e32 v43, v69, v38
	v_xor_b32_e32 v44, v70, v38
	v_cndmask_b32_e32 v5, v39, v42, vcc
	s_add_i32 s67, s20, s3
	s_add_i32 s3, s46, s33
	s_mov_b32 s64, 0x1000504
	v_lshlrev_b32_e32 v40, 8, v66
	v_lshlrev_b32_e32 v43, 1, v43
	v_lshlrev_b32_e32 v44, 1, v44
	v_lshl_or_b32 v4, v4, 10, v5
	s_add_i32 s37, s3, s50
	s_add_i32 s3, s48, s47
	s_mov_b32 s65, 0x3020706
	v_or_b32_e32 v77, 0xa000, v45
	v_or_b32_e32 v78, 0xb000, v45
	;; [unrolled: 1-line block ×4, first 2 shown]
	v_xor_b32_e32 v5, 8, v4
	v_xor_b32_e32 v40, 24, v4
	;; [unrolled: 1-line block ×4, first 2 shown]
	s_add_i32 s39, s3, s49
	s_lshl_b64 s[20:21], s[36:37], 2
	v_xor_b32_e32 v39, 16, v4
	v_xor_b32_e32 v42, 32, v4
	;; [unrolled: 1-line block ×3, first 2 shown]
	v_add_u32_e32 v5, 0x80, v5
	v_add_u32_e32 v40, 0x80, v40
	;; [unrolled: 1-line block ×4, first 2 shown]
	s_add_u32 s3, s10, s20
	s_addc_u32 s22, s11, s21
	s_lshl_b64 s[20:21], s[38:39], 2
	s_add_u32 s42, s3, s20
	s_movk_i32 s3, 0xf8
	s_addc_u32 s43, s22, s21
	s_lshl_b32 s26, s15, 7
	s_movk_i32 s24, 0x100
	v_mov_b32_e32 v59, 0
	v_lshlrev_b32_e32 v58, 4, v66
	v_cmp_gt_u32_e32 vcc, s24, v0
	v_ashrrev_i32_e32 v57, 31, v56
	s_mov_b32 s63, 0
	s_mul_i32 s66, s53, s12
	s_movk_i32 s37, 0x1000
	s_movk_i32 s22, 0x4000
	v_lshl_add_u64 v[60:61], v[56:57], 1, s[8:9]
	v_mov_b32_e32 v105, 0x3fb8aa3b
	s_mov_b32 s68, 0
	s_waitcnt vmcnt(1)
	v_perm_b32 v48, v6, v14, s64
	s_waitcnt vmcnt(0)
	v_perm_b32 v49, v10, v34, s64
	v_perm_b32 v6, v6, v14, s65
	;; [unrolled: 1-line block ×15, first 2 shown]
	ds_write2st64_b32 v4, v48, v49 offset0:32 offset1:64
	ds_write2st64_b32 v5, v6, v10 offset0:32 offset1:64
	;; [unrolled: 1-line block ×8, first 2 shown]
	v_lshlrev_b32_e32 v4, 8, v41
	v_or_b32_e32 v83, v4, v43
	v_or_b32_e32 v84, v4, v44
	;; [unrolled: 1-line block ×3, first 2 shown]
	v_lshlrev_b32_e32 v4, 3, v4
	v_lshrrev_b32_e32 v7, 5, v51
	v_and_or_b32 v7, v4, s3, v7
	v_lshlrev_b32_e32 v7, 4, v7
	v_lshlrev_b32_e32 v5, 11, v1
	v_and_b32_e32 v4, 0x78, v4
	v_or_b32_e32 v12, 32, v7
	v_and_b32_e32 v6, 0x1000, v5
	v_lshrrev_b32_e32 v9, 1, v0
	v_xor_b32_e32 v12, v12, v4
	v_and_b32_e32 v10, 8, v9
	v_or_b32_e32 v12, v12, v6
	v_xor_b32_e32 v8, v7, v4
	v_xor_b32_e32 v87, v12, v10
	v_or_b32_e32 v12, 64, v7
	v_or_b32_e32 v7, 0x60, v7
	s_ashr_i32 s3, s2, 31
	v_xor_b32_e32 v12, v12, v4
	v_xor_b32_e32 v4, v7, v4
	s_lshl_b64 s[20:21], s[2:3], 8
	v_or_b32_e32 v8, v8, v6
	v_or_b32_e32 v12, v12, v6
	;; [unrolled: 1-line block ×3, first 2 shown]
	s_add_u32 s20, s18, s20
	v_lshlrev_b32_e32 v6, 1, v66
	v_xor_b32_e32 v89, v12, v10
	v_lshrrev_b32_e32 v12, 4, v0
	s_addc_u32 s21, s19, s21
	v_or_b32_e32 v7, 1, v6
	v_mov_b32_e32 v16, 0x4000
	v_mov_b32_e32 v17, 0x2000
	v_xor_b32_e32 v13, v12, v6
	v_xor_b32_e32 v14, v7, v12
	v_lshl_add_u64 v[6:7], s[20:21], 0, v[58:59]
	v_lshlrev_b32_e32 v58, 8, v12
	v_cndmask_b32_e32 v16, v16, v17, vcc
	v_lshlrev_b32_e32 v17, 3, v1
	v_and_b32_e32 v9, 24, v9
	v_lshl_or_b32 v93, v13, 3, v58
	v_and_b32_e32 v13, 8, v0
	v_xor_b32_e32 v34, v17, v9
	v_or_b32_e32 v35, 0x440, v34
	v_cmp_eq_u32_e32 vcc, 0, v13
	v_and_b32_e32 v12, 7, v0
	v_xor_b32_e32 v85, v8, v10
	v_cndmask_b32_e32 v13, v35, v34, vcc
	v_lshlrev_b32_e32 v8, 7, v65
	v_lshl_or_b32 v94, v14, 3, v58
	v_lshlrev_b32_e32 v14, 3, v12
	v_lshlrev_b32_e32 v12, 7, v12
	;; [unrolled: 1-line block ×3, first 2 shown]
	v_or_b32_e32 v13, v13, v5
	v_or_b32_e32 v11, v8, v38
	v_xad_u32 v95, v13, v14, v12
	v_and_or_b32 v8, v15, 60, v8
	v_mov_b32_e32 v13, 0xb000
	v_lshl_or_b32 v96, v8, 1, v13
	v_or_b32_e32 v8, 32, v9
	v_xor_b32_e32 v8, v17, v8
	v_or_b32_e32 v13, 0x440, v8
	v_cndmask_b32_e32 v8, v13, v8, vcc
	v_or_b32_e32 v8, v8, v5
	v_xad_u32 v97, v8, v14, v12
	v_or_b32_e32 v8, 64, v9
	v_xor_b32_e32 v8, v17, v8
	v_xor_b32_e32 v13, 0x440, v8
	v_cndmask_b32_e32 v8, v13, v8, vcc
	v_or_b32_e32 v8, v8, v5
	v_xad_u32 v98, v8, v14, v12
	v_or_b32_e32 v8, 0x60, v9
	v_xor_b32_e32 v8, v17, v8
	v_xor_b32_e32 v9, 0x440, v8
	v_cndmask_b32_e32 v8, v9, v8, vcc
	v_lshlrev_b32_e32 v11, 1, v11
	v_or_b32_e32 v5, v8, v5
	v_or_b32_e32 v86, 0xa000, v11
	;; [unrolled: 1-line block ×3, first 2 shown]
	v_xor_b32_e32 v90, v4, v10
	v_or_b32_e32 v91, 0xb000, v11
	v_or_b32_e32 v92, 0xb080, v11
	v_lshlrev_b32_e32 v4, 7, v69
	v_lshlrev_b32_e32 v10, 1, v3
	v_add_lshl_u32 v3, v3, s15, 1
	v_or_b32_e32 v11, 0x100, v2
	v_xad_u32 v99, v5, v14, v12
	v_cndmask_b32_e64 v100, v10, v2, s[0:1]
	v_cndmask_b32_e64 v101, v3, v11, s[0:1]
	v_lshl_add_u64 v[62:63], v[6:7], 0, v[58:59]
	s_mov_b32 s3, 0x7060302
	v_lshlrev_b32_e32 v58, 1, v4
	v_add_u32_e32 v57, v16, v95
	v_add_u32_e32 v102, v16, v97
	v_add_u32_e32 v103, v16, v98
	v_add_u32_e32 v104, v16, v99
	s_waitcnt lgkmcnt(0)
	s_barrier
	s_branch .LBB362_33
.LBB362_32:                             ;   in Loop: Header=BB362_33 Depth=1
	v_mul_f32_e32 v6, s20, v105
	s_waitcnt vmcnt(2)
	v_exp_f32_e32 v34, v6
	s_nop 1
	v_accvgpr_read_b32 v17, a15
	v_accvgpr_read_b32 v2, a4
	;; [unrolled: 1-line block ×16, first 2 shown]
	v_fma_f32 v16, v32, v34, v16
	v_fmac_f32_e32 v17, v33, v34
	v_fma_f32 v2, v18, v34, v2
	v_fma_f32 v3, v19, v34, v3
	v_fma_f32 v4, v20, v34, v4
	v_fmac_f32_e32 v5, v21, v34
	v_fma_f32 v10, v26, v34, v10
	v_fma_f32 v11, v27, v34, v11
	v_fma_f32 v12, v28, v34, v12
	v_fmac_f32_e32 v13, v29, v34
	v_fma_f32 v6, v22, v34, v6
	v_fma_f32 v7, v23, v34, v7
	v_fma_f32 v8, v24, v34, v8
	v_fmac_f32_e32 v9, v25, v34
	v_fma_f32 v14, v30, v34, v14
	v_fma_f32 v15, v31, v34, v15
	s_add_i32 s63, s63, 64
	v_mov_b64_e32 v[32:33], v[16:17]
	s_cmp_eq_u32 s54, s39
	s_mov_b32 s68, s39
	v_mov_b64_e32 v[30:31], v[14:15]
	v_mov_b64_e32 v[28:29], v[12:13]
	;; [unrolled: 1-line block ×7, first 2 shown]
	s_cbranch_scc1 .LBB362_4
.LBB362_33:                             ; =>This Inner Loop Header: Depth=1
	s_add_i32 s39, s68, 1
	s_cmp_lt_i32 s39, s54
	s_mov_b64 s[24:25], 0
	s_cselect_b64 s[44:45], -1, 0
	s_cmp_ge_i32 s39, s54
	s_mov_b64 s[20:21], 0
	s_cbranch_scc1 .LBB362_35
; %bb.34:                               ;   in Loop: Header=BB362_33 Depth=1
	s_add_i32 s0, s63, 64
	s_add_u32 s0, s16, s0
	s_addc_u32 s1, s17, 0
	s_lshl_b64 s[0:1], s[0:1], 8
	s_add_u32 s20, s6, s0
	s_addc_u32 s21, s7, s1
.LBB362_35:                             ;   in Loop: Header=BB362_33 Depth=1
	v_cndmask_b32_e64 v2, 0, 1, s[44:45]
	v_cmp_ne_u32_e64 s[0:1], 1, v2
	s_andn2_b64 vcc, exec, s[44:45]
	s_cbranch_vccnz .LBB362_37
; %bb.36:                               ;   in Loop: Header=BB362_33 Depth=1
	s_add_i32 s24, s63, 64
	s_add_u32 s24, s66, s24
	s_addc_u32 s25, s67, 0
	s_mul_i32 s27, s24, s56
	s_mul_hi_u32 s44, s24, s60
	s_add_i32 s27, s44, s27
	s_mul_i32 s25, s25, s60
	s_add_i32 s27, s27, s25
	s_mul_i32 s24, s24, s60
	s_add_u32 s24, s24, s57
	s_addc_u32 s25, s27, s61
	s_lshl_b64 s[24:25], s[24:25], 8
	s_add_u32 s24, s4, s24
	s_addc_u32 s25, s5, s25
.LBB362_37:                             ;   in Loop: Header=BB362_33 Depth=1
	v_perm_b32 v3, v21, v20, s3
	v_perm_b32 v2, v19, v18, s3
	;; [unrolled: 1-line block ×4, first 2 shown]
	ds_write_b64 v77, v[2:3]
	ds_write_b64 v78, v[4:5]
	;; [unrolled: 1-line block ×4, first 2 shown]
	v_perm_b32 v3, v29, v28, s3
	v_perm_b32 v2, v27, v26, s3
	;; [unrolled: 1-line block ×4, first 2 shown]
	ds_write_b64 v79, v[2:3]
	ds_write_b64 v80, v[4:5]
	;; [unrolled: 1-line block ×4, first 2 shown]
	s_waitcnt lgkmcnt(0)
	s_barrier
	ds_read_b64 v[6:7], v85 offset:24576
	ds_read2_b64 v[2:5], v86 offset1:16
	ds_read_b64 v[10:11], v88 offset:3072
	ds_read_b64 v[12:13], v86 offset:3072
	;; [unrolled: 1-line block ×3, first 2 shown]
	s_waitcnt lgkmcnt(3)
	v_mfma_f32_16x16x16_bf16 a[0:3], v[6:7], v[2:3], 0
	s_add_i32 s27, s63, 63
	s_mul_i32 s44, s27, s35
	s_mul_hi_u32 s45, s27, s34
	v_mfma_f32_16x16x16_bf16 a[4:7], v[6:7], v[4:5], 0
	ds_read2st64_b64 v[2:5], v86 offset0:2 offset1:4
	ds_read2st64_b64 v[6:9], v88 offset0:2 offset1:4
	s_add_i32 s45, s45, s44
	s_waitcnt lgkmcnt(1)
	v_mfma_f32_16x16x16_bf16 a[0:3], v[14:15], v[2:3], a[0:3]
	s_mul_i32 s44, s27, s34
	s_lshl_b64 s[44:45], s[44:45], 2
	s_add_u32 s44, s42, s44
	s_waitcnt lgkmcnt(0)
	v_mfma_f32_16x16x16_bf16 a[4:7], v[14:15], v[6:7], a[4:7]
	ds_read_b64 v[2:3], v89 offset:24576
	ds_read_b64 v[6:7], v90 offset:24576
	s_addc_u32 s45, s43, s45
	s_and_b64 vcc, exec, s[0:1]
	s_waitcnt lgkmcnt(1)
	v_mfma_f32_16x16x16_bf16 a[0:3], v[2:3], v[4:5], a[0:3]
	v_mov_b32_e32 v108, 0
	v_mov_b32_e32 v107, 0
	;; [unrolled: 1-line block ×3, first 2 shown]
	v_mfma_f32_16x16x16_bf16 a[4:7], v[2:3], v[8:9], a[4:7]
	v_mov_b32_e32 v2, 0
	v_mov_b32_e32 v3, 0
	;; [unrolled: 1-line block ×3, first 2 shown]
	s_waitcnt lgkmcnt(0)
	v_mfma_f32_16x16x16_bf16 a[0:3], v[6:7], v[12:13], a[0:3]
	v_mov_b32_e32 v5, 0
	v_mov_b32_e32 v8, 0
	;; [unrolled: 1-line block ×3, first 2 shown]
	v_mfma_f32_16x16x16_bf16 a[4:7], v[6:7], v[10:11], a[4:7]
	v_mov_b32_e32 v6, 0
	v_mov_b32_e32 v7, 0
	;; [unrolled: 1-line block ×10, first 2 shown]
	s_cbranch_vccnz .LBB362_39
; %bb.38:                               ;   in Loop: Header=BB362_33 Depth=1
	s_and_b32 s21, s21, 0xffff
	buffer_load_dwordx4 v[14:17], v73, s[20:23], 0 offen
	buffer_load_dwordx4 v[10:13], v73, s[20:23], s62 offen
	;; [unrolled: 1-line block ×4, first 2 shown]
	v_mov_b32_e32 v107, v75
	v_mov_b32_e32 v106, v76
.LBB362_39:                             ;   in Loop: Header=BB362_33 Depth=1
	ds_read_b64 v[38:39], v85 offset:32768
	ds_read2_b64 v[34:37], v91 offset1:16
	ds_read_b64 v[42:43], v87 offset:32768
	ds_read_b64 v[44:45], v89 offset:32768
	;; [unrolled: 1-line block ×3, first 2 shown]
	v_add_u32_e32 v48, s63, v69
	s_waitcnt lgkmcnt(3)
	v_mfma_f32_16x16x16_bf16 a[0:3], v[38:39], v[34:35], a[0:3]
	v_mul_lo_u32 v49, v48, s35
	v_mfma_f32_16x16x16_bf16 a[4:7], v[38:39], v[36:37], a[4:7]
	ds_read2st64_b64 v[34:37], v91 offset0:2 offset1:4
	ds_read2st64_b64 v[38:41], v92 offset0:2 offset1:4
	s_waitcnt lgkmcnt(1)
	v_mfma_f32_16x16x16_bf16 a[0:3], v[42:43], v[34:35], a[0:3]
	v_ashrrev_i32_e32 v34, 31, v48
	v_mul_lo_u32 v109, v34, s34
	v_mad_u64_u32 v[34:35], s[20:21], v48, s34, 0
	v_mfma_f32_16x16x16_bf16 a[0:3], v[44:45], v[36:37], a[0:3]
	v_add_u32_e32 v36, 1, v48
	v_ashrrev_i32_e32 v37, 31, v36
	v_add3_u32 v35, v35, v49, v109
	s_waitcnt lgkmcnt(0)
	v_mfma_f32_16x16x16_bf16 a[4:7], v[42:43], v[38:39], a[4:7]
	v_mul_lo_u32 v38, v37, s34
	v_mul_lo_u32 v39, v36, s35
	v_mad_u64_u32 v[36:37], s[20:21], v36, s34, 0
	v_add3_u32 v37, v37, v39, v38
	v_add_u32_e32 v38, 2, v48
	v_ashrrev_i32_e32 v39, 31, v38
	v_mul_lo_u32 v42, v39, s34
	v_mul_lo_u32 v43, v38, s35
	v_mad_u64_u32 v[38:39], s[20:21], v38, s34, 0
	v_add3_u32 v39, v39, v43, v42
	v_add_u32_e32 v42, 3, v48
	v_ashrrev_i32_e32 v43, 31, v42
	v_mul_lo_u32 v48, v43, s34
	v_mul_lo_u32 v49, v42, s35
	v_mad_u64_u32 v[42:43], s[20:21], v42, s34, 0
	s_add_u32 s20, s16, s63
	s_addc_u32 s21, s17, 0
	s_lshl_b64 s[20:21], s[20:21], 8
	v_lshl_add_u64 v[34:35], v[34:35], 2, s[42:43]
	v_lshl_add_u64 v[36:37], v[36:37], 2, s[42:43]
	v_add3_u32 v43, v43, v49, v48
	v_lshl_add_u64 v[48:49], v[60:61], 0, s[20:21]
	v_lshl_add_u64 v[38:39], v[38:39], 2, s[42:43]
	;; [unrolled: 1-line block ×3, first 2 shown]
	global_load_dword v109, v[34:35], off
	global_load_ushort v110, v[48:49], off offset:256
	global_load_ushort v111, v[48:49], off
	global_load_ushort v112, v[48:49], off offset:768
	global_load_ushort v113, v[48:49], off offset:512
	v_lshl_add_u64 v[34:35], v[42:43], 2, s[42:43]
	global_load_dword v114, v[36:37], off
	global_load_dword v115, v[38:39], off
	;; [unrolled: 1-line block ×3, first 2 shown]
	ds_read_b64 v[34:35], v91 offset:3072
	ds_read_b64 v[36:37], v92 offset:3072
	global_load_ushort v117, v[48:49], off offset:800
	global_load_ushort v118, v[48:49], off offset:544
	;; [unrolled: 1-line block ×3, first 2 shown]
	s_nop 0
	global_load_ushort v48, v[48:49], off offset:32
	s_load_dword s20, s[44:45], 0x0
	v_mfma_f32_16x16x16_bf16 a[4:7], v[44:45], v[40:41], a[4:7]
	s_and_b64 vcc, exec, s[0:1]
	v_mov_b32_e32 v49, 0
	s_waitcnt vmcnt(11) lgkmcnt(0)
	v_sub_f32_e32 v44, s20, v109
	v_mfma_f32_16x16x16_bf16 a[0:3], v[46:47], v[34:35], a[0:3]
	v_mul_f32_e32 v44, 0x3fb8aa3b, v44
	v_exp_f32_e32 v44, v44
	s_waitcnt vmcnt(6)
	v_sub_f32_e32 v45, s20, v114
	v_mfma_f32_16x16x16_bf16 a[4:7], v[46:47], v[36:37], a[4:7]
	s_waitcnt vmcnt(5)
	v_sub_f32_e32 v46, s20, v115
	s_waitcnt vmcnt(4)
	v_sub_f32_e32 v47, s20, v116
	v_mul_f32_e32 v45, 0x3fb8aa3b, v45
	v_mul_f32_e32 v46, 0x3fb8aa3b, v46
	;; [unrolled: 1-line block ×3, first 2 shown]
	v_exp_f32_e32 v45, v45
	v_exp_f32_e32 v46, v46
	;; [unrolled: 1-line block ×3, first 2 shown]
	v_accvgpr_read_b32 v39, a1
	v_accvgpr_read_b32 v35, a3
	;; [unrolled: 1-line block ×4, first 2 shown]
	v_lshlrev_b32_e32 v41, 16, v110
	v_lshlrev_b32_e32 v40, 16, v111
	v_lshlrev_b32_e32 v43, 16, v112
	v_lshlrev_b32_e32 v42, 16, v113
	v_pk_add_f32 v[38:39], v[40:41], v[38:39] neg_lo:[0,1] neg_hi:[0,1]
	v_pk_add_f32 v[34:35], v[42:43], v[34:35] neg_lo:[0,1] neg_hi:[0,1]
	v_pk_mul_f32 v[38:39], v[44:45], v[38:39]
	v_pk_mul_f32 v[34:35], v[46:47], v[34:35]
	v_accvgpr_read_b32 v41, a5
	v_perm_b32 v35, v35, v34, s3
	v_perm_b32 v34, v39, v38, s3
	s_waitcnt vmcnt(1)
	v_lshlrev_b32_e32 v39, 16, v119
	s_waitcnt vmcnt(0)
	v_lshlrev_b32_e32 v38, 16, v48
	v_accvgpr_read_b32 v40, a4
	v_accvgpr_read_b32 v37, a7
	;; [unrolled: 1-line block ×3, first 2 shown]
	v_pk_add_f32 v[38:39], v[38:39], v[40:41] neg_lo:[0,1] neg_hi:[0,1]
	v_lshlrev_b32_e32 v41, 16, v117
	v_lshlrev_b32_e32 v40, 16, v118
	v_pk_add_f32 v[36:37], v[40:41], v[36:37] neg_lo:[0,1] neg_hi:[0,1]
	v_pk_mul_f32 v[38:39], v[44:45], v[38:39]
	v_pk_mul_f32 v[36:37], v[46:47], v[36:37]
	v_mov_b32_e32 v109, 0
	v_perm_b32 v37, v37, v36, s3
	v_perm_b32 v36, v39, v38, s3
	ds_write2_b64 v78, v[34:35], v[36:37] offset1:16
	v_mov_b32_e32 v34, 0
	v_mov_b32_e32 v35, 0
	;; [unrolled: 1-line block ×15, first 2 shown]
	s_cbranch_vccnz .LBB362_41
; %bb.40:                               ;   in Loop: Header=BB362_33 Depth=1
	s_and_b32 s25, s25, 0xffff
	s_mov_b32 s27, s23
	buffer_load_dwordx4 v[46:49], v100, s[24:27], 0 offen
	buffer_load_dwordx4 v[38:41], v100, s[24:27], s62 offen
	;; [unrolled: 1-line block ×4, first 2 shown]
	v_mov_b32_e32 v108, v72
	v_mov_b32_e32 v109, v71
.LBB362_41:                             ;   in Loop: Header=BB362_33 Depth=1
	s_waitcnt lgkmcnt(0)
	s_barrier
	ds_read_b64 v[114:115], v57
	ds_read_b64 v[122:123], v96
	ds_read_b64 v[118:119], v102
	ds_read_b64 v[124:125], v103
	ds_read_b64 v[126:127], v104
	ds_read_b64 v[128:129], v97 offset:16384
	ds_read_b64 v[130:131], v95 offset:16384
	ds_read2_b64 v[110:113], v91 offset0:16 offset1:128
	s_waitcnt lgkmcnt(6)
	v_mfma_f32_16x16x16_bf16 a[0:3], v[114:115], v[122:123], 0
	ds_read_b64 v[132:133], v92 offset:3072
	ds_read_b64 v[134:135], v99 offset:16384
	s_add_i32 s21, s58, s68
	s_waitcnt lgkmcnt(2)
	v_mfma_f32_16x16x16_bf16 a[4:7], v[114:115], v[110:111], 0
	ds_read2st64_b64 v[114:117], v92 offset0:2 offset1:4
	s_mul_hi_i32 s25, s21, s13
	s_mul_i32 s21, s21, s13
	v_mfma_f32_16x16x16_bf16 a[0:3], v[118:119], v[112:113], a[0:3]
	s_add_u32 s24, s21, s51
	s_addc_u32 s25, s25, s55
	s_lshl_b64 s[24:25], s[24:25], 15
	s_waitcnt lgkmcnt(0)
	v_mfma_f32_16x16x16_bf16 a[4:7], v[118:119], v[114:115], a[4:7]
	ds_read2st64_b64 v[118:121], v91 offset0:4 offset1:6
	s_waitcnt lgkmcnt(0)
	v_mfma_f32_16x16x16_bf16 a[0:3], v[124:125], v[118:119], a[0:3]
	v_mfma_f32_16x16x16_bf16 a[8:11], v[124:125], v[116:117], a[4:7]
	;; [unrolled: 1-line block ×5, first 2 shown]
	ds_read2st64_b64 v[122:125], v94 offset1:8
	v_mfma_f32_16x16x16_bf16 a[12:15], v[130:131], v[110:111], 0
	ds_read_b64 v[130:131], v98 offset:16384
	v_mfma_f32_16x16x16_bf16 a[8:11], v[128:129], v[112:113], a[8:11]
	ds_read2st64_b64 v[110:113], v93 offset1:8
	s_waitcnt lgkmcnt(0)
	v_mov_b32_e32 v126, v110
	v_mfma_f32_16x16x16_bf16 a[12:15], v[128:129], v[114:115], a[12:15]
	v_lshl_add_u64 v[114:115], v[62:63], 0, s[24:25]
	v_add_co_u32_e32 v110, vcc, s37, v114
	v_mfma_f32_16x16x16_bf16 a[8:11], v[130:131], v[118:119], a[8:11]
	v_mov_b32_e32 v127, v111
	v_addc_co_u32_e32 v111, vcc, 0, v115, vcc
	v_mfma_f32_16x16x16_bf16 a[12:15], v[130:131], v[116:117], a[12:15]
	v_mov_b32_e32 v128, v122
	v_mov_b32_e32 v129, v123
	;; [unrolled: 1-line block ×3, first 2 shown]
	v_mfma_f32_16x16x16_bf16 a[8:11], v[134:135], v[120:121], a[8:11]
	v_mov_b32_e32 v123, v113
	s_and_b64 vcc, exec, s[0:1]
	global_store_dwordx4 v[114:115], v[126:129], off
	v_mfma_f32_16x16x16_bf16 a[12:15], v[134:135], v[132:133], a[12:15]
	global_store_dwordx4 v[110:111], v[122:125], off
	s_cbranch_vccnz .LBB362_32
; %bb.42:                               ;   in Loop: Header=BB362_33 Depth=1
	v_lshrrev_b32_e32 v110, 3, v108
	v_and_b32_e32 v110, 6, v110
	v_xor_b32_e32 v109, v110, v109
	v_lshlrev_b32_e32 v109, 2, v109
	v_and_b32_e32 v108, 8, v108
	v_xor_b32_e32 v111, 0x440, v109
	v_cmp_eq_u32_e32 vcc, 0, v108
	s_barrier
	s_nop 0
	v_cndmask_b32_e32 v108, v111, v109, vcc
	v_lshl_or_b32 v108, v110, 10, v108
	s_waitcnt vmcnt(3)
	v_perm_b32 v109, v46, v42, s64
	s_waitcnt vmcnt(2)
	v_perm_b32 v110, v38, v34, s64
	ds_write2st64_b32 v108, v109, v110 offset0:32 offset1:64
	v_xor_b32_e32 v109, 8, v108
	v_perm_b32 v42, v46, v42, s65
	v_perm_b32 v34, v38, v34, s65
	v_add_u32_e32 v38, 0x80, v109
	ds_write2st64_b32 v38, v42, v34 offset0:32 offset1:64
	v_xor_b32_e32 v34, 16, v108
	v_perm_b32 v38, v47, v43, s64
	v_perm_b32 v42, v39, v35, s64
	ds_write2st64_b32 v34, v38, v42 offset0:33 offset1:65
	v_xor_b32_e32 v34, 24, v108
	v_perm_b32 v38, v47, v43, s65
	v_perm_b32 v35, v39, v35, s65
	v_add_u32_e32 v34, 0x80, v34
	ds_write2st64_b32 v34, v38, v35 offset0:33 offset1:65
	v_xor_b32_e32 v34, 32, v108
	v_perm_b32 v35, v48, v44, s64
	;; [unrolled: 9-line block ×3, first 2 shown]
	v_perm_b32 v36, v41, v37, s64
	ds_write2st64_b32 v34, v35, v36 offset0:35 offset1:67
	v_xor_b32_e32 v34, 56, v108
	v_perm_b32 v35, v49, v45, s65
	v_perm_b32 v36, v41, v37, s65
	v_add_u32_e32 v34, 0x80, v34
	ds_write2st64_b32 v34, v35, v36 offset0:35 offset1:67
	ds_write_b64 v107, v[14:15] offset:24576
	v_xor_b32_e32 v14, 8, v107
	ds_write_b64 v14, v[16:17] offset:24576
	ds_write_b64 v107, v[10:11] offset:32768
	;; [unrolled: 1-line block ×4, first 2 shown]
	v_xor_b32_e32 v6, 8, v106
	ds_write_b64 v6, v[8:9] offset:24576
	ds_write_b64 v106, v[2:3] offset:32768
	;; [unrolled: 1-line block ×3, first 2 shown]
	s_branch .LBB362_32
.LBB362_43:
                                        ; implicit-def: $vgpr21
                                        ; implicit-def: $vgpr25
                                        ; implicit-def: $vgpr29
                                        ; implicit-def: $vgpr33
	s_cbranch_execz .LBB362_45
; %bb.44:
	s_waitcnt vmcnt(0)
	v_mad_u64_u32 v[18:19], s[0:1], v36, s15, v[34:35]
	v_lshlrev_b32_e32 v36, 1, v18
	s_lshl_b32 s2, s15, 7
	s_and_b32 s1, s5, 0xffff
	s_mov_b32 s3, 0x20000
	s_mov_b32 s0, s4
	v_add_lshl_u32 v37, v18, s15, 1
	s_movk_i32 s13, 0x80
	buffer_load_dwordx4 v[18:21], v36, s[0:3], 0 offen
	buffer_load_dwordx4 v[26:29], v36, s[0:3], s13 offen
	;; [unrolled: 1-line block ×4, first 2 shown]
.LBB362_45:
	v_lshrrev_b32_e32 v47, 2, v51
	s_cbranch_execnz .LBB362_58
.LBB362_46:
	s_and_b64 vcc, exec, s[6:7]
	s_cbranch_vccz .LBB362_56
; %bb.47:
	s_waitcnt vmcnt(0)
	v_lshlrev_b32_e32 v23, 1, v42
	v_cmp_gt_i32_e32 vcc, s27, v23
	v_mov_b32_e32 v22, 0
	v_lshlrev_b32_e32 v30, 9, v42
	v_mov_b32_e32 v18, 0
	v_mov_b32_e32 v19, 0
	;; [unrolled: 1-line block ×4, first 2 shown]
	s_and_saveexec_b64 s[0:1], vcc
	s_cbranch_execz .LBB362_49
; %bb.48:
	v_mov_b32_e32 v31, 0
	v_lshl_add_u64 v[18:19], s[4:5], 0, v[30:31]
	v_lshlrev_b32_e32 v20, 1, v34
	v_mov_b32_e32 v21, v31
	v_lshl_add_u64 v[18:19], v[18:19], 0, v[20:21]
	global_load_dwordx4 v[18:21], v[18:19], off
.LBB362_49:
	s_or_b64 exec, exec, s[0:1]
	v_or_b32_e32 v23, 1, v23
	v_cmp_gt_i32_e64 s[0:1], s27, v23
	v_lshlrev_b32_e32 v36, 8, v23
	v_mov_b32_e32 v23, 0
	v_mov_b32_e32 v24, 0
	v_mov_b32_e32 v25, 0
	s_and_saveexec_b64 s[2:3], s[0:1]
	s_cbranch_execz .LBB362_51
; %bb.50:
	v_mov_b32_e32 v37, 0
	v_lshl_add_u64 v[22:23], s[4:5], 0, v[36:37]
	v_lshlrev_b32_e32 v24, 1, v34
	v_mov_b32_e32 v25, v37
	v_lshl_add_u64 v[22:23], v[22:23], 0, v[24:25]
	global_load_dwordx4 v[22:25], v[22:23], off
.LBB362_51:
	s_or_b64 exec, exec, s[2:3]
	v_mov_b32_e32 v33, 0
	v_mov_b32_e32 v26, 0
	;; [unrolled: 1-line block ×5, first 2 shown]
	s_and_saveexec_b64 s[2:3], vcc
	s_cbranch_execz .LBB362_53
; %bb.52:
	v_mov_b32_e32 v31, 0
	v_lshl_add_u64 v[26:27], s[4:5], 0, v[30:31]
	v_lshlrev_b32_e32 v30, 1, v34
	v_lshl_add_u64 v[26:27], v[26:27], 0, v[30:31]
	global_load_dwordx4 v[26:29], v[26:27], off offset:128
.LBB362_53:
	s_or_b64 exec, exec, s[2:3]
	v_mov_b32_e32 v32, 0
	v_mov_b32_e32 v31, 0
	;; [unrolled: 1-line block ×3, first 2 shown]
	s_and_saveexec_b64 s[2:3], s[0:1]
	s_cbranch_execz .LBB362_55
; %bb.54:
	v_mov_b32_e32 v37, 0
	v_lshl_add_u64 v[30:31], s[4:5], 0, v[36:37]
	v_lshlrev_b32_e32 v36, 1, v34
	v_lshl_add_u64 v[30:31], v[30:31], 0, v[36:37]
	global_load_dwordx4 v[30:33], v[30:31], off offset:128
.LBB362_55:
	s_or_b64 exec, exec, s[2:3]
	s_branch .LBB362_58
.LBB362_56:
                                        ; implicit-def: $vgpr21
                                        ; implicit-def: $vgpr25
                                        ; implicit-def: $vgpr29
                                        ; implicit-def: $vgpr33
	s_cbranch_execz .LBB362_58
; %bb.57:
	s_waitcnt vmcnt(0)
	v_lshlrev_b32_e32 v18, 1, v34
	v_lshl_or_b32 v34, v42, 9, v18
	s_and_b32 s5, s5, 0xffff
	s_mov_b32 s7, 0x20000
	s_movk_i32 s6, 0x4000
	s_movk_i32 s0, 0x80
	buffer_load_dwordx4 v[18:21], v34, s[4:7], 0 offen
	buffer_load_dwordx4 v[22:25], v34, s[4:7], 0 offen offset:256
	buffer_load_dwordx4 v[26:29], v34, s[4:7], s0 offen
	buffer_load_dwordx4 v[30:33], v34, s[4:7], s0 offen offset:256
.LBB362_58:
	ds_read_b64 v[36:37], v43 offset:32768
	v_add_u32_e32 v34, 0xb000, v40
	ds_read2_b64 v[58:61], v34 offset1:16
	ds_read_b64 v[48:49], v44 offset:32768
	ds_read_b64 v[44:45], v45 offset:32768
	;; [unrolled: 1-line block ×3, first 2 shown]
	v_and_b32_e32 v34, 6, v0
	v_xor_b32_e32 v42, v42, v34
	v_lshlrev_b32_e32 v42, 2, v42
	v_and_b32_e32 v43, 1, v0
	v_xor_b32_e32 v46, 0x440, v42
	v_cmp_eq_u32_e32 vcc, 0, v43
	s_waitcnt lgkmcnt(3)
	v_mfma_f32_16x16x16_bf16 a[0:3], v[36:37], v[58:59], a[0:3]
	s_mov_b32 s0, 0x1000504
	v_cndmask_b32_e32 v42, v46, v42, vcc
	v_lshl_or_b32 v34, v34, 10, v42
	v_mfma_f32_16x16x16_bf16 a[4:7], v[36:37], v[60:61], a[4:7]
	ds_read2st64_b64 v[58:61], v40 offset0:90 offset1:92
	ds_read2st64_b64 v[66:69], v41 offset0:90 offset1:92
	s_waitcnt vmcnt(0)
	v_perm_b32 v42, v18, v22, s0
	s_mov_b32 s1, 0x3020706
	s_waitcnt lgkmcnt(1)
	v_mfma_f32_16x16x16_bf16 a[0:3], v[48:49], v[58:59], a[0:3]
	ds_read_b64 v[36:37], v40 offset:48128
	ds_read_b64 v[58:59], v41 offset:48128
	v_perm_b32 v18, v18, v22, s1
	v_perm_b32 v22, v26, v30, s1
	s_waitcnt lgkmcnt(2)
	v_mfma_f32_16x16x16_bf16 a[4:7], v[48:49], v[66:67], a[4:7]
	v_mfma_f32_16x16x16_bf16 a[0:3], v[44:45], v[60:61], a[0:3]
	;; [unrolled: 1-line block ×3, first 2 shown]
	s_waitcnt lgkmcnt(1)
	v_mfma_f32_16x16x16_bf16 a[4:7], v[62:63], v[36:37], a[0:3]
	v_perm_b32 v36, v26, v30, s0
	ds_write2st64_b32 v34, v42, v36 offset0:32 offset1:64
	v_xor_b32_e32 v36, 8, v34
	v_add_u32_e32 v26, 0x80, v36
	ds_write2st64_b32 v26, v18, v22 offset0:32 offset1:64
	v_xor_b32_e32 v18, 16, v34
	v_perm_b32 v22, v19, v23, s0
	v_perm_b32 v26, v27, v31, s0
	ds_write2st64_b32 v18, v22, v26 offset0:33 offset1:65
	v_xor_b32_e32 v18, 24, v34
	v_perm_b32 v19, v19, v23, s1
	v_perm_b32 v22, v27, v31, s1
	v_add_u32_e32 v18, 0x80, v18
	ds_write2st64_b32 v18, v19, v22 offset0:33 offset1:65
	v_xor_b32_e32 v18, 32, v34
	v_perm_b32 v19, v20, v24, s0
	v_perm_b32 v22, v28, v32, s0
	ds_write2st64_b32 v18, v19, v22 offset0:34 offset1:66
	v_xor_b32_e32 v18, 40, v34
	s_waitcnt lgkmcnt(5)
	v_mfma_f32_16x16x16_bf16 a[0:3], v[62:63], v[58:59], a[8:11]
	v_perm_b32 v19, v20, v24, s1
	v_perm_b32 v20, v28, v32, s1
	v_add_u32_e32 v18, 0x80, v18
	ds_write2st64_b32 v18, v19, v20 offset0:34 offset1:66
	v_xor_b32_e32 v18, 48, v34
	v_perm_b32 v19, v21, v25, s0
	v_perm_b32 v20, v29, v33, s0
	ds_write2st64_b32 v18, v19, v20 offset0:35 offset1:67
	v_xor_b32_e32 v18, 56, v34
	v_and_or_b32 v36, v47, 12, v64
	v_perm_b32 v19, v21, v25, s1
	v_perm_b32 v20, v29, v33, s1
	v_add_u32_e32 v18, 0x80, v18
	v_cmp_gt_i32_e32 vcc, s27, v36
	v_mov_b32_e32 v32, 0
	v_mov_b32_e32 v34, 0
	ds_write2st64_b32 v18, v19, v20 offset0:35 offset1:67
	s_and_saveexec_b64 s[0:1], vcc
	s_cbranch_execz .LBB362_60
; %bb.59:
	v_add_u32_e32 v18, s26, v36
	v_ashrrev_i32_e32 v19, 31, v18
	v_mul_lo_u32 v20, v19, s34
	v_mul_lo_u32 v21, v18, s35
	v_mad_u64_u32 v[18:19], s[2:3], v18, s34, 0
	v_add3_u32 v19, v19, v21, v20
	v_lshl_add_u64 v[18:19], v[18:19], 2, s[10:11]
	global_load_dword v18, v[18:19], off
	s_waitcnt vmcnt(0)
	v_sub_f32_e32 v18, s12, v18
	v_mul_f32_e32 v18, 0x3fb8aa3b, v18
	v_exp_f32_e32 v34, v18
.LBB362_60:
	s_or_b64 exec, exec, s[0:1]
	v_or_b32_e32 v26, 1, v36
	v_cmp_gt_i32_e64 s[0:1], s27, v26
	s_and_saveexec_b64 s[2:3], s[0:1]
	s_cbranch_execz .LBB362_62
; %bb.61:
	v_add_u32_e32 v18, s26, v26
	v_ashrrev_i32_e32 v19, 31, v18
	v_mul_lo_u32 v20, v19, s34
	v_mul_lo_u32 v21, v18, s35
	v_mad_u64_u32 v[18:19], s[4:5], v18, s34, 0
	v_add3_u32 v19, v19, v21, v20
	v_lshl_add_u64 v[18:19], v[18:19], 2, s[10:11]
	global_load_dword v18, v[18:19], off
	s_waitcnt vmcnt(0)
	v_sub_f32_e32 v18, s12, v18
	v_mul_f32_e32 v18, 0x3fb8aa3b, v18
	v_exp_f32_e32 v32, v18
.LBB362_62:
	s_or_b64 exec, exec, s[2:3]
	v_or_b32_e32 v27, 2, v36
	v_cmp_gt_i32_e64 s[2:3], s27, v27
	v_mov_b32_e32 v33, 0
	v_mov_b32_e32 v37, 0
	s_and_saveexec_b64 s[4:5], s[2:3]
	s_cbranch_execz .LBB362_64
; %bb.63:
	v_add_u32_e32 v18, s26, v27
	v_ashrrev_i32_e32 v19, 31, v18
	v_mul_lo_u32 v20, v19, s34
	v_mul_lo_u32 v21, v18, s35
	v_mad_u64_u32 v[18:19], s[6:7], v18, s34, 0
	v_add3_u32 v19, v19, v21, v20
	v_lshl_add_u64 v[18:19], v[18:19], 2, s[10:11]
	global_load_dword v18, v[18:19], off
	s_waitcnt vmcnt(0)
	v_sub_f32_e32 v18, s12, v18
	v_mul_f32_e32 v18, 0x3fb8aa3b, v18
	v_exp_f32_e32 v37, v18
.LBB362_64:
	s_or_b64 exec, exec, s[4:5]
	v_or_b32_e32 v42, 3, v36
	v_cmp_gt_i32_e64 s[4:5], s27, v42
	s_and_saveexec_b64 s[6:7], s[4:5]
	s_cbranch_execz .LBB362_66
; %bb.65:
	v_add_u32_e32 v18, s26, v42
	v_ashrrev_i32_e32 v19, 31, v18
	v_mul_lo_u32 v20, v19, s34
	v_mul_lo_u32 v21, v18, s35
	v_mad_u64_u32 v[18:19], s[14:15], v18, s34, 0
	v_add3_u32 v19, v19, v21, v20
	v_lshl_add_u64 v[18:19], v[18:19], 2, s[10:11]
	global_load_dword v18, v[18:19], off
	s_waitcnt vmcnt(0)
	v_sub_f32_e32 v18, s12, v18
	v_mul_f32_e32 v18, 0x3fb8aa3b, v18
	v_exp_f32_e32 v33, v18
.LBB362_66:
	s_or_b64 exec, exec, s[6:7]
	s_add_u32 s6, s8, s20
	v_accvgpr_read_b32 v21, a7
	s_addc_u32 s7, s9, s21
	v_ashrrev_i32_e32 v57, 31, v56
	v_accvgpr_read_b32 v20, a6
	v_accvgpr_read_b32 v19, a5
	v_accvgpr_read_b32 v18, a4
	v_lshl_add_u64 v[22:23], v[56:57], 1, s[6:7]
	v_mov_b32_e32 v29, 0
	v_lshlrev_b32_e32 v24, 8, v36
	v_mov_b32_e32 v25, 0
	s_and_saveexec_b64 s[6:7], vcc
	s_cbranch_execz .LBB362_68
; %bb.67:
	v_mov_b32_e32 v25, 0
	v_lshl_add_u64 v[30:31], v[22:23], 0, v[24:25]
	global_load_ushort v25, v[30:31], off
	s_waitcnt vmcnt(0)
	v_lshlrev_b32_e32 v25, 16, v25
	v_sub_f32_e32 v18, v25, v18
	v_mul_f32_e32 v18, v34, v18
	v_lshrrev_b32_e32 v25, 16, v18
.LBB362_68:
	s_or_b64 exec, exec, s[6:7]
	v_lshlrev_b32_e32 v28, 8, v26
	s_and_saveexec_b64 s[6:7], s[0:1]
	s_cbranch_execz .LBB362_70
; %bb.69:
	v_mov_b32_e32 v29, 0
	v_lshl_add_u64 v[30:31], v[22:23], 0, v[28:29]
	global_load_ushort v18, v[30:31], off
	s_waitcnt vmcnt(0)
	v_lshlrev_b32_e32 v18, 16, v18
	v_sub_f32_e32 v18, v18, v19
	v_mul_f32_e32 v18, v32, v18
	v_lshrrev_b32_e32 v29, 16, v18
.LBB362_70:
	s_or_b64 exec, exec, s[6:7]
	v_mov_b32_e32 v43, 0
	v_lshlrev_b32_e32 v30, 8, v27
	v_mov_b32_e32 v31, 0
	s_and_saveexec_b64 s[6:7], s[2:3]
	s_cbranch_execz .LBB362_72
; %bb.71:
	v_mov_b32_e32 v31, 0
	v_lshl_add_u64 v[18:19], v[22:23], 0, v[30:31]
	global_load_ushort v18, v[18:19], off
	s_waitcnt vmcnt(0)
	v_lshlrev_b32_e32 v18, 16, v18
	v_sub_f32_e32 v18, v18, v20
	v_mul_f32_e32 v18, v37, v18
	v_lshrrev_b32_e32 v31, 16, v18
.LBB362_72:
	s_or_b64 exec, exec, s[6:7]
	v_lshlrev_b32_e32 v26, 8, v42
	s_and_saveexec_b64 s[6:7], s[4:5]
	s_cbranch_execz .LBB362_74
; %bb.73:
	v_mov_b32_e32 v27, 0
	v_lshl_add_u64 v[18:19], v[22:23], 0, v[26:27]
	global_load_ushort v18, v[18:19], off
	s_waitcnt vmcnt(0)
	v_lshlrev_b32_e32 v18, 16, v18
	v_sub_f32_e32 v18, v18, v21
	v_mul_f32_e32 v18, v33, v18
	v_lshrrev_b32_e32 v43, 16, v18
.LBB362_74:
	s_or_b64 exec, exec, s[6:7]
	v_lshlrev_b32_e32 v36, 5, v36
	s_mov_b32 s6, 0x5040100
	v_perm_b32 v42, v29, v25, s6
	v_or_b32_e32 v25, v36, v38
	v_accvgpr_read_b32 v21, a3
	v_perm_b32 v43, v43, v31, s6
	v_lshlrev_b32_e32 v25, 1, v25
	v_accvgpr_read_b32 v20, a2
	v_accvgpr_read_b32 v19, a1
	;; [unrolled: 1-line block ×3, first 2 shown]
	ds_write_b64 v25, v[42:43] offset:45056
	v_mov_b32_e32 v29, 0
	v_mov_b32_e32 v25, 0
	s_and_saveexec_b64 s[6:7], vcc
	s_cbranch_execz .LBB362_76
; %bb.75:
	v_mov_b32_e32 v25, 0
	v_lshl_add_u64 v[24:25], v[22:23], 0, v[24:25]
	global_load_ushort v24, v[24:25], off offset:32
	s_waitcnt vmcnt(0)
	v_lshlrev_b32_e32 v24, 16, v24
	v_sub_f32_e32 v18, v24, v18
	v_mul_f32_e32 v18, v34, v18
	v_lshrrev_b32_e32 v25, 16, v18
.LBB362_76:
	s_or_b64 exec, exec, s[6:7]
	s_and_saveexec_b64 s[6:7], s[0:1]
	s_cbranch_execz .LBB362_78
; %bb.77:
	v_mov_b32_e32 v29, 0
	v_lshl_add_u64 v[28:29], v[22:23], 0, v[28:29]
	global_load_ushort v18, v[28:29], off offset:32
	s_waitcnt vmcnt(0)
	v_lshlrev_b32_e32 v18, 16, v18
	v_sub_f32_e32 v18, v18, v19
	v_mul_f32_e32 v18, v32, v18
	v_lshrrev_b32_e32 v29, 16, v18
.LBB362_78:
	s_or_b64 exec, exec, s[6:7]
	v_mov_b32_e32 v24, 0
	v_mov_b32_e32 v28, 0
	s_and_saveexec_b64 s[0:1], s[2:3]
	s_cbranch_execz .LBB362_80
; %bb.79:
	v_mov_b32_e32 v31, 0
	v_lshl_add_u64 v[18:19], v[22:23], 0, v[30:31]
	global_load_ushort v18, v[18:19], off offset:32
	s_waitcnt vmcnt(0)
	v_lshlrev_b32_e32 v18, 16, v18
	v_sub_f32_e32 v18, v18, v20
	v_mul_f32_e32 v18, v37, v18
	v_lshrrev_b32_e32 v28, 16, v18
.LBB362_80:
	s_or_b64 exec, exec, s[0:1]
	v_or_b32_e32 v19, 0xb000, v40
	v_or_b32_e32 v18, 0xb000, v41
	s_and_saveexec_b64 s[0:1], s[4:5]
	s_cbranch_execz .LBB362_82
; %bb.81:
	v_mov_b32_e32 v27, 0
	v_lshl_add_u64 v[22:23], v[22:23], 0, v[26:27]
	global_load_ushort v20, v[22:23], off offset:32
	s_waitcnt vmcnt(0)
	v_lshlrev_b32_e32 v20, 16, v20
	v_sub_f32_e32 v20, v20, v21
	v_mul_f32_e32 v20, v33, v20
	v_lshrrev_b32_e32 v24, 16, v20
.LBB362_82:
	s_or_b64 exec, exec, s[0:1]
	s_mov_b32 s0, 0x5040100
	v_or_b32_e32 v22, v36, v35
	v_perm_b32 v21, v24, v28, s0
	v_perm_b32 v20, v29, v25, s0
	v_lshlrev_b32_e32 v22, 1, v22
	s_movk_i32 s0, 0x100
	ds_write_b64 v22, v[20:21] offset:45056
	v_and_b32_e32 v20, 7, v0
	v_and_b32_e32 v21, 8, v0
	v_cmp_gt_u32_e32 vcc, s0, v0
	v_lshrrev_b32_e32 v0, 1, v0
	v_lshlrev_b32_e32 v37, 3, v1
	v_and_b32_e32 v38, 24, v0
	v_lshlrev_b32_e32 v34, 3, v20
	v_lshlrev_b32_e32 v35, 7, v20
	v_mov_b32_e32 v20, 0x4000
	v_mov_b32_e32 v22, 0x2000
	v_xor_b32_e32 v0, v37, v38
	v_cndmask_b32_e32 v36, v20, v22, vcc
	v_or_b32_e32 v1, 0x440, v0
	v_cmp_eq_u32_e32 vcc, 0, v21
	s_waitcnt lgkmcnt(0)
	s_barrier
	v_cndmask_b32_e32 v0, v1, v0, vcc
	v_or_b32_e32 v0, v0, v39
	v_xad_u32 v40, v0, v34, v35
	v_add_u32_e32 v0, v36, v40
	ds_read_b64 v[0:1], v0
	ds_read2_b64 v[20:23], v19 offset1:16
	v_or_b32_e32 v24, 32, v38
	v_xor_b32_e32 v24, v37, v24
	v_or_b32_e32 v25, 0x440, v24
	v_cndmask_b32_e32 v24, v25, v24, vcc
	s_waitcnt lgkmcnt(0)
	v_mfma_f32_16x16x16_bf16 a[0:3], v[0:1], v[20:21], 0
	v_or_b32_e32 v24, v24, v39
	v_xad_u32 v41, v24, v34, v35
	v_add_u32_e32 v24, v36, v41
	v_mfma_f32_16x16x16_bf16 a[4:7], v[0:1], v[22:23], 0
	v_or_b32_e32 v0, 64, v38
	v_xor_b32_e32 v0, v37, v0
	v_xor_b32_e32 v1, 0x440, v0
	ds_read_b64 v[32:33], v24
	v_cndmask_b32_e32 v0, v1, v0, vcc
	v_or_b32_e32 v0, v0, v39
	v_xad_u32 v42, v0, v34, v35
	v_add_u32_e32 v0, v36, v42
	ds_read_b64 v[0:1], v0
	ds_read2st64_b64 v[24:27], v19 offset0:2 offset1:4
	ds_read2st64_b64 v[28:31], v18 offset0:2 offset1:4
	s_waitcnt lgkmcnt(1)
	v_mfma_f32_16x16x16_bf16 a[0:3], v[32:33], v[24:25], a[0:3]
	s_waitcnt lgkmcnt(0)
	v_mfma_f32_16x16x16_bf16 a[4:7], v[32:33], v[28:29], a[4:7]
	v_or_b32_e32 v32, 0x60, v38
	v_xor_b32_e32 v32, v37, v32
	v_xor_b32_e32 v33, 0x440, v32
	v_cndmask_b32_e32 v32, v33, v32, vcc
	v_or_b32_e32 v32, v32, v39
	v_xad_u32 v37, v32, v34, v35
	v_add_u32_e32 v32, v36, v37
	ds_read_b64 v[32:33], v32
	v_mfma_f32_16x16x16_bf16 a[0:3], v[0:1], v[26:27], a[0:3]
	v_mov_b32_e32 v36, 0x3fb8aa3b
	v_mfma_f32_16x16x16_bf16 a[4:7], v[0:1], v[30:31], a[4:7]
	ds_read_b64 v[0:1], v19 offset:3072
	ds_read_b64 v[34:35], v18 offset:3072
	;; [unrolled: 1-line block ×3, first 2 shown]
	s_waitcnt lgkmcnt(2)
	v_mfma_f32_16x16x16_bf16 a[0:3], v[32:33], v[0:1], a[0:3]
	s_waitcnt lgkmcnt(1)
	v_mfma_f32_16x16x16_bf16 a[4:7], v[32:33], v[34:35], a[4:7]
	ds_read_b64 v[32:33], v41 offset:16384
	s_waitcnt lgkmcnt(1)
	v_mfma_f32_16x16x16_bf16 a[8:11], v[18:19], v[20:21], 0
	v_mul_f32_e32 v20, s12, v36
	v_exp_f32_e32 v36, v20
	v_accvgpr_read_b32 v21, a3
	v_mfma_f32_16x16x16_bf16 a[12:15], v[18:19], v[22:23], 0
	ds_read_b64 v[22:23], v42 offset:16384
	v_accvgpr_read_b32 v18, a0
	v_fma_f32 v18, v2, v36, v18
	v_accvgpr_read_b32 v2, a1
	v_fma_f32 v19, v3, v36, v2
	;; [unrolled: 2-line block ×3, first 2 shown]
	ds_read_b64 v[2:3], v37 offset:16384
	s_waitcnt lgkmcnt(2)
	v_mfma_f32_16x16x16_bf16 a[8:11], v[32:33], v[24:25], a[8:11]
	v_accvgpr_read_b32 v4, a4
	v_fmac_f32_e32 v21, v5, v36
	v_mfma_f32_16x16x16_bf16 a[12:15], v[32:33], v[28:29], a[12:15]
	v_accvgpr_read_b32 v29, a7
	v_fmac_f32_e32 v29, v13, v36
	s_waitcnt lgkmcnt(1)
	v_mfma_f32_16x16x16_bf16 a[0:3], v[22:23], v[26:27], a[8:11]
	v_fma_f32 v26, v10, v36, v4
	v_accvgpr_read_b32 v4, a5
	v_fma_f32 v27, v11, v36, v4
	v_mfma_f32_16x16x16_bf16 a[8:11], v[22:23], v[30:31], a[12:15]
	v_accvgpr_read_b32 v4, a6
	v_fma_f32 v28, v12, v36, v4
	s_waitcnt lgkmcnt(0)
	v_mfma_f32_16x16x16_bf16 a[0:3], v[2:3], v[0:1], a[0:3]
	v_mfma_f32_16x16x16_bf16 a[4:7], v[2:3], v[34:35], a[8:11]
	s_nop 5
	v_accvgpr_read_b32 v0, a0
	v_fma_f32 v22, v6, v36, v0
	v_accvgpr_read_b32 v0, a1
	v_fma_f32 v23, v7, v36, v0
	;; [unrolled: 2-line block ×4, first 2 shown]
	v_accvgpr_read_b32 v0, a5
	v_accvgpr_read_b32 v25, a3
	v_fma_f32 v31, v15, v36, v0
	v_accvgpr_read_b32 v0, a6
	v_accvgpr_read_b32 v33, a7
	v_fmac_f32_e32 v25, v9, v36
	v_fma_f32 v32, v16, v36, v0
	v_fmac_f32_e32 v33, v17, v36
	v_mov_b64_e32 v[2:3], v[18:19]
	v_mov_b64_e32 v[4:5], v[20:21]
	;; [unrolled: 1-line block ×8, first 2 shown]
.LBB362_83:
	s_waitcnt lgkmcnt(0)
	s_add_u32 s0, s30, s28
	s_addc_u32 s1, s31, s29
	v_lshl_add_u64 v[0:1], v[52:53], 1, s[0:1]
	v_mov_b32_e32 v51, 0
	s_mov_b32 s2, 0x7060302
	v_lshl_add_u64 v[0:1], v[0:1], 0, v[50:51]
	v_perm_b32 v5, v5, v4, s2
	v_perm_b32 v4, v3, v2, s2
	;; [unrolled: 1-line block ×4, first 2 shown]
	global_store_dwordx2 v[0:1], v[4:5], off
	global_store_dwordx2 v[0:1], v[2:3], off offset:128
	v_lshl_add_u64 v[0:1], v[54:55], 1, s[0:1]
	v_lshl_add_u64 v[0:1], v[0:1], 0, v[50:51]
	v_perm_b32 v3, v13, v12, s2
	v_perm_b32 v2, v11, v10, s2
	global_store_dwordx2 v[0:1], v[2:3], off
	v_perm_b32 v3, v17, v16, s2
	v_perm_b32 v2, v15, v14, s2
	global_store_dwordx2 v[0:1], v[2:3], off offset:128
	s_endpgm
	.section	.rodata,"a",@progbits
	.p2align	6, 0x0
	.amdhsa_kernel _ZN12_GLOBAL__N_139chunk_gated_delta_rule_fwd_h_hip_kernelILi32ELb1ELb1ELb0ELb0ELb0ELb0ELb1ELb1EEEvPK12hip_bfloat16S3_S3_PKfS5_PKvPS1_S8_PvPKiSB_iiiiilll
		.amdhsa_group_segment_fixed_size 49152
		.amdhsa_private_segment_fixed_size 0
		.amdhsa_kernarg_size 136
		.amdhsa_user_sgpr_count 2
		.amdhsa_user_sgpr_dispatch_ptr 0
		.amdhsa_user_sgpr_queue_ptr 0
		.amdhsa_user_sgpr_kernarg_segment_ptr 1
		.amdhsa_user_sgpr_dispatch_id 0
		.amdhsa_user_sgpr_kernarg_preload_length 0
		.amdhsa_user_sgpr_kernarg_preload_offset 0
		.amdhsa_user_sgpr_private_segment_size 0
		.amdhsa_uses_dynamic_stack 0
		.amdhsa_enable_private_segment 0
		.amdhsa_system_sgpr_workgroup_id_x 1
		.amdhsa_system_sgpr_workgroup_id_y 1
		.amdhsa_system_sgpr_workgroup_id_z 0
		.amdhsa_system_sgpr_workgroup_info 0
		.amdhsa_system_vgpr_workitem_id 0
		.amdhsa_next_free_vgpr 152
		.amdhsa_next_free_sgpr 69
		.amdhsa_accum_offset 136
		.amdhsa_reserve_vcc 1
		.amdhsa_float_round_mode_32 0
		.amdhsa_float_round_mode_16_64 0
		.amdhsa_float_denorm_mode_32 3
		.amdhsa_float_denorm_mode_16_64 3
		.amdhsa_dx10_clamp 1
		.amdhsa_ieee_mode 1
		.amdhsa_fp16_overflow 0
		.amdhsa_tg_split 0
		.amdhsa_exception_fp_ieee_invalid_op 0
		.amdhsa_exception_fp_denorm_src 0
		.amdhsa_exception_fp_ieee_div_zero 0
		.amdhsa_exception_fp_ieee_overflow 0
		.amdhsa_exception_fp_ieee_underflow 0
		.amdhsa_exception_fp_ieee_inexact 0
		.amdhsa_exception_int_div_zero 0
	.end_amdhsa_kernel
	.section	.text._ZN12_GLOBAL__N_139chunk_gated_delta_rule_fwd_h_hip_kernelILi32ELb1ELb1ELb0ELb0ELb0ELb0ELb1ELb1EEEvPK12hip_bfloat16S3_S3_PKfS5_PKvPS1_S8_PvPKiSB_iiiiilll,"axG",@progbits,_ZN12_GLOBAL__N_139chunk_gated_delta_rule_fwd_h_hip_kernelILi32ELb1ELb1ELb0ELb0ELb0ELb0ELb1ELb1EEEvPK12hip_bfloat16S3_S3_PKfS5_PKvPS1_S8_PvPKiSB_iiiiilll,comdat
.Lfunc_end362:
	.size	_ZN12_GLOBAL__N_139chunk_gated_delta_rule_fwd_h_hip_kernelILi32ELb1ELb1ELb0ELb0ELb0ELb0ELb1ELb1EEEvPK12hip_bfloat16S3_S3_PKfS5_PKvPS1_S8_PvPKiSB_iiiiilll, .Lfunc_end362-_ZN12_GLOBAL__N_139chunk_gated_delta_rule_fwd_h_hip_kernelILi32ELb1ELb1ELb0ELb0ELb0ELb0ELb1ELb1EEEvPK12hip_bfloat16S3_S3_PKfS5_PKvPS1_S8_PvPKiSB_iiiiilll
                                        ; -- End function
	.section	.AMDGPU.csdata,"",@progbits
; Kernel info:
; codeLenInByte = 9516
; NumSgprs: 75
; NumVgprs: 136
; NumAgprs: 16
; TotalNumVgprs: 152
; ScratchSize: 0
; MemoryBound: 0
; FloatMode: 240
; IeeeMode: 1
; LDSByteSize: 49152 bytes/workgroup (compile time only)
; SGPRBlocks: 9
; VGPRBlocks: 18
; NumSGPRsForWavesPerEU: 75
; NumVGPRsForWavesPerEU: 152
; AccumOffset: 136
; Occupancy: 1
; WaveLimiterHint : 1
; COMPUTE_PGM_RSRC2:SCRATCH_EN: 0
; COMPUTE_PGM_RSRC2:USER_SGPR: 2
; COMPUTE_PGM_RSRC2:TRAP_HANDLER: 0
; COMPUTE_PGM_RSRC2:TGID_X_EN: 1
; COMPUTE_PGM_RSRC2:TGID_Y_EN: 1
; COMPUTE_PGM_RSRC2:TGID_Z_EN: 0
; COMPUTE_PGM_RSRC2:TIDIG_COMP_CNT: 0
; COMPUTE_PGM_RSRC3_GFX90A:ACCUM_OFFSET: 33
; COMPUTE_PGM_RSRC3_GFX90A:TG_SPLIT: 0
	.section	.text._ZN12_GLOBAL__N_139chunk_gated_delta_rule_fwd_h_hip_kernelILi32ELb1ELb0ELb1ELb0ELb0ELb0ELb1ELb1EEEvPK12hip_bfloat16S3_S3_PKfS5_PKvPS1_S8_PvPKiSB_iiiiilll,"axG",@progbits,_ZN12_GLOBAL__N_139chunk_gated_delta_rule_fwd_h_hip_kernelILi32ELb1ELb0ELb1ELb0ELb0ELb0ELb1ELb1EEEvPK12hip_bfloat16S3_S3_PKfS5_PKvPS1_S8_PvPKiSB_iiiiilll,comdat
	.globl	_ZN12_GLOBAL__N_139chunk_gated_delta_rule_fwd_h_hip_kernelILi32ELb1ELb0ELb1ELb0ELb0ELb0ELb1ELb1EEEvPK12hip_bfloat16S3_S3_PKfS5_PKvPS1_S8_PvPKiSB_iiiiilll ; -- Begin function _ZN12_GLOBAL__N_139chunk_gated_delta_rule_fwd_h_hip_kernelILi32ELb1ELb0ELb1ELb0ELb0ELb0ELb1ELb1EEEvPK12hip_bfloat16S3_S3_PKfS5_PKvPS1_S8_PvPKiSB_iiiiilll
	.p2align	8
	.type	_ZN12_GLOBAL__N_139chunk_gated_delta_rule_fwd_h_hip_kernelILi32ELb1ELb0ELb1ELb0ELb0ELb0ELb1ELb1EEEvPK12hip_bfloat16S3_S3_PKfS5_PKvPS1_S8_PvPKiSB_iiiiilll,@function
_ZN12_GLOBAL__N_139chunk_gated_delta_rule_fwd_h_hip_kernelILi32ELb1ELb0ELb1ELb0ELb0ELb0ELb1ELb1EEEvPK12hip_bfloat16S3_S3_PKfS5_PKvPS1_S8_PvPKiSB_iiiiilll: ; @_ZN12_GLOBAL__N_139chunk_gated_delta_rule_fwd_h_hip_kernelILi32ELb1ELb0ELb1ELb0ELb0ELb0ELb1ELb1EEEvPK12hip_bfloat16S3_S3_PKfS5_PKvPS1_S8_PvPKiSB_iiiiilll
; %bb.0:
	s_load_dwordx4 s[12:15], s[0:1], 0x5c
	s_load_dwordx4 s[20:23], s[0:1], 0x70
	s_abs_i32 s6, s3
	s_ashr_i32 s5, s3, 31
	s_load_dwordx4 s[16:19], s[0:1], 0x28
	s_load_dwordx2 s[28:29], s[0:1], 0x38
	s_waitcnt lgkmcnt(0)
	s_abs_i32 s4, s13
	v_cvt_f32_u32_e32 v1, s4
	s_sub_i32 s8, 0, s4
	s_ashr_i32 s7, s13, 31
	s_xor_b32 s5, s5, s7
	v_rcp_iflag_f32_e32 v1, v1
	v_and_b32_e32 v63, 15, v0
	v_lshrrev_b32_e32 v61, 6, v0
	v_bfe_u32 v62, v0, 4, 2
	v_mul_f32_e32 v1, 0x4f7ffffe, v1
	v_cvt_u32_f32_e32 v1, v1
	v_mov_b32_e32 v7, 0
	v_and_b32_e32 v60, 63, v0
	v_lshlrev_b32_e32 v64, 3, v0
	v_readfirstlane_b32 s9, v1
	s_mul_i32 s8, s8, s9
	s_mul_hi_u32 s8, s9, s8
	s_add_i32 s9, s9, s8
	s_mul_hi_u32 s8, s6, s9
	s_mul_i32 s9, s8, s4
	s_sub_i32 s6, s6, s9
	s_add_i32 s10, s8, 1
	s_sub_i32 s9, s6, s4
	s_cmp_ge_u32 s6, s4
	s_cselect_b32 s8, s10, s8
	s_cselect_b32 s6, s9, s6
	s_add_i32 s9, s8, 1
	s_cmp_ge_u32 s6, s4
	s_cselect_b32 s6, s9, s8
	s_xor_b32 s6, s6, s5
	s_add_i32 s8, s12, 63
	s_sub_i32 s51, s6, s5
	s_ashr_i32 s9, s8, 31
	s_mul_i32 s5, s51, s13
	s_sub_i32 s49, s3, s5
	s_lshr_b32 s3, s9, 26
	s_add_i32 s8, s8, s3
	s_abs_i32 s3, s14
	v_cvt_f32_u32_e32 v1, s3
	s_ashr_i32 s50, s12, 31
	s_lshr_b32 s6, s50, 26
	s_add_i32 s6, s12, s6
	v_rcp_iflag_f32_e32 v1, v1
	s_ashr_i32 s54, s14, 31
	s_ashr_i32 s24, s8, 6
	;; [unrolled: 1-line block ×3, first 2 shown]
	v_mul_f32_e32 v1, 0x4f7ffffe, v1
	v_cvt_u32_f32_e32 v1, v1
	s_xor_b32 s6, s7, s54
	s_sub_i32 s7, 0, s3
	s_lshl_b32 s2, s2, 5
	v_readfirstlane_b32 s8, v1
	s_mul_i32 s7, s7, s8
	s_mul_hi_u32 s7, s8, s7
	s_add_i32 s8, s8, s7
	s_mul_hi_u32 s7, s4, s8
	s_mul_i32 s8, s7, s3
	s_sub_i32 s4, s4, s8
	s_add_i32 s8, s7, 1
	s_sub_i32 s9, s4, s3
	s_cmp_ge_u32 s4, s3
	s_cselect_b32 s7, s8, s7
	s_cselect_b32 s4, s9, s4
	s_add_i32 s8, s7, 1
	s_cmp_ge_u32 s4, s3
	s_cselect_b32 s3, s8, s7
	s_xor_b32 s3, s3, s6
	s_sub_i32 s3, s3, s6
	s_abs_i32 s4, s3
	v_cvt_f32_u32_e32 v1, s4
	s_sub_i32 s7, 0, s4
	s_abs_i32 s6, s49
	s_xor_b32 s3, s49, s3
	v_rcp_iflag_f32_e32 v1, v1
	s_ashr_i32 s3, s3, 31
	v_or_b32_e32 v50, s2, v63
	v_lshlrev_b32_e32 v2, 7, v50
	v_mul_f32_e32 v1, 0x4f7ffffe, v1
	v_cvt_u32_f32_e32 v1, v1
	v_ashrrev_i32_e32 v3, 31, v2
	v_lshrrev_b32_e32 v65, 3, v60
	s_mul_i32 s33, s51, s21
	v_readfirstlane_b32 s8, v1
	s_mul_i32 s7, s7, s8
	s_mul_hi_u32 s7, s8, s7
	s_add_i32 s8, s8, s7
	s_mul_hi_u32 s7, s6, s8
	s_mul_i32 s8, s7, s4
	s_sub_i32 s6, s6, s8
	s_add_i32 s8, s7, 1
	s_sub_i32 s9, s6, s4
	s_cmp_ge_u32 s6, s4
	s_cselect_b32 s7, s8, s7
	s_cselect_b32 s6, s9, s6
	s_add_i32 s8, s7, 1
	s_cmp_ge_u32 s6, s4
	s_cselect_b32 s4, s8, s7
	s_xor_b32 s4, s4, s3
	s_sub_i32 s55, s4, s3
	s_ashr_i32 s3, s51, 31
	s_ashr_i32 s53, s49, 31
	s_mul_hi_i32 s4, s51, s13
	s_add_u32 s38, s5, s49
	s_addc_u32 s39, s4, s53
	s_lshl_b64 s[4:5], s[38:39], 15
	s_add_u32 s4, s16, s4
	s_addc_u32 s5, s17, s5
	v_lshlrev_b32_e32 v1, 4, v61
	v_lshl_add_u64 v[4:5], v[2:3], 1, s[4:5]
	v_or_b32_e32 v2, 0x800, v2
	v_lshl_or_b32 v66, v62, 2, v1
	v_ashrrev_i32_e32 v3, 31, v2
	v_lshlrev_b32_e32 v6, 1, v66
	v_lshl_add_u64 v[2:3], v[2:3], 1, s[4:5]
	v_lshl_add_u64 v[4:5], v[4:5], 0, v[6:7]
	;; [unrolled: 1-line block ×3, first 2 shown]
	global_load_dwordx2 v[8:9], v[4:5], off
	v_or_b32_e32 v67, 64, v66
	global_load_dwordx2 v[4:5], v[4:5], off offset:128
	s_nop 0
	global_load_dwordx2 v[6:7], v[2:3], off
	global_load_dwordx2 v[10:11], v[2:3], off offset:128
	s_load_dwordx8 s[4:11], s[0:1], 0x0
	s_load_dwordx2 s[30:31], s[0:1], 0x80
	s_mul_hi_u32 s44, s51, s20
	s_mul_i32 s34, s51, s20
	s_mul_i32 s56, s51, s24
	;; [unrolled: 1-line block ×3, first 2 shown]
	s_mul_hi_u32 s46, s49, s22
	s_mul_i32 s48, s3, s20
	s_mul_i32 s47, s53, s22
	s_mul_hi_u32 s57, s38, s12
	s_mul_i32 s16, s38, s12
	s_mul_i32 s39, s39, s12
	s_cmp_lt_i32 s12, 64
	s_mul_i32 s36, s49, s22
	s_waitcnt vmcnt(3)
	v_and_b32_e32 v19, 0xffff0000, v8
	v_lshlrev_b32_e32 v18, 16, v8
	v_and_b32_e32 v21, 0xffff0000, v9
	v_lshlrev_b32_e32 v20, 16, v9
	s_waitcnt vmcnt(2)
	v_and_b32_e32 v23, 0xffff0000, v4
	v_lshlrev_b32_e32 v22, 16, v4
	v_and_b32_e32 v25, 0xffff0000, v5
	v_lshlrev_b32_e32 v24, 16, v5
	;; [unrolled: 5-line block ×4, first 2 shown]
	s_cbranch_scc1 .LBB363_17
; %bb.1:
	s_add_i32 s17, s57, s39
	s_lshl_b64 s[0:1], s[16:17], 8
	v_and_b32_e32 v69, 56, v64
	s_waitcnt lgkmcnt(0)
	s_add_u32 s20, s6, s0
	v_lshl_or_b32 v68, v61, 3, v65
	v_lshlrev_b32_e32 v2, 1, v69
	s_addc_u32 s0, s7, s1
	v_lshl_or_b32 v70, v68, 8, v2
	s_and_b32 s21, s0, 0xffff
	s_mov_b32 s23, 0x20000
	s_movk_i32 s22, 0x4000
	s_movk_i32 s0, 0x80
	v_or_b32_e32 v71, 0x2000, v70
	buffer_load_dwordx4 v[4:7], v70, s[20:23], 0 offen
	buffer_load_dwordx4 v[8:11], v70, s[20:23], s0 offen
	;; [unrolled: 1-line block ×4, first 2 shown]
	v_lshlrev_b32_e32 v3, 3, v68
	v_and_or_b32 v17, v0, 7, v3
	v_and_b32_e32 v3, 0x78, v3
	v_lshlrev_b32_e32 v17, 4, v17
	v_xor_b32_e32 v72, v17, v3
	v_mul_lo_u32 v16, v68, s15
	v_or_b32_e32 v73, 0x1000, v72
	v_xor_b32_e32 v3, 8, v72
	s_cmpk_eq_i32 s15, 0x80
	s_mov_b32 s58, s14
	v_xor_b32_e32 v17, 8, v73
	s_cselect_b64 s[0:1], -1, 0
	s_cmpk_lg_i32 s15, 0x80
	s_waitcnt vmcnt(3)
	ds_write_b64 v72, v[4:5] offset:24576
	ds_write_b64 v3, v[6:7] offset:24576
	s_waitcnt vmcnt(2)
	ds_write_b64 v72, v[8:9] offset:32768
	ds_write_b64 v3, v[10:11] offset:32768
	;; [unrolled: 3-line block ×4, first 2 shown]
	v_lshl_add_u32 v3, v16, 1, v69
	s_cbranch_scc0 .LBB363_3
; %bb.2:
	v_lshlrev_b32_e32 v5, 1, v3
	v_add_lshl_u32 v4, v3, s15, 1
	s_lshl_b32 s22, s15, 7
	v_lshl_or_b32 v2, v68, 9, v2
	s_cbranch_execz .LBB363_4
	s_branch .LBB363_5
.LBB363_3:
                                        ; implicit-def: $vgpr4
                                        ; implicit-def: $vgpr5
                                        ; implicit-def: $sgpr22
	v_lshl_or_b32 v2, v68, 9, v2
.LBB363_4:
	v_or_b32_e32 v4, 0x100, v2
	s_movk_i32 s22, 0x4000
	v_mov_b32_e32 v5, v2
.LBB363_5:
	s_mul_hi_u32 s20, s14, s12
	s_mul_i32 s21, s54, s12
	s_add_i32 s20, s20, s21
	s_mul_i32 s21, s14, s12
	s_mul_i32 s23, s21, s3
	s_mul_hi_u32 s24, s21, s51
	s_add_i32 s23, s24, s23
	s_mul_i32 s20, s20, s51
	s_add_i32 s23, s23, s20
	s_mul_i32 s21, s21, s51
	s_ashr_i32 s59, s55, 31
	s_add_u32 s20, s21, s55
	s_addc_u32 s21, s23, s59
	s_lshl_b64 s[20:21], s[20:21], 8
	s_add_u32 s20, s4, s20
	s_addc_u32 s21, s5, s21
	s_and_b32 s21, s21, 0xffff
	s_mov_b32 s23, 0x20000
	s_movk_i32 s60, 0x80
	buffer_load_dwordx4 v[6:9], v5, s[20:23], 0 offen
	buffer_load_dwordx4 v[10:13], v5, s[20:23], s60 offen
	;; [unrolled: 1-line block ×4, first 2 shown]
	v_and_b32_e32 v4, 6, v0
	v_lshlrev_b32_e32 v39, 6, v66
	v_or_b32_e32 v41, 16, v63
	v_xor_b32_e32 v42, v68, v4
	v_and_b32_e32 v5, 1, v0
	v_lshl_or_b32 v45, v63, 3, v39
	v_lshl_or_b32 v39, v41, 3, v39
	v_lshlrev_b32_e32 v42, 2, v42
	s_mul_i32 s3, s3, s12
	s_mul_hi_u32 s20, s51, s12
	v_lshlrev_b32_e32 v38, 2, v63
	v_or_b32_e32 v76, 0xa000, v39
	v_or_b32_e32 v77, 0xb000, v39
	v_xor_b32_e32 v39, 0x440, v42
	v_cmp_eq_u32_e32 vcc, 0, v5
	v_xor_b32_e32 v43, v66, v38
	v_xor_b32_e32 v44, v67, v38
	v_cndmask_b32_e32 v5, v39, v42, vcc
	s_add_i32 s65, s20, s3
	s_add_i32 s3, s44, s33
	s_mov_b32 s62, 0x1000504
	v_lshlrev_b32_e32 v40, 8, v63
	v_lshlrev_b32_e32 v43, 1, v43
	;; [unrolled: 1-line block ×3, first 2 shown]
	v_lshl_or_b32 v4, v4, 10, v5
	s_add_i32 s35, s3, s48
	s_add_i32 s3, s46, s45
	s_mov_b32 s63, 0x3020706
	v_or_b32_e32 v74, 0xa000, v45
	v_or_b32_e32 v75, 0xb000, v45
	;; [unrolled: 1-line block ×4, first 2 shown]
	v_xor_b32_e32 v5, 8, v4
	v_xor_b32_e32 v40, 24, v4
	v_xor_b32_e32 v45, 40, v4
	v_xor_b32_e32 v47, 56, v4
	s_add_i32 s37, s3, s47
	s_lshl_b64 s[20:21], s[34:35], 2
	v_xor_b32_e32 v39, 16, v4
	v_xor_b32_e32 v42, 32, v4
	;; [unrolled: 1-line block ×3, first 2 shown]
	v_add_u32_e32 v5, 0x80, v5
	v_add_u32_e32 v40, 0x80, v40
	;; [unrolled: 1-line block ×4, first 2 shown]
	s_add_u32 s3, s10, s20
	s_addc_u32 s22, s11, s21
	s_lshl_b64 s[20:21], s[36:37], 2
	s_add_u32 s40, s3, s20
	s_movk_i32 s3, 0xf8
	s_addc_u32 s41, s22, s21
	s_lshl_b32 s26, s15, 7
	s_movk_i32 s24, 0x100
	v_mov_b32_e32 v53, 0
	v_lshlrev_b32_e32 v52, 4, v63
	v_cmp_gt_u32_e32 vcc, s24, v0
	v_ashrrev_i32_e32 v51, 31, v50
	s_mov_b32 s61, 0
	s_mul_i32 s64, s51, s12
	s_movk_i32 s35, 0x1000
	s_movk_i32 s22, 0x4000
	v_mov_b32_e32 v102, 0x3fb8aa3b
	s_mov_b32 s66, 0
	s_waitcnt vmcnt(1)
	v_perm_b32 v48, v6, v14, s62
	s_waitcnt vmcnt(0)
	v_perm_b32 v49, v10, v34, s62
	v_perm_b32 v6, v6, v14, s63
	v_perm_b32 v10, v10, v34, s63
	v_perm_b32 v14, v7, v15, s62
	v_perm_b32 v34, v11, v35, s62
	v_perm_b32 v7, v7, v15, s63
	v_perm_b32 v11, v11, v35, s63
	v_perm_b32 v15, v8, v16, s62
	v_perm_b32 v35, v12, v36, s62
	v_perm_b32 v8, v8, v16, s63
	v_perm_b32 v12, v12, v36, s63
	v_perm_b32 v16, v9, v17, s62
	v_perm_b32 v36, v13, v37, s62
	v_perm_b32 v9, v9, v17, s63
	v_perm_b32 v13, v13, v37, s63
	ds_write2st64_b32 v4, v48, v49 offset0:32 offset1:64
	ds_write2st64_b32 v5, v6, v10 offset0:32 offset1:64
	;; [unrolled: 1-line block ×8, first 2 shown]
	v_lshlrev_b32_e32 v4, 8, v41
	v_or_b32_e32 v80, v4, v43
	v_or_b32_e32 v81, v4, v44
	v_or_b32_e32 v4, v1, v63
	v_lshlrev_b32_e32 v4, 3, v4
	v_lshrrev_b32_e32 v7, 5, v60
	v_and_or_b32 v7, v4, s3, v7
	v_lshlrev_b32_e32 v7, 4, v7
	v_lshlrev_b32_e32 v5, 11, v61
	v_and_b32_e32 v4, 0x78, v4
	v_or_b32_e32 v12, 32, v7
	v_and_b32_e32 v6, 0x1000, v5
	v_lshrrev_b32_e32 v9, 1, v0
	v_xor_b32_e32 v12, v12, v4
	v_and_b32_e32 v10, 8, v9
	v_or_b32_e32 v12, v12, v6
	v_xor_b32_e32 v8, v7, v4
	v_xor_b32_e32 v84, v12, v10
	v_or_b32_e32 v12, 64, v7
	v_or_b32_e32 v7, 0x60, v7
	s_ashr_i32 s3, s2, 31
	v_xor_b32_e32 v12, v12, v4
	v_xor_b32_e32 v4, v7, v4
	s_lshl_b64 s[20:21], s[2:3], 8
	v_or_b32_e32 v8, v8, v6
	v_or_b32_e32 v12, v12, v6
	;; [unrolled: 1-line block ×3, first 2 shown]
	s_add_u32 s20, s18, s20
	v_lshlrev_b32_e32 v6, 1, v63
	v_xor_b32_e32 v86, v12, v10
	v_lshrrev_b32_e32 v12, 4, v0
	s_addc_u32 s21, s19, s21
	v_or_b32_e32 v7, 1, v6
	v_mov_b32_e32 v16, 0x4000
	v_mov_b32_e32 v17, 0x2000
	v_xor_b32_e32 v13, v12, v6
	v_xor_b32_e32 v14, v7, v12
	v_lshl_add_u64 v[6:7], s[20:21], 0, v[52:53]
	v_lshlrev_b32_e32 v52, 8, v12
	v_cndmask_b32_e32 v16, v16, v17, vcc
	v_lshlrev_b32_e32 v17, 3, v61
	v_and_b32_e32 v9, 24, v9
	v_lshl_or_b32 v90, v13, 3, v52
	v_and_b32_e32 v13, 8, v0
	v_xor_b32_e32 v34, v17, v9
	v_or_b32_e32 v35, 0x440, v34
	v_cmp_eq_u32_e32 vcc, 0, v13
	v_and_b32_e32 v12, 7, v0
	v_xor_b32_e32 v82, v8, v10
	v_cndmask_b32_e32 v13, v35, v34, vcc
	v_lshlrev_b32_e32 v8, 7, v62
	v_lshl_or_b32 v91, v14, 3, v52
	v_lshlrev_b32_e32 v14, 3, v12
	v_lshlrev_b32_e32 v12, 7, v12
	;; [unrolled: 1-line block ×3, first 2 shown]
	v_or_b32_e32 v13, v13, v5
	v_or_b32_e32 v11, v8, v38
	v_xad_u32 v92, v13, v14, v12
	v_and_or_b32 v8, v15, 60, v8
	v_mov_b32_e32 v13, 0xb000
	v_lshl_or_b32 v93, v8, 1, v13
	v_or_b32_e32 v8, 32, v9
	v_xor_b32_e32 v8, v17, v8
	v_or_b32_e32 v13, 0x440, v8
	v_cndmask_b32_e32 v8, v13, v8, vcc
	v_or_b32_e32 v8, v8, v5
	v_xad_u32 v94, v8, v14, v12
	v_or_b32_e32 v8, 64, v9
	v_xor_b32_e32 v8, v17, v8
	v_xor_b32_e32 v13, 0x440, v8
	v_cndmask_b32_e32 v8, v13, v8, vcc
	v_or_b32_e32 v8, v8, v5
	v_xad_u32 v95, v8, v14, v12
	v_or_b32_e32 v8, 0x60, v9
	v_xor_b32_e32 v8, v17, v8
	v_xor_b32_e32 v9, 0x440, v8
	v_lshlrev_b32_e32 v11, 1, v11
	v_cndmask_b32_e32 v8, v9, v8, vcc
	v_or_b32_e32 v83, 0xa000, v11
	v_or_b32_e32 v85, 0xa080, v11
	v_xor_b32_e32 v87, v4, v10
	v_or_b32_e32 v88, 0xb000, v11
	v_or_b32_e32 v89, 0xb080, v11
	v_lshlrev_b32_e32 v10, 1, v3
	v_add_lshl_u32 v3, v3, s15, 1
	v_or_b32_e32 v11, 0x100, v2
	v_or_b32_e32 v5, v8, v5
	v_lshlrev_b32_e32 v4, 7, v66
	v_xad_u32 v96, v5, v14, v12
	v_cndmask_b32_e64 v97, v10, v2, s[0:1]
	v_cndmask_b32_e64 v98, v3, v11, s[0:1]
	v_lshlrev_b64 v[2:3], 1, v[50:51]
	v_lshl_add_u64 v[54:55], s[8:9], 0, v[2:3]
	v_lshl_add_u64 v[56:57], s[28:29], 0, v[2:3]
	v_lshl_add_u64 v[58:59], v[6:7], 0, v[52:53]
	v_lshlrev_b32_e32 v52, 1, v4
	v_add_u32_e32 v51, v16, v92
	v_add_u32_e32 v99, v16, v94
	v_add_u32_e32 v100, v16, v95
	v_add_u32_e32 v101, v16, v96
	v_mov_b64_e32 v[2:3], v[18:19]
	s_mov_b32 s3, 0x7060302
	v_mov_b64_e32 v[4:5], v[20:21]
	v_mov_b64_e32 v[6:7], v[22:23]
	;; [unrolled: 1-line block ×7, first 2 shown]
	s_waitcnt lgkmcnt(0)
	s_barrier
	s_branch .LBB363_7
.LBB363_6:                              ;   in Loop: Header=BB363_7 Depth=1
	v_mul_f32_e32 v22, s20, v102
	s_waitcnt vmcnt(2)
	v_exp_f32_e32 v34, v22
	v_accvgpr_read_b32 v21, a7
	v_accvgpr_read_b32 v19, a5
	;; [unrolled: 1-line block ×16, first 2 shown]
	v_fma_f32 v18, v2, v34, v18
	v_fma_f32 v19, v3, v34, v19
	v_fma_f32 v20, v4, v34, v20
	v_fmac_f32_e32 v21, v5, v34
	v_fma_f32 v26, v10, v34, v26
	v_fma_f32 v27, v11, v34, v27
	v_fma_f32 v28, v12, v34, v28
	v_fmac_f32_e32 v29, v13, v34
	;; [unrolled: 4-line block ×4, first 2 shown]
	s_add_i32 s61, s61, 64
	v_mov_b64_e32 v[2:3], v[18:19]
	s_cmp_eq_u32 s52, s37
	s_mov_b32 s66, s37
	v_mov_b64_e32 v[4:5], v[20:21]
	v_mov_b64_e32 v[6:7], v[22:23]
	;; [unrolled: 1-line block ×7, first 2 shown]
	s_cbranch_scc1 .LBB363_17
.LBB363_7:                              ; =>This Inner Loop Header: Depth=1
	s_add_i32 s37, s66, 1
	s_cmp_lt_i32 s37, s52
	s_mov_b64 s[24:25], 0
	s_cselect_b64 s[42:43], -1, 0
	s_cmp_ge_i32 s37, s52
	s_mov_b64 s[20:21], 0
	s_cbranch_scc1 .LBB363_9
; %bb.8:                                ;   in Loop: Header=BB363_7 Depth=1
	s_add_i32 s0, s61, 64
	s_add_u32 s0, s16, s0
	s_addc_u32 s1, s17, 0
	s_lshl_b64 s[0:1], s[0:1], 8
	s_add_u32 s20, s6, s0
	s_addc_u32 s21, s7, s1
.LBB363_9:                              ;   in Loop: Header=BB363_7 Depth=1
	v_cndmask_b32_e64 v18, 0, 1, s[42:43]
	v_cmp_ne_u32_e64 s[0:1], 1, v18
	s_andn2_b64 vcc, exec, s[42:43]
	s_cbranch_vccnz .LBB363_11
; %bb.10:                               ;   in Loop: Header=BB363_7 Depth=1
	s_add_i32 s24, s61, 64
	s_add_u32 s24, s64, s24
	s_addc_u32 s25, s65, 0
	s_mul_i32 s27, s24, s54
	s_mul_hi_u32 s42, s24, s58
	s_add_i32 s27, s42, s27
	s_mul_i32 s25, s25, s58
	s_add_i32 s27, s27, s25
	s_mul_i32 s24, s24, s58
	s_add_u32 s24, s24, s55
	s_addc_u32 s25, s27, s59
	s_lshl_b64 s[24:25], s[24:25], 8
	s_add_u32 s24, s4, s24
	s_addc_u32 s25, s5, s25
.LBB363_11:                             ;   in Loop: Header=BB363_7 Depth=1
	v_perm_b32 v19, v5, v4, s3
	v_perm_b32 v18, v3, v2, s3
	;; [unrolled: 1-line block ×4, first 2 shown]
	ds_write_b64 v74, v[18:19]
	ds_write_b64 v75, v[20:21]
	;; [unrolled: 1-line block ×4, first 2 shown]
	v_perm_b32 v19, v13, v12, s3
	v_perm_b32 v18, v11, v10, s3
	;; [unrolled: 1-line block ×4, first 2 shown]
	ds_write_b64 v76, v[18:19]
	ds_write_b64 v77, v[20:21]
	;; [unrolled: 1-line block ×4, first 2 shown]
	s_waitcnt lgkmcnt(0)
	s_barrier
	ds_read_b64 v[22:23], v82 offset:24576
	ds_read2_b64 v[18:21], v83 offset1:16
	ds_read_b64 v[26:27], v85 offset:3072
	ds_read_b64 v[28:29], v83 offset:3072
	;; [unrolled: 1-line block ×3, first 2 shown]
	s_waitcnt lgkmcnt(3)
	v_mfma_f32_16x16x16_bf16 a[0:3], v[22:23], v[18:19], 0
	s_add_i32 s27, s61, 63
	s_mul_i32 s42, s27, s31
	s_mul_hi_u32 s43, s27, s30
	v_mfma_f32_16x16x16_bf16 a[4:7], v[22:23], v[20:21], 0
	ds_read2st64_b64 v[18:21], v83 offset0:2 offset1:4
	ds_read2st64_b64 v[22:25], v85 offset0:2 offset1:4
	s_add_i32 s43, s43, s42
	s_waitcnt lgkmcnt(1)
	v_mfma_f32_16x16x16_bf16 a[0:3], v[30:31], v[18:19], a[0:3]
	s_mul_i32 s42, s27, s30
	s_lshl_b64 s[42:43], s[42:43], 2
	s_add_u32 s42, s40, s42
	s_waitcnt lgkmcnt(0)
	v_mfma_f32_16x16x16_bf16 a[4:7], v[30:31], v[22:23], a[4:7]
	ds_read_b64 v[18:19], v86 offset:24576
	ds_read_b64 v[22:23], v87 offset:24576
	s_addc_u32 s43, s41, s43
	s_and_b64 vcc, exec, s[0:1]
	s_waitcnt lgkmcnt(1)
	v_mfma_f32_16x16x16_bf16 a[0:3], v[18:19], v[20:21], a[0:3]
	v_mov_b32_e32 v105, 0
	v_mov_b32_e32 v104, 0
	;; [unrolled: 1-line block ×3, first 2 shown]
	v_mfma_f32_16x16x16_bf16 a[8:11], v[18:19], v[24:25], a[4:7]
	v_mov_b32_e32 v18, 0
	v_mov_b32_e32 v19, 0
	;; [unrolled: 1-line block ×3, first 2 shown]
	s_waitcnt lgkmcnt(0)
	v_mfma_f32_16x16x16_bf16 a[4:7], v[22:23], v[28:29], a[0:3]
	v_mov_b32_e32 v21, 0
	v_mov_b32_e32 v24, 0
	;; [unrolled: 1-line block ×3, first 2 shown]
	v_mfma_f32_16x16x16_bf16 a[0:3], v[22:23], v[26:27], a[8:11]
	v_mov_b32_e32 v22, 0
	v_mov_b32_e32 v23, 0
	v_mov_b32_e32 v26, 0
	v_mov_b32_e32 v27, 0
	v_mov_b32_e32 v28, 0
	v_mov_b32_e32 v29, 0
	v_mov_b32_e32 v30, 0
	v_mov_b32_e32 v31, 0
	v_mov_b32_e32 v32, 0
	v_mov_b32_e32 v33, 0
	s_cbranch_vccnz .LBB363_13
; %bb.12:                               ;   in Loop: Header=BB363_7 Depth=1
	s_and_b32 s21, s21, 0xffff
	buffer_load_dwordx4 v[30:33], v70, s[20:23], 0 offen
	buffer_load_dwordx4 v[26:29], v70, s[20:23], s60 offen
	;; [unrolled: 1-line block ×4, first 2 shown]
	v_mov_b32_e32 v104, v72
	v_mov_b32_e32 v103, v73
.LBB363_13:                             ;   in Loop: Header=BB363_7 Depth=1
	ds_read_b64 v[42:43], v82 offset:32768
	ds_read2_b64 v[34:37], v88 offset1:16
	ds_read_b64 v[44:45], v84 offset:32768
	ds_read_b64 v[46:47], v86 offset:32768
	;; [unrolled: 1-line block ×3, first 2 shown]
	v_add_u32_e32 v106, s61, v66
	s_waitcnt lgkmcnt(3)
	v_mfma_f32_16x16x16_bf16 a[4:7], v[42:43], v[34:35], a[4:7]
	v_ashrrev_i32_e32 v34, 31, v106
	ds_read2st64_b64 v[38:41], v88 offset0:2 offset1:4
	v_mfma_f32_16x16x16_bf16 a[0:3], v[42:43], v[36:37], a[0:3]
	v_mul_lo_u32 v36, v34, s30
	v_mul_lo_u32 v37, v106, s31
	v_mad_u64_u32 v[34:35], s[20:21], v106, s30, 0
	v_add3_u32 v35, v35, v37, v36
	v_add_u32_e32 v36, 1, v106
	v_ashrrev_i32_e32 v37, 31, v36
	v_mul_lo_u32 v42, v37, s30
	v_mul_lo_u32 v43, v36, s31
	v_mad_u64_u32 v[36:37], s[20:21], v36, s30, 0
	v_add3_u32 v37, v37, v43, v42
	v_add_u32_e32 v42, 2, v106
	v_ashrrev_i32_e32 v43, 31, v42
	v_mul_lo_u32 v107, v43, s30
	v_mul_lo_u32 v108, v42, s31
	v_mad_u64_u32 v[42:43], s[20:21], v42, s30, 0
	v_add_u32_e32 v106, 3, v106
	v_add3_u32 v43, v43, v108, v107
	v_ashrrev_i32_e32 v107, 31, v106
	v_mul_lo_u32 v108, v107, s30
	v_mul_lo_u32 v109, v106, s31
	v_mad_u64_u32 v[106:107], s[20:21], v106, s30, 0
	s_add_u32 s20, s16, s61
	s_addc_u32 s21, s17, 0
	s_lshl_b64 s[68:69], s[20:21], 8
	v_lshl_add_u64 v[34:35], v[34:35], 2, s[40:41]
	v_lshl_add_u64 v[36:37], v[36:37], 2, s[40:41]
	v_add3_u32 v107, v107, v109, v108
	v_lshl_add_u64 v[108:109], v[54:55], 0, s[68:69]
	v_lshl_add_u64 v[42:43], v[42:43], 2, s[40:41]
	;; [unrolled: 1-line block ×3, first 2 shown]
	global_load_dword v110, v[34:35], off
	global_load_ushort v111, v[108:109], off offset:256
	global_load_ushort v112, v[108:109], off
	v_lshl_add_u64 v[34:35], v[106:107], 2, s[40:41]
	global_load_dword v106, v[36:37], off
	global_load_dword v107, v[42:43], off
	;; [unrolled: 1-line block ×3, first 2 shown]
	ds_read2st64_b64 v[34:37], v89 offset0:2 offset1:4
	global_load_ushort v114, v[108:109], off offset:768
	global_load_ushort v115, v[108:109], off offset:512
	;; [unrolled: 1-line block ×5, first 2 shown]
	s_nop 0
	global_load_ushort v108, v[108:109], off offset:32
	s_waitcnt lgkmcnt(1)
	v_mfma_f32_16x16x16_bf16 a[4:7], v[44:45], v[38:39], a[4:7]
	s_and_b64 vcc, exec, s[0:1]
	s_waitcnt vmcnt(10)
	v_lshlrev_b32_e32 v43, 16, v111
	s_waitcnt lgkmcnt(0)
	v_mfma_f32_16x16x16_bf16 a[0:3], v[44:45], v[34:35], a[0:3]
	s_waitcnt vmcnt(9)
	v_lshlrev_b32_e32 v42, 16, v112
	v_mfma_f32_16x16x16_bf16 a[4:7], v[46:47], v[40:41], a[4:7]
	v_mfma_f32_16x16x16_bf16 a[0:3], v[46:47], v[36:37], a[0:3]
	ds_read_b64 v[34:35], v88 offset:3072
	ds_read_b64 v[36:37], v89 offset:3072
	s_load_dword s20, s[42:43], 0x0
	s_waitcnt lgkmcnt(0)
	v_sub_f32_e32 v44, s20, v110
	v_mfma_f32_16x16x16_bf16 a[4:7], v[48:49], v[34:35], a[4:7]
	v_mul_f32_e32 v44, 0x3fb8aa3b, v44
	s_waitcnt vmcnt(8)
	v_sub_f32_e32 v45, s20, v106
	s_waitcnt vmcnt(7)
	v_sub_f32_e32 v46, s20, v107
	;; [unrolled: 2-line block ×3, first 2 shown]
	v_mfma_f32_16x16x16_bf16 a[0:3], v[48:49], v[36:37], a[0:3]
	v_lshl_add_u64 v[34:35], v[56:57], 0, s[68:69]
	v_lshl_add_u64 v[34:35], v[34:35], 0, v[52:53]
	v_accvgpr_read_b32 v41, a5
	v_accvgpr_read_b32 v40, a4
	v_pk_add_f32 v[40:41], v[42:43], v[40:41] neg_lo:[0,1] neg_hi:[0,1]
	v_exp_f32_e32 v42, v44
	v_mul_f32_e32 v43, 0x3fb8aa3b, v45
	v_mul_f32_e32 v44, 0x3fb8aa3b, v46
	;; [unrolled: 1-line block ×3, first 2 shown]
	v_exp_f32_e32 v43, v43
	v_exp_f32_e32 v44, v44
	v_exp_f32_e32 v45, v45
	v_accvgpr_read_b32 v37, a7
	v_accvgpr_read_b32 v36, a6
	s_waitcnt vmcnt(5)
	v_lshlrev_b32_e32 v47, 16, v114
	s_waitcnt vmcnt(4)
	v_lshlrev_b32_e32 v46, 16, v115
	v_pk_add_f32 v[36:37], v[46:47], v[36:37] neg_lo:[0,1] neg_hi:[0,1]
	global_store_short_d16_hi v[34:35], v40, off
	global_store_short_d16_hi v[34:35], v41, off offset:256
	global_store_short_d16_hi v[34:35], v36, off offset:512
	;; [unrolled: 1-line block ×3, first 2 shown]
	v_pk_mul_f32 v[40:41], v[42:43], v[40:41]
	v_pk_mul_f32 v[36:37], v[44:45], v[36:37]
	v_accvgpr_read_b32 v47, a1
	v_perm_b32 v37, v37, v36, s3
	v_perm_b32 v36, v41, v40, s3
	s_waitcnt vmcnt(5)
	v_lshlrev_b32_e32 v41, 16, v118
	s_waitcnt vmcnt(4)
	v_lshlrev_b32_e32 v40, 16, v108
	v_accvgpr_read_b32 v46, a0
	v_accvgpr_read_b32 v39, a3
	;; [unrolled: 1-line block ×3, first 2 shown]
	v_pk_add_f32 v[40:41], v[40:41], v[46:47] neg_lo:[0,1] neg_hi:[0,1]
	v_lshlrev_b32_e32 v47, 16, v116
	v_lshlrev_b32_e32 v46, 16, v117
	v_pk_add_f32 v[38:39], v[46:47], v[38:39] neg_lo:[0,1] neg_hi:[0,1]
	global_store_short_d16_hi v[34:35], v40, off offset:32
	global_store_short_d16_hi v[34:35], v41, off offset:288
	;; [unrolled: 1-line block ×4, first 2 shown]
	v_pk_mul_f32 v[34:35], v[42:43], v[40:41]
	v_pk_mul_f32 v[38:39], v[44:45], v[38:39]
	v_mov_b32_e32 v106, 0
	v_perm_b32 v39, v39, v38, s3
	v_perm_b32 v38, v35, v34, s3
	ds_write2_b64 v75, v[36:37], v[38:39] offset1:16
	v_mov_b32_e32 v34, 0
	v_mov_b32_e32 v35, 0
	;; [unrolled: 1-line block ×16, first 2 shown]
	s_cbranch_vccnz .LBB363_15
; %bb.14:                               ;   in Loop: Header=BB363_7 Depth=1
	s_and_b32 s25, s25, 0xffff
	s_mov_b32 s27, s23
	buffer_load_dwordx4 v[46:49], v97, s[24:27], 0 offen
	buffer_load_dwordx4 v[38:41], v97, s[24:27], s60 offen
	;; [unrolled: 1-line block ×4, first 2 shown]
	v_mov_b32_e32 v105, v69
	v_mov_b32_e32 v106, v68
.LBB363_15:                             ;   in Loop: Header=BB363_7 Depth=1
	s_waitcnt lgkmcnt(0)
	s_barrier
	ds_read_b64 v[112:113], v51
	ds_read_b64 v[120:121], v93
	ds_read_b64 v[116:117], v99
	ds_read_b64 v[122:123], v100
	ds_read_b64 v[124:125], v101
	ds_read_b64 v[126:127], v94 offset:16384
	ds_read_b64 v[128:129], v92 offset:16384
	ds_read2_b64 v[108:111], v88 offset0:16 offset1:128
	s_waitcnt lgkmcnt(6)
	v_mfma_f32_16x16x16_bf16 a[0:3], v[112:113], v[120:121], 0
	ds_read_b64 v[130:131], v89 offset:3072
	ds_read_b64 v[132:133], v96 offset:16384
	s_add_i32 s21, s56, s66
	s_waitcnt lgkmcnt(2)
	v_mfma_f32_16x16x16_bf16 a[4:7], v[112:113], v[108:109], 0
	ds_read2st64_b64 v[112:115], v89 offset0:2 offset1:4
	s_mul_hi_i32 s25, s21, s13
	s_mul_i32 s21, s21, s13
	v_mfma_f32_16x16x16_bf16 a[0:3], v[116:117], v[110:111], a[0:3]
	s_add_u32 s24, s21, s49
	s_addc_u32 s25, s25, s53
	s_lshl_b64 s[24:25], s[24:25], 15
	s_waitcnt lgkmcnt(0)
	v_mfma_f32_16x16x16_bf16 a[4:7], v[116:117], v[112:113], a[4:7]
	ds_read2st64_b64 v[116:119], v88 offset0:4 offset1:6
	s_waitcnt lgkmcnt(0)
	v_mfma_f32_16x16x16_bf16 a[0:3], v[122:123], v[116:117], a[0:3]
	v_mfma_f32_16x16x16_bf16 a[8:11], v[122:123], v[114:115], a[4:7]
	;; [unrolled: 1-line block ×5, first 2 shown]
	ds_read2st64_b64 v[120:123], v91 offset1:8
	v_mfma_f32_16x16x16_bf16 a[12:15], v[128:129], v[108:109], 0
	ds_read_b64 v[128:129], v95 offset:16384
	v_mfma_f32_16x16x16_bf16 a[8:11], v[126:127], v[110:111], a[8:11]
	ds_read2st64_b64 v[108:111], v90 offset1:8
	s_waitcnt lgkmcnt(0)
	v_mov_b32_e32 v124, v108
	v_mfma_f32_16x16x16_bf16 a[12:15], v[126:127], v[112:113], a[12:15]
	v_lshl_add_u64 v[112:113], v[58:59], 0, s[24:25]
	v_add_co_u32_e32 v108, vcc, s35, v112
	v_mfma_f32_16x16x16_bf16 a[8:11], v[128:129], v[116:117], a[8:11]
	v_mov_b32_e32 v125, v109
	v_addc_co_u32_e32 v109, vcc, 0, v113, vcc
	v_mfma_f32_16x16x16_bf16 a[12:15], v[128:129], v[114:115], a[12:15]
	v_mov_b32_e32 v126, v120
	v_mov_b32_e32 v127, v121
	v_mov_b32_e32 v120, v110
	v_mfma_f32_16x16x16_bf16 a[8:11], v[132:133], v[118:119], a[8:11]
	v_mov_b32_e32 v121, v111
	s_and_b64 vcc, exec, s[0:1]
	global_store_dwordx4 v[112:113], v[124:127], off
	v_mfma_f32_16x16x16_bf16 a[12:15], v[132:133], v[130:131], a[12:15]
	global_store_dwordx4 v[108:109], v[120:123], off
	s_cbranch_vccnz .LBB363_6
; %bb.16:                               ;   in Loop: Header=BB363_7 Depth=1
	v_lshrrev_b32_e32 v107, 3, v105
	v_and_b32_e32 v107, 6, v107
	v_xor_b32_e32 v106, v107, v106
	v_lshlrev_b32_e32 v106, 2, v106
	v_and_b32_e32 v105, 8, v105
	v_xor_b32_e32 v108, 0x440, v106
	v_cmp_eq_u32_e32 vcc, 0, v105
	s_barrier
	s_nop 0
	v_cndmask_b32_e32 v105, v108, v106, vcc
	v_lshl_or_b32 v105, v107, 10, v105
	s_waitcnt vmcnt(3)
	v_perm_b32 v106, v46, v42, s62
	s_waitcnt vmcnt(2)
	v_perm_b32 v107, v38, v34, s62
	ds_write2st64_b32 v105, v106, v107 offset0:32 offset1:64
	v_xor_b32_e32 v106, 8, v105
	v_perm_b32 v42, v46, v42, s63
	v_perm_b32 v34, v38, v34, s63
	v_add_u32_e32 v38, 0x80, v106
	ds_write2st64_b32 v38, v42, v34 offset0:32 offset1:64
	v_xor_b32_e32 v34, 16, v105
	v_perm_b32 v38, v47, v43, s62
	v_perm_b32 v42, v39, v35, s62
	ds_write2st64_b32 v34, v38, v42 offset0:33 offset1:65
	v_xor_b32_e32 v34, 24, v105
	v_perm_b32 v38, v47, v43, s63
	v_perm_b32 v35, v39, v35, s63
	v_add_u32_e32 v34, 0x80, v34
	ds_write2st64_b32 v34, v38, v35 offset0:33 offset1:65
	v_xor_b32_e32 v34, 32, v105
	v_perm_b32 v35, v48, v44, s62
	;; [unrolled: 9-line block ×3, first 2 shown]
	v_perm_b32 v36, v41, v37, s62
	ds_write2st64_b32 v34, v35, v36 offset0:35 offset1:67
	v_xor_b32_e32 v34, 56, v105
	v_perm_b32 v35, v49, v45, s63
	v_perm_b32 v36, v41, v37, s63
	v_add_u32_e32 v34, 0x80, v34
	ds_write2st64_b32 v34, v35, v36 offset0:35 offset1:67
	ds_write_b64 v104, v[30:31] offset:24576
	v_xor_b32_e32 v30, 8, v104
	ds_write_b64 v30, v[32:33] offset:24576
	ds_write_b64 v104, v[26:27] offset:32768
	;; [unrolled: 1-line block ×4, first 2 shown]
	v_xor_b32_e32 v22, 8, v103
	ds_write_b64 v22, v[24:25] offset:24576
	ds_write_b64 v103, v[18:19] offset:32768
	ds_write_b64 v22, v[20:21] offset:32768
	s_branch .LBB363_6
.LBB363_17:
	s_lshl_b32 s26, s52, 6
	s_sub_i32 s27, s12, s26
	s_cmp_gt_i32 s27, 0
	s_cbranch_scc0 .LBB363_82
; %bb.18:
	s_ashr_i32 s3, s26, 31
	s_cmpk_lg_i32 s15, 0x80
	s_cselect_b64 s[22:23], -1, 0
	s_and_b64 vcc, exec, s[22:23]
	s_cbranch_vccz .LBB363_20
; %bb.19:
	s_mul_i32 s1, s51, s12
	s_mul_hi_i32 s0, s51, s12
	s_add_u32 s1, s1, s26
	s_addc_u32 s0, s0, s3
	s_mul_i32 s17, s1, s54
	s_mul_hi_u32 s20, s1, s14
	s_add_i32 s17, s20, s17
	s_mul_i32 s0, s0, s14
	s_add_i32 s17, s17, s0
	s_mul_i32 s1, s1, s14
	s_ashr_i32 s0, s55, 31
	s_add_u32 s24, s1, s55
	s_addc_u32 s25, s17, s0
	s_cbranch_execz .LBB363_21
	s_branch .LBB363_22
.LBB363_20:
                                        ; implicit-def: $sgpr24_sgpr25
.LBB363_21:
	s_mul_hi_i32 s0, s51, s14
	s_mul_i32 s51, s51, s14
	s_ashr_i32 s1, s55, 31
	s_add_u32 s14, s51, s55
	s_addc_u32 s0, s0, s1
	s_mul_i32 s1, s14, s50
	s_mul_hi_u32 s17, s14, s12
	s_add_i32 s1, s17, s1
	s_mul_i32 s0, s0, s12
	s_add_i32 s1, s1, s0
	s_mul_i32 s14, s14, s12
	s_add_u32 s24, s14, s26
	s_addc_u32 s25, s1, s3
.LBB363_22:
	s_mul_i32 s0, s38, s50
	s_add_i32 s0, s57, s0
	s_add_i32 s14, s56, s52
	;; [unrolled: 1-line block ×3, first 2 shown]
	s_add_u32 s0, s16, s26
	v_lshlrev_b32_e32 v6, 5, v66
	v_lshlrev_b32_e32 v34, 2, v63
	s_addc_u32 s1, s1, s3
	s_mov_b32 s3, 0x7060302
	v_or_b32_e32 v9, v6, v34
	v_xor_b32_e32 v7, v66, v34
	v_perm_b32 v3, v21, v20, s3
	v_perm_b32 v2, v19, v18, s3
	;; [unrolled: 1-line block ×4, first 2 shown]
	v_lshlrev_b32_e32 v9, 1, v9
	v_xor_b32_e32 v8, v67, v34
	ds_write2st64_b64 v9, v[2:3], v[4:5] offset0:80 offset1:88
	v_lshlrev_b32_e32 v7, 1, v7
	v_lshlrev_b32_e32 v9, 8, v63
	s_lshl_b64 s[20:21], s[0:1], 8
	v_or_b32_e32 v10, v7, v9
	v_lshlrev_b32_e32 v8, 1, v8
	s_waitcnt lgkmcnt(0)
	s_add_u32 s0, s6, s20
	ds_write_b64 v10, v[2:3]
	v_or_b32_e32 v2, v8, v9
	s_addc_u32 s1, s7, s21
	ds_write_b64 v2, v[4:5]
	v_perm_b32 v3, v29, v28, s3
	v_perm_b32 v2, v27, v26, s3
	;; [unrolled: 1-line block ×4, first 2 shown]
	v_or_b32_e32 v9, 16, v63
	s_mul_hi_i32 s3, s14, s13
	s_mul_i32 s14, s14, s13
	v_lshlrev_b32_e32 v19, 2, v9
	s_add_u32 s6, s14, s49
	v_or_b32_e32 v6, v6, v19
	s_addc_u32 s7, s3, s53
	v_lshlrev_b32_e32 v6, 1, v6
	s_ashr_i32 s3, s2, 31
	s_lshl_b64 s[6:7], s[6:7], 15
	ds_write2st64_b64 v6, v[2:3], v[4:5] offset0:80 offset1:88
	v_lshlrev_b32_e32 v6, 8, v9
	s_add_u32 s6, s18, s6
	v_or_b32_e32 v7, v7, v6
	s_addc_u32 s7, s19, s7
	s_lshl_b64 s[2:3], s[2:3], 8
	ds_write_b64 v7, v[2:3]
	v_or_b32_e32 v2, v8, v6
	s_add_u32 s2, s6, s2
	ds_write_b64 v2, v[4:5]
	v_lshrrev_b32_e32 v2, 4, v0
	s_addc_u32 s3, s7, s3
	v_lshlrev_b32_e32 v3, 1, v63
	v_lshlrev_b32_e32 v10, 4, v63
	v_mov_b32_e32 v11, 0
	v_or_b32_e32 v4, 1, v3
	v_xor_b32_e32 v3, v2, v3
	v_lshl_add_u64 v[12:13], s[2:3], 0, v[10:11]
	v_lshlrev_b32_e32 v10, 8, v2
	v_xor_b32_e32 v6, v4, v2
	v_lshl_or_b32 v2, v3, 3, v10
	s_waitcnt lgkmcnt(0)
	s_barrier
	ds_read2st64_b64 v[2:5], v2 offset1:8
	v_lshl_or_b32 v6, v6, 3, v10
	ds_read2st64_b64 v[6:9], v6 offset1:8
	v_lshl_add_u64 v[14:15], v[12:13], 0, v[10:11]
	s_movk_i32 s2, 0x1000
	s_waitcnt lgkmcnt(1)
	v_mov_b32_e32 v10, v2
	v_add_co_u32_e32 v2, vcc, s2, v14
	s_cmp_lg_u32 s27, 64
	v_mov_b32_e32 v11, v3
	v_addc_co_u32_e32 v3, vcc, 0, v15, vcc
	s_cselect_b64 s[6:7], -1, 0
	v_lshl_or_b32 v22, v61, 3, v65
	s_waitcnt lgkmcnt(0)
	v_mov_b32_e32 v12, v6
	v_mov_b32_e32 v13, v7
	;; [unrolled: 1-line block ×4, first 2 shown]
	s_mov_b32 s16, 0
	v_or_b32_e32 v20, 32, v22
	v_and_b32_e32 v18, 56, v64
	s_and_b64 vcc, exec, s[6:7]
	global_store_dwordx4 v[14:15], v[10:13], off
	global_store_dwordx4 v[2:3], v[6:9], off
	s_cbranch_vccz .LBB363_28
; %bb.23:
	s_mov_b32 s17, s16
	s_mov_b32 s18, s16
	;; [unrolled: 1-line block ×3, first 2 shown]
	v_mov_b64_e32 v[6:7], s[16:17]
	v_mov_b64_e32 v[8:9], s[18:19]
	;; [unrolled: 1-line block ×3, first 2 shown]
	v_cmp_gt_i32_e32 vcc, s27, v22
	v_mov_b64_e32 v[4:5], v[8:9]
	s_and_saveexec_b64 s[2:3], vcc
	s_cbranch_execz .LBB363_25
; %bb.24:
	v_lshlrev_b32_e32 v2, 8, v22
	v_mov_b32_e32 v3, 0
	v_lshl_add_u64 v[4:5], s[0:1], 0, v[2:3]
	v_lshlrev_b32_e32 v2, 1, v18
	v_lshl_add_u64 v[10:11], v[4:5], 0, v[2:3]
	global_load_dwordx4 v[6:9], v[10:11], off
	global_load_dwordx4 v[2:5], v[10:11], off offset:128
.LBB363_25:
	s_or_b64 exec, exec, s[2:3]
	s_mov_b32 s17, s16
	s_mov_b32 s18, s16
	;; [unrolled: 1-line block ×3, first 2 shown]
	v_mov_b64_e32 v[14:15], s[16:17]
	v_mov_b64_e32 v[16:17], s[18:19]
	;; [unrolled: 1-line block ×3, first 2 shown]
	v_cmp_gt_i32_e32 vcc, s27, v20
	v_lshlrev_b32_e32 v21, 7, v20
	v_mov_b64_e32 v[12:13], v[16:17]
	s_and_saveexec_b64 s[2:3], vcc
	s_cbranch_execz .LBB363_27
; %bb.26:
	v_lshlrev_b32_e32 v10, 1, v21
	v_mov_b32_e32 v11, 0
	v_lshl_add_u64 v[12:13], s[0:1], 0, v[10:11]
	v_lshlrev_b32_e32 v10, 1, v18
	v_lshl_add_u64 v[24:25], v[12:13], 0, v[10:11]
	global_load_dwordx4 v[14:17], v[24:25], off
	global_load_dwordx4 v[10:13], v[24:25], off offset:128
.LBB363_27:
	s_or_b64 exec, exec, s[2:3]
	v_lshrrev_b32_e32 v23, 3, v18
	v_lshlrev_b32_e32 v24, 3, v22
	v_or_b32_e32 v23, v24, v23
	v_lshlrev_b32_e32 v23, 4, v23
	v_and_b32_e32 v24, 0x78, v24
	v_xor_b32_e32 v23, v23, v24
	s_branch .LBB363_30
.LBB363_28:
                                        ; implicit-def: $vgpr23
                                        ; implicit-def: $vgpr21
                                        ; implicit-def: $vgpr6_vgpr7_vgpr8_vgpr9
                                        ; implicit-def: $vgpr2_vgpr3_vgpr4_vgpr5
                                        ; implicit-def: $vgpr14_vgpr15_vgpr16_vgpr17
                                        ; implicit-def: $vgpr10_vgpr11_vgpr12_vgpr13
	s_cbranch_execz .LBB363_30
; %bb.29:
	s_waitcnt vmcnt(0)
	v_lshlrev_b32_e32 v2, 1, v18
	v_lshl_or_b32 v21, v22, 8, v2
	s_and_b32 s1, s1, 0xffff
	s_mov_b32 s3, 0x20000
	s_movk_i32 s2, 0x4000
	v_lshl_or_b32 v23, v20, 8, v2
	s_movk_i32 s13, 0x80
	buffer_load_dwordx4 v[6:9], v21, s[0:3], 0 offen
	buffer_load_dwordx4 v[2:5], v21, s[0:3], s13 offen
	;; [unrolled: 1-line block ×4, first 2 shown]
	v_lshrrev_b32_e32 v21, 3, v18
	v_lshlrev_b32_e32 v23, 3, v22
	v_or_b32_e32 v21, v23, v21
	v_lshlrev_b32_e32 v21, 4, v21
	v_and_b32_e32 v23, 0x78, v23
	v_xor_b32_e32 v23, v21, v23
	v_lshlrev_b32_e32 v21, 7, v20
.LBB363_30:
	s_lshl_b64 s[0:1], s[24:25], 8
	s_add_u32 s4, s4, s0
	s_movk_i32 s0, 0x1000
	v_and_or_b32 v20, v21, s0, v23
	s_waitcnt vmcnt(1)
	ds_write_b64 v23, v[6:7] offset:24576
	v_xor_b32_e32 v6, 8, v23
	ds_write_b64 v6, v[8:9] offset:24576
	s_waitcnt vmcnt(0)
	ds_write_b64 v23, v[2:3] offset:32768
	ds_write_b64 v6, v[4:5] offset:32768
	;; [unrolled: 1-line block ×3, first 2 shown]
	v_xor_b32_e32 v2, 8, v20
	ds_write_b64 v2, v[16:17] offset:24576
	ds_write_b64 v20, v[10:11] offset:32768
	ds_write_b64 v2, v[12:13] offset:32768
	v_or_b32_e32 v2, v1, v63
	v_lshlrev_b32_e32 v3, 11, v61
	v_lshlrev_b32_e32 v2, 3, v2
	v_and_b32_e32 v6, 0x1000, v3
	v_lshrrev_b32_e32 v3, 5, v60
	s_movk_i32 s3, 0xf8
	v_and_or_b32 v3, v2, s3, v3
	v_lshlrev_b32_e32 v7, 4, v3
	v_and_b32_e32 v8, 0x78, v2
	v_or_b32_e32 v10, 32, v7
	v_lshrrev_b32_e32 v3, 1, v60
	v_xor_b32_e32 v10, v10, v8
	v_xor_b32_e32 v2, v7, v8
	v_and_b32_e32 v9, 8, v3
	v_or_b32_e32 v10, v10, v6
	v_or_b32_e32 v2, v2, v6
	v_xor_b32_e32 v25, v10, v9
	v_or_b32_e32 v10, 64, v7
	v_xor_b32_e32 v24, v2, v9
	v_xor_b32_e32 v10, v10, v8
	s_waitcnt lgkmcnt(0)
	s_barrier
	v_or_b32_e32 v12, v10, v6
	ds_read_b64 v[10:11], v24 offset:24576
	v_lshl_or_b32 v20, v62, 7, v34
	v_lshlrev_b32_e32 v23, 1, v20
	v_add_u32_e32 v2, 0xa000, v23
	ds_read2_b64 v[2:5], v2 offset1:16
	v_or_b32_e32 v7, 0x60, v7
	v_xor_b32_e32 v7, v7, v8
	s_waitcnt lgkmcnt(0)
	v_mfma_f32_16x16x16_bf16 a[0:3], v[10:11], v[2:3], 0
	v_or_b32_e32 v2, 64, v20
	v_or_b32_e32 v6, v7, v6
	v_lshlrev_b32_e32 v28, 1, v2
	v_xor_b32_e32 v26, v12, v9
	v_xor_b32_e32 v27, v6, v9
	ds_read_b64 v[12:13], v25 offset:24576
	ds_read_b64 v[14:15], v26 offset:24576
	;; [unrolled: 1-line block ×3, first 2 shown]
	v_mfma_f32_16x16x16_bf16 a[4:7], v[10:11], v[4:5], 0
	ds_read2st64_b64 v[2:5], v28 offset0:82 offset1:84
	ds_read2st64_b64 v[6:9], v23 offset0:82 offset1:84
	s_addc_u32 s5, s5, s1
	s_add_i32 s1, s44, s33
	s_add_i32 s0, s12, -1
	s_add_i32 s35, s1, s48
	s_add_i32 s1, s46, s45
	;; [unrolled: 1-line block ×3, first 2 shown]
	s_ashr_i32 s1, s0, 31
	s_mul_i32 s2, s0, s31
	s_mul_hi_u32 s3, s0, s30
	s_add_i32 s2, s3, s2
	s_mul_i32 s1, s1, s30
	s_waitcnt lgkmcnt(1)
	v_mfma_f32_16x16x16_bf16 a[4:7], v[12:13], v[2:3], a[4:7]
	s_add_i32 s1, s2, s1
	s_lshl_b64 s[2:3], s[34:35], 2
	s_add_u32 s10, s10, s2
	s_waitcnt lgkmcnt(0)
	v_mfma_f32_16x16x16_bf16 a[0:3], v[12:13], v[6:7], a[0:3]
	s_addc_u32 s11, s11, s3
	s_lshl_b64 s[2:3], s[36:37], 2
	s_mul_i32 s0, s0, s30
	s_add_u32 s10, s10, s2
	ds_read_b64 v[2:3], v23 offset:44032
	v_mfma_f32_16x16x16_bf16 a[4:7], v[14:15], v[4:5], a[4:7]
	ds_read_b64 v[4:5], v28 offset:44032
	s_addc_u32 s11, s11, s3
	s_lshl_b64 s[0:1], s[0:1], 2
	v_mfma_f32_16x16x16_bf16 a[0:3], v[14:15], v[8:9], a[0:3]
	s_add_u32 s0, s10, s0
	s_addc_u32 s1, s11, s1
	s_load_dword s12, s[0:1], 0x0
	s_waitcnt lgkmcnt(0)
	v_mfma_f32_16x16x16_bf16 a[0:3], v[16:17], v[2:3], a[0:3]
	s_and_b64 vcc, exec, s[22:23]
	v_mfma_f32_16x16x16_bf16 a[4:7], v[16:17], v[4:5], a[4:7]
	s_cbranch_vccz .LBB363_41
; %bb.31:
	v_lshlrev_b32_e32 v20, 1, v22
	s_and_b64 vcc, exec, s[6:7]
	s_cbranch_vccz .LBB363_42
; %bb.32:
	v_cmp_gt_i32_e32 vcc, s27, v20
	v_mov_b32_e32 v6, 0
	v_mov_b32_e32 v2, 0
	;; [unrolled: 1-line block ×5, first 2 shown]
	s_and_saveexec_b64 s[0:1], vcc
	s_cbranch_execz .LBB363_34
; %bb.33:
	v_mad_i64_i32 v[2:3], s[2:3], s15, v20, 0
	v_lshl_add_u64 v[2:3], v[2:3], 1, s[4:5]
	v_lshlrev_b32_e32 v4, 1, v18
	v_mov_b32_e32 v5, 0
	v_lshl_add_u64 v[2:3], v[2:3], 0, v[4:5]
	global_load_dwordx4 v[2:5], v[2:3], off
.LBB363_34:
	s_or_b64 exec, exec, s[0:1]
	v_or_b32_e32 v21, 1, v20
	v_cmp_gt_i32_e64 s[0:1], s27, v21
	v_mov_b32_e32 v7, 0
	v_mov_b32_e32 v8, 0
	;; [unrolled: 1-line block ×3, first 2 shown]
	s_and_saveexec_b64 s[2:3], s[0:1]
	s_cbranch_execz .LBB363_36
; %bb.35:
	v_mad_i64_i32 v[6:7], s[16:17], s15, v21, 0
	v_lshl_add_u64 v[6:7], v[6:7], 1, s[4:5]
	v_lshlrev_b32_e32 v8, 1, v18
	v_mov_b32_e32 v9, 0
	v_lshl_add_u64 v[6:7], v[6:7], 0, v[8:9]
	global_load_dwordx4 v[6:9], v[6:7], off
.LBB363_36:
	s_or_b64 exec, exec, s[2:3]
	v_mov_b32_e32 v17, 0
	v_mov_b32_e32 v10, 0
	;; [unrolled: 1-line block ×5, first 2 shown]
	s_and_saveexec_b64 s[2:3], vcc
	s_cbranch_execz .LBB363_38
; %bb.37:
	v_mad_i64_i32 v[10:11], s[16:17], s15, v20, 0
	v_lshl_add_u64 v[10:11], v[10:11], 1, s[4:5]
	v_lshlrev_b32_e32 v12, 1, v18
	v_mov_b32_e32 v13, 0
	v_lshl_add_u64 v[10:11], v[10:11], 0, v[12:13]
	global_load_dwordx4 v[10:13], v[10:11], off offset:128
.LBB363_38:
	s_or_b64 exec, exec, s[2:3]
	v_mov_b32_e32 v16, 0
	v_mov_b32_e32 v15, 0
	v_mov_b32_e32 v14, 0
	s_and_saveexec_b64 s[2:3], s[0:1]
	s_cbranch_execz .LBB363_40
; %bb.39:
	v_mad_i64_i32 v[14:15], s[0:1], s15, v21, 0
	v_lshl_add_u64 v[14:15], v[14:15], 1, s[4:5]
	v_lshlrev_b32_e32 v16, 1, v18
	v_mov_b32_e32 v17, 0
	v_lshl_add_u64 v[14:15], v[14:15], 0, v[16:17]
	global_load_dwordx4 v[14:17], v[14:15], off offset:128
.LBB363_40:
	s_or_b64 exec, exec, s[2:3]
	s_branch .LBB363_44
.LBB363_41:
                                        ; implicit-def: $vgpr5
                                        ; implicit-def: $vgpr9
                                        ; implicit-def: $vgpr13
                                        ; implicit-def: $vgpr17
	v_lshrrev_b32_e32 v29, 2, v60
	s_branch .LBB363_45
.LBB363_42:
                                        ; implicit-def: $vgpr5
                                        ; implicit-def: $vgpr9
                                        ; implicit-def: $vgpr13
                                        ; implicit-def: $vgpr17
	s_cbranch_execz .LBB363_44
; %bb.43:
	s_waitcnt vmcnt(0)
	v_mad_u64_u32 v[2:3], s[0:1], v20, s15, v[18:19]
	v_lshlrev_b32_e32 v20, 1, v2
	s_lshl_b32 s2, s15, 7
	s_and_b32 s1, s5, 0xffff
	s_mov_b32 s3, 0x20000
	s_mov_b32 s0, s4
	v_add_lshl_u32 v21, v2, s15, 1
	s_movk_i32 s13, 0x80
	buffer_load_dwordx4 v[2:5], v20, s[0:3], 0 offen
	buffer_load_dwordx4 v[10:13], v20, s[0:3], s13 offen
	;; [unrolled: 1-line block ×4, first 2 shown]
.LBB363_44:
	v_lshrrev_b32_e32 v29, 2, v60
	s_cbranch_execnz .LBB363_57
.LBB363_45:
	s_and_b64 vcc, exec, s[6:7]
	s_cbranch_vccz .LBB363_55
; %bb.46:
	s_waitcnt vmcnt(0)
	v_lshlrev_b32_e32 v7, 1, v22
	v_cmp_gt_i32_e32 vcc, s27, v7
	v_mov_b32_e32 v6, 0
	v_lshlrev_b32_e32 v14, 9, v22
	v_mov_b32_e32 v2, 0
	v_mov_b32_e32 v3, 0
	;; [unrolled: 1-line block ×4, first 2 shown]
	s_and_saveexec_b64 s[0:1], vcc
	s_cbranch_execz .LBB363_48
; %bb.47:
	v_mov_b32_e32 v15, 0
	v_lshl_add_u64 v[2:3], s[4:5], 0, v[14:15]
	v_lshlrev_b32_e32 v4, 1, v18
	v_mov_b32_e32 v5, v15
	v_lshl_add_u64 v[2:3], v[2:3], 0, v[4:5]
	global_load_dwordx4 v[2:5], v[2:3], off
.LBB363_48:
	s_or_b64 exec, exec, s[0:1]
	v_or_b32_e32 v7, 1, v7
	v_cmp_gt_i32_e64 s[0:1], s27, v7
	v_lshlrev_b32_e32 v20, 8, v7
	v_mov_b32_e32 v7, 0
	v_mov_b32_e32 v8, 0
	;; [unrolled: 1-line block ×3, first 2 shown]
	s_and_saveexec_b64 s[2:3], s[0:1]
	s_cbranch_execz .LBB363_50
; %bb.49:
	v_mov_b32_e32 v21, 0
	v_lshl_add_u64 v[6:7], s[4:5], 0, v[20:21]
	v_lshlrev_b32_e32 v8, 1, v18
	v_mov_b32_e32 v9, v21
	v_lshl_add_u64 v[6:7], v[6:7], 0, v[8:9]
	global_load_dwordx4 v[6:9], v[6:7], off
.LBB363_50:
	s_or_b64 exec, exec, s[2:3]
	v_mov_b32_e32 v17, 0
	v_mov_b32_e32 v10, 0
	;; [unrolled: 1-line block ×5, first 2 shown]
	s_and_saveexec_b64 s[2:3], vcc
	s_cbranch_execz .LBB363_52
; %bb.51:
	v_mov_b32_e32 v15, 0
	v_lshl_add_u64 v[10:11], s[4:5], 0, v[14:15]
	v_lshlrev_b32_e32 v14, 1, v18
	v_lshl_add_u64 v[10:11], v[10:11], 0, v[14:15]
	global_load_dwordx4 v[10:13], v[10:11], off offset:128
.LBB363_52:
	s_or_b64 exec, exec, s[2:3]
	v_mov_b32_e32 v16, 0
	v_mov_b32_e32 v15, 0
	;; [unrolled: 1-line block ×3, first 2 shown]
	s_and_saveexec_b64 s[2:3], s[0:1]
	s_cbranch_execz .LBB363_54
; %bb.53:
	v_mov_b32_e32 v21, 0
	v_lshl_add_u64 v[14:15], s[4:5], 0, v[20:21]
	v_lshlrev_b32_e32 v20, 1, v18
	v_lshl_add_u64 v[14:15], v[14:15], 0, v[20:21]
	global_load_dwordx4 v[14:17], v[14:15], off offset:128
.LBB363_54:
	s_or_b64 exec, exec, s[2:3]
	s_branch .LBB363_57
.LBB363_55:
                                        ; implicit-def: $vgpr5
                                        ; implicit-def: $vgpr9
                                        ; implicit-def: $vgpr13
                                        ; implicit-def: $vgpr17
	s_cbranch_execz .LBB363_57
; %bb.56:
	s_waitcnt vmcnt(0)
	v_lshlrev_b32_e32 v2, 1, v18
	v_lshl_or_b32 v18, v22, 9, v2
	s_and_b32 s5, s5, 0xffff
	s_mov_b32 s7, 0x20000
	s_movk_i32 s6, 0x4000
	s_movk_i32 s0, 0x80
	buffer_load_dwordx4 v[2:5], v18, s[4:7], 0 offen
	buffer_load_dwordx4 v[6:9], v18, s[4:7], 0 offen offset:256
	buffer_load_dwordx4 v[10:13], v18, s[4:7], s0 offen
	buffer_load_dwordx4 v[14:17], v18, s[4:7], s0 offen offset:256
.LBB363_57:
	ds_read_b64 v[20:21], v24 offset:32768
	v_add_u32_e32 v18, 0xb000, v23
	ds_read2_b64 v[30:33], v18 offset1:16
	ds_read_b64 v[36:37], v25 offset:32768
	ds_read_b64 v[38:39], v26 offset:32768
	;; [unrolled: 1-line block ×3, first 2 shown]
	v_and_b32_e32 v18, 6, v0
	v_xor_b32_e32 v22, v22, v18
	v_lshlrev_b32_e32 v22, 2, v22
	v_and_b32_e32 v0, 1, v0
	v_cmp_eq_u32_e32 vcc, 0, v0
	s_mov_b32 s0, 0x1000504
	s_waitcnt lgkmcnt(3)
	v_mfma_f32_16x16x16_bf16 a[0:3], v[20:21], v[30:31], a[0:3]
	s_mov_b32 s1, 0x3020706
	v_mfma_f32_16x16x16_bf16 a[4:7], v[20:21], v[32:33], a[4:7]
	ds_read2st64_b64 v[24:27], v23 offset0:90 offset1:92
	ds_read2st64_b64 v[30:33], v28 offset0:90 offset1:92
	s_waitcnt lgkmcnt(1)
	v_mfma_f32_16x16x16_bf16 a[0:3], v[36:37], v[24:25], a[0:3]
	ds_read_b64 v[20:21], v23 offset:48128
	ds_read_b64 v[24:25], v28 offset:48128
	v_xor_b32_e32 v23, 0x440, v22
	v_cndmask_b32_e32 v0, v23, v22, vcc
	s_waitcnt lgkmcnt(2)
	v_mfma_f32_16x16x16_bf16 a[4:7], v[36:37], v[30:31], a[4:7]
	v_lshl_or_b32 v0, v18, 10, v0
	s_waitcnt vmcnt(0)
	v_perm_b32 v18, v2, v6, s0
	v_perm_b32 v2, v2, v6, s1
	v_mfma_f32_16x16x16_bf16 a[0:3], v[38:39], v[26:27], a[0:3]
	v_perm_b32 v6, v10, v14, s1
	v_mfma_f32_16x16x16_bf16 a[8:11], v[38:39], v[32:33], a[4:7]
	s_waitcnt lgkmcnt(1)
	v_mfma_f32_16x16x16_bf16 a[4:7], v[40:41], v[20:21], a[0:3]
	v_perm_b32 v20, v10, v14, s0
	ds_write2st64_b32 v0, v18, v20 offset0:32 offset1:64
	v_xor_b32_e32 v18, 8, v0
	v_add_u32_e32 v10, 0x80, v18
	ds_write2st64_b32 v10, v2, v6 offset0:32 offset1:64
	v_xor_b32_e32 v2, 16, v0
	v_perm_b32 v6, v3, v7, s0
	v_perm_b32 v10, v11, v15, s0
	ds_write2st64_b32 v2, v6, v10 offset0:33 offset1:65
	v_xor_b32_e32 v2, 24, v0
	v_perm_b32 v3, v3, v7, s1
	v_perm_b32 v6, v11, v15, s1
	v_add_u32_e32 v2, 0x80, v2
	ds_write2st64_b32 v2, v3, v6 offset0:33 offset1:65
	v_xor_b32_e32 v2, 32, v0
	v_perm_b32 v3, v4, v8, s0
	v_perm_b32 v6, v12, v16, s0
	s_waitcnt lgkmcnt(4)
	v_mfma_f32_16x16x16_bf16 a[0:3], v[40:41], v[24:25], a[8:11]
	ds_write2st64_b32 v2, v3, v6 offset0:34 offset1:66
	v_xor_b32_e32 v2, 40, v0
	v_perm_b32 v3, v4, v8, s1
	v_perm_b32 v4, v12, v16, s1
	v_add_u32_e32 v2, 0x80, v2
	ds_write2st64_b32 v2, v3, v4 offset0:34 offset1:66
	v_xor_b32_e32 v2, 48, v0
	v_perm_b32 v3, v5, v9, s0
	v_perm_b32 v4, v13, v17, s0
	v_xor_b32_e32 v0, 56, v0
	v_and_or_b32 v21, v29, 12, v1
	ds_write2st64_b32 v2, v3, v4 offset0:35 offset1:67
	v_perm_b32 v2, v5, v9, s1
	v_perm_b32 v3, v13, v17, s1
	v_add_u32_e32 v0, 0x80, v0
	v_cmp_gt_i32_e32 vcc, s27, v21
	v_mov_b32_e32 v16, 0
	v_mov_b32_e32 v18, 0
	ds_write2st64_b32 v0, v2, v3 offset0:35 offset1:67
	s_and_saveexec_b64 s[0:1], vcc
	s_cbranch_execz .LBB363_59
; %bb.58:
	v_add_u32_e32 v0, s26, v21
	v_ashrrev_i32_e32 v1, 31, v0
	v_mul_lo_u32 v2, v1, s30
	v_mul_lo_u32 v3, v0, s31
	v_mad_u64_u32 v[0:1], s[2:3], v0, s30, 0
	v_add3_u32 v1, v1, v3, v2
	v_lshl_add_u64 v[0:1], v[0:1], 2, s[10:11]
	global_load_dword v0, v[0:1], off
	s_waitcnt vmcnt(0)
	v_sub_f32_e32 v0, s12, v0
	v_mul_f32_e32 v0, 0x3fb8aa3b, v0
	v_exp_f32_e32 v18, v0
.LBB363_59:
	s_or_b64 exec, exec, s[0:1]
	v_or_b32_e32 v10, 1, v21
	v_cmp_gt_i32_e64 s[0:1], s27, v10
	s_and_saveexec_b64 s[2:3], s[0:1]
	s_cbranch_execz .LBB363_61
; %bb.60:
	v_add_u32_e32 v0, s26, v10
	v_ashrrev_i32_e32 v1, 31, v0
	v_mul_lo_u32 v2, v1, s30
	v_mul_lo_u32 v3, v0, s31
	v_mad_u64_u32 v[0:1], s[4:5], v0, s30, 0
	v_add3_u32 v1, v1, v3, v2
	v_lshl_add_u64 v[0:1], v[0:1], 2, s[10:11]
	global_load_dword v0, v[0:1], off
	s_waitcnt vmcnt(0)
	v_sub_f32_e32 v0, s12, v0
	v_mul_f32_e32 v0, 0x3fb8aa3b, v0
	v_exp_f32_e32 v16, v0
.LBB363_61:
	s_or_b64 exec, exec, s[2:3]
	v_or_b32_e32 v12, 2, v21
	v_cmp_gt_i32_e64 s[2:3], s27, v12
	v_mov_b32_e32 v17, 0
	v_mov_b32_e32 v20, 0
	s_and_saveexec_b64 s[4:5], s[2:3]
	s_cbranch_execz .LBB363_63
; %bb.62:
	v_add_u32_e32 v0, s26, v12
	v_ashrrev_i32_e32 v1, 31, v0
	v_mul_lo_u32 v2, v1, s30
	v_mul_lo_u32 v3, v0, s31
	v_mad_u64_u32 v[0:1], s[6:7], v0, s30, 0
	v_add3_u32 v1, v1, v3, v2
	v_lshl_add_u64 v[0:1], v[0:1], 2, s[10:11]
	global_load_dword v0, v[0:1], off
	s_waitcnt vmcnt(0)
	v_sub_f32_e32 v0, s12, v0
	v_mul_f32_e32 v0, 0x3fb8aa3b, v0
	v_exp_f32_e32 v20, v0
.LBB363_63:
	s_or_b64 exec, exec, s[4:5]
	v_or_b32_e32 v14, 3, v21
	v_cmp_gt_i32_e64 s[4:5], s27, v14
	s_and_saveexec_b64 s[6:7], s[4:5]
	s_cbranch_execz .LBB363_65
; %bb.64:
	v_add_u32_e32 v0, s26, v14
	v_ashrrev_i32_e32 v1, 31, v0
	v_mul_lo_u32 v2, v1, s30
	v_mul_lo_u32 v3, v0, s31
	v_mad_u64_u32 v[0:1], s[14:15], v0, s30, 0
	v_add3_u32 v1, v1, v3, v2
	v_lshl_add_u64 v[0:1], v[0:1], 2, s[10:11]
	global_load_dword v0, v[0:1], off
	s_waitcnt vmcnt(0)
	v_sub_f32_e32 v0, s12, v0
	v_mul_f32_e32 v0, 0x3fb8aa3b, v0
	v_exp_f32_e32 v17, v0
.LBB363_65:
	s_or_b64 exec, exec, s[6:7]
	s_add_u32 s6, s8, s20
	s_addc_u32 s7, s9, s21
	s_add_u32 s8, s28, s20
	v_ashrrev_i32_e32 v51, 31, v50
	v_accvgpr_read_b32 v0, a4
	s_addc_u32 s9, s29, s21
	v_lshlrev_b64 v[4:5], 1, v[50:51]
	v_accvgpr_read_b32 v1, a5
	v_accvgpr_read_b32 v2, a6
	;; [unrolled: 1-line block ×3, first 2 shown]
	v_lshl_add_u64 v[6:7], s[6:7], 0, v[4:5]
	v_lshl_add_u64 v[4:5], s[8:9], 0, v[4:5]
	v_mov_b32_e32 v11, 0
	v_lshlrev_b32_e32 v8, 8, v21
	v_mov_b32_e32 v9, 0
	s_and_saveexec_b64 s[6:7], vcc
	s_cbranch_execz .LBB363_67
; %bb.66:
	v_mov_b32_e32 v9, 0
	v_lshl_add_u64 v[22:23], v[6:7], 0, v[8:9]
	global_load_ushort v13, v[22:23], off
	v_lshl_add_u64 v[22:23], v[4:5], 0, v[8:9]
	s_waitcnt vmcnt(0)
	v_lshlrev_b32_e32 v9, 16, v13
	v_sub_f32_e32 v0, v9, v0
	global_store_short_d16_hi v[22:23], v0, off
	v_mul_f32_e32 v0, v18, v0
	v_lshrrev_b32_e32 v9, 16, v0
.LBB363_67:
	s_or_b64 exec, exec, s[6:7]
	v_lshlrev_b32_e32 v10, 8, v10
	s_and_saveexec_b64 s[6:7], s[0:1]
	s_cbranch_execz .LBB363_69
; %bb.68:
	v_mov_b32_e32 v11, 0
	v_lshl_add_u64 v[22:23], v[6:7], 0, v[10:11]
	global_load_ushort v0, v[22:23], off
	v_lshl_add_u64 v[22:23], v[4:5], 0, v[10:11]
	s_waitcnt vmcnt(0)
	v_lshlrev_b32_e32 v0, 16, v0
	v_sub_f32_e32 v0, v0, v1
	global_store_short_d16_hi v[22:23], v0, off
	v_mul_f32_e32 v0, v16, v0
	v_lshrrev_b32_e32 v11, 16, v0
.LBB363_69:
	s_or_b64 exec, exec, s[6:7]
	v_mov_b32_e32 v15, 0
	v_lshlrev_b32_e32 v12, 8, v12
	v_mov_b32_e32 v13, 0
	s_and_saveexec_b64 s[6:7], s[2:3]
	s_cbranch_execz .LBB363_71
; %bb.70:
	v_mov_b32_e32 v13, 0
	v_lshl_add_u64 v[0:1], v[6:7], 0, v[12:13]
	global_load_ushort v22, v[0:1], off
	v_lshl_add_u64 v[0:1], v[4:5], 0, v[12:13]
	s_waitcnt vmcnt(0)
	v_lshlrev_b32_e32 v13, 16, v22
	v_sub_f32_e32 v2, v13, v2
	global_store_short_d16_hi v[0:1], v2, off
	v_mul_f32_e32 v0, v20, v2
	v_lshrrev_b32_e32 v13, 16, v0
.LBB363_71:
	s_or_b64 exec, exec, s[6:7]
	v_lshlrev_b32_e32 v14, 8, v14
	s_and_saveexec_b64 s[6:7], s[4:5]
	s_cbranch_execz .LBB363_73
; %bb.72:
	v_mov_b32_e32 v15, 0
	v_lshl_add_u64 v[0:1], v[6:7], 0, v[14:15]
	global_load_ushort v2, v[0:1], off
	v_lshl_add_u64 v[0:1], v[4:5], 0, v[14:15]
	s_waitcnt vmcnt(0)
	v_lshlrev_b32_e32 v2, 16, v2
	v_sub_f32_e32 v2, v2, v3
	global_store_short_d16_hi v[0:1], v2, off
	v_mul_f32_e32 v0, v17, v2
	v_lshrrev_b32_e32 v15, 16, v0
.LBB363_73:
	s_or_b64 exec, exec, s[6:7]
	v_lshlrev_b32_e32 v21, 5, v21
	s_mov_b32 s6, 0x5040100
	v_perm_b32 v22, v11, v9, s6
	v_or_b32_e32 v9, v21, v34
	v_accvgpr_read_b32 v0, a0
	v_perm_b32 v23, v15, v13, s6
	v_lshlrev_b32_e32 v9, 1, v9
	v_accvgpr_read_b32 v1, a1
	v_accvgpr_read_b32 v2, a2
	;; [unrolled: 1-line block ×3, first 2 shown]
	ds_write_b64 v9, v[22:23] offset:45056
	v_mov_b32_e32 v11, 0
	v_mov_b32_e32 v9, 0
	s_and_saveexec_b64 s[6:7], vcc
	s_cbranch_execz .LBB363_75
; %bb.74:
	v_mov_b32_e32 v9, 0
	v_lshl_add_u64 v[22:23], v[6:7], 0, v[8:9]
	global_load_ushort v13, v[22:23], off offset:32
	v_lshl_add_u64 v[8:9], v[4:5], 0, v[8:9]
	s_waitcnt vmcnt(0)
	v_lshlrev_b32_e32 v13, 16, v13
	v_sub_f32_e32 v0, v13, v0
	global_store_short_d16_hi v[8:9], v0, off offset:32
	v_mul_f32_e32 v0, v18, v0
	v_lshrrev_b32_e32 v9, 16, v0
.LBB363_75:
	s_or_b64 exec, exec, s[6:7]
	s_and_saveexec_b64 s[6:7], s[0:1]
	s_cbranch_execz .LBB363_77
; %bb.76:
	v_mov_b32_e32 v11, 0
	v_lshl_add_u64 v[22:23], v[6:7], 0, v[10:11]
	global_load_ushort v0, v[22:23], off offset:32
	v_lshl_add_u64 v[10:11], v[4:5], 0, v[10:11]
	s_waitcnt vmcnt(0)
	v_lshlrev_b32_e32 v0, 16, v0
	v_sub_f32_e32 v0, v0, v1
	global_store_short_d16_hi v[10:11], v0, off offset:32
	v_mul_f32_e32 v0, v16, v0
	v_lshrrev_b32_e32 v11, 16, v0
.LBB363_77:
	s_or_b64 exec, exec, s[6:7]
	v_mov_b32_e32 v0, 0
	v_mov_b32_e32 v1, 0
	s_and_saveexec_b64 s[0:1], s[2:3]
	s_cbranch_execz .LBB363_79
; %bb.78:
	v_mov_b32_e32 v13, 0
	v_lshl_add_u64 v[22:23], v[6:7], 0, v[12:13]
	global_load_ushort v1, v[22:23], off offset:32
	v_lshl_add_u64 v[12:13], v[4:5], 0, v[12:13]
	s_waitcnt vmcnt(0)
	v_lshlrev_b32_e32 v1, 16, v1
	v_sub_f32_e32 v1, v1, v2
	global_store_short_d16_hi v[12:13], v1, off offset:32
	v_mul_f32_e32 v1, v20, v1
	v_lshrrev_b32_e32 v1, 16, v1
.LBB363_79:
	s_or_b64 exec, exec, s[0:1]
	s_and_saveexec_b64 s[0:1], s[4:5]
	s_cbranch_execz .LBB363_81
; %bb.80:
	v_mov_b32_e32 v15, 0
	v_lshl_add_u64 v[6:7], v[6:7], 0, v[14:15]
	global_load_ushort v0, v[6:7], off offset:32
	v_lshl_add_u64 v[4:5], v[4:5], 0, v[14:15]
	s_waitcnt vmcnt(0)
	v_lshlrev_b32_e32 v0, 16, v0
	v_sub_f32_e32 v0, v0, v3
	global_store_short_d16_hi v[4:5], v0, off offset:32
	v_mul_f32_e32 v0, v17, v0
	v_lshrrev_b32_e32 v0, 16, v0
.LBB363_81:
	s_or_b64 exec, exec, s[0:1]
	s_mov_b32 s0, 0x5040100
	v_or_b32_e32 v2, v21, v19
	v_perm_b32 v1, v0, v1, s0
	v_perm_b32 v0, v11, v9, s0
	v_lshlrev_b32_e32 v2, 1, v2
	ds_write_b64 v2, v[0:1] offset:45056
	s_waitcnt lgkmcnt(0)
	s_barrier
.LBB363_82:
	s_endpgm
	.section	.rodata,"a",@progbits
	.p2align	6, 0x0
	.amdhsa_kernel _ZN12_GLOBAL__N_139chunk_gated_delta_rule_fwd_h_hip_kernelILi32ELb1ELb0ELb1ELb0ELb0ELb0ELb1ELb1EEEvPK12hip_bfloat16S3_S3_PKfS5_PKvPS1_S8_PvPKiSB_iiiiilll
		.amdhsa_group_segment_fixed_size 49152
		.amdhsa_private_segment_fixed_size 0
		.amdhsa_kernarg_size 136
		.amdhsa_user_sgpr_count 2
		.amdhsa_user_sgpr_dispatch_ptr 0
		.amdhsa_user_sgpr_queue_ptr 0
		.amdhsa_user_sgpr_kernarg_segment_ptr 1
		.amdhsa_user_sgpr_dispatch_id 0
		.amdhsa_user_sgpr_kernarg_preload_length 0
		.amdhsa_user_sgpr_kernarg_preload_offset 0
		.amdhsa_user_sgpr_private_segment_size 0
		.amdhsa_uses_dynamic_stack 0
		.amdhsa_enable_private_segment 0
		.amdhsa_system_sgpr_workgroup_id_x 1
		.amdhsa_system_sgpr_workgroup_id_y 1
		.amdhsa_system_sgpr_workgroup_id_z 0
		.amdhsa_system_sgpr_workgroup_info 0
		.amdhsa_system_vgpr_workitem_id 0
		.amdhsa_next_free_vgpr 152
		.amdhsa_next_free_sgpr 70
		.amdhsa_accum_offset 136
		.amdhsa_reserve_vcc 1
		.amdhsa_float_round_mode_32 0
		.amdhsa_float_round_mode_16_64 0
		.amdhsa_float_denorm_mode_32 3
		.amdhsa_float_denorm_mode_16_64 3
		.amdhsa_dx10_clamp 1
		.amdhsa_ieee_mode 1
		.amdhsa_fp16_overflow 0
		.amdhsa_tg_split 0
		.amdhsa_exception_fp_ieee_invalid_op 0
		.amdhsa_exception_fp_denorm_src 0
		.amdhsa_exception_fp_ieee_div_zero 0
		.amdhsa_exception_fp_ieee_overflow 0
		.amdhsa_exception_fp_ieee_underflow 0
		.amdhsa_exception_fp_ieee_inexact 0
		.amdhsa_exception_int_div_zero 0
	.end_amdhsa_kernel
	.section	.text._ZN12_GLOBAL__N_139chunk_gated_delta_rule_fwd_h_hip_kernelILi32ELb1ELb0ELb1ELb0ELb0ELb0ELb1ELb1EEEvPK12hip_bfloat16S3_S3_PKfS5_PKvPS1_S8_PvPKiSB_iiiiilll,"axG",@progbits,_ZN12_GLOBAL__N_139chunk_gated_delta_rule_fwd_h_hip_kernelILi32ELb1ELb0ELb1ELb0ELb0ELb0ELb1ELb1EEEvPK12hip_bfloat16S3_S3_PKfS5_PKvPS1_S8_PvPKiSB_iiiiilll,comdat
.Lfunc_end363:
	.size	_ZN12_GLOBAL__N_139chunk_gated_delta_rule_fwd_h_hip_kernelILi32ELb1ELb0ELb1ELb0ELb0ELb0ELb1ELb1EEEvPK12hip_bfloat16S3_S3_PKfS5_PKvPS1_S8_PvPKiSB_iiiiilll, .Lfunc_end363-_ZN12_GLOBAL__N_139chunk_gated_delta_rule_fwd_h_hip_kernelILi32ELb1ELb0ELb1ELb0ELb0ELb0ELb1ELb1EEEvPK12hip_bfloat16S3_S3_PKfS5_PKvPS1_S8_PvPKiSB_iiiiilll
                                        ; -- End function
	.section	.AMDGPU.csdata,"",@progbits
; Kernel info:
; codeLenInByte = 8844
; NumSgprs: 76
; NumVgprs: 134
; NumAgprs: 16
; TotalNumVgprs: 152
; ScratchSize: 0
; MemoryBound: 0
; FloatMode: 240
; IeeeMode: 1
; LDSByteSize: 49152 bytes/workgroup (compile time only)
; SGPRBlocks: 9
; VGPRBlocks: 18
; NumSGPRsForWavesPerEU: 76
; NumVGPRsForWavesPerEU: 152
; AccumOffset: 136
; Occupancy: 1
; WaveLimiterHint : 1
; COMPUTE_PGM_RSRC2:SCRATCH_EN: 0
; COMPUTE_PGM_RSRC2:USER_SGPR: 2
; COMPUTE_PGM_RSRC2:TRAP_HANDLER: 0
; COMPUTE_PGM_RSRC2:TGID_X_EN: 1
; COMPUTE_PGM_RSRC2:TGID_Y_EN: 1
; COMPUTE_PGM_RSRC2:TGID_Z_EN: 0
; COMPUTE_PGM_RSRC2:TIDIG_COMP_CNT: 0
; COMPUTE_PGM_RSRC3_GFX90A:ACCUM_OFFSET: 33
; COMPUTE_PGM_RSRC3_GFX90A:TG_SPLIT: 0
	.section	.text._ZN12_GLOBAL__N_139chunk_gated_delta_rule_fwd_h_hip_kernelILi32ELb1ELb0ELb0ELb0ELb0ELb0ELb1ELb1EEEvPK12hip_bfloat16S3_S3_PKfS5_PKvPS1_S8_PvPKiSB_iiiiilll,"axG",@progbits,_ZN12_GLOBAL__N_139chunk_gated_delta_rule_fwd_h_hip_kernelILi32ELb1ELb0ELb0ELb0ELb0ELb0ELb1ELb1EEEvPK12hip_bfloat16S3_S3_PKfS5_PKvPS1_S8_PvPKiSB_iiiiilll,comdat
	.globl	_ZN12_GLOBAL__N_139chunk_gated_delta_rule_fwd_h_hip_kernelILi32ELb1ELb0ELb0ELb0ELb0ELb0ELb1ELb1EEEvPK12hip_bfloat16S3_S3_PKfS5_PKvPS1_S8_PvPKiSB_iiiiilll ; -- Begin function _ZN12_GLOBAL__N_139chunk_gated_delta_rule_fwd_h_hip_kernelILi32ELb1ELb0ELb0ELb0ELb0ELb0ELb1ELb1EEEvPK12hip_bfloat16S3_S3_PKfS5_PKvPS1_S8_PvPKiSB_iiiiilll
	.p2align	8
	.type	_ZN12_GLOBAL__N_139chunk_gated_delta_rule_fwd_h_hip_kernelILi32ELb1ELb0ELb0ELb0ELb0ELb0ELb1ELb1EEEvPK12hip_bfloat16S3_S3_PKfS5_PKvPS1_S8_PvPKiSB_iiiiilll,@function
_ZN12_GLOBAL__N_139chunk_gated_delta_rule_fwd_h_hip_kernelILi32ELb1ELb0ELb0ELb0ELb0ELb0ELb1ELb1EEEvPK12hip_bfloat16S3_S3_PKfS5_PKvPS1_S8_PvPKiSB_iiiiilll: ; @_ZN12_GLOBAL__N_139chunk_gated_delta_rule_fwd_h_hip_kernelILi32ELb1ELb0ELb0ELb0ELb0ELb0ELb1ELb1EEEvPK12hip_bfloat16S3_S3_PKfS5_PKvPS1_S8_PvPKiSB_iiiiilll
; %bb.0:
	s_load_dwordx4 s[12:15], s[0:1], 0x5c
	s_load_dwordx4 s[16:19], s[0:1], 0x28
	s_abs_i32 s6, s3
	s_ashr_i32 s5, s3, 31
	v_and_b32_e32 v61, 15, v0
	s_waitcnt lgkmcnt(0)
	s_abs_i32 s4, s13
	v_cvt_f32_u32_e32 v1, s4
	s_sub_i32 s8, 0, s4
	s_ashr_i32 s7, s13, 31
	s_xor_b32 s5, s5, s7
	v_rcp_iflag_f32_e32 v1, v1
	v_lshrrev_b32_e32 v59, 6, v0
	v_bfe_u32 v60, v0, 4, 2
	v_mov_b32_e32 v7, 0
	v_mul_f32_e32 v1, 0x4f7ffffe, v1
	v_cvt_u32_f32_e32 v1, v1
	v_and_b32_e32 v58, 63, v0
	v_lshlrev_b32_e32 v62, 3, v0
	v_lshrrev_b32_e32 v63, 3, v58
	v_readfirstlane_b32 s9, v1
	s_mul_i32 s8, s8, s9
	s_mul_hi_u32 s8, s9, s8
	s_add_i32 s9, s9, s8
	s_mul_hi_u32 s8, s6, s9
	s_mul_i32 s9, s8, s4
	s_sub_i32 s6, s6, s9
	s_add_i32 s10, s8, 1
	s_sub_i32 s9, s6, s4
	s_cmp_ge_u32 s6, s4
	s_cselect_b32 s8, s10, s8
	s_cselect_b32 s6, s9, s6
	s_add_i32 s9, s8, 1
	s_cmp_ge_u32 s6, s4
	s_cselect_b32 s6, s9, s8
	s_xor_b32 s6, s6, s5
	s_sub_i32 s49, s6, s5
	s_mul_i32 s6, s49, s13
	s_sub_i32 s47, s3, s6
	s_abs_i32 s3, s14
	v_cvt_f32_u32_e32 v1, s3
	s_add_i32 s8, s12, 63
	s_ashr_i32 s9, s8, 31
	s_lshr_b32 s5, s9, 26
	v_rcp_iflag_f32_e32 v1, v1
	s_ashr_i32 s48, s12, 31
	s_add_i32 s8, s8, s5
	s_lshr_b32 s5, s48, 26
	v_mul_f32_e32 v1, 0x4f7ffffe, v1
	v_cvt_u32_f32_e32 v1, v1
	s_add_i32 s5, s12, s5
	s_ashr_i32 s52, s14, 31
	s_ashr_i32 s24, s8, 6
	;; [unrolled: 1-line block ×3, first 2 shown]
	s_xor_b32 s5, s7, s52
	s_sub_i32 s7, 0, s3
	v_readfirstlane_b32 s8, v1
	s_mul_i32 s7, s7, s8
	s_mul_hi_u32 s7, s8, s7
	s_add_i32 s8, s8, s7
	s_mul_hi_u32 s7, s4, s8
	s_mul_i32 s8, s7, s3
	s_sub_i32 s4, s4, s8
	s_lshl_b32 s2, s2, 5
	s_add_i32 s8, s7, 1
	s_sub_i32 s9, s4, s3
	s_cmp_ge_u32 s4, s3
	s_cselect_b32 s7, s8, s7
	s_cselect_b32 s4, s9, s4
	s_add_i32 s8, s7, 1
	s_cmp_ge_u32 s4, s3
	s_cselect_b32 s3, s8, s7
	s_xor_b32 s3, s3, s5
	s_sub_i32 s3, s3, s5
	s_abs_i32 s4, s3
	v_cvt_f32_u32_e32 v1, s4
	s_sub_i32 s7, 0, s4
	s_abs_i32 s5, s47
	s_xor_b32 s3, s47, s3
	v_rcp_iflag_f32_e32 v1, v1
	s_ashr_i32 s3, s3, 31
	v_or_b32_e32 v50, s2, v61
	v_lshlrev_b32_e32 v2, 7, v50
	v_mul_f32_e32 v1, 0x4f7ffffe, v1
	v_cvt_u32_f32_e32 v1, v1
	v_ashrrev_i32_e32 v3, 31, v2
	s_mul_i32 s54, s49, s24
	v_readfirstlane_b32 s8, v1
	s_mul_i32 s7, s7, s8
	s_mul_hi_u32 s7, s8, s7
	s_add_i32 s8, s8, s7
	s_mul_hi_u32 s7, s5, s8
	s_mul_i32 s8, s7, s4
	s_sub_i32 s5, s5, s8
	s_add_i32 s8, s7, 1
	s_sub_i32 s9, s5, s4
	s_cmp_ge_u32 s5, s4
	s_cselect_b32 s7, s8, s7
	s_cselect_b32 s5, s9, s5
	s_add_i32 s8, s7, 1
	s_cmp_ge_u32 s5, s4
	s_cselect_b32 s4, s8, s7
	s_xor_b32 s4, s4, s3
	s_sub_i32 s53, s4, s3
	s_ashr_i32 s3, s49, 31
	s_ashr_i32 s51, s47, 31
	s_mul_hi_i32 s4, s49, s13
	s_add_u32 s36, s6, s47
	s_addc_u32 s37, s4, s51
	s_lshl_b64 s[4:5], s[36:37], 15
	s_add_u32 s4, s16, s4
	s_addc_u32 s5, s17, s5
	v_lshlrev_b32_e32 v1, 4, v59
	v_lshl_add_u64 v[4:5], v[2:3], 1, s[4:5]
	v_or_b32_e32 v2, 0x800, v2
	v_lshl_or_b32 v64, v60, 2, v1
	v_ashrrev_i32_e32 v3, 31, v2
	v_lshlrev_b32_e32 v6, 1, v64
	v_lshl_add_u64 v[2:3], v[2:3], 1, s[4:5]
	v_lshl_add_u64 v[4:5], v[4:5], 0, v[6:7]
	;; [unrolled: 1-line block ×3, first 2 shown]
	global_load_dwordx2 v[8:9], v[4:5], off
	v_or_b32_e32 v65, 64, v64
	global_load_dwordx2 v[4:5], v[4:5], off offset:128
	s_nop 0
	global_load_dwordx2 v[6:7], v[2:3], off
	global_load_dwordx2 v[10:11], v[2:3], off offset:128
	s_load_dwordx8 s[4:11], s[0:1], 0x0
	s_load_dwordx2 s[28:29], s[0:1], 0x80
	s_load_dwordx4 s[20:23], s[0:1], 0x70
	s_mul_hi_u32 s55, s36, s12
	s_mul_i32 s16, s36, s12
	s_mul_i32 s37, s37, s12
	s_cmp_lt_i32 s12, 64
	s_waitcnt lgkmcnt(0)
	s_mul_i32 s33, s49, s21
	s_mul_hi_u32 s42, s49, s20
	s_mul_i32 s30, s49, s20
	s_mul_i32 s43, s47, s23
	s_mul_hi_u32 s44, s47, s22
	s_mul_i32 s46, s3, s20
	s_mul_i32 s45, s51, s22
	;; [unrolled: 1-line block ×3, first 2 shown]
	s_waitcnt vmcnt(3)
	v_and_b32_e32 v19, 0xffff0000, v8
	v_lshlrev_b32_e32 v18, 16, v8
	v_and_b32_e32 v21, 0xffff0000, v9
	v_lshlrev_b32_e32 v20, 16, v9
	s_waitcnt vmcnt(2)
	v_and_b32_e32 v23, 0xffff0000, v4
	v_lshlrev_b32_e32 v22, 16, v4
	v_and_b32_e32 v25, 0xffff0000, v5
	v_lshlrev_b32_e32 v24, 16, v5
	;; [unrolled: 5-line block ×4, first 2 shown]
	s_cbranch_scc1 .LBB364_17
; %bb.1:
	s_add_i32 s17, s55, s37
	s_lshl_b64 s[0:1], s[16:17], 8
	v_and_b32_e32 v67, 56, v62
	s_add_u32 s20, s6, s0
	v_lshl_or_b32 v66, v59, 3, v63
	v_lshlrev_b32_e32 v2, 1, v67
	s_addc_u32 s0, s7, s1
	v_lshl_or_b32 v68, v66, 8, v2
	s_and_b32 s21, s0, 0xffff
	s_mov_b32 s23, 0x20000
	s_movk_i32 s22, 0x4000
	s_movk_i32 s0, 0x80
	v_or_b32_e32 v69, 0x2000, v68
	buffer_load_dwordx4 v[4:7], v68, s[20:23], 0 offen
	buffer_load_dwordx4 v[8:11], v68, s[20:23], s0 offen
	;; [unrolled: 1-line block ×4, first 2 shown]
	v_lshlrev_b32_e32 v3, 3, v66
	v_and_or_b32 v17, v0, 7, v3
	v_and_b32_e32 v3, 0x78, v3
	v_lshlrev_b32_e32 v17, 4, v17
	v_xor_b32_e32 v70, v17, v3
	v_mul_lo_u32 v16, v66, s15
	v_or_b32_e32 v71, 0x1000, v70
	v_xor_b32_e32 v3, 8, v70
	s_cmpk_eq_i32 s15, 0x80
	s_mov_b32 s56, s14
	v_xor_b32_e32 v17, 8, v71
	s_cselect_b64 s[0:1], -1, 0
	s_cmpk_lg_i32 s15, 0x80
	s_waitcnt vmcnt(3)
	ds_write_b64 v70, v[4:5] offset:24576
	ds_write_b64 v3, v[6:7] offset:24576
	s_waitcnt vmcnt(2)
	ds_write_b64 v70, v[8:9] offset:32768
	ds_write_b64 v3, v[10:11] offset:32768
	;; [unrolled: 3-line block ×4, first 2 shown]
	v_lshl_add_u32 v3, v16, 1, v67
	s_cbranch_scc0 .LBB364_3
; %bb.2:
	v_lshlrev_b32_e32 v5, 1, v3
	v_add_lshl_u32 v4, v3, s15, 1
	s_lshl_b32 s22, s15, 7
	v_lshl_or_b32 v2, v66, 9, v2
	s_cbranch_execz .LBB364_4
	s_branch .LBB364_5
.LBB364_3:
                                        ; implicit-def: $vgpr4
                                        ; implicit-def: $vgpr5
                                        ; implicit-def: $sgpr22
	v_lshl_or_b32 v2, v66, 9, v2
.LBB364_4:
	v_or_b32_e32 v4, 0x100, v2
	s_movk_i32 s22, 0x4000
	v_mov_b32_e32 v5, v2
.LBB364_5:
	s_mul_hi_u32 s20, s14, s12
	s_mul_i32 s21, s52, s12
	s_add_i32 s20, s20, s21
	s_mul_i32 s21, s14, s12
	s_mul_i32 s23, s21, s3
	s_mul_hi_u32 s24, s21, s49
	s_add_i32 s23, s24, s23
	s_mul_i32 s20, s20, s49
	s_add_i32 s23, s23, s20
	s_mul_i32 s21, s21, s49
	s_ashr_i32 s57, s53, 31
	s_add_u32 s20, s21, s53
	s_addc_u32 s21, s23, s57
	s_lshl_b64 s[20:21], s[20:21], 8
	s_add_u32 s20, s4, s20
	s_addc_u32 s21, s5, s21
	s_and_b32 s21, s21, 0xffff
	s_mov_b32 s23, 0x20000
	s_movk_i32 s58, 0x80
	buffer_load_dwordx4 v[6:9], v5, s[20:23], 0 offen
	buffer_load_dwordx4 v[10:13], v5, s[20:23], s58 offen
	;; [unrolled: 1-line block ×4, first 2 shown]
	v_and_b32_e32 v4, 6, v0
	v_lshlrev_b32_e32 v39, 6, v64
	v_or_b32_e32 v41, 16, v61
	v_xor_b32_e32 v42, v66, v4
	v_and_b32_e32 v5, 1, v0
	v_lshl_or_b32 v45, v61, 3, v39
	v_lshl_or_b32 v39, v41, 3, v39
	v_lshlrev_b32_e32 v42, 2, v42
	s_mul_i32 s3, s3, s12
	s_mul_hi_u32 s20, s49, s12
	v_lshlrev_b32_e32 v38, 2, v61
	v_or_b32_e32 v74, 0xa000, v39
	v_or_b32_e32 v75, 0xb000, v39
	v_xor_b32_e32 v39, 0x440, v42
	v_cmp_eq_u32_e32 vcc, 0, v5
	v_xor_b32_e32 v43, v64, v38
	v_xor_b32_e32 v44, v65, v38
	v_cndmask_b32_e32 v5, v39, v42, vcc
	s_add_i32 s63, s20, s3
	s_add_i32 s3, s42, s33
	s_mov_b32 s60, 0x1000504
	v_lshlrev_b32_e32 v40, 8, v61
	v_lshlrev_b32_e32 v43, 1, v43
	;; [unrolled: 1-line block ×3, first 2 shown]
	v_lshl_or_b32 v4, v4, 10, v5
	s_add_i32 s31, s3, s46
	s_add_i32 s3, s44, s43
	s_mov_b32 s61, 0x3020706
	v_or_b32_e32 v72, 0xa000, v45
	v_or_b32_e32 v73, 0xb000, v45
	;; [unrolled: 1-line block ×4, first 2 shown]
	v_xor_b32_e32 v5, 8, v4
	v_xor_b32_e32 v40, 24, v4
	;; [unrolled: 1-line block ×4, first 2 shown]
	s_add_i32 s35, s3, s45
	s_lshl_b64 s[20:21], s[30:31], 2
	v_xor_b32_e32 v39, 16, v4
	v_xor_b32_e32 v42, 32, v4
	;; [unrolled: 1-line block ×3, first 2 shown]
	v_add_u32_e32 v5, 0x80, v5
	v_add_u32_e32 v40, 0x80, v40
	;; [unrolled: 1-line block ×4, first 2 shown]
	s_add_u32 s3, s10, s20
	s_addc_u32 s22, s11, s21
	s_lshl_b64 s[20:21], s[34:35], 2
	s_add_u32 s38, s3, s20
	s_movk_i32 s3, 0xf8
	s_addc_u32 s39, s22, s21
	s_lshl_b32 s26, s15, 7
	s_movk_i32 s24, 0x100
	v_mov_b32_e32 v53, 0
	v_lshlrev_b32_e32 v52, 4, v61
	v_cmp_gt_u32_e32 vcc, s24, v0
	v_ashrrev_i32_e32 v51, 31, v50
	v_lshl_add_u64 v[54:55], v[50:51], 1, s[8:9]
	s_mov_b32 s59, 0
	s_mul_i32 s62, s49, s12
	s_movk_i32 s31, 0x1000
	s_movk_i32 s22, 0x4000
	v_mov_b32_e32 v100, 0x3fb8aa3b
	s_mov_b32 s64, 0
	s_waitcnt vmcnt(1)
	v_perm_b32 v48, v6, v14, s60
	s_waitcnt vmcnt(0)
	v_perm_b32 v49, v10, v34, s60
	v_perm_b32 v6, v6, v14, s61
	;; [unrolled: 1-line block ×15, first 2 shown]
	ds_write2st64_b32 v4, v48, v49 offset0:32 offset1:64
	ds_write2st64_b32 v5, v6, v10 offset0:32 offset1:64
	;; [unrolled: 1-line block ×8, first 2 shown]
	v_lshlrev_b32_e32 v4, 8, v41
	v_or_b32_e32 v78, v4, v43
	v_or_b32_e32 v79, v4, v44
	v_or_b32_e32 v4, v1, v61
	v_lshlrev_b32_e32 v4, 3, v4
	v_lshrrev_b32_e32 v7, 5, v58
	v_and_or_b32 v7, v4, s3, v7
	v_lshlrev_b32_e32 v7, 4, v7
	v_lshlrev_b32_e32 v5, 11, v59
	v_and_b32_e32 v4, 0x78, v4
	v_or_b32_e32 v12, 32, v7
	v_and_b32_e32 v6, 0x1000, v5
	v_lshrrev_b32_e32 v9, 1, v0
	v_xor_b32_e32 v12, v12, v4
	v_and_b32_e32 v10, 8, v9
	v_or_b32_e32 v12, v12, v6
	v_xor_b32_e32 v8, v7, v4
	v_xor_b32_e32 v82, v12, v10
	v_or_b32_e32 v12, 64, v7
	v_or_b32_e32 v7, 0x60, v7
	s_ashr_i32 s3, s2, 31
	v_xor_b32_e32 v12, v12, v4
	v_xor_b32_e32 v4, v7, v4
	s_lshl_b64 s[20:21], s[2:3], 8
	v_or_b32_e32 v8, v8, v6
	v_or_b32_e32 v12, v12, v6
	v_or_b32_e32 v4, v4, v6
	s_add_u32 s20, s18, s20
	v_lshlrev_b32_e32 v6, 1, v61
	v_xor_b32_e32 v84, v12, v10
	v_lshrrev_b32_e32 v12, 4, v0
	s_addc_u32 s21, s19, s21
	v_or_b32_e32 v7, 1, v6
	v_mov_b32_e32 v16, 0x4000
	v_mov_b32_e32 v17, 0x2000
	v_xor_b32_e32 v13, v12, v6
	v_xor_b32_e32 v14, v7, v12
	v_lshl_add_u64 v[6:7], s[20:21], 0, v[52:53]
	v_lshlrev_b32_e32 v52, 8, v12
	v_cndmask_b32_e32 v16, v16, v17, vcc
	v_lshlrev_b32_e32 v17, 3, v59
	v_and_b32_e32 v9, 24, v9
	v_lshl_or_b32 v88, v13, 3, v52
	v_and_b32_e32 v13, 8, v0
	v_xor_b32_e32 v34, v17, v9
	v_or_b32_e32 v35, 0x440, v34
	v_cmp_eq_u32_e32 vcc, 0, v13
	v_and_b32_e32 v12, 7, v0
	v_xor_b32_e32 v80, v8, v10
	v_cndmask_b32_e32 v13, v35, v34, vcc
	v_lshlrev_b32_e32 v8, 7, v60
	v_lshl_or_b32 v89, v14, 3, v52
	v_lshlrev_b32_e32 v14, 3, v12
	v_lshlrev_b32_e32 v12, 7, v12
	;; [unrolled: 1-line block ×3, first 2 shown]
	v_or_b32_e32 v13, v13, v5
	v_or_b32_e32 v11, v8, v38
	v_xad_u32 v90, v13, v14, v12
	v_and_or_b32 v8, v15, 60, v8
	v_mov_b32_e32 v13, 0xb000
	v_lshl_or_b32 v91, v8, 1, v13
	v_or_b32_e32 v8, 32, v9
	v_xor_b32_e32 v8, v17, v8
	v_or_b32_e32 v13, 0x440, v8
	v_cndmask_b32_e32 v8, v13, v8, vcc
	v_or_b32_e32 v8, v8, v5
	v_xad_u32 v92, v8, v14, v12
	v_or_b32_e32 v8, 64, v9
	v_xor_b32_e32 v8, v17, v8
	v_xor_b32_e32 v13, 0x440, v8
	v_cndmask_b32_e32 v8, v13, v8, vcc
	v_or_b32_e32 v8, v8, v5
	v_xad_u32 v93, v8, v14, v12
	v_or_b32_e32 v8, 0x60, v9
	v_xor_b32_e32 v8, v17, v8
	v_xor_b32_e32 v9, 0x440, v8
	v_cndmask_b32_e32 v8, v9, v8, vcc
	v_lshlrev_b32_e32 v11, 1, v11
	v_or_b32_e32 v5, v8, v5
	v_or_b32_e32 v81, 0xa000, v11
	;; [unrolled: 1-line block ×3, first 2 shown]
	v_xor_b32_e32 v85, v4, v10
	v_or_b32_e32 v86, 0xb000, v11
	v_or_b32_e32 v87, 0xb080, v11
	v_lshlrev_b32_e32 v4, 7, v64
	v_lshlrev_b32_e32 v10, 1, v3
	v_add_lshl_u32 v3, v3, s15, 1
	v_or_b32_e32 v11, 0x100, v2
	v_xad_u32 v94, v5, v14, v12
	v_cndmask_b32_e64 v95, v10, v2, s[0:1]
	v_cndmask_b32_e64 v96, v3, v11, s[0:1]
	v_lshl_add_u64 v[56:57], v[6:7], 0, v[52:53]
	v_lshlrev_b32_e32 v52, 1, v4
	v_add_u32_e32 v51, v16, v90
	v_add_u32_e32 v97, v16, v92
	;; [unrolled: 1-line block ×4, first 2 shown]
	v_mov_b64_e32 v[2:3], v[18:19]
	s_mov_b32 s3, 0x7060302
	v_mov_b64_e32 v[4:5], v[20:21]
	v_mov_b64_e32 v[6:7], v[22:23]
	v_mov_b64_e32 v[8:9], v[24:25]
	v_mov_b64_e32 v[10:11], v[26:27]
	v_mov_b64_e32 v[12:13], v[28:29]
	v_mov_b64_e32 v[14:15], v[30:31]
	v_mov_b64_e32 v[16:17], v[32:33]
	s_waitcnt lgkmcnt(0)
	s_barrier
	s_branch .LBB364_7
.LBB364_6:                              ;   in Loop: Header=BB364_7 Depth=1
	v_mul_f32_e32 v22, s20, v100
	s_waitcnt vmcnt(2)
	v_exp_f32_e32 v34, v22
	v_accvgpr_read_b32 v21, a7
	v_accvgpr_read_b32 v19, a5
	;; [unrolled: 1-line block ×16, first 2 shown]
	v_fma_f32 v18, v2, v34, v18
	v_fma_f32 v19, v3, v34, v19
	v_fma_f32 v20, v4, v34, v20
	v_fmac_f32_e32 v21, v5, v34
	v_fma_f32 v26, v10, v34, v26
	v_fma_f32 v27, v11, v34, v27
	v_fma_f32 v28, v12, v34, v28
	v_fmac_f32_e32 v29, v13, v34
	;; [unrolled: 4-line block ×4, first 2 shown]
	s_add_i32 s59, s59, 64
	v_mov_b64_e32 v[2:3], v[18:19]
	s_cmp_eq_u32 s50, s35
	s_mov_b32 s64, s35
	v_mov_b64_e32 v[4:5], v[20:21]
	v_mov_b64_e32 v[6:7], v[22:23]
	;; [unrolled: 1-line block ×7, first 2 shown]
	s_cbranch_scc1 .LBB364_17
.LBB364_7:                              ; =>This Inner Loop Header: Depth=1
	s_add_i32 s35, s64, 1
	s_cmp_lt_i32 s35, s50
	s_mov_b64 s[24:25], 0
	s_cselect_b64 s[40:41], -1, 0
	s_cmp_ge_i32 s35, s50
	s_mov_b64 s[20:21], 0
	s_cbranch_scc1 .LBB364_9
; %bb.8:                                ;   in Loop: Header=BB364_7 Depth=1
	s_add_i32 s0, s59, 64
	s_add_u32 s0, s16, s0
	s_addc_u32 s1, s17, 0
	s_lshl_b64 s[0:1], s[0:1], 8
	s_add_u32 s20, s6, s0
	s_addc_u32 s21, s7, s1
.LBB364_9:                              ;   in Loop: Header=BB364_7 Depth=1
	v_cndmask_b32_e64 v18, 0, 1, s[40:41]
	v_cmp_ne_u32_e64 s[0:1], 1, v18
	s_andn2_b64 vcc, exec, s[40:41]
	s_cbranch_vccnz .LBB364_11
; %bb.10:                               ;   in Loop: Header=BB364_7 Depth=1
	s_add_i32 s24, s59, 64
	s_add_u32 s24, s62, s24
	s_addc_u32 s25, s63, 0
	s_mul_i32 s27, s24, s52
	s_mul_hi_u32 s40, s24, s56
	s_add_i32 s27, s40, s27
	s_mul_i32 s25, s25, s56
	s_add_i32 s27, s27, s25
	s_mul_i32 s24, s24, s56
	s_add_u32 s24, s24, s53
	s_addc_u32 s25, s27, s57
	s_lshl_b64 s[24:25], s[24:25], 8
	s_add_u32 s24, s4, s24
	s_addc_u32 s25, s5, s25
.LBB364_11:                             ;   in Loop: Header=BB364_7 Depth=1
	v_perm_b32 v19, v5, v4, s3
	v_perm_b32 v18, v3, v2, s3
	;; [unrolled: 1-line block ×4, first 2 shown]
	ds_write_b64 v72, v[18:19]
	ds_write_b64 v73, v[20:21]
	;; [unrolled: 1-line block ×4, first 2 shown]
	v_perm_b32 v19, v13, v12, s3
	v_perm_b32 v18, v11, v10, s3
	;; [unrolled: 1-line block ×4, first 2 shown]
	ds_write_b64 v74, v[18:19]
	ds_write_b64 v75, v[20:21]
	;; [unrolled: 1-line block ×4, first 2 shown]
	s_waitcnt lgkmcnt(0)
	s_barrier
	ds_read_b64 v[22:23], v80 offset:24576
	ds_read2_b64 v[18:21], v81 offset1:16
	ds_read_b64 v[26:27], v83 offset:3072
	ds_read_b64 v[28:29], v81 offset:3072
	;; [unrolled: 1-line block ×3, first 2 shown]
	s_waitcnt lgkmcnt(3)
	v_mfma_f32_16x16x16_bf16 a[0:3], v[22:23], v[18:19], 0
	s_add_i32 s27, s59, 63
	s_mul_i32 s40, s27, s29
	s_mul_hi_u32 s41, s27, s28
	v_mfma_f32_16x16x16_bf16 a[4:7], v[22:23], v[20:21], 0
	ds_read2st64_b64 v[18:21], v81 offset0:2 offset1:4
	ds_read2st64_b64 v[22:25], v83 offset0:2 offset1:4
	s_add_i32 s41, s41, s40
	s_waitcnt lgkmcnt(1)
	v_mfma_f32_16x16x16_bf16 a[0:3], v[30:31], v[18:19], a[0:3]
	s_mul_i32 s40, s27, s28
	s_lshl_b64 s[40:41], s[40:41], 2
	s_add_u32 s40, s38, s40
	s_waitcnt lgkmcnt(0)
	v_mfma_f32_16x16x16_bf16 a[4:7], v[30:31], v[22:23], a[4:7]
	ds_read_b64 v[18:19], v84 offset:24576
	ds_read_b64 v[22:23], v85 offset:24576
	s_addc_u32 s41, s39, s41
	s_and_b64 vcc, exec, s[0:1]
	s_waitcnt lgkmcnt(1)
	v_mfma_f32_16x16x16_bf16 a[0:3], v[18:19], v[20:21], a[0:3]
	v_mov_b32_e32 v103, 0
	v_mov_b32_e32 v102, 0
	;; [unrolled: 1-line block ×3, first 2 shown]
	v_mfma_f32_16x16x16_bf16 a[4:7], v[18:19], v[24:25], a[4:7]
	v_mov_b32_e32 v18, 0
	v_mov_b32_e32 v19, 0
	;; [unrolled: 1-line block ×3, first 2 shown]
	s_waitcnt lgkmcnt(0)
	v_mfma_f32_16x16x16_bf16 a[0:3], v[22:23], v[28:29], a[0:3]
	v_mov_b32_e32 v21, 0
	v_mov_b32_e32 v24, 0
	;; [unrolled: 1-line block ×3, first 2 shown]
	v_mfma_f32_16x16x16_bf16 a[4:7], v[22:23], v[26:27], a[4:7]
	v_mov_b32_e32 v22, 0
	v_mov_b32_e32 v23, 0
	;; [unrolled: 1-line block ×10, first 2 shown]
	s_cbranch_vccnz .LBB364_13
; %bb.12:                               ;   in Loop: Header=BB364_7 Depth=1
	s_and_b32 s21, s21, 0xffff
	buffer_load_dwordx4 v[30:33], v68, s[20:23], 0 offen
	buffer_load_dwordx4 v[26:29], v68, s[20:23], s58 offen
	buffer_load_dwordx4 v[22:25], v69, s[20:23], 0 offen
	buffer_load_dwordx4 v[18:21], v69, s[20:23], s58 offen
	v_mov_b32_e32 v102, v70
	v_mov_b32_e32 v101, v71
.LBB364_13:                             ;   in Loop: Header=BB364_7 Depth=1
	ds_read_b64 v[38:39], v80 offset:32768
	ds_read2_b64 v[34:37], v86 offset1:16
	ds_read_b64 v[42:43], v82 offset:32768
	ds_read_b64 v[44:45], v84 offset:32768
	;; [unrolled: 1-line block ×3, first 2 shown]
	v_add_u32_e32 v48, s59, v64
	s_waitcnt lgkmcnt(3)
	v_mfma_f32_16x16x16_bf16 a[0:3], v[38:39], v[34:35], a[0:3]
	v_mul_lo_u32 v49, v48, s29
	v_mfma_f32_16x16x16_bf16 a[4:7], v[38:39], v[36:37], a[4:7]
	ds_read2st64_b64 v[34:37], v86 offset0:2 offset1:4
	ds_read2st64_b64 v[38:41], v87 offset0:2 offset1:4
	s_waitcnt lgkmcnt(1)
	v_mfma_f32_16x16x16_bf16 a[0:3], v[42:43], v[34:35], a[0:3]
	v_ashrrev_i32_e32 v34, 31, v48
	v_mul_lo_u32 v104, v34, s28
	v_mad_u64_u32 v[34:35], s[20:21], v48, s28, 0
	v_mfma_f32_16x16x16_bf16 a[0:3], v[44:45], v[36:37], a[0:3]
	v_add_u32_e32 v36, 1, v48
	v_ashrrev_i32_e32 v37, 31, v36
	v_add3_u32 v35, v35, v49, v104
	s_waitcnt lgkmcnt(0)
	v_mfma_f32_16x16x16_bf16 a[4:7], v[42:43], v[38:39], a[4:7]
	v_mul_lo_u32 v38, v37, s28
	v_mul_lo_u32 v39, v36, s29
	v_mad_u64_u32 v[36:37], s[20:21], v36, s28, 0
	v_add3_u32 v37, v37, v39, v38
	v_add_u32_e32 v38, 2, v48
	v_ashrrev_i32_e32 v39, 31, v38
	v_mul_lo_u32 v42, v39, s28
	v_mul_lo_u32 v43, v38, s29
	v_mad_u64_u32 v[38:39], s[20:21], v38, s28, 0
	v_add3_u32 v39, v39, v43, v42
	v_add_u32_e32 v42, 3, v48
	v_ashrrev_i32_e32 v43, 31, v42
	v_mul_lo_u32 v48, v43, s28
	v_mul_lo_u32 v49, v42, s29
	v_mad_u64_u32 v[42:43], s[20:21], v42, s28, 0
	s_add_u32 s20, s16, s59
	s_addc_u32 s21, s17, 0
	s_lshl_b64 s[20:21], s[20:21], 8
	v_lshl_add_u64 v[34:35], v[34:35], 2, s[38:39]
	v_lshl_add_u64 v[36:37], v[36:37], 2, s[38:39]
	v_add3_u32 v43, v43, v49, v48
	v_lshl_add_u64 v[48:49], v[54:55], 0, s[20:21]
	v_lshl_add_u64 v[38:39], v[38:39], 2, s[38:39]
	;; [unrolled: 1-line block ×3, first 2 shown]
	global_load_dword v104, v[34:35], off
	global_load_ushort v105, v[48:49], off offset:256
	global_load_ushort v106, v[48:49], off
	global_load_ushort v107, v[48:49], off offset:768
	global_load_ushort v108, v[48:49], off offset:512
	v_lshl_add_u64 v[34:35], v[42:43], 2, s[38:39]
	global_load_dword v109, v[36:37], off
	global_load_dword v110, v[38:39], off
	;; [unrolled: 1-line block ×3, first 2 shown]
	ds_read_b64 v[34:35], v86 offset:3072
	ds_read_b64 v[36:37], v87 offset:3072
	global_load_ushort v112, v[48:49], off offset:800
	global_load_ushort v113, v[48:49], off offset:544
	;; [unrolled: 1-line block ×3, first 2 shown]
	s_nop 0
	global_load_ushort v48, v[48:49], off offset:32
	s_load_dword s20, s[40:41], 0x0
	v_mfma_f32_16x16x16_bf16 a[4:7], v[44:45], v[40:41], a[4:7]
	s_and_b64 vcc, exec, s[0:1]
	v_mov_b32_e32 v49, 0
	s_waitcnt vmcnt(11) lgkmcnt(0)
	v_sub_f32_e32 v44, s20, v104
	v_mfma_f32_16x16x16_bf16 a[0:3], v[46:47], v[34:35], a[0:3]
	v_mul_f32_e32 v44, 0x3fb8aa3b, v44
	v_exp_f32_e32 v44, v44
	s_waitcnt vmcnt(6)
	v_sub_f32_e32 v45, s20, v109
	v_mfma_f32_16x16x16_bf16 a[4:7], v[46:47], v[36:37], a[4:7]
	s_waitcnt vmcnt(5)
	v_sub_f32_e32 v46, s20, v110
	s_waitcnt vmcnt(4)
	v_sub_f32_e32 v47, s20, v111
	v_mul_f32_e32 v45, 0x3fb8aa3b, v45
	v_mul_f32_e32 v46, 0x3fb8aa3b, v46
	;; [unrolled: 1-line block ×3, first 2 shown]
	v_exp_f32_e32 v45, v45
	v_exp_f32_e32 v46, v46
	;; [unrolled: 1-line block ×3, first 2 shown]
	v_accvgpr_read_b32 v39, a1
	v_accvgpr_read_b32 v35, a3
	;; [unrolled: 1-line block ×4, first 2 shown]
	v_lshlrev_b32_e32 v41, 16, v105
	v_lshlrev_b32_e32 v40, 16, v106
	;; [unrolled: 1-line block ×4, first 2 shown]
	v_pk_add_f32 v[38:39], v[40:41], v[38:39] neg_lo:[0,1] neg_hi:[0,1]
	v_pk_add_f32 v[34:35], v[42:43], v[34:35] neg_lo:[0,1] neg_hi:[0,1]
	v_pk_mul_f32 v[38:39], v[44:45], v[38:39]
	v_pk_mul_f32 v[34:35], v[46:47], v[34:35]
	v_accvgpr_read_b32 v41, a5
	v_perm_b32 v35, v35, v34, s3
	v_perm_b32 v34, v39, v38, s3
	s_waitcnt vmcnt(1)
	v_lshlrev_b32_e32 v39, 16, v114
	s_waitcnt vmcnt(0)
	v_lshlrev_b32_e32 v38, 16, v48
	v_accvgpr_read_b32 v40, a4
	v_accvgpr_read_b32 v37, a7
	;; [unrolled: 1-line block ×3, first 2 shown]
	v_pk_add_f32 v[38:39], v[38:39], v[40:41] neg_lo:[0,1] neg_hi:[0,1]
	v_lshlrev_b32_e32 v41, 16, v112
	v_lshlrev_b32_e32 v40, 16, v113
	v_pk_add_f32 v[36:37], v[40:41], v[36:37] neg_lo:[0,1] neg_hi:[0,1]
	v_pk_mul_f32 v[38:39], v[44:45], v[38:39]
	v_pk_mul_f32 v[36:37], v[46:47], v[36:37]
	v_mov_b32_e32 v104, 0
	v_perm_b32 v37, v37, v36, s3
	v_perm_b32 v36, v39, v38, s3
	ds_write2_b64 v73, v[34:35], v[36:37] offset1:16
	v_mov_b32_e32 v34, 0
	v_mov_b32_e32 v35, 0
	;; [unrolled: 1-line block ×15, first 2 shown]
	s_cbranch_vccnz .LBB364_15
; %bb.14:                               ;   in Loop: Header=BB364_7 Depth=1
	s_and_b32 s25, s25, 0xffff
	s_mov_b32 s27, s23
	buffer_load_dwordx4 v[46:49], v95, s[24:27], 0 offen
	buffer_load_dwordx4 v[38:41], v95, s[24:27], s58 offen
	;; [unrolled: 1-line block ×4, first 2 shown]
	v_mov_b32_e32 v103, v67
	v_mov_b32_e32 v104, v66
.LBB364_15:                             ;   in Loop: Header=BB364_7 Depth=1
	s_waitcnt lgkmcnt(0)
	s_barrier
	ds_read_b64 v[110:111], v51
	ds_read_b64 v[118:119], v91
	;; [unrolled: 1-line block ×5, first 2 shown]
	ds_read_b64 v[124:125], v92 offset:16384
	ds_read_b64 v[126:127], v90 offset:16384
	ds_read2_b64 v[106:109], v86 offset0:16 offset1:128
	s_waitcnt lgkmcnt(6)
	v_mfma_f32_16x16x16_bf16 a[0:3], v[110:111], v[118:119], 0
	ds_read_b64 v[128:129], v87 offset:3072
	ds_read_b64 v[130:131], v94 offset:16384
	s_add_i32 s21, s54, s64
	s_waitcnt lgkmcnt(2)
	v_mfma_f32_16x16x16_bf16 a[4:7], v[110:111], v[106:107], 0
	ds_read2st64_b64 v[110:113], v87 offset0:2 offset1:4
	s_mul_hi_i32 s25, s21, s13
	s_mul_i32 s21, s21, s13
	v_mfma_f32_16x16x16_bf16 a[0:3], v[114:115], v[108:109], a[0:3]
	s_add_u32 s24, s21, s47
	s_addc_u32 s25, s25, s51
	s_lshl_b64 s[24:25], s[24:25], 15
	s_waitcnt lgkmcnt(0)
	v_mfma_f32_16x16x16_bf16 a[4:7], v[114:115], v[110:111], a[4:7]
	ds_read2st64_b64 v[114:117], v86 offset0:4 offset1:6
	s_waitcnt lgkmcnt(0)
	v_mfma_f32_16x16x16_bf16 a[0:3], v[120:121], v[114:115], a[0:3]
	v_mfma_f32_16x16x16_bf16 a[8:11], v[120:121], v[112:113], a[4:7]
	;; [unrolled: 1-line block ×5, first 2 shown]
	ds_read2st64_b64 v[118:121], v89 offset1:8
	v_mfma_f32_16x16x16_bf16 a[12:15], v[126:127], v[106:107], 0
	ds_read_b64 v[126:127], v93 offset:16384
	v_mfma_f32_16x16x16_bf16 a[8:11], v[124:125], v[108:109], a[8:11]
	ds_read2st64_b64 v[106:109], v88 offset1:8
	s_waitcnt lgkmcnt(0)
	v_mov_b32_e32 v122, v106
	v_mfma_f32_16x16x16_bf16 a[12:15], v[124:125], v[110:111], a[12:15]
	v_lshl_add_u64 v[110:111], v[56:57], 0, s[24:25]
	v_add_co_u32_e32 v106, vcc, s31, v110
	v_mfma_f32_16x16x16_bf16 a[8:11], v[126:127], v[114:115], a[8:11]
	v_mov_b32_e32 v123, v107
	v_addc_co_u32_e32 v107, vcc, 0, v111, vcc
	v_mfma_f32_16x16x16_bf16 a[12:15], v[126:127], v[112:113], a[12:15]
	v_mov_b32_e32 v124, v118
	v_mov_b32_e32 v125, v119
	;; [unrolled: 1-line block ×3, first 2 shown]
	v_mfma_f32_16x16x16_bf16 a[8:11], v[130:131], v[116:117], a[8:11]
	v_mov_b32_e32 v119, v109
	s_and_b64 vcc, exec, s[0:1]
	global_store_dwordx4 v[110:111], v[122:125], off
	v_mfma_f32_16x16x16_bf16 a[12:15], v[130:131], v[128:129], a[12:15]
	global_store_dwordx4 v[106:107], v[118:121], off
	s_cbranch_vccnz .LBB364_6
; %bb.16:                               ;   in Loop: Header=BB364_7 Depth=1
	v_lshrrev_b32_e32 v105, 3, v103
	v_and_b32_e32 v105, 6, v105
	v_xor_b32_e32 v104, v105, v104
	v_lshlrev_b32_e32 v104, 2, v104
	v_and_b32_e32 v103, 8, v103
	v_xor_b32_e32 v106, 0x440, v104
	v_cmp_eq_u32_e32 vcc, 0, v103
	s_barrier
	s_nop 0
	v_cndmask_b32_e32 v103, v106, v104, vcc
	v_lshl_or_b32 v103, v105, 10, v103
	s_waitcnt vmcnt(3)
	v_perm_b32 v104, v46, v42, s60
	s_waitcnt vmcnt(2)
	v_perm_b32 v105, v38, v34, s60
	ds_write2st64_b32 v103, v104, v105 offset0:32 offset1:64
	v_xor_b32_e32 v104, 8, v103
	v_perm_b32 v42, v46, v42, s61
	v_perm_b32 v34, v38, v34, s61
	v_add_u32_e32 v38, 0x80, v104
	ds_write2st64_b32 v38, v42, v34 offset0:32 offset1:64
	v_xor_b32_e32 v34, 16, v103
	v_perm_b32 v38, v47, v43, s60
	v_perm_b32 v42, v39, v35, s60
	ds_write2st64_b32 v34, v38, v42 offset0:33 offset1:65
	v_xor_b32_e32 v34, 24, v103
	v_perm_b32 v38, v47, v43, s61
	v_perm_b32 v35, v39, v35, s61
	v_add_u32_e32 v34, 0x80, v34
	ds_write2st64_b32 v34, v38, v35 offset0:33 offset1:65
	v_xor_b32_e32 v34, 32, v103
	v_perm_b32 v35, v48, v44, s60
	;; [unrolled: 9-line block ×3, first 2 shown]
	v_perm_b32 v36, v41, v37, s60
	ds_write2st64_b32 v34, v35, v36 offset0:35 offset1:67
	v_xor_b32_e32 v34, 56, v103
	v_perm_b32 v35, v49, v45, s61
	v_perm_b32 v36, v41, v37, s61
	v_add_u32_e32 v34, 0x80, v34
	ds_write2st64_b32 v34, v35, v36 offset0:35 offset1:67
	ds_write_b64 v102, v[30:31] offset:24576
	v_xor_b32_e32 v30, 8, v102
	ds_write_b64 v30, v[32:33] offset:24576
	ds_write_b64 v102, v[26:27] offset:32768
	;; [unrolled: 1-line block ×4, first 2 shown]
	v_xor_b32_e32 v22, 8, v101
	ds_write_b64 v22, v[24:25] offset:24576
	ds_write_b64 v101, v[18:19] offset:32768
	;; [unrolled: 1-line block ×3, first 2 shown]
	s_branch .LBB364_6
.LBB364_17:
	s_lshl_b32 s26, s50, 6
	s_sub_i32 s27, s12, s26
	s_cmp_gt_i32 s27, 0
	s_cbranch_scc0 .LBB364_82
; %bb.18:
	s_ashr_i32 s3, s26, 31
	s_cmpk_lg_i32 s15, 0x80
	s_cselect_b64 s[22:23], -1, 0
	s_and_b64 vcc, exec, s[22:23]
	s_cbranch_vccz .LBB364_20
; %bb.19:
	s_mul_i32 s1, s49, s12
	s_mul_hi_i32 s0, s49, s12
	s_add_u32 s1, s1, s26
	s_addc_u32 s0, s0, s3
	s_mul_i32 s17, s1, s52
	s_mul_hi_u32 s20, s1, s14
	s_add_i32 s17, s20, s17
	s_mul_i32 s0, s0, s14
	s_add_i32 s17, s17, s0
	s_mul_i32 s1, s1, s14
	s_ashr_i32 s0, s53, 31
	s_add_u32 s24, s1, s53
	s_addc_u32 s25, s17, s0
	s_cbranch_execz .LBB364_21
	s_branch .LBB364_22
.LBB364_20:
                                        ; implicit-def: $sgpr24_sgpr25
.LBB364_21:
	s_mul_hi_i32 s0, s49, s14
	s_mul_i32 s49, s49, s14
	s_ashr_i32 s1, s53, 31
	s_add_u32 s14, s49, s53
	s_addc_u32 s0, s0, s1
	s_mul_i32 s1, s14, s48
	s_mul_hi_u32 s17, s14, s12
	s_add_i32 s1, s17, s1
	s_mul_i32 s0, s0, s12
	s_add_i32 s1, s1, s0
	s_mul_i32 s14, s14, s12
	s_add_u32 s24, s14, s26
	s_addc_u32 s25, s1, s3
.LBB364_22:
	s_mul_i32 s0, s36, s48
	s_add_i32 s0, s55, s0
	s_add_i32 s14, s54, s50
	;; [unrolled: 1-line block ×3, first 2 shown]
	s_add_u32 s0, s16, s26
	v_lshlrev_b32_e32 v6, 5, v64
	v_lshlrev_b32_e32 v34, 2, v61
	s_addc_u32 s1, s1, s3
	s_mov_b32 s3, 0x7060302
	v_or_b32_e32 v9, v6, v34
	v_xor_b32_e32 v7, v64, v34
	v_perm_b32 v3, v21, v20, s3
	v_perm_b32 v2, v19, v18, s3
	;; [unrolled: 1-line block ×4, first 2 shown]
	v_lshlrev_b32_e32 v9, 1, v9
	v_xor_b32_e32 v8, v65, v34
	ds_write2st64_b64 v9, v[2:3], v[4:5] offset0:80 offset1:88
	v_lshlrev_b32_e32 v7, 1, v7
	v_lshlrev_b32_e32 v9, 8, v61
	s_lshl_b64 s[20:21], s[0:1], 8
	v_or_b32_e32 v10, v7, v9
	v_lshlrev_b32_e32 v8, 1, v8
	s_add_u32 s0, s6, s20
	ds_write_b64 v10, v[2:3]
	v_or_b32_e32 v2, v8, v9
	s_addc_u32 s1, s7, s21
	ds_write_b64 v2, v[4:5]
	v_perm_b32 v3, v29, v28, s3
	v_perm_b32 v2, v27, v26, s3
	;; [unrolled: 1-line block ×4, first 2 shown]
	v_or_b32_e32 v9, 16, v61
	s_mul_hi_i32 s3, s14, s13
	s_mul_i32 s14, s14, s13
	v_lshlrev_b32_e32 v19, 2, v9
	s_add_u32 s6, s14, s47
	v_or_b32_e32 v6, v6, v19
	s_addc_u32 s7, s3, s51
	v_lshlrev_b32_e32 v6, 1, v6
	s_ashr_i32 s3, s2, 31
	s_lshl_b64 s[6:7], s[6:7], 15
	ds_write2st64_b64 v6, v[2:3], v[4:5] offset0:80 offset1:88
	v_lshlrev_b32_e32 v6, 8, v9
	s_add_u32 s6, s18, s6
	v_or_b32_e32 v7, v7, v6
	s_addc_u32 s7, s19, s7
	s_lshl_b64 s[2:3], s[2:3], 8
	ds_write_b64 v7, v[2:3]
	v_or_b32_e32 v2, v8, v6
	s_add_u32 s2, s6, s2
	ds_write_b64 v2, v[4:5]
	v_lshrrev_b32_e32 v2, 4, v0
	s_addc_u32 s3, s7, s3
	v_lshlrev_b32_e32 v3, 1, v61
	v_lshlrev_b32_e32 v10, 4, v61
	v_mov_b32_e32 v11, 0
	v_or_b32_e32 v4, 1, v3
	v_xor_b32_e32 v3, v2, v3
	v_lshl_add_u64 v[12:13], s[2:3], 0, v[10:11]
	v_lshlrev_b32_e32 v10, 8, v2
	v_xor_b32_e32 v6, v4, v2
	v_lshl_or_b32 v2, v3, 3, v10
	s_waitcnt lgkmcnt(0)
	s_barrier
	ds_read2st64_b64 v[2:5], v2 offset1:8
	v_lshl_or_b32 v6, v6, 3, v10
	ds_read2st64_b64 v[6:9], v6 offset1:8
	v_lshl_add_u64 v[14:15], v[12:13], 0, v[10:11]
	s_movk_i32 s2, 0x1000
	s_waitcnt lgkmcnt(1)
	v_mov_b32_e32 v10, v2
	v_add_co_u32_e32 v2, vcc, s2, v14
	s_cmp_lg_u32 s27, 64
	v_mov_b32_e32 v11, v3
	v_addc_co_u32_e32 v3, vcc, 0, v15, vcc
	s_cselect_b64 s[6:7], -1, 0
	v_lshl_or_b32 v22, v59, 3, v63
	s_waitcnt lgkmcnt(0)
	v_mov_b32_e32 v12, v6
	v_mov_b32_e32 v13, v7
	v_mov_b32_e32 v6, v4
	v_mov_b32_e32 v7, v5
	s_mov_b32 s16, 0
	v_or_b32_e32 v20, 32, v22
	v_and_b32_e32 v18, 56, v62
	s_and_b64 vcc, exec, s[6:7]
	global_store_dwordx4 v[14:15], v[10:13], off
	global_store_dwordx4 v[2:3], v[6:9], off
	s_cbranch_vccz .LBB364_28
; %bb.23:
	s_mov_b32 s17, s16
	s_mov_b32 s18, s16
	;; [unrolled: 1-line block ×3, first 2 shown]
	v_mov_b64_e32 v[6:7], s[16:17]
	v_mov_b64_e32 v[8:9], s[18:19]
	;; [unrolled: 1-line block ×3, first 2 shown]
	v_cmp_gt_i32_e32 vcc, s27, v22
	v_mov_b64_e32 v[4:5], v[8:9]
	s_and_saveexec_b64 s[2:3], vcc
	s_cbranch_execz .LBB364_25
; %bb.24:
	v_lshlrev_b32_e32 v2, 8, v22
	v_mov_b32_e32 v3, 0
	v_lshl_add_u64 v[4:5], s[0:1], 0, v[2:3]
	v_lshlrev_b32_e32 v2, 1, v18
	v_lshl_add_u64 v[10:11], v[4:5], 0, v[2:3]
	global_load_dwordx4 v[6:9], v[10:11], off
	global_load_dwordx4 v[2:5], v[10:11], off offset:128
.LBB364_25:
	s_or_b64 exec, exec, s[2:3]
	s_mov_b32 s17, s16
	s_mov_b32 s18, s16
	;; [unrolled: 1-line block ×3, first 2 shown]
	v_mov_b64_e32 v[14:15], s[16:17]
	v_mov_b64_e32 v[16:17], s[18:19]
	;; [unrolled: 1-line block ×3, first 2 shown]
	v_cmp_gt_i32_e32 vcc, s27, v20
	v_lshlrev_b32_e32 v21, 7, v20
	v_mov_b64_e32 v[12:13], v[16:17]
	s_and_saveexec_b64 s[2:3], vcc
	s_cbranch_execz .LBB364_27
; %bb.26:
	v_lshlrev_b32_e32 v10, 1, v21
	v_mov_b32_e32 v11, 0
	v_lshl_add_u64 v[12:13], s[0:1], 0, v[10:11]
	v_lshlrev_b32_e32 v10, 1, v18
	v_lshl_add_u64 v[24:25], v[12:13], 0, v[10:11]
	global_load_dwordx4 v[14:17], v[24:25], off
	global_load_dwordx4 v[10:13], v[24:25], off offset:128
.LBB364_27:
	s_or_b64 exec, exec, s[2:3]
	v_lshrrev_b32_e32 v23, 3, v18
	v_lshlrev_b32_e32 v24, 3, v22
	v_or_b32_e32 v23, v24, v23
	v_lshlrev_b32_e32 v23, 4, v23
	v_and_b32_e32 v24, 0x78, v24
	v_xor_b32_e32 v23, v23, v24
	s_branch .LBB364_30
.LBB364_28:
                                        ; implicit-def: $vgpr23
                                        ; implicit-def: $vgpr21
                                        ; implicit-def: $vgpr6_vgpr7_vgpr8_vgpr9
                                        ; implicit-def: $vgpr2_vgpr3_vgpr4_vgpr5
                                        ; implicit-def: $vgpr14_vgpr15_vgpr16_vgpr17
                                        ; implicit-def: $vgpr10_vgpr11_vgpr12_vgpr13
	s_cbranch_execz .LBB364_30
; %bb.29:
	s_waitcnt vmcnt(0)
	v_lshlrev_b32_e32 v2, 1, v18
	v_lshl_or_b32 v21, v22, 8, v2
	s_and_b32 s1, s1, 0xffff
	s_mov_b32 s3, 0x20000
	s_movk_i32 s2, 0x4000
	v_lshl_or_b32 v23, v20, 8, v2
	s_movk_i32 s13, 0x80
	buffer_load_dwordx4 v[6:9], v21, s[0:3], 0 offen
	buffer_load_dwordx4 v[2:5], v21, s[0:3], s13 offen
	;; [unrolled: 1-line block ×4, first 2 shown]
	v_lshrrev_b32_e32 v21, 3, v18
	v_lshlrev_b32_e32 v23, 3, v22
	v_or_b32_e32 v21, v23, v21
	v_lshlrev_b32_e32 v21, 4, v21
	v_and_b32_e32 v23, 0x78, v23
	v_xor_b32_e32 v23, v21, v23
	v_lshlrev_b32_e32 v21, 7, v20
.LBB364_30:
	s_lshl_b64 s[0:1], s[24:25], 8
	s_add_u32 s4, s4, s0
	s_movk_i32 s0, 0x1000
	v_and_or_b32 v20, v21, s0, v23
	s_waitcnt vmcnt(1)
	ds_write_b64 v23, v[6:7] offset:24576
	v_xor_b32_e32 v6, 8, v23
	ds_write_b64 v6, v[8:9] offset:24576
	s_waitcnt vmcnt(0)
	ds_write_b64 v23, v[2:3] offset:32768
	ds_write_b64 v6, v[4:5] offset:32768
	;; [unrolled: 1-line block ×3, first 2 shown]
	v_xor_b32_e32 v2, 8, v20
	ds_write_b64 v2, v[16:17] offset:24576
	ds_write_b64 v20, v[10:11] offset:32768
	;; [unrolled: 1-line block ×3, first 2 shown]
	v_or_b32_e32 v2, v1, v61
	v_lshlrev_b32_e32 v3, 11, v59
	v_lshlrev_b32_e32 v2, 3, v2
	v_and_b32_e32 v6, 0x1000, v3
	v_lshrrev_b32_e32 v3, 5, v58
	s_movk_i32 s3, 0xf8
	v_and_or_b32 v3, v2, s3, v3
	v_lshlrev_b32_e32 v7, 4, v3
	v_and_b32_e32 v8, 0x78, v2
	v_or_b32_e32 v10, 32, v7
	v_lshrrev_b32_e32 v3, 1, v58
	v_xor_b32_e32 v10, v10, v8
	v_xor_b32_e32 v2, v7, v8
	v_and_b32_e32 v9, 8, v3
	v_or_b32_e32 v10, v10, v6
	v_or_b32_e32 v2, v2, v6
	v_xor_b32_e32 v25, v10, v9
	v_or_b32_e32 v10, 64, v7
	v_xor_b32_e32 v24, v2, v9
	v_xor_b32_e32 v10, v10, v8
	s_waitcnt lgkmcnt(0)
	s_barrier
	v_or_b32_e32 v12, v10, v6
	ds_read_b64 v[10:11], v24 offset:24576
	v_lshl_or_b32 v20, v60, 7, v34
	v_lshlrev_b32_e32 v23, 1, v20
	v_add_u32_e32 v2, 0xa000, v23
	ds_read2_b64 v[2:5], v2 offset1:16
	v_or_b32_e32 v7, 0x60, v7
	v_xor_b32_e32 v7, v7, v8
	s_waitcnt lgkmcnt(0)
	v_mfma_f32_16x16x16_bf16 a[0:3], v[10:11], v[2:3], 0
	v_or_b32_e32 v2, 64, v20
	v_or_b32_e32 v6, v7, v6
	v_lshlrev_b32_e32 v28, 1, v2
	v_xor_b32_e32 v26, v12, v9
	v_xor_b32_e32 v27, v6, v9
	ds_read_b64 v[12:13], v25 offset:24576
	ds_read_b64 v[14:15], v26 offset:24576
	;; [unrolled: 1-line block ×3, first 2 shown]
	v_mfma_f32_16x16x16_bf16 a[4:7], v[10:11], v[4:5], 0
	ds_read2st64_b64 v[2:5], v28 offset0:82 offset1:84
	ds_read2st64_b64 v[6:9], v23 offset0:82 offset1:84
	s_addc_u32 s5, s5, s1
	s_add_i32 s1, s42, s33
	s_add_i32 s0, s12, -1
	s_add_i32 s31, s1, s46
	s_add_i32 s1, s44, s43
	;; [unrolled: 1-line block ×3, first 2 shown]
	s_ashr_i32 s1, s0, 31
	s_mul_i32 s2, s0, s29
	s_mul_hi_u32 s3, s0, s28
	s_add_i32 s2, s3, s2
	s_mul_i32 s1, s1, s28
	s_waitcnt lgkmcnt(1)
	v_mfma_f32_16x16x16_bf16 a[4:7], v[12:13], v[2:3], a[4:7]
	s_add_i32 s1, s2, s1
	s_lshl_b64 s[2:3], s[30:31], 2
	s_add_u32 s10, s10, s2
	s_waitcnt lgkmcnt(0)
	v_mfma_f32_16x16x16_bf16 a[0:3], v[12:13], v[6:7], a[0:3]
	s_addc_u32 s11, s11, s3
	s_lshl_b64 s[2:3], s[34:35], 2
	s_mul_i32 s0, s0, s28
	s_add_u32 s10, s10, s2
	ds_read_b64 v[2:3], v23 offset:44032
	v_mfma_f32_16x16x16_bf16 a[4:7], v[14:15], v[4:5], a[4:7]
	ds_read_b64 v[4:5], v28 offset:44032
	s_addc_u32 s11, s11, s3
	s_lshl_b64 s[0:1], s[0:1], 2
	v_mfma_f32_16x16x16_bf16 a[0:3], v[14:15], v[8:9], a[0:3]
	s_add_u32 s0, s10, s0
	s_addc_u32 s1, s11, s1
	s_load_dword s12, s[0:1], 0x0
	s_waitcnt lgkmcnt(0)
	v_mfma_f32_16x16x16_bf16 a[0:3], v[16:17], v[2:3], a[0:3]
	s_and_b64 vcc, exec, s[22:23]
	v_mfma_f32_16x16x16_bf16 a[4:7], v[16:17], v[4:5], a[4:7]
	s_cbranch_vccz .LBB364_41
; %bb.31:
	v_lshlrev_b32_e32 v20, 1, v22
	s_and_b64 vcc, exec, s[6:7]
	s_cbranch_vccz .LBB364_42
; %bb.32:
	v_cmp_gt_i32_e32 vcc, s27, v20
	v_mov_b32_e32 v6, 0
	v_mov_b32_e32 v2, 0
	v_mov_b32_e32 v3, 0
	v_mov_b32_e32 v4, 0
	v_mov_b32_e32 v5, 0
	s_and_saveexec_b64 s[0:1], vcc
	s_cbranch_execz .LBB364_34
; %bb.33:
	v_mad_i64_i32 v[2:3], s[2:3], s15, v20, 0
	v_lshl_add_u64 v[2:3], v[2:3], 1, s[4:5]
	v_lshlrev_b32_e32 v4, 1, v18
	v_mov_b32_e32 v5, 0
	v_lshl_add_u64 v[2:3], v[2:3], 0, v[4:5]
	global_load_dwordx4 v[2:5], v[2:3], off
.LBB364_34:
	s_or_b64 exec, exec, s[0:1]
	v_or_b32_e32 v21, 1, v20
	v_cmp_gt_i32_e64 s[0:1], s27, v21
	v_mov_b32_e32 v7, 0
	v_mov_b32_e32 v8, 0
	;; [unrolled: 1-line block ×3, first 2 shown]
	s_and_saveexec_b64 s[2:3], s[0:1]
	s_cbranch_execz .LBB364_36
; %bb.35:
	v_mad_i64_i32 v[6:7], s[16:17], s15, v21, 0
	v_lshl_add_u64 v[6:7], v[6:7], 1, s[4:5]
	v_lshlrev_b32_e32 v8, 1, v18
	v_mov_b32_e32 v9, 0
	v_lshl_add_u64 v[6:7], v[6:7], 0, v[8:9]
	global_load_dwordx4 v[6:9], v[6:7], off
.LBB364_36:
	s_or_b64 exec, exec, s[2:3]
	v_mov_b32_e32 v17, 0
	v_mov_b32_e32 v10, 0
	;; [unrolled: 1-line block ×5, first 2 shown]
	s_and_saveexec_b64 s[2:3], vcc
	s_cbranch_execz .LBB364_38
; %bb.37:
	v_mad_i64_i32 v[10:11], s[16:17], s15, v20, 0
	v_lshl_add_u64 v[10:11], v[10:11], 1, s[4:5]
	v_lshlrev_b32_e32 v12, 1, v18
	v_mov_b32_e32 v13, 0
	v_lshl_add_u64 v[10:11], v[10:11], 0, v[12:13]
	global_load_dwordx4 v[10:13], v[10:11], off offset:128
.LBB364_38:
	s_or_b64 exec, exec, s[2:3]
	v_mov_b32_e32 v16, 0
	v_mov_b32_e32 v15, 0
	;; [unrolled: 1-line block ×3, first 2 shown]
	s_and_saveexec_b64 s[2:3], s[0:1]
	s_cbranch_execz .LBB364_40
; %bb.39:
	v_mad_i64_i32 v[14:15], s[0:1], s15, v21, 0
	v_lshl_add_u64 v[14:15], v[14:15], 1, s[4:5]
	v_lshlrev_b32_e32 v16, 1, v18
	v_mov_b32_e32 v17, 0
	v_lshl_add_u64 v[14:15], v[14:15], 0, v[16:17]
	global_load_dwordx4 v[14:17], v[14:15], off offset:128
.LBB364_40:
	s_or_b64 exec, exec, s[2:3]
	s_branch .LBB364_44
.LBB364_41:
                                        ; implicit-def: $vgpr5
                                        ; implicit-def: $vgpr9
                                        ; implicit-def: $vgpr13
                                        ; implicit-def: $vgpr17
	v_lshrrev_b32_e32 v29, 2, v58
	s_branch .LBB364_45
.LBB364_42:
                                        ; implicit-def: $vgpr5
                                        ; implicit-def: $vgpr9
                                        ; implicit-def: $vgpr13
                                        ; implicit-def: $vgpr17
	s_cbranch_execz .LBB364_44
; %bb.43:
	s_waitcnt vmcnt(0)
	v_mad_u64_u32 v[2:3], s[0:1], v20, s15, v[18:19]
	v_lshlrev_b32_e32 v20, 1, v2
	s_lshl_b32 s2, s15, 7
	s_and_b32 s1, s5, 0xffff
	s_mov_b32 s3, 0x20000
	s_mov_b32 s0, s4
	v_add_lshl_u32 v21, v2, s15, 1
	s_movk_i32 s13, 0x80
	buffer_load_dwordx4 v[2:5], v20, s[0:3], 0 offen
	buffer_load_dwordx4 v[10:13], v20, s[0:3], s13 offen
	;; [unrolled: 1-line block ×4, first 2 shown]
.LBB364_44:
	v_lshrrev_b32_e32 v29, 2, v58
	s_cbranch_execnz .LBB364_57
.LBB364_45:
	s_and_b64 vcc, exec, s[6:7]
	s_cbranch_vccz .LBB364_55
; %bb.46:
	s_waitcnt vmcnt(0)
	v_lshlrev_b32_e32 v7, 1, v22
	v_cmp_gt_i32_e32 vcc, s27, v7
	v_mov_b32_e32 v6, 0
	v_lshlrev_b32_e32 v14, 9, v22
	v_mov_b32_e32 v2, 0
	v_mov_b32_e32 v3, 0
	;; [unrolled: 1-line block ×4, first 2 shown]
	s_and_saveexec_b64 s[0:1], vcc
	s_cbranch_execz .LBB364_48
; %bb.47:
	v_mov_b32_e32 v15, 0
	v_lshl_add_u64 v[2:3], s[4:5], 0, v[14:15]
	v_lshlrev_b32_e32 v4, 1, v18
	v_mov_b32_e32 v5, v15
	v_lshl_add_u64 v[2:3], v[2:3], 0, v[4:5]
	global_load_dwordx4 v[2:5], v[2:3], off
.LBB364_48:
	s_or_b64 exec, exec, s[0:1]
	v_or_b32_e32 v7, 1, v7
	v_cmp_gt_i32_e64 s[0:1], s27, v7
	v_lshlrev_b32_e32 v20, 8, v7
	v_mov_b32_e32 v7, 0
	v_mov_b32_e32 v8, 0
	;; [unrolled: 1-line block ×3, first 2 shown]
	s_and_saveexec_b64 s[2:3], s[0:1]
	s_cbranch_execz .LBB364_50
; %bb.49:
	v_mov_b32_e32 v21, 0
	v_lshl_add_u64 v[6:7], s[4:5], 0, v[20:21]
	v_lshlrev_b32_e32 v8, 1, v18
	v_mov_b32_e32 v9, v21
	v_lshl_add_u64 v[6:7], v[6:7], 0, v[8:9]
	global_load_dwordx4 v[6:9], v[6:7], off
.LBB364_50:
	s_or_b64 exec, exec, s[2:3]
	v_mov_b32_e32 v17, 0
	v_mov_b32_e32 v10, 0
	;; [unrolled: 1-line block ×5, first 2 shown]
	s_and_saveexec_b64 s[2:3], vcc
	s_cbranch_execz .LBB364_52
; %bb.51:
	v_mov_b32_e32 v15, 0
	v_lshl_add_u64 v[10:11], s[4:5], 0, v[14:15]
	v_lshlrev_b32_e32 v14, 1, v18
	v_lshl_add_u64 v[10:11], v[10:11], 0, v[14:15]
	global_load_dwordx4 v[10:13], v[10:11], off offset:128
.LBB364_52:
	s_or_b64 exec, exec, s[2:3]
	v_mov_b32_e32 v16, 0
	v_mov_b32_e32 v15, 0
	;; [unrolled: 1-line block ×3, first 2 shown]
	s_and_saveexec_b64 s[2:3], s[0:1]
	s_cbranch_execz .LBB364_54
; %bb.53:
	v_mov_b32_e32 v21, 0
	v_lshl_add_u64 v[14:15], s[4:5], 0, v[20:21]
	v_lshlrev_b32_e32 v20, 1, v18
	v_lshl_add_u64 v[14:15], v[14:15], 0, v[20:21]
	global_load_dwordx4 v[14:17], v[14:15], off offset:128
.LBB364_54:
	s_or_b64 exec, exec, s[2:3]
	s_branch .LBB364_57
.LBB364_55:
                                        ; implicit-def: $vgpr5
                                        ; implicit-def: $vgpr9
                                        ; implicit-def: $vgpr13
                                        ; implicit-def: $vgpr17
	s_cbranch_execz .LBB364_57
; %bb.56:
	s_waitcnt vmcnt(0)
	v_lshlrev_b32_e32 v2, 1, v18
	v_lshl_or_b32 v18, v22, 9, v2
	s_and_b32 s5, s5, 0xffff
	s_mov_b32 s7, 0x20000
	s_movk_i32 s6, 0x4000
	s_movk_i32 s0, 0x80
	buffer_load_dwordx4 v[2:5], v18, s[4:7], 0 offen
	buffer_load_dwordx4 v[6:9], v18, s[4:7], 0 offen offset:256
	buffer_load_dwordx4 v[10:13], v18, s[4:7], s0 offen
	buffer_load_dwordx4 v[14:17], v18, s[4:7], s0 offen offset:256
.LBB364_57:
	ds_read_b64 v[20:21], v24 offset:32768
	v_add_u32_e32 v18, 0xb000, v23
	ds_read2_b64 v[30:33], v18 offset1:16
	ds_read_b64 v[36:37], v25 offset:32768
	ds_read_b64 v[38:39], v26 offset:32768
	ds_read_b64 v[40:41], v27 offset:32768
	v_and_b32_e32 v18, 6, v0
	v_xor_b32_e32 v22, v22, v18
	v_lshlrev_b32_e32 v22, 2, v22
	v_and_b32_e32 v0, 1, v0
	v_cmp_eq_u32_e32 vcc, 0, v0
	s_mov_b32 s0, 0x1000504
	s_waitcnt lgkmcnt(3)
	v_mfma_f32_16x16x16_bf16 a[0:3], v[20:21], v[30:31], a[0:3]
	s_mov_b32 s1, 0x3020706
	v_mfma_f32_16x16x16_bf16 a[4:7], v[20:21], v[32:33], a[4:7]
	ds_read2st64_b64 v[24:27], v23 offset0:90 offset1:92
	ds_read2st64_b64 v[30:33], v28 offset0:90 offset1:92
	s_waitcnt lgkmcnt(1)
	v_mfma_f32_16x16x16_bf16 a[0:3], v[36:37], v[24:25], a[0:3]
	ds_read_b64 v[20:21], v23 offset:48128
	ds_read_b64 v[24:25], v28 offset:48128
	v_xor_b32_e32 v23, 0x440, v22
	v_cndmask_b32_e32 v0, v23, v22, vcc
	s_waitcnt lgkmcnt(2)
	v_mfma_f32_16x16x16_bf16 a[4:7], v[36:37], v[30:31], a[4:7]
	v_lshl_or_b32 v0, v18, 10, v0
	s_waitcnt vmcnt(0)
	v_perm_b32 v18, v2, v6, s0
	v_perm_b32 v2, v2, v6, s1
	v_mfma_f32_16x16x16_bf16 a[0:3], v[38:39], v[26:27], a[0:3]
	v_perm_b32 v6, v10, v14, s1
	v_mfma_f32_16x16x16_bf16 a[8:11], v[38:39], v[32:33], a[4:7]
	s_waitcnt lgkmcnt(1)
	v_mfma_f32_16x16x16_bf16 a[4:7], v[40:41], v[20:21], a[0:3]
	v_perm_b32 v20, v10, v14, s0
	ds_write2st64_b32 v0, v18, v20 offset0:32 offset1:64
	v_xor_b32_e32 v18, 8, v0
	v_add_u32_e32 v10, 0x80, v18
	ds_write2st64_b32 v10, v2, v6 offset0:32 offset1:64
	v_xor_b32_e32 v2, 16, v0
	v_perm_b32 v6, v3, v7, s0
	v_perm_b32 v10, v11, v15, s0
	ds_write2st64_b32 v2, v6, v10 offset0:33 offset1:65
	v_xor_b32_e32 v2, 24, v0
	v_perm_b32 v3, v3, v7, s1
	v_perm_b32 v6, v11, v15, s1
	v_add_u32_e32 v2, 0x80, v2
	ds_write2st64_b32 v2, v3, v6 offset0:33 offset1:65
	v_xor_b32_e32 v2, 32, v0
	v_perm_b32 v3, v4, v8, s0
	v_perm_b32 v6, v12, v16, s0
	ds_write2st64_b32 v2, v3, v6 offset0:34 offset1:66
	v_xor_b32_e32 v2, 40, v0
	s_waitcnt lgkmcnt(5)
	v_mfma_f32_16x16x16_bf16 a[0:3], v[40:41], v[24:25], a[8:11]
	v_perm_b32 v3, v4, v8, s1
	v_perm_b32 v4, v12, v16, s1
	v_add_u32_e32 v2, 0x80, v2
	ds_write2st64_b32 v2, v3, v4 offset0:34 offset1:66
	v_xor_b32_e32 v2, 48, v0
	v_perm_b32 v3, v5, v9, s0
	v_perm_b32 v4, v13, v17, s0
	ds_write2st64_b32 v2, v3, v4 offset0:35 offset1:67
	v_xor_b32_e32 v0, 56, v0
	v_perm_b32 v3, v13, v17, s1
	v_and_or_b32 v17, v29, 12, v1
	v_perm_b32 v2, v5, v9, s1
	v_add_u32_e32 v0, 0x80, v0
	v_cmp_gt_i32_e32 vcc, s27, v17
	v_mov_b32_e32 v14, 0
	v_mov_b32_e32 v16, 0
	ds_write2st64_b32 v0, v2, v3 offset0:35 offset1:67
	s_and_saveexec_b64 s[0:1], vcc
	s_cbranch_execz .LBB364_59
; %bb.58:
	v_add_u32_e32 v0, s26, v17
	v_ashrrev_i32_e32 v1, 31, v0
	v_mul_lo_u32 v2, v1, s28
	v_mul_lo_u32 v3, v0, s29
	v_mad_u64_u32 v[0:1], s[2:3], v0, s28, 0
	v_add3_u32 v1, v1, v3, v2
	v_lshl_add_u64 v[0:1], v[0:1], 2, s[10:11]
	global_load_dword v0, v[0:1], off
	s_waitcnt vmcnt(0)
	v_sub_f32_e32 v0, s12, v0
	v_mul_f32_e32 v0, 0x3fb8aa3b, v0
	v_exp_f32_e32 v16, v0
.LBB364_59:
	s_or_b64 exec, exec, s[0:1]
	v_or_b32_e32 v8, 1, v17
	v_cmp_gt_i32_e64 s[0:1], s27, v8
	s_and_saveexec_b64 s[2:3], s[0:1]
	s_cbranch_execz .LBB364_61
; %bb.60:
	v_add_u32_e32 v0, s26, v8
	v_ashrrev_i32_e32 v1, 31, v0
	v_mul_lo_u32 v2, v1, s28
	v_mul_lo_u32 v3, v0, s29
	v_mad_u64_u32 v[0:1], s[4:5], v0, s28, 0
	v_add3_u32 v1, v1, v3, v2
	v_lshl_add_u64 v[0:1], v[0:1], 2, s[10:11]
	global_load_dword v0, v[0:1], off
	s_waitcnt vmcnt(0)
	v_sub_f32_e32 v0, s12, v0
	v_mul_f32_e32 v0, 0x3fb8aa3b, v0
	v_exp_f32_e32 v14, v0
.LBB364_61:
	s_or_b64 exec, exec, s[2:3]
	v_or_b32_e32 v10, 2, v17
	v_cmp_gt_i32_e64 s[2:3], s27, v10
	v_mov_b32_e32 v15, 0
	v_mov_b32_e32 v18, 0
	s_and_saveexec_b64 s[4:5], s[2:3]
	s_cbranch_execz .LBB364_63
; %bb.62:
	v_add_u32_e32 v0, s26, v10
	v_ashrrev_i32_e32 v1, 31, v0
	v_mul_lo_u32 v2, v1, s28
	v_mul_lo_u32 v3, v0, s29
	v_mad_u64_u32 v[0:1], s[6:7], v0, s28, 0
	v_add3_u32 v1, v1, v3, v2
	v_lshl_add_u64 v[0:1], v[0:1], 2, s[10:11]
	global_load_dword v0, v[0:1], off
	s_waitcnt vmcnt(0)
	v_sub_f32_e32 v0, s12, v0
	v_mul_f32_e32 v0, 0x3fb8aa3b, v0
	v_exp_f32_e32 v18, v0
.LBB364_63:
	s_or_b64 exec, exec, s[4:5]
	v_or_b32_e32 v12, 3, v17
	v_cmp_gt_i32_e64 s[4:5], s27, v12
	s_and_saveexec_b64 s[6:7], s[4:5]
	s_cbranch_execz .LBB364_65
; %bb.64:
	v_add_u32_e32 v0, s26, v12
	v_ashrrev_i32_e32 v1, 31, v0
	v_mul_lo_u32 v2, v1, s28
	v_mul_lo_u32 v3, v0, s29
	v_mad_u64_u32 v[0:1], s[14:15], v0, s28, 0
	v_add3_u32 v1, v1, v3, v2
	v_lshl_add_u64 v[0:1], v[0:1], 2, s[10:11]
	global_load_dword v0, v[0:1], off
	s_waitcnt vmcnt(0)
	v_sub_f32_e32 v0, s12, v0
	v_mul_f32_e32 v0, 0x3fb8aa3b, v0
	v_exp_f32_e32 v15, v0
.LBB364_65:
	s_or_b64 exec, exec, s[6:7]
	s_add_u32 s6, s8, s20
	v_accvgpr_read_b32 v0, a4
	s_addc_u32 s7, s9, s21
	v_ashrrev_i32_e32 v51, 31, v50
	v_accvgpr_read_b32 v1, a5
	v_accvgpr_read_b32 v2, a6
	;; [unrolled: 1-line block ×3, first 2 shown]
	v_lshl_add_u64 v[4:5], v[50:51], 1, s[6:7]
	v_mov_b32_e32 v9, 0
	v_lshlrev_b32_e32 v6, 8, v17
	v_mov_b32_e32 v7, 0
	s_and_saveexec_b64 s[6:7], vcc
	s_cbranch_execz .LBB364_67
; %bb.66:
	v_mov_b32_e32 v7, 0
	v_lshl_add_u64 v[20:21], v[4:5], 0, v[6:7]
	global_load_ushort v7, v[20:21], off
	s_waitcnt vmcnt(0)
	v_lshlrev_b32_e32 v7, 16, v7
	v_sub_f32_e32 v0, v7, v0
	v_mul_f32_e32 v0, v16, v0
	v_lshrrev_b32_e32 v7, 16, v0
.LBB364_67:
	s_or_b64 exec, exec, s[6:7]
	v_lshlrev_b32_e32 v8, 8, v8
	s_and_saveexec_b64 s[6:7], s[0:1]
	s_cbranch_execz .LBB364_69
; %bb.68:
	v_mov_b32_e32 v9, 0
	v_lshl_add_u64 v[20:21], v[4:5], 0, v[8:9]
	global_load_ushort v0, v[20:21], off
	s_waitcnt vmcnt(0)
	v_lshlrev_b32_e32 v0, 16, v0
	v_sub_f32_e32 v0, v0, v1
	v_mul_f32_e32 v0, v14, v0
	v_lshrrev_b32_e32 v9, 16, v0
.LBB364_69:
	s_or_b64 exec, exec, s[6:7]
	v_mov_b32_e32 v13, 0
	v_lshlrev_b32_e32 v10, 8, v10
	v_mov_b32_e32 v11, 0
	s_and_saveexec_b64 s[6:7], s[2:3]
	s_cbranch_execz .LBB364_71
; %bb.70:
	v_mov_b32_e32 v11, 0
	v_lshl_add_u64 v[0:1], v[4:5], 0, v[10:11]
	global_load_ushort v0, v[0:1], off
	s_waitcnt vmcnt(0)
	v_lshlrev_b32_e32 v0, 16, v0
	v_sub_f32_e32 v0, v0, v2
	v_mul_f32_e32 v0, v18, v0
	v_lshrrev_b32_e32 v11, 16, v0
.LBB364_71:
	s_or_b64 exec, exec, s[6:7]
	v_lshlrev_b32_e32 v12, 8, v12
	s_and_saveexec_b64 s[6:7], s[4:5]
	s_cbranch_execz .LBB364_73
; %bb.72:
	v_mov_b32_e32 v13, 0
	v_lshl_add_u64 v[0:1], v[4:5], 0, v[12:13]
	global_load_ushort v0, v[0:1], off
	s_waitcnt vmcnt(0)
	v_lshlrev_b32_e32 v0, 16, v0
	v_sub_f32_e32 v0, v0, v3
	v_mul_f32_e32 v0, v15, v0
	v_lshrrev_b32_e32 v13, 16, v0
.LBB364_73:
	s_or_b64 exec, exec, s[6:7]
	v_lshlrev_b32_e32 v17, 5, v17
	s_mov_b32 s6, 0x5040100
	v_perm_b32 v20, v9, v7, s6
	v_or_b32_e32 v7, v17, v34
	v_accvgpr_read_b32 v0, a0
	v_perm_b32 v21, v13, v11, s6
	v_lshlrev_b32_e32 v7, 1, v7
	v_accvgpr_read_b32 v1, a1
	v_accvgpr_read_b32 v2, a2
	;; [unrolled: 1-line block ×3, first 2 shown]
	ds_write_b64 v7, v[20:21] offset:45056
	v_mov_b32_e32 v9, 0
	v_mov_b32_e32 v7, 0
	s_and_saveexec_b64 s[6:7], vcc
	s_cbranch_execz .LBB364_75
; %bb.74:
	v_mov_b32_e32 v7, 0
	v_lshl_add_u64 v[6:7], v[4:5], 0, v[6:7]
	global_load_ushort v6, v[6:7], off offset:32
	s_waitcnt vmcnt(0)
	v_lshlrev_b32_e32 v6, 16, v6
	v_sub_f32_e32 v0, v6, v0
	v_mul_f32_e32 v0, v16, v0
	v_lshrrev_b32_e32 v7, 16, v0
.LBB364_75:
	s_or_b64 exec, exec, s[6:7]
	s_and_saveexec_b64 s[6:7], s[0:1]
	s_cbranch_execz .LBB364_77
; %bb.76:
	v_mov_b32_e32 v9, 0
	v_lshl_add_u64 v[8:9], v[4:5], 0, v[8:9]
	global_load_ushort v0, v[8:9], off offset:32
	s_waitcnt vmcnt(0)
	v_lshlrev_b32_e32 v0, 16, v0
	v_sub_f32_e32 v0, v0, v1
	v_mul_f32_e32 v0, v14, v0
	v_lshrrev_b32_e32 v9, 16, v0
.LBB364_77:
	s_or_b64 exec, exec, s[6:7]
	v_mov_b32_e32 v0, 0
	v_mov_b32_e32 v1, 0
	s_and_saveexec_b64 s[0:1], s[2:3]
	s_cbranch_execz .LBB364_79
; %bb.78:
	v_mov_b32_e32 v11, 0
	v_lshl_add_u64 v[10:11], v[4:5], 0, v[10:11]
	global_load_ushort v1, v[10:11], off offset:32
	s_waitcnt vmcnt(0)
	v_lshlrev_b32_e32 v1, 16, v1
	v_sub_f32_e32 v1, v1, v2
	v_mul_f32_e32 v1, v18, v1
	v_lshrrev_b32_e32 v1, 16, v1
.LBB364_79:
	s_or_b64 exec, exec, s[0:1]
	s_and_saveexec_b64 s[0:1], s[4:5]
	s_cbranch_execz .LBB364_81
; %bb.80:
	v_mov_b32_e32 v13, 0
	v_lshl_add_u64 v[4:5], v[4:5], 0, v[12:13]
	global_load_ushort v0, v[4:5], off offset:32
	s_waitcnt vmcnt(0)
	v_lshlrev_b32_e32 v0, 16, v0
	v_sub_f32_e32 v0, v0, v3
	v_mul_f32_e32 v0, v15, v0
	v_lshrrev_b32_e32 v0, 16, v0
.LBB364_81:
	s_or_b64 exec, exec, s[0:1]
	s_mov_b32 s0, 0x5040100
	v_or_b32_e32 v2, v17, v19
	v_perm_b32 v1, v0, v1, s0
	v_perm_b32 v0, v9, v7, s0
	v_lshlrev_b32_e32 v2, 1, v2
	ds_write_b64 v2, v[0:1] offset:45056
	s_waitcnt lgkmcnt(0)
	s_barrier
.LBB364_82:
	s_endpgm
	.section	.rodata,"a",@progbits
	.p2align	6, 0x0
	.amdhsa_kernel _ZN12_GLOBAL__N_139chunk_gated_delta_rule_fwd_h_hip_kernelILi32ELb1ELb0ELb0ELb0ELb0ELb0ELb1ELb1EEEvPK12hip_bfloat16S3_S3_PKfS5_PKvPS1_S8_PvPKiSB_iiiiilll
		.amdhsa_group_segment_fixed_size 49152
		.amdhsa_private_segment_fixed_size 0
		.amdhsa_kernarg_size 136
		.amdhsa_user_sgpr_count 2
		.amdhsa_user_sgpr_dispatch_ptr 0
		.amdhsa_user_sgpr_queue_ptr 0
		.amdhsa_user_sgpr_kernarg_segment_ptr 1
		.amdhsa_user_sgpr_dispatch_id 0
		.amdhsa_user_sgpr_kernarg_preload_length 0
		.amdhsa_user_sgpr_kernarg_preload_offset 0
		.amdhsa_user_sgpr_private_segment_size 0
		.amdhsa_uses_dynamic_stack 0
		.amdhsa_enable_private_segment 0
		.amdhsa_system_sgpr_workgroup_id_x 1
		.amdhsa_system_sgpr_workgroup_id_y 1
		.amdhsa_system_sgpr_workgroup_id_z 0
		.amdhsa_system_sgpr_workgroup_info 0
		.amdhsa_system_vgpr_workitem_id 0
		.amdhsa_next_free_vgpr 148
		.amdhsa_next_free_sgpr 65
		.amdhsa_accum_offset 132
		.amdhsa_reserve_vcc 1
		.amdhsa_float_round_mode_32 0
		.amdhsa_float_round_mode_16_64 0
		.amdhsa_float_denorm_mode_32 3
		.amdhsa_float_denorm_mode_16_64 3
		.amdhsa_dx10_clamp 1
		.amdhsa_ieee_mode 1
		.amdhsa_fp16_overflow 0
		.amdhsa_tg_split 0
		.amdhsa_exception_fp_ieee_invalid_op 0
		.amdhsa_exception_fp_denorm_src 0
		.amdhsa_exception_fp_ieee_div_zero 0
		.amdhsa_exception_fp_ieee_overflow 0
		.amdhsa_exception_fp_ieee_underflow 0
		.amdhsa_exception_fp_ieee_inexact 0
		.amdhsa_exception_int_div_zero 0
	.end_amdhsa_kernel
	.section	.text._ZN12_GLOBAL__N_139chunk_gated_delta_rule_fwd_h_hip_kernelILi32ELb1ELb0ELb0ELb0ELb0ELb0ELb1ELb1EEEvPK12hip_bfloat16S3_S3_PKfS5_PKvPS1_S8_PvPKiSB_iiiiilll,"axG",@progbits,_ZN12_GLOBAL__N_139chunk_gated_delta_rule_fwd_h_hip_kernelILi32ELb1ELb0ELb0ELb0ELb0ELb0ELb1ELb1EEEvPK12hip_bfloat16S3_S3_PKfS5_PKvPS1_S8_PvPKiSB_iiiiilll,comdat
.Lfunc_end364:
	.size	_ZN12_GLOBAL__N_139chunk_gated_delta_rule_fwd_h_hip_kernelILi32ELb1ELb0ELb0ELb0ELb0ELb0ELb1ELb1EEEvPK12hip_bfloat16S3_S3_PKfS5_PKvPS1_S8_PvPKiSB_iiiiilll, .Lfunc_end364-_ZN12_GLOBAL__N_139chunk_gated_delta_rule_fwd_h_hip_kernelILi32ELb1ELb0ELb0ELb0ELb0ELb0ELb1ELb1EEEvPK12hip_bfloat16S3_S3_PKfS5_PKvPS1_S8_PvPKiSB_iiiiilll
                                        ; -- End function
	.section	.AMDGPU.csdata,"",@progbits
; Kernel info:
; codeLenInByte = 8568
; NumSgprs: 71
; NumVgprs: 132
; NumAgprs: 16
; TotalNumVgprs: 148
; ScratchSize: 0
; MemoryBound: 0
; FloatMode: 240
; IeeeMode: 1
; LDSByteSize: 49152 bytes/workgroup (compile time only)
; SGPRBlocks: 8
; VGPRBlocks: 18
; NumSGPRsForWavesPerEU: 71
; NumVGPRsForWavesPerEU: 148
; AccumOffset: 132
; Occupancy: 1
; WaveLimiterHint : 1
; COMPUTE_PGM_RSRC2:SCRATCH_EN: 0
; COMPUTE_PGM_RSRC2:USER_SGPR: 2
; COMPUTE_PGM_RSRC2:TRAP_HANDLER: 0
; COMPUTE_PGM_RSRC2:TGID_X_EN: 1
; COMPUTE_PGM_RSRC2:TGID_Y_EN: 1
; COMPUTE_PGM_RSRC2:TGID_Z_EN: 0
; COMPUTE_PGM_RSRC2:TIDIG_COMP_CNT: 0
; COMPUTE_PGM_RSRC3_GFX90A:ACCUM_OFFSET: 32
; COMPUTE_PGM_RSRC3_GFX90A:TG_SPLIT: 0
	.section	.text._ZN12_GLOBAL__N_139chunk_gated_delta_rule_fwd_h_hip_kernelILi32ELb0ELb1ELb1ELb0ELb0ELb0ELb1ELb1EEEvPK12hip_bfloat16S3_S3_PKfS5_PKvPS1_S8_PvPKiSB_iiiiilll,"axG",@progbits,_ZN12_GLOBAL__N_139chunk_gated_delta_rule_fwd_h_hip_kernelILi32ELb0ELb1ELb1ELb0ELb0ELb0ELb1ELb1EEEvPK12hip_bfloat16S3_S3_PKfS5_PKvPS1_S8_PvPKiSB_iiiiilll,comdat
	.globl	_ZN12_GLOBAL__N_139chunk_gated_delta_rule_fwd_h_hip_kernelILi32ELb0ELb1ELb1ELb0ELb0ELb0ELb1ELb1EEEvPK12hip_bfloat16S3_S3_PKfS5_PKvPS1_S8_PvPKiSB_iiiiilll ; -- Begin function _ZN12_GLOBAL__N_139chunk_gated_delta_rule_fwd_h_hip_kernelILi32ELb0ELb1ELb1ELb0ELb0ELb0ELb1ELb1EEEvPK12hip_bfloat16S3_S3_PKfS5_PKvPS1_S8_PvPKiSB_iiiiilll
	.p2align	8
	.type	_ZN12_GLOBAL__N_139chunk_gated_delta_rule_fwd_h_hip_kernelILi32ELb0ELb1ELb1ELb0ELb0ELb0ELb1ELb1EEEvPK12hip_bfloat16S3_S3_PKfS5_PKvPS1_S8_PvPKiSB_iiiiilll,@function
_ZN12_GLOBAL__N_139chunk_gated_delta_rule_fwd_h_hip_kernelILi32ELb0ELb1ELb1ELb0ELb0ELb0ELb1ELb1EEEvPK12hip_bfloat16S3_S3_PKfS5_PKvPS1_S8_PvPKiSB_iiiiilll: ; @_ZN12_GLOBAL__N_139chunk_gated_delta_rule_fwd_h_hip_kernelILi32ELb0ELb1ELb1ELb0ELb0ELb0ELb1ELb1EEEvPK12hip_bfloat16S3_S3_PKfS5_PKvPS1_S8_PvPKiSB_iiiiilll
; %bb.0:
	s_load_dwordx4 s[28:31], s[0:1], 0x5c
	s_load_dwordx4 s[36:39], s[0:1], 0x70
	s_abs_i32 s6, s3
	s_ashr_i32 s5, s3, 31
	s_load_dwordx8 s[16:23], s[0:1], 0x0
	s_waitcnt lgkmcnt(0)
	s_abs_i32 s4, s29
	v_cvt_f32_u32_e32 v1, s4
	s_sub_i32 s8, 0, s4
	s_ashr_i32 s7, s29, 31
	s_xor_b32 s5, s5, s7
	v_rcp_iflag_f32_e32 v1, v1
	s_load_dwordx2 s[34:35], s[0:1], 0x40
	s_load_dwordx4 s[24:27], s[0:1], 0x30
	s_load_dwordx2 s[40:41], s[0:1], 0x80
	s_mov_b32 s0, 0
	v_mul_f32_e32 v1, 0x4f7ffffe, v1
	v_cvt_u32_f32_e32 v1, v1
	v_lshrrev_b32_e32 v58, 6, v0
	v_bfe_u32 v61, v0, 4, 2
	v_lshlrev_b32_e32 v59, 4, v58
	v_readfirstlane_b32 s9, v1
	s_mul_i32 s8, s8, s9
	s_mul_hi_u32 s8, s9, s8
	s_add_i32 s9, s9, s8
	s_mul_hi_u32 s8, s6, s9
	s_mul_i32 s9, s8, s4
	s_sub_i32 s6, s6, s9
	s_add_i32 s10, s8, 1
	s_sub_i32 s9, s6, s4
	s_cmp_ge_u32 s6, s4
	s_cselect_b32 s8, s10, s8
	s_cselect_b32 s6, s9, s6
	s_add_i32 s9, s8, 1
	s_cmp_ge_u32 s6, s4
	s_cselect_b32 s6, s9, s8
	s_xor_b32 s6, s6, s5
	s_sub_i32 s51, s6, s5
	s_abs_i32 s6, s30
	v_cvt_f32_u32_e32 v1, s6
	s_mul_i32 s49, s51, s29
	s_sub_i32 s33, s3, s49
	s_add_i32 s3, s28, 63
	v_rcp_iflag_f32_e32 v1, v1
	s_ashr_i32 s5, s3, 31
	s_lshr_b32 s5, s5, 26
	s_ashr_i32 s50, s28, 31
	v_mul_f32_e32 v1, 0x4f7ffffe, v1
	v_cvt_u32_f32_e32 v1, v1
	s_add_i32 s3, s3, s5
	s_lshr_b32 s5, s50, 26
	s_add_i32 s5, s28, s5
	s_ashr_i32 s46, s30, 31
	s_ashr_i32 s52, s5, 6
	s_xor_b32 s5, s7, s46
	s_sub_i32 s7, 0, s6
	v_readfirstlane_b32 s8, v1
	s_mul_i32 s7, s7, s8
	s_mul_hi_u32 s7, s8, s7
	s_add_i32 s8, s8, s7
	s_mul_hi_u32 s7, s4, s8
	s_mul_i32 s8, s7, s6
	s_sub_i32 s4, s4, s8
	s_ashr_i32 s3, s3, 6
	s_add_i32 s8, s7, 1
	s_sub_i32 s9, s4, s6
	s_cmp_ge_u32 s4, s6
	s_cselect_b32 s7, s8, s7
	s_cselect_b32 s4, s9, s4
	s_add_i32 s8, s7, 1
	s_cmp_ge_u32 s4, s6
	s_cselect_b32 s4, s8, s7
	s_xor_b32 s4, s4, s5
	s_sub_i32 s4, s4, s5
	s_abs_i32 s5, s4
	v_cvt_f32_u32_e32 v1, s5
	s_sub_i32 s6, 0, s5
	s_xor_b32 s1, s33, s4
	s_abs_i32 s4, s33
	v_rcp_iflag_f32_e32 v1, v1
	s_ashr_i32 s1, s1, 31
	v_lshlrev_b32_e32 v18, 2, v61
	s_mov_b32 s14, s0
	v_mul_f32_e32 v1, 0x4f7ffffe, v1
	v_cvt_u32_f32_e32 v1, v1
	s_mov_b32 s15, s0
	v_and_b32_e32 v60, 63, v0
	s_mul_i32 s55, s51, s3
	v_readfirstlane_b32 s7, v1
	s_mul_i32 s6, s6, s7
	s_mul_hi_u32 s6, s7, s6
	s_add_i32 s7, s7, s6
	s_mul_hi_u32 s6, s4, s7
	s_mul_i32 s7, s6, s5
	s_sub_i32 s4, s4, s7
	s_add_i32 s7, s6, 1
	s_sub_i32 s8, s4, s5
	s_cmp_ge_u32 s4, s5
	s_cselect_b32 s6, s7, s6
	s_cselect_b32 s4, s8, s4
	s_add_i32 s7, s6, 1
	s_cmp_ge_u32 s4, s5
	s_cselect_b32 s4, s7, s6
	s_xor_b32 s4, s4, s1
	s_sub_i32 s56, s4, s1
	v_or_b32_e32 v1, v18, v59
	s_lshl_b32 s42, s2, 5
	s_mov_b32 s1, s0
	s_mov_b32 s2, s0
	s_mov_b32 s3, s0
	s_mov_b32 s4, s0
	s_mov_b32 s5, s0
	s_mov_b32 s6, s0
	s_mov_b32 s7, s0
	s_mov_b32 s8, s0
	s_mov_b32 s9, s0
	s_mov_b32 s10, s0
	s_mov_b32 s11, s0
	s_mov_b32 s12, s0
	s_mov_b32 s13, s0
	v_mov_b64_e32 v[16:17], s[14:15]
	v_and_b32_e32 v62, 15, v0
	v_or_b32_e32 v65, 64, v1
	s_cmp_lt_i32 s28, 64
	v_mov_b64_e32 v[14:15], s[12:13]
	v_mov_b64_e32 v[12:13], s[10:11]
	;; [unrolled: 1-line block ×7, first 2 shown]
	s_mul_hi_i32 s57, s51, s29
	v_lshrrev_b32_e32 v64, 3, v60
	v_lshlrev_b32_e32 v63, 3, v0
	s_mul_i32 s37, s51, s37
	s_mul_hi_u32 s48, s51, s36
	s_mul_i32 s12, s51, s36
	s_cbranch_scc1 .LBB365_19
; %bb.1:
	s_ashr_i32 s8, s51, 31
	s_ashr_i32 s53, s33, 31
	s_add_u32 s0, s49, s33
	s_addc_u32 s1, s57, s53
	s_mul_i32 s1, s28, s1
	s_mul_hi_u32 s2, s28, s0
	s_add_i32 s3, s2, s1
	s_mul_i32 s2, s28, s0
	s_lshl_b64 s[0:1], s[2:3], 8
	v_and_b32_e32 v9, 56, v63
	s_add_u32 s4, s18, s0
	v_lshl_or_b32 v5, v58, 3, v64
	v_lshlrev_b32_e32 v2, 1, v9
	s_addc_u32 s0, s19, s1
	v_lshl_or_b32 v13, v5, 8, v2
	s_and_b32 s5, s0, 0xffff
	s_mov_b32 s7, 0x20000
	s_movk_i32 s6, 0x4000
	s_movk_i32 s0, 0x80
	v_or_b32_e32 v17, 0x2000, v13
	buffer_load_dwordx4 v[20:23], v13, s[4:7], 0 offen
	buffer_load_dwordx4 v[24:27], v13, s[4:7], s0 offen
	;; [unrolled: 1-line block ×4, first 2 shown]
	v_lshlrev_b32_e32 v3, 3, v5
	v_and_or_b32 v6, v0, 7, v3
	v_and_b32_e32 v3, 0x78, v3
	v_lshlrev_b32_e32 v6, 4, v6
	v_xor_b32_e32 v66, v6, v3
	v_mul_lo_u32 v4, v5, s31
	v_or_b32_e32 v67, 0x1000, v66
	v_xor_b32_e32 v3, 8, v66
	s_cmpk_eq_i32 s31, 0x80
	s_mov_b32 s47, s30
	v_xor_b32_e32 v6, 8, v67
	s_cselect_b64 s[0:1], -1, 0
	s_cmpk_lg_i32 s31, 0x80
	s_waitcnt vmcnt(3)
	ds_write_b64 v66, v[20:21] offset:24576
	ds_write_b64 v3, v[22:23] offset:24576
	s_waitcnt vmcnt(2)
	ds_write_b64 v66, v[24:25] offset:32768
	ds_write_b64 v3, v[26:27] offset:32768
	;; [unrolled: 3-line block ×4, first 2 shown]
	v_lshl_add_u32 v3, v4, 1, v9
	s_cbranch_scc0 .LBB365_3
; %bb.2:
	v_lshlrev_b32_e32 v6, 1, v3
	v_add_lshl_u32 v4, v3, s31, 1
	s_lshl_b32 s6, s31, 7
	v_lshl_or_b32 v2, v5, 9, v2
	s_cbranch_execz .LBB365_4
	s_branch .LBB365_5
.LBB365_3:
                                        ; implicit-def: $vgpr4
                                        ; implicit-def: $vgpr6
                                        ; implicit-def: $sgpr6
	v_lshl_or_b32 v2, v5, 9, v2
.LBB365_4:
	v_or_b32_e32 v4, 0x100, v2
	s_movk_i32 s6, 0x4000
	v_mov_b32_e32 v6, v2
.LBB365_5:
	s_mul_hi_u32 s4, s30, s28
	s_mul_i32 s5, s46, s28
	s_add_i32 s4, s4, s5
	s_mul_i32 s5, s30, s28
	s_mul_i32 s7, s5, s8
	s_mul_hi_u32 s9, s5, s51
	s_add_i32 s7, s9, s7
	s_mul_i32 s4, s4, s51
	s_add_i32 s7, s7, s4
	s_mul_i32 s5, s5, s51
	s_ashr_i32 s54, s56, 31
	s_add_u32 s4, s5, s56
	s_addc_u32 s5, s7, s54
	s_lshl_b64 s[4:5], s[4:5], 8
	s_add_u32 s4, s16, s4
	s_addc_u32 s5, s17, s5
	s_and_b32 s5, s5, 0xffff
	s_mov_b32 s7, 0x20000
	s_movk_i32 s58, 0x80
	buffer_load_dwordx4 v[20:23], v6, s[4:7], 0 offen
	buffer_load_dwordx4 v[24:27], v6, s[4:7], s58 offen
	buffer_load_dwordx4 v[28:31], v4, s[4:7], 0 offen
	buffer_load_dwordx4 v[32:35], v4, s[4:7], s58 offen
	v_and_b32_e32 v4, 6, v0
	v_lshlrev_b32_e32 v8, 6, v1
	v_or_b32_e32 v11, 16, v62
	v_xor_b32_e32 v12, v5, v4
	v_and_b32_e32 v6, 1, v0
	s_mul_i32 s4, s8, s28
	s_mul_hi_u32 s5, s51, s28
	v_lshl_or_b32 v16, v62, 3, v8
	v_lshl_or_b32 v8, v11, 3, v8
	v_lshlrev_b32_e32 v12, 2, v12
	v_lshlrev_b32_e32 v7, 2, v62
	v_or_b32_e32 v70, 0xa000, v8
	v_or_b32_e32 v71, 0xb000, v8
	v_xor_b32_e32 v8, 0x440, v12
	v_cmp_eq_u32_e32 vcc, 0, v6
	s_add_i32 s63, s5, s4
	s_add_i32 s4, s48, s37
	s_mul_i32 s8, s8, s36
	v_xor_b32_e32 v14, v1, v7
	v_xor_b32_e32 v15, v65, v7
	v_cndmask_b32_e32 v6, v8, v12, vcc
	s_add_i32 s13, s4, s8
	s_mul_i32 s4, s33, s39
	s_mul_hi_u32 s5, s33, s38
	s_mov_b32 s60, 0x1000504
	v_lshlrev_b32_e32 v10, 8, v62
	v_lshlrev_b32_e32 v14, 1, v14
	;; [unrolled: 1-line block ×3, first 2 shown]
	v_lshl_or_b32 v4, v4, 10, v6
	s_add_i32 s4, s5, s4
	s_mul_i32 s5, s53, s38
	s_mov_b32 s61, 0x3020706
	v_or_b32_e32 v68, 0xa000, v16
	v_or_b32_e32 v69, 0xb000, v16
	;; [unrolled: 1-line block ×4, first 2 shown]
	v_xor_b32_e32 v6, 8, v4
	v_xor_b32_e32 v10, 24, v4
	;; [unrolled: 1-line block ×4, first 2 shown]
	s_add_i32 s5, s4, s5
	s_lshl_b64 s[8:9], s[12:13], 2
	v_xor_b32_e32 v8, 16, v4
	v_xor_b32_e32 v12, 32, v4
	;; [unrolled: 1-line block ×3, first 2 shown]
	v_add_u32_e32 v6, 0x80, v6
	v_add_u32_e32 v10, 0x80, v10
	;; [unrolled: 1-line block ×4, first 2 shown]
	s_mul_i32 s4, s33, s38
	s_add_u32 s6, s22, s8
	s_addc_u32 s8, s23, s9
	s_lshl_b64 s[4:5], s[4:5], 2
	s_add_u32 s14, s6, s4
	s_movk_i32 s4, 0xf8
	s_addc_u32 s15, s8, s5
	s_ashr_i32 s43, s42, 31
	s_lshl_b32 s10, s31, 7
	s_movk_i32 s8, 0x100
	v_mov_b32_e32 v51, 0
	v_lshlrev_b32_e32 v50, 4, v62
	v_cmp_gt_u32_e32 vcc, s8, v0
	s_mov_b32 s59, 0
	s_mul_i32 s62, s51, s28
	s_movk_i32 s13, 0x1000
	s_movk_i32 s6, 0x4000
	v_add_u32_e32 v93, v59, v18
	v_mov_b32_e32 v98, 0x3fb8aa3b
	s_mov_b32 s65, 0
	v_mov_b32_e32 v100, v51
	v_mov_b32_e32 v99, v51
	;; [unrolled: 1-line block ×4, first 2 shown]
	s_waitcnt vmcnt(1)
	v_perm_b32 v37, v20, v28, s60
	s_waitcnt vmcnt(0)
	v_perm_b32 v38, v24, v32, s60
	v_perm_b32 v20, v20, v28, s61
	;; [unrolled: 1-line block ×15, first 2 shown]
	ds_write2st64_b32 v4, v37, v38 offset0:32 offset1:64
	ds_write2st64_b32 v6, v20, v24 offset0:32 offset1:64
	;; [unrolled: 1-line block ×8, first 2 shown]
	v_lshlrev_b32_e32 v4, 8, v11
	v_or_b32_e32 v74, v4, v14
	v_or_b32_e32 v75, v4, v15
	;; [unrolled: 1-line block ×3, first 2 shown]
	v_lshlrev_b32_e32 v4, 3, v4
	v_lshrrev_b32_e32 v10, 5, v60
	v_and_or_b32 v10, v4, s4, v10
	v_lshlrev_b32_e32 v8, 11, v58
	v_lshlrev_b32_e32 v10, 4, v10
	v_and_b32_e32 v4, 0x78, v4
	v_and_b32_e32 v6, 0x1000, v8
	v_xor_b32_e32 v11, v10, v4
	v_lshrrev_b32_e32 v12, 1, v0
	v_or_b32_e32 v11, v11, v6
	v_and_b32_e32 v14, 8, v12
	v_xor_b32_e32 v76, v11, v14
	v_or_b32_e32 v11, 32, v10
	v_xor_b32_e32 v11, v11, v4
	v_or_b32_e32 v11, v11, v6
	;; [unrolled: 2-line block ×4, first 2 shown]
	s_lshl_b64 s[4:5], s[42:43], 8
	v_or_b32_e32 v11, v11, v6
	v_xor_b32_e32 v4, v10, v4
	s_waitcnt lgkmcnt(0)
	s_add_u32 s4, s24, s4
	v_lshlrev_b32_e32 v10, 1, v62
	v_xor_b32_e32 v80, v11, v14
	v_lshrrev_b32_e32 v19, 4, v0
	s_addc_u32 s5, s25, s5
	v_or_b32_e32 v11, 1, v10
	v_mov_b32_e32 v23, 0x4000
	v_mov_b32_e32 v24, 0x2000
	v_xor_b32_e32 v20, v19, v10
	v_xor_b32_e32 v21, v11, v19
	v_lshl_add_u64 v[10:11], s[4:5], 0, v[50:51]
	v_lshlrev_b32_e32 v50, 8, v19
	v_cndmask_b32_e32 v23, v23, v24, vcc
	v_lshlrev_b32_e32 v24, 3, v58
	v_and_b32_e32 v12, 24, v12
	v_lshl_or_b32 v84, v20, 3, v50
	v_and_b32_e32 v20, 8, v0
	v_xor_b32_e32 v25, v24, v12
	v_or_b32_e32 v26, 0x440, v25
	v_cmp_eq_u32_e32 vcc, 0, v20
	v_and_b32_e32 v19, 7, v0
	v_lshlrev_b32_e32 v15, 7, v61
	v_cndmask_b32_e32 v20, v26, v25, vcc
	v_lshl_or_b32 v85, v21, 3, v50
	v_lshlrev_b32_e32 v21, 3, v19
	v_lshlrev_b32_e32 v19, 7, v19
	;; [unrolled: 1-line block ×3, first 2 shown]
	v_or_b32_e32 v20, v20, v8
	v_or_b32_e32 v7, v15, v7
	v_xad_u32 v86, v20, v21, v19
	v_and_or_b32 v15, v22, 60, v15
	v_mov_b32_e32 v20, 0xb000
	v_lshl_or_b32 v87, v15, 1, v20
	v_or_b32_e32 v15, 32, v12
	v_xor_b32_e32 v15, v24, v15
	v_or_b32_e32 v20, 0x440, v15
	v_cndmask_b32_e32 v15, v20, v15, vcc
	v_or_b32_e32 v15, v15, v8
	v_xad_u32 v88, v15, v21, v19
	v_or_b32_e32 v15, 64, v12
	v_xor_b32_e32 v15, v24, v15
	v_xor_b32_e32 v20, 0x440, v15
	v_cndmask_b32_e32 v15, v20, v15, vcc
	v_or_b32_e32 v12, 0x60, v12
	v_or_b32_e32 v15, v15, v8
	v_xor_b32_e32 v12, v24, v12
	v_xad_u32 v89, v15, v21, v19
	v_xor_b32_e32 v15, 0x440, v12
	v_lshlrev_b32_e32 v7, 1, v7
	v_or_b32_e32 v4, v4, v6
	v_or_b32_e32 v6, s42, v62
	v_cndmask_b32_e32 v12, v15, v12, vcc
	v_or_b32_e32 v77, 0xa000, v7
	v_or_b32_e32 v79, 0xa080, v7
	v_xor_b32_e32 v81, v4, v14
	v_or_b32_e32 v82, 0xb000, v7
	v_or_b32_e32 v83, 0xb080, v7
	v_ashrrev_i32_e32 v7, 31, v6
	v_lshlrev_b32_e32 v14, 1, v3
	v_add_lshl_u32 v3, v3, s31, 1
	v_or_b32_e32 v16, 0x100, v2
	v_or_b32_e32 v8, v12, v8
	v_lshlrev_b32_e32 v4, 7, v1
	v_xad_u32 v90, v8, v21, v19
	v_cndmask_b32_e64 v91, v14, v2, s[0:1]
	v_cndmask_b32_e64 v92, v3, v16, s[0:1]
	v_lshlrev_b64 v[2:3], 1, v[6:7]
	v_lshl_add_u64 v[52:53], s[20:21], 0, v[2:3]
	v_lshl_add_u64 v[54:55], s[26:27], 0, v[2:3]
	;; [unrolled: 1-line block ×3, first 2 shown]
	s_mov_b32 s43, 0x7060302
	v_lshlrev_b32_e32 v50, 1, v4
	v_add_u32_e32 v94, v23, v86
	v_add_u32_e32 v95, v23, v88
	;; [unrolled: 1-line block ×4, first 2 shown]
	v_mov_b32_e32 v2, v51
	v_mov_b32_e32 v3, v51
	;; [unrolled: 1-line block ×12, first 2 shown]
	s_barrier
.LBB365_6:                              ; =>This Inner Loop Header: Depth=1
	s_add_i32 s64, s65, 1
	s_cmp_lt_i32 s64, s52
	s_mov_b64 s[8:9], 0
	s_cselect_b64 s[44:45], -1, 0
	s_cmp_ge_i32 s64, s52
	s_mov_b64 s[4:5], 0
	s_cbranch_scc1 .LBB365_8
; %bb.7:                                ;   in Loop: Header=BB365_6 Depth=1
	s_add_i32 s0, s59, 64
	s_add_u32 s0, s2, s0
	s_addc_u32 s1, s3, 0
	s_lshl_b64 s[0:1], s[0:1], 8
	s_add_u32 s4, s18, s0
	s_addc_u32 s5, s19, s1
.LBB365_8:                              ;   in Loop: Header=BB365_6 Depth=1
	v_cndmask_b32_e64 v18, 0, 1, s[44:45]
	v_cmp_ne_u32_e64 s[0:1], 1, v18
	s_andn2_b64 vcc, exec, s[44:45]
	s_cbranch_vccnz .LBB365_10
; %bb.9:                                ;   in Loop: Header=BB365_6 Depth=1
	s_add_i32 s8, s59, 64
	s_add_u32 s8, s62, s8
	s_addc_u32 s9, s63, 0
	s_mul_i32 s11, s8, s46
	s_mul_hi_u32 s44, s8, s47
	s_add_i32 s11, s44, s11
	s_mul_i32 s9, s9, s47
	s_add_i32 s11, s11, s9
	s_mul_i32 s8, s8, s47
	s_add_u32 s8, s8, s56
	s_addc_u32 s9, s11, s54
	s_lshl_b64 s[8:9], s[8:9], 8
	s_add_u32 s8, s16, s8
	s_addc_u32 s9, s17, s9
.LBB365_10:                             ;   in Loop: Header=BB365_6 Depth=1
	v_perm_b32 v19, v100, v4, s43
	v_perm_b32 v18, v3, v2, s43
	;; [unrolled: 1-line block ×4, first 2 shown]
	ds_write_b64 v68, v[18:19]
	ds_write_b64 v69, v[20:21]
	;; [unrolled: 1-line block ×4, first 2 shown]
	v_perm_b32 v19, v102, v12, s43
	v_perm_b32 v18, v11, v10, s43
	;; [unrolled: 1-line block ×4, first 2 shown]
	ds_write_b64 v70, v[18:19]
	ds_write_b64 v71, v[20:21]
	;; [unrolled: 1-line block ×4, first 2 shown]
	s_waitcnt lgkmcnt(0)
	s_barrier
	ds_read_b64 v[22:23], v76 offset:24576
	ds_read2_b64 v[18:21], v77 offset1:16
	ds_read_b64 v[26:27], v79 offset:3072
	ds_read_b64 v[28:29], v77 offset:3072
	;; [unrolled: 1-line block ×3, first 2 shown]
	s_waitcnt lgkmcnt(3)
	v_mfma_f32_16x16x16_bf16 a[0:3], v[22:23], v[18:19], 0
	s_add_i32 s11, s59, 63
	s_mul_i32 s44, s11, s41
	s_mul_hi_u32 s45, s11, s40
	v_mfma_f32_16x16x16_bf16 a[4:7], v[22:23], v[20:21], 0
	ds_read2st64_b64 v[18:21], v77 offset0:2 offset1:4
	ds_read2st64_b64 v[22:25], v79 offset0:2 offset1:4
	s_add_i32 s45, s45, s44
	s_waitcnt lgkmcnt(1)
	v_mfma_f32_16x16x16_bf16 a[0:3], v[30:31], v[18:19], a[0:3]
	s_mul_i32 s44, s11, s40
	s_lshl_b64 s[44:45], s[44:45], 2
	s_add_u32 s44, s14, s44
	s_waitcnt lgkmcnt(0)
	v_mfma_f32_16x16x16_bf16 a[4:7], v[30:31], v[22:23], a[4:7]
	ds_read_b64 v[18:19], v80 offset:24576
	ds_read_b64 v[22:23], v81 offset:24576
	s_addc_u32 s45, s15, s45
	s_and_b64 vcc, exec, s[0:1]
	s_waitcnt lgkmcnt(1)
	v_mfma_f32_16x16x16_bf16 a[0:3], v[18:19], v[20:21], a[0:3]
	v_mov_b32_e32 v105, 0
	v_mov_b32_e32 v104, 0
	v_mov_b32_e32 v103, 0
	v_mfma_f32_16x16x16_bf16 a[8:11], v[18:19], v[24:25], a[4:7]
	v_mov_b32_e32 v18, 0
	v_mov_b32_e32 v19, 0
	;; [unrolled: 1-line block ×3, first 2 shown]
	s_waitcnt lgkmcnt(0)
	v_mfma_f32_16x16x16_bf16 a[4:7], v[22:23], v[28:29], a[0:3]
	v_mov_b32_e32 v21, 0
	v_mov_b32_e32 v24, 0
	;; [unrolled: 1-line block ×3, first 2 shown]
	v_mfma_f32_16x16x16_bf16 a[0:3], v[22:23], v[26:27], a[8:11]
	v_mov_b32_e32 v22, 0
	v_mov_b32_e32 v23, 0
	;; [unrolled: 1-line block ×10, first 2 shown]
	s_cbranch_vccnz .LBB365_12
; %bb.11:                               ;   in Loop: Header=BB365_6 Depth=1
	s_and_b32 s5, s5, 0xffff
	buffer_load_dwordx4 v[30:33], v13, s[4:7], 0 offen
	buffer_load_dwordx4 v[26:29], v13, s[4:7], s58 offen
	;; [unrolled: 1-line block ×4, first 2 shown]
	v_mov_b32_e32 v104, v66
	v_mov_b32_e32 v103, v67
.LBB365_12:                             ;   in Loop: Header=BB365_6 Depth=1
	ds_read_b64 v[42:43], v76 offset:32768
	ds_read2_b64 v[34:37], v82 offset1:16
	ds_read_b64 v[44:45], v78 offset:32768
	ds_read_b64 v[46:47], v80 offset:32768
	;; [unrolled: 1-line block ×3, first 2 shown]
	v_add_u32_e32 v106, s59, v93
	s_waitcnt lgkmcnt(3)
	v_mfma_f32_16x16x16_bf16 a[4:7], v[42:43], v[34:35], a[4:7]
	v_ashrrev_i32_e32 v34, 31, v106
	ds_read2st64_b64 v[38:41], v82 offset0:2 offset1:4
	v_mfma_f32_16x16x16_bf16 a[0:3], v[42:43], v[36:37], a[0:3]
	v_mul_lo_u32 v36, v34, s40
	v_mul_lo_u32 v37, v106, s41
	v_mad_u64_u32 v[34:35], s[4:5], v106, s40, 0
	v_add3_u32 v35, v35, v37, v36
	v_add_u32_e32 v36, 1, v106
	v_ashrrev_i32_e32 v37, 31, v36
	v_mul_lo_u32 v42, v37, s40
	v_mul_lo_u32 v43, v36, s41
	v_mad_u64_u32 v[36:37], s[4:5], v36, s40, 0
	v_add3_u32 v37, v37, v43, v42
	v_add_u32_e32 v42, 2, v106
	v_ashrrev_i32_e32 v43, 31, v42
	v_mul_lo_u32 v107, v43, s40
	v_mul_lo_u32 v108, v42, s41
	v_mad_u64_u32 v[42:43], s[4:5], v42, s40, 0
	v_add_u32_e32 v106, 3, v106
	v_add3_u32 v43, v43, v108, v107
	v_ashrrev_i32_e32 v107, 31, v106
	v_mul_lo_u32 v108, v107, s40
	v_mul_lo_u32 v109, v106, s41
	v_mad_u64_u32 v[106:107], s[4:5], v106, s40, 0
	s_add_u32 s4, s2, s59
	s_addc_u32 s5, s3, 0
	s_lshl_b64 s[66:67], s[4:5], 8
	v_lshl_add_u64 v[34:35], v[34:35], 2, s[14:15]
	v_lshl_add_u64 v[36:37], v[36:37], 2, s[14:15]
	v_add3_u32 v107, v107, v109, v108
	v_lshl_add_u64 v[108:109], v[52:53], 0, s[66:67]
	v_lshl_add_u64 v[42:43], v[42:43], 2, s[14:15]
	;; [unrolled: 1-line block ×3, first 2 shown]
	global_load_dword v110, v[34:35], off
	global_load_ushort v111, v[108:109], off offset:256
	global_load_ushort v112, v[108:109], off
	v_lshl_add_u64 v[34:35], v[106:107], 2, s[14:15]
	global_load_dword v106, v[36:37], off
	global_load_dword v107, v[42:43], off
	;; [unrolled: 1-line block ×3, first 2 shown]
	ds_read2st64_b64 v[34:37], v83 offset0:2 offset1:4
	global_load_ushort v114, v[108:109], off offset:768
	global_load_ushort v115, v[108:109], off offset:512
	;; [unrolled: 1-line block ×5, first 2 shown]
	s_nop 0
	global_load_ushort v108, v[108:109], off offset:32
	s_waitcnt lgkmcnt(1)
	v_mfma_f32_16x16x16_bf16 a[4:7], v[44:45], v[38:39], a[4:7]
	s_and_b64 vcc, exec, s[0:1]
	s_waitcnt vmcnt(10)
	v_lshlrev_b32_e32 v43, 16, v111
	s_waitcnt lgkmcnt(0)
	v_mfma_f32_16x16x16_bf16 a[0:3], v[44:45], v[34:35], a[0:3]
	s_waitcnt vmcnt(9)
	v_lshlrev_b32_e32 v42, 16, v112
	v_mfma_f32_16x16x16_bf16 a[4:7], v[46:47], v[40:41], a[4:7]
	v_mfma_f32_16x16x16_bf16 a[0:3], v[46:47], v[36:37], a[0:3]
	ds_read_b64 v[34:35], v82 offset:3072
	ds_read_b64 v[36:37], v83 offset:3072
	s_load_dword s4, s[44:45], 0x0
	s_waitcnt lgkmcnt(0)
	v_sub_f32_e32 v44, s4, v110
	v_mfma_f32_16x16x16_bf16 a[4:7], v[48:49], v[34:35], a[4:7]
	v_mul_f32_e32 v44, 0x3fb8aa3b, v44
	s_waitcnt vmcnt(8)
	v_sub_f32_e32 v45, s4, v106
	s_waitcnt vmcnt(7)
	v_sub_f32_e32 v46, s4, v107
	;; [unrolled: 2-line block ×3, first 2 shown]
	v_mfma_f32_16x16x16_bf16 a[0:3], v[48:49], v[36:37], a[0:3]
	v_lshl_add_u64 v[34:35], v[54:55], 0, s[66:67]
	v_lshl_add_u64 v[34:35], v[34:35], 0, v[50:51]
	v_accvgpr_read_b32 v41, a5
	v_accvgpr_read_b32 v40, a4
	v_pk_add_f32 v[40:41], v[42:43], v[40:41] neg_lo:[0,1] neg_hi:[0,1]
	v_exp_f32_e32 v42, v44
	v_mul_f32_e32 v43, 0x3fb8aa3b, v45
	v_mul_f32_e32 v44, 0x3fb8aa3b, v46
	;; [unrolled: 1-line block ×3, first 2 shown]
	v_exp_f32_e32 v43, v43
	v_exp_f32_e32 v44, v44
	v_exp_f32_e32 v45, v45
	v_accvgpr_read_b32 v37, a7
	v_accvgpr_read_b32 v36, a6
	s_waitcnt vmcnt(5)
	v_lshlrev_b32_e32 v47, 16, v114
	s_waitcnt vmcnt(4)
	v_lshlrev_b32_e32 v46, 16, v115
	v_pk_add_f32 v[36:37], v[46:47], v[36:37] neg_lo:[0,1] neg_hi:[0,1]
	global_store_short_d16_hi v[34:35], v40, off
	global_store_short_d16_hi v[34:35], v41, off offset:256
	global_store_short_d16_hi v[34:35], v36, off offset:512
	;; [unrolled: 1-line block ×3, first 2 shown]
	v_pk_mul_f32 v[40:41], v[42:43], v[40:41]
	v_pk_mul_f32 v[36:37], v[44:45], v[36:37]
	v_accvgpr_read_b32 v47, a1
	v_perm_b32 v37, v37, v36, s43
	v_perm_b32 v36, v41, v40, s43
	s_waitcnt vmcnt(5)
	v_lshlrev_b32_e32 v41, 16, v118
	s_waitcnt vmcnt(4)
	v_lshlrev_b32_e32 v40, 16, v108
	v_accvgpr_read_b32 v46, a0
	v_accvgpr_read_b32 v39, a3
	;; [unrolled: 1-line block ×3, first 2 shown]
	v_pk_add_f32 v[40:41], v[40:41], v[46:47] neg_lo:[0,1] neg_hi:[0,1]
	v_lshlrev_b32_e32 v47, 16, v116
	v_lshlrev_b32_e32 v46, 16, v117
	v_pk_add_f32 v[38:39], v[46:47], v[38:39] neg_lo:[0,1] neg_hi:[0,1]
	global_store_short_d16_hi v[34:35], v40, off offset:32
	global_store_short_d16_hi v[34:35], v41, off offset:288
	;; [unrolled: 1-line block ×4, first 2 shown]
	v_pk_mul_f32 v[34:35], v[42:43], v[40:41]
	v_pk_mul_f32 v[38:39], v[44:45], v[38:39]
	v_mov_b32_e32 v106, 0
	v_perm_b32 v39, v39, v38, s43
	v_perm_b32 v38, v35, v34, s43
	ds_write2_b64 v69, v[36:37], v[38:39] offset1:16
	v_mov_b32_e32 v34, 0
	v_mov_b32_e32 v35, 0
	;; [unrolled: 1-line block ×16, first 2 shown]
	s_cbranch_vccnz .LBB365_14
; %bb.13:                               ;   in Loop: Header=BB365_6 Depth=1
	s_and_b32 s9, s9, 0xffff
	s_mov_b32 s11, s7
	buffer_load_dwordx4 v[46:49], v91, s[8:11], 0 offen
	buffer_load_dwordx4 v[38:41], v91, s[8:11], s58 offen
	;; [unrolled: 1-line block ×4, first 2 shown]
	v_mov_b32_e32 v105, v9
	v_mov_b32_e32 v106, v5
.LBB365_14:                             ;   in Loop: Header=BB365_6 Depth=1
	s_waitcnt lgkmcnt(0)
	s_barrier
	ds_read_b64 v[112:113], v94
	ds_read_b64 v[120:121], v87
	ds_read_b64 v[116:117], v95
	ds_read_b64 v[122:123], v96
	ds_read_b64 v[124:125], v97
	ds_read_b64 v[126:127], v88 offset:16384
	ds_read_b64 v[128:129], v86 offset:16384
	ds_read2_b64 v[108:111], v82 offset0:16 offset1:128
	s_waitcnt lgkmcnt(6)
	v_mfma_f32_16x16x16_bf16 a[0:3], v[112:113], v[120:121], 0
	ds_read_b64 v[130:131], v83 offset:3072
	ds_read_b64 v[132:133], v90 offset:16384
	s_add_i32 s5, s55, s65
	s_waitcnt lgkmcnt(2)
	v_mfma_f32_16x16x16_bf16 a[4:7], v[112:113], v[108:109], 0
	ds_read2st64_b64 v[112:115], v83 offset0:2 offset1:4
	s_mul_hi_i32 s9, s5, s29
	s_mul_i32 s5, s5, s29
	v_mfma_f32_16x16x16_bf16 a[0:3], v[116:117], v[110:111], a[0:3]
	s_add_u32 s8, s5, s33
	s_addc_u32 s9, s9, s53
	s_lshl_b64 s[8:9], s[8:9], 15
	s_waitcnt lgkmcnt(0)
	v_mfma_f32_16x16x16_bf16 a[4:7], v[116:117], v[112:113], a[4:7]
	ds_read2st64_b64 v[116:119], v82 offset0:4 offset1:6
	s_waitcnt lgkmcnt(0)
	v_mfma_f32_16x16x16_bf16 a[0:3], v[122:123], v[116:117], a[0:3]
	v_mfma_f32_16x16x16_bf16 a[8:11], v[122:123], v[114:115], a[4:7]
	;; [unrolled: 1-line block ×5, first 2 shown]
	ds_read2st64_b64 v[120:123], v85 offset1:8
	v_mfma_f32_16x16x16_bf16 a[12:15], v[128:129], v[108:109], 0
	ds_read_b64 v[128:129], v89 offset:16384
	v_mfma_f32_16x16x16_bf16 a[8:11], v[126:127], v[110:111], a[8:11]
	ds_read2st64_b64 v[108:111], v84 offset1:8
	s_waitcnt lgkmcnt(0)
	v_mov_b32_e32 v124, v108
	v_mfma_f32_16x16x16_bf16 a[12:15], v[126:127], v[112:113], a[12:15]
	v_lshl_add_u64 v[112:113], v[56:57], 0, s[8:9]
	v_add_co_u32_e32 v108, vcc, s13, v112
	v_mfma_f32_16x16x16_bf16 a[8:11], v[128:129], v[116:117], a[8:11]
	v_mov_b32_e32 v125, v109
	v_addc_co_u32_e32 v109, vcc, 0, v113, vcc
	v_mfma_f32_16x16x16_bf16 a[12:15], v[128:129], v[114:115], a[12:15]
	v_mov_b32_e32 v126, v120
	v_mov_b32_e32 v127, v121
	;; [unrolled: 1-line block ×3, first 2 shown]
	v_mfma_f32_16x16x16_bf16 a[8:11], v[132:133], v[118:119], a[8:11]
	v_mov_b32_e32 v121, v111
	s_and_b64 vcc, exec, s[0:1]
	global_store_dwordx4 v[112:113], v[124:127], off
	v_mfma_f32_16x16x16_bf16 a[12:15], v[132:133], v[130:131], a[12:15]
	global_store_dwordx4 v[108:109], v[120:123], off
	s_cbranch_vccnz .LBB365_16
; %bb.15:                               ;   in Loop: Header=BB365_6 Depth=1
	v_lshrrev_b32_e32 v107, 3, v105
	v_and_b32_e32 v107, 6, v107
	v_xor_b32_e32 v106, v107, v106
	v_lshlrev_b32_e32 v106, 2, v106
	v_and_b32_e32 v105, 8, v105
	v_xor_b32_e32 v108, 0x440, v106
	v_cmp_eq_u32_e32 vcc, 0, v105
	s_barrier
	s_nop 0
	v_cndmask_b32_e32 v105, v108, v106, vcc
	v_lshl_or_b32 v105, v107, 10, v105
	s_waitcnt vmcnt(3)
	v_perm_b32 v106, v46, v42, s60
	s_waitcnt vmcnt(2)
	v_perm_b32 v107, v38, v34, s60
	ds_write2st64_b32 v105, v106, v107 offset0:32 offset1:64
	v_xor_b32_e32 v106, 8, v105
	v_perm_b32 v42, v46, v42, s61
	v_perm_b32 v34, v38, v34, s61
	v_add_u32_e32 v38, 0x80, v106
	ds_write2st64_b32 v38, v42, v34 offset0:32 offset1:64
	v_xor_b32_e32 v34, 16, v105
	v_perm_b32 v38, v47, v43, s60
	v_perm_b32 v42, v39, v35, s60
	ds_write2st64_b32 v34, v38, v42 offset0:33 offset1:65
	v_xor_b32_e32 v34, 24, v105
	v_perm_b32 v38, v47, v43, s61
	v_perm_b32 v35, v39, v35, s61
	v_add_u32_e32 v34, 0x80, v34
	ds_write2st64_b32 v34, v38, v35 offset0:33 offset1:65
	v_xor_b32_e32 v34, 32, v105
	v_perm_b32 v35, v48, v44, s60
	v_perm_b32 v38, v40, v36, s60
	ds_write2st64_b32 v34, v35, v38 offset0:34 offset1:66
	v_xor_b32_e32 v34, 40, v105
	v_perm_b32 v35, v48, v44, s61
	v_perm_b32 v36, v40, v36, s61
	v_add_u32_e32 v34, 0x80, v34
	ds_write2st64_b32 v34, v35, v36 offset0:34 offset1:66
	v_xor_b32_e32 v34, 48, v105
	v_perm_b32 v35, v49, v45, s60
	v_perm_b32 v36, v41, v37, s60
	ds_write2st64_b32 v34, v35, v36 offset0:35 offset1:67
	v_xor_b32_e32 v34, 56, v105
	v_perm_b32 v35, v49, v45, s61
	v_perm_b32 v36, v41, v37, s61
	v_add_u32_e32 v34, 0x80, v34
	ds_write2st64_b32 v34, v35, v36 offset0:35 offset1:67
	ds_write_b64 v104, v[30:31] offset:24576
	v_xor_b32_e32 v30, 8, v104
	ds_write_b64 v30, v[32:33] offset:24576
	ds_write_b64 v104, v[26:27] offset:32768
	;; [unrolled: 1-line block ×4, first 2 shown]
	v_xor_b32_e32 v22, 8, v103
	ds_write_b64 v22, v[24:25] offset:24576
	ds_write_b64 v103, v[18:19] offset:32768
	;; [unrolled: 1-line block ×3, first 2 shown]
.LBB365_16:                             ;   in Loop: Header=BB365_6 Depth=1
	v_mul_f32_e32 v18, s4, v98
	s_waitcnt vmcnt(2)
	v_exp_f32_e32 v34, v18
	v_accvgpr_read_b32 v33, a7
	v_accvgpr_read_b32 v25, a3
	v_accvgpr_read_b32 v29, a11
	v_accvgpr_read_b32 v21, a15
	v_accvgpr_read_b32 v32, a6
	v_accvgpr_read_b32 v31, a5
	v_accvgpr_read_b32 v30, a4
	v_accvgpr_read_b32 v24, a2
	v_accvgpr_read_b32 v23, a1
	v_accvgpr_read_b32 v22, a0
	v_accvgpr_read_b32 v28, a10
	v_accvgpr_read_b32 v27, a9
	v_accvgpr_read_b32 v26, a8
	v_accvgpr_read_b32 v20, a14
	v_accvgpr_read_b32 v19, a13
	v_accvgpr_read_b32 v18, a12
	s_add_i32 s59, s59, 64
	v_fma_f32 v2, v2, v34, v30
	v_fma_f32 v3, v3, v34, v31
	v_fma_f32 v4, v4, v34, v32
	v_fmac_f32_e32 v33, v100, v34
	v_fma_f32 v10, v10, v34, v22
	v_fma_f32 v11, v11, v34, v23
	v_fma_f32 v12, v12, v34, v24
	v_fmac_f32_e32 v25, v102, v34
	;; [unrolled: 4-line block ×3, first 2 shown]
	v_fma_f32 v14, v14, v34, v18
	v_fma_f32 v15, v15, v34, v19
	;; [unrolled: 1-line block ×3, first 2 shown]
	s_cmp_eq_u32 s52, s64
	v_fmac_f32_e32 v21, v101, v34
	s_cbranch_scc1 .LBB365_18
; %bb.17:                               ;   in Loop: Header=BB365_6 Depth=1
	s_mov_b32 s65, s64
	v_mov_b32_e32 v100, v33
	v_mov_b32_e32 v99, v29
	v_mov_b32_e32 v102, v25
	v_mov_b32_e32 v101, v21
	s_branch .LBB365_6
.LBB365_18:
	v_mov_b32_e32 v5, v33
	v_mov_b32_e32 v9, v29
	;; [unrolled: 1-line block ×4, first 2 shown]
.LBB365_19:
	s_lshl_b32 s53, s52, 6
	s_sub_i32 s54, s28, s53
	s_cmp_gt_i32 s54, 0
	v_or_b32_e32 v34, s42, v62
	s_cbranch_scc1 .LBB365_21
; %bb.20:
	s_ashr_i32 s0, s33, 31
	s_add_u32 s8, s49, s33
	s_addc_u32 s9, s57, s0
	v_or_b32_e32 v18, s42, v62
	s_cbranch_execz .LBB365_22
	s_branch .LBB365_86
.LBB365_21:
                                        ; implicit-def: $sgpr8_sgpr9
                                        ; implicit-def: $vgpr18
.LBB365_22:
	s_ashr_i32 s13, s51, 31
	s_ashr_i32 s2, s53, 31
	s_cmpk_lg_i32 s31, 0x80
	s_cselect_b64 s[44:45], -1, 0
	s_and_b64 vcc, exec, s[44:45]
	s_cbranch_vccz .LBB365_24
; %bb.23:
	s_mul_i32 s1, s51, s28
	s_mul_hi_i32 s0, s51, s28
	s_add_u32 s1, s1, s53
	s_addc_u32 s0, s0, s2
	s_mul_i32 s3, s1, s46
	s_mul_hi_u32 s4, s1, s30
	s_add_i32 s3, s4, s3
	s_mul_i32 s0, s0, s30
	s_add_i32 s3, s3, s0
	s_mul_i32 s1, s1, s30
	s_ashr_i32 s0, s56, 31
	s_add_u32 s46, s1, s56
	s_addc_u32 s47, s3, s0
	s_cbranch_execz .LBB365_25
	s_branch .LBB365_26
.LBB365_24:
                                        ; implicit-def: $sgpr46_sgpr47
.LBB365_25:
	s_mul_hi_i32 s0, s51, s30
	s_mul_i32 s51, s51, s30
	s_ashr_i32 s1, s56, 31
	s_add_u32 s3, s51, s56
	s_addc_u32 s0, s0, s1
	s_mul_i32 s1, s3, s50
	s_mul_hi_u32 s4, s3, s28
	s_add_i32 s1, s4, s1
	s_mul_i32 s0, s0, s28
	s_add_i32 s1, s1, s0
	s_mul_i32 s3, s3, s28
	s_add_u32 s46, s3, s53
	s_addc_u32 s47, s1, s2
.LBB365_26:
	s_add_i32 s3, s55, s52
	s_ashr_i32 s30, s33, 31
	s_add_u32 s8, s49, s33
	s_addc_u32 s9, s57, s30
	s_mul_i32 s0, s8, s50
	s_mul_hi_u32 s1, s8, s28
	s_add_i32 s0, s1, s0
	s_mul_i32 s1, s9, s28
	s_add_i32 s1, s0, s1
	s_mul_i32 s0, s8, s28
	s_add_u32 s0, s0, s53
	v_lshlrev_b32_e32 v22, 5, v1
	v_lshlrev_b32_e32 v40, 2, v62
	s_addc_u32 s1, s1, s2
	s_mov_b32 s2, 0x7060302
	v_or_b32_e32 v25, v22, v40
	v_xor_b32_e32 v23, v1, v40
	v_perm_b32 v19, v5, v4, s2
	v_perm_b32 v18, v3, v2, s2
	;; [unrolled: 1-line block ×4, first 2 shown]
	v_lshlrev_b32_e32 v25, 1, v25
	s_lshl_b64 s[10:11], s[0:1], 8
	v_xor_b32_e32 v24, v65, v40
	ds_write2st64_b64 v25, v[18:19], v[20:21] offset0:80 offset1:88
	v_lshlrev_b32_e32 v23, 1, v23
	v_lshlrev_b32_e32 v25, 8, v62
	s_add_u32 s0, s18, s10
	v_or_b32_e32 v26, v23, v25
	v_lshlrev_b32_e32 v24, 1, v24
	s_addc_u32 s1, s19, s11
	ds_write_b64 v26, v[18:19]
	v_or_b32_e32 v18, v24, v25
	v_or_b32_e32 v25, 16, v62
	s_mul_hi_i32 s4, s3, s29
	s_mul_i32 s3, s3, s29
	ds_write_b64 v18, v[20:21]
	v_perm_b32 v19, v13, v12, s2
	v_perm_b32 v18, v11, v10, s2
	;; [unrolled: 1-line block ×4, first 2 shown]
	v_lshlrev_b32_e32 v37, 2, v25
	s_add_u32 s2, s3, s33
	v_or_b32_e32 v22, v22, v37
	s_addc_u32 s3, s4, s30
	v_lshlrev_b32_e32 v22, 1, v22
	s_ashr_i32 s43, s42, 31
	s_lshl_b64 s[2:3], s[2:3], 15
	ds_write2st64_b64 v22, v[18:19], v[20:21] offset0:80 offset1:88
	v_lshlrev_b32_e32 v22, 8, v25
	s_waitcnt lgkmcnt(0)
	s_add_u32 s4, s24, s2
	v_or_b32_e32 v23, v23, v22
	s_addc_u32 s5, s25, s3
	s_lshl_b64 s[2:3], s[42:43], 8
	ds_write_b64 v23, v[18:19]
	v_or_b32_e32 v18, v24, v22
	s_add_u32 s2, s4, s2
	ds_write_b64 v18, v[20:21]
	v_lshrrev_b32_e32 v18, 4, v0
	s_addc_u32 s3, s5, s3
	v_lshlrev_b32_e32 v19, 1, v62
	v_lshlrev_b32_e32 v26, 4, v62
	v_mov_b32_e32 v27, 0
	v_or_b32_e32 v20, 1, v19
	v_xor_b32_e32 v19, v18, v19
	v_lshl_add_u64 v[28:29], s[2:3], 0, v[26:27]
	v_lshlrev_b32_e32 v26, 8, v18
	v_xor_b32_e32 v22, v20, v18
	v_lshl_or_b32 v18, v19, 3, v26
	s_waitcnt lgkmcnt(0)
	s_barrier
	ds_read2st64_b64 v[18:21], v18 offset1:8
	v_lshl_or_b32 v22, v22, 3, v26
	ds_read2st64_b64 v[22:25], v22 offset1:8
	v_lshl_add_u64 v[30:31], v[28:29], 0, v[26:27]
	s_movk_i32 s2, 0x1000
	s_waitcnt lgkmcnt(1)
	v_mov_b32_e32 v26, v18
	v_add_co_u32_e32 v18, vcc, s2, v30
	s_cmp_lg_u32 s54, 64
	v_mov_b32_e32 v27, v19
	v_addc_co_u32_e32 v19, vcc, 0, v31, vcc
	s_cselect_b64 s[14:15], -1, 0
	v_lshl_or_b32 v35, v58, 3, v64
	s_waitcnt lgkmcnt(0)
	v_mov_b32_e32 v28, v22
	v_mov_b32_e32 v29, v23
	;; [unrolled: 1-line block ×4, first 2 shown]
	s_mov_b32 s4, 0
	v_or_b32_e32 v38, 32, v35
	v_and_b32_e32 v36, 56, v63
	s_and_b64 vcc, exec, s[14:15]
	global_store_dwordx4 v[30:31], v[26:29], off
	global_store_dwordx4 v[18:19], v[22:25], off
	s_cbranch_vccz .LBB365_32
; %bb.27:
	s_mov_b32 s6, s4
	s_mov_b32 s7, s4
	;; [unrolled: 1-line block ×3, first 2 shown]
	v_mov_b64_e32 v[24:25], s[6:7]
	v_mov_b64_e32 v[22:23], s[4:5]
	;; [unrolled: 1-line block ×3, first 2 shown]
	v_cmp_gt_i32_e32 vcc, s54, v35
	v_mov_b64_e32 v[20:21], v[24:25]
	s_and_saveexec_b64 s[2:3], vcc
	s_cbranch_execz .LBB365_29
; %bb.28:
	v_lshlrev_b32_e32 v18, 8, v35
	v_mov_b32_e32 v19, 0
	v_lshl_add_u64 v[20:21], s[0:1], 0, v[18:19]
	v_lshlrev_b32_e32 v18, 1, v36
	v_lshl_add_u64 v[26:27], v[20:21], 0, v[18:19]
	global_load_dwordx4 v[22:25], v[26:27], off
	global_load_dwordx4 v[18:21], v[26:27], off offset:128
.LBB365_29:
	s_or_b64 exec, exec, s[2:3]
	s_mov_b32 s6, s4
	s_mov_b32 s7, s4
	;; [unrolled: 1-line block ×3, first 2 shown]
	v_mov_b64_e32 v[32:33], s[6:7]
	v_mov_b64_e32 v[30:31], s[4:5]
	v_mov_b64_e32 v[26:27], v[30:31]
	v_cmp_gt_i32_e32 vcc, s54, v38
	v_lshlrev_b32_e32 v39, 7, v38
	v_mov_b64_e32 v[28:29], v[32:33]
	s_and_saveexec_b64 s[2:3], vcc
	s_cbranch_execz .LBB365_31
; %bb.30:
	v_lshlrev_b32_e32 v26, 1, v39
	v_mov_b32_e32 v27, 0
	v_lshl_add_u64 v[28:29], s[0:1], 0, v[26:27]
	v_lshlrev_b32_e32 v26, 1, v36
	v_lshl_add_u64 v[42:43], v[28:29], 0, v[26:27]
	global_load_dwordx4 v[30:33], v[42:43], off
	global_load_dwordx4 v[26:29], v[42:43], off offset:128
.LBB365_31:
	s_or_b64 exec, exec, s[2:3]
	v_lshrrev_b32_e32 v41, 3, v36
	v_lshlrev_b32_e32 v42, 3, v35
	v_or_b32_e32 v41, v42, v41
	v_lshlrev_b32_e32 v41, 4, v41
	v_and_b32_e32 v42, 0x78, v42
	v_xor_b32_e32 v41, v41, v42
	s_branch .LBB365_34
.LBB365_32:
                                        ; implicit-def: $vgpr41
                                        ; implicit-def: $vgpr39
                                        ; implicit-def: $vgpr22_vgpr23_vgpr24_vgpr25
                                        ; implicit-def: $vgpr18_vgpr19_vgpr20_vgpr21
                                        ; implicit-def: $vgpr30_vgpr31_vgpr32_vgpr33
                                        ; implicit-def: $vgpr26_vgpr27_vgpr28_vgpr29
	s_cbranch_execz .LBB365_34
; %bb.33:
	s_waitcnt vmcnt(0)
	v_lshlrev_b32_e32 v18, 1, v36
	v_lshl_or_b32 v39, v35, 8, v18
	s_and_b32 s1, s1, 0xffff
	s_mov_b32 s3, 0x20000
	s_movk_i32 s2, 0x4000
	v_lshl_or_b32 v41, v38, 8, v18
	s_movk_i32 s4, 0x80
	buffer_load_dwordx4 v[22:25], v39, s[0:3], 0 offen
	buffer_load_dwordx4 v[18:21], v39, s[0:3], s4 offen
	buffer_load_dwordx4 v[30:33], v41, s[0:3], 0 offen
	buffer_load_dwordx4 v[26:29], v41, s[0:3], s4 offen
	v_lshrrev_b32_e32 v39, 3, v36
	v_lshlrev_b32_e32 v41, 3, v35
	v_or_b32_e32 v39, v41, v39
	v_lshlrev_b32_e32 v39, 4, v39
	v_and_b32_e32 v41, 0x78, v41
	v_xor_b32_e32 v41, v39, v41
	v_lshlrev_b32_e32 v39, 7, v38
.LBB365_34:
	s_lshl_b64 s[0:1], s[46:47], 8
	s_add_u32 s4, s16, s0
	s_movk_i32 s0, 0x1000
	v_and_or_b32 v38, v39, s0, v41
	s_waitcnt vmcnt(1)
	ds_write_b64 v41, v[22:23] offset:24576
	v_xor_b32_e32 v22, 8, v41
	ds_write_b64 v22, v[24:25] offset:24576
	s_waitcnt vmcnt(0)
	ds_write_b64 v41, v[18:19] offset:32768
	ds_write_b64 v22, v[20:21] offset:32768
	;; [unrolled: 1-line block ×3, first 2 shown]
	v_xor_b32_e32 v18, 8, v38
	ds_write_b64 v18, v[32:33] offset:24576
	ds_write_b64 v38, v[26:27] offset:32768
	ds_write_b64 v18, v[28:29] offset:32768
	v_or_b32_e32 v18, v59, v62
	v_lshlrev_b32_e32 v18, 3, v18
	v_lshrrev_b32_e32 v19, 5, v60
	s_movk_i32 s7, 0xf8
	v_and_or_b32 v19, v18, s7, v19
	v_lshlrev_b32_e32 v23, 4, v19
	v_lshlrev_b32_e32 v41, 11, v58
	v_and_b32_e32 v24, 0x78, v18
	v_or_b32_e32 v26, 32, v23
	v_and_b32_e32 v22, 0x1000, v41
	v_lshrrev_b32_e32 v19, 1, v60
	v_xor_b32_e32 v26, v26, v24
	v_xor_b32_e32 v18, v23, v24
	v_and_b32_e32 v25, 8, v19
	v_or_b32_e32 v26, v26, v22
	v_or_b32_e32 v18, v18, v22
	v_xor_b32_e32 v45, v26, v25
	v_or_b32_e32 v26, 64, v23
	v_xor_b32_e32 v44, v18, v25
	v_xor_b32_e32 v26, v26, v24
	s_waitcnt lgkmcnt(0)
	s_barrier
	v_or_b32_e32 v28, v26, v22
	ds_read_b64 v[26:27], v44 offset:24576
	v_lshl_or_b32 v38, v61, 7, v40
	v_lshlrev_b32_e32 v42, 1, v38
	v_add_u32_e32 v18, 0xa000, v42
	ds_read2_b64 v[18:21], v18 offset1:16
	v_or_b32_e32 v23, 0x60, v23
	v_xor_b32_e32 v23, v23, v24
	s_waitcnt lgkmcnt(0)
	v_mfma_f32_16x16x16_bf16 a[0:3], v[26:27], v[18:19], 0
	v_or_b32_e32 v18, 64, v38
	v_or_b32_e32 v22, v23, v22
	v_lshlrev_b32_e32 v43, 1, v18
	v_xor_b32_e32 v46, v28, v25
	v_xor_b32_e32 v47, v22, v25
	ds_read_b64 v[28:29], v45 offset:24576
	ds_read_b64 v[30:31], v46 offset:24576
	;; [unrolled: 1-line block ×3, first 2 shown]
	v_mfma_f32_16x16x16_bf16 a[4:7], v[26:27], v[20:21], 0
	ds_read2st64_b64 v[18:21], v43 offset0:82 offset1:84
	ds_read2st64_b64 v[22:25], v42 offset0:82 offset1:84
	s_addc_u32 s5, s17, s1
	s_add_i32 s2, s28, -1
	s_add_i32 s0, s48, s37
	s_mul_i32 s13, s13, s36
	s_add_i32 s13, s0, s13
	s_mul_i32 s0, s33, s39
	s_mul_hi_u32 s1, s33, s38
	s_ashr_i32 s3, s2, 31
	s_mul_i32 s6, s2, s41
	s_mul_hi_u32 s7, s2, s40
	s_add_i32 s0, s1, s0
	s_mul_i32 s1, s30, s38
	s_add_i32 s6, s7, s6
	s_mul_i32 s3, s3, s40
	s_waitcnt lgkmcnt(1)
	v_mfma_f32_16x16x16_bf16 a[4:7], v[28:29], v[18:19], a[4:7]
	s_add_i32 s1, s0, s1
	s_add_i32 s3, s6, s3
	s_lshl_b64 s[6:7], s[12:13], 2
	s_waitcnt lgkmcnt(0)
	v_mfma_f32_16x16x16_bf16 a[0:3], v[28:29], v[22:23], a[0:3]
	s_mul_i32 s0, s33, s38
	s_add_u32 s6, s22, s6
	s_addc_u32 s7, s23, s7
	s_lshl_b64 s[0:1], s[0:1], 2
	s_mul_i32 s2, s2, s40
	s_add_u32 s12, s6, s0
	ds_read_b64 v[18:19], v42 offset:44032
	v_mfma_f32_16x16x16_bf16 a[4:7], v[30:31], v[20:21], a[4:7]
	ds_read_b64 v[20:21], v43 offset:44032
	s_addc_u32 s13, s7, s1
	s_lshl_b64 s[0:1], s[2:3], 2
	v_mfma_f32_16x16x16_bf16 a[0:3], v[30:31], v[24:25], a[0:3]
	s_add_u32 s0, s12, s0
	s_addc_u32 s1, s13, s1
	s_load_dword s16, s[0:1], 0x0
	s_waitcnt lgkmcnt(0)
	v_mfma_f32_16x16x16_bf16 a[0:3], v[32:33], v[18:19], a[0:3]
	s_and_b64 vcc, exec, s[44:45]
	v_mfma_f32_16x16x16_bf16 a[4:7], v[32:33], v[20:21], a[4:7]
	s_cbranch_vccz .LBB365_45
; %bb.35:
	v_lshlrev_b32_e32 v38, 1, v35
	s_and_b64 vcc, exec, s[14:15]
	s_cbranch_vccz .LBB365_46
; %bb.36:
	v_cmp_gt_i32_e32 vcc, s54, v38
	v_mov_b32_e32 v22, 0
	v_mov_b32_e32 v18, 0
	;; [unrolled: 1-line block ×5, first 2 shown]
	s_and_saveexec_b64 s[0:1], vcc
	s_cbranch_execz .LBB365_38
; %bb.37:
	v_mad_i64_i32 v[18:19], s[2:3], s31, v38, 0
	v_lshl_add_u64 v[18:19], v[18:19], 1, s[4:5]
	v_lshlrev_b32_e32 v20, 1, v36
	v_mov_b32_e32 v21, 0
	v_lshl_add_u64 v[18:19], v[18:19], 0, v[20:21]
	global_load_dwordx4 v[18:21], v[18:19], off
.LBB365_38:
	s_or_b64 exec, exec, s[0:1]
	v_or_b32_e32 v39, 1, v38
	v_cmp_gt_i32_e64 s[0:1], s54, v39
	v_mov_b32_e32 v23, 0
	v_mov_b32_e32 v24, 0
	;; [unrolled: 1-line block ×3, first 2 shown]
	s_and_saveexec_b64 s[2:3], s[0:1]
	s_cbranch_execz .LBB365_40
; %bb.39:
	v_mad_i64_i32 v[22:23], s[6:7], s31, v39, 0
	v_lshl_add_u64 v[22:23], v[22:23], 1, s[4:5]
	v_lshlrev_b32_e32 v24, 1, v36
	v_mov_b32_e32 v25, 0
	v_lshl_add_u64 v[22:23], v[22:23], 0, v[24:25]
	global_load_dwordx4 v[22:25], v[22:23], off
.LBB365_40:
	s_or_b64 exec, exec, s[2:3]
	v_mov_b32_e32 v33, 0
	v_mov_b32_e32 v26, 0
	;; [unrolled: 1-line block ×5, first 2 shown]
	s_and_saveexec_b64 s[2:3], vcc
	s_cbranch_execz .LBB365_42
; %bb.41:
	v_mad_i64_i32 v[26:27], s[6:7], s31, v38, 0
	v_lshl_add_u64 v[26:27], v[26:27], 1, s[4:5]
	v_lshlrev_b32_e32 v28, 1, v36
	v_mov_b32_e32 v29, 0
	v_lshl_add_u64 v[26:27], v[26:27], 0, v[28:29]
	global_load_dwordx4 v[26:29], v[26:27], off offset:128
.LBB365_42:
	s_or_b64 exec, exec, s[2:3]
	v_mov_b32_e32 v32, 0
	v_mov_b32_e32 v31, 0
	;; [unrolled: 1-line block ×3, first 2 shown]
	s_and_saveexec_b64 s[2:3], s[0:1]
	s_cbranch_execz .LBB365_44
; %bb.43:
	v_mad_i64_i32 v[30:31], s[0:1], s31, v39, 0
	v_lshl_add_u64 v[30:31], v[30:31], 1, s[4:5]
	v_lshlrev_b32_e32 v32, 1, v36
	v_mov_b32_e32 v33, 0
	v_lshl_add_u64 v[30:31], v[30:31], 0, v[32:33]
	global_load_dwordx4 v[30:33], v[30:31], off offset:128
.LBB365_44:
	s_or_b64 exec, exec, s[2:3]
	s_branch .LBB365_48
.LBB365_45:
                                        ; implicit-def: $vgpr21
                                        ; implicit-def: $vgpr25
                                        ; implicit-def: $vgpr29
                                        ; implicit-def: $vgpr33
	v_lshrrev_b32_e32 v48, 2, v60
	s_branch .LBB365_49
.LBB365_46:
                                        ; implicit-def: $vgpr21
                                        ; implicit-def: $vgpr25
                                        ; implicit-def: $vgpr29
                                        ; implicit-def: $vgpr33
	s_cbranch_execz .LBB365_48
; %bb.47:
	s_waitcnt vmcnt(0)
	v_mad_u64_u32 v[18:19], s[0:1], v38, s31, v[36:37]
	v_lshlrev_b32_e32 v38, 1, v18
	s_lshl_b32 s2, s31, 7
	s_and_b32 s1, s5, 0xffff
	s_mov_b32 s3, 0x20000
	s_mov_b32 s0, s4
	v_add_lshl_u32 v39, v18, s31, 1
	s_movk_i32 s6, 0x80
	buffer_load_dwordx4 v[18:21], v38, s[0:3], 0 offen
	buffer_load_dwordx4 v[26:29], v38, s[0:3], s6 offen
	;; [unrolled: 1-line block ×4, first 2 shown]
.LBB365_48:
	v_lshrrev_b32_e32 v48, 2, v60
	s_cbranch_execnz .LBB365_61
.LBB365_49:
	s_and_b64 vcc, exec, s[14:15]
	s_cbranch_vccz .LBB365_59
; %bb.50:
	s_waitcnt vmcnt(0)
	v_lshlrev_b32_e32 v23, 1, v35
	v_cmp_gt_i32_e32 vcc, s54, v23
	v_mov_b32_e32 v22, 0
	v_lshlrev_b32_e32 v30, 9, v35
	v_mov_b32_e32 v18, 0
	v_mov_b32_e32 v19, 0
	;; [unrolled: 1-line block ×4, first 2 shown]
	s_and_saveexec_b64 s[0:1], vcc
	s_cbranch_execz .LBB365_52
; %bb.51:
	v_mov_b32_e32 v31, 0
	v_lshl_add_u64 v[18:19], s[4:5], 0, v[30:31]
	v_lshlrev_b32_e32 v20, 1, v36
	v_mov_b32_e32 v21, v31
	v_lshl_add_u64 v[18:19], v[18:19], 0, v[20:21]
	global_load_dwordx4 v[18:21], v[18:19], off
.LBB365_52:
	s_or_b64 exec, exec, s[0:1]
	v_or_b32_e32 v23, 1, v23
	v_cmp_gt_i32_e64 s[0:1], s54, v23
	v_lshlrev_b32_e32 v38, 8, v23
	v_mov_b32_e32 v23, 0
	v_mov_b32_e32 v24, 0
	;; [unrolled: 1-line block ×3, first 2 shown]
	s_and_saveexec_b64 s[2:3], s[0:1]
	s_cbranch_execz .LBB365_54
; %bb.53:
	v_mov_b32_e32 v39, 0
	v_lshl_add_u64 v[22:23], s[4:5], 0, v[38:39]
	v_lshlrev_b32_e32 v24, 1, v36
	v_mov_b32_e32 v25, v39
	v_lshl_add_u64 v[22:23], v[22:23], 0, v[24:25]
	global_load_dwordx4 v[22:25], v[22:23], off
.LBB365_54:
	s_or_b64 exec, exec, s[2:3]
	v_mov_b32_e32 v33, 0
	v_mov_b32_e32 v26, 0
	v_mov_b32_e32 v27, 0
	v_mov_b32_e32 v28, 0
	v_mov_b32_e32 v29, 0
	s_and_saveexec_b64 s[2:3], vcc
	s_cbranch_execz .LBB365_56
; %bb.55:
	v_mov_b32_e32 v31, 0
	v_lshl_add_u64 v[26:27], s[4:5], 0, v[30:31]
	v_lshlrev_b32_e32 v30, 1, v36
	v_lshl_add_u64 v[26:27], v[26:27], 0, v[30:31]
	global_load_dwordx4 v[26:29], v[26:27], off offset:128
.LBB365_56:
	s_or_b64 exec, exec, s[2:3]
	v_mov_b32_e32 v32, 0
	v_mov_b32_e32 v31, 0
	;; [unrolled: 1-line block ×3, first 2 shown]
	s_and_saveexec_b64 s[2:3], s[0:1]
	s_cbranch_execz .LBB365_58
; %bb.57:
	v_mov_b32_e32 v39, 0
	v_lshl_add_u64 v[30:31], s[4:5], 0, v[38:39]
	v_lshlrev_b32_e32 v38, 1, v36
	v_lshl_add_u64 v[30:31], v[30:31], 0, v[38:39]
	global_load_dwordx4 v[30:33], v[30:31], off offset:128
.LBB365_58:
	s_or_b64 exec, exec, s[2:3]
	s_branch .LBB365_61
.LBB365_59:
                                        ; implicit-def: $vgpr21
                                        ; implicit-def: $vgpr25
                                        ; implicit-def: $vgpr29
                                        ; implicit-def: $vgpr33
	s_cbranch_execz .LBB365_61
; %bb.60:
	s_waitcnt vmcnt(0)
	v_lshlrev_b32_e32 v18, 1, v36
	v_lshl_or_b32 v36, v35, 9, v18
	s_and_b32 s5, s5, 0xffff
	s_mov_b32 s7, 0x20000
	s_movk_i32 s6, 0x4000
	s_movk_i32 s0, 0x80
	buffer_load_dwordx4 v[18:21], v36, s[4:7], 0 offen
	buffer_load_dwordx4 v[22:25], v36, s[4:7], 0 offen offset:256
	buffer_load_dwordx4 v[26:29], v36, s[4:7], s0 offen
	buffer_load_dwordx4 v[30:33], v36, s[4:7], s0 offen offset:256
.LBB365_61:
	ds_read_b64 v[38:39], v44 offset:32768
	v_add_u32_e32 v36, 0xb000, v42
	ds_read2_b64 v[50:53], v36 offset1:16
	ds_read_b64 v[54:55], v45 offset:32768
	ds_read_b64 v[56:57], v46 offset:32768
	;; [unrolled: 1-line block ×3, first 2 shown]
	v_and_b32_e32 v36, 6, v0
	v_xor_b32_e32 v35, v35, v36
	v_lshlrev_b32_e32 v35, 2, v35
	v_and_b32_e32 v49, 1, v0
	v_cmp_eq_u32_e32 vcc, 0, v49
	s_mov_b32 s0, 0x1000504
	s_waitcnt lgkmcnt(3)
	v_mfma_f32_16x16x16_bf16 a[0:3], v[38:39], v[50:51], a[0:3]
	s_mov_b32 s1, 0x3020706
	v_mfma_f32_16x16x16_bf16 a[4:7], v[38:39], v[52:53], a[4:7]
	ds_read2st64_b64 v[44:47], v42 offset0:90 offset1:92
	ds_read2st64_b64 v[50:53], v43 offset0:90 offset1:92
	s_waitcnt lgkmcnt(1)
	v_mfma_f32_16x16x16_bf16 a[0:3], v[54:55], v[44:45], a[0:3]
	ds_read_b64 v[38:39], v42 offset:48128
	ds_read_b64 v[44:45], v43 offset:48128
	s_waitcnt lgkmcnt(2)
	v_mfma_f32_16x16x16_bf16 a[4:7], v[54:55], v[50:51], a[4:7]
	v_mfma_f32_16x16x16_bf16 a[0:3], v[56:57], v[46:47], a[0:3]
	v_xor_b32_e32 v46, 0x440, v35
	v_cndmask_b32_e32 v35, v46, v35, vcc
	v_lshl_or_b32 v35, v36, 10, v35
	v_mfma_f32_16x16x16_bf16 a[8:11], v[56:57], v[52:53], a[4:7]
	s_waitcnt vmcnt(0)
	v_perm_b32 v36, v18, v22, s0
	v_perm_b32 v18, v18, v22, s1
	;; [unrolled: 1-line block ×3, first 2 shown]
	s_waitcnt lgkmcnt(1)
	v_mfma_f32_16x16x16_bf16 a[4:7], v[60:61], v[38:39], a[0:3]
	v_perm_b32 v38, v26, v30, s0
	ds_write2st64_b32 v35, v36, v38 offset0:32 offset1:64
	v_xor_b32_e32 v36, 8, v35
	v_add_u32_e32 v26, 0x80, v36
	ds_write2st64_b32 v26, v18, v22 offset0:32 offset1:64
	v_xor_b32_e32 v18, 16, v35
	v_perm_b32 v22, v19, v23, s0
	v_perm_b32 v26, v27, v31, s0
	ds_write2st64_b32 v18, v22, v26 offset0:33 offset1:65
	v_xor_b32_e32 v18, 24, v35
	v_perm_b32 v19, v19, v23, s1
	v_perm_b32 v22, v27, v31, s1
	v_add_u32_e32 v18, 0x80, v18
	ds_write2st64_b32 v18, v19, v22 offset0:33 offset1:65
	v_xor_b32_e32 v18, 32, v35
	v_perm_b32 v19, v20, v24, s0
	v_perm_b32 v22, v28, v32, s0
	ds_write2st64_b32 v18, v19, v22 offset0:34 offset1:66
	v_xor_b32_e32 v18, 40, v35
	s_waitcnt lgkmcnt(5)
	v_mfma_f32_16x16x16_bf16 a[0:3], v[60:61], v[44:45], a[8:11]
	v_perm_b32 v19, v20, v24, s1
	v_perm_b32 v20, v28, v32, s1
	v_add_u32_e32 v18, 0x80, v18
	ds_write2st64_b32 v18, v19, v20 offset0:34 offset1:66
	v_xor_b32_e32 v18, 48, v35
	v_perm_b32 v19, v21, v25, s0
	v_perm_b32 v20, v29, v33, s0
	ds_write2st64_b32 v18, v19, v20 offset0:35 offset1:67
	v_xor_b32_e32 v18, 56, v35
	v_and_or_b32 v45, v48, 12, v59
	v_perm_b32 v19, v21, v25, s1
	v_perm_b32 v20, v29, v33, s1
	v_add_u32_e32 v18, 0x80, v18
	v_cmp_gt_i32_e32 vcc, s54, v45
	v_mov_b32_e32 v36, 0
	v_mov_b32_e32 v39, 0
	ds_write2st64_b32 v18, v19, v20 offset0:35 offset1:67
	s_and_saveexec_b64 s[0:1], vcc
	s_cbranch_execz .LBB365_63
; %bb.62:
	v_add_u32_e32 v18, s53, v45
	v_ashrrev_i32_e32 v19, 31, v18
	v_mul_lo_u32 v20, v19, s40
	v_mul_lo_u32 v21, v18, s41
	v_mad_u64_u32 v[18:19], s[2:3], v18, s40, 0
	v_add3_u32 v19, v19, v21, v20
	v_lshl_add_u64 v[18:19], v[18:19], 2, s[12:13]
	global_load_dword v18, v[18:19], off
	s_waitcnt vmcnt(0)
	v_sub_f32_e32 v18, s16, v18
	v_mul_f32_e32 v18, 0x3fb8aa3b, v18
	v_exp_f32_e32 v39, v18
.LBB365_63:
	s_or_b64 exec, exec, s[0:1]
	v_or_b32_e32 v29, 1, v45
	v_cmp_gt_i32_e64 s[0:1], s54, v29
	s_and_saveexec_b64 s[2:3], s[0:1]
	s_cbranch_execz .LBB365_65
; %bb.64:
	v_add_u32_e32 v18, s53, v29
	v_ashrrev_i32_e32 v19, 31, v18
	v_mul_lo_u32 v20, v19, s40
	v_mul_lo_u32 v21, v18, s41
	v_mad_u64_u32 v[18:19], s[4:5], v18, s40, 0
	v_add3_u32 v19, v19, v21, v20
	v_lshl_add_u64 v[18:19], v[18:19], 2, s[12:13]
	global_load_dword v18, v[18:19], off
	s_waitcnt vmcnt(0)
	v_sub_f32_e32 v18, s16, v18
	v_mul_f32_e32 v18, 0x3fb8aa3b, v18
	v_exp_f32_e32 v36, v18
.LBB365_65:
	s_or_b64 exec, exec, s[2:3]
	v_or_b32_e32 v28, 2, v45
	v_cmp_gt_i32_e64 s[2:3], s54, v28
	v_mov_b32_e32 v38, 0
	v_mov_b32_e32 v44, 0
	s_and_saveexec_b64 s[4:5], s[2:3]
	s_cbranch_execz .LBB365_67
; %bb.66:
	v_add_u32_e32 v18, s53, v28
	v_ashrrev_i32_e32 v19, 31, v18
	v_mul_lo_u32 v20, v19, s40
	v_mul_lo_u32 v21, v18, s41
	v_mad_u64_u32 v[18:19], s[6:7], v18, s40, 0
	v_add3_u32 v19, v19, v21, v20
	v_lshl_add_u64 v[18:19], v[18:19], 2, s[12:13]
	global_load_dword v18, v[18:19], off
	s_waitcnt vmcnt(0)
	v_sub_f32_e32 v18, s16, v18
	v_mul_f32_e32 v18, 0x3fb8aa3b, v18
	v_exp_f32_e32 v44, v18
.LBB365_67:
	s_or_b64 exec, exec, s[4:5]
	v_or_b32_e32 v46, 3, v45
	v_cmp_gt_i32_e64 s[4:5], s54, v46
	s_and_saveexec_b64 s[6:7], s[4:5]
	s_cbranch_execz .LBB365_69
; %bb.68:
	v_add_u32_e32 v18, s53, v46
	v_ashrrev_i32_e32 v19, 31, v18
	v_mul_lo_u32 v20, v19, s40
	v_mul_lo_u32 v21, v18, s41
	v_mad_u64_u32 v[18:19], s[14:15], v18, s40, 0
	v_add3_u32 v19, v19, v21, v20
	v_lshl_add_u64 v[18:19], v[18:19], 2, s[12:13]
	global_load_dword v18, v[18:19], off
	s_waitcnt vmcnt(0)
	v_sub_f32_e32 v18, s16, v18
	v_mul_f32_e32 v18, 0x3fb8aa3b, v18
	v_exp_f32_e32 v38, v18
.LBB365_69:
	s_or_b64 exec, exec, s[6:7]
	s_add_u32 s6, s20, s10
	s_addc_u32 s7, s21, s11
	s_add_u32 s10, s26, s10
	v_ashrrev_i32_e32 v35, 31, v34
	v_accvgpr_read_b32 v21, a7
	s_addc_u32 s11, s27, s11
	v_lshlrev_b64 v[22:23], 1, v[34:35]
	v_accvgpr_read_b32 v20, a6
	v_accvgpr_read_b32 v19, a5
	;; [unrolled: 1-line block ×3, first 2 shown]
	v_lshl_add_u64 v[24:25], s[6:7], 0, v[22:23]
	v_lshl_add_u64 v[22:23], s[10:11], 0, v[22:23]
	v_mov_b32_e32 v31, 0
	v_lshlrev_b32_e32 v26, 8, v45
	v_mov_b32_e32 v27, 0
	s_and_saveexec_b64 s[6:7], vcc
	s_cbranch_execz .LBB365_71
; %bb.70:
	v_mov_b32_e32 v27, 0
	v_lshl_add_u64 v[32:33], v[24:25], 0, v[26:27]
	global_load_ushort v30, v[32:33], off
	v_lshl_add_u64 v[32:33], v[22:23], 0, v[26:27]
	s_waitcnt vmcnt(0)
	v_lshlrev_b32_e32 v27, 16, v30
	v_sub_f32_e32 v18, v27, v18
	global_store_short_d16_hi v[32:33], v18, off
	v_mul_f32_e32 v18, v39, v18
	v_lshrrev_b32_e32 v27, 16, v18
.LBB365_71:
	s_or_b64 exec, exec, s[6:7]
	v_lshlrev_b32_e32 v30, 8, v29
	s_and_saveexec_b64 s[6:7], s[0:1]
	s_cbranch_execz .LBB365_73
; %bb.72:
	v_mov_b32_e32 v31, 0
	v_lshl_add_u64 v[32:33], v[24:25], 0, v[30:31]
	global_load_ushort v18, v[32:33], off
	v_lshl_add_u64 v[32:33], v[22:23], 0, v[30:31]
	s_waitcnt vmcnt(0)
	v_lshlrev_b32_e32 v18, 16, v18
	v_sub_f32_e32 v18, v18, v19
	global_store_short_d16_hi v[32:33], v18, off
	v_mul_f32_e32 v18, v36, v18
	v_lshrrev_b32_e32 v31, 16, v18
.LBB365_73:
	s_or_b64 exec, exec, s[6:7]
	v_mov_b32_e32 v29, 0
	v_lshlrev_b32_e32 v32, 8, v28
	v_mov_b32_e32 v33, 0
	s_and_saveexec_b64 s[6:7], s[2:3]
	s_cbranch_execz .LBB365_75
; %bb.74:
	v_mov_b32_e32 v33, 0
	v_lshl_add_u64 v[18:19], v[24:25], 0, v[32:33]
	global_load_ushort v28, v[18:19], off
	v_lshl_add_u64 v[18:19], v[22:23], 0, v[32:33]
	s_waitcnt vmcnt(0)
	v_lshlrev_b32_e32 v28, 16, v28
	v_sub_f32_e32 v20, v28, v20
	global_store_short_d16_hi v[18:19], v20, off
	v_mul_f32_e32 v18, v44, v20
	v_lshrrev_b32_e32 v33, 16, v18
.LBB365_75:
	s_or_b64 exec, exec, s[6:7]
	v_lshlrev_b32_e32 v28, 8, v46
	s_and_saveexec_b64 s[6:7], s[4:5]
	s_cbranch_execz .LBB365_77
; %bb.76:
	v_mov_b32_e32 v29, 0
	v_lshl_add_u64 v[18:19], v[24:25], 0, v[28:29]
	global_load_ushort v20, v[18:19], off
	v_lshl_add_u64 v[18:19], v[22:23], 0, v[28:29]
	s_waitcnt vmcnt(0)
	v_lshlrev_b32_e32 v20, 16, v20
	v_sub_f32_e32 v20, v20, v21
	global_store_short_d16_hi v[18:19], v20, off
	v_mul_f32_e32 v18, v38, v20
	v_lshrrev_b32_e32 v29, 16, v18
.LBB365_77:
	s_or_b64 exec, exec, s[6:7]
	v_lshlrev_b32_e32 v35, 5, v45
	s_mov_b32 s6, 0x5040100
	v_perm_b32 v46, v31, v27, s6
	v_or_b32_e32 v27, v35, v40
	v_accvgpr_read_b32 v21, a3
	v_perm_b32 v47, v29, v33, s6
	v_lshlrev_b32_e32 v27, 1, v27
	v_accvgpr_read_b32 v20, a2
	v_accvgpr_read_b32 v19, a1
	;; [unrolled: 1-line block ×3, first 2 shown]
	ds_write_b64 v27, v[46:47] offset:45056
	v_mov_b32_e32 v31, 0
	v_mov_b32_e32 v27, 0
	s_and_saveexec_b64 s[6:7], vcc
	s_cbranch_execz .LBB365_79
; %bb.78:
	v_mov_b32_e32 v27, 0
	v_lshl_add_u64 v[46:47], v[24:25], 0, v[26:27]
	global_load_ushort v29, v[46:47], off offset:32
	v_lshl_add_u64 v[26:27], v[22:23], 0, v[26:27]
	s_waitcnt vmcnt(0)
	v_lshlrev_b32_e32 v29, 16, v29
	v_sub_f32_e32 v18, v29, v18
	global_store_short_d16_hi v[26:27], v18, off offset:32
	v_mul_f32_e32 v18, v39, v18
	v_lshrrev_b32_e32 v27, 16, v18
.LBB365_79:
	s_or_b64 exec, exec, s[6:7]
	s_and_saveexec_b64 s[6:7], s[0:1]
	s_cbranch_execz .LBB365_81
; %bb.80:
	v_mov_b32_e32 v31, 0
	v_lshl_add_u64 v[46:47], v[24:25], 0, v[30:31]
	global_load_ushort v18, v[46:47], off offset:32
	v_lshl_add_u64 v[30:31], v[22:23], 0, v[30:31]
	s_waitcnt vmcnt(0)
	v_lshlrev_b32_e32 v18, 16, v18
	v_sub_f32_e32 v18, v18, v19
	global_store_short_d16_hi v[30:31], v18, off offset:32
	v_mul_f32_e32 v18, v36, v18
	v_lshrrev_b32_e32 v31, 16, v18
.LBB365_81:
	s_or_b64 exec, exec, s[6:7]
	v_mov_b32_e32 v26, 0
	v_mov_b32_e32 v30, 0
	s_and_saveexec_b64 s[0:1], s[2:3]
	s_cbranch_execz .LBB365_83
; %bb.82:
	v_mov_b32_e32 v33, 0
	v_lshl_add_u64 v[18:19], v[24:25], 0, v[32:33]
	global_load_ushort v29, v[18:19], off offset:32
	v_lshl_add_u64 v[18:19], v[22:23], 0, v[32:33]
	s_waitcnt vmcnt(0)
	v_lshlrev_b32_e32 v29, 16, v29
	v_sub_f32_e32 v20, v29, v20
	global_store_short_d16_hi v[18:19], v20, off offset:32
	v_mul_f32_e32 v18, v44, v20
	v_lshrrev_b32_e32 v30, 16, v18
.LBB365_83:
	s_or_b64 exec, exec, s[0:1]
	v_or_b32_e32 v19, 0xb000, v42
	v_or_b32_e32 v18, 0xb000, v43
	s_and_saveexec_b64 s[0:1], s[4:5]
	s_cbranch_execz .LBB365_85
; %bb.84:
	v_mov_b32_e32 v29, 0
	v_lshl_add_u64 v[24:25], v[24:25], 0, v[28:29]
	global_load_ushort v20, v[24:25], off offset:32
	v_lshl_add_u64 v[22:23], v[22:23], 0, v[28:29]
	s_waitcnt vmcnt(0)
	v_lshlrev_b32_e32 v20, 16, v20
	v_sub_f32_e32 v20, v20, v21
	global_store_short_d16_hi v[22:23], v20, off offset:32
	v_mul_f32_e32 v20, v38, v20
	v_lshrrev_b32_e32 v26, 16, v20
.LBB365_85:
	s_or_b64 exec, exec, s[0:1]
	s_mov_b32 s0, 0x5040100
	v_or_b32_e32 v22, v35, v37
	v_perm_b32 v21, v26, v30, s0
	v_perm_b32 v20, v31, v27, s0
	v_lshlrev_b32_e32 v22, 1, v22
	s_movk_i32 s0, 0x100
	ds_write_b64 v22, v[20:21] offset:45056
	v_and_b32_e32 v20, 7, v0
	v_and_b32_e32 v21, 8, v0
	v_cmp_gt_u32_e32 vcc, s0, v0
	v_lshrrev_b32_e32 v0, 1, v0
	v_lshlrev_b32_e32 v35, 3, v20
	v_lshlrev_b32_e32 v36, 7, v20
	v_mov_b32_e32 v20, 0x4000
	v_mov_b32_e32 v22, 0x2000
	v_lshlrev_b32_e32 v38, 3, v58
	v_and_b32_e32 v0, 24, v0
	v_cndmask_b32_e32 v37, v20, v22, vcc
	v_xor_b32_e32 v20, v38, v0
	v_or_b32_e32 v26, 32, v0
	v_or_b32_e32 v22, 0x440, v20
	v_cmp_eq_u32_e32 vcc, 0, v21
	v_xor_b32_e32 v26, v38, v26
	v_or_b32_e32 v27, 0x440, v26
	v_cndmask_b32_e32 v20, v22, v20, vcc
	v_or_b32_e32 v20, v20, v41
	v_cndmask_b32_e32 v26, v27, v26, vcc
	v_xad_u32 v40, v20, v35, v36
	v_or_b32_e32 v26, v26, v41
	v_add_u32_e32 v20, v37, v40
	v_xad_u32 v42, v26, v35, v36
	s_waitcnt lgkmcnt(0)
	s_barrier
	ds_read_b64 v[24:25], v20
	ds_read2_b64 v[20:23], v19 offset1:16
	v_add_u32_e32 v26, v37, v42
	ds_read_b64 v[32:33], v26
	s_waitcnt lgkmcnt(1)
	v_mfma_f32_16x16x16_bf16 a[0:3], v[24:25], v[20:21], 0
	ds_read2st64_b64 v[28:31], v18 offset0:2 offset1:4
	v_mfma_f32_16x16x16_bf16 a[4:7], v[24:25], v[22:23], 0
	ds_read2st64_b64 v[24:27], v19 offset0:2 offset1:4
	s_waitcnt lgkmcnt(0)
	v_mfma_f32_16x16x16_bf16 a[0:3], v[32:33], v[24:25], a[0:3]
	v_mfma_f32_16x16x16_bf16 a[4:7], v[32:33], v[28:29], a[4:7]
	v_or_b32_e32 v32, 64, v0
	v_xor_b32_e32 v32, v38, v32
	v_xor_b32_e32 v33, 0x440, v32
	v_cndmask_b32_e32 v32, v33, v32, vcc
	v_or_b32_e32 v32, v32, v41
	v_or_b32_e32 v0, 0x60, v0
	v_xad_u32 v43, v32, v35, v36
	v_xor_b32_e32 v0, v38, v0
	v_add_u32_e32 v32, v37, v43
	v_xor_b32_e32 v38, 0x440, v0
	ds_read_b64 v[32:33], v32
	v_cndmask_b32_e32 v0, v38, v0, vcc
	v_or_b32_e32 v0, v0, v41
	v_xad_u32 v0, v0, v35, v36
	v_add_u32_e32 v35, v37, v0
	ds_read_b64 v[36:37], v35
	s_waitcnt lgkmcnt(1)
	v_mfma_f32_16x16x16_bf16 a[0:3], v[32:33], v[26:27], a[0:3]
	v_mov_b32_e32 v35, 0x3fb8aa3b
	v_mfma_f32_16x16x16_bf16 a[4:7], v[32:33], v[30:31], a[4:7]
	ds_read_b64 v[32:33], v19 offset:3072
	ds_read_b64 v[38:39], v18 offset:3072
	ds_read_b64 v[18:19], v40 offset:16384
	s_waitcnt lgkmcnt(2)
	v_mfma_f32_16x16x16_bf16 a[0:3], v[36:37], v[32:33], a[0:3]
	s_waitcnt lgkmcnt(1)
	v_mfma_f32_16x16x16_bf16 a[4:7], v[36:37], v[38:39], a[4:7]
	ds_read_b64 v[36:37], v42 offset:16384
	s_waitcnt lgkmcnt(1)
	v_mfma_f32_16x16x16_bf16 a[8:11], v[18:19], v[20:21], 0
	v_mul_f32_e32 v20, s16, v35
	v_exp_f32_e32 v35, v20
	v_accvgpr_read_b32 v21, a3
	v_mfma_f32_16x16x16_bf16 a[12:15], v[18:19], v[22:23], 0
	ds_read_b64 v[22:23], v43 offset:16384
	v_accvgpr_read_b32 v18, a0
	v_fma_f32 v18, v2, v35, v18
	v_accvgpr_read_b32 v2, a1
	v_fma_f32 v19, v3, v35, v2
	;; [unrolled: 2-line block ×3, first 2 shown]
	ds_read_b64 v[2:3], v0 offset:16384
	s_waitcnt lgkmcnt(2)
	v_mfma_f32_16x16x16_bf16 a[8:11], v[36:37], v[24:25], a[8:11]
	v_accvgpr_read_b32 v0, a4
	v_fmac_f32_e32 v21, v5, v35
	v_mfma_f32_16x16x16_bf16 a[12:15], v[36:37], v[28:29], a[12:15]
	v_accvgpr_read_b32 v29, a7
	v_fmac_f32_e32 v29, v13, v35
	s_waitcnt lgkmcnt(1)
	v_mfma_f32_16x16x16_bf16 a[0:3], v[22:23], v[26:27], a[8:11]
	v_fma_f32 v26, v10, v35, v0
	v_accvgpr_read_b32 v0, a5
	v_fma_f32 v27, v11, v35, v0
	v_mfma_f32_16x16x16_bf16 a[8:11], v[22:23], v[30:31], a[12:15]
	v_accvgpr_read_b32 v0, a6
	v_fma_f32 v28, v12, v35, v0
	s_waitcnt lgkmcnt(0)
	v_mfma_f32_16x16x16_bf16 a[0:3], v[2:3], v[32:33], a[0:3]
	v_mfma_f32_16x16x16_bf16 a[4:7], v[2:3], v[38:39], a[8:11]
	s_nop 5
	v_accvgpr_read_b32 v0, a0
	v_fma_f32 v22, v6, v35, v0
	v_accvgpr_read_b32 v0, a1
	v_fma_f32 v23, v7, v35, v0
	;; [unrolled: 2-line block ×4, first 2 shown]
	v_accvgpr_read_b32 v0, a5
	v_accvgpr_read_b32 v25, a3
	v_fma_f32 v31, v15, v35, v0
	v_accvgpr_read_b32 v0, a6
	v_accvgpr_read_b32 v33, a7
	v_fmac_f32_e32 v25, v9, v35
	v_fma_f32 v32, v16, v35, v0
	v_fmac_f32_e32 v33, v17, v35
	v_mov_b64_e32 v[2:3], v[18:19]
	v_mov_b64_e32 v[4:5], v[20:21]
	;; [unrolled: 1-line block ×8, first 2 shown]
	v_mov_b32_e32 v18, v34
.LBB365_86:
	s_lshl_b64 s[0:1], s[8:9], 15
	s_waitcnt lgkmcnt(0)
	s_add_u32 s0, s34, s0
	v_lshlrev_b32_e32 v18, 7, v18
	s_addc_u32 s1, s35, s1
	v_ashrrev_i32_e32 v19, 31, v18
	v_lshl_add_u64 v[20:21], v[18:19], 1, s[0:1]
	v_lshlrev_b32_e32 v0, 1, v1
	v_mov_b32_e32 v1, 0
	s_mov_b32 s2, 0x7060302
	v_lshl_add_u64 v[20:21], v[20:21], 0, v[0:1]
	v_perm_b32 v5, v5, v4, s2
	v_perm_b32 v4, v3, v2, s2
	;; [unrolled: 1-line block ×4, first 2 shown]
	global_store_dwordx2 v[20:21], v[2:3], off offset:128
	v_or_b32_e32 v2, 0x800, v18
	v_ashrrev_i32_e32 v3, 31, v2
	v_lshl_add_u64 v[2:3], v[2:3], 1, s[0:1]
	v_lshl_add_u64 v[0:1], v[2:3], 0, v[0:1]
	v_perm_b32 v3, v13, v12, s2
	v_perm_b32 v2, v11, v10, s2
	global_store_dwordx2 v[0:1], v[2:3], off
	v_perm_b32 v3, v17, v16, s2
	v_perm_b32 v2, v15, v14, s2
	global_store_dwordx2 v[20:21], v[4:5], off
	global_store_dwordx2 v[0:1], v[2:3], off offset:128
	s_endpgm
	.section	.rodata,"a",@progbits
	.p2align	6, 0x0
	.amdhsa_kernel _ZN12_GLOBAL__N_139chunk_gated_delta_rule_fwd_h_hip_kernelILi32ELb0ELb1ELb1ELb0ELb0ELb0ELb1ELb1EEEvPK12hip_bfloat16S3_S3_PKfS5_PKvPS1_S8_PvPKiSB_iiiiilll
		.amdhsa_group_segment_fixed_size 49152
		.amdhsa_private_segment_fixed_size 0
		.amdhsa_kernarg_size 136
		.amdhsa_user_sgpr_count 2
		.amdhsa_user_sgpr_dispatch_ptr 0
		.amdhsa_user_sgpr_queue_ptr 0
		.amdhsa_user_sgpr_kernarg_segment_ptr 1
		.amdhsa_user_sgpr_dispatch_id 0
		.amdhsa_user_sgpr_kernarg_preload_length 0
		.amdhsa_user_sgpr_kernarg_preload_offset 0
		.amdhsa_user_sgpr_private_segment_size 0
		.amdhsa_uses_dynamic_stack 0
		.amdhsa_enable_private_segment 0
		.amdhsa_system_sgpr_workgroup_id_x 1
		.amdhsa_system_sgpr_workgroup_id_y 1
		.amdhsa_system_sgpr_workgroup_id_z 0
		.amdhsa_system_sgpr_workgroup_info 0
		.amdhsa_system_vgpr_workitem_id 0
		.amdhsa_next_free_vgpr 152
		.amdhsa_next_free_sgpr 68
		.amdhsa_accum_offset 136
		.amdhsa_reserve_vcc 1
		.amdhsa_float_round_mode_32 0
		.amdhsa_float_round_mode_16_64 0
		.amdhsa_float_denorm_mode_32 3
		.amdhsa_float_denorm_mode_16_64 3
		.amdhsa_dx10_clamp 1
		.amdhsa_ieee_mode 1
		.amdhsa_fp16_overflow 0
		.amdhsa_tg_split 0
		.amdhsa_exception_fp_ieee_invalid_op 0
		.amdhsa_exception_fp_denorm_src 0
		.amdhsa_exception_fp_ieee_div_zero 0
		.amdhsa_exception_fp_ieee_overflow 0
		.amdhsa_exception_fp_ieee_underflow 0
		.amdhsa_exception_fp_ieee_inexact 0
		.amdhsa_exception_int_div_zero 0
	.end_amdhsa_kernel
	.section	.text._ZN12_GLOBAL__N_139chunk_gated_delta_rule_fwd_h_hip_kernelILi32ELb0ELb1ELb1ELb0ELb0ELb0ELb1ELb1EEEvPK12hip_bfloat16S3_S3_PKfS5_PKvPS1_S8_PvPKiSB_iiiiilll,"axG",@progbits,_ZN12_GLOBAL__N_139chunk_gated_delta_rule_fwd_h_hip_kernelILi32ELb0ELb1ELb1ELb0ELb0ELb0ELb1ELb1EEEvPK12hip_bfloat16S3_S3_PKfS5_PKvPS1_S8_PvPKiSB_iiiiilll,comdat
.Lfunc_end365:
	.size	_ZN12_GLOBAL__N_139chunk_gated_delta_rule_fwd_h_hip_kernelILi32ELb0ELb1ELb1ELb0ELb0ELb0ELb1ELb1EEEvPK12hip_bfloat16S3_S3_PKfS5_PKvPS1_S8_PvPKiSB_iiiiilll, .Lfunc_end365-_ZN12_GLOBAL__N_139chunk_gated_delta_rule_fwd_h_hip_kernelILi32ELb0ELb1ELb1ELb0ELb0ELb0ELb1ELb1EEEvPK12hip_bfloat16S3_S3_PKfS5_PKvPS1_S8_PvPKiSB_iiiiilll
                                        ; -- End function
	.section	.AMDGPU.csdata,"",@progbits
; Kernel info:
; codeLenInByte = 9788
; NumSgprs: 74
; NumVgprs: 134
; NumAgprs: 16
; TotalNumVgprs: 152
; ScratchSize: 0
; MemoryBound: 0
; FloatMode: 240
; IeeeMode: 1
; LDSByteSize: 49152 bytes/workgroup (compile time only)
; SGPRBlocks: 9
; VGPRBlocks: 18
; NumSGPRsForWavesPerEU: 74
; NumVGPRsForWavesPerEU: 152
; AccumOffset: 136
; Occupancy: 1
; WaveLimiterHint : 1
; COMPUTE_PGM_RSRC2:SCRATCH_EN: 0
; COMPUTE_PGM_RSRC2:USER_SGPR: 2
; COMPUTE_PGM_RSRC2:TRAP_HANDLER: 0
; COMPUTE_PGM_RSRC2:TGID_X_EN: 1
; COMPUTE_PGM_RSRC2:TGID_Y_EN: 1
; COMPUTE_PGM_RSRC2:TGID_Z_EN: 0
; COMPUTE_PGM_RSRC2:TIDIG_COMP_CNT: 0
; COMPUTE_PGM_RSRC3_GFX90A:ACCUM_OFFSET: 33
; COMPUTE_PGM_RSRC3_GFX90A:TG_SPLIT: 0
	.section	.text._ZN12_GLOBAL__N_139chunk_gated_delta_rule_fwd_h_hip_kernelILi32ELb0ELb1ELb0ELb0ELb0ELb0ELb1ELb1EEEvPK12hip_bfloat16S3_S3_PKfS5_PKvPS1_S8_PvPKiSB_iiiiilll,"axG",@progbits,_ZN12_GLOBAL__N_139chunk_gated_delta_rule_fwd_h_hip_kernelILi32ELb0ELb1ELb0ELb0ELb0ELb0ELb1ELb1EEEvPK12hip_bfloat16S3_S3_PKfS5_PKvPS1_S8_PvPKiSB_iiiiilll,comdat
	.globl	_ZN12_GLOBAL__N_139chunk_gated_delta_rule_fwd_h_hip_kernelILi32ELb0ELb1ELb0ELb0ELb0ELb0ELb1ELb1EEEvPK12hip_bfloat16S3_S3_PKfS5_PKvPS1_S8_PvPKiSB_iiiiilll ; -- Begin function _ZN12_GLOBAL__N_139chunk_gated_delta_rule_fwd_h_hip_kernelILi32ELb0ELb1ELb0ELb0ELb0ELb0ELb1ELb1EEEvPK12hip_bfloat16S3_S3_PKfS5_PKvPS1_S8_PvPKiSB_iiiiilll
	.p2align	8
	.type	_ZN12_GLOBAL__N_139chunk_gated_delta_rule_fwd_h_hip_kernelILi32ELb0ELb1ELb0ELb0ELb0ELb0ELb1ELb1EEEvPK12hip_bfloat16S3_S3_PKfS5_PKvPS1_S8_PvPKiSB_iiiiilll,@function
_ZN12_GLOBAL__N_139chunk_gated_delta_rule_fwd_h_hip_kernelILi32ELb0ELb1ELb0ELb0ELb0ELb0ELb1ELb1EEEvPK12hip_bfloat16S3_S3_PKfS5_PKvPS1_S8_PvPKiSB_iiiiilll: ; @_ZN12_GLOBAL__N_139chunk_gated_delta_rule_fwd_h_hip_kernelILi32ELb0ELb1ELb0ELb0ELb0ELb0ELb1ELb1EEEvPK12hip_bfloat16S3_S3_PKfS5_PKvPS1_S8_PvPKiSB_iiiiilll
; %bb.0:
	s_load_dwordx4 s[24:27], s[0:1], 0x5c
	s_load_dwordx4 s[28:31], s[0:1], 0x70
	s_abs_i32 s6, s3
	s_ashr_i32 s5, s3, 31
	s_load_dwordx8 s[16:23], s[0:1], 0x0
	s_waitcnt lgkmcnt(0)
	s_abs_i32 s4, s25
	v_cvt_f32_u32_e32 v1, s4
	s_sub_i32 s8, 0, s4
	s_ashr_i32 s7, s25, 31
	s_xor_b32 s5, s5, s7
	v_rcp_iflag_f32_e32 v1, v1
	s_load_dwordx2 s[34:35], s[0:1], 0x40
	s_load_dwordx2 s[38:39], s[0:1], 0x30
	;; [unrolled: 1-line block ×3, first 2 shown]
	s_mov_b32 s0, 0
	v_mul_f32_e32 v1, 0x4f7ffffe, v1
	v_cvt_u32_f32_e32 v1, v1
	v_lshrrev_b32_e32 v56, 6, v0
	v_bfe_u32 v59, v0, 4, 2
	v_lshlrev_b32_e32 v57, 4, v56
	v_readfirstlane_b32 s9, v1
	s_mul_i32 s8, s8, s9
	s_mul_hi_u32 s8, s9, s8
	s_add_i32 s9, s9, s8
	s_mul_hi_u32 s8, s6, s9
	s_mul_i32 s9, s8, s4
	s_sub_i32 s6, s6, s9
	s_add_i32 s10, s8, 1
	s_sub_i32 s9, s6, s4
	s_cmp_ge_u32 s6, s4
	s_cselect_b32 s8, s10, s8
	s_cselect_b32 s6, s9, s6
	s_add_i32 s9, s8, 1
	s_cmp_ge_u32 s6, s4
	s_cselect_b32 s6, s9, s8
	s_xor_b32 s6, s6, s5
	s_sub_i32 s49, s6, s5
	s_abs_i32 s6, s26
	v_cvt_f32_u32_e32 v1, s6
	s_mul_i32 s47, s49, s25
	s_sub_i32 s33, s3, s47
	s_add_i32 s3, s24, 63
	v_rcp_iflag_f32_e32 v1, v1
	s_ashr_i32 s5, s3, 31
	s_lshr_b32 s5, s5, 26
	s_ashr_i32 s48, s24, 31
	v_mul_f32_e32 v1, 0x4f7ffffe, v1
	v_cvt_u32_f32_e32 v1, v1
	s_add_i32 s3, s3, s5
	s_lshr_b32 s5, s48, 26
	s_add_i32 s5, s24, s5
	s_ashr_i32 s44, s26, 31
	s_ashr_i32 s50, s5, 6
	s_xor_b32 s5, s7, s44
	s_sub_i32 s7, 0, s6
	v_readfirstlane_b32 s8, v1
	s_mul_i32 s7, s7, s8
	s_mul_hi_u32 s7, s8, s7
	s_add_i32 s8, s8, s7
	s_mul_hi_u32 s7, s4, s8
	s_mul_i32 s8, s7, s6
	s_sub_i32 s4, s4, s8
	s_ashr_i32 s3, s3, 6
	s_add_i32 s8, s7, 1
	s_sub_i32 s9, s4, s6
	s_cmp_ge_u32 s4, s6
	s_cselect_b32 s7, s8, s7
	s_cselect_b32 s4, s9, s4
	s_add_i32 s8, s7, 1
	s_cmp_ge_u32 s4, s6
	s_cselect_b32 s4, s8, s7
	s_xor_b32 s4, s4, s5
	s_sub_i32 s4, s4, s5
	s_abs_i32 s5, s4
	v_cvt_f32_u32_e32 v1, s5
	s_sub_i32 s6, 0, s5
	s_xor_b32 s1, s33, s4
	s_abs_i32 s4, s33
	v_rcp_iflag_f32_e32 v1, v1
	s_ashr_i32 s1, s1, 31
	v_lshlrev_b32_e32 v18, 2, v59
	s_mov_b32 s14, s0
	v_mul_f32_e32 v1, 0x4f7ffffe, v1
	v_cvt_u32_f32_e32 v1, v1
	s_mov_b32 s15, s0
	v_and_b32_e32 v58, 63, v0
	s_mul_i32 s53, s49, s3
	v_readfirstlane_b32 s7, v1
	s_mul_i32 s6, s6, s7
	s_mul_hi_u32 s6, s7, s6
	s_add_i32 s7, s7, s6
	s_mul_hi_u32 s6, s4, s7
	s_mul_i32 s7, s6, s5
	s_sub_i32 s4, s4, s7
	s_add_i32 s7, s6, 1
	s_sub_i32 s8, s4, s5
	s_cmp_ge_u32 s4, s5
	s_cselect_b32 s6, s7, s6
	s_cselect_b32 s4, s8, s4
	s_add_i32 s7, s6, 1
	s_cmp_ge_u32 s4, s5
	s_cselect_b32 s4, s7, s6
	s_xor_b32 s4, s4, s1
	s_sub_i32 s54, s4, s1
	v_or_b32_e32 v1, v18, v57
	s_lshl_b32 s40, s2, 5
	s_mov_b32 s1, s0
	s_mov_b32 s2, s0
	;; [unrolled: 1-line block ×13, first 2 shown]
	v_mov_b64_e32 v[16:17], s[14:15]
	v_and_b32_e32 v60, 15, v0
	v_or_b32_e32 v63, 64, v1
	s_cmp_lt_i32 s24, 64
	v_mov_b64_e32 v[14:15], s[12:13]
	v_mov_b64_e32 v[12:13], s[10:11]
	;; [unrolled: 1-line block ×7, first 2 shown]
	s_mul_hi_i32 s55, s49, s25
	v_lshrrev_b32_e32 v62, 3, v58
	v_lshlrev_b32_e32 v61, 3, v0
	s_mul_i32 s29, s49, s29
	s_mul_hi_u32 s46, s49, s28
	s_mul_i32 s12, s49, s28
	s_cbranch_scc1 .LBB366_19
; %bb.1:
	s_ashr_i32 s8, s49, 31
	s_ashr_i32 s51, s33, 31
	s_add_u32 s0, s47, s33
	s_addc_u32 s1, s55, s51
	s_mul_i32 s1, s24, s1
	s_mul_hi_u32 s2, s24, s0
	s_add_i32 s3, s2, s1
	s_mul_i32 s2, s24, s0
	s_lshl_b64 s[0:1], s[2:3], 8
	v_and_b32_e32 v9, 56, v61
	s_add_u32 s4, s18, s0
	v_lshl_or_b32 v5, v56, 3, v62
	v_lshlrev_b32_e32 v2, 1, v9
	s_addc_u32 s0, s19, s1
	v_lshl_or_b32 v13, v5, 8, v2
	s_and_b32 s5, s0, 0xffff
	s_mov_b32 s7, 0x20000
	s_movk_i32 s6, 0x4000
	s_movk_i32 s0, 0x80
	v_or_b32_e32 v17, 0x2000, v13
	buffer_load_dwordx4 v[20:23], v13, s[4:7], 0 offen
	buffer_load_dwordx4 v[24:27], v13, s[4:7], s0 offen
	;; [unrolled: 1-line block ×4, first 2 shown]
	v_lshlrev_b32_e32 v3, 3, v5
	v_and_or_b32 v6, v0, 7, v3
	v_and_b32_e32 v3, 0x78, v3
	v_lshlrev_b32_e32 v6, 4, v6
	v_xor_b32_e32 v64, v6, v3
	v_mul_lo_u32 v4, v5, s27
	v_or_b32_e32 v65, 0x1000, v64
	v_xor_b32_e32 v3, 8, v64
	s_cmpk_eq_i32 s27, 0x80
	s_mov_b32 s45, s26
	v_xor_b32_e32 v6, 8, v65
	s_cselect_b64 s[0:1], -1, 0
	s_cmpk_lg_i32 s27, 0x80
	s_waitcnt vmcnt(3)
	ds_write_b64 v64, v[20:21] offset:24576
	ds_write_b64 v3, v[22:23] offset:24576
	s_waitcnt vmcnt(2)
	ds_write_b64 v64, v[24:25] offset:32768
	ds_write_b64 v3, v[26:27] offset:32768
	;; [unrolled: 3-line block ×4, first 2 shown]
	v_lshl_add_u32 v3, v4, 1, v9
	s_cbranch_scc0 .LBB366_3
; %bb.2:
	v_lshlrev_b32_e32 v6, 1, v3
	v_add_lshl_u32 v4, v3, s27, 1
	s_lshl_b32 s6, s27, 7
	v_lshl_or_b32 v2, v5, 9, v2
	s_cbranch_execz .LBB366_4
	s_branch .LBB366_5
.LBB366_3:
                                        ; implicit-def: $vgpr4
                                        ; implicit-def: $vgpr6
                                        ; implicit-def: $sgpr6
	v_lshl_or_b32 v2, v5, 9, v2
.LBB366_4:
	v_or_b32_e32 v4, 0x100, v2
	s_movk_i32 s6, 0x4000
	v_mov_b32_e32 v6, v2
.LBB366_5:
	s_mul_hi_u32 s4, s26, s24
	s_mul_i32 s5, s44, s24
	s_add_i32 s4, s4, s5
	s_mul_i32 s5, s26, s24
	s_mul_i32 s7, s5, s8
	s_mul_hi_u32 s9, s5, s49
	s_add_i32 s7, s9, s7
	s_mul_i32 s4, s4, s49
	s_add_i32 s7, s7, s4
	s_mul_i32 s5, s5, s49
	s_ashr_i32 s52, s54, 31
	s_add_u32 s4, s5, s54
	s_addc_u32 s5, s7, s52
	s_lshl_b64 s[4:5], s[4:5], 8
	s_add_u32 s4, s16, s4
	s_addc_u32 s5, s17, s5
	s_and_b32 s5, s5, 0xffff
	s_mov_b32 s7, 0x20000
	s_movk_i32 s56, 0x80
	buffer_load_dwordx4 v[20:23], v6, s[4:7], 0 offen
	buffer_load_dwordx4 v[24:27], v6, s[4:7], s56 offen
	;; [unrolled: 1-line block ×4, first 2 shown]
	v_and_b32_e32 v4, 6, v0
	v_lshlrev_b32_e32 v8, 6, v1
	v_or_b32_e32 v11, 16, v60
	v_xor_b32_e32 v12, v5, v4
	v_and_b32_e32 v6, 1, v0
	s_mul_i32 s4, s8, s24
	s_mul_hi_u32 s5, s49, s24
	v_lshl_or_b32 v16, v60, 3, v8
	v_lshl_or_b32 v8, v11, 3, v8
	v_lshlrev_b32_e32 v12, 2, v12
	v_lshlrev_b32_e32 v7, 2, v60
	v_or_b32_e32 v68, 0xa000, v8
	v_or_b32_e32 v69, 0xb000, v8
	v_xor_b32_e32 v8, 0x440, v12
	v_cmp_eq_u32_e32 vcc, 0, v6
	s_add_i32 s61, s5, s4
	s_add_i32 s4, s46, s29
	s_mul_i32 s8, s8, s28
	v_xor_b32_e32 v14, v1, v7
	v_xor_b32_e32 v15, v63, v7
	v_cndmask_b32_e32 v6, v8, v12, vcc
	s_add_i32 s13, s4, s8
	s_mul_i32 s4, s33, s31
	s_mul_hi_u32 s5, s33, s30
	s_mov_b32 s58, 0x1000504
	v_lshlrev_b32_e32 v10, 8, v60
	v_lshlrev_b32_e32 v14, 1, v14
	;; [unrolled: 1-line block ×3, first 2 shown]
	v_lshl_or_b32 v4, v4, 10, v6
	s_add_i32 s4, s5, s4
	s_mul_i32 s5, s51, s30
	s_mov_b32 s59, 0x3020706
	v_or_b32_e32 v66, 0xa000, v16
	v_or_b32_e32 v67, 0xb000, v16
	v_or_b32_e32 v70, v10, v14
	v_or_b32_e32 v71, v10, v15
	v_xor_b32_e32 v6, 8, v4
	v_xor_b32_e32 v10, 24, v4
	v_xor_b32_e32 v16, 40, v4
	v_xor_b32_e32 v36, 56, v4
	s_add_i32 s5, s4, s5
	s_lshl_b64 s[8:9], s[12:13], 2
	v_xor_b32_e32 v8, 16, v4
	v_xor_b32_e32 v12, 32, v4
	;; [unrolled: 1-line block ×3, first 2 shown]
	v_add_u32_e32 v6, 0x80, v6
	v_add_u32_e32 v10, 0x80, v10
	;; [unrolled: 1-line block ×4, first 2 shown]
	s_mul_i32 s4, s33, s30
	s_add_u32 s6, s22, s8
	s_addc_u32 s8, s23, s9
	s_lshl_b64 s[4:5], s[4:5], 2
	s_add_u32 s14, s6, s4
	s_movk_i32 s4, 0xf8
	s_addc_u32 s15, s8, s5
	s_ashr_i32 s41, s40, 31
	s_lshl_b32 s10, s27, 7
	s_movk_i32 s8, 0x100
	v_mov_b32_e32 v51, 0
	v_lshlrev_b32_e32 v50, 4, v60
	v_cmp_gt_u32_e32 vcc, s8, v0
	s_mov_b32 s57, 0
	s_mul_i32 s60, s49, s24
	s_movk_i32 s13, 0x1000
	s_movk_i32 s6, 0x4000
	v_add_u32_e32 v91, v57, v18
	v_mov_b32_e32 v96, 0x3fb8aa3b
	s_mov_b32 s63, 0
	v_mov_b32_e32 v98, v51
	v_mov_b32_e32 v97, v51
	;; [unrolled: 1-line block ×4, first 2 shown]
	s_waitcnt vmcnt(1)
	v_perm_b32 v37, v20, v28, s58
	s_waitcnt vmcnt(0)
	v_perm_b32 v38, v24, v32, s58
	v_perm_b32 v20, v20, v28, s59
	v_perm_b32 v24, v24, v32, s59
	v_perm_b32 v28, v21, v29, s58
	v_perm_b32 v32, v25, v33, s58
	v_perm_b32 v21, v21, v29, s59
	v_perm_b32 v25, v25, v33, s59
	v_perm_b32 v29, v22, v30, s58
	v_perm_b32 v33, v26, v34, s58
	v_perm_b32 v22, v22, v30, s59
	v_perm_b32 v26, v26, v34, s59
	v_perm_b32 v30, v23, v31, s58
	v_perm_b32 v34, v27, v35, s58
	v_perm_b32 v23, v23, v31, s59
	v_perm_b32 v27, v27, v35, s59
	ds_write2st64_b32 v4, v37, v38 offset0:32 offset1:64
	ds_write2st64_b32 v6, v20, v24 offset0:32 offset1:64
	;; [unrolled: 1-line block ×8, first 2 shown]
	v_lshlrev_b32_e32 v4, 8, v11
	v_or_b32_e32 v72, v4, v14
	v_or_b32_e32 v73, v4, v15
	;; [unrolled: 1-line block ×3, first 2 shown]
	v_lshlrev_b32_e32 v4, 3, v4
	v_lshrrev_b32_e32 v10, 5, v58
	v_and_or_b32 v10, v4, s4, v10
	v_lshlrev_b32_e32 v8, 11, v56
	v_lshlrev_b32_e32 v10, 4, v10
	v_and_b32_e32 v4, 0x78, v4
	v_and_b32_e32 v6, 0x1000, v8
	v_xor_b32_e32 v11, v10, v4
	v_lshrrev_b32_e32 v12, 1, v0
	v_or_b32_e32 v11, v11, v6
	v_and_b32_e32 v14, 8, v12
	v_xor_b32_e32 v74, v11, v14
	v_or_b32_e32 v11, 32, v10
	v_xor_b32_e32 v11, v11, v4
	v_or_b32_e32 v11, v11, v6
	;; [unrolled: 2-line block ×4, first 2 shown]
	s_lshl_b64 s[4:5], s[40:41], 8
	v_or_b32_e32 v11, v11, v6
	v_xor_b32_e32 v4, v10, v4
	s_waitcnt lgkmcnt(0)
	s_add_u32 s4, s38, s4
	v_lshlrev_b32_e32 v10, 1, v60
	v_xor_b32_e32 v78, v11, v14
	v_lshrrev_b32_e32 v19, 4, v0
	s_addc_u32 s5, s39, s5
	v_or_b32_e32 v11, 1, v10
	v_mov_b32_e32 v23, 0x4000
	v_mov_b32_e32 v24, 0x2000
	v_xor_b32_e32 v20, v19, v10
	v_xor_b32_e32 v21, v11, v19
	v_lshl_add_u64 v[10:11], s[4:5], 0, v[50:51]
	v_lshlrev_b32_e32 v50, 8, v19
	v_cndmask_b32_e32 v23, v23, v24, vcc
	v_lshlrev_b32_e32 v24, 3, v56
	v_and_b32_e32 v12, 24, v12
	v_lshl_or_b32 v82, v20, 3, v50
	v_and_b32_e32 v20, 8, v0
	v_xor_b32_e32 v25, v24, v12
	v_or_b32_e32 v26, 0x440, v25
	v_cmp_eq_u32_e32 vcc, 0, v20
	v_and_b32_e32 v19, 7, v0
	v_lshlrev_b32_e32 v15, 7, v59
	v_cndmask_b32_e32 v20, v26, v25, vcc
	v_lshl_or_b32 v83, v21, 3, v50
	v_lshlrev_b32_e32 v21, 3, v19
	v_lshlrev_b32_e32 v19, 7, v19
	;; [unrolled: 1-line block ×3, first 2 shown]
	v_or_b32_e32 v20, v20, v8
	v_or_b32_e32 v7, v15, v7
	v_xad_u32 v84, v20, v21, v19
	v_and_or_b32 v15, v22, 60, v15
	v_mov_b32_e32 v20, 0xb000
	v_lshl_or_b32 v85, v15, 1, v20
	v_or_b32_e32 v15, 32, v12
	v_xor_b32_e32 v15, v24, v15
	v_or_b32_e32 v20, 0x440, v15
	v_cndmask_b32_e32 v15, v20, v15, vcc
	v_or_b32_e32 v15, v15, v8
	v_xad_u32 v86, v15, v21, v19
	v_or_b32_e32 v15, 64, v12
	v_xor_b32_e32 v15, v24, v15
	v_xor_b32_e32 v20, 0x440, v15
	v_cndmask_b32_e32 v15, v20, v15, vcc
	v_or_b32_e32 v12, 0x60, v12
	v_or_b32_e32 v15, v15, v8
	v_xor_b32_e32 v12, v24, v12
	v_xad_u32 v87, v15, v21, v19
	v_xor_b32_e32 v15, 0x440, v12
	v_cndmask_b32_e32 v12, v15, v12, vcc
	v_lshlrev_b32_e32 v7, 1, v7
	v_or_b32_e32 v4, v4, v6
	v_or_b32_e32 v6, s40, v60
	;; [unrolled: 1-line block ×5, first 2 shown]
	v_xor_b32_e32 v79, v4, v14
	v_or_b32_e32 v80, 0xb000, v7
	v_or_b32_e32 v81, 0xb080, v7
	v_lshlrev_b32_e32 v4, 7, v1
	v_ashrrev_i32_e32 v7, 31, v6
	v_lshlrev_b32_e32 v14, 1, v3
	v_add_lshl_u32 v3, v3, s27, 1
	v_or_b32_e32 v16, 0x100, v2
	v_xad_u32 v88, v8, v21, v19
	v_cndmask_b32_e64 v89, v14, v2, s[0:1]
	v_cndmask_b32_e64 v90, v3, v16, s[0:1]
	v_lshl_add_u64 v[52:53], v[6:7], 1, s[20:21]
	v_lshl_add_u64 v[54:55], v[10:11], 0, v[50:51]
	s_mov_b32 s41, 0x7060302
	v_lshlrev_b32_e32 v50, 1, v4
	v_add_u32_e32 v92, v23, v84
	v_add_u32_e32 v93, v23, v86
	;; [unrolled: 1-line block ×4, first 2 shown]
	v_mov_b32_e32 v2, v51
	v_mov_b32_e32 v3, v51
	;; [unrolled: 1-line block ×12, first 2 shown]
	s_barrier
.LBB366_6:                              ; =>This Inner Loop Header: Depth=1
	s_add_i32 s62, s63, 1
	s_cmp_lt_i32 s62, s50
	s_mov_b64 s[8:9], 0
	s_cselect_b64 s[42:43], -1, 0
	s_cmp_ge_i32 s62, s50
	s_mov_b64 s[4:5], 0
	s_cbranch_scc1 .LBB366_8
; %bb.7:                                ;   in Loop: Header=BB366_6 Depth=1
	s_add_i32 s0, s57, 64
	s_add_u32 s0, s2, s0
	s_addc_u32 s1, s3, 0
	s_lshl_b64 s[0:1], s[0:1], 8
	s_add_u32 s4, s18, s0
	s_addc_u32 s5, s19, s1
.LBB366_8:                              ;   in Loop: Header=BB366_6 Depth=1
	v_cndmask_b32_e64 v18, 0, 1, s[42:43]
	v_cmp_ne_u32_e64 s[0:1], 1, v18
	s_andn2_b64 vcc, exec, s[42:43]
	s_cbranch_vccnz .LBB366_10
; %bb.9:                                ;   in Loop: Header=BB366_6 Depth=1
	s_add_i32 s8, s57, 64
	s_add_u32 s8, s60, s8
	s_addc_u32 s9, s61, 0
	s_mul_i32 s11, s8, s44
	s_mul_hi_u32 s42, s8, s45
	s_add_i32 s11, s42, s11
	s_mul_i32 s9, s9, s45
	s_add_i32 s11, s11, s9
	s_mul_i32 s8, s8, s45
	s_add_u32 s8, s8, s54
	s_addc_u32 s9, s11, s52
	s_lshl_b64 s[8:9], s[8:9], 8
	s_add_u32 s8, s16, s8
	s_addc_u32 s9, s17, s9
.LBB366_10:                             ;   in Loop: Header=BB366_6 Depth=1
	v_perm_b32 v19, v98, v4, s41
	v_perm_b32 v18, v3, v2, s41
	;; [unrolled: 1-line block ×4, first 2 shown]
	ds_write_b64 v66, v[18:19]
	ds_write_b64 v67, v[20:21]
	;; [unrolled: 1-line block ×4, first 2 shown]
	v_perm_b32 v19, v100, v12, s41
	v_perm_b32 v18, v11, v10, s41
	v_perm_b32 v21, v99, v16, s41
	v_perm_b32 v20, v15, v14, s41
	ds_write_b64 v68, v[18:19]
	ds_write_b64 v69, v[20:21]
	;; [unrolled: 1-line block ×4, first 2 shown]
	s_waitcnt lgkmcnt(0)
	s_barrier
	ds_read_b64 v[22:23], v74 offset:24576
	ds_read2_b64 v[18:21], v75 offset1:16
	ds_read_b64 v[26:27], v77 offset:3072
	ds_read_b64 v[28:29], v75 offset:3072
	ds_read_b64 v[30:31], v76 offset:24576
	s_waitcnt lgkmcnt(3)
	v_mfma_f32_16x16x16_bf16 a[0:3], v[22:23], v[18:19], 0
	s_add_i32 s11, s57, 63
	s_mul_i32 s42, s11, s37
	s_mul_hi_u32 s43, s11, s36
	v_mfma_f32_16x16x16_bf16 a[4:7], v[22:23], v[20:21], 0
	ds_read2st64_b64 v[18:21], v75 offset0:2 offset1:4
	ds_read2st64_b64 v[22:25], v77 offset0:2 offset1:4
	s_add_i32 s43, s43, s42
	s_waitcnt lgkmcnt(1)
	v_mfma_f32_16x16x16_bf16 a[0:3], v[30:31], v[18:19], a[0:3]
	s_mul_i32 s42, s11, s36
	s_lshl_b64 s[42:43], s[42:43], 2
	s_add_u32 s42, s14, s42
	s_waitcnt lgkmcnt(0)
	v_mfma_f32_16x16x16_bf16 a[4:7], v[30:31], v[22:23], a[4:7]
	ds_read_b64 v[18:19], v78 offset:24576
	ds_read_b64 v[22:23], v79 offset:24576
	s_addc_u32 s43, s15, s43
	s_and_b64 vcc, exec, s[0:1]
	s_waitcnt lgkmcnt(1)
	v_mfma_f32_16x16x16_bf16 a[0:3], v[18:19], v[20:21], a[0:3]
	v_mov_b32_e32 v103, 0
	v_mov_b32_e32 v102, 0
	;; [unrolled: 1-line block ×3, first 2 shown]
	v_mfma_f32_16x16x16_bf16 a[4:7], v[18:19], v[24:25], a[4:7]
	v_mov_b32_e32 v18, 0
	v_mov_b32_e32 v19, 0
	;; [unrolled: 1-line block ×3, first 2 shown]
	s_waitcnt lgkmcnt(0)
	v_mfma_f32_16x16x16_bf16 a[0:3], v[22:23], v[28:29], a[0:3]
	v_mov_b32_e32 v21, 0
	v_mov_b32_e32 v24, 0
	;; [unrolled: 1-line block ×3, first 2 shown]
	v_mfma_f32_16x16x16_bf16 a[4:7], v[22:23], v[26:27], a[4:7]
	v_mov_b32_e32 v22, 0
	v_mov_b32_e32 v23, 0
	;; [unrolled: 1-line block ×10, first 2 shown]
	s_cbranch_vccnz .LBB366_12
; %bb.11:                               ;   in Loop: Header=BB366_6 Depth=1
	s_and_b32 s5, s5, 0xffff
	buffer_load_dwordx4 v[30:33], v13, s[4:7], 0 offen
	buffer_load_dwordx4 v[26:29], v13, s[4:7], s56 offen
	;; [unrolled: 1-line block ×4, first 2 shown]
	v_mov_b32_e32 v102, v64
	v_mov_b32_e32 v101, v65
.LBB366_12:                             ;   in Loop: Header=BB366_6 Depth=1
	ds_read_b64 v[38:39], v74 offset:32768
	ds_read2_b64 v[34:37], v80 offset1:16
	ds_read_b64 v[42:43], v76 offset:32768
	ds_read_b64 v[44:45], v78 offset:32768
	;; [unrolled: 1-line block ×3, first 2 shown]
	v_add_u32_e32 v48, s57, v91
	s_waitcnt lgkmcnt(3)
	v_mfma_f32_16x16x16_bf16 a[0:3], v[38:39], v[34:35], a[0:3]
	v_mul_lo_u32 v49, v48, s37
	v_mfma_f32_16x16x16_bf16 a[4:7], v[38:39], v[36:37], a[4:7]
	ds_read2st64_b64 v[34:37], v80 offset0:2 offset1:4
	ds_read2st64_b64 v[38:41], v81 offset0:2 offset1:4
	s_waitcnt lgkmcnt(1)
	v_mfma_f32_16x16x16_bf16 a[0:3], v[42:43], v[34:35], a[0:3]
	v_ashrrev_i32_e32 v34, 31, v48
	v_mul_lo_u32 v104, v34, s36
	v_mad_u64_u32 v[34:35], s[4:5], v48, s36, 0
	v_mfma_f32_16x16x16_bf16 a[0:3], v[44:45], v[36:37], a[0:3]
	v_add_u32_e32 v36, 1, v48
	v_ashrrev_i32_e32 v37, 31, v36
	v_add3_u32 v35, v35, v49, v104
	s_waitcnt lgkmcnt(0)
	v_mfma_f32_16x16x16_bf16 a[4:7], v[42:43], v[38:39], a[4:7]
	v_mul_lo_u32 v38, v37, s36
	v_mul_lo_u32 v39, v36, s37
	v_mad_u64_u32 v[36:37], s[4:5], v36, s36, 0
	v_add3_u32 v37, v37, v39, v38
	v_add_u32_e32 v38, 2, v48
	v_ashrrev_i32_e32 v39, 31, v38
	v_mul_lo_u32 v42, v39, s36
	v_mul_lo_u32 v43, v38, s37
	v_mad_u64_u32 v[38:39], s[4:5], v38, s36, 0
	v_add3_u32 v39, v39, v43, v42
	v_add_u32_e32 v42, 3, v48
	v_ashrrev_i32_e32 v43, 31, v42
	v_mul_lo_u32 v48, v43, s36
	v_mul_lo_u32 v49, v42, s37
	v_mad_u64_u32 v[42:43], s[4:5], v42, s36, 0
	s_add_u32 s4, s2, s57
	s_addc_u32 s5, s3, 0
	s_lshl_b64 s[4:5], s[4:5], 8
	v_lshl_add_u64 v[34:35], v[34:35], 2, s[14:15]
	v_lshl_add_u64 v[36:37], v[36:37], 2, s[14:15]
	v_add3_u32 v43, v43, v49, v48
	v_lshl_add_u64 v[48:49], v[52:53], 0, s[4:5]
	v_lshl_add_u64 v[38:39], v[38:39], 2, s[14:15]
	;; [unrolled: 1-line block ×3, first 2 shown]
	global_load_dword v104, v[34:35], off
	global_load_ushort v105, v[48:49], off offset:256
	global_load_ushort v106, v[48:49], off
	global_load_ushort v107, v[48:49], off offset:768
	global_load_ushort v108, v[48:49], off offset:512
	v_lshl_add_u64 v[34:35], v[42:43], 2, s[14:15]
	global_load_dword v109, v[36:37], off
	global_load_dword v110, v[38:39], off
	;; [unrolled: 1-line block ×3, first 2 shown]
	ds_read_b64 v[34:35], v80 offset:3072
	ds_read_b64 v[36:37], v81 offset:3072
	global_load_ushort v112, v[48:49], off offset:800
	global_load_ushort v113, v[48:49], off offset:544
	;; [unrolled: 1-line block ×3, first 2 shown]
	s_nop 0
	global_load_ushort v48, v[48:49], off offset:32
	s_load_dword s4, s[42:43], 0x0
	v_mfma_f32_16x16x16_bf16 a[4:7], v[44:45], v[40:41], a[4:7]
	s_and_b64 vcc, exec, s[0:1]
	v_mov_b32_e32 v49, 0
	s_waitcnt vmcnt(11) lgkmcnt(0)
	v_sub_f32_e32 v44, s4, v104
	v_mfma_f32_16x16x16_bf16 a[0:3], v[46:47], v[34:35], a[0:3]
	v_mul_f32_e32 v44, 0x3fb8aa3b, v44
	v_exp_f32_e32 v44, v44
	s_waitcnt vmcnt(6)
	v_sub_f32_e32 v45, s4, v109
	v_mfma_f32_16x16x16_bf16 a[4:7], v[46:47], v[36:37], a[4:7]
	s_waitcnt vmcnt(5)
	v_sub_f32_e32 v46, s4, v110
	s_waitcnt vmcnt(4)
	v_sub_f32_e32 v47, s4, v111
	v_mul_f32_e32 v45, 0x3fb8aa3b, v45
	v_mul_f32_e32 v46, 0x3fb8aa3b, v46
	;; [unrolled: 1-line block ×3, first 2 shown]
	v_exp_f32_e32 v45, v45
	v_exp_f32_e32 v46, v46
	;; [unrolled: 1-line block ×3, first 2 shown]
	v_accvgpr_read_b32 v39, a1
	v_accvgpr_read_b32 v35, a3
	v_accvgpr_read_b32 v34, a2
	v_accvgpr_read_b32 v38, a0
	v_lshlrev_b32_e32 v41, 16, v105
	v_lshlrev_b32_e32 v40, 16, v106
	;; [unrolled: 1-line block ×4, first 2 shown]
	v_pk_add_f32 v[38:39], v[40:41], v[38:39] neg_lo:[0,1] neg_hi:[0,1]
	v_pk_add_f32 v[34:35], v[42:43], v[34:35] neg_lo:[0,1] neg_hi:[0,1]
	v_pk_mul_f32 v[38:39], v[44:45], v[38:39]
	v_pk_mul_f32 v[34:35], v[46:47], v[34:35]
	v_accvgpr_read_b32 v41, a5
	v_perm_b32 v35, v35, v34, s41
	v_perm_b32 v34, v39, v38, s41
	s_waitcnt vmcnt(1)
	v_lshlrev_b32_e32 v39, 16, v114
	s_waitcnt vmcnt(0)
	v_lshlrev_b32_e32 v38, 16, v48
	v_accvgpr_read_b32 v40, a4
	v_accvgpr_read_b32 v37, a7
	;; [unrolled: 1-line block ×3, first 2 shown]
	v_pk_add_f32 v[38:39], v[38:39], v[40:41] neg_lo:[0,1] neg_hi:[0,1]
	v_lshlrev_b32_e32 v41, 16, v112
	v_lshlrev_b32_e32 v40, 16, v113
	v_pk_add_f32 v[36:37], v[40:41], v[36:37] neg_lo:[0,1] neg_hi:[0,1]
	v_pk_mul_f32 v[38:39], v[44:45], v[38:39]
	v_pk_mul_f32 v[36:37], v[46:47], v[36:37]
	v_mov_b32_e32 v104, 0
	v_perm_b32 v37, v37, v36, s41
	v_perm_b32 v36, v39, v38, s41
	ds_write2_b64 v67, v[34:35], v[36:37] offset1:16
	v_mov_b32_e32 v34, 0
	v_mov_b32_e32 v35, 0
	;; [unrolled: 1-line block ×15, first 2 shown]
	s_cbranch_vccnz .LBB366_14
; %bb.13:                               ;   in Loop: Header=BB366_6 Depth=1
	s_and_b32 s9, s9, 0xffff
	s_mov_b32 s11, s7
	buffer_load_dwordx4 v[46:49], v89, s[8:11], 0 offen
	buffer_load_dwordx4 v[38:41], v89, s[8:11], s56 offen
	;; [unrolled: 1-line block ×4, first 2 shown]
	v_mov_b32_e32 v103, v9
	v_mov_b32_e32 v104, v5
.LBB366_14:                             ;   in Loop: Header=BB366_6 Depth=1
	s_waitcnt lgkmcnt(0)
	s_barrier
	ds_read_b64 v[110:111], v92
	ds_read_b64 v[118:119], v85
	;; [unrolled: 1-line block ×5, first 2 shown]
	ds_read_b64 v[124:125], v86 offset:16384
	ds_read_b64 v[126:127], v84 offset:16384
	ds_read2_b64 v[106:109], v80 offset0:16 offset1:128
	s_waitcnt lgkmcnt(6)
	v_mfma_f32_16x16x16_bf16 a[0:3], v[110:111], v[118:119], 0
	ds_read_b64 v[128:129], v81 offset:3072
	ds_read_b64 v[130:131], v88 offset:16384
	s_add_i32 s5, s53, s63
	s_waitcnt lgkmcnt(2)
	v_mfma_f32_16x16x16_bf16 a[4:7], v[110:111], v[106:107], 0
	ds_read2st64_b64 v[110:113], v81 offset0:2 offset1:4
	s_mul_hi_i32 s9, s5, s25
	s_mul_i32 s5, s5, s25
	v_mfma_f32_16x16x16_bf16 a[0:3], v[114:115], v[108:109], a[0:3]
	s_add_u32 s8, s5, s33
	s_addc_u32 s9, s9, s51
	s_lshl_b64 s[8:9], s[8:9], 15
	s_waitcnt lgkmcnt(0)
	v_mfma_f32_16x16x16_bf16 a[4:7], v[114:115], v[110:111], a[4:7]
	ds_read2st64_b64 v[114:117], v80 offset0:4 offset1:6
	s_waitcnt lgkmcnt(0)
	v_mfma_f32_16x16x16_bf16 a[0:3], v[120:121], v[114:115], a[0:3]
	v_mfma_f32_16x16x16_bf16 a[8:11], v[120:121], v[112:113], a[4:7]
	;; [unrolled: 1-line block ×5, first 2 shown]
	ds_read2st64_b64 v[118:121], v83 offset1:8
	v_mfma_f32_16x16x16_bf16 a[12:15], v[126:127], v[106:107], 0
	ds_read_b64 v[126:127], v87 offset:16384
	v_mfma_f32_16x16x16_bf16 a[8:11], v[124:125], v[108:109], a[8:11]
	ds_read2st64_b64 v[106:109], v82 offset1:8
	s_waitcnt lgkmcnt(0)
	v_mov_b32_e32 v122, v106
	v_mfma_f32_16x16x16_bf16 a[12:15], v[124:125], v[110:111], a[12:15]
	v_lshl_add_u64 v[110:111], v[54:55], 0, s[8:9]
	v_add_co_u32_e32 v106, vcc, s13, v110
	v_mfma_f32_16x16x16_bf16 a[8:11], v[126:127], v[114:115], a[8:11]
	v_mov_b32_e32 v123, v107
	v_addc_co_u32_e32 v107, vcc, 0, v111, vcc
	v_mfma_f32_16x16x16_bf16 a[12:15], v[126:127], v[112:113], a[12:15]
	v_mov_b32_e32 v124, v118
	v_mov_b32_e32 v125, v119
	;; [unrolled: 1-line block ×3, first 2 shown]
	v_mfma_f32_16x16x16_bf16 a[8:11], v[130:131], v[116:117], a[8:11]
	v_mov_b32_e32 v119, v109
	s_and_b64 vcc, exec, s[0:1]
	global_store_dwordx4 v[110:111], v[122:125], off
	v_mfma_f32_16x16x16_bf16 a[12:15], v[130:131], v[128:129], a[12:15]
	global_store_dwordx4 v[106:107], v[118:121], off
	s_cbranch_vccnz .LBB366_16
; %bb.15:                               ;   in Loop: Header=BB366_6 Depth=1
	v_lshrrev_b32_e32 v105, 3, v103
	v_and_b32_e32 v105, 6, v105
	v_xor_b32_e32 v104, v105, v104
	v_lshlrev_b32_e32 v104, 2, v104
	v_and_b32_e32 v103, 8, v103
	v_xor_b32_e32 v106, 0x440, v104
	v_cmp_eq_u32_e32 vcc, 0, v103
	s_barrier
	s_nop 0
	v_cndmask_b32_e32 v103, v106, v104, vcc
	v_lshl_or_b32 v103, v105, 10, v103
	s_waitcnt vmcnt(3)
	v_perm_b32 v104, v46, v42, s58
	s_waitcnt vmcnt(2)
	v_perm_b32 v105, v38, v34, s58
	ds_write2st64_b32 v103, v104, v105 offset0:32 offset1:64
	v_xor_b32_e32 v104, 8, v103
	v_perm_b32 v42, v46, v42, s59
	v_perm_b32 v34, v38, v34, s59
	v_add_u32_e32 v38, 0x80, v104
	ds_write2st64_b32 v38, v42, v34 offset0:32 offset1:64
	v_xor_b32_e32 v34, 16, v103
	v_perm_b32 v38, v47, v43, s58
	v_perm_b32 v42, v39, v35, s58
	ds_write2st64_b32 v34, v38, v42 offset0:33 offset1:65
	v_xor_b32_e32 v34, 24, v103
	v_perm_b32 v38, v47, v43, s59
	v_perm_b32 v35, v39, v35, s59
	v_add_u32_e32 v34, 0x80, v34
	ds_write2st64_b32 v34, v38, v35 offset0:33 offset1:65
	v_xor_b32_e32 v34, 32, v103
	v_perm_b32 v35, v48, v44, s58
	;; [unrolled: 9-line block ×3, first 2 shown]
	v_perm_b32 v36, v41, v37, s58
	ds_write2st64_b32 v34, v35, v36 offset0:35 offset1:67
	v_xor_b32_e32 v34, 56, v103
	v_perm_b32 v35, v49, v45, s59
	v_perm_b32 v36, v41, v37, s59
	v_add_u32_e32 v34, 0x80, v34
	ds_write2st64_b32 v34, v35, v36 offset0:35 offset1:67
	ds_write_b64 v102, v[30:31] offset:24576
	v_xor_b32_e32 v30, 8, v102
	ds_write_b64 v30, v[32:33] offset:24576
	ds_write_b64 v102, v[26:27] offset:32768
	;; [unrolled: 1-line block ×4, first 2 shown]
	v_xor_b32_e32 v22, 8, v101
	ds_write_b64 v22, v[24:25] offset:24576
	ds_write_b64 v101, v[18:19] offset:32768
	;; [unrolled: 1-line block ×3, first 2 shown]
.LBB366_16:                             ;   in Loop: Header=BB366_6 Depth=1
	v_mul_f32_e32 v18, s4, v96
	s_waitcnt vmcnt(2)
	v_exp_f32_e32 v34, v18
	v_accvgpr_read_b32 v33, a7
	v_accvgpr_read_b32 v25, a3
	;; [unrolled: 1-line block ×16, first 2 shown]
	s_add_i32 s57, s57, 64
	v_fma_f32 v2, v2, v34, v30
	v_fma_f32 v3, v3, v34, v31
	v_fma_f32 v4, v4, v34, v32
	v_fmac_f32_e32 v33, v98, v34
	v_fma_f32 v10, v10, v34, v22
	v_fma_f32 v11, v11, v34, v23
	v_fma_f32 v12, v12, v34, v24
	v_fmac_f32_e32 v25, v100, v34
	;; [unrolled: 4-line block ×3, first 2 shown]
	v_fma_f32 v14, v14, v34, v18
	v_fma_f32 v15, v15, v34, v19
	;; [unrolled: 1-line block ×3, first 2 shown]
	s_cmp_eq_u32 s50, s62
	v_fmac_f32_e32 v21, v99, v34
	s_cbranch_scc1 .LBB366_18
; %bb.17:                               ;   in Loop: Header=BB366_6 Depth=1
	s_mov_b32 s63, s62
	v_mov_b32_e32 v98, v33
	v_mov_b32_e32 v97, v29
	v_mov_b32_e32 v100, v25
	v_mov_b32_e32 v99, v21
	s_branch .LBB366_6
.LBB366_18:
	v_mov_b32_e32 v5, v33
	v_mov_b32_e32 v9, v29
	;; [unrolled: 1-line block ×4, first 2 shown]
.LBB366_19:
	s_lshl_b32 s51, s50, 6
	s_sub_i32 s52, s24, s51
	s_cmp_gt_i32 s52, 0
	v_or_b32_e32 v34, s40, v60
	s_cbranch_scc1 .LBB366_21
; %bb.20:
	s_ashr_i32 s0, s33, 31
	s_add_u32 s8, s47, s33
	s_addc_u32 s9, s55, s0
	v_or_b32_e32 v18, s40, v60
	s_cbranch_execz .LBB366_22
	s_branch .LBB366_86
.LBB366_21:
                                        ; implicit-def: $sgpr8_sgpr9
                                        ; implicit-def: $vgpr18
.LBB366_22:
	s_ashr_i32 s13, s49, 31
	s_ashr_i32 s2, s51, 31
	s_cmpk_lg_i32 s27, 0x80
	s_cselect_b64 s[42:43], -1, 0
	s_and_b64 vcc, exec, s[42:43]
	s_cbranch_vccz .LBB366_24
; %bb.23:
	s_mul_i32 s1, s49, s24
	s_mul_hi_i32 s0, s49, s24
	s_add_u32 s1, s1, s51
	s_addc_u32 s0, s0, s2
	s_mul_i32 s3, s1, s44
	s_mul_hi_u32 s4, s1, s26
	s_add_i32 s3, s4, s3
	s_mul_i32 s0, s0, s26
	s_add_i32 s3, s3, s0
	s_mul_i32 s1, s1, s26
	s_ashr_i32 s0, s54, 31
	s_add_u32 s44, s1, s54
	s_addc_u32 s45, s3, s0
	s_cbranch_execz .LBB366_25
	s_branch .LBB366_26
.LBB366_24:
                                        ; implicit-def: $sgpr44_sgpr45
.LBB366_25:
	s_mul_hi_i32 s0, s49, s26
	s_mul_i32 s49, s49, s26
	s_ashr_i32 s1, s54, 31
	s_add_u32 s3, s49, s54
	s_addc_u32 s0, s0, s1
	s_mul_i32 s1, s3, s48
	s_mul_hi_u32 s4, s3, s24
	s_add_i32 s1, s4, s1
	s_mul_i32 s0, s0, s24
	s_add_i32 s1, s1, s0
	s_mul_i32 s3, s3, s24
	s_add_u32 s44, s3, s51
	s_addc_u32 s45, s1, s2
.LBB366_26:
	s_add_i32 s3, s53, s50
	s_ashr_i32 s26, s33, 31
	s_add_u32 s8, s47, s33
	s_addc_u32 s9, s55, s26
	s_mul_i32 s0, s8, s48
	s_mul_hi_u32 s1, s8, s24
	s_add_i32 s0, s1, s0
	s_mul_i32 s1, s9, s24
	s_add_i32 s1, s0, s1
	s_mul_i32 s0, s8, s24
	s_add_u32 s0, s0, s51
	v_lshlrev_b32_e32 v22, 5, v1
	v_lshlrev_b32_e32 v40, 2, v60
	s_addc_u32 s1, s1, s2
	s_mov_b32 s2, 0x7060302
	v_or_b32_e32 v25, v22, v40
	v_xor_b32_e32 v23, v1, v40
	v_perm_b32 v19, v5, v4, s2
	v_perm_b32 v18, v3, v2, s2
	;; [unrolled: 1-line block ×4, first 2 shown]
	v_lshlrev_b32_e32 v25, 1, v25
	s_lshl_b64 s[10:11], s[0:1], 8
	v_xor_b32_e32 v24, v63, v40
	ds_write2st64_b64 v25, v[18:19], v[20:21] offset0:80 offset1:88
	v_lshlrev_b32_e32 v23, 1, v23
	v_lshlrev_b32_e32 v25, 8, v60
	s_add_u32 s0, s18, s10
	v_or_b32_e32 v26, v23, v25
	v_lshlrev_b32_e32 v24, 1, v24
	s_addc_u32 s1, s19, s11
	ds_write_b64 v26, v[18:19]
	v_or_b32_e32 v18, v24, v25
	v_or_b32_e32 v25, 16, v60
	s_mul_hi_i32 s4, s3, s25
	s_mul_i32 s3, s3, s25
	ds_write_b64 v18, v[20:21]
	v_perm_b32 v19, v13, v12, s2
	v_perm_b32 v18, v11, v10, s2
	;; [unrolled: 1-line block ×4, first 2 shown]
	v_lshlrev_b32_e32 v37, 2, v25
	s_add_u32 s2, s3, s33
	v_or_b32_e32 v22, v22, v37
	s_addc_u32 s3, s4, s26
	v_lshlrev_b32_e32 v22, 1, v22
	s_ashr_i32 s41, s40, 31
	s_lshl_b64 s[2:3], s[2:3], 15
	ds_write2st64_b64 v22, v[18:19], v[20:21] offset0:80 offset1:88
	v_lshlrev_b32_e32 v22, 8, v25
	s_waitcnt lgkmcnt(0)
	s_add_u32 s4, s38, s2
	v_or_b32_e32 v23, v23, v22
	s_addc_u32 s5, s39, s3
	s_lshl_b64 s[2:3], s[40:41], 8
	ds_write_b64 v23, v[18:19]
	v_or_b32_e32 v18, v24, v22
	s_add_u32 s2, s4, s2
	ds_write_b64 v18, v[20:21]
	v_lshrrev_b32_e32 v18, 4, v0
	s_addc_u32 s3, s5, s3
	v_lshlrev_b32_e32 v19, 1, v60
	v_lshlrev_b32_e32 v26, 4, v60
	v_mov_b32_e32 v27, 0
	v_or_b32_e32 v20, 1, v19
	v_xor_b32_e32 v19, v18, v19
	v_lshl_add_u64 v[28:29], s[2:3], 0, v[26:27]
	v_lshlrev_b32_e32 v26, 8, v18
	v_xor_b32_e32 v22, v20, v18
	v_lshl_or_b32 v18, v19, 3, v26
	s_waitcnt lgkmcnt(0)
	s_barrier
	ds_read2st64_b64 v[18:21], v18 offset1:8
	v_lshl_or_b32 v22, v22, 3, v26
	ds_read2st64_b64 v[22:25], v22 offset1:8
	v_lshl_add_u64 v[30:31], v[28:29], 0, v[26:27]
	s_movk_i32 s2, 0x1000
	s_waitcnt lgkmcnt(1)
	v_mov_b32_e32 v26, v18
	v_add_co_u32_e32 v18, vcc, s2, v30
	s_cmp_lg_u32 s52, 64
	v_mov_b32_e32 v27, v19
	v_addc_co_u32_e32 v19, vcc, 0, v31, vcc
	s_cselect_b64 s[14:15], -1, 0
	v_lshl_or_b32 v35, v56, 3, v62
	s_waitcnt lgkmcnt(0)
	v_mov_b32_e32 v28, v22
	v_mov_b32_e32 v29, v23
	;; [unrolled: 1-line block ×4, first 2 shown]
	s_mov_b32 s4, 0
	v_or_b32_e32 v38, 32, v35
	v_and_b32_e32 v36, 56, v61
	s_and_b64 vcc, exec, s[14:15]
	global_store_dwordx4 v[30:31], v[26:29], off
	global_store_dwordx4 v[18:19], v[22:25], off
	s_cbranch_vccz .LBB366_32
; %bb.27:
	s_mov_b32 s6, s4
	s_mov_b32 s7, s4
	s_mov_b32 s5, s4
	v_mov_b64_e32 v[24:25], s[6:7]
	v_mov_b64_e32 v[22:23], s[4:5]
	;; [unrolled: 1-line block ×3, first 2 shown]
	v_cmp_gt_i32_e32 vcc, s52, v35
	v_mov_b64_e32 v[20:21], v[24:25]
	s_and_saveexec_b64 s[2:3], vcc
	s_cbranch_execz .LBB366_29
; %bb.28:
	v_lshlrev_b32_e32 v18, 8, v35
	v_mov_b32_e32 v19, 0
	v_lshl_add_u64 v[20:21], s[0:1], 0, v[18:19]
	v_lshlrev_b32_e32 v18, 1, v36
	v_lshl_add_u64 v[26:27], v[20:21], 0, v[18:19]
	global_load_dwordx4 v[22:25], v[26:27], off
	global_load_dwordx4 v[18:21], v[26:27], off offset:128
.LBB366_29:
	s_or_b64 exec, exec, s[2:3]
	s_mov_b32 s6, s4
	s_mov_b32 s7, s4
	;; [unrolled: 1-line block ×3, first 2 shown]
	v_mov_b64_e32 v[32:33], s[6:7]
	v_mov_b64_e32 v[30:31], s[4:5]
	v_mov_b64_e32 v[26:27], v[30:31]
	v_cmp_gt_i32_e32 vcc, s52, v38
	v_lshlrev_b32_e32 v39, 7, v38
	v_mov_b64_e32 v[28:29], v[32:33]
	s_and_saveexec_b64 s[2:3], vcc
	s_cbranch_execz .LBB366_31
; %bb.30:
	v_lshlrev_b32_e32 v26, 1, v39
	v_mov_b32_e32 v27, 0
	v_lshl_add_u64 v[28:29], s[0:1], 0, v[26:27]
	v_lshlrev_b32_e32 v26, 1, v36
	v_lshl_add_u64 v[42:43], v[28:29], 0, v[26:27]
	global_load_dwordx4 v[30:33], v[42:43], off
	global_load_dwordx4 v[26:29], v[42:43], off offset:128
.LBB366_31:
	s_or_b64 exec, exec, s[2:3]
	v_lshrrev_b32_e32 v41, 3, v36
	v_lshlrev_b32_e32 v42, 3, v35
	v_or_b32_e32 v41, v42, v41
	v_lshlrev_b32_e32 v41, 4, v41
	v_and_b32_e32 v42, 0x78, v42
	v_xor_b32_e32 v41, v41, v42
	s_branch .LBB366_34
.LBB366_32:
                                        ; implicit-def: $vgpr41
                                        ; implicit-def: $vgpr39
                                        ; implicit-def: $vgpr22_vgpr23_vgpr24_vgpr25
                                        ; implicit-def: $vgpr18_vgpr19_vgpr20_vgpr21
                                        ; implicit-def: $vgpr30_vgpr31_vgpr32_vgpr33
                                        ; implicit-def: $vgpr26_vgpr27_vgpr28_vgpr29
	s_cbranch_execz .LBB366_34
; %bb.33:
	s_waitcnt vmcnt(0)
	v_lshlrev_b32_e32 v18, 1, v36
	v_lshl_or_b32 v39, v35, 8, v18
	s_and_b32 s1, s1, 0xffff
	s_mov_b32 s3, 0x20000
	s_movk_i32 s2, 0x4000
	v_lshl_or_b32 v41, v38, 8, v18
	s_movk_i32 s4, 0x80
	buffer_load_dwordx4 v[22:25], v39, s[0:3], 0 offen
	buffer_load_dwordx4 v[18:21], v39, s[0:3], s4 offen
	;; [unrolled: 1-line block ×4, first 2 shown]
	v_lshrrev_b32_e32 v39, 3, v36
	v_lshlrev_b32_e32 v41, 3, v35
	v_or_b32_e32 v39, v41, v39
	v_lshlrev_b32_e32 v39, 4, v39
	v_and_b32_e32 v41, 0x78, v41
	v_xor_b32_e32 v41, v39, v41
	v_lshlrev_b32_e32 v39, 7, v38
.LBB366_34:
	s_lshl_b64 s[0:1], s[44:45], 8
	s_add_u32 s4, s16, s0
	s_movk_i32 s0, 0x1000
	v_and_or_b32 v38, v39, s0, v41
	s_waitcnt vmcnt(1)
	ds_write_b64 v41, v[22:23] offset:24576
	v_xor_b32_e32 v22, 8, v41
	ds_write_b64 v22, v[24:25] offset:24576
	s_waitcnt vmcnt(0)
	ds_write_b64 v41, v[18:19] offset:32768
	ds_write_b64 v22, v[20:21] offset:32768
	;; [unrolled: 1-line block ×3, first 2 shown]
	v_xor_b32_e32 v18, 8, v38
	ds_write_b64 v18, v[32:33] offset:24576
	ds_write_b64 v38, v[26:27] offset:32768
	;; [unrolled: 1-line block ×3, first 2 shown]
	v_or_b32_e32 v18, v57, v60
	v_lshlrev_b32_e32 v18, 3, v18
	v_lshrrev_b32_e32 v19, 5, v58
	s_movk_i32 s7, 0xf8
	v_and_or_b32 v19, v18, s7, v19
	v_lshlrev_b32_e32 v23, 4, v19
	v_lshlrev_b32_e32 v41, 11, v56
	v_and_b32_e32 v24, 0x78, v18
	v_or_b32_e32 v26, 32, v23
	v_and_b32_e32 v22, 0x1000, v41
	v_lshrrev_b32_e32 v19, 1, v58
	v_xor_b32_e32 v26, v26, v24
	v_xor_b32_e32 v18, v23, v24
	v_and_b32_e32 v25, 8, v19
	v_or_b32_e32 v26, v26, v22
	v_or_b32_e32 v18, v18, v22
	v_xor_b32_e32 v45, v26, v25
	v_or_b32_e32 v26, 64, v23
	v_xor_b32_e32 v44, v18, v25
	v_xor_b32_e32 v26, v26, v24
	s_waitcnt lgkmcnt(0)
	s_barrier
	v_or_b32_e32 v28, v26, v22
	ds_read_b64 v[26:27], v44 offset:24576
	v_lshl_or_b32 v38, v59, 7, v40
	v_lshlrev_b32_e32 v42, 1, v38
	v_add_u32_e32 v18, 0xa000, v42
	ds_read2_b64 v[18:21], v18 offset1:16
	v_or_b32_e32 v23, 0x60, v23
	v_xor_b32_e32 v23, v23, v24
	s_waitcnt lgkmcnt(0)
	v_mfma_f32_16x16x16_bf16 a[0:3], v[26:27], v[18:19], 0
	v_or_b32_e32 v18, 64, v38
	v_or_b32_e32 v22, v23, v22
	v_lshlrev_b32_e32 v43, 1, v18
	v_xor_b32_e32 v46, v28, v25
	v_xor_b32_e32 v47, v22, v25
	ds_read_b64 v[28:29], v45 offset:24576
	ds_read_b64 v[30:31], v46 offset:24576
	;; [unrolled: 1-line block ×3, first 2 shown]
	v_mfma_f32_16x16x16_bf16 a[4:7], v[26:27], v[20:21], 0
	ds_read2st64_b64 v[18:21], v43 offset0:82 offset1:84
	ds_read2st64_b64 v[22:25], v42 offset0:82 offset1:84
	s_addc_u32 s5, s17, s1
	s_add_i32 s2, s24, -1
	s_add_i32 s0, s46, s29
	s_mul_i32 s13, s13, s28
	s_add_i32 s13, s0, s13
	s_mul_i32 s0, s33, s31
	s_mul_hi_u32 s1, s33, s30
	s_ashr_i32 s3, s2, 31
	s_mul_i32 s6, s2, s37
	s_mul_hi_u32 s7, s2, s36
	s_add_i32 s0, s1, s0
	s_mul_i32 s1, s26, s30
	s_add_i32 s6, s7, s6
	s_mul_i32 s3, s3, s36
	s_waitcnt lgkmcnt(1)
	v_mfma_f32_16x16x16_bf16 a[4:7], v[28:29], v[18:19], a[4:7]
	s_add_i32 s1, s0, s1
	s_add_i32 s3, s6, s3
	s_lshl_b64 s[6:7], s[12:13], 2
	s_waitcnt lgkmcnt(0)
	v_mfma_f32_16x16x16_bf16 a[0:3], v[28:29], v[22:23], a[0:3]
	s_mul_i32 s0, s33, s30
	s_add_u32 s6, s22, s6
	s_addc_u32 s7, s23, s7
	s_lshl_b64 s[0:1], s[0:1], 2
	s_mul_i32 s2, s2, s36
	s_add_u32 s12, s6, s0
	ds_read_b64 v[18:19], v42 offset:44032
	v_mfma_f32_16x16x16_bf16 a[4:7], v[30:31], v[20:21], a[4:7]
	ds_read_b64 v[20:21], v43 offset:44032
	s_addc_u32 s13, s7, s1
	s_lshl_b64 s[0:1], s[2:3], 2
	v_mfma_f32_16x16x16_bf16 a[0:3], v[30:31], v[24:25], a[0:3]
	s_add_u32 s0, s12, s0
	s_addc_u32 s1, s13, s1
	s_load_dword s16, s[0:1], 0x0
	s_waitcnt lgkmcnt(0)
	v_mfma_f32_16x16x16_bf16 a[0:3], v[32:33], v[18:19], a[0:3]
	s_and_b64 vcc, exec, s[42:43]
	v_mfma_f32_16x16x16_bf16 a[4:7], v[32:33], v[20:21], a[4:7]
	s_cbranch_vccz .LBB366_45
; %bb.35:
	v_lshlrev_b32_e32 v38, 1, v35
	s_and_b64 vcc, exec, s[14:15]
	s_cbranch_vccz .LBB366_46
; %bb.36:
	v_cmp_gt_i32_e32 vcc, s52, v38
	v_mov_b32_e32 v22, 0
	v_mov_b32_e32 v18, 0
	;; [unrolled: 1-line block ×5, first 2 shown]
	s_and_saveexec_b64 s[0:1], vcc
	s_cbranch_execz .LBB366_38
; %bb.37:
	v_mad_i64_i32 v[18:19], s[2:3], s27, v38, 0
	v_lshl_add_u64 v[18:19], v[18:19], 1, s[4:5]
	v_lshlrev_b32_e32 v20, 1, v36
	v_mov_b32_e32 v21, 0
	v_lshl_add_u64 v[18:19], v[18:19], 0, v[20:21]
	global_load_dwordx4 v[18:21], v[18:19], off
.LBB366_38:
	s_or_b64 exec, exec, s[0:1]
	v_or_b32_e32 v39, 1, v38
	v_cmp_gt_i32_e64 s[0:1], s52, v39
	v_mov_b32_e32 v23, 0
	v_mov_b32_e32 v24, 0
	;; [unrolled: 1-line block ×3, first 2 shown]
	s_and_saveexec_b64 s[2:3], s[0:1]
	s_cbranch_execz .LBB366_40
; %bb.39:
	v_mad_i64_i32 v[22:23], s[6:7], s27, v39, 0
	v_lshl_add_u64 v[22:23], v[22:23], 1, s[4:5]
	v_lshlrev_b32_e32 v24, 1, v36
	v_mov_b32_e32 v25, 0
	v_lshl_add_u64 v[22:23], v[22:23], 0, v[24:25]
	global_load_dwordx4 v[22:25], v[22:23], off
.LBB366_40:
	s_or_b64 exec, exec, s[2:3]
	v_mov_b32_e32 v33, 0
	v_mov_b32_e32 v26, 0
	;; [unrolled: 1-line block ×5, first 2 shown]
	s_and_saveexec_b64 s[2:3], vcc
	s_cbranch_execz .LBB366_42
; %bb.41:
	v_mad_i64_i32 v[26:27], s[6:7], s27, v38, 0
	v_lshl_add_u64 v[26:27], v[26:27], 1, s[4:5]
	v_lshlrev_b32_e32 v28, 1, v36
	v_mov_b32_e32 v29, 0
	v_lshl_add_u64 v[26:27], v[26:27], 0, v[28:29]
	global_load_dwordx4 v[26:29], v[26:27], off offset:128
.LBB366_42:
	s_or_b64 exec, exec, s[2:3]
	v_mov_b32_e32 v32, 0
	v_mov_b32_e32 v31, 0
	;; [unrolled: 1-line block ×3, first 2 shown]
	s_and_saveexec_b64 s[2:3], s[0:1]
	s_cbranch_execz .LBB366_44
; %bb.43:
	v_mad_i64_i32 v[30:31], s[0:1], s27, v39, 0
	v_lshl_add_u64 v[30:31], v[30:31], 1, s[4:5]
	v_lshlrev_b32_e32 v32, 1, v36
	v_mov_b32_e32 v33, 0
	v_lshl_add_u64 v[30:31], v[30:31], 0, v[32:33]
	global_load_dwordx4 v[30:33], v[30:31], off offset:128
.LBB366_44:
	s_or_b64 exec, exec, s[2:3]
	s_branch .LBB366_48
.LBB366_45:
                                        ; implicit-def: $vgpr21
                                        ; implicit-def: $vgpr25
                                        ; implicit-def: $vgpr29
                                        ; implicit-def: $vgpr33
	v_lshrrev_b32_e32 v48, 2, v58
	s_branch .LBB366_49
.LBB366_46:
                                        ; implicit-def: $vgpr21
                                        ; implicit-def: $vgpr25
                                        ; implicit-def: $vgpr29
                                        ; implicit-def: $vgpr33
	s_cbranch_execz .LBB366_48
; %bb.47:
	s_waitcnt vmcnt(0)
	v_mad_u64_u32 v[18:19], s[0:1], v38, s27, v[36:37]
	v_lshlrev_b32_e32 v38, 1, v18
	s_lshl_b32 s2, s27, 7
	s_and_b32 s1, s5, 0xffff
	s_mov_b32 s3, 0x20000
	s_mov_b32 s0, s4
	v_add_lshl_u32 v39, v18, s27, 1
	s_movk_i32 s6, 0x80
	buffer_load_dwordx4 v[18:21], v38, s[0:3], 0 offen
	buffer_load_dwordx4 v[26:29], v38, s[0:3], s6 offen
	;; [unrolled: 1-line block ×4, first 2 shown]
.LBB366_48:
	v_lshrrev_b32_e32 v48, 2, v58
	s_cbranch_execnz .LBB366_61
.LBB366_49:
	s_and_b64 vcc, exec, s[14:15]
	s_cbranch_vccz .LBB366_59
; %bb.50:
	s_waitcnt vmcnt(0)
	v_lshlrev_b32_e32 v23, 1, v35
	v_cmp_gt_i32_e32 vcc, s52, v23
	v_mov_b32_e32 v22, 0
	v_lshlrev_b32_e32 v30, 9, v35
	v_mov_b32_e32 v18, 0
	v_mov_b32_e32 v19, 0
	;; [unrolled: 1-line block ×4, first 2 shown]
	s_and_saveexec_b64 s[0:1], vcc
	s_cbranch_execz .LBB366_52
; %bb.51:
	v_mov_b32_e32 v31, 0
	v_lshl_add_u64 v[18:19], s[4:5], 0, v[30:31]
	v_lshlrev_b32_e32 v20, 1, v36
	v_mov_b32_e32 v21, v31
	v_lshl_add_u64 v[18:19], v[18:19], 0, v[20:21]
	global_load_dwordx4 v[18:21], v[18:19], off
.LBB366_52:
	s_or_b64 exec, exec, s[0:1]
	v_or_b32_e32 v23, 1, v23
	v_cmp_gt_i32_e64 s[0:1], s52, v23
	v_lshlrev_b32_e32 v38, 8, v23
	v_mov_b32_e32 v23, 0
	v_mov_b32_e32 v24, 0
	;; [unrolled: 1-line block ×3, first 2 shown]
	s_and_saveexec_b64 s[2:3], s[0:1]
	s_cbranch_execz .LBB366_54
; %bb.53:
	v_mov_b32_e32 v39, 0
	v_lshl_add_u64 v[22:23], s[4:5], 0, v[38:39]
	v_lshlrev_b32_e32 v24, 1, v36
	v_mov_b32_e32 v25, v39
	v_lshl_add_u64 v[22:23], v[22:23], 0, v[24:25]
	global_load_dwordx4 v[22:25], v[22:23], off
.LBB366_54:
	s_or_b64 exec, exec, s[2:3]
	v_mov_b32_e32 v33, 0
	v_mov_b32_e32 v26, 0
	;; [unrolled: 1-line block ×5, first 2 shown]
	s_and_saveexec_b64 s[2:3], vcc
	s_cbranch_execz .LBB366_56
; %bb.55:
	v_mov_b32_e32 v31, 0
	v_lshl_add_u64 v[26:27], s[4:5], 0, v[30:31]
	v_lshlrev_b32_e32 v30, 1, v36
	v_lshl_add_u64 v[26:27], v[26:27], 0, v[30:31]
	global_load_dwordx4 v[26:29], v[26:27], off offset:128
.LBB366_56:
	s_or_b64 exec, exec, s[2:3]
	v_mov_b32_e32 v32, 0
	v_mov_b32_e32 v31, 0
	;; [unrolled: 1-line block ×3, first 2 shown]
	s_and_saveexec_b64 s[2:3], s[0:1]
	s_cbranch_execz .LBB366_58
; %bb.57:
	v_mov_b32_e32 v39, 0
	v_lshl_add_u64 v[30:31], s[4:5], 0, v[38:39]
	v_lshlrev_b32_e32 v38, 1, v36
	v_lshl_add_u64 v[30:31], v[30:31], 0, v[38:39]
	global_load_dwordx4 v[30:33], v[30:31], off offset:128
.LBB366_58:
	s_or_b64 exec, exec, s[2:3]
	s_branch .LBB366_61
.LBB366_59:
                                        ; implicit-def: $vgpr21
                                        ; implicit-def: $vgpr25
                                        ; implicit-def: $vgpr29
                                        ; implicit-def: $vgpr33
	s_cbranch_execz .LBB366_61
; %bb.60:
	s_waitcnt vmcnt(0)
	v_lshlrev_b32_e32 v18, 1, v36
	v_lshl_or_b32 v36, v35, 9, v18
	s_and_b32 s5, s5, 0xffff
	s_mov_b32 s7, 0x20000
	s_movk_i32 s6, 0x4000
	s_movk_i32 s0, 0x80
	buffer_load_dwordx4 v[18:21], v36, s[4:7], 0 offen
	buffer_load_dwordx4 v[22:25], v36, s[4:7], 0 offen offset:256
	buffer_load_dwordx4 v[26:29], v36, s[4:7], s0 offen
	buffer_load_dwordx4 v[30:33], v36, s[4:7], s0 offen offset:256
.LBB366_61:
	ds_read_b64 v[38:39], v44 offset:32768
	v_add_u32_e32 v36, 0xb000, v42
	ds_read2_b64 v[50:53], v36 offset1:16
	ds_read_b64 v[54:55], v45 offset:32768
	ds_read_b64 v[58:59], v46 offset:32768
	;; [unrolled: 1-line block ×3, first 2 shown]
	v_and_b32_e32 v36, 6, v0
	v_xor_b32_e32 v35, v35, v36
	v_lshlrev_b32_e32 v35, 2, v35
	v_and_b32_e32 v49, 1, v0
	v_cmp_eq_u32_e32 vcc, 0, v49
	s_mov_b32 s0, 0x1000504
	s_waitcnt lgkmcnt(3)
	v_mfma_f32_16x16x16_bf16 a[0:3], v[38:39], v[50:51], a[0:3]
	s_mov_b32 s1, 0x3020706
	v_mfma_f32_16x16x16_bf16 a[4:7], v[38:39], v[52:53], a[4:7]
	ds_read2st64_b64 v[44:47], v42 offset0:90 offset1:92
	ds_read2st64_b64 v[50:53], v43 offset0:90 offset1:92
	s_waitcnt lgkmcnt(1)
	v_mfma_f32_16x16x16_bf16 a[0:3], v[54:55], v[44:45], a[0:3]
	ds_read_b64 v[38:39], v42 offset:48128
	ds_read_b64 v[44:45], v43 offset:48128
	s_waitcnt lgkmcnt(2)
	v_mfma_f32_16x16x16_bf16 a[4:7], v[54:55], v[50:51], a[4:7]
	v_mfma_f32_16x16x16_bf16 a[0:3], v[58:59], v[46:47], a[0:3]
	v_xor_b32_e32 v46, 0x440, v35
	v_cndmask_b32_e32 v35, v46, v35, vcc
	v_lshl_or_b32 v35, v36, 10, v35
	v_mfma_f32_16x16x16_bf16 a[8:11], v[58:59], v[52:53], a[4:7]
	s_waitcnt vmcnt(0)
	v_perm_b32 v36, v18, v22, s0
	v_perm_b32 v18, v18, v22, s1
	v_perm_b32 v22, v26, v30, s1
	s_waitcnt lgkmcnt(1)
	v_mfma_f32_16x16x16_bf16 a[4:7], v[60:61], v[38:39], a[0:3]
	v_perm_b32 v38, v26, v30, s0
	ds_write2st64_b32 v35, v36, v38 offset0:32 offset1:64
	v_xor_b32_e32 v36, 8, v35
	v_add_u32_e32 v26, 0x80, v36
	ds_write2st64_b32 v26, v18, v22 offset0:32 offset1:64
	v_xor_b32_e32 v18, 16, v35
	v_perm_b32 v22, v19, v23, s0
	v_perm_b32 v26, v27, v31, s0
	ds_write2st64_b32 v18, v22, v26 offset0:33 offset1:65
	v_xor_b32_e32 v18, 24, v35
	v_perm_b32 v19, v19, v23, s1
	v_perm_b32 v22, v27, v31, s1
	v_add_u32_e32 v18, 0x80, v18
	ds_write2st64_b32 v18, v19, v22 offset0:33 offset1:65
	v_xor_b32_e32 v18, 32, v35
	v_perm_b32 v19, v20, v24, s0
	v_perm_b32 v22, v28, v32, s0
	ds_write2st64_b32 v18, v19, v22 offset0:34 offset1:66
	v_xor_b32_e32 v18, 40, v35
	s_waitcnt lgkmcnt(5)
	v_mfma_f32_16x16x16_bf16 a[0:3], v[60:61], v[44:45], a[8:11]
	v_perm_b32 v19, v20, v24, s1
	v_perm_b32 v20, v28, v32, s1
	v_add_u32_e32 v18, 0x80, v18
	ds_write2st64_b32 v18, v19, v20 offset0:34 offset1:66
	v_xor_b32_e32 v18, 48, v35
	v_perm_b32 v19, v21, v25, s0
	v_perm_b32 v20, v29, v33, s0
	ds_write2st64_b32 v18, v19, v20 offset0:35 offset1:67
	v_xor_b32_e32 v18, 56, v35
	v_and_or_b32 v38, v48, 12, v57
	v_perm_b32 v19, v21, v25, s1
	v_perm_b32 v20, v29, v33, s1
	v_add_u32_e32 v18, 0x80, v18
	v_cmp_gt_i32_e32 vcc, s52, v38
	v_mov_b32_e32 v32, 0
	v_mov_b32_e32 v36, 0
	ds_write2st64_b32 v18, v19, v20 offset0:35 offset1:67
	s_and_saveexec_b64 s[0:1], vcc
	s_cbranch_execz .LBB366_63
; %bb.62:
	v_add_u32_e32 v18, s51, v38
	v_ashrrev_i32_e32 v19, 31, v18
	v_mul_lo_u32 v20, v19, s36
	v_mul_lo_u32 v21, v18, s37
	v_mad_u64_u32 v[18:19], s[2:3], v18, s36, 0
	v_add3_u32 v19, v19, v21, v20
	v_lshl_add_u64 v[18:19], v[18:19], 2, s[12:13]
	global_load_dword v18, v[18:19], off
	s_waitcnt vmcnt(0)
	v_sub_f32_e32 v18, s16, v18
	v_mul_f32_e32 v18, 0x3fb8aa3b, v18
	v_exp_f32_e32 v36, v18
.LBB366_63:
	s_or_b64 exec, exec, s[0:1]
	v_or_b32_e32 v26, 1, v38
	v_cmp_gt_i32_e64 s[0:1], s52, v26
	s_and_saveexec_b64 s[2:3], s[0:1]
	s_cbranch_execz .LBB366_65
; %bb.64:
	v_add_u32_e32 v18, s51, v26
	v_ashrrev_i32_e32 v19, 31, v18
	v_mul_lo_u32 v20, v19, s36
	v_mul_lo_u32 v21, v18, s37
	v_mad_u64_u32 v[18:19], s[4:5], v18, s36, 0
	v_add3_u32 v19, v19, v21, v20
	v_lshl_add_u64 v[18:19], v[18:19], 2, s[12:13]
	global_load_dword v18, v[18:19], off
	s_waitcnt vmcnt(0)
	v_sub_f32_e32 v18, s16, v18
	v_mul_f32_e32 v18, 0x3fb8aa3b, v18
	v_exp_f32_e32 v32, v18
.LBB366_65:
	s_or_b64 exec, exec, s[2:3]
	v_or_b32_e32 v27, 2, v38
	v_cmp_gt_i32_e64 s[2:3], s52, v27
	v_mov_b32_e32 v33, 0
	v_mov_b32_e32 v39, 0
	s_and_saveexec_b64 s[4:5], s[2:3]
	s_cbranch_execz .LBB366_67
; %bb.66:
	v_add_u32_e32 v18, s51, v27
	v_ashrrev_i32_e32 v19, 31, v18
	v_mul_lo_u32 v20, v19, s36
	v_mul_lo_u32 v21, v18, s37
	v_mad_u64_u32 v[18:19], s[6:7], v18, s36, 0
	v_add3_u32 v19, v19, v21, v20
	v_lshl_add_u64 v[18:19], v[18:19], 2, s[12:13]
	global_load_dword v18, v[18:19], off
	s_waitcnt vmcnt(0)
	v_sub_f32_e32 v18, s16, v18
	v_mul_f32_e32 v18, 0x3fb8aa3b, v18
	v_exp_f32_e32 v39, v18
.LBB366_67:
	s_or_b64 exec, exec, s[4:5]
	v_or_b32_e32 v44, 3, v38
	v_cmp_gt_i32_e64 s[4:5], s52, v44
	s_and_saveexec_b64 s[6:7], s[4:5]
	s_cbranch_execz .LBB366_69
; %bb.68:
	v_add_u32_e32 v18, s51, v44
	v_ashrrev_i32_e32 v19, 31, v18
	v_mul_lo_u32 v20, v19, s36
	v_mul_lo_u32 v21, v18, s37
	v_mad_u64_u32 v[18:19], s[14:15], v18, s36, 0
	v_add3_u32 v19, v19, v21, v20
	v_lshl_add_u64 v[18:19], v[18:19], 2, s[12:13]
	global_load_dword v18, v[18:19], off
	s_waitcnt vmcnt(0)
	v_sub_f32_e32 v18, s16, v18
	v_mul_f32_e32 v18, 0x3fb8aa3b, v18
	v_exp_f32_e32 v33, v18
.LBB366_69:
	s_or_b64 exec, exec, s[6:7]
	s_add_u32 s6, s20, s10
	v_accvgpr_read_b32 v21, a7
	s_addc_u32 s7, s21, s11
	v_ashrrev_i32_e32 v35, 31, v34
	v_accvgpr_read_b32 v20, a6
	v_accvgpr_read_b32 v19, a5
	;; [unrolled: 1-line block ×3, first 2 shown]
	v_lshl_add_u64 v[22:23], v[34:35], 1, s[6:7]
	v_mov_b32_e32 v29, 0
	v_lshlrev_b32_e32 v24, 8, v38
	v_mov_b32_e32 v25, 0
	s_and_saveexec_b64 s[6:7], vcc
	s_cbranch_execz .LBB366_71
; %bb.70:
	v_mov_b32_e32 v25, 0
	v_lshl_add_u64 v[30:31], v[22:23], 0, v[24:25]
	global_load_ushort v25, v[30:31], off
	s_waitcnt vmcnt(0)
	v_lshlrev_b32_e32 v25, 16, v25
	v_sub_f32_e32 v18, v25, v18
	v_mul_f32_e32 v18, v36, v18
	v_lshrrev_b32_e32 v25, 16, v18
.LBB366_71:
	s_or_b64 exec, exec, s[6:7]
	v_lshlrev_b32_e32 v28, 8, v26
	s_and_saveexec_b64 s[6:7], s[0:1]
	s_cbranch_execz .LBB366_73
; %bb.72:
	v_mov_b32_e32 v29, 0
	v_lshl_add_u64 v[30:31], v[22:23], 0, v[28:29]
	global_load_ushort v18, v[30:31], off
	s_waitcnt vmcnt(0)
	v_lshlrev_b32_e32 v18, 16, v18
	v_sub_f32_e32 v18, v18, v19
	v_mul_f32_e32 v18, v32, v18
	v_lshrrev_b32_e32 v29, 16, v18
.LBB366_73:
	s_or_b64 exec, exec, s[6:7]
	v_mov_b32_e32 v45, 0
	v_lshlrev_b32_e32 v30, 8, v27
	v_mov_b32_e32 v31, 0
	s_and_saveexec_b64 s[6:7], s[2:3]
	s_cbranch_execz .LBB366_75
; %bb.74:
	v_mov_b32_e32 v31, 0
	v_lshl_add_u64 v[18:19], v[22:23], 0, v[30:31]
	global_load_ushort v18, v[18:19], off
	s_waitcnt vmcnt(0)
	v_lshlrev_b32_e32 v18, 16, v18
	v_sub_f32_e32 v18, v18, v20
	v_mul_f32_e32 v18, v39, v18
	v_lshrrev_b32_e32 v31, 16, v18
.LBB366_75:
	s_or_b64 exec, exec, s[6:7]
	v_lshlrev_b32_e32 v26, 8, v44
	s_and_saveexec_b64 s[6:7], s[4:5]
	s_cbranch_execz .LBB366_77
; %bb.76:
	v_mov_b32_e32 v27, 0
	v_lshl_add_u64 v[18:19], v[22:23], 0, v[26:27]
	global_load_ushort v18, v[18:19], off
	s_waitcnt vmcnt(0)
	v_lshlrev_b32_e32 v18, 16, v18
	v_sub_f32_e32 v18, v18, v21
	v_mul_f32_e32 v18, v33, v18
	v_lshrrev_b32_e32 v45, 16, v18
.LBB366_77:
	s_or_b64 exec, exec, s[6:7]
	v_lshlrev_b32_e32 v35, 5, v38
	s_mov_b32 s6, 0x5040100
	v_perm_b32 v44, v29, v25, s6
	v_or_b32_e32 v25, v35, v40
	v_accvgpr_read_b32 v21, a3
	v_perm_b32 v45, v45, v31, s6
	v_lshlrev_b32_e32 v25, 1, v25
	v_accvgpr_read_b32 v20, a2
	v_accvgpr_read_b32 v19, a1
	;; [unrolled: 1-line block ×3, first 2 shown]
	ds_write_b64 v25, v[44:45] offset:45056
	v_mov_b32_e32 v29, 0
	v_mov_b32_e32 v25, 0
	s_and_saveexec_b64 s[6:7], vcc
	s_cbranch_execz .LBB366_79
; %bb.78:
	v_mov_b32_e32 v25, 0
	v_lshl_add_u64 v[24:25], v[22:23], 0, v[24:25]
	global_load_ushort v24, v[24:25], off offset:32
	s_waitcnt vmcnt(0)
	v_lshlrev_b32_e32 v24, 16, v24
	v_sub_f32_e32 v18, v24, v18
	v_mul_f32_e32 v18, v36, v18
	v_lshrrev_b32_e32 v25, 16, v18
.LBB366_79:
	s_or_b64 exec, exec, s[6:7]
	s_and_saveexec_b64 s[6:7], s[0:1]
	s_cbranch_execz .LBB366_81
; %bb.80:
	v_mov_b32_e32 v29, 0
	v_lshl_add_u64 v[28:29], v[22:23], 0, v[28:29]
	global_load_ushort v18, v[28:29], off offset:32
	s_waitcnt vmcnt(0)
	v_lshlrev_b32_e32 v18, 16, v18
	v_sub_f32_e32 v18, v18, v19
	v_mul_f32_e32 v18, v32, v18
	v_lshrrev_b32_e32 v29, 16, v18
.LBB366_81:
	s_or_b64 exec, exec, s[6:7]
	v_mov_b32_e32 v24, 0
	v_mov_b32_e32 v28, 0
	s_and_saveexec_b64 s[0:1], s[2:3]
	s_cbranch_execz .LBB366_83
; %bb.82:
	v_mov_b32_e32 v31, 0
	v_lshl_add_u64 v[18:19], v[22:23], 0, v[30:31]
	global_load_ushort v18, v[18:19], off offset:32
	s_waitcnt vmcnt(0)
	v_lshlrev_b32_e32 v18, 16, v18
	v_sub_f32_e32 v18, v18, v20
	v_mul_f32_e32 v18, v39, v18
	v_lshrrev_b32_e32 v28, 16, v18
.LBB366_83:
	s_or_b64 exec, exec, s[0:1]
	v_or_b32_e32 v19, 0xb000, v42
	v_or_b32_e32 v18, 0xb000, v43
	s_and_saveexec_b64 s[0:1], s[4:5]
	s_cbranch_execz .LBB366_85
; %bb.84:
	v_mov_b32_e32 v27, 0
	v_lshl_add_u64 v[22:23], v[22:23], 0, v[26:27]
	global_load_ushort v20, v[22:23], off offset:32
	s_waitcnt vmcnt(0)
	v_lshlrev_b32_e32 v20, 16, v20
	v_sub_f32_e32 v20, v20, v21
	v_mul_f32_e32 v20, v33, v20
	v_lshrrev_b32_e32 v24, 16, v20
.LBB366_85:
	s_or_b64 exec, exec, s[0:1]
	s_mov_b32 s0, 0x5040100
	v_or_b32_e32 v22, v35, v37
	v_perm_b32 v21, v24, v28, s0
	v_perm_b32 v20, v29, v25, s0
	v_lshlrev_b32_e32 v22, 1, v22
	s_movk_i32 s0, 0x100
	ds_write_b64 v22, v[20:21] offset:45056
	v_and_b32_e32 v20, 7, v0
	v_and_b32_e32 v21, 8, v0
	v_cmp_gt_u32_e32 vcc, s0, v0
	v_lshrrev_b32_e32 v0, 1, v0
	v_lshlrev_b32_e32 v35, 3, v20
	v_lshlrev_b32_e32 v36, 7, v20
	v_mov_b32_e32 v20, 0x4000
	v_mov_b32_e32 v22, 0x2000
	v_lshlrev_b32_e32 v38, 3, v56
	v_and_b32_e32 v0, 24, v0
	v_cndmask_b32_e32 v37, v20, v22, vcc
	v_xor_b32_e32 v20, v38, v0
	v_or_b32_e32 v26, 32, v0
	v_or_b32_e32 v22, 0x440, v20
	v_cmp_eq_u32_e32 vcc, 0, v21
	v_xor_b32_e32 v26, v38, v26
	v_or_b32_e32 v27, 0x440, v26
	v_cndmask_b32_e32 v20, v22, v20, vcc
	v_or_b32_e32 v20, v20, v41
	v_cndmask_b32_e32 v26, v27, v26, vcc
	v_xad_u32 v40, v20, v35, v36
	v_or_b32_e32 v26, v26, v41
	v_add_u32_e32 v20, v37, v40
	v_xad_u32 v42, v26, v35, v36
	s_waitcnt lgkmcnt(0)
	s_barrier
	ds_read_b64 v[24:25], v20
	ds_read2_b64 v[20:23], v19 offset1:16
	v_add_u32_e32 v26, v37, v42
	ds_read_b64 v[32:33], v26
	s_waitcnt lgkmcnt(1)
	v_mfma_f32_16x16x16_bf16 a[0:3], v[24:25], v[20:21], 0
	ds_read2st64_b64 v[28:31], v18 offset0:2 offset1:4
	v_mfma_f32_16x16x16_bf16 a[4:7], v[24:25], v[22:23], 0
	ds_read2st64_b64 v[24:27], v19 offset0:2 offset1:4
	s_waitcnt lgkmcnt(0)
	v_mfma_f32_16x16x16_bf16 a[0:3], v[32:33], v[24:25], a[0:3]
	v_mfma_f32_16x16x16_bf16 a[4:7], v[32:33], v[28:29], a[4:7]
	v_or_b32_e32 v32, 64, v0
	v_xor_b32_e32 v32, v38, v32
	v_xor_b32_e32 v33, 0x440, v32
	v_cndmask_b32_e32 v32, v33, v32, vcc
	v_or_b32_e32 v32, v32, v41
	v_or_b32_e32 v0, 0x60, v0
	v_xad_u32 v43, v32, v35, v36
	v_xor_b32_e32 v0, v38, v0
	v_add_u32_e32 v32, v37, v43
	v_xor_b32_e32 v38, 0x440, v0
	ds_read_b64 v[32:33], v32
	v_cndmask_b32_e32 v0, v38, v0, vcc
	v_or_b32_e32 v0, v0, v41
	v_xad_u32 v0, v0, v35, v36
	v_add_u32_e32 v35, v37, v0
	ds_read_b64 v[36:37], v35
	s_waitcnt lgkmcnt(1)
	v_mfma_f32_16x16x16_bf16 a[0:3], v[32:33], v[26:27], a[0:3]
	v_mov_b32_e32 v35, 0x3fb8aa3b
	v_mfma_f32_16x16x16_bf16 a[4:7], v[32:33], v[30:31], a[4:7]
	ds_read_b64 v[32:33], v19 offset:3072
	ds_read_b64 v[38:39], v18 offset:3072
	;; [unrolled: 1-line block ×3, first 2 shown]
	s_waitcnt lgkmcnt(2)
	v_mfma_f32_16x16x16_bf16 a[0:3], v[36:37], v[32:33], a[0:3]
	s_waitcnt lgkmcnt(1)
	v_mfma_f32_16x16x16_bf16 a[4:7], v[36:37], v[38:39], a[4:7]
	ds_read_b64 v[36:37], v42 offset:16384
	s_waitcnt lgkmcnt(1)
	v_mfma_f32_16x16x16_bf16 a[8:11], v[18:19], v[20:21], 0
	v_mul_f32_e32 v20, s16, v35
	v_exp_f32_e32 v35, v20
	v_accvgpr_read_b32 v21, a3
	v_mfma_f32_16x16x16_bf16 a[12:15], v[18:19], v[22:23], 0
	ds_read_b64 v[22:23], v43 offset:16384
	v_accvgpr_read_b32 v18, a0
	v_fma_f32 v18, v2, v35, v18
	v_accvgpr_read_b32 v2, a1
	v_fma_f32 v19, v3, v35, v2
	;; [unrolled: 2-line block ×3, first 2 shown]
	ds_read_b64 v[2:3], v0 offset:16384
	s_waitcnt lgkmcnt(2)
	v_mfma_f32_16x16x16_bf16 a[8:11], v[36:37], v[24:25], a[8:11]
	v_accvgpr_read_b32 v0, a4
	v_fmac_f32_e32 v21, v5, v35
	v_mfma_f32_16x16x16_bf16 a[12:15], v[36:37], v[28:29], a[12:15]
	v_accvgpr_read_b32 v29, a7
	v_fmac_f32_e32 v29, v13, v35
	s_waitcnt lgkmcnt(1)
	v_mfma_f32_16x16x16_bf16 a[0:3], v[22:23], v[26:27], a[8:11]
	v_fma_f32 v26, v10, v35, v0
	v_accvgpr_read_b32 v0, a5
	v_fma_f32 v27, v11, v35, v0
	v_mfma_f32_16x16x16_bf16 a[8:11], v[22:23], v[30:31], a[12:15]
	v_accvgpr_read_b32 v0, a6
	v_fma_f32 v28, v12, v35, v0
	s_waitcnt lgkmcnt(0)
	v_mfma_f32_16x16x16_bf16 a[0:3], v[2:3], v[32:33], a[0:3]
	v_mfma_f32_16x16x16_bf16 a[4:7], v[2:3], v[38:39], a[8:11]
	s_nop 5
	v_accvgpr_read_b32 v0, a0
	v_fma_f32 v22, v6, v35, v0
	v_accvgpr_read_b32 v0, a1
	v_fma_f32 v23, v7, v35, v0
	;; [unrolled: 2-line block ×4, first 2 shown]
	v_accvgpr_read_b32 v0, a5
	v_accvgpr_read_b32 v25, a3
	v_fma_f32 v31, v15, v35, v0
	v_accvgpr_read_b32 v0, a6
	v_accvgpr_read_b32 v33, a7
	v_fmac_f32_e32 v25, v9, v35
	v_fma_f32 v32, v16, v35, v0
	v_fmac_f32_e32 v33, v17, v35
	v_mov_b64_e32 v[2:3], v[18:19]
	v_mov_b64_e32 v[4:5], v[20:21]
	;; [unrolled: 1-line block ×8, first 2 shown]
	v_mov_b32_e32 v18, v34
.LBB366_86:
	s_lshl_b64 s[0:1], s[8:9], 15
	s_waitcnt lgkmcnt(0)
	s_add_u32 s0, s34, s0
	v_lshlrev_b32_e32 v18, 7, v18
	s_addc_u32 s1, s35, s1
	v_ashrrev_i32_e32 v19, 31, v18
	v_lshl_add_u64 v[20:21], v[18:19], 1, s[0:1]
	v_lshlrev_b32_e32 v0, 1, v1
	v_mov_b32_e32 v1, 0
	s_mov_b32 s2, 0x7060302
	v_lshl_add_u64 v[20:21], v[20:21], 0, v[0:1]
	v_perm_b32 v5, v5, v4, s2
	v_perm_b32 v4, v3, v2, s2
	;; [unrolled: 1-line block ×4, first 2 shown]
	global_store_dwordx2 v[20:21], v[2:3], off offset:128
	v_or_b32_e32 v2, 0x800, v18
	v_ashrrev_i32_e32 v3, 31, v2
	v_lshl_add_u64 v[2:3], v[2:3], 1, s[0:1]
	v_lshl_add_u64 v[0:1], v[2:3], 0, v[0:1]
	v_perm_b32 v3, v13, v12, s2
	v_perm_b32 v2, v11, v10, s2
	global_store_dwordx2 v[0:1], v[2:3], off
	v_perm_b32 v3, v17, v16, s2
	v_perm_b32 v2, v15, v14, s2
	global_store_dwordx2 v[20:21], v[4:5], off
	global_store_dwordx2 v[0:1], v[2:3], off offset:128
	s_endpgm
	.section	.rodata,"a",@progbits
	.p2align	6, 0x0
	.amdhsa_kernel _ZN12_GLOBAL__N_139chunk_gated_delta_rule_fwd_h_hip_kernelILi32ELb0ELb1ELb0ELb0ELb0ELb0ELb1ELb1EEEvPK12hip_bfloat16S3_S3_PKfS5_PKvPS1_S8_PvPKiSB_iiiiilll
		.amdhsa_group_segment_fixed_size 49152
		.amdhsa_private_segment_fixed_size 0
		.amdhsa_kernarg_size 136
		.amdhsa_user_sgpr_count 2
		.amdhsa_user_sgpr_dispatch_ptr 0
		.amdhsa_user_sgpr_queue_ptr 0
		.amdhsa_user_sgpr_kernarg_segment_ptr 1
		.amdhsa_user_sgpr_dispatch_id 0
		.amdhsa_user_sgpr_kernarg_preload_length 0
		.amdhsa_user_sgpr_kernarg_preload_offset 0
		.amdhsa_user_sgpr_private_segment_size 0
		.amdhsa_uses_dynamic_stack 0
		.amdhsa_enable_private_segment 0
		.amdhsa_system_sgpr_workgroup_id_x 1
		.amdhsa_system_sgpr_workgroup_id_y 1
		.amdhsa_system_sgpr_workgroup_id_z 0
		.amdhsa_system_sgpr_workgroup_info 0
		.amdhsa_system_vgpr_workitem_id 0
		.amdhsa_next_free_vgpr 148
		.amdhsa_next_free_sgpr 64
		.amdhsa_accum_offset 132
		.amdhsa_reserve_vcc 1
		.amdhsa_float_round_mode_32 0
		.amdhsa_float_round_mode_16_64 0
		.amdhsa_float_denorm_mode_32 3
		.amdhsa_float_denorm_mode_16_64 3
		.amdhsa_dx10_clamp 1
		.amdhsa_ieee_mode 1
		.amdhsa_fp16_overflow 0
		.amdhsa_tg_split 0
		.amdhsa_exception_fp_ieee_invalid_op 0
		.amdhsa_exception_fp_denorm_src 0
		.amdhsa_exception_fp_ieee_div_zero 0
		.amdhsa_exception_fp_ieee_overflow 0
		.amdhsa_exception_fp_ieee_underflow 0
		.amdhsa_exception_fp_ieee_inexact 0
		.amdhsa_exception_int_div_zero 0
	.end_amdhsa_kernel
	.section	.text._ZN12_GLOBAL__N_139chunk_gated_delta_rule_fwd_h_hip_kernelILi32ELb0ELb1ELb0ELb0ELb0ELb0ELb1ELb1EEEvPK12hip_bfloat16S3_S3_PKfS5_PKvPS1_S8_PvPKiSB_iiiiilll,"axG",@progbits,_ZN12_GLOBAL__N_139chunk_gated_delta_rule_fwd_h_hip_kernelILi32ELb0ELb1ELb0ELb0ELb0ELb0ELb1ELb1EEEvPK12hip_bfloat16S3_S3_PKfS5_PKvPS1_S8_PvPKiSB_iiiiilll,comdat
.Lfunc_end366:
	.size	_ZN12_GLOBAL__N_139chunk_gated_delta_rule_fwd_h_hip_kernelILi32ELb0ELb1ELb0ELb0ELb0ELb0ELb1ELb1EEEvPK12hip_bfloat16S3_S3_PKfS5_PKvPS1_S8_PvPKiSB_iiiiilll, .Lfunc_end366-_ZN12_GLOBAL__N_139chunk_gated_delta_rule_fwd_h_hip_kernelILi32ELb0ELb1ELb0ELb0ELb0ELb0ELb1ELb1EEEvPK12hip_bfloat16S3_S3_PKfS5_PKvPS1_S8_PvPKiSB_iiiiilll
                                        ; -- End function
	.section	.AMDGPU.csdata,"",@progbits
; Kernel info:
; codeLenInByte = 9524
; NumSgprs: 70
; NumVgprs: 132
; NumAgprs: 16
; TotalNumVgprs: 148
; ScratchSize: 0
; MemoryBound: 0
; FloatMode: 240
; IeeeMode: 1
; LDSByteSize: 49152 bytes/workgroup (compile time only)
; SGPRBlocks: 8
; VGPRBlocks: 18
; NumSGPRsForWavesPerEU: 70
; NumVGPRsForWavesPerEU: 148
; AccumOffset: 132
; Occupancy: 1
; WaveLimiterHint : 1
; COMPUTE_PGM_RSRC2:SCRATCH_EN: 0
; COMPUTE_PGM_RSRC2:USER_SGPR: 2
; COMPUTE_PGM_RSRC2:TRAP_HANDLER: 0
; COMPUTE_PGM_RSRC2:TGID_X_EN: 1
; COMPUTE_PGM_RSRC2:TGID_Y_EN: 1
; COMPUTE_PGM_RSRC2:TGID_Z_EN: 0
; COMPUTE_PGM_RSRC2:TIDIG_COMP_CNT: 0
; COMPUTE_PGM_RSRC3_GFX90A:ACCUM_OFFSET: 32
; COMPUTE_PGM_RSRC3_GFX90A:TG_SPLIT: 0
	.section	.text._ZN12_GLOBAL__N_139chunk_gated_delta_rule_fwd_h_hip_kernelILi32ELb0ELb0ELb1ELb0ELb0ELb0ELb1ELb1EEEvPK12hip_bfloat16S3_S3_PKfS5_PKvPS1_S8_PvPKiSB_iiiiilll,"axG",@progbits,_ZN12_GLOBAL__N_139chunk_gated_delta_rule_fwd_h_hip_kernelILi32ELb0ELb0ELb1ELb0ELb0ELb0ELb1ELb1EEEvPK12hip_bfloat16S3_S3_PKfS5_PKvPS1_S8_PvPKiSB_iiiiilll,comdat
	.globl	_ZN12_GLOBAL__N_139chunk_gated_delta_rule_fwd_h_hip_kernelILi32ELb0ELb0ELb1ELb0ELb0ELb0ELb1ELb1EEEvPK12hip_bfloat16S3_S3_PKfS5_PKvPS1_S8_PvPKiSB_iiiiilll ; -- Begin function _ZN12_GLOBAL__N_139chunk_gated_delta_rule_fwd_h_hip_kernelILi32ELb0ELb0ELb1ELb0ELb0ELb0ELb1ELb1EEEvPK12hip_bfloat16S3_S3_PKfS5_PKvPS1_S8_PvPKiSB_iiiiilll
	.p2align	8
	.type	_ZN12_GLOBAL__N_139chunk_gated_delta_rule_fwd_h_hip_kernelILi32ELb0ELb0ELb1ELb0ELb0ELb0ELb1ELb1EEEvPK12hip_bfloat16S3_S3_PKfS5_PKvPS1_S8_PvPKiSB_iiiiilll,@function
_ZN12_GLOBAL__N_139chunk_gated_delta_rule_fwd_h_hip_kernelILi32ELb0ELb0ELb1ELb0ELb0ELb0ELb1ELb1EEEvPK12hip_bfloat16S3_S3_PKfS5_PKvPS1_S8_PvPKiSB_iiiiilll: ; @_ZN12_GLOBAL__N_139chunk_gated_delta_rule_fwd_h_hip_kernelILi32ELb0ELb0ELb1ELb0ELb0ELb0ELb1ELb1EEEvPK12hip_bfloat16S3_S3_PKfS5_PKvPS1_S8_PvPKiSB_iiiiilll
; %bb.0:
	s_load_dwordx4 s[16:19], s[0:1], 0x5c
	s_load_dwordx4 s[12:15], s[0:1], 0x30
	s_abs_i32 s22, s3
	s_ashr_i32 s21, s3, 31
	s_load_dwordx8 s[4:11], s[0:1], 0x0
	s_waitcnt lgkmcnt(0)
	s_abs_i32 s20, s17
	v_cvt_f32_u32_e32 v1, s20
	s_sub_i32 s24, 0, s20
	s_ashr_i32 s23, s17, 31
	s_xor_b32 s21, s21, s23
	v_rcp_iflag_f32_e32 v1, v1
	v_lshrrev_b32_e32 v44, 6, v0
	v_bfe_u32 v45, v0, 4, 2
	v_lshlrev_b32_e32 v2, 2, v45
	v_mul_f32_e32 v1, 0x4f7ffffe, v1
	v_cvt_u32_f32_e32 v1, v1
	v_and_b32_e32 v43, 63, v0
	v_and_b32_e32 v42, 15, v0
	v_mov_b32_e32 v3, 0
	v_readfirstlane_b32 s25, v1
	s_mul_i32 s24, s24, s25
	s_mul_hi_u32 s24, s25, s24
	s_add_i32 s25, s25, s24
	s_mul_hi_u32 s24, s22, s25
	s_mul_i32 s25, s24, s20
	s_sub_i32 s22, s22, s25
	s_add_i32 s26, s24, 1
	s_sub_i32 s25, s22, s20
	s_cmp_ge_u32 s22, s20
	s_cselect_b32 s24, s26, s24
	s_cselect_b32 s22, s25, s22
	s_add_i32 s25, s24, 1
	s_cmp_ge_u32 s22, s20
	s_cselect_b32 s22, s25, s24
	s_xor_b32 s22, s22, s21
	s_sub_i32 s47, s22, s21
	s_abs_i32 s21, s18
	v_cvt_f32_u32_e32 v1, s21
	s_add_i32 s24, s16, 63
	s_mul_i32 s45, s47, s17
	s_sub_i32 s33, s3, s45
	v_rcp_iflag_f32_e32 v1, v1
	s_ashr_i32 s3, s24, 31
	s_ashr_i32 s46, s16, 31
	s_lshr_b32 s3, s3, 26
	v_mul_f32_e32 v1, 0x4f7ffffe, v1
	v_cvt_u32_f32_e32 v1, v1
	s_lshr_b32 s22, s46, 26
	s_add_i32 s24, s24, s3
	s_add_i32 s22, s16, s22
	s_ashr_i32 s49, s18, 31
	s_ashr_i32 s3, s24, 6
	;; [unrolled: 1-line block ×3, first 2 shown]
	s_xor_b32 s22, s23, s49
	s_sub_i32 s23, 0, s21
	v_readfirstlane_b32 s24, v1
	s_mul_i32 s23, s23, s24
	s_mul_hi_u32 s23, s24, s23
	s_add_i32 s24, s24, s23
	s_mul_hi_u32 s23, s20, s24
	s_mul_i32 s24, s23, s21
	s_sub_i32 s20, s20, s24
	s_add_i32 s24, s23, 1
	s_sub_i32 s25, s20, s21
	s_cmp_ge_u32 s20, s21
	s_cselect_b32 s23, s24, s23
	s_cselect_b32 s20, s25, s20
	s_add_i32 s24, s23, 1
	s_cmp_ge_u32 s20, s21
	s_cselect_b32 s20, s24, s23
	s_xor_b32 s20, s20, s22
	s_sub_i32 s24, s20, s22
	s_abs_i32 s25, s24
	v_cvt_f32_u32_e32 v1, s25
	s_load_dwordx2 s[34:35], s[0:1], 0x80
	s_load_dwordx4 s[20:23], s[0:1], 0x70
	s_xor_b32 s0, s33, s24
	s_sub_i32 s24, 0, s25
	v_rcp_iflag_f32_e32 v1, v1
	s_abs_i32 s1, s33
	s_ashr_i32 s0, s0, 31
	s_mul_i32 s50, s47, s3
	v_mul_f32_e32 v1, 0x4f7ffffe, v1
	v_cvt_u32_f32_e32 v1, v1
	s_mul_hi_i32 s51, s47, s17
	v_lshrrev_b32_e32 v47, 3, v43
	v_lshlrev_b32_e32 v46, 3, v0
	v_readfirstlane_b32 s26, v1
	s_mul_i32 s24, s24, s26
	s_mul_hi_u32 s24, s26, s24
	s_add_i32 s26, s26, s24
	s_mul_hi_u32 s24, s1, s26
	s_mul_i32 s26, s24, s25
	s_sub_i32 s1, s1, s26
	s_add_i32 s26, s24, 1
	s_sub_i32 s27, s1, s25
	s_cmp_ge_u32 s1, s25
	s_cselect_b32 s24, s26, s24
	s_cselect_b32 s1, s27, s1
	s_add_i32 s26, s24, 1
	s_cmp_ge_u32 s1, s25
	s_cselect_b32 s1, s26, s24
	s_xor_b32 s1, s1, s0
	v_lshlrev_b32_e32 v1, 4, v44
	s_sub_i32 s52, s1, s0
	v_or_b32_e32 v48, v2, v1
	s_lshl_b32 s36, s2, 5
	v_or_b32_e32 v49, 64, v48
	s_cmp_lt_i32 s16, 64
	s_waitcnt lgkmcnt(0)
	s_mul_i32 s21, s47, s21
	s_mul_hi_u32 s44, s47, s20
	s_mul_i32 s38, s47, s20
	v_mov_b32_e32 v64, 0
	v_mov_b32_e32 v62, 0
	;; [unrolled: 1-line block ×15, first 2 shown]
	s_cbranch_scc1 .LBB367_18
; %bb.1:
	s_ashr_i32 s28, s47, 31
	s_ashr_i32 s54, s33, 31
	s_add_u32 s0, s45, s33
	s_addc_u32 s1, s51, s54
	s_mul_i32 s1, s16, s1
	s_mul_hi_u32 s2, s16, s0
	s_add_i32 s3, s2, s1
	s_mul_i32 s2, s16, s0
	s_lshl_b64 s[0:1], s[2:3], 8
	v_and_b32_e32 v51, 56, v46
	s_add_u32 s24, s6, s0
	v_lshl_or_b32 v50, v44, 3, v47
	v_lshlrev_b32_e32 v3, 1, v51
	s_addc_u32 s0, s7, s1
	v_lshl_or_b32 v52, v50, 8, v3
	s_and_b32 s25, s0, 0xffff
	s_mov_b32 s27, 0x20000
	s_movk_i32 s26, 0x4000
	s_movk_i32 s0, 0x80
	v_or_b32_e32 v53, 0x2000, v52
	buffer_load_dwordx4 v[4:7], v52, s[24:27], 0 offen
	buffer_load_dwordx4 v[8:11], v52, s[24:27], s0 offen
	;; [unrolled: 1-line block ×4, first 2 shown]
	v_lshlrev_b32_e32 v20, 3, v50
	v_and_or_b32 v22, v0, 7, v20
	v_and_b32_e32 v20, 0x78, v20
	v_lshlrev_b32_e32 v22, 4, v22
	v_xor_b32_e32 v54, v22, v20
	v_mul_lo_u32 v21, v50, s19
	v_or_b32_e32 v55, 0x1000, v54
	s_cmpk_eq_i32 s19, 0x80
	s_mov_b32 s53, s18
	v_xor_b32_e32 v20, 8, v54
	v_xor_b32_e32 v22, 8, v55
	s_cselect_b64 s[0:1], -1, 0
	s_cmpk_lg_i32 s19, 0x80
	s_waitcnt vmcnt(3)
	ds_write_b64 v54, v[4:5] offset:24576
	ds_write_b64 v20, v[6:7] offset:24576
	s_waitcnt vmcnt(2)
	ds_write_b64 v54, v[8:9] offset:32768
	ds_write_b64 v20, v[10:11] offset:32768
	;; [unrolled: 3-line block ×4, first 2 shown]
	v_lshl_add_u32 v4, v21, 1, v51
	s_cbranch_scc0 .LBB367_3
; %bb.2:
	v_lshlrev_b32_e32 v6, 1, v4
	v_add_lshl_u32 v5, v4, s19, 1
	s_lshl_b32 s26, s19, 7
	v_lshl_or_b32 v3, v50, 9, v3
	s_cbranch_execz .LBB367_4
	s_branch .LBB367_5
.LBB367_3:
                                        ; implicit-def: $vgpr5
                                        ; implicit-def: $vgpr6
                                        ; implicit-def: $sgpr26
	v_lshl_or_b32 v3, v50, 9, v3
.LBB367_4:
	v_or_b32_e32 v5, 0x100, v3
	s_movk_i32 s26, 0x4000
	v_mov_b32_e32 v6, v3
.LBB367_5:
	s_mul_hi_u32 s24, s18, s16
	s_mul_i32 s25, s49, s16
	s_add_i32 s24, s24, s25
	s_mul_i32 s25, s18, s16
	s_mul_i32 s27, s25, s28
	s_mul_hi_u32 s29, s25, s47
	s_add_i32 s27, s29, s27
	s_mul_i32 s24, s24, s47
	s_add_i32 s27, s27, s24
	s_mul_i32 s25, s25, s47
	s_ashr_i32 s55, s52, 31
	s_add_u32 s24, s25, s52
	s_addc_u32 s25, s27, s55
	s_lshl_b64 s[24:25], s[24:25], 8
	s_add_u32 s24, s4, s24
	s_addc_u32 s25, s5, s25
	s_and_b32 s25, s25, 0xffff
	s_mov_b32 s27, 0x20000
	s_movk_i32 s56, 0x80
	buffer_load_dwordx4 v[8:11], v6, s[24:27], 0 offen
	buffer_load_dwordx4 v[12:15], v6, s[24:27], s56 offen
	;; [unrolled: 1-line block ×4, first 2 shown]
	v_and_b32_e32 v5, 6, v0
	v_lshlrev_b32_e32 v24, 6, v48
	v_or_b32_e32 v26, 16, v42
	v_xor_b32_e32 v27, v50, v5
	v_and_b32_e32 v6, 1, v0
	s_mul_i32 s24, s28, s16
	s_mul_hi_u32 s25, s47, s16
	v_lshl_or_b32 v30, v42, 3, v24
	v_lshl_or_b32 v24, v26, 3, v24
	v_lshlrev_b32_e32 v27, 2, v27
	v_lshlrev_b32_e32 v7, 2, v42
	v_or_b32_e32 v58, 0xa000, v24
	v_or_b32_e32 v59, 0xb000, v24
	v_xor_b32_e32 v24, 0x440, v27
	v_cmp_eq_u32_e32 vcc, 0, v6
	s_add_i32 s61, s25, s24
	s_add_i32 s24, s44, s21
	s_mul_i32 s28, s28, s20
	v_xor_b32_e32 v28, v48, v7
	v_xor_b32_e32 v29, v49, v7
	v_cndmask_b32_e32 v6, v24, v27, vcc
	s_add_i32 s39, s24, s28
	s_mul_i32 s24, s33, s23
	s_mul_hi_u32 s25, s33, s22
	s_mov_b32 s58, 0x1000504
	v_lshlrev_b32_e32 v25, 8, v42
	v_lshlrev_b32_e32 v28, 1, v28
	;; [unrolled: 1-line block ×3, first 2 shown]
	v_lshl_or_b32 v5, v5, 10, v6
	s_add_i32 s24, s25, s24
	s_mul_i32 s25, s54, s22
	s_mov_b32 s59, 0x3020706
	v_or_b32_e32 v56, 0xa000, v30
	v_or_b32_e32 v57, 0xb000, v30
	;; [unrolled: 1-line block ×4, first 2 shown]
	v_xor_b32_e32 v6, 8, v5
	v_xor_b32_e32 v25, 24, v5
	;; [unrolled: 1-line block ×4, first 2 shown]
	s_add_i32 s25, s24, s25
	s_lshl_b64 s[28:29], s[38:39], 2
	v_xor_b32_e32 v24, 16, v5
	v_xor_b32_e32 v27, 32, v5
	;; [unrolled: 1-line block ×3, first 2 shown]
	v_add_u32_e32 v6, 0x80, v6
	v_add_u32_e32 v25, 0x80, v25
	;; [unrolled: 1-line block ×4, first 2 shown]
	s_mul_i32 s24, s33, s22
	s_add_u32 s26, s10, s28
	s_addc_u32 s28, s11, s29
	s_lshl_b64 s[24:25], s[24:25], 2
	s_add_u32 s40, s26, s24
	s_movk_i32 s24, 0xf8
	s_addc_u32 s41, s28, s25
	s_ashr_i32 s37, s36, 31
	s_lshl_b32 s30, s19, 7
	s_movk_i32 s28, 0x100
	v_mov_b32_e32 v35, 0
	v_cmp_gt_u32_e32 vcc, s28, v0
	s_mov_b32 s57, 0
	s_mul_i32 s60, s47, s16
	s_movk_i32 s39, 0x1000
	s_movk_i32 s26, 0x4000
	v_add_u32_e32 v93, v1, v2
	v_mov_b32_e32 v94, 0x3fb8aa3b
	s_mov_b32 s63, 0
	v_mov_b32_e32 v74, v35
	v_mov_b32_e32 v73, v35
	;; [unrolled: 1-line block ×10, first 2 shown]
	s_waitcnt vmcnt(1)
	v_perm_b32 v33, v8, v16, s58
	s_waitcnt vmcnt(0)
	v_perm_b32 v34, v12, v20, s58
	v_perm_b32 v8, v8, v16, s59
	;; [unrolled: 1-line block ×15, first 2 shown]
	ds_write2st64_b32 v5, v33, v34 offset0:32 offset1:64
	ds_write2st64_b32 v6, v8, v12 offset0:32 offset1:64
	;; [unrolled: 1-line block ×8, first 2 shown]
	v_lshlrev_b32_e32 v5, 8, v26
	v_or_b32_e32 v68, v5, v28
	v_or_b32_e32 v69, v5, v29
	v_or_b32_e32 v5, v1, v42
	v_lshlrev_b32_e32 v5, 3, v5
	v_lshrrev_b32_e32 v8, 5, v43
	v_and_or_b32 v8, v5, s24, v8
	v_lshlrev_b32_e32 v8, 4, v8
	v_lshlrev_b32_e32 v9, 11, v44
	v_and_b32_e32 v5, 0x78, v5
	v_or_b32_e32 v13, 32, v8
	v_and_b32_e32 v6, 0x1000, v9
	v_lshrrev_b32_e32 v11, 1, v0
	v_xor_b32_e32 v13, v13, v5
	v_and_b32_e32 v12, 8, v11
	v_or_b32_e32 v13, v13, v6
	v_xor_b32_e32 v10, v8, v5
	v_xor_b32_e32 v78, v13, v12
	v_or_b32_e32 v13, 64, v8
	v_or_b32_e32 v8, 0x60, v8
	v_xor_b32_e32 v13, v13, v5
	v_xor_b32_e32 v5, v8, v5
	v_or_b32_e32 v10, v10, v6
	v_or_b32_e32 v13, v13, v6
	;; [unrolled: 1-line block ×3, first 2 shown]
	s_lshl_b64 s[24:25], s[36:37], 8
	v_xor_b32_e32 v76, v10, v12
	v_xor_b32_e32 v80, v13, v12
	;; [unrolled: 1-line block ×3, first 2 shown]
	v_lshlrev_b32_e32 v12, 1, v4
	v_add_lshl_u32 v13, v4, s19, 1
	s_add_u32 s24, s12, s24
	v_lshlrev_b32_e32 v4, 1, v42
	v_lshrrev_b32_e32 v15, 4, v0
	s_addc_u32 s25, s13, s25
	v_or_b32_e32 v5, 1, v4
	v_lshlrev_b32_e32 v34, 4, v42
	v_mov_b32_e32 v19, 0x4000
	v_mov_b32_e32 v20, 0x2000
	v_xor_b32_e32 v16, v15, v4
	v_xor_b32_e32 v17, v5, v15
	v_lshl_add_u64 v[4:5], s[24:25], 0, v[34:35]
	v_lshlrev_b32_e32 v34, 8, v15
	v_cndmask_b32_e32 v19, v19, v20, vcc
	v_lshlrev_b32_e32 v20, 3, v44
	v_and_b32_e32 v11, 24, v11
	v_lshl_or_b32 v84, v16, 3, v34
	v_and_b32_e32 v16, 8, v0
	v_xor_b32_e32 v21, v20, v11
	v_or_b32_e32 v22, 0x440, v21
	v_cmp_eq_u32_e32 vcc, 0, v16
	v_and_b32_e32 v15, 7, v0
	v_lshlrev_b32_e32 v10, 7, v45
	v_cndmask_b32_e32 v16, v22, v21, vcc
	v_lshl_or_b32 v85, v17, 3, v34
	v_lshlrev_b32_e32 v17, 3, v15
	v_lshlrev_b32_e32 v15, 7, v15
	;; [unrolled: 1-line block ×3, first 2 shown]
	v_or_b32_e32 v16, v16, v9
	v_or_b32_e32 v7, v10, v7
	v_xad_u32 v86, v16, v17, v15
	v_and_or_b32 v10, v18, 60, v10
	v_mov_b32_e32 v16, 0xb000
	v_lshl_or_b32 v87, v10, 1, v16
	v_or_b32_e32 v10, 32, v11
	v_xor_b32_e32 v10, v20, v10
	v_or_b32_e32 v16, 0x440, v10
	v_cndmask_b32_e32 v10, v16, v10, vcc
	v_or_b32_e32 v10, v10, v9
	v_xad_u32 v88, v10, v17, v15
	v_or_b32_e32 v10, 64, v11
	v_xor_b32_e32 v10, v20, v10
	v_xor_b32_e32 v16, 0x440, v10
	v_cndmask_b32_e32 v10, v16, v10, vcc
	v_or_b32_e32 v10, v10, v9
	v_xad_u32 v89, v10, v17, v15
	v_or_b32_e32 v10, 0x60, v11
	v_xor_b32_e32 v10, v20, v10
	v_xor_b32_e32 v11, 0x440, v10
	v_lshlrev_b32_e32 v7, 1, v7
	v_or_b32_e32 v6, s36, v42
	v_cndmask_b32_e32 v10, v11, v10, vcc
	v_or_b32_e32 v77, 0xa000, v7
	v_or_b32_e32 v79, 0xa080, v7
	v_or_b32_e32 v82, 0xb000, v7
	v_or_b32_e32 v83, 0xb080, v7
	v_ashrrev_i32_e32 v7, 31, v6
	v_or_b32_e32 v9, v10, v9
	v_lshlrev_b32_e32 v8, 7, v48
	v_or_b32_e32 v14, 0x100, v3
	v_xad_u32 v90, v9, v17, v15
	v_lshlrev_b64 v[6:7], 1, v[6:7]
	v_cndmask_b32_e64 v91, v12, v3, s[0:1]
	v_cndmask_b32_e64 v92, v13, v14, s[0:1]
	v_lshl_add_u64 v[36:37], s[8:9], 0, v[6:7]
	v_lshl_add_u64 v[38:39], s[14:15], 0, v[6:7]
	;; [unrolled: 1-line block ×3, first 2 shown]
	s_mov_b32 s37, 0x7060302
	v_lshlrev_b32_e32 v34, 1, v8
	v_add_u32_e32 v95, v19, v86
	v_add_u32_e32 v96, v19, v88
	;; [unrolled: 1-line block ×4, first 2 shown]
	v_mov_b32_e32 v67, v35
	v_mov_b32_e32 v102, v35
	;; [unrolled: 1-line block ×6, first 2 shown]
	s_waitcnt lgkmcnt(0)
	s_barrier
.LBB367_6:                              ; =>This Inner Loop Header: Depth=1
	s_add_i32 s62, s63, 1
	s_cmp_lt_i32 s62, s48
	s_mov_b64 s[28:29], 0
	s_cselect_b64 s[42:43], -1, 0
	s_cmp_ge_i32 s62, s48
	s_mov_b64 s[24:25], 0
	s_cbranch_scc1 .LBB367_8
; %bb.7:                                ;   in Loop: Header=BB367_6 Depth=1
	s_add_i32 s0, s57, 64
	s_add_u32 s0, s2, s0
	s_addc_u32 s1, s3, 0
	s_lshl_b64 s[0:1], s[0:1], 8
	s_add_u32 s24, s6, s0
	s_addc_u32 s25, s7, s1
.LBB367_8:                              ;   in Loop: Header=BB367_6 Depth=1
	v_cndmask_b32_e64 v2, 0, 1, s[42:43]
	v_cmp_ne_u32_e64 s[0:1], 1, v2
	s_andn2_b64 vcc, exec, s[42:43]
	s_cbranch_vccnz .LBB367_10
; %bb.9:                                ;   in Loop: Header=BB367_6 Depth=1
	s_add_i32 s28, s57, 64
	s_add_u32 s28, s60, s28
	s_addc_u32 s29, s61, 0
	s_mul_i32 s31, s28, s49
	s_mul_hi_u32 s42, s28, s53
	s_add_i32 s31, s42, s31
	s_mul_i32 s29, s29, s53
	s_add_i32 s31, s31, s29
	s_mul_i32 s28, s28, s53
	s_add_u32 s28, s28, s52
	s_addc_u32 s29, s31, s55
	s_lshl_b64 s[28:29], s[28:29], 8
	s_add_u32 s28, s4, s28
	s_addc_u32 s29, s5, s29
.LBB367_10:                             ;   in Loop: Header=BB367_6 Depth=1
	v_perm_b32 v3, v101, v75, s37
	v_perm_b32 v2, v73, v74, s37
	;; [unrolled: 1-line block ×4, first 2 shown]
	ds_write_b64 v56, v[2:3]
	ds_write_b64 v57, v[4:5]
	;; [unrolled: 1-line block ×4, first 2 shown]
	v_perm_b32 v3, v102, v67, s37
	v_perm_b32 v2, v65, v66, s37
	v_perm_b32 v5, v100, v64, s37
	v_perm_b32 v4, v62, v63, s37
	ds_write_b64 v58, v[2:3]
	ds_write_b64 v59, v[4:5]
	;; [unrolled: 1-line block ×4, first 2 shown]
	s_waitcnt lgkmcnt(0)
	s_barrier
	ds_read_b64 v[6:7], v76 offset:24576
	ds_read2_b64 v[2:5], v77 offset1:16
	ds_read_b64 v[10:11], v79 offset:3072
	ds_read_b64 v[12:13], v77 offset:3072
	ds_read_b64 v[14:15], v78 offset:24576
	s_waitcnt lgkmcnt(3)
	v_mfma_f32_16x16x16_bf16 a[0:3], v[6:7], v[2:3], 0
	s_add_i32 s31, s57, 63
	s_mul_i32 s42, s31, s35
	s_mul_hi_u32 s43, s31, s34
	v_mfma_f32_16x16x16_bf16 a[4:7], v[6:7], v[4:5], 0
	ds_read2st64_b64 v[2:5], v77 offset0:2 offset1:4
	ds_read2st64_b64 v[6:9], v79 offset0:2 offset1:4
	s_add_i32 s43, s43, s42
	s_waitcnt lgkmcnt(1)
	v_mfma_f32_16x16x16_bf16 a[0:3], v[14:15], v[2:3], a[0:3]
	s_mul_i32 s42, s31, s34
	s_lshl_b64 s[42:43], s[42:43], 2
	s_add_u32 s42, s40, s42
	s_waitcnt lgkmcnt(0)
	v_mfma_f32_16x16x16_bf16 a[4:7], v[14:15], v[6:7], a[4:7]
	ds_read_b64 v[2:3], v80 offset:24576
	ds_read_b64 v[6:7], v81 offset:24576
	s_addc_u32 s43, s41, s43
	s_and_b64 vcc, exec, s[0:1]
	s_waitcnt lgkmcnt(1)
	v_mfma_f32_16x16x16_bf16 a[0:3], v[2:3], v[4:5], a[0:3]
	v_mov_b32_e32 v105, 0
	v_mov_b32_e32 v104, 0
	;; [unrolled: 1-line block ×3, first 2 shown]
	v_mfma_f32_16x16x16_bf16 a[8:11], v[2:3], v[8:9], a[4:7]
	v_mov_b32_e32 v2, 0
	v_mov_b32_e32 v3, 0
	;; [unrolled: 1-line block ×3, first 2 shown]
	s_waitcnt lgkmcnt(0)
	v_mfma_f32_16x16x16_bf16 a[4:7], v[6:7], v[12:13], a[0:3]
	v_mov_b32_e32 v5, 0
	v_mov_b32_e32 v8, 0
	;; [unrolled: 1-line block ×3, first 2 shown]
	v_mfma_f32_16x16x16_bf16 a[0:3], v[6:7], v[10:11], a[8:11]
	v_mov_b32_e32 v6, 0
	v_mov_b32_e32 v7, 0
	;; [unrolled: 1-line block ×10, first 2 shown]
	s_cbranch_vccnz .LBB367_12
; %bb.11:                               ;   in Loop: Header=BB367_6 Depth=1
	s_and_b32 s25, s25, 0xffff
	buffer_load_dwordx4 v[14:17], v52, s[24:27], 0 offen
	buffer_load_dwordx4 v[10:13], v52, s[24:27], s56 offen
	;; [unrolled: 1-line block ×4, first 2 shown]
	v_mov_b32_e32 v104, v54
	v_mov_b32_e32 v103, v55
.LBB367_12:                             ;   in Loop: Header=BB367_6 Depth=1
	s_waitcnt vmcnt(3)
	ds_read_b64 v[26:27], v76 offset:32768
	s_waitcnt vmcnt(2)
	ds_read2_b64 v[18:21], v82 offset1:16
	ds_read_b64 v[28:29], v78 offset:32768
	ds_read_b64 v[30:31], v80 offset:32768
	;; [unrolled: 1-line block ×3, first 2 shown]
	v_add_u32_e32 v106, s57, v93
	s_waitcnt lgkmcnt(3)
	v_mfma_f32_16x16x16_bf16 a[4:7], v[26:27], v[18:19], a[4:7]
	v_ashrrev_i32_e32 v18, 31, v106
	ds_read2st64_b64 v[22:25], v82 offset0:2 offset1:4
	v_mfma_f32_16x16x16_bf16 a[0:3], v[26:27], v[20:21], a[0:3]
	v_mul_lo_u32 v20, v18, s34
	v_mul_lo_u32 v21, v106, s35
	v_mad_u64_u32 v[18:19], s[24:25], v106, s34, 0
	v_add3_u32 v19, v19, v21, v20
	v_add_u32_e32 v20, 1, v106
	v_ashrrev_i32_e32 v21, 31, v20
	v_mul_lo_u32 v26, v21, s34
	v_mul_lo_u32 v27, v20, s35
	v_mad_u64_u32 v[20:21], s[24:25], v20, s34, 0
	v_add3_u32 v21, v21, v27, v26
	v_add_u32_e32 v26, 2, v106
	v_ashrrev_i32_e32 v27, 31, v26
	v_mul_lo_u32 v107, v27, s34
	v_mul_lo_u32 v108, v26, s35
	v_mad_u64_u32 v[26:27], s[24:25], v26, s34, 0
	v_add_u32_e32 v106, 3, v106
	v_add3_u32 v27, v27, v108, v107
	v_ashrrev_i32_e32 v107, 31, v106
	v_mul_lo_u32 v108, v107, s34
	v_mul_lo_u32 v109, v106, s35
	v_mad_u64_u32 v[106:107], s[24:25], v106, s34, 0
	s_add_u32 s24, s2, s57
	s_addc_u32 s25, s3, 0
	s_lshl_b64 s[64:65], s[24:25], 8
	v_lshl_add_u64 v[18:19], v[18:19], 2, s[40:41]
	v_lshl_add_u64 v[20:21], v[20:21], 2, s[40:41]
	v_add3_u32 v107, v107, v109, v108
	v_lshl_add_u64 v[108:109], v[36:37], 0, s[64:65]
	v_lshl_add_u64 v[26:27], v[26:27], 2, s[40:41]
	;; [unrolled: 1-line block ×3, first 2 shown]
	global_load_dword v110, v[18:19], off
	global_load_ushort v111, v[108:109], off offset:256
	global_load_ushort v112, v[108:109], off
	v_lshl_add_u64 v[18:19], v[106:107], 2, s[40:41]
	global_load_dword v106, v[20:21], off
	global_load_dword v107, v[26:27], off
	;; [unrolled: 1-line block ×3, first 2 shown]
	ds_read2st64_b64 v[18:21], v83 offset0:2 offset1:4
	global_load_ushort v114, v[108:109], off offset:768
	global_load_ushort v115, v[108:109], off offset:512
	;; [unrolled: 1-line block ×5, first 2 shown]
	s_nop 0
	global_load_ushort v108, v[108:109], off offset:32
	s_waitcnt lgkmcnt(1)
	v_mfma_f32_16x16x16_bf16 a[4:7], v[28:29], v[22:23], a[4:7]
	s_and_b64 vcc, exec, s[0:1]
	s_waitcnt vmcnt(10)
	v_lshlrev_b32_e32 v27, 16, v111
	s_waitcnt lgkmcnt(0)
	v_mfma_f32_16x16x16_bf16 a[0:3], v[28:29], v[18:19], a[0:3]
	s_waitcnt vmcnt(9)
	v_lshlrev_b32_e32 v26, 16, v112
	v_mfma_f32_16x16x16_bf16 a[4:7], v[30:31], v[24:25], a[4:7]
	v_mfma_f32_16x16x16_bf16 a[0:3], v[30:31], v[20:21], a[0:3]
	ds_read_b64 v[18:19], v82 offset:3072
	ds_read_b64 v[20:21], v83 offset:3072
	s_load_dword s24, s[42:43], 0x0
	s_waitcnt lgkmcnt(0)
	v_sub_f32_e32 v28, s24, v110
	v_mfma_f32_16x16x16_bf16 a[4:7], v[32:33], v[18:19], a[4:7]
	v_mul_f32_e32 v28, 0x3fb8aa3b, v28
	s_waitcnt vmcnt(8)
	v_sub_f32_e32 v29, s24, v106
	s_waitcnt vmcnt(7)
	v_sub_f32_e32 v30, s24, v107
	;; [unrolled: 2-line block ×3, first 2 shown]
	v_mfma_f32_16x16x16_bf16 a[0:3], v[32:33], v[20:21], a[0:3]
	v_lshl_add_u64 v[18:19], v[38:39], 0, s[64:65]
	v_lshl_add_u64 v[18:19], v[18:19], 0, v[34:35]
	v_accvgpr_read_b32 v25, a5
	v_accvgpr_read_b32 v24, a4
	v_pk_add_f32 v[24:25], v[26:27], v[24:25] neg_lo:[0,1] neg_hi:[0,1]
	v_exp_f32_e32 v26, v28
	v_mul_f32_e32 v27, 0x3fb8aa3b, v29
	v_mul_f32_e32 v28, 0x3fb8aa3b, v30
	v_mul_f32_e32 v29, 0x3fb8aa3b, v31
	v_exp_f32_e32 v27, v27
	v_exp_f32_e32 v28, v28
	;; [unrolled: 1-line block ×3, first 2 shown]
	v_accvgpr_read_b32 v21, a7
	v_accvgpr_read_b32 v20, a6
	s_waitcnt vmcnt(5)
	v_lshlrev_b32_e32 v31, 16, v114
	s_waitcnt vmcnt(4)
	v_lshlrev_b32_e32 v30, 16, v115
	v_pk_add_f32 v[20:21], v[30:31], v[20:21] neg_lo:[0,1] neg_hi:[0,1]
	global_store_short_d16_hi v[18:19], v24, off
	global_store_short_d16_hi v[18:19], v25, off offset:256
	global_store_short_d16_hi v[18:19], v20, off offset:512
	;; [unrolled: 1-line block ×3, first 2 shown]
	v_pk_mul_f32 v[24:25], v[26:27], v[24:25]
	v_pk_mul_f32 v[20:21], v[28:29], v[20:21]
	v_accvgpr_read_b32 v31, a1
	v_perm_b32 v21, v21, v20, s37
	v_perm_b32 v20, v25, v24, s37
	s_waitcnt vmcnt(5)
	v_lshlrev_b32_e32 v25, 16, v118
	s_waitcnt vmcnt(4)
	v_lshlrev_b32_e32 v24, 16, v108
	v_accvgpr_read_b32 v30, a0
	v_accvgpr_read_b32 v23, a3
	v_accvgpr_read_b32 v22, a2
	v_pk_add_f32 v[24:25], v[24:25], v[30:31] neg_lo:[0,1] neg_hi:[0,1]
	v_lshlrev_b32_e32 v31, 16, v116
	v_lshlrev_b32_e32 v30, 16, v117
	v_pk_add_f32 v[22:23], v[30:31], v[22:23] neg_lo:[0,1] neg_hi:[0,1]
	global_store_short_d16_hi v[18:19], v24, off offset:32
	global_store_short_d16_hi v[18:19], v25, off offset:288
	;; [unrolled: 1-line block ×4, first 2 shown]
	v_pk_mul_f32 v[18:19], v[26:27], v[24:25]
	v_pk_mul_f32 v[22:23], v[28:29], v[22:23]
	v_mov_b32_e32 v106, 0
	v_perm_b32 v23, v23, v22, s37
	v_perm_b32 v22, v19, v18, s37
	ds_write2_b64 v57, v[20:21], v[22:23] offset1:16
	v_mov_b32_e32 v18, 0
	v_mov_b32_e32 v19, 0
	;; [unrolled: 1-line block ×16, first 2 shown]
	s_cbranch_vccnz .LBB367_14
; %bb.13:                               ;   in Loop: Header=BB367_6 Depth=1
	s_and_b32 s29, s29, 0xffff
	s_mov_b32 s31, s27
	buffer_load_dwordx4 v[30:33], v91, s[28:31], 0 offen
	buffer_load_dwordx4 v[22:25], v91, s[28:31], s56 offen
	;; [unrolled: 1-line block ×4, first 2 shown]
	v_mov_b32_e32 v105, v51
	v_mov_b32_e32 v106, v50
.LBB367_14:                             ;   in Loop: Header=BB367_6 Depth=1
	s_waitcnt lgkmcnt(0)
	s_barrier
	ds_read_b64 v[112:113], v95
	ds_read_b64 v[120:121], v87
	;; [unrolled: 1-line block ×5, first 2 shown]
	ds_read_b64 v[126:127], v88 offset:16384
	ds_read_b64 v[128:129], v86 offset:16384
	ds_read2_b64 v[108:111], v82 offset0:16 offset1:128
	s_waitcnt lgkmcnt(6)
	v_mfma_f32_16x16x16_bf16 a[0:3], v[112:113], v[120:121], 0
	ds_read_b64 v[130:131], v83 offset:3072
	ds_read_b64 v[132:133], v90 offset:16384
	s_add_i32 s25, s50, s63
	s_waitcnt lgkmcnt(2)
	v_mfma_f32_16x16x16_bf16 a[4:7], v[112:113], v[108:109], 0
	ds_read2st64_b64 v[112:115], v83 offset0:2 offset1:4
	s_mul_hi_i32 s29, s25, s17
	s_mul_i32 s25, s25, s17
	v_mfma_f32_16x16x16_bf16 a[0:3], v[116:117], v[110:111], a[0:3]
	s_add_u32 s28, s25, s33
	s_addc_u32 s29, s29, s54
	s_lshl_b64 s[28:29], s[28:29], 15
	s_waitcnt lgkmcnt(0)
	v_mfma_f32_16x16x16_bf16 a[4:7], v[116:117], v[112:113], a[4:7]
	ds_read2st64_b64 v[116:119], v82 offset0:4 offset1:6
	s_waitcnt lgkmcnt(0)
	v_mfma_f32_16x16x16_bf16 a[0:3], v[122:123], v[116:117], a[0:3]
	v_mfma_f32_16x16x16_bf16 a[8:11], v[122:123], v[114:115], a[4:7]
	;; [unrolled: 1-line block ×5, first 2 shown]
	ds_read2st64_b64 v[120:123], v85 offset1:8
	v_mfma_f32_16x16x16_bf16 a[12:15], v[128:129], v[108:109], 0
	ds_read_b64 v[128:129], v89 offset:16384
	v_mfma_f32_16x16x16_bf16 a[8:11], v[126:127], v[110:111], a[8:11]
	ds_read2st64_b64 v[108:111], v84 offset1:8
	s_waitcnt lgkmcnt(0)
	v_mov_b32_e32 v124, v108
	v_mfma_f32_16x16x16_bf16 a[12:15], v[126:127], v[112:113], a[12:15]
	v_lshl_add_u64 v[112:113], v[40:41], 0, s[28:29]
	v_add_co_u32_e32 v108, vcc, s39, v112
	v_mfma_f32_16x16x16_bf16 a[8:11], v[128:129], v[116:117], a[8:11]
	v_mov_b32_e32 v125, v109
	v_addc_co_u32_e32 v109, vcc, 0, v113, vcc
	v_mfma_f32_16x16x16_bf16 a[16:19], v[128:129], v[114:115], a[12:15]
	v_mov_b32_e32 v126, v120
	v_mov_b32_e32 v127, v121
	;; [unrolled: 1-line block ×3, first 2 shown]
	v_mfma_f32_16x16x16_bf16 a[12:15], v[132:133], v[118:119], a[8:11]
	v_mov_b32_e32 v121, v111
	s_and_b64 vcc, exec, s[0:1]
	global_store_dwordx4 v[112:113], v[124:127], off
	v_mfma_f32_16x16x16_bf16 a[8:11], v[132:133], v[130:131], a[16:19]
	global_store_dwordx4 v[108:109], v[120:123], off
	s_cbranch_vccnz .LBB367_16
; %bb.15:                               ;   in Loop: Header=BB367_6 Depth=1
	v_lshrrev_b32_e32 v107, 3, v105
	v_and_b32_e32 v107, 6, v107
	v_xor_b32_e32 v106, v107, v106
	v_lshlrev_b32_e32 v106, 2, v106
	v_and_b32_e32 v105, 8, v105
	v_xor_b32_e32 v108, 0x440, v106
	v_cmp_eq_u32_e32 vcc, 0, v105
	s_barrier
	s_nop 0
	v_cndmask_b32_e32 v105, v108, v106, vcc
	v_lshl_or_b32 v105, v107, 10, v105
	s_waitcnt vmcnt(3)
	v_perm_b32 v106, v30, v26, s58
	s_waitcnt vmcnt(2)
	v_perm_b32 v107, v22, v18, s58
	ds_write2st64_b32 v105, v106, v107 offset0:32 offset1:64
	v_xor_b32_e32 v106, 8, v105
	v_perm_b32 v26, v30, v26, s59
	v_perm_b32 v18, v22, v18, s59
	v_add_u32_e32 v22, 0x80, v106
	ds_write2st64_b32 v22, v26, v18 offset0:32 offset1:64
	v_xor_b32_e32 v18, 16, v105
	v_perm_b32 v22, v31, v27, s58
	v_perm_b32 v26, v23, v19, s58
	ds_write2st64_b32 v18, v22, v26 offset0:33 offset1:65
	v_xor_b32_e32 v18, 24, v105
	v_perm_b32 v22, v31, v27, s59
	v_perm_b32 v19, v23, v19, s59
	v_add_u32_e32 v18, 0x80, v18
	ds_write2st64_b32 v18, v22, v19 offset0:33 offset1:65
	v_xor_b32_e32 v18, 32, v105
	v_perm_b32 v19, v32, v28, s58
	;; [unrolled: 9-line block ×3, first 2 shown]
	v_perm_b32 v20, v25, v21, s58
	ds_write2st64_b32 v18, v19, v20 offset0:35 offset1:67
	v_xor_b32_e32 v18, 56, v105
	v_perm_b32 v19, v33, v29, s59
	v_perm_b32 v20, v25, v21, s59
	v_add_u32_e32 v18, 0x80, v18
	ds_write2st64_b32 v18, v19, v20 offset0:35 offset1:67
	ds_write_b64 v104, v[14:15] offset:24576
	v_xor_b32_e32 v14, 8, v104
	ds_write_b64 v14, v[16:17] offset:24576
	ds_write_b64 v104, v[10:11] offset:32768
	;; [unrolled: 1-line block ×4, first 2 shown]
	v_xor_b32_e32 v6, 8, v103
	ds_write_b64 v6, v[8:9] offset:24576
	ds_write_b64 v103, v[2:3] offset:32768
	;; [unrolled: 1-line block ×3, first 2 shown]
.LBB367_16:                             ;   in Loop: Header=BB367_6 Depth=1
	v_mul_f32_e32 v2, s24, v94
	v_exp_f32_e32 v2, v2
	v_accvgpr_read_b32 v3, a4
	v_accvgpr_read_b32 v4, a5
	;; [unrolled: 1-line block ×3, first 2 shown]
	v_fma_f32 v74, v74, v2, v3
	v_accvgpr_read_b32 v3, a6
	v_fma_f32 v75, v75, v2, v3
	v_accvgpr_read_b32 v3, a0
	;; [unrolled: 2-line block ×11, first 2 shown]
	v_accvgpr_read_b32 v6, a15
	v_fma_f32 v64, v64, v2, v3
	v_accvgpr_read_b32 v3, a11
	s_add_i32 s57, s57, 64
	v_fmac_f32_e32 v5, v101, v2
	v_fmac_f32_e32 v4, v102, v2
	;; [unrolled: 1-line block ×3, first 2 shown]
	s_cmp_eq_u32 s48, s62
	v_fmac_f32_e32 v3, v100, v2
	s_cbranch_scc1 .LBB367_18
; %bb.17:                               ;   in Loop: Header=BB367_6 Depth=1
	s_mov_b32 s63, s62
	v_mov_b32_e32 v101, v5
	v_mov_b32_e32 v99, v6
	;; [unrolled: 1-line block ×4, first 2 shown]
	s_branch .LBB367_6
.LBB367_18:
	s_lshl_b32 s42, s48, 6
	s_sub_i32 s43, s16, s42
	s_cmp_gt_i32 s43, 0
	s_cbranch_scc0 .LBB367_83
; %bb.19:
	s_ashr_i32 s39, s47, 31
	s_ashr_i32 s2, s42, 31
	s_cmpk_lg_i32 s19, 0x80
	s_cselect_b64 s[30:31], -1, 0
	s_and_b64 vcc, exec, s[30:31]
	s_cbranch_vccz .LBB367_21
; %bb.20:
	s_mul_i32 s1, s47, s16
	s_mul_hi_i32 s0, s47, s16
	s_add_u32 s1, s1, s42
	s_addc_u32 s0, s0, s2
	s_mul_i32 s3, s1, s49
	s_mul_hi_u32 s24, s1, s18
	s_add_i32 s3, s24, s3
	s_mul_i32 s0, s0, s18
	s_add_i32 s3, s3, s0
	s_mul_i32 s1, s1, s18
	s_ashr_i32 s0, s52, 31
	s_add_u32 s40, s1, s52
	s_addc_u32 s41, s3, s0
	s_cbranch_execz .LBB367_22
	s_branch .LBB367_23
.LBB367_21:
                                        ; implicit-def: $sgpr40_sgpr41
.LBB367_22:
	s_mul_hi_i32 s0, s47, s18
	s_mul_i32 s47, s47, s18
	s_ashr_i32 s1, s52, 31
	s_add_u32 s3, s47, s52
	s_addc_u32 s0, s0, s1
	s_mul_i32 s1, s3, s46
	s_mul_hi_u32 s18, s3, s16
	s_add_i32 s1, s18, s1
	s_mul_i32 s0, s0, s16
	s_add_i32 s1, s1, s0
	s_mul_i32 s3, s3, s16
	s_add_u32 s40, s3, s42
	s_addc_u32 s41, s1, s2
.LBB367_23:
	s_add_i32 s3, s50, s48
	s_ashr_i32 s18, s33, 31
	s_add_u32 s0, s45, s33
	s_addc_u32 s1, s51, s18
	s_mul_i32 s24, s0, s46
	s_mul_hi_u32 s25, s0, s16
	s_add_i32 s24, s25, s24
	s_mul_i32 s1, s1, s16
	s_add_i32 s24, s24, s1
	s_mul_i32 s0, s0, s16
	s_add_u32 s0, s0, s42
	s_addc_u32 s1, s24, s2
	v_lshlrev_b32_e32 v10, 5, v48
	s_waitcnt vmcnt(4)
	v_lshlrev_b32_e32 v22, 2, v42
	s_mov_b32 s2, 0x7060302
	v_xor_b32_e32 v2, v48, v22
	v_perm_b32 v9, v5, v75, s2
	v_or_b32_e32 v5, v10, v22
	v_perm_b32 v8, v73, v74, s2
	v_perm_b32 v7, v6, v72, s2
	;; [unrolled: 1-line block ×3, first 2 shown]
	v_lshlrev_b32_e32 v5, 1, v5
	v_lshlrev_b32_e32 v12, 1, v2
	;; [unrolled: 1-line block ×3, first 2 shown]
	s_lshl_b64 s[28:29], s[0:1], 8
	v_xor_b32_e32 v11, v49, v22
	ds_write2st64_b64 v5, v[8:9], v[6:7] offset0:80 offset1:88
	v_or_b32_e32 v5, v12, v2
	s_add_u32 s0, s6, s28
	ds_write_b64 v5, v[8:9]
	v_lshlrev_b32_e32 v8, 1, v11
	s_addc_u32 s1, s7, s29
	v_or_b32_e32 v2, v8, v2
	s_mul_hi_i32 s6, s3, s17
	s_mul_i32 s3, s3, s17
	ds_write_b64 v2, v[6:7]
	v_perm_b32 v5, v4, v67, s2
	v_perm_b32 v4, v65, v66, s2
	;; [unrolled: 1-line block ×4, first 2 shown]
	v_or_b32_e32 v6, 16, v42
	s_add_u32 s2, s3, s33
	s_waitcnt vmcnt(2)
	v_lshlrev_b32_e32 v19, 2, v6
	s_addc_u32 s3, s6, s18
	v_or_b32_e32 v7, v10, v19
	s_ashr_i32 s37, s36, 31
	s_lshl_b64 s[2:3], s[2:3], 15
	v_lshlrev_b32_e32 v7, 1, v7
	v_lshlrev_b32_e32 v6, 8, v6
	s_add_u32 s6, s12, s2
	ds_write2st64_b64 v7, v[4:5], v[2:3] offset0:80 offset1:88
	v_or_b32_e32 v7, v12, v6
	s_addc_u32 s7, s13, s3
	s_lshl_b64 s[2:3], s[36:37], 8
	ds_write_b64 v7, v[4:5]
	v_or_b32_e32 v4, v8, v6
	s_add_u32 s2, s6, s2
	ds_write_b64 v4, v[2:3]
	v_lshrrev_b32_e32 v2, 4, v0
	s_addc_u32 s3, s7, s3
	v_lshlrev_b32_e32 v3, 1, v42
	v_lshlrev_b32_e32 v10, 4, v42
	v_mov_b32_e32 v11, 0
	v_or_b32_e32 v4, 1, v3
	v_xor_b32_e32 v3, v2, v3
	v_lshl_add_u64 v[12:13], s[2:3], 0, v[10:11]
	v_lshlrev_b32_e32 v10, 8, v2
	v_xor_b32_e32 v6, v4, v2
	v_lshl_or_b32 v2, v3, 3, v10
	s_waitcnt lgkmcnt(0)
	s_barrier
	ds_read2st64_b64 v[2:5], v2 offset1:8
	v_lshl_or_b32 v6, v6, 3, v10
	ds_read2st64_b64 v[6:9], v6 offset1:8
	v_lshl_add_u64 v[14:15], v[12:13], 0, v[10:11]
	s_movk_i32 s2, 0x1000
	s_waitcnt lgkmcnt(1)
	v_mov_b32_e32 v10, v2
	v_add_co_u32_e32 v2, vcc, s2, v14
	s_cmp_lg_u32 s43, 64
	v_mov_b32_e32 v11, v3
	v_addc_co_u32_e32 v3, vcc, 0, v15, vcc
	s_cselect_b64 s[6:7], -1, 0
	v_lshl_or_b32 v23, v44, 3, v47
	s_waitcnt lgkmcnt(0)
	v_mov_b32_e32 v12, v6
	v_mov_b32_e32 v13, v7
	;; [unrolled: 1-line block ×4, first 2 shown]
	s_mov_b32 s24, 0
	v_or_b32_e32 v20, 32, v23
	v_and_b32_e32 v18, 56, v46
	s_and_b64 vcc, exec, s[6:7]
	global_store_dwordx4 v[14:15], v[10:13], off
	global_store_dwordx4 v[2:3], v[6:9], off
	s_cbranch_vccz .LBB367_29
; %bb.24:
	s_mov_b32 s25, s24
	s_mov_b32 s26, s24
	;; [unrolled: 1-line block ×3, first 2 shown]
	v_mov_b64_e32 v[6:7], s[24:25]
	v_mov_b64_e32 v[8:9], s[26:27]
	;; [unrolled: 1-line block ×3, first 2 shown]
	v_cmp_gt_i32_e32 vcc, s43, v23
	v_mov_b64_e32 v[4:5], v[8:9]
	s_and_saveexec_b64 s[2:3], vcc
	s_cbranch_execz .LBB367_26
; %bb.25:
	v_lshlrev_b32_e32 v2, 8, v23
	v_mov_b32_e32 v3, 0
	v_lshl_add_u64 v[4:5], s[0:1], 0, v[2:3]
	v_lshlrev_b32_e32 v2, 1, v18
	v_lshl_add_u64 v[10:11], v[4:5], 0, v[2:3]
	global_load_dwordx4 v[6:9], v[10:11], off
	global_load_dwordx4 v[2:5], v[10:11], off offset:128
.LBB367_26:
	s_or_b64 exec, exec, s[2:3]
	s_mov_b32 s25, s24
	s_mov_b32 s26, s24
	;; [unrolled: 1-line block ×3, first 2 shown]
	v_mov_b64_e32 v[14:15], s[24:25]
	v_mov_b64_e32 v[16:17], s[26:27]
	;; [unrolled: 1-line block ×3, first 2 shown]
	v_cmp_gt_i32_e32 vcc, s43, v20
	v_lshlrev_b32_e32 v21, 7, v20
	v_mov_b64_e32 v[12:13], v[16:17]
	s_and_saveexec_b64 s[2:3], vcc
	s_cbranch_execz .LBB367_28
; %bb.27:
	v_lshlrev_b32_e32 v10, 1, v21
	v_mov_b32_e32 v11, 0
	v_lshl_add_u64 v[12:13], s[0:1], 0, v[10:11]
	v_lshlrev_b32_e32 v10, 1, v18
	v_lshl_add_u64 v[24:25], v[12:13], 0, v[10:11]
	global_load_dwordx4 v[14:17], v[24:25], off
	global_load_dwordx4 v[10:13], v[24:25], off offset:128
.LBB367_28:
	s_or_b64 exec, exec, s[2:3]
	v_lshrrev_b32_e32 v24, 3, v18
	v_lshlrev_b32_e32 v25, 3, v23
	v_or_b32_e32 v24, v25, v24
	v_lshlrev_b32_e32 v24, 4, v24
	v_and_b32_e32 v25, 0x78, v25
	v_xor_b32_e32 v24, v24, v25
	s_branch .LBB367_31
.LBB367_29:
                                        ; implicit-def: $vgpr24
                                        ; implicit-def: $vgpr21
                                        ; implicit-def: $vgpr6_vgpr7_vgpr8_vgpr9
                                        ; implicit-def: $vgpr2_vgpr3_vgpr4_vgpr5
                                        ; implicit-def: $vgpr14_vgpr15_vgpr16_vgpr17
                                        ; implicit-def: $vgpr10_vgpr11_vgpr12_vgpr13
	s_cbranch_execz .LBB367_31
; %bb.30:
	s_waitcnt vmcnt(0)
	v_lshlrev_b32_e32 v2, 1, v18
	v_lshl_or_b32 v21, v23, 8, v2
	s_and_b32 s1, s1, 0xffff
	s_mov_b32 s3, 0x20000
	s_movk_i32 s2, 0x4000
	v_lshl_or_b32 v24, v20, 8, v2
	s_movk_i32 s12, 0x80
	buffer_load_dwordx4 v[6:9], v21, s[0:3], 0 offen
	buffer_load_dwordx4 v[2:5], v21, s[0:3], s12 offen
	;; [unrolled: 1-line block ×4, first 2 shown]
	v_lshrrev_b32_e32 v21, 3, v18
	v_lshlrev_b32_e32 v24, 3, v23
	v_or_b32_e32 v21, v24, v21
	v_lshlrev_b32_e32 v21, 4, v21
	v_and_b32_e32 v24, 0x78, v24
	v_xor_b32_e32 v24, v21, v24
	v_lshlrev_b32_e32 v21, 7, v20
.LBB367_31:
	s_lshl_b64 s[0:1], s[40:41], 8
	s_add_u32 s4, s4, s0
	s_movk_i32 s0, 0x1000
	v_and_or_b32 v20, v21, s0, v24
	s_waitcnt vmcnt(1)
	ds_write_b64 v24, v[6:7] offset:24576
	v_xor_b32_e32 v6, 8, v24
	ds_write_b64 v6, v[8:9] offset:24576
	s_waitcnt vmcnt(0)
	ds_write_b64 v24, v[2:3] offset:32768
	ds_write_b64 v6, v[4:5] offset:32768
	;; [unrolled: 1-line block ×3, first 2 shown]
	v_xor_b32_e32 v2, 8, v20
	ds_write_b64 v2, v[16:17] offset:24576
	ds_write_b64 v20, v[10:11] offset:32768
	;; [unrolled: 1-line block ×3, first 2 shown]
	v_or_b32_e32 v2, v1, v42
	v_lshlrev_b32_e32 v3, 11, v44
	v_lshlrev_b32_e32 v2, 3, v2
	v_and_b32_e32 v6, 0x1000, v3
	v_lshrrev_b32_e32 v3, 5, v43
	s_movk_i32 s13, 0xf8
	v_and_or_b32 v3, v2, s13, v3
	v_lshlrev_b32_e32 v7, 4, v3
	v_and_b32_e32 v8, 0x78, v2
	v_or_b32_e32 v10, 32, v7
	v_lshrrev_b32_e32 v3, 1, v43
	v_xor_b32_e32 v10, v10, v8
	v_xor_b32_e32 v2, v7, v8
	v_and_b32_e32 v9, 8, v3
	v_or_b32_e32 v10, v10, v6
	v_or_b32_e32 v2, v2, v6
	v_xor_b32_e32 v26, v10, v9
	v_or_b32_e32 v10, 64, v7
	v_xor_b32_e32 v25, v2, v9
	v_xor_b32_e32 v10, v10, v8
	s_waitcnt lgkmcnt(0)
	s_barrier
	v_or_b32_e32 v12, v10, v6
	ds_read_b64 v[10:11], v25 offset:24576
	v_lshl_or_b32 v20, v45, 7, v22
	v_lshlrev_b32_e32 v24, 1, v20
	v_add_u32_e32 v2, 0xa000, v24
	ds_read2_b64 v[2:5], v2 offset1:16
	v_or_b32_e32 v7, 0x60, v7
	v_xor_b32_e32 v7, v7, v8
	s_waitcnt lgkmcnt(0)
	v_mfma_f32_16x16x16_bf16 a[0:3], v[10:11], v[2:3], 0
	v_or_b32_e32 v2, 64, v20
	v_or_b32_e32 v6, v7, v6
	v_lshlrev_b32_e32 v29, 1, v2
	v_xor_b32_e32 v27, v12, v9
	v_xor_b32_e32 v28, v6, v9
	ds_read_b64 v[12:13], v26 offset:24576
	ds_read_b64 v[14:15], v27 offset:24576
	;; [unrolled: 1-line block ×3, first 2 shown]
	v_mfma_f32_16x16x16_bf16 a[4:7], v[10:11], v[4:5], 0
	ds_read2st64_b64 v[2:5], v29 offset0:82 offset1:84
	ds_read2st64_b64 v[6:9], v24 offset0:82 offset1:84
	s_addc_u32 s5, s5, s1
	s_add_i32 s2, s16, -1
	s_add_i32 s0, s44, s21
	s_mul_i32 s39, s39, s20
	s_add_i32 s39, s0, s39
	s_mul_i32 s0, s33, s23
	s_mul_hi_u32 s1, s33, s22
	s_ashr_i32 s3, s2, 31
	s_mul_i32 s12, s2, s35
	s_mul_hi_u32 s13, s2, s34
	s_add_i32 s0, s1, s0
	s_mul_i32 s1, s18, s22
	s_add_i32 s12, s13, s12
	s_mul_i32 s3, s3, s34
	s_waitcnt lgkmcnt(1)
	v_mfma_f32_16x16x16_bf16 a[4:7], v[12:13], v[2:3], a[4:7]
	s_add_i32 s1, s0, s1
	s_add_i32 s3, s12, s3
	s_lshl_b64 s[12:13], s[38:39], 2
	s_waitcnt lgkmcnt(0)
	v_mfma_f32_16x16x16_bf16 a[0:3], v[12:13], v[6:7], a[0:3]
	s_mul_i32 s0, s33, s22
	s_add_u32 s10, s10, s12
	s_addc_u32 s11, s11, s13
	s_lshl_b64 s[0:1], s[0:1], 2
	s_mul_i32 s2, s2, s34
	s_add_u32 s10, s10, s0
	ds_read_b64 v[2:3], v24 offset:44032
	v_mfma_f32_16x16x16_bf16 a[4:7], v[14:15], v[4:5], a[4:7]
	ds_read_b64 v[4:5], v29 offset:44032
	s_addc_u32 s11, s11, s1
	s_lshl_b64 s[0:1], s[2:3], 2
	v_mfma_f32_16x16x16_bf16 a[0:3], v[14:15], v[8:9], a[0:3]
	s_add_u32 s0, s10, s0
	s_addc_u32 s1, s11, s1
	s_load_dword s12, s[0:1], 0x0
	s_waitcnt lgkmcnt(0)
	v_mfma_f32_16x16x16_bf16 a[0:3], v[16:17], v[2:3], a[0:3]
	s_and_b64 vcc, exec, s[30:31]
	v_mfma_f32_16x16x16_bf16 a[4:7], v[16:17], v[4:5], a[4:7]
	s_cbranch_vccz .LBB367_42
; %bb.32:
	v_lshlrev_b32_e32 v20, 1, v23
	s_and_b64 vcc, exec, s[6:7]
	s_cbranch_vccz .LBB367_43
; %bb.33:
	v_cmp_gt_i32_e32 vcc, s43, v20
	v_mov_b32_e32 v6, 0
	v_mov_b32_e32 v2, 0
	;; [unrolled: 1-line block ×5, first 2 shown]
	s_and_saveexec_b64 s[0:1], vcc
	s_cbranch_execz .LBB367_35
; %bb.34:
	v_mad_i64_i32 v[2:3], s[2:3], s19, v20, 0
	v_lshl_add_u64 v[2:3], v[2:3], 1, s[4:5]
	v_lshlrev_b32_e32 v4, 1, v18
	v_mov_b32_e32 v5, 0
	v_lshl_add_u64 v[2:3], v[2:3], 0, v[4:5]
	global_load_dwordx4 v[2:5], v[2:3], off
.LBB367_35:
	s_or_b64 exec, exec, s[0:1]
	v_or_b32_e32 v21, 1, v20
	v_cmp_gt_i32_e64 s[0:1], s43, v21
	v_mov_b32_e32 v7, 0
	v_mov_b32_e32 v8, 0
	;; [unrolled: 1-line block ×3, first 2 shown]
	s_and_saveexec_b64 s[2:3], s[0:1]
	s_cbranch_execz .LBB367_37
; %bb.36:
	v_mad_i64_i32 v[6:7], s[16:17], s19, v21, 0
	v_lshl_add_u64 v[6:7], v[6:7], 1, s[4:5]
	v_lshlrev_b32_e32 v8, 1, v18
	v_mov_b32_e32 v9, 0
	v_lshl_add_u64 v[6:7], v[6:7], 0, v[8:9]
	global_load_dwordx4 v[6:9], v[6:7], off
.LBB367_37:
	s_or_b64 exec, exec, s[2:3]
	v_mov_b32_e32 v17, 0
	v_mov_b32_e32 v10, 0
	;; [unrolled: 1-line block ×5, first 2 shown]
	s_and_saveexec_b64 s[2:3], vcc
	s_cbranch_execz .LBB367_39
; %bb.38:
	v_mad_i64_i32 v[10:11], s[16:17], s19, v20, 0
	v_lshl_add_u64 v[10:11], v[10:11], 1, s[4:5]
	v_lshlrev_b32_e32 v12, 1, v18
	v_mov_b32_e32 v13, 0
	v_lshl_add_u64 v[10:11], v[10:11], 0, v[12:13]
	global_load_dwordx4 v[10:13], v[10:11], off offset:128
.LBB367_39:
	s_or_b64 exec, exec, s[2:3]
	v_mov_b32_e32 v16, 0
	v_mov_b32_e32 v15, 0
	;; [unrolled: 1-line block ×3, first 2 shown]
	s_and_saveexec_b64 s[2:3], s[0:1]
	s_cbranch_execz .LBB367_41
; %bb.40:
	v_mad_i64_i32 v[14:15], s[0:1], s19, v21, 0
	v_lshl_add_u64 v[14:15], v[14:15], 1, s[4:5]
	v_lshlrev_b32_e32 v16, 1, v18
	v_mov_b32_e32 v17, 0
	v_lshl_add_u64 v[14:15], v[14:15], 0, v[16:17]
	global_load_dwordx4 v[14:17], v[14:15], off offset:128
.LBB367_41:
	s_or_b64 exec, exec, s[2:3]
	s_branch .LBB367_45
.LBB367_42:
                                        ; implicit-def: $vgpr5
                                        ; implicit-def: $vgpr9
                                        ; implicit-def: $vgpr13
                                        ; implicit-def: $vgpr17
	v_lshrrev_b32_e32 v30, 2, v43
	s_branch .LBB367_46
.LBB367_43:
                                        ; implicit-def: $vgpr5
                                        ; implicit-def: $vgpr9
                                        ; implicit-def: $vgpr13
                                        ; implicit-def: $vgpr17
	s_cbranch_execz .LBB367_45
; %bb.44:
	s_waitcnt vmcnt(0)
	v_mad_u64_u32 v[2:3], s[0:1], v20, s19, v[18:19]
	v_lshlrev_b32_e32 v20, 1, v2
	s_lshl_b32 s2, s19, 7
	s_and_b32 s1, s5, 0xffff
	s_mov_b32 s3, 0x20000
	s_mov_b32 s0, s4
	v_add_lshl_u32 v21, v2, s19, 1
	s_movk_i32 s13, 0x80
	buffer_load_dwordx4 v[2:5], v20, s[0:3], 0 offen
	buffer_load_dwordx4 v[10:13], v20, s[0:3], s13 offen
	;; [unrolled: 1-line block ×4, first 2 shown]
.LBB367_45:
	v_lshrrev_b32_e32 v30, 2, v43
	s_cbranch_execnz .LBB367_58
.LBB367_46:
	s_and_b64 vcc, exec, s[6:7]
	s_cbranch_vccz .LBB367_56
; %bb.47:
	s_waitcnt vmcnt(0)
	v_lshlrev_b32_e32 v7, 1, v23
	v_cmp_gt_i32_e32 vcc, s43, v7
	v_mov_b32_e32 v6, 0
	v_lshlrev_b32_e32 v14, 9, v23
	v_mov_b32_e32 v2, 0
	v_mov_b32_e32 v3, 0
	;; [unrolled: 1-line block ×4, first 2 shown]
	s_and_saveexec_b64 s[0:1], vcc
	s_cbranch_execz .LBB367_49
; %bb.48:
	v_mov_b32_e32 v15, 0
	v_lshl_add_u64 v[2:3], s[4:5], 0, v[14:15]
	v_lshlrev_b32_e32 v4, 1, v18
	v_mov_b32_e32 v5, v15
	v_lshl_add_u64 v[2:3], v[2:3], 0, v[4:5]
	global_load_dwordx4 v[2:5], v[2:3], off
.LBB367_49:
	s_or_b64 exec, exec, s[0:1]
	v_or_b32_e32 v7, 1, v7
	v_cmp_gt_i32_e64 s[0:1], s43, v7
	v_lshlrev_b32_e32 v20, 8, v7
	v_mov_b32_e32 v7, 0
	v_mov_b32_e32 v8, 0
	;; [unrolled: 1-line block ×3, first 2 shown]
	s_and_saveexec_b64 s[2:3], s[0:1]
	s_cbranch_execz .LBB367_51
; %bb.50:
	v_mov_b32_e32 v21, 0
	v_lshl_add_u64 v[6:7], s[4:5], 0, v[20:21]
	v_lshlrev_b32_e32 v8, 1, v18
	v_mov_b32_e32 v9, v21
	v_lshl_add_u64 v[6:7], v[6:7], 0, v[8:9]
	global_load_dwordx4 v[6:9], v[6:7], off
.LBB367_51:
	s_or_b64 exec, exec, s[2:3]
	v_mov_b32_e32 v17, 0
	v_mov_b32_e32 v10, 0
	;; [unrolled: 1-line block ×5, first 2 shown]
	s_and_saveexec_b64 s[2:3], vcc
	s_cbranch_execz .LBB367_53
; %bb.52:
	v_mov_b32_e32 v15, 0
	v_lshl_add_u64 v[10:11], s[4:5], 0, v[14:15]
	v_lshlrev_b32_e32 v14, 1, v18
	v_lshl_add_u64 v[10:11], v[10:11], 0, v[14:15]
	global_load_dwordx4 v[10:13], v[10:11], off offset:128
.LBB367_53:
	s_or_b64 exec, exec, s[2:3]
	v_mov_b32_e32 v16, 0
	v_mov_b32_e32 v15, 0
	;; [unrolled: 1-line block ×3, first 2 shown]
	s_and_saveexec_b64 s[2:3], s[0:1]
	s_cbranch_execz .LBB367_55
; %bb.54:
	v_mov_b32_e32 v21, 0
	v_lshl_add_u64 v[14:15], s[4:5], 0, v[20:21]
	v_lshlrev_b32_e32 v20, 1, v18
	v_lshl_add_u64 v[14:15], v[14:15], 0, v[20:21]
	global_load_dwordx4 v[14:17], v[14:15], off offset:128
.LBB367_55:
	s_or_b64 exec, exec, s[2:3]
	s_branch .LBB367_58
.LBB367_56:
                                        ; implicit-def: $vgpr5
                                        ; implicit-def: $vgpr9
                                        ; implicit-def: $vgpr13
                                        ; implicit-def: $vgpr17
	s_cbranch_execz .LBB367_58
; %bb.57:
	s_waitcnt vmcnt(0)
	v_lshlrev_b32_e32 v2, 1, v18
	v_lshl_or_b32 v18, v23, 9, v2
	s_and_b32 s5, s5, 0xffff
	s_mov_b32 s7, 0x20000
	s_movk_i32 s6, 0x4000
	s_movk_i32 s0, 0x80
	buffer_load_dwordx4 v[2:5], v18, s[4:7], 0 offen
	buffer_load_dwordx4 v[6:9], v18, s[4:7], 0 offen offset:256
	buffer_load_dwordx4 v[10:13], v18, s[4:7], s0 offen
	buffer_load_dwordx4 v[14:17], v18, s[4:7], s0 offen offset:256
.LBB367_58:
	ds_read_b64 v[20:21], v25 offset:32768
	v_add_u32_e32 v18, 0xb000, v24
	ds_read2_b64 v[32:35], v18 offset1:16
	ds_read_b64 v[40:41], v26 offset:32768
	ds_read_b64 v[26:27], v27 offset:32768
	;; [unrolled: 1-line block ×3, first 2 shown]
	v_and_b32_e32 v18, 6, v0
	v_xor_b32_e32 v23, v23, v18
	v_lshlrev_b32_e32 v23, 2, v23
	v_and_b32_e32 v0, 1, v0
	v_xor_b32_e32 v28, 0x440, v23
	v_cmp_eq_u32_e32 vcc, 0, v0
	s_waitcnt lgkmcnt(3)
	v_mfma_f32_16x16x16_bf16 a[0:3], v[20:21], v[32:33], a[0:3]
	s_mov_b32 s0, 0x1000504
	v_cndmask_b32_e32 v0, v28, v23, vcc
	v_lshl_or_b32 v0, v18, 10, v0
	v_mfma_f32_16x16x16_bf16 a[4:7], v[20:21], v[34:35], a[4:7]
	ds_read2st64_b64 v[32:35], v24 offset0:90 offset1:92
	ds_read2st64_b64 v[36:39], v29 offset0:90 offset1:92
	ds_read_b64 v[20:21], v24 offset:48128
	ds_read_b64 v[24:25], v29 offset:48128
	s_waitcnt vmcnt(0)
	v_perm_b32 v18, v2, v6, s0
	s_waitcnt lgkmcnt(3)
	v_mfma_f32_16x16x16_bf16 a[0:3], v[40:41], v[32:33], a[0:3]
	s_mov_b32 s1, 0x3020706
	v_perm_b32 v2, v2, v6, s1
	v_perm_b32 v6, v10, v14, s1
	s_waitcnt lgkmcnt(2)
	v_mfma_f32_16x16x16_bf16 a[4:7], v[40:41], v[36:37], a[4:7]
	v_mfma_f32_16x16x16_bf16 a[0:3], v[26:27], v[34:35], a[0:3]
	;; [unrolled: 1-line block ×3, first 2 shown]
	s_waitcnt lgkmcnt(1)
	v_mfma_f32_16x16x16_bf16 a[4:7], v[44:45], v[20:21], a[0:3]
	v_perm_b32 v20, v10, v14, s0
	ds_write2st64_b32 v0, v18, v20 offset0:32 offset1:64
	v_xor_b32_e32 v18, 8, v0
	v_add_u32_e32 v10, 0x80, v18
	ds_write2st64_b32 v10, v2, v6 offset0:32 offset1:64
	v_xor_b32_e32 v2, 16, v0
	v_perm_b32 v6, v3, v7, s0
	v_perm_b32 v10, v11, v15, s0
	ds_write2st64_b32 v2, v6, v10 offset0:33 offset1:65
	v_xor_b32_e32 v2, 24, v0
	v_perm_b32 v3, v3, v7, s1
	v_perm_b32 v6, v11, v15, s1
	v_add_u32_e32 v2, 0x80, v2
	ds_write2st64_b32 v2, v3, v6 offset0:33 offset1:65
	v_xor_b32_e32 v2, 32, v0
	v_perm_b32 v3, v4, v8, s0
	v_perm_b32 v6, v12, v16, s0
	s_waitcnt lgkmcnt(4)
	v_mfma_f32_16x16x16_bf16 a[0:3], v[44:45], v[24:25], a[8:11]
	ds_write2st64_b32 v2, v3, v6 offset0:34 offset1:66
	v_xor_b32_e32 v2, 40, v0
	v_perm_b32 v3, v4, v8, s1
	v_perm_b32 v4, v12, v16, s1
	v_add_u32_e32 v2, 0x80, v2
	ds_write2st64_b32 v2, v3, v4 offset0:34 offset1:66
	v_xor_b32_e32 v2, 48, v0
	v_perm_b32 v3, v5, v9, s0
	v_perm_b32 v4, v13, v17, s0
	v_xor_b32_e32 v0, 56, v0
	v_and_or_b32 v21, v30, 12, v1
	ds_write2st64_b32 v2, v3, v4 offset0:35 offset1:67
	v_perm_b32 v2, v5, v9, s1
	v_perm_b32 v3, v13, v17, s1
	v_add_u32_e32 v0, 0x80, v0
	v_cmp_gt_i32_e32 vcc, s43, v21
	v_mov_b32_e32 v16, 0
	v_mov_b32_e32 v18, 0
	ds_write2st64_b32 v0, v2, v3 offset0:35 offset1:67
	s_and_saveexec_b64 s[0:1], vcc
	s_cbranch_execz .LBB367_60
; %bb.59:
	v_add_u32_e32 v0, s42, v21
	v_ashrrev_i32_e32 v1, 31, v0
	v_mul_lo_u32 v2, v1, s34
	v_mul_lo_u32 v3, v0, s35
	v_mad_u64_u32 v[0:1], s[2:3], v0, s34, 0
	v_add3_u32 v1, v1, v3, v2
	v_lshl_add_u64 v[0:1], v[0:1], 2, s[10:11]
	global_load_dword v0, v[0:1], off
	s_waitcnt vmcnt(0)
	v_sub_f32_e32 v0, s12, v0
	v_mul_f32_e32 v0, 0x3fb8aa3b, v0
	v_exp_f32_e32 v18, v0
.LBB367_60:
	s_or_b64 exec, exec, s[0:1]
	v_or_b32_e32 v10, 1, v21
	v_cmp_gt_i32_e64 s[0:1], s43, v10
	s_and_saveexec_b64 s[2:3], s[0:1]
	s_cbranch_execz .LBB367_62
; %bb.61:
	v_add_u32_e32 v0, s42, v10
	v_ashrrev_i32_e32 v1, 31, v0
	v_mul_lo_u32 v2, v1, s34
	v_mul_lo_u32 v3, v0, s35
	v_mad_u64_u32 v[0:1], s[4:5], v0, s34, 0
	v_add3_u32 v1, v1, v3, v2
	v_lshl_add_u64 v[0:1], v[0:1], 2, s[10:11]
	global_load_dword v0, v[0:1], off
	s_waitcnt vmcnt(0)
	v_sub_f32_e32 v0, s12, v0
	v_mul_f32_e32 v0, 0x3fb8aa3b, v0
	v_exp_f32_e32 v16, v0
.LBB367_62:
	s_or_b64 exec, exec, s[2:3]
	v_or_b32_e32 v12, 2, v21
	v_cmp_gt_i32_e64 s[2:3], s43, v12
	v_mov_b32_e32 v17, 0
	v_mov_b32_e32 v20, 0
	s_and_saveexec_b64 s[4:5], s[2:3]
	s_cbranch_execz .LBB367_64
; %bb.63:
	v_add_u32_e32 v0, s42, v12
	v_ashrrev_i32_e32 v1, 31, v0
	v_mul_lo_u32 v2, v1, s34
	v_mul_lo_u32 v3, v0, s35
	v_mad_u64_u32 v[0:1], s[6:7], v0, s34, 0
	v_add3_u32 v1, v1, v3, v2
	v_lshl_add_u64 v[0:1], v[0:1], 2, s[10:11]
	global_load_dword v0, v[0:1], off
	s_waitcnt vmcnt(0)
	v_sub_f32_e32 v0, s12, v0
	v_mul_f32_e32 v0, 0x3fb8aa3b, v0
	v_exp_f32_e32 v20, v0
.LBB367_64:
	s_or_b64 exec, exec, s[4:5]
	v_or_b32_e32 v14, 3, v21
	v_cmp_gt_i32_e64 s[4:5], s43, v14
	s_and_saveexec_b64 s[6:7], s[4:5]
	s_cbranch_execz .LBB367_66
; %bb.65:
	v_add_u32_e32 v0, s42, v14
	v_ashrrev_i32_e32 v1, 31, v0
	v_mul_lo_u32 v2, v1, s34
	v_mul_lo_u32 v3, v0, s35
	v_mad_u64_u32 v[0:1], s[16:17], v0, s34, 0
	v_add3_u32 v1, v1, v3, v2
	v_lshl_add_u64 v[0:1], v[0:1], 2, s[10:11]
	global_load_dword v0, v[0:1], off
	s_waitcnt vmcnt(0)
	v_sub_f32_e32 v0, s12, v0
	v_mul_f32_e32 v0, 0x3fb8aa3b, v0
	v_exp_f32_e32 v17, v0
.LBB367_66:
	s_or_b64 exec, exec, s[6:7]
	s_add_u32 s6, s8, s28
	v_or_b32_e32 v4, s36, v42
	s_addc_u32 s7, s9, s29
	s_add_u32 s8, s14, s28
	v_ashrrev_i32_e32 v5, 31, v4
	v_accvgpr_read_b32 v0, a4
	s_addc_u32 s9, s15, s29
	v_lshlrev_b64 v[4:5], 1, v[4:5]
	v_accvgpr_read_b32 v1, a5
	v_accvgpr_read_b32 v2, a6
	;; [unrolled: 1-line block ×3, first 2 shown]
	v_lshl_add_u64 v[6:7], s[6:7], 0, v[4:5]
	v_lshl_add_u64 v[4:5], s[8:9], 0, v[4:5]
	v_mov_b32_e32 v11, 0
	v_lshlrev_b32_e32 v8, 8, v21
	v_mov_b32_e32 v9, 0
	s_and_saveexec_b64 s[6:7], vcc
	s_cbranch_execz .LBB367_68
; %bb.67:
	v_mov_b32_e32 v9, 0
	v_lshl_add_u64 v[24:25], v[6:7], 0, v[8:9]
	global_load_ushort v13, v[24:25], off
	v_lshl_add_u64 v[24:25], v[4:5], 0, v[8:9]
	s_waitcnt vmcnt(0)
	v_lshlrev_b32_e32 v9, 16, v13
	v_sub_f32_e32 v0, v9, v0
	global_store_short_d16_hi v[24:25], v0, off
	v_mul_f32_e32 v0, v18, v0
	v_lshrrev_b32_e32 v9, 16, v0
.LBB367_68:
	s_or_b64 exec, exec, s[6:7]
	v_lshlrev_b32_e32 v10, 8, v10
	s_and_saveexec_b64 s[6:7], s[0:1]
	s_cbranch_execz .LBB367_70
; %bb.69:
	v_mov_b32_e32 v11, 0
	v_lshl_add_u64 v[24:25], v[6:7], 0, v[10:11]
	global_load_ushort v0, v[24:25], off
	v_lshl_add_u64 v[24:25], v[4:5], 0, v[10:11]
	s_waitcnt vmcnt(0)
	v_lshlrev_b32_e32 v0, 16, v0
	v_sub_f32_e32 v0, v0, v1
	global_store_short_d16_hi v[24:25], v0, off
	v_mul_f32_e32 v0, v16, v0
	v_lshrrev_b32_e32 v11, 16, v0
.LBB367_70:
	s_or_b64 exec, exec, s[6:7]
	v_mov_b32_e32 v15, 0
	v_lshlrev_b32_e32 v12, 8, v12
	v_mov_b32_e32 v13, 0
	s_and_saveexec_b64 s[6:7], s[2:3]
	s_cbranch_execz .LBB367_72
; %bb.71:
	v_mov_b32_e32 v13, 0
	v_lshl_add_u64 v[0:1], v[6:7], 0, v[12:13]
	global_load_ushort v23, v[0:1], off
	v_lshl_add_u64 v[0:1], v[4:5], 0, v[12:13]
	s_waitcnt vmcnt(0)
	v_lshlrev_b32_e32 v13, 16, v23
	v_sub_f32_e32 v2, v13, v2
	global_store_short_d16_hi v[0:1], v2, off
	v_mul_f32_e32 v0, v20, v2
	v_lshrrev_b32_e32 v13, 16, v0
.LBB367_72:
	s_or_b64 exec, exec, s[6:7]
	v_lshlrev_b32_e32 v14, 8, v14
	s_and_saveexec_b64 s[6:7], s[4:5]
	s_cbranch_execz .LBB367_74
; %bb.73:
	v_mov_b32_e32 v15, 0
	v_lshl_add_u64 v[0:1], v[6:7], 0, v[14:15]
	global_load_ushort v2, v[0:1], off
	v_lshl_add_u64 v[0:1], v[4:5], 0, v[14:15]
	s_waitcnt vmcnt(0)
	v_lshlrev_b32_e32 v2, 16, v2
	v_sub_f32_e32 v2, v2, v3
	global_store_short_d16_hi v[0:1], v2, off
	v_mul_f32_e32 v0, v17, v2
	v_lshrrev_b32_e32 v15, 16, v0
.LBB367_74:
	s_or_b64 exec, exec, s[6:7]
	v_lshlrev_b32_e32 v21, 5, v21
	s_mov_b32 s6, 0x5040100
	v_perm_b32 v24, v11, v9, s6
	v_or_b32_e32 v9, v21, v22
	v_accvgpr_read_b32 v0, a0
	v_perm_b32 v25, v15, v13, s6
	v_lshlrev_b32_e32 v9, 1, v9
	v_accvgpr_read_b32 v1, a1
	v_accvgpr_read_b32 v2, a2
	;; [unrolled: 1-line block ×3, first 2 shown]
	ds_write_b64 v9, v[24:25] offset:45056
	v_mov_b32_e32 v11, 0
	v_mov_b32_e32 v9, 0
	s_and_saveexec_b64 s[6:7], vcc
	s_cbranch_execz .LBB367_76
; %bb.75:
	v_mov_b32_e32 v9, 0
	v_lshl_add_u64 v[22:23], v[6:7], 0, v[8:9]
	global_load_ushort v13, v[22:23], off offset:32
	v_lshl_add_u64 v[8:9], v[4:5], 0, v[8:9]
	s_waitcnt vmcnt(0)
	v_lshlrev_b32_e32 v13, 16, v13
	v_sub_f32_e32 v0, v13, v0
	global_store_short_d16_hi v[8:9], v0, off offset:32
	v_mul_f32_e32 v0, v18, v0
	v_lshrrev_b32_e32 v9, 16, v0
.LBB367_76:
	s_or_b64 exec, exec, s[6:7]
	s_and_saveexec_b64 s[6:7], s[0:1]
	s_cbranch_execz .LBB367_78
; %bb.77:
	v_mov_b32_e32 v11, 0
	v_lshl_add_u64 v[22:23], v[6:7], 0, v[10:11]
	global_load_ushort v0, v[22:23], off offset:32
	v_lshl_add_u64 v[10:11], v[4:5], 0, v[10:11]
	s_waitcnt vmcnt(0)
	v_lshlrev_b32_e32 v0, 16, v0
	v_sub_f32_e32 v0, v0, v1
	global_store_short_d16_hi v[10:11], v0, off offset:32
	v_mul_f32_e32 v0, v16, v0
	v_lshrrev_b32_e32 v11, 16, v0
.LBB367_78:
	s_or_b64 exec, exec, s[6:7]
	v_mov_b32_e32 v0, 0
	v_mov_b32_e32 v1, 0
	s_and_saveexec_b64 s[0:1], s[2:3]
	s_cbranch_execz .LBB367_80
; %bb.79:
	v_mov_b32_e32 v13, 0
	v_lshl_add_u64 v[22:23], v[6:7], 0, v[12:13]
	global_load_ushort v1, v[22:23], off offset:32
	v_lshl_add_u64 v[12:13], v[4:5], 0, v[12:13]
	s_waitcnt vmcnt(0)
	v_lshlrev_b32_e32 v1, 16, v1
	v_sub_f32_e32 v1, v1, v2
	global_store_short_d16_hi v[12:13], v1, off offset:32
	v_mul_f32_e32 v1, v20, v1
	v_lshrrev_b32_e32 v1, 16, v1
.LBB367_80:
	s_or_b64 exec, exec, s[0:1]
	s_and_saveexec_b64 s[0:1], s[4:5]
	s_cbranch_execz .LBB367_82
; %bb.81:
	v_mov_b32_e32 v15, 0
	v_lshl_add_u64 v[6:7], v[6:7], 0, v[14:15]
	global_load_ushort v0, v[6:7], off offset:32
	v_lshl_add_u64 v[4:5], v[4:5], 0, v[14:15]
	s_waitcnt vmcnt(0)
	v_lshlrev_b32_e32 v0, 16, v0
	v_sub_f32_e32 v0, v0, v3
	global_store_short_d16_hi v[4:5], v0, off offset:32
	v_mul_f32_e32 v0, v17, v0
	v_lshrrev_b32_e32 v0, 16, v0
.LBB367_82:
	s_or_b64 exec, exec, s[0:1]
	s_mov_b32 s0, 0x5040100
	v_or_b32_e32 v2, v21, v19
	v_perm_b32 v1, v0, v1, s0
	v_perm_b32 v0, v11, v9, s0
	v_lshlrev_b32_e32 v2, 1, v2
	ds_write_b64 v2, v[0:1] offset:45056
	s_waitcnt lgkmcnt(0)
	s_barrier
.LBB367_83:
	s_endpgm
	.section	.rodata,"a",@progbits
	.p2align	6, 0x0
	.amdhsa_kernel _ZN12_GLOBAL__N_139chunk_gated_delta_rule_fwd_h_hip_kernelILi32ELb0ELb0ELb1ELb0ELb0ELb0ELb1ELb1EEEvPK12hip_bfloat16S3_S3_PKfS5_PKvPS1_S8_PvPKiSB_iiiiilll
		.amdhsa_group_segment_fixed_size 49152
		.amdhsa_private_segment_fixed_size 0
		.amdhsa_kernarg_size 136
		.amdhsa_user_sgpr_count 2
		.amdhsa_user_sgpr_dispatch_ptr 0
		.amdhsa_user_sgpr_queue_ptr 0
		.amdhsa_user_sgpr_kernarg_segment_ptr 1
		.amdhsa_user_sgpr_dispatch_id 0
		.amdhsa_user_sgpr_kernarg_preload_length 0
		.amdhsa_user_sgpr_kernarg_preload_offset 0
		.amdhsa_user_sgpr_private_segment_size 0
		.amdhsa_uses_dynamic_stack 0
		.amdhsa_enable_private_segment 0
		.amdhsa_system_sgpr_workgroup_id_x 1
		.amdhsa_system_sgpr_workgroup_id_y 1
		.amdhsa_system_sgpr_workgroup_id_z 0
		.amdhsa_system_sgpr_workgroup_info 0
		.amdhsa_system_vgpr_workitem_id 0
		.amdhsa_next_free_vgpr 156
		.amdhsa_next_free_sgpr 66
		.amdhsa_accum_offset 136
		.amdhsa_reserve_vcc 1
		.amdhsa_float_round_mode_32 0
		.amdhsa_float_round_mode_16_64 0
		.amdhsa_float_denorm_mode_32 3
		.amdhsa_float_denorm_mode_16_64 3
		.amdhsa_dx10_clamp 1
		.amdhsa_ieee_mode 1
		.amdhsa_fp16_overflow 0
		.amdhsa_tg_split 0
		.amdhsa_exception_fp_ieee_invalid_op 0
		.amdhsa_exception_fp_denorm_src 0
		.amdhsa_exception_fp_ieee_div_zero 0
		.amdhsa_exception_fp_ieee_overflow 0
		.amdhsa_exception_fp_ieee_underflow 0
		.amdhsa_exception_fp_ieee_inexact 0
		.amdhsa_exception_int_div_zero 0
	.end_amdhsa_kernel
	.section	.text._ZN12_GLOBAL__N_139chunk_gated_delta_rule_fwd_h_hip_kernelILi32ELb0ELb0ELb1ELb0ELb0ELb0ELb1ELb1EEEvPK12hip_bfloat16S3_S3_PKfS5_PKvPS1_S8_PvPKiSB_iiiiilll,"axG",@progbits,_ZN12_GLOBAL__N_139chunk_gated_delta_rule_fwd_h_hip_kernelILi32ELb0ELb0ELb1ELb0ELb0ELb0ELb1ELb1EEEvPK12hip_bfloat16S3_S3_PKfS5_PKvPS1_S8_PvPKiSB_iiiiilll,comdat
.Lfunc_end367:
	.size	_ZN12_GLOBAL__N_139chunk_gated_delta_rule_fwd_h_hip_kernelILi32ELb0ELb0ELb1ELb0ELb0ELb0ELb1ELb1EEEvPK12hip_bfloat16S3_S3_PKfS5_PKvPS1_S8_PvPKiSB_iiiiilll, .Lfunc_end367-_ZN12_GLOBAL__N_139chunk_gated_delta_rule_fwd_h_hip_kernelILi32ELb0ELb0ELb1ELb0ELb0ELb0ELb1ELb1EEEvPK12hip_bfloat16S3_S3_PKfS5_PKvPS1_S8_PvPKiSB_iiiiilll
                                        ; -- End function
	.section	.AMDGPU.csdata,"",@progbits
; Kernel info:
; codeLenInByte = 8756
; NumSgprs: 72
; NumVgprs: 134
; NumAgprs: 20
; TotalNumVgprs: 156
; ScratchSize: 0
; MemoryBound: 0
; FloatMode: 240
; IeeeMode: 1
; LDSByteSize: 49152 bytes/workgroup (compile time only)
; SGPRBlocks: 8
; VGPRBlocks: 19
; NumSGPRsForWavesPerEU: 72
; NumVGPRsForWavesPerEU: 156
; AccumOffset: 136
; Occupancy: 1
; WaveLimiterHint : 1
; COMPUTE_PGM_RSRC2:SCRATCH_EN: 0
; COMPUTE_PGM_RSRC2:USER_SGPR: 2
; COMPUTE_PGM_RSRC2:TRAP_HANDLER: 0
; COMPUTE_PGM_RSRC2:TGID_X_EN: 1
; COMPUTE_PGM_RSRC2:TGID_Y_EN: 1
; COMPUTE_PGM_RSRC2:TGID_Z_EN: 0
; COMPUTE_PGM_RSRC2:TIDIG_COMP_CNT: 0
; COMPUTE_PGM_RSRC3_GFX90A:ACCUM_OFFSET: 33
; COMPUTE_PGM_RSRC3_GFX90A:TG_SPLIT: 0
	.section	.text._ZN12_GLOBAL__N_139chunk_gated_delta_rule_fwd_h_hip_kernelILi32ELb0ELb0ELb0ELb0ELb0ELb0ELb1ELb1EEEvPK12hip_bfloat16S3_S3_PKfS5_PKvPS1_S8_PvPKiSB_iiiiilll,"axG",@progbits,_ZN12_GLOBAL__N_139chunk_gated_delta_rule_fwd_h_hip_kernelILi32ELb0ELb0ELb0ELb0ELb0ELb0ELb1ELb1EEEvPK12hip_bfloat16S3_S3_PKfS5_PKvPS1_S8_PvPKiSB_iiiiilll,comdat
	.globl	_ZN12_GLOBAL__N_139chunk_gated_delta_rule_fwd_h_hip_kernelILi32ELb0ELb0ELb0ELb0ELb0ELb0ELb1ELb1EEEvPK12hip_bfloat16S3_S3_PKfS5_PKvPS1_S8_PvPKiSB_iiiiilll ; -- Begin function _ZN12_GLOBAL__N_139chunk_gated_delta_rule_fwd_h_hip_kernelILi32ELb0ELb0ELb0ELb0ELb0ELb0ELb1ELb1EEEvPK12hip_bfloat16S3_S3_PKfS5_PKvPS1_S8_PvPKiSB_iiiiilll
	.p2align	8
	.type	_ZN12_GLOBAL__N_139chunk_gated_delta_rule_fwd_h_hip_kernelILi32ELb0ELb0ELb0ELb0ELb0ELb0ELb1ELb1EEEvPK12hip_bfloat16S3_S3_PKfS5_PKvPS1_S8_PvPKiSB_iiiiilll,@function
_ZN12_GLOBAL__N_139chunk_gated_delta_rule_fwd_h_hip_kernelILi32ELb0ELb0ELb0ELb0ELb0ELb0ELb1ELb1EEEvPK12hip_bfloat16S3_S3_PKfS5_PKvPS1_S8_PvPKiSB_iiiiilll: ; @_ZN12_GLOBAL__N_139chunk_gated_delta_rule_fwd_h_hip_kernelILi32ELb0ELb0ELb0ELb0ELb0ELb0ELb1ELb1EEEvPK12hip_bfloat16S3_S3_PKfS5_PKvPS1_S8_PvPKiSB_iiiiilll
; %bb.0:
	s_load_dwordx4 s[12:15], s[0:1], 0x5c
	s_load_dwordx2 s[36:37], s[0:1], 0x30
	s_abs_i32 s18, s3
	s_ashr_i32 s17, s3, 31
	s_load_dwordx8 s[4:11], s[0:1], 0x0
	s_waitcnt lgkmcnt(0)
	s_abs_i32 s16, s13
	v_cvt_f32_u32_e32 v1, s16
	s_sub_i32 s20, 0, s16
	s_ashr_i32 s19, s13, 31
	s_xor_b32 s17, s17, s19
	v_rcp_iflag_f32_e32 v1, v1
	v_lshrrev_b32_e32 v42, 6, v0
	v_bfe_u32 v43, v0, 4, 2
	v_lshlrev_b32_e32 v2, 2, v43
	v_mul_f32_e32 v1, 0x4f7ffffe, v1
	v_cvt_u32_f32_e32 v1, v1
	v_and_b32_e32 v41, 63, v0
	v_and_b32_e32 v40, 15, v0
	v_mov_b32_e32 v3, 0
	v_readfirstlane_b32 s21, v1
	s_mul_i32 s20, s20, s21
	s_mul_hi_u32 s20, s21, s20
	s_add_i32 s21, s21, s20
	s_mul_hi_u32 s20, s18, s21
	s_mul_i32 s21, s20, s16
	s_sub_i32 s18, s18, s21
	s_add_i32 s22, s20, 1
	s_sub_i32 s21, s18, s16
	s_cmp_ge_u32 s18, s16
	s_cselect_b32 s20, s22, s20
	s_cselect_b32 s18, s21, s18
	s_add_i32 s21, s20, 1
	s_cmp_ge_u32 s18, s16
	s_cselect_b32 s18, s21, s20
	s_xor_b32 s18, s18, s17
	s_sub_i32 s45, s18, s17
	s_abs_i32 s17, s14
	v_cvt_f32_u32_e32 v1, s17
	s_add_i32 s20, s12, 63
	s_mul_i32 s43, s45, s13
	s_sub_i32 s33, s3, s43
	v_rcp_iflag_f32_e32 v1, v1
	s_ashr_i32 s3, s20, 31
	s_ashr_i32 s44, s12, 31
	s_lshr_b32 s3, s3, 26
	v_mul_f32_e32 v1, 0x4f7ffffe, v1
	v_cvt_u32_f32_e32 v1, v1
	s_lshr_b32 s18, s44, 26
	s_add_i32 s20, s20, s3
	s_add_i32 s18, s12, s18
	s_ashr_i32 s47, s14, 31
	s_ashr_i32 s3, s20, 6
	;; [unrolled: 1-line block ×3, first 2 shown]
	s_xor_b32 s18, s19, s47
	s_sub_i32 s19, 0, s17
	v_readfirstlane_b32 s20, v1
	s_mul_i32 s19, s19, s20
	s_mul_hi_u32 s19, s20, s19
	s_add_i32 s20, s20, s19
	s_mul_hi_u32 s19, s16, s20
	s_mul_i32 s20, s19, s17
	s_sub_i32 s16, s16, s20
	s_add_i32 s20, s19, 1
	s_sub_i32 s21, s16, s17
	s_cmp_ge_u32 s16, s17
	s_cselect_b32 s19, s20, s19
	s_cselect_b32 s16, s21, s16
	s_add_i32 s20, s19, 1
	s_cmp_ge_u32 s16, s17
	s_cselect_b32 s16, s20, s19
	s_xor_b32 s16, s16, s18
	s_sub_i32 s20, s16, s18
	s_abs_i32 s21, s20
	v_cvt_f32_u32_e32 v1, s21
	s_load_dwordx2 s[28:29], s[0:1], 0x80
	s_load_dwordx4 s[16:19], s[0:1], 0x70
	s_xor_b32 s0, s33, s20
	s_sub_i32 s20, 0, s21
	v_rcp_iflag_f32_e32 v1, v1
	s_abs_i32 s1, s33
	s_ashr_i32 s0, s0, 31
	s_mul_i32 s48, s45, s3
	v_mul_f32_e32 v1, 0x4f7ffffe, v1
	v_cvt_u32_f32_e32 v1, v1
	s_mul_hi_i32 s49, s45, s13
	v_lshrrev_b32_e32 v45, 3, v41
	v_lshlrev_b32_e32 v44, 3, v0
	v_readfirstlane_b32 s22, v1
	s_mul_i32 s20, s20, s22
	s_mul_hi_u32 s20, s22, s20
	s_add_i32 s22, s22, s20
	s_mul_hi_u32 s20, s1, s22
	s_mul_i32 s22, s20, s21
	s_sub_i32 s1, s1, s22
	s_add_i32 s22, s20, 1
	s_sub_i32 s23, s1, s21
	s_cmp_ge_u32 s1, s21
	s_cselect_b32 s20, s22, s20
	s_cselect_b32 s1, s23, s1
	s_add_i32 s22, s20, 1
	s_cmp_ge_u32 s1, s21
	s_cselect_b32 s1, s22, s20
	s_xor_b32 s1, s1, s0
	v_lshlrev_b32_e32 v1, 4, v42
	s_sub_i32 s50, s1, s0
	v_or_b32_e32 v46, v2, v1
	s_lshl_b32 s30, s2, 5
	v_or_b32_e32 v47, 64, v46
	s_cmp_lt_i32 s12, 64
	s_waitcnt lgkmcnt(0)
	s_mul_i32 s17, s45, s17
	s_mul_hi_u32 s42, s45, s16
	s_mul_i32 s34, s45, s16
	v_mov_b32_e32 v62, 0
	v_mov_b32_e32 v60, 0
	;; [unrolled: 1-line block ×15, first 2 shown]
	s_cbranch_scc1 .LBB368_18
; %bb.1:
	s_ashr_i32 s24, s45, 31
	s_ashr_i32 s52, s33, 31
	s_add_u32 s0, s43, s33
	s_addc_u32 s1, s49, s52
	s_mul_i32 s1, s12, s1
	s_mul_hi_u32 s2, s12, s0
	s_add_i32 s3, s2, s1
	s_mul_i32 s2, s12, s0
	s_lshl_b64 s[0:1], s[2:3], 8
	v_and_b32_e32 v49, 56, v44
	s_add_u32 s20, s6, s0
	v_lshl_or_b32 v48, v42, 3, v45
	v_lshlrev_b32_e32 v3, 1, v49
	s_addc_u32 s0, s7, s1
	v_lshl_or_b32 v50, v48, 8, v3
	s_and_b32 s21, s0, 0xffff
	s_mov_b32 s23, 0x20000
	s_movk_i32 s22, 0x4000
	s_movk_i32 s0, 0x80
	v_or_b32_e32 v51, 0x2000, v50
	buffer_load_dwordx4 v[4:7], v50, s[20:23], 0 offen
	buffer_load_dwordx4 v[8:11], v50, s[20:23], s0 offen
	;; [unrolled: 1-line block ×4, first 2 shown]
	v_lshlrev_b32_e32 v20, 3, v48
	v_and_or_b32 v22, v0, 7, v20
	v_and_b32_e32 v20, 0x78, v20
	v_lshlrev_b32_e32 v22, 4, v22
	v_xor_b32_e32 v52, v22, v20
	v_mul_lo_u32 v21, v48, s15
	v_or_b32_e32 v53, 0x1000, v52
	s_cmpk_eq_i32 s15, 0x80
	s_mov_b32 s51, s14
	v_xor_b32_e32 v20, 8, v52
	v_xor_b32_e32 v22, 8, v53
	s_cselect_b64 s[0:1], -1, 0
	s_cmpk_lg_i32 s15, 0x80
	s_waitcnt vmcnt(3)
	ds_write_b64 v52, v[4:5] offset:24576
	ds_write_b64 v20, v[6:7] offset:24576
	s_waitcnt vmcnt(2)
	ds_write_b64 v52, v[8:9] offset:32768
	ds_write_b64 v20, v[10:11] offset:32768
	;; [unrolled: 3-line block ×4, first 2 shown]
	v_lshl_add_u32 v4, v21, 1, v49
	s_cbranch_scc0 .LBB368_3
; %bb.2:
	v_lshlrev_b32_e32 v6, 1, v4
	v_add_lshl_u32 v5, v4, s15, 1
	s_lshl_b32 s22, s15, 7
	v_lshl_or_b32 v3, v48, 9, v3
	s_cbranch_execz .LBB368_4
	s_branch .LBB368_5
.LBB368_3:
                                        ; implicit-def: $vgpr5
                                        ; implicit-def: $vgpr6
                                        ; implicit-def: $sgpr22
	v_lshl_or_b32 v3, v48, 9, v3
.LBB368_4:
	v_or_b32_e32 v5, 0x100, v3
	s_movk_i32 s22, 0x4000
	v_mov_b32_e32 v6, v3
.LBB368_5:
	s_mul_hi_u32 s20, s14, s12
	s_mul_i32 s21, s47, s12
	s_add_i32 s20, s20, s21
	s_mul_i32 s21, s14, s12
	s_mul_i32 s23, s21, s24
	s_mul_hi_u32 s25, s21, s45
	s_add_i32 s23, s25, s23
	s_mul_i32 s20, s20, s45
	s_add_i32 s23, s23, s20
	s_mul_i32 s21, s21, s45
	s_ashr_i32 s53, s50, 31
	s_add_u32 s20, s21, s50
	s_addc_u32 s21, s23, s53
	s_lshl_b64 s[20:21], s[20:21], 8
	s_add_u32 s20, s4, s20
	s_addc_u32 s21, s5, s21
	s_and_b32 s21, s21, 0xffff
	s_mov_b32 s23, 0x20000
	s_movk_i32 s54, 0x80
	buffer_load_dwordx4 v[8:11], v6, s[20:23], 0 offen
	buffer_load_dwordx4 v[12:15], v6, s[20:23], s54 offen
	;; [unrolled: 1-line block ×4, first 2 shown]
	v_and_b32_e32 v5, 6, v0
	v_lshlrev_b32_e32 v24, 6, v46
	v_or_b32_e32 v26, 16, v40
	v_xor_b32_e32 v27, v48, v5
	v_and_b32_e32 v6, 1, v0
	s_mul_i32 s20, s24, s12
	s_mul_hi_u32 s21, s45, s12
	v_lshl_or_b32 v30, v40, 3, v24
	v_lshl_or_b32 v24, v26, 3, v24
	v_lshlrev_b32_e32 v27, 2, v27
	v_lshlrev_b32_e32 v7, 2, v40
	v_or_b32_e32 v56, 0xa000, v24
	v_or_b32_e32 v57, 0xb000, v24
	v_xor_b32_e32 v24, 0x440, v27
	v_cmp_eq_u32_e32 vcc, 0, v6
	s_add_i32 s59, s21, s20
	s_add_i32 s20, s42, s17
	s_mul_i32 s24, s24, s16
	v_xor_b32_e32 v28, v46, v7
	v_xor_b32_e32 v29, v47, v7
	v_cndmask_b32_e32 v6, v24, v27, vcc
	s_add_i32 s35, s20, s24
	s_mul_i32 s20, s33, s19
	s_mul_hi_u32 s21, s33, s18
	s_mov_b32 s56, 0x1000504
	v_lshlrev_b32_e32 v25, 8, v40
	v_lshlrev_b32_e32 v28, 1, v28
	;; [unrolled: 1-line block ×3, first 2 shown]
	v_lshl_or_b32 v5, v5, 10, v6
	s_add_i32 s20, s21, s20
	s_mul_i32 s21, s52, s18
	s_mov_b32 s57, 0x3020706
	v_or_b32_e32 v54, 0xa000, v30
	v_or_b32_e32 v55, 0xb000, v30
	;; [unrolled: 1-line block ×4, first 2 shown]
	v_xor_b32_e32 v6, 8, v5
	v_xor_b32_e32 v25, 24, v5
	;; [unrolled: 1-line block ×4, first 2 shown]
	s_add_i32 s21, s20, s21
	s_lshl_b64 s[24:25], s[34:35], 2
	v_xor_b32_e32 v24, 16, v5
	v_xor_b32_e32 v27, 32, v5
	;; [unrolled: 1-line block ×3, first 2 shown]
	v_add_u32_e32 v6, 0x80, v6
	v_add_u32_e32 v25, 0x80, v25
	;; [unrolled: 1-line block ×4, first 2 shown]
	s_mul_i32 s20, s33, s18
	s_add_u32 s22, s10, s24
	s_addc_u32 s24, s11, s25
	s_lshl_b64 s[20:21], s[20:21], 2
	s_add_u32 s38, s22, s20
	s_movk_i32 s20, 0xf8
	s_addc_u32 s39, s24, s21
	s_ashr_i32 s31, s30, 31
	s_lshl_b32 s26, s15, 7
	s_movk_i32 s24, 0x100
	v_mov_b32_e32 v35, 0
	v_cmp_gt_u32_e32 vcc, s24, v0
	s_mov_b32 s55, 0
	s_mul_i32 s58, s45, s12
	s_movk_i32 s35, 0x1000
	s_movk_i32 s22, 0x4000
	v_add_u32_e32 v91, v1, v2
	v_mov_b32_e32 v92, 0x3fb8aa3b
	s_mov_b32 s61, 0
	v_mov_b32_e32 v72, v35
	v_mov_b32_e32 v71, v35
	;; [unrolled: 1-line block ×10, first 2 shown]
	s_waitcnt vmcnt(1)
	v_perm_b32 v33, v8, v16, s56
	s_waitcnt vmcnt(0)
	v_perm_b32 v34, v12, v20, s56
	v_perm_b32 v8, v8, v16, s57
	;; [unrolled: 1-line block ×15, first 2 shown]
	ds_write2st64_b32 v5, v33, v34 offset0:32 offset1:64
	ds_write2st64_b32 v6, v8, v12 offset0:32 offset1:64
	;; [unrolled: 1-line block ×8, first 2 shown]
	v_lshlrev_b32_e32 v5, 8, v26
	v_or_b32_e32 v66, v5, v28
	v_or_b32_e32 v67, v5, v29
	;; [unrolled: 1-line block ×3, first 2 shown]
	v_lshlrev_b32_e32 v5, 3, v5
	v_lshrrev_b32_e32 v8, 5, v41
	v_and_or_b32 v8, v5, s20, v8
	v_lshlrev_b32_e32 v8, 4, v8
	v_lshlrev_b32_e32 v9, 11, v42
	v_and_b32_e32 v5, 0x78, v5
	v_or_b32_e32 v13, 32, v8
	v_and_b32_e32 v6, 0x1000, v9
	v_lshrrev_b32_e32 v11, 1, v0
	v_xor_b32_e32 v13, v13, v5
	v_and_b32_e32 v12, 8, v11
	v_or_b32_e32 v13, v13, v6
	v_xor_b32_e32 v10, v8, v5
	v_xor_b32_e32 v76, v13, v12
	v_or_b32_e32 v13, 64, v8
	v_or_b32_e32 v8, 0x60, v8
	v_xor_b32_e32 v13, v13, v5
	v_xor_b32_e32 v5, v8, v5
	v_or_b32_e32 v10, v10, v6
	v_or_b32_e32 v13, v13, v6
	;; [unrolled: 1-line block ×3, first 2 shown]
	s_lshl_b64 s[20:21], s[30:31], 8
	v_xor_b32_e32 v74, v10, v12
	v_xor_b32_e32 v78, v13, v12
	;; [unrolled: 1-line block ×3, first 2 shown]
	v_lshlrev_b32_e32 v12, 1, v4
	v_add_lshl_u32 v13, v4, s15, 1
	s_add_u32 s20, s36, s20
	v_lshlrev_b32_e32 v4, 1, v40
	v_lshrrev_b32_e32 v15, 4, v0
	s_addc_u32 s21, s37, s21
	v_or_b32_e32 v5, 1, v4
	v_lshlrev_b32_e32 v34, 4, v40
	v_mov_b32_e32 v19, 0x4000
	v_mov_b32_e32 v20, 0x2000
	v_xor_b32_e32 v16, v15, v4
	v_xor_b32_e32 v17, v5, v15
	v_lshl_add_u64 v[4:5], s[20:21], 0, v[34:35]
	v_lshlrev_b32_e32 v34, 8, v15
	v_cndmask_b32_e32 v19, v19, v20, vcc
	v_lshlrev_b32_e32 v20, 3, v42
	v_and_b32_e32 v11, 24, v11
	v_lshl_or_b32 v82, v16, 3, v34
	v_and_b32_e32 v16, 8, v0
	v_xor_b32_e32 v21, v20, v11
	v_or_b32_e32 v22, 0x440, v21
	v_cmp_eq_u32_e32 vcc, 0, v16
	v_and_b32_e32 v15, 7, v0
	v_lshlrev_b32_e32 v10, 7, v43
	v_cndmask_b32_e32 v16, v22, v21, vcc
	v_lshl_or_b32 v83, v17, 3, v34
	v_lshlrev_b32_e32 v17, 3, v15
	v_lshlrev_b32_e32 v15, 7, v15
	;; [unrolled: 1-line block ×3, first 2 shown]
	v_or_b32_e32 v16, v16, v9
	v_or_b32_e32 v7, v10, v7
	v_xad_u32 v84, v16, v17, v15
	v_and_or_b32 v10, v18, 60, v10
	v_mov_b32_e32 v16, 0xb000
	v_lshl_or_b32 v85, v10, 1, v16
	v_or_b32_e32 v10, 32, v11
	v_xor_b32_e32 v10, v20, v10
	v_or_b32_e32 v16, 0x440, v10
	v_cndmask_b32_e32 v10, v16, v10, vcc
	v_or_b32_e32 v10, v10, v9
	v_xad_u32 v86, v10, v17, v15
	v_or_b32_e32 v10, 64, v11
	v_xor_b32_e32 v10, v20, v10
	v_xor_b32_e32 v16, 0x440, v10
	v_cndmask_b32_e32 v10, v16, v10, vcc
	v_or_b32_e32 v10, v10, v9
	v_xad_u32 v87, v10, v17, v15
	v_or_b32_e32 v10, 0x60, v11
	v_xor_b32_e32 v10, v20, v10
	v_xor_b32_e32 v11, 0x440, v10
	v_cndmask_b32_e32 v10, v11, v10, vcc
	v_lshlrev_b32_e32 v7, 1, v7
	v_or_b32_e32 v6, s30, v40
	v_or_b32_e32 v9, v10, v9
	;; [unrolled: 1-line block ×6, first 2 shown]
	v_lshlrev_b32_e32 v8, 7, v46
	v_ashrrev_i32_e32 v7, 31, v6
	v_or_b32_e32 v14, 0x100, v3
	v_xad_u32 v88, v9, v17, v15
	v_cndmask_b32_e64 v89, v12, v3, s[0:1]
	v_cndmask_b32_e64 v90, v13, v14, s[0:1]
	v_lshl_add_u64 v[36:37], v[6:7], 1, s[8:9]
	v_lshl_add_u64 v[38:39], v[4:5], 0, v[34:35]
	s_mov_b32 s31, 0x7060302
	v_lshlrev_b32_e32 v34, 1, v8
	v_add_u32_e32 v93, v19, v84
	v_add_u32_e32 v94, v19, v86
	v_add_u32_e32 v95, v19, v87
	v_add_u32_e32 v96, v19, v88
	v_mov_b32_e32 v65, v35
	v_mov_b32_e32 v100, v35
	;; [unrolled: 1-line block ×6, first 2 shown]
	s_waitcnt lgkmcnt(0)
	s_barrier
.LBB368_6:                              ; =>This Inner Loop Header: Depth=1
	s_add_i32 s60, s61, 1
	s_cmp_lt_i32 s60, s46
	s_mov_b64 s[24:25], 0
	s_cselect_b64 s[40:41], -1, 0
	s_cmp_ge_i32 s60, s46
	s_mov_b64 s[20:21], 0
	s_cbranch_scc1 .LBB368_8
; %bb.7:                                ;   in Loop: Header=BB368_6 Depth=1
	s_add_i32 s0, s55, 64
	s_add_u32 s0, s2, s0
	s_addc_u32 s1, s3, 0
	s_lshl_b64 s[0:1], s[0:1], 8
	s_add_u32 s20, s6, s0
	s_addc_u32 s21, s7, s1
.LBB368_8:                              ;   in Loop: Header=BB368_6 Depth=1
	v_cndmask_b32_e64 v2, 0, 1, s[40:41]
	v_cmp_ne_u32_e64 s[0:1], 1, v2
	s_andn2_b64 vcc, exec, s[40:41]
	s_cbranch_vccnz .LBB368_10
; %bb.9:                                ;   in Loop: Header=BB368_6 Depth=1
	s_add_i32 s24, s55, 64
	s_add_u32 s24, s58, s24
	s_addc_u32 s25, s59, 0
	s_mul_i32 s27, s24, s47
	s_mul_hi_u32 s40, s24, s51
	s_add_i32 s27, s40, s27
	s_mul_i32 s25, s25, s51
	s_add_i32 s27, s27, s25
	s_mul_i32 s24, s24, s51
	s_add_u32 s24, s24, s50
	s_addc_u32 s25, s27, s53
	s_lshl_b64 s[24:25], s[24:25], 8
	s_add_u32 s24, s4, s24
	s_addc_u32 s25, s5, s25
.LBB368_10:                             ;   in Loop: Header=BB368_6 Depth=1
	v_perm_b32 v3, v99, v73, s31
	v_perm_b32 v2, v71, v72, s31
	;; [unrolled: 1-line block ×4, first 2 shown]
	ds_write_b64 v54, v[2:3]
	ds_write_b64 v55, v[4:5]
	;; [unrolled: 1-line block ×4, first 2 shown]
	v_perm_b32 v3, v100, v65, s31
	v_perm_b32 v2, v63, v64, s31
	;; [unrolled: 1-line block ×4, first 2 shown]
	ds_write_b64 v56, v[2:3]
	ds_write_b64 v57, v[4:5]
	;; [unrolled: 1-line block ×4, first 2 shown]
	s_waitcnt lgkmcnt(0)
	s_barrier
	ds_read_b64 v[6:7], v74 offset:24576
	ds_read2_b64 v[2:5], v75 offset1:16
	ds_read_b64 v[10:11], v77 offset:3072
	ds_read_b64 v[12:13], v75 offset:3072
	;; [unrolled: 1-line block ×3, first 2 shown]
	s_waitcnt lgkmcnt(3)
	v_mfma_f32_16x16x16_bf16 a[0:3], v[6:7], v[2:3], 0
	s_add_i32 s27, s55, 63
	s_mul_i32 s40, s27, s29
	s_mul_hi_u32 s41, s27, s28
	v_mfma_f32_16x16x16_bf16 a[4:7], v[6:7], v[4:5], 0
	ds_read2st64_b64 v[2:5], v75 offset0:2 offset1:4
	ds_read2st64_b64 v[6:9], v77 offset0:2 offset1:4
	s_add_i32 s41, s41, s40
	s_waitcnt lgkmcnt(1)
	v_mfma_f32_16x16x16_bf16 a[0:3], v[14:15], v[2:3], a[0:3]
	s_mul_i32 s40, s27, s28
	s_lshl_b64 s[40:41], s[40:41], 2
	s_add_u32 s40, s38, s40
	s_waitcnt lgkmcnt(0)
	v_mfma_f32_16x16x16_bf16 a[4:7], v[14:15], v[6:7], a[4:7]
	ds_read_b64 v[2:3], v78 offset:24576
	ds_read_b64 v[6:7], v79 offset:24576
	s_addc_u32 s41, s39, s41
	s_and_b64 vcc, exec, s[0:1]
	s_waitcnt lgkmcnt(1)
	v_mfma_f32_16x16x16_bf16 a[0:3], v[2:3], v[4:5], a[0:3]
	v_mov_b32_e32 v103, 0
	v_mov_b32_e32 v102, 0
	v_mov_b32_e32 v101, 0
	v_mfma_f32_16x16x16_bf16 a[4:7], v[2:3], v[8:9], a[4:7]
	v_mov_b32_e32 v2, 0
	v_mov_b32_e32 v3, 0
	;; [unrolled: 1-line block ×3, first 2 shown]
	s_waitcnt lgkmcnt(0)
	v_mfma_f32_16x16x16_bf16 a[0:3], v[6:7], v[12:13], a[0:3]
	v_mov_b32_e32 v5, 0
	v_mov_b32_e32 v8, 0
	;; [unrolled: 1-line block ×3, first 2 shown]
	v_mfma_f32_16x16x16_bf16 a[4:7], v[6:7], v[10:11], a[4:7]
	v_mov_b32_e32 v6, 0
	v_mov_b32_e32 v7, 0
	;; [unrolled: 1-line block ×10, first 2 shown]
	s_cbranch_vccnz .LBB368_12
; %bb.11:                               ;   in Loop: Header=BB368_6 Depth=1
	s_and_b32 s21, s21, 0xffff
	buffer_load_dwordx4 v[14:17], v50, s[20:23], 0 offen
	buffer_load_dwordx4 v[10:13], v50, s[20:23], s54 offen
	;; [unrolled: 1-line block ×4, first 2 shown]
	v_mov_b32_e32 v102, v52
	v_mov_b32_e32 v101, v53
.LBB368_12:                             ;   in Loop: Header=BB368_6 Depth=1
	s_waitcnt vmcnt(4)
	ds_read_b64 v[22:23], v74 offset:32768
	s_waitcnt vmcnt(2)
	ds_read2_b64 v[18:21], v80 offset1:16
	ds_read_b64 v[26:27], v76 offset:32768
	ds_read_b64 v[28:29], v78 offset:32768
	;; [unrolled: 1-line block ×3, first 2 shown]
	v_add_u32_e32 v32, s55, v91
	s_waitcnt lgkmcnt(3)
	v_mfma_f32_16x16x16_bf16 a[0:3], v[22:23], v[18:19], a[0:3]
	v_mul_lo_u32 v33, v32, s29
	v_mfma_f32_16x16x16_bf16 a[4:7], v[22:23], v[20:21], a[4:7]
	ds_read2st64_b64 v[18:21], v80 offset0:2 offset1:4
	ds_read2st64_b64 v[22:25], v81 offset0:2 offset1:4
	s_waitcnt lgkmcnt(1)
	v_mfma_f32_16x16x16_bf16 a[0:3], v[26:27], v[18:19], a[0:3]
	v_ashrrev_i32_e32 v18, 31, v32
	v_mul_lo_u32 v104, v18, s28
	v_mad_u64_u32 v[18:19], s[20:21], v32, s28, 0
	v_mfma_f32_16x16x16_bf16 a[0:3], v[28:29], v[20:21], a[0:3]
	v_add_u32_e32 v20, 1, v32
	v_ashrrev_i32_e32 v21, 31, v20
	v_add3_u32 v19, v19, v33, v104
	s_waitcnt lgkmcnt(0)
	v_mfma_f32_16x16x16_bf16 a[4:7], v[26:27], v[22:23], a[4:7]
	v_mul_lo_u32 v22, v21, s28
	v_mul_lo_u32 v23, v20, s29
	v_mad_u64_u32 v[20:21], s[20:21], v20, s28, 0
	v_add3_u32 v21, v21, v23, v22
	v_add_u32_e32 v22, 2, v32
	v_ashrrev_i32_e32 v23, 31, v22
	v_mul_lo_u32 v26, v23, s28
	v_mul_lo_u32 v27, v22, s29
	v_mad_u64_u32 v[22:23], s[20:21], v22, s28, 0
	v_add3_u32 v23, v23, v27, v26
	v_add_u32_e32 v26, 3, v32
	v_ashrrev_i32_e32 v27, 31, v26
	v_mul_lo_u32 v32, v27, s28
	v_mul_lo_u32 v33, v26, s29
	v_mad_u64_u32 v[26:27], s[20:21], v26, s28, 0
	s_add_u32 s20, s2, s55
	s_addc_u32 s21, s3, 0
	s_lshl_b64 s[20:21], s[20:21], 8
	v_lshl_add_u64 v[18:19], v[18:19], 2, s[38:39]
	v_lshl_add_u64 v[20:21], v[20:21], 2, s[38:39]
	v_add3_u32 v27, v27, v33, v32
	v_lshl_add_u64 v[32:33], v[36:37], 0, s[20:21]
	v_lshl_add_u64 v[22:23], v[22:23], 2, s[38:39]
	;; [unrolled: 1-line block ×3, first 2 shown]
	global_load_dword v104, v[18:19], off
	global_load_ushort v105, v[32:33], off offset:256
	global_load_ushort v106, v[32:33], off
	global_load_ushort v107, v[32:33], off offset:768
	global_load_ushort v108, v[32:33], off offset:512
	v_lshl_add_u64 v[18:19], v[26:27], 2, s[38:39]
	global_load_dword v109, v[20:21], off
	global_load_dword v110, v[22:23], off
	;; [unrolled: 1-line block ×3, first 2 shown]
	ds_read_b64 v[18:19], v80 offset:3072
	ds_read_b64 v[20:21], v81 offset:3072
	global_load_ushort v112, v[32:33], off offset:800
	global_load_ushort v113, v[32:33], off offset:544
	;; [unrolled: 1-line block ×3, first 2 shown]
	s_nop 0
	global_load_ushort v32, v[32:33], off offset:32
	s_load_dword s20, s[40:41], 0x0
	v_mfma_f32_16x16x16_bf16 a[4:7], v[28:29], v[24:25], a[4:7]
	s_and_b64 vcc, exec, s[0:1]
	v_mov_b32_e32 v33, 0
	s_waitcnt vmcnt(11) lgkmcnt(0)
	v_sub_f32_e32 v28, s20, v104
	v_mfma_f32_16x16x16_bf16 a[0:3], v[30:31], v[18:19], a[0:3]
	v_mul_f32_e32 v28, 0x3fb8aa3b, v28
	v_exp_f32_e32 v28, v28
	s_waitcnt vmcnt(6)
	v_sub_f32_e32 v29, s20, v109
	v_mfma_f32_16x16x16_bf16 a[4:7], v[30:31], v[20:21], a[4:7]
	s_waitcnt vmcnt(5)
	v_sub_f32_e32 v30, s20, v110
	s_waitcnt vmcnt(4)
	v_sub_f32_e32 v31, s20, v111
	v_mul_f32_e32 v29, 0x3fb8aa3b, v29
	v_mul_f32_e32 v30, 0x3fb8aa3b, v30
	;; [unrolled: 1-line block ×3, first 2 shown]
	v_exp_f32_e32 v29, v29
	v_exp_f32_e32 v30, v30
	;; [unrolled: 1-line block ×3, first 2 shown]
	v_accvgpr_read_b32 v23, a1
	v_accvgpr_read_b32 v19, a3
	;; [unrolled: 1-line block ×4, first 2 shown]
	v_lshlrev_b32_e32 v25, 16, v105
	v_lshlrev_b32_e32 v24, 16, v106
	;; [unrolled: 1-line block ×4, first 2 shown]
	v_pk_add_f32 v[22:23], v[24:25], v[22:23] neg_lo:[0,1] neg_hi:[0,1]
	v_pk_add_f32 v[18:19], v[26:27], v[18:19] neg_lo:[0,1] neg_hi:[0,1]
	v_pk_mul_f32 v[22:23], v[28:29], v[22:23]
	v_pk_mul_f32 v[18:19], v[30:31], v[18:19]
	v_accvgpr_read_b32 v25, a5
	v_perm_b32 v19, v19, v18, s31
	v_perm_b32 v18, v23, v22, s31
	s_waitcnt vmcnt(1)
	v_lshlrev_b32_e32 v23, 16, v114
	s_waitcnt vmcnt(0)
	v_lshlrev_b32_e32 v22, 16, v32
	v_accvgpr_read_b32 v24, a4
	v_accvgpr_read_b32 v21, a7
	;; [unrolled: 1-line block ×3, first 2 shown]
	v_pk_add_f32 v[22:23], v[22:23], v[24:25] neg_lo:[0,1] neg_hi:[0,1]
	v_lshlrev_b32_e32 v25, 16, v112
	v_lshlrev_b32_e32 v24, 16, v113
	v_pk_add_f32 v[20:21], v[24:25], v[20:21] neg_lo:[0,1] neg_hi:[0,1]
	v_pk_mul_f32 v[22:23], v[28:29], v[22:23]
	v_pk_mul_f32 v[20:21], v[30:31], v[20:21]
	v_mov_b32_e32 v104, 0
	v_perm_b32 v21, v21, v20, s31
	v_perm_b32 v20, v23, v22, s31
	ds_write2_b64 v55, v[18:19], v[20:21] offset1:16
	v_mov_b32_e32 v18, 0
	v_mov_b32_e32 v19, 0
	;; [unrolled: 1-line block ×15, first 2 shown]
	s_cbranch_vccnz .LBB368_14
; %bb.13:                               ;   in Loop: Header=BB368_6 Depth=1
	s_and_b32 s25, s25, 0xffff
	s_mov_b32 s27, s23
	buffer_load_dwordx4 v[30:33], v89, s[24:27], 0 offen
	buffer_load_dwordx4 v[22:25], v89, s[24:27], s54 offen
	;; [unrolled: 1-line block ×4, first 2 shown]
	v_mov_b32_e32 v103, v49
	v_mov_b32_e32 v104, v48
.LBB368_14:                             ;   in Loop: Header=BB368_6 Depth=1
	s_waitcnt lgkmcnt(0)
	s_barrier
	ds_read_b64 v[110:111], v93
	ds_read_b64 v[118:119], v85
	ds_read_b64 v[114:115], v94
	ds_read_b64 v[120:121], v95
	ds_read_b64 v[122:123], v96
	ds_read_b64 v[124:125], v86 offset:16384
	ds_read_b64 v[126:127], v84 offset:16384
	ds_read2_b64 v[106:109], v80 offset0:16 offset1:128
	s_waitcnt lgkmcnt(6)
	v_mfma_f32_16x16x16_bf16 a[0:3], v[110:111], v[118:119], 0
	ds_read_b64 v[128:129], v81 offset:3072
	ds_read_b64 v[130:131], v88 offset:16384
	s_add_i32 s21, s48, s61
	s_waitcnt lgkmcnt(2)
	v_mfma_f32_16x16x16_bf16 a[4:7], v[110:111], v[106:107], 0
	ds_read2st64_b64 v[110:113], v81 offset0:2 offset1:4
	s_mul_hi_i32 s25, s21, s13
	s_mul_i32 s21, s21, s13
	v_mfma_f32_16x16x16_bf16 a[0:3], v[114:115], v[108:109], a[0:3]
	s_add_u32 s24, s21, s33
	s_addc_u32 s25, s25, s52
	s_lshl_b64 s[24:25], s[24:25], 15
	s_waitcnt lgkmcnt(0)
	v_mfma_f32_16x16x16_bf16 a[4:7], v[114:115], v[110:111], a[4:7]
	ds_read2st64_b64 v[114:117], v80 offset0:4 offset1:6
	s_waitcnt lgkmcnt(0)
	v_mfma_f32_16x16x16_bf16 a[0:3], v[120:121], v[114:115], a[0:3]
	v_mfma_f32_16x16x16_bf16 a[8:11], v[120:121], v[112:113], a[4:7]
	;; [unrolled: 1-line block ×5, first 2 shown]
	ds_read2st64_b64 v[118:121], v83 offset1:8
	v_mfma_f32_16x16x16_bf16 a[12:15], v[126:127], v[106:107], 0
	ds_read_b64 v[126:127], v87 offset:16384
	v_mfma_f32_16x16x16_bf16 a[8:11], v[124:125], v[108:109], a[8:11]
	ds_read2st64_b64 v[106:109], v82 offset1:8
	s_waitcnt lgkmcnt(0)
	v_mov_b32_e32 v122, v106
	v_mfma_f32_16x16x16_bf16 a[12:15], v[124:125], v[110:111], a[12:15]
	v_lshl_add_u64 v[110:111], v[38:39], 0, s[24:25]
	v_add_co_u32_e32 v106, vcc, s35, v110
	v_mfma_f32_16x16x16_bf16 a[8:11], v[126:127], v[114:115], a[8:11]
	v_mov_b32_e32 v123, v107
	v_addc_co_u32_e32 v107, vcc, 0, v111, vcc
	v_mfma_f32_16x16x16_bf16 a[16:19], v[126:127], v[112:113], a[12:15]
	v_mov_b32_e32 v124, v118
	v_mov_b32_e32 v125, v119
	;; [unrolled: 1-line block ×3, first 2 shown]
	v_mfma_f32_16x16x16_bf16 a[12:15], v[130:131], v[116:117], a[8:11]
	v_mov_b32_e32 v119, v109
	s_and_b64 vcc, exec, s[0:1]
	global_store_dwordx4 v[110:111], v[122:125], off
	v_mfma_f32_16x16x16_bf16 a[8:11], v[130:131], v[128:129], a[16:19]
	global_store_dwordx4 v[106:107], v[118:121], off
	s_cbranch_vccnz .LBB368_16
; %bb.15:                               ;   in Loop: Header=BB368_6 Depth=1
	v_lshrrev_b32_e32 v105, 3, v103
	v_and_b32_e32 v105, 6, v105
	v_xor_b32_e32 v104, v105, v104
	v_lshlrev_b32_e32 v104, 2, v104
	v_and_b32_e32 v103, 8, v103
	v_xor_b32_e32 v106, 0x440, v104
	v_cmp_eq_u32_e32 vcc, 0, v103
	s_barrier
	s_nop 0
	v_cndmask_b32_e32 v103, v106, v104, vcc
	v_lshl_or_b32 v103, v105, 10, v103
	s_waitcnt vmcnt(3)
	v_perm_b32 v104, v30, v26, s56
	s_waitcnt vmcnt(2)
	v_perm_b32 v105, v22, v18, s56
	ds_write2st64_b32 v103, v104, v105 offset0:32 offset1:64
	v_xor_b32_e32 v104, 8, v103
	v_perm_b32 v26, v30, v26, s57
	v_perm_b32 v18, v22, v18, s57
	v_add_u32_e32 v22, 0x80, v104
	ds_write2st64_b32 v22, v26, v18 offset0:32 offset1:64
	v_xor_b32_e32 v18, 16, v103
	v_perm_b32 v22, v31, v27, s56
	v_perm_b32 v26, v23, v19, s56
	ds_write2st64_b32 v18, v22, v26 offset0:33 offset1:65
	v_xor_b32_e32 v18, 24, v103
	v_perm_b32 v22, v31, v27, s57
	v_perm_b32 v19, v23, v19, s57
	v_add_u32_e32 v18, 0x80, v18
	ds_write2st64_b32 v18, v22, v19 offset0:33 offset1:65
	v_xor_b32_e32 v18, 32, v103
	v_perm_b32 v19, v32, v28, s56
	;; [unrolled: 9-line block ×3, first 2 shown]
	v_perm_b32 v20, v25, v21, s56
	ds_write2st64_b32 v18, v19, v20 offset0:35 offset1:67
	v_xor_b32_e32 v18, 56, v103
	v_perm_b32 v19, v33, v29, s57
	v_perm_b32 v20, v25, v21, s57
	v_add_u32_e32 v18, 0x80, v18
	ds_write2st64_b32 v18, v19, v20 offset0:35 offset1:67
	ds_write_b64 v102, v[14:15] offset:24576
	v_xor_b32_e32 v14, 8, v102
	ds_write_b64 v14, v[16:17] offset:24576
	ds_write_b64 v102, v[10:11] offset:32768
	;; [unrolled: 1-line block ×4, first 2 shown]
	v_xor_b32_e32 v6, 8, v101
	ds_write_b64 v6, v[8:9] offset:24576
	ds_write_b64 v101, v[2:3] offset:32768
	;; [unrolled: 1-line block ×3, first 2 shown]
.LBB368_16:                             ;   in Loop: Header=BB368_6 Depth=1
	v_mul_f32_e32 v2, s20, v92
	v_exp_f32_e32 v2, v2
	v_accvgpr_read_b32 v3, a4
	v_accvgpr_read_b32 v4, a5
	;; [unrolled: 1-line block ×3, first 2 shown]
	v_fma_f32 v72, v72, v2, v3
	v_accvgpr_read_b32 v3, a6
	v_fma_f32 v73, v73, v2, v3
	v_accvgpr_read_b32 v3, a0
	;; [unrolled: 2-line block ×11, first 2 shown]
	v_accvgpr_read_b32 v6, a15
	v_fma_f32 v62, v62, v2, v3
	v_accvgpr_read_b32 v3, a11
	s_add_i32 s55, s55, 64
	v_fmac_f32_e32 v5, v99, v2
	v_fmac_f32_e32 v4, v100, v2
	;; [unrolled: 1-line block ×3, first 2 shown]
	s_cmp_eq_u32 s46, s60
	v_fmac_f32_e32 v3, v98, v2
	s_cbranch_scc1 .LBB368_18
; %bb.17:                               ;   in Loop: Header=BB368_6 Depth=1
	s_mov_b32 s61, s60
	v_mov_b32_e32 v99, v5
	v_mov_b32_e32 v97, v6
	;; [unrolled: 1-line block ×4, first 2 shown]
	s_branch .LBB368_6
.LBB368_18:
	s_lshl_b32 s40, s46, 6
	s_sub_i32 s41, s12, s40
	s_cmp_gt_i32 s41, 0
	s_cbranch_scc0 .LBB368_83
; %bb.19:
	s_ashr_i32 s35, s45, 31
	s_ashr_i32 s2, s40, 31
	s_cmpk_lg_i32 s15, 0x80
	s_cselect_b64 s[26:27], -1, 0
	s_and_b64 vcc, exec, s[26:27]
	s_cbranch_vccz .LBB368_21
; %bb.20:
	s_mul_i32 s1, s45, s12
	s_mul_hi_i32 s0, s45, s12
	s_add_u32 s1, s1, s40
	s_addc_u32 s0, s0, s2
	s_mul_i32 s3, s1, s47
	s_mul_hi_u32 s20, s1, s14
	s_add_i32 s3, s20, s3
	s_mul_i32 s0, s0, s14
	s_add_i32 s3, s3, s0
	s_mul_i32 s1, s1, s14
	s_ashr_i32 s0, s50, 31
	s_add_u32 s38, s1, s50
	s_addc_u32 s39, s3, s0
	s_cbranch_execz .LBB368_22
	s_branch .LBB368_23
.LBB368_21:
                                        ; implicit-def: $sgpr38_sgpr39
.LBB368_22:
	s_mul_hi_i32 s0, s45, s14
	s_mul_i32 s45, s45, s14
	s_ashr_i32 s1, s50, 31
	s_add_u32 s3, s45, s50
	s_addc_u32 s0, s0, s1
	s_mul_i32 s1, s3, s44
	s_mul_hi_u32 s14, s3, s12
	s_add_i32 s1, s14, s1
	s_mul_i32 s0, s0, s12
	s_add_i32 s1, s1, s0
	s_mul_i32 s3, s3, s12
	s_add_u32 s38, s3, s40
	s_addc_u32 s39, s1, s2
.LBB368_23:
	s_add_i32 s3, s48, s46
	s_ashr_i32 s14, s33, 31
	s_add_u32 s0, s43, s33
	s_addc_u32 s1, s49, s14
	s_mul_i32 s20, s0, s44
	s_mul_hi_u32 s21, s0, s12
	s_add_i32 s20, s21, s20
	s_mul_i32 s1, s1, s12
	s_add_i32 s20, s20, s1
	s_mul_i32 s0, s0, s12
	s_add_u32 s0, s0, s40
	s_addc_u32 s1, s20, s2
	v_lshlrev_b32_e32 v10, 5, v46
	s_waitcnt vmcnt(4)
	v_lshlrev_b32_e32 v22, 2, v40
	s_mov_b32 s2, 0x7060302
	v_xor_b32_e32 v2, v46, v22
	v_perm_b32 v9, v5, v73, s2
	v_or_b32_e32 v5, v10, v22
	v_perm_b32 v8, v71, v72, s2
	v_perm_b32 v7, v6, v70, s2
	;; [unrolled: 1-line block ×3, first 2 shown]
	v_lshlrev_b32_e32 v5, 1, v5
	v_lshlrev_b32_e32 v12, 1, v2
	;; [unrolled: 1-line block ×3, first 2 shown]
	s_lshl_b64 s[24:25], s[0:1], 8
	v_xor_b32_e32 v11, v47, v22
	ds_write2st64_b64 v5, v[8:9], v[6:7] offset0:80 offset1:88
	v_or_b32_e32 v5, v12, v2
	s_add_u32 s0, s6, s24
	ds_write_b64 v5, v[8:9]
	v_lshlrev_b32_e32 v8, 1, v11
	s_addc_u32 s1, s7, s25
	v_or_b32_e32 v2, v8, v2
	s_mul_hi_i32 s6, s3, s13
	s_mul_i32 s3, s3, s13
	ds_write_b64 v2, v[6:7]
	v_perm_b32 v5, v4, v65, s2
	v_perm_b32 v4, v63, v64, s2
	;; [unrolled: 1-line block ×4, first 2 shown]
	v_or_b32_e32 v6, 16, v40
	s_add_u32 s2, s3, s33
	s_waitcnt vmcnt(2)
	v_lshlrev_b32_e32 v19, 2, v6
	s_addc_u32 s3, s6, s14
	v_or_b32_e32 v7, v10, v19
	s_ashr_i32 s31, s30, 31
	s_lshl_b64 s[2:3], s[2:3], 15
	v_lshlrev_b32_e32 v7, 1, v7
	v_lshlrev_b32_e32 v6, 8, v6
	s_add_u32 s6, s36, s2
	ds_write2st64_b64 v7, v[4:5], v[2:3] offset0:80 offset1:88
	v_or_b32_e32 v7, v12, v6
	s_addc_u32 s7, s37, s3
	s_lshl_b64 s[2:3], s[30:31], 8
	ds_write_b64 v7, v[4:5]
	v_or_b32_e32 v4, v8, v6
	s_add_u32 s2, s6, s2
	ds_write_b64 v4, v[2:3]
	v_lshrrev_b32_e32 v2, 4, v0
	s_addc_u32 s3, s7, s3
	v_lshlrev_b32_e32 v3, 1, v40
	v_lshlrev_b32_e32 v10, 4, v40
	v_mov_b32_e32 v11, 0
	v_or_b32_e32 v4, 1, v3
	v_xor_b32_e32 v3, v2, v3
	v_lshl_add_u64 v[12:13], s[2:3], 0, v[10:11]
	v_lshlrev_b32_e32 v10, 8, v2
	v_xor_b32_e32 v6, v4, v2
	v_lshl_or_b32 v2, v3, 3, v10
	s_waitcnt lgkmcnt(0)
	s_barrier
	ds_read2st64_b64 v[2:5], v2 offset1:8
	v_lshl_or_b32 v6, v6, 3, v10
	ds_read2st64_b64 v[6:9], v6 offset1:8
	v_lshl_add_u64 v[14:15], v[12:13], 0, v[10:11]
	s_movk_i32 s2, 0x1000
	s_waitcnt lgkmcnt(1)
	v_mov_b32_e32 v10, v2
	v_add_co_u32_e32 v2, vcc, s2, v14
	s_cmp_lg_u32 s41, 64
	v_mov_b32_e32 v11, v3
	v_addc_co_u32_e32 v3, vcc, 0, v15, vcc
	s_cselect_b64 s[6:7], -1, 0
	v_lshl_or_b32 v23, v42, 3, v45
	s_waitcnt lgkmcnt(0)
	v_mov_b32_e32 v12, v6
	v_mov_b32_e32 v13, v7
	;; [unrolled: 1-line block ×4, first 2 shown]
	s_mov_b32 s20, 0
	v_or_b32_e32 v20, 32, v23
	v_and_b32_e32 v18, 56, v44
	s_and_b64 vcc, exec, s[6:7]
	global_store_dwordx4 v[14:15], v[10:13], off
	global_store_dwordx4 v[2:3], v[6:9], off
	s_cbranch_vccz .LBB368_29
; %bb.24:
	s_mov_b32 s21, s20
	s_mov_b32 s22, s20
	;; [unrolled: 1-line block ×3, first 2 shown]
	v_mov_b64_e32 v[6:7], s[20:21]
	v_mov_b64_e32 v[8:9], s[22:23]
	;; [unrolled: 1-line block ×3, first 2 shown]
	v_cmp_gt_i32_e32 vcc, s41, v23
	v_mov_b64_e32 v[4:5], v[8:9]
	s_and_saveexec_b64 s[2:3], vcc
	s_cbranch_execz .LBB368_26
; %bb.25:
	v_lshlrev_b32_e32 v2, 8, v23
	v_mov_b32_e32 v3, 0
	v_lshl_add_u64 v[4:5], s[0:1], 0, v[2:3]
	v_lshlrev_b32_e32 v2, 1, v18
	v_lshl_add_u64 v[10:11], v[4:5], 0, v[2:3]
	global_load_dwordx4 v[6:9], v[10:11], off
	global_load_dwordx4 v[2:5], v[10:11], off offset:128
.LBB368_26:
	s_or_b64 exec, exec, s[2:3]
	s_mov_b32 s21, s20
	s_mov_b32 s22, s20
	;; [unrolled: 1-line block ×3, first 2 shown]
	v_mov_b64_e32 v[14:15], s[20:21]
	v_mov_b64_e32 v[16:17], s[22:23]
	;; [unrolled: 1-line block ×3, first 2 shown]
	v_cmp_gt_i32_e32 vcc, s41, v20
	v_lshlrev_b32_e32 v21, 7, v20
	v_mov_b64_e32 v[12:13], v[16:17]
	s_and_saveexec_b64 s[2:3], vcc
	s_cbranch_execz .LBB368_28
; %bb.27:
	v_lshlrev_b32_e32 v10, 1, v21
	v_mov_b32_e32 v11, 0
	v_lshl_add_u64 v[12:13], s[0:1], 0, v[10:11]
	v_lshlrev_b32_e32 v10, 1, v18
	v_lshl_add_u64 v[24:25], v[12:13], 0, v[10:11]
	global_load_dwordx4 v[14:17], v[24:25], off
	global_load_dwordx4 v[10:13], v[24:25], off offset:128
.LBB368_28:
	s_or_b64 exec, exec, s[2:3]
	v_lshrrev_b32_e32 v24, 3, v18
	v_lshlrev_b32_e32 v25, 3, v23
	v_or_b32_e32 v24, v25, v24
	v_lshlrev_b32_e32 v24, 4, v24
	v_and_b32_e32 v25, 0x78, v25
	v_xor_b32_e32 v24, v24, v25
	s_branch .LBB368_31
.LBB368_29:
                                        ; implicit-def: $vgpr24
                                        ; implicit-def: $vgpr21
                                        ; implicit-def: $vgpr6_vgpr7_vgpr8_vgpr9
                                        ; implicit-def: $vgpr2_vgpr3_vgpr4_vgpr5
                                        ; implicit-def: $vgpr14_vgpr15_vgpr16_vgpr17
                                        ; implicit-def: $vgpr10_vgpr11_vgpr12_vgpr13
	s_cbranch_execz .LBB368_31
; %bb.30:
	s_waitcnt vmcnt(0)
	v_lshlrev_b32_e32 v2, 1, v18
	v_lshl_or_b32 v21, v23, 8, v2
	s_and_b32 s1, s1, 0xffff
	s_mov_b32 s3, 0x20000
	s_movk_i32 s2, 0x4000
	v_lshl_or_b32 v24, v20, 8, v2
	s_movk_i32 s13, 0x80
	buffer_load_dwordx4 v[6:9], v21, s[0:3], 0 offen
	buffer_load_dwordx4 v[2:5], v21, s[0:3], s13 offen
	buffer_load_dwordx4 v[14:17], v24, s[0:3], 0 offen
	buffer_load_dwordx4 v[10:13], v24, s[0:3], s13 offen
	v_lshrrev_b32_e32 v21, 3, v18
	v_lshlrev_b32_e32 v24, 3, v23
	v_or_b32_e32 v21, v24, v21
	v_lshlrev_b32_e32 v21, 4, v21
	v_and_b32_e32 v24, 0x78, v24
	v_xor_b32_e32 v24, v21, v24
	v_lshlrev_b32_e32 v21, 7, v20
.LBB368_31:
	s_lshl_b64 s[0:1], s[38:39], 8
	s_add_u32 s4, s4, s0
	s_movk_i32 s0, 0x1000
	v_and_or_b32 v20, v21, s0, v24
	s_waitcnt vmcnt(1)
	ds_write_b64 v24, v[6:7] offset:24576
	v_xor_b32_e32 v6, 8, v24
	ds_write_b64 v6, v[8:9] offset:24576
	s_waitcnt vmcnt(0)
	ds_write_b64 v24, v[2:3] offset:32768
	ds_write_b64 v6, v[4:5] offset:32768
	;; [unrolled: 1-line block ×3, first 2 shown]
	v_xor_b32_e32 v2, 8, v20
	ds_write_b64 v2, v[16:17] offset:24576
	ds_write_b64 v20, v[10:11] offset:32768
	;; [unrolled: 1-line block ×3, first 2 shown]
	v_or_b32_e32 v2, v1, v40
	v_lshlrev_b32_e32 v3, 11, v42
	v_lshlrev_b32_e32 v2, 3, v2
	v_and_b32_e32 v6, 0x1000, v3
	v_lshrrev_b32_e32 v3, 5, v41
	s_movk_i32 s13, 0xf8
	v_and_or_b32 v3, v2, s13, v3
	v_lshlrev_b32_e32 v7, 4, v3
	v_and_b32_e32 v8, 0x78, v2
	v_or_b32_e32 v10, 32, v7
	v_lshrrev_b32_e32 v3, 1, v41
	v_xor_b32_e32 v10, v10, v8
	v_xor_b32_e32 v2, v7, v8
	v_and_b32_e32 v9, 8, v3
	v_or_b32_e32 v10, v10, v6
	v_or_b32_e32 v2, v2, v6
	v_xor_b32_e32 v26, v10, v9
	v_or_b32_e32 v10, 64, v7
	v_xor_b32_e32 v25, v2, v9
	v_xor_b32_e32 v10, v10, v8
	s_waitcnt lgkmcnt(0)
	s_barrier
	v_or_b32_e32 v12, v10, v6
	ds_read_b64 v[10:11], v25 offset:24576
	v_lshl_or_b32 v20, v43, 7, v22
	v_lshlrev_b32_e32 v24, 1, v20
	v_add_u32_e32 v2, 0xa000, v24
	ds_read2_b64 v[2:5], v2 offset1:16
	v_or_b32_e32 v7, 0x60, v7
	v_xor_b32_e32 v7, v7, v8
	s_waitcnt lgkmcnt(0)
	v_mfma_f32_16x16x16_bf16 a[0:3], v[10:11], v[2:3], 0
	v_or_b32_e32 v2, 64, v20
	v_or_b32_e32 v6, v7, v6
	v_lshlrev_b32_e32 v29, 1, v2
	v_xor_b32_e32 v27, v12, v9
	v_xor_b32_e32 v28, v6, v9
	ds_read_b64 v[12:13], v26 offset:24576
	ds_read_b64 v[14:15], v27 offset:24576
	;; [unrolled: 1-line block ×3, first 2 shown]
	v_mfma_f32_16x16x16_bf16 a[4:7], v[10:11], v[4:5], 0
	ds_read2st64_b64 v[2:5], v29 offset0:82 offset1:84
	ds_read2st64_b64 v[6:9], v24 offset0:82 offset1:84
	s_addc_u32 s5, s5, s1
	s_add_i32 s2, s12, -1
	s_add_i32 s0, s42, s17
	s_mul_i32 s35, s35, s16
	s_add_i32 s35, s0, s35
	s_mul_i32 s0, s33, s19
	s_mul_hi_u32 s1, s33, s18
	s_ashr_i32 s3, s2, 31
	s_mul_i32 s12, s2, s29
	s_mul_hi_u32 s13, s2, s28
	s_add_i32 s0, s1, s0
	s_mul_i32 s1, s14, s18
	s_add_i32 s12, s13, s12
	s_mul_i32 s3, s3, s28
	s_waitcnt lgkmcnt(1)
	v_mfma_f32_16x16x16_bf16 a[4:7], v[12:13], v[2:3], a[4:7]
	s_add_i32 s1, s0, s1
	s_add_i32 s3, s12, s3
	s_lshl_b64 s[12:13], s[34:35], 2
	s_waitcnt lgkmcnt(0)
	v_mfma_f32_16x16x16_bf16 a[0:3], v[12:13], v[6:7], a[0:3]
	s_mul_i32 s0, s33, s18
	s_add_u32 s10, s10, s12
	s_addc_u32 s11, s11, s13
	s_lshl_b64 s[0:1], s[0:1], 2
	s_mul_i32 s2, s2, s28
	s_add_u32 s10, s10, s0
	ds_read_b64 v[2:3], v24 offset:44032
	v_mfma_f32_16x16x16_bf16 a[4:7], v[14:15], v[4:5], a[4:7]
	ds_read_b64 v[4:5], v29 offset:44032
	s_addc_u32 s11, s11, s1
	s_lshl_b64 s[0:1], s[2:3], 2
	v_mfma_f32_16x16x16_bf16 a[0:3], v[14:15], v[8:9], a[0:3]
	s_add_u32 s0, s10, s0
	s_addc_u32 s1, s11, s1
	s_load_dword s12, s[0:1], 0x0
	s_waitcnt lgkmcnt(0)
	v_mfma_f32_16x16x16_bf16 a[0:3], v[16:17], v[2:3], a[0:3]
	s_and_b64 vcc, exec, s[26:27]
	v_mfma_f32_16x16x16_bf16 a[4:7], v[16:17], v[4:5], a[4:7]
	s_cbranch_vccz .LBB368_42
; %bb.32:
	v_lshlrev_b32_e32 v20, 1, v23
	s_and_b64 vcc, exec, s[6:7]
	s_cbranch_vccz .LBB368_43
; %bb.33:
	v_cmp_gt_i32_e32 vcc, s41, v20
	v_mov_b32_e32 v6, 0
	v_mov_b32_e32 v2, 0
	;; [unrolled: 1-line block ×5, first 2 shown]
	s_and_saveexec_b64 s[0:1], vcc
	s_cbranch_execz .LBB368_35
; %bb.34:
	v_mad_i64_i32 v[2:3], s[2:3], s15, v20, 0
	v_lshl_add_u64 v[2:3], v[2:3], 1, s[4:5]
	v_lshlrev_b32_e32 v4, 1, v18
	v_mov_b32_e32 v5, 0
	v_lshl_add_u64 v[2:3], v[2:3], 0, v[4:5]
	global_load_dwordx4 v[2:5], v[2:3], off
.LBB368_35:
	s_or_b64 exec, exec, s[0:1]
	v_or_b32_e32 v21, 1, v20
	v_cmp_gt_i32_e64 s[0:1], s41, v21
	v_mov_b32_e32 v7, 0
	v_mov_b32_e32 v8, 0
	;; [unrolled: 1-line block ×3, first 2 shown]
	s_and_saveexec_b64 s[2:3], s[0:1]
	s_cbranch_execz .LBB368_37
; %bb.36:
	v_mad_i64_i32 v[6:7], s[16:17], s15, v21, 0
	v_lshl_add_u64 v[6:7], v[6:7], 1, s[4:5]
	v_lshlrev_b32_e32 v8, 1, v18
	v_mov_b32_e32 v9, 0
	v_lshl_add_u64 v[6:7], v[6:7], 0, v[8:9]
	global_load_dwordx4 v[6:9], v[6:7], off
.LBB368_37:
	s_or_b64 exec, exec, s[2:3]
	v_mov_b32_e32 v17, 0
	v_mov_b32_e32 v10, 0
	;; [unrolled: 1-line block ×5, first 2 shown]
	s_and_saveexec_b64 s[2:3], vcc
	s_cbranch_execz .LBB368_39
; %bb.38:
	v_mad_i64_i32 v[10:11], s[16:17], s15, v20, 0
	v_lshl_add_u64 v[10:11], v[10:11], 1, s[4:5]
	v_lshlrev_b32_e32 v12, 1, v18
	v_mov_b32_e32 v13, 0
	v_lshl_add_u64 v[10:11], v[10:11], 0, v[12:13]
	global_load_dwordx4 v[10:13], v[10:11], off offset:128
.LBB368_39:
	s_or_b64 exec, exec, s[2:3]
	v_mov_b32_e32 v16, 0
	v_mov_b32_e32 v15, 0
	;; [unrolled: 1-line block ×3, first 2 shown]
	s_and_saveexec_b64 s[2:3], s[0:1]
	s_cbranch_execz .LBB368_41
; %bb.40:
	v_mad_i64_i32 v[14:15], s[0:1], s15, v21, 0
	v_lshl_add_u64 v[14:15], v[14:15], 1, s[4:5]
	v_lshlrev_b32_e32 v16, 1, v18
	v_mov_b32_e32 v17, 0
	v_lshl_add_u64 v[14:15], v[14:15], 0, v[16:17]
	global_load_dwordx4 v[14:17], v[14:15], off offset:128
.LBB368_41:
	s_or_b64 exec, exec, s[2:3]
	s_branch .LBB368_45
.LBB368_42:
                                        ; implicit-def: $vgpr5
                                        ; implicit-def: $vgpr9
                                        ; implicit-def: $vgpr13
                                        ; implicit-def: $vgpr17
	v_lshrrev_b32_e32 v30, 2, v41
	s_branch .LBB368_46
.LBB368_43:
                                        ; implicit-def: $vgpr5
                                        ; implicit-def: $vgpr9
                                        ; implicit-def: $vgpr13
                                        ; implicit-def: $vgpr17
	s_cbranch_execz .LBB368_45
; %bb.44:
	s_waitcnt vmcnt(0)
	v_mad_u64_u32 v[2:3], s[0:1], v20, s15, v[18:19]
	v_lshlrev_b32_e32 v20, 1, v2
	s_lshl_b32 s2, s15, 7
	s_and_b32 s1, s5, 0xffff
	s_mov_b32 s3, 0x20000
	s_mov_b32 s0, s4
	v_add_lshl_u32 v21, v2, s15, 1
	s_movk_i32 s13, 0x80
	buffer_load_dwordx4 v[2:5], v20, s[0:3], 0 offen
	buffer_load_dwordx4 v[10:13], v20, s[0:3], s13 offen
	;; [unrolled: 1-line block ×4, first 2 shown]
.LBB368_45:
	v_lshrrev_b32_e32 v30, 2, v41
	s_cbranch_execnz .LBB368_58
.LBB368_46:
	s_and_b64 vcc, exec, s[6:7]
	s_cbranch_vccz .LBB368_56
; %bb.47:
	s_waitcnt vmcnt(0)
	v_lshlrev_b32_e32 v7, 1, v23
	v_cmp_gt_i32_e32 vcc, s41, v7
	v_mov_b32_e32 v6, 0
	v_lshlrev_b32_e32 v14, 9, v23
	v_mov_b32_e32 v2, 0
	v_mov_b32_e32 v3, 0
	;; [unrolled: 1-line block ×4, first 2 shown]
	s_and_saveexec_b64 s[0:1], vcc
	s_cbranch_execz .LBB368_49
; %bb.48:
	v_mov_b32_e32 v15, 0
	v_lshl_add_u64 v[2:3], s[4:5], 0, v[14:15]
	v_lshlrev_b32_e32 v4, 1, v18
	v_mov_b32_e32 v5, v15
	v_lshl_add_u64 v[2:3], v[2:3], 0, v[4:5]
	global_load_dwordx4 v[2:5], v[2:3], off
.LBB368_49:
	s_or_b64 exec, exec, s[0:1]
	v_or_b32_e32 v7, 1, v7
	v_cmp_gt_i32_e64 s[0:1], s41, v7
	v_lshlrev_b32_e32 v20, 8, v7
	v_mov_b32_e32 v7, 0
	v_mov_b32_e32 v8, 0
	v_mov_b32_e32 v9, 0
	s_and_saveexec_b64 s[2:3], s[0:1]
	s_cbranch_execz .LBB368_51
; %bb.50:
	v_mov_b32_e32 v21, 0
	v_lshl_add_u64 v[6:7], s[4:5], 0, v[20:21]
	v_lshlrev_b32_e32 v8, 1, v18
	v_mov_b32_e32 v9, v21
	v_lshl_add_u64 v[6:7], v[6:7], 0, v[8:9]
	global_load_dwordx4 v[6:9], v[6:7], off
.LBB368_51:
	s_or_b64 exec, exec, s[2:3]
	v_mov_b32_e32 v17, 0
	v_mov_b32_e32 v10, 0
	;; [unrolled: 1-line block ×5, first 2 shown]
	s_and_saveexec_b64 s[2:3], vcc
	s_cbranch_execz .LBB368_53
; %bb.52:
	v_mov_b32_e32 v15, 0
	v_lshl_add_u64 v[10:11], s[4:5], 0, v[14:15]
	v_lshlrev_b32_e32 v14, 1, v18
	v_lshl_add_u64 v[10:11], v[10:11], 0, v[14:15]
	global_load_dwordx4 v[10:13], v[10:11], off offset:128
.LBB368_53:
	s_or_b64 exec, exec, s[2:3]
	v_mov_b32_e32 v16, 0
	v_mov_b32_e32 v15, 0
	;; [unrolled: 1-line block ×3, first 2 shown]
	s_and_saveexec_b64 s[2:3], s[0:1]
	s_cbranch_execz .LBB368_55
; %bb.54:
	v_mov_b32_e32 v21, 0
	v_lshl_add_u64 v[14:15], s[4:5], 0, v[20:21]
	v_lshlrev_b32_e32 v20, 1, v18
	v_lshl_add_u64 v[14:15], v[14:15], 0, v[20:21]
	global_load_dwordx4 v[14:17], v[14:15], off offset:128
.LBB368_55:
	s_or_b64 exec, exec, s[2:3]
	s_branch .LBB368_58
.LBB368_56:
                                        ; implicit-def: $vgpr5
                                        ; implicit-def: $vgpr9
                                        ; implicit-def: $vgpr13
                                        ; implicit-def: $vgpr17
	s_cbranch_execz .LBB368_58
; %bb.57:
	s_waitcnt vmcnt(0)
	v_lshlrev_b32_e32 v2, 1, v18
	v_lshl_or_b32 v18, v23, 9, v2
	s_and_b32 s5, s5, 0xffff
	s_mov_b32 s7, 0x20000
	s_movk_i32 s6, 0x4000
	s_movk_i32 s0, 0x80
	buffer_load_dwordx4 v[2:5], v18, s[4:7], 0 offen
	buffer_load_dwordx4 v[6:9], v18, s[4:7], 0 offen offset:256
	buffer_load_dwordx4 v[10:13], v18, s[4:7], s0 offen
	buffer_load_dwordx4 v[14:17], v18, s[4:7], s0 offen offset:256
.LBB368_58:
	ds_read_b64 v[20:21], v25 offset:32768
	v_add_u32_e32 v18, 0xb000, v24
	ds_read2_b64 v[32:35], v18 offset1:16
	ds_read_b64 v[42:43], v26 offset:32768
	ds_read_b64 v[26:27], v27 offset:32768
	;; [unrolled: 1-line block ×3, first 2 shown]
	v_and_b32_e32 v18, 6, v0
	v_xor_b32_e32 v23, v23, v18
	v_lshlrev_b32_e32 v23, 2, v23
	v_and_b32_e32 v0, 1, v0
	v_xor_b32_e32 v28, 0x440, v23
	v_cmp_eq_u32_e32 vcc, 0, v0
	s_waitcnt lgkmcnt(3)
	v_mfma_f32_16x16x16_bf16 a[0:3], v[20:21], v[32:33], a[0:3]
	s_mov_b32 s0, 0x1000504
	v_cndmask_b32_e32 v0, v28, v23, vcc
	v_lshl_or_b32 v0, v18, 10, v0
	v_mfma_f32_16x16x16_bf16 a[4:7], v[20:21], v[34:35], a[4:7]
	ds_read2st64_b64 v[32:35], v24 offset0:90 offset1:92
	ds_read2st64_b64 v[36:39], v29 offset0:90 offset1:92
	ds_read_b64 v[20:21], v24 offset:48128
	ds_read_b64 v[24:25], v29 offset:48128
	s_waitcnt vmcnt(0)
	v_perm_b32 v18, v2, v6, s0
	s_waitcnt lgkmcnt(3)
	v_mfma_f32_16x16x16_bf16 a[0:3], v[42:43], v[32:33], a[0:3]
	s_mov_b32 s1, 0x3020706
	v_perm_b32 v2, v2, v6, s1
	v_perm_b32 v6, v10, v14, s1
	s_waitcnt lgkmcnt(2)
	v_mfma_f32_16x16x16_bf16 a[4:7], v[42:43], v[36:37], a[4:7]
	v_mfma_f32_16x16x16_bf16 a[0:3], v[26:27], v[34:35], a[0:3]
	;; [unrolled: 1-line block ×3, first 2 shown]
	s_waitcnt lgkmcnt(1)
	v_mfma_f32_16x16x16_bf16 a[4:7], v[44:45], v[20:21], a[0:3]
	v_perm_b32 v20, v10, v14, s0
	ds_write2st64_b32 v0, v18, v20 offset0:32 offset1:64
	v_xor_b32_e32 v18, 8, v0
	v_add_u32_e32 v10, 0x80, v18
	ds_write2st64_b32 v10, v2, v6 offset0:32 offset1:64
	v_xor_b32_e32 v2, 16, v0
	v_perm_b32 v6, v3, v7, s0
	v_perm_b32 v10, v11, v15, s0
	ds_write2st64_b32 v2, v6, v10 offset0:33 offset1:65
	v_xor_b32_e32 v2, 24, v0
	v_perm_b32 v3, v3, v7, s1
	v_perm_b32 v6, v11, v15, s1
	v_add_u32_e32 v2, 0x80, v2
	ds_write2st64_b32 v2, v3, v6 offset0:33 offset1:65
	v_xor_b32_e32 v2, 32, v0
	v_perm_b32 v3, v4, v8, s0
	v_perm_b32 v6, v12, v16, s0
	ds_write2st64_b32 v2, v3, v6 offset0:34 offset1:66
	v_xor_b32_e32 v2, 40, v0
	s_waitcnt lgkmcnt(5)
	v_mfma_f32_16x16x16_bf16 a[0:3], v[44:45], v[24:25], a[8:11]
	v_perm_b32 v3, v4, v8, s1
	v_perm_b32 v4, v12, v16, s1
	v_add_u32_e32 v2, 0x80, v2
	ds_write2st64_b32 v2, v3, v4 offset0:34 offset1:66
	v_xor_b32_e32 v2, 48, v0
	v_perm_b32 v3, v5, v9, s0
	v_perm_b32 v4, v13, v17, s0
	ds_write2st64_b32 v2, v3, v4 offset0:35 offset1:67
	v_xor_b32_e32 v0, 56, v0
	v_perm_b32 v3, v13, v17, s1
	v_and_or_b32 v17, v30, 12, v1
	v_perm_b32 v2, v5, v9, s1
	v_add_u32_e32 v0, 0x80, v0
	v_cmp_gt_i32_e32 vcc, s41, v17
	v_mov_b32_e32 v14, 0
	v_mov_b32_e32 v16, 0
	ds_write2st64_b32 v0, v2, v3 offset0:35 offset1:67
	s_and_saveexec_b64 s[0:1], vcc
	s_cbranch_execz .LBB368_60
; %bb.59:
	v_add_u32_e32 v0, s40, v17
	v_ashrrev_i32_e32 v1, 31, v0
	v_mul_lo_u32 v2, v1, s28
	v_mul_lo_u32 v3, v0, s29
	v_mad_u64_u32 v[0:1], s[2:3], v0, s28, 0
	v_add3_u32 v1, v1, v3, v2
	v_lshl_add_u64 v[0:1], v[0:1], 2, s[10:11]
	global_load_dword v0, v[0:1], off
	s_waitcnt vmcnt(0)
	v_sub_f32_e32 v0, s12, v0
	v_mul_f32_e32 v0, 0x3fb8aa3b, v0
	v_exp_f32_e32 v16, v0
.LBB368_60:
	s_or_b64 exec, exec, s[0:1]
	v_or_b32_e32 v8, 1, v17
	v_cmp_gt_i32_e64 s[0:1], s41, v8
	s_and_saveexec_b64 s[2:3], s[0:1]
	s_cbranch_execz .LBB368_62
; %bb.61:
	v_add_u32_e32 v0, s40, v8
	v_ashrrev_i32_e32 v1, 31, v0
	v_mul_lo_u32 v2, v1, s28
	v_mul_lo_u32 v3, v0, s29
	v_mad_u64_u32 v[0:1], s[4:5], v0, s28, 0
	v_add3_u32 v1, v1, v3, v2
	v_lshl_add_u64 v[0:1], v[0:1], 2, s[10:11]
	global_load_dword v0, v[0:1], off
	s_waitcnt vmcnt(0)
	v_sub_f32_e32 v0, s12, v0
	v_mul_f32_e32 v0, 0x3fb8aa3b, v0
	v_exp_f32_e32 v14, v0
.LBB368_62:
	s_or_b64 exec, exec, s[2:3]
	v_or_b32_e32 v10, 2, v17
	v_cmp_gt_i32_e64 s[2:3], s41, v10
	v_mov_b32_e32 v15, 0
	v_mov_b32_e32 v18, 0
	s_and_saveexec_b64 s[4:5], s[2:3]
	s_cbranch_execz .LBB368_64
; %bb.63:
	v_add_u32_e32 v0, s40, v10
	v_ashrrev_i32_e32 v1, 31, v0
	v_mul_lo_u32 v2, v1, s28
	v_mul_lo_u32 v3, v0, s29
	v_mad_u64_u32 v[0:1], s[6:7], v0, s28, 0
	v_add3_u32 v1, v1, v3, v2
	v_lshl_add_u64 v[0:1], v[0:1], 2, s[10:11]
	global_load_dword v0, v[0:1], off
	s_waitcnt vmcnt(0)
	v_sub_f32_e32 v0, s12, v0
	v_mul_f32_e32 v0, 0x3fb8aa3b, v0
	v_exp_f32_e32 v18, v0
.LBB368_64:
	s_or_b64 exec, exec, s[4:5]
	v_or_b32_e32 v12, 3, v17
	v_cmp_gt_i32_e64 s[4:5], s41, v12
	s_and_saveexec_b64 s[6:7], s[4:5]
	s_cbranch_execz .LBB368_66
; %bb.65:
	v_add_u32_e32 v0, s40, v12
	v_ashrrev_i32_e32 v1, 31, v0
	v_mul_lo_u32 v2, v1, s28
	v_mul_lo_u32 v3, v0, s29
	v_mad_u64_u32 v[0:1], s[14:15], v0, s28, 0
	v_add3_u32 v1, v1, v3, v2
	v_lshl_add_u64 v[0:1], v[0:1], 2, s[10:11]
	global_load_dword v0, v[0:1], off
	s_waitcnt vmcnt(0)
	v_sub_f32_e32 v0, s12, v0
	v_mul_f32_e32 v0, 0x3fb8aa3b, v0
	v_exp_f32_e32 v15, v0
.LBB368_66:
	s_or_b64 exec, exec, s[6:7]
	v_or_b32_e32 v4, s30, v40
	s_add_u32 s6, s8, s24
	v_accvgpr_read_b32 v0, a4
	s_addc_u32 s7, s9, s25
	v_ashrrev_i32_e32 v5, 31, v4
	v_accvgpr_read_b32 v1, a5
	v_accvgpr_read_b32 v2, a6
	;; [unrolled: 1-line block ×3, first 2 shown]
	v_lshl_add_u64 v[4:5], v[4:5], 1, s[6:7]
	v_mov_b32_e32 v9, 0
	v_lshlrev_b32_e32 v6, 8, v17
	v_mov_b32_e32 v7, 0
	s_and_saveexec_b64 s[6:7], vcc
	s_cbranch_execz .LBB368_68
; %bb.67:
	v_mov_b32_e32 v7, 0
	v_lshl_add_u64 v[20:21], v[4:5], 0, v[6:7]
	global_load_ushort v7, v[20:21], off
	s_waitcnt vmcnt(0)
	v_lshlrev_b32_e32 v7, 16, v7
	v_sub_f32_e32 v0, v7, v0
	v_mul_f32_e32 v0, v16, v0
	v_lshrrev_b32_e32 v7, 16, v0
.LBB368_68:
	s_or_b64 exec, exec, s[6:7]
	v_lshlrev_b32_e32 v8, 8, v8
	s_and_saveexec_b64 s[6:7], s[0:1]
	s_cbranch_execz .LBB368_70
; %bb.69:
	v_mov_b32_e32 v9, 0
	v_lshl_add_u64 v[20:21], v[4:5], 0, v[8:9]
	global_load_ushort v0, v[20:21], off
	s_waitcnt vmcnt(0)
	v_lshlrev_b32_e32 v0, 16, v0
	v_sub_f32_e32 v0, v0, v1
	v_mul_f32_e32 v0, v14, v0
	v_lshrrev_b32_e32 v9, 16, v0
.LBB368_70:
	s_or_b64 exec, exec, s[6:7]
	v_mov_b32_e32 v13, 0
	v_lshlrev_b32_e32 v10, 8, v10
	v_mov_b32_e32 v11, 0
	s_and_saveexec_b64 s[6:7], s[2:3]
	s_cbranch_execz .LBB368_72
; %bb.71:
	v_mov_b32_e32 v11, 0
	v_lshl_add_u64 v[0:1], v[4:5], 0, v[10:11]
	global_load_ushort v0, v[0:1], off
	s_waitcnt vmcnt(0)
	v_lshlrev_b32_e32 v0, 16, v0
	v_sub_f32_e32 v0, v0, v2
	v_mul_f32_e32 v0, v18, v0
	v_lshrrev_b32_e32 v11, 16, v0
.LBB368_72:
	s_or_b64 exec, exec, s[6:7]
	v_lshlrev_b32_e32 v12, 8, v12
	s_and_saveexec_b64 s[6:7], s[4:5]
	s_cbranch_execz .LBB368_74
; %bb.73:
	v_mov_b32_e32 v13, 0
	v_lshl_add_u64 v[0:1], v[4:5], 0, v[12:13]
	global_load_ushort v0, v[0:1], off
	s_waitcnt vmcnt(0)
	v_lshlrev_b32_e32 v0, 16, v0
	v_sub_f32_e32 v0, v0, v3
	v_mul_f32_e32 v0, v15, v0
	v_lshrrev_b32_e32 v13, 16, v0
.LBB368_74:
	s_or_b64 exec, exec, s[6:7]
	v_lshlrev_b32_e32 v17, 5, v17
	s_mov_b32 s6, 0x5040100
	v_perm_b32 v20, v9, v7, s6
	v_or_b32_e32 v7, v17, v22
	v_accvgpr_read_b32 v0, a0
	v_perm_b32 v21, v13, v11, s6
	v_lshlrev_b32_e32 v7, 1, v7
	v_accvgpr_read_b32 v1, a1
	v_accvgpr_read_b32 v2, a2
	;; [unrolled: 1-line block ×3, first 2 shown]
	ds_write_b64 v7, v[20:21] offset:45056
	v_mov_b32_e32 v9, 0
	v_mov_b32_e32 v7, 0
	s_and_saveexec_b64 s[6:7], vcc
	s_cbranch_execz .LBB368_76
; %bb.75:
	v_mov_b32_e32 v7, 0
	v_lshl_add_u64 v[6:7], v[4:5], 0, v[6:7]
	global_load_ushort v6, v[6:7], off offset:32
	s_waitcnt vmcnt(0)
	v_lshlrev_b32_e32 v6, 16, v6
	v_sub_f32_e32 v0, v6, v0
	v_mul_f32_e32 v0, v16, v0
	v_lshrrev_b32_e32 v7, 16, v0
.LBB368_76:
	s_or_b64 exec, exec, s[6:7]
	s_and_saveexec_b64 s[6:7], s[0:1]
	s_cbranch_execz .LBB368_78
; %bb.77:
	v_mov_b32_e32 v9, 0
	v_lshl_add_u64 v[8:9], v[4:5], 0, v[8:9]
	global_load_ushort v0, v[8:9], off offset:32
	s_waitcnt vmcnt(0)
	v_lshlrev_b32_e32 v0, 16, v0
	v_sub_f32_e32 v0, v0, v1
	v_mul_f32_e32 v0, v14, v0
	v_lshrrev_b32_e32 v9, 16, v0
.LBB368_78:
	s_or_b64 exec, exec, s[6:7]
	v_mov_b32_e32 v0, 0
	v_mov_b32_e32 v1, 0
	s_and_saveexec_b64 s[0:1], s[2:3]
	s_cbranch_execz .LBB368_80
; %bb.79:
	v_mov_b32_e32 v11, 0
	v_lshl_add_u64 v[10:11], v[4:5], 0, v[10:11]
	global_load_ushort v1, v[10:11], off offset:32
	s_waitcnt vmcnt(0)
	v_lshlrev_b32_e32 v1, 16, v1
	v_sub_f32_e32 v1, v1, v2
	v_mul_f32_e32 v1, v18, v1
	v_lshrrev_b32_e32 v1, 16, v1
.LBB368_80:
	s_or_b64 exec, exec, s[0:1]
	s_and_saveexec_b64 s[0:1], s[4:5]
	s_cbranch_execz .LBB368_82
; %bb.81:
	v_mov_b32_e32 v13, 0
	v_lshl_add_u64 v[4:5], v[4:5], 0, v[12:13]
	global_load_ushort v0, v[4:5], off offset:32
	s_waitcnt vmcnt(0)
	v_lshlrev_b32_e32 v0, 16, v0
	v_sub_f32_e32 v0, v0, v3
	v_mul_f32_e32 v0, v15, v0
	v_lshrrev_b32_e32 v0, 16, v0
.LBB368_82:
	s_or_b64 exec, exec, s[0:1]
	s_mov_b32 s0, 0x5040100
	v_or_b32_e32 v2, v17, v19
	v_perm_b32 v1, v0, v1, s0
	v_perm_b32 v0, v9, v7, s0
	v_lshlrev_b32_e32 v2, 1, v2
	ds_write_b64 v2, v[0:1] offset:45056
	s_waitcnt lgkmcnt(0)
	s_barrier
.LBB368_83:
	s_endpgm
	.section	.rodata,"a",@progbits
	.p2align	6, 0x0
	.amdhsa_kernel _ZN12_GLOBAL__N_139chunk_gated_delta_rule_fwd_h_hip_kernelILi32ELb0ELb0ELb0ELb0ELb0ELb0ELb1ELb1EEEvPK12hip_bfloat16S3_S3_PKfS5_PKvPS1_S8_PvPKiSB_iiiiilll
		.amdhsa_group_segment_fixed_size 49152
		.amdhsa_private_segment_fixed_size 0
		.amdhsa_kernarg_size 136
		.amdhsa_user_sgpr_count 2
		.amdhsa_user_sgpr_dispatch_ptr 0
		.amdhsa_user_sgpr_queue_ptr 0
		.amdhsa_user_sgpr_kernarg_segment_ptr 1
		.amdhsa_user_sgpr_dispatch_id 0
		.amdhsa_user_sgpr_kernarg_preload_length 0
		.amdhsa_user_sgpr_kernarg_preload_offset 0
		.amdhsa_user_sgpr_private_segment_size 0
		.amdhsa_uses_dynamic_stack 0
		.amdhsa_enable_private_segment 0
		.amdhsa_system_sgpr_workgroup_id_x 1
		.amdhsa_system_sgpr_workgroup_id_y 1
		.amdhsa_system_sgpr_workgroup_id_z 0
		.amdhsa_system_sgpr_workgroup_info 0
		.amdhsa_system_vgpr_workitem_id 0
		.amdhsa_next_free_vgpr 152
		.amdhsa_next_free_sgpr 62
		.amdhsa_accum_offset 132
		.amdhsa_reserve_vcc 1
		.amdhsa_float_round_mode_32 0
		.amdhsa_float_round_mode_16_64 0
		.amdhsa_float_denorm_mode_32 3
		.amdhsa_float_denorm_mode_16_64 3
		.amdhsa_dx10_clamp 1
		.amdhsa_ieee_mode 1
		.amdhsa_fp16_overflow 0
		.amdhsa_tg_split 0
		.amdhsa_exception_fp_ieee_invalid_op 0
		.amdhsa_exception_fp_denorm_src 0
		.amdhsa_exception_fp_ieee_div_zero 0
		.amdhsa_exception_fp_ieee_overflow 0
		.amdhsa_exception_fp_ieee_underflow 0
		.amdhsa_exception_fp_ieee_inexact 0
		.amdhsa_exception_int_div_zero 0
	.end_amdhsa_kernel
	.section	.text._ZN12_GLOBAL__N_139chunk_gated_delta_rule_fwd_h_hip_kernelILi32ELb0ELb0ELb0ELb0ELb0ELb0ELb1ELb1EEEvPK12hip_bfloat16S3_S3_PKfS5_PKvPS1_S8_PvPKiSB_iiiiilll,"axG",@progbits,_ZN12_GLOBAL__N_139chunk_gated_delta_rule_fwd_h_hip_kernelILi32ELb0ELb0ELb0ELb0ELb0ELb0ELb1ELb1EEEvPK12hip_bfloat16S3_S3_PKfS5_PKvPS1_S8_PvPKiSB_iiiiilll,comdat
.Lfunc_end368:
	.size	_ZN12_GLOBAL__N_139chunk_gated_delta_rule_fwd_h_hip_kernelILi32ELb0ELb0ELb0ELb0ELb0ELb0ELb1ELb1EEEvPK12hip_bfloat16S3_S3_PKfS5_PKvPS1_S8_PvPKiSB_iiiiilll, .Lfunc_end368-_ZN12_GLOBAL__N_139chunk_gated_delta_rule_fwd_h_hip_kernelILi32ELb0ELb0ELb0ELb0ELb0ELb0ELb1ELb1EEEvPK12hip_bfloat16S3_S3_PKfS5_PKvPS1_S8_PvPKiSB_iiiiilll
                                        ; -- End function
	.section	.AMDGPU.csdata,"",@progbits
; Kernel info:
; codeLenInByte = 8492
; NumSgprs: 68
; NumVgprs: 132
; NumAgprs: 20
; TotalNumVgprs: 152
; ScratchSize: 0
; MemoryBound: 0
; FloatMode: 240
; IeeeMode: 1
; LDSByteSize: 49152 bytes/workgroup (compile time only)
; SGPRBlocks: 8
; VGPRBlocks: 18
; NumSGPRsForWavesPerEU: 68
; NumVGPRsForWavesPerEU: 152
; AccumOffset: 132
; Occupancy: 1
; WaveLimiterHint : 1
; COMPUTE_PGM_RSRC2:SCRATCH_EN: 0
; COMPUTE_PGM_RSRC2:USER_SGPR: 2
; COMPUTE_PGM_RSRC2:TRAP_HANDLER: 0
; COMPUTE_PGM_RSRC2:TGID_X_EN: 1
; COMPUTE_PGM_RSRC2:TGID_Y_EN: 1
; COMPUTE_PGM_RSRC2:TGID_Z_EN: 0
; COMPUTE_PGM_RSRC2:TIDIG_COMP_CNT: 0
; COMPUTE_PGM_RSRC3_GFX90A:ACCUM_OFFSET: 32
; COMPUTE_PGM_RSRC3_GFX90A:TG_SPLIT: 0
	.section	.text._ZN12_GLOBAL__N_139chunk_gated_delta_rule_fwd_h_hip_kernelILi32ELb1ELb1ELb1ELb1ELb0ELb0ELb0ELb1EEEvPK12hip_bfloat16S3_S3_PKfS5_PKvPS1_S8_PvPKiSB_iiiiilll,"axG",@progbits,_ZN12_GLOBAL__N_139chunk_gated_delta_rule_fwd_h_hip_kernelILi32ELb1ELb1ELb1ELb1ELb0ELb0ELb0ELb1EEEvPK12hip_bfloat16S3_S3_PKfS5_PKvPS1_S8_PvPKiSB_iiiiilll,comdat
	.globl	_ZN12_GLOBAL__N_139chunk_gated_delta_rule_fwd_h_hip_kernelILi32ELb1ELb1ELb1ELb1ELb0ELb0ELb0ELb1EEEvPK12hip_bfloat16S3_S3_PKfS5_PKvPS1_S8_PvPKiSB_iiiiilll ; -- Begin function _ZN12_GLOBAL__N_139chunk_gated_delta_rule_fwd_h_hip_kernelILi32ELb1ELb1ELb1ELb1ELb0ELb0ELb0ELb1EEEvPK12hip_bfloat16S3_S3_PKfS5_PKvPS1_S8_PvPKiSB_iiiiilll
	.p2align	8
	.type	_ZN12_GLOBAL__N_139chunk_gated_delta_rule_fwd_h_hip_kernelILi32ELb1ELb1ELb1ELb1ELb0ELb0ELb0ELb1EEEvPK12hip_bfloat16S3_S3_PKfS5_PKvPS1_S8_PvPKiSB_iiiiilll,@function
_ZN12_GLOBAL__N_139chunk_gated_delta_rule_fwd_h_hip_kernelILi32ELb1ELb1ELb1ELb1ELb0ELb0ELb0ELb1EEEvPK12hip_bfloat16S3_S3_PKfS5_PKvPS1_S8_PvPKiSB_iiiiilll: ; @_ZN12_GLOBAL__N_139chunk_gated_delta_rule_fwd_h_hip_kernelILi32ELb1ELb1ELb1ELb1ELb0ELb0ELb0ELb1EEEvPK12hip_bfloat16S3_S3_PKfS5_PKvPS1_S8_PvPKiSB_iiiiilll
; %bb.0:
	s_load_dwordx4 s[20:23], s[0:1], 0x5c
	s_load_dwordx4 s[4:7], s[0:1], 0x48
	s_abs_i32 s9, s3
	s_ashr_i32 s8, s3, 31
	v_and_b32_e32 v68, 15, v0
	s_waitcnt lgkmcnt(0)
	s_abs_i32 s10, s21
	v_cvt_f32_u32_e32 v1, s10
	s_sub_i32 s12, 0, s10
	s_ashr_i32 s11, s21, 31
	s_xor_b32 s8, s8, s11
	v_rcp_iflag_f32_e32 v1, v1
	v_bfe_u32 v67, v0, 4, 2
	v_mov_b32_e32 v51, 0
	v_lshlrev_b32_e32 v69, 3, v0
	v_mul_f32_e32 v1, 0x4f7ffffe, v1
	v_cvt_u32_f32_e32 v1, v1
	s_nop 0
	v_readfirstlane_b32 s13, v1
	s_mul_i32 s12, s12, s13
	s_mul_hi_u32 s12, s13, s12
	s_add_i32 s13, s13, s12
	s_mul_hi_u32 s12, s9, s13
	s_mul_i32 s13, s12, s10
	s_sub_i32 s9, s9, s13
	s_add_i32 s14, s12, 1
	s_sub_i32 s13, s9, s10
	s_cmp_ge_u32 s9, s10
	s_cselect_b32 s12, s14, s12
	s_cselect_b32 s9, s13, s9
	s_add_i32 s13, s12, 1
	s_cmp_ge_u32 s9, s10
	s_cselect_b32 s9, s13, s12
	s_xor_b32 s9, s9, s8
	s_sub_i32 s28, s9, s8
	s_mul_i32 s12, s28, s21
	s_ashr_i32 s29, s28, 31
	s_sub_i32 s51, s3, s12
	s_lshl_b64 s[8:9], s[28:29], 2
	s_add_u32 s4, s4, s8
	s_addc_u32 s5, s5, s9
	s_add_u32 s30, s6, s8
	s_addc_u32 s31, s7, s9
	s_abs_i32 s3, s22
	v_cvt_f32_u32_e32 v1, s3
	s_load_dwordx2 s[38:39], s[4:5], 0x0
	s_sub_i32 s5, 0, s3
	s_lshl_b32 s2, s2, 5
	v_rcp_iflag_f32_e32 v1, v1
	v_or_b32_e32 v56, s2, v68
	s_waitcnt lgkmcnt(0)
	s_sub_i32 s54, s39, s38
	s_ashr_i32 s4, s54, 31
	v_mul_f32_e32 v1, 0x4f7ffffe, v1
	v_cvt_u32_f32_e32 v1, v1
	s_lshr_b32 s4, s4, 26
	s_add_i32 s4, s54, s4
	s_ashr_i32 s52, s4, 6
	v_readfirstlane_b32 s6, v1
	s_mul_i32 s5, s5, s6
	s_mul_hi_u32 s5, s6, s5
	s_add_i32 s6, s6, s5
	s_mul_hi_u32 s5, s10, s6
	s_mul_i32 s6, s5, s3
	s_ashr_i32 s4, s22, 31
	s_sub_i32 s6, s10, s6
	s_xor_b32 s4, s11, s4
	s_add_i32 s7, s5, 1
	s_sub_i32 s8, s6, s3
	s_cmp_ge_u32 s6, s3
	s_cselect_b32 s5, s7, s5
	s_cselect_b32 s6, s8, s6
	s_add_i32 s7, s5, 1
	s_cmp_ge_u32 s6, s3
	s_cselect_b32 s3, s7, s5
	s_xor_b32 s3, s3, s4
	s_sub_i32 s3, s3, s4
	s_abs_i32 s13, s3
	v_cvt_f32_u32_e32 v1, s13
	s_sub_i32 s15, 0, s13
	s_abs_i32 s14, s51
	s_xor_b32 s3, s51, s3
	v_rcp_iflag_f32_e32 v2, v1
	s_ashr_i32 s3, s3, 31
	s_load_dwordx8 s[4:11], s[0:1], 0x28
	v_lshrrev_b32_e32 v1, 6, v0
	v_mul_f32_e32 v2, 0x4f7ffffe, v2
	v_cvt_u32_f32_e32 v2, v2
	v_lshlrev_b32_e32 v52, 7, v56
	v_lshlrev_b32_e32 v66, 4, v1
	v_or_b32_e32 v54, 0x800, v52
	v_readfirstlane_b32 s16, v2
	s_mul_i32 s15, s15, s16
	s_mul_hi_u32 s15, s16, s15
	s_add_i32 s16, s16, s15
	s_mul_hi_u32 s15, s14, s16
	s_mul_i32 s16, s15, s13
	s_sub_i32 s14, s14, s16
	s_add_i32 s16, s15, 1
	s_sub_i32 s17, s14, s13
	s_cmp_ge_u32 s14, s13
	s_cselect_b32 s15, s16, s15
	s_cselect_b32 s14, s17, s14
	s_add_i32 s16, s15, 1
	s_cmp_ge_u32 s14, s13
	s_cselect_b32 s13, s16, s15
	s_xor_b32 s13, s13, s3
	s_sub_i32 s55, s13, s3
	s_ashr_i32 s53, s51, 31
	s_mul_hi_i32 s3, s28, s21
	s_add_u32 s12, s12, s51
	s_addc_u32 s13, s3, s53
	s_lshl_b64 s[34:35], s[12:13], 15
	s_waitcnt lgkmcnt(0)
	s_add_u32 s4, s4, s34
	v_lshl_or_b32 v71, v67, 2, v66
	s_addc_u32 s5, s5, s35
	v_ashrrev_i32_e32 v53, 31, v52
	v_ashrrev_i32_e32 v55, 31, v54
	v_lshl_add_u64 v[2:3], v[52:53], 1, s[4:5]
	v_lshlrev_b32_e32 v50, 1, v71
	v_lshl_add_u64 v[6:7], v[54:55], 1, s[4:5]
	v_lshl_add_u64 v[2:3], v[2:3], 0, v[50:51]
	;; [unrolled: 1-line block ×3, first 2 shown]
	global_load_dwordx2 v[4:5], v[2:3], off
	v_and_b32_e32 v51, 63, v0
	global_load_dwordx2 v[2:3], v[2:3], off offset:128
	s_nop 0
	global_load_dwordx2 v[8:9], v[6:7], off
	global_load_dwordx2 v[10:11], v[6:7], off offset:128
	s_load_dwordx8 s[12:19], s[0:1], 0x0
	s_load_dwordx2 s[36:37], s[0:1], 0x80
	s_load_dwordx4 s[24:27], s[0:1], 0x70
	s_load_dword s58, s[30:31], 0x0
	v_lshrrev_b32_e32 v70, 3, v51
	v_or_b32_e32 v72, 64, v71
	s_mul_hi_i32 s56, s51, s20
	s_waitcnt lgkmcnt(0)
	s_mul_i32 s33, s28, s25
	s_mul_hi_u32 s46, s28, s24
	s_mul_i32 s40, s28, s24
	s_mul_i32 s47, s29, s24
	;; [unrolled: 1-line block ×4, first 2 shown]
	s_mul_hi_u32 s49, s51, s26
	s_mul_i32 s50, s53, s26
	s_cmp_lt_i32 s54, 64
	s_mul_i32 s42, s51, s26
	s_waitcnt vmcnt(3)
	v_and_b32_e32 v19, 0xffff0000, v4
	v_lshlrev_b32_e32 v18, 16, v4
	v_and_b32_e32 v21, 0xffff0000, v5
	v_lshlrev_b32_e32 v20, 16, v5
	s_waitcnt vmcnt(2)
	v_and_b32_e32 v23, 0xffff0000, v2
	v_lshlrev_b32_e32 v22, 16, v2
	v_and_b32_e32 v25, 0xffff0000, v3
	v_lshlrev_b32_e32 v24, 16, v3
	;; [unrolled: 5-line block ×4, first 2 shown]
	s_cbranch_scc1 .LBB369_3
; %bb.1:
	s_ashr_i32 s1, s38, 31
	s_add_u32 s0, s57, s38
	s_addc_u32 s1, s56, s1
	s_lshl_b64 s[0:1], s[0:1], 8
	v_and_b32_e32 v74, 56, v69
	s_add_u32 s24, s14, s0
	v_lshl_or_b32 v73, v1, 3, v70
	v_lshlrev_b32_e32 v2, 1, v74
	s_addc_u32 s0, s15, s1
	v_lshl_or_b32 v75, v73, 8, v2
	s_and_b32 s25, s0, 0xffff
	s_mov_b32 s27, 0x20000
	s_movk_i32 s26, 0x4000
	s_movk_i32 s0, 0x80
	v_or_b32_e32 v76, 0x2000, v75
	buffer_load_dwordx4 v[4:7], v75, s[24:27], 0 offen
	buffer_load_dwordx4 v[8:11], v75, s[24:27], s0 offen
	;; [unrolled: 1-line block ×4, first 2 shown]
	v_lshlrev_b32_e32 v3, 3, v73
	v_and_or_b32 v17, v0, 7, v3
	v_and_b32_e32 v3, 0x78, v3
	v_lshlrev_b32_e32 v17, 4, v17
	v_xor_b32_e32 v77, v17, v3
	v_mul_lo_u32 v16, v73, s23
	v_or_b32_e32 v78, 0x1000, v77
	v_xor_b32_e32 v3, 8, v77
	s_cmpk_eq_i32 s23, 0x80
	s_mov_b32 s59, s38
	v_xor_b32_e32 v17, 8, v78
	s_cselect_b64 s[0:1], -1, 0
	s_cmpk_lg_i32 s23, 0x80
	s_waitcnt vmcnt(3)
	ds_write_b64 v77, v[4:5] offset:24576
	ds_write_b64 v3, v[6:7] offset:24576
	s_waitcnt vmcnt(2)
	ds_write_b64 v77, v[8:9] offset:32768
	ds_write_b64 v3, v[10:11] offset:32768
	;; [unrolled: 3-line block ×4, first 2 shown]
	v_lshl_add_u32 v3, v16, 1, v74
	s_cbranch_scc0 .LBB369_29
; %bb.2:
	v_lshlrev_b32_e32 v5, 1, v3
	v_add_lshl_u32 v4, v3, s23, 1
	s_lshl_b32 s26, s23, 7
	v_lshl_or_b32 v2, v73, 9, v2
	s_cbranch_execz .LBB369_30
	s_branch .LBB369_31
.LBB369_3:
	v_mov_b64_e32 v[2:3], v[18:19]
	v_mov_b64_e32 v[4:5], v[20:21]
	;; [unrolled: 1-line block ×8, first 2 shown]
.LBB369_4:
	s_lshl_b32 s30, s52, 6
	s_sub_i32 s31, s54, s30
	s_cmp_gt_i32 s31, 0
	s_cbranch_scc0 .LBB369_83
; %bb.5:
	s_add_i32 s30, s30, s38
	s_ashr_i32 s3, s30, 31
	s_cmpk_lg_i32 s23, 0x80
	s_cselect_b64 s[26:27], -1, 0
	s_and_b64 vcc, exec, s[26:27]
	s_cbranch_vccz .LBB369_7
; %bb.6:
	s_mul_i32 s1, s30, s22
	s_ashr_i32 s4, s55, 31
	s_mul_hi_i32 s0, s30, s22
	s_add_u32 s28, s1, s55
	s_addc_u32 s29, s0, s4
	s_cbranch_execz .LBB369_8
	s_branch .LBB369_9
.LBB369_7:
                                        ; implicit-def: $sgpr28_sgpr29
.LBB369_8:
	s_mul_i32 s1, s55, s20
	s_mul_hi_i32 s0, s55, s20
	s_add_u32 s28, s1, s30
	s_addc_u32 s29, s0, s3
.LBB369_9:
	s_add_i32 s4, s52, s58
	s_add_u32 s0, s57, s30
	v_lshlrev_b32_e32 v22, 5, v71
	v_lshlrev_b32_e32 v38, 2, v68
	s_addc_u32 s1, s56, s3
	s_mov_b32 s3, 0x7060302
	v_or_b32_e32 v25, v22, v38
	v_xor_b32_e32 v23, v71, v38
	v_perm_b32 v19, v5, v4, s3
	v_perm_b32 v18, v3, v2, s3
	;; [unrolled: 1-line block ×4, first 2 shown]
	v_lshlrev_b32_e32 v25, 1, v25
	v_xor_b32_e32 v24, v72, v38
	ds_write2st64_b64 v25, v[18:19], v[20:21] offset0:80 offset1:88
	v_lshlrev_b32_e32 v23, 1, v23
	v_lshlrev_b32_e32 v25, 8, v68
	s_lshl_b64 s[24:25], s[0:1], 8
	v_or_b32_e32 v26, v23, v25
	v_lshlrev_b32_e32 v24, 1, v24
	s_add_u32 s0, s14, s24
	ds_write_b64 v26, v[18:19]
	v_or_b32_e32 v18, v24, v25
	s_addc_u32 s1, s15, s25
	ds_write_b64 v18, v[20:21]
	v_perm_b32 v19, v13, v12, s3
	v_perm_b32 v18, v11, v10, s3
	;; [unrolled: 1-line block ×4, first 2 shown]
	v_or_b32_e32 v25, 16, v68
	s_mul_hi_i32 s3, s4, s21
	s_mul_i32 s4, s4, s21
	v_lshlrev_b32_e32 v35, 2, v25
	s_add_u32 s4, s4, s51
	v_or_b32_e32 v22, v22, v35
	s_addc_u32 s5, s3, s53
	v_lshlrev_b32_e32 v22, 1, v22
	s_ashr_i32 s3, s2, 31
	s_lshl_b64 s[4:5], s[4:5], 15
	ds_write2st64_b64 v22, v[18:19], v[20:21] offset0:80 offset1:88
	v_lshlrev_b32_e32 v22, 8, v25
	s_add_u32 s4, s6, s4
	v_or_b32_e32 v23, v23, v22
	s_addc_u32 s5, s7, s5
	s_lshl_b64 s[2:3], s[2:3], 8
	ds_write_b64 v23, v[18:19]
	v_or_b32_e32 v18, v24, v22
	s_add_u32 s2, s4, s2
	ds_write_b64 v18, v[20:21]
	v_lshrrev_b32_e32 v18, 4, v0
	s_addc_u32 s3, s5, s3
	v_lshlrev_b32_e32 v19, 1, v68
	v_lshlrev_b32_e32 v26, 4, v68
	v_mov_b32_e32 v27, 0
	v_or_b32_e32 v20, 1, v19
	v_xor_b32_e32 v19, v18, v19
	v_lshl_add_u64 v[28:29], s[2:3], 0, v[26:27]
	v_lshlrev_b32_e32 v26, 8, v18
	v_xor_b32_e32 v22, v20, v18
	v_lshl_or_b32 v18, v19, 3, v26
	s_waitcnt lgkmcnt(0)
	s_barrier
	ds_read2st64_b64 v[18:21], v18 offset1:8
	v_lshl_or_b32 v22, v22, 3, v26
	ds_read2st64_b64 v[22:25], v22 offset1:8
	v_lshl_add_u64 v[30:31], v[28:29], 0, v[26:27]
	s_movk_i32 s2, 0x1000
	s_waitcnt lgkmcnt(1)
	v_mov_b32_e32 v26, v18
	v_add_co_u32_e32 v18, vcc, s2, v30
	s_cmp_lg_u32 s31, 64
	v_mov_b32_e32 v27, v19
	v_addc_co_u32_e32 v19, vcc, 0, v31, vcc
	s_cselect_b64 s[14:15], -1, 0
	v_lshl_or_b32 v42, v1, 3, v70
	s_waitcnt lgkmcnt(0)
	v_mov_b32_e32 v28, v22
	v_mov_b32_e32 v29, v23
	;; [unrolled: 1-line block ×4, first 2 shown]
	s_mov_b32 s4, 0
	v_or_b32_e32 v36, 32, v42
	v_and_b32_e32 v34, 56, v69
	s_and_b64 vcc, exec, s[14:15]
	global_store_dwordx4 v[30:31], v[26:29], off
	global_store_dwordx4 v[18:19], v[22:25], off
	s_cbranch_vccz .LBB369_15
; %bb.10:
	s_mov_b32 s6, s4
	s_mov_b32 s7, s4
	;; [unrolled: 1-line block ×3, first 2 shown]
	v_mov_b64_e32 v[24:25], s[6:7]
	v_mov_b64_e32 v[22:23], s[4:5]
	;; [unrolled: 1-line block ×3, first 2 shown]
	v_cmp_gt_i32_e32 vcc, s31, v42
	v_mov_b64_e32 v[20:21], v[24:25]
	s_and_saveexec_b64 s[2:3], vcc
	s_cbranch_execz .LBB369_12
; %bb.11:
	v_lshlrev_b32_e32 v18, 8, v42
	v_mov_b32_e32 v19, 0
	v_lshl_add_u64 v[20:21], s[0:1], 0, v[18:19]
	v_lshlrev_b32_e32 v18, 1, v34
	v_lshl_add_u64 v[26:27], v[20:21], 0, v[18:19]
	global_load_dwordx4 v[22:25], v[26:27], off
	global_load_dwordx4 v[18:21], v[26:27], off offset:128
.LBB369_12:
	s_or_b64 exec, exec, s[2:3]
	s_mov_b32 s6, s4
	s_mov_b32 s7, s4
	;; [unrolled: 1-line block ×3, first 2 shown]
	v_mov_b64_e32 v[32:33], s[6:7]
	v_mov_b64_e32 v[30:31], s[4:5]
	;; [unrolled: 1-line block ×3, first 2 shown]
	v_cmp_gt_i32_e32 vcc, s31, v36
	v_lshlrev_b32_e32 v37, 7, v36
	v_mov_b64_e32 v[28:29], v[32:33]
	s_and_saveexec_b64 s[2:3], vcc
	s_cbranch_execz .LBB369_14
; %bb.13:
	v_lshlrev_b32_e32 v26, 1, v37
	v_mov_b32_e32 v27, 0
	v_lshl_add_u64 v[28:29], s[0:1], 0, v[26:27]
	v_lshlrev_b32_e32 v26, 1, v34
	v_lshl_add_u64 v[40:41], v[28:29], 0, v[26:27]
	global_load_dwordx4 v[30:33], v[40:41], off
	global_load_dwordx4 v[26:29], v[40:41], off offset:128
.LBB369_14:
	s_or_b64 exec, exec, s[2:3]
	v_lshrrev_b32_e32 v39, 3, v34
	v_lshlrev_b32_e32 v40, 3, v42
	v_or_b32_e32 v39, v40, v39
	v_lshlrev_b32_e32 v39, 4, v39
	v_and_b32_e32 v40, 0x78, v40
	v_xor_b32_e32 v39, v39, v40
	s_branch .LBB369_17
.LBB369_15:
                                        ; implicit-def: $vgpr39
                                        ; implicit-def: $vgpr37
                                        ; implicit-def: $vgpr22_vgpr23_vgpr24_vgpr25
                                        ; implicit-def: $vgpr18_vgpr19_vgpr20_vgpr21
                                        ; implicit-def: $vgpr30_vgpr31_vgpr32_vgpr33
                                        ; implicit-def: $vgpr26_vgpr27_vgpr28_vgpr29
	s_cbranch_execz .LBB369_17
; %bb.16:
	s_waitcnt vmcnt(0)
	v_lshlrev_b32_e32 v18, 1, v34
	v_lshl_or_b32 v37, v42, 8, v18
	s_and_b32 s1, s1, 0xffff
	s_mov_b32 s3, 0x20000
	s_movk_i32 s2, 0x4000
	v_lshl_or_b32 v39, v36, 8, v18
	s_movk_i32 s4, 0x80
	buffer_load_dwordx4 v[22:25], v37, s[0:3], 0 offen
	buffer_load_dwordx4 v[18:21], v37, s[0:3], s4 offen
	;; [unrolled: 1-line block ×4, first 2 shown]
	v_lshrrev_b32_e32 v37, 3, v34
	v_lshlrev_b32_e32 v39, 3, v42
	v_or_b32_e32 v37, v39, v37
	v_lshlrev_b32_e32 v37, 4, v37
	v_and_b32_e32 v39, 0x78, v39
	v_xor_b32_e32 v39, v37, v39
	v_lshlrev_b32_e32 v37, 7, v36
.LBB369_17:
	s_lshl_b64 s[0:1], s[28:29], 8
	s_add_u32 s4, s12, s0
	s_movk_i32 s0, 0x1000
	v_and_or_b32 v36, v37, s0, v39
	s_waitcnt vmcnt(1)
	ds_write_b64 v39, v[22:23] offset:24576
	v_xor_b32_e32 v22, 8, v39
	ds_write_b64 v22, v[24:25] offset:24576
	s_waitcnt vmcnt(0)
	ds_write_b64 v39, v[18:19] offset:32768
	ds_write_b64 v22, v[20:21] offset:32768
	;; [unrolled: 1-line block ×3, first 2 shown]
	v_xor_b32_e32 v18, 8, v36
	ds_write_b64 v18, v[32:33] offset:24576
	ds_write_b64 v36, v[26:27] offset:32768
	;; [unrolled: 1-line block ×3, first 2 shown]
	v_or_b32_e32 v18, v66, v68
	v_lshlrev_b32_e32 v18, 3, v18
	v_lshrrev_b32_e32 v19, 5, v51
	s_movk_i32 s3, 0xf8
	v_and_or_b32 v19, v18, s3, v19
	v_lshlrev_b32_e32 v23, 4, v19
	v_lshlrev_b32_e32 v39, 11, v1
	v_and_b32_e32 v24, 0x78, v18
	v_or_b32_e32 v26, 32, v23
	v_and_b32_e32 v22, 0x1000, v39
	v_lshrrev_b32_e32 v19, 1, v51
	v_xor_b32_e32 v26, v26, v24
	v_xor_b32_e32 v18, v23, v24
	v_and_b32_e32 v25, 8, v19
	v_or_b32_e32 v26, v26, v22
	v_or_b32_e32 v18, v18, v22
	v_xor_b32_e32 v44, v26, v25
	v_or_b32_e32 v26, 64, v23
	v_xor_b32_e32 v43, v18, v25
	v_xor_b32_e32 v26, v26, v24
	s_waitcnt lgkmcnt(0)
	s_barrier
	v_or_b32_e32 v28, v26, v22
	ds_read_b64 v[26:27], v43 offset:24576
	v_lshl_or_b32 v36, v67, 7, v38
	v_lshlrev_b32_e32 v40, 1, v36
	v_add_u32_e32 v18, 0xa000, v40
	ds_read2_b64 v[18:21], v18 offset1:16
	v_or_b32_e32 v23, 0x60, v23
	v_xor_b32_e32 v23, v23, v24
	s_waitcnt lgkmcnt(0)
	v_mfma_f32_16x16x16_bf16 a[0:3], v[26:27], v[18:19], 0
	v_or_b32_e32 v18, 64, v36
	v_or_b32_e32 v22, v23, v22
	v_lshlrev_b32_e32 v41, 1, v18
	v_xor_b32_e32 v45, v28, v25
	v_xor_b32_e32 v46, v22, v25
	ds_read_b64 v[28:29], v44 offset:24576
	ds_read_b64 v[30:31], v45 offset:24576
	;; [unrolled: 1-line block ×3, first 2 shown]
	v_mfma_f32_16x16x16_bf16 a[4:7], v[26:27], v[20:21], 0
	ds_read2st64_b64 v[18:21], v41 offset0:82 offset1:84
	ds_read2st64_b64 v[22:25], v40 offset0:82 offset1:84
	s_addc_u32 s5, s13, s1
	s_add_i32 s1, s46, s33
	s_add_i32 s0, s39, -1
	s_add_i32 s41, s1, s47
	s_add_i32 s1, s49, s48
	;; [unrolled: 1-line block ×3, first 2 shown]
	s_ashr_i32 s1, s0, 31
	s_mul_i32 s2, s0, s37
	s_mul_hi_u32 s3, s0, s36
	s_add_i32 s2, s3, s2
	s_mul_i32 s1, s1, s36
	s_waitcnt lgkmcnt(1)
	v_mfma_f32_16x16x16_bf16 a[4:7], v[28:29], v[18:19], a[4:7]
	s_add_i32 s1, s2, s1
	s_lshl_b64 s[2:3], s[40:41], 2
	s_add_u32 s6, s18, s2
	s_waitcnt lgkmcnt(0)
	v_mfma_f32_16x16x16_bf16 a[0:3], v[28:29], v[22:23], a[0:3]
	s_addc_u32 s7, s19, s3
	s_lshl_b64 s[2:3], s[42:43], 2
	s_mul_i32 s0, s0, s36
	s_add_u32 s12, s6, s2
	ds_read_b64 v[18:19], v40 offset:44032
	v_mfma_f32_16x16x16_bf16 a[4:7], v[30:31], v[20:21], a[4:7]
	ds_read_b64 v[20:21], v41 offset:44032
	s_addc_u32 s13, s7, s3
	s_lshl_b64 s[0:1], s[0:1], 2
	v_mfma_f32_16x16x16_bf16 a[0:3], v[30:31], v[24:25], a[0:3]
	s_add_u32 s0, s12, s0
	s_addc_u32 s1, s13, s1
	s_load_dword s18, s[0:1], 0x0
	s_waitcnt lgkmcnt(0)
	v_mfma_f32_16x16x16_bf16 a[0:3], v[32:33], v[18:19], a[0:3]
	s_and_b64 vcc, exec, s[26:27]
	v_mfma_f32_16x16x16_bf16 a[4:7], v[32:33], v[20:21], a[4:7]
	s_cbranch_vccz .LBB369_28
; %bb.18:
	v_lshlrev_b32_e32 v36, 1, v42
	s_and_b64 vcc, exec, s[14:15]
	s_cbranch_vccz .LBB369_43
; %bb.19:
	v_cmp_gt_i32_e32 vcc, s31, v36
	v_mov_b32_e32 v22, 0
	v_mov_b32_e32 v18, 0
	;; [unrolled: 1-line block ×5, first 2 shown]
	s_and_saveexec_b64 s[0:1], vcc
	s_cbranch_execz .LBB369_21
; %bb.20:
	v_mad_i64_i32 v[18:19], s[2:3], s23, v36, 0
	v_lshl_add_u64 v[18:19], v[18:19], 1, s[4:5]
	v_lshlrev_b32_e32 v20, 1, v34
	v_mov_b32_e32 v21, 0
	v_lshl_add_u64 v[18:19], v[18:19], 0, v[20:21]
	global_load_dwordx4 v[18:21], v[18:19], off
.LBB369_21:
	s_or_b64 exec, exec, s[0:1]
	v_or_b32_e32 v37, 1, v36
	v_cmp_gt_i32_e64 s[0:1], s31, v37
	v_mov_b32_e32 v23, 0
	v_mov_b32_e32 v24, 0
	;; [unrolled: 1-line block ×3, first 2 shown]
	s_and_saveexec_b64 s[2:3], s[0:1]
	s_cbranch_execz .LBB369_23
; %bb.22:
	v_mad_i64_i32 v[22:23], s[6:7], s23, v37, 0
	v_lshl_add_u64 v[22:23], v[22:23], 1, s[4:5]
	v_lshlrev_b32_e32 v24, 1, v34
	v_mov_b32_e32 v25, 0
	v_lshl_add_u64 v[22:23], v[22:23], 0, v[24:25]
	global_load_dwordx4 v[22:25], v[22:23], off
.LBB369_23:
	s_or_b64 exec, exec, s[2:3]
	v_mov_b32_e32 v33, 0
	v_mov_b32_e32 v26, 0
	;; [unrolled: 1-line block ×5, first 2 shown]
	s_and_saveexec_b64 s[2:3], vcc
	s_cbranch_execz .LBB369_25
; %bb.24:
	v_mad_i64_i32 v[26:27], s[6:7], s23, v36, 0
	v_lshl_add_u64 v[26:27], v[26:27], 1, s[4:5]
	v_lshlrev_b32_e32 v28, 1, v34
	v_mov_b32_e32 v29, 0
	v_lshl_add_u64 v[26:27], v[26:27], 0, v[28:29]
	global_load_dwordx4 v[26:29], v[26:27], off offset:128
.LBB369_25:
	s_or_b64 exec, exec, s[2:3]
	v_mov_b32_e32 v32, 0
	v_mov_b32_e32 v31, 0
	;; [unrolled: 1-line block ×3, first 2 shown]
	s_and_saveexec_b64 s[2:3], s[0:1]
	s_cbranch_execz .LBB369_27
; %bb.26:
	v_mad_i64_i32 v[30:31], s[0:1], s23, v37, 0
	v_lshl_add_u64 v[30:31], v[30:31], 1, s[4:5]
	v_lshlrev_b32_e32 v32, 1, v34
	v_mov_b32_e32 v33, 0
	v_lshl_add_u64 v[30:31], v[30:31], 0, v[32:33]
	global_load_dwordx4 v[30:33], v[30:31], off offset:128
.LBB369_27:
	s_or_b64 exec, exec, s[2:3]
	s_branch .LBB369_45
.LBB369_28:
                                        ; implicit-def: $vgpr21
                                        ; implicit-def: $vgpr25
                                        ; implicit-def: $vgpr29
                                        ; implicit-def: $vgpr33
	v_lshrrev_b32_e32 v47, 2, v51
	s_branch .LBB369_46
.LBB369_29:
                                        ; implicit-def: $vgpr4
                                        ; implicit-def: $vgpr5
                                        ; implicit-def: $sgpr26
	v_lshl_or_b32 v2, v73, 9, v2
.LBB369_30:
	v_or_b32_e32 v4, 0x100, v2
	s_movk_i32 s26, 0x4000
	v_mov_b32_e32 v5, v2
.LBB369_31:
	s_mul_i32 s4, s38, s22
	s_ashr_i32 s60, s55, 31
	s_mul_hi_i32 s3, s38, s22
	s_add_u32 s4, s4, s55
	s_addc_u32 s5, s3, s60
	s_lshl_b64 s[4:5], s[4:5], 8
	s_add_u32 s24, s12, s4
	s_addc_u32 s3, s13, s5
	s_and_b32 s25, s3, 0xffff
	s_movk_i32 s61, 0x80
	buffer_load_dwordx4 v[6:9], v5, s[24:27], 0 offen
	buffer_load_dwordx4 v[10:13], v5, s[24:27], s61 offen
	;; [unrolled: 1-line block ×4, first 2 shown]
	v_and_b32_e32 v4, 6, v0
	v_lshlrev_b32_e32 v39, 6, v71
	v_or_b32_e32 v41, 16, v68
	v_xor_b32_e32 v42, v73, v4
	v_and_b32_e32 v5, 1, v0
	v_lshl_or_b32 v45, v68, 3, v39
	v_lshl_or_b32 v39, v41, 3, v39
	v_lshlrev_b32_e32 v42, 2, v42
	v_lshlrev_b32_e32 v38, 2, v68
	v_or_b32_e32 v81, 0xa000, v39
	v_or_b32_e32 v82, 0xb000, v39
	v_xor_b32_e32 v39, 0x440, v42
	v_cmp_eq_u32_e32 vcc, 0, v5
	s_add_i32 s3, s46, s33
	v_xor_b32_e32 v43, v71, v38
	v_xor_b32_e32 v44, v72, v38
	v_cndmask_b32_e32 v5, v39, v42, vcc
	s_add_i32 s4, s49, s48
	s_add_i32 s41, s3, s47
	s_mov_b32 s62, 0x1000504
	v_lshlrev_b32_e32 v40, 8, v68
	v_lshlrev_b32_e32 v41, 8, v41
	;; [unrolled: 1-line block ×4, first 2 shown]
	v_lshl_or_b32 v4, v4, 10, v5
	s_add_i32 s43, s4, s50
	s_lshl_b64 s[4:5], s[40:41], 2
	s_mov_b32 s63, 0x3020706
	v_or_b32_e32 v79, 0xa000, v45
	v_or_b32_e32 v80, 0xb000, v45
	;; [unrolled: 1-line block ×5, first 2 shown]
	v_xor_b32_e32 v5, 8, v4
	v_xor_b32_e32 v40, 24, v4
	;; [unrolled: 1-line block ×4, first 2 shown]
	s_add_u32 s3, s18, s4
	v_or_b32_e32 v85, v41, v43
	v_xor_b32_e32 v39, 16, v4
	v_xor_b32_e32 v41, 32, v4
	;; [unrolled: 1-line block ×3, first 2 shown]
	v_add_u32_e32 v5, 0x80, v5
	v_add_u32_e32 v40, 0x80, v40
	;; [unrolled: 1-line block ×4, first 2 shown]
	s_addc_u32 s24, s19, s5
	s_lshl_b64 s[4:5], s[42:43], 2
	s_add_u32 s4, s3, s4
	s_movk_i32 s3, 0xf8
	s_addc_u32 s5, s24, s5
	s_lshl_b32 s30, s23, 7
	s_movk_i32 s28, 0x100
	v_mov_b32_e32 v59, 0
	v_lshlrev_b32_e32 v58, 4, v68
	v_cmp_gt_u32_e32 vcc, s28, v0
	v_ashrrev_i32_e32 v57, 31, v56
	s_mov_b32 s64, 0
	s_movk_i32 s41, 0x1000
	s_movk_i32 s26, 0x4000
	v_mov_b32_e32 v107, 0x3fb8aa3b
	s_waitcnt vmcnt(1)
	v_perm_b32 v45, v6, v14, s62
	s_waitcnt vmcnt(0)
	v_perm_b32 v46, v10, v34, s62
	v_perm_b32 v6, v6, v14, s63
	;; [unrolled: 1-line block ×15, first 2 shown]
	ds_write2st64_b32 v4, v45, v46 offset0:32 offset1:64
	ds_write2st64_b32 v5, v6, v10 offset0:32 offset1:64
	;; [unrolled: 1-line block ×8, first 2 shown]
	v_or_b32_e32 v4, v66, v68
	v_lshlrev_b32_e32 v4, 3, v4
	v_lshrrev_b32_e32 v7, 5, v51
	v_and_or_b32 v7, v4, s3, v7
	v_lshlrev_b32_e32 v7, 4, v7
	v_lshlrev_b32_e32 v5, 11, v1
	v_and_b32_e32 v4, 0x78, v4
	v_or_b32_e32 v12, 32, v7
	v_and_b32_e32 v6, 0x1000, v5
	v_lshrrev_b32_e32 v9, 1, v0
	v_xor_b32_e32 v12, v12, v4
	v_and_b32_e32 v10, 8, v9
	v_or_b32_e32 v12, v12, v6
	v_xor_b32_e32 v8, v7, v4
	v_xor_b32_e32 v89, v12, v10
	v_or_b32_e32 v12, 64, v7
	v_or_b32_e32 v7, 0x60, v7
	s_ashr_i32 s3, s2, 31
	v_xor_b32_e32 v12, v12, v4
	v_xor_b32_e32 v4, v7, v4
	s_lshl_b64 s[24:25], s[2:3], 8
	v_or_b32_e32 v8, v8, v6
	v_or_b32_e32 v12, v12, v6
	;; [unrolled: 1-line block ×3, first 2 shown]
	s_add_u32 s24, s6, s24
	v_lshlrev_b32_e32 v6, 1, v68
	v_xor_b32_e32 v91, v12, v10
	v_lshrrev_b32_e32 v12, 4, v0
	s_addc_u32 s25, s7, s25
	v_or_b32_e32 v7, 1, v6
	v_mov_b32_e32 v16, 0x4000
	v_mov_b32_e32 v17, 0x2000
	v_xor_b32_e32 v13, v12, v6
	v_xor_b32_e32 v14, v7, v12
	v_lshl_add_u64 v[6:7], s[24:25], 0, v[58:59]
	v_lshlrev_b32_e32 v58, 8, v12
	v_cndmask_b32_e32 v16, v16, v17, vcc
	v_lshlrev_b32_e32 v17, 3, v1
	v_and_b32_e32 v9, 24, v9
	v_lshl_or_b32 v95, v13, 3, v58
	v_and_b32_e32 v13, 8, v0
	v_xor_b32_e32 v34, v17, v9
	v_or_b32_e32 v35, 0x440, v34
	v_cmp_eq_u32_e32 vcc, 0, v13
	v_and_b32_e32 v12, 7, v0
	v_xor_b32_e32 v87, v8, v10
	v_cndmask_b32_e32 v13, v35, v34, vcc
	v_lshlrev_b32_e32 v8, 7, v67
	v_lshl_or_b32 v96, v14, 3, v58
	v_lshlrev_b32_e32 v14, 3, v12
	v_lshlrev_b32_e32 v12, 7, v12
	;; [unrolled: 1-line block ×3, first 2 shown]
	v_or_b32_e32 v13, v13, v5
	v_or_b32_e32 v11, v8, v38
	v_xad_u32 v97, v13, v14, v12
	v_and_or_b32 v8, v15, 60, v8
	v_mov_b32_e32 v13, 0xb000
	v_lshl_or_b32 v98, v8, 1, v13
	v_or_b32_e32 v8, 32, v9
	v_xor_b32_e32 v8, v17, v8
	v_or_b32_e32 v13, 0x440, v8
	v_cndmask_b32_e32 v8, v13, v8, vcc
	v_or_b32_e32 v8, v8, v5
	v_xad_u32 v99, v8, v14, v12
	v_or_b32_e32 v8, 64, v9
	v_xor_b32_e32 v8, v17, v8
	v_xor_b32_e32 v13, 0x440, v8
	v_cndmask_b32_e32 v8, v13, v8, vcc
	v_or_b32_e32 v8, v8, v5
	v_xad_u32 v100, v8, v14, v12
	v_or_b32_e32 v8, 0x60, v9
	v_xor_b32_e32 v8, v17, v8
	v_xor_b32_e32 v9, 0x440, v8
	v_lshlrev_b32_e32 v11, 1, v11
	v_cndmask_b32_e32 v8, v9, v8, vcc
	v_or_b32_e32 v88, 0xa000, v11
	v_or_b32_e32 v90, 0xa080, v11
	v_xor_b32_e32 v92, v4, v10
	v_or_b32_e32 v93, 0xb000, v11
	v_or_b32_e32 v94, 0xb080, v11
	v_lshlrev_b32_e32 v10, 1, v3
	v_add_lshl_u32 v3, v3, s23, 1
	v_or_b32_e32 v11, 0x100, v2
	v_or_b32_e32 v5, v8, v5
	v_lshlrev_b32_e32 v4, 7, v71
	v_xad_u32 v101, v5, v14, v12
	v_cndmask_b32_e64 v102, v10, v2, s[0:1]
	v_cndmask_b32_e64 v103, v3, v11, s[0:1]
	v_lshlrev_b64 v[2:3], 1, v[56:57]
	v_lshl_add_u64 v[60:61], s[16:17], 0, v[2:3]
	v_lshl_add_u64 v[62:63], s[8:9], 0, v[2:3]
	;; [unrolled: 1-line block ×3, first 2 shown]
	s_mov_b32 s3, 0x7060302
	v_lshlrev_b32_e32 v58, 1, v4
	v_add_u32_e32 v57, v16, v97
	v_add_u32_e32 v104, v16, v99
	;; [unrolled: 1-line block ×4, first 2 shown]
	s_waitcnt lgkmcnt(0)
	s_barrier
	s_branch .LBB369_33
.LBB369_32:                             ;   in Loop: Header=BB369_33 Depth=1
	v_mul_f32_e32 v6, s24, v107
	s_waitcnt vmcnt(2)
	v_exp_f32_e32 v34, v6
	s_nop 1
	v_accvgpr_read_b32 v17, a15
	v_accvgpr_read_b32 v2, a4
	;; [unrolled: 1-line block ×16, first 2 shown]
	v_fma_f32 v16, v32, v34, v16
	v_fmac_f32_e32 v17, v33, v34
	v_fma_f32 v2, v18, v34, v2
	v_fma_f32 v3, v19, v34, v3
	v_fma_f32 v4, v20, v34, v4
	v_fmac_f32_e32 v5, v21, v34
	v_fma_f32 v10, v26, v34, v10
	v_fma_f32 v11, v27, v34, v11
	;; [unrolled: 4-line block ×4, first 2 shown]
	s_add_i32 s59, s59, 64
	v_mov_b64_e32 v[32:33], v[16:17]
	s_cmp_eq_u32 s52, s43
	s_mov_b32 s64, s43
	v_mov_b64_e32 v[30:31], v[14:15]
	v_mov_b64_e32 v[28:29], v[12:13]
	;; [unrolled: 1-line block ×7, first 2 shown]
	s_cbranch_scc1 .LBB369_4
.LBB369_33:                             ; =>This Inner Loop Header: Depth=1
	s_add_i32 s43, s64, 1
	s_cmp_lt_i32 s43, s52
	s_mov_b64 s[28:29], 0
	s_cselect_b64 s[44:45], -1, 0
	s_cmp_ge_i32 s43, s52
	s_mov_b64 s[24:25], 0
	s_cbranch_scc1 .LBB369_35
; %bb.34:                               ;   in Loop: Header=BB369_33 Depth=1
	s_add_i32 s0, s59, 64
	s_ashr_i32 s1, s0, 31
	s_add_u32 s0, s57, s0
	s_addc_u32 s1, s56, s1
	s_lshl_b64 s[0:1], s[0:1], 8
	s_add_u32 s24, s14, s0
	s_addc_u32 s25, s15, s1
.LBB369_35:                             ;   in Loop: Header=BB369_33 Depth=1
	v_cndmask_b32_e64 v2, 0, 1, s[44:45]
	v_cmp_ne_u32_e64 s[0:1], 1, v2
	s_andn2_b64 vcc, exec, s[44:45]
	s_cbranch_vccnz .LBB369_37
; %bb.36:                               ;   in Loop: Header=BB369_33 Depth=1
	s_add_i32 s28, s59, 64
	s_mul_hi_i32 s29, s28, s22
	s_mul_i32 s28, s28, s22
	s_add_u32 s28, s28, s55
	s_addc_u32 s29, s29, s60
	s_lshl_b64 s[28:29], s[28:29], 8
	s_add_u32 s28, s12, s28
	s_addc_u32 s29, s13, s29
.LBB369_37:                             ;   in Loop: Header=BB369_33 Depth=1
	v_perm_b32 v3, v21, v20, s3
	v_perm_b32 v2, v19, v18, s3
	;; [unrolled: 1-line block ×4, first 2 shown]
	ds_write_b64 v79, v[2:3]
	ds_write_b64 v80, v[4:5]
	;; [unrolled: 1-line block ×4, first 2 shown]
	v_perm_b32 v3, v29, v28, s3
	v_perm_b32 v2, v27, v26, s3
	;; [unrolled: 1-line block ×4, first 2 shown]
	ds_write_b64 v81, v[2:3]
	ds_write_b64 v82, v[4:5]
	ds_write_b64 v85, v[2:3]
	ds_write_b64 v86, v[4:5]
	s_waitcnt lgkmcnt(0)
	s_barrier
	ds_read_b64 v[6:7], v87 offset:24576
	ds_read2_b64 v[2:5], v88 offset1:16
	ds_read_b64 v[10:11], v90 offset:3072
	ds_read_b64 v[12:13], v88 offset:3072
	;; [unrolled: 1-line block ×3, first 2 shown]
	s_waitcnt lgkmcnt(3)
	v_mfma_f32_16x16x16_bf16 a[0:3], v[6:7], v[2:3], 0
	s_add_i32 s31, s59, 63
	s_ashr_i32 s44, s31, 31
	s_mul_i32 s45, s31, s37
	v_mfma_f32_16x16x16_bf16 a[4:7], v[6:7], v[4:5], 0
	ds_read2st64_b64 v[2:5], v88 offset0:2 offset1:4
	s_mul_hi_u32 s65, s31, s36
	s_add_i32 s45, s65, s45
	s_waitcnt lgkmcnt(0)
	v_mfma_f32_16x16x16_bf16 a[0:3], v[14:15], v[2:3], a[0:3]
	ds_read2st64_b64 v[6:9], v90 offset0:2 offset1:4
	ds_read_b64 v[2:3], v91 offset:24576
	s_mul_i32 s44, s44, s36
	s_add_i32 s45, s45, s44
	s_waitcnt lgkmcnt(1)
	v_mfma_f32_16x16x16_bf16 a[4:7], v[14:15], v[6:7], a[4:7]
	ds_read_b64 v[6:7], v92 offset:24576
	s_mul_i32 s44, s31, s36
	s_lshl_b64 s[44:45], s[44:45], 2
	s_waitcnt lgkmcnt(1)
	v_mfma_f32_16x16x16_bf16 a[0:3], v[2:3], v[4:5], a[0:3]
	s_add_u32 s44, s4, s44
	s_addc_u32 s45, s5, s45
	s_and_b64 vcc, exec, s[0:1]
	v_mfma_f32_16x16x16_bf16 a[8:11], v[2:3], v[8:9], a[4:7]
	v_mov_b32_e32 v110, 0
	v_mov_b32_e32 v109, 0
	;; [unrolled: 1-line block ×3, first 2 shown]
	s_waitcnt lgkmcnt(0)
	v_mfma_f32_16x16x16_bf16 a[4:7], v[6:7], v[12:13], a[0:3]
	v_mov_b32_e32 v2, 0
	v_mov_b32_e32 v3, 0
	v_mov_b32_e32 v4, 0
	v_mfma_f32_16x16x16_bf16 a[0:3], v[6:7], v[10:11], a[8:11]
	v_mov_b32_e32 v5, 0
	v_mov_b32_e32 v6, 0
	;; [unrolled: 1-line block ×13, first 2 shown]
	s_cbranch_vccnz .LBB369_39
; %bb.38:                               ;   in Loop: Header=BB369_33 Depth=1
	s_and_b32 s25, s25, 0xffff
	buffer_load_dwordx4 v[14:17], v75, s[24:27], 0 offen
	buffer_load_dwordx4 v[10:13], v75, s[24:27], s61 offen
	;; [unrolled: 1-line block ×4, first 2 shown]
	v_mov_b32_e32 v109, v77
	v_mov_b32_e32 v108, v78
.LBB369_39:                             ;   in Loop: Header=BB369_33 Depth=1
	ds_read_b64 v[42:43], v87 offset:32768
	ds_read2_b64 v[34:37], v93 offset1:16
	ds_read_b64 v[44:45], v89 offset:32768
	ds_read_b64 v[46:47], v91 offset:32768
	;; [unrolled: 1-line block ×3, first 2 shown]
	v_add_u32_e32 v111, s59, v71
	s_waitcnt lgkmcnt(3)
	v_mfma_f32_16x16x16_bf16 a[4:7], v[42:43], v[34:35], a[4:7]
	v_ashrrev_i32_e32 v34, 31, v111
	ds_read2st64_b64 v[38:41], v93 offset0:2 offset1:4
	v_mfma_f32_16x16x16_bf16 a[0:3], v[42:43], v[36:37], a[0:3]
	v_mul_lo_u32 v36, v34, s36
	v_mul_lo_u32 v37, v111, s37
	v_mad_u64_u32 v[34:35], s[24:25], v111, s36, 0
	v_add3_u32 v35, v35, v37, v36
	v_add_u32_e32 v36, 1, v111
	v_ashrrev_i32_e32 v37, 31, v36
	v_mul_lo_u32 v42, v37, s36
	v_mul_lo_u32 v43, v36, s37
	v_mad_u64_u32 v[36:37], s[24:25], v36, s36, 0
	v_add3_u32 v37, v37, v43, v42
	v_add_u32_e32 v42, 2, v111
	v_ashrrev_i32_e32 v43, 31, v42
	v_mul_lo_u32 v112, v43, s36
	v_mul_lo_u32 v113, v42, s37
	v_mad_u64_u32 v[42:43], s[24:25], v42, s36, 0
	v_add_u32_e32 v111, 3, v111
	v_add3_u32 v43, v43, v113, v112
	v_ashrrev_i32_e32 v112, 31, v111
	v_mul_lo_u32 v114, v112, s36
	v_mad_u64_u32 v[112:113], s[24:25], v111, s36, 0
	v_mul_lo_u32 v115, v111, s37
	s_ashr_i32 s25, s59, 31
	v_add3_u32 v113, v113, v115, v114
	s_add_u32 s24, s57, s59
	v_lshl_add_u64 v[34:35], v[34:35], 2, s[4:5]
	v_lshl_add_u64 v[112:113], v[112:113], 2, s[4:5]
	s_addc_u32 s25, s56, s25
	v_lshl_add_u64 v[36:37], v[36:37], 2, s[4:5]
	v_lshl_add_u64 v[42:43], v[42:43], 2, s[4:5]
	global_load_dword v111, v[34:35], off
	global_load_dword v114, v[36:37], off
	;; [unrolled: 1-line block ×3, first 2 shown]
	s_nop 0
	global_load_dword v112, v[112:113], off
	s_lshl_b64 s[66:67], s[24:25], 8
	v_lshl_add_u64 v[34:35], v[60:61], 0, s[66:67]
	v_lshl_add_u64 v[42:43], v[34:35], 0, v[58:59]
	global_load_ushort v113, v[42:43], off offset:256
	global_load_ushort v116, v[42:43], off
	ds_read2st64_b64 v[34:37], v94 offset0:2 offset1:4
	global_load_ushort v117, v[42:43], off offset:768
	global_load_ushort v118, v[42:43], off offset:512
	;; [unrolled: 1-line block ×6, first 2 shown]
	s_waitcnt lgkmcnt(1)
	v_mfma_f32_16x16x16_bf16 a[4:7], v[44:45], v[38:39], a[4:7]
	s_and_b64 vcc, exec, s[0:1]
	s_waitcnt vmcnt(7)
	v_lshlrev_b32_e32 v43, 16, v113
	s_waitcnt lgkmcnt(0)
	v_mfma_f32_16x16x16_bf16 a[0:3], v[44:45], v[34:35], a[0:3]
	v_mfma_f32_16x16x16_bf16 a[4:7], v[46:47], v[40:41], a[4:7]
	;; [unrolled: 1-line block ×3, first 2 shown]
	ds_read_b64 v[34:35], v93 offset:3072
	ds_read_b64 v[36:37], v94 offset:3072
	s_load_dword s24, s[44:45], 0x0
	s_waitcnt lgkmcnt(0)
	v_sub_f32_e32 v42, s24, v111
	v_mfma_f32_16x16x16_bf16 a[4:7], v[48:49], v[34:35], a[4:7]
	v_sub_f32_e32 v45, s24, v114
	v_sub_f32_e32 v46, s24, v115
	;; [unrolled: 1-line block ×3, first 2 shown]
	v_mul_f32_e32 v44, 0x3fb8aa3b, v42
	v_mul_f32_e32 v45, 0x3fb8aa3b, v45
	;; [unrolled: 1-line block ×4, first 2 shown]
	v_mfma_f32_16x16x16_bf16 a[0:3], v[48:49], v[36:37], a[0:3]
	v_accvgpr_read_b32 v41, a5
	v_exp_f32_e32 v44, v44
	v_exp_f32_e32 v45, v45
	;; [unrolled: 1-line block ×4, first 2 shown]
	v_accvgpr_read_b32 v40, a4
	s_waitcnt vmcnt(6)
	v_lshlrev_b32_e32 v42, 16, v116
	v_lshl_add_u64 v[34:35], v[62:63], 0, s[66:67]
	v_accvgpr_read_b32 v37, a7
	v_accvgpr_read_b32 v36, a6
	v_pk_add_f32 v[40:41], v[42:43], v[40:41] neg_lo:[0,1] neg_hi:[0,1]
	s_waitcnt vmcnt(5)
	v_lshlrev_b32_e32 v43, 16, v117
	s_waitcnt vmcnt(4)
	v_lshlrev_b32_e32 v42, 16, v118
	v_lshl_add_u64 v[34:35], v[34:35], 0, v[58:59]
	v_pk_add_f32 v[36:37], v[42:43], v[36:37] neg_lo:[0,1] neg_hi:[0,1]
	global_store_short_d16_hi v[34:35], v40, off
	global_store_short_d16_hi v[34:35], v41, off offset:256
	global_store_short_d16_hi v[34:35], v36, off offset:512
	;; [unrolled: 1-line block ×3, first 2 shown]
	v_pk_mul_f32 v[40:41], v[44:45], v[40:41]
	v_pk_mul_f32 v[36:37], v[46:47], v[36:37]
	v_accvgpr_read_b32 v43, a1
	v_perm_b32 v37, v37, v36, s3
	v_perm_b32 v36, v41, v40, s3
	s_waitcnt vmcnt(5)
	v_lshlrev_b32_e32 v41, 16, v121
	s_waitcnt vmcnt(4)
	v_lshlrev_b32_e32 v40, 16, v122
	v_accvgpr_read_b32 v42, a0
	v_accvgpr_read_b32 v39, a3
	;; [unrolled: 1-line block ×3, first 2 shown]
	v_pk_add_f32 v[40:41], v[40:41], v[42:43] neg_lo:[0,1] neg_hi:[0,1]
	v_lshlrev_b32_e32 v43, 16, v119
	v_lshlrev_b32_e32 v42, 16, v120
	v_pk_add_f32 v[38:39], v[42:43], v[38:39] neg_lo:[0,1] neg_hi:[0,1]
	global_store_short_d16_hi v[34:35], v40, off offset:32
	global_store_short_d16_hi v[34:35], v41, off offset:288
	;; [unrolled: 1-line block ×4, first 2 shown]
	v_pk_mul_f32 v[34:35], v[44:45], v[40:41]
	v_pk_mul_f32 v[38:39], v[46:47], v[38:39]
	v_mov_b32_e32 v111, 0
	v_perm_b32 v39, v39, v38, s3
	v_perm_b32 v38, v35, v34, s3
	ds_write2_b64 v80, v[36:37], v[38:39] offset1:16
	v_mov_b32_e32 v34, 0
	v_mov_b32_e32 v35, 0
	;; [unrolled: 1-line block ×16, first 2 shown]
	s_cbranch_vccnz .LBB369_41
; %bb.40:                               ;   in Loop: Header=BB369_33 Depth=1
	s_and_b32 s29, s29, 0xffff
	s_mov_b32 s31, s27
	buffer_load_dwordx4 v[46:49], v102, s[28:31], 0 offen
	buffer_load_dwordx4 v[38:41], v102, s[28:31], s61 offen
	;; [unrolled: 1-line block ×4, first 2 shown]
	v_mov_b32_e32 v110, v74
	v_mov_b32_e32 v111, v73
.LBB369_41:                             ;   in Loop: Header=BB369_33 Depth=1
	s_waitcnt lgkmcnt(0)
	s_barrier
	ds_read_b64 v[116:117], v57
	ds_read_b64 v[124:125], v98
	;; [unrolled: 1-line block ×5, first 2 shown]
	ds_read_b64 v[130:131], v99 offset:16384
	ds_read_b64 v[132:133], v97 offset:16384
	ds_read2_b64 v[112:115], v93 offset0:16 offset1:128
	s_waitcnt lgkmcnt(6)
	v_mfma_f32_16x16x16_bf16 a[0:3], v[116:117], v[124:125], 0
	ds_read_b64 v[134:135], v94 offset:3072
	ds_read_b64 v[136:137], v101 offset:16384
	s_add_i32 s25, s58, s64
	s_waitcnt lgkmcnt(2)
	v_mfma_f32_16x16x16_bf16 a[4:7], v[116:117], v[112:113], 0
	ds_read2st64_b64 v[116:119], v94 offset0:2 offset1:4
	s_mul_hi_i32 s29, s25, s21
	s_mul_i32 s25, s25, s21
	v_mfma_f32_16x16x16_bf16 a[0:3], v[120:121], v[114:115], a[0:3]
	s_add_u32 s28, s25, s51
	s_addc_u32 s29, s29, s53
	s_lshl_b64 s[28:29], s[28:29], 15
	s_waitcnt lgkmcnt(0)
	v_mfma_f32_16x16x16_bf16 a[4:7], v[120:121], v[116:117], a[4:7]
	ds_read2st64_b64 v[120:123], v93 offset0:4 offset1:6
	s_waitcnt lgkmcnt(0)
	v_mfma_f32_16x16x16_bf16 a[0:3], v[126:127], v[120:121], a[0:3]
	v_mfma_f32_16x16x16_bf16 a[8:11], v[126:127], v[118:119], a[4:7]
	;; [unrolled: 1-line block ×5, first 2 shown]
	ds_read2st64_b64 v[124:127], v96 offset1:8
	v_mfma_f32_16x16x16_bf16 a[12:15], v[132:133], v[112:113], 0
	ds_read_b64 v[132:133], v100 offset:16384
	v_mfma_f32_16x16x16_bf16 a[8:11], v[130:131], v[114:115], a[8:11]
	ds_read2st64_b64 v[112:115], v95 offset1:8
	s_waitcnt lgkmcnt(0)
	v_mov_b32_e32 v128, v112
	v_mfma_f32_16x16x16_bf16 a[12:15], v[130:131], v[116:117], a[12:15]
	v_lshl_add_u64 v[116:117], v[64:65], 0, s[28:29]
	v_add_co_u32_e32 v112, vcc, s41, v116
	v_mfma_f32_16x16x16_bf16 a[8:11], v[132:133], v[120:121], a[8:11]
	v_mov_b32_e32 v129, v113
	v_addc_co_u32_e32 v113, vcc, 0, v117, vcc
	v_mfma_f32_16x16x16_bf16 a[12:15], v[132:133], v[118:119], a[12:15]
	v_mov_b32_e32 v130, v124
	v_mov_b32_e32 v131, v125
	;; [unrolled: 1-line block ×3, first 2 shown]
	v_mfma_f32_16x16x16_bf16 a[8:11], v[136:137], v[122:123], a[8:11]
	v_mov_b32_e32 v125, v115
	s_and_b64 vcc, exec, s[0:1]
	global_store_dwordx4 v[116:117], v[128:131], off
	v_mfma_f32_16x16x16_bf16 a[12:15], v[136:137], v[134:135], a[12:15]
	global_store_dwordx4 v[112:113], v[124:127], off
	s_cbranch_vccnz .LBB369_32
; %bb.42:                               ;   in Loop: Header=BB369_33 Depth=1
	v_lshrrev_b32_e32 v112, 3, v110
	v_and_b32_e32 v112, 6, v112
	v_xor_b32_e32 v111, v112, v111
	v_lshlrev_b32_e32 v111, 2, v111
	v_and_b32_e32 v110, 8, v110
	v_xor_b32_e32 v113, 0x440, v111
	v_cmp_eq_u32_e32 vcc, 0, v110
	s_barrier
	s_nop 0
	v_cndmask_b32_e32 v110, v113, v111, vcc
	v_lshl_or_b32 v110, v112, 10, v110
	s_waitcnt vmcnt(3)
	v_perm_b32 v111, v46, v42, s62
	s_waitcnt vmcnt(2)
	v_perm_b32 v112, v38, v34, s62
	ds_write2st64_b32 v110, v111, v112 offset0:32 offset1:64
	v_xor_b32_e32 v111, 8, v110
	v_perm_b32 v42, v46, v42, s63
	v_perm_b32 v34, v38, v34, s63
	v_add_u32_e32 v38, 0x80, v111
	ds_write2st64_b32 v38, v42, v34 offset0:32 offset1:64
	v_xor_b32_e32 v34, 16, v110
	v_perm_b32 v38, v47, v43, s62
	v_perm_b32 v42, v39, v35, s62
	ds_write2st64_b32 v34, v38, v42 offset0:33 offset1:65
	v_xor_b32_e32 v34, 24, v110
	v_perm_b32 v38, v47, v43, s63
	v_perm_b32 v35, v39, v35, s63
	v_add_u32_e32 v34, 0x80, v34
	ds_write2st64_b32 v34, v38, v35 offset0:33 offset1:65
	v_xor_b32_e32 v34, 32, v110
	v_perm_b32 v35, v48, v44, s62
	;; [unrolled: 9-line block ×3, first 2 shown]
	v_perm_b32 v36, v41, v37, s62
	ds_write2st64_b32 v34, v35, v36 offset0:35 offset1:67
	v_xor_b32_e32 v34, 56, v110
	v_perm_b32 v35, v49, v45, s63
	v_perm_b32 v36, v41, v37, s63
	v_add_u32_e32 v34, 0x80, v34
	ds_write2st64_b32 v34, v35, v36 offset0:35 offset1:67
	ds_write_b64 v109, v[14:15] offset:24576
	v_xor_b32_e32 v14, 8, v109
	ds_write_b64 v14, v[16:17] offset:24576
	ds_write_b64 v109, v[10:11] offset:32768
	;; [unrolled: 1-line block ×4, first 2 shown]
	v_xor_b32_e32 v6, 8, v108
	ds_write_b64 v6, v[8:9] offset:24576
	ds_write_b64 v108, v[2:3] offset:32768
	;; [unrolled: 1-line block ×3, first 2 shown]
	s_branch .LBB369_32
.LBB369_43:
                                        ; implicit-def: $vgpr21
                                        ; implicit-def: $vgpr25
                                        ; implicit-def: $vgpr29
                                        ; implicit-def: $vgpr33
	s_cbranch_execz .LBB369_45
; %bb.44:
	s_waitcnt vmcnt(0)
	v_mad_u64_u32 v[18:19], s[0:1], v36, s23, v[34:35]
	v_lshlrev_b32_e32 v36, 1, v18
	s_lshl_b32 s2, s23, 7
	s_and_b32 s1, s5, 0xffff
	s_mov_b32 s3, 0x20000
	s_mov_b32 s0, s4
	v_add_lshl_u32 v37, v18, s23, 1
	s_movk_i32 s6, 0x80
	buffer_load_dwordx4 v[18:21], v36, s[0:3], 0 offen
	buffer_load_dwordx4 v[26:29], v36, s[0:3], s6 offen
	;; [unrolled: 1-line block ×4, first 2 shown]
.LBB369_45:
	v_lshrrev_b32_e32 v47, 2, v51
	s_cbranch_execnz .LBB369_58
.LBB369_46:
	s_and_b64 vcc, exec, s[14:15]
	s_cbranch_vccz .LBB369_56
; %bb.47:
	s_waitcnt vmcnt(0)
	v_lshlrev_b32_e32 v23, 1, v42
	v_cmp_gt_i32_e32 vcc, s31, v23
	v_mov_b32_e32 v22, 0
	v_lshlrev_b32_e32 v30, 9, v42
	v_mov_b32_e32 v18, 0
	v_mov_b32_e32 v19, 0
	;; [unrolled: 1-line block ×4, first 2 shown]
	s_and_saveexec_b64 s[0:1], vcc
	s_cbranch_execz .LBB369_49
; %bb.48:
	v_mov_b32_e32 v31, 0
	v_lshl_add_u64 v[18:19], s[4:5], 0, v[30:31]
	v_lshlrev_b32_e32 v20, 1, v34
	v_mov_b32_e32 v21, v31
	v_lshl_add_u64 v[18:19], v[18:19], 0, v[20:21]
	global_load_dwordx4 v[18:21], v[18:19], off
.LBB369_49:
	s_or_b64 exec, exec, s[0:1]
	v_or_b32_e32 v23, 1, v23
	v_cmp_gt_i32_e64 s[0:1], s31, v23
	v_lshlrev_b32_e32 v36, 8, v23
	v_mov_b32_e32 v23, 0
	v_mov_b32_e32 v24, 0
	;; [unrolled: 1-line block ×3, first 2 shown]
	s_and_saveexec_b64 s[2:3], s[0:1]
	s_cbranch_execz .LBB369_51
; %bb.50:
	v_mov_b32_e32 v37, 0
	v_lshl_add_u64 v[22:23], s[4:5], 0, v[36:37]
	v_lshlrev_b32_e32 v24, 1, v34
	v_mov_b32_e32 v25, v37
	v_lshl_add_u64 v[22:23], v[22:23], 0, v[24:25]
	global_load_dwordx4 v[22:25], v[22:23], off
.LBB369_51:
	s_or_b64 exec, exec, s[2:3]
	v_mov_b32_e32 v33, 0
	v_mov_b32_e32 v26, 0
	;; [unrolled: 1-line block ×5, first 2 shown]
	s_and_saveexec_b64 s[2:3], vcc
	s_cbranch_execz .LBB369_53
; %bb.52:
	v_mov_b32_e32 v31, 0
	v_lshl_add_u64 v[26:27], s[4:5], 0, v[30:31]
	v_lshlrev_b32_e32 v30, 1, v34
	v_lshl_add_u64 v[26:27], v[26:27], 0, v[30:31]
	global_load_dwordx4 v[26:29], v[26:27], off offset:128
.LBB369_53:
	s_or_b64 exec, exec, s[2:3]
	v_mov_b32_e32 v32, 0
	v_mov_b32_e32 v31, 0
	v_mov_b32_e32 v30, 0
	s_and_saveexec_b64 s[2:3], s[0:1]
	s_cbranch_execz .LBB369_55
; %bb.54:
	v_mov_b32_e32 v37, 0
	v_lshl_add_u64 v[30:31], s[4:5], 0, v[36:37]
	v_lshlrev_b32_e32 v36, 1, v34
	v_lshl_add_u64 v[30:31], v[30:31], 0, v[36:37]
	global_load_dwordx4 v[30:33], v[30:31], off offset:128
.LBB369_55:
	s_or_b64 exec, exec, s[2:3]
	s_branch .LBB369_58
.LBB369_56:
                                        ; implicit-def: $vgpr21
                                        ; implicit-def: $vgpr25
                                        ; implicit-def: $vgpr29
                                        ; implicit-def: $vgpr33
	s_cbranch_execz .LBB369_58
; %bb.57:
	s_waitcnt vmcnt(0)
	v_lshlrev_b32_e32 v18, 1, v34
	v_lshl_or_b32 v34, v42, 9, v18
	s_and_b32 s5, s5, 0xffff
	s_mov_b32 s7, 0x20000
	s_movk_i32 s6, 0x4000
	s_movk_i32 s0, 0x80
	buffer_load_dwordx4 v[18:21], v34, s[4:7], 0 offen
	buffer_load_dwordx4 v[22:25], v34, s[4:7], 0 offen offset:256
	buffer_load_dwordx4 v[26:29], v34, s[4:7], s0 offen
	buffer_load_dwordx4 v[30:33], v34, s[4:7], s0 offen offset:256
.LBB369_58:
	ds_read_b64 v[36:37], v43 offset:32768
	v_add_u32_e32 v34, 0xb000, v40
	ds_read2_b64 v[58:61], v34 offset1:16
	ds_read_b64 v[48:49], v44 offset:32768
	ds_read_b64 v[44:45], v45 offset:32768
	;; [unrolled: 1-line block ×3, first 2 shown]
	v_and_b32_e32 v34, 6, v0
	v_xor_b32_e32 v42, v42, v34
	v_lshlrev_b32_e32 v42, 2, v42
	v_and_b32_e32 v43, 1, v0
	v_xor_b32_e32 v46, 0x440, v42
	v_cmp_eq_u32_e32 vcc, 0, v43
	s_waitcnt lgkmcnt(3)
	v_mfma_f32_16x16x16_bf16 a[0:3], v[36:37], v[58:59], a[0:3]
	s_mov_b32 s0, 0x1000504
	v_cndmask_b32_e32 v42, v46, v42, vcc
	v_lshl_or_b32 v34, v34, 10, v42
	v_mfma_f32_16x16x16_bf16 a[4:7], v[36:37], v[60:61], a[4:7]
	ds_read2st64_b64 v[58:61], v40 offset0:90 offset1:92
	ds_read2st64_b64 v[62:65], v41 offset0:90 offset1:92
	s_waitcnt vmcnt(0)
	v_perm_b32 v42, v18, v22, s0
	s_mov_b32 s1, 0x3020706
	s_waitcnt lgkmcnt(1)
	v_mfma_f32_16x16x16_bf16 a[0:3], v[48:49], v[58:59], a[0:3]
	ds_read_b64 v[36:37], v40 offset:48128
	ds_read_b64 v[58:59], v41 offset:48128
	v_perm_b32 v18, v18, v22, s1
	v_perm_b32 v22, v26, v30, s1
	s_waitcnt lgkmcnt(2)
	v_mfma_f32_16x16x16_bf16 a[4:7], v[48:49], v[62:63], a[4:7]
	v_and_or_b32 v43, v47, 12, v66
	v_cmp_gt_i32_e32 vcc, s31, v43
	v_mfma_f32_16x16x16_bf16 a[0:3], v[44:45], v[60:61], a[0:3]
	v_mfma_f32_16x16x16_bf16 a[8:11], v[44:45], v[64:65], a[4:7]
	s_waitcnt lgkmcnt(1)
	v_mfma_f32_16x16x16_bf16 a[4:7], v[68:69], v[36:37], a[0:3]
	v_perm_b32 v36, v26, v30, s0
	ds_write2st64_b32 v34, v42, v36 offset0:32 offset1:64
	v_xor_b32_e32 v36, 8, v34
	v_add_u32_e32 v26, 0x80, v36
	ds_write2st64_b32 v26, v18, v22 offset0:32 offset1:64
	v_xor_b32_e32 v18, 16, v34
	v_perm_b32 v22, v19, v23, s0
	v_perm_b32 v26, v27, v31, s0
	ds_write2st64_b32 v18, v22, v26 offset0:33 offset1:65
	v_xor_b32_e32 v18, 24, v34
	v_perm_b32 v19, v19, v23, s1
	v_perm_b32 v22, v27, v31, s1
	v_add_u32_e32 v18, 0x80, v18
	ds_write2st64_b32 v18, v19, v22 offset0:33 offset1:65
	v_xor_b32_e32 v18, 32, v34
	v_perm_b32 v19, v20, v24, s0
	v_perm_b32 v22, v28, v32, s0
	ds_write2st64_b32 v18, v19, v22 offset0:34 offset1:66
	v_xor_b32_e32 v18, 40, v34
	s_waitcnt lgkmcnt(5)
	v_mfma_f32_16x16x16_bf16 a[0:3], v[68:69], v[58:59], a[8:11]
	v_perm_b32 v19, v20, v24, s1
	v_perm_b32 v20, v28, v32, s1
	v_add_u32_e32 v18, 0x80, v18
	ds_write2st64_b32 v18, v19, v20 offset0:34 offset1:66
	v_xor_b32_e32 v18, 48, v34
	v_perm_b32 v19, v21, v25, s0
	v_perm_b32 v20, v29, v33, s0
	ds_write2st64_b32 v18, v19, v20 offset0:35 offset1:67
	v_xor_b32_e32 v18, 56, v34
	v_perm_b32 v19, v21, v25, s1
	v_perm_b32 v20, v29, v33, s1
	v_add_u32_e32 v18, 0x80, v18
	v_mov_b32_e32 v34, 0
	v_mov_b32_e32 v37, 0
	ds_write2st64_b32 v18, v19, v20 offset0:35 offset1:67
	s_and_saveexec_b64 s[0:1], vcc
	s_cbranch_execz .LBB369_60
; %bb.59:
	v_add_u32_e32 v18, s30, v43
	v_ashrrev_i32_e32 v19, 31, v18
	v_mul_lo_u32 v20, v19, s36
	v_mul_lo_u32 v21, v18, s37
	v_mad_u64_u32 v[18:19], s[2:3], v18, s36, 0
	v_add3_u32 v19, v19, v21, v20
	v_lshl_add_u64 v[18:19], v[18:19], 2, s[12:13]
	global_load_dword v18, v[18:19], off
	s_waitcnt vmcnt(0)
	v_sub_f32_e32 v18, s18, v18
	v_mul_f32_e32 v18, 0x3fb8aa3b, v18
	v_exp_f32_e32 v37, v18
.LBB369_60:
	s_or_b64 exec, exec, s[0:1]
	v_or_b32_e32 v29, 1, v43
	v_cmp_gt_i32_e64 s[0:1], s31, v29
	s_and_saveexec_b64 s[2:3], s[0:1]
	s_cbranch_execz .LBB369_62
; %bb.61:
	v_add_u32_e32 v18, s30, v29
	v_ashrrev_i32_e32 v19, 31, v18
	v_mul_lo_u32 v20, v19, s36
	v_mul_lo_u32 v21, v18, s37
	v_mad_u64_u32 v[18:19], s[4:5], v18, s36, 0
	v_add3_u32 v19, v19, v21, v20
	v_lshl_add_u64 v[18:19], v[18:19], 2, s[12:13]
	global_load_dword v18, v[18:19], off
	s_waitcnt vmcnt(0)
	v_sub_f32_e32 v18, s18, v18
	v_mul_f32_e32 v18, 0x3fb8aa3b, v18
	v_exp_f32_e32 v34, v18
.LBB369_62:
	s_or_b64 exec, exec, s[2:3]
	v_or_b32_e32 v28, 2, v43
	v_cmp_gt_i32_e64 s[2:3], s31, v28
	v_mov_b32_e32 v36, 0
	v_mov_b32_e32 v42, 0
	s_and_saveexec_b64 s[4:5], s[2:3]
	s_cbranch_execz .LBB369_64
; %bb.63:
	v_add_u32_e32 v18, s30, v28
	v_ashrrev_i32_e32 v19, 31, v18
	v_mul_lo_u32 v20, v19, s36
	v_mul_lo_u32 v21, v18, s37
	v_mad_u64_u32 v[18:19], s[6:7], v18, s36, 0
	v_add3_u32 v19, v19, v21, v20
	v_lshl_add_u64 v[18:19], v[18:19], 2, s[12:13]
	global_load_dword v18, v[18:19], off
	s_waitcnt vmcnt(0)
	v_sub_f32_e32 v18, s18, v18
	v_mul_f32_e32 v18, 0x3fb8aa3b, v18
	v_exp_f32_e32 v42, v18
.LBB369_64:
	s_or_b64 exec, exec, s[4:5]
	v_or_b32_e32 v44, 3, v43
	v_cmp_gt_i32_e64 s[4:5], s31, v44
	s_and_saveexec_b64 s[6:7], s[4:5]
	s_cbranch_execz .LBB369_66
; %bb.65:
	v_add_u32_e32 v18, s30, v44
	v_ashrrev_i32_e32 v19, 31, v18
	v_mul_lo_u32 v20, v19, s36
	v_mul_lo_u32 v21, v18, s37
	v_mad_u64_u32 v[18:19], s[14:15], v18, s36, 0
	v_add3_u32 v19, v19, v21, v20
	v_lshl_add_u64 v[18:19], v[18:19], 2, s[12:13]
	global_load_dword v18, v[18:19], off
	s_waitcnt vmcnt(0)
	v_sub_f32_e32 v18, s18, v18
	v_mul_f32_e32 v18, 0x3fb8aa3b, v18
	v_exp_f32_e32 v36, v18
.LBB369_66:
	s_or_b64 exec, exec, s[6:7]
	s_add_u32 s6, s16, s24
	s_addc_u32 s7, s17, s25
	s_add_u32 s8, s8, s24
	v_ashrrev_i32_e32 v57, 31, v56
	v_accvgpr_read_b32 v21, a7
	s_addc_u32 s9, s9, s25
	v_lshlrev_b64 v[22:23], 1, v[56:57]
	v_accvgpr_read_b32 v20, a6
	v_accvgpr_read_b32 v19, a5
	v_accvgpr_read_b32 v18, a4
	v_lshl_add_u64 v[24:25], s[6:7], 0, v[22:23]
	v_lshl_add_u64 v[22:23], s[8:9], 0, v[22:23]
	v_mov_b32_e32 v31, 0
	v_lshlrev_b32_e32 v26, 8, v43
	v_mov_b32_e32 v27, 0
	s_and_saveexec_b64 s[6:7], vcc
	s_cbranch_execz .LBB369_68
; %bb.67:
	v_mov_b32_e32 v27, 0
	v_lshl_add_u64 v[32:33], v[24:25], 0, v[26:27]
	global_load_ushort v30, v[32:33], off
	v_lshl_add_u64 v[32:33], v[22:23], 0, v[26:27]
	s_waitcnt vmcnt(0)
	v_lshlrev_b32_e32 v27, 16, v30
	v_sub_f32_e32 v18, v27, v18
	global_store_short_d16_hi v[32:33], v18, off
	v_mul_f32_e32 v18, v37, v18
	v_lshrrev_b32_e32 v27, 16, v18
.LBB369_68:
	s_or_b64 exec, exec, s[6:7]
	v_lshlrev_b32_e32 v30, 8, v29
	s_and_saveexec_b64 s[6:7], s[0:1]
	s_cbranch_execz .LBB369_70
; %bb.69:
	v_mov_b32_e32 v31, 0
	v_lshl_add_u64 v[32:33], v[24:25], 0, v[30:31]
	global_load_ushort v18, v[32:33], off
	v_lshl_add_u64 v[32:33], v[22:23], 0, v[30:31]
	s_waitcnt vmcnt(0)
	v_lshlrev_b32_e32 v18, 16, v18
	v_sub_f32_e32 v18, v18, v19
	global_store_short_d16_hi v[32:33], v18, off
	v_mul_f32_e32 v18, v34, v18
	v_lshrrev_b32_e32 v31, 16, v18
.LBB369_70:
	s_or_b64 exec, exec, s[6:7]
	v_mov_b32_e32 v29, 0
	v_lshlrev_b32_e32 v32, 8, v28
	v_mov_b32_e32 v33, 0
	s_and_saveexec_b64 s[6:7], s[2:3]
	s_cbranch_execz .LBB369_72
; %bb.71:
	v_mov_b32_e32 v33, 0
	v_lshl_add_u64 v[18:19], v[24:25], 0, v[32:33]
	global_load_ushort v28, v[18:19], off
	v_lshl_add_u64 v[18:19], v[22:23], 0, v[32:33]
	s_waitcnt vmcnt(0)
	v_lshlrev_b32_e32 v28, 16, v28
	v_sub_f32_e32 v20, v28, v20
	global_store_short_d16_hi v[18:19], v20, off
	v_mul_f32_e32 v18, v42, v20
	v_lshrrev_b32_e32 v33, 16, v18
.LBB369_72:
	s_or_b64 exec, exec, s[6:7]
	v_lshlrev_b32_e32 v28, 8, v44
	s_and_saveexec_b64 s[6:7], s[4:5]
	s_cbranch_execz .LBB369_74
; %bb.73:
	v_mov_b32_e32 v29, 0
	v_lshl_add_u64 v[18:19], v[24:25], 0, v[28:29]
	global_load_ushort v20, v[18:19], off
	v_lshl_add_u64 v[18:19], v[22:23], 0, v[28:29]
	s_waitcnt vmcnt(0)
	v_lshlrev_b32_e32 v20, 16, v20
	v_sub_f32_e32 v20, v20, v21
	global_store_short_d16_hi v[18:19], v20, off
	v_mul_f32_e32 v18, v36, v20
	v_lshrrev_b32_e32 v29, 16, v18
.LBB369_74:
	s_or_b64 exec, exec, s[6:7]
	v_lshlrev_b32_e32 v43, 5, v43
	s_mov_b32 s6, 0x5040100
	v_perm_b32 v44, v31, v27, s6
	v_or_b32_e32 v27, v43, v38
	v_accvgpr_read_b32 v21, a3
	v_perm_b32 v45, v29, v33, s6
	v_lshlrev_b32_e32 v27, 1, v27
	v_accvgpr_read_b32 v20, a2
	v_accvgpr_read_b32 v19, a1
	;; [unrolled: 1-line block ×3, first 2 shown]
	ds_write_b64 v27, v[44:45] offset:45056
	v_mov_b32_e32 v31, 0
	v_mov_b32_e32 v27, 0
	s_and_saveexec_b64 s[6:7], vcc
	s_cbranch_execz .LBB369_76
; %bb.75:
	v_mov_b32_e32 v27, 0
	v_lshl_add_u64 v[44:45], v[24:25], 0, v[26:27]
	global_load_ushort v29, v[44:45], off offset:32
	v_lshl_add_u64 v[26:27], v[22:23], 0, v[26:27]
	s_waitcnt vmcnt(0)
	v_lshlrev_b32_e32 v29, 16, v29
	v_sub_f32_e32 v18, v29, v18
	global_store_short_d16_hi v[26:27], v18, off offset:32
	v_mul_f32_e32 v18, v37, v18
	v_lshrrev_b32_e32 v27, 16, v18
.LBB369_76:
	s_or_b64 exec, exec, s[6:7]
	s_and_saveexec_b64 s[6:7], s[0:1]
	s_cbranch_execz .LBB369_78
; %bb.77:
	v_mov_b32_e32 v31, 0
	v_lshl_add_u64 v[44:45], v[24:25], 0, v[30:31]
	global_load_ushort v18, v[44:45], off offset:32
	v_lshl_add_u64 v[30:31], v[22:23], 0, v[30:31]
	s_waitcnt vmcnt(0)
	v_lshlrev_b32_e32 v18, 16, v18
	v_sub_f32_e32 v18, v18, v19
	global_store_short_d16_hi v[30:31], v18, off offset:32
	v_mul_f32_e32 v18, v34, v18
	v_lshrrev_b32_e32 v31, 16, v18
.LBB369_78:
	s_or_b64 exec, exec, s[6:7]
	v_mov_b32_e32 v26, 0
	v_mov_b32_e32 v30, 0
	s_and_saveexec_b64 s[0:1], s[2:3]
	s_cbranch_execz .LBB369_80
; %bb.79:
	v_mov_b32_e32 v33, 0
	v_lshl_add_u64 v[18:19], v[24:25], 0, v[32:33]
	global_load_ushort v29, v[18:19], off offset:32
	v_lshl_add_u64 v[18:19], v[22:23], 0, v[32:33]
	s_waitcnt vmcnt(0)
	v_lshlrev_b32_e32 v29, 16, v29
	v_sub_f32_e32 v20, v29, v20
	global_store_short_d16_hi v[18:19], v20, off offset:32
	v_mul_f32_e32 v18, v42, v20
	v_lshrrev_b32_e32 v30, 16, v18
.LBB369_80:
	s_or_b64 exec, exec, s[0:1]
	v_or_b32_e32 v19, 0xb000, v40
	v_or_b32_e32 v18, 0xb000, v41
	s_and_saveexec_b64 s[0:1], s[4:5]
	s_cbranch_execz .LBB369_82
; %bb.81:
	v_mov_b32_e32 v29, 0
	v_lshl_add_u64 v[24:25], v[24:25], 0, v[28:29]
	global_load_ushort v20, v[24:25], off offset:32
	v_lshl_add_u64 v[22:23], v[22:23], 0, v[28:29]
	s_waitcnt vmcnt(0)
	v_lshlrev_b32_e32 v20, 16, v20
	v_sub_f32_e32 v20, v20, v21
	global_store_short_d16_hi v[22:23], v20, off offset:32
	v_mul_f32_e32 v20, v36, v20
	v_lshrrev_b32_e32 v26, 16, v20
.LBB369_82:
	s_or_b64 exec, exec, s[0:1]
	s_mov_b32 s0, 0x5040100
	v_or_b32_e32 v22, v43, v35
	v_perm_b32 v21, v26, v30, s0
	v_perm_b32 v20, v31, v27, s0
	v_lshlrev_b32_e32 v22, 1, v22
	s_movk_i32 s0, 0x100
	ds_write_b64 v22, v[20:21] offset:45056
	v_and_b32_e32 v20, 7, v0
	v_and_b32_e32 v21, 8, v0
	v_cmp_gt_u32_e32 vcc, s0, v0
	v_lshrrev_b32_e32 v0, 1, v0
	v_lshlrev_b32_e32 v37, 3, v1
	v_and_b32_e32 v38, 24, v0
	v_lshlrev_b32_e32 v34, 3, v20
	v_lshlrev_b32_e32 v35, 7, v20
	v_mov_b32_e32 v20, 0x4000
	v_mov_b32_e32 v22, 0x2000
	v_xor_b32_e32 v0, v37, v38
	v_cndmask_b32_e32 v36, v20, v22, vcc
	v_or_b32_e32 v1, 0x440, v0
	v_cmp_eq_u32_e32 vcc, 0, v21
	s_waitcnt lgkmcnt(0)
	s_barrier
	v_cndmask_b32_e32 v0, v1, v0, vcc
	v_or_b32_e32 v0, v0, v39
	v_xad_u32 v40, v0, v34, v35
	v_add_u32_e32 v0, v36, v40
	ds_read_b64 v[0:1], v0
	ds_read2_b64 v[20:23], v19 offset1:16
	v_or_b32_e32 v24, 32, v38
	v_xor_b32_e32 v24, v37, v24
	v_or_b32_e32 v25, 0x440, v24
	v_cndmask_b32_e32 v24, v25, v24, vcc
	s_waitcnt lgkmcnt(0)
	v_mfma_f32_16x16x16_bf16 a[0:3], v[0:1], v[20:21], 0
	v_or_b32_e32 v24, v24, v39
	v_xad_u32 v41, v24, v34, v35
	v_add_u32_e32 v24, v36, v41
	v_mfma_f32_16x16x16_bf16 a[4:7], v[0:1], v[22:23], 0
	v_or_b32_e32 v0, 64, v38
	v_xor_b32_e32 v0, v37, v0
	v_xor_b32_e32 v1, 0x440, v0
	ds_read_b64 v[32:33], v24
	v_cndmask_b32_e32 v0, v1, v0, vcc
	v_or_b32_e32 v0, v0, v39
	v_xad_u32 v42, v0, v34, v35
	v_add_u32_e32 v0, v36, v42
	ds_read_b64 v[0:1], v0
	ds_read2st64_b64 v[24:27], v19 offset0:2 offset1:4
	ds_read2st64_b64 v[28:31], v18 offset0:2 offset1:4
	s_waitcnt lgkmcnt(1)
	v_mfma_f32_16x16x16_bf16 a[0:3], v[32:33], v[24:25], a[0:3]
	s_waitcnt lgkmcnt(0)
	v_mfma_f32_16x16x16_bf16 a[4:7], v[32:33], v[28:29], a[4:7]
	v_or_b32_e32 v32, 0x60, v38
	v_xor_b32_e32 v32, v37, v32
	v_xor_b32_e32 v33, 0x440, v32
	v_cndmask_b32_e32 v32, v33, v32, vcc
	v_or_b32_e32 v32, v32, v39
	v_xad_u32 v37, v32, v34, v35
	v_add_u32_e32 v32, v36, v37
	ds_read_b64 v[32:33], v32
	v_mfma_f32_16x16x16_bf16 a[0:3], v[0:1], v[26:27], a[0:3]
	v_mov_b32_e32 v36, 0x3fb8aa3b
	v_mfma_f32_16x16x16_bf16 a[4:7], v[0:1], v[30:31], a[4:7]
	ds_read_b64 v[0:1], v19 offset:3072
	ds_read_b64 v[34:35], v18 offset:3072
	;; [unrolled: 1-line block ×3, first 2 shown]
	s_waitcnt lgkmcnt(2)
	v_mfma_f32_16x16x16_bf16 a[0:3], v[32:33], v[0:1], a[0:3]
	s_waitcnt lgkmcnt(1)
	v_mfma_f32_16x16x16_bf16 a[4:7], v[32:33], v[34:35], a[4:7]
	ds_read_b64 v[32:33], v41 offset:16384
	s_waitcnt lgkmcnt(1)
	v_mfma_f32_16x16x16_bf16 a[8:11], v[18:19], v[20:21], 0
	v_mul_f32_e32 v20, s18, v36
	v_exp_f32_e32 v36, v20
	v_accvgpr_read_b32 v21, a3
	v_mfma_f32_16x16x16_bf16 a[12:15], v[18:19], v[22:23], 0
	ds_read_b64 v[22:23], v42 offset:16384
	v_accvgpr_read_b32 v18, a0
	v_fma_f32 v18, v2, v36, v18
	v_accvgpr_read_b32 v2, a1
	v_fma_f32 v19, v3, v36, v2
	;; [unrolled: 2-line block ×3, first 2 shown]
	ds_read_b64 v[2:3], v37 offset:16384
	s_waitcnt lgkmcnt(2)
	v_mfma_f32_16x16x16_bf16 a[8:11], v[32:33], v[24:25], a[8:11]
	v_accvgpr_read_b32 v4, a4
	v_fmac_f32_e32 v21, v5, v36
	v_mfma_f32_16x16x16_bf16 a[12:15], v[32:33], v[28:29], a[12:15]
	v_accvgpr_read_b32 v29, a7
	v_fmac_f32_e32 v29, v13, v36
	s_waitcnt lgkmcnt(1)
	v_mfma_f32_16x16x16_bf16 a[0:3], v[22:23], v[26:27], a[8:11]
	v_fma_f32 v26, v10, v36, v4
	v_accvgpr_read_b32 v4, a5
	v_fma_f32 v27, v11, v36, v4
	v_mfma_f32_16x16x16_bf16 a[8:11], v[22:23], v[30:31], a[12:15]
	v_accvgpr_read_b32 v4, a6
	v_fma_f32 v28, v12, v36, v4
	s_waitcnt lgkmcnt(0)
	v_mfma_f32_16x16x16_bf16 a[0:3], v[2:3], v[0:1], a[0:3]
	v_mfma_f32_16x16x16_bf16 a[4:7], v[2:3], v[34:35], a[8:11]
	s_nop 5
	v_accvgpr_read_b32 v0, a0
	v_fma_f32 v22, v6, v36, v0
	v_accvgpr_read_b32 v0, a1
	v_fma_f32 v23, v7, v36, v0
	;; [unrolled: 2-line block ×4, first 2 shown]
	v_accvgpr_read_b32 v0, a5
	v_accvgpr_read_b32 v25, a3
	v_fma_f32 v31, v15, v36, v0
	v_accvgpr_read_b32 v0, a6
	v_accvgpr_read_b32 v33, a7
	v_fmac_f32_e32 v25, v9, v36
	v_fma_f32 v32, v16, v36, v0
	v_fmac_f32_e32 v33, v17, v36
	v_mov_b64_e32 v[2:3], v[18:19]
	v_mov_b64_e32 v[4:5], v[20:21]
	;; [unrolled: 1-line block ×8, first 2 shown]
.LBB369_83:
	s_add_u32 s0, s10, s34
	s_addc_u32 s1, s11, s35
	v_lshl_add_u64 v[0:1], v[52:53], 1, s[0:1]
	v_mov_b32_e32 v51, 0
	s_mov_b32 s2, 0x7060302
	v_lshl_add_u64 v[0:1], v[0:1], 0, v[50:51]
	v_perm_b32 v5, v5, v4, s2
	v_perm_b32 v4, v3, v2, s2
	;; [unrolled: 1-line block ×4, first 2 shown]
	global_store_dwordx2 v[0:1], v[4:5], off
	global_store_dwordx2 v[0:1], v[2:3], off offset:128
	v_lshl_add_u64 v[0:1], v[54:55], 1, s[0:1]
	v_lshl_add_u64 v[0:1], v[0:1], 0, v[50:51]
	v_perm_b32 v3, v13, v12, s2
	v_perm_b32 v2, v11, v10, s2
	global_store_dwordx2 v[0:1], v[2:3], off
	v_perm_b32 v3, v17, v16, s2
	v_perm_b32 v2, v15, v14, s2
	global_store_dwordx2 v[0:1], v[2:3], off offset:128
	s_endpgm
	.section	.rodata,"a",@progbits
	.p2align	6, 0x0
	.amdhsa_kernel _ZN12_GLOBAL__N_139chunk_gated_delta_rule_fwd_h_hip_kernelILi32ELb1ELb1ELb1ELb1ELb0ELb0ELb0ELb1EEEvPK12hip_bfloat16S3_S3_PKfS5_PKvPS1_S8_PvPKiSB_iiiiilll
		.amdhsa_group_segment_fixed_size 49152
		.amdhsa_private_segment_fixed_size 0
		.amdhsa_kernarg_size 136
		.amdhsa_user_sgpr_count 2
		.amdhsa_user_sgpr_dispatch_ptr 0
		.amdhsa_user_sgpr_queue_ptr 0
		.amdhsa_user_sgpr_kernarg_segment_ptr 1
		.amdhsa_user_sgpr_dispatch_id 0
		.amdhsa_user_sgpr_kernarg_preload_length 0
		.amdhsa_user_sgpr_kernarg_preload_offset 0
		.amdhsa_user_sgpr_private_segment_size 0
		.amdhsa_uses_dynamic_stack 0
		.amdhsa_enable_private_segment 0
		.amdhsa_system_sgpr_workgroup_id_x 1
		.amdhsa_system_sgpr_workgroup_id_y 1
		.amdhsa_system_sgpr_workgroup_id_z 0
		.amdhsa_system_sgpr_workgroup_info 0
		.amdhsa_system_vgpr_workitem_id 0
		.amdhsa_next_free_vgpr 156
		.amdhsa_next_free_sgpr 68
		.amdhsa_accum_offset 140
		.amdhsa_reserve_vcc 1
		.amdhsa_float_round_mode_32 0
		.amdhsa_float_round_mode_16_64 0
		.amdhsa_float_denorm_mode_32 3
		.amdhsa_float_denorm_mode_16_64 3
		.amdhsa_dx10_clamp 1
		.amdhsa_ieee_mode 1
		.amdhsa_fp16_overflow 0
		.amdhsa_tg_split 0
		.amdhsa_exception_fp_ieee_invalid_op 0
		.amdhsa_exception_fp_denorm_src 0
		.amdhsa_exception_fp_ieee_div_zero 0
		.amdhsa_exception_fp_ieee_overflow 0
		.amdhsa_exception_fp_ieee_underflow 0
		.amdhsa_exception_fp_ieee_inexact 0
		.amdhsa_exception_int_div_zero 0
	.end_amdhsa_kernel
	.section	.text._ZN12_GLOBAL__N_139chunk_gated_delta_rule_fwd_h_hip_kernelILi32ELb1ELb1ELb1ELb1ELb0ELb0ELb0ELb1EEEvPK12hip_bfloat16S3_S3_PKfS5_PKvPS1_S8_PvPKiSB_iiiiilll,"axG",@progbits,_ZN12_GLOBAL__N_139chunk_gated_delta_rule_fwd_h_hip_kernelILi32ELb1ELb1ELb1ELb1ELb0ELb0ELb0ELb1EEEvPK12hip_bfloat16S3_S3_PKfS5_PKvPS1_S8_PvPKiSB_iiiiilll,comdat
.Lfunc_end369:
	.size	_ZN12_GLOBAL__N_139chunk_gated_delta_rule_fwd_h_hip_kernelILi32ELb1ELb1ELb1ELb1ELb0ELb0ELb0ELb1EEEvPK12hip_bfloat16S3_S3_PKfS5_PKvPS1_S8_PvPKiSB_iiiiilll, .Lfunc_end369-_ZN12_GLOBAL__N_139chunk_gated_delta_rule_fwd_h_hip_kernelILi32ELb1ELb1ELb1ELb1ELb0ELb0ELb0ELb1EEEvPK12hip_bfloat16S3_S3_PKfS5_PKvPS1_S8_PvPKiSB_iiiiilll
                                        ; -- End function
	.section	.AMDGPU.csdata,"",@progbits
; Kernel info:
; codeLenInByte = 9652
; NumSgprs: 74
; NumVgprs: 138
; NumAgprs: 16
; TotalNumVgprs: 156
; ScratchSize: 0
; MemoryBound: 0
; FloatMode: 240
; IeeeMode: 1
; LDSByteSize: 49152 bytes/workgroup (compile time only)
; SGPRBlocks: 9
; VGPRBlocks: 19
; NumSGPRsForWavesPerEU: 74
; NumVGPRsForWavesPerEU: 156
; AccumOffset: 140
; Occupancy: 1
; WaveLimiterHint : 1
; COMPUTE_PGM_RSRC2:SCRATCH_EN: 0
; COMPUTE_PGM_RSRC2:USER_SGPR: 2
; COMPUTE_PGM_RSRC2:TRAP_HANDLER: 0
; COMPUTE_PGM_RSRC2:TGID_X_EN: 1
; COMPUTE_PGM_RSRC2:TGID_Y_EN: 1
; COMPUTE_PGM_RSRC2:TGID_Z_EN: 0
; COMPUTE_PGM_RSRC2:TIDIG_COMP_CNT: 0
; COMPUTE_PGM_RSRC3_GFX90A:ACCUM_OFFSET: 34
; COMPUTE_PGM_RSRC3_GFX90A:TG_SPLIT: 0
	.section	.text._ZN12_GLOBAL__N_139chunk_gated_delta_rule_fwd_h_hip_kernelILi32ELb1ELb1ELb0ELb1ELb0ELb0ELb0ELb1EEEvPK12hip_bfloat16S3_S3_PKfS5_PKvPS1_S8_PvPKiSB_iiiiilll,"axG",@progbits,_ZN12_GLOBAL__N_139chunk_gated_delta_rule_fwd_h_hip_kernelILi32ELb1ELb1ELb0ELb1ELb0ELb0ELb0ELb1EEEvPK12hip_bfloat16S3_S3_PKfS5_PKvPS1_S8_PvPKiSB_iiiiilll,comdat
	.globl	_ZN12_GLOBAL__N_139chunk_gated_delta_rule_fwd_h_hip_kernelILi32ELb1ELb1ELb0ELb1ELb0ELb0ELb0ELb1EEEvPK12hip_bfloat16S3_S3_PKfS5_PKvPS1_S8_PvPKiSB_iiiiilll ; -- Begin function _ZN12_GLOBAL__N_139chunk_gated_delta_rule_fwd_h_hip_kernelILi32ELb1ELb1ELb0ELb1ELb0ELb0ELb0ELb1EEEvPK12hip_bfloat16S3_S3_PKfS5_PKvPS1_S8_PvPKiSB_iiiiilll
	.p2align	8
	.type	_ZN12_GLOBAL__N_139chunk_gated_delta_rule_fwd_h_hip_kernelILi32ELb1ELb1ELb0ELb1ELb0ELb0ELb0ELb1EEEvPK12hip_bfloat16S3_S3_PKfS5_PKvPS1_S8_PvPKiSB_iiiiilll,@function
_ZN12_GLOBAL__N_139chunk_gated_delta_rule_fwd_h_hip_kernelILi32ELb1ELb1ELb0ELb1ELb0ELb0ELb0ELb1EEEvPK12hip_bfloat16S3_S3_PKfS5_PKvPS1_S8_PvPKiSB_iiiiilll: ; @_ZN12_GLOBAL__N_139chunk_gated_delta_rule_fwd_h_hip_kernelILi32ELb1ELb1ELb0ELb1ELb0ELb0ELb0ELb1EEEvPK12hip_bfloat16S3_S3_PKfS5_PKvPS1_S8_PvPKiSB_iiiiilll
; %bb.0:
	s_load_dwordx4 s[16:19], s[0:1], 0x5c
	s_load_dwordx2 s[4:5], s[0:1], 0x50
	s_abs_i32 s7, s3
	s_ashr_i32 s6, s3, 31
	s_load_dwordx4 s[12:15], s[0:1], 0x40
	s_load_dwordx4 s[20:23], s[0:1], 0x28
	s_waitcnt lgkmcnt(0)
	s_abs_i32 s10, s17
	v_cvt_f32_u32_e32 v1, s10
	s_sub_i32 s8, 0, s10
	s_ashr_i32 s11, s17, 31
	s_xor_b32 s6, s6, s11
	v_rcp_iflag_f32_e32 v1, v1
	v_and_b32_e32 v66, 15, v0
	v_bfe_u32 v65, v0, 4, 2
	v_mov_b32_e32 v51, 0
	v_mul_f32_e32 v1, 0x4f7ffffe, v1
	v_cvt_u32_f32_e32 v1, v1
	v_lshlrev_b32_e32 v67, 3, v0
	v_readfirstlane_b32 s9, v1
	s_mul_i32 s8, s8, s9
	s_mul_hi_u32 s8, s9, s8
	s_add_i32 s9, s9, s8
	s_mul_hi_u32 s8, s7, s9
	s_mul_i32 s9, s8, s10
	s_sub_i32 s7, s7, s9
	s_add_i32 s24, s8, 1
	s_sub_i32 s9, s7, s10
	s_cmp_ge_u32 s7, s10
	s_cselect_b32 s8, s24, s8
	s_cselect_b32 s7, s9, s7
	s_add_i32 s9, s8, 1
	s_cmp_ge_u32 s7, s10
	s_cselect_b32 s7, s9, s8
	s_xor_b32 s7, s7, s6
	s_sub_i32 s28, s7, s6
	s_mul_i32 s24, s28, s17
	s_ashr_i32 s29, s28, 31
	s_sub_i32 s49, s3, s24
	s_lshl_b64 s[6:7], s[28:29], 2
	s_add_u32 s8, s14, s6
	s_addc_u32 s9, s15, s7
	s_add_u32 s30, s4, s6
	s_addc_u32 s31, s5, s7
	s_abs_i32 s3, s18
	v_cvt_f32_u32_e32 v1, s3
	s_load_dwordx2 s[36:37], s[8:9], 0x0
	s_sub_i32 s5, 0, s3
	s_lshl_b32 s2, s2, 5
	v_rcp_iflag_f32_e32 v1, v1
	v_or_b32_e32 v56, s2, v66
	s_waitcnt lgkmcnt(0)
	s_sub_i32 s52, s37, s36
	s_ashr_i32 s4, s52, 31
	v_mul_f32_e32 v1, 0x4f7ffffe, v1
	v_cvt_u32_f32_e32 v1, v1
	s_lshr_b32 s4, s4, 26
	s_add_i32 s4, s52, s4
	s_ashr_i32 s50, s4, 6
	v_readfirstlane_b32 s6, v1
	s_mul_i32 s5, s5, s6
	s_mul_hi_u32 s5, s6, s5
	s_add_i32 s6, s6, s5
	s_mul_hi_u32 s5, s10, s6
	s_mul_i32 s6, s5, s3
	s_ashr_i32 s4, s18, 31
	s_sub_i32 s6, s10, s6
	s_xor_b32 s4, s11, s4
	s_add_i32 s7, s5, 1
	s_sub_i32 s8, s6, s3
	s_cmp_ge_u32 s6, s3
	s_cselect_b32 s5, s7, s5
	s_cselect_b32 s6, s8, s6
	s_add_i32 s7, s5, 1
	s_cmp_ge_u32 s6, s3
	s_cselect_b32 s3, s7, s5
	s_xor_b32 s3, s3, s4
	s_sub_i32 s3, s3, s4
	s_abs_i32 s4, s3
	v_cvt_f32_u32_e32 v1, s4
	s_sub_i32 s6, 0, s4
	s_abs_i32 s5, s49
	s_xor_b32 s3, s49, s3
	v_rcp_iflag_f32_e32 v2, v1
	s_ashr_i32 s3, s3, 31
	v_lshrrev_b32_e32 v1, 6, v0
	v_lshlrev_b32_e32 v52, 7, v56
	v_mul_f32_e32 v2, 0x4f7ffffe, v2
	v_cvt_u32_f32_e32 v2, v2
	v_lshlrev_b32_e32 v64, 4, v1
	v_or_b32_e32 v54, 0x800, v52
	v_lshl_or_b32 v69, v65, 2, v64
	v_readfirstlane_b32 s7, v2
	s_mul_i32 s6, s6, s7
	s_mul_hi_u32 s6, s7, s6
	s_add_i32 s7, s7, s6
	s_mul_hi_u32 s6, s5, s7
	s_mul_i32 s7, s6, s4
	s_sub_i32 s5, s5, s7
	s_add_i32 s7, s6, 1
	s_sub_i32 s8, s5, s4
	s_cmp_ge_u32 s5, s4
	s_cselect_b32 s6, s7, s6
	s_cselect_b32 s5, s8, s5
	s_add_i32 s7, s6, 1
	s_cmp_ge_u32 s5, s4
	s_cselect_b32 s4, s7, s6
	s_xor_b32 s4, s4, s3
	s_sub_i32 s53, s4, s3
	s_ashr_i32 s51, s49, 31
	s_mul_hi_i32 s3, s28, s17
	s_add_u32 s4, s24, s49
	s_addc_u32 s5, s3, s51
	s_lshl_b64 s[14:15], s[4:5], 15
	s_add_u32 s4, s20, s14
	s_addc_u32 s5, s21, s15
	v_ashrrev_i32_e32 v53, 31, v52
	v_ashrrev_i32_e32 v55, 31, v54
	v_lshl_add_u64 v[2:3], v[52:53], 1, s[4:5]
	v_lshlrev_b32_e32 v50, 1, v69
	v_lshl_add_u64 v[6:7], v[54:55], 1, s[4:5]
	v_lshl_add_u64 v[2:3], v[2:3], 0, v[50:51]
	;; [unrolled: 1-line block ×3, first 2 shown]
	global_load_dwordx2 v[4:5], v[2:3], off
	v_and_b32_e32 v51, 63, v0
	global_load_dwordx2 v[2:3], v[2:3], off offset:128
	s_nop 0
	global_load_dwordx2 v[8:9], v[6:7], off
	global_load_dwordx2 v[10:11], v[6:7], off offset:128
	s_load_dwordx8 s[4:11], s[0:1], 0x0
	s_load_dwordx2 s[34:35], s[0:1], 0x80
	s_load_dwordx4 s[24:27], s[0:1], 0x70
	s_load_dword s56, s[30:31], 0x0
	v_lshrrev_b32_e32 v68, 3, v51
	v_or_b32_e32 v70, 64, v69
	s_mul_hi_i32 s54, s49, s16
	s_waitcnt lgkmcnt(0)
	s_mul_i32 s33, s28, s25
	s_mul_hi_u32 s44, s28, s24
	s_mul_i32 s38, s28, s24
	s_mul_i32 s45, s29, s24
	;; [unrolled: 1-line block ×4, first 2 shown]
	s_mul_hi_u32 s47, s49, s26
	s_mul_i32 s48, s51, s26
	s_cmp_lt_i32 s52, 64
	s_mul_i32 s40, s49, s26
	s_waitcnt vmcnt(3)
	v_and_b32_e32 v19, 0xffff0000, v4
	v_lshlrev_b32_e32 v18, 16, v4
	v_and_b32_e32 v21, 0xffff0000, v5
	v_lshlrev_b32_e32 v20, 16, v5
	s_waitcnt vmcnt(2)
	v_and_b32_e32 v23, 0xffff0000, v2
	v_lshlrev_b32_e32 v22, 16, v2
	v_and_b32_e32 v25, 0xffff0000, v3
	v_lshlrev_b32_e32 v24, 16, v3
	;; [unrolled: 5-line block ×4, first 2 shown]
	s_cbranch_scc1 .LBB370_3
; %bb.1:
	s_ashr_i32 s1, s36, 31
	s_add_u32 s0, s55, s36
	s_addc_u32 s1, s54, s1
	s_lshl_b64 s[0:1], s[0:1], 8
	v_and_b32_e32 v72, 56, v67
	s_add_u32 s24, s6, s0
	v_lshl_or_b32 v71, v1, 3, v68
	v_lshlrev_b32_e32 v2, 1, v72
	s_addc_u32 s0, s7, s1
	v_lshl_or_b32 v73, v71, 8, v2
	s_and_b32 s25, s0, 0xffff
	s_mov_b32 s27, 0x20000
	s_movk_i32 s26, 0x4000
	s_movk_i32 s0, 0x80
	v_or_b32_e32 v74, 0x2000, v73
	buffer_load_dwordx4 v[4:7], v73, s[24:27], 0 offen
	buffer_load_dwordx4 v[8:11], v73, s[24:27], s0 offen
	buffer_load_dwordx4 v[12:15], v74, s[24:27], 0 offen
	buffer_load_dwordx4 v[34:37], v74, s[24:27], s0 offen
	v_lshlrev_b32_e32 v3, 3, v71
	v_and_or_b32 v17, v0, 7, v3
	v_and_b32_e32 v3, 0x78, v3
	v_lshlrev_b32_e32 v17, 4, v17
	v_xor_b32_e32 v75, v17, v3
	v_mul_lo_u32 v16, v71, s19
	v_or_b32_e32 v76, 0x1000, v75
	v_xor_b32_e32 v3, 8, v75
	s_cmpk_eq_i32 s19, 0x80
	s_mov_b32 s57, s36
	v_xor_b32_e32 v17, 8, v76
	s_cselect_b64 s[0:1], -1, 0
	s_cmpk_lg_i32 s19, 0x80
	s_waitcnt vmcnt(3)
	ds_write_b64 v75, v[4:5] offset:24576
	ds_write_b64 v3, v[6:7] offset:24576
	s_waitcnt vmcnt(2)
	ds_write_b64 v75, v[8:9] offset:32768
	ds_write_b64 v3, v[10:11] offset:32768
	;; [unrolled: 3-line block ×4, first 2 shown]
	v_lshl_add_u32 v3, v16, 1, v72
	s_cbranch_scc0 .LBB370_29
; %bb.2:
	v_lshlrev_b32_e32 v5, 1, v3
	v_add_lshl_u32 v4, v3, s19, 1
	s_lshl_b32 s26, s19, 7
	v_lshl_or_b32 v2, v71, 9, v2
	s_cbranch_execz .LBB370_30
	s_branch .LBB370_31
.LBB370_3:
	v_mov_b64_e32 v[2:3], v[18:19]
	v_mov_b64_e32 v[4:5], v[20:21]
	v_mov_b64_e32 v[6:7], v[22:23]
	v_mov_b64_e32 v[8:9], v[24:25]
	v_mov_b64_e32 v[10:11], v[26:27]
	v_mov_b64_e32 v[12:13], v[28:29]
	v_mov_b64_e32 v[14:15], v[30:31]
	v_mov_b64_e32 v[16:17], v[32:33]
.LBB370_4:
	s_lshl_b32 s30, s50, 6
	s_sub_i32 s31, s52, s30
	s_cmp_gt_i32 s31, 0
	s_cbranch_scc0 .LBB370_83
; %bb.5:
	s_add_i32 s30, s30, s36
	s_ashr_i32 s3, s30, 31
	s_cmpk_lg_i32 s19, 0x80
	s_cselect_b64 s[26:27], -1, 0
	s_and_b64 vcc, exec, s[26:27]
	s_cbranch_vccz .LBB370_7
; %bb.6:
	s_mul_hi_i32 s0, s30, s18
	s_mul_i32 s1, s30, s18
	s_ashr_i32 s18, s53, 31
	s_add_u32 s28, s1, s53
	s_addc_u32 s29, s0, s18
	s_cbranch_execz .LBB370_8
	s_branch .LBB370_9
.LBB370_7:
                                        ; implicit-def: $sgpr28_sgpr29
.LBB370_8:
	s_mul_i32 s1, s53, s16
	s_mul_hi_i32 s0, s53, s16
	s_add_u32 s28, s1, s30
	s_addc_u32 s29, s0, s3
.LBB370_9:
	s_add_i32 s16, s50, s56
	s_add_u32 s0, s55, s30
	v_lshlrev_b32_e32 v22, 5, v69
	v_lshlrev_b32_e32 v38, 2, v66
	s_addc_u32 s1, s54, s3
	s_mov_b32 s3, 0x7060302
	v_or_b32_e32 v25, v22, v38
	v_xor_b32_e32 v23, v69, v38
	v_perm_b32 v19, v5, v4, s3
	v_perm_b32 v18, v3, v2, s3
	;; [unrolled: 1-line block ×4, first 2 shown]
	v_lshlrev_b32_e32 v25, 1, v25
	v_xor_b32_e32 v24, v70, v38
	ds_write2st64_b64 v25, v[18:19], v[20:21] offset0:80 offset1:88
	v_lshlrev_b32_e32 v23, 1, v23
	v_lshlrev_b32_e32 v25, 8, v66
	s_lshl_b64 s[24:25], s[0:1], 8
	v_or_b32_e32 v26, v23, v25
	v_lshlrev_b32_e32 v24, 1, v24
	s_add_u32 s0, s6, s24
	ds_write_b64 v26, v[18:19]
	v_or_b32_e32 v18, v24, v25
	s_addc_u32 s1, s7, s25
	ds_write_b64 v18, v[20:21]
	v_perm_b32 v19, v13, v12, s3
	v_perm_b32 v18, v11, v10, s3
	;; [unrolled: 1-line block ×4, first 2 shown]
	v_or_b32_e32 v25, 16, v66
	s_mul_hi_i32 s3, s16, s17
	s_mul_i32 s16, s16, s17
	v_lshlrev_b32_e32 v35, 2, v25
	s_add_u32 s6, s16, s49
	v_or_b32_e32 v22, v22, v35
	s_addc_u32 s7, s3, s51
	v_lshlrev_b32_e32 v22, 1, v22
	s_ashr_i32 s3, s2, 31
	s_lshl_b64 s[6:7], s[6:7], 15
	ds_write2st64_b64 v22, v[18:19], v[20:21] offset0:80 offset1:88
	v_lshlrev_b32_e32 v22, 8, v25
	s_add_u32 s6, s22, s6
	v_or_b32_e32 v23, v23, v22
	s_addc_u32 s7, s23, s7
	s_lshl_b64 s[2:3], s[2:3], 8
	ds_write_b64 v23, v[18:19]
	v_or_b32_e32 v18, v24, v22
	s_add_u32 s2, s6, s2
	ds_write_b64 v18, v[20:21]
	v_lshrrev_b32_e32 v18, 4, v0
	s_addc_u32 s3, s7, s3
	v_lshlrev_b32_e32 v19, 1, v66
	v_lshlrev_b32_e32 v26, 4, v66
	v_mov_b32_e32 v27, 0
	v_or_b32_e32 v20, 1, v19
	v_xor_b32_e32 v19, v18, v19
	v_lshl_add_u64 v[28:29], s[2:3], 0, v[26:27]
	v_lshlrev_b32_e32 v26, 8, v18
	v_xor_b32_e32 v22, v20, v18
	v_lshl_or_b32 v18, v19, 3, v26
	s_waitcnt lgkmcnt(0)
	s_barrier
	ds_read2st64_b64 v[18:21], v18 offset1:8
	v_lshl_or_b32 v22, v22, 3, v26
	ds_read2st64_b64 v[22:25], v22 offset1:8
	v_lshl_add_u64 v[30:31], v[28:29], 0, v[26:27]
	s_movk_i32 s2, 0x1000
	s_waitcnt lgkmcnt(1)
	v_mov_b32_e32 v26, v18
	v_add_co_u32_e32 v18, vcc, s2, v30
	s_cmp_lg_u32 s31, 64
	v_mov_b32_e32 v27, v19
	v_addc_co_u32_e32 v19, vcc, 0, v31, vcc
	s_cselect_b64 s[6:7], -1, 0
	v_lshl_or_b32 v42, v1, 3, v68
	s_waitcnt lgkmcnt(0)
	v_mov_b32_e32 v28, v22
	v_mov_b32_e32 v29, v23
	;; [unrolled: 1-line block ×4, first 2 shown]
	s_mov_b32 s20, 0
	v_or_b32_e32 v36, 32, v42
	v_and_b32_e32 v34, 56, v67
	s_and_b64 vcc, exec, s[6:7]
	global_store_dwordx4 v[30:31], v[26:29], off
	global_store_dwordx4 v[18:19], v[22:25], off
	s_cbranch_vccz .LBB370_15
; %bb.10:
	s_mov_b32 s22, s20
	s_mov_b32 s23, s20
	;; [unrolled: 1-line block ×3, first 2 shown]
	v_mov_b64_e32 v[24:25], s[22:23]
	v_mov_b64_e32 v[22:23], s[20:21]
	;; [unrolled: 1-line block ×3, first 2 shown]
	v_cmp_gt_i32_e32 vcc, s31, v42
	v_mov_b64_e32 v[20:21], v[24:25]
	s_and_saveexec_b64 s[2:3], vcc
	s_cbranch_execz .LBB370_12
; %bb.11:
	v_lshlrev_b32_e32 v18, 8, v42
	v_mov_b32_e32 v19, 0
	v_lshl_add_u64 v[20:21], s[0:1], 0, v[18:19]
	v_lshlrev_b32_e32 v18, 1, v34
	v_lshl_add_u64 v[26:27], v[20:21], 0, v[18:19]
	global_load_dwordx4 v[22:25], v[26:27], off
	global_load_dwordx4 v[18:21], v[26:27], off offset:128
.LBB370_12:
	s_or_b64 exec, exec, s[2:3]
	s_mov_b32 s22, s20
	s_mov_b32 s23, s20
	;; [unrolled: 1-line block ×3, first 2 shown]
	v_mov_b64_e32 v[32:33], s[22:23]
	v_mov_b64_e32 v[30:31], s[20:21]
	;; [unrolled: 1-line block ×3, first 2 shown]
	v_cmp_gt_i32_e32 vcc, s31, v36
	v_lshlrev_b32_e32 v37, 7, v36
	v_mov_b64_e32 v[28:29], v[32:33]
	s_and_saveexec_b64 s[2:3], vcc
	s_cbranch_execz .LBB370_14
; %bb.13:
	v_lshlrev_b32_e32 v26, 1, v37
	v_mov_b32_e32 v27, 0
	v_lshl_add_u64 v[28:29], s[0:1], 0, v[26:27]
	v_lshlrev_b32_e32 v26, 1, v34
	v_lshl_add_u64 v[40:41], v[28:29], 0, v[26:27]
	global_load_dwordx4 v[30:33], v[40:41], off
	global_load_dwordx4 v[26:29], v[40:41], off offset:128
.LBB370_14:
	s_or_b64 exec, exec, s[2:3]
	v_lshrrev_b32_e32 v39, 3, v34
	v_lshlrev_b32_e32 v40, 3, v42
	v_or_b32_e32 v39, v40, v39
	v_lshlrev_b32_e32 v39, 4, v39
	v_and_b32_e32 v40, 0x78, v40
	v_xor_b32_e32 v39, v39, v40
	s_branch .LBB370_17
.LBB370_15:
                                        ; implicit-def: $vgpr39
                                        ; implicit-def: $vgpr37
                                        ; implicit-def: $vgpr22_vgpr23_vgpr24_vgpr25
                                        ; implicit-def: $vgpr18_vgpr19_vgpr20_vgpr21
                                        ; implicit-def: $vgpr30_vgpr31_vgpr32_vgpr33
                                        ; implicit-def: $vgpr26_vgpr27_vgpr28_vgpr29
	s_cbranch_execz .LBB370_17
; %bb.16:
	s_waitcnt vmcnt(0)
	v_lshlrev_b32_e32 v18, 1, v34
	v_lshl_or_b32 v37, v42, 8, v18
	s_and_b32 s1, s1, 0xffff
	s_mov_b32 s3, 0x20000
	s_movk_i32 s2, 0x4000
	v_lshl_or_b32 v39, v36, 8, v18
	s_movk_i32 s16, 0x80
	buffer_load_dwordx4 v[22:25], v37, s[0:3], 0 offen
	buffer_load_dwordx4 v[18:21], v37, s[0:3], s16 offen
	buffer_load_dwordx4 v[30:33], v39, s[0:3], 0 offen
	buffer_load_dwordx4 v[26:29], v39, s[0:3], s16 offen
	v_lshrrev_b32_e32 v37, 3, v34
	v_lshlrev_b32_e32 v39, 3, v42
	v_or_b32_e32 v37, v39, v37
	v_lshlrev_b32_e32 v37, 4, v37
	v_and_b32_e32 v39, 0x78, v39
	v_xor_b32_e32 v39, v37, v39
	v_lshlrev_b32_e32 v37, 7, v36
.LBB370_17:
	s_lshl_b64 s[0:1], s[28:29], 8
	s_add_u32 s4, s4, s0
	s_movk_i32 s0, 0x1000
	v_and_or_b32 v36, v37, s0, v39
	s_waitcnt vmcnt(1)
	ds_write_b64 v39, v[22:23] offset:24576
	v_xor_b32_e32 v22, 8, v39
	ds_write_b64 v22, v[24:25] offset:24576
	s_waitcnt vmcnt(0)
	ds_write_b64 v39, v[18:19] offset:32768
	ds_write_b64 v22, v[20:21] offset:32768
	;; [unrolled: 1-line block ×3, first 2 shown]
	v_xor_b32_e32 v18, 8, v36
	ds_write_b64 v18, v[32:33] offset:24576
	ds_write_b64 v36, v[26:27] offset:32768
	;; [unrolled: 1-line block ×3, first 2 shown]
	v_or_b32_e32 v18, v64, v66
	v_lshlrev_b32_e32 v18, 3, v18
	v_lshrrev_b32_e32 v19, 5, v51
	s_movk_i32 s3, 0xf8
	v_and_or_b32 v19, v18, s3, v19
	v_lshlrev_b32_e32 v23, 4, v19
	v_lshlrev_b32_e32 v39, 11, v1
	v_and_b32_e32 v24, 0x78, v18
	v_or_b32_e32 v26, 32, v23
	v_and_b32_e32 v22, 0x1000, v39
	v_lshrrev_b32_e32 v19, 1, v51
	v_xor_b32_e32 v26, v26, v24
	v_xor_b32_e32 v18, v23, v24
	v_and_b32_e32 v25, 8, v19
	v_or_b32_e32 v26, v26, v22
	v_or_b32_e32 v18, v18, v22
	v_xor_b32_e32 v44, v26, v25
	v_or_b32_e32 v26, 64, v23
	v_xor_b32_e32 v43, v18, v25
	v_xor_b32_e32 v26, v26, v24
	s_waitcnt lgkmcnt(0)
	s_barrier
	v_or_b32_e32 v28, v26, v22
	ds_read_b64 v[26:27], v43 offset:24576
	v_lshl_or_b32 v36, v65, 7, v38
	v_lshlrev_b32_e32 v40, 1, v36
	v_add_u32_e32 v18, 0xa000, v40
	ds_read2_b64 v[18:21], v18 offset1:16
	v_or_b32_e32 v23, 0x60, v23
	v_xor_b32_e32 v23, v23, v24
	s_waitcnt lgkmcnt(0)
	v_mfma_f32_16x16x16_bf16 a[0:3], v[26:27], v[18:19], 0
	v_or_b32_e32 v18, 64, v36
	v_or_b32_e32 v22, v23, v22
	v_lshlrev_b32_e32 v41, 1, v18
	v_xor_b32_e32 v45, v28, v25
	v_xor_b32_e32 v46, v22, v25
	ds_read_b64 v[28:29], v44 offset:24576
	ds_read_b64 v[30:31], v45 offset:24576
	;; [unrolled: 1-line block ×3, first 2 shown]
	v_mfma_f32_16x16x16_bf16 a[4:7], v[26:27], v[20:21], 0
	ds_read2st64_b64 v[18:21], v41 offset0:82 offset1:84
	ds_read2st64_b64 v[22:25], v40 offset0:82 offset1:84
	s_addc_u32 s5, s5, s1
	s_add_i32 s1, s44, s33
	s_add_i32 s0, s37, -1
	s_add_i32 s39, s1, s45
	s_add_i32 s1, s47, s46
	s_add_i32 s41, s1, s48
	s_ashr_i32 s1, s0, 31
	s_mul_i32 s2, s0, s35
	s_mul_hi_u32 s3, s0, s34
	s_add_i32 s2, s3, s2
	s_mul_i32 s1, s1, s34
	s_waitcnt lgkmcnt(1)
	v_mfma_f32_16x16x16_bf16 a[4:7], v[28:29], v[18:19], a[4:7]
	s_add_i32 s1, s2, s1
	s_lshl_b64 s[2:3], s[38:39], 2
	s_add_u32 s10, s10, s2
	s_waitcnt lgkmcnt(0)
	v_mfma_f32_16x16x16_bf16 a[0:3], v[28:29], v[22:23], a[0:3]
	s_addc_u32 s11, s11, s3
	s_lshl_b64 s[2:3], s[40:41], 2
	s_mul_i32 s0, s0, s34
	s_add_u32 s10, s10, s2
	ds_read_b64 v[18:19], v40 offset:44032
	v_mfma_f32_16x16x16_bf16 a[4:7], v[30:31], v[20:21], a[4:7]
	ds_read_b64 v[20:21], v41 offset:44032
	s_addc_u32 s11, s11, s3
	s_lshl_b64 s[0:1], s[0:1], 2
	v_mfma_f32_16x16x16_bf16 a[0:3], v[30:31], v[24:25], a[0:3]
	s_add_u32 s0, s10, s0
	s_addc_u32 s1, s11, s1
	s_load_dword s16, s[0:1], 0x0
	s_waitcnt lgkmcnt(0)
	v_mfma_f32_16x16x16_bf16 a[0:3], v[32:33], v[18:19], a[0:3]
	s_and_b64 vcc, exec, s[26:27]
	v_mfma_f32_16x16x16_bf16 a[4:7], v[32:33], v[20:21], a[4:7]
	s_cbranch_vccz .LBB370_28
; %bb.18:
	v_lshlrev_b32_e32 v36, 1, v42
	s_and_b64 vcc, exec, s[6:7]
	s_cbranch_vccz .LBB370_43
; %bb.19:
	v_cmp_gt_i32_e32 vcc, s31, v36
	v_mov_b32_e32 v22, 0
	v_mov_b32_e32 v18, 0
	;; [unrolled: 1-line block ×5, first 2 shown]
	s_and_saveexec_b64 s[0:1], vcc
	s_cbranch_execz .LBB370_21
; %bb.20:
	v_mad_i64_i32 v[18:19], s[2:3], s19, v36, 0
	v_lshl_add_u64 v[18:19], v[18:19], 1, s[4:5]
	v_lshlrev_b32_e32 v20, 1, v34
	v_mov_b32_e32 v21, 0
	v_lshl_add_u64 v[18:19], v[18:19], 0, v[20:21]
	global_load_dwordx4 v[18:21], v[18:19], off
.LBB370_21:
	s_or_b64 exec, exec, s[0:1]
	v_or_b32_e32 v37, 1, v36
	v_cmp_gt_i32_e64 s[0:1], s31, v37
	v_mov_b32_e32 v23, 0
	v_mov_b32_e32 v24, 0
	;; [unrolled: 1-line block ×3, first 2 shown]
	s_and_saveexec_b64 s[2:3], s[0:1]
	s_cbranch_execz .LBB370_23
; %bb.22:
	v_mad_i64_i32 v[22:23], s[20:21], s19, v37, 0
	v_lshl_add_u64 v[22:23], v[22:23], 1, s[4:5]
	v_lshlrev_b32_e32 v24, 1, v34
	v_mov_b32_e32 v25, 0
	v_lshl_add_u64 v[22:23], v[22:23], 0, v[24:25]
	global_load_dwordx4 v[22:25], v[22:23], off
.LBB370_23:
	s_or_b64 exec, exec, s[2:3]
	v_mov_b32_e32 v33, 0
	v_mov_b32_e32 v26, 0
	;; [unrolled: 1-line block ×5, first 2 shown]
	s_and_saveexec_b64 s[2:3], vcc
	s_cbranch_execz .LBB370_25
; %bb.24:
	v_mad_i64_i32 v[26:27], s[20:21], s19, v36, 0
	v_lshl_add_u64 v[26:27], v[26:27], 1, s[4:5]
	v_lshlrev_b32_e32 v28, 1, v34
	v_mov_b32_e32 v29, 0
	v_lshl_add_u64 v[26:27], v[26:27], 0, v[28:29]
	global_load_dwordx4 v[26:29], v[26:27], off offset:128
.LBB370_25:
	s_or_b64 exec, exec, s[2:3]
	v_mov_b32_e32 v32, 0
	v_mov_b32_e32 v31, 0
	;; [unrolled: 1-line block ×3, first 2 shown]
	s_and_saveexec_b64 s[2:3], s[0:1]
	s_cbranch_execz .LBB370_27
; %bb.26:
	v_mad_i64_i32 v[30:31], s[0:1], s19, v37, 0
	v_lshl_add_u64 v[30:31], v[30:31], 1, s[4:5]
	v_lshlrev_b32_e32 v32, 1, v34
	v_mov_b32_e32 v33, 0
	v_lshl_add_u64 v[30:31], v[30:31], 0, v[32:33]
	global_load_dwordx4 v[30:33], v[30:31], off offset:128
.LBB370_27:
	s_or_b64 exec, exec, s[2:3]
	s_branch .LBB370_45
.LBB370_28:
                                        ; implicit-def: $vgpr21
                                        ; implicit-def: $vgpr25
                                        ; implicit-def: $vgpr29
                                        ; implicit-def: $vgpr33
	v_lshrrev_b32_e32 v47, 2, v51
	s_branch .LBB370_46
.LBB370_29:
                                        ; implicit-def: $vgpr4
                                        ; implicit-def: $vgpr5
                                        ; implicit-def: $sgpr26
	v_lshl_or_b32 v2, v71, 9, v2
.LBB370_30:
	v_or_b32_e32 v4, 0x100, v2
	s_movk_i32 s26, 0x4000
	v_mov_b32_e32 v5, v2
.LBB370_31:
	s_mul_i32 s20, s36, s18
	s_ashr_i32 s58, s53, 31
	s_mul_hi_i32 s3, s36, s18
	s_add_u32 s20, s20, s53
	s_addc_u32 s21, s3, s58
	s_lshl_b64 s[20:21], s[20:21], 8
	s_add_u32 s24, s4, s20
	s_addc_u32 s3, s5, s21
	s_and_b32 s25, s3, 0xffff
	s_movk_i32 s59, 0x80
	buffer_load_dwordx4 v[6:9], v5, s[24:27], 0 offen
	buffer_load_dwordx4 v[10:13], v5, s[24:27], s59 offen
	;; [unrolled: 1-line block ×4, first 2 shown]
	v_and_b32_e32 v4, 6, v0
	v_lshlrev_b32_e32 v39, 6, v69
	v_or_b32_e32 v41, 16, v66
	v_xor_b32_e32 v42, v71, v4
	v_and_b32_e32 v5, 1, v0
	v_lshl_or_b32 v45, v66, 3, v39
	v_lshl_or_b32 v39, v41, 3, v39
	v_lshlrev_b32_e32 v42, 2, v42
	v_lshlrev_b32_e32 v38, 2, v66
	v_or_b32_e32 v79, 0xa000, v39
	v_or_b32_e32 v80, 0xb000, v39
	v_xor_b32_e32 v39, 0x440, v42
	v_cmp_eq_u32_e32 vcc, 0, v5
	s_add_i32 s3, s44, s33
	v_xor_b32_e32 v43, v69, v38
	v_xor_b32_e32 v44, v70, v38
	v_cndmask_b32_e32 v5, v39, v42, vcc
	s_add_i32 s20, s47, s46
	s_add_i32 s39, s3, s45
	s_mov_b32 s60, 0x1000504
	v_lshlrev_b32_e32 v40, 8, v66
	v_lshlrev_b32_e32 v41, 8, v41
	;; [unrolled: 1-line block ×4, first 2 shown]
	v_lshl_or_b32 v4, v4, 10, v5
	s_add_i32 s41, s20, s48
	s_lshl_b64 s[20:21], s[38:39], 2
	s_mov_b32 s61, 0x3020706
	v_or_b32_e32 v77, 0xa000, v45
	v_or_b32_e32 v78, 0xb000, v45
	;; [unrolled: 1-line block ×5, first 2 shown]
	v_xor_b32_e32 v5, 8, v4
	v_xor_b32_e32 v40, 24, v4
	;; [unrolled: 1-line block ×4, first 2 shown]
	s_add_u32 s3, s10, s20
	v_or_b32_e32 v83, v41, v43
	v_xor_b32_e32 v39, 16, v4
	v_xor_b32_e32 v41, 32, v4
	;; [unrolled: 1-line block ×3, first 2 shown]
	v_add_u32_e32 v5, 0x80, v5
	v_add_u32_e32 v40, 0x80, v40
	;; [unrolled: 1-line block ×4, first 2 shown]
	s_addc_u32 s24, s11, s21
	s_lshl_b64 s[20:21], s[40:41], 2
	s_add_u32 s20, s3, s20
	s_movk_i32 s3, 0xf8
	s_addc_u32 s21, s24, s21
	s_lshl_b32 s30, s19, 7
	s_movk_i32 s28, 0x100
	v_mov_b32_e32 v59, 0
	v_lshlrev_b32_e32 v58, 4, v66
	v_cmp_gt_u32_e32 vcc, s28, v0
	v_ashrrev_i32_e32 v57, 31, v56
	s_mov_b32 s62, 0
	s_movk_i32 s39, 0x1000
	s_movk_i32 s26, 0x4000
	v_lshl_add_u64 v[60:61], v[56:57], 1, s[8:9]
	v_mov_b32_e32 v105, 0x3fb8aa3b
	s_waitcnt vmcnt(1)
	v_perm_b32 v45, v6, v14, s60
	s_waitcnt vmcnt(0)
	v_perm_b32 v46, v10, v34, s60
	v_perm_b32 v6, v6, v14, s61
	;; [unrolled: 1-line block ×15, first 2 shown]
	ds_write2st64_b32 v4, v45, v46 offset0:32 offset1:64
	ds_write2st64_b32 v5, v6, v10 offset0:32 offset1:64
	;; [unrolled: 1-line block ×8, first 2 shown]
	v_or_b32_e32 v4, v64, v66
	v_lshlrev_b32_e32 v4, 3, v4
	v_lshrrev_b32_e32 v7, 5, v51
	v_and_or_b32 v7, v4, s3, v7
	v_lshlrev_b32_e32 v7, 4, v7
	v_lshlrev_b32_e32 v5, 11, v1
	v_and_b32_e32 v4, 0x78, v4
	v_or_b32_e32 v12, 32, v7
	v_and_b32_e32 v6, 0x1000, v5
	v_lshrrev_b32_e32 v9, 1, v0
	v_xor_b32_e32 v12, v12, v4
	v_and_b32_e32 v10, 8, v9
	v_or_b32_e32 v12, v12, v6
	v_xor_b32_e32 v8, v7, v4
	v_xor_b32_e32 v87, v12, v10
	v_or_b32_e32 v12, 64, v7
	v_or_b32_e32 v7, 0x60, v7
	s_ashr_i32 s3, s2, 31
	v_xor_b32_e32 v12, v12, v4
	v_xor_b32_e32 v4, v7, v4
	s_lshl_b64 s[24:25], s[2:3], 8
	v_or_b32_e32 v8, v8, v6
	v_or_b32_e32 v12, v12, v6
	;; [unrolled: 1-line block ×3, first 2 shown]
	s_add_u32 s24, s22, s24
	v_lshlrev_b32_e32 v6, 1, v66
	v_xor_b32_e32 v89, v12, v10
	v_lshrrev_b32_e32 v12, 4, v0
	s_addc_u32 s25, s23, s25
	v_or_b32_e32 v7, 1, v6
	v_mov_b32_e32 v16, 0x4000
	v_mov_b32_e32 v17, 0x2000
	v_xor_b32_e32 v13, v12, v6
	v_xor_b32_e32 v14, v7, v12
	v_lshl_add_u64 v[6:7], s[24:25], 0, v[58:59]
	v_lshlrev_b32_e32 v58, 8, v12
	v_cndmask_b32_e32 v16, v16, v17, vcc
	v_lshlrev_b32_e32 v17, 3, v1
	v_and_b32_e32 v9, 24, v9
	v_lshl_or_b32 v93, v13, 3, v58
	v_and_b32_e32 v13, 8, v0
	v_xor_b32_e32 v34, v17, v9
	v_or_b32_e32 v35, 0x440, v34
	v_cmp_eq_u32_e32 vcc, 0, v13
	v_and_b32_e32 v12, 7, v0
	v_xor_b32_e32 v85, v8, v10
	v_cndmask_b32_e32 v13, v35, v34, vcc
	v_lshlrev_b32_e32 v8, 7, v65
	v_lshl_or_b32 v94, v14, 3, v58
	v_lshlrev_b32_e32 v14, 3, v12
	v_lshlrev_b32_e32 v12, 7, v12
	;; [unrolled: 1-line block ×3, first 2 shown]
	v_or_b32_e32 v13, v13, v5
	v_or_b32_e32 v11, v8, v38
	v_xad_u32 v95, v13, v14, v12
	v_and_or_b32 v8, v15, 60, v8
	v_mov_b32_e32 v13, 0xb000
	v_lshl_or_b32 v96, v8, 1, v13
	v_or_b32_e32 v8, 32, v9
	v_xor_b32_e32 v8, v17, v8
	v_or_b32_e32 v13, 0x440, v8
	v_cndmask_b32_e32 v8, v13, v8, vcc
	v_or_b32_e32 v8, v8, v5
	v_xad_u32 v97, v8, v14, v12
	v_or_b32_e32 v8, 64, v9
	v_xor_b32_e32 v8, v17, v8
	v_xor_b32_e32 v13, 0x440, v8
	v_cndmask_b32_e32 v8, v13, v8, vcc
	v_or_b32_e32 v8, v8, v5
	v_xad_u32 v98, v8, v14, v12
	v_or_b32_e32 v8, 0x60, v9
	v_xor_b32_e32 v8, v17, v8
	v_xor_b32_e32 v9, 0x440, v8
	v_cndmask_b32_e32 v8, v9, v8, vcc
	v_lshlrev_b32_e32 v11, 1, v11
	v_or_b32_e32 v5, v8, v5
	v_or_b32_e32 v86, 0xa000, v11
	;; [unrolled: 1-line block ×3, first 2 shown]
	v_xor_b32_e32 v90, v4, v10
	v_or_b32_e32 v91, 0xb000, v11
	v_or_b32_e32 v92, 0xb080, v11
	v_lshlrev_b32_e32 v4, 7, v69
	v_lshlrev_b32_e32 v10, 1, v3
	v_add_lshl_u32 v3, v3, s19, 1
	v_or_b32_e32 v11, 0x100, v2
	v_xad_u32 v99, v5, v14, v12
	v_cndmask_b32_e64 v100, v10, v2, s[0:1]
	v_cndmask_b32_e64 v101, v3, v11, s[0:1]
	v_lshl_add_u64 v[62:63], v[6:7], 0, v[58:59]
	s_mov_b32 s3, 0x7060302
	v_lshlrev_b32_e32 v58, 1, v4
	v_add_u32_e32 v57, v16, v95
	v_add_u32_e32 v102, v16, v97
	;; [unrolled: 1-line block ×4, first 2 shown]
	s_waitcnt lgkmcnt(0)
	s_barrier
	s_branch .LBB370_33
.LBB370_32:                             ;   in Loop: Header=BB370_33 Depth=1
	v_mul_f32_e32 v6, s24, v105
	s_waitcnt vmcnt(2)
	v_exp_f32_e32 v34, v6
	s_nop 1
	v_accvgpr_read_b32 v17, a15
	v_accvgpr_read_b32 v2, a4
	;; [unrolled: 1-line block ×16, first 2 shown]
	v_fma_f32 v16, v32, v34, v16
	v_fmac_f32_e32 v17, v33, v34
	v_fma_f32 v2, v18, v34, v2
	v_fma_f32 v3, v19, v34, v3
	v_fma_f32 v4, v20, v34, v4
	v_fmac_f32_e32 v5, v21, v34
	v_fma_f32 v10, v26, v34, v10
	v_fma_f32 v11, v27, v34, v11
	;; [unrolled: 4-line block ×4, first 2 shown]
	s_add_i32 s57, s57, 64
	v_mov_b64_e32 v[32:33], v[16:17]
	s_cmp_eq_u32 s50, s41
	s_mov_b32 s62, s41
	v_mov_b64_e32 v[30:31], v[14:15]
	v_mov_b64_e32 v[28:29], v[12:13]
	;; [unrolled: 1-line block ×7, first 2 shown]
	s_cbranch_scc1 .LBB370_4
.LBB370_33:                             ; =>This Inner Loop Header: Depth=1
	s_add_i32 s41, s62, 1
	s_cmp_lt_i32 s41, s50
	s_mov_b64 s[28:29], 0
	s_cselect_b64 s[42:43], -1, 0
	s_cmp_ge_i32 s41, s50
	s_mov_b64 s[24:25], 0
	s_cbranch_scc1 .LBB370_35
; %bb.34:                               ;   in Loop: Header=BB370_33 Depth=1
	s_add_i32 s0, s57, 64
	s_ashr_i32 s1, s0, 31
	s_add_u32 s0, s55, s0
	s_addc_u32 s1, s54, s1
	s_lshl_b64 s[0:1], s[0:1], 8
	s_add_u32 s24, s6, s0
	s_addc_u32 s25, s7, s1
.LBB370_35:                             ;   in Loop: Header=BB370_33 Depth=1
	v_cndmask_b32_e64 v2, 0, 1, s[42:43]
	v_cmp_ne_u32_e64 s[0:1], 1, v2
	s_andn2_b64 vcc, exec, s[42:43]
	s_cbranch_vccnz .LBB370_37
; %bb.36:                               ;   in Loop: Header=BB370_33 Depth=1
	s_add_i32 s28, s57, 64
	s_mul_hi_i32 s29, s28, s18
	s_mul_i32 s28, s28, s18
	s_add_u32 s28, s28, s53
	s_addc_u32 s29, s29, s58
	s_lshl_b64 s[28:29], s[28:29], 8
	s_add_u32 s28, s4, s28
	s_addc_u32 s29, s5, s29
.LBB370_37:                             ;   in Loop: Header=BB370_33 Depth=1
	v_perm_b32 v3, v21, v20, s3
	v_perm_b32 v2, v19, v18, s3
	;; [unrolled: 1-line block ×4, first 2 shown]
	ds_write_b64 v77, v[2:3]
	ds_write_b64 v78, v[4:5]
	;; [unrolled: 1-line block ×4, first 2 shown]
	v_perm_b32 v3, v29, v28, s3
	v_perm_b32 v2, v27, v26, s3
	;; [unrolled: 1-line block ×4, first 2 shown]
	ds_write_b64 v79, v[2:3]
	ds_write_b64 v80, v[4:5]
	;; [unrolled: 1-line block ×4, first 2 shown]
	s_waitcnt lgkmcnt(0)
	s_barrier
	ds_read_b64 v[6:7], v85 offset:24576
	ds_read2_b64 v[2:5], v86 offset1:16
	ds_read_b64 v[10:11], v88 offset:3072
	ds_read_b64 v[12:13], v86 offset:3072
	;; [unrolled: 1-line block ×3, first 2 shown]
	s_waitcnt lgkmcnt(3)
	v_mfma_f32_16x16x16_bf16 a[0:3], v[6:7], v[2:3], 0
	s_add_i32 s31, s57, 63
	s_ashr_i32 s42, s31, 31
	s_mul_i32 s43, s31, s35
	v_mfma_f32_16x16x16_bf16 a[4:7], v[6:7], v[4:5], 0
	ds_read2st64_b64 v[2:5], v86 offset0:2 offset1:4
	s_mul_hi_u32 s63, s31, s34
	s_add_i32 s43, s63, s43
	s_waitcnt lgkmcnt(0)
	v_mfma_f32_16x16x16_bf16 a[0:3], v[14:15], v[2:3], a[0:3]
	ds_read2st64_b64 v[6:9], v88 offset0:2 offset1:4
	ds_read_b64 v[2:3], v89 offset:24576
	s_mul_i32 s42, s42, s34
	s_add_i32 s43, s43, s42
	s_waitcnt lgkmcnt(1)
	v_mfma_f32_16x16x16_bf16 a[4:7], v[14:15], v[6:7], a[4:7]
	ds_read_b64 v[6:7], v90 offset:24576
	s_mul_i32 s42, s31, s34
	s_lshl_b64 s[42:43], s[42:43], 2
	s_waitcnt lgkmcnt(1)
	v_mfma_f32_16x16x16_bf16 a[0:3], v[2:3], v[4:5], a[0:3]
	s_add_u32 s42, s20, s42
	s_addc_u32 s43, s21, s43
	s_and_b64 vcc, exec, s[0:1]
	v_mfma_f32_16x16x16_bf16 a[4:7], v[2:3], v[8:9], a[4:7]
	v_mov_b32_e32 v108, 0
	v_mov_b32_e32 v107, 0
	;; [unrolled: 1-line block ×3, first 2 shown]
	s_waitcnt lgkmcnt(0)
	v_mfma_f32_16x16x16_bf16 a[0:3], v[6:7], v[12:13], a[0:3]
	v_mov_b32_e32 v2, 0
	v_mov_b32_e32 v3, 0
	;; [unrolled: 1-line block ×3, first 2 shown]
	v_mfma_f32_16x16x16_bf16 a[4:7], v[6:7], v[10:11], a[4:7]
	v_mov_b32_e32 v5, 0
	v_mov_b32_e32 v6, 0
	v_mov_b32_e32 v7, 0
	v_mov_b32_e32 v8, 0
	v_mov_b32_e32 v9, 0
	v_mov_b32_e32 v10, 0
	v_mov_b32_e32 v11, 0
	v_mov_b32_e32 v12, 0
	v_mov_b32_e32 v13, 0
	v_mov_b32_e32 v14, 0
	v_mov_b32_e32 v15, 0
	v_mov_b32_e32 v16, 0
	v_mov_b32_e32 v17, 0
	s_cbranch_vccnz .LBB370_39
; %bb.38:                               ;   in Loop: Header=BB370_33 Depth=1
	s_and_b32 s25, s25, 0xffff
	buffer_load_dwordx4 v[14:17], v73, s[24:27], 0 offen
	buffer_load_dwordx4 v[10:13], v73, s[24:27], s59 offen
	;; [unrolled: 1-line block ×4, first 2 shown]
	v_mov_b32_e32 v107, v75
	v_mov_b32_e32 v106, v76
.LBB370_39:                             ;   in Loop: Header=BB370_33 Depth=1
	ds_read_b64 v[38:39], v85 offset:32768
	ds_read2_b64 v[34:37], v91 offset1:16
	ds_read_b64 v[42:43], v87 offset:32768
	ds_read_b64 v[44:45], v89 offset:32768
	;; [unrolled: 1-line block ×3, first 2 shown]
	v_add_u32_e32 v48, s57, v69
	s_waitcnt lgkmcnt(3)
	v_mfma_f32_16x16x16_bf16 a[0:3], v[38:39], v[34:35], a[0:3]
	v_mul_lo_u32 v49, v48, s35
	v_mfma_f32_16x16x16_bf16 a[4:7], v[38:39], v[36:37], a[4:7]
	ds_read2st64_b64 v[34:37], v91 offset0:2 offset1:4
	ds_read2st64_b64 v[38:41], v92 offset0:2 offset1:4
	s_waitcnt lgkmcnt(1)
	v_mfma_f32_16x16x16_bf16 a[0:3], v[42:43], v[34:35], a[0:3]
	v_ashrrev_i32_e32 v34, 31, v48
	v_mul_lo_u32 v109, v34, s34
	v_mad_u64_u32 v[34:35], s[24:25], v48, s34, 0
	v_mfma_f32_16x16x16_bf16 a[0:3], v[44:45], v[36:37], a[0:3]
	v_add_u32_e32 v36, 1, v48
	v_ashrrev_i32_e32 v37, 31, v36
	v_add3_u32 v35, v35, v49, v109
	s_waitcnt lgkmcnt(0)
	v_mfma_f32_16x16x16_bf16 a[4:7], v[42:43], v[38:39], a[4:7]
	v_mul_lo_u32 v38, v37, s34
	v_mul_lo_u32 v39, v36, s35
	v_mad_u64_u32 v[36:37], s[24:25], v36, s34, 0
	v_add3_u32 v37, v37, v39, v38
	v_add_u32_e32 v38, 2, v48
	v_ashrrev_i32_e32 v39, 31, v38
	v_mul_lo_u32 v42, v39, s34
	v_mul_lo_u32 v43, v38, s35
	v_mad_u64_u32 v[38:39], s[24:25], v38, s34, 0
	v_add3_u32 v39, v39, v43, v42
	v_add_u32_e32 v42, 3, v48
	v_ashrrev_i32_e32 v43, 31, v42
	v_mul_lo_u32 v48, v43, s34
	v_mul_lo_u32 v49, v42, s35
	v_mad_u64_u32 v[42:43], s[24:25], v42, s34, 0
	v_add3_u32 v43, v43, v49, v48
	s_ashr_i32 s25, s57, 31
	v_lshl_add_u64 v[34:35], v[34:35], 2, s[20:21]
	v_lshl_add_u64 v[42:43], v[42:43], 2, s[20:21]
	s_add_u32 s24, s55, s57
	v_lshl_add_u64 v[36:37], v[36:37], 2, s[20:21]
	v_lshl_add_u64 v[38:39], v[38:39], 2, s[20:21]
	global_load_dword v48, v[34:35], off
	global_load_dword v49, v[36:37], off
	;; [unrolled: 1-line block ×3, first 2 shown]
	s_nop 0
	global_load_dword v42, v[42:43], off
	s_addc_u32 s25, s54, s25
	s_lshl_b64 s[24:25], s[24:25], 8
	v_lshl_add_u64 v[34:35], v[60:61], 0, s[24:25]
	v_lshl_add_u64 v[34:35], v[34:35], 0, v[58:59]
	global_load_ushort v43, v[34:35], off offset:256
	global_load_ushort v110, v[34:35], off
	global_load_ushort v111, v[34:35], off offset:768
	global_load_ushort v112, v[34:35], off offset:512
	ds_read_b64 v[36:37], v91 offset:3072
	ds_read_b64 v[38:39], v92 offset:3072
	global_load_ushort v113, v[34:35], off offset:800
	global_load_ushort v114, v[34:35], off offset:544
	;; [unrolled: 1-line block ×4, first 2 shown]
	s_load_dword s24, s[42:43], 0x0
	v_mfma_f32_16x16x16_bf16 a[4:7], v[44:45], v[40:41], a[4:7]
	s_and_b64 vcc, exec, s[0:1]
	s_waitcnt vmcnt(11) lgkmcnt(0)
	v_sub_f32_e32 v40, s24, v48
	v_mfma_f32_16x16x16_bf16 a[0:3], v[46:47], v[36:37], a[0:3]
	s_waitcnt vmcnt(10)
	v_sub_f32_e32 v45, s24, v49
	v_mul_f32_e32 v44, 0x3fb8aa3b, v40
	v_mul_f32_e32 v45, 0x3fb8aa3b, v45
	v_mfma_f32_16x16x16_bf16 a[4:7], v[46:47], v[38:39], a[4:7]
	s_waitcnt vmcnt(9)
	v_sub_f32_e32 v46, s24, v109
	s_waitcnt vmcnt(8)
	v_sub_f32_e32 v47, s24, v42
	v_mul_f32_e32 v46, 0x3fb8aa3b, v46
	v_mul_f32_e32 v47, 0x3fb8aa3b, v47
	v_exp_f32_e32 v44, v44
	v_exp_f32_e32 v45, v45
	;; [unrolled: 1-line block ×4, first 2 shown]
	v_accvgpr_read_b32 v39, a1
	v_accvgpr_read_b32 v35, a3
	;; [unrolled: 1-line block ×4, first 2 shown]
	s_waitcnt vmcnt(7)
	v_lshlrev_b32_e32 v41, 16, v43
	s_waitcnt vmcnt(6)
	v_lshlrev_b32_e32 v40, 16, v110
	;; [unrolled: 2-line block ×4, first 2 shown]
	v_pk_add_f32 v[38:39], v[40:41], v[38:39] neg_lo:[0,1] neg_hi:[0,1]
	v_pk_add_f32 v[34:35], v[42:43], v[34:35] neg_lo:[0,1] neg_hi:[0,1]
	v_pk_mul_f32 v[38:39], v[44:45], v[38:39]
	v_pk_mul_f32 v[34:35], v[46:47], v[34:35]
	v_accvgpr_read_b32 v41, a5
	v_perm_b32 v35, v35, v34, s3
	v_perm_b32 v34, v39, v38, s3
	s_waitcnt vmcnt(1)
	v_lshlrev_b32_e32 v39, 16, v115
	s_waitcnt vmcnt(0)
	v_lshlrev_b32_e32 v38, 16, v116
	v_accvgpr_read_b32 v40, a4
	v_accvgpr_read_b32 v37, a7
	;; [unrolled: 1-line block ×3, first 2 shown]
	v_pk_add_f32 v[38:39], v[38:39], v[40:41] neg_lo:[0,1] neg_hi:[0,1]
	v_lshlrev_b32_e32 v41, 16, v113
	v_lshlrev_b32_e32 v40, 16, v114
	v_pk_add_f32 v[36:37], v[40:41], v[36:37] neg_lo:[0,1] neg_hi:[0,1]
	v_pk_mul_f32 v[38:39], v[44:45], v[38:39]
	v_pk_mul_f32 v[36:37], v[46:47], v[36:37]
	v_mov_b32_e32 v109, 0
	v_perm_b32 v37, v37, v36, s3
	v_perm_b32 v36, v39, v38, s3
	ds_write2_b64 v78, v[34:35], v[36:37] offset1:16
	v_mov_b32_e32 v34, 0
	v_mov_b32_e32 v35, 0
	;; [unrolled: 1-line block ×16, first 2 shown]
	s_cbranch_vccnz .LBB370_41
; %bb.40:                               ;   in Loop: Header=BB370_33 Depth=1
	s_and_b32 s29, s29, 0xffff
	s_mov_b32 s31, s27
	buffer_load_dwordx4 v[46:49], v100, s[28:31], 0 offen
	buffer_load_dwordx4 v[38:41], v100, s[28:31], s59 offen
	;; [unrolled: 1-line block ×4, first 2 shown]
	v_mov_b32_e32 v108, v72
	v_mov_b32_e32 v109, v71
.LBB370_41:                             ;   in Loop: Header=BB370_33 Depth=1
	s_waitcnt lgkmcnt(0)
	s_barrier
	ds_read_b64 v[114:115], v57
	ds_read_b64 v[122:123], v96
	;; [unrolled: 1-line block ×5, first 2 shown]
	ds_read_b64 v[128:129], v97 offset:16384
	ds_read_b64 v[130:131], v95 offset:16384
	ds_read2_b64 v[110:113], v91 offset0:16 offset1:128
	s_waitcnt lgkmcnt(6)
	v_mfma_f32_16x16x16_bf16 a[0:3], v[114:115], v[122:123], 0
	ds_read_b64 v[132:133], v92 offset:3072
	ds_read_b64 v[134:135], v99 offset:16384
	s_add_i32 s25, s56, s62
	s_waitcnt lgkmcnt(2)
	v_mfma_f32_16x16x16_bf16 a[4:7], v[114:115], v[110:111], 0
	ds_read2st64_b64 v[114:117], v92 offset0:2 offset1:4
	s_mul_hi_i32 s29, s25, s17
	s_mul_i32 s25, s25, s17
	v_mfma_f32_16x16x16_bf16 a[0:3], v[118:119], v[112:113], a[0:3]
	s_add_u32 s28, s25, s49
	s_addc_u32 s29, s29, s51
	s_lshl_b64 s[28:29], s[28:29], 15
	s_waitcnt lgkmcnt(0)
	v_mfma_f32_16x16x16_bf16 a[4:7], v[118:119], v[114:115], a[4:7]
	ds_read2st64_b64 v[118:121], v91 offset0:4 offset1:6
	s_waitcnt lgkmcnt(0)
	v_mfma_f32_16x16x16_bf16 a[0:3], v[124:125], v[118:119], a[0:3]
	v_mfma_f32_16x16x16_bf16 a[8:11], v[124:125], v[116:117], a[4:7]
	;; [unrolled: 1-line block ×5, first 2 shown]
	ds_read2st64_b64 v[122:125], v94 offset1:8
	v_mfma_f32_16x16x16_bf16 a[12:15], v[130:131], v[110:111], 0
	ds_read_b64 v[130:131], v98 offset:16384
	v_mfma_f32_16x16x16_bf16 a[8:11], v[128:129], v[112:113], a[8:11]
	ds_read2st64_b64 v[110:113], v93 offset1:8
	s_waitcnt lgkmcnt(0)
	v_mov_b32_e32 v126, v110
	v_mfma_f32_16x16x16_bf16 a[12:15], v[128:129], v[114:115], a[12:15]
	v_lshl_add_u64 v[114:115], v[62:63], 0, s[28:29]
	v_add_co_u32_e32 v110, vcc, s39, v114
	v_mfma_f32_16x16x16_bf16 a[8:11], v[130:131], v[118:119], a[8:11]
	v_mov_b32_e32 v127, v111
	v_addc_co_u32_e32 v111, vcc, 0, v115, vcc
	v_mfma_f32_16x16x16_bf16 a[12:15], v[130:131], v[116:117], a[12:15]
	v_mov_b32_e32 v128, v122
	v_mov_b32_e32 v129, v123
	;; [unrolled: 1-line block ×3, first 2 shown]
	v_mfma_f32_16x16x16_bf16 a[8:11], v[134:135], v[120:121], a[8:11]
	v_mov_b32_e32 v123, v113
	s_and_b64 vcc, exec, s[0:1]
	global_store_dwordx4 v[114:115], v[126:129], off
	v_mfma_f32_16x16x16_bf16 a[12:15], v[134:135], v[132:133], a[12:15]
	global_store_dwordx4 v[110:111], v[122:125], off
	s_cbranch_vccnz .LBB370_32
; %bb.42:                               ;   in Loop: Header=BB370_33 Depth=1
	v_lshrrev_b32_e32 v110, 3, v108
	v_and_b32_e32 v110, 6, v110
	v_xor_b32_e32 v109, v110, v109
	v_lshlrev_b32_e32 v109, 2, v109
	v_and_b32_e32 v108, 8, v108
	v_xor_b32_e32 v111, 0x440, v109
	v_cmp_eq_u32_e32 vcc, 0, v108
	s_barrier
	s_nop 0
	v_cndmask_b32_e32 v108, v111, v109, vcc
	v_lshl_or_b32 v108, v110, 10, v108
	s_waitcnt vmcnt(3)
	v_perm_b32 v109, v46, v42, s60
	s_waitcnt vmcnt(2)
	v_perm_b32 v110, v38, v34, s60
	ds_write2st64_b32 v108, v109, v110 offset0:32 offset1:64
	v_xor_b32_e32 v109, 8, v108
	v_perm_b32 v42, v46, v42, s61
	v_perm_b32 v34, v38, v34, s61
	v_add_u32_e32 v38, 0x80, v109
	ds_write2st64_b32 v38, v42, v34 offset0:32 offset1:64
	v_xor_b32_e32 v34, 16, v108
	v_perm_b32 v38, v47, v43, s60
	v_perm_b32 v42, v39, v35, s60
	ds_write2st64_b32 v34, v38, v42 offset0:33 offset1:65
	v_xor_b32_e32 v34, 24, v108
	v_perm_b32 v38, v47, v43, s61
	v_perm_b32 v35, v39, v35, s61
	v_add_u32_e32 v34, 0x80, v34
	ds_write2st64_b32 v34, v38, v35 offset0:33 offset1:65
	v_xor_b32_e32 v34, 32, v108
	v_perm_b32 v35, v48, v44, s60
	;; [unrolled: 9-line block ×3, first 2 shown]
	v_perm_b32 v36, v41, v37, s60
	ds_write2st64_b32 v34, v35, v36 offset0:35 offset1:67
	v_xor_b32_e32 v34, 56, v108
	v_perm_b32 v35, v49, v45, s61
	v_perm_b32 v36, v41, v37, s61
	v_add_u32_e32 v34, 0x80, v34
	ds_write2st64_b32 v34, v35, v36 offset0:35 offset1:67
	ds_write_b64 v107, v[14:15] offset:24576
	v_xor_b32_e32 v14, 8, v107
	ds_write_b64 v14, v[16:17] offset:24576
	ds_write_b64 v107, v[10:11] offset:32768
	;; [unrolled: 1-line block ×4, first 2 shown]
	v_xor_b32_e32 v6, 8, v106
	ds_write_b64 v6, v[8:9] offset:24576
	ds_write_b64 v106, v[2:3] offset:32768
	;; [unrolled: 1-line block ×3, first 2 shown]
	s_branch .LBB370_32
.LBB370_43:
                                        ; implicit-def: $vgpr21
                                        ; implicit-def: $vgpr25
                                        ; implicit-def: $vgpr29
                                        ; implicit-def: $vgpr33
	s_cbranch_execz .LBB370_45
; %bb.44:
	s_waitcnt vmcnt(0)
	v_mad_u64_u32 v[18:19], s[0:1], v36, s19, v[34:35]
	v_lshlrev_b32_e32 v36, 1, v18
	s_lshl_b32 s2, s19, 7
	s_and_b32 s1, s5, 0xffff
	s_mov_b32 s3, 0x20000
	s_mov_b32 s0, s4
	v_add_lshl_u32 v37, v18, s19, 1
	s_movk_i32 s17, 0x80
	buffer_load_dwordx4 v[18:21], v36, s[0:3], 0 offen
	buffer_load_dwordx4 v[26:29], v36, s[0:3], s17 offen
	;; [unrolled: 1-line block ×4, first 2 shown]
.LBB370_45:
	v_lshrrev_b32_e32 v47, 2, v51
	s_cbranch_execnz .LBB370_58
.LBB370_46:
	s_and_b64 vcc, exec, s[6:7]
	s_cbranch_vccz .LBB370_56
; %bb.47:
	s_waitcnt vmcnt(0)
	v_lshlrev_b32_e32 v23, 1, v42
	v_cmp_gt_i32_e32 vcc, s31, v23
	v_mov_b32_e32 v22, 0
	v_lshlrev_b32_e32 v30, 9, v42
	v_mov_b32_e32 v18, 0
	v_mov_b32_e32 v19, 0
	;; [unrolled: 1-line block ×4, first 2 shown]
	s_and_saveexec_b64 s[0:1], vcc
	s_cbranch_execz .LBB370_49
; %bb.48:
	v_mov_b32_e32 v31, 0
	v_lshl_add_u64 v[18:19], s[4:5], 0, v[30:31]
	v_lshlrev_b32_e32 v20, 1, v34
	v_mov_b32_e32 v21, v31
	v_lshl_add_u64 v[18:19], v[18:19], 0, v[20:21]
	global_load_dwordx4 v[18:21], v[18:19], off
.LBB370_49:
	s_or_b64 exec, exec, s[0:1]
	v_or_b32_e32 v23, 1, v23
	v_cmp_gt_i32_e64 s[0:1], s31, v23
	v_lshlrev_b32_e32 v36, 8, v23
	v_mov_b32_e32 v23, 0
	v_mov_b32_e32 v24, 0
	;; [unrolled: 1-line block ×3, first 2 shown]
	s_and_saveexec_b64 s[2:3], s[0:1]
	s_cbranch_execz .LBB370_51
; %bb.50:
	v_mov_b32_e32 v37, 0
	v_lshl_add_u64 v[22:23], s[4:5], 0, v[36:37]
	v_lshlrev_b32_e32 v24, 1, v34
	v_mov_b32_e32 v25, v37
	v_lshl_add_u64 v[22:23], v[22:23], 0, v[24:25]
	global_load_dwordx4 v[22:25], v[22:23], off
.LBB370_51:
	s_or_b64 exec, exec, s[2:3]
	v_mov_b32_e32 v33, 0
	v_mov_b32_e32 v26, 0
	v_mov_b32_e32 v27, 0
	v_mov_b32_e32 v28, 0
	v_mov_b32_e32 v29, 0
	s_and_saveexec_b64 s[2:3], vcc
	s_cbranch_execz .LBB370_53
; %bb.52:
	v_mov_b32_e32 v31, 0
	v_lshl_add_u64 v[26:27], s[4:5], 0, v[30:31]
	v_lshlrev_b32_e32 v30, 1, v34
	v_lshl_add_u64 v[26:27], v[26:27], 0, v[30:31]
	global_load_dwordx4 v[26:29], v[26:27], off offset:128
.LBB370_53:
	s_or_b64 exec, exec, s[2:3]
	v_mov_b32_e32 v32, 0
	v_mov_b32_e32 v31, 0
	;; [unrolled: 1-line block ×3, first 2 shown]
	s_and_saveexec_b64 s[2:3], s[0:1]
	s_cbranch_execz .LBB370_55
; %bb.54:
	v_mov_b32_e32 v37, 0
	v_lshl_add_u64 v[30:31], s[4:5], 0, v[36:37]
	v_lshlrev_b32_e32 v36, 1, v34
	v_lshl_add_u64 v[30:31], v[30:31], 0, v[36:37]
	global_load_dwordx4 v[30:33], v[30:31], off offset:128
.LBB370_55:
	s_or_b64 exec, exec, s[2:3]
	s_branch .LBB370_58
.LBB370_56:
                                        ; implicit-def: $vgpr21
                                        ; implicit-def: $vgpr25
                                        ; implicit-def: $vgpr29
                                        ; implicit-def: $vgpr33
	s_cbranch_execz .LBB370_58
; %bb.57:
	s_waitcnt vmcnt(0)
	v_lshlrev_b32_e32 v18, 1, v34
	v_lshl_or_b32 v34, v42, 9, v18
	s_and_b32 s5, s5, 0xffff
	s_mov_b32 s7, 0x20000
	s_movk_i32 s6, 0x4000
	s_movk_i32 s0, 0x80
	buffer_load_dwordx4 v[18:21], v34, s[4:7], 0 offen
	buffer_load_dwordx4 v[22:25], v34, s[4:7], 0 offen offset:256
	buffer_load_dwordx4 v[26:29], v34, s[4:7], s0 offen
	buffer_load_dwordx4 v[30:33], v34, s[4:7], s0 offen offset:256
.LBB370_58:
	ds_read_b64 v[36:37], v43 offset:32768
	v_add_u32_e32 v34, 0xb000, v40
	ds_read2_b64 v[58:61], v34 offset1:16
	ds_read_b64 v[48:49], v44 offset:32768
	ds_read_b64 v[44:45], v45 offset:32768
	;; [unrolled: 1-line block ×3, first 2 shown]
	v_and_b32_e32 v34, 6, v0
	v_xor_b32_e32 v42, v42, v34
	v_lshlrev_b32_e32 v42, 2, v42
	v_and_b32_e32 v43, 1, v0
	v_xor_b32_e32 v46, 0x440, v42
	v_cmp_eq_u32_e32 vcc, 0, v43
	s_waitcnt lgkmcnt(3)
	v_mfma_f32_16x16x16_bf16 a[0:3], v[36:37], v[58:59], a[0:3]
	s_mov_b32 s0, 0x1000504
	v_cndmask_b32_e32 v42, v46, v42, vcc
	v_lshl_or_b32 v34, v34, 10, v42
	v_mfma_f32_16x16x16_bf16 a[4:7], v[36:37], v[60:61], a[4:7]
	ds_read2st64_b64 v[58:61], v40 offset0:90 offset1:92
	ds_read2st64_b64 v[66:69], v41 offset0:90 offset1:92
	s_waitcnt vmcnt(0)
	v_perm_b32 v42, v18, v22, s0
	s_mov_b32 s1, 0x3020706
	s_waitcnt lgkmcnt(1)
	v_mfma_f32_16x16x16_bf16 a[0:3], v[48:49], v[58:59], a[0:3]
	ds_read_b64 v[36:37], v40 offset:48128
	ds_read_b64 v[58:59], v41 offset:48128
	v_perm_b32 v18, v18, v22, s1
	v_perm_b32 v22, v26, v30, s1
	s_waitcnt lgkmcnt(2)
	v_mfma_f32_16x16x16_bf16 a[4:7], v[48:49], v[66:67], a[4:7]
	v_mfma_f32_16x16x16_bf16 a[0:3], v[44:45], v[60:61], a[0:3]
	;; [unrolled: 1-line block ×3, first 2 shown]
	s_waitcnt lgkmcnt(1)
	v_mfma_f32_16x16x16_bf16 a[4:7], v[62:63], v[36:37], a[0:3]
	v_perm_b32 v36, v26, v30, s0
	ds_write2st64_b32 v34, v42, v36 offset0:32 offset1:64
	v_xor_b32_e32 v36, 8, v34
	v_add_u32_e32 v26, 0x80, v36
	ds_write2st64_b32 v26, v18, v22 offset0:32 offset1:64
	v_xor_b32_e32 v18, 16, v34
	v_perm_b32 v22, v19, v23, s0
	v_perm_b32 v26, v27, v31, s0
	ds_write2st64_b32 v18, v22, v26 offset0:33 offset1:65
	v_xor_b32_e32 v18, 24, v34
	v_perm_b32 v19, v19, v23, s1
	v_perm_b32 v22, v27, v31, s1
	v_add_u32_e32 v18, 0x80, v18
	ds_write2st64_b32 v18, v19, v22 offset0:33 offset1:65
	v_xor_b32_e32 v18, 32, v34
	v_perm_b32 v19, v20, v24, s0
	v_perm_b32 v22, v28, v32, s0
	ds_write2st64_b32 v18, v19, v22 offset0:34 offset1:66
	v_xor_b32_e32 v18, 40, v34
	s_waitcnt lgkmcnt(5)
	v_mfma_f32_16x16x16_bf16 a[0:3], v[62:63], v[58:59], a[8:11]
	v_perm_b32 v19, v20, v24, s1
	v_perm_b32 v20, v28, v32, s1
	v_add_u32_e32 v18, 0x80, v18
	ds_write2st64_b32 v18, v19, v20 offset0:34 offset1:66
	v_xor_b32_e32 v18, 48, v34
	v_perm_b32 v19, v21, v25, s0
	v_perm_b32 v20, v29, v33, s0
	ds_write2st64_b32 v18, v19, v20 offset0:35 offset1:67
	v_xor_b32_e32 v18, 56, v34
	v_and_or_b32 v36, v47, 12, v64
	v_perm_b32 v19, v21, v25, s1
	v_perm_b32 v20, v29, v33, s1
	v_add_u32_e32 v18, 0x80, v18
	v_cmp_gt_i32_e32 vcc, s31, v36
	v_mov_b32_e32 v32, 0
	v_mov_b32_e32 v34, 0
	ds_write2st64_b32 v18, v19, v20 offset0:35 offset1:67
	s_and_saveexec_b64 s[0:1], vcc
	s_cbranch_execz .LBB370_60
; %bb.59:
	v_add_u32_e32 v18, s30, v36
	v_ashrrev_i32_e32 v19, 31, v18
	v_mul_lo_u32 v20, v19, s34
	v_mul_lo_u32 v21, v18, s35
	v_mad_u64_u32 v[18:19], s[2:3], v18, s34, 0
	v_add3_u32 v19, v19, v21, v20
	v_lshl_add_u64 v[18:19], v[18:19], 2, s[10:11]
	global_load_dword v18, v[18:19], off
	s_waitcnt vmcnt(0)
	v_sub_f32_e32 v18, s16, v18
	v_mul_f32_e32 v18, 0x3fb8aa3b, v18
	v_exp_f32_e32 v34, v18
.LBB370_60:
	s_or_b64 exec, exec, s[0:1]
	v_or_b32_e32 v26, 1, v36
	v_cmp_gt_i32_e64 s[0:1], s31, v26
	s_and_saveexec_b64 s[2:3], s[0:1]
	s_cbranch_execz .LBB370_62
; %bb.61:
	v_add_u32_e32 v18, s30, v26
	v_ashrrev_i32_e32 v19, 31, v18
	v_mul_lo_u32 v20, v19, s34
	v_mul_lo_u32 v21, v18, s35
	v_mad_u64_u32 v[18:19], s[4:5], v18, s34, 0
	v_add3_u32 v19, v19, v21, v20
	v_lshl_add_u64 v[18:19], v[18:19], 2, s[10:11]
	global_load_dword v18, v[18:19], off
	s_waitcnt vmcnt(0)
	v_sub_f32_e32 v18, s16, v18
	v_mul_f32_e32 v18, 0x3fb8aa3b, v18
	v_exp_f32_e32 v32, v18
.LBB370_62:
	s_or_b64 exec, exec, s[2:3]
	v_or_b32_e32 v27, 2, v36
	v_cmp_gt_i32_e64 s[2:3], s31, v27
	v_mov_b32_e32 v33, 0
	v_mov_b32_e32 v37, 0
	s_and_saveexec_b64 s[4:5], s[2:3]
	s_cbranch_execz .LBB370_64
; %bb.63:
	v_add_u32_e32 v18, s30, v27
	v_ashrrev_i32_e32 v19, 31, v18
	v_mul_lo_u32 v20, v19, s34
	v_mul_lo_u32 v21, v18, s35
	v_mad_u64_u32 v[18:19], s[6:7], v18, s34, 0
	v_add3_u32 v19, v19, v21, v20
	v_lshl_add_u64 v[18:19], v[18:19], 2, s[10:11]
	global_load_dword v18, v[18:19], off
	s_waitcnt vmcnt(0)
	v_sub_f32_e32 v18, s16, v18
	v_mul_f32_e32 v18, 0x3fb8aa3b, v18
	v_exp_f32_e32 v37, v18
.LBB370_64:
	s_or_b64 exec, exec, s[4:5]
	v_or_b32_e32 v42, 3, v36
	v_cmp_gt_i32_e64 s[4:5], s31, v42
	s_and_saveexec_b64 s[6:7], s[4:5]
	s_cbranch_execz .LBB370_66
; %bb.65:
	v_add_u32_e32 v18, s30, v42
	v_ashrrev_i32_e32 v19, 31, v18
	v_mul_lo_u32 v20, v19, s34
	v_mul_lo_u32 v21, v18, s35
	v_mad_u64_u32 v[18:19], s[18:19], v18, s34, 0
	v_add3_u32 v19, v19, v21, v20
	v_lshl_add_u64 v[18:19], v[18:19], 2, s[10:11]
	global_load_dword v18, v[18:19], off
	s_waitcnt vmcnt(0)
	v_sub_f32_e32 v18, s16, v18
	v_mul_f32_e32 v18, 0x3fb8aa3b, v18
	v_exp_f32_e32 v33, v18
.LBB370_66:
	s_or_b64 exec, exec, s[6:7]
	s_add_u32 s6, s8, s24
	v_accvgpr_read_b32 v21, a7
	s_addc_u32 s7, s9, s25
	v_ashrrev_i32_e32 v57, 31, v56
	v_accvgpr_read_b32 v20, a6
	v_accvgpr_read_b32 v19, a5
	;; [unrolled: 1-line block ×3, first 2 shown]
	v_lshl_add_u64 v[22:23], v[56:57], 1, s[6:7]
	v_mov_b32_e32 v29, 0
	v_lshlrev_b32_e32 v24, 8, v36
	v_mov_b32_e32 v25, 0
	s_and_saveexec_b64 s[6:7], vcc
	s_cbranch_execz .LBB370_68
; %bb.67:
	v_mov_b32_e32 v25, 0
	v_lshl_add_u64 v[30:31], v[22:23], 0, v[24:25]
	global_load_ushort v25, v[30:31], off
	s_waitcnt vmcnt(0)
	v_lshlrev_b32_e32 v25, 16, v25
	v_sub_f32_e32 v18, v25, v18
	v_mul_f32_e32 v18, v34, v18
	v_lshrrev_b32_e32 v25, 16, v18
.LBB370_68:
	s_or_b64 exec, exec, s[6:7]
	v_lshlrev_b32_e32 v28, 8, v26
	s_and_saveexec_b64 s[6:7], s[0:1]
	s_cbranch_execz .LBB370_70
; %bb.69:
	v_mov_b32_e32 v29, 0
	v_lshl_add_u64 v[30:31], v[22:23], 0, v[28:29]
	global_load_ushort v18, v[30:31], off
	s_waitcnt vmcnt(0)
	v_lshlrev_b32_e32 v18, 16, v18
	v_sub_f32_e32 v18, v18, v19
	v_mul_f32_e32 v18, v32, v18
	v_lshrrev_b32_e32 v29, 16, v18
.LBB370_70:
	s_or_b64 exec, exec, s[6:7]
	v_mov_b32_e32 v43, 0
	v_lshlrev_b32_e32 v30, 8, v27
	v_mov_b32_e32 v31, 0
	s_and_saveexec_b64 s[6:7], s[2:3]
	s_cbranch_execz .LBB370_72
; %bb.71:
	v_mov_b32_e32 v31, 0
	v_lshl_add_u64 v[18:19], v[22:23], 0, v[30:31]
	global_load_ushort v18, v[18:19], off
	s_waitcnt vmcnt(0)
	v_lshlrev_b32_e32 v18, 16, v18
	v_sub_f32_e32 v18, v18, v20
	v_mul_f32_e32 v18, v37, v18
	v_lshrrev_b32_e32 v31, 16, v18
.LBB370_72:
	s_or_b64 exec, exec, s[6:7]
	v_lshlrev_b32_e32 v26, 8, v42
	s_and_saveexec_b64 s[6:7], s[4:5]
	s_cbranch_execz .LBB370_74
; %bb.73:
	v_mov_b32_e32 v27, 0
	v_lshl_add_u64 v[18:19], v[22:23], 0, v[26:27]
	global_load_ushort v18, v[18:19], off
	s_waitcnt vmcnt(0)
	v_lshlrev_b32_e32 v18, 16, v18
	v_sub_f32_e32 v18, v18, v21
	v_mul_f32_e32 v18, v33, v18
	v_lshrrev_b32_e32 v43, 16, v18
.LBB370_74:
	s_or_b64 exec, exec, s[6:7]
	v_lshlrev_b32_e32 v36, 5, v36
	s_mov_b32 s6, 0x5040100
	v_perm_b32 v42, v29, v25, s6
	v_or_b32_e32 v25, v36, v38
	v_accvgpr_read_b32 v21, a3
	v_perm_b32 v43, v43, v31, s6
	v_lshlrev_b32_e32 v25, 1, v25
	v_accvgpr_read_b32 v20, a2
	v_accvgpr_read_b32 v19, a1
	;; [unrolled: 1-line block ×3, first 2 shown]
	ds_write_b64 v25, v[42:43] offset:45056
	v_mov_b32_e32 v29, 0
	v_mov_b32_e32 v25, 0
	s_and_saveexec_b64 s[6:7], vcc
	s_cbranch_execz .LBB370_76
; %bb.75:
	v_mov_b32_e32 v25, 0
	v_lshl_add_u64 v[24:25], v[22:23], 0, v[24:25]
	global_load_ushort v24, v[24:25], off offset:32
	s_waitcnt vmcnt(0)
	v_lshlrev_b32_e32 v24, 16, v24
	v_sub_f32_e32 v18, v24, v18
	v_mul_f32_e32 v18, v34, v18
	v_lshrrev_b32_e32 v25, 16, v18
.LBB370_76:
	s_or_b64 exec, exec, s[6:7]
	s_and_saveexec_b64 s[6:7], s[0:1]
	s_cbranch_execz .LBB370_78
; %bb.77:
	v_mov_b32_e32 v29, 0
	v_lshl_add_u64 v[28:29], v[22:23], 0, v[28:29]
	global_load_ushort v18, v[28:29], off offset:32
	s_waitcnt vmcnt(0)
	v_lshlrev_b32_e32 v18, 16, v18
	v_sub_f32_e32 v18, v18, v19
	v_mul_f32_e32 v18, v32, v18
	v_lshrrev_b32_e32 v29, 16, v18
.LBB370_78:
	s_or_b64 exec, exec, s[6:7]
	v_mov_b32_e32 v24, 0
	v_mov_b32_e32 v28, 0
	s_and_saveexec_b64 s[0:1], s[2:3]
	s_cbranch_execz .LBB370_80
; %bb.79:
	v_mov_b32_e32 v31, 0
	v_lshl_add_u64 v[18:19], v[22:23], 0, v[30:31]
	global_load_ushort v18, v[18:19], off offset:32
	s_waitcnt vmcnt(0)
	v_lshlrev_b32_e32 v18, 16, v18
	v_sub_f32_e32 v18, v18, v20
	v_mul_f32_e32 v18, v37, v18
	v_lshrrev_b32_e32 v28, 16, v18
.LBB370_80:
	s_or_b64 exec, exec, s[0:1]
	v_or_b32_e32 v19, 0xb000, v40
	v_or_b32_e32 v18, 0xb000, v41
	s_and_saveexec_b64 s[0:1], s[4:5]
	s_cbranch_execz .LBB370_82
; %bb.81:
	v_mov_b32_e32 v27, 0
	v_lshl_add_u64 v[22:23], v[22:23], 0, v[26:27]
	global_load_ushort v20, v[22:23], off offset:32
	s_waitcnt vmcnt(0)
	v_lshlrev_b32_e32 v20, 16, v20
	v_sub_f32_e32 v20, v20, v21
	v_mul_f32_e32 v20, v33, v20
	v_lshrrev_b32_e32 v24, 16, v20
.LBB370_82:
	s_or_b64 exec, exec, s[0:1]
	s_mov_b32 s0, 0x5040100
	v_or_b32_e32 v22, v36, v35
	v_perm_b32 v21, v24, v28, s0
	v_perm_b32 v20, v29, v25, s0
	v_lshlrev_b32_e32 v22, 1, v22
	s_movk_i32 s0, 0x100
	ds_write_b64 v22, v[20:21] offset:45056
	v_and_b32_e32 v20, 7, v0
	v_and_b32_e32 v21, 8, v0
	v_cmp_gt_u32_e32 vcc, s0, v0
	v_lshrrev_b32_e32 v0, 1, v0
	v_lshlrev_b32_e32 v37, 3, v1
	v_and_b32_e32 v38, 24, v0
	v_lshlrev_b32_e32 v34, 3, v20
	v_lshlrev_b32_e32 v35, 7, v20
	v_mov_b32_e32 v20, 0x4000
	v_mov_b32_e32 v22, 0x2000
	v_xor_b32_e32 v0, v37, v38
	v_cndmask_b32_e32 v36, v20, v22, vcc
	v_or_b32_e32 v1, 0x440, v0
	v_cmp_eq_u32_e32 vcc, 0, v21
	s_waitcnt lgkmcnt(0)
	s_barrier
	v_cndmask_b32_e32 v0, v1, v0, vcc
	v_or_b32_e32 v0, v0, v39
	v_xad_u32 v40, v0, v34, v35
	v_add_u32_e32 v0, v36, v40
	ds_read_b64 v[0:1], v0
	ds_read2_b64 v[20:23], v19 offset1:16
	v_or_b32_e32 v24, 32, v38
	v_xor_b32_e32 v24, v37, v24
	v_or_b32_e32 v25, 0x440, v24
	v_cndmask_b32_e32 v24, v25, v24, vcc
	s_waitcnt lgkmcnt(0)
	v_mfma_f32_16x16x16_bf16 a[0:3], v[0:1], v[20:21], 0
	v_or_b32_e32 v24, v24, v39
	v_xad_u32 v41, v24, v34, v35
	v_add_u32_e32 v24, v36, v41
	v_mfma_f32_16x16x16_bf16 a[4:7], v[0:1], v[22:23], 0
	v_or_b32_e32 v0, 64, v38
	v_xor_b32_e32 v0, v37, v0
	v_xor_b32_e32 v1, 0x440, v0
	ds_read_b64 v[32:33], v24
	v_cndmask_b32_e32 v0, v1, v0, vcc
	v_or_b32_e32 v0, v0, v39
	v_xad_u32 v42, v0, v34, v35
	v_add_u32_e32 v0, v36, v42
	ds_read_b64 v[0:1], v0
	ds_read2st64_b64 v[24:27], v19 offset0:2 offset1:4
	ds_read2st64_b64 v[28:31], v18 offset0:2 offset1:4
	s_waitcnt lgkmcnt(1)
	v_mfma_f32_16x16x16_bf16 a[0:3], v[32:33], v[24:25], a[0:3]
	s_waitcnt lgkmcnt(0)
	v_mfma_f32_16x16x16_bf16 a[4:7], v[32:33], v[28:29], a[4:7]
	v_or_b32_e32 v32, 0x60, v38
	v_xor_b32_e32 v32, v37, v32
	v_xor_b32_e32 v33, 0x440, v32
	v_cndmask_b32_e32 v32, v33, v32, vcc
	v_or_b32_e32 v32, v32, v39
	v_xad_u32 v37, v32, v34, v35
	v_add_u32_e32 v32, v36, v37
	ds_read_b64 v[32:33], v32
	v_mfma_f32_16x16x16_bf16 a[0:3], v[0:1], v[26:27], a[0:3]
	v_mov_b32_e32 v36, 0x3fb8aa3b
	v_mfma_f32_16x16x16_bf16 a[4:7], v[0:1], v[30:31], a[4:7]
	ds_read_b64 v[0:1], v19 offset:3072
	ds_read_b64 v[34:35], v18 offset:3072
	;; [unrolled: 1-line block ×3, first 2 shown]
	s_waitcnt lgkmcnt(2)
	v_mfma_f32_16x16x16_bf16 a[0:3], v[32:33], v[0:1], a[0:3]
	s_waitcnt lgkmcnt(1)
	v_mfma_f32_16x16x16_bf16 a[4:7], v[32:33], v[34:35], a[4:7]
	ds_read_b64 v[32:33], v41 offset:16384
	s_waitcnt lgkmcnt(1)
	v_mfma_f32_16x16x16_bf16 a[8:11], v[18:19], v[20:21], 0
	v_mul_f32_e32 v20, s16, v36
	v_exp_f32_e32 v36, v20
	v_accvgpr_read_b32 v21, a3
	v_mfma_f32_16x16x16_bf16 a[12:15], v[18:19], v[22:23], 0
	ds_read_b64 v[22:23], v42 offset:16384
	v_accvgpr_read_b32 v18, a0
	v_fma_f32 v18, v2, v36, v18
	v_accvgpr_read_b32 v2, a1
	v_fma_f32 v19, v3, v36, v2
	;; [unrolled: 2-line block ×3, first 2 shown]
	ds_read_b64 v[2:3], v37 offset:16384
	s_waitcnt lgkmcnt(2)
	v_mfma_f32_16x16x16_bf16 a[8:11], v[32:33], v[24:25], a[8:11]
	v_accvgpr_read_b32 v4, a4
	v_fmac_f32_e32 v21, v5, v36
	v_mfma_f32_16x16x16_bf16 a[12:15], v[32:33], v[28:29], a[12:15]
	v_accvgpr_read_b32 v29, a7
	v_fmac_f32_e32 v29, v13, v36
	s_waitcnt lgkmcnt(1)
	v_mfma_f32_16x16x16_bf16 a[0:3], v[22:23], v[26:27], a[8:11]
	v_fma_f32 v26, v10, v36, v4
	v_accvgpr_read_b32 v4, a5
	v_fma_f32 v27, v11, v36, v4
	v_mfma_f32_16x16x16_bf16 a[8:11], v[22:23], v[30:31], a[12:15]
	v_accvgpr_read_b32 v4, a6
	v_fma_f32 v28, v12, v36, v4
	s_waitcnt lgkmcnt(0)
	v_mfma_f32_16x16x16_bf16 a[0:3], v[2:3], v[0:1], a[0:3]
	v_mfma_f32_16x16x16_bf16 a[4:7], v[2:3], v[34:35], a[8:11]
	s_nop 5
	v_accvgpr_read_b32 v0, a0
	v_fma_f32 v22, v6, v36, v0
	v_accvgpr_read_b32 v0, a1
	v_fma_f32 v23, v7, v36, v0
	;; [unrolled: 2-line block ×4, first 2 shown]
	v_accvgpr_read_b32 v0, a5
	v_accvgpr_read_b32 v25, a3
	v_fma_f32 v31, v15, v36, v0
	v_accvgpr_read_b32 v0, a6
	v_accvgpr_read_b32 v33, a7
	v_fmac_f32_e32 v25, v9, v36
	v_fma_f32 v32, v16, v36, v0
	v_fmac_f32_e32 v33, v17, v36
	v_mov_b64_e32 v[2:3], v[18:19]
	v_mov_b64_e32 v[4:5], v[20:21]
	;; [unrolled: 1-line block ×8, first 2 shown]
.LBB370_83:
	s_add_u32 s0, s12, s14
	s_addc_u32 s1, s13, s15
	v_lshl_add_u64 v[0:1], v[52:53], 1, s[0:1]
	v_mov_b32_e32 v51, 0
	s_mov_b32 s2, 0x7060302
	v_lshl_add_u64 v[0:1], v[0:1], 0, v[50:51]
	v_perm_b32 v5, v5, v4, s2
	v_perm_b32 v4, v3, v2, s2
	;; [unrolled: 1-line block ×4, first 2 shown]
	global_store_dwordx2 v[0:1], v[4:5], off
	global_store_dwordx2 v[0:1], v[2:3], off offset:128
	v_lshl_add_u64 v[0:1], v[54:55], 1, s[0:1]
	v_lshl_add_u64 v[0:1], v[0:1], 0, v[50:51]
	v_perm_b32 v3, v13, v12, s2
	v_perm_b32 v2, v11, v10, s2
	global_store_dwordx2 v[0:1], v[2:3], off
	v_perm_b32 v3, v17, v16, s2
	v_perm_b32 v2, v15, v14, s2
	global_store_dwordx2 v[0:1], v[2:3], off offset:128
	s_endpgm
	.section	.rodata,"a",@progbits
	.p2align	6, 0x0
	.amdhsa_kernel _ZN12_GLOBAL__N_139chunk_gated_delta_rule_fwd_h_hip_kernelILi32ELb1ELb1ELb0ELb1ELb0ELb0ELb0ELb1EEEvPK12hip_bfloat16S3_S3_PKfS5_PKvPS1_S8_PvPKiSB_iiiiilll
		.amdhsa_group_segment_fixed_size 49152
		.amdhsa_private_segment_fixed_size 0
		.amdhsa_kernarg_size 136
		.amdhsa_user_sgpr_count 2
		.amdhsa_user_sgpr_dispatch_ptr 0
		.amdhsa_user_sgpr_queue_ptr 0
		.amdhsa_user_sgpr_kernarg_segment_ptr 1
		.amdhsa_user_sgpr_dispatch_id 0
		.amdhsa_user_sgpr_kernarg_preload_length 0
		.amdhsa_user_sgpr_kernarg_preload_offset 0
		.amdhsa_user_sgpr_private_segment_size 0
		.amdhsa_uses_dynamic_stack 0
		.amdhsa_enable_private_segment 0
		.amdhsa_system_sgpr_workgroup_id_x 1
		.amdhsa_system_sgpr_workgroup_id_y 1
		.amdhsa_system_sgpr_workgroup_id_z 0
		.amdhsa_system_sgpr_workgroup_info 0
		.amdhsa_system_vgpr_workitem_id 0
		.amdhsa_next_free_vgpr 152
		.amdhsa_next_free_sgpr 64
		.amdhsa_accum_offset 136
		.amdhsa_reserve_vcc 1
		.amdhsa_float_round_mode_32 0
		.amdhsa_float_round_mode_16_64 0
		.amdhsa_float_denorm_mode_32 3
		.amdhsa_float_denorm_mode_16_64 3
		.amdhsa_dx10_clamp 1
		.amdhsa_ieee_mode 1
		.amdhsa_fp16_overflow 0
		.amdhsa_tg_split 0
		.amdhsa_exception_fp_ieee_invalid_op 0
		.amdhsa_exception_fp_denorm_src 0
		.amdhsa_exception_fp_ieee_div_zero 0
		.amdhsa_exception_fp_ieee_overflow 0
		.amdhsa_exception_fp_ieee_underflow 0
		.amdhsa_exception_fp_ieee_inexact 0
		.amdhsa_exception_int_div_zero 0
	.end_amdhsa_kernel
	.section	.text._ZN12_GLOBAL__N_139chunk_gated_delta_rule_fwd_h_hip_kernelILi32ELb1ELb1ELb0ELb1ELb0ELb0ELb0ELb1EEEvPK12hip_bfloat16S3_S3_PKfS5_PKvPS1_S8_PvPKiSB_iiiiilll,"axG",@progbits,_ZN12_GLOBAL__N_139chunk_gated_delta_rule_fwd_h_hip_kernelILi32ELb1ELb1ELb0ELb1ELb0ELb0ELb0ELb1EEEvPK12hip_bfloat16S3_S3_PKfS5_PKvPS1_S8_PvPKiSB_iiiiilll,comdat
.Lfunc_end370:
	.size	_ZN12_GLOBAL__N_139chunk_gated_delta_rule_fwd_h_hip_kernelILi32ELb1ELb1ELb0ELb1ELb0ELb0ELb0ELb1EEEvPK12hip_bfloat16S3_S3_PKfS5_PKvPS1_S8_PvPKiSB_iiiiilll, .Lfunc_end370-_ZN12_GLOBAL__N_139chunk_gated_delta_rule_fwd_h_hip_kernelILi32ELb1ELb1ELb0ELb1ELb0ELb0ELb0ELb1EEEvPK12hip_bfloat16S3_S3_PKfS5_PKvPS1_S8_PvPKiSB_iiiiilll
                                        ; -- End function
	.section	.AMDGPU.csdata,"",@progbits
; Kernel info:
; codeLenInByte = 9416
; NumSgprs: 70
; NumVgprs: 136
; NumAgprs: 16
; TotalNumVgprs: 152
; ScratchSize: 0
; MemoryBound: 0
; FloatMode: 240
; IeeeMode: 1
; LDSByteSize: 49152 bytes/workgroup (compile time only)
; SGPRBlocks: 8
; VGPRBlocks: 18
; NumSGPRsForWavesPerEU: 70
; NumVGPRsForWavesPerEU: 152
; AccumOffset: 136
; Occupancy: 1
; WaveLimiterHint : 1
; COMPUTE_PGM_RSRC2:SCRATCH_EN: 0
; COMPUTE_PGM_RSRC2:USER_SGPR: 2
; COMPUTE_PGM_RSRC2:TRAP_HANDLER: 0
; COMPUTE_PGM_RSRC2:TGID_X_EN: 1
; COMPUTE_PGM_RSRC2:TGID_Y_EN: 1
; COMPUTE_PGM_RSRC2:TGID_Z_EN: 0
; COMPUTE_PGM_RSRC2:TIDIG_COMP_CNT: 0
; COMPUTE_PGM_RSRC3_GFX90A:ACCUM_OFFSET: 33
; COMPUTE_PGM_RSRC3_GFX90A:TG_SPLIT: 0
	.section	.text._ZN12_GLOBAL__N_139chunk_gated_delta_rule_fwd_h_hip_kernelILi32ELb1ELb0ELb1ELb1ELb0ELb0ELb0ELb1EEEvPK12hip_bfloat16S3_S3_PKfS5_PKvPS1_S8_PvPKiSB_iiiiilll,"axG",@progbits,_ZN12_GLOBAL__N_139chunk_gated_delta_rule_fwd_h_hip_kernelILi32ELb1ELb0ELb1ELb1ELb0ELb0ELb0ELb1EEEvPK12hip_bfloat16S3_S3_PKfS5_PKvPS1_S8_PvPKiSB_iiiiilll,comdat
	.globl	_ZN12_GLOBAL__N_139chunk_gated_delta_rule_fwd_h_hip_kernelILi32ELb1ELb0ELb1ELb1ELb0ELb0ELb0ELb1EEEvPK12hip_bfloat16S3_S3_PKfS5_PKvPS1_S8_PvPKiSB_iiiiilll ; -- Begin function _ZN12_GLOBAL__N_139chunk_gated_delta_rule_fwd_h_hip_kernelILi32ELb1ELb0ELb1ELb1ELb0ELb0ELb0ELb1EEEvPK12hip_bfloat16S3_S3_PKfS5_PKvPS1_S8_PvPKiSB_iiiiilll
	.p2align	8
	.type	_ZN12_GLOBAL__N_139chunk_gated_delta_rule_fwd_h_hip_kernelILi32ELb1ELb0ELb1ELb1ELb0ELb0ELb0ELb1EEEvPK12hip_bfloat16S3_S3_PKfS5_PKvPS1_S8_PvPKiSB_iiiiilll,@function
_ZN12_GLOBAL__N_139chunk_gated_delta_rule_fwd_h_hip_kernelILi32ELb1ELb0ELb1ELb1ELb0ELb0ELb0ELb1EEEvPK12hip_bfloat16S3_S3_PKfS5_PKvPS1_S8_PvPKiSB_iiiiilll: ; @_ZN12_GLOBAL__N_139chunk_gated_delta_rule_fwd_h_hip_kernelILi32ELb1ELb0ELb1ELb1ELb0ELb0ELb0ELb1EEEvPK12hip_bfloat16S3_S3_PKfS5_PKvPS1_S8_PvPKiSB_iiiiilll
; %bb.0:
	s_load_dwordx4 s[12:15], s[0:1], 0x5c
	s_load_dwordx4 s[4:7], s[0:1], 0x48
	s_abs_i32 s9, s3
	s_ashr_i32 s8, s3, 31
	v_and_b32_e32 v63, 15, v0
	s_waitcnt lgkmcnt(0)
	s_abs_i32 s10, s13
	v_cvt_f32_u32_e32 v1, s10
	s_sub_i32 s16, 0, s10
	s_ashr_i32 s11, s13, 31
	s_xor_b32 s8, s8, s11
	v_rcp_iflag_f32_e32 v1, v1
	v_lshrrev_b32_e32 v61, 6, v0
	v_bfe_u32 v62, v0, 4, 2
	v_mov_b32_e32 v7, 0
	v_mul_f32_e32 v1, 0x4f7ffffe, v1
	v_cvt_u32_f32_e32 v1, v1
	v_and_b32_e32 v60, 63, v0
	v_lshlrev_b32_e32 v64, 3, v0
	v_lshrrev_b32_e32 v65, 3, v60
	v_readfirstlane_b32 s17, v1
	s_mul_i32 s16, s16, s17
	s_mul_hi_u32 s16, s17, s16
	s_add_i32 s17, s17, s16
	s_mul_hi_u32 s16, s9, s17
	s_mul_i32 s17, s16, s10
	s_sub_i32 s9, s9, s17
	s_add_i32 s18, s16, 1
	s_sub_i32 s17, s9, s10
	s_cmp_ge_u32 s9, s10
	s_cselect_b32 s16, s18, s16
	s_cselect_b32 s9, s17, s9
	s_add_i32 s17, s16, 1
	s_cmp_ge_u32 s9, s10
	s_cselect_b32 s9, s17, s16
	s_xor_b32 s9, s9, s8
	s_sub_i32 s20, s9, s8
	s_mul_i32 s24, s20, s13
	s_ashr_i32 s21, s20, 31
	s_sub_i32 s47, s3, s24
	s_lshl_b64 s[8:9], s[20:21], 2
	s_add_u32 s4, s4, s8
	s_addc_u32 s5, s5, s9
	s_add_u32 s22, s6, s8
	s_addc_u32 s23, s7, s9
	s_abs_i32 s3, s14
	v_cvt_f32_u32_e32 v1, s3
	s_load_dwordx2 s[34:35], s[4:5], 0x0
	s_sub_i32 s5, 0, s3
	s_lshl_b32 s2, s2, 5
	v_rcp_iflag_f32_e32 v1, v1
	s_load_dwordx4 s[16:19], s[0:1], 0x28
	s_load_dwordx2 s[28:29], s[0:1], 0x38
	s_waitcnt lgkmcnt(0)
	s_sub_i32 s50, s35, s34
	s_ashr_i32 s4, s50, 31
	v_mul_f32_e32 v1, 0x4f7ffffe, v1
	v_cvt_u32_f32_e32 v1, v1
	s_lshr_b32 s4, s4, 26
	s_add_i32 s4, s50, s4
	s_ashr_i32 s48, s4, 6
	v_readfirstlane_b32 s6, v1
	s_mul_i32 s5, s5, s6
	s_mul_hi_u32 s5, s6, s5
	s_add_i32 s6, s6, s5
	s_mul_hi_u32 s5, s10, s6
	s_mul_i32 s6, s5, s3
	s_ashr_i32 s4, s14, 31
	s_sub_i32 s6, s10, s6
	s_xor_b32 s4, s11, s4
	s_add_i32 s7, s5, 1
	s_sub_i32 s8, s6, s3
	s_cmp_ge_u32 s6, s3
	s_cselect_b32 s5, s7, s5
	s_cselect_b32 s6, s8, s6
	s_add_i32 s7, s5, 1
	s_cmp_ge_u32 s6, s3
	s_cselect_b32 s3, s7, s5
	s_xor_b32 s3, s3, s4
	s_sub_i32 s3, s3, s4
	s_abs_i32 s4, s3
	v_cvt_f32_u32_e32 v1, s4
	s_sub_i32 s6, 0, s4
	s_abs_i32 s5, s47
	s_xor_b32 s3, s47, s3
	v_rcp_iflag_f32_e32 v1, v1
	s_ashr_i32 s3, s3, 31
	v_or_b32_e32 v50, s2, v63
	v_lshlrev_b32_e32 v2, 7, v50
	v_mul_f32_e32 v1, 0x4f7ffffe, v1
	v_cvt_u32_f32_e32 v1, v1
	v_ashrrev_i32_e32 v3, 31, v2
	s_mul_hi_i32 s52, s47, s12
	s_mul_i32 s53, s47, s12
	v_readfirstlane_b32 s7, v1
	s_mul_i32 s6, s6, s7
	s_mul_hi_u32 s6, s7, s6
	s_add_i32 s7, s7, s6
	s_mul_hi_u32 s6, s5, s7
	s_mul_i32 s7, s6, s4
	s_sub_i32 s5, s5, s7
	s_add_i32 s7, s6, 1
	s_sub_i32 s8, s5, s4
	s_cmp_ge_u32 s5, s4
	s_cselect_b32 s6, s7, s6
	s_cselect_b32 s5, s8, s5
	s_add_i32 s7, s6, 1
	s_cmp_ge_u32 s5, s4
	s_cselect_b32 s4, s7, s6
	s_xor_b32 s4, s4, s3
	s_sub_i32 s51, s4, s3
	s_ashr_i32 s49, s47, 31
	s_mul_hi_i32 s3, s20, s13
	s_add_u32 s4, s24, s47
	s_addc_u32 s5, s3, s49
	s_lshl_b64 s[4:5], s[4:5], 15
	s_add_u32 s4, s16, s4
	s_addc_u32 s5, s17, s5
	v_lshlrev_b32_e32 v1, 4, v61
	v_lshl_add_u64 v[4:5], v[2:3], 1, s[4:5]
	v_or_b32_e32 v2, 0x800, v2
	v_lshl_or_b32 v66, v62, 2, v1
	v_ashrrev_i32_e32 v3, 31, v2
	v_lshlrev_b32_e32 v6, 1, v66
	v_lshl_add_u64 v[2:3], v[2:3], 1, s[4:5]
	v_lshl_add_u64 v[4:5], v[4:5], 0, v[6:7]
	;; [unrolled: 1-line block ×3, first 2 shown]
	global_load_dwordx2 v[8:9], v[4:5], off
	v_or_b32_e32 v67, 64, v66
	global_load_dwordx2 v[4:5], v[4:5], off offset:128
	s_nop 0
	global_load_dwordx2 v[6:7], v[2:3], off
	global_load_dwordx2 v[10:11], v[2:3], off offset:128
	s_load_dwordx8 s[4:11], s[0:1], 0x0
	s_load_dwordx2 s[30:31], s[0:1], 0x80
	s_load_dwordx4 s[24:27], s[0:1], 0x70
	s_load_dword s54, s[22:23], 0x0
	s_cmp_lt_i32 s50, 64
	s_waitcnt lgkmcnt(0)
	s_mul_i32 s33, s20, s25
	s_mul_hi_u32 s42, s20, s24
	s_mul_i32 s36, s20, s24
	s_mul_i32 s43, s21, s24
	;; [unrolled: 1-line block ×3, first 2 shown]
	s_mul_hi_u32 s45, s47, s26
	s_mul_i32 s46, s49, s26
	s_mul_i32 s38, s47, s26
	s_waitcnt vmcnt(3)
	v_and_b32_e32 v19, 0xffff0000, v8
	v_lshlrev_b32_e32 v18, 16, v8
	v_and_b32_e32 v21, 0xffff0000, v9
	v_lshlrev_b32_e32 v20, 16, v9
	s_waitcnt vmcnt(2)
	v_and_b32_e32 v23, 0xffff0000, v4
	v_lshlrev_b32_e32 v22, 16, v4
	v_and_b32_e32 v25, 0xffff0000, v5
	v_lshlrev_b32_e32 v24, 16, v5
	;; [unrolled: 5-line block ×4, first 2 shown]
	s_cbranch_scc1 .LBB371_17
; %bb.1:
	s_ashr_i32 s1, s34, 31
	s_add_u32 s0, s53, s34
	s_addc_u32 s1, s52, s1
	s_lshl_b64 s[0:1], s[0:1], 8
	v_and_b32_e32 v69, 56, v64
	s_add_u32 s20, s6, s0
	v_lshl_or_b32 v68, v61, 3, v65
	v_lshlrev_b32_e32 v2, 1, v69
	s_addc_u32 s0, s7, s1
	v_lshl_or_b32 v70, v68, 8, v2
	s_and_b32 s21, s0, 0xffff
	s_mov_b32 s23, 0x20000
	s_movk_i32 s22, 0x4000
	s_movk_i32 s0, 0x80
	v_or_b32_e32 v71, 0x2000, v70
	buffer_load_dwordx4 v[4:7], v70, s[20:23], 0 offen
	buffer_load_dwordx4 v[8:11], v70, s[20:23], s0 offen
	;; [unrolled: 1-line block ×4, first 2 shown]
	v_lshlrev_b32_e32 v3, 3, v68
	v_and_or_b32 v17, v0, 7, v3
	v_and_b32_e32 v3, 0x78, v3
	v_lshlrev_b32_e32 v17, 4, v17
	v_xor_b32_e32 v72, v17, v3
	v_mul_lo_u32 v16, v68, s15
	v_or_b32_e32 v73, 0x1000, v72
	v_xor_b32_e32 v3, 8, v72
	s_cmpk_eq_i32 s15, 0x80
	s_mov_b32 s55, s34
	v_xor_b32_e32 v17, 8, v73
	s_cselect_b64 s[0:1], -1, 0
	s_cmpk_lg_i32 s15, 0x80
	s_waitcnt vmcnt(3)
	ds_write_b64 v72, v[4:5] offset:24576
	ds_write_b64 v3, v[6:7] offset:24576
	s_waitcnt vmcnt(2)
	ds_write_b64 v72, v[8:9] offset:32768
	ds_write_b64 v3, v[10:11] offset:32768
	;; [unrolled: 3-line block ×4, first 2 shown]
	v_lshl_add_u32 v3, v16, 1, v69
	s_cbranch_scc0 .LBB371_3
; %bb.2:
	v_lshlrev_b32_e32 v5, 1, v3
	v_add_lshl_u32 v4, v3, s15, 1
	s_lshl_b32 s22, s15, 7
	v_lshl_or_b32 v2, v68, 9, v2
	s_cbranch_execz .LBB371_4
	s_branch .LBB371_5
.LBB371_3:
                                        ; implicit-def: $vgpr4
                                        ; implicit-def: $vgpr5
                                        ; implicit-def: $sgpr22
	v_lshl_or_b32 v2, v68, 9, v2
.LBB371_4:
	v_or_b32_e32 v4, 0x100, v2
	s_movk_i32 s22, 0x4000
	v_mov_b32_e32 v5, v2
.LBB371_5:
	s_mul_i32 s16, s34, s14
	s_ashr_i32 s56, s51, 31
	s_mul_hi_i32 s3, s34, s14
	s_add_u32 s16, s16, s51
	s_addc_u32 s17, s3, s56
	s_lshl_b64 s[16:17], s[16:17], 8
	s_add_u32 s20, s4, s16
	s_addc_u32 s3, s5, s17
	s_and_b32 s21, s3, 0xffff
	s_movk_i32 s57, 0x80
	buffer_load_dwordx4 v[6:9], v5, s[20:23], 0 offen
	buffer_load_dwordx4 v[10:13], v5, s[20:23], s57 offen
	;; [unrolled: 1-line block ×4, first 2 shown]
	v_and_b32_e32 v4, 6, v0
	v_lshlrev_b32_e32 v39, 6, v66
	v_or_b32_e32 v41, 16, v63
	v_xor_b32_e32 v42, v68, v4
	v_and_b32_e32 v5, 1, v0
	v_lshl_or_b32 v45, v63, 3, v39
	v_lshl_or_b32 v39, v41, 3, v39
	v_lshlrev_b32_e32 v42, 2, v42
	v_lshlrev_b32_e32 v38, 2, v63
	v_or_b32_e32 v76, 0xa000, v39
	v_or_b32_e32 v77, 0xb000, v39
	v_xor_b32_e32 v39, 0x440, v42
	v_cmp_eq_u32_e32 vcc, 0, v5
	s_add_i32 s3, s42, s33
	v_xor_b32_e32 v43, v66, v38
	v_xor_b32_e32 v44, v67, v38
	v_cndmask_b32_e32 v5, v39, v42, vcc
	s_add_i32 s16, s45, s44
	s_add_i32 s37, s3, s43
	s_mov_b32 s58, 0x1000504
	v_lshlrev_b32_e32 v40, 8, v63
	v_lshlrev_b32_e32 v41, 8, v41
	;; [unrolled: 1-line block ×4, first 2 shown]
	v_lshl_or_b32 v4, v4, 10, v5
	s_add_i32 s39, s16, s46
	s_lshl_b64 s[16:17], s[36:37], 2
	s_mov_b32 s59, 0x3020706
	v_or_b32_e32 v74, 0xa000, v45
	v_or_b32_e32 v75, 0xb000, v45
	;; [unrolled: 1-line block ×5, first 2 shown]
	v_xor_b32_e32 v5, 8, v4
	v_xor_b32_e32 v40, 24, v4
	;; [unrolled: 1-line block ×4, first 2 shown]
	s_add_u32 s3, s10, s16
	v_or_b32_e32 v80, v41, v43
	v_xor_b32_e32 v39, 16, v4
	v_xor_b32_e32 v41, 32, v4
	;; [unrolled: 1-line block ×3, first 2 shown]
	v_add_u32_e32 v5, 0x80, v5
	v_add_u32_e32 v40, 0x80, v40
	;; [unrolled: 1-line block ×4, first 2 shown]
	s_addc_u32 s20, s11, s17
	s_lshl_b64 s[16:17], s[38:39], 2
	s_add_u32 s16, s3, s16
	s_movk_i32 s3, 0xf8
	s_addc_u32 s17, s20, s17
	s_lshl_b32 s26, s15, 7
	s_movk_i32 s24, 0x100
	v_mov_b32_e32 v53, 0
	v_lshlrev_b32_e32 v52, 4, v63
	v_cmp_gt_u32_e32 vcc, s24, v0
	v_ashrrev_i32_e32 v51, 31, v50
	s_mov_b32 s60, 0
	s_movk_i32 s37, 0x1000
	s_movk_i32 s22, 0x4000
	v_mov_b32_e32 v102, 0x3fb8aa3b
	s_waitcnt vmcnt(1)
	v_perm_b32 v45, v6, v14, s58
	s_waitcnt vmcnt(0)
	v_perm_b32 v46, v10, v34, s58
	v_perm_b32 v6, v6, v14, s59
	;; [unrolled: 1-line block ×15, first 2 shown]
	ds_write2st64_b32 v4, v45, v46 offset0:32 offset1:64
	ds_write2st64_b32 v5, v6, v10 offset0:32 offset1:64
	;; [unrolled: 1-line block ×8, first 2 shown]
	v_or_b32_e32 v4, v1, v63
	v_lshlrev_b32_e32 v4, 3, v4
	v_lshrrev_b32_e32 v7, 5, v60
	v_and_or_b32 v7, v4, s3, v7
	v_lshlrev_b32_e32 v7, 4, v7
	v_lshlrev_b32_e32 v5, 11, v61
	v_and_b32_e32 v4, 0x78, v4
	v_or_b32_e32 v12, 32, v7
	v_and_b32_e32 v6, 0x1000, v5
	v_lshrrev_b32_e32 v9, 1, v0
	v_xor_b32_e32 v12, v12, v4
	v_and_b32_e32 v10, 8, v9
	v_or_b32_e32 v12, v12, v6
	v_xor_b32_e32 v8, v7, v4
	v_xor_b32_e32 v84, v12, v10
	v_or_b32_e32 v12, 64, v7
	v_or_b32_e32 v7, 0x60, v7
	s_ashr_i32 s3, s2, 31
	v_xor_b32_e32 v12, v12, v4
	v_xor_b32_e32 v4, v7, v4
	s_lshl_b64 s[20:21], s[2:3], 8
	v_or_b32_e32 v8, v8, v6
	v_or_b32_e32 v12, v12, v6
	;; [unrolled: 1-line block ×3, first 2 shown]
	s_add_u32 s20, s18, s20
	v_lshlrev_b32_e32 v6, 1, v63
	v_xor_b32_e32 v86, v12, v10
	v_lshrrev_b32_e32 v12, 4, v0
	s_addc_u32 s21, s19, s21
	v_or_b32_e32 v7, 1, v6
	v_mov_b32_e32 v16, 0x4000
	v_mov_b32_e32 v17, 0x2000
	v_xor_b32_e32 v13, v12, v6
	v_xor_b32_e32 v14, v7, v12
	v_lshl_add_u64 v[6:7], s[20:21], 0, v[52:53]
	v_lshlrev_b32_e32 v52, 8, v12
	v_cndmask_b32_e32 v16, v16, v17, vcc
	v_lshlrev_b32_e32 v17, 3, v61
	v_and_b32_e32 v9, 24, v9
	v_lshl_or_b32 v90, v13, 3, v52
	v_and_b32_e32 v13, 8, v0
	v_xor_b32_e32 v34, v17, v9
	v_or_b32_e32 v35, 0x440, v34
	v_cmp_eq_u32_e32 vcc, 0, v13
	v_and_b32_e32 v12, 7, v0
	v_xor_b32_e32 v82, v8, v10
	v_cndmask_b32_e32 v13, v35, v34, vcc
	v_lshlrev_b32_e32 v8, 7, v62
	v_lshl_or_b32 v91, v14, 3, v52
	v_lshlrev_b32_e32 v14, 3, v12
	v_lshlrev_b32_e32 v12, 7, v12
	v_lshlrev_b32_e32 v15, 2, v0
	v_or_b32_e32 v13, v13, v5
	v_or_b32_e32 v11, v8, v38
	v_xad_u32 v92, v13, v14, v12
	v_and_or_b32 v8, v15, 60, v8
	v_mov_b32_e32 v13, 0xb000
	v_lshl_or_b32 v93, v8, 1, v13
	v_or_b32_e32 v8, 32, v9
	v_xor_b32_e32 v8, v17, v8
	v_or_b32_e32 v13, 0x440, v8
	v_cndmask_b32_e32 v8, v13, v8, vcc
	v_or_b32_e32 v8, v8, v5
	v_xad_u32 v94, v8, v14, v12
	v_or_b32_e32 v8, 64, v9
	v_xor_b32_e32 v8, v17, v8
	v_xor_b32_e32 v13, 0x440, v8
	v_cndmask_b32_e32 v8, v13, v8, vcc
	v_or_b32_e32 v8, v8, v5
	v_xad_u32 v95, v8, v14, v12
	v_or_b32_e32 v8, 0x60, v9
	v_xor_b32_e32 v8, v17, v8
	v_xor_b32_e32 v9, 0x440, v8
	v_lshlrev_b32_e32 v11, 1, v11
	v_cndmask_b32_e32 v8, v9, v8, vcc
	v_or_b32_e32 v83, 0xa000, v11
	v_or_b32_e32 v85, 0xa080, v11
	v_xor_b32_e32 v87, v4, v10
	v_or_b32_e32 v88, 0xb000, v11
	v_or_b32_e32 v89, 0xb080, v11
	v_lshlrev_b32_e32 v10, 1, v3
	v_add_lshl_u32 v3, v3, s15, 1
	v_or_b32_e32 v11, 0x100, v2
	v_or_b32_e32 v5, v8, v5
	v_lshlrev_b32_e32 v4, 7, v66
	v_xad_u32 v96, v5, v14, v12
	v_cndmask_b32_e64 v97, v10, v2, s[0:1]
	v_cndmask_b32_e64 v98, v3, v11, s[0:1]
	v_lshlrev_b64 v[2:3], 1, v[50:51]
	v_lshl_add_u64 v[54:55], s[8:9], 0, v[2:3]
	v_lshl_add_u64 v[56:57], s[28:29], 0, v[2:3]
	;; [unrolled: 1-line block ×3, first 2 shown]
	v_lshlrev_b32_e32 v52, 1, v4
	v_add_u32_e32 v51, v16, v92
	v_add_u32_e32 v99, v16, v94
	;; [unrolled: 1-line block ×4, first 2 shown]
	v_mov_b64_e32 v[2:3], v[18:19]
	s_mov_b32 s3, 0x7060302
	v_mov_b64_e32 v[4:5], v[20:21]
	v_mov_b64_e32 v[6:7], v[22:23]
	;; [unrolled: 1-line block ×7, first 2 shown]
	s_waitcnt lgkmcnt(0)
	s_barrier
	s_branch .LBB371_7
.LBB371_6:                              ;   in Loop: Header=BB371_7 Depth=1
	v_mul_f32_e32 v22, s20, v102
	s_waitcnt vmcnt(2)
	v_exp_f32_e32 v34, v22
	v_accvgpr_read_b32 v21, a7
	v_accvgpr_read_b32 v19, a5
	;; [unrolled: 1-line block ×16, first 2 shown]
	v_fma_f32 v18, v2, v34, v18
	v_fma_f32 v19, v3, v34, v19
	v_fma_f32 v20, v4, v34, v20
	v_fmac_f32_e32 v21, v5, v34
	v_fma_f32 v26, v10, v34, v26
	v_fma_f32 v27, v11, v34, v27
	v_fma_f32 v28, v12, v34, v28
	v_fmac_f32_e32 v29, v13, v34
	;; [unrolled: 4-line block ×4, first 2 shown]
	s_add_i32 s55, s55, 64
	v_mov_b64_e32 v[2:3], v[18:19]
	s_cmp_eq_u32 s48, s39
	s_mov_b32 s60, s39
	v_mov_b64_e32 v[4:5], v[20:21]
	v_mov_b64_e32 v[6:7], v[22:23]
	;; [unrolled: 1-line block ×7, first 2 shown]
	s_cbranch_scc1 .LBB371_17
.LBB371_7:                              ; =>This Inner Loop Header: Depth=1
	s_add_i32 s39, s60, 1
	s_cmp_lt_i32 s39, s48
	s_mov_b64 s[24:25], 0
	s_cselect_b64 s[40:41], -1, 0
	s_cmp_ge_i32 s39, s48
	s_mov_b64 s[20:21], 0
	s_cbranch_scc1 .LBB371_9
; %bb.8:                                ;   in Loop: Header=BB371_7 Depth=1
	s_add_i32 s0, s55, 64
	s_ashr_i32 s1, s0, 31
	s_add_u32 s0, s53, s0
	s_addc_u32 s1, s52, s1
	s_lshl_b64 s[0:1], s[0:1], 8
	s_add_u32 s20, s6, s0
	s_addc_u32 s21, s7, s1
.LBB371_9:                              ;   in Loop: Header=BB371_7 Depth=1
	v_cndmask_b32_e64 v18, 0, 1, s[40:41]
	v_cmp_ne_u32_e64 s[0:1], 1, v18
	s_andn2_b64 vcc, exec, s[40:41]
	s_cbranch_vccnz .LBB371_11
; %bb.10:                               ;   in Loop: Header=BB371_7 Depth=1
	s_add_i32 s24, s55, 64
	s_mul_hi_i32 s25, s24, s14
	s_mul_i32 s24, s24, s14
	s_add_u32 s24, s24, s51
	s_addc_u32 s25, s25, s56
	s_lshl_b64 s[24:25], s[24:25], 8
	s_add_u32 s24, s4, s24
	s_addc_u32 s25, s5, s25
.LBB371_11:                             ;   in Loop: Header=BB371_7 Depth=1
	v_perm_b32 v19, v5, v4, s3
	v_perm_b32 v18, v3, v2, s3
	;; [unrolled: 1-line block ×4, first 2 shown]
	ds_write_b64 v74, v[18:19]
	ds_write_b64 v75, v[20:21]
	;; [unrolled: 1-line block ×4, first 2 shown]
	v_perm_b32 v19, v13, v12, s3
	v_perm_b32 v18, v11, v10, s3
	;; [unrolled: 1-line block ×4, first 2 shown]
	ds_write_b64 v76, v[18:19]
	ds_write_b64 v77, v[20:21]
	ds_write_b64 v80, v[18:19]
	ds_write_b64 v81, v[20:21]
	s_waitcnt lgkmcnt(0)
	s_barrier
	ds_read_b64 v[22:23], v82 offset:24576
	ds_read2_b64 v[18:21], v83 offset1:16
	ds_read_b64 v[26:27], v85 offset:3072
	ds_read_b64 v[28:29], v83 offset:3072
	;; [unrolled: 1-line block ×3, first 2 shown]
	s_waitcnt lgkmcnt(3)
	v_mfma_f32_16x16x16_bf16 a[0:3], v[22:23], v[18:19], 0
	s_add_i32 s27, s55, 63
	s_ashr_i32 s40, s27, 31
	s_mul_i32 s41, s27, s31
	v_mfma_f32_16x16x16_bf16 a[4:7], v[22:23], v[20:21], 0
	ds_read2st64_b64 v[18:21], v83 offset0:2 offset1:4
	s_mul_hi_u32 s61, s27, s30
	s_add_i32 s41, s61, s41
	s_waitcnt lgkmcnt(0)
	v_mfma_f32_16x16x16_bf16 a[0:3], v[30:31], v[18:19], a[0:3]
	ds_read2st64_b64 v[22:25], v85 offset0:2 offset1:4
	ds_read_b64 v[18:19], v86 offset:24576
	s_mul_i32 s40, s40, s30
	s_add_i32 s41, s41, s40
	s_waitcnt lgkmcnt(1)
	v_mfma_f32_16x16x16_bf16 a[4:7], v[30:31], v[22:23], a[4:7]
	ds_read_b64 v[22:23], v87 offset:24576
	s_mul_i32 s40, s27, s30
	s_lshl_b64 s[40:41], s[40:41], 2
	s_waitcnt lgkmcnt(1)
	v_mfma_f32_16x16x16_bf16 a[0:3], v[18:19], v[20:21], a[0:3]
	s_add_u32 s40, s16, s40
	s_addc_u32 s41, s17, s41
	s_and_b64 vcc, exec, s[0:1]
	v_mfma_f32_16x16x16_bf16 a[8:11], v[18:19], v[24:25], a[4:7]
	v_mov_b32_e32 v105, 0
	v_mov_b32_e32 v104, 0
	;; [unrolled: 1-line block ×3, first 2 shown]
	s_waitcnt lgkmcnt(0)
	v_mfma_f32_16x16x16_bf16 a[4:7], v[22:23], v[28:29], a[0:3]
	v_mov_b32_e32 v18, 0
	v_mov_b32_e32 v19, 0
	v_mov_b32_e32 v20, 0
	v_mfma_f32_16x16x16_bf16 a[0:3], v[22:23], v[26:27], a[8:11]
	v_mov_b32_e32 v21, 0
	v_mov_b32_e32 v22, 0
	;; [unrolled: 1-line block ×13, first 2 shown]
	s_cbranch_vccnz .LBB371_13
; %bb.12:                               ;   in Loop: Header=BB371_7 Depth=1
	s_and_b32 s21, s21, 0xffff
	buffer_load_dwordx4 v[30:33], v70, s[20:23], 0 offen
	buffer_load_dwordx4 v[26:29], v70, s[20:23], s57 offen
	;; [unrolled: 1-line block ×4, first 2 shown]
	v_mov_b32_e32 v104, v72
	v_mov_b32_e32 v103, v73
.LBB371_13:                             ;   in Loop: Header=BB371_7 Depth=1
	ds_read_b64 v[42:43], v82 offset:32768
	ds_read2_b64 v[34:37], v88 offset1:16
	ds_read_b64 v[44:45], v84 offset:32768
	ds_read_b64 v[46:47], v86 offset:32768
	;; [unrolled: 1-line block ×3, first 2 shown]
	v_add_u32_e32 v106, s55, v66
	s_waitcnt lgkmcnt(3)
	v_mfma_f32_16x16x16_bf16 a[4:7], v[42:43], v[34:35], a[4:7]
	v_ashrrev_i32_e32 v34, 31, v106
	ds_read2st64_b64 v[38:41], v88 offset0:2 offset1:4
	v_mfma_f32_16x16x16_bf16 a[0:3], v[42:43], v[36:37], a[0:3]
	v_mul_lo_u32 v36, v34, s30
	v_mul_lo_u32 v37, v106, s31
	v_mad_u64_u32 v[34:35], s[20:21], v106, s30, 0
	v_add3_u32 v35, v35, v37, v36
	v_add_u32_e32 v36, 1, v106
	v_ashrrev_i32_e32 v37, 31, v36
	v_mul_lo_u32 v42, v37, s30
	v_mul_lo_u32 v43, v36, s31
	v_mad_u64_u32 v[36:37], s[20:21], v36, s30, 0
	v_add3_u32 v37, v37, v43, v42
	v_add_u32_e32 v42, 2, v106
	v_ashrrev_i32_e32 v43, 31, v42
	v_mul_lo_u32 v107, v43, s30
	v_mul_lo_u32 v108, v42, s31
	v_mad_u64_u32 v[42:43], s[20:21], v42, s30, 0
	v_add_u32_e32 v106, 3, v106
	v_add3_u32 v43, v43, v108, v107
	v_ashrrev_i32_e32 v107, 31, v106
	v_mul_lo_u32 v108, v107, s30
	v_mul_lo_u32 v109, v106, s31
	v_mad_u64_u32 v[106:107], s[20:21], v106, s30, 0
	s_ashr_i32 s21, s55, 31
	v_add3_u32 v107, v107, v109, v108
	s_add_u32 s20, s53, s55
	v_lshl_add_u64 v[34:35], v[34:35], 2, s[16:17]
	v_lshl_add_u64 v[106:107], v[106:107], 2, s[16:17]
	s_addc_u32 s21, s52, s21
	v_lshl_add_u64 v[36:37], v[36:37], 2, s[16:17]
	v_lshl_add_u64 v[42:43], v[42:43], 2, s[16:17]
	global_load_dword v108, v[34:35], off
	global_load_dword v109, v[36:37], off
	;; [unrolled: 1-line block ×3, first 2 shown]
	s_nop 0
	global_load_dword v106, v[106:107], off
	s_lshl_b64 s[62:63], s[20:21], 8
	v_lshl_add_u64 v[34:35], v[54:55], 0, s[62:63]
	v_lshl_add_u64 v[42:43], v[34:35], 0, v[52:53]
	global_load_ushort v107, v[42:43], off offset:256
	global_load_ushort v111, v[42:43], off
	ds_read2st64_b64 v[34:37], v89 offset0:2 offset1:4
	global_load_ushort v112, v[42:43], off offset:768
	global_load_ushort v113, v[42:43], off offset:512
	;; [unrolled: 1-line block ×6, first 2 shown]
	s_waitcnt lgkmcnt(1)
	v_mfma_f32_16x16x16_bf16 a[4:7], v[44:45], v[38:39], a[4:7]
	s_and_b64 vcc, exec, s[0:1]
	s_waitcnt vmcnt(7)
	v_lshlrev_b32_e32 v43, 16, v107
	s_waitcnt lgkmcnt(0)
	v_mfma_f32_16x16x16_bf16 a[0:3], v[44:45], v[34:35], a[0:3]
	v_mfma_f32_16x16x16_bf16 a[4:7], v[46:47], v[40:41], a[4:7]
	v_mfma_f32_16x16x16_bf16 a[0:3], v[46:47], v[36:37], a[0:3]
	ds_read_b64 v[34:35], v88 offset:3072
	ds_read_b64 v[36:37], v89 offset:3072
	s_load_dword s20, s[40:41], 0x0
	s_waitcnt lgkmcnt(0)
	v_sub_f32_e32 v42, s20, v108
	v_mfma_f32_16x16x16_bf16 a[4:7], v[48:49], v[34:35], a[4:7]
	v_sub_f32_e32 v45, s20, v109
	v_sub_f32_e32 v46, s20, v110
	;; [unrolled: 1-line block ×3, first 2 shown]
	v_mul_f32_e32 v44, 0x3fb8aa3b, v42
	v_mul_f32_e32 v45, 0x3fb8aa3b, v45
	;; [unrolled: 1-line block ×4, first 2 shown]
	v_mfma_f32_16x16x16_bf16 a[0:3], v[48:49], v[36:37], a[0:3]
	v_accvgpr_read_b32 v41, a5
	v_exp_f32_e32 v44, v44
	v_exp_f32_e32 v45, v45
	;; [unrolled: 1-line block ×4, first 2 shown]
	v_accvgpr_read_b32 v40, a4
	s_waitcnt vmcnt(6)
	v_lshlrev_b32_e32 v42, 16, v111
	v_lshl_add_u64 v[34:35], v[56:57], 0, s[62:63]
	v_accvgpr_read_b32 v37, a7
	v_accvgpr_read_b32 v36, a6
	v_pk_add_f32 v[40:41], v[42:43], v[40:41] neg_lo:[0,1] neg_hi:[0,1]
	s_waitcnt vmcnt(5)
	v_lshlrev_b32_e32 v43, 16, v112
	s_waitcnt vmcnt(4)
	v_lshlrev_b32_e32 v42, 16, v113
	v_lshl_add_u64 v[34:35], v[34:35], 0, v[52:53]
	v_pk_add_f32 v[36:37], v[42:43], v[36:37] neg_lo:[0,1] neg_hi:[0,1]
	global_store_short_d16_hi v[34:35], v40, off
	global_store_short_d16_hi v[34:35], v41, off offset:256
	global_store_short_d16_hi v[34:35], v36, off offset:512
	;; [unrolled: 1-line block ×3, first 2 shown]
	v_pk_mul_f32 v[40:41], v[44:45], v[40:41]
	v_pk_mul_f32 v[36:37], v[46:47], v[36:37]
	v_accvgpr_read_b32 v43, a1
	v_perm_b32 v37, v37, v36, s3
	v_perm_b32 v36, v41, v40, s3
	s_waitcnt vmcnt(5)
	v_lshlrev_b32_e32 v41, 16, v116
	s_waitcnt vmcnt(4)
	v_lshlrev_b32_e32 v40, 16, v117
	v_accvgpr_read_b32 v42, a0
	v_accvgpr_read_b32 v39, a3
	;; [unrolled: 1-line block ×3, first 2 shown]
	v_pk_add_f32 v[40:41], v[40:41], v[42:43] neg_lo:[0,1] neg_hi:[0,1]
	v_lshlrev_b32_e32 v43, 16, v114
	v_lshlrev_b32_e32 v42, 16, v115
	v_pk_add_f32 v[38:39], v[42:43], v[38:39] neg_lo:[0,1] neg_hi:[0,1]
	global_store_short_d16_hi v[34:35], v40, off offset:32
	global_store_short_d16_hi v[34:35], v41, off offset:288
	;; [unrolled: 1-line block ×4, first 2 shown]
	v_pk_mul_f32 v[34:35], v[44:45], v[40:41]
	v_pk_mul_f32 v[38:39], v[46:47], v[38:39]
	v_mov_b32_e32 v106, 0
	v_perm_b32 v39, v39, v38, s3
	v_perm_b32 v38, v35, v34, s3
	ds_write2_b64 v75, v[36:37], v[38:39] offset1:16
	v_mov_b32_e32 v34, 0
	v_mov_b32_e32 v35, 0
	;; [unrolled: 1-line block ×16, first 2 shown]
	s_cbranch_vccnz .LBB371_15
; %bb.14:                               ;   in Loop: Header=BB371_7 Depth=1
	s_and_b32 s25, s25, 0xffff
	s_mov_b32 s27, s23
	buffer_load_dwordx4 v[46:49], v97, s[24:27], 0 offen
	buffer_load_dwordx4 v[38:41], v97, s[24:27], s57 offen
	;; [unrolled: 1-line block ×4, first 2 shown]
	v_mov_b32_e32 v105, v69
	v_mov_b32_e32 v106, v68
.LBB371_15:                             ;   in Loop: Header=BB371_7 Depth=1
	s_waitcnt lgkmcnt(0)
	s_barrier
	ds_read_b64 v[112:113], v51
	ds_read_b64 v[120:121], v93
	;; [unrolled: 1-line block ×5, first 2 shown]
	ds_read_b64 v[126:127], v94 offset:16384
	ds_read_b64 v[128:129], v92 offset:16384
	ds_read2_b64 v[108:111], v88 offset0:16 offset1:128
	s_waitcnt lgkmcnt(6)
	v_mfma_f32_16x16x16_bf16 a[0:3], v[112:113], v[120:121], 0
	ds_read_b64 v[130:131], v89 offset:3072
	ds_read_b64 v[132:133], v96 offset:16384
	s_add_i32 s21, s54, s60
	s_waitcnt lgkmcnt(2)
	v_mfma_f32_16x16x16_bf16 a[4:7], v[112:113], v[108:109], 0
	ds_read2st64_b64 v[112:115], v89 offset0:2 offset1:4
	s_mul_hi_i32 s25, s21, s13
	s_mul_i32 s21, s21, s13
	v_mfma_f32_16x16x16_bf16 a[0:3], v[116:117], v[110:111], a[0:3]
	s_add_u32 s24, s21, s47
	s_addc_u32 s25, s25, s49
	s_lshl_b64 s[24:25], s[24:25], 15
	s_waitcnt lgkmcnt(0)
	v_mfma_f32_16x16x16_bf16 a[4:7], v[116:117], v[112:113], a[4:7]
	ds_read2st64_b64 v[116:119], v88 offset0:4 offset1:6
	s_waitcnt lgkmcnt(0)
	v_mfma_f32_16x16x16_bf16 a[0:3], v[122:123], v[116:117], a[0:3]
	v_mfma_f32_16x16x16_bf16 a[8:11], v[122:123], v[114:115], a[4:7]
	v_mfma_f32_16x16x16_bf16 a[4:7], v[124:125], v[118:119], a[0:3]
	v_mfma_f32_16x16x16_bf16 a[0:3], v[124:125], v[130:131], a[8:11]
	v_mfma_f32_16x16x16_bf16 a[8:11], v[128:129], v[120:121], 0
	ds_read2st64_b64 v[120:123], v91 offset1:8
	v_mfma_f32_16x16x16_bf16 a[12:15], v[128:129], v[108:109], 0
	ds_read_b64 v[128:129], v95 offset:16384
	v_mfma_f32_16x16x16_bf16 a[8:11], v[126:127], v[110:111], a[8:11]
	ds_read2st64_b64 v[108:111], v90 offset1:8
	s_waitcnt lgkmcnt(0)
	v_mov_b32_e32 v124, v108
	v_mfma_f32_16x16x16_bf16 a[12:15], v[126:127], v[112:113], a[12:15]
	v_lshl_add_u64 v[112:113], v[58:59], 0, s[24:25]
	v_add_co_u32_e32 v108, vcc, s37, v112
	v_mfma_f32_16x16x16_bf16 a[8:11], v[128:129], v[116:117], a[8:11]
	v_mov_b32_e32 v125, v109
	v_addc_co_u32_e32 v109, vcc, 0, v113, vcc
	v_mfma_f32_16x16x16_bf16 a[12:15], v[128:129], v[114:115], a[12:15]
	v_mov_b32_e32 v126, v120
	v_mov_b32_e32 v127, v121
	;; [unrolled: 1-line block ×3, first 2 shown]
	v_mfma_f32_16x16x16_bf16 a[8:11], v[132:133], v[118:119], a[8:11]
	v_mov_b32_e32 v121, v111
	s_and_b64 vcc, exec, s[0:1]
	global_store_dwordx4 v[112:113], v[124:127], off
	v_mfma_f32_16x16x16_bf16 a[12:15], v[132:133], v[130:131], a[12:15]
	global_store_dwordx4 v[108:109], v[120:123], off
	s_cbranch_vccnz .LBB371_6
; %bb.16:                               ;   in Loop: Header=BB371_7 Depth=1
	v_lshrrev_b32_e32 v107, 3, v105
	v_and_b32_e32 v107, 6, v107
	v_xor_b32_e32 v106, v107, v106
	v_lshlrev_b32_e32 v106, 2, v106
	v_and_b32_e32 v105, 8, v105
	v_xor_b32_e32 v108, 0x440, v106
	v_cmp_eq_u32_e32 vcc, 0, v105
	s_barrier
	s_nop 0
	v_cndmask_b32_e32 v105, v108, v106, vcc
	v_lshl_or_b32 v105, v107, 10, v105
	s_waitcnt vmcnt(3)
	v_perm_b32 v106, v46, v42, s58
	s_waitcnt vmcnt(2)
	v_perm_b32 v107, v38, v34, s58
	ds_write2st64_b32 v105, v106, v107 offset0:32 offset1:64
	v_xor_b32_e32 v106, 8, v105
	v_perm_b32 v42, v46, v42, s59
	v_perm_b32 v34, v38, v34, s59
	v_add_u32_e32 v38, 0x80, v106
	ds_write2st64_b32 v38, v42, v34 offset0:32 offset1:64
	v_xor_b32_e32 v34, 16, v105
	v_perm_b32 v38, v47, v43, s58
	v_perm_b32 v42, v39, v35, s58
	ds_write2st64_b32 v34, v38, v42 offset0:33 offset1:65
	v_xor_b32_e32 v34, 24, v105
	v_perm_b32 v38, v47, v43, s59
	v_perm_b32 v35, v39, v35, s59
	v_add_u32_e32 v34, 0x80, v34
	ds_write2st64_b32 v34, v38, v35 offset0:33 offset1:65
	v_xor_b32_e32 v34, 32, v105
	v_perm_b32 v35, v48, v44, s58
	;; [unrolled: 9-line block ×3, first 2 shown]
	v_perm_b32 v36, v41, v37, s58
	ds_write2st64_b32 v34, v35, v36 offset0:35 offset1:67
	v_xor_b32_e32 v34, 56, v105
	v_perm_b32 v35, v49, v45, s59
	v_perm_b32 v36, v41, v37, s59
	v_add_u32_e32 v34, 0x80, v34
	ds_write2st64_b32 v34, v35, v36 offset0:35 offset1:67
	ds_write_b64 v104, v[30:31] offset:24576
	v_xor_b32_e32 v30, 8, v104
	ds_write_b64 v30, v[32:33] offset:24576
	ds_write_b64 v104, v[26:27] offset:32768
	;; [unrolled: 1-line block ×4, first 2 shown]
	v_xor_b32_e32 v22, 8, v103
	ds_write_b64 v22, v[24:25] offset:24576
	ds_write_b64 v103, v[18:19] offset:32768
	;; [unrolled: 1-line block ×3, first 2 shown]
	s_branch .LBB371_6
.LBB371_17:
	s_lshl_b32 s26, s48, 6
	s_sub_i32 s27, s50, s26
	s_cmp_gt_i32 s27, 0
	s_cbranch_scc0 .LBB371_82
; %bb.18:
	s_add_i32 s26, s26, s34
	s_ashr_i32 s3, s26, 31
	s_cmpk_lg_i32 s15, 0x80
	s_cselect_b64 s[22:23], -1, 0
	s_and_b64 vcc, exec, s[22:23]
	s_cbranch_vccz .LBB371_20
; %bb.19:
	s_mul_hi_i32 s0, s26, s14
	s_mul_i32 s1, s26, s14
	s_ashr_i32 s14, s51, 31
	s_add_u32 s24, s1, s51
	s_addc_u32 s25, s0, s14
	s_cbranch_execz .LBB371_21
	s_branch .LBB371_22
.LBB371_20:
                                        ; implicit-def: $sgpr24_sgpr25
.LBB371_21:
	s_mul_i32 s1, s51, s12
	s_mul_hi_i32 s0, s51, s12
	s_add_u32 s24, s1, s26
	s_addc_u32 s25, s0, s3
.LBB371_22:
	s_add_i32 s12, s48, s54
	s_add_u32 s0, s53, s26
	v_lshlrev_b32_e32 v6, 5, v66
	v_lshlrev_b32_e32 v34, 2, v63
	s_addc_u32 s1, s52, s3
	s_mov_b32 s3, 0x7060302
	v_or_b32_e32 v9, v6, v34
	v_xor_b32_e32 v7, v66, v34
	v_perm_b32 v3, v21, v20, s3
	v_perm_b32 v2, v19, v18, s3
	v_perm_b32 v5, v25, v24, s3
	v_perm_b32 v4, v23, v22, s3
	v_lshlrev_b32_e32 v9, 1, v9
	v_xor_b32_e32 v8, v67, v34
	ds_write2st64_b64 v9, v[2:3], v[4:5] offset0:80 offset1:88
	v_lshlrev_b32_e32 v7, 1, v7
	v_lshlrev_b32_e32 v9, 8, v63
	s_lshl_b64 s[20:21], s[0:1], 8
	v_or_b32_e32 v10, v7, v9
	v_lshlrev_b32_e32 v8, 1, v8
	s_add_u32 s0, s6, s20
	ds_write_b64 v10, v[2:3]
	v_or_b32_e32 v2, v8, v9
	s_addc_u32 s1, s7, s21
	ds_write_b64 v2, v[4:5]
	v_perm_b32 v3, v29, v28, s3
	v_perm_b32 v2, v27, v26, s3
	v_perm_b32 v5, v33, v32, s3
	v_perm_b32 v4, v31, v30, s3
	v_or_b32_e32 v9, 16, v63
	s_mul_hi_i32 s3, s12, s13
	s_mul_i32 s12, s12, s13
	v_lshlrev_b32_e32 v19, 2, v9
	s_add_u32 s6, s12, s47
	v_or_b32_e32 v6, v6, v19
	s_addc_u32 s7, s3, s49
	v_lshlrev_b32_e32 v6, 1, v6
	s_ashr_i32 s3, s2, 31
	s_lshl_b64 s[6:7], s[6:7], 15
	ds_write2st64_b64 v6, v[2:3], v[4:5] offset0:80 offset1:88
	v_lshlrev_b32_e32 v6, 8, v9
	s_add_u32 s6, s18, s6
	v_or_b32_e32 v7, v7, v6
	s_addc_u32 s7, s19, s7
	s_lshl_b64 s[2:3], s[2:3], 8
	ds_write_b64 v7, v[2:3]
	v_or_b32_e32 v2, v8, v6
	s_add_u32 s2, s6, s2
	ds_write_b64 v2, v[4:5]
	v_lshrrev_b32_e32 v2, 4, v0
	s_addc_u32 s3, s7, s3
	v_lshlrev_b32_e32 v3, 1, v63
	v_lshlrev_b32_e32 v10, 4, v63
	v_mov_b32_e32 v11, 0
	v_or_b32_e32 v4, 1, v3
	v_xor_b32_e32 v3, v2, v3
	v_lshl_add_u64 v[12:13], s[2:3], 0, v[10:11]
	v_lshlrev_b32_e32 v10, 8, v2
	v_xor_b32_e32 v6, v4, v2
	v_lshl_or_b32 v2, v3, 3, v10
	s_waitcnt lgkmcnt(0)
	s_barrier
	ds_read2st64_b64 v[2:5], v2 offset1:8
	v_lshl_or_b32 v6, v6, 3, v10
	ds_read2st64_b64 v[6:9], v6 offset1:8
	v_lshl_add_u64 v[14:15], v[12:13], 0, v[10:11]
	s_movk_i32 s2, 0x1000
	s_waitcnt lgkmcnt(1)
	v_mov_b32_e32 v10, v2
	v_add_co_u32_e32 v2, vcc, s2, v14
	s_cmp_lg_u32 s27, 64
	v_mov_b32_e32 v11, v3
	v_addc_co_u32_e32 v3, vcc, 0, v15, vcc
	s_cselect_b64 s[6:7], -1, 0
	v_lshl_or_b32 v22, v61, 3, v65
	s_waitcnt lgkmcnt(0)
	v_mov_b32_e32 v12, v6
	v_mov_b32_e32 v13, v7
	;; [unrolled: 1-line block ×4, first 2 shown]
	s_mov_b32 s16, 0
	v_or_b32_e32 v20, 32, v22
	v_and_b32_e32 v18, 56, v64
	s_and_b64 vcc, exec, s[6:7]
	global_store_dwordx4 v[14:15], v[10:13], off
	global_store_dwordx4 v[2:3], v[6:9], off
	s_cbranch_vccz .LBB371_28
; %bb.23:
	s_mov_b32 s17, s16
	s_mov_b32 s18, s16
	;; [unrolled: 1-line block ×3, first 2 shown]
	v_mov_b64_e32 v[6:7], s[16:17]
	v_mov_b64_e32 v[8:9], s[18:19]
	;; [unrolled: 1-line block ×3, first 2 shown]
	v_cmp_gt_i32_e32 vcc, s27, v22
	v_mov_b64_e32 v[4:5], v[8:9]
	s_and_saveexec_b64 s[2:3], vcc
	s_cbranch_execz .LBB371_25
; %bb.24:
	v_lshlrev_b32_e32 v2, 8, v22
	v_mov_b32_e32 v3, 0
	v_lshl_add_u64 v[4:5], s[0:1], 0, v[2:3]
	v_lshlrev_b32_e32 v2, 1, v18
	v_lshl_add_u64 v[10:11], v[4:5], 0, v[2:3]
	global_load_dwordx4 v[6:9], v[10:11], off
	global_load_dwordx4 v[2:5], v[10:11], off offset:128
.LBB371_25:
	s_or_b64 exec, exec, s[2:3]
	s_mov_b32 s17, s16
	s_mov_b32 s18, s16
	;; [unrolled: 1-line block ×3, first 2 shown]
	v_mov_b64_e32 v[14:15], s[16:17]
	v_mov_b64_e32 v[16:17], s[18:19]
	;; [unrolled: 1-line block ×3, first 2 shown]
	v_cmp_gt_i32_e32 vcc, s27, v20
	v_lshlrev_b32_e32 v21, 7, v20
	v_mov_b64_e32 v[12:13], v[16:17]
	s_and_saveexec_b64 s[2:3], vcc
	s_cbranch_execz .LBB371_27
; %bb.26:
	v_lshlrev_b32_e32 v10, 1, v21
	v_mov_b32_e32 v11, 0
	v_lshl_add_u64 v[12:13], s[0:1], 0, v[10:11]
	v_lshlrev_b32_e32 v10, 1, v18
	v_lshl_add_u64 v[24:25], v[12:13], 0, v[10:11]
	global_load_dwordx4 v[14:17], v[24:25], off
	global_load_dwordx4 v[10:13], v[24:25], off offset:128
.LBB371_27:
	s_or_b64 exec, exec, s[2:3]
	v_lshrrev_b32_e32 v23, 3, v18
	v_lshlrev_b32_e32 v24, 3, v22
	v_or_b32_e32 v23, v24, v23
	v_lshlrev_b32_e32 v23, 4, v23
	v_and_b32_e32 v24, 0x78, v24
	v_xor_b32_e32 v23, v23, v24
	s_branch .LBB371_30
.LBB371_28:
                                        ; implicit-def: $vgpr23
                                        ; implicit-def: $vgpr21
                                        ; implicit-def: $vgpr6_vgpr7_vgpr8_vgpr9
                                        ; implicit-def: $vgpr2_vgpr3_vgpr4_vgpr5
                                        ; implicit-def: $vgpr14_vgpr15_vgpr16_vgpr17
                                        ; implicit-def: $vgpr10_vgpr11_vgpr12_vgpr13
	s_cbranch_execz .LBB371_30
; %bb.29:
	s_waitcnt vmcnt(0)
	v_lshlrev_b32_e32 v2, 1, v18
	v_lshl_or_b32 v21, v22, 8, v2
	s_and_b32 s1, s1, 0xffff
	s_mov_b32 s3, 0x20000
	s_movk_i32 s2, 0x4000
	v_lshl_or_b32 v23, v20, 8, v2
	s_movk_i32 s12, 0x80
	buffer_load_dwordx4 v[6:9], v21, s[0:3], 0 offen
	buffer_load_dwordx4 v[2:5], v21, s[0:3], s12 offen
	;; [unrolled: 1-line block ×4, first 2 shown]
	v_lshrrev_b32_e32 v21, 3, v18
	v_lshlrev_b32_e32 v23, 3, v22
	v_or_b32_e32 v21, v23, v21
	v_lshlrev_b32_e32 v21, 4, v21
	v_and_b32_e32 v23, 0x78, v23
	v_xor_b32_e32 v23, v21, v23
	v_lshlrev_b32_e32 v21, 7, v20
.LBB371_30:
	s_lshl_b64 s[0:1], s[24:25], 8
	s_add_u32 s4, s4, s0
	s_movk_i32 s0, 0x1000
	v_and_or_b32 v20, v21, s0, v23
	s_waitcnt vmcnt(1)
	ds_write_b64 v23, v[6:7] offset:24576
	v_xor_b32_e32 v6, 8, v23
	ds_write_b64 v6, v[8:9] offset:24576
	s_waitcnt vmcnt(0)
	ds_write_b64 v23, v[2:3] offset:32768
	ds_write_b64 v6, v[4:5] offset:32768
	;; [unrolled: 1-line block ×3, first 2 shown]
	v_xor_b32_e32 v2, 8, v20
	ds_write_b64 v2, v[16:17] offset:24576
	ds_write_b64 v20, v[10:11] offset:32768
	ds_write_b64 v2, v[12:13] offset:32768
	v_or_b32_e32 v2, v1, v63
	v_lshlrev_b32_e32 v3, 11, v61
	v_lshlrev_b32_e32 v2, 3, v2
	v_and_b32_e32 v6, 0x1000, v3
	v_lshrrev_b32_e32 v3, 5, v60
	s_movk_i32 s3, 0xf8
	v_and_or_b32 v3, v2, s3, v3
	v_lshlrev_b32_e32 v7, 4, v3
	v_and_b32_e32 v8, 0x78, v2
	v_or_b32_e32 v10, 32, v7
	v_lshrrev_b32_e32 v3, 1, v60
	v_xor_b32_e32 v10, v10, v8
	v_xor_b32_e32 v2, v7, v8
	v_and_b32_e32 v9, 8, v3
	v_or_b32_e32 v10, v10, v6
	v_or_b32_e32 v2, v2, v6
	v_xor_b32_e32 v25, v10, v9
	v_or_b32_e32 v10, 64, v7
	v_xor_b32_e32 v24, v2, v9
	v_xor_b32_e32 v10, v10, v8
	s_waitcnt lgkmcnt(0)
	s_barrier
	v_or_b32_e32 v12, v10, v6
	ds_read_b64 v[10:11], v24 offset:24576
	v_lshl_or_b32 v20, v62, 7, v34
	v_lshlrev_b32_e32 v23, 1, v20
	v_add_u32_e32 v2, 0xa000, v23
	ds_read2_b64 v[2:5], v2 offset1:16
	v_or_b32_e32 v7, 0x60, v7
	v_xor_b32_e32 v7, v7, v8
	s_waitcnt lgkmcnt(0)
	v_mfma_f32_16x16x16_bf16 a[0:3], v[10:11], v[2:3], 0
	v_or_b32_e32 v2, 64, v20
	v_or_b32_e32 v6, v7, v6
	v_lshlrev_b32_e32 v28, 1, v2
	v_xor_b32_e32 v26, v12, v9
	v_xor_b32_e32 v27, v6, v9
	ds_read_b64 v[12:13], v25 offset:24576
	ds_read_b64 v[14:15], v26 offset:24576
	;; [unrolled: 1-line block ×3, first 2 shown]
	v_mfma_f32_16x16x16_bf16 a[4:7], v[10:11], v[4:5], 0
	ds_read2st64_b64 v[2:5], v28 offset0:82 offset1:84
	ds_read2st64_b64 v[6:9], v23 offset0:82 offset1:84
	s_addc_u32 s5, s5, s1
	s_add_i32 s1, s42, s33
	s_add_i32 s0, s35, -1
	s_add_i32 s37, s1, s43
	s_add_i32 s1, s45, s44
	;; [unrolled: 1-line block ×3, first 2 shown]
	s_ashr_i32 s1, s0, 31
	s_mul_i32 s2, s0, s31
	s_mul_hi_u32 s3, s0, s30
	s_add_i32 s2, s3, s2
	s_mul_i32 s1, s1, s30
	s_waitcnt lgkmcnt(1)
	v_mfma_f32_16x16x16_bf16 a[4:7], v[12:13], v[2:3], a[4:7]
	s_add_i32 s1, s2, s1
	s_lshl_b64 s[2:3], s[36:37], 2
	s_add_u32 s10, s10, s2
	s_waitcnt lgkmcnt(0)
	v_mfma_f32_16x16x16_bf16 a[0:3], v[12:13], v[6:7], a[0:3]
	s_addc_u32 s11, s11, s3
	s_lshl_b64 s[2:3], s[38:39], 2
	s_mul_i32 s0, s0, s30
	s_add_u32 s10, s10, s2
	ds_read_b64 v[2:3], v23 offset:44032
	v_mfma_f32_16x16x16_bf16 a[4:7], v[14:15], v[4:5], a[4:7]
	ds_read_b64 v[4:5], v28 offset:44032
	s_addc_u32 s11, s11, s3
	s_lshl_b64 s[0:1], s[0:1], 2
	v_mfma_f32_16x16x16_bf16 a[0:3], v[14:15], v[8:9], a[0:3]
	s_add_u32 s0, s10, s0
	s_addc_u32 s1, s11, s1
	s_load_dword s12, s[0:1], 0x0
	s_waitcnt lgkmcnt(0)
	v_mfma_f32_16x16x16_bf16 a[0:3], v[16:17], v[2:3], a[0:3]
	s_and_b64 vcc, exec, s[22:23]
	v_mfma_f32_16x16x16_bf16 a[4:7], v[16:17], v[4:5], a[4:7]
	s_cbranch_vccz .LBB371_41
; %bb.31:
	v_lshlrev_b32_e32 v20, 1, v22
	s_and_b64 vcc, exec, s[6:7]
	s_cbranch_vccz .LBB371_42
; %bb.32:
	v_cmp_gt_i32_e32 vcc, s27, v20
	v_mov_b32_e32 v6, 0
	v_mov_b32_e32 v2, 0
	v_mov_b32_e32 v3, 0
	v_mov_b32_e32 v4, 0
	v_mov_b32_e32 v5, 0
	s_and_saveexec_b64 s[0:1], vcc
	s_cbranch_execz .LBB371_34
; %bb.33:
	v_mad_i64_i32 v[2:3], s[2:3], s15, v20, 0
	v_lshl_add_u64 v[2:3], v[2:3], 1, s[4:5]
	v_lshlrev_b32_e32 v4, 1, v18
	v_mov_b32_e32 v5, 0
	v_lshl_add_u64 v[2:3], v[2:3], 0, v[4:5]
	global_load_dwordx4 v[2:5], v[2:3], off
.LBB371_34:
	s_or_b64 exec, exec, s[0:1]
	v_or_b32_e32 v21, 1, v20
	v_cmp_gt_i32_e64 s[0:1], s27, v21
	v_mov_b32_e32 v7, 0
	v_mov_b32_e32 v8, 0
	;; [unrolled: 1-line block ×3, first 2 shown]
	s_and_saveexec_b64 s[2:3], s[0:1]
	s_cbranch_execz .LBB371_36
; %bb.35:
	v_mad_i64_i32 v[6:7], s[16:17], s15, v21, 0
	v_lshl_add_u64 v[6:7], v[6:7], 1, s[4:5]
	v_lshlrev_b32_e32 v8, 1, v18
	v_mov_b32_e32 v9, 0
	v_lshl_add_u64 v[6:7], v[6:7], 0, v[8:9]
	global_load_dwordx4 v[6:9], v[6:7], off
.LBB371_36:
	s_or_b64 exec, exec, s[2:3]
	v_mov_b32_e32 v17, 0
	v_mov_b32_e32 v10, 0
	;; [unrolled: 1-line block ×5, first 2 shown]
	s_and_saveexec_b64 s[2:3], vcc
	s_cbranch_execz .LBB371_38
; %bb.37:
	v_mad_i64_i32 v[10:11], s[16:17], s15, v20, 0
	v_lshl_add_u64 v[10:11], v[10:11], 1, s[4:5]
	v_lshlrev_b32_e32 v12, 1, v18
	v_mov_b32_e32 v13, 0
	v_lshl_add_u64 v[10:11], v[10:11], 0, v[12:13]
	global_load_dwordx4 v[10:13], v[10:11], off offset:128
.LBB371_38:
	s_or_b64 exec, exec, s[2:3]
	v_mov_b32_e32 v16, 0
	v_mov_b32_e32 v15, 0
	;; [unrolled: 1-line block ×3, first 2 shown]
	s_and_saveexec_b64 s[2:3], s[0:1]
	s_cbranch_execz .LBB371_40
; %bb.39:
	v_mad_i64_i32 v[14:15], s[0:1], s15, v21, 0
	v_lshl_add_u64 v[14:15], v[14:15], 1, s[4:5]
	v_lshlrev_b32_e32 v16, 1, v18
	v_mov_b32_e32 v17, 0
	v_lshl_add_u64 v[14:15], v[14:15], 0, v[16:17]
	global_load_dwordx4 v[14:17], v[14:15], off offset:128
.LBB371_40:
	s_or_b64 exec, exec, s[2:3]
	s_branch .LBB371_44
.LBB371_41:
                                        ; implicit-def: $vgpr5
                                        ; implicit-def: $vgpr9
                                        ; implicit-def: $vgpr13
                                        ; implicit-def: $vgpr17
	v_lshrrev_b32_e32 v29, 2, v60
	s_branch .LBB371_45
.LBB371_42:
                                        ; implicit-def: $vgpr5
                                        ; implicit-def: $vgpr9
                                        ; implicit-def: $vgpr13
                                        ; implicit-def: $vgpr17
	s_cbranch_execz .LBB371_44
; %bb.43:
	s_waitcnt vmcnt(0)
	v_mad_u64_u32 v[2:3], s[0:1], v20, s15, v[18:19]
	v_lshlrev_b32_e32 v20, 1, v2
	s_lshl_b32 s2, s15, 7
	s_and_b32 s1, s5, 0xffff
	s_mov_b32 s3, 0x20000
	s_mov_b32 s0, s4
	v_add_lshl_u32 v21, v2, s15, 1
	s_movk_i32 s13, 0x80
	buffer_load_dwordx4 v[2:5], v20, s[0:3], 0 offen
	buffer_load_dwordx4 v[10:13], v20, s[0:3], s13 offen
	;; [unrolled: 1-line block ×4, first 2 shown]
.LBB371_44:
	v_lshrrev_b32_e32 v29, 2, v60
	s_cbranch_execnz .LBB371_57
.LBB371_45:
	s_and_b64 vcc, exec, s[6:7]
	s_cbranch_vccz .LBB371_55
; %bb.46:
	s_waitcnt vmcnt(0)
	v_lshlrev_b32_e32 v7, 1, v22
	v_cmp_gt_i32_e32 vcc, s27, v7
	v_mov_b32_e32 v6, 0
	v_lshlrev_b32_e32 v14, 9, v22
	v_mov_b32_e32 v2, 0
	v_mov_b32_e32 v3, 0
	;; [unrolled: 1-line block ×4, first 2 shown]
	s_and_saveexec_b64 s[0:1], vcc
	s_cbranch_execz .LBB371_48
; %bb.47:
	v_mov_b32_e32 v15, 0
	v_lshl_add_u64 v[2:3], s[4:5], 0, v[14:15]
	v_lshlrev_b32_e32 v4, 1, v18
	v_mov_b32_e32 v5, v15
	v_lshl_add_u64 v[2:3], v[2:3], 0, v[4:5]
	global_load_dwordx4 v[2:5], v[2:3], off
.LBB371_48:
	s_or_b64 exec, exec, s[0:1]
	v_or_b32_e32 v7, 1, v7
	v_cmp_gt_i32_e64 s[0:1], s27, v7
	v_lshlrev_b32_e32 v20, 8, v7
	v_mov_b32_e32 v7, 0
	v_mov_b32_e32 v8, 0
	;; [unrolled: 1-line block ×3, first 2 shown]
	s_and_saveexec_b64 s[2:3], s[0:1]
	s_cbranch_execz .LBB371_50
; %bb.49:
	v_mov_b32_e32 v21, 0
	v_lshl_add_u64 v[6:7], s[4:5], 0, v[20:21]
	v_lshlrev_b32_e32 v8, 1, v18
	v_mov_b32_e32 v9, v21
	v_lshl_add_u64 v[6:7], v[6:7], 0, v[8:9]
	global_load_dwordx4 v[6:9], v[6:7], off
.LBB371_50:
	s_or_b64 exec, exec, s[2:3]
	v_mov_b32_e32 v17, 0
	v_mov_b32_e32 v10, 0
	;; [unrolled: 1-line block ×5, first 2 shown]
	s_and_saveexec_b64 s[2:3], vcc
	s_cbranch_execz .LBB371_52
; %bb.51:
	v_mov_b32_e32 v15, 0
	v_lshl_add_u64 v[10:11], s[4:5], 0, v[14:15]
	v_lshlrev_b32_e32 v14, 1, v18
	v_lshl_add_u64 v[10:11], v[10:11], 0, v[14:15]
	global_load_dwordx4 v[10:13], v[10:11], off offset:128
.LBB371_52:
	s_or_b64 exec, exec, s[2:3]
	v_mov_b32_e32 v16, 0
	v_mov_b32_e32 v15, 0
	;; [unrolled: 1-line block ×3, first 2 shown]
	s_and_saveexec_b64 s[2:3], s[0:1]
	s_cbranch_execz .LBB371_54
; %bb.53:
	v_mov_b32_e32 v21, 0
	v_lshl_add_u64 v[14:15], s[4:5], 0, v[20:21]
	v_lshlrev_b32_e32 v20, 1, v18
	v_lshl_add_u64 v[14:15], v[14:15], 0, v[20:21]
	global_load_dwordx4 v[14:17], v[14:15], off offset:128
.LBB371_54:
	s_or_b64 exec, exec, s[2:3]
	s_branch .LBB371_57
.LBB371_55:
                                        ; implicit-def: $vgpr5
                                        ; implicit-def: $vgpr9
                                        ; implicit-def: $vgpr13
                                        ; implicit-def: $vgpr17
	s_cbranch_execz .LBB371_57
; %bb.56:
	s_waitcnt vmcnt(0)
	v_lshlrev_b32_e32 v2, 1, v18
	v_lshl_or_b32 v18, v22, 9, v2
	s_and_b32 s5, s5, 0xffff
	s_mov_b32 s7, 0x20000
	s_movk_i32 s6, 0x4000
	s_movk_i32 s0, 0x80
	buffer_load_dwordx4 v[2:5], v18, s[4:7], 0 offen
	buffer_load_dwordx4 v[6:9], v18, s[4:7], 0 offen offset:256
	buffer_load_dwordx4 v[10:13], v18, s[4:7], s0 offen
	buffer_load_dwordx4 v[14:17], v18, s[4:7], s0 offen offset:256
.LBB371_57:
	ds_read_b64 v[20:21], v24 offset:32768
	v_add_u32_e32 v18, 0xb000, v23
	ds_read2_b64 v[30:33], v18 offset1:16
	ds_read_b64 v[36:37], v25 offset:32768
	ds_read_b64 v[38:39], v26 offset:32768
	;; [unrolled: 1-line block ×3, first 2 shown]
	v_and_b32_e32 v18, 6, v0
	v_xor_b32_e32 v22, v22, v18
	v_lshlrev_b32_e32 v22, 2, v22
	v_and_b32_e32 v0, 1, v0
	v_cmp_eq_u32_e32 vcc, 0, v0
	s_mov_b32 s0, 0x1000504
	s_waitcnt lgkmcnt(3)
	v_mfma_f32_16x16x16_bf16 a[0:3], v[20:21], v[30:31], a[0:3]
	s_mov_b32 s1, 0x3020706
	v_mfma_f32_16x16x16_bf16 a[4:7], v[20:21], v[32:33], a[4:7]
	ds_read2st64_b64 v[24:27], v23 offset0:90 offset1:92
	ds_read2st64_b64 v[30:33], v28 offset0:90 offset1:92
	s_waitcnt lgkmcnt(1)
	v_mfma_f32_16x16x16_bf16 a[0:3], v[36:37], v[24:25], a[0:3]
	ds_read_b64 v[20:21], v23 offset:48128
	ds_read_b64 v[24:25], v28 offset:48128
	v_xor_b32_e32 v23, 0x440, v22
	v_cndmask_b32_e32 v0, v23, v22, vcc
	s_waitcnt lgkmcnt(2)
	v_mfma_f32_16x16x16_bf16 a[4:7], v[36:37], v[30:31], a[4:7]
	v_lshl_or_b32 v0, v18, 10, v0
	s_waitcnt vmcnt(0)
	v_perm_b32 v18, v2, v6, s0
	v_perm_b32 v2, v2, v6, s1
	v_mfma_f32_16x16x16_bf16 a[0:3], v[38:39], v[26:27], a[0:3]
	v_perm_b32 v6, v10, v14, s1
	v_mfma_f32_16x16x16_bf16 a[8:11], v[38:39], v[32:33], a[4:7]
	s_waitcnt lgkmcnt(1)
	v_mfma_f32_16x16x16_bf16 a[4:7], v[40:41], v[20:21], a[0:3]
	v_perm_b32 v20, v10, v14, s0
	ds_write2st64_b32 v0, v18, v20 offset0:32 offset1:64
	v_xor_b32_e32 v18, 8, v0
	v_add_u32_e32 v10, 0x80, v18
	ds_write2st64_b32 v10, v2, v6 offset0:32 offset1:64
	v_xor_b32_e32 v2, 16, v0
	v_perm_b32 v6, v3, v7, s0
	v_perm_b32 v10, v11, v15, s0
	ds_write2st64_b32 v2, v6, v10 offset0:33 offset1:65
	v_xor_b32_e32 v2, 24, v0
	v_perm_b32 v3, v3, v7, s1
	v_perm_b32 v6, v11, v15, s1
	v_add_u32_e32 v2, 0x80, v2
	ds_write2st64_b32 v2, v3, v6 offset0:33 offset1:65
	v_xor_b32_e32 v2, 32, v0
	v_perm_b32 v3, v4, v8, s0
	v_perm_b32 v6, v12, v16, s0
	s_waitcnt lgkmcnt(4)
	v_mfma_f32_16x16x16_bf16 a[0:3], v[40:41], v[24:25], a[8:11]
	ds_write2st64_b32 v2, v3, v6 offset0:34 offset1:66
	v_xor_b32_e32 v2, 40, v0
	v_perm_b32 v3, v4, v8, s1
	v_perm_b32 v4, v12, v16, s1
	v_add_u32_e32 v2, 0x80, v2
	ds_write2st64_b32 v2, v3, v4 offset0:34 offset1:66
	v_xor_b32_e32 v2, 48, v0
	v_perm_b32 v3, v5, v9, s0
	v_perm_b32 v4, v13, v17, s0
	v_xor_b32_e32 v0, 56, v0
	v_and_or_b32 v21, v29, 12, v1
	ds_write2st64_b32 v2, v3, v4 offset0:35 offset1:67
	v_perm_b32 v2, v5, v9, s1
	v_perm_b32 v3, v13, v17, s1
	v_add_u32_e32 v0, 0x80, v0
	v_cmp_gt_i32_e32 vcc, s27, v21
	v_mov_b32_e32 v16, 0
	v_mov_b32_e32 v18, 0
	ds_write2st64_b32 v0, v2, v3 offset0:35 offset1:67
	s_and_saveexec_b64 s[0:1], vcc
	s_cbranch_execz .LBB371_59
; %bb.58:
	v_add_u32_e32 v0, s26, v21
	v_ashrrev_i32_e32 v1, 31, v0
	v_mul_lo_u32 v2, v1, s30
	v_mul_lo_u32 v3, v0, s31
	v_mad_u64_u32 v[0:1], s[2:3], v0, s30, 0
	v_add3_u32 v1, v1, v3, v2
	v_lshl_add_u64 v[0:1], v[0:1], 2, s[10:11]
	global_load_dword v0, v[0:1], off
	s_waitcnt vmcnt(0)
	v_sub_f32_e32 v0, s12, v0
	v_mul_f32_e32 v0, 0x3fb8aa3b, v0
	v_exp_f32_e32 v18, v0
.LBB371_59:
	s_or_b64 exec, exec, s[0:1]
	v_or_b32_e32 v10, 1, v21
	v_cmp_gt_i32_e64 s[0:1], s27, v10
	s_and_saveexec_b64 s[2:3], s[0:1]
	s_cbranch_execz .LBB371_61
; %bb.60:
	v_add_u32_e32 v0, s26, v10
	v_ashrrev_i32_e32 v1, 31, v0
	v_mul_lo_u32 v2, v1, s30
	v_mul_lo_u32 v3, v0, s31
	v_mad_u64_u32 v[0:1], s[4:5], v0, s30, 0
	v_add3_u32 v1, v1, v3, v2
	v_lshl_add_u64 v[0:1], v[0:1], 2, s[10:11]
	global_load_dword v0, v[0:1], off
	s_waitcnt vmcnt(0)
	v_sub_f32_e32 v0, s12, v0
	v_mul_f32_e32 v0, 0x3fb8aa3b, v0
	v_exp_f32_e32 v16, v0
.LBB371_61:
	s_or_b64 exec, exec, s[2:3]
	v_or_b32_e32 v12, 2, v21
	v_cmp_gt_i32_e64 s[2:3], s27, v12
	v_mov_b32_e32 v17, 0
	v_mov_b32_e32 v20, 0
	s_and_saveexec_b64 s[4:5], s[2:3]
	s_cbranch_execz .LBB371_63
; %bb.62:
	v_add_u32_e32 v0, s26, v12
	v_ashrrev_i32_e32 v1, 31, v0
	v_mul_lo_u32 v2, v1, s30
	v_mul_lo_u32 v3, v0, s31
	v_mad_u64_u32 v[0:1], s[6:7], v0, s30, 0
	v_add3_u32 v1, v1, v3, v2
	v_lshl_add_u64 v[0:1], v[0:1], 2, s[10:11]
	global_load_dword v0, v[0:1], off
	s_waitcnt vmcnt(0)
	v_sub_f32_e32 v0, s12, v0
	v_mul_f32_e32 v0, 0x3fb8aa3b, v0
	v_exp_f32_e32 v20, v0
.LBB371_63:
	s_or_b64 exec, exec, s[4:5]
	v_or_b32_e32 v14, 3, v21
	v_cmp_gt_i32_e64 s[4:5], s27, v14
	s_and_saveexec_b64 s[6:7], s[4:5]
	s_cbranch_execz .LBB371_65
; %bb.64:
	v_add_u32_e32 v0, s26, v14
	v_ashrrev_i32_e32 v1, 31, v0
	v_mul_lo_u32 v2, v1, s30
	v_mul_lo_u32 v3, v0, s31
	v_mad_u64_u32 v[0:1], s[14:15], v0, s30, 0
	v_add3_u32 v1, v1, v3, v2
	v_lshl_add_u64 v[0:1], v[0:1], 2, s[10:11]
	global_load_dword v0, v[0:1], off
	s_waitcnt vmcnt(0)
	v_sub_f32_e32 v0, s12, v0
	v_mul_f32_e32 v0, 0x3fb8aa3b, v0
	v_exp_f32_e32 v17, v0
.LBB371_65:
	s_or_b64 exec, exec, s[6:7]
	s_add_u32 s6, s8, s20
	s_addc_u32 s7, s9, s21
	s_add_u32 s8, s28, s20
	v_ashrrev_i32_e32 v51, 31, v50
	v_accvgpr_read_b32 v0, a4
	s_addc_u32 s9, s29, s21
	v_lshlrev_b64 v[4:5], 1, v[50:51]
	v_accvgpr_read_b32 v1, a5
	v_accvgpr_read_b32 v2, a6
	;; [unrolled: 1-line block ×3, first 2 shown]
	v_lshl_add_u64 v[6:7], s[6:7], 0, v[4:5]
	v_lshl_add_u64 v[4:5], s[8:9], 0, v[4:5]
	v_mov_b32_e32 v11, 0
	v_lshlrev_b32_e32 v8, 8, v21
	v_mov_b32_e32 v9, 0
	s_and_saveexec_b64 s[6:7], vcc
	s_cbranch_execz .LBB371_67
; %bb.66:
	v_mov_b32_e32 v9, 0
	v_lshl_add_u64 v[22:23], v[6:7], 0, v[8:9]
	global_load_ushort v13, v[22:23], off
	v_lshl_add_u64 v[22:23], v[4:5], 0, v[8:9]
	s_waitcnt vmcnt(0)
	v_lshlrev_b32_e32 v9, 16, v13
	v_sub_f32_e32 v0, v9, v0
	global_store_short_d16_hi v[22:23], v0, off
	v_mul_f32_e32 v0, v18, v0
	v_lshrrev_b32_e32 v9, 16, v0
.LBB371_67:
	s_or_b64 exec, exec, s[6:7]
	v_lshlrev_b32_e32 v10, 8, v10
	s_and_saveexec_b64 s[6:7], s[0:1]
	s_cbranch_execz .LBB371_69
; %bb.68:
	v_mov_b32_e32 v11, 0
	v_lshl_add_u64 v[22:23], v[6:7], 0, v[10:11]
	global_load_ushort v0, v[22:23], off
	v_lshl_add_u64 v[22:23], v[4:5], 0, v[10:11]
	s_waitcnt vmcnt(0)
	v_lshlrev_b32_e32 v0, 16, v0
	v_sub_f32_e32 v0, v0, v1
	global_store_short_d16_hi v[22:23], v0, off
	v_mul_f32_e32 v0, v16, v0
	v_lshrrev_b32_e32 v11, 16, v0
.LBB371_69:
	s_or_b64 exec, exec, s[6:7]
	v_mov_b32_e32 v15, 0
	v_lshlrev_b32_e32 v12, 8, v12
	v_mov_b32_e32 v13, 0
	s_and_saveexec_b64 s[6:7], s[2:3]
	s_cbranch_execz .LBB371_71
; %bb.70:
	v_mov_b32_e32 v13, 0
	v_lshl_add_u64 v[0:1], v[6:7], 0, v[12:13]
	global_load_ushort v22, v[0:1], off
	v_lshl_add_u64 v[0:1], v[4:5], 0, v[12:13]
	s_waitcnt vmcnt(0)
	v_lshlrev_b32_e32 v13, 16, v22
	v_sub_f32_e32 v2, v13, v2
	global_store_short_d16_hi v[0:1], v2, off
	v_mul_f32_e32 v0, v20, v2
	v_lshrrev_b32_e32 v13, 16, v0
.LBB371_71:
	s_or_b64 exec, exec, s[6:7]
	v_lshlrev_b32_e32 v14, 8, v14
	s_and_saveexec_b64 s[6:7], s[4:5]
	s_cbranch_execz .LBB371_73
; %bb.72:
	v_mov_b32_e32 v15, 0
	v_lshl_add_u64 v[0:1], v[6:7], 0, v[14:15]
	global_load_ushort v2, v[0:1], off
	v_lshl_add_u64 v[0:1], v[4:5], 0, v[14:15]
	s_waitcnt vmcnt(0)
	v_lshlrev_b32_e32 v2, 16, v2
	v_sub_f32_e32 v2, v2, v3
	global_store_short_d16_hi v[0:1], v2, off
	v_mul_f32_e32 v0, v17, v2
	v_lshrrev_b32_e32 v15, 16, v0
.LBB371_73:
	s_or_b64 exec, exec, s[6:7]
	v_lshlrev_b32_e32 v21, 5, v21
	s_mov_b32 s6, 0x5040100
	v_perm_b32 v22, v11, v9, s6
	v_or_b32_e32 v9, v21, v34
	v_accvgpr_read_b32 v0, a0
	v_perm_b32 v23, v15, v13, s6
	v_lshlrev_b32_e32 v9, 1, v9
	v_accvgpr_read_b32 v1, a1
	v_accvgpr_read_b32 v2, a2
	;; [unrolled: 1-line block ×3, first 2 shown]
	ds_write_b64 v9, v[22:23] offset:45056
	v_mov_b32_e32 v11, 0
	v_mov_b32_e32 v9, 0
	s_and_saveexec_b64 s[6:7], vcc
	s_cbranch_execz .LBB371_75
; %bb.74:
	v_mov_b32_e32 v9, 0
	v_lshl_add_u64 v[22:23], v[6:7], 0, v[8:9]
	global_load_ushort v13, v[22:23], off offset:32
	v_lshl_add_u64 v[8:9], v[4:5], 0, v[8:9]
	s_waitcnt vmcnt(0)
	v_lshlrev_b32_e32 v13, 16, v13
	v_sub_f32_e32 v0, v13, v0
	global_store_short_d16_hi v[8:9], v0, off offset:32
	v_mul_f32_e32 v0, v18, v0
	v_lshrrev_b32_e32 v9, 16, v0
.LBB371_75:
	s_or_b64 exec, exec, s[6:7]
	s_and_saveexec_b64 s[6:7], s[0:1]
	s_cbranch_execz .LBB371_77
; %bb.76:
	v_mov_b32_e32 v11, 0
	v_lshl_add_u64 v[22:23], v[6:7], 0, v[10:11]
	global_load_ushort v0, v[22:23], off offset:32
	v_lshl_add_u64 v[10:11], v[4:5], 0, v[10:11]
	s_waitcnt vmcnt(0)
	v_lshlrev_b32_e32 v0, 16, v0
	v_sub_f32_e32 v0, v0, v1
	global_store_short_d16_hi v[10:11], v0, off offset:32
	v_mul_f32_e32 v0, v16, v0
	v_lshrrev_b32_e32 v11, 16, v0
.LBB371_77:
	s_or_b64 exec, exec, s[6:7]
	v_mov_b32_e32 v0, 0
	v_mov_b32_e32 v1, 0
	s_and_saveexec_b64 s[0:1], s[2:3]
	s_cbranch_execz .LBB371_79
; %bb.78:
	v_mov_b32_e32 v13, 0
	v_lshl_add_u64 v[22:23], v[6:7], 0, v[12:13]
	global_load_ushort v1, v[22:23], off offset:32
	v_lshl_add_u64 v[12:13], v[4:5], 0, v[12:13]
	s_waitcnt vmcnt(0)
	v_lshlrev_b32_e32 v1, 16, v1
	v_sub_f32_e32 v1, v1, v2
	global_store_short_d16_hi v[12:13], v1, off offset:32
	v_mul_f32_e32 v1, v20, v1
	v_lshrrev_b32_e32 v1, 16, v1
.LBB371_79:
	s_or_b64 exec, exec, s[0:1]
	s_and_saveexec_b64 s[0:1], s[4:5]
	s_cbranch_execz .LBB371_81
; %bb.80:
	v_mov_b32_e32 v15, 0
	v_lshl_add_u64 v[6:7], v[6:7], 0, v[14:15]
	global_load_ushort v0, v[6:7], off offset:32
	v_lshl_add_u64 v[4:5], v[4:5], 0, v[14:15]
	s_waitcnt vmcnt(0)
	v_lshlrev_b32_e32 v0, 16, v0
	v_sub_f32_e32 v0, v0, v3
	global_store_short_d16_hi v[4:5], v0, off offset:32
	v_mul_f32_e32 v0, v17, v0
	v_lshrrev_b32_e32 v0, 16, v0
.LBB371_81:
	s_or_b64 exec, exec, s[0:1]
	s_mov_b32 s0, 0x5040100
	v_or_b32_e32 v2, v21, v19
	v_perm_b32 v1, v0, v1, s0
	v_perm_b32 v0, v11, v9, s0
	v_lshlrev_b32_e32 v2, 1, v2
	ds_write_b64 v2, v[0:1] offset:45056
	s_waitcnt lgkmcnt(0)
	s_barrier
.LBB371_82:
	s_endpgm
	.section	.rodata,"a",@progbits
	.p2align	6, 0x0
	.amdhsa_kernel _ZN12_GLOBAL__N_139chunk_gated_delta_rule_fwd_h_hip_kernelILi32ELb1ELb0ELb1ELb1ELb0ELb0ELb0ELb1EEEvPK12hip_bfloat16S3_S3_PKfS5_PKvPS1_S8_PvPKiSB_iiiiilll
		.amdhsa_group_segment_fixed_size 49152
		.amdhsa_private_segment_fixed_size 0
		.amdhsa_kernarg_size 136
		.amdhsa_user_sgpr_count 2
		.amdhsa_user_sgpr_dispatch_ptr 0
		.amdhsa_user_sgpr_queue_ptr 0
		.amdhsa_user_sgpr_kernarg_segment_ptr 1
		.amdhsa_user_sgpr_dispatch_id 0
		.amdhsa_user_sgpr_kernarg_preload_length 0
		.amdhsa_user_sgpr_kernarg_preload_offset 0
		.amdhsa_user_sgpr_private_segment_size 0
		.amdhsa_uses_dynamic_stack 0
		.amdhsa_enable_private_segment 0
		.amdhsa_system_sgpr_workgroup_id_x 1
		.amdhsa_system_sgpr_workgroup_id_y 1
		.amdhsa_system_sgpr_workgroup_id_z 0
		.amdhsa_system_sgpr_workgroup_info 0
		.amdhsa_system_vgpr_workitem_id 0
		.amdhsa_next_free_vgpr 152
		.amdhsa_next_free_sgpr 64
		.amdhsa_accum_offset 136
		.amdhsa_reserve_vcc 1
		.amdhsa_float_round_mode_32 0
		.amdhsa_float_round_mode_16_64 0
		.amdhsa_float_denorm_mode_32 3
		.amdhsa_float_denorm_mode_16_64 3
		.amdhsa_dx10_clamp 1
		.amdhsa_ieee_mode 1
		.amdhsa_fp16_overflow 0
		.amdhsa_tg_split 0
		.amdhsa_exception_fp_ieee_invalid_op 0
		.amdhsa_exception_fp_denorm_src 0
		.amdhsa_exception_fp_ieee_div_zero 0
		.amdhsa_exception_fp_ieee_overflow 0
		.amdhsa_exception_fp_ieee_underflow 0
		.amdhsa_exception_fp_ieee_inexact 0
		.amdhsa_exception_int_div_zero 0
	.end_amdhsa_kernel
	.section	.text._ZN12_GLOBAL__N_139chunk_gated_delta_rule_fwd_h_hip_kernelILi32ELb1ELb0ELb1ELb1ELb0ELb0ELb0ELb1EEEvPK12hip_bfloat16S3_S3_PKfS5_PKvPS1_S8_PvPKiSB_iiiiilll,"axG",@progbits,_ZN12_GLOBAL__N_139chunk_gated_delta_rule_fwd_h_hip_kernelILi32ELb1ELb0ELb1ELb1ELb0ELb0ELb0ELb1EEEvPK12hip_bfloat16S3_S3_PKfS5_PKvPS1_S8_PvPKiSB_iiiiilll,comdat
.Lfunc_end371:
	.size	_ZN12_GLOBAL__N_139chunk_gated_delta_rule_fwd_h_hip_kernelILi32ELb1ELb0ELb1ELb1ELb0ELb0ELb0ELb1EEEvPK12hip_bfloat16S3_S3_PKfS5_PKvPS1_S8_PvPKiSB_iiiiilll, .Lfunc_end371-_ZN12_GLOBAL__N_139chunk_gated_delta_rule_fwd_h_hip_kernelILi32ELb1ELb0ELb1ELb1ELb0ELb0ELb0ELb1EEEvPK12hip_bfloat16S3_S3_PKfS5_PKvPS1_S8_PvPKiSB_iiiiilll
                                        ; -- End function
	.section	.AMDGPU.csdata,"",@progbits
; Kernel info:
; codeLenInByte = 8720
; NumSgprs: 70
; NumVgprs: 134
; NumAgprs: 16
; TotalNumVgprs: 152
; ScratchSize: 0
; MemoryBound: 0
; FloatMode: 240
; IeeeMode: 1
; LDSByteSize: 49152 bytes/workgroup (compile time only)
; SGPRBlocks: 8
; VGPRBlocks: 18
; NumSGPRsForWavesPerEU: 70
; NumVGPRsForWavesPerEU: 152
; AccumOffset: 136
; Occupancy: 1
; WaveLimiterHint : 1
; COMPUTE_PGM_RSRC2:SCRATCH_EN: 0
; COMPUTE_PGM_RSRC2:USER_SGPR: 2
; COMPUTE_PGM_RSRC2:TRAP_HANDLER: 0
; COMPUTE_PGM_RSRC2:TGID_X_EN: 1
; COMPUTE_PGM_RSRC2:TGID_Y_EN: 1
; COMPUTE_PGM_RSRC2:TGID_Z_EN: 0
; COMPUTE_PGM_RSRC2:TIDIG_COMP_CNT: 0
; COMPUTE_PGM_RSRC3_GFX90A:ACCUM_OFFSET: 33
; COMPUTE_PGM_RSRC3_GFX90A:TG_SPLIT: 0
	.section	.text._ZN12_GLOBAL__N_139chunk_gated_delta_rule_fwd_h_hip_kernelILi32ELb1ELb0ELb0ELb1ELb0ELb0ELb0ELb1EEEvPK12hip_bfloat16S3_S3_PKfS5_PKvPS1_S8_PvPKiSB_iiiiilll,"axG",@progbits,_ZN12_GLOBAL__N_139chunk_gated_delta_rule_fwd_h_hip_kernelILi32ELb1ELb0ELb0ELb1ELb0ELb0ELb0ELb1EEEvPK12hip_bfloat16S3_S3_PKfS5_PKvPS1_S8_PvPKiSB_iiiiilll,comdat
	.globl	_ZN12_GLOBAL__N_139chunk_gated_delta_rule_fwd_h_hip_kernelILi32ELb1ELb0ELb0ELb1ELb0ELb0ELb0ELb1EEEvPK12hip_bfloat16S3_S3_PKfS5_PKvPS1_S8_PvPKiSB_iiiiilll ; -- Begin function _ZN12_GLOBAL__N_139chunk_gated_delta_rule_fwd_h_hip_kernelILi32ELb1ELb0ELb0ELb1ELb0ELb0ELb0ELb1EEEvPK12hip_bfloat16S3_S3_PKfS5_PKvPS1_S8_PvPKiSB_iiiiilll
	.p2align	8
	.type	_ZN12_GLOBAL__N_139chunk_gated_delta_rule_fwd_h_hip_kernelILi32ELb1ELb0ELb0ELb1ELb0ELb0ELb0ELb1EEEvPK12hip_bfloat16S3_S3_PKfS5_PKvPS1_S8_PvPKiSB_iiiiilll,@function
_ZN12_GLOBAL__N_139chunk_gated_delta_rule_fwd_h_hip_kernelILi32ELb1ELb0ELb0ELb1ELb0ELb0ELb0ELb1EEEvPK12hip_bfloat16S3_S3_PKfS5_PKvPS1_S8_PvPKiSB_iiiiilll: ; @_ZN12_GLOBAL__N_139chunk_gated_delta_rule_fwd_h_hip_kernelILi32ELb1ELb0ELb0ELb1ELb0ELb0ELb0ELb1EEEvPK12hip_bfloat16S3_S3_PKfS5_PKvPS1_S8_PvPKiSB_iiiiilll
; %bb.0:
	s_load_dwordx4 s[12:15], s[0:1], 0x5c
	s_load_dwordx4 s[20:23], s[0:1], 0x70
	s_abs_i32 s9, s3
	s_ashr_i32 s8, s3, 31
	s_load_dwordx4 s[4:7], s[0:1], 0x48
	s_waitcnt lgkmcnt(0)
	s_abs_i32 s10, s13
	v_cvt_f32_u32_e32 v1, s10
	s_sub_i32 s16, 0, s10
	s_ashr_i32 s11, s13, 31
	s_xor_b32 s8, s8, s11
	v_rcp_iflag_f32_e32 v1, v1
	v_and_b32_e32 v61, 15, v0
	v_lshrrev_b32_e32 v59, 6, v0
	v_bfe_u32 v60, v0, 4, 2
	v_mul_f32_e32 v1, 0x4f7ffffe, v1
	v_cvt_u32_f32_e32 v1, v1
	v_mov_b32_e32 v7, 0
	v_and_b32_e32 v58, 63, v0
	v_lshlrev_b32_e32 v62, 3, v0
	v_readfirstlane_b32 s17, v1
	s_mul_i32 s16, s16, s17
	s_mul_hi_u32 s16, s17, s16
	s_add_i32 s17, s17, s16
	s_mul_hi_u32 s16, s9, s17
	s_mul_i32 s17, s16, s10
	s_sub_i32 s9, s9, s17
	s_add_i32 s18, s16, 1
	s_sub_i32 s17, s9, s10
	s_cmp_ge_u32 s9, s10
	s_cselect_b32 s16, s18, s16
	s_cselect_b32 s9, s17, s9
	s_add_i32 s17, s16, 1
	s_cmp_ge_u32 s9, s10
	s_cselect_b32 s9, s17, s16
	s_load_dwordx4 s[16:19], s[0:1], 0x28
	s_xor_b32 s9, s9, s8
	s_sub_i32 s24, s9, s8
	s_mul_i32 s28, s24, s13
	s_ashr_i32 s25, s24, 31
	s_sub_i32 s45, s3, s28
	s_lshl_b64 s[8:9], s[24:25], 2
	s_add_u32 s4, s4, s8
	s_addc_u32 s5, s5, s9
	s_add_u32 s26, s6, s8
	s_addc_u32 s27, s7, s9
	s_abs_i32 s3, s14
	v_cvt_f32_u32_e32 v1, s3
	s_load_dwordx2 s[30:31], s[4:5], 0x0
	s_sub_i32 s5, 0, s3
	s_lshl_b32 s2, s2, 5
	v_rcp_iflag_f32_e32 v1, v1
	v_or_b32_e32 v50, s2, v61
	s_waitcnt lgkmcnt(0)
	s_sub_i32 s48, s31, s30
	s_ashr_i32 s4, s48, 31
	v_mul_f32_e32 v1, 0x4f7ffffe, v1
	v_cvt_u32_f32_e32 v1, v1
	s_lshr_b32 s4, s4, 26
	s_add_i32 s4, s48, s4
	s_ashr_i32 s46, s4, 6
	v_readfirstlane_b32 s6, v1
	s_mul_i32 s5, s5, s6
	s_mul_hi_u32 s5, s6, s5
	s_add_i32 s6, s6, s5
	s_mul_hi_u32 s5, s10, s6
	s_mul_i32 s6, s5, s3
	s_ashr_i32 s4, s14, 31
	s_sub_i32 s6, s10, s6
	s_xor_b32 s4, s11, s4
	s_add_i32 s7, s5, 1
	s_sub_i32 s8, s6, s3
	s_cmp_ge_u32 s6, s3
	s_cselect_b32 s5, s7, s5
	s_cselect_b32 s6, s8, s6
	s_add_i32 s7, s5, 1
	s_cmp_ge_u32 s6, s3
	s_cselect_b32 s3, s7, s5
	s_xor_b32 s3, s3, s4
	s_sub_i32 s3, s3, s4
	s_abs_i32 s4, s3
	v_cvt_f32_u32_e32 v1, s4
	s_sub_i32 s6, 0, s4
	s_abs_i32 s5, s45
	s_xor_b32 s3, s45, s3
	v_rcp_iflag_f32_e32 v1, v1
	s_ashr_i32 s3, s3, 31
	v_lshlrev_b32_e32 v2, 7, v50
	v_ashrrev_i32_e32 v3, 31, v2
	v_mul_f32_e32 v1, 0x4f7ffffe, v1
	v_cvt_u32_f32_e32 v1, v1
	v_lshrrev_b32_e32 v63, 3, v58
	s_mul_i32 s33, s24, s21
	s_mul_hi_u32 s40, s24, s20
	v_readfirstlane_b32 s7, v1
	s_mul_i32 s6, s6, s7
	s_mul_hi_u32 s6, s7, s6
	s_add_i32 s7, s7, s6
	s_mul_hi_u32 s6, s5, s7
	s_mul_i32 s7, s6, s4
	s_sub_i32 s5, s5, s7
	s_add_i32 s7, s6, 1
	s_sub_i32 s8, s5, s4
	s_cmp_ge_u32 s5, s4
	s_cselect_b32 s6, s7, s6
	s_cselect_b32 s5, s8, s5
	s_add_i32 s7, s6, 1
	s_cmp_ge_u32 s5, s4
	s_cselect_b32 s4, s7, s6
	s_xor_b32 s4, s4, s3
	s_sub_i32 s49, s4, s3
	s_ashr_i32 s47, s45, 31
	s_mul_hi_i32 s3, s24, s13
	s_add_u32 s4, s28, s45
	s_addc_u32 s5, s3, s47
	s_lshl_b64 s[4:5], s[4:5], 15
	s_add_u32 s4, s16, s4
	s_addc_u32 s5, s17, s5
	v_lshlrev_b32_e32 v1, 4, v59
	v_lshl_add_u64 v[4:5], v[2:3], 1, s[4:5]
	v_or_b32_e32 v2, 0x800, v2
	v_lshl_or_b32 v64, v60, 2, v1
	v_ashrrev_i32_e32 v3, 31, v2
	v_lshlrev_b32_e32 v6, 1, v64
	v_lshl_add_u64 v[2:3], v[2:3], 1, s[4:5]
	v_lshl_add_u64 v[4:5], v[4:5], 0, v[6:7]
	;; [unrolled: 1-line block ×3, first 2 shown]
	global_load_dwordx2 v[8:9], v[4:5], off
	v_or_b32_e32 v65, 64, v64
	global_load_dwordx2 v[4:5], v[4:5], off offset:128
	s_nop 0
	global_load_dwordx2 v[6:7], v[2:3], off
	global_load_dwordx2 v[10:11], v[2:3], off offset:128
	s_load_dwordx8 s[4:11], s[0:1], 0x0
	s_load_dwordx2 s[28:29], s[0:1], 0x80
	s_load_dword s52, s[26:27], 0x0
	s_mul_i32 s34, s24, s20
	s_mul_i32 s41, s25, s20
	s_mul_hi_i32 s50, s45, s12
	s_mul_i32 s51, s45, s12
	s_mul_i32 s42, s45, s23
	s_mul_hi_u32 s43, s45, s22
	s_mul_i32 s44, s47, s22
	s_cmp_lt_i32 s48, 64
	s_mul_i32 s36, s45, s22
	s_waitcnt vmcnt(3)
	v_and_b32_e32 v19, 0xffff0000, v8
	v_lshlrev_b32_e32 v18, 16, v8
	v_and_b32_e32 v21, 0xffff0000, v9
	v_lshlrev_b32_e32 v20, 16, v9
	s_waitcnt vmcnt(2)
	v_and_b32_e32 v23, 0xffff0000, v4
	v_lshlrev_b32_e32 v22, 16, v4
	v_and_b32_e32 v25, 0xffff0000, v5
	v_lshlrev_b32_e32 v24, 16, v5
	;; [unrolled: 5-line block ×4, first 2 shown]
	s_cbranch_scc1 .LBB372_17
; %bb.1:
	s_ashr_i32 s1, s30, 31
	s_add_u32 s0, s51, s30
	s_addc_u32 s1, s50, s1
	s_lshl_b64 s[0:1], s[0:1], 8
	v_and_b32_e32 v67, 56, v62
	s_waitcnt lgkmcnt(0)
	s_add_u32 s20, s6, s0
	v_lshl_or_b32 v66, v59, 3, v63
	v_lshlrev_b32_e32 v2, 1, v67
	s_addc_u32 s0, s7, s1
	v_lshl_or_b32 v68, v66, 8, v2
	s_and_b32 s21, s0, 0xffff
	s_mov_b32 s23, 0x20000
	s_movk_i32 s22, 0x4000
	s_movk_i32 s0, 0x80
	v_or_b32_e32 v69, 0x2000, v68
	buffer_load_dwordx4 v[4:7], v68, s[20:23], 0 offen
	buffer_load_dwordx4 v[8:11], v68, s[20:23], s0 offen
	;; [unrolled: 1-line block ×4, first 2 shown]
	v_lshlrev_b32_e32 v3, 3, v66
	v_and_or_b32 v17, v0, 7, v3
	v_and_b32_e32 v3, 0x78, v3
	v_lshlrev_b32_e32 v17, 4, v17
	v_xor_b32_e32 v70, v17, v3
	v_mul_lo_u32 v16, v66, s15
	v_or_b32_e32 v71, 0x1000, v70
	v_xor_b32_e32 v3, 8, v70
	s_cmpk_eq_i32 s15, 0x80
	s_mov_b32 s53, s30
	v_xor_b32_e32 v17, 8, v71
	s_cselect_b64 s[0:1], -1, 0
	s_cmpk_lg_i32 s15, 0x80
	s_waitcnt vmcnt(3)
	ds_write_b64 v70, v[4:5] offset:24576
	ds_write_b64 v3, v[6:7] offset:24576
	s_waitcnt vmcnt(2)
	ds_write_b64 v70, v[8:9] offset:32768
	ds_write_b64 v3, v[10:11] offset:32768
	;; [unrolled: 3-line block ×4, first 2 shown]
	v_lshl_add_u32 v3, v16, 1, v67
	s_cbranch_scc0 .LBB372_3
; %bb.2:
	v_lshlrev_b32_e32 v5, 1, v3
	v_add_lshl_u32 v4, v3, s15, 1
	s_lshl_b32 s22, s15, 7
	v_lshl_or_b32 v2, v66, 9, v2
	s_cbranch_execz .LBB372_4
	s_branch .LBB372_5
.LBB372_3:
                                        ; implicit-def: $vgpr4
                                        ; implicit-def: $vgpr5
                                        ; implicit-def: $sgpr22
	v_lshl_or_b32 v2, v66, 9, v2
.LBB372_4:
	v_or_b32_e32 v4, 0x100, v2
	s_movk_i32 s22, 0x4000
	v_mov_b32_e32 v5, v2
.LBB372_5:
	s_mul_i32 s16, s30, s14
	s_ashr_i32 s54, s49, 31
	s_mul_hi_i32 s3, s30, s14
	s_add_u32 s16, s16, s49
	s_addc_u32 s17, s3, s54
	s_lshl_b64 s[16:17], s[16:17], 8
	s_add_u32 s20, s4, s16
	s_addc_u32 s3, s5, s17
	s_and_b32 s21, s3, 0xffff
	s_movk_i32 s55, 0x80
	buffer_load_dwordx4 v[6:9], v5, s[20:23], 0 offen
	buffer_load_dwordx4 v[10:13], v5, s[20:23], s55 offen
	buffer_load_dwordx4 v[14:17], v4, s[20:23], 0 offen
	buffer_load_dwordx4 v[34:37], v4, s[20:23], s55 offen
	v_and_b32_e32 v4, 6, v0
	v_lshlrev_b32_e32 v39, 6, v64
	v_or_b32_e32 v41, 16, v61
	v_xor_b32_e32 v42, v66, v4
	v_and_b32_e32 v5, 1, v0
	v_lshl_or_b32 v45, v61, 3, v39
	v_lshl_or_b32 v39, v41, 3, v39
	v_lshlrev_b32_e32 v42, 2, v42
	v_lshlrev_b32_e32 v38, 2, v61
	v_or_b32_e32 v74, 0xa000, v39
	v_or_b32_e32 v75, 0xb000, v39
	v_xor_b32_e32 v39, 0x440, v42
	v_cmp_eq_u32_e32 vcc, 0, v5
	s_add_i32 s3, s40, s33
	v_xor_b32_e32 v43, v64, v38
	v_xor_b32_e32 v44, v65, v38
	v_cndmask_b32_e32 v5, v39, v42, vcc
	s_add_i32 s16, s43, s42
	s_add_i32 s35, s3, s41
	s_mov_b32 s56, 0x1000504
	v_lshlrev_b32_e32 v40, 8, v61
	v_lshlrev_b32_e32 v41, 8, v41
	;; [unrolled: 1-line block ×4, first 2 shown]
	v_lshl_or_b32 v4, v4, 10, v5
	s_add_i32 s37, s16, s44
	s_lshl_b64 s[16:17], s[34:35], 2
	s_mov_b32 s57, 0x3020706
	v_or_b32_e32 v72, 0xa000, v45
	v_or_b32_e32 v73, 0xb000, v45
	;; [unrolled: 1-line block ×5, first 2 shown]
	v_xor_b32_e32 v5, 8, v4
	v_xor_b32_e32 v40, 24, v4
	;; [unrolled: 1-line block ×4, first 2 shown]
	s_add_u32 s3, s10, s16
	v_or_b32_e32 v78, v41, v43
	v_xor_b32_e32 v39, 16, v4
	v_xor_b32_e32 v41, 32, v4
	v_xor_b32_e32 v43, 48, v4
	v_add_u32_e32 v5, 0x80, v5
	v_add_u32_e32 v40, 0x80, v40
	;; [unrolled: 1-line block ×4, first 2 shown]
	s_addc_u32 s20, s11, s17
	s_lshl_b64 s[16:17], s[36:37], 2
	s_add_u32 s16, s3, s16
	s_movk_i32 s3, 0xf8
	s_addc_u32 s17, s20, s17
	s_lshl_b32 s26, s15, 7
	s_movk_i32 s24, 0x100
	v_mov_b32_e32 v53, 0
	v_lshlrev_b32_e32 v52, 4, v61
	v_cmp_gt_u32_e32 vcc, s24, v0
	v_ashrrev_i32_e32 v51, 31, v50
	v_lshl_add_u64 v[54:55], v[50:51], 1, s[8:9]
	s_mov_b32 s58, 0
	s_movk_i32 s35, 0x1000
	s_movk_i32 s22, 0x4000
	v_mov_b32_e32 v100, 0x3fb8aa3b
	s_waitcnt vmcnt(1)
	v_perm_b32 v45, v6, v14, s56
	s_waitcnt vmcnt(0)
	v_perm_b32 v46, v10, v34, s56
	v_perm_b32 v6, v6, v14, s57
	;; [unrolled: 1-line block ×15, first 2 shown]
	ds_write2st64_b32 v4, v45, v46 offset0:32 offset1:64
	ds_write2st64_b32 v5, v6, v10 offset0:32 offset1:64
	;; [unrolled: 1-line block ×8, first 2 shown]
	v_or_b32_e32 v4, v1, v61
	v_lshlrev_b32_e32 v4, 3, v4
	v_lshrrev_b32_e32 v7, 5, v58
	v_and_or_b32 v7, v4, s3, v7
	v_lshlrev_b32_e32 v7, 4, v7
	v_lshlrev_b32_e32 v5, 11, v59
	v_and_b32_e32 v4, 0x78, v4
	v_or_b32_e32 v12, 32, v7
	v_and_b32_e32 v6, 0x1000, v5
	v_lshrrev_b32_e32 v9, 1, v0
	v_xor_b32_e32 v12, v12, v4
	v_and_b32_e32 v10, 8, v9
	v_or_b32_e32 v12, v12, v6
	v_xor_b32_e32 v8, v7, v4
	v_xor_b32_e32 v82, v12, v10
	v_or_b32_e32 v12, 64, v7
	v_or_b32_e32 v7, 0x60, v7
	s_ashr_i32 s3, s2, 31
	v_xor_b32_e32 v12, v12, v4
	v_xor_b32_e32 v4, v7, v4
	s_lshl_b64 s[20:21], s[2:3], 8
	v_or_b32_e32 v8, v8, v6
	v_or_b32_e32 v12, v12, v6
	;; [unrolled: 1-line block ×3, first 2 shown]
	s_add_u32 s20, s18, s20
	v_lshlrev_b32_e32 v6, 1, v61
	v_xor_b32_e32 v84, v12, v10
	v_lshrrev_b32_e32 v12, 4, v0
	s_addc_u32 s21, s19, s21
	v_or_b32_e32 v7, 1, v6
	v_mov_b32_e32 v16, 0x4000
	v_mov_b32_e32 v17, 0x2000
	v_xor_b32_e32 v13, v12, v6
	v_xor_b32_e32 v14, v7, v12
	v_lshl_add_u64 v[6:7], s[20:21], 0, v[52:53]
	v_lshlrev_b32_e32 v52, 8, v12
	v_cndmask_b32_e32 v16, v16, v17, vcc
	v_lshlrev_b32_e32 v17, 3, v59
	v_and_b32_e32 v9, 24, v9
	v_lshl_or_b32 v88, v13, 3, v52
	v_and_b32_e32 v13, 8, v0
	v_xor_b32_e32 v34, v17, v9
	v_or_b32_e32 v35, 0x440, v34
	v_cmp_eq_u32_e32 vcc, 0, v13
	v_and_b32_e32 v12, 7, v0
	v_xor_b32_e32 v80, v8, v10
	v_cndmask_b32_e32 v13, v35, v34, vcc
	v_lshlrev_b32_e32 v8, 7, v60
	v_lshl_or_b32 v89, v14, 3, v52
	v_lshlrev_b32_e32 v14, 3, v12
	v_lshlrev_b32_e32 v12, 7, v12
	;; [unrolled: 1-line block ×3, first 2 shown]
	v_or_b32_e32 v13, v13, v5
	v_or_b32_e32 v11, v8, v38
	v_xad_u32 v90, v13, v14, v12
	v_and_or_b32 v8, v15, 60, v8
	v_mov_b32_e32 v13, 0xb000
	v_lshl_or_b32 v91, v8, 1, v13
	v_or_b32_e32 v8, 32, v9
	v_xor_b32_e32 v8, v17, v8
	v_or_b32_e32 v13, 0x440, v8
	v_cndmask_b32_e32 v8, v13, v8, vcc
	v_or_b32_e32 v8, v8, v5
	v_xad_u32 v92, v8, v14, v12
	v_or_b32_e32 v8, 64, v9
	v_xor_b32_e32 v8, v17, v8
	v_xor_b32_e32 v13, 0x440, v8
	v_cndmask_b32_e32 v8, v13, v8, vcc
	v_or_b32_e32 v8, v8, v5
	v_xad_u32 v93, v8, v14, v12
	v_or_b32_e32 v8, 0x60, v9
	v_xor_b32_e32 v8, v17, v8
	v_xor_b32_e32 v9, 0x440, v8
	v_cndmask_b32_e32 v8, v9, v8, vcc
	v_lshlrev_b32_e32 v11, 1, v11
	v_or_b32_e32 v5, v8, v5
	v_or_b32_e32 v81, 0xa000, v11
	;; [unrolled: 1-line block ×3, first 2 shown]
	v_xor_b32_e32 v85, v4, v10
	v_or_b32_e32 v86, 0xb000, v11
	v_or_b32_e32 v87, 0xb080, v11
	v_lshlrev_b32_e32 v4, 7, v64
	v_lshlrev_b32_e32 v10, 1, v3
	v_add_lshl_u32 v3, v3, s15, 1
	v_or_b32_e32 v11, 0x100, v2
	v_xad_u32 v94, v5, v14, v12
	v_cndmask_b32_e64 v95, v10, v2, s[0:1]
	v_cndmask_b32_e64 v96, v3, v11, s[0:1]
	v_lshl_add_u64 v[56:57], v[6:7], 0, v[52:53]
	v_lshlrev_b32_e32 v52, 1, v4
	v_add_u32_e32 v51, v16, v90
	v_add_u32_e32 v97, v16, v92
	;; [unrolled: 1-line block ×4, first 2 shown]
	v_mov_b64_e32 v[2:3], v[18:19]
	s_mov_b32 s3, 0x7060302
	v_mov_b64_e32 v[4:5], v[20:21]
	v_mov_b64_e32 v[6:7], v[22:23]
	;; [unrolled: 1-line block ×7, first 2 shown]
	s_waitcnt lgkmcnt(0)
	s_barrier
	s_branch .LBB372_7
.LBB372_6:                              ;   in Loop: Header=BB372_7 Depth=1
	v_mul_f32_e32 v22, s20, v100
	s_waitcnt vmcnt(2)
	v_exp_f32_e32 v34, v22
	v_accvgpr_read_b32 v21, a7
	v_accvgpr_read_b32 v19, a5
	;; [unrolled: 1-line block ×16, first 2 shown]
	v_fma_f32 v18, v2, v34, v18
	v_fma_f32 v19, v3, v34, v19
	v_fma_f32 v20, v4, v34, v20
	v_fmac_f32_e32 v21, v5, v34
	v_fma_f32 v26, v10, v34, v26
	v_fma_f32 v27, v11, v34, v27
	v_fma_f32 v28, v12, v34, v28
	v_fmac_f32_e32 v29, v13, v34
	;; [unrolled: 4-line block ×4, first 2 shown]
	s_add_i32 s53, s53, 64
	v_mov_b64_e32 v[2:3], v[18:19]
	s_cmp_eq_u32 s46, s37
	s_mov_b32 s58, s37
	v_mov_b64_e32 v[4:5], v[20:21]
	v_mov_b64_e32 v[6:7], v[22:23]
	;; [unrolled: 1-line block ×7, first 2 shown]
	s_cbranch_scc1 .LBB372_17
.LBB372_7:                              ; =>This Inner Loop Header: Depth=1
	s_add_i32 s37, s58, 1
	s_cmp_lt_i32 s37, s46
	s_mov_b64 s[24:25], 0
	s_cselect_b64 s[38:39], -1, 0
	s_cmp_ge_i32 s37, s46
	s_mov_b64 s[20:21], 0
	s_cbranch_scc1 .LBB372_9
; %bb.8:                                ;   in Loop: Header=BB372_7 Depth=1
	s_add_i32 s0, s53, 64
	s_ashr_i32 s1, s0, 31
	s_add_u32 s0, s51, s0
	s_addc_u32 s1, s50, s1
	s_lshl_b64 s[0:1], s[0:1], 8
	s_add_u32 s20, s6, s0
	s_addc_u32 s21, s7, s1
.LBB372_9:                              ;   in Loop: Header=BB372_7 Depth=1
	v_cndmask_b32_e64 v18, 0, 1, s[38:39]
	v_cmp_ne_u32_e64 s[0:1], 1, v18
	s_andn2_b64 vcc, exec, s[38:39]
	s_cbranch_vccnz .LBB372_11
; %bb.10:                               ;   in Loop: Header=BB372_7 Depth=1
	s_add_i32 s24, s53, 64
	s_mul_hi_i32 s25, s24, s14
	s_mul_i32 s24, s24, s14
	s_add_u32 s24, s24, s49
	s_addc_u32 s25, s25, s54
	s_lshl_b64 s[24:25], s[24:25], 8
	s_add_u32 s24, s4, s24
	s_addc_u32 s25, s5, s25
.LBB372_11:                             ;   in Loop: Header=BB372_7 Depth=1
	v_perm_b32 v19, v5, v4, s3
	v_perm_b32 v18, v3, v2, s3
	;; [unrolled: 1-line block ×4, first 2 shown]
	ds_write_b64 v72, v[18:19]
	ds_write_b64 v73, v[20:21]
	;; [unrolled: 1-line block ×4, first 2 shown]
	v_perm_b32 v19, v13, v12, s3
	v_perm_b32 v18, v11, v10, s3
	;; [unrolled: 1-line block ×4, first 2 shown]
	ds_write_b64 v74, v[18:19]
	ds_write_b64 v75, v[20:21]
	;; [unrolled: 1-line block ×4, first 2 shown]
	s_waitcnt lgkmcnt(0)
	s_barrier
	ds_read_b64 v[22:23], v80 offset:24576
	ds_read2_b64 v[18:21], v81 offset1:16
	ds_read_b64 v[26:27], v83 offset:3072
	ds_read_b64 v[28:29], v81 offset:3072
	;; [unrolled: 1-line block ×3, first 2 shown]
	s_waitcnt lgkmcnt(3)
	v_mfma_f32_16x16x16_bf16 a[0:3], v[22:23], v[18:19], 0
	s_add_i32 s27, s53, 63
	s_ashr_i32 s38, s27, 31
	s_mul_i32 s39, s27, s29
	v_mfma_f32_16x16x16_bf16 a[4:7], v[22:23], v[20:21], 0
	ds_read2st64_b64 v[18:21], v81 offset0:2 offset1:4
	s_mul_hi_u32 s59, s27, s28
	s_add_i32 s39, s59, s39
	s_waitcnt lgkmcnt(0)
	v_mfma_f32_16x16x16_bf16 a[0:3], v[30:31], v[18:19], a[0:3]
	ds_read2st64_b64 v[22:25], v83 offset0:2 offset1:4
	ds_read_b64 v[18:19], v84 offset:24576
	s_mul_i32 s38, s38, s28
	s_add_i32 s39, s39, s38
	s_waitcnt lgkmcnt(1)
	v_mfma_f32_16x16x16_bf16 a[4:7], v[30:31], v[22:23], a[4:7]
	ds_read_b64 v[22:23], v85 offset:24576
	s_mul_i32 s38, s27, s28
	s_lshl_b64 s[38:39], s[38:39], 2
	s_waitcnt lgkmcnt(1)
	v_mfma_f32_16x16x16_bf16 a[0:3], v[18:19], v[20:21], a[0:3]
	s_add_u32 s38, s16, s38
	s_addc_u32 s39, s17, s39
	s_and_b64 vcc, exec, s[0:1]
	v_mfma_f32_16x16x16_bf16 a[4:7], v[18:19], v[24:25], a[4:7]
	v_mov_b32_e32 v103, 0
	v_mov_b32_e32 v102, 0
	;; [unrolled: 1-line block ×3, first 2 shown]
	s_waitcnt lgkmcnt(0)
	v_mfma_f32_16x16x16_bf16 a[0:3], v[22:23], v[28:29], a[0:3]
	v_mov_b32_e32 v18, 0
	v_mov_b32_e32 v19, 0
	;; [unrolled: 1-line block ×3, first 2 shown]
	v_mfma_f32_16x16x16_bf16 a[4:7], v[22:23], v[26:27], a[4:7]
	v_mov_b32_e32 v21, 0
	v_mov_b32_e32 v22, 0
	;; [unrolled: 1-line block ×13, first 2 shown]
	s_cbranch_vccnz .LBB372_13
; %bb.12:                               ;   in Loop: Header=BB372_7 Depth=1
	s_and_b32 s21, s21, 0xffff
	buffer_load_dwordx4 v[30:33], v68, s[20:23], 0 offen
	buffer_load_dwordx4 v[26:29], v68, s[20:23], s55 offen
	;; [unrolled: 1-line block ×4, first 2 shown]
	v_mov_b32_e32 v102, v70
	v_mov_b32_e32 v101, v71
.LBB372_13:                             ;   in Loop: Header=BB372_7 Depth=1
	ds_read_b64 v[38:39], v80 offset:32768
	ds_read2_b64 v[34:37], v86 offset1:16
	ds_read_b64 v[42:43], v82 offset:32768
	ds_read_b64 v[44:45], v84 offset:32768
	;; [unrolled: 1-line block ×3, first 2 shown]
	v_add_u32_e32 v48, s53, v64
	s_waitcnt lgkmcnt(3)
	v_mfma_f32_16x16x16_bf16 a[0:3], v[38:39], v[34:35], a[0:3]
	v_mul_lo_u32 v49, v48, s29
	v_mfma_f32_16x16x16_bf16 a[4:7], v[38:39], v[36:37], a[4:7]
	ds_read2st64_b64 v[34:37], v86 offset0:2 offset1:4
	ds_read2st64_b64 v[38:41], v87 offset0:2 offset1:4
	s_waitcnt lgkmcnt(1)
	v_mfma_f32_16x16x16_bf16 a[0:3], v[42:43], v[34:35], a[0:3]
	v_ashrrev_i32_e32 v34, 31, v48
	v_mul_lo_u32 v104, v34, s28
	v_mad_u64_u32 v[34:35], s[20:21], v48, s28, 0
	v_mfma_f32_16x16x16_bf16 a[0:3], v[44:45], v[36:37], a[0:3]
	v_add_u32_e32 v36, 1, v48
	v_ashrrev_i32_e32 v37, 31, v36
	v_add3_u32 v35, v35, v49, v104
	s_waitcnt lgkmcnt(0)
	v_mfma_f32_16x16x16_bf16 a[4:7], v[42:43], v[38:39], a[4:7]
	v_mul_lo_u32 v38, v37, s28
	v_mul_lo_u32 v39, v36, s29
	v_mad_u64_u32 v[36:37], s[20:21], v36, s28, 0
	v_add3_u32 v37, v37, v39, v38
	v_add_u32_e32 v38, 2, v48
	v_ashrrev_i32_e32 v39, 31, v38
	v_mul_lo_u32 v42, v39, s28
	v_mul_lo_u32 v43, v38, s29
	v_mad_u64_u32 v[38:39], s[20:21], v38, s28, 0
	v_add3_u32 v39, v39, v43, v42
	v_add_u32_e32 v42, 3, v48
	v_ashrrev_i32_e32 v43, 31, v42
	v_mul_lo_u32 v48, v43, s28
	v_mul_lo_u32 v49, v42, s29
	v_mad_u64_u32 v[42:43], s[20:21], v42, s28, 0
	v_add3_u32 v43, v43, v49, v48
	s_ashr_i32 s21, s53, 31
	v_lshl_add_u64 v[34:35], v[34:35], 2, s[16:17]
	v_lshl_add_u64 v[42:43], v[42:43], 2, s[16:17]
	s_add_u32 s20, s51, s53
	v_lshl_add_u64 v[36:37], v[36:37], 2, s[16:17]
	v_lshl_add_u64 v[38:39], v[38:39], 2, s[16:17]
	global_load_dword v48, v[34:35], off
	global_load_dword v49, v[36:37], off
	;; [unrolled: 1-line block ×3, first 2 shown]
	s_nop 0
	global_load_dword v42, v[42:43], off
	s_addc_u32 s21, s50, s21
	s_lshl_b64 s[20:21], s[20:21], 8
	v_lshl_add_u64 v[34:35], v[54:55], 0, s[20:21]
	v_lshl_add_u64 v[34:35], v[34:35], 0, v[52:53]
	global_load_ushort v43, v[34:35], off offset:256
	global_load_ushort v105, v[34:35], off
	global_load_ushort v106, v[34:35], off offset:768
	global_load_ushort v107, v[34:35], off offset:512
	ds_read_b64 v[36:37], v86 offset:3072
	ds_read_b64 v[38:39], v87 offset:3072
	global_load_ushort v108, v[34:35], off offset:800
	global_load_ushort v109, v[34:35], off offset:544
	;; [unrolled: 1-line block ×4, first 2 shown]
	s_load_dword s20, s[38:39], 0x0
	v_mfma_f32_16x16x16_bf16 a[4:7], v[44:45], v[40:41], a[4:7]
	s_and_b64 vcc, exec, s[0:1]
	s_waitcnt vmcnt(11) lgkmcnt(0)
	v_sub_f32_e32 v40, s20, v48
	v_mfma_f32_16x16x16_bf16 a[0:3], v[46:47], v[36:37], a[0:3]
	s_waitcnt vmcnt(10)
	v_sub_f32_e32 v45, s20, v49
	v_mul_f32_e32 v44, 0x3fb8aa3b, v40
	v_mul_f32_e32 v45, 0x3fb8aa3b, v45
	v_mfma_f32_16x16x16_bf16 a[4:7], v[46:47], v[38:39], a[4:7]
	s_waitcnt vmcnt(9)
	v_sub_f32_e32 v46, s20, v104
	s_waitcnt vmcnt(8)
	v_sub_f32_e32 v47, s20, v42
	v_mul_f32_e32 v46, 0x3fb8aa3b, v46
	v_mul_f32_e32 v47, 0x3fb8aa3b, v47
	v_exp_f32_e32 v44, v44
	v_exp_f32_e32 v45, v45
	;; [unrolled: 1-line block ×4, first 2 shown]
	v_accvgpr_read_b32 v39, a1
	v_accvgpr_read_b32 v35, a3
	;; [unrolled: 1-line block ×4, first 2 shown]
	s_waitcnt vmcnt(7)
	v_lshlrev_b32_e32 v41, 16, v43
	s_waitcnt vmcnt(6)
	v_lshlrev_b32_e32 v40, 16, v105
	;; [unrolled: 2-line block ×4, first 2 shown]
	v_pk_add_f32 v[38:39], v[40:41], v[38:39] neg_lo:[0,1] neg_hi:[0,1]
	v_pk_add_f32 v[34:35], v[42:43], v[34:35] neg_lo:[0,1] neg_hi:[0,1]
	v_pk_mul_f32 v[38:39], v[44:45], v[38:39]
	v_pk_mul_f32 v[34:35], v[46:47], v[34:35]
	v_accvgpr_read_b32 v41, a5
	v_perm_b32 v35, v35, v34, s3
	v_perm_b32 v34, v39, v38, s3
	s_waitcnt vmcnt(1)
	v_lshlrev_b32_e32 v39, 16, v110
	s_waitcnt vmcnt(0)
	v_lshlrev_b32_e32 v38, 16, v111
	v_accvgpr_read_b32 v40, a4
	v_accvgpr_read_b32 v37, a7
	;; [unrolled: 1-line block ×3, first 2 shown]
	v_pk_add_f32 v[38:39], v[38:39], v[40:41] neg_lo:[0,1] neg_hi:[0,1]
	v_lshlrev_b32_e32 v41, 16, v108
	v_lshlrev_b32_e32 v40, 16, v109
	v_pk_add_f32 v[36:37], v[40:41], v[36:37] neg_lo:[0,1] neg_hi:[0,1]
	v_pk_mul_f32 v[38:39], v[44:45], v[38:39]
	v_pk_mul_f32 v[36:37], v[46:47], v[36:37]
	v_mov_b32_e32 v104, 0
	v_perm_b32 v37, v37, v36, s3
	v_perm_b32 v36, v39, v38, s3
	ds_write2_b64 v73, v[34:35], v[36:37] offset1:16
	v_mov_b32_e32 v34, 0
	v_mov_b32_e32 v35, 0
	;; [unrolled: 1-line block ×16, first 2 shown]
	s_cbranch_vccnz .LBB372_15
; %bb.14:                               ;   in Loop: Header=BB372_7 Depth=1
	s_and_b32 s25, s25, 0xffff
	s_mov_b32 s27, s23
	buffer_load_dwordx4 v[46:49], v95, s[24:27], 0 offen
	buffer_load_dwordx4 v[38:41], v95, s[24:27], s55 offen
	;; [unrolled: 1-line block ×4, first 2 shown]
	v_mov_b32_e32 v103, v67
	v_mov_b32_e32 v104, v66
.LBB372_15:                             ;   in Loop: Header=BB372_7 Depth=1
	s_waitcnt lgkmcnt(0)
	s_barrier
	ds_read_b64 v[110:111], v51
	ds_read_b64 v[118:119], v91
	;; [unrolled: 1-line block ×5, first 2 shown]
	ds_read_b64 v[124:125], v92 offset:16384
	ds_read_b64 v[126:127], v90 offset:16384
	ds_read2_b64 v[106:109], v86 offset0:16 offset1:128
	s_waitcnt lgkmcnt(6)
	v_mfma_f32_16x16x16_bf16 a[0:3], v[110:111], v[118:119], 0
	ds_read_b64 v[128:129], v87 offset:3072
	ds_read_b64 v[130:131], v94 offset:16384
	s_add_i32 s21, s52, s58
	s_waitcnt lgkmcnt(2)
	v_mfma_f32_16x16x16_bf16 a[4:7], v[110:111], v[106:107], 0
	ds_read2st64_b64 v[110:113], v87 offset0:2 offset1:4
	s_mul_hi_i32 s25, s21, s13
	s_mul_i32 s21, s21, s13
	v_mfma_f32_16x16x16_bf16 a[0:3], v[114:115], v[108:109], a[0:3]
	s_add_u32 s24, s21, s45
	s_addc_u32 s25, s25, s47
	s_lshl_b64 s[24:25], s[24:25], 15
	s_waitcnt lgkmcnt(0)
	v_mfma_f32_16x16x16_bf16 a[4:7], v[114:115], v[110:111], a[4:7]
	ds_read2st64_b64 v[114:117], v86 offset0:4 offset1:6
	s_waitcnt lgkmcnt(0)
	v_mfma_f32_16x16x16_bf16 a[0:3], v[120:121], v[114:115], a[0:3]
	v_mfma_f32_16x16x16_bf16 a[8:11], v[120:121], v[112:113], a[4:7]
	;; [unrolled: 1-line block ×5, first 2 shown]
	ds_read2st64_b64 v[118:121], v89 offset1:8
	v_mfma_f32_16x16x16_bf16 a[12:15], v[126:127], v[106:107], 0
	ds_read_b64 v[126:127], v93 offset:16384
	v_mfma_f32_16x16x16_bf16 a[8:11], v[124:125], v[108:109], a[8:11]
	ds_read2st64_b64 v[106:109], v88 offset1:8
	s_waitcnt lgkmcnt(0)
	v_mov_b32_e32 v122, v106
	v_mfma_f32_16x16x16_bf16 a[12:15], v[124:125], v[110:111], a[12:15]
	v_lshl_add_u64 v[110:111], v[56:57], 0, s[24:25]
	v_add_co_u32_e32 v106, vcc, s35, v110
	v_mfma_f32_16x16x16_bf16 a[8:11], v[126:127], v[114:115], a[8:11]
	v_mov_b32_e32 v123, v107
	v_addc_co_u32_e32 v107, vcc, 0, v111, vcc
	v_mfma_f32_16x16x16_bf16 a[12:15], v[126:127], v[112:113], a[12:15]
	v_mov_b32_e32 v124, v118
	v_mov_b32_e32 v125, v119
	;; [unrolled: 1-line block ×3, first 2 shown]
	v_mfma_f32_16x16x16_bf16 a[8:11], v[130:131], v[116:117], a[8:11]
	v_mov_b32_e32 v119, v109
	s_and_b64 vcc, exec, s[0:1]
	global_store_dwordx4 v[110:111], v[122:125], off
	v_mfma_f32_16x16x16_bf16 a[12:15], v[130:131], v[128:129], a[12:15]
	global_store_dwordx4 v[106:107], v[118:121], off
	s_cbranch_vccnz .LBB372_6
; %bb.16:                               ;   in Loop: Header=BB372_7 Depth=1
	v_lshrrev_b32_e32 v105, 3, v103
	v_and_b32_e32 v105, 6, v105
	v_xor_b32_e32 v104, v105, v104
	v_lshlrev_b32_e32 v104, 2, v104
	v_and_b32_e32 v103, 8, v103
	v_xor_b32_e32 v106, 0x440, v104
	v_cmp_eq_u32_e32 vcc, 0, v103
	s_barrier
	s_nop 0
	v_cndmask_b32_e32 v103, v106, v104, vcc
	v_lshl_or_b32 v103, v105, 10, v103
	s_waitcnt vmcnt(3)
	v_perm_b32 v104, v46, v42, s56
	s_waitcnt vmcnt(2)
	v_perm_b32 v105, v38, v34, s56
	ds_write2st64_b32 v103, v104, v105 offset0:32 offset1:64
	v_xor_b32_e32 v104, 8, v103
	v_perm_b32 v42, v46, v42, s57
	v_perm_b32 v34, v38, v34, s57
	v_add_u32_e32 v38, 0x80, v104
	ds_write2st64_b32 v38, v42, v34 offset0:32 offset1:64
	v_xor_b32_e32 v34, 16, v103
	v_perm_b32 v38, v47, v43, s56
	v_perm_b32 v42, v39, v35, s56
	ds_write2st64_b32 v34, v38, v42 offset0:33 offset1:65
	v_xor_b32_e32 v34, 24, v103
	v_perm_b32 v38, v47, v43, s57
	v_perm_b32 v35, v39, v35, s57
	v_add_u32_e32 v34, 0x80, v34
	ds_write2st64_b32 v34, v38, v35 offset0:33 offset1:65
	v_xor_b32_e32 v34, 32, v103
	v_perm_b32 v35, v48, v44, s56
	;; [unrolled: 9-line block ×3, first 2 shown]
	v_perm_b32 v36, v41, v37, s56
	ds_write2st64_b32 v34, v35, v36 offset0:35 offset1:67
	v_xor_b32_e32 v34, 56, v103
	v_perm_b32 v35, v49, v45, s57
	v_perm_b32 v36, v41, v37, s57
	v_add_u32_e32 v34, 0x80, v34
	ds_write2st64_b32 v34, v35, v36 offset0:35 offset1:67
	ds_write_b64 v102, v[30:31] offset:24576
	v_xor_b32_e32 v30, 8, v102
	ds_write_b64 v30, v[32:33] offset:24576
	ds_write_b64 v102, v[26:27] offset:32768
	;; [unrolled: 1-line block ×4, first 2 shown]
	v_xor_b32_e32 v22, 8, v101
	ds_write_b64 v22, v[24:25] offset:24576
	ds_write_b64 v101, v[18:19] offset:32768
	ds_write_b64 v22, v[20:21] offset:32768
	s_branch .LBB372_6
.LBB372_17:
	s_lshl_b32 s26, s46, 6
	s_sub_i32 s27, s48, s26
	s_cmp_gt_i32 s27, 0
	s_cbranch_scc0 .LBB372_82
; %bb.18:
	s_add_i32 s26, s26, s30
	s_ashr_i32 s3, s26, 31
	s_cmpk_lg_i32 s15, 0x80
	s_cselect_b64 s[22:23], -1, 0
	s_and_b64 vcc, exec, s[22:23]
	s_cbranch_vccz .LBB372_20
; %bb.19:
	s_mul_hi_i32 s0, s26, s14
	s_mul_i32 s1, s26, s14
	s_ashr_i32 s14, s49, 31
	s_add_u32 s24, s1, s49
	s_addc_u32 s25, s0, s14
	s_cbranch_execz .LBB372_21
	s_branch .LBB372_22
.LBB372_20:
                                        ; implicit-def: $sgpr24_sgpr25
.LBB372_21:
	s_mul_i32 s1, s49, s12
	s_mul_hi_i32 s0, s49, s12
	s_add_u32 s24, s1, s26
	s_addc_u32 s25, s0, s3
.LBB372_22:
	s_waitcnt lgkmcnt(0)
	s_add_i32 s12, s46, s52
	s_add_u32 s0, s51, s26
	v_lshlrev_b32_e32 v6, 5, v64
	v_lshlrev_b32_e32 v34, 2, v61
	s_addc_u32 s1, s50, s3
	s_mov_b32 s3, 0x7060302
	v_or_b32_e32 v9, v6, v34
	v_xor_b32_e32 v7, v64, v34
	v_perm_b32 v3, v21, v20, s3
	v_perm_b32 v2, v19, v18, s3
	;; [unrolled: 1-line block ×4, first 2 shown]
	v_lshlrev_b32_e32 v9, 1, v9
	v_xor_b32_e32 v8, v65, v34
	ds_write2st64_b64 v9, v[2:3], v[4:5] offset0:80 offset1:88
	v_lshlrev_b32_e32 v7, 1, v7
	v_lshlrev_b32_e32 v9, 8, v61
	s_lshl_b64 s[20:21], s[0:1], 8
	v_or_b32_e32 v10, v7, v9
	v_lshlrev_b32_e32 v8, 1, v8
	s_add_u32 s0, s6, s20
	ds_write_b64 v10, v[2:3]
	v_or_b32_e32 v2, v8, v9
	s_addc_u32 s1, s7, s21
	ds_write_b64 v2, v[4:5]
	v_perm_b32 v3, v29, v28, s3
	v_perm_b32 v2, v27, v26, s3
	;; [unrolled: 1-line block ×4, first 2 shown]
	v_or_b32_e32 v9, 16, v61
	s_mul_hi_i32 s3, s12, s13
	s_mul_i32 s12, s12, s13
	v_lshlrev_b32_e32 v19, 2, v9
	s_add_u32 s6, s12, s45
	v_or_b32_e32 v6, v6, v19
	s_addc_u32 s7, s3, s47
	v_lshlrev_b32_e32 v6, 1, v6
	s_ashr_i32 s3, s2, 31
	s_lshl_b64 s[6:7], s[6:7], 15
	ds_write2st64_b64 v6, v[2:3], v[4:5] offset0:80 offset1:88
	v_lshlrev_b32_e32 v6, 8, v9
	s_add_u32 s6, s18, s6
	v_or_b32_e32 v7, v7, v6
	s_addc_u32 s7, s19, s7
	s_lshl_b64 s[2:3], s[2:3], 8
	ds_write_b64 v7, v[2:3]
	v_or_b32_e32 v2, v8, v6
	s_add_u32 s2, s6, s2
	ds_write_b64 v2, v[4:5]
	v_lshrrev_b32_e32 v2, 4, v0
	s_addc_u32 s3, s7, s3
	v_lshlrev_b32_e32 v3, 1, v61
	v_lshlrev_b32_e32 v10, 4, v61
	v_mov_b32_e32 v11, 0
	v_or_b32_e32 v4, 1, v3
	v_xor_b32_e32 v3, v2, v3
	v_lshl_add_u64 v[12:13], s[2:3], 0, v[10:11]
	v_lshlrev_b32_e32 v10, 8, v2
	v_xor_b32_e32 v6, v4, v2
	v_lshl_or_b32 v2, v3, 3, v10
	s_waitcnt lgkmcnt(0)
	s_barrier
	ds_read2st64_b64 v[2:5], v2 offset1:8
	v_lshl_or_b32 v6, v6, 3, v10
	ds_read2st64_b64 v[6:9], v6 offset1:8
	v_lshl_add_u64 v[14:15], v[12:13], 0, v[10:11]
	s_movk_i32 s2, 0x1000
	s_waitcnt lgkmcnt(1)
	v_mov_b32_e32 v10, v2
	v_add_co_u32_e32 v2, vcc, s2, v14
	s_cmp_lg_u32 s27, 64
	v_mov_b32_e32 v11, v3
	v_addc_co_u32_e32 v3, vcc, 0, v15, vcc
	s_cselect_b64 s[6:7], -1, 0
	v_lshl_or_b32 v22, v59, 3, v63
	s_waitcnt lgkmcnt(0)
	v_mov_b32_e32 v12, v6
	v_mov_b32_e32 v13, v7
	;; [unrolled: 1-line block ×4, first 2 shown]
	s_mov_b32 s16, 0
	v_or_b32_e32 v20, 32, v22
	v_and_b32_e32 v18, 56, v62
	s_and_b64 vcc, exec, s[6:7]
	global_store_dwordx4 v[14:15], v[10:13], off
	global_store_dwordx4 v[2:3], v[6:9], off
	s_cbranch_vccz .LBB372_28
; %bb.23:
	s_mov_b32 s17, s16
	s_mov_b32 s18, s16
	;; [unrolled: 1-line block ×3, first 2 shown]
	v_mov_b64_e32 v[6:7], s[16:17]
	v_mov_b64_e32 v[8:9], s[18:19]
	;; [unrolled: 1-line block ×3, first 2 shown]
	v_cmp_gt_i32_e32 vcc, s27, v22
	v_mov_b64_e32 v[4:5], v[8:9]
	s_and_saveexec_b64 s[2:3], vcc
	s_cbranch_execz .LBB372_25
; %bb.24:
	v_lshlrev_b32_e32 v2, 8, v22
	v_mov_b32_e32 v3, 0
	v_lshl_add_u64 v[4:5], s[0:1], 0, v[2:3]
	v_lshlrev_b32_e32 v2, 1, v18
	v_lshl_add_u64 v[10:11], v[4:5], 0, v[2:3]
	global_load_dwordx4 v[6:9], v[10:11], off
	global_load_dwordx4 v[2:5], v[10:11], off offset:128
.LBB372_25:
	s_or_b64 exec, exec, s[2:3]
	s_mov_b32 s17, s16
	s_mov_b32 s18, s16
	;; [unrolled: 1-line block ×3, first 2 shown]
	v_mov_b64_e32 v[14:15], s[16:17]
	v_mov_b64_e32 v[16:17], s[18:19]
	;; [unrolled: 1-line block ×3, first 2 shown]
	v_cmp_gt_i32_e32 vcc, s27, v20
	v_lshlrev_b32_e32 v21, 7, v20
	v_mov_b64_e32 v[12:13], v[16:17]
	s_and_saveexec_b64 s[2:3], vcc
	s_cbranch_execz .LBB372_27
; %bb.26:
	v_lshlrev_b32_e32 v10, 1, v21
	v_mov_b32_e32 v11, 0
	v_lshl_add_u64 v[12:13], s[0:1], 0, v[10:11]
	v_lshlrev_b32_e32 v10, 1, v18
	v_lshl_add_u64 v[24:25], v[12:13], 0, v[10:11]
	global_load_dwordx4 v[14:17], v[24:25], off
	global_load_dwordx4 v[10:13], v[24:25], off offset:128
.LBB372_27:
	s_or_b64 exec, exec, s[2:3]
	v_lshrrev_b32_e32 v23, 3, v18
	v_lshlrev_b32_e32 v24, 3, v22
	v_or_b32_e32 v23, v24, v23
	v_lshlrev_b32_e32 v23, 4, v23
	v_and_b32_e32 v24, 0x78, v24
	v_xor_b32_e32 v23, v23, v24
	s_branch .LBB372_30
.LBB372_28:
                                        ; implicit-def: $vgpr23
                                        ; implicit-def: $vgpr21
                                        ; implicit-def: $vgpr6_vgpr7_vgpr8_vgpr9
                                        ; implicit-def: $vgpr2_vgpr3_vgpr4_vgpr5
                                        ; implicit-def: $vgpr14_vgpr15_vgpr16_vgpr17
                                        ; implicit-def: $vgpr10_vgpr11_vgpr12_vgpr13
	s_cbranch_execz .LBB372_30
; %bb.29:
	s_waitcnt vmcnt(0)
	v_lshlrev_b32_e32 v2, 1, v18
	v_lshl_or_b32 v21, v22, 8, v2
	s_and_b32 s1, s1, 0xffff
	s_mov_b32 s3, 0x20000
	s_movk_i32 s2, 0x4000
	v_lshl_or_b32 v23, v20, 8, v2
	s_movk_i32 s12, 0x80
	buffer_load_dwordx4 v[6:9], v21, s[0:3], 0 offen
	buffer_load_dwordx4 v[2:5], v21, s[0:3], s12 offen
	;; [unrolled: 1-line block ×4, first 2 shown]
	v_lshrrev_b32_e32 v21, 3, v18
	v_lshlrev_b32_e32 v23, 3, v22
	v_or_b32_e32 v21, v23, v21
	v_lshlrev_b32_e32 v21, 4, v21
	v_and_b32_e32 v23, 0x78, v23
	v_xor_b32_e32 v23, v21, v23
	v_lshlrev_b32_e32 v21, 7, v20
.LBB372_30:
	s_lshl_b64 s[0:1], s[24:25], 8
	s_add_u32 s4, s4, s0
	s_movk_i32 s0, 0x1000
	v_and_or_b32 v20, v21, s0, v23
	s_waitcnt vmcnt(1)
	ds_write_b64 v23, v[6:7] offset:24576
	v_xor_b32_e32 v6, 8, v23
	ds_write_b64 v6, v[8:9] offset:24576
	s_waitcnt vmcnt(0)
	ds_write_b64 v23, v[2:3] offset:32768
	ds_write_b64 v6, v[4:5] offset:32768
	ds_write_b64 v20, v[14:15] offset:24576
	v_xor_b32_e32 v2, 8, v20
	ds_write_b64 v2, v[16:17] offset:24576
	ds_write_b64 v20, v[10:11] offset:32768
	;; [unrolled: 1-line block ×3, first 2 shown]
	v_or_b32_e32 v2, v1, v61
	v_lshlrev_b32_e32 v3, 11, v59
	v_lshlrev_b32_e32 v2, 3, v2
	v_and_b32_e32 v6, 0x1000, v3
	v_lshrrev_b32_e32 v3, 5, v58
	s_movk_i32 s3, 0xf8
	v_and_or_b32 v3, v2, s3, v3
	v_lshlrev_b32_e32 v7, 4, v3
	v_and_b32_e32 v8, 0x78, v2
	v_or_b32_e32 v10, 32, v7
	v_lshrrev_b32_e32 v3, 1, v58
	v_xor_b32_e32 v10, v10, v8
	v_xor_b32_e32 v2, v7, v8
	v_and_b32_e32 v9, 8, v3
	v_or_b32_e32 v10, v10, v6
	v_or_b32_e32 v2, v2, v6
	v_xor_b32_e32 v25, v10, v9
	v_or_b32_e32 v10, 64, v7
	v_xor_b32_e32 v24, v2, v9
	v_xor_b32_e32 v10, v10, v8
	s_waitcnt lgkmcnt(0)
	s_barrier
	v_or_b32_e32 v12, v10, v6
	ds_read_b64 v[10:11], v24 offset:24576
	v_lshl_or_b32 v20, v60, 7, v34
	v_lshlrev_b32_e32 v23, 1, v20
	v_add_u32_e32 v2, 0xa000, v23
	ds_read2_b64 v[2:5], v2 offset1:16
	v_or_b32_e32 v7, 0x60, v7
	v_xor_b32_e32 v7, v7, v8
	s_waitcnt lgkmcnt(0)
	v_mfma_f32_16x16x16_bf16 a[0:3], v[10:11], v[2:3], 0
	v_or_b32_e32 v2, 64, v20
	v_or_b32_e32 v6, v7, v6
	v_lshlrev_b32_e32 v28, 1, v2
	v_xor_b32_e32 v26, v12, v9
	v_xor_b32_e32 v27, v6, v9
	ds_read_b64 v[12:13], v25 offset:24576
	ds_read_b64 v[14:15], v26 offset:24576
	;; [unrolled: 1-line block ×3, first 2 shown]
	v_mfma_f32_16x16x16_bf16 a[4:7], v[10:11], v[4:5], 0
	ds_read2st64_b64 v[2:5], v28 offset0:82 offset1:84
	ds_read2st64_b64 v[6:9], v23 offset0:82 offset1:84
	s_addc_u32 s5, s5, s1
	s_add_i32 s1, s40, s33
	s_add_i32 s0, s31, -1
	s_add_i32 s35, s1, s41
	s_add_i32 s1, s43, s42
	;; [unrolled: 1-line block ×3, first 2 shown]
	s_ashr_i32 s1, s0, 31
	s_mul_i32 s2, s0, s29
	s_mul_hi_u32 s3, s0, s28
	s_add_i32 s2, s3, s2
	s_mul_i32 s1, s1, s28
	s_waitcnt lgkmcnt(1)
	v_mfma_f32_16x16x16_bf16 a[4:7], v[12:13], v[2:3], a[4:7]
	s_add_i32 s1, s2, s1
	s_lshl_b64 s[2:3], s[34:35], 2
	s_add_u32 s10, s10, s2
	s_waitcnt lgkmcnt(0)
	v_mfma_f32_16x16x16_bf16 a[0:3], v[12:13], v[6:7], a[0:3]
	s_addc_u32 s11, s11, s3
	s_lshl_b64 s[2:3], s[36:37], 2
	s_mul_i32 s0, s0, s28
	s_add_u32 s10, s10, s2
	ds_read_b64 v[2:3], v23 offset:44032
	v_mfma_f32_16x16x16_bf16 a[4:7], v[14:15], v[4:5], a[4:7]
	ds_read_b64 v[4:5], v28 offset:44032
	s_addc_u32 s11, s11, s3
	s_lshl_b64 s[0:1], s[0:1], 2
	v_mfma_f32_16x16x16_bf16 a[0:3], v[14:15], v[8:9], a[0:3]
	s_add_u32 s0, s10, s0
	s_addc_u32 s1, s11, s1
	s_load_dword s12, s[0:1], 0x0
	s_waitcnt lgkmcnt(0)
	v_mfma_f32_16x16x16_bf16 a[0:3], v[16:17], v[2:3], a[0:3]
	s_and_b64 vcc, exec, s[22:23]
	v_mfma_f32_16x16x16_bf16 a[4:7], v[16:17], v[4:5], a[4:7]
	s_cbranch_vccz .LBB372_41
; %bb.31:
	v_lshlrev_b32_e32 v20, 1, v22
	s_and_b64 vcc, exec, s[6:7]
	s_cbranch_vccz .LBB372_42
; %bb.32:
	v_cmp_gt_i32_e32 vcc, s27, v20
	v_mov_b32_e32 v6, 0
	v_mov_b32_e32 v2, 0
	;; [unrolled: 1-line block ×5, first 2 shown]
	s_and_saveexec_b64 s[0:1], vcc
	s_cbranch_execz .LBB372_34
; %bb.33:
	v_mad_i64_i32 v[2:3], s[2:3], s15, v20, 0
	v_lshl_add_u64 v[2:3], v[2:3], 1, s[4:5]
	v_lshlrev_b32_e32 v4, 1, v18
	v_mov_b32_e32 v5, 0
	v_lshl_add_u64 v[2:3], v[2:3], 0, v[4:5]
	global_load_dwordx4 v[2:5], v[2:3], off
.LBB372_34:
	s_or_b64 exec, exec, s[0:1]
	v_or_b32_e32 v21, 1, v20
	v_cmp_gt_i32_e64 s[0:1], s27, v21
	v_mov_b32_e32 v7, 0
	v_mov_b32_e32 v8, 0
	;; [unrolled: 1-line block ×3, first 2 shown]
	s_and_saveexec_b64 s[2:3], s[0:1]
	s_cbranch_execz .LBB372_36
; %bb.35:
	v_mad_i64_i32 v[6:7], s[16:17], s15, v21, 0
	v_lshl_add_u64 v[6:7], v[6:7], 1, s[4:5]
	v_lshlrev_b32_e32 v8, 1, v18
	v_mov_b32_e32 v9, 0
	v_lshl_add_u64 v[6:7], v[6:7], 0, v[8:9]
	global_load_dwordx4 v[6:9], v[6:7], off
.LBB372_36:
	s_or_b64 exec, exec, s[2:3]
	v_mov_b32_e32 v17, 0
	v_mov_b32_e32 v10, 0
	;; [unrolled: 1-line block ×5, first 2 shown]
	s_and_saveexec_b64 s[2:3], vcc
	s_cbranch_execz .LBB372_38
; %bb.37:
	v_mad_i64_i32 v[10:11], s[16:17], s15, v20, 0
	v_lshl_add_u64 v[10:11], v[10:11], 1, s[4:5]
	v_lshlrev_b32_e32 v12, 1, v18
	v_mov_b32_e32 v13, 0
	v_lshl_add_u64 v[10:11], v[10:11], 0, v[12:13]
	global_load_dwordx4 v[10:13], v[10:11], off offset:128
.LBB372_38:
	s_or_b64 exec, exec, s[2:3]
	v_mov_b32_e32 v16, 0
	v_mov_b32_e32 v15, 0
	;; [unrolled: 1-line block ×3, first 2 shown]
	s_and_saveexec_b64 s[2:3], s[0:1]
	s_cbranch_execz .LBB372_40
; %bb.39:
	v_mad_i64_i32 v[14:15], s[0:1], s15, v21, 0
	v_lshl_add_u64 v[14:15], v[14:15], 1, s[4:5]
	v_lshlrev_b32_e32 v16, 1, v18
	v_mov_b32_e32 v17, 0
	v_lshl_add_u64 v[14:15], v[14:15], 0, v[16:17]
	global_load_dwordx4 v[14:17], v[14:15], off offset:128
.LBB372_40:
	s_or_b64 exec, exec, s[2:3]
	s_branch .LBB372_44
.LBB372_41:
                                        ; implicit-def: $vgpr5
                                        ; implicit-def: $vgpr9
                                        ; implicit-def: $vgpr13
                                        ; implicit-def: $vgpr17
	v_lshrrev_b32_e32 v29, 2, v58
	s_branch .LBB372_45
.LBB372_42:
                                        ; implicit-def: $vgpr5
                                        ; implicit-def: $vgpr9
                                        ; implicit-def: $vgpr13
                                        ; implicit-def: $vgpr17
	s_cbranch_execz .LBB372_44
; %bb.43:
	s_waitcnt vmcnt(0)
	v_mad_u64_u32 v[2:3], s[0:1], v20, s15, v[18:19]
	v_lshlrev_b32_e32 v20, 1, v2
	s_lshl_b32 s2, s15, 7
	s_and_b32 s1, s5, 0xffff
	s_mov_b32 s3, 0x20000
	s_mov_b32 s0, s4
	v_add_lshl_u32 v21, v2, s15, 1
	s_movk_i32 s13, 0x80
	buffer_load_dwordx4 v[2:5], v20, s[0:3], 0 offen
	buffer_load_dwordx4 v[10:13], v20, s[0:3], s13 offen
	;; [unrolled: 1-line block ×4, first 2 shown]
.LBB372_44:
	v_lshrrev_b32_e32 v29, 2, v58
	s_cbranch_execnz .LBB372_57
.LBB372_45:
	s_and_b64 vcc, exec, s[6:7]
	s_cbranch_vccz .LBB372_55
; %bb.46:
	s_waitcnt vmcnt(0)
	v_lshlrev_b32_e32 v7, 1, v22
	v_cmp_gt_i32_e32 vcc, s27, v7
	v_mov_b32_e32 v6, 0
	v_lshlrev_b32_e32 v14, 9, v22
	v_mov_b32_e32 v2, 0
	v_mov_b32_e32 v3, 0
	;; [unrolled: 1-line block ×4, first 2 shown]
	s_and_saveexec_b64 s[0:1], vcc
	s_cbranch_execz .LBB372_48
; %bb.47:
	v_mov_b32_e32 v15, 0
	v_lshl_add_u64 v[2:3], s[4:5], 0, v[14:15]
	v_lshlrev_b32_e32 v4, 1, v18
	v_mov_b32_e32 v5, v15
	v_lshl_add_u64 v[2:3], v[2:3], 0, v[4:5]
	global_load_dwordx4 v[2:5], v[2:3], off
.LBB372_48:
	s_or_b64 exec, exec, s[0:1]
	v_or_b32_e32 v7, 1, v7
	v_cmp_gt_i32_e64 s[0:1], s27, v7
	v_lshlrev_b32_e32 v20, 8, v7
	v_mov_b32_e32 v7, 0
	v_mov_b32_e32 v8, 0
	;; [unrolled: 1-line block ×3, first 2 shown]
	s_and_saveexec_b64 s[2:3], s[0:1]
	s_cbranch_execz .LBB372_50
; %bb.49:
	v_mov_b32_e32 v21, 0
	v_lshl_add_u64 v[6:7], s[4:5], 0, v[20:21]
	v_lshlrev_b32_e32 v8, 1, v18
	v_mov_b32_e32 v9, v21
	v_lshl_add_u64 v[6:7], v[6:7], 0, v[8:9]
	global_load_dwordx4 v[6:9], v[6:7], off
.LBB372_50:
	s_or_b64 exec, exec, s[2:3]
	v_mov_b32_e32 v17, 0
	v_mov_b32_e32 v10, 0
	;; [unrolled: 1-line block ×5, first 2 shown]
	s_and_saveexec_b64 s[2:3], vcc
	s_cbranch_execz .LBB372_52
; %bb.51:
	v_mov_b32_e32 v15, 0
	v_lshl_add_u64 v[10:11], s[4:5], 0, v[14:15]
	v_lshlrev_b32_e32 v14, 1, v18
	v_lshl_add_u64 v[10:11], v[10:11], 0, v[14:15]
	global_load_dwordx4 v[10:13], v[10:11], off offset:128
.LBB372_52:
	s_or_b64 exec, exec, s[2:3]
	v_mov_b32_e32 v16, 0
	v_mov_b32_e32 v15, 0
	;; [unrolled: 1-line block ×3, first 2 shown]
	s_and_saveexec_b64 s[2:3], s[0:1]
	s_cbranch_execz .LBB372_54
; %bb.53:
	v_mov_b32_e32 v21, 0
	v_lshl_add_u64 v[14:15], s[4:5], 0, v[20:21]
	v_lshlrev_b32_e32 v20, 1, v18
	v_lshl_add_u64 v[14:15], v[14:15], 0, v[20:21]
	global_load_dwordx4 v[14:17], v[14:15], off offset:128
.LBB372_54:
	s_or_b64 exec, exec, s[2:3]
	s_branch .LBB372_57
.LBB372_55:
                                        ; implicit-def: $vgpr5
                                        ; implicit-def: $vgpr9
                                        ; implicit-def: $vgpr13
                                        ; implicit-def: $vgpr17
	s_cbranch_execz .LBB372_57
; %bb.56:
	s_waitcnt vmcnt(0)
	v_lshlrev_b32_e32 v2, 1, v18
	v_lshl_or_b32 v18, v22, 9, v2
	s_and_b32 s5, s5, 0xffff
	s_mov_b32 s7, 0x20000
	s_movk_i32 s6, 0x4000
	s_movk_i32 s0, 0x80
	buffer_load_dwordx4 v[2:5], v18, s[4:7], 0 offen
	buffer_load_dwordx4 v[6:9], v18, s[4:7], 0 offen offset:256
	buffer_load_dwordx4 v[10:13], v18, s[4:7], s0 offen
	buffer_load_dwordx4 v[14:17], v18, s[4:7], s0 offen offset:256
.LBB372_57:
	ds_read_b64 v[20:21], v24 offset:32768
	v_add_u32_e32 v18, 0xb000, v23
	ds_read2_b64 v[30:33], v18 offset1:16
	ds_read_b64 v[36:37], v25 offset:32768
	ds_read_b64 v[38:39], v26 offset:32768
	;; [unrolled: 1-line block ×3, first 2 shown]
	v_and_b32_e32 v18, 6, v0
	v_xor_b32_e32 v22, v22, v18
	v_lshlrev_b32_e32 v22, 2, v22
	v_and_b32_e32 v0, 1, v0
	v_cmp_eq_u32_e32 vcc, 0, v0
	s_mov_b32 s0, 0x1000504
	s_waitcnt lgkmcnt(3)
	v_mfma_f32_16x16x16_bf16 a[0:3], v[20:21], v[30:31], a[0:3]
	s_mov_b32 s1, 0x3020706
	v_mfma_f32_16x16x16_bf16 a[4:7], v[20:21], v[32:33], a[4:7]
	ds_read2st64_b64 v[24:27], v23 offset0:90 offset1:92
	ds_read2st64_b64 v[30:33], v28 offset0:90 offset1:92
	s_waitcnt lgkmcnt(1)
	v_mfma_f32_16x16x16_bf16 a[0:3], v[36:37], v[24:25], a[0:3]
	ds_read_b64 v[20:21], v23 offset:48128
	ds_read_b64 v[24:25], v28 offset:48128
	v_xor_b32_e32 v23, 0x440, v22
	v_cndmask_b32_e32 v0, v23, v22, vcc
	s_waitcnt lgkmcnt(2)
	v_mfma_f32_16x16x16_bf16 a[4:7], v[36:37], v[30:31], a[4:7]
	v_lshl_or_b32 v0, v18, 10, v0
	s_waitcnt vmcnt(0)
	v_perm_b32 v18, v2, v6, s0
	v_perm_b32 v2, v2, v6, s1
	v_mfma_f32_16x16x16_bf16 a[0:3], v[38:39], v[26:27], a[0:3]
	v_perm_b32 v6, v10, v14, s1
	v_mfma_f32_16x16x16_bf16 a[8:11], v[38:39], v[32:33], a[4:7]
	s_waitcnt lgkmcnt(1)
	v_mfma_f32_16x16x16_bf16 a[4:7], v[40:41], v[20:21], a[0:3]
	v_perm_b32 v20, v10, v14, s0
	ds_write2st64_b32 v0, v18, v20 offset0:32 offset1:64
	v_xor_b32_e32 v18, 8, v0
	v_add_u32_e32 v10, 0x80, v18
	ds_write2st64_b32 v10, v2, v6 offset0:32 offset1:64
	v_xor_b32_e32 v2, 16, v0
	v_perm_b32 v6, v3, v7, s0
	v_perm_b32 v10, v11, v15, s0
	ds_write2st64_b32 v2, v6, v10 offset0:33 offset1:65
	v_xor_b32_e32 v2, 24, v0
	v_perm_b32 v3, v3, v7, s1
	v_perm_b32 v6, v11, v15, s1
	v_add_u32_e32 v2, 0x80, v2
	ds_write2st64_b32 v2, v3, v6 offset0:33 offset1:65
	v_xor_b32_e32 v2, 32, v0
	v_perm_b32 v3, v4, v8, s0
	v_perm_b32 v6, v12, v16, s0
	ds_write2st64_b32 v2, v3, v6 offset0:34 offset1:66
	v_xor_b32_e32 v2, 40, v0
	s_waitcnt lgkmcnt(5)
	v_mfma_f32_16x16x16_bf16 a[0:3], v[40:41], v[24:25], a[8:11]
	v_perm_b32 v3, v4, v8, s1
	v_perm_b32 v4, v12, v16, s1
	v_add_u32_e32 v2, 0x80, v2
	ds_write2st64_b32 v2, v3, v4 offset0:34 offset1:66
	v_xor_b32_e32 v2, 48, v0
	v_perm_b32 v3, v5, v9, s0
	v_perm_b32 v4, v13, v17, s0
	ds_write2st64_b32 v2, v3, v4 offset0:35 offset1:67
	v_xor_b32_e32 v0, 56, v0
	v_perm_b32 v3, v13, v17, s1
	v_and_or_b32 v17, v29, 12, v1
	v_perm_b32 v2, v5, v9, s1
	v_add_u32_e32 v0, 0x80, v0
	v_cmp_gt_i32_e32 vcc, s27, v17
	v_mov_b32_e32 v14, 0
	v_mov_b32_e32 v16, 0
	ds_write2st64_b32 v0, v2, v3 offset0:35 offset1:67
	s_and_saveexec_b64 s[0:1], vcc
	s_cbranch_execz .LBB372_59
; %bb.58:
	v_add_u32_e32 v0, s26, v17
	v_ashrrev_i32_e32 v1, 31, v0
	v_mul_lo_u32 v2, v1, s28
	v_mul_lo_u32 v3, v0, s29
	v_mad_u64_u32 v[0:1], s[2:3], v0, s28, 0
	v_add3_u32 v1, v1, v3, v2
	v_lshl_add_u64 v[0:1], v[0:1], 2, s[10:11]
	global_load_dword v0, v[0:1], off
	s_waitcnt vmcnt(0)
	v_sub_f32_e32 v0, s12, v0
	v_mul_f32_e32 v0, 0x3fb8aa3b, v0
	v_exp_f32_e32 v16, v0
.LBB372_59:
	s_or_b64 exec, exec, s[0:1]
	v_or_b32_e32 v8, 1, v17
	v_cmp_gt_i32_e64 s[0:1], s27, v8
	s_and_saveexec_b64 s[2:3], s[0:1]
	s_cbranch_execz .LBB372_61
; %bb.60:
	v_add_u32_e32 v0, s26, v8
	v_ashrrev_i32_e32 v1, 31, v0
	v_mul_lo_u32 v2, v1, s28
	v_mul_lo_u32 v3, v0, s29
	v_mad_u64_u32 v[0:1], s[4:5], v0, s28, 0
	v_add3_u32 v1, v1, v3, v2
	v_lshl_add_u64 v[0:1], v[0:1], 2, s[10:11]
	global_load_dword v0, v[0:1], off
	s_waitcnt vmcnt(0)
	v_sub_f32_e32 v0, s12, v0
	v_mul_f32_e32 v0, 0x3fb8aa3b, v0
	v_exp_f32_e32 v14, v0
.LBB372_61:
	s_or_b64 exec, exec, s[2:3]
	v_or_b32_e32 v10, 2, v17
	v_cmp_gt_i32_e64 s[2:3], s27, v10
	v_mov_b32_e32 v15, 0
	v_mov_b32_e32 v18, 0
	s_and_saveexec_b64 s[4:5], s[2:3]
	s_cbranch_execz .LBB372_63
; %bb.62:
	v_add_u32_e32 v0, s26, v10
	v_ashrrev_i32_e32 v1, 31, v0
	v_mul_lo_u32 v2, v1, s28
	v_mul_lo_u32 v3, v0, s29
	v_mad_u64_u32 v[0:1], s[6:7], v0, s28, 0
	v_add3_u32 v1, v1, v3, v2
	v_lshl_add_u64 v[0:1], v[0:1], 2, s[10:11]
	global_load_dword v0, v[0:1], off
	s_waitcnt vmcnt(0)
	v_sub_f32_e32 v0, s12, v0
	v_mul_f32_e32 v0, 0x3fb8aa3b, v0
	v_exp_f32_e32 v18, v0
.LBB372_63:
	s_or_b64 exec, exec, s[4:5]
	v_or_b32_e32 v12, 3, v17
	v_cmp_gt_i32_e64 s[4:5], s27, v12
	s_and_saveexec_b64 s[6:7], s[4:5]
	s_cbranch_execz .LBB372_65
; %bb.64:
	v_add_u32_e32 v0, s26, v12
	v_ashrrev_i32_e32 v1, 31, v0
	v_mul_lo_u32 v2, v1, s28
	v_mul_lo_u32 v3, v0, s29
	v_mad_u64_u32 v[0:1], s[14:15], v0, s28, 0
	v_add3_u32 v1, v1, v3, v2
	v_lshl_add_u64 v[0:1], v[0:1], 2, s[10:11]
	global_load_dword v0, v[0:1], off
	s_waitcnt vmcnt(0)
	v_sub_f32_e32 v0, s12, v0
	v_mul_f32_e32 v0, 0x3fb8aa3b, v0
	v_exp_f32_e32 v15, v0
.LBB372_65:
	s_or_b64 exec, exec, s[6:7]
	s_add_u32 s6, s8, s20
	v_accvgpr_read_b32 v0, a4
	s_addc_u32 s7, s9, s21
	v_ashrrev_i32_e32 v51, 31, v50
	v_accvgpr_read_b32 v1, a5
	v_accvgpr_read_b32 v2, a6
	;; [unrolled: 1-line block ×3, first 2 shown]
	v_lshl_add_u64 v[4:5], v[50:51], 1, s[6:7]
	v_mov_b32_e32 v9, 0
	v_lshlrev_b32_e32 v6, 8, v17
	v_mov_b32_e32 v7, 0
	s_and_saveexec_b64 s[6:7], vcc
	s_cbranch_execz .LBB372_67
; %bb.66:
	v_mov_b32_e32 v7, 0
	v_lshl_add_u64 v[20:21], v[4:5], 0, v[6:7]
	global_load_ushort v7, v[20:21], off
	s_waitcnt vmcnt(0)
	v_lshlrev_b32_e32 v7, 16, v7
	v_sub_f32_e32 v0, v7, v0
	v_mul_f32_e32 v0, v16, v0
	v_lshrrev_b32_e32 v7, 16, v0
.LBB372_67:
	s_or_b64 exec, exec, s[6:7]
	v_lshlrev_b32_e32 v8, 8, v8
	s_and_saveexec_b64 s[6:7], s[0:1]
	s_cbranch_execz .LBB372_69
; %bb.68:
	v_mov_b32_e32 v9, 0
	v_lshl_add_u64 v[20:21], v[4:5], 0, v[8:9]
	global_load_ushort v0, v[20:21], off
	s_waitcnt vmcnt(0)
	v_lshlrev_b32_e32 v0, 16, v0
	v_sub_f32_e32 v0, v0, v1
	v_mul_f32_e32 v0, v14, v0
	v_lshrrev_b32_e32 v9, 16, v0
.LBB372_69:
	s_or_b64 exec, exec, s[6:7]
	v_mov_b32_e32 v13, 0
	v_lshlrev_b32_e32 v10, 8, v10
	v_mov_b32_e32 v11, 0
	s_and_saveexec_b64 s[6:7], s[2:3]
	s_cbranch_execz .LBB372_71
; %bb.70:
	v_mov_b32_e32 v11, 0
	v_lshl_add_u64 v[0:1], v[4:5], 0, v[10:11]
	global_load_ushort v0, v[0:1], off
	s_waitcnt vmcnt(0)
	v_lshlrev_b32_e32 v0, 16, v0
	v_sub_f32_e32 v0, v0, v2
	v_mul_f32_e32 v0, v18, v0
	v_lshrrev_b32_e32 v11, 16, v0
.LBB372_71:
	s_or_b64 exec, exec, s[6:7]
	v_lshlrev_b32_e32 v12, 8, v12
	s_and_saveexec_b64 s[6:7], s[4:5]
	s_cbranch_execz .LBB372_73
; %bb.72:
	v_mov_b32_e32 v13, 0
	v_lshl_add_u64 v[0:1], v[4:5], 0, v[12:13]
	global_load_ushort v0, v[0:1], off
	s_waitcnt vmcnt(0)
	v_lshlrev_b32_e32 v0, 16, v0
	v_sub_f32_e32 v0, v0, v3
	v_mul_f32_e32 v0, v15, v0
	v_lshrrev_b32_e32 v13, 16, v0
.LBB372_73:
	s_or_b64 exec, exec, s[6:7]
	v_lshlrev_b32_e32 v17, 5, v17
	s_mov_b32 s6, 0x5040100
	v_perm_b32 v20, v9, v7, s6
	v_or_b32_e32 v7, v17, v34
	v_accvgpr_read_b32 v0, a0
	v_perm_b32 v21, v13, v11, s6
	v_lshlrev_b32_e32 v7, 1, v7
	v_accvgpr_read_b32 v1, a1
	v_accvgpr_read_b32 v2, a2
	;; [unrolled: 1-line block ×3, first 2 shown]
	ds_write_b64 v7, v[20:21] offset:45056
	v_mov_b32_e32 v9, 0
	v_mov_b32_e32 v7, 0
	s_and_saveexec_b64 s[6:7], vcc
	s_cbranch_execz .LBB372_75
; %bb.74:
	v_mov_b32_e32 v7, 0
	v_lshl_add_u64 v[6:7], v[4:5], 0, v[6:7]
	global_load_ushort v6, v[6:7], off offset:32
	s_waitcnt vmcnt(0)
	v_lshlrev_b32_e32 v6, 16, v6
	v_sub_f32_e32 v0, v6, v0
	v_mul_f32_e32 v0, v16, v0
	v_lshrrev_b32_e32 v7, 16, v0
.LBB372_75:
	s_or_b64 exec, exec, s[6:7]
	s_and_saveexec_b64 s[6:7], s[0:1]
	s_cbranch_execz .LBB372_77
; %bb.76:
	v_mov_b32_e32 v9, 0
	v_lshl_add_u64 v[8:9], v[4:5], 0, v[8:9]
	global_load_ushort v0, v[8:9], off offset:32
	s_waitcnt vmcnt(0)
	v_lshlrev_b32_e32 v0, 16, v0
	v_sub_f32_e32 v0, v0, v1
	v_mul_f32_e32 v0, v14, v0
	v_lshrrev_b32_e32 v9, 16, v0
.LBB372_77:
	s_or_b64 exec, exec, s[6:7]
	v_mov_b32_e32 v0, 0
	v_mov_b32_e32 v1, 0
	s_and_saveexec_b64 s[0:1], s[2:3]
	s_cbranch_execz .LBB372_79
; %bb.78:
	v_mov_b32_e32 v11, 0
	v_lshl_add_u64 v[10:11], v[4:5], 0, v[10:11]
	global_load_ushort v1, v[10:11], off offset:32
	s_waitcnt vmcnt(0)
	v_lshlrev_b32_e32 v1, 16, v1
	v_sub_f32_e32 v1, v1, v2
	v_mul_f32_e32 v1, v18, v1
	v_lshrrev_b32_e32 v1, 16, v1
.LBB372_79:
	s_or_b64 exec, exec, s[0:1]
	s_and_saveexec_b64 s[0:1], s[4:5]
	s_cbranch_execz .LBB372_81
; %bb.80:
	v_mov_b32_e32 v13, 0
	v_lshl_add_u64 v[4:5], v[4:5], 0, v[12:13]
	global_load_ushort v0, v[4:5], off offset:32
	s_waitcnt vmcnt(0)
	v_lshlrev_b32_e32 v0, 16, v0
	v_sub_f32_e32 v0, v0, v3
	v_mul_f32_e32 v0, v15, v0
	v_lshrrev_b32_e32 v0, 16, v0
.LBB372_81:
	s_or_b64 exec, exec, s[0:1]
	s_mov_b32 s0, 0x5040100
	v_or_b32_e32 v2, v17, v19
	v_perm_b32 v1, v0, v1, s0
	v_perm_b32 v0, v9, v7, s0
	v_lshlrev_b32_e32 v2, 1, v2
	ds_write_b64 v2, v[0:1] offset:45056
	s_waitcnt lgkmcnt(0)
	s_barrier
.LBB372_82:
	s_endpgm
	.section	.rodata,"a",@progbits
	.p2align	6, 0x0
	.amdhsa_kernel _ZN12_GLOBAL__N_139chunk_gated_delta_rule_fwd_h_hip_kernelILi32ELb1ELb0ELb0ELb1ELb0ELb0ELb0ELb1EEEvPK12hip_bfloat16S3_S3_PKfS5_PKvPS1_S8_PvPKiSB_iiiiilll
		.amdhsa_group_segment_fixed_size 49152
		.amdhsa_private_segment_fixed_size 0
		.amdhsa_kernarg_size 136
		.amdhsa_user_sgpr_count 2
		.amdhsa_user_sgpr_dispatch_ptr 0
		.amdhsa_user_sgpr_queue_ptr 0
		.amdhsa_user_sgpr_kernarg_segment_ptr 1
		.amdhsa_user_sgpr_dispatch_id 0
		.amdhsa_user_sgpr_kernarg_preload_length 0
		.amdhsa_user_sgpr_kernarg_preload_offset 0
		.amdhsa_user_sgpr_private_segment_size 0
		.amdhsa_uses_dynamic_stack 0
		.amdhsa_enable_private_segment 0
		.amdhsa_system_sgpr_workgroup_id_x 1
		.amdhsa_system_sgpr_workgroup_id_y 1
		.amdhsa_system_sgpr_workgroup_id_z 0
		.amdhsa_system_sgpr_workgroup_info 0
		.amdhsa_system_vgpr_workitem_id 0
		.amdhsa_next_free_vgpr 148
		.amdhsa_next_free_sgpr 60
		.amdhsa_accum_offset 132
		.amdhsa_reserve_vcc 1
		.amdhsa_float_round_mode_32 0
		.amdhsa_float_round_mode_16_64 0
		.amdhsa_float_denorm_mode_32 3
		.amdhsa_float_denorm_mode_16_64 3
		.amdhsa_dx10_clamp 1
		.amdhsa_ieee_mode 1
		.amdhsa_fp16_overflow 0
		.amdhsa_tg_split 0
		.amdhsa_exception_fp_ieee_invalid_op 0
		.amdhsa_exception_fp_denorm_src 0
		.amdhsa_exception_fp_ieee_div_zero 0
		.amdhsa_exception_fp_ieee_overflow 0
		.amdhsa_exception_fp_ieee_underflow 0
		.amdhsa_exception_fp_ieee_inexact 0
		.amdhsa_exception_int_div_zero 0
	.end_amdhsa_kernel
	.section	.text._ZN12_GLOBAL__N_139chunk_gated_delta_rule_fwd_h_hip_kernelILi32ELb1ELb0ELb0ELb1ELb0ELb0ELb0ELb1EEEvPK12hip_bfloat16S3_S3_PKfS5_PKvPS1_S8_PvPKiSB_iiiiilll,"axG",@progbits,_ZN12_GLOBAL__N_139chunk_gated_delta_rule_fwd_h_hip_kernelILi32ELb1ELb0ELb0ELb1ELb0ELb0ELb0ELb1EEEvPK12hip_bfloat16S3_S3_PKfS5_PKvPS1_S8_PvPKiSB_iiiiilll,comdat
.Lfunc_end372:
	.size	_ZN12_GLOBAL__N_139chunk_gated_delta_rule_fwd_h_hip_kernelILi32ELb1ELb0ELb0ELb1ELb0ELb0ELb0ELb1EEEvPK12hip_bfloat16S3_S3_PKfS5_PKvPS1_S8_PvPKiSB_iiiiilll, .Lfunc_end372-_ZN12_GLOBAL__N_139chunk_gated_delta_rule_fwd_h_hip_kernelILi32ELb1ELb0ELb0ELb1ELb0ELb0ELb0ELb1EEEvPK12hip_bfloat16S3_S3_PKfS5_PKvPS1_S8_PvPKiSB_iiiiilll
                                        ; -- End function
	.section	.AMDGPU.csdata,"",@progbits
; Kernel info:
; codeLenInByte = 8480
; NumSgprs: 66
; NumVgprs: 132
; NumAgprs: 16
; TotalNumVgprs: 148
; ScratchSize: 0
; MemoryBound: 0
; FloatMode: 240
; IeeeMode: 1
; LDSByteSize: 49152 bytes/workgroup (compile time only)
; SGPRBlocks: 8
; VGPRBlocks: 18
; NumSGPRsForWavesPerEU: 66
; NumVGPRsForWavesPerEU: 148
; AccumOffset: 132
; Occupancy: 1
; WaveLimiterHint : 1
; COMPUTE_PGM_RSRC2:SCRATCH_EN: 0
; COMPUTE_PGM_RSRC2:USER_SGPR: 2
; COMPUTE_PGM_RSRC2:TRAP_HANDLER: 0
; COMPUTE_PGM_RSRC2:TGID_X_EN: 1
; COMPUTE_PGM_RSRC2:TGID_Y_EN: 1
; COMPUTE_PGM_RSRC2:TGID_Z_EN: 0
; COMPUTE_PGM_RSRC2:TIDIG_COMP_CNT: 0
; COMPUTE_PGM_RSRC3_GFX90A:ACCUM_OFFSET: 32
; COMPUTE_PGM_RSRC3_GFX90A:TG_SPLIT: 0
	.section	.text._ZN12_GLOBAL__N_139chunk_gated_delta_rule_fwd_h_hip_kernelILi32ELb0ELb1ELb1ELb1ELb0ELb0ELb0ELb1EEEvPK12hip_bfloat16S3_S3_PKfS5_PKvPS1_S8_PvPKiSB_iiiiilll,"axG",@progbits,_ZN12_GLOBAL__N_139chunk_gated_delta_rule_fwd_h_hip_kernelILi32ELb0ELb1ELb1ELb1ELb0ELb0ELb0ELb1EEEvPK12hip_bfloat16S3_S3_PKfS5_PKvPS1_S8_PvPKiSB_iiiiilll,comdat
	.globl	_ZN12_GLOBAL__N_139chunk_gated_delta_rule_fwd_h_hip_kernelILi32ELb0ELb1ELb1ELb1ELb0ELb0ELb0ELb1EEEvPK12hip_bfloat16S3_S3_PKfS5_PKvPS1_S8_PvPKiSB_iiiiilll ; -- Begin function _ZN12_GLOBAL__N_139chunk_gated_delta_rule_fwd_h_hip_kernelILi32ELb0ELb1ELb1ELb1ELb0ELb0ELb0ELb1EEEvPK12hip_bfloat16S3_S3_PKfS5_PKvPS1_S8_PvPKiSB_iiiiilll
	.p2align	8
	.type	_ZN12_GLOBAL__N_139chunk_gated_delta_rule_fwd_h_hip_kernelILi32ELb0ELb1ELb1ELb1ELb0ELb0ELb0ELb1EEEvPK12hip_bfloat16S3_S3_PKfS5_PKvPS1_S8_PvPKiSB_iiiiilll,@function
_ZN12_GLOBAL__N_139chunk_gated_delta_rule_fwd_h_hip_kernelILi32ELb0ELb1ELb1ELb1ELb0ELb0ELb0ELb1EEEvPK12hip_bfloat16S3_S3_PKfS5_PKvPS1_S8_PvPKiSB_iiiiilll: ; @_ZN12_GLOBAL__N_139chunk_gated_delta_rule_fwd_h_hip_kernelILi32ELb0ELb1ELb1ELb1ELb0ELb0ELb0ELb1EEEvPK12hip_bfloat16S3_S3_PKfS5_PKvPS1_S8_PvPKiSB_iiiiilll
; %bb.0:
	s_load_dwordx4 s[36:39], s[0:1], 0x5c
	s_abs_i32 s7, s3
	s_ashr_i32 s6, s3, 31
	s_load_dwordx2 s[4:5], s[0:1], 0x50
	s_load_dwordx8 s[16:23], s[0:1], 0x30
	s_load_dwordx8 s[24:31], s[0:1], 0x0
	v_lshrrev_b32_e32 v58, 6, v0
	s_waitcnt lgkmcnt(0)
	s_abs_i32 s10, s37
	v_cvt_f32_u32_e32 v1, s10
	s_sub_i32 s8, 0, s10
	s_ashr_i32 s50, s37, 31
	s_xor_b32 s6, s6, s50
	v_rcp_iflag_f32_e32 v1, v1
	v_bfe_u32 v61, v0, 4, 2
	v_lshlrev_b32_e32 v59, 4, v58
	v_lshlrev_b32_e32 v18, 2, v61
	v_mul_f32_e32 v1, 0x4f7ffffe, v1
	v_cvt_u32_f32_e32 v1, v1
	v_and_b32_e32 v60, 63, v0
	s_mov_b32 s33, s37
	v_and_b32_e32 v62, 15, v0
	v_readfirstlane_b32 s9, v1
	s_mul_i32 s8, s8, s9
	s_mul_hi_u32 s8, s9, s8
	s_add_i32 s9, s9, s8
	s_mul_hi_u32 s8, s7, s9
	s_mul_i32 s9, s8, s10
	s_sub_i32 s7, s7, s9
	s_add_i32 s11, s8, 1
	s_sub_i32 s9, s7, s10
	s_cmp_ge_u32 s7, s10
	s_cselect_b32 s8, s11, s8
	s_cselect_b32 s7, s9, s7
	s_add_i32 s9, s8, 1
	s_cmp_ge_u32 s7, s10
	s_cselect_b32 s7, s9, s8
	s_xor_b32 s7, s7, s6
	s_sub_i32 s34, s7, s6
	s_mul_i32 s6, s34, s37
	s_ashr_i32 s35, s34, 31
	s_sub_i32 s51, s3, s6
	s_lshl_b64 s[6:7], s[34:35], 2
	s_add_u32 s8, s22, s6
	s_addc_u32 s9, s23, s7
	s_add_u32 s4, s4, s6
	s_addc_u32 s5, s5, s7
	s_abs_i32 s3, s38
	v_cvt_f32_u32_e32 v1, s3
	s_load_dwordx2 s[44:45], s[8:9], 0x0
	s_load_dwordx2 s[22:23], s[0:1], 0x80
	s_load_dwordx4 s[40:43], s[0:1], 0x70
	s_sub_i32 s1, 0, s3
	v_rcp_iflag_f32_e32 v1, v1
	s_load_dword s57, s[4:5], 0x0
	s_waitcnt lgkmcnt(0)
	s_sub_i32 s48, s45, s44
	s_ashr_i32 s0, s48, 31
	v_mul_f32_e32 v1, 0x4f7ffffe, v1
	v_cvt_u32_f32_e32 v1, v1
	s_lshr_b32 s0, s0, 26
	s_add_i32 s0, s48, s0
	s_ashr_i32 s55, s0, 6
	v_readfirstlane_b32 s6, v1
	s_mul_i32 s1, s1, s6
	s_mul_hi_u32 s1, s6, s1
	s_add_i32 s6, s6, s1
	s_mul_hi_u32 s1, s10, s6
	s_mul_i32 s6, s1, s3
	s_ashr_i32 s0, s38, 31
	s_sub_i32 s6, s10, s6
	s_xor_b32 s0, s50, s0
	s_add_i32 s7, s1, 1
	s_sub_i32 s8, s6, s3
	s_cmp_ge_u32 s6, s3
	s_cselect_b32 s1, s7, s1
	s_cselect_b32 s6, s8, s6
	s_add_i32 s7, s1, 1
	s_cmp_ge_u32 s6, s3
	s_cselect_b32 s1, s7, s1
	s_xor_b32 s1, s1, s0
	s_sub_i32 s1, s1, s0
	s_abs_i32 s3, s1
	v_cvt_f32_u32_e32 v1, s3
	s_sub_i32 s5, 0, s3
	s_abs_i32 s4, s51
	s_xor_b32 s1, s51, s1
	v_rcp_iflag_f32_e32 v1, v1
	s_ashr_i32 s1, s1, 31
	s_mov_b32 s0, 0
	s_mov_b32 s14, s0
	v_mul_f32_e32 v1, 0x4f7ffffe, v1
	v_cvt_u32_f32_e32 v1, v1
	s_mov_b32 s15, s0
	s_mov_b32 s8, s0
	;; [unrolled: 1-line block ×3, first 2 shown]
	v_readfirstlane_b32 s6, v1
	s_mul_i32 s5, s5, s6
	s_mul_hi_u32 s5, s6, s5
	s_add_i32 s6, s6, s5
	s_mul_hi_u32 s5, s4, s6
	s_mul_i32 s6, s5, s3
	s_sub_i32 s4, s4, s6
	s_add_i32 s6, s5, 1
	s_sub_i32 s7, s4, s3
	s_cmp_ge_u32 s4, s3
	s_cselect_b32 s5, s6, s5
	s_cselect_b32 s4, s7, s4
	s_add_i32 s6, s5, 1
	s_cmp_ge_u32 s4, s3
	s_cselect_b32 s3, s6, s5
	s_xor_b32 s3, s3, s1
	s_sub_i32 s58, s3, s1
	v_or_b32_e32 v1, v18, v59
	s_lshl_b32 s46, s2, 5
	s_mov_b32 s1, s0
	s_mov_b32 s2, s0
	;; [unrolled: 1-line block ×11, first 2 shown]
	v_mov_b64_e32 v[16:17], s[14:15]
	v_or_b32_e32 v65, 64, v1
	s_cmp_lt_i32 s48, 64
	v_mov_b64_e32 v[14:15], s[12:13]
	v_mov_b64_e32 v[12:13], s[10:11]
	;; [unrolled: 1-line block ×7, first 2 shown]
	s_mul_hi_i32 s59, s51, s36
	s_mul_i32 s60, s51, s36
	v_lshrrev_b32_e32 v64, 3, v60
	v_lshlrev_b32_e32 v63, 3, v0
	s_mul_i32 s52, s34, s41
	s_mul_hi_u32 s53, s34, s40
	s_mul_i32 s54, s35, s40
	s_mul_i32 s12, s34, s40
	s_cbranch_scc1 .LBB373_19
; %bb.1:
	s_ashr_i32 s40, s51, 31
	s_ashr_i32 s1, s44, 31
	s_add_u32 s0, s60, s44
	s_addc_u32 s1, s59, s1
	s_lshl_b64 s[0:1], s[0:1], 8
	v_and_b32_e32 v9, 56, v63
	s_add_u32 s0, s26, s0
	v_lshl_or_b32 v5, v58, 3, v64
	v_lshlrev_b32_e32 v2, 1, v9
	s_addc_u32 s1, s27, s1
	v_lshl_or_b32 v13, v5, 8, v2
	s_and_b32 s1, s1, 0xffff
	s_mov_b32 s3, 0x20000
	s_movk_i32 s2, 0x4000
	s_movk_i32 s4, 0x80
	v_or_b32_e32 v17, 0x2000, v13
	buffer_load_dwordx4 v[20:23], v13, s[0:3], 0 offen
	buffer_load_dwordx4 v[24:27], v13, s[0:3], s4 offen
	;; [unrolled: 1-line block ×4, first 2 shown]
	v_lshlrev_b32_e32 v3, 3, v5
	v_and_or_b32 v6, v0, 7, v3
	v_and_b32_e32 v3, 0x78, v3
	v_lshlrev_b32_e32 v6, 4, v6
	v_xor_b32_e32 v66, v6, v3
	v_mul_lo_u32 v4, v5, s39
	v_or_b32_e32 v67, 0x1000, v66
	v_xor_b32_e32 v3, 8, v66
	s_cmpk_eq_i32 s39, 0x80
	s_mov_b32 s49, s44
	v_xor_b32_e32 v6, 8, v67
	s_cselect_b64 s[0:1], -1, 0
	s_cmpk_lg_i32 s39, 0x80
	s_waitcnt vmcnt(3)
	ds_write_b64 v66, v[20:21] offset:24576
	ds_write_b64 v3, v[22:23] offset:24576
	s_waitcnt vmcnt(2)
	ds_write_b64 v66, v[24:25] offset:32768
	ds_write_b64 v3, v[26:27] offset:32768
	;; [unrolled: 3-line block ×4, first 2 shown]
	v_lshl_add_u32 v3, v4, 1, v9
	s_cbranch_scc0 .LBB373_3
; %bb.2:
	v_lshlrev_b32_e32 v6, 1, v3
	v_add_lshl_u32 v4, v3, s39, 1
	s_lshl_b32 s6, s39, 7
	v_lshl_or_b32 v2, v5, 9, v2
	s_cbranch_execz .LBB373_4
	s_branch .LBB373_5
.LBB373_3:
                                        ; implicit-def: $vgpr4
                                        ; implicit-def: $vgpr6
                                        ; implicit-def: $sgpr6
	v_lshl_or_b32 v2, v5, 9, v2
.LBB373_4:
	v_or_b32_e32 v4, 0x100, v2
	s_movk_i32 s6, 0x4000
	v_mov_b32_e32 v6, v2
.LBB373_5:
	s_mul_i32 s2, s44, s38
	s_ashr_i32 s41, s58, 31
	s_mul_hi_i32 s3, s44, s38
	s_add_u32 s2, s2, s58
	s_addc_u32 s3, s3, s41
	s_lshl_b64 s[2:3], s[2:3], 8
	s_add_u32 s4, s24, s2
	s_addc_u32 s2, s25, s3
	s_and_b32 s5, s2, 0xffff
	s_mov_b32 s7, 0x20000
	s_movk_i32 s56, 0x80
	buffer_load_dwordx4 v[20:23], v6, s[4:7], 0 offen
	buffer_load_dwordx4 v[24:27], v6, s[4:7], s56 offen
	;; [unrolled: 1-line block ×4, first 2 shown]
	v_and_b32_e32 v4, 6, v0
	v_lshlrev_b32_e32 v8, 6, v1
	v_or_b32_e32 v11, 16, v62
	v_xor_b32_e32 v12, v5, v4
	v_and_b32_e32 v6, 1, v0
	v_lshl_or_b32 v16, v62, 3, v8
	v_lshl_or_b32 v8, v11, 3, v8
	v_lshlrev_b32_e32 v12, 2, v12
	v_lshlrev_b32_e32 v7, 2, v62
	s_mul_i32 s2, s51, s43
	s_mul_hi_u32 s3, s51, s42
	v_or_b32_e32 v70, 0xa000, v8
	v_or_b32_e32 v71, 0xb000, v8
	v_xor_b32_e32 v8, 0x440, v12
	v_cmp_eq_u32_e32 vcc, 0, v6
	s_add_i32 s5, s53, s52
	s_mul_i32 s4, s40, s42
	v_xor_b32_e32 v14, v1, v7
	v_xor_b32_e32 v15, v65, v7
	v_cndmask_b32_e32 v6, v8, v12, vcc
	s_add_i32 s2, s3, s2
	s_add_i32 s13, s5, s54
	s_mov_b32 s61, 0x1000504
	v_lshlrev_b32_e32 v10, 8, v62
	v_lshlrev_b32_e32 v11, 8, v11
	;; [unrolled: 1-line block ×4, first 2 shown]
	v_lshl_or_b32 v4, v4, 10, v6
	s_add_i32 s3, s2, s4
	s_lshl_b64 s[4:5], s[12:13], 2
	s_mov_b32 s62, 0x3020706
	v_or_b32_e32 v68, 0xa000, v16
	v_or_b32_e32 v69, 0xb000, v16
	;; [unrolled: 1-line block ×5, first 2 shown]
	v_xor_b32_e32 v6, 8, v4
	v_xor_b32_e32 v10, 24, v4
	;; [unrolled: 1-line block ×4, first 2 shown]
	s_mul_i32 s2, s51, s42
	s_add_u32 s4, s30, s4
	v_or_b32_e32 v74, v11, v14
	v_xor_b32_e32 v8, 16, v4
	v_xor_b32_e32 v11, 32, v4
	;; [unrolled: 1-line block ×3, first 2 shown]
	v_add_u32_e32 v6, 0x80, v6
	v_add_u32_e32 v10, 0x80, v10
	v_add_u32_e32 v12, 0x80, v12
	v_add_u32_e32 v15, 0x80, v15
	s_addc_u32 s5, s31, s5
	s_lshl_b64 s[2:3], s[2:3], 2
	s_add_u32 s2, s4, s2
	s_movk_i32 s4, 0xf8
	s_addc_u32 s3, s5, s3
	s_ashr_i32 s47, s46, 31
	s_lshl_b32 s10, s39, 7
	s_movk_i32 s8, 0x100
	v_mov_b32_e32 v51, 0
	v_lshlrev_b32_e32 v50, 4, v62
	v_cmp_gt_u32_e32 vcc, s8, v0
	s_mov_b32 s63, 0
	s_movk_i32 s13, 0x1000
	s_movk_i32 s6, 0x4000
	v_add_u32_e32 v93, v59, v18
	v_mov_b32_e32 v98, 0x3fb8aa3b
	v_mov_b32_e32 v100, v51
	;; [unrolled: 1-line block ×5, first 2 shown]
	s_waitcnt vmcnt(1)
	v_perm_b32 v16, v20, v28, s61
	s_waitcnt vmcnt(0)
	v_perm_b32 v19, v24, v32, s61
	v_perm_b32 v20, v20, v28, s62
	;; [unrolled: 1-line block ×15, first 2 shown]
	ds_write2st64_b32 v4, v16, v19 offset0:32 offset1:64
	ds_write2st64_b32 v6, v20, v24 offset0:32 offset1:64
	;; [unrolled: 1-line block ×8, first 2 shown]
	v_or_b32_e32 v4, v59, v62
	v_lshlrev_b32_e32 v4, 3, v4
	v_lshrrev_b32_e32 v10, 5, v60
	v_and_or_b32 v10, v4, s4, v10
	v_lshlrev_b32_e32 v8, 11, v58
	v_lshlrev_b32_e32 v10, 4, v10
	v_and_b32_e32 v4, 0x78, v4
	v_and_b32_e32 v6, 0x1000, v8
	v_xor_b32_e32 v11, v10, v4
	v_lshrrev_b32_e32 v12, 1, v0
	v_or_b32_e32 v11, v11, v6
	v_and_b32_e32 v14, 8, v12
	v_xor_b32_e32 v76, v11, v14
	v_or_b32_e32 v11, 32, v10
	v_xor_b32_e32 v11, v11, v4
	v_or_b32_e32 v11, v11, v6
	;; [unrolled: 2-line block ×4, first 2 shown]
	s_lshl_b64 s[4:5], s[46:47], 8
	v_or_b32_e32 v11, v11, v6
	v_xor_b32_e32 v4, v10, v4
	s_add_u32 s4, s16, s4
	v_lshlrev_b32_e32 v10, 1, v62
	v_xor_b32_e32 v80, v11, v14
	v_lshrrev_b32_e32 v19, 4, v0
	s_addc_u32 s5, s17, s5
	v_or_b32_e32 v11, 1, v10
	v_mov_b32_e32 v23, 0x4000
	v_mov_b32_e32 v24, 0x2000
	v_xor_b32_e32 v20, v19, v10
	v_xor_b32_e32 v21, v11, v19
	v_lshl_add_u64 v[10:11], s[4:5], 0, v[50:51]
	v_lshlrev_b32_e32 v50, 8, v19
	v_cndmask_b32_e32 v23, v23, v24, vcc
	v_lshlrev_b32_e32 v24, 3, v58
	v_and_b32_e32 v12, 24, v12
	v_lshl_or_b32 v84, v20, 3, v50
	v_and_b32_e32 v20, 8, v0
	v_xor_b32_e32 v25, v24, v12
	v_or_b32_e32 v26, 0x440, v25
	v_cmp_eq_u32_e32 vcc, 0, v20
	v_and_b32_e32 v19, 7, v0
	v_lshlrev_b32_e32 v15, 7, v61
	v_cndmask_b32_e32 v20, v26, v25, vcc
	v_lshl_or_b32 v85, v21, 3, v50
	v_lshlrev_b32_e32 v21, 3, v19
	v_lshlrev_b32_e32 v19, 7, v19
	;; [unrolled: 1-line block ×3, first 2 shown]
	v_or_b32_e32 v20, v20, v8
	v_or_b32_e32 v7, v15, v7
	v_xad_u32 v86, v20, v21, v19
	v_and_or_b32 v15, v22, 60, v15
	v_mov_b32_e32 v20, 0xb000
	v_lshl_or_b32 v87, v15, 1, v20
	v_or_b32_e32 v15, 32, v12
	v_xor_b32_e32 v15, v24, v15
	v_or_b32_e32 v20, 0x440, v15
	v_cndmask_b32_e32 v15, v20, v15, vcc
	v_or_b32_e32 v15, v15, v8
	v_xad_u32 v88, v15, v21, v19
	v_or_b32_e32 v15, 64, v12
	v_xor_b32_e32 v15, v24, v15
	v_xor_b32_e32 v20, 0x440, v15
	v_cndmask_b32_e32 v15, v20, v15, vcc
	v_or_b32_e32 v12, 0x60, v12
	v_or_b32_e32 v15, v15, v8
	v_xor_b32_e32 v12, v24, v12
	v_xad_u32 v89, v15, v21, v19
	v_xor_b32_e32 v15, 0x440, v12
	v_lshlrev_b32_e32 v7, 1, v7
	v_or_b32_e32 v4, v4, v6
	v_or_b32_e32 v6, s46, v62
	v_cndmask_b32_e32 v12, v15, v12, vcc
	v_or_b32_e32 v77, 0xa000, v7
	v_or_b32_e32 v79, 0xa080, v7
	v_xor_b32_e32 v81, v4, v14
	v_or_b32_e32 v82, 0xb000, v7
	v_or_b32_e32 v83, 0xb080, v7
	v_ashrrev_i32_e32 v7, 31, v6
	v_lshlrev_b32_e32 v14, 1, v3
	v_add_lshl_u32 v3, v3, s39, 1
	v_or_b32_e32 v16, 0x100, v2
	v_or_b32_e32 v8, v12, v8
	v_lshlrev_b32_e32 v4, 7, v1
	v_xad_u32 v90, v8, v21, v19
	v_cndmask_b32_e64 v91, v14, v2, s[0:1]
	v_cndmask_b32_e64 v92, v3, v16, s[0:1]
	v_lshlrev_b64 v[2:3], 1, v[6:7]
	v_lshl_add_u64 v[52:53], s[28:29], 0, v[2:3]
	v_lshl_add_u64 v[54:55], s[18:19], 0, v[2:3]
	;; [unrolled: 1-line block ×3, first 2 shown]
	s_mov_b32 s47, 0x7060302
	v_lshlrev_b32_e32 v50, 1, v4
	v_add_u32_e32 v94, v23, v86
	v_add_u32_e32 v95, v23, v88
	;; [unrolled: 1-line block ×4, first 2 shown]
	v_mov_b32_e32 v2, v51
	v_mov_b32_e32 v3, v51
	;; [unrolled: 1-line block ×12, first 2 shown]
	s_waitcnt lgkmcnt(0)
	s_barrier
.LBB373_6:                              ; =>This Inner Loop Header: Depth=1
	s_add_i32 s64, s63, 1
	s_cmp_lt_i32 s64, s55
	s_mov_b64 s[8:9], 0
	s_cselect_b64 s[14:15], -1, 0
	s_cmp_ge_i32 s64, s55
	s_mov_b64 s[4:5], 0
	s_cbranch_scc1 .LBB373_8
; %bb.7:                                ;   in Loop: Header=BB373_6 Depth=1
	s_add_i32 s0, s49, 64
	s_ashr_i32 s1, s0, 31
	s_add_u32 s0, s60, s0
	s_addc_u32 s1, s59, s1
	s_lshl_b64 s[0:1], s[0:1], 8
	s_add_u32 s4, s26, s0
	s_addc_u32 s5, s27, s1
.LBB373_8:                              ;   in Loop: Header=BB373_6 Depth=1
	v_cndmask_b32_e64 v18, 0, 1, s[14:15]
	v_cmp_ne_u32_e64 s[0:1], 1, v18
	s_andn2_b64 vcc, exec, s[14:15]
	s_cbranch_vccnz .LBB373_10
; %bb.9:                                ;   in Loop: Header=BB373_6 Depth=1
	s_add_i32 s8, s49, 64
	s_mul_hi_i32 s9, s8, s38
	s_mul_i32 s8, s8, s38
	s_add_u32 s8, s8, s58
	s_addc_u32 s9, s9, s41
	s_lshl_b64 s[8:9], s[8:9], 8
	s_add_u32 s8, s24, s8
	s_addc_u32 s9, s25, s9
.LBB373_10:                             ;   in Loop: Header=BB373_6 Depth=1
	v_perm_b32 v19, v100, v4, s47
	v_perm_b32 v18, v3, v2, s47
	;; [unrolled: 1-line block ×4, first 2 shown]
	ds_write_b64 v68, v[18:19]
	ds_write_b64 v69, v[20:21]
	ds_write_b64 v72, v[18:19]
	ds_write_b64 v73, v[20:21]
	v_perm_b32 v19, v102, v12, s47
	v_perm_b32 v18, v11, v10, s47
	;; [unrolled: 1-line block ×4, first 2 shown]
	ds_write_b64 v70, v[18:19]
	ds_write_b64 v71, v[20:21]
	ds_write_b64 v74, v[18:19]
	ds_write_b64 v75, v[20:21]
	s_waitcnt lgkmcnt(0)
	s_barrier
	ds_read_b64 v[22:23], v76 offset:24576
	ds_read2_b64 v[18:21], v77 offset1:16
	ds_read_b64 v[26:27], v79 offset:3072
	ds_read_b64 v[28:29], v77 offset:3072
	;; [unrolled: 1-line block ×3, first 2 shown]
	s_waitcnt lgkmcnt(3)
	v_mfma_f32_16x16x16_bf16 a[0:3], v[22:23], v[18:19], 0
	s_add_i32 s11, s49, 63
	s_ashr_i32 s14, s11, 31
	s_mul_i32 s15, s11, s23
	v_mfma_f32_16x16x16_bf16 a[4:7], v[22:23], v[20:21], 0
	ds_read2st64_b64 v[18:21], v77 offset0:2 offset1:4
	s_mul_hi_u32 s65, s11, s22
	s_add_i32 s15, s65, s15
	s_waitcnt lgkmcnt(0)
	v_mfma_f32_16x16x16_bf16 a[0:3], v[30:31], v[18:19], a[0:3]
	ds_read2st64_b64 v[22:25], v79 offset0:2 offset1:4
	ds_read_b64 v[18:19], v80 offset:24576
	s_mul_i32 s14, s14, s22
	s_add_i32 s15, s15, s14
	s_waitcnt lgkmcnt(1)
	v_mfma_f32_16x16x16_bf16 a[4:7], v[30:31], v[22:23], a[4:7]
	ds_read_b64 v[22:23], v81 offset:24576
	s_mul_i32 s14, s11, s22
	s_lshl_b64 s[14:15], s[14:15], 2
	s_waitcnt lgkmcnt(1)
	v_mfma_f32_16x16x16_bf16 a[0:3], v[18:19], v[20:21], a[0:3]
	s_add_u32 s14, s2, s14
	s_addc_u32 s15, s3, s15
	s_and_b64 vcc, exec, s[0:1]
	v_mfma_f32_16x16x16_bf16 a[8:11], v[18:19], v[24:25], a[4:7]
	v_mov_b32_e32 v105, 0
	v_mov_b32_e32 v104, 0
	;; [unrolled: 1-line block ×3, first 2 shown]
	s_waitcnt lgkmcnt(0)
	v_mfma_f32_16x16x16_bf16 a[4:7], v[22:23], v[28:29], a[0:3]
	v_mov_b32_e32 v18, 0
	v_mov_b32_e32 v19, 0
	;; [unrolled: 1-line block ×3, first 2 shown]
	v_mfma_f32_16x16x16_bf16 a[0:3], v[22:23], v[26:27], a[8:11]
	v_mov_b32_e32 v21, 0
	v_mov_b32_e32 v22, 0
	;; [unrolled: 1-line block ×13, first 2 shown]
	s_cbranch_vccnz .LBB373_12
; %bb.11:                               ;   in Loop: Header=BB373_6 Depth=1
	s_and_b32 s5, s5, 0xffff
	buffer_load_dwordx4 v[30:33], v13, s[4:7], 0 offen
	buffer_load_dwordx4 v[26:29], v13, s[4:7], s56 offen
	;; [unrolled: 1-line block ×4, first 2 shown]
	v_mov_b32_e32 v104, v66
	v_mov_b32_e32 v103, v67
.LBB373_12:                             ;   in Loop: Header=BB373_6 Depth=1
	ds_read_b64 v[42:43], v76 offset:32768
	ds_read2_b64 v[34:37], v82 offset1:16
	ds_read_b64 v[44:45], v78 offset:32768
	ds_read_b64 v[46:47], v80 offset:32768
	ds_read_b64 v[48:49], v81 offset:32768
	v_add_u32_e32 v106, s49, v93
	s_waitcnt lgkmcnt(3)
	v_mfma_f32_16x16x16_bf16 a[4:7], v[42:43], v[34:35], a[4:7]
	v_ashrrev_i32_e32 v34, 31, v106
	ds_read2st64_b64 v[38:41], v82 offset0:2 offset1:4
	v_mfma_f32_16x16x16_bf16 a[0:3], v[42:43], v[36:37], a[0:3]
	v_mul_lo_u32 v36, v34, s22
	v_mul_lo_u32 v37, v106, s23
	v_mad_u64_u32 v[34:35], s[4:5], v106, s22, 0
	v_add3_u32 v35, v35, v37, v36
	v_add_u32_e32 v36, 1, v106
	v_ashrrev_i32_e32 v37, 31, v36
	v_mul_lo_u32 v42, v37, s22
	v_mul_lo_u32 v43, v36, s23
	v_mad_u64_u32 v[36:37], s[4:5], v36, s22, 0
	v_add3_u32 v37, v37, v43, v42
	v_add_u32_e32 v42, 2, v106
	v_ashrrev_i32_e32 v43, 31, v42
	v_mul_lo_u32 v107, v43, s22
	v_mul_lo_u32 v108, v42, s23
	v_mad_u64_u32 v[42:43], s[4:5], v42, s22, 0
	v_add_u32_e32 v106, 3, v106
	v_add3_u32 v43, v43, v108, v107
	v_ashrrev_i32_e32 v107, 31, v106
	v_mul_lo_u32 v108, v107, s22
	v_mul_lo_u32 v109, v106, s23
	v_mad_u64_u32 v[106:107], s[4:5], v106, s22, 0
	s_ashr_i32 s5, s49, 31
	v_add3_u32 v107, v107, v109, v108
	s_add_u32 s4, s60, s49
	v_lshl_add_u64 v[34:35], v[34:35], 2, s[2:3]
	v_lshl_add_u64 v[106:107], v[106:107], 2, s[2:3]
	s_addc_u32 s5, s59, s5
	v_lshl_add_u64 v[36:37], v[36:37], 2, s[2:3]
	v_lshl_add_u64 v[42:43], v[42:43], 2, s[2:3]
	global_load_dword v108, v[34:35], off
	global_load_dword v109, v[36:37], off
	global_load_dword v110, v[42:43], off
	s_nop 0
	global_load_dword v106, v[106:107], off
	s_lshl_b64 s[66:67], s[4:5], 8
	v_lshl_add_u64 v[34:35], v[52:53], 0, s[66:67]
	v_lshl_add_u64 v[42:43], v[34:35], 0, v[50:51]
	global_load_ushort v107, v[42:43], off offset:256
	global_load_ushort v111, v[42:43], off
	ds_read2st64_b64 v[34:37], v83 offset0:2 offset1:4
	global_load_ushort v112, v[42:43], off offset:768
	global_load_ushort v113, v[42:43], off offset:512
	;; [unrolled: 1-line block ×6, first 2 shown]
	s_waitcnt lgkmcnt(1)
	v_mfma_f32_16x16x16_bf16 a[4:7], v[44:45], v[38:39], a[4:7]
	s_and_b64 vcc, exec, s[0:1]
	s_waitcnt vmcnt(7)
	v_lshlrev_b32_e32 v43, 16, v107
	s_waitcnt lgkmcnt(0)
	v_mfma_f32_16x16x16_bf16 a[0:3], v[44:45], v[34:35], a[0:3]
	v_mfma_f32_16x16x16_bf16 a[4:7], v[46:47], v[40:41], a[4:7]
	;; [unrolled: 1-line block ×3, first 2 shown]
	ds_read_b64 v[34:35], v82 offset:3072
	ds_read_b64 v[36:37], v83 offset:3072
	s_load_dword s4, s[14:15], 0x0
	s_waitcnt lgkmcnt(0)
	v_sub_f32_e32 v42, s4, v108
	v_mfma_f32_16x16x16_bf16 a[4:7], v[48:49], v[34:35], a[4:7]
	v_sub_f32_e32 v45, s4, v109
	v_sub_f32_e32 v46, s4, v110
	v_sub_f32_e32 v47, s4, v106
	v_mul_f32_e32 v44, 0x3fb8aa3b, v42
	v_mul_f32_e32 v45, 0x3fb8aa3b, v45
	;; [unrolled: 1-line block ×4, first 2 shown]
	v_mfma_f32_16x16x16_bf16 a[0:3], v[48:49], v[36:37], a[0:3]
	v_accvgpr_read_b32 v41, a5
	v_exp_f32_e32 v44, v44
	v_exp_f32_e32 v45, v45
	v_exp_f32_e32 v46, v46
	v_exp_f32_e32 v47, v47
	v_accvgpr_read_b32 v40, a4
	s_waitcnt vmcnt(6)
	v_lshlrev_b32_e32 v42, 16, v111
	v_lshl_add_u64 v[34:35], v[54:55], 0, s[66:67]
	v_accvgpr_read_b32 v37, a7
	v_accvgpr_read_b32 v36, a6
	v_pk_add_f32 v[40:41], v[42:43], v[40:41] neg_lo:[0,1] neg_hi:[0,1]
	s_waitcnt vmcnt(5)
	v_lshlrev_b32_e32 v43, 16, v112
	s_waitcnt vmcnt(4)
	v_lshlrev_b32_e32 v42, 16, v113
	v_lshl_add_u64 v[34:35], v[34:35], 0, v[50:51]
	v_pk_add_f32 v[36:37], v[42:43], v[36:37] neg_lo:[0,1] neg_hi:[0,1]
	global_store_short_d16_hi v[34:35], v40, off
	global_store_short_d16_hi v[34:35], v41, off offset:256
	global_store_short_d16_hi v[34:35], v36, off offset:512
	;; [unrolled: 1-line block ×3, first 2 shown]
	v_pk_mul_f32 v[40:41], v[44:45], v[40:41]
	v_pk_mul_f32 v[36:37], v[46:47], v[36:37]
	v_accvgpr_read_b32 v43, a1
	v_perm_b32 v37, v37, v36, s47
	v_perm_b32 v36, v41, v40, s47
	s_waitcnt vmcnt(5)
	v_lshlrev_b32_e32 v41, 16, v116
	s_waitcnt vmcnt(4)
	v_lshlrev_b32_e32 v40, 16, v117
	v_accvgpr_read_b32 v42, a0
	v_accvgpr_read_b32 v39, a3
	;; [unrolled: 1-line block ×3, first 2 shown]
	v_pk_add_f32 v[40:41], v[40:41], v[42:43] neg_lo:[0,1] neg_hi:[0,1]
	v_lshlrev_b32_e32 v43, 16, v114
	v_lshlrev_b32_e32 v42, 16, v115
	v_pk_add_f32 v[38:39], v[42:43], v[38:39] neg_lo:[0,1] neg_hi:[0,1]
	global_store_short_d16_hi v[34:35], v40, off offset:32
	global_store_short_d16_hi v[34:35], v41, off offset:288
	;; [unrolled: 1-line block ×4, first 2 shown]
	v_pk_mul_f32 v[34:35], v[44:45], v[40:41]
	v_pk_mul_f32 v[38:39], v[46:47], v[38:39]
	v_mov_b32_e32 v106, 0
	v_perm_b32 v39, v39, v38, s47
	v_perm_b32 v38, v35, v34, s47
	ds_write2_b64 v69, v[36:37], v[38:39] offset1:16
	v_mov_b32_e32 v34, 0
	v_mov_b32_e32 v35, 0
	;; [unrolled: 1-line block ×16, first 2 shown]
	s_cbranch_vccnz .LBB373_14
; %bb.13:                               ;   in Loop: Header=BB373_6 Depth=1
	s_and_b32 s9, s9, 0xffff
	s_mov_b32 s11, s7
	buffer_load_dwordx4 v[46:49], v91, s[8:11], 0 offen
	buffer_load_dwordx4 v[38:41], v91, s[8:11], s56 offen
	;; [unrolled: 1-line block ×4, first 2 shown]
	v_mov_b32_e32 v105, v9
	v_mov_b32_e32 v106, v5
.LBB373_14:                             ;   in Loop: Header=BB373_6 Depth=1
	s_waitcnt lgkmcnt(0)
	s_barrier
	ds_read_b64 v[112:113], v94
	ds_read_b64 v[120:121], v87
	;; [unrolled: 1-line block ×5, first 2 shown]
	ds_read_b64 v[126:127], v88 offset:16384
	ds_read_b64 v[128:129], v86 offset:16384
	ds_read2_b64 v[108:111], v82 offset0:16 offset1:128
	s_waitcnt lgkmcnt(6)
	v_mfma_f32_16x16x16_bf16 a[0:3], v[112:113], v[120:121], 0
	ds_read_b64 v[130:131], v83 offset:3072
	ds_read_b64 v[132:133], v90 offset:16384
	s_add_i32 s5, s57, s63
	s_waitcnt lgkmcnt(2)
	v_mfma_f32_16x16x16_bf16 a[4:7], v[112:113], v[108:109], 0
	ds_read2st64_b64 v[112:115], v83 offset0:2 offset1:4
	s_mul_hi_i32 s9, s5, s33
	s_mul_i32 s5, s5, s33
	v_mfma_f32_16x16x16_bf16 a[0:3], v[116:117], v[110:111], a[0:3]
	s_add_u32 s8, s5, s51
	s_addc_u32 s9, s9, s40
	s_lshl_b64 s[8:9], s[8:9], 15
	s_waitcnt lgkmcnt(0)
	v_mfma_f32_16x16x16_bf16 a[4:7], v[116:117], v[112:113], a[4:7]
	ds_read2st64_b64 v[116:119], v82 offset0:4 offset1:6
	s_waitcnt lgkmcnt(0)
	v_mfma_f32_16x16x16_bf16 a[0:3], v[122:123], v[116:117], a[0:3]
	v_mfma_f32_16x16x16_bf16 a[8:11], v[122:123], v[114:115], a[4:7]
	;; [unrolled: 1-line block ×5, first 2 shown]
	ds_read2st64_b64 v[120:123], v85 offset1:8
	v_mfma_f32_16x16x16_bf16 a[12:15], v[128:129], v[108:109], 0
	ds_read_b64 v[128:129], v89 offset:16384
	v_mfma_f32_16x16x16_bf16 a[8:11], v[126:127], v[110:111], a[8:11]
	ds_read2st64_b64 v[108:111], v84 offset1:8
	s_waitcnt lgkmcnt(0)
	v_mov_b32_e32 v124, v108
	v_mfma_f32_16x16x16_bf16 a[12:15], v[126:127], v[112:113], a[12:15]
	v_lshl_add_u64 v[112:113], v[56:57], 0, s[8:9]
	v_add_co_u32_e32 v108, vcc, s13, v112
	v_mfma_f32_16x16x16_bf16 a[8:11], v[128:129], v[116:117], a[8:11]
	v_mov_b32_e32 v125, v109
	v_addc_co_u32_e32 v109, vcc, 0, v113, vcc
	v_mfma_f32_16x16x16_bf16 a[12:15], v[128:129], v[114:115], a[12:15]
	v_mov_b32_e32 v126, v120
	v_mov_b32_e32 v127, v121
	;; [unrolled: 1-line block ×3, first 2 shown]
	v_mfma_f32_16x16x16_bf16 a[8:11], v[132:133], v[118:119], a[8:11]
	v_mov_b32_e32 v121, v111
	s_and_b64 vcc, exec, s[0:1]
	global_store_dwordx4 v[112:113], v[124:127], off
	v_mfma_f32_16x16x16_bf16 a[12:15], v[132:133], v[130:131], a[12:15]
	global_store_dwordx4 v[108:109], v[120:123], off
	s_cbranch_vccnz .LBB373_16
; %bb.15:                               ;   in Loop: Header=BB373_6 Depth=1
	v_lshrrev_b32_e32 v107, 3, v105
	v_and_b32_e32 v107, 6, v107
	v_xor_b32_e32 v106, v107, v106
	v_lshlrev_b32_e32 v106, 2, v106
	v_and_b32_e32 v105, 8, v105
	v_xor_b32_e32 v108, 0x440, v106
	v_cmp_eq_u32_e32 vcc, 0, v105
	s_barrier
	s_nop 0
	v_cndmask_b32_e32 v105, v108, v106, vcc
	v_lshl_or_b32 v105, v107, 10, v105
	s_waitcnt vmcnt(3)
	v_perm_b32 v106, v46, v42, s61
	s_waitcnt vmcnt(2)
	v_perm_b32 v107, v38, v34, s61
	ds_write2st64_b32 v105, v106, v107 offset0:32 offset1:64
	v_xor_b32_e32 v106, 8, v105
	v_perm_b32 v42, v46, v42, s62
	v_perm_b32 v34, v38, v34, s62
	v_add_u32_e32 v38, 0x80, v106
	ds_write2st64_b32 v38, v42, v34 offset0:32 offset1:64
	v_xor_b32_e32 v34, 16, v105
	v_perm_b32 v38, v47, v43, s61
	v_perm_b32 v42, v39, v35, s61
	ds_write2st64_b32 v34, v38, v42 offset0:33 offset1:65
	v_xor_b32_e32 v34, 24, v105
	v_perm_b32 v38, v47, v43, s62
	v_perm_b32 v35, v39, v35, s62
	v_add_u32_e32 v34, 0x80, v34
	ds_write2st64_b32 v34, v38, v35 offset0:33 offset1:65
	v_xor_b32_e32 v34, 32, v105
	v_perm_b32 v35, v48, v44, s61
	;; [unrolled: 9-line block ×3, first 2 shown]
	v_perm_b32 v36, v41, v37, s61
	ds_write2st64_b32 v34, v35, v36 offset0:35 offset1:67
	v_xor_b32_e32 v34, 56, v105
	v_perm_b32 v35, v49, v45, s62
	v_perm_b32 v36, v41, v37, s62
	v_add_u32_e32 v34, 0x80, v34
	ds_write2st64_b32 v34, v35, v36 offset0:35 offset1:67
	ds_write_b64 v104, v[30:31] offset:24576
	v_xor_b32_e32 v30, 8, v104
	ds_write_b64 v30, v[32:33] offset:24576
	ds_write_b64 v104, v[26:27] offset:32768
	;; [unrolled: 1-line block ×4, first 2 shown]
	v_xor_b32_e32 v22, 8, v103
	ds_write_b64 v22, v[24:25] offset:24576
	ds_write_b64 v103, v[18:19] offset:32768
	;; [unrolled: 1-line block ×3, first 2 shown]
.LBB373_16:                             ;   in Loop: Header=BB373_6 Depth=1
	v_mul_f32_e32 v18, s4, v98
	s_waitcnt vmcnt(2)
	v_exp_f32_e32 v34, v18
	v_accvgpr_read_b32 v33, a7
	v_accvgpr_read_b32 v25, a3
	v_accvgpr_read_b32 v29, a11
	v_accvgpr_read_b32 v21, a15
	v_accvgpr_read_b32 v32, a6
	v_accvgpr_read_b32 v31, a5
	v_accvgpr_read_b32 v30, a4
	v_accvgpr_read_b32 v24, a2
	v_accvgpr_read_b32 v23, a1
	v_accvgpr_read_b32 v22, a0
	v_accvgpr_read_b32 v28, a10
	v_accvgpr_read_b32 v27, a9
	v_accvgpr_read_b32 v26, a8
	v_accvgpr_read_b32 v20, a14
	v_accvgpr_read_b32 v19, a13
	v_accvgpr_read_b32 v18, a12
	s_add_i32 s49, s49, 64
	v_fma_f32 v2, v2, v34, v30
	v_fma_f32 v3, v3, v34, v31
	v_fma_f32 v4, v4, v34, v32
	v_fmac_f32_e32 v33, v100, v34
	v_fma_f32 v10, v10, v34, v22
	v_fma_f32 v11, v11, v34, v23
	v_fma_f32 v12, v12, v34, v24
	v_fmac_f32_e32 v25, v102, v34
	;; [unrolled: 4-line block ×3, first 2 shown]
	v_fma_f32 v14, v14, v34, v18
	v_fma_f32 v15, v15, v34, v19
	;; [unrolled: 1-line block ×3, first 2 shown]
	s_cmp_eq_u32 s55, s64
	v_fmac_f32_e32 v21, v101, v34
	s_cbranch_scc1 .LBB373_18
; %bb.17:                               ;   in Loop: Header=BB373_6 Depth=1
	s_mov_b32 s63, s64
	v_mov_b32_e32 v100, v33
	v_mov_b32_e32 v99, v29
	;; [unrolled: 1-line block ×4, first 2 shown]
	s_branch .LBB373_6
.LBB373_18:
	v_mov_b32_e32 v5, v33
	v_mov_b32_e32 v9, v29
	;; [unrolled: 1-line block ×4, first 2 shown]
.LBB373_19:
	s_lshl_b32 s2, s55, 6
	s_sub_i32 s56, s48, s2
	s_cmp_gt_i32 s56, 0
	v_or_b32_e32 v34, s46, v62
	s_cbranch_scc1 .LBB373_21
; %bb.20:
	s_ashr_i32 s9, s51, 31
	v_or_b32_e32 v18, s46, v62
	s_cbranch_execz .LBB373_22
	s_branch .LBB373_86
.LBB373_21:
                                        ; implicit-def: $vgpr18
                                        ; implicit-def: $sgpr8_sgpr9
.LBB373_22:
	s_add_i32 s8, s2, s44
	s_ashr_i32 s2, s8, 31
	s_cmpk_lg_i32 s39, 0x80
	s_cselect_b64 s[40:41], -1, 0
	s_and_b64 vcc, exec, s[40:41]
	s_cbranch_vccz .LBB373_24
; %bb.23:
	s_mul_i32 s1, s8, s38
	s_ashr_i32 s3, s58, 31
	s_mul_hi_i32 s0, s8, s38
	s_add_u32 s48, s1, s58
	s_addc_u32 s49, s0, s3
	s_cbranch_execz .LBB373_25
	s_branch .LBB373_26
.LBB373_24:
                                        ; implicit-def: $sgpr48_sgpr49
.LBB373_25:
	s_mul_i32 s1, s58, s36
	s_mul_hi_i32 s0, s58, s36
	s_add_u32 s48, s1, s8
	s_addc_u32 s49, s0, s2
.LBB373_26:
	s_add_i32 s3, s55, s57
	s_ashr_i32 s9, s51, 31
	s_add_u32 s0, s60, s8
	v_lshlrev_b32_e32 v22, 5, v1
	v_lshlrev_b32_e32 v40, 2, v62
	s_addc_u32 s1, s59, s2
	s_mov_b32 s2, 0x7060302
	v_or_b32_e32 v25, v22, v40
	v_xor_b32_e32 v23, v1, v40
	v_perm_b32 v19, v5, v4, s2
	v_perm_b32 v18, v3, v2, s2
	;; [unrolled: 1-line block ×4, first 2 shown]
	v_lshlrev_b32_e32 v25, 1, v25
	s_lshl_b64 s[10:11], s[0:1], 8
	v_xor_b32_e32 v24, v65, v40
	ds_write2st64_b64 v25, v[18:19], v[20:21] offset0:80 offset1:88
	v_lshlrev_b32_e32 v23, 1, v23
	v_lshlrev_b32_e32 v25, 8, v62
	s_add_u32 s0, s26, s10
	v_or_b32_e32 v26, v23, v25
	v_lshlrev_b32_e32 v24, 1, v24
	s_addc_u32 s1, s27, s11
	ds_write_b64 v26, v[18:19]
	v_or_b32_e32 v18, v24, v25
	v_or_b32_e32 v25, 16, v62
	s_mul_hi_i32 s4, s3, s37
	s_mul_i32 s3, s3, s37
	ds_write_b64 v18, v[20:21]
	v_perm_b32 v19, v13, v12, s2
	v_perm_b32 v18, v11, v10, s2
	;; [unrolled: 1-line block ×4, first 2 shown]
	v_lshlrev_b32_e32 v37, 2, v25
	s_add_u32 s2, s3, s51
	v_or_b32_e32 v22, v22, v37
	s_addc_u32 s3, s4, s9
	v_lshlrev_b32_e32 v22, 1, v22
	s_ashr_i32 s47, s46, 31
	s_lshl_b64 s[2:3], s[2:3], 15
	ds_write2st64_b64 v22, v[18:19], v[20:21] offset0:80 offset1:88
	v_lshlrev_b32_e32 v22, 8, v25
	s_add_u32 s4, s16, s2
	v_or_b32_e32 v23, v23, v22
	s_addc_u32 s5, s17, s3
	s_lshl_b64 s[2:3], s[46:47], 8
	ds_write_b64 v23, v[18:19]
	v_or_b32_e32 v18, v24, v22
	s_add_u32 s2, s4, s2
	ds_write_b64 v18, v[20:21]
	v_lshrrev_b32_e32 v18, 4, v0
	s_addc_u32 s3, s5, s3
	v_lshlrev_b32_e32 v19, 1, v62
	v_lshlrev_b32_e32 v26, 4, v62
	v_mov_b32_e32 v27, 0
	v_or_b32_e32 v20, 1, v19
	v_xor_b32_e32 v19, v18, v19
	v_lshl_add_u64 v[28:29], s[2:3], 0, v[26:27]
	v_lshlrev_b32_e32 v26, 8, v18
	v_xor_b32_e32 v22, v20, v18
	v_lshl_or_b32 v18, v19, 3, v26
	s_waitcnt lgkmcnt(0)
	s_barrier
	ds_read2st64_b64 v[18:21], v18 offset1:8
	v_lshl_or_b32 v22, v22, 3, v26
	ds_read2st64_b64 v[22:25], v22 offset1:8
	v_lshl_add_u64 v[30:31], v[28:29], 0, v[26:27]
	s_movk_i32 s2, 0x1000
	s_waitcnt lgkmcnt(1)
	v_mov_b32_e32 v26, v18
	v_add_co_u32_e32 v18, vcc, s2, v30
	s_cmp_lg_u32 s56, 64
	v_mov_b32_e32 v27, v19
	v_addc_co_u32_e32 v19, vcc, 0, v31, vcc
	s_cselect_b64 s[14:15], -1, 0
	v_lshl_or_b32 v35, v58, 3, v64
	s_waitcnt lgkmcnt(0)
	v_mov_b32_e32 v28, v22
	v_mov_b32_e32 v29, v23
	v_mov_b32_e32 v22, v20
	v_mov_b32_e32 v23, v21
	s_mov_b32 s4, 0
	v_or_b32_e32 v38, 32, v35
	v_and_b32_e32 v36, 56, v63
	s_and_b64 vcc, exec, s[14:15]
	global_store_dwordx4 v[30:31], v[26:29], off
	global_store_dwordx4 v[18:19], v[22:25], off
	s_cbranch_vccz .LBB373_32
; %bb.27:
	s_mov_b32 s6, s4
	s_mov_b32 s7, s4
	;; [unrolled: 1-line block ×3, first 2 shown]
	v_mov_b64_e32 v[24:25], s[6:7]
	v_mov_b64_e32 v[22:23], s[4:5]
	;; [unrolled: 1-line block ×3, first 2 shown]
	v_cmp_gt_i32_e32 vcc, s56, v35
	v_mov_b64_e32 v[20:21], v[24:25]
	s_and_saveexec_b64 s[2:3], vcc
	s_cbranch_execz .LBB373_29
; %bb.28:
	v_lshlrev_b32_e32 v18, 8, v35
	v_mov_b32_e32 v19, 0
	v_lshl_add_u64 v[20:21], s[0:1], 0, v[18:19]
	v_lshlrev_b32_e32 v18, 1, v36
	v_lshl_add_u64 v[26:27], v[20:21], 0, v[18:19]
	global_load_dwordx4 v[22:25], v[26:27], off
	global_load_dwordx4 v[18:21], v[26:27], off offset:128
.LBB373_29:
	s_or_b64 exec, exec, s[2:3]
	s_mov_b32 s6, s4
	s_mov_b32 s7, s4
	;; [unrolled: 1-line block ×3, first 2 shown]
	v_mov_b64_e32 v[32:33], s[6:7]
	v_mov_b64_e32 v[30:31], s[4:5]
	v_mov_b64_e32 v[26:27], v[30:31]
	v_cmp_gt_i32_e32 vcc, s56, v38
	v_lshlrev_b32_e32 v39, 7, v38
	v_mov_b64_e32 v[28:29], v[32:33]
	s_and_saveexec_b64 s[2:3], vcc
	s_cbranch_execz .LBB373_31
; %bb.30:
	v_lshlrev_b32_e32 v26, 1, v39
	v_mov_b32_e32 v27, 0
	v_lshl_add_u64 v[28:29], s[0:1], 0, v[26:27]
	v_lshlrev_b32_e32 v26, 1, v36
	v_lshl_add_u64 v[42:43], v[28:29], 0, v[26:27]
	global_load_dwordx4 v[30:33], v[42:43], off
	global_load_dwordx4 v[26:29], v[42:43], off offset:128
.LBB373_31:
	s_or_b64 exec, exec, s[2:3]
	v_lshrrev_b32_e32 v41, 3, v36
	v_lshlrev_b32_e32 v42, 3, v35
	v_or_b32_e32 v41, v42, v41
	v_lshlrev_b32_e32 v41, 4, v41
	v_and_b32_e32 v42, 0x78, v42
	v_xor_b32_e32 v41, v41, v42
	s_branch .LBB373_34
.LBB373_32:
                                        ; implicit-def: $vgpr41
                                        ; implicit-def: $vgpr39
                                        ; implicit-def: $vgpr22_vgpr23_vgpr24_vgpr25
                                        ; implicit-def: $vgpr18_vgpr19_vgpr20_vgpr21
                                        ; implicit-def: $vgpr30_vgpr31_vgpr32_vgpr33
                                        ; implicit-def: $vgpr26_vgpr27_vgpr28_vgpr29
	s_cbranch_execz .LBB373_34
; %bb.33:
	s_waitcnt vmcnt(0)
	v_lshlrev_b32_e32 v18, 1, v36
	v_lshl_or_b32 v39, v35, 8, v18
	s_and_b32 s1, s1, 0xffff
	s_mov_b32 s3, 0x20000
	s_movk_i32 s2, 0x4000
	v_lshl_or_b32 v41, v38, 8, v18
	s_movk_i32 s4, 0x80
	buffer_load_dwordx4 v[22:25], v39, s[0:3], 0 offen
	buffer_load_dwordx4 v[18:21], v39, s[0:3], s4 offen
	;; [unrolled: 1-line block ×4, first 2 shown]
	v_lshrrev_b32_e32 v39, 3, v36
	v_lshlrev_b32_e32 v41, 3, v35
	v_or_b32_e32 v39, v41, v39
	v_lshlrev_b32_e32 v39, 4, v39
	v_and_b32_e32 v41, 0x78, v41
	v_xor_b32_e32 v41, v39, v41
	v_lshlrev_b32_e32 v39, 7, v38
.LBB373_34:
	s_lshl_b64 s[0:1], s[48:49], 8
	s_add_u32 s4, s24, s0
	s_movk_i32 s0, 0x1000
	v_and_or_b32 v38, v39, s0, v41
	s_waitcnt vmcnt(1)
	ds_write_b64 v41, v[22:23] offset:24576
	v_xor_b32_e32 v22, 8, v41
	ds_write_b64 v22, v[24:25] offset:24576
	s_waitcnt vmcnt(0)
	ds_write_b64 v41, v[18:19] offset:32768
	ds_write_b64 v22, v[20:21] offset:32768
	;; [unrolled: 1-line block ×3, first 2 shown]
	v_xor_b32_e32 v18, 8, v38
	ds_write_b64 v18, v[32:33] offset:24576
	ds_write_b64 v38, v[26:27] offset:32768
	;; [unrolled: 1-line block ×3, first 2 shown]
	v_or_b32_e32 v18, v59, v62
	v_lshlrev_b32_e32 v18, 3, v18
	v_lshrrev_b32_e32 v19, 5, v60
	s_movk_i32 s7, 0xf8
	v_and_or_b32 v19, v18, s7, v19
	v_lshlrev_b32_e32 v23, 4, v19
	v_lshlrev_b32_e32 v41, 11, v58
	v_and_b32_e32 v24, 0x78, v18
	v_or_b32_e32 v26, 32, v23
	v_and_b32_e32 v22, 0x1000, v41
	v_lshrrev_b32_e32 v19, 1, v60
	v_xor_b32_e32 v26, v26, v24
	v_xor_b32_e32 v18, v23, v24
	v_and_b32_e32 v25, 8, v19
	v_or_b32_e32 v26, v26, v22
	v_or_b32_e32 v18, v18, v22
	v_xor_b32_e32 v45, v26, v25
	v_or_b32_e32 v26, 64, v23
	v_xor_b32_e32 v44, v18, v25
	v_xor_b32_e32 v26, v26, v24
	s_waitcnt lgkmcnt(0)
	s_barrier
	v_or_b32_e32 v28, v26, v22
	ds_read_b64 v[26:27], v44 offset:24576
	v_lshl_or_b32 v38, v61, 7, v40
	v_lshlrev_b32_e32 v42, 1, v38
	v_add_u32_e32 v18, 0xa000, v42
	ds_read2_b64 v[18:21], v18 offset1:16
	v_or_b32_e32 v23, 0x60, v23
	v_xor_b32_e32 v23, v23, v24
	s_waitcnt lgkmcnt(0)
	v_mfma_f32_16x16x16_bf16 a[0:3], v[26:27], v[18:19], 0
	v_or_b32_e32 v18, 64, v38
	v_or_b32_e32 v22, v23, v22
	v_lshlrev_b32_e32 v43, 1, v18
	v_xor_b32_e32 v46, v28, v25
	v_xor_b32_e32 v47, v22, v25
	ds_read_b64 v[28:29], v45 offset:24576
	ds_read_b64 v[30:31], v46 offset:24576
	;; [unrolled: 1-line block ×3, first 2 shown]
	v_mfma_f32_16x16x16_bf16 a[4:7], v[26:27], v[20:21], 0
	ds_read2st64_b64 v[18:21], v43 offset0:82 offset1:84
	ds_read2st64_b64 v[22:25], v42 offset0:82 offset1:84
	s_addc_u32 s5, s25, s1
	s_add_i32 s2, s45, -1
	s_add_i32 s0, s53, s52
	s_add_i32 s13, s0, s54
	s_mul_i32 s0, s51, s43
	s_mul_hi_u32 s1, s51, s42
	s_ashr_i32 s3, s2, 31
	s_mul_i32 s6, s2, s23
	s_mul_hi_u32 s7, s2, s22
	s_add_i32 s0, s1, s0
	s_mul_i32 s1, s9, s42
	s_add_i32 s6, s7, s6
	s_mul_i32 s3, s3, s22
	s_waitcnt lgkmcnt(1)
	v_mfma_f32_16x16x16_bf16 a[4:7], v[28:29], v[18:19], a[4:7]
	s_add_i32 s1, s0, s1
	s_add_i32 s3, s6, s3
	s_lshl_b64 s[6:7], s[12:13], 2
	s_waitcnt lgkmcnt(0)
	v_mfma_f32_16x16x16_bf16 a[0:3], v[28:29], v[22:23], a[0:3]
	s_mul_i32 s0, s51, s42
	s_add_u32 s6, s30, s6
	s_addc_u32 s7, s31, s7
	s_lshl_b64 s[0:1], s[0:1], 2
	s_mul_i32 s2, s2, s22
	s_add_u32 s12, s6, s0
	ds_read_b64 v[18:19], v42 offset:44032
	v_mfma_f32_16x16x16_bf16 a[4:7], v[30:31], v[20:21], a[4:7]
	ds_read_b64 v[20:21], v43 offset:44032
	s_addc_u32 s13, s7, s1
	s_lshl_b64 s[0:1], s[2:3], 2
	v_mfma_f32_16x16x16_bf16 a[0:3], v[30:31], v[24:25], a[0:3]
	s_add_u32 s0, s12, s0
	s_addc_u32 s1, s13, s1
	s_load_dword s16, s[0:1], 0x0
	s_waitcnt lgkmcnt(0)
	v_mfma_f32_16x16x16_bf16 a[0:3], v[32:33], v[18:19], a[0:3]
	s_and_b64 vcc, exec, s[40:41]
	v_mfma_f32_16x16x16_bf16 a[4:7], v[32:33], v[20:21], a[4:7]
	s_cbranch_vccz .LBB373_45
; %bb.35:
	v_lshlrev_b32_e32 v38, 1, v35
	s_and_b64 vcc, exec, s[14:15]
	s_cbranch_vccz .LBB373_46
; %bb.36:
	v_cmp_gt_i32_e32 vcc, s56, v38
	v_mov_b32_e32 v22, 0
	v_mov_b32_e32 v18, 0
	;; [unrolled: 1-line block ×5, first 2 shown]
	s_and_saveexec_b64 s[0:1], vcc
	s_cbranch_execz .LBB373_38
; %bb.37:
	v_mad_i64_i32 v[18:19], s[2:3], s39, v38, 0
	v_lshl_add_u64 v[18:19], v[18:19], 1, s[4:5]
	v_lshlrev_b32_e32 v20, 1, v36
	v_mov_b32_e32 v21, 0
	v_lshl_add_u64 v[18:19], v[18:19], 0, v[20:21]
	global_load_dwordx4 v[18:21], v[18:19], off
.LBB373_38:
	s_or_b64 exec, exec, s[0:1]
	v_or_b32_e32 v39, 1, v38
	v_cmp_gt_i32_e64 s[0:1], s56, v39
	v_mov_b32_e32 v23, 0
	v_mov_b32_e32 v24, 0
	;; [unrolled: 1-line block ×3, first 2 shown]
	s_and_saveexec_b64 s[2:3], s[0:1]
	s_cbranch_execz .LBB373_40
; %bb.39:
	v_mad_i64_i32 v[22:23], s[6:7], s39, v39, 0
	v_lshl_add_u64 v[22:23], v[22:23], 1, s[4:5]
	v_lshlrev_b32_e32 v24, 1, v36
	v_mov_b32_e32 v25, 0
	v_lshl_add_u64 v[22:23], v[22:23], 0, v[24:25]
	global_load_dwordx4 v[22:25], v[22:23], off
.LBB373_40:
	s_or_b64 exec, exec, s[2:3]
	v_mov_b32_e32 v33, 0
	v_mov_b32_e32 v26, 0
	;; [unrolled: 1-line block ×5, first 2 shown]
	s_and_saveexec_b64 s[2:3], vcc
	s_cbranch_execz .LBB373_42
; %bb.41:
	v_mad_i64_i32 v[26:27], s[6:7], s39, v38, 0
	v_lshl_add_u64 v[26:27], v[26:27], 1, s[4:5]
	v_lshlrev_b32_e32 v28, 1, v36
	v_mov_b32_e32 v29, 0
	v_lshl_add_u64 v[26:27], v[26:27], 0, v[28:29]
	global_load_dwordx4 v[26:29], v[26:27], off offset:128
.LBB373_42:
	s_or_b64 exec, exec, s[2:3]
	v_mov_b32_e32 v32, 0
	v_mov_b32_e32 v31, 0
	;; [unrolled: 1-line block ×3, first 2 shown]
	s_and_saveexec_b64 s[2:3], s[0:1]
	s_cbranch_execz .LBB373_44
; %bb.43:
	v_mad_i64_i32 v[30:31], s[0:1], s39, v39, 0
	v_lshl_add_u64 v[30:31], v[30:31], 1, s[4:5]
	v_lshlrev_b32_e32 v32, 1, v36
	v_mov_b32_e32 v33, 0
	v_lshl_add_u64 v[30:31], v[30:31], 0, v[32:33]
	global_load_dwordx4 v[30:33], v[30:31], off offset:128
.LBB373_44:
	s_or_b64 exec, exec, s[2:3]
	s_branch .LBB373_48
.LBB373_45:
                                        ; implicit-def: $vgpr21
                                        ; implicit-def: $vgpr25
                                        ; implicit-def: $vgpr29
                                        ; implicit-def: $vgpr33
	v_lshrrev_b32_e32 v48, 2, v60
	s_branch .LBB373_49
.LBB373_46:
                                        ; implicit-def: $vgpr21
                                        ; implicit-def: $vgpr25
                                        ; implicit-def: $vgpr29
                                        ; implicit-def: $vgpr33
	s_cbranch_execz .LBB373_48
; %bb.47:
	s_waitcnt vmcnt(0)
	v_mad_u64_u32 v[18:19], s[0:1], v38, s39, v[36:37]
	v_lshlrev_b32_e32 v38, 1, v18
	s_lshl_b32 s2, s39, 7
	s_and_b32 s1, s5, 0xffff
	s_mov_b32 s3, 0x20000
	s_mov_b32 s0, s4
	v_add_lshl_u32 v39, v18, s39, 1
	s_movk_i32 s6, 0x80
	buffer_load_dwordx4 v[18:21], v38, s[0:3], 0 offen
	buffer_load_dwordx4 v[26:29], v38, s[0:3], s6 offen
	;; [unrolled: 1-line block ×4, first 2 shown]
.LBB373_48:
	v_lshrrev_b32_e32 v48, 2, v60
	s_cbranch_execnz .LBB373_61
.LBB373_49:
	s_and_b64 vcc, exec, s[14:15]
	s_cbranch_vccz .LBB373_59
; %bb.50:
	s_waitcnt vmcnt(0)
	v_lshlrev_b32_e32 v23, 1, v35
	v_cmp_gt_i32_e32 vcc, s56, v23
	v_mov_b32_e32 v22, 0
	v_lshlrev_b32_e32 v30, 9, v35
	v_mov_b32_e32 v18, 0
	v_mov_b32_e32 v19, 0
	;; [unrolled: 1-line block ×4, first 2 shown]
	s_and_saveexec_b64 s[0:1], vcc
	s_cbranch_execz .LBB373_52
; %bb.51:
	v_mov_b32_e32 v31, 0
	v_lshl_add_u64 v[18:19], s[4:5], 0, v[30:31]
	v_lshlrev_b32_e32 v20, 1, v36
	v_mov_b32_e32 v21, v31
	v_lshl_add_u64 v[18:19], v[18:19], 0, v[20:21]
	global_load_dwordx4 v[18:21], v[18:19], off
.LBB373_52:
	s_or_b64 exec, exec, s[0:1]
	v_or_b32_e32 v23, 1, v23
	v_cmp_gt_i32_e64 s[0:1], s56, v23
	v_lshlrev_b32_e32 v38, 8, v23
	v_mov_b32_e32 v23, 0
	v_mov_b32_e32 v24, 0
	;; [unrolled: 1-line block ×3, first 2 shown]
	s_and_saveexec_b64 s[2:3], s[0:1]
	s_cbranch_execz .LBB373_54
; %bb.53:
	v_mov_b32_e32 v39, 0
	v_lshl_add_u64 v[22:23], s[4:5], 0, v[38:39]
	v_lshlrev_b32_e32 v24, 1, v36
	v_mov_b32_e32 v25, v39
	v_lshl_add_u64 v[22:23], v[22:23], 0, v[24:25]
	global_load_dwordx4 v[22:25], v[22:23], off
.LBB373_54:
	s_or_b64 exec, exec, s[2:3]
	v_mov_b32_e32 v33, 0
	v_mov_b32_e32 v26, 0
	;; [unrolled: 1-line block ×5, first 2 shown]
	s_and_saveexec_b64 s[2:3], vcc
	s_cbranch_execz .LBB373_56
; %bb.55:
	v_mov_b32_e32 v31, 0
	v_lshl_add_u64 v[26:27], s[4:5], 0, v[30:31]
	v_lshlrev_b32_e32 v30, 1, v36
	v_lshl_add_u64 v[26:27], v[26:27], 0, v[30:31]
	global_load_dwordx4 v[26:29], v[26:27], off offset:128
.LBB373_56:
	s_or_b64 exec, exec, s[2:3]
	v_mov_b32_e32 v32, 0
	v_mov_b32_e32 v31, 0
	;; [unrolled: 1-line block ×3, first 2 shown]
	s_and_saveexec_b64 s[2:3], s[0:1]
	s_cbranch_execz .LBB373_58
; %bb.57:
	v_mov_b32_e32 v39, 0
	v_lshl_add_u64 v[30:31], s[4:5], 0, v[38:39]
	v_lshlrev_b32_e32 v38, 1, v36
	v_lshl_add_u64 v[30:31], v[30:31], 0, v[38:39]
	global_load_dwordx4 v[30:33], v[30:31], off offset:128
.LBB373_58:
	s_or_b64 exec, exec, s[2:3]
	s_branch .LBB373_61
.LBB373_59:
                                        ; implicit-def: $vgpr21
                                        ; implicit-def: $vgpr25
                                        ; implicit-def: $vgpr29
                                        ; implicit-def: $vgpr33
	s_cbranch_execz .LBB373_61
; %bb.60:
	s_waitcnt vmcnt(0)
	v_lshlrev_b32_e32 v18, 1, v36
	v_lshl_or_b32 v36, v35, 9, v18
	s_and_b32 s5, s5, 0xffff
	s_mov_b32 s7, 0x20000
	s_movk_i32 s6, 0x4000
	s_movk_i32 s0, 0x80
	buffer_load_dwordx4 v[18:21], v36, s[4:7], 0 offen
	buffer_load_dwordx4 v[22:25], v36, s[4:7], 0 offen offset:256
	buffer_load_dwordx4 v[26:29], v36, s[4:7], s0 offen
	buffer_load_dwordx4 v[30:33], v36, s[4:7], s0 offen offset:256
.LBB373_61:
	ds_read_b64 v[38:39], v44 offset:32768
	v_add_u32_e32 v36, 0xb000, v42
	ds_read2_b64 v[50:53], v36 offset1:16
	ds_read_b64 v[54:55], v45 offset:32768
	ds_read_b64 v[56:57], v46 offset:32768
	;; [unrolled: 1-line block ×3, first 2 shown]
	v_and_b32_e32 v36, 6, v0
	v_xor_b32_e32 v35, v35, v36
	v_lshlrev_b32_e32 v35, 2, v35
	v_and_b32_e32 v49, 1, v0
	v_cmp_eq_u32_e32 vcc, 0, v49
	s_mov_b32 s0, 0x1000504
	s_waitcnt lgkmcnt(3)
	v_mfma_f32_16x16x16_bf16 a[0:3], v[38:39], v[50:51], a[0:3]
	s_mov_b32 s1, 0x3020706
	v_mfma_f32_16x16x16_bf16 a[4:7], v[38:39], v[52:53], a[4:7]
	ds_read2st64_b64 v[44:47], v42 offset0:90 offset1:92
	ds_read2st64_b64 v[50:53], v43 offset0:90 offset1:92
	s_waitcnt lgkmcnt(1)
	v_mfma_f32_16x16x16_bf16 a[0:3], v[54:55], v[44:45], a[0:3]
	ds_read_b64 v[38:39], v42 offset:48128
	ds_read_b64 v[44:45], v43 offset:48128
	s_waitcnt lgkmcnt(2)
	v_mfma_f32_16x16x16_bf16 a[4:7], v[54:55], v[50:51], a[4:7]
	v_mfma_f32_16x16x16_bf16 a[0:3], v[56:57], v[46:47], a[0:3]
	v_xor_b32_e32 v46, 0x440, v35
	v_cndmask_b32_e32 v35, v46, v35, vcc
	v_lshl_or_b32 v35, v36, 10, v35
	v_mfma_f32_16x16x16_bf16 a[8:11], v[56:57], v[52:53], a[4:7]
	s_waitcnt vmcnt(0)
	v_perm_b32 v36, v18, v22, s0
	v_perm_b32 v18, v18, v22, s1
	;; [unrolled: 1-line block ×3, first 2 shown]
	s_waitcnt lgkmcnt(1)
	v_mfma_f32_16x16x16_bf16 a[4:7], v[60:61], v[38:39], a[0:3]
	v_perm_b32 v38, v26, v30, s0
	ds_write2st64_b32 v35, v36, v38 offset0:32 offset1:64
	v_xor_b32_e32 v36, 8, v35
	v_add_u32_e32 v26, 0x80, v36
	ds_write2st64_b32 v26, v18, v22 offset0:32 offset1:64
	v_xor_b32_e32 v18, 16, v35
	v_perm_b32 v22, v19, v23, s0
	v_perm_b32 v26, v27, v31, s0
	ds_write2st64_b32 v18, v22, v26 offset0:33 offset1:65
	v_xor_b32_e32 v18, 24, v35
	v_perm_b32 v19, v19, v23, s1
	v_perm_b32 v22, v27, v31, s1
	v_add_u32_e32 v18, 0x80, v18
	ds_write2st64_b32 v18, v19, v22 offset0:33 offset1:65
	v_xor_b32_e32 v18, 32, v35
	v_perm_b32 v19, v20, v24, s0
	v_perm_b32 v22, v28, v32, s0
	ds_write2st64_b32 v18, v19, v22 offset0:34 offset1:66
	v_xor_b32_e32 v18, 40, v35
	s_waitcnt lgkmcnt(5)
	v_mfma_f32_16x16x16_bf16 a[0:3], v[60:61], v[44:45], a[8:11]
	v_perm_b32 v19, v20, v24, s1
	v_perm_b32 v20, v28, v32, s1
	v_add_u32_e32 v18, 0x80, v18
	ds_write2st64_b32 v18, v19, v20 offset0:34 offset1:66
	v_xor_b32_e32 v18, 48, v35
	v_perm_b32 v19, v21, v25, s0
	v_perm_b32 v20, v29, v33, s0
	ds_write2st64_b32 v18, v19, v20 offset0:35 offset1:67
	v_xor_b32_e32 v18, 56, v35
	v_and_or_b32 v45, v48, 12, v59
	v_perm_b32 v19, v21, v25, s1
	v_perm_b32 v20, v29, v33, s1
	v_add_u32_e32 v18, 0x80, v18
	v_cmp_gt_i32_e32 vcc, s56, v45
	v_mov_b32_e32 v36, 0
	v_mov_b32_e32 v39, 0
	ds_write2st64_b32 v18, v19, v20 offset0:35 offset1:67
	s_and_saveexec_b64 s[0:1], vcc
	s_cbranch_execz .LBB373_63
; %bb.62:
	v_add_u32_e32 v18, s8, v45
	v_ashrrev_i32_e32 v19, 31, v18
	v_mul_lo_u32 v20, v19, s22
	v_mul_lo_u32 v21, v18, s23
	v_mad_u64_u32 v[18:19], s[2:3], v18, s22, 0
	v_add3_u32 v19, v19, v21, v20
	v_lshl_add_u64 v[18:19], v[18:19], 2, s[12:13]
	global_load_dword v18, v[18:19], off
	s_waitcnt vmcnt(0)
	v_sub_f32_e32 v18, s16, v18
	v_mul_f32_e32 v18, 0x3fb8aa3b, v18
	v_exp_f32_e32 v39, v18
.LBB373_63:
	s_or_b64 exec, exec, s[0:1]
	v_or_b32_e32 v29, 1, v45
	v_cmp_gt_i32_e64 s[0:1], s56, v29
	s_and_saveexec_b64 s[2:3], s[0:1]
	s_cbranch_execz .LBB373_65
; %bb.64:
	v_add_u32_e32 v18, s8, v29
	v_ashrrev_i32_e32 v19, 31, v18
	v_mul_lo_u32 v20, v19, s22
	v_mul_lo_u32 v21, v18, s23
	v_mad_u64_u32 v[18:19], s[4:5], v18, s22, 0
	v_add3_u32 v19, v19, v21, v20
	v_lshl_add_u64 v[18:19], v[18:19], 2, s[12:13]
	global_load_dword v18, v[18:19], off
	s_waitcnt vmcnt(0)
	v_sub_f32_e32 v18, s16, v18
	v_mul_f32_e32 v18, 0x3fb8aa3b, v18
	v_exp_f32_e32 v36, v18
.LBB373_65:
	s_or_b64 exec, exec, s[2:3]
	v_or_b32_e32 v28, 2, v45
	v_cmp_gt_i32_e64 s[2:3], s56, v28
	v_mov_b32_e32 v38, 0
	v_mov_b32_e32 v44, 0
	s_and_saveexec_b64 s[4:5], s[2:3]
	s_cbranch_execz .LBB373_67
; %bb.66:
	v_add_u32_e32 v18, s8, v28
	v_ashrrev_i32_e32 v19, 31, v18
	v_mul_lo_u32 v20, v19, s22
	v_mul_lo_u32 v21, v18, s23
	v_mad_u64_u32 v[18:19], s[6:7], v18, s22, 0
	v_add3_u32 v19, v19, v21, v20
	v_lshl_add_u64 v[18:19], v[18:19], 2, s[12:13]
	global_load_dword v18, v[18:19], off
	s_waitcnt vmcnt(0)
	v_sub_f32_e32 v18, s16, v18
	v_mul_f32_e32 v18, 0x3fb8aa3b, v18
	v_exp_f32_e32 v44, v18
.LBB373_67:
	s_or_b64 exec, exec, s[4:5]
	v_or_b32_e32 v46, 3, v45
	v_cmp_gt_i32_e64 s[4:5], s56, v46
	s_and_saveexec_b64 s[6:7], s[4:5]
	s_cbranch_execz .LBB373_69
; %bb.68:
	v_add_u32_e32 v18, s8, v46
	v_ashrrev_i32_e32 v19, 31, v18
	v_mul_lo_u32 v20, v19, s22
	v_mul_lo_u32 v21, v18, s23
	v_mad_u64_u32 v[18:19], s[14:15], v18, s22, 0
	v_add3_u32 v19, v19, v21, v20
	v_lshl_add_u64 v[18:19], v[18:19], 2, s[12:13]
	global_load_dword v18, v[18:19], off
	s_waitcnt vmcnt(0)
	v_sub_f32_e32 v18, s16, v18
	v_mul_f32_e32 v18, 0x3fb8aa3b, v18
	v_exp_f32_e32 v38, v18
.LBB373_69:
	s_or_b64 exec, exec, s[6:7]
	s_add_u32 s6, s28, s10
	s_addc_u32 s7, s29, s11
	s_add_u32 s10, s18, s10
	v_ashrrev_i32_e32 v35, 31, v34
	v_accvgpr_read_b32 v21, a7
	s_addc_u32 s11, s19, s11
	v_lshlrev_b64 v[22:23], 1, v[34:35]
	v_accvgpr_read_b32 v20, a6
	v_accvgpr_read_b32 v19, a5
	;; [unrolled: 1-line block ×3, first 2 shown]
	v_lshl_add_u64 v[24:25], s[6:7], 0, v[22:23]
	v_lshl_add_u64 v[22:23], s[10:11], 0, v[22:23]
	v_mov_b32_e32 v31, 0
	v_lshlrev_b32_e32 v26, 8, v45
	v_mov_b32_e32 v27, 0
	s_and_saveexec_b64 s[6:7], vcc
	s_cbranch_execz .LBB373_71
; %bb.70:
	v_mov_b32_e32 v27, 0
	v_lshl_add_u64 v[32:33], v[24:25], 0, v[26:27]
	global_load_ushort v30, v[32:33], off
	v_lshl_add_u64 v[32:33], v[22:23], 0, v[26:27]
	s_waitcnt vmcnt(0)
	v_lshlrev_b32_e32 v27, 16, v30
	v_sub_f32_e32 v18, v27, v18
	global_store_short_d16_hi v[32:33], v18, off
	v_mul_f32_e32 v18, v39, v18
	v_lshrrev_b32_e32 v27, 16, v18
.LBB373_71:
	s_or_b64 exec, exec, s[6:7]
	v_lshlrev_b32_e32 v30, 8, v29
	s_and_saveexec_b64 s[6:7], s[0:1]
	s_cbranch_execz .LBB373_73
; %bb.72:
	v_mov_b32_e32 v31, 0
	v_lshl_add_u64 v[32:33], v[24:25], 0, v[30:31]
	global_load_ushort v18, v[32:33], off
	v_lshl_add_u64 v[32:33], v[22:23], 0, v[30:31]
	s_waitcnt vmcnt(0)
	v_lshlrev_b32_e32 v18, 16, v18
	v_sub_f32_e32 v18, v18, v19
	global_store_short_d16_hi v[32:33], v18, off
	v_mul_f32_e32 v18, v36, v18
	v_lshrrev_b32_e32 v31, 16, v18
.LBB373_73:
	s_or_b64 exec, exec, s[6:7]
	v_mov_b32_e32 v29, 0
	v_lshlrev_b32_e32 v32, 8, v28
	v_mov_b32_e32 v33, 0
	s_and_saveexec_b64 s[6:7], s[2:3]
	s_cbranch_execz .LBB373_75
; %bb.74:
	v_mov_b32_e32 v33, 0
	v_lshl_add_u64 v[18:19], v[24:25], 0, v[32:33]
	global_load_ushort v28, v[18:19], off
	v_lshl_add_u64 v[18:19], v[22:23], 0, v[32:33]
	s_waitcnt vmcnt(0)
	v_lshlrev_b32_e32 v28, 16, v28
	v_sub_f32_e32 v20, v28, v20
	global_store_short_d16_hi v[18:19], v20, off
	v_mul_f32_e32 v18, v44, v20
	v_lshrrev_b32_e32 v33, 16, v18
.LBB373_75:
	s_or_b64 exec, exec, s[6:7]
	v_lshlrev_b32_e32 v28, 8, v46
	s_and_saveexec_b64 s[6:7], s[4:5]
	s_cbranch_execz .LBB373_77
; %bb.76:
	v_mov_b32_e32 v29, 0
	v_lshl_add_u64 v[18:19], v[24:25], 0, v[28:29]
	global_load_ushort v20, v[18:19], off
	v_lshl_add_u64 v[18:19], v[22:23], 0, v[28:29]
	s_waitcnt vmcnt(0)
	v_lshlrev_b32_e32 v20, 16, v20
	v_sub_f32_e32 v20, v20, v21
	global_store_short_d16_hi v[18:19], v20, off
	v_mul_f32_e32 v18, v38, v20
	v_lshrrev_b32_e32 v29, 16, v18
.LBB373_77:
	s_or_b64 exec, exec, s[6:7]
	v_lshlrev_b32_e32 v35, 5, v45
	s_mov_b32 s6, 0x5040100
	v_perm_b32 v46, v31, v27, s6
	v_or_b32_e32 v27, v35, v40
	v_accvgpr_read_b32 v21, a3
	v_perm_b32 v47, v29, v33, s6
	v_lshlrev_b32_e32 v27, 1, v27
	v_accvgpr_read_b32 v20, a2
	v_accvgpr_read_b32 v19, a1
	;; [unrolled: 1-line block ×3, first 2 shown]
	ds_write_b64 v27, v[46:47] offset:45056
	v_mov_b32_e32 v31, 0
	v_mov_b32_e32 v27, 0
	s_and_saveexec_b64 s[6:7], vcc
	s_cbranch_execz .LBB373_79
; %bb.78:
	v_mov_b32_e32 v27, 0
	v_lshl_add_u64 v[46:47], v[24:25], 0, v[26:27]
	global_load_ushort v29, v[46:47], off offset:32
	v_lshl_add_u64 v[26:27], v[22:23], 0, v[26:27]
	s_waitcnt vmcnt(0)
	v_lshlrev_b32_e32 v29, 16, v29
	v_sub_f32_e32 v18, v29, v18
	global_store_short_d16_hi v[26:27], v18, off offset:32
	v_mul_f32_e32 v18, v39, v18
	v_lshrrev_b32_e32 v27, 16, v18
.LBB373_79:
	s_or_b64 exec, exec, s[6:7]
	s_and_saveexec_b64 s[6:7], s[0:1]
	s_cbranch_execz .LBB373_81
; %bb.80:
	v_mov_b32_e32 v31, 0
	v_lshl_add_u64 v[46:47], v[24:25], 0, v[30:31]
	global_load_ushort v18, v[46:47], off offset:32
	v_lshl_add_u64 v[30:31], v[22:23], 0, v[30:31]
	s_waitcnt vmcnt(0)
	v_lshlrev_b32_e32 v18, 16, v18
	v_sub_f32_e32 v18, v18, v19
	global_store_short_d16_hi v[30:31], v18, off offset:32
	v_mul_f32_e32 v18, v36, v18
	v_lshrrev_b32_e32 v31, 16, v18
.LBB373_81:
	s_or_b64 exec, exec, s[6:7]
	v_mov_b32_e32 v26, 0
	v_mov_b32_e32 v30, 0
	s_and_saveexec_b64 s[0:1], s[2:3]
	s_cbranch_execz .LBB373_83
; %bb.82:
	v_mov_b32_e32 v33, 0
	v_lshl_add_u64 v[18:19], v[24:25], 0, v[32:33]
	global_load_ushort v29, v[18:19], off offset:32
	v_lshl_add_u64 v[18:19], v[22:23], 0, v[32:33]
	s_waitcnt vmcnt(0)
	v_lshlrev_b32_e32 v29, 16, v29
	v_sub_f32_e32 v20, v29, v20
	global_store_short_d16_hi v[18:19], v20, off offset:32
	v_mul_f32_e32 v18, v44, v20
	v_lshrrev_b32_e32 v30, 16, v18
.LBB373_83:
	s_or_b64 exec, exec, s[0:1]
	v_or_b32_e32 v19, 0xb000, v42
	v_or_b32_e32 v18, 0xb000, v43
	s_and_saveexec_b64 s[0:1], s[4:5]
	s_cbranch_execz .LBB373_85
; %bb.84:
	v_mov_b32_e32 v29, 0
	v_lshl_add_u64 v[24:25], v[24:25], 0, v[28:29]
	global_load_ushort v20, v[24:25], off offset:32
	v_lshl_add_u64 v[22:23], v[22:23], 0, v[28:29]
	s_waitcnt vmcnt(0)
	v_lshlrev_b32_e32 v20, 16, v20
	v_sub_f32_e32 v20, v20, v21
	global_store_short_d16_hi v[22:23], v20, off offset:32
	v_mul_f32_e32 v20, v38, v20
	v_lshrrev_b32_e32 v26, 16, v20
.LBB373_85:
	s_or_b64 exec, exec, s[0:1]
	s_mov_b32 s0, 0x5040100
	v_or_b32_e32 v22, v35, v37
	v_perm_b32 v21, v26, v30, s0
	v_perm_b32 v20, v31, v27, s0
	v_lshlrev_b32_e32 v22, 1, v22
	s_movk_i32 s0, 0x100
	ds_write_b64 v22, v[20:21] offset:45056
	v_and_b32_e32 v20, 7, v0
	v_and_b32_e32 v21, 8, v0
	v_cmp_gt_u32_e32 vcc, s0, v0
	v_lshrrev_b32_e32 v0, 1, v0
	v_lshlrev_b32_e32 v35, 3, v20
	v_lshlrev_b32_e32 v36, 7, v20
	v_mov_b32_e32 v20, 0x4000
	v_mov_b32_e32 v22, 0x2000
	v_lshlrev_b32_e32 v38, 3, v58
	v_and_b32_e32 v0, 24, v0
	v_cndmask_b32_e32 v37, v20, v22, vcc
	v_xor_b32_e32 v20, v38, v0
	v_or_b32_e32 v26, 32, v0
	v_or_b32_e32 v22, 0x440, v20
	v_cmp_eq_u32_e32 vcc, 0, v21
	v_xor_b32_e32 v26, v38, v26
	v_or_b32_e32 v27, 0x440, v26
	v_cndmask_b32_e32 v20, v22, v20, vcc
	v_or_b32_e32 v20, v20, v41
	v_cndmask_b32_e32 v26, v27, v26, vcc
	v_xad_u32 v40, v20, v35, v36
	v_or_b32_e32 v26, v26, v41
	v_add_u32_e32 v20, v37, v40
	v_xad_u32 v42, v26, v35, v36
	s_waitcnt lgkmcnt(0)
	s_barrier
	ds_read_b64 v[24:25], v20
	ds_read2_b64 v[20:23], v19 offset1:16
	v_add_u32_e32 v26, v37, v42
	ds_read_b64 v[32:33], v26
	s_waitcnt lgkmcnt(1)
	v_mfma_f32_16x16x16_bf16 a[0:3], v[24:25], v[20:21], 0
	ds_read2st64_b64 v[28:31], v18 offset0:2 offset1:4
	v_mfma_f32_16x16x16_bf16 a[4:7], v[24:25], v[22:23], 0
	ds_read2st64_b64 v[24:27], v19 offset0:2 offset1:4
	s_waitcnt lgkmcnt(0)
	v_mfma_f32_16x16x16_bf16 a[0:3], v[32:33], v[24:25], a[0:3]
	v_mfma_f32_16x16x16_bf16 a[4:7], v[32:33], v[28:29], a[4:7]
	v_or_b32_e32 v32, 64, v0
	v_xor_b32_e32 v32, v38, v32
	v_xor_b32_e32 v33, 0x440, v32
	v_cndmask_b32_e32 v32, v33, v32, vcc
	v_or_b32_e32 v32, v32, v41
	v_or_b32_e32 v0, 0x60, v0
	v_xad_u32 v43, v32, v35, v36
	v_xor_b32_e32 v0, v38, v0
	v_add_u32_e32 v32, v37, v43
	v_xor_b32_e32 v38, 0x440, v0
	ds_read_b64 v[32:33], v32
	v_cndmask_b32_e32 v0, v38, v0, vcc
	v_or_b32_e32 v0, v0, v41
	v_xad_u32 v0, v0, v35, v36
	v_add_u32_e32 v35, v37, v0
	ds_read_b64 v[36:37], v35
	s_waitcnt lgkmcnt(1)
	v_mfma_f32_16x16x16_bf16 a[0:3], v[32:33], v[26:27], a[0:3]
	v_mov_b32_e32 v35, 0x3fb8aa3b
	v_mfma_f32_16x16x16_bf16 a[4:7], v[32:33], v[30:31], a[4:7]
	ds_read_b64 v[32:33], v19 offset:3072
	ds_read_b64 v[38:39], v18 offset:3072
	;; [unrolled: 1-line block ×3, first 2 shown]
	s_waitcnt lgkmcnt(2)
	v_mfma_f32_16x16x16_bf16 a[0:3], v[36:37], v[32:33], a[0:3]
	s_waitcnt lgkmcnt(1)
	v_mfma_f32_16x16x16_bf16 a[4:7], v[36:37], v[38:39], a[4:7]
	ds_read_b64 v[36:37], v42 offset:16384
	s_waitcnt lgkmcnt(1)
	v_mfma_f32_16x16x16_bf16 a[8:11], v[18:19], v[20:21], 0
	v_mul_f32_e32 v20, s16, v35
	v_exp_f32_e32 v35, v20
	v_accvgpr_read_b32 v21, a3
	v_mfma_f32_16x16x16_bf16 a[12:15], v[18:19], v[22:23], 0
	ds_read_b64 v[22:23], v43 offset:16384
	v_accvgpr_read_b32 v18, a0
	v_fma_f32 v18, v2, v35, v18
	v_accvgpr_read_b32 v2, a1
	v_fma_f32 v19, v3, v35, v2
	;; [unrolled: 2-line block ×3, first 2 shown]
	ds_read_b64 v[2:3], v0 offset:16384
	s_waitcnt lgkmcnt(2)
	v_mfma_f32_16x16x16_bf16 a[8:11], v[36:37], v[24:25], a[8:11]
	v_accvgpr_read_b32 v0, a4
	v_fmac_f32_e32 v21, v5, v35
	v_mfma_f32_16x16x16_bf16 a[12:15], v[36:37], v[28:29], a[12:15]
	v_accvgpr_read_b32 v29, a7
	v_fmac_f32_e32 v29, v13, v35
	s_waitcnt lgkmcnt(1)
	v_mfma_f32_16x16x16_bf16 a[0:3], v[22:23], v[26:27], a[8:11]
	v_fma_f32 v26, v10, v35, v0
	v_accvgpr_read_b32 v0, a5
	v_fma_f32 v27, v11, v35, v0
	v_mfma_f32_16x16x16_bf16 a[8:11], v[22:23], v[30:31], a[12:15]
	v_accvgpr_read_b32 v0, a6
	v_fma_f32 v28, v12, v35, v0
	s_waitcnt lgkmcnt(0)
	v_mfma_f32_16x16x16_bf16 a[0:3], v[2:3], v[32:33], a[0:3]
	v_mfma_f32_16x16x16_bf16 a[4:7], v[2:3], v[38:39], a[8:11]
	s_nop 5
	v_accvgpr_read_b32 v0, a0
	v_fma_f32 v22, v6, v35, v0
	v_accvgpr_read_b32 v0, a1
	v_fma_f32 v23, v7, v35, v0
	;; [unrolled: 2-line block ×4, first 2 shown]
	v_accvgpr_read_b32 v0, a5
	v_accvgpr_read_b32 v25, a3
	v_fma_f32 v31, v15, v35, v0
	v_accvgpr_read_b32 v0, a6
	v_accvgpr_read_b32 v33, a7
	v_fmac_f32_e32 v25, v9, v35
	v_fma_f32 v32, v16, v35, v0
	v_fmac_f32_e32 v33, v17, v35
	v_mov_b64_e32 v[2:3], v[18:19]
	v_mov_b64_e32 v[4:5], v[20:21]
	;; [unrolled: 1-line block ×8, first 2 shown]
	v_mov_b32_e32 v18, v34
.LBB373_86:
	s_mul_i32 s0, s33, s35
	s_mul_hi_u32 s1, s33, s34
	s_add_i32 s0, s1, s0
	s_mul_i32 s1, s50, s34
	s_add_i32 s1, s0, s1
	s_mul_i32 s0, s33, s34
	s_add_u32 s0, s0, s51
	s_addc_u32 s1, s1, s9
	s_lshl_b64 s[0:1], s[0:1], 15
	s_add_u32 s0, s20, s0
	v_lshlrev_b32_e32 v18, 7, v18
	s_addc_u32 s1, s21, s1
	v_ashrrev_i32_e32 v19, 31, v18
	v_lshl_add_u64 v[20:21], v[18:19], 1, s[0:1]
	v_lshlrev_b32_e32 v0, 1, v1
	v_mov_b32_e32 v1, 0
	s_mov_b32 s2, 0x7060302
	v_lshl_add_u64 v[20:21], v[20:21], 0, v[0:1]
	v_perm_b32 v5, v5, v4, s2
	v_perm_b32 v4, v3, v2, s2
	;; [unrolled: 1-line block ×4, first 2 shown]
	global_store_dwordx2 v[20:21], v[2:3], off offset:128
	v_or_b32_e32 v2, 0x800, v18
	v_ashrrev_i32_e32 v3, 31, v2
	v_lshl_add_u64 v[2:3], v[2:3], 1, s[0:1]
	v_lshl_add_u64 v[0:1], v[2:3], 0, v[0:1]
	v_perm_b32 v3, v13, v12, s2
	v_perm_b32 v2, v11, v10, s2
	global_store_dwordx2 v[0:1], v[2:3], off
	v_perm_b32 v3, v17, v16, s2
	v_perm_b32 v2, v15, v14, s2
	global_store_dwordx2 v[20:21], v[4:5], off
	global_store_dwordx2 v[0:1], v[2:3], off offset:128
	s_endpgm
	.section	.rodata,"a",@progbits
	.p2align	6, 0x0
	.amdhsa_kernel _ZN12_GLOBAL__N_139chunk_gated_delta_rule_fwd_h_hip_kernelILi32ELb0ELb1ELb1ELb1ELb0ELb0ELb0ELb1EEEvPK12hip_bfloat16S3_S3_PKfS5_PKvPS1_S8_PvPKiSB_iiiiilll
		.amdhsa_group_segment_fixed_size 49152
		.amdhsa_private_segment_fixed_size 0
		.amdhsa_kernarg_size 136
		.amdhsa_user_sgpr_count 2
		.amdhsa_user_sgpr_dispatch_ptr 0
		.amdhsa_user_sgpr_queue_ptr 0
		.amdhsa_user_sgpr_kernarg_segment_ptr 1
		.amdhsa_user_sgpr_dispatch_id 0
		.amdhsa_user_sgpr_kernarg_preload_length 0
		.amdhsa_user_sgpr_kernarg_preload_offset 0
		.amdhsa_user_sgpr_private_segment_size 0
		.amdhsa_uses_dynamic_stack 0
		.amdhsa_enable_private_segment 0
		.amdhsa_system_sgpr_workgroup_id_x 1
		.amdhsa_system_sgpr_workgroup_id_y 1
		.amdhsa_system_sgpr_workgroup_id_z 0
		.amdhsa_system_sgpr_workgroup_info 0
		.amdhsa_system_vgpr_workitem_id 0
		.amdhsa_next_free_vgpr 152
		.amdhsa_next_free_sgpr 68
		.amdhsa_accum_offset 136
		.amdhsa_reserve_vcc 1
		.amdhsa_float_round_mode_32 0
		.amdhsa_float_round_mode_16_64 0
		.amdhsa_float_denorm_mode_32 3
		.amdhsa_float_denorm_mode_16_64 3
		.amdhsa_dx10_clamp 1
		.amdhsa_ieee_mode 1
		.amdhsa_fp16_overflow 0
		.amdhsa_tg_split 0
		.amdhsa_exception_fp_ieee_invalid_op 0
		.amdhsa_exception_fp_denorm_src 0
		.amdhsa_exception_fp_ieee_div_zero 0
		.amdhsa_exception_fp_ieee_overflow 0
		.amdhsa_exception_fp_ieee_underflow 0
		.amdhsa_exception_fp_ieee_inexact 0
		.amdhsa_exception_int_div_zero 0
	.end_amdhsa_kernel
	.section	.text._ZN12_GLOBAL__N_139chunk_gated_delta_rule_fwd_h_hip_kernelILi32ELb0ELb1ELb1ELb1ELb0ELb0ELb0ELb1EEEvPK12hip_bfloat16S3_S3_PKfS5_PKvPS1_S8_PvPKiSB_iiiiilll,"axG",@progbits,_ZN12_GLOBAL__N_139chunk_gated_delta_rule_fwd_h_hip_kernelILi32ELb0ELb1ELb1ELb1ELb0ELb0ELb0ELb1EEEvPK12hip_bfloat16S3_S3_PKfS5_PKvPS1_S8_PvPKiSB_iiiiilll,comdat
.Lfunc_end373:
	.size	_ZN12_GLOBAL__N_139chunk_gated_delta_rule_fwd_h_hip_kernelILi32ELb0ELb1ELb1ELb1ELb0ELb0ELb0ELb1EEEvPK12hip_bfloat16S3_S3_PKfS5_PKvPS1_S8_PvPKiSB_iiiiilll, .Lfunc_end373-_ZN12_GLOBAL__N_139chunk_gated_delta_rule_fwd_h_hip_kernelILi32ELb0ELb1ELb1ELb1ELb0ELb0ELb0ELb1EEEvPK12hip_bfloat16S3_S3_PKfS5_PKvPS1_S8_PvPKiSB_iiiiilll
                                        ; -- End function
	.section	.AMDGPU.csdata,"",@progbits
; Kernel info:
; codeLenInByte = 9648
; NumSgprs: 74
; NumVgprs: 134
; NumAgprs: 16
; TotalNumVgprs: 152
; ScratchSize: 0
; MemoryBound: 0
; FloatMode: 240
; IeeeMode: 1
; LDSByteSize: 49152 bytes/workgroup (compile time only)
; SGPRBlocks: 9
; VGPRBlocks: 18
; NumSGPRsForWavesPerEU: 74
; NumVGPRsForWavesPerEU: 152
; AccumOffset: 136
; Occupancy: 1
; WaveLimiterHint : 1
; COMPUTE_PGM_RSRC2:SCRATCH_EN: 0
; COMPUTE_PGM_RSRC2:USER_SGPR: 2
; COMPUTE_PGM_RSRC2:TRAP_HANDLER: 0
; COMPUTE_PGM_RSRC2:TGID_X_EN: 1
; COMPUTE_PGM_RSRC2:TGID_Y_EN: 1
; COMPUTE_PGM_RSRC2:TGID_Z_EN: 0
; COMPUTE_PGM_RSRC2:TIDIG_COMP_CNT: 0
; COMPUTE_PGM_RSRC3_GFX90A:ACCUM_OFFSET: 33
; COMPUTE_PGM_RSRC3_GFX90A:TG_SPLIT: 0
	.section	.text._ZN12_GLOBAL__N_139chunk_gated_delta_rule_fwd_h_hip_kernelILi32ELb0ELb1ELb0ELb1ELb0ELb0ELb0ELb1EEEvPK12hip_bfloat16S3_S3_PKfS5_PKvPS1_S8_PvPKiSB_iiiiilll,"axG",@progbits,_ZN12_GLOBAL__N_139chunk_gated_delta_rule_fwd_h_hip_kernelILi32ELb0ELb1ELb0ELb1ELb0ELb0ELb0ELb1EEEvPK12hip_bfloat16S3_S3_PKfS5_PKvPS1_S8_PvPKiSB_iiiiilll,comdat
	.globl	_ZN12_GLOBAL__N_139chunk_gated_delta_rule_fwd_h_hip_kernelILi32ELb0ELb1ELb0ELb1ELb0ELb0ELb0ELb1EEEvPK12hip_bfloat16S3_S3_PKfS5_PKvPS1_S8_PvPKiSB_iiiiilll ; -- Begin function _ZN12_GLOBAL__N_139chunk_gated_delta_rule_fwd_h_hip_kernelILi32ELb0ELb1ELb0ELb1ELb0ELb0ELb0ELb1EEEvPK12hip_bfloat16S3_S3_PKfS5_PKvPS1_S8_PvPKiSB_iiiiilll
	.p2align	8
	.type	_ZN12_GLOBAL__N_139chunk_gated_delta_rule_fwd_h_hip_kernelILi32ELb0ELb1ELb0ELb1ELb0ELb0ELb0ELb1EEEvPK12hip_bfloat16S3_S3_PKfS5_PKvPS1_S8_PvPKiSB_iiiiilll,@function
_ZN12_GLOBAL__N_139chunk_gated_delta_rule_fwd_h_hip_kernelILi32ELb0ELb1ELb0ELb1ELb0ELb0ELb0ELb1EEEvPK12hip_bfloat16S3_S3_PKfS5_PKvPS1_S8_PvPKiSB_iiiiilll: ; @_ZN12_GLOBAL__N_139chunk_gated_delta_rule_fwd_h_hip_kernelILi32ELb0ELb1ELb0ELb1ELb0ELb0ELb0ELb1EEEvPK12hip_bfloat16S3_S3_PKfS5_PKvPS1_S8_PvPKiSB_iiiiilll
; %bb.0:
	s_load_dwordx4 s[28:31], s[0:1], 0x5c
	s_load_dwordx2 s[4:5], s[0:1], 0x50
	s_abs_i32 s7, s3
	s_ashr_i32 s6, s3, 31
	s_load_dwordx8 s[16:23], s[0:1], 0x0
	s_load_dwordx4 s[24:27], s[0:1], 0x40
	s_load_dwordx2 s[42:43], s[0:1], 0x30
	s_waitcnt lgkmcnt(0)
	s_abs_i32 s10, s29
	v_cvt_f32_u32_e32 v1, s10
	s_sub_i32 s8, 0, s10
	s_ashr_i32 s48, s29, 31
	s_xor_b32 s6, s6, s48
	v_rcp_iflag_f32_e32 v1, v1
	v_lshrrev_b32_e32 v56, 6, v0
	v_bfe_u32 v59, v0, 4, 2
	v_lshlrev_b32_e32 v57, 4, v56
	v_mul_f32_e32 v1, 0x4f7ffffe, v1
	v_cvt_u32_f32_e32 v1, v1
	v_lshlrev_b32_e32 v18, 2, v59
	v_and_b32_e32 v58, 63, v0
	s_mov_b32 s33, s29
	v_readfirstlane_b32 s9, v1
	s_mul_i32 s8, s8, s9
	s_mul_hi_u32 s8, s9, s8
	s_add_i32 s9, s9, s8
	s_mul_hi_u32 s8, s7, s9
	s_mul_i32 s9, s8, s10
	s_sub_i32 s7, s7, s9
	s_add_i32 s9, s8, 1
	s_sub_i32 s11, s7, s10
	s_cmp_ge_u32 s7, s10
	s_cselect_b32 s8, s9, s8
	s_cselect_b32 s7, s11, s7
	s_add_i32 s9, s8, 1
	s_cmp_ge_u32 s7, s10
	s_cselect_b32 s7, s9, s8
	s_xor_b32 s7, s7, s6
	s_sub_i32 s34, s7, s6
	s_mul_i32 s6, s34, s29
	s_ashr_i32 s35, s34, 31
	s_sub_i32 s49, s3, s6
	s_lshl_b64 s[6:7], s[34:35], 2
	s_add_u32 s8, s26, s6
	s_addc_u32 s9, s27, s7
	s_add_u32 s4, s4, s6
	s_addc_u32 s5, s5, s7
	s_abs_i32 s3, s30
	v_cvt_f32_u32_e32 v1, s3
	s_load_dwordx2 s[40:41], s[8:9], 0x0
	s_load_dwordx2 s[26:27], s[0:1], 0x80
	s_load_dwordx4 s[36:39], s[0:1], 0x70
	s_sub_i32 s1, 0, s3
	v_rcp_iflag_f32_e32 v1, v1
	s_load_dword s55, s[4:5], 0x0
	s_waitcnt lgkmcnt(0)
	s_sub_i32 s46, s41, s40
	s_ashr_i32 s0, s46, 31
	v_mul_f32_e32 v1, 0x4f7ffffe, v1
	v_cvt_u32_f32_e32 v1, v1
	s_lshr_b32 s0, s0, 26
	s_add_i32 s0, s46, s0
	s_ashr_i32 s53, s0, 6
	v_readfirstlane_b32 s6, v1
	s_mul_i32 s1, s1, s6
	s_mul_hi_u32 s1, s6, s1
	s_add_i32 s6, s6, s1
	s_mul_hi_u32 s1, s10, s6
	s_mul_i32 s6, s1, s3
	s_ashr_i32 s0, s30, 31
	s_sub_i32 s6, s10, s6
	s_xor_b32 s0, s48, s0
	s_add_i32 s7, s1, 1
	s_sub_i32 s8, s6, s3
	s_cmp_ge_u32 s6, s3
	s_cselect_b32 s1, s7, s1
	s_cselect_b32 s6, s8, s6
	s_add_i32 s7, s1, 1
	s_cmp_ge_u32 s6, s3
	s_cselect_b32 s1, s7, s1
	s_xor_b32 s1, s1, s0
	s_sub_i32 s1, s1, s0
	s_abs_i32 s3, s1
	v_cvt_f32_u32_e32 v1, s3
	s_sub_i32 s5, 0, s3
	s_abs_i32 s4, s49
	s_xor_b32 s1, s49, s1
	v_rcp_iflag_f32_e32 v1, v1
	s_ashr_i32 s1, s1, 31
	s_mov_b32 s0, 0
	s_mov_b32 s14, s0
	v_mul_f32_e32 v1, 0x4f7ffffe, v1
	v_cvt_u32_f32_e32 v1, v1
	s_mov_b32 s15, s0
	s_mov_b32 s8, s0
	;; [unrolled: 1-line block ×3, first 2 shown]
	v_readfirstlane_b32 s6, v1
	s_mul_i32 s5, s5, s6
	s_mul_hi_u32 s5, s6, s5
	s_add_i32 s6, s6, s5
	s_mul_hi_u32 s5, s4, s6
	s_mul_i32 s6, s5, s3
	s_sub_i32 s4, s4, s6
	s_add_i32 s6, s5, 1
	s_sub_i32 s7, s4, s3
	s_cmp_ge_u32 s4, s3
	s_cselect_b32 s5, s6, s5
	s_cselect_b32 s4, s7, s4
	s_add_i32 s6, s5, 1
	s_cmp_ge_u32 s4, s3
	s_cselect_b32 s3, s6, s5
	s_xor_b32 s3, s3, s1
	s_sub_i32 s56, s3, s1
	v_or_b32_e32 v1, v18, v57
	s_lshl_b32 s44, s2, 5
	s_mov_b32 s1, s0
	s_mov_b32 s2, s0
	;; [unrolled: 1-line block ×11, first 2 shown]
	v_mov_b64_e32 v[16:17], s[14:15]
	v_and_b32_e32 v60, 15, v0
	v_or_b32_e32 v63, 64, v1
	s_cmp_lt_i32 s46, 64
	v_mov_b64_e32 v[14:15], s[12:13]
	v_mov_b64_e32 v[12:13], s[10:11]
	;; [unrolled: 1-line block ×7, first 2 shown]
	s_mul_hi_i32 s57, s49, s28
	s_mul_i32 s58, s49, s28
	v_lshrrev_b32_e32 v62, 3, v58
	v_lshlrev_b32_e32 v61, 3, v0
	s_mul_i32 s50, s34, s37
	s_mul_hi_u32 s51, s34, s36
	s_mul_i32 s52, s35, s36
	s_mul_i32 s12, s34, s36
	s_cbranch_scc1 .LBB374_19
; %bb.1:
	s_ashr_i32 s36, s49, 31
	s_ashr_i32 s1, s40, 31
	s_add_u32 s0, s58, s40
	s_addc_u32 s1, s57, s1
	s_lshl_b64 s[0:1], s[0:1], 8
	v_and_b32_e32 v9, 56, v61
	s_add_u32 s0, s18, s0
	v_lshl_or_b32 v5, v56, 3, v62
	v_lshlrev_b32_e32 v2, 1, v9
	s_addc_u32 s1, s19, s1
	v_lshl_or_b32 v13, v5, 8, v2
	s_and_b32 s1, s1, 0xffff
	s_mov_b32 s3, 0x20000
	s_movk_i32 s2, 0x4000
	s_movk_i32 s4, 0x80
	v_or_b32_e32 v17, 0x2000, v13
	buffer_load_dwordx4 v[20:23], v13, s[0:3], 0 offen
	buffer_load_dwordx4 v[24:27], v13, s[0:3], s4 offen
	;; [unrolled: 1-line block ×4, first 2 shown]
	v_lshlrev_b32_e32 v3, 3, v5
	v_and_or_b32 v6, v0, 7, v3
	v_and_b32_e32 v3, 0x78, v3
	v_lshlrev_b32_e32 v6, 4, v6
	v_xor_b32_e32 v64, v6, v3
	v_mul_lo_u32 v4, v5, s31
	v_or_b32_e32 v65, 0x1000, v64
	v_xor_b32_e32 v3, 8, v64
	s_cmpk_eq_i32 s31, 0x80
	s_mov_b32 s47, s40
	v_xor_b32_e32 v6, 8, v65
	s_cselect_b64 s[0:1], -1, 0
	s_cmpk_lg_i32 s31, 0x80
	s_waitcnt vmcnt(3)
	ds_write_b64 v64, v[20:21] offset:24576
	ds_write_b64 v3, v[22:23] offset:24576
	s_waitcnt vmcnt(2)
	ds_write_b64 v64, v[24:25] offset:32768
	ds_write_b64 v3, v[26:27] offset:32768
	;; [unrolled: 3-line block ×4, first 2 shown]
	v_lshl_add_u32 v3, v4, 1, v9
	s_cbranch_scc0 .LBB374_3
; %bb.2:
	v_lshlrev_b32_e32 v6, 1, v3
	v_add_lshl_u32 v4, v3, s31, 1
	s_lshl_b32 s6, s31, 7
	v_lshl_or_b32 v2, v5, 9, v2
	s_cbranch_execz .LBB374_4
	s_branch .LBB374_5
.LBB374_3:
                                        ; implicit-def: $vgpr4
                                        ; implicit-def: $vgpr6
                                        ; implicit-def: $sgpr6
	v_lshl_or_b32 v2, v5, 9, v2
.LBB374_4:
	v_or_b32_e32 v4, 0x100, v2
	s_movk_i32 s6, 0x4000
	v_mov_b32_e32 v6, v2
.LBB374_5:
	s_mul_i32 s2, s40, s30
	s_ashr_i32 s37, s56, 31
	s_mul_hi_i32 s3, s40, s30
	s_add_u32 s2, s2, s56
	s_addc_u32 s3, s3, s37
	s_lshl_b64 s[2:3], s[2:3], 8
	s_add_u32 s4, s16, s2
	s_addc_u32 s2, s17, s3
	s_and_b32 s5, s2, 0xffff
	s_mov_b32 s7, 0x20000
	s_movk_i32 s54, 0x80
	buffer_load_dwordx4 v[20:23], v6, s[4:7], 0 offen
	buffer_load_dwordx4 v[24:27], v6, s[4:7], s54 offen
	;; [unrolled: 1-line block ×4, first 2 shown]
	v_and_b32_e32 v4, 6, v0
	v_lshlrev_b32_e32 v8, 6, v1
	v_or_b32_e32 v11, 16, v60
	v_xor_b32_e32 v12, v5, v4
	v_and_b32_e32 v6, 1, v0
	v_lshl_or_b32 v16, v60, 3, v8
	v_lshl_or_b32 v8, v11, 3, v8
	v_lshlrev_b32_e32 v12, 2, v12
	v_lshlrev_b32_e32 v7, 2, v60
	s_mul_i32 s2, s49, s39
	s_mul_hi_u32 s3, s49, s38
	v_or_b32_e32 v68, 0xa000, v8
	v_or_b32_e32 v69, 0xb000, v8
	v_xor_b32_e32 v8, 0x440, v12
	v_cmp_eq_u32_e32 vcc, 0, v6
	s_add_i32 s5, s51, s50
	s_mul_i32 s4, s36, s38
	v_xor_b32_e32 v14, v1, v7
	v_xor_b32_e32 v15, v63, v7
	v_cndmask_b32_e32 v6, v8, v12, vcc
	s_add_i32 s2, s3, s2
	s_add_i32 s13, s5, s52
	s_mov_b32 s59, 0x1000504
	v_lshlrev_b32_e32 v10, 8, v60
	v_lshlrev_b32_e32 v11, 8, v11
	;; [unrolled: 1-line block ×4, first 2 shown]
	v_lshl_or_b32 v4, v4, 10, v6
	s_add_i32 s3, s2, s4
	s_lshl_b64 s[4:5], s[12:13], 2
	s_mov_b32 s60, 0x3020706
	v_or_b32_e32 v66, 0xa000, v16
	v_or_b32_e32 v67, 0xb000, v16
	;; [unrolled: 1-line block ×5, first 2 shown]
	v_xor_b32_e32 v6, 8, v4
	v_xor_b32_e32 v10, 24, v4
	;; [unrolled: 1-line block ×4, first 2 shown]
	s_mul_i32 s2, s49, s38
	s_add_u32 s4, s22, s4
	v_or_b32_e32 v72, v11, v14
	v_xor_b32_e32 v8, 16, v4
	v_xor_b32_e32 v11, 32, v4
	;; [unrolled: 1-line block ×3, first 2 shown]
	v_add_u32_e32 v6, 0x80, v6
	v_add_u32_e32 v10, 0x80, v10
	;; [unrolled: 1-line block ×4, first 2 shown]
	s_addc_u32 s5, s23, s5
	s_lshl_b64 s[2:3], s[2:3], 2
	s_add_u32 s2, s4, s2
	s_movk_i32 s4, 0xf8
	s_addc_u32 s3, s5, s3
	s_ashr_i32 s45, s44, 31
	s_lshl_b32 s10, s31, 7
	s_movk_i32 s8, 0x100
	v_mov_b32_e32 v51, 0
	v_lshlrev_b32_e32 v50, 4, v60
	v_cmp_gt_u32_e32 vcc, s8, v0
	s_mov_b32 s61, 0
	s_movk_i32 s13, 0x1000
	s_movk_i32 s6, 0x4000
	v_add_u32_e32 v91, v57, v18
	v_mov_b32_e32 v96, 0x3fb8aa3b
	v_mov_b32_e32 v98, v51
	;; [unrolled: 1-line block ×5, first 2 shown]
	s_waitcnt vmcnt(1)
	v_perm_b32 v16, v20, v28, s59
	s_waitcnt vmcnt(0)
	v_perm_b32 v19, v24, v32, s59
	v_perm_b32 v20, v20, v28, s60
	;; [unrolled: 1-line block ×15, first 2 shown]
	ds_write2st64_b32 v4, v16, v19 offset0:32 offset1:64
	ds_write2st64_b32 v6, v20, v24 offset0:32 offset1:64
	;; [unrolled: 1-line block ×8, first 2 shown]
	v_or_b32_e32 v4, v57, v60
	v_lshlrev_b32_e32 v4, 3, v4
	v_lshrrev_b32_e32 v10, 5, v58
	v_and_or_b32 v10, v4, s4, v10
	v_lshlrev_b32_e32 v8, 11, v56
	v_lshlrev_b32_e32 v10, 4, v10
	v_and_b32_e32 v4, 0x78, v4
	v_and_b32_e32 v6, 0x1000, v8
	v_xor_b32_e32 v11, v10, v4
	v_lshrrev_b32_e32 v12, 1, v0
	v_or_b32_e32 v11, v11, v6
	v_and_b32_e32 v14, 8, v12
	v_xor_b32_e32 v74, v11, v14
	v_or_b32_e32 v11, 32, v10
	v_xor_b32_e32 v11, v11, v4
	v_or_b32_e32 v11, v11, v6
	;; [unrolled: 2-line block ×4, first 2 shown]
	s_lshl_b64 s[4:5], s[44:45], 8
	v_or_b32_e32 v11, v11, v6
	v_xor_b32_e32 v4, v10, v4
	s_add_u32 s4, s42, s4
	v_lshlrev_b32_e32 v10, 1, v60
	v_xor_b32_e32 v78, v11, v14
	v_lshrrev_b32_e32 v19, 4, v0
	s_addc_u32 s5, s43, s5
	v_or_b32_e32 v11, 1, v10
	v_mov_b32_e32 v23, 0x4000
	v_mov_b32_e32 v24, 0x2000
	v_xor_b32_e32 v20, v19, v10
	v_xor_b32_e32 v21, v11, v19
	v_lshl_add_u64 v[10:11], s[4:5], 0, v[50:51]
	v_lshlrev_b32_e32 v50, 8, v19
	v_cndmask_b32_e32 v23, v23, v24, vcc
	v_lshlrev_b32_e32 v24, 3, v56
	v_and_b32_e32 v12, 24, v12
	v_lshl_or_b32 v82, v20, 3, v50
	v_and_b32_e32 v20, 8, v0
	v_xor_b32_e32 v25, v24, v12
	v_or_b32_e32 v26, 0x440, v25
	v_cmp_eq_u32_e32 vcc, 0, v20
	v_and_b32_e32 v19, 7, v0
	v_lshlrev_b32_e32 v15, 7, v59
	v_cndmask_b32_e32 v20, v26, v25, vcc
	v_lshl_or_b32 v83, v21, 3, v50
	v_lshlrev_b32_e32 v21, 3, v19
	v_lshlrev_b32_e32 v19, 7, v19
	;; [unrolled: 1-line block ×3, first 2 shown]
	v_or_b32_e32 v20, v20, v8
	v_or_b32_e32 v7, v15, v7
	v_xad_u32 v84, v20, v21, v19
	v_and_or_b32 v15, v22, 60, v15
	v_mov_b32_e32 v20, 0xb000
	v_lshl_or_b32 v85, v15, 1, v20
	v_or_b32_e32 v15, 32, v12
	v_xor_b32_e32 v15, v24, v15
	v_or_b32_e32 v20, 0x440, v15
	v_cndmask_b32_e32 v15, v20, v15, vcc
	v_or_b32_e32 v15, v15, v8
	v_xad_u32 v86, v15, v21, v19
	v_or_b32_e32 v15, 64, v12
	v_xor_b32_e32 v15, v24, v15
	v_xor_b32_e32 v20, 0x440, v15
	v_cndmask_b32_e32 v15, v20, v15, vcc
	v_or_b32_e32 v12, 0x60, v12
	v_or_b32_e32 v15, v15, v8
	v_xor_b32_e32 v12, v24, v12
	v_xad_u32 v87, v15, v21, v19
	v_xor_b32_e32 v15, 0x440, v12
	v_cndmask_b32_e32 v12, v15, v12, vcc
	v_lshlrev_b32_e32 v7, 1, v7
	v_or_b32_e32 v4, v4, v6
	v_or_b32_e32 v6, s44, v60
	;; [unrolled: 1-line block ×5, first 2 shown]
	v_xor_b32_e32 v79, v4, v14
	v_or_b32_e32 v80, 0xb000, v7
	v_or_b32_e32 v81, 0xb080, v7
	v_lshlrev_b32_e32 v4, 7, v1
	v_ashrrev_i32_e32 v7, 31, v6
	v_lshlrev_b32_e32 v14, 1, v3
	v_add_lshl_u32 v3, v3, s31, 1
	v_or_b32_e32 v16, 0x100, v2
	v_xad_u32 v88, v8, v21, v19
	v_cndmask_b32_e64 v89, v14, v2, s[0:1]
	v_cndmask_b32_e64 v90, v3, v16, s[0:1]
	v_lshl_add_u64 v[52:53], v[6:7], 1, s[20:21]
	v_lshl_add_u64 v[54:55], v[10:11], 0, v[50:51]
	s_mov_b32 s45, 0x7060302
	v_lshlrev_b32_e32 v50, 1, v4
	v_add_u32_e32 v92, v23, v84
	v_add_u32_e32 v93, v23, v86
	;; [unrolled: 1-line block ×4, first 2 shown]
	v_mov_b32_e32 v2, v51
	v_mov_b32_e32 v3, v51
	;; [unrolled: 1-line block ×12, first 2 shown]
	s_waitcnt lgkmcnt(0)
	s_barrier
.LBB374_6:                              ; =>This Inner Loop Header: Depth=1
	s_add_i32 s62, s61, 1
	s_cmp_lt_i32 s62, s53
	s_mov_b64 s[8:9], 0
	s_cselect_b64 s[14:15], -1, 0
	s_cmp_ge_i32 s62, s53
	s_mov_b64 s[4:5], 0
	s_cbranch_scc1 .LBB374_8
; %bb.7:                                ;   in Loop: Header=BB374_6 Depth=1
	s_add_i32 s0, s47, 64
	s_ashr_i32 s1, s0, 31
	s_add_u32 s0, s58, s0
	s_addc_u32 s1, s57, s1
	s_lshl_b64 s[0:1], s[0:1], 8
	s_add_u32 s4, s18, s0
	s_addc_u32 s5, s19, s1
.LBB374_8:                              ;   in Loop: Header=BB374_6 Depth=1
	v_cndmask_b32_e64 v18, 0, 1, s[14:15]
	v_cmp_ne_u32_e64 s[0:1], 1, v18
	s_andn2_b64 vcc, exec, s[14:15]
	s_cbranch_vccnz .LBB374_10
; %bb.9:                                ;   in Loop: Header=BB374_6 Depth=1
	s_add_i32 s8, s47, 64
	s_mul_hi_i32 s9, s8, s30
	s_mul_i32 s8, s8, s30
	s_add_u32 s8, s8, s56
	s_addc_u32 s9, s9, s37
	s_lshl_b64 s[8:9], s[8:9], 8
	s_add_u32 s8, s16, s8
	s_addc_u32 s9, s17, s9
.LBB374_10:                             ;   in Loop: Header=BB374_6 Depth=1
	v_perm_b32 v19, v98, v4, s45
	v_perm_b32 v18, v3, v2, s45
	;; [unrolled: 1-line block ×4, first 2 shown]
	ds_write_b64 v66, v[18:19]
	ds_write_b64 v67, v[20:21]
	;; [unrolled: 1-line block ×4, first 2 shown]
	v_perm_b32 v19, v100, v12, s45
	v_perm_b32 v18, v11, v10, s45
	;; [unrolled: 1-line block ×4, first 2 shown]
	ds_write_b64 v68, v[18:19]
	ds_write_b64 v69, v[20:21]
	;; [unrolled: 1-line block ×4, first 2 shown]
	s_waitcnt lgkmcnt(0)
	s_barrier
	ds_read_b64 v[22:23], v74 offset:24576
	ds_read2_b64 v[18:21], v75 offset1:16
	ds_read_b64 v[26:27], v77 offset:3072
	ds_read_b64 v[28:29], v75 offset:3072
	;; [unrolled: 1-line block ×3, first 2 shown]
	s_waitcnt lgkmcnt(3)
	v_mfma_f32_16x16x16_bf16 a[0:3], v[22:23], v[18:19], 0
	s_add_i32 s11, s47, 63
	s_ashr_i32 s14, s11, 31
	s_mul_i32 s15, s11, s27
	v_mfma_f32_16x16x16_bf16 a[4:7], v[22:23], v[20:21], 0
	ds_read2st64_b64 v[18:21], v75 offset0:2 offset1:4
	s_mul_hi_u32 s63, s11, s26
	s_add_i32 s15, s63, s15
	s_waitcnt lgkmcnt(0)
	v_mfma_f32_16x16x16_bf16 a[0:3], v[30:31], v[18:19], a[0:3]
	ds_read2st64_b64 v[22:25], v77 offset0:2 offset1:4
	ds_read_b64 v[18:19], v78 offset:24576
	s_mul_i32 s14, s14, s26
	s_add_i32 s15, s15, s14
	s_waitcnt lgkmcnt(1)
	v_mfma_f32_16x16x16_bf16 a[4:7], v[30:31], v[22:23], a[4:7]
	ds_read_b64 v[22:23], v79 offset:24576
	s_mul_i32 s14, s11, s26
	s_lshl_b64 s[14:15], s[14:15], 2
	s_waitcnt lgkmcnt(1)
	v_mfma_f32_16x16x16_bf16 a[0:3], v[18:19], v[20:21], a[0:3]
	s_add_u32 s14, s2, s14
	s_addc_u32 s15, s3, s15
	s_and_b64 vcc, exec, s[0:1]
	v_mfma_f32_16x16x16_bf16 a[4:7], v[18:19], v[24:25], a[4:7]
	v_mov_b32_e32 v103, 0
	v_mov_b32_e32 v102, 0
	;; [unrolled: 1-line block ×3, first 2 shown]
	s_waitcnt lgkmcnt(0)
	v_mfma_f32_16x16x16_bf16 a[0:3], v[22:23], v[28:29], a[0:3]
	v_mov_b32_e32 v18, 0
	v_mov_b32_e32 v19, 0
	v_mov_b32_e32 v20, 0
	v_mfma_f32_16x16x16_bf16 a[4:7], v[22:23], v[26:27], a[4:7]
	v_mov_b32_e32 v21, 0
	v_mov_b32_e32 v22, 0
	;; [unrolled: 1-line block ×13, first 2 shown]
	s_cbranch_vccnz .LBB374_12
; %bb.11:                               ;   in Loop: Header=BB374_6 Depth=1
	s_and_b32 s5, s5, 0xffff
	buffer_load_dwordx4 v[30:33], v13, s[4:7], 0 offen
	buffer_load_dwordx4 v[26:29], v13, s[4:7], s54 offen
	;; [unrolled: 1-line block ×4, first 2 shown]
	v_mov_b32_e32 v102, v64
	v_mov_b32_e32 v101, v65
.LBB374_12:                             ;   in Loop: Header=BB374_6 Depth=1
	ds_read_b64 v[38:39], v74 offset:32768
	ds_read2_b64 v[34:37], v80 offset1:16
	ds_read_b64 v[42:43], v76 offset:32768
	ds_read_b64 v[44:45], v78 offset:32768
	;; [unrolled: 1-line block ×3, first 2 shown]
	v_add_u32_e32 v48, s47, v91
	s_waitcnt lgkmcnt(3)
	v_mfma_f32_16x16x16_bf16 a[0:3], v[38:39], v[34:35], a[0:3]
	v_mul_lo_u32 v49, v48, s27
	v_mfma_f32_16x16x16_bf16 a[4:7], v[38:39], v[36:37], a[4:7]
	ds_read2st64_b64 v[34:37], v80 offset0:2 offset1:4
	ds_read2st64_b64 v[38:41], v81 offset0:2 offset1:4
	s_waitcnt lgkmcnt(1)
	v_mfma_f32_16x16x16_bf16 a[0:3], v[42:43], v[34:35], a[0:3]
	v_ashrrev_i32_e32 v34, 31, v48
	v_mul_lo_u32 v104, v34, s26
	v_mad_u64_u32 v[34:35], s[4:5], v48, s26, 0
	v_mfma_f32_16x16x16_bf16 a[0:3], v[44:45], v[36:37], a[0:3]
	v_add_u32_e32 v36, 1, v48
	v_ashrrev_i32_e32 v37, 31, v36
	v_add3_u32 v35, v35, v49, v104
	s_waitcnt lgkmcnt(0)
	v_mfma_f32_16x16x16_bf16 a[4:7], v[42:43], v[38:39], a[4:7]
	v_mul_lo_u32 v38, v37, s26
	v_mul_lo_u32 v39, v36, s27
	v_mad_u64_u32 v[36:37], s[4:5], v36, s26, 0
	v_add3_u32 v37, v37, v39, v38
	v_add_u32_e32 v38, 2, v48
	v_ashrrev_i32_e32 v39, 31, v38
	v_mul_lo_u32 v42, v39, s26
	v_mul_lo_u32 v43, v38, s27
	v_mad_u64_u32 v[38:39], s[4:5], v38, s26, 0
	v_add3_u32 v39, v39, v43, v42
	v_add_u32_e32 v42, 3, v48
	v_ashrrev_i32_e32 v43, 31, v42
	v_mul_lo_u32 v48, v43, s26
	v_mul_lo_u32 v49, v42, s27
	v_mad_u64_u32 v[42:43], s[4:5], v42, s26, 0
	v_add3_u32 v43, v43, v49, v48
	s_ashr_i32 s5, s47, 31
	v_lshl_add_u64 v[34:35], v[34:35], 2, s[2:3]
	v_lshl_add_u64 v[42:43], v[42:43], 2, s[2:3]
	s_add_u32 s4, s58, s47
	v_lshl_add_u64 v[36:37], v[36:37], 2, s[2:3]
	v_lshl_add_u64 v[38:39], v[38:39], 2, s[2:3]
	global_load_dword v48, v[34:35], off
	global_load_dword v49, v[36:37], off
	;; [unrolled: 1-line block ×3, first 2 shown]
	s_nop 0
	global_load_dword v42, v[42:43], off
	s_addc_u32 s5, s57, s5
	s_lshl_b64 s[4:5], s[4:5], 8
	v_lshl_add_u64 v[34:35], v[52:53], 0, s[4:5]
	v_lshl_add_u64 v[34:35], v[34:35], 0, v[50:51]
	global_load_ushort v43, v[34:35], off offset:256
	global_load_ushort v105, v[34:35], off
	global_load_ushort v106, v[34:35], off offset:768
	global_load_ushort v107, v[34:35], off offset:512
	ds_read_b64 v[36:37], v80 offset:3072
	ds_read_b64 v[38:39], v81 offset:3072
	global_load_ushort v108, v[34:35], off offset:800
	global_load_ushort v109, v[34:35], off offset:544
	;; [unrolled: 1-line block ×4, first 2 shown]
	s_load_dword s4, s[14:15], 0x0
	v_mfma_f32_16x16x16_bf16 a[4:7], v[44:45], v[40:41], a[4:7]
	s_and_b64 vcc, exec, s[0:1]
	s_waitcnt vmcnt(11) lgkmcnt(0)
	v_sub_f32_e32 v40, s4, v48
	v_mfma_f32_16x16x16_bf16 a[0:3], v[46:47], v[36:37], a[0:3]
	s_waitcnt vmcnt(10)
	v_sub_f32_e32 v45, s4, v49
	v_mul_f32_e32 v44, 0x3fb8aa3b, v40
	v_mul_f32_e32 v45, 0x3fb8aa3b, v45
	v_mfma_f32_16x16x16_bf16 a[4:7], v[46:47], v[38:39], a[4:7]
	s_waitcnt vmcnt(9)
	v_sub_f32_e32 v46, s4, v104
	s_waitcnt vmcnt(8)
	v_sub_f32_e32 v47, s4, v42
	v_mul_f32_e32 v46, 0x3fb8aa3b, v46
	v_mul_f32_e32 v47, 0x3fb8aa3b, v47
	v_exp_f32_e32 v44, v44
	v_exp_f32_e32 v45, v45
	;; [unrolled: 1-line block ×4, first 2 shown]
	v_accvgpr_read_b32 v39, a1
	v_accvgpr_read_b32 v35, a3
	;; [unrolled: 1-line block ×4, first 2 shown]
	s_waitcnt vmcnt(7)
	v_lshlrev_b32_e32 v41, 16, v43
	s_waitcnt vmcnt(6)
	v_lshlrev_b32_e32 v40, 16, v105
	;; [unrolled: 2-line block ×4, first 2 shown]
	v_pk_add_f32 v[38:39], v[40:41], v[38:39] neg_lo:[0,1] neg_hi:[0,1]
	v_pk_add_f32 v[34:35], v[42:43], v[34:35] neg_lo:[0,1] neg_hi:[0,1]
	v_pk_mul_f32 v[38:39], v[44:45], v[38:39]
	v_pk_mul_f32 v[34:35], v[46:47], v[34:35]
	v_accvgpr_read_b32 v41, a5
	v_perm_b32 v35, v35, v34, s45
	v_perm_b32 v34, v39, v38, s45
	s_waitcnt vmcnt(1)
	v_lshlrev_b32_e32 v39, 16, v110
	s_waitcnt vmcnt(0)
	v_lshlrev_b32_e32 v38, 16, v111
	v_accvgpr_read_b32 v40, a4
	v_accvgpr_read_b32 v37, a7
	;; [unrolled: 1-line block ×3, first 2 shown]
	v_pk_add_f32 v[38:39], v[38:39], v[40:41] neg_lo:[0,1] neg_hi:[0,1]
	v_lshlrev_b32_e32 v41, 16, v108
	v_lshlrev_b32_e32 v40, 16, v109
	v_pk_add_f32 v[36:37], v[40:41], v[36:37] neg_lo:[0,1] neg_hi:[0,1]
	v_pk_mul_f32 v[38:39], v[44:45], v[38:39]
	v_pk_mul_f32 v[36:37], v[46:47], v[36:37]
	v_mov_b32_e32 v104, 0
	v_perm_b32 v37, v37, v36, s45
	v_perm_b32 v36, v39, v38, s45
	ds_write2_b64 v67, v[34:35], v[36:37] offset1:16
	v_mov_b32_e32 v34, 0
	v_mov_b32_e32 v35, 0
	;; [unrolled: 1-line block ×16, first 2 shown]
	s_cbranch_vccnz .LBB374_14
; %bb.13:                               ;   in Loop: Header=BB374_6 Depth=1
	s_and_b32 s9, s9, 0xffff
	s_mov_b32 s11, s7
	buffer_load_dwordx4 v[46:49], v89, s[8:11], 0 offen
	buffer_load_dwordx4 v[38:41], v89, s[8:11], s54 offen
	;; [unrolled: 1-line block ×4, first 2 shown]
	v_mov_b32_e32 v103, v9
	v_mov_b32_e32 v104, v5
.LBB374_14:                             ;   in Loop: Header=BB374_6 Depth=1
	s_waitcnt lgkmcnt(0)
	s_barrier
	ds_read_b64 v[110:111], v92
	ds_read_b64 v[118:119], v85
	;; [unrolled: 1-line block ×5, first 2 shown]
	ds_read_b64 v[124:125], v86 offset:16384
	ds_read_b64 v[126:127], v84 offset:16384
	ds_read2_b64 v[106:109], v80 offset0:16 offset1:128
	s_waitcnt lgkmcnt(6)
	v_mfma_f32_16x16x16_bf16 a[0:3], v[110:111], v[118:119], 0
	ds_read_b64 v[128:129], v81 offset:3072
	ds_read_b64 v[130:131], v88 offset:16384
	s_add_i32 s5, s55, s61
	s_waitcnt lgkmcnt(2)
	v_mfma_f32_16x16x16_bf16 a[4:7], v[110:111], v[106:107], 0
	ds_read2st64_b64 v[110:113], v81 offset0:2 offset1:4
	s_mul_hi_i32 s9, s5, s33
	s_mul_i32 s5, s5, s33
	v_mfma_f32_16x16x16_bf16 a[0:3], v[114:115], v[108:109], a[0:3]
	s_add_u32 s8, s5, s49
	s_addc_u32 s9, s9, s36
	s_lshl_b64 s[8:9], s[8:9], 15
	s_waitcnt lgkmcnt(0)
	v_mfma_f32_16x16x16_bf16 a[4:7], v[114:115], v[110:111], a[4:7]
	ds_read2st64_b64 v[114:117], v80 offset0:4 offset1:6
	s_waitcnt lgkmcnt(0)
	v_mfma_f32_16x16x16_bf16 a[0:3], v[120:121], v[114:115], a[0:3]
	v_mfma_f32_16x16x16_bf16 a[8:11], v[120:121], v[112:113], a[4:7]
	;; [unrolled: 1-line block ×5, first 2 shown]
	ds_read2st64_b64 v[118:121], v83 offset1:8
	v_mfma_f32_16x16x16_bf16 a[12:15], v[126:127], v[106:107], 0
	ds_read_b64 v[126:127], v87 offset:16384
	v_mfma_f32_16x16x16_bf16 a[8:11], v[124:125], v[108:109], a[8:11]
	ds_read2st64_b64 v[106:109], v82 offset1:8
	s_waitcnt lgkmcnt(0)
	v_mov_b32_e32 v122, v106
	v_mfma_f32_16x16x16_bf16 a[12:15], v[124:125], v[110:111], a[12:15]
	v_lshl_add_u64 v[110:111], v[54:55], 0, s[8:9]
	v_add_co_u32_e32 v106, vcc, s13, v110
	v_mfma_f32_16x16x16_bf16 a[8:11], v[126:127], v[114:115], a[8:11]
	v_mov_b32_e32 v123, v107
	v_addc_co_u32_e32 v107, vcc, 0, v111, vcc
	v_mfma_f32_16x16x16_bf16 a[12:15], v[126:127], v[112:113], a[12:15]
	v_mov_b32_e32 v124, v118
	v_mov_b32_e32 v125, v119
	;; [unrolled: 1-line block ×3, first 2 shown]
	v_mfma_f32_16x16x16_bf16 a[8:11], v[130:131], v[116:117], a[8:11]
	v_mov_b32_e32 v119, v109
	s_and_b64 vcc, exec, s[0:1]
	global_store_dwordx4 v[110:111], v[122:125], off
	v_mfma_f32_16x16x16_bf16 a[12:15], v[130:131], v[128:129], a[12:15]
	global_store_dwordx4 v[106:107], v[118:121], off
	s_cbranch_vccnz .LBB374_16
; %bb.15:                               ;   in Loop: Header=BB374_6 Depth=1
	v_lshrrev_b32_e32 v105, 3, v103
	v_and_b32_e32 v105, 6, v105
	v_xor_b32_e32 v104, v105, v104
	v_lshlrev_b32_e32 v104, 2, v104
	v_and_b32_e32 v103, 8, v103
	v_xor_b32_e32 v106, 0x440, v104
	v_cmp_eq_u32_e32 vcc, 0, v103
	s_barrier
	s_nop 0
	v_cndmask_b32_e32 v103, v106, v104, vcc
	v_lshl_or_b32 v103, v105, 10, v103
	s_waitcnt vmcnt(3)
	v_perm_b32 v104, v46, v42, s59
	s_waitcnt vmcnt(2)
	v_perm_b32 v105, v38, v34, s59
	ds_write2st64_b32 v103, v104, v105 offset0:32 offset1:64
	v_xor_b32_e32 v104, 8, v103
	v_perm_b32 v42, v46, v42, s60
	v_perm_b32 v34, v38, v34, s60
	v_add_u32_e32 v38, 0x80, v104
	ds_write2st64_b32 v38, v42, v34 offset0:32 offset1:64
	v_xor_b32_e32 v34, 16, v103
	v_perm_b32 v38, v47, v43, s59
	v_perm_b32 v42, v39, v35, s59
	ds_write2st64_b32 v34, v38, v42 offset0:33 offset1:65
	v_xor_b32_e32 v34, 24, v103
	v_perm_b32 v38, v47, v43, s60
	v_perm_b32 v35, v39, v35, s60
	v_add_u32_e32 v34, 0x80, v34
	ds_write2st64_b32 v34, v38, v35 offset0:33 offset1:65
	v_xor_b32_e32 v34, 32, v103
	v_perm_b32 v35, v48, v44, s59
	;; [unrolled: 9-line block ×3, first 2 shown]
	v_perm_b32 v36, v41, v37, s59
	ds_write2st64_b32 v34, v35, v36 offset0:35 offset1:67
	v_xor_b32_e32 v34, 56, v103
	v_perm_b32 v35, v49, v45, s60
	v_perm_b32 v36, v41, v37, s60
	v_add_u32_e32 v34, 0x80, v34
	ds_write2st64_b32 v34, v35, v36 offset0:35 offset1:67
	ds_write_b64 v102, v[30:31] offset:24576
	v_xor_b32_e32 v30, 8, v102
	ds_write_b64 v30, v[32:33] offset:24576
	ds_write_b64 v102, v[26:27] offset:32768
	;; [unrolled: 1-line block ×4, first 2 shown]
	v_xor_b32_e32 v22, 8, v101
	ds_write_b64 v22, v[24:25] offset:24576
	ds_write_b64 v101, v[18:19] offset:32768
	;; [unrolled: 1-line block ×3, first 2 shown]
.LBB374_16:                             ;   in Loop: Header=BB374_6 Depth=1
	v_mul_f32_e32 v18, s4, v96
	s_waitcnt vmcnt(2)
	v_exp_f32_e32 v34, v18
	v_accvgpr_read_b32 v33, a7
	v_accvgpr_read_b32 v25, a3
	;; [unrolled: 1-line block ×16, first 2 shown]
	s_add_i32 s47, s47, 64
	v_fma_f32 v2, v2, v34, v30
	v_fma_f32 v3, v3, v34, v31
	v_fma_f32 v4, v4, v34, v32
	v_fmac_f32_e32 v33, v98, v34
	v_fma_f32 v10, v10, v34, v22
	v_fma_f32 v11, v11, v34, v23
	v_fma_f32 v12, v12, v34, v24
	v_fmac_f32_e32 v25, v100, v34
	;; [unrolled: 4-line block ×3, first 2 shown]
	v_fma_f32 v14, v14, v34, v18
	v_fma_f32 v15, v15, v34, v19
	;; [unrolled: 1-line block ×3, first 2 shown]
	s_cmp_eq_u32 s53, s62
	v_fmac_f32_e32 v21, v99, v34
	s_cbranch_scc1 .LBB374_18
; %bb.17:                               ;   in Loop: Header=BB374_6 Depth=1
	s_mov_b32 s61, s62
	v_mov_b32_e32 v98, v33
	v_mov_b32_e32 v97, v29
	;; [unrolled: 1-line block ×4, first 2 shown]
	s_branch .LBB374_6
.LBB374_18:
	v_mov_b32_e32 v5, v33
	v_mov_b32_e32 v9, v29
	v_mov_b32_e32 v13, v25
	v_mov_b32_e32 v17, v21
.LBB374_19:
	s_lshl_b32 s2, s53, 6
	s_sub_i32 s54, s46, s2
	s_cmp_gt_i32 s54, 0
	v_or_b32_e32 v34, s44, v60
	s_cbranch_scc1 .LBB374_21
; %bb.20:
	s_ashr_i32 s9, s49, 31
	v_or_b32_e32 v18, s44, v60
	s_cbranch_execz .LBB374_22
	s_branch .LBB374_86
.LBB374_21:
                                        ; implicit-def: $vgpr18
                                        ; implicit-def: $sgpr8_sgpr9
.LBB374_22:
	s_add_i32 s8, s2, s40
	s_ashr_i32 s2, s8, 31
	s_cmpk_lg_i32 s31, 0x80
	s_cselect_b64 s[36:37], -1, 0
	s_and_b64 vcc, exec, s[36:37]
	s_cbranch_vccz .LBB374_24
; %bb.23:
	s_mul_i32 s1, s8, s30
	s_ashr_i32 s3, s56, 31
	s_mul_hi_i32 s0, s8, s30
	s_add_u32 s46, s1, s56
	s_addc_u32 s47, s0, s3
	s_cbranch_execz .LBB374_25
	s_branch .LBB374_26
.LBB374_24:
                                        ; implicit-def: $sgpr46_sgpr47
.LBB374_25:
	s_mul_i32 s1, s56, s28
	s_mul_hi_i32 s0, s56, s28
	s_add_u32 s46, s1, s8
	s_addc_u32 s47, s0, s2
.LBB374_26:
	s_add_i32 s3, s53, s55
	s_ashr_i32 s9, s49, 31
	s_add_u32 s0, s58, s8
	v_lshlrev_b32_e32 v22, 5, v1
	v_lshlrev_b32_e32 v40, 2, v60
	s_addc_u32 s1, s57, s2
	s_mov_b32 s2, 0x7060302
	v_or_b32_e32 v25, v22, v40
	v_xor_b32_e32 v23, v1, v40
	v_perm_b32 v19, v5, v4, s2
	v_perm_b32 v18, v3, v2, s2
	;; [unrolled: 1-line block ×4, first 2 shown]
	v_lshlrev_b32_e32 v25, 1, v25
	s_lshl_b64 s[10:11], s[0:1], 8
	v_xor_b32_e32 v24, v63, v40
	ds_write2st64_b64 v25, v[18:19], v[20:21] offset0:80 offset1:88
	v_lshlrev_b32_e32 v23, 1, v23
	v_lshlrev_b32_e32 v25, 8, v60
	s_add_u32 s0, s18, s10
	v_or_b32_e32 v26, v23, v25
	v_lshlrev_b32_e32 v24, 1, v24
	s_addc_u32 s1, s19, s11
	ds_write_b64 v26, v[18:19]
	v_or_b32_e32 v18, v24, v25
	v_or_b32_e32 v25, 16, v60
	s_mul_hi_i32 s4, s3, s29
	s_mul_i32 s3, s3, s29
	ds_write_b64 v18, v[20:21]
	v_perm_b32 v19, v13, v12, s2
	v_perm_b32 v18, v11, v10, s2
	;; [unrolled: 1-line block ×4, first 2 shown]
	v_lshlrev_b32_e32 v37, 2, v25
	s_add_u32 s2, s3, s49
	v_or_b32_e32 v22, v22, v37
	s_addc_u32 s3, s4, s9
	v_lshlrev_b32_e32 v22, 1, v22
	s_ashr_i32 s45, s44, 31
	s_lshl_b64 s[2:3], s[2:3], 15
	ds_write2st64_b64 v22, v[18:19], v[20:21] offset0:80 offset1:88
	v_lshlrev_b32_e32 v22, 8, v25
	s_add_u32 s4, s42, s2
	v_or_b32_e32 v23, v23, v22
	s_addc_u32 s5, s43, s3
	s_lshl_b64 s[2:3], s[44:45], 8
	ds_write_b64 v23, v[18:19]
	v_or_b32_e32 v18, v24, v22
	s_add_u32 s2, s4, s2
	ds_write_b64 v18, v[20:21]
	v_lshrrev_b32_e32 v18, 4, v0
	s_addc_u32 s3, s5, s3
	v_lshlrev_b32_e32 v19, 1, v60
	v_lshlrev_b32_e32 v26, 4, v60
	v_mov_b32_e32 v27, 0
	v_or_b32_e32 v20, 1, v19
	v_xor_b32_e32 v19, v18, v19
	v_lshl_add_u64 v[28:29], s[2:3], 0, v[26:27]
	v_lshlrev_b32_e32 v26, 8, v18
	v_xor_b32_e32 v22, v20, v18
	v_lshl_or_b32 v18, v19, 3, v26
	s_waitcnt lgkmcnt(0)
	s_barrier
	ds_read2st64_b64 v[18:21], v18 offset1:8
	v_lshl_or_b32 v22, v22, 3, v26
	ds_read2st64_b64 v[22:25], v22 offset1:8
	v_lshl_add_u64 v[30:31], v[28:29], 0, v[26:27]
	s_movk_i32 s2, 0x1000
	s_waitcnt lgkmcnt(1)
	v_mov_b32_e32 v26, v18
	v_add_co_u32_e32 v18, vcc, s2, v30
	s_cmp_lg_u32 s54, 64
	v_mov_b32_e32 v27, v19
	v_addc_co_u32_e32 v19, vcc, 0, v31, vcc
	s_cselect_b64 s[14:15], -1, 0
	v_lshl_or_b32 v35, v56, 3, v62
	s_waitcnt lgkmcnt(0)
	v_mov_b32_e32 v28, v22
	v_mov_b32_e32 v29, v23
	v_mov_b32_e32 v22, v20
	v_mov_b32_e32 v23, v21
	s_mov_b32 s4, 0
	v_or_b32_e32 v38, 32, v35
	v_and_b32_e32 v36, 56, v61
	s_and_b64 vcc, exec, s[14:15]
	global_store_dwordx4 v[30:31], v[26:29], off
	global_store_dwordx4 v[18:19], v[22:25], off
	s_cbranch_vccz .LBB374_32
; %bb.27:
	s_mov_b32 s6, s4
	s_mov_b32 s7, s4
	;; [unrolled: 1-line block ×3, first 2 shown]
	v_mov_b64_e32 v[24:25], s[6:7]
	v_mov_b64_e32 v[22:23], s[4:5]
	;; [unrolled: 1-line block ×3, first 2 shown]
	v_cmp_gt_i32_e32 vcc, s54, v35
	v_mov_b64_e32 v[20:21], v[24:25]
	s_and_saveexec_b64 s[2:3], vcc
	s_cbranch_execz .LBB374_29
; %bb.28:
	v_lshlrev_b32_e32 v18, 8, v35
	v_mov_b32_e32 v19, 0
	v_lshl_add_u64 v[20:21], s[0:1], 0, v[18:19]
	v_lshlrev_b32_e32 v18, 1, v36
	v_lshl_add_u64 v[26:27], v[20:21], 0, v[18:19]
	global_load_dwordx4 v[22:25], v[26:27], off
	global_load_dwordx4 v[18:21], v[26:27], off offset:128
.LBB374_29:
	s_or_b64 exec, exec, s[2:3]
	s_mov_b32 s6, s4
	s_mov_b32 s7, s4
	;; [unrolled: 1-line block ×3, first 2 shown]
	v_mov_b64_e32 v[32:33], s[6:7]
	v_mov_b64_e32 v[30:31], s[4:5]
	;; [unrolled: 1-line block ×3, first 2 shown]
	v_cmp_gt_i32_e32 vcc, s54, v38
	v_lshlrev_b32_e32 v39, 7, v38
	v_mov_b64_e32 v[28:29], v[32:33]
	s_and_saveexec_b64 s[2:3], vcc
	s_cbranch_execz .LBB374_31
; %bb.30:
	v_lshlrev_b32_e32 v26, 1, v39
	v_mov_b32_e32 v27, 0
	v_lshl_add_u64 v[28:29], s[0:1], 0, v[26:27]
	v_lshlrev_b32_e32 v26, 1, v36
	v_lshl_add_u64 v[42:43], v[28:29], 0, v[26:27]
	global_load_dwordx4 v[30:33], v[42:43], off
	global_load_dwordx4 v[26:29], v[42:43], off offset:128
.LBB374_31:
	s_or_b64 exec, exec, s[2:3]
	v_lshrrev_b32_e32 v41, 3, v36
	v_lshlrev_b32_e32 v42, 3, v35
	v_or_b32_e32 v41, v42, v41
	v_lshlrev_b32_e32 v41, 4, v41
	v_and_b32_e32 v42, 0x78, v42
	v_xor_b32_e32 v41, v41, v42
	s_branch .LBB374_34
.LBB374_32:
                                        ; implicit-def: $vgpr41
                                        ; implicit-def: $vgpr39
                                        ; implicit-def: $vgpr22_vgpr23_vgpr24_vgpr25
                                        ; implicit-def: $vgpr18_vgpr19_vgpr20_vgpr21
                                        ; implicit-def: $vgpr30_vgpr31_vgpr32_vgpr33
                                        ; implicit-def: $vgpr26_vgpr27_vgpr28_vgpr29
	s_cbranch_execz .LBB374_34
; %bb.33:
	s_waitcnt vmcnt(0)
	v_lshlrev_b32_e32 v18, 1, v36
	v_lshl_or_b32 v39, v35, 8, v18
	s_and_b32 s1, s1, 0xffff
	s_mov_b32 s3, 0x20000
	s_movk_i32 s2, 0x4000
	v_lshl_or_b32 v41, v38, 8, v18
	s_movk_i32 s4, 0x80
	buffer_load_dwordx4 v[22:25], v39, s[0:3], 0 offen
	buffer_load_dwordx4 v[18:21], v39, s[0:3], s4 offen
	;; [unrolled: 1-line block ×4, first 2 shown]
	v_lshrrev_b32_e32 v39, 3, v36
	v_lshlrev_b32_e32 v41, 3, v35
	v_or_b32_e32 v39, v41, v39
	v_lshlrev_b32_e32 v39, 4, v39
	v_and_b32_e32 v41, 0x78, v41
	v_xor_b32_e32 v41, v39, v41
	v_lshlrev_b32_e32 v39, 7, v38
.LBB374_34:
	s_lshl_b64 s[0:1], s[46:47], 8
	s_add_u32 s4, s16, s0
	s_movk_i32 s0, 0x1000
	v_and_or_b32 v38, v39, s0, v41
	s_waitcnt vmcnt(1)
	ds_write_b64 v41, v[22:23] offset:24576
	v_xor_b32_e32 v22, 8, v41
	ds_write_b64 v22, v[24:25] offset:24576
	s_waitcnt vmcnt(0)
	ds_write_b64 v41, v[18:19] offset:32768
	ds_write_b64 v22, v[20:21] offset:32768
	ds_write_b64 v38, v[30:31] offset:24576
	v_xor_b32_e32 v18, 8, v38
	ds_write_b64 v18, v[32:33] offset:24576
	ds_write_b64 v38, v[26:27] offset:32768
	;; [unrolled: 1-line block ×3, first 2 shown]
	v_or_b32_e32 v18, v57, v60
	v_lshlrev_b32_e32 v18, 3, v18
	v_lshrrev_b32_e32 v19, 5, v58
	s_movk_i32 s7, 0xf8
	v_and_or_b32 v19, v18, s7, v19
	v_lshlrev_b32_e32 v23, 4, v19
	v_lshlrev_b32_e32 v41, 11, v56
	v_and_b32_e32 v24, 0x78, v18
	v_or_b32_e32 v26, 32, v23
	v_and_b32_e32 v22, 0x1000, v41
	v_lshrrev_b32_e32 v19, 1, v58
	v_xor_b32_e32 v26, v26, v24
	v_xor_b32_e32 v18, v23, v24
	v_and_b32_e32 v25, 8, v19
	v_or_b32_e32 v26, v26, v22
	v_or_b32_e32 v18, v18, v22
	v_xor_b32_e32 v45, v26, v25
	v_or_b32_e32 v26, 64, v23
	v_xor_b32_e32 v44, v18, v25
	v_xor_b32_e32 v26, v26, v24
	s_waitcnt lgkmcnt(0)
	s_barrier
	v_or_b32_e32 v28, v26, v22
	ds_read_b64 v[26:27], v44 offset:24576
	v_lshl_or_b32 v38, v59, 7, v40
	v_lshlrev_b32_e32 v42, 1, v38
	v_add_u32_e32 v18, 0xa000, v42
	ds_read2_b64 v[18:21], v18 offset1:16
	v_or_b32_e32 v23, 0x60, v23
	v_xor_b32_e32 v23, v23, v24
	s_waitcnt lgkmcnt(0)
	v_mfma_f32_16x16x16_bf16 a[0:3], v[26:27], v[18:19], 0
	v_or_b32_e32 v18, 64, v38
	v_or_b32_e32 v22, v23, v22
	v_lshlrev_b32_e32 v43, 1, v18
	v_xor_b32_e32 v46, v28, v25
	v_xor_b32_e32 v47, v22, v25
	ds_read_b64 v[28:29], v45 offset:24576
	ds_read_b64 v[30:31], v46 offset:24576
	ds_read_b64 v[32:33], v47 offset:24576
	v_mfma_f32_16x16x16_bf16 a[4:7], v[26:27], v[20:21], 0
	ds_read2st64_b64 v[18:21], v43 offset0:82 offset1:84
	ds_read2st64_b64 v[22:25], v42 offset0:82 offset1:84
	s_addc_u32 s5, s17, s1
	s_add_i32 s2, s41, -1
	s_add_i32 s0, s51, s50
	s_add_i32 s13, s0, s52
	s_mul_i32 s0, s49, s39
	s_mul_hi_u32 s1, s49, s38
	s_ashr_i32 s3, s2, 31
	s_mul_i32 s6, s2, s27
	s_mul_hi_u32 s7, s2, s26
	s_add_i32 s0, s1, s0
	s_mul_i32 s1, s9, s38
	s_add_i32 s6, s7, s6
	s_mul_i32 s3, s3, s26
	s_waitcnt lgkmcnt(1)
	v_mfma_f32_16x16x16_bf16 a[4:7], v[28:29], v[18:19], a[4:7]
	s_add_i32 s1, s0, s1
	s_add_i32 s3, s6, s3
	s_lshl_b64 s[6:7], s[12:13], 2
	s_waitcnt lgkmcnt(0)
	v_mfma_f32_16x16x16_bf16 a[0:3], v[28:29], v[22:23], a[0:3]
	s_mul_i32 s0, s49, s38
	s_add_u32 s6, s22, s6
	s_addc_u32 s7, s23, s7
	s_lshl_b64 s[0:1], s[0:1], 2
	s_mul_i32 s2, s2, s26
	s_add_u32 s12, s6, s0
	ds_read_b64 v[18:19], v42 offset:44032
	v_mfma_f32_16x16x16_bf16 a[4:7], v[30:31], v[20:21], a[4:7]
	ds_read_b64 v[20:21], v43 offset:44032
	s_addc_u32 s13, s7, s1
	s_lshl_b64 s[0:1], s[2:3], 2
	v_mfma_f32_16x16x16_bf16 a[0:3], v[30:31], v[24:25], a[0:3]
	s_add_u32 s0, s12, s0
	s_addc_u32 s1, s13, s1
	s_load_dword s16, s[0:1], 0x0
	s_waitcnt lgkmcnt(0)
	v_mfma_f32_16x16x16_bf16 a[0:3], v[32:33], v[18:19], a[0:3]
	s_and_b64 vcc, exec, s[36:37]
	v_mfma_f32_16x16x16_bf16 a[4:7], v[32:33], v[20:21], a[4:7]
	s_cbranch_vccz .LBB374_45
; %bb.35:
	v_lshlrev_b32_e32 v38, 1, v35
	s_and_b64 vcc, exec, s[14:15]
	s_cbranch_vccz .LBB374_46
; %bb.36:
	v_cmp_gt_i32_e32 vcc, s54, v38
	v_mov_b32_e32 v22, 0
	v_mov_b32_e32 v18, 0
	;; [unrolled: 1-line block ×5, first 2 shown]
	s_and_saveexec_b64 s[0:1], vcc
	s_cbranch_execz .LBB374_38
; %bb.37:
	v_mad_i64_i32 v[18:19], s[2:3], s31, v38, 0
	v_lshl_add_u64 v[18:19], v[18:19], 1, s[4:5]
	v_lshlrev_b32_e32 v20, 1, v36
	v_mov_b32_e32 v21, 0
	v_lshl_add_u64 v[18:19], v[18:19], 0, v[20:21]
	global_load_dwordx4 v[18:21], v[18:19], off
.LBB374_38:
	s_or_b64 exec, exec, s[0:1]
	v_or_b32_e32 v39, 1, v38
	v_cmp_gt_i32_e64 s[0:1], s54, v39
	v_mov_b32_e32 v23, 0
	v_mov_b32_e32 v24, 0
	;; [unrolled: 1-line block ×3, first 2 shown]
	s_and_saveexec_b64 s[2:3], s[0:1]
	s_cbranch_execz .LBB374_40
; %bb.39:
	v_mad_i64_i32 v[22:23], s[6:7], s31, v39, 0
	v_lshl_add_u64 v[22:23], v[22:23], 1, s[4:5]
	v_lshlrev_b32_e32 v24, 1, v36
	v_mov_b32_e32 v25, 0
	v_lshl_add_u64 v[22:23], v[22:23], 0, v[24:25]
	global_load_dwordx4 v[22:25], v[22:23], off
.LBB374_40:
	s_or_b64 exec, exec, s[2:3]
	v_mov_b32_e32 v33, 0
	v_mov_b32_e32 v26, 0
	;; [unrolled: 1-line block ×5, first 2 shown]
	s_and_saveexec_b64 s[2:3], vcc
	s_cbranch_execz .LBB374_42
; %bb.41:
	v_mad_i64_i32 v[26:27], s[6:7], s31, v38, 0
	v_lshl_add_u64 v[26:27], v[26:27], 1, s[4:5]
	v_lshlrev_b32_e32 v28, 1, v36
	v_mov_b32_e32 v29, 0
	v_lshl_add_u64 v[26:27], v[26:27], 0, v[28:29]
	global_load_dwordx4 v[26:29], v[26:27], off offset:128
.LBB374_42:
	s_or_b64 exec, exec, s[2:3]
	v_mov_b32_e32 v32, 0
	v_mov_b32_e32 v31, 0
	;; [unrolled: 1-line block ×3, first 2 shown]
	s_and_saveexec_b64 s[2:3], s[0:1]
	s_cbranch_execz .LBB374_44
; %bb.43:
	v_mad_i64_i32 v[30:31], s[0:1], s31, v39, 0
	v_lshl_add_u64 v[30:31], v[30:31], 1, s[4:5]
	v_lshlrev_b32_e32 v32, 1, v36
	v_mov_b32_e32 v33, 0
	v_lshl_add_u64 v[30:31], v[30:31], 0, v[32:33]
	global_load_dwordx4 v[30:33], v[30:31], off offset:128
.LBB374_44:
	s_or_b64 exec, exec, s[2:3]
	s_branch .LBB374_48
.LBB374_45:
                                        ; implicit-def: $vgpr21
                                        ; implicit-def: $vgpr25
                                        ; implicit-def: $vgpr29
                                        ; implicit-def: $vgpr33
	v_lshrrev_b32_e32 v48, 2, v58
	s_branch .LBB374_49
.LBB374_46:
                                        ; implicit-def: $vgpr21
                                        ; implicit-def: $vgpr25
                                        ; implicit-def: $vgpr29
                                        ; implicit-def: $vgpr33
	s_cbranch_execz .LBB374_48
; %bb.47:
	s_waitcnt vmcnt(0)
	v_mad_u64_u32 v[18:19], s[0:1], v38, s31, v[36:37]
	v_lshlrev_b32_e32 v38, 1, v18
	s_lshl_b32 s2, s31, 7
	s_and_b32 s1, s5, 0xffff
	s_mov_b32 s3, 0x20000
	s_mov_b32 s0, s4
	v_add_lshl_u32 v39, v18, s31, 1
	s_movk_i32 s6, 0x80
	buffer_load_dwordx4 v[18:21], v38, s[0:3], 0 offen
	buffer_load_dwordx4 v[26:29], v38, s[0:3], s6 offen
	;; [unrolled: 1-line block ×4, first 2 shown]
.LBB374_48:
	v_lshrrev_b32_e32 v48, 2, v58
	s_cbranch_execnz .LBB374_61
.LBB374_49:
	s_and_b64 vcc, exec, s[14:15]
	s_cbranch_vccz .LBB374_59
; %bb.50:
	s_waitcnt vmcnt(0)
	v_lshlrev_b32_e32 v23, 1, v35
	v_cmp_gt_i32_e32 vcc, s54, v23
	v_mov_b32_e32 v22, 0
	v_lshlrev_b32_e32 v30, 9, v35
	v_mov_b32_e32 v18, 0
	v_mov_b32_e32 v19, 0
	;; [unrolled: 1-line block ×4, first 2 shown]
	s_and_saveexec_b64 s[0:1], vcc
	s_cbranch_execz .LBB374_52
; %bb.51:
	v_mov_b32_e32 v31, 0
	v_lshl_add_u64 v[18:19], s[4:5], 0, v[30:31]
	v_lshlrev_b32_e32 v20, 1, v36
	v_mov_b32_e32 v21, v31
	v_lshl_add_u64 v[18:19], v[18:19], 0, v[20:21]
	global_load_dwordx4 v[18:21], v[18:19], off
.LBB374_52:
	s_or_b64 exec, exec, s[0:1]
	v_or_b32_e32 v23, 1, v23
	v_cmp_gt_i32_e64 s[0:1], s54, v23
	v_lshlrev_b32_e32 v38, 8, v23
	v_mov_b32_e32 v23, 0
	v_mov_b32_e32 v24, 0
	;; [unrolled: 1-line block ×3, first 2 shown]
	s_and_saveexec_b64 s[2:3], s[0:1]
	s_cbranch_execz .LBB374_54
; %bb.53:
	v_mov_b32_e32 v39, 0
	v_lshl_add_u64 v[22:23], s[4:5], 0, v[38:39]
	v_lshlrev_b32_e32 v24, 1, v36
	v_mov_b32_e32 v25, v39
	v_lshl_add_u64 v[22:23], v[22:23], 0, v[24:25]
	global_load_dwordx4 v[22:25], v[22:23], off
.LBB374_54:
	s_or_b64 exec, exec, s[2:3]
	v_mov_b32_e32 v33, 0
	v_mov_b32_e32 v26, 0
	;; [unrolled: 1-line block ×5, first 2 shown]
	s_and_saveexec_b64 s[2:3], vcc
	s_cbranch_execz .LBB374_56
; %bb.55:
	v_mov_b32_e32 v31, 0
	v_lshl_add_u64 v[26:27], s[4:5], 0, v[30:31]
	v_lshlrev_b32_e32 v30, 1, v36
	v_lshl_add_u64 v[26:27], v[26:27], 0, v[30:31]
	global_load_dwordx4 v[26:29], v[26:27], off offset:128
.LBB374_56:
	s_or_b64 exec, exec, s[2:3]
	v_mov_b32_e32 v32, 0
	v_mov_b32_e32 v31, 0
	;; [unrolled: 1-line block ×3, first 2 shown]
	s_and_saveexec_b64 s[2:3], s[0:1]
	s_cbranch_execz .LBB374_58
; %bb.57:
	v_mov_b32_e32 v39, 0
	v_lshl_add_u64 v[30:31], s[4:5], 0, v[38:39]
	v_lshlrev_b32_e32 v38, 1, v36
	v_lshl_add_u64 v[30:31], v[30:31], 0, v[38:39]
	global_load_dwordx4 v[30:33], v[30:31], off offset:128
.LBB374_58:
	s_or_b64 exec, exec, s[2:3]
	s_branch .LBB374_61
.LBB374_59:
                                        ; implicit-def: $vgpr21
                                        ; implicit-def: $vgpr25
                                        ; implicit-def: $vgpr29
                                        ; implicit-def: $vgpr33
	s_cbranch_execz .LBB374_61
; %bb.60:
	s_waitcnt vmcnt(0)
	v_lshlrev_b32_e32 v18, 1, v36
	v_lshl_or_b32 v36, v35, 9, v18
	s_and_b32 s5, s5, 0xffff
	s_mov_b32 s7, 0x20000
	s_movk_i32 s6, 0x4000
	s_movk_i32 s0, 0x80
	buffer_load_dwordx4 v[18:21], v36, s[4:7], 0 offen
	buffer_load_dwordx4 v[22:25], v36, s[4:7], 0 offen offset:256
	buffer_load_dwordx4 v[26:29], v36, s[4:7], s0 offen
	buffer_load_dwordx4 v[30:33], v36, s[4:7], s0 offen offset:256
.LBB374_61:
	ds_read_b64 v[38:39], v44 offset:32768
	v_add_u32_e32 v36, 0xb000, v42
	ds_read2_b64 v[50:53], v36 offset1:16
	ds_read_b64 v[54:55], v45 offset:32768
	ds_read_b64 v[58:59], v46 offset:32768
	;; [unrolled: 1-line block ×3, first 2 shown]
	v_and_b32_e32 v36, 6, v0
	v_xor_b32_e32 v35, v35, v36
	v_lshlrev_b32_e32 v35, 2, v35
	v_and_b32_e32 v49, 1, v0
	v_cmp_eq_u32_e32 vcc, 0, v49
	s_mov_b32 s0, 0x1000504
	s_waitcnt lgkmcnt(3)
	v_mfma_f32_16x16x16_bf16 a[0:3], v[38:39], v[50:51], a[0:3]
	s_mov_b32 s1, 0x3020706
	v_mfma_f32_16x16x16_bf16 a[4:7], v[38:39], v[52:53], a[4:7]
	ds_read2st64_b64 v[44:47], v42 offset0:90 offset1:92
	ds_read2st64_b64 v[50:53], v43 offset0:90 offset1:92
	s_waitcnt lgkmcnt(1)
	v_mfma_f32_16x16x16_bf16 a[0:3], v[54:55], v[44:45], a[0:3]
	ds_read_b64 v[38:39], v42 offset:48128
	ds_read_b64 v[44:45], v43 offset:48128
	s_waitcnt lgkmcnt(2)
	v_mfma_f32_16x16x16_bf16 a[4:7], v[54:55], v[50:51], a[4:7]
	v_mfma_f32_16x16x16_bf16 a[0:3], v[58:59], v[46:47], a[0:3]
	v_xor_b32_e32 v46, 0x440, v35
	v_cndmask_b32_e32 v35, v46, v35, vcc
	v_lshl_or_b32 v35, v36, 10, v35
	v_mfma_f32_16x16x16_bf16 a[8:11], v[58:59], v[52:53], a[4:7]
	s_waitcnt vmcnt(0)
	v_perm_b32 v36, v18, v22, s0
	v_perm_b32 v18, v18, v22, s1
	;; [unrolled: 1-line block ×3, first 2 shown]
	s_waitcnt lgkmcnt(1)
	v_mfma_f32_16x16x16_bf16 a[4:7], v[60:61], v[38:39], a[0:3]
	v_perm_b32 v38, v26, v30, s0
	ds_write2st64_b32 v35, v36, v38 offset0:32 offset1:64
	v_xor_b32_e32 v36, 8, v35
	v_add_u32_e32 v26, 0x80, v36
	ds_write2st64_b32 v26, v18, v22 offset0:32 offset1:64
	v_xor_b32_e32 v18, 16, v35
	v_perm_b32 v22, v19, v23, s0
	v_perm_b32 v26, v27, v31, s0
	ds_write2st64_b32 v18, v22, v26 offset0:33 offset1:65
	v_xor_b32_e32 v18, 24, v35
	v_perm_b32 v19, v19, v23, s1
	v_perm_b32 v22, v27, v31, s1
	v_add_u32_e32 v18, 0x80, v18
	ds_write2st64_b32 v18, v19, v22 offset0:33 offset1:65
	v_xor_b32_e32 v18, 32, v35
	v_perm_b32 v19, v20, v24, s0
	v_perm_b32 v22, v28, v32, s0
	ds_write2st64_b32 v18, v19, v22 offset0:34 offset1:66
	v_xor_b32_e32 v18, 40, v35
	s_waitcnt lgkmcnt(5)
	v_mfma_f32_16x16x16_bf16 a[0:3], v[60:61], v[44:45], a[8:11]
	v_perm_b32 v19, v20, v24, s1
	v_perm_b32 v20, v28, v32, s1
	v_add_u32_e32 v18, 0x80, v18
	ds_write2st64_b32 v18, v19, v20 offset0:34 offset1:66
	v_xor_b32_e32 v18, 48, v35
	v_perm_b32 v19, v21, v25, s0
	v_perm_b32 v20, v29, v33, s0
	ds_write2st64_b32 v18, v19, v20 offset0:35 offset1:67
	v_xor_b32_e32 v18, 56, v35
	v_and_or_b32 v38, v48, 12, v57
	v_perm_b32 v19, v21, v25, s1
	v_perm_b32 v20, v29, v33, s1
	v_add_u32_e32 v18, 0x80, v18
	v_cmp_gt_i32_e32 vcc, s54, v38
	v_mov_b32_e32 v32, 0
	v_mov_b32_e32 v36, 0
	ds_write2st64_b32 v18, v19, v20 offset0:35 offset1:67
	s_and_saveexec_b64 s[0:1], vcc
	s_cbranch_execz .LBB374_63
; %bb.62:
	v_add_u32_e32 v18, s8, v38
	v_ashrrev_i32_e32 v19, 31, v18
	v_mul_lo_u32 v20, v19, s26
	v_mul_lo_u32 v21, v18, s27
	v_mad_u64_u32 v[18:19], s[2:3], v18, s26, 0
	v_add3_u32 v19, v19, v21, v20
	v_lshl_add_u64 v[18:19], v[18:19], 2, s[12:13]
	global_load_dword v18, v[18:19], off
	s_waitcnt vmcnt(0)
	v_sub_f32_e32 v18, s16, v18
	v_mul_f32_e32 v18, 0x3fb8aa3b, v18
	v_exp_f32_e32 v36, v18
.LBB374_63:
	s_or_b64 exec, exec, s[0:1]
	v_or_b32_e32 v26, 1, v38
	v_cmp_gt_i32_e64 s[0:1], s54, v26
	s_and_saveexec_b64 s[2:3], s[0:1]
	s_cbranch_execz .LBB374_65
; %bb.64:
	v_add_u32_e32 v18, s8, v26
	v_ashrrev_i32_e32 v19, 31, v18
	v_mul_lo_u32 v20, v19, s26
	v_mul_lo_u32 v21, v18, s27
	v_mad_u64_u32 v[18:19], s[4:5], v18, s26, 0
	v_add3_u32 v19, v19, v21, v20
	v_lshl_add_u64 v[18:19], v[18:19], 2, s[12:13]
	global_load_dword v18, v[18:19], off
	s_waitcnt vmcnt(0)
	v_sub_f32_e32 v18, s16, v18
	v_mul_f32_e32 v18, 0x3fb8aa3b, v18
	v_exp_f32_e32 v32, v18
.LBB374_65:
	s_or_b64 exec, exec, s[2:3]
	v_or_b32_e32 v27, 2, v38
	v_cmp_gt_i32_e64 s[2:3], s54, v27
	v_mov_b32_e32 v33, 0
	v_mov_b32_e32 v39, 0
	s_and_saveexec_b64 s[4:5], s[2:3]
	s_cbranch_execz .LBB374_67
; %bb.66:
	v_add_u32_e32 v18, s8, v27
	v_ashrrev_i32_e32 v19, 31, v18
	v_mul_lo_u32 v20, v19, s26
	v_mul_lo_u32 v21, v18, s27
	v_mad_u64_u32 v[18:19], s[6:7], v18, s26, 0
	v_add3_u32 v19, v19, v21, v20
	v_lshl_add_u64 v[18:19], v[18:19], 2, s[12:13]
	global_load_dword v18, v[18:19], off
	s_waitcnt vmcnt(0)
	v_sub_f32_e32 v18, s16, v18
	v_mul_f32_e32 v18, 0x3fb8aa3b, v18
	v_exp_f32_e32 v39, v18
.LBB374_67:
	s_or_b64 exec, exec, s[4:5]
	v_or_b32_e32 v44, 3, v38
	v_cmp_gt_i32_e64 s[4:5], s54, v44
	s_and_saveexec_b64 s[6:7], s[4:5]
	s_cbranch_execz .LBB374_69
; %bb.68:
	v_add_u32_e32 v18, s8, v44
	v_ashrrev_i32_e32 v19, 31, v18
	v_mul_lo_u32 v20, v19, s26
	v_mul_lo_u32 v21, v18, s27
	v_mad_u64_u32 v[18:19], s[14:15], v18, s26, 0
	v_add3_u32 v19, v19, v21, v20
	v_lshl_add_u64 v[18:19], v[18:19], 2, s[12:13]
	global_load_dword v18, v[18:19], off
	s_waitcnt vmcnt(0)
	v_sub_f32_e32 v18, s16, v18
	v_mul_f32_e32 v18, 0x3fb8aa3b, v18
	v_exp_f32_e32 v33, v18
.LBB374_69:
	s_or_b64 exec, exec, s[6:7]
	s_add_u32 s6, s20, s10
	v_accvgpr_read_b32 v21, a7
	s_addc_u32 s7, s21, s11
	v_ashrrev_i32_e32 v35, 31, v34
	v_accvgpr_read_b32 v20, a6
	v_accvgpr_read_b32 v19, a5
	;; [unrolled: 1-line block ×3, first 2 shown]
	v_lshl_add_u64 v[22:23], v[34:35], 1, s[6:7]
	v_mov_b32_e32 v29, 0
	v_lshlrev_b32_e32 v24, 8, v38
	v_mov_b32_e32 v25, 0
	s_and_saveexec_b64 s[6:7], vcc
	s_cbranch_execz .LBB374_71
; %bb.70:
	v_mov_b32_e32 v25, 0
	v_lshl_add_u64 v[30:31], v[22:23], 0, v[24:25]
	global_load_ushort v25, v[30:31], off
	s_waitcnt vmcnt(0)
	v_lshlrev_b32_e32 v25, 16, v25
	v_sub_f32_e32 v18, v25, v18
	v_mul_f32_e32 v18, v36, v18
	v_lshrrev_b32_e32 v25, 16, v18
.LBB374_71:
	s_or_b64 exec, exec, s[6:7]
	v_lshlrev_b32_e32 v28, 8, v26
	s_and_saveexec_b64 s[6:7], s[0:1]
	s_cbranch_execz .LBB374_73
; %bb.72:
	v_mov_b32_e32 v29, 0
	v_lshl_add_u64 v[30:31], v[22:23], 0, v[28:29]
	global_load_ushort v18, v[30:31], off
	s_waitcnt vmcnt(0)
	v_lshlrev_b32_e32 v18, 16, v18
	v_sub_f32_e32 v18, v18, v19
	v_mul_f32_e32 v18, v32, v18
	v_lshrrev_b32_e32 v29, 16, v18
.LBB374_73:
	s_or_b64 exec, exec, s[6:7]
	v_mov_b32_e32 v45, 0
	v_lshlrev_b32_e32 v30, 8, v27
	v_mov_b32_e32 v31, 0
	s_and_saveexec_b64 s[6:7], s[2:3]
	s_cbranch_execz .LBB374_75
; %bb.74:
	v_mov_b32_e32 v31, 0
	v_lshl_add_u64 v[18:19], v[22:23], 0, v[30:31]
	global_load_ushort v18, v[18:19], off
	s_waitcnt vmcnt(0)
	v_lshlrev_b32_e32 v18, 16, v18
	v_sub_f32_e32 v18, v18, v20
	v_mul_f32_e32 v18, v39, v18
	v_lshrrev_b32_e32 v31, 16, v18
.LBB374_75:
	s_or_b64 exec, exec, s[6:7]
	v_lshlrev_b32_e32 v26, 8, v44
	s_and_saveexec_b64 s[6:7], s[4:5]
	s_cbranch_execz .LBB374_77
; %bb.76:
	v_mov_b32_e32 v27, 0
	v_lshl_add_u64 v[18:19], v[22:23], 0, v[26:27]
	global_load_ushort v18, v[18:19], off
	s_waitcnt vmcnt(0)
	v_lshlrev_b32_e32 v18, 16, v18
	v_sub_f32_e32 v18, v18, v21
	v_mul_f32_e32 v18, v33, v18
	v_lshrrev_b32_e32 v45, 16, v18
.LBB374_77:
	s_or_b64 exec, exec, s[6:7]
	v_lshlrev_b32_e32 v35, 5, v38
	s_mov_b32 s6, 0x5040100
	v_perm_b32 v44, v29, v25, s6
	v_or_b32_e32 v25, v35, v40
	v_accvgpr_read_b32 v21, a3
	v_perm_b32 v45, v45, v31, s6
	v_lshlrev_b32_e32 v25, 1, v25
	v_accvgpr_read_b32 v20, a2
	v_accvgpr_read_b32 v19, a1
	;; [unrolled: 1-line block ×3, first 2 shown]
	ds_write_b64 v25, v[44:45] offset:45056
	v_mov_b32_e32 v29, 0
	v_mov_b32_e32 v25, 0
	s_and_saveexec_b64 s[6:7], vcc
	s_cbranch_execz .LBB374_79
; %bb.78:
	v_mov_b32_e32 v25, 0
	v_lshl_add_u64 v[24:25], v[22:23], 0, v[24:25]
	global_load_ushort v24, v[24:25], off offset:32
	s_waitcnt vmcnt(0)
	v_lshlrev_b32_e32 v24, 16, v24
	v_sub_f32_e32 v18, v24, v18
	v_mul_f32_e32 v18, v36, v18
	v_lshrrev_b32_e32 v25, 16, v18
.LBB374_79:
	s_or_b64 exec, exec, s[6:7]
	s_and_saveexec_b64 s[6:7], s[0:1]
	s_cbranch_execz .LBB374_81
; %bb.80:
	v_mov_b32_e32 v29, 0
	v_lshl_add_u64 v[28:29], v[22:23], 0, v[28:29]
	global_load_ushort v18, v[28:29], off offset:32
	s_waitcnt vmcnt(0)
	v_lshlrev_b32_e32 v18, 16, v18
	v_sub_f32_e32 v18, v18, v19
	v_mul_f32_e32 v18, v32, v18
	v_lshrrev_b32_e32 v29, 16, v18
.LBB374_81:
	s_or_b64 exec, exec, s[6:7]
	v_mov_b32_e32 v24, 0
	v_mov_b32_e32 v28, 0
	s_and_saveexec_b64 s[0:1], s[2:3]
	s_cbranch_execz .LBB374_83
; %bb.82:
	v_mov_b32_e32 v31, 0
	v_lshl_add_u64 v[18:19], v[22:23], 0, v[30:31]
	global_load_ushort v18, v[18:19], off offset:32
	s_waitcnt vmcnt(0)
	v_lshlrev_b32_e32 v18, 16, v18
	v_sub_f32_e32 v18, v18, v20
	v_mul_f32_e32 v18, v39, v18
	v_lshrrev_b32_e32 v28, 16, v18
.LBB374_83:
	s_or_b64 exec, exec, s[0:1]
	v_or_b32_e32 v19, 0xb000, v42
	v_or_b32_e32 v18, 0xb000, v43
	s_and_saveexec_b64 s[0:1], s[4:5]
	s_cbranch_execz .LBB374_85
; %bb.84:
	v_mov_b32_e32 v27, 0
	v_lshl_add_u64 v[22:23], v[22:23], 0, v[26:27]
	global_load_ushort v20, v[22:23], off offset:32
	s_waitcnt vmcnt(0)
	v_lshlrev_b32_e32 v20, 16, v20
	v_sub_f32_e32 v20, v20, v21
	v_mul_f32_e32 v20, v33, v20
	v_lshrrev_b32_e32 v24, 16, v20
.LBB374_85:
	s_or_b64 exec, exec, s[0:1]
	s_mov_b32 s0, 0x5040100
	v_or_b32_e32 v22, v35, v37
	v_perm_b32 v21, v24, v28, s0
	v_perm_b32 v20, v29, v25, s0
	v_lshlrev_b32_e32 v22, 1, v22
	s_movk_i32 s0, 0x100
	ds_write_b64 v22, v[20:21] offset:45056
	v_and_b32_e32 v20, 7, v0
	v_and_b32_e32 v21, 8, v0
	v_cmp_gt_u32_e32 vcc, s0, v0
	v_lshrrev_b32_e32 v0, 1, v0
	v_lshlrev_b32_e32 v35, 3, v20
	v_lshlrev_b32_e32 v36, 7, v20
	v_mov_b32_e32 v20, 0x4000
	v_mov_b32_e32 v22, 0x2000
	v_lshlrev_b32_e32 v38, 3, v56
	v_and_b32_e32 v0, 24, v0
	v_cndmask_b32_e32 v37, v20, v22, vcc
	v_xor_b32_e32 v20, v38, v0
	v_or_b32_e32 v26, 32, v0
	v_or_b32_e32 v22, 0x440, v20
	v_cmp_eq_u32_e32 vcc, 0, v21
	v_xor_b32_e32 v26, v38, v26
	v_or_b32_e32 v27, 0x440, v26
	v_cndmask_b32_e32 v20, v22, v20, vcc
	v_or_b32_e32 v20, v20, v41
	v_cndmask_b32_e32 v26, v27, v26, vcc
	v_xad_u32 v40, v20, v35, v36
	v_or_b32_e32 v26, v26, v41
	v_add_u32_e32 v20, v37, v40
	v_xad_u32 v42, v26, v35, v36
	s_waitcnt lgkmcnt(0)
	s_barrier
	ds_read_b64 v[24:25], v20
	ds_read2_b64 v[20:23], v19 offset1:16
	v_add_u32_e32 v26, v37, v42
	ds_read_b64 v[32:33], v26
	s_waitcnt lgkmcnt(1)
	v_mfma_f32_16x16x16_bf16 a[0:3], v[24:25], v[20:21], 0
	ds_read2st64_b64 v[28:31], v18 offset0:2 offset1:4
	v_mfma_f32_16x16x16_bf16 a[4:7], v[24:25], v[22:23], 0
	ds_read2st64_b64 v[24:27], v19 offset0:2 offset1:4
	s_waitcnt lgkmcnt(0)
	v_mfma_f32_16x16x16_bf16 a[0:3], v[32:33], v[24:25], a[0:3]
	v_mfma_f32_16x16x16_bf16 a[4:7], v[32:33], v[28:29], a[4:7]
	v_or_b32_e32 v32, 64, v0
	v_xor_b32_e32 v32, v38, v32
	v_xor_b32_e32 v33, 0x440, v32
	v_cndmask_b32_e32 v32, v33, v32, vcc
	v_or_b32_e32 v32, v32, v41
	v_or_b32_e32 v0, 0x60, v0
	v_xad_u32 v43, v32, v35, v36
	v_xor_b32_e32 v0, v38, v0
	v_add_u32_e32 v32, v37, v43
	v_xor_b32_e32 v38, 0x440, v0
	ds_read_b64 v[32:33], v32
	v_cndmask_b32_e32 v0, v38, v0, vcc
	v_or_b32_e32 v0, v0, v41
	v_xad_u32 v0, v0, v35, v36
	v_add_u32_e32 v35, v37, v0
	ds_read_b64 v[36:37], v35
	s_waitcnt lgkmcnt(1)
	v_mfma_f32_16x16x16_bf16 a[0:3], v[32:33], v[26:27], a[0:3]
	v_mov_b32_e32 v35, 0x3fb8aa3b
	v_mfma_f32_16x16x16_bf16 a[4:7], v[32:33], v[30:31], a[4:7]
	ds_read_b64 v[32:33], v19 offset:3072
	ds_read_b64 v[38:39], v18 offset:3072
	;; [unrolled: 1-line block ×3, first 2 shown]
	s_waitcnt lgkmcnt(2)
	v_mfma_f32_16x16x16_bf16 a[0:3], v[36:37], v[32:33], a[0:3]
	s_waitcnt lgkmcnt(1)
	v_mfma_f32_16x16x16_bf16 a[4:7], v[36:37], v[38:39], a[4:7]
	ds_read_b64 v[36:37], v42 offset:16384
	s_waitcnt lgkmcnt(1)
	v_mfma_f32_16x16x16_bf16 a[8:11], v[18:19], v[20:21], 0
	v_mul_f32_e32 v20, s16, v35
	v_exp_f32_e32 v35, v20
	v_accvgpr_read_b32 v21, a3
	v_mfma_f32_16x16x16_bf16 a[12:15], v[18:19], v[22:23], 0
	ds_read_b64 v[22:23], v43 offset:16384
	v_accvgpr_read_b32 v18, a0
	v_fma_f32 v18, v2, v35, v18
	v_accvgpr_read_b32 v2, a1
	v_fma_f32 v19, v3, v35, v2
	;; [unrolled: 2-line block ×3, first 2 shown]
	ds_read_b64 v[2:3], v0 offset:16384
	s_waitcnt lgkmcnt(2)
	v_mfma_f32_16x16x16_bf16 a[8:11], v[36:37], v[24:25], a[8:11]
	v_accvgpr_read_b32 v0, a4
	v_fmac_f32_e32 v21, v5, v35
	v_mfma_f32_16x16x16_bf16 a[12:15], v[36:37], v[28:29], a[12:15]
	v_accvgpr_read_b32 v29, a7
	v_fmac_f32_e32 v29, v13, v35
	s_waitcnt lgkmcnt(1)
	v_mfma_f32_16x16x16_bf16 a[0:3], v[22:23], v[26:27], a[8:11]
	v_fma_f32 v26, v10, v35, v0
	v_accvgpr_read_b32 v0, a5
	v_fma_f32 v27, v11, v35, v0
	v_mfma_f32_16x16x16_bf16 a[8:11], v[22:23], v[30:31], a[12:15]
	v_accvgpr_read_b32 v0, a6
	v_fma_f32 v28, v12, v35, v0
	s_waitcnt lgkmcnt(0)
	v_mfma_f32_16x16x16_bf16 a[0:3], v[2:3], v[32:33], a[0:3]
	v_mfma_f32_16x16x16_bf16 a[4:7], v[2:3], v[38:39], a[8:11]
	s_nop 5
	v_accvgpr_read_b32 v0, a0
	v_fma_f32 v22, v6, v35, v0
	v_accvgpr_read_b32 v0, a1
	v_fma_f32 v23, v7, v35, v0
	;; [unrolled: 2-line block ×4, first 2 shown]
	v_accvgpr_read_b32 v0, a5
	v_accvgpr_read_b32 v25, a3
	v_fma_f32 v31, v15, v35, v0
	v_accvgpr_read_b32 v0, a6
	v_accvgpr_read_b32 v33, a7
	v_fmac_f32_e32 v25, v9, v35
	v_fma_f32 v32, v16, v35, v0
	v_fmac_f32_e32 v33, v17, v35
	v_mov_b64_e32 v[2:3], v[18:19]
	v_mov_b64_e32 v[4:5], v[20:21]
	;; [unrolled: 1-line block ×8, first 2 shown]
	v_mov_b32_e32 v18, v34
.LBB374_86:
	s_mul_i32 s0, s33, s35
	s_mul_hi_u32 s1, s33, s34
	s_add_i32 s0, s1, s0
	s_mul_i32 s1, s48, s34
	s_add_i32 s1, s0, s1
	s_mul_i32 s0, s33, s34
	s_add_u32 s0, s0, s49
	s_addc_u32 s1, s1, s9
	s_lshl_b64 s[0:1], s[0:1], 15
	s_add_u32 s0, s24, s0
	v_lshlrev_b32_e32 v18, 7, v18
	s_addc_u32 s1, s25, s1
	v_ashrrev_i32_e32 v19, 31, v18
	v_lshl_add_u64 v[20:21], v[18:19], 1, s[0:1]
	v_lshlrev_b32_e32 v0, 1, v1
	v_mov_b32_e32 v1, 0
	s_mov_b32 s2, 0x7060302
	v_lshl_add_u64 v[20:21], v[20:21], 0, v[0:1]
	v_perm_b32 v5, v5, v4, s2
	v_perm_b32 v4, v3, v2, s2
	;; [unrolled: 1-line block ×4, first 2 shown]
	global_store_dwordx2 v[20:21], v[2:3], off offset:128
	v_or_b32_e32 v2, 0x800, v18
	v_ashrrev_i32_e32 v3, 31, v2
	v_lshl_add_u64 v[2:3], v[2:3], 1, s[0:1]
	v_lshl_add_u64 v[0:1], v[2:3], 0, v[0:1]
	v_perm_b32 v3, v13, v12, s2
	v_perm_b32 v2, v11, v10, s2
	global_store_dwordx2 v[0:1], v[2:3], off
	v_perm_b32 v3, v17, v16, s2
	v_perm_b32 v2, v15, v14, s2
	global_store_dwordx2 v[20:21], v[4:5], off
	global_store_dwordx2 v[0:1], v[2:3], off offset:128
	s_endpgm
	.section	.rodata,"a",@progbits
	.p2align	6, 0x0
	.amdhsa_kernel _ZN12_GLOBAL__N_139chunk_gated_delta_rule_fwd_h_hip_kernelILi32ELb0ELb1ELb0ELb1ELb0ELb0ELb0ELb1EEEvPK12hip_bfloat16S3_S3_PKfS5_PKvPS1_S8_PvPKiSB_iiiiilll
		.amdhsa_group_segment_fixed_size 49152
		.amdhsa_private_segment_fixed_size 0
		.amdhsa_kernarg_size 136
		.amdhsa_user_sgpr_count 2
		.amdhsa_user_sgpr_dispatch_ptr 0
		.amdhsa_user_sgpr_queue_ptr 0
		.amdhsa_user_sgpr_kernarg_segment_ptr 1
		.amdhsa_user_sgpr_dispatch_id 0
		.amdhsa_user_sgpr_kernarg_preload_length 0
		.amdhsa_user_sgpr_kernarg_preload_offset 0
		.amdhsa_user_sgpr_private_segment_size 0
		.amdhsa_uses_dynamic_stack 0
		.amdhsa_enable_private_segment 0
		.amdhsa_system_sgpr_workgroup_id_x 1
		.amdhsa_system_sgpr_workgroup_id_y 1
		.amdhsa_system_sgpr_workgroup_id_z 0
		.amdhsa_system_sgpr_workgroup_info 0
		.amdhsa_system_vgpr_workitem_id 0
		.amdhsa_next_free_vgpr 148
		.amdhsa_next_free_sgpr 64
		.amdhsa_accum_offset 132
		.amdhsa_reserve_vcc 1
		.amdhsa_float_round_mode_32 0
		.amdhsa_float_round_mode_16_64 0
		.amdhsa_float_denorm_mode_32 3
		.amdhsa_float_denorm_mode_16_64 3
		.amdhsa_dx10_clamp 1
		.amdhsa_ieee_mode 1
		.amdhsa_fp16_overflow 0
		.amdhsa_tg_split 0
		.amdhsa_exception_fp_ieee_invalid_op 0
		.amdhsa_exception_fp_denorm_src 0
		.amdhsa_exception_fp_ieee_div_zero 0
		.amdhsa_exception_fp_ieee_overflow 0
		.amdhsa_exception_fp_ieee_underflow 0
		.amdhsa_exception_fp_ieee_inexact 0
		.amdhsa_exception_int_div_zero 0
	.end_amdhsa_kernel
	.section	.text._ZN12_GLOBAL__N_139chunk_gated_delta_rule_fwd_h_hip_kernelILi32ELb0ELb1ELb0ELb1ELb0ELb0ELb0ELb1EEEvPK12hip_bfloat16S3_S3_PKfS5_PKvPS1_S8_PvPKiSB_iiiiilll,"axG",@progbits,_ZN12_GLOBAL__N_139chunk_gated_delta_rule_fwd_h_hip_kernelILi32ELb0ELb1ELb0ELb1ELb0ELb0ELb0ELb1EEEvPK12hip_bfloat16S3_S3_PKfS5_PKvPS1_S8_PvPKiSB_iiiiilll,comdat
.Lfunc_end374:
	.size	_ZN12_GLOBAL__N_139chunk_gated_delta_rule_fwd_h_hip_kernelILi32ELb0ELb1ELb0ELb1ELb0ELb0ELb0ELb1EEEvPK12hip_bfloat16S3_S3_PKfS5_PKvPS1_S8_PvPKiSB_iiiiilll, .Lfunc_end374-_ZN12_GLOBAL__N_139chunk_gated_delta_rule_fwd_h_hip_kernelILi32ELb0ELb1ELb0ELb1ELb0ELb0ELb0ELb1EEEvPK12hip_bfloat16S3_S3_PKfS5_PKvPS1_S8_PvPKiSB_iiiiilll
                                        ; -- End function
	.section	.AMDGPU.csdata,"",@progbits
; Kernel info:
; codeLenInByte = 9420
; NumSgprs: 70
; NumVgprs: 132
; NumAgprs: 16
; TotalNumVgprs: 148
; ScratchSize: 0
; MemoryBound: 0
; FloatMode: 240
; IeeeMode: 1
; LDSByteSize: 49152 bytes/workgroup (compile time only)
; SGPRBlocks: 8
; VGPRBlocks: 18
; NumSGPRsForWavesPerEU: 70
; NumVGPRsForWavesPerEU: 148
; AccumOffset: 132
; Occupancy: 1
; WaveLimiterHint : 1
; COMPUTE_PGM_RSRC2:SCRATCH_EN: 0
; COMPUTE_PGM_RSRC2:USER_SGPR: 2
; COMPUTE_PGM_RSRC2:TRAP_HANDLER: 0
; COMPUTE_PGM_RSRC2:TGID_X_EN: 1
; COMPUTE_PGM_RSRC2:TGID_Y_EN: 1
; COMPUTE_PGM_RSRC2:TGID_Z_EN: 0
; COMPUTE_PGM_RSRC2:TIDIG_COMP_CNT: 0
; COMPUTE_PGM_RSRC3_GFX90A:ACCUM_OFFSET: 32
; COMPUTE_PGM_RSRC3_GFX90A:TG_SPLIT: 0
	.section	.text._ZN12_GLOBAL__N_139chunk_gated_delta_rule_fwd_h_hip_kernelILi32ELb0ELb0ELb1ELb1ELb0ELb0ELb0ELb1EEEvPK12hip_bfloat16S3_S3_PKfS5_PKvPS1_S8_PvPKiSB_iiiiilll,"axG",@progbits,_ZN12_GLOBAL__N_139chunk_gated_delta_rule_fwd_h_hip_kernelILi32ELb0ELb0ELb1ELb1ELb0ELb0ELb0ELb1EEEvPK12hip_bfloat16S3_S3_PKfS5_PKvPS1_S8_PvPKiSB_iiiiilll,comdat
	.globl	_ZN12_GLOBAL__N_139chunk_gated_delta_rule_fwd_h_hip_kernelILi32ELb0ELb0ELb1ELb1ELb0ELb0ELb0ELb1EEEvPK12hip_bfloat16S3_S3_PKfS5_PKvPS1_S8_PvPKiSB_iiiiilll ; -- Begin function _ZN12_GLOBAL__N_139chunk_gated_delta_rule_fwd_h_hip_kernelILi32ELb0ELb0ELb1ELb1ELb0ELb0ELb0ELb1EEEvPK12hip_bfloat16S3_S3_PKfS5_PKvPS1_S8_PvPKiSB_iiiiilll
	.p2align	8
	.type	_ZN12_GLOBAL__N_139chunk_gated_delta_rule_fwd_h_hip_kernelILi32ELb0ELb0ELb1ELb1ELb0ELb0ELb0ELb1EEEvPK12hip_bfloat16S3_S3_PKfS5_PKvPS1_S8_PvPKiSB_iiiiilll,@function
_ZN12_GLOBAL__N_139chunk_gated_delta_rule_fwd_h_hip_kernelILi32ELb0ELb0ELb1ELb1ELb0ELb0ELb0ELb1EEEvPK12hip_bfloat16S3_S3_PKfS5_PKvPS1_S8_PvPKiSB_iiiiilll: ; @_ZN12_GLOBAL__N_139chunk_gated_delta_rule_fwd_h_hip_kernelILi32ELb0ELb0ELb1ELb1ELb0ELb0ELb0ELb1EEEvPK12hip_bfloat16S3_S3_PKfS5_PKvPS1_S8_PvPKiSB_iiiiilll
; %bb.0:
	s_load_dwordx4 s[16:19], s[0:1], 0x5c
	s_load_dwordx4 s[20:23], s[0:1], 0x70
	s_abs_i32 s25, s3
	s_ashr_i32 s24, s3, 31
	s_load_dwordx4 s[12:15], s[0:1], 0x30
	s_load_dwordx4 s[28:31], s[0:1], 0x48
	s_waitcnt lgkmcnt(0)
	s_abs_i32 s34, s17
	v_cvt_f32_u32_e32 v1, s34
	s_sub_i32 s26, 0, s34
	s_ashr_i32 s35, s17, 31
	s_xor_b32 s24, s24, s35
	v_rcp_iflag_f32_e32 v1, v1
	s_load_dwordx8 s[4:11], s[0:1], 0x0
	v_lshrrev_b32_e32 v44, 6, v0
	v_bfe_u32 v45, v0, 4, 2
	v_mul_f32_e32 v1, 0x4f7ffffe, v1
	v_cvt_u32_f32_e32 v1, v1
	v_lshlrev_b32_e32 v2, 2, v45
	v_and_b32_e32 v43, 63, v0
	v_and_b32_e32 v42, 15, v0
	v_readfirstlane_b32 s27, v1
	s_mul_i32 s26, s26, s27
	s_mul_hi_u32 s26, s27, s26
	s_add_i32 s27, s27, s26
	s_mul_hi_u32 s26, s25, s27
	s_mul_i32 s27, s26, s34
	s_sub_i32 s25, s25, s27
	s_add_i32 s33, s26, 1
	s_sub_i32 s27, s25, s34
	s_cmp_ge_u32 s25, s34
	s_cselect_b32 s26, s33, s26
	s_cselect_b32 s25, s27, s25
	s_add_i32 s27, s26, 1
	s_cmp_ge_u32 s25, s34
	s_cselect_b32 s25, s27, s26
	s_xor_b32 s25, s25, s24
	s_sub_i32 s24, s25, s24
	s_mul_i32 s25, s24, s17
	s_sub_i32 s33, s3, s25
	s_ashr_i32 s25, s24, 31
	s_lshl_b64 s[26:27], s[24:25], 2
	s_add_u32 s28, s28, s26
	s_addc_u32 s29, s29, s27
	s_add_u32 s26, s30, s26
	s_addc_u32 s27, s31, s27
	s_abs_i32 s3, s18
	v_cvt_f32_u32_e32 v1, s3
	s_load_dwordx2 s[38:39], s[28:29], 0x0
	s_sub_i32 s29, 0, s3
	s_load_dword s46, s[26:27], 0x0
	v_rcp_iflag_f32_e32 v1, v1
	v_mov_b32_e32 v3, 0
	s_waitcnt lgkmcnt(0)
	s_sub_i32 s47, s39, s38
	s_ashr_i32 s28, s47, 31
	v_mul_f32_e32 v1, 0x4f7ffffe, v1
	v_cvt_u32_f32_e32 v1, v1
	s_lshr_b32 s28, s28, 26
	s_add_i32 s28, s47, s28
	s_ashr_i32 s45, s28, 6
	v_readfirstlane_b32 s30, v1
	s_mul_i32 s29, s29, s30
	s_mul_hi_u32 s29, s30, s29
	s_add_i32 s30, s30, s29
	s_mul_hi_u32 s29, s34, s30
	s_mul_i32 s30, s29, s3
	s_ashr_i32 s28, s18, 31
	s_sub_i32 s30, s34, s30
	s_xor_b32 s28, s35, s28
	s_add_i32 s31, s29, 1
	s_sub_i32 s34, s30, s3
	s_cmp_ge_u32 s30, s3
	s_cselect_b32 s29, s31, s29
	s_cselect_b32 s30, s34, s30
	s_add_i32 s31, s29, 1
	s_cmp_ge_u32 s30, s3
	s_cselect_b32 s3, s31, s29
	s_xor_b32 s3, s3, s28
	s_sub_i32 s3, s3, s28
	s_abs_i32 s28, s3
	v_cvt_f32_u32_e32 v1, s28
	s_load_dwordx2 s[34:35], s[0:1], 0x80
	s_xor_b32 s0, s33, s3
	s_sub_i32 s3, 0, s28
	v_rcp_iflag_f32_e32 v1, v1
	s_abs_i32 s1, s33
	s_ashr_i32 s0, s0, 31
	s_mul_hi_i32 s48, s33, s16
	v_mul_f32_e32 v1, 0x4f7ffffe, v1
	v_cvt_u32_f32_e32 v1, v1
	s_mul_i32 s49, s33, s16
	v_lshrrev_b32_e32 v47, 3, v43
	v_lshlrev_b32_e32 v46, 3, v0
	v_readfirstlane_b32 s26, v1
	s_mul_i32 s3, s3, s26
	s_mul_hi_u32 s3, s26, s3
	s_add_i32 s26, s26, s3
	s_mul_hi_u32 s3, s1, s26
	s_mul_i32 s26, s3, s28
	s_sub_i32 s1, s1, s26
	s_add_i32 s26, s3, 1
	s_sub_i32 s27, s1, s28
	s_cmp_ge_u32 s1, s28
	s_cselect_b32 s3, s26, s3
	s_cselect_b32 s1, s27, s1
	s_add_i32 s26, s3, 1
	s_cmp_ge_u32 s1, s28
	s_cselect_b32 s1, s26, s3
	s_xor_b32 s1, s1, s0
	v_lshlrev_b32_e32 v1, 4, v44
	s_sub_i32 s50, s1, s0
	v_or_b32_e32 v48, v2, v1
	s_lshl_b32 s36, s2, 5
	v_or_b32_e32 v49, 64, v48
	s_cmp_lt_i32 s47, 64
	s_mul_i32 s42, s24, s21
	s_mul_hi_u32 s43, s24, s20
	s_mul_i32 s44, s25, s20
	s_mul_i32 s20, s24, s20
	v_mov_b32_e32 v66, 0
	v_mov_b32_e32 v64, 0
	;; [unrolled: 1-line block ×15, first 2 shown]
	s_cbranch_scc1 .LBB375_18
; %bb.1:
	s_ashr_i32 s53, s33, 31
	s_ashr_i32 s1, s38, 31
	s_add_u32 s0, s49, s38
	s_addc_u32 s1, s48, s1
	s_lshl_b64 s[0:1], s[0:1], 8
	v_and_b32_e32 v51, 56, v46
	s_add_u32 s0, s6, s0
	v_lshl_or_b32 v50, v44, 3, v47
	v_lshlrev_b32_e32 v3, 1, v51
	s_addc_u32 s1, s7, s1
	v_lshl_or_b32 v52, v50, 8, v3
	s_and_b32 s1, s1, 0xffff
	s_mov_b32 s3, 0x20000
	s_movk_i32 s2, 0x4000
	s_movk_i32 s21, 0x80
	v_or_b32_e32 v53, 0x2000, v52
	buffer_load_dwordx4 v[4:7], v52, s[0:3], 0 offen
	buffer_load_dwordx4 v[8:11], v52, s[0:3], s21 offen
	;; [unrolled: 1-line block ×4, first 2 shown]
	v_lshlrev_b32_e32 v20, 3, v50
	v_and_or_b32 v22, v0, 7, v20
	v_and_b32_e32 v20, 0x78, v20
	v_lshlrev_b32_e32 v22, 4, v22
	v_xor_b32_e32 v54, v22, v20
	v_mul_lo_u32 v21, v50, s19
	v_or_b32_e32 v55, 0x1000, v54
	s_cmpk_eq_i32 s19, 0x80
	s_mov_b32 s51, s17
	s_mov_b32 s52, s38
	v_xor_b32_e32 v20, 8, v54
	v_xor_b32_e32 v22, 8, v55
	s_cselect_b64 s[0:1], -1, 0
	s_cmpk_lg_i32 s19, 0x80
	s_waitcnt vmcnt(3)
	ds_write_b64 v54, v[4:5] offset:24576
	ds_write_b64 v20, v[6:7] offset:24576
	s_waitcnt vmcnt(2)
	ds_write_b64 v54, v[8:9] offset:32768
	ds_write_b64 v20, v[10:11] offset:32768
	s_waitcnt vmcnt(1)
	ds_write_b64 v54, v[12:13] offset:28672
	ds_write_b64 v22, v[14:15] offset:24576
	s_waitcnt vmcnt(0)
	ds_write_b64 v54, v[16:17] offset:36864
	ds_write_b64 v22, v[18:19] offset:32768
	v_lshl_add_u32 v4, v21, 1, v51
	s_cbranch_scc0 .LBB375_3
; %bb.2:
	v_lshlrev_b32_e32 v6, 1, v4
	v_add_lshl_u32 v5, v4, s19, 1
	s_lshl_b32 s26, s19, 7
	v_lshl_or_b32 v3, v50, 9, v3
	s_cbranch_execz .LBB375_4
	s_branch .LBB375_5
.LBB375_3:
                                        ; implicit-def: $vgpr5
                                        ; implicit-def: $vgpr6
                                        ; implicit-def: $sgpr26
	v_lshl_or_b32 v3, v50, 9, v3
.LBB375_4:
	v_or_b32_e32 v5, 0x100, v3
	s_movk_i32 s26, 0x4000
	v_mov_b32_e32 v6, v3
.LBB375_5:
	s_mul_i32 s2, s38, s18
	s_ashr_i32 s54, s50, 31
	s_mul_hi_i32 s3, s38, s18
	s_add_u32 s2, s2, s50
	s_addc_u32 s3, s3, s54
	s_lshl_b64 s[2:3], s[2:3], 8
	s_add_u32 s24, s4, s2
	s_addc_u32 s2, s5, s3
	s_and_b32 s25, s2, 0xffff
	s_mov_b32 s27, 0x20000
	s_movk_i32 s55, 0x80
	buffer_load_dwordx4 v[8:11], v6, s[24:27], 0 offen
	buffer_load_dwordx4 v[12:15], v6, s[24:27], s55 offen
	;; [unrolled: 1-line block ×4, first 2 shown]
	v_and_b32_e32 v5, 6, v0
	v_lshlrev_b32_e32 v24, 6, v48
	v_or_b32_e32 v26, 16, v42
	v_xor_b32_e32 v27, v50, v5
	v_and_b32_e32 v6, 1, v0
	s_mul_i32 s2, s33, s23
	s_mul_hi_u32 s3, s33, s22
	v_lshl_or_b32 v30, v42, 3, v24
	v_lshl_or_b32 v24, v26, 3, v24
	v_lshlrev_b32_e32 v27, 2, v27
	s_add_i32 s21, s43, s42
	v_lshlrev_b32_e32 v7, 2, v42
	s_mul_i32 s24, s53, s22
	v_or_b32_e32 v58, 0xa000, v24
	v_or_b32_e32 v59, 0xb000, v24
	v_xor_b32_e32 v24, 0x440, v27
	v_cmp_eq_u32_e32 vcc, 0, v6
	s_add_i32 s2, s3, s2
	s_add_i32 s21, s21, s44
	v_xor_b32_e32 v28, v48, v7
	v_xor_b32_e32 v29, v49, v7
	v_cndmask_b32_e32 v6, v24, v27, vcc
	s_add_i32 s3, s2, s24
	s_lshl_b64 s[24:25], s[20:21], 2
	s_mov_b32 s56, 0x1000504
	v_lshlrev_b32_e32 v25, 8, v42
	v_lshlrev_b32_e32 v26, 8, v26
	;; [unrolled: 1-line block ×4, first 2 shown]
	v_lshl_or_b32 v5, v5, 10, v6
	s_mul_i32 s2, s33, s22
	s_add_u32 s21, s10, s24
	s_mov_b32 s57, 0x3020706
	v_or_b32_e32 v56, 0xa000, v30
	v_or_b32_e32 v57, 0xb000, v30
	;; [unrolled: 1-line block ×5, first 2 shown]
	v_xor_b32_e32 v6, 8, v5
	v_xor_b32_e32 v25, 24, v5
	;; [unrolled: 1-line block ×4, first 2 shown]
	s_addc_u32 s24, s11, s25
	s_lshl_b64 s[2:3], s[2:3], 2
	v_or_b32_e32 v62, v26, v28
	v_xor_b32_e32 v24, 16, v5
	v_xor_b32_e32 v26, 32, v5
	;; [unrolled: 1-line block ×3, first 2 shown]
	v_add_u32_e32 v6, 0x80, v6
	v_add_u32_e32 v25, 0x80, v25
	;; [unrolled: 1-line block ×4, first 2 shown]
	s_add_u32 s2, s21, s2
	s_addc_u32 s3, s24, s3
	s_movk_i32 s24, 0xf8
	s_ashr_i32 s37, s36, 31
	s_lshl_b32 s30, s19, 7
	s_movk_i32 s28, 0x100
	v_mov_b32_e32 v35, 0
	v_lshlrev_b32_e32 v34, 4, v42
	v_cmp_gt_u32_e32 vcc, s28, v0
	s_mov_b32 s58, 0
	s_movk_i32 s21, 0x1000
	s_movk_i32 s26, 0x4000
	v_add_u32_e32 v93, v1, v2
	v_mov_b32_e32 v94, 0x3fb8aa3b
	v_mov_b32_e32 v76, v35
	;; [unrolled: 1-line block ×13, first 2 shown]
	s_waitcnt vmcnt(1)
	v_perm_b32 v30, v8, v16, s56
	s_waitcnt vmcnt(0)
	v_perm_b32 v31, v12, v20, s56
	v_perm_b32 v8, v8, v16, s57
	;; [unrolled: 1-line block ×15, first 2 shown]
	ds_write2st64_b32 v5, v30, v31 offset0:32 offset1:64
	ds_write2st64_b32 v6, v8, v12 offset0:32 offset1:64
	ds_write2st64_b32 v24, v16, v20 offset0:33 offset1:65
	ds_write2st64_b32 v25, v9, v13 offset0:33 offset1:65
	ds_write2st64_b32 v26, v17, v21 offset0:34 offset1:66
	ds_write2st64_b32 v27, v10, v14 offset0:34 offset1:66
	ds_write2st64_b32 v28, v18, v22 offset0:35 offset1:67
	ds_write2st64_b32 v29, v11, v15 offset0:35 offset1:67
	v_or_b32_e32 v5, v1, v42
	v_lshlrev_b32_e32 v5, 3, v5
	v_lshrrev_b32_e32 v8, 5, v43
	v_and_or_b32 v8, v5, s24, v8
	v_lshlrev_b32_e32 v8, 4, v8
	v_lshlrev_b32_e32 v9, 11, v44
	v_and_b32_e32 v5, 0x78, v5
	v_or_b32_e32 v13, 32, v8
	v_and_b32_e32 v6, 0x1000, v9
	v_lshrrev_b32_e32 v11, 1, v0
	v_xor_b32_e32 v13, v13, v5
	v_and_b32_e32 v12, 8, v11
	v_or_b32_e32 v13, v13, v6
	v_xor_b32_e32 v10, v8, v5
	v_xor_b32_e32 v78, v13, v12
	v_or_b32_e32 v13, 64, v8
	v_or_b32_e32 v8, 0x60, v8
	v_xor_b32_e32 v13, v13, v5
	v_xor_b32_e32 v5, v8, v5
	v_or_b32_e32 v10, v10, v6
	v_or_b32_e32 v13, v13, v6
	;; [unrolled: 1-line block ×3, first 2 shown]
	s_lshl_b64 s[24:25], s[36:37], 8
	v_xor_b32_e32 v70, v10, v12
	v_xor_b32_e32 v80, v13, v12
	;; [unrolled: 1-line block ×3, first 2 shown]
	v_lshlrev_b32_e32 v12, 1, v4
	v_add_lshl_u32 v13, v4, s19, 1
	s_add_u32 s24, s12, s24
	v_lshlrev_b32_e32 v4, 1, v42
	v_lshrrev_b32_e32 v15, 4, v0
	s_addc_u32 s25, s13, s25
	v_or_b32_e32 v5, 1, v4
	v_mov_b32_e32 v19, 0x4000
	v_mov_b32_e32 v20, 0x2000
	v_xor_b32_e32 v16, v15, v4
	v_xor_b32_e32 v17, v5, v15
	v_lshl_add_u64 v[4:5], s[24:25], 0, v[34:35]
	v_lshlrev_b32_e32 v34, 8, v15
	v_cndmask_b32_e32 v19, v19, v20, vcc
	v_lshlrev_b32_e32 v20, 3, v44
	v_and_b32_e32 v11, 24, v11
	v_lshl_or_b32 v84, v16, 3, v34
	v_and_b32_e32 v16, 8, v0
	v_xor_b32_e32 v21, v20, v11
	v_or_b32_e32 v22, 0x440, v21
	v_cmp_eq_u32_e32 vcc, 0, v16
	v_and_b32_e32 v15, 7, v0
	v_lshlrev_b32_e32 v10, 7, v45
	v_cndmask_b32_e32 v16, v22, v21, vcc
	v_lshl_or_b32 v85, v17, 3, v34
	v_lshlrev_b32_e32 v17, 3, v15
	v_lshlrev_b32_e32 v15, 7, v15
	v_lshlrev_b32_e32 v18, 2, v0
	v_or_b32_e32 v16, v16, v9
	v_or_b32_e32 v7, v10, v7
	v_xad_u32 v86, v16, v17, v15
	v_and_or_b32 v10, v18, 60, v10
	v_mov_b32_e32 v16, 0xb000
	v_lshl_or_b32 v87, v10, 1, v16
	v_or_b32_e32 v10, 32, v11
	v_xor_b32_e32 v10, v20, v10
	v_or_b32_e32 v16, 0x440, v10
	v_cndmask_b32_e32 v10, v16, v10, vcc
	v_or_b32_e32 v10, v10, v9
	v_xad_u32 v88, v10, v17, v15
	v_or_b32_e32 v10, 64, v11
	v_xor_b32_e32 v10, v20, v10
	v_xor_b32_e32 v16, 0x440, v10
	v_cndmask_b32_e32 v10, v16, v10, vcc
	v_or_b32_e32 v10, v10, v9
	v_xad_u32 v89, v10, v17, v15
	v_or_b32_e32 v10, 0x60, v11
	v_xor_b32_e32 v10, v20, v10
	v_xor_b32_e32 v11, 0x440, v10
	v_lshlrev_b32_e32 v7, 1, v7
	v_or_b32_e32 v6, s36, v42
	v_cndmask_b32_e32 v10, v11, v10, vcc
	v_or_b32_e32 v74, 0xa000, v7
	v_or_b32_e32 v79, 0xa080, v7
	;; [unrolled: 1-line block ×4, first 2 shown]
	v_ashrrev_i32_e32 v7, 31, v6
	v_or_b32_e32 v9, v10, v9
	v_lshlrev_b32_e32 v8, 7, v48
	v_or_b32_e32 v14, 0x100, v3
	v_xad_u32 v90, v9, v17, v15
	v_lshlrev_b64 v[6:7], 1, v[6:7]
	v_cndmask_b32_e64 v91, v12, v3, s[0:1]
	v_cndmask_b32_e64 v92, v13, v14, s[0:1]
	v_lshl_add_u64 v[36:37], s[8:9], 0, v[6:7]
	v_lshl_add_u64 v[38:39], s[14:15], 0, v[6:7]
	;; [unrolled: 1-line block ×3, first 2 shown]
	s_mov_b32 s37, 0x7060302
	v_lshlrev_b32_e32 v34, 1, v8
	v_add_u32_e32 v95, v19, v86
	v_add_u32_e32 v96, v19, v88
	;; [unrolled: 1-line block ×4, first 2 shown]
	v_mov_b32_e32 v65, v35
	v_mov_b32_e32 v64, v35
	v_mov_b32_e32 v66, v35
	v_mov_b32_e32 v100, v35
	s_waitcnt lgkmcnt(0)
	s_barrier
.LBB375_6:                              ; =>This Inner Loop Header: Depth=1
	s_add_i32 s59, s58, 1
	s_cmp_lt_i32 s59, s45
	s_mov_b64 s[28:29], 0
	s_cselect_b64 s[40:41], -1, 0
	s_cmp_ge_i32 s59, s45
	s_mov_b64 s[24:25], 0
	s_cbranch_scc1 .LBB375_8
; %bb.7:                                ;   in Loop: Header=BB375_6 Depth=1
	s_add_i32 s0, s52, 64
	s_ashr_i32 s1, s0, 31
	s_add_u32 s0, s49, s0
	s_addc_u32 s1, s48, s1
	s_lshl_b64 s[0:1], s[0:1], 8
	s_add_u32 s24, s6, s0
	s_addc_u32 s25, s7, s1
.LBB375_8:                              ;   in Loop: Header=BB375_6 Depth=1
	v_cndmask_b32_e64 v2, 0, 1, s[40:41]
	v_cmp_ne_u32_e64 s[0:1], 1, v2
	s_andn2_b64 vcc, exec, s[40:41]
	s_cbranch_vccnz .LBB375_10
; %bb.9:                                ;   in Loop: Header=BB375_6 Depth=1
	s_add_i32 s28, s52, 64
	s_mul_hi_i32 s29, s28, s18
	s_mul_i32 s28, s28, s18
	s_add_u32 s28, s28, s50
	s_addc_u32 s29, s29, s54
	s_lshl_b64 s[28:29], s[28:29], 8
	s_add_u32 s28, s4, s28
	s_addc_u32 s29, s5, s29
.LBB375_10:                             ;   in Loop: Header=BB375_6 Depth=1
	v_perm_b32 v3, v101, v77, s37
	v_perm_b32 v2, v75, v76, s37
	;; [unrolled: 1-line block ×4, first 2 shown]
	ds_write_b64 v56, v[2:3]
	ds_write_b64 v57, v[4:5]
	;; [unrolled: 1-line block ×4, first 2 shown]
	v_perm_b32 v3, v102, v69, s37
	v_perm_b32 v2, v67, v68, s37
	;; [unrolled: 1-line block ×4, first 2 shown]
	ds_write_b64 v58, v[2:3]
	ds_write_b64 v59, v[4:5]
	;; [unrolled: 1-line block ×4, first 2 shown]
	s_waitcnt lgkmcnt(0)
	s_barrier
	ds_read_b64 v[6:7], v70 offset:24576
	ds_read2_b64 v[2:5], v74 offset1:16
	ds_read_b64 v[10:11], v79 offset:3072
	ds_read_b64 v[12:13], v74 offset:3072
	ds_read_b64 v[14:15], v78 offset:24576
	s_waitcnt lgkmcnt(3)
	v_mfma_f32_16x16x16_bf16 a[0:3], v[6:7], v[2:3], 0
	s_add_i32 s31, s52, 63
	s_ashr_i32 s40, s31, 31
	s_mul_i32 s41, s31, s35
	v_mfma_f32_16x16x16_bf16 a[4:7], v[6:7], v[4:5], 0
	ds_read2st64_b64 v[2:5], v74 offset0:2 offset1:4
	s_mul_hi_u32 s60, s31, s34
	s_add_i32 s41, s60, s41
	s_waitcnt lgkmcnt(0)
	v_mfma_f32_16x16x16_bf16 a[0:3], v[14:15], v[2:3], a[0:3]
	ds_read2st64_b64 v[6:9], v79 offset0:2 offset1:4
	ds_read_b64 v[2:3], v80 offset:24576
	s_mul_i32 s40, s40, s34
	s_add_i32 s41, s41, s40
	s_waitcnt lgkmcnt(1)
	v_mfma_f32_16x16x16_bf16 a[4:7], v[14:15], v[6:7], a[4:7]
	ds_read_b64 v[6:7], v81 offset:24576
	s_mul_i32 s40, s31, s34
	s_lshl_b64 s[40:41], s[40:41], 2
	s_waitcnt lgkmcnt(1)
	v_mfma_f32_16x16x16_bf16 a[0:3], v[2:3], v[4:5], a[0:3]
	s_add_u32 s40, s2, s40
	s_addc_u32 s41, s3, s41
	s_and_b64 vcc, exec, s[0:1]
	v_mfma_f32_16x16x16_bf16 a[8:11], v[2:3], v[8:9], a[4:7]
	v_mov_b32_e32 v105, 0
	v_mov_b32_e32 v104, 0
	;; [unrolled: 1-line block ×3, first 2 shown]
	s_waitcnt lgkmcnt(0)
	v_mfma_f32_16x16x16_bf16 a[4:7], v[6:7], v[12:13], a[0:3]
	v_mov_b32_e32 v2, 0
	v_mov_b32_e32 v3, 0
	v_mov_b32_e32 v4, 0
	v_mfma_f32_16x16x16_bf16 a[0:3], v[6:7], v[10:11], a[8:11]
	v_mov_b32_e32 v5, 0
	v_mov_b32_e32 v6, 0
	;; [unrolled: 1-line block ×13, first 2 shown]
	s_cbranch_vccnz .LBB375_12
; %bb.11:                               ;   in Loop: Header=BB375_6 Depth=1
	s_and_b32 s25, s25, 0xffff
	buffer_load_dwordx4 v[14:17], v52, s[24:27], 0 offen
	buffer_load_dwordx4 v[10:13], v52, s[24:27], s55 offen
	;; [unrolled: 1-line block ×4, first 2 shown]
	v_mov_b32_e32 v104, v54
	v_mov_b32_e32 v103, v55
.LBB375_12:                             ;   in Loop: Header=BB375_6 Depth=1
	s_waitcnt vmcnt(3)
	ds_read_b64 v[26:27], v70 offset:32768
	s_waitcnt vmcnt(2)
	ds_read2_b64 v[18:21], v82 offset1:16
	ds_read_b64 v[28:29], v78 offset:32768
	ds_read_b64 v[30:31], v80 offset:32768
	;; [unrolled: 1-line block ×3, first 2 shown]
	v_add_u32_e32 v106, s52, v93
	s_waitcnt lgkmcnt(3)
	v_mfma_f32_16x16x16_bf16 a[4:7], v[26:27], v[18:19], a[4:7]
	v_ashrrev_i32_e32 v18, 31, v106
	ds_read2st64_b64 v[22:25], v82 offset0:2 offset1:4
	v_mfma_f32_16x16x16_bf16 a[0:3], v[26:27], v[20:21], a[0:3]
	v_mul_lo_u32 v20, v18, s34
	v_mul_lo_u32 v21, v106, s35
	v_mad_u64_u32 v[18:19], s[24:25], v106, s34, 0
	v_add3_u32 v19, v19, v21, v20
	v_add_u32_e32 v20, 1, v106
	v_ashrrev_i32_e32 v21, 31, v20
	v_mul_lo_u32 v26, v21, s34
	v_mul_lo_u32 v27, v20, s35
	v_mad_u64_u32 v[20:21], s[24:25], v20, s34, 0
	v_add3_u32 v21, v21, v27, v26
	v_add_u32_e32 v26, 2, v106
	v_ashrrev_i32_e32 v27, 31, v26
	v_mul_lo_u32 v107, v27, s34
	v_mul_lo_u32 v108, v26, s35
	v_mad_u64_u32 v[26:27], s[24:25], v26, s34, 0
	v_add_u32_e32 v106, 3, v106
	v_add3_u32 v27, v27, v108, v107
	v_ashrrev_i32_e32 v107, 31, v106
	v_mul_lo_u32 v108, v107, s34
	v_mul_lo_u32 v109, v106, s35
	v_mad_u64_u32 v[106:107], s[24:25], v106, s34, 0
	s_ashr_i32 s25, s52, 31
	v_add3_u32 v107, v107, v109, v108
	s_add_u32 s24, s49, s52
	v_lshl_add_u64 v[18:19], v[18:19], 2, s[2:3]
	v_lshl_add_u64 v[106:107], v[106:107], 2, s[2:3]
	s_addc_u32 s25, s48, s25
	v_lshl_add_u64 v[20:21], v[20:21], 2, s[2:3]
	v_lshl_add_u64 v[26:27], v[26:27], 2, s[2:3]
	global_load_dword v108, v[18:19], off
	global_load_dword v109, v[20:21], off
	;; [unrolled: 1-line block ×3, first 2 shown]
	s_nop 0
	global_load_dword v106, v[106:107], off
	s_lshl_b64 s[60:61], s[24:25], 8
	v_lshl_add_u64 v[18:19], v[36:37], 0, s[60:61]
	v_lshl_add_u64 v[26:27], v[18:19], 0, v[34:35]
	global_load_ushort v107, v[26:27], off offset:256
	global_load_ushort v111, v[26:27], off
	ds_read2st64_b64 v[18:21], v83 offset0:2 offset1:4
	global_load_ushort v112, v[26:27], off offset:768
	global_load_ushort v113, v[26:27], off offset:512
	;; [unrolled: 1-line block ×6, first 2 shown]
	s_waitcnt lgkmcnt(1)
	v_mfma_f32_16x16x16_bf16 a[4:7], v[28:29], v[22:23], a[4:7]
	s_and_b64 vcc, exec, s[0:1]
	s_waitcnt vmcnt(7)
	v_lshlrev_b32_e32 v27, 16, v107
	s_waitcnt lgkmcnt(0)
	v_mfma_f32_16x16x16_bf16 a[0:3], v[28:29], v[18:19], a[0:3]
	v_mfma_f32_16x16x16_bf16 a[4:7], v[30:31], v[24:25], a[4:7]
	;; [unrolled: 1-line block ×3, first 2 shown]
	ds_read_b64 v[18:19], v82 offset:3072
	ds_read_b64 v[20:21], v83 offset:3072
	s_load_dword s24, s[40:41], 0x0
	s_waitcnt lgkmcnt(0)
	v_sub_f32_e32 v26, s24, v108
	v_mfma_f32_16x16x16_bf16 a[4:7], v[32:33], v[18:19], a[4:7]
	v_sub_f32_e32 v29, s24, v109
	v_sub_f32_e32 v30, s24, v110
	v_sub_f32_e32 v31, s24, v106
	v_mul_f32_e32 v28, 0x3fb8aa3b, v26
	v_mul_f32_e32 v29, 0x3fb8aa3b, v29
	;; [unrolled: 1-line block ×4, first 2 shown]
	v_mfma_f32_16x16x16_bf16 a[0:3], v[32:33], v[20:21], a[0:3]
	v_accvgpr_read_b32 v25, a5
	v_exp_f32_e32 v28, v28
	v_exp_f32_e32 v29, v29
	;; [unrolled: 1-line block ×4, first 2 shown]
	v_accvgpr_read_b32 v24, a4
	s_waitcnt vmcnt(6)
	v_lshlrev_b32_e32 v26, 16, v111
	v_lshl_add_u64 v[18:19], v[38:39], 0, s[60:61]
	v_accvgpr_read_b32 v21, a7
	v_accvgpr_read_b32 v20, a6
	v_pk_add_f32 v[24:25], v[26:27], v[24:25] neg_lo:[0,1] neg_hi:[0,1]
	s_waitcnt vmcnt(5)
	v_lshlrev_b32_e32 v27, 16, v112
	s_waitcnt vmcnt(4)
	v_lshlrev_b32_e32 v26, 16, v113
	v_lshl_add_u64 v[18:19], v[18:19], 0, v[34:35]
	v_pk_add_f32 v[20:21], v[26:27], v[20:21] neg_lo:[0,1] neg_hi:[0,1]
	global_store_short_d16_hi v[18:19], v24, off
	global_store_short_d16_hi v[18:19], v25, off offset:256
	global_store_short_d16_hi v[18:19], v20, off offset:512
	;; [unrolled: 1-line block ×3, first 2 shown]
	v_pk_mul_f32 v[24:25], v[28:29], v[24:25]
	v_pk_mul_f32 v[20:21], v[30:31], v[20:21]
	v_accvgpr_read_b32 v27, a1
	v_perm_b32 v21, v21, v20, s37
	v_perm_b32 v20, v25, v24, s37
	s_waitcnt vmcnt(5)
	v_lshlrev_b32_e32 v25, 16, v116
	s_waitcnt vmcnt(4)
	v_lshlrev_b32_e32 v24, 16, v117
	v_accvgpr_read_b32 v26, a0
	v_accvgpr_read_b32 v23, a3
	;; [unrolled: 1-line block ×3, first 2 shown]
	v_pk_add_f32 v[24:25], v[24:25], v[26:27] neg_lo:[0,1] neg_hi:[0,1]
	v_lshlrev_b32_e32 v27, 16, v114
	v_lshlrev_b32_e32 v26, 16, v115
	v_pk_add_f32 v[22:23], v[26:27], v[22:23] neg_lo:[0,1] neg_hi:[0,1]
	global_store_short_d16_hi v[18:19], v24, off offset:32
	global_store_short_d16_hi v[18:19], v25, off offset:288
	;; [unrolled: 1-line block ×4, first 2 shown]
	v_pk_mul_f32 v[18:19], v[28:29], v[24:25]
	v_pk_mul_f32 v[22:23], v[30:31], v[22:23]
	v_mov_b32_e32 v106, 0
	v_perm_b32 v23, v23, v22, s37
	v_perm_b32 v22, v19, v18, s37
	ds_write2_b64 v57, v[20:21], v[22:23] offset1:16
	v_mov_b32_e32 v18, 0
	v_mov_b32_e32 v19, 0
	;; [unrolled: 1-line block ×16, first 2 shown]
	s_cbranch_vccnz .LBB375_14
; %bb.13:                               ;   in Loop: Header=BB375_6 Depth=1
	s_and_b32 s29, s29, 0xffff
	s_mov_b32 s31, s27
	buffer_load_dwordx4 v[30:33], v91, s[28:31], 0 offen
	buffer_load_dwordx4 v[22:25], v91, s[28:31], s55 offen
	;; [unrolled: 1-line block ×4, first 2 shown]
	v_mov_b32_e32 v105, v51
	v_mov_b32_e32 v106, v50
.LBB375_14:                             ;   in Loop: Header=BB375_6 Depth=1
	s_waitcnt lgkmcnt(0)
	s_barrier
	ds_read_b64 v[112:113], v95
	ds_read_b64 v[120:121], v87
	;; [unrolled: 1-line block ×5, first 2 shown]
	ds_read_b64 v[126:127], v88 offset:16384
	ds_read_b64 v[128:129], v86 offset:16384
	ds_read2_b64 v[108:111], v82 offset0:16 offset1:128
	s_waitcnt lgkmcnt(6)
	v_mfma_f32_16x16x16_bf16 a[0:3], v[112:113], v[120:121], 0
	ds_read_b64 v[130:131], v83 offset:3072
	ds_read_b64 v[132:133], v90 offset:16384
	s_add_i32 s25, s46, s58
	s_waitcnt lgkmcnt(2)
	v_mfma_f32_16x16x16_bf16 a[4:7], v[112:113], v[108:109], 0
	ds_read2st64_b64 v[112:115], v83 offset0:2 offset1:4
	s_mul_hi_i32 s29, s25, s51
	s_mul_i32 s25, s25, s51
	v_mfma_f32_16x16x16_bf16 a[0:3], v[116:117], v[110:111], a[0:3]
	s_add_u32 s28, s25, s33
	s_addc_u32 s29, s29, s53
	s_lshl_b64 s[28:29], s[28:29], 15
	s_waitcnt lgkmcnt(0)
	v_mfma_f32_16x16x16_bf16 a[4:7], v[116:117], v[112:113], a[4:7]
	ds_read2st64_b64 v[116:119], v82 offset0:4 offset1:6
	s_waitcnt lgkmcnt(0)
	v_mfma_f32_16x16x16_bf16 a[0:3], v[122:123], v[116:117], a[0:3]
	v_mfma_f32_16x16x16_bf16 a[8:11], v[122:123], v[114:115], a[4:7]
	;; [unrolled: 1-line block ×5, first 2 shown]
	ds_read2st64_b64 v[120:123], v85 offset1:8
	v_mfma_f32_16x16x16_bf16 a[12:15], v[128:129], v[108:109], 0
	ds_read_b64 v[128:129], v89 offset:16384
	v_mfma_f32_16x16x16_bf16 a[8:11], v[126:127], v[110:111], a[8:11]
	ds_read2st64_b64 v[108:111], v84 offset1:8
	s_waitcnt lgkmcnt(0)
	v_mov_b32_e32 v124, v108
	v_mfma_f32_16x16x16_bf16 a[12:15], v[126:127], v[112:113], a[12:15]
	v_lshl_add_u64 v[112:113], v[40:41], 0, s[28:29]
	v_add_co_u32_e32 v108, vcc, s21, v112
	v_mfma_f32_16x16x16_bf16 a[8:11], v[128:129], v[116:117], a[8:11]
	v_mov_b32_e32 v125, v109
	v_addc_co_u32_e32 v109, vcc, 0, v113, vcc
	v_mfma_f32_16x16x16_bf16 a[16:19], v[128:129], v[114:115], a[12:15]
	v_mov_b32_e32 v126, v120
	v_mov_b32_e32 v127, v121
	;; [unrolled: 1-line block ×3, first 2 shown]
	v_mfma_f32_16x16x16_bf16 a[12:15], v[132:133], v[118:119], a[8:11]
	v_mov_b32_e32 v121, v111
	s_and_b64 vcc, exec, s[0:1]
	global_store_dwordx4 v[112:113], v[124:127], off
	v_mfma_f32_16x16x16_bf16 a[8:11], v[132:133], v[130:131], a[16:19]
	global_store_dwordx4 v[108:109], v[120:123], off
	s_cbranch_vccnz .LBB375_16
; %bb.15:                               ;   in Loop: Header=BB375_6 Depth=1
	v_lshrrev_b32_e32 v107, 3, v105
	v_and_b32_e32 v107, 6, v107
	v_xor_b32_e32 v106, v107, v106
	v_lshlrev_b32_e32 v106, 2, v106
	v_and_b32_e32 v105, 8, v105
	v_xor_b32_e32 v108, 0x440, v106
	v_cmp_eq_u32_e32 vcc, 0, v105
	s_barrier
	s_nop 0
	v_cndmask_b32_e32 v105, v108, v106, vcc
	v_lshl_or_b32 v105, v107, 10, v105
	s_waitcnt vmcnt(3)
	v_perm_b32 v106, v30, v26, s56
	s_waitcnt vmcnt(2)
	v_perm_b32 v107, v22, v18, s56
	ds_write2st64_b32 v105, v106, v107 offset0:32 offset1:64
	v_xor_b32_e32 v106, 8, v105
	v_perm_b32 v26, v30, v26, s57
	v_perm_b32 v18, v22, v18, s57
	v_add_u32_e32 v22, 0x80, v106
	ds_write2st64_b32 v22, v26, v18 offset0:32 offset1:64
	v_xor_b32_e32 v18, 16, v105
	v_perm_b32 v22, v31, v27, s56
	v_perm_b32 v26, v23, v19, s56
	ds_write2st64_b32 v18, v22, v26 offset0:33 offset1:65
	v_xor_b32_e32 v18, 24, v105
	v_perm_b32 v22, v31, v27, s57
	v_perm_b32 v19, v23, v19, s57
	v_add_u32_e32 v18, 0x80, v18
	ds_write2st64_b32 v18, v22, v19 offset0:33 offset1:65
	v_xor_b32_e32 v18, 32, v105
	v_perm_b32 v19, v32, v28, s56
	;; [unrolled: 9-line block ×3, first 2 shown]
	v_perm_b32 v20, v25, v21, s56
	ds_write2st64_b32 v18, v19, v20 offset0:35 offset1:67
	v_xor_b32_e32 v18, 56, v105
	v_perm_b32 v19, v33, v29, s57
	v_perm_b32 v20, v25, v21, s57
	v_add_u32_e32 v18, 0x80, v18
	ds_write2st64_b32 v18, v19, v20 offset0:35 offset1:67
	ds_write_b64 v104, v[14:15] offset:24576
	v_xor_b32_e32 v14, 8, v104
	ds_write_b64 v14, v[16:17] offset:24576
	ds_write_b64 v104, v[10:11] offset:32768
	;; [unrolled: 1-line block ×4, first 2 shown]
	v_xor_b32_e32 v6, 8, v103
	ds_write_b64 v6, v[8:9] offset:24576
	ds_write_b64 v103, v[2:3] offset:32768
	;; [unrolled: 1-line block ×3, first 2 shown]
.LBB375_16:                             ;   in Loop: Header=BB375_6 Depth=1
	v_mul_f32_e32 v2, s24, v94
	v_exp_f32_e32 v2, v2
	v_accvgpr_read_b32 v3, a4
	v_accvgpr_read_b32 v4, a5
	;; [unrolled: 1-line block ×3, first 2 shown]
	v_fma_f32 v76, v76, v2, v3
	v_accvgpr_read_b32 v3, a6
	v_fma_f32 v77, v77, v2, v3
	v_accvgpr_read_b32 v3, a0
	;; [unrolled: 2-line block ×11, first 2 shown]
	v_accvgpr_read_b32 v6, a15
	v_fma_f32 v66, v66, v2, v3
	v_accvgpr_read_b32 v3, a11
	s_add_i32 s52, s52, 64
	v_fmac_f32_e32 v5, v101, v2
	v_fmac_f32_e32 v4, v102, v2
	;; [unrolled: 1-line block ×3, first 2 shown]
	s_cmp_eq_u32 s45, s59
	v_fmac_f32_e32 v3, v100, v2
	s_cbranch_scc1 .LBB375_18
; %bb.17:                               ;   in Loop: Header=BB375_6 Depth=1
	s_mov_b32 s58, s59
	v_mov_b32_e32 v101, v5
	v_mov_b32_e32 v99, v6
	;; [unrolled: 1-line block ×4, first 2 shown]
	s_branch .LBB375_6
.LBB375_18:
	s_lshl_b32 s0, s45, 6
	s_sub_i32 s47, s47, s0
	s_cmp_gt_i32 s47, 0
	s_cbranch_scc0 .LBB375_83
; %bb.19:
	s_add_i32 s38, s0, s38
	s_ashr_i32 s2, s38, 31
	s_cmpk_lg_i32 s19, 0x80
	s_cselect_b64 s[30:31], -1, 0
	s_and_b64 vcc, exec, s[30:31]
	s_cbranch_vccz .LBB375_21
; %bb.20:
	s_mul_i32 s1, s38, s18
	s_ashr_i32 s3, s50, 31
	s_mul_hi_i32 s0, s38, s18
	s_add_u32 s40, s1, s50
	s_addc_u32 s41, s0, s3
	s_cbranch_execz .LBB375_22
	s_branch .LBB375_23
.LBB375_21:
                                        ; implicit-def: $sgpr40_sgpr41
.LBB375_22:
	s_mul_i32 s1, s50, s16
	s_mul_hi_i32 s0, s50, s16
	s_add_u32 s40, s1, s38
	s_addc_u32 s41, s0, s2
.LBB375_23:
	s_add_i32 s3, s45, s46
	s_ashr_i32 s16, s33, 31
	s_add_u32 s0, s49, s38
	s_addc_u32 s1, s48, s2
	v_lshlrev_b32_e32 v10, 5, v48
	s_waitcnt vmcnt(4)
	v_lshlrev_b32_e32 v22, 2, v42
	s_mov_b32 s2, 0x7060302
	v_xor_b32_e32 v2, v48, v22
	v_perm_b32 v9, v5, v77, s2
	v_or_b32_e32 v5, v10, v22
	v_perm_b32 v8, v75, v76, s2
	v_perm_b32 v7, v6, v73, s2
	v_perm_b32 v6, v71, v72, s2
	v_lshlrev_b32_e32 v5, 1, v5
	v_lshlrev_b32_e32 v12, 1, v2
	;; [unrolled: 1-line block ×3, first 2 shown]
	s_lshl_b64 s[28:29], s[0:1], 8
	v_xor_b32_e32 v11, v49, v22
	ds_write2st64_b64 v5, v[8:9], v[6:7] offset0:80 offset1:88
	v_or_b32_e32 v5, v12, v2
	s_add_u32 s0, s6, s28
	ds_write_b64 v5, v[8:9]
	v_lshlrev_b32_e32 v8, 1, v11
	s_addc_u32 s1, s7, s29
	v_or_b32_e32 v2, v8, v2
	s_mul_hi_i32 s6, s3, s17
	s_mul_i32 s3, s3, s17
	ds_write_b64 v2, v[6:7]
	v_perm_b32 v5, v4, v69, s2
	v_perm_b32 v4, v67, v68, s2
	;; [unrolled: 1-line block ×4, first 2 shown]
	v_or_b32_e32 v6, 16, v42
	s_add_u32 s2, s3, s33
	s_waitcnt vmcnt(2)
	v_lshlrev_b32_e32 v19, 2, v6
	s_addc_u32 s3, s6, s16
	v_or_b32_e32 v7, v10, v19
	s_ashr_i32 s37, s36, 31
	s_lshl_b64 s[2:3], s[2:3], 15
	v_lshlrev_b32_e32 v7, 1, v7
	v_lshlrev_b32_e32 v6, 8, v6
	s_add_u32 s6, s12, s2
	ds_write2st64_b64 v7, v[4:5], v[2:3] offset0:80 offset1:88
	v_or_b32_e32 v7, v12, v6
	s_addc_u32 s7, s13, s3
	s_lshl_b64 s[2:3], s[36:37], 8
	ds_write_b64 v7, v[4:5]
	v_or_b32_e32 v4, v8, v6
	s_add_u32 s2, s6, s2
	ds_write_b64 v4, v[2:3]
	v_lshrrev_b32_e32 v2, 4, v0
	s_addc_u32 s3, s7, s3
	v_lshlrev_b32_e32 v3, 1, v42
	v_lshlrev_b32_e32 v10, 4, v42
	v_mov_b32_e32 v11, 0
	v_or_b32_e32 v4, 1, v3
	v_xor_b32_e32 v3, v2, v3
	v_lshl_add_u64 v[12:13], s[2:3], 0, v[10:11]
	v_lshlrev_b32_e32 v10, 8, v2
	v_xor_b32_e32 v6, v4, v2
	v_lshl_or_b32 v2, v3, 3, v10
	s_waitcnt lgkmcnt(0)
	s_barrier
	ds_read2st64_b64 v[2:5], v2 offset1:8
	v_lshl_or_b32 v6, v6, 3, v10
	ds_read2st64_b64 v[6:9], v6 offset1:8
	v_lshl_add_u64 v[14:15], v[12:13], 0, v[10:11]
	s_movk_i32 s2, 0x1000
	s_waitcnt lgkmcnt(1)
	v_mov_b32_e32 v10, v2
	v_add_co_u32_e32 v2, vcc, s2, v14
	s_cmp_lg_u32 s47, 64
	v_mov_b32_e32 v11, v3
	v_addc_co_u32_e32 v3, vcc, 0, v15, vcc
	s_cselect_b64 s[6:7], -1, 0
	v_lshl_or_b32 v23, v44, 3, v47
	s_waitcnt lgkmcnt(0)
	v_mov_b32_e32 v12, v6
	v_mov_b32_e32 v13, v7
	;; [unrolled: 1-line block ×4, first 2 shown]
	s_mov_b32 s24, 0
	v_or_b32_e32 v20, 32, v23
	v_and_b32_e32 v18, 56, v46
	s_and_b64 vcc, exec, s[6:7]
	global_store_dwordx4 v[14:15], v[10:13], off
	global_store_dwordx4 v[2:3], v[6:9], off
	s_cbranch_vccz .LBB375_29
; %bb.24:
	s_mov_b32 s25, s24
	s_mov_b32 s26, s24
	s_mov_b32 s27, s24
	v_mov_b64_e32 v[6:7], s[24:25]
	v_mov_b64_e32 v[8:9], s[26:27]
	;; [unrolled: 1-line block ×3, first 2 shown]
	v_cmp_gt_i32_e32 vcc, s47, v23
	v_mov_b64_e32 v[4:5], v[8:9]
	s_and_saveexec_b64 s[2:3], vcc
	s_cbranch_execz .LBB375_26
; %bb.25:
	v_lshlrev_b32_e32 v2, 8, v23
	v_mov_b32_e32 v3, 0
	v_lshl_add_u64 v[4:5], s[0:1], 0, v[2:3]
	v_lshlrev_b32_e32 v2, 1, v18
	v_lshl_add_u64 v[10:11], v[4:5], 0, v[2:3]
	global_load_dwordx4 v[6:9], v[10:11], off
	global_load_dwordx4 v[2:5], v[10:11], off offset:128
.LBB375_26:
	s_or_b64 exec, exec, s[2:3]
	s_mov_b32 s25, s24
	s_mov_b32 s26, s24
	;; [unrolled: 1-line block ×3, first 2 shown]
	v_mov_b64_e32 v[14:15], s[24:25]
	v_mov_b64_e32 v[16:17], s[26:27]
	;; [unrolled: 1-line block ×3, first 2 shown]
	v_cmp_gt_i32_e32 vcc, s47, v20
	v_lshlrev_b32_e32 v21, 7, v20
	v_mov_b64_e32 v[12:13], v[16:17]
	s_and_saveexec_b64 s[2:3], vcc
	s_cbranch_execz .LBB375_28
; %bb.27:
	v_lshlrev_b32_e32 v10, 1, v21
	v_mov_b32_e32 v11, 0
	v_lshl_add_u64 v[12:13], s[0:1], 0, v[10:11]
	v_lshlrev_b32_e32 v10, 1, v18
	v_lshl_add_u64 v[24:25], v[12:13], 0, v[10:11]
	global_load_dwordx4 v[14:17], v[24:25], off
	global_load_dwordx4 v[10:13], v[24:25], off offset:128
.LBB375_28:
	s_or_b64 exec, exec, s[2:3]
	v_lshrrev_b32_e32 v24, 3, v18
	v_lshlrev_b32_e32 v25, 3, v23
	v_or_b32_e32 v24, v25, v24
	v_lshlrev_b32_e32 v24, 4, v24
	v_and_b32_e32 v25, 0x78, v25
	v_xor_b32_e32 v24, v24, v25
	s_branch .LBB375_31
.LBB375_29:
                                        ; implicit-def: $vgpr24
                                        ; implicit-def: $vgpr21
                                        ; implicit-def: $vgpr6_vgpr7_vgpr8_vgpr9
                                        ; implicit-def: $vgpr2_vgpr3_vgpr4_vgpr5
                                        ; implicit-def: $vgpr14_vgpr15_vgpr16_vgpr17
                                        ; implicit-def: $vgpr10_vgpr11_vgpr12_vgpr13
	s_cbranch_execz .LBB375_31
; %bb.30:
	s_waitcnt vmcnt(0)
	v_lshlrev_b32_e32 v2, 1, v18
	v_lshl_or_b32 v21, v23, 8, v2
	s_and_b32 s1, s1, 0xffff
	s_mov_b32 s3, 0x20000
	s_movk_i32 s2, 0x4000
	v_lshl_or_b32 v24, v20, 8, v2
	s_movk_i32 s12, 0x80
	buffer_load_dwordx4 v[6:9], v21, s[0:3], 0 offen
	buffer_load_dwordx4 v[2:5], v21, s[0:3], s12 offen
	;; [unrolled: 1-line block ×4, first 2 shown]
	v_lshrrev_b32_e32 v21, 3, v18
	v_lshlrev_b32_e32 v24, 3, v23
	v_or_b32_e32 v21, v24, v21
	v_lshlrev_b32_e32 v21, 4, v21
	v_and_b32_e32 v24, 0x78, v24
	v_xor_b32_e32 v24, v21, v24
	v_lshlrev_b32_e32 v21, 7, v20
.LBB375_31:
	s_lshl_b64 s[0:1], s[40:41], 8
	s_add_u32 s4, s4, s0
	s_movk_i32 s0, 0x1000
	v_and_or_b32 v20, v21, s0, v24
	s_waitcnt vmcnt(1)
	ds_write_b64 v24, v[6:7] offset:24576
	v_xor_b32_e32 v6, 8, v24
	ds_write_b64 v6, v[8:9] offset:24576
	s_waitcnt vmcnt(0)
	ds_write_b64 v24, v[2:3] offset:32768
	ds_write_b64 v6, v[4:5] offset:32768
	;; [unrolled: 1-line block ×3, first 2 shown]
	v_xor_b32_e32 v2, 8, v20
	ds_write_b64 v2, v[16:17] offset:24576
	ds_write_b64 v20, v[10:11] offset:32768
	ds_write_b64 v2, v[12:13] offset:32768
	v_or_b32_e32 v2, v1, v42
	v_lshlrev_b32_e32 v3, 11, v44
	v_lshlrev_b32_e32 v2, 3, v2
	v_and_b32_e32 v6, 0x1000, v3
	v_lshrrev_b32_e32 v3, 5, v43
	s_movk_i32 s13, 0xf8
	v_and_or_b32 v3, v2, s13, v3
	v_lshlrev_b32_e32 v7, 4, v3
	v_and_b32_e32 v8, 0x78, v2
	v_or_b32_e32 v10, 32, v7
	v_lshrrev_b32_e32 v3, 1, v43
	v_xor_b32_e32 v10, v10, v8
	v_xor_b32_e32 v2, v7, v8
	v_and_b32_e32 v9, 8, v3
	v_or_b32_e32 v10, v10, v6
	v_or_b32_e32 v2, v2, v6
	v_xor_b32_e32 v26, v10, v9
	v_or_b32_e32 v10, 64, v7
	v_xor_b32_e32 v25, v2, v9
	v_xor_b32_e32 v10, v10, v8
	s_waitcnt lgkmcnt(0)
	s_barrier
	v_or_b32_e32 v12, v10, v6
	ds_read_b64 v[10:11], v25 offset:24576
	v_lshl_or_b32 v20, v45, 7, v22
	v_lshlrev_b32_e32 v24, 1, v20
	v_add_u32_e32 v2, 0xa000, v24
	ds_read2_b64 v[2:5], v2 offset1:16
	v_or_b32_e32 v7, 0x60, v7
	v_xor_b32_e32 v7, v7, v8
	s_waitcnt lgkmcnt(0)
	v_mfma_f32_16x16x16_bf16 a[0:3], v[10:11], v[2:3], 0
	v_or_b32_e32 v2, 64, v20
	v_or_b32_e32 v6, v7, v6
	v_lshlrev_b32_e32 v29, 1, v2
	v_xor_b32_e32 v27, v12, v9
	v_xor_b32_e32 v28, v6, v9
	ds_read_b64 v[12:13], v26 offset:24576
	ds_read_b64 v[14:15], v27 offset:24576
	;; [unrolled: 1-line block ×3, first 2 shown]
	v_mfma_f32_16x16x16_bf16 a[4:7], v[10:11], v[4:5], 0
	ds_read2st64_b64 v[2:5], v29 offset0:82 offset1:84
	ds_read2st64_b64 v[6:9], v24 offset0:82 offset1:84
	s_addc_u32 s5, s5, s1
	s_add_i32 s2, s39, -1
	s_add_i32 s0, s43, s42
	s_add_i32 s21, s0, s44
	s_mul_i32 s0, s33, s23
	s_mul_hi_u32 s1, s33, s22
	s_ashr_i32 s3, s2, 31
	s_mul_i32 s12, s2, s35
	s_mul_hi_u32 s13, s2, s34
	s_add_i32 s0, s1, s0
	s_mul_i32 s1, s16, s22
	s_add_i32 s12, s13, s12
	s_mul_i32 s3, s3, s34
	s_waitcnt lgkmcnt(1)
	v_mfma_f32_16x16x16_bf16 a[4:7], v[12:13], v[2:3], a[4:7]
	s_add_i32 s1, s0, s1
	s_add_i32 s3, s12, s3
	s_lshl_b64 s[12:13], s[20:21], 2
	s_waitcnt lgkmcnt(0)
	v_mfma_f32_16x16x16_bf16 a[0:3], v[12:13], v[6:7], a[0:3]
	s_mul_i32 s0, s33, s22
	s_add_u32 s10, s10, s12
	s_addc_u32 s11, s11, s13
	s_lshl_b64 s[0:1], s[0:1], 2
	s_mul_i32 s2, s2, s34
	s_add_u32 s10, s10, s0
	ds_read_b64 v[2:3], v24 offset:44032
	v_mfma_f32_16x16x16_bf16 a[4:7], v[14:15], v[4:5], a[4:7]
	ds_read_b64 v[4:5], v29 offset:44032
	s_addc_u32 s11, s11, s1
	s_lshl_b64 s[0:1], s[2:3], 2
	v_mfma_f32_16x16x16_bf16 a[0:3], v[14:15], v[8:9], a[0:3]
	s_add_u32 s0, s10, s0
	s_addc_u32 s1, s11, s1
	s_load_dword s12, s[0:1], 0x0
	s_waitcnt lgkmcnt(0)
	v_mfma_f32_16x16x16_bf16 a[0:3], v[16:17], v[2:3], a[0:3]
	s_and_b64 vcc, exec, s[30:31]
	v_mfma_f32_16x16x16_bf16 a[4:7], v[16:17], v[4:5], a[4:7]
	s_cbranch_vccz .LBB375_42
; %bb.32:
	v_lshlrev_b32_e32 v20, 1, v23
	s_and_b64 vcc, exec, s[6:7]
	s_cbranch_vccz .LBB375_43
; %bb.33:
	v_cmp_gt_i32_e32 vcc, s47, v20
	v_mov_b32_e32 v6, 0
	v_mov_b32_e32 v2, 0
	;; [unrolled: 1-line block ×5, first 2 shown]
	s_and_saveexec_b64 s[0:1], vcc
	s_cbranch_execz .LBB375_35
; %bb.34:
	v_mad_i64_i32 v[2:3], s[2:3], s19, v20, 0
	v_lshl_add_u64 v[2:3], v[2:3], 1, s[4:5]
	v_lshlrev_b32_e32 v4, 1, v18
	v_mov_b32_e32 v5, 0
	v_lshl_add_u64 v[2:3], v[2:3], 0, v[4:5]
	global_load_dwordx4 v[2:5], v[2:3], off
.LBB375_35:
	s_or_b64 exec, exec, s[0:1]
	v_or_b32_e32 v21, 1, v20
	v_cmp_gt_i32_e64 s[0:1], s47, v21
	v_mov_b32_e32 v7, 0
	v_mov_b32_e32 v8, 0
	v_mov_b32_e32 v9, 0
	s_and_saveexec_b64 s[2:3], s[0:1]
	s_cbranch_execz .LBB375_37
; %bb.36:
	v_mad_i64_i32 v[6:7], s[16:17], s19, v21, 0
	v_lshl_add_u64 v[6:7], v[6:7], 1, s[4:5]
	v_lshlrev_b32_e32 v8, 1, v18
	v_mov_b32_e32 v9, 0
	v_lshl_add_u64 v[6:7], v[6:7], 0, v[8:9]
	global_load_dwordx4 v[6:9], v[6:7], off
.LBB375_37:
	s_or_b64 exec, exec, s[2:3]
	v_mov_b32_e32 v17, 0
	v_mov_b32_e32 v10, 0
	;; [unrolled: 1-line block ×5, first 2 shown]
	s_and_saveexec_b64 s[2:3], vcc
	s_cbranch_execz .LBB375_39
; %bb.38:
	v_mad_i64_i32 v[10:11], s[16:17], s19, v20, 0
	v_lshl_add_u64 v[10:11], v[10:11], 1, s[4:5]
	v_lshlrev_b32_e32 v12, 1, v18
	v_mov_b32_e32 v13, 0
	v_lshl_add_u64 v[10:11], v[10:11], 0, v[12:13]
	global_load_dwordx4 v[10:13], v[10:11], off offset:128
.LBB375_39:
	s_or_b64 exec, exec, s[2:3]
	v_mov_b32_e32 v16, 0
	v_mov_b32_e32 v15, 0
	;; [unrolled: 1-line block ×3, first 2 shown]
	s_and_saveexec_b64 s[2:3], s[0:1]
	s_cbranch_execz .LBB375_41
; %bb.40:
	v_mad_i64_i32 v[14:15], s[0:1], s19, v21, 0
	v_lshl_add_u64 v[14:15], v[14:15], 1, s[4:5]
	v_lshlrev_b32_e32 v16, 1, v18
	v_mov_b32_e32 v17, 0
	v_lshl_add_u64 v[14:15], v[14:15], 0, v[16:17]
	global_load_dwordx4 v[14:17], v[14:15], off offset:128
.LBB375_41:
	s_or_b64 exec, exec, s[2:3]
	s_branch .LBB375_45
.LBB375_42:
                                        ; implicit-def: $vgpr5
                                        ; implicit-def: $vgpr9
                                        ; implicit-def: $vgpr13
                                        ; implicit-def: $vgpr17
	v_lshrrev_b32_e32 v30, 2, v43
	s_branch .LBB375_46
.LBB375_43:
                                        ; implicit-def: $vgpr5
                                        ; implicit-def: $vgpr9
                                        ; implicit-def: $vgpr13
                                        ; implicit-def: $vgpr17
	s_cbranch_execz .LBB375_45
; %bb.44:
	s_waitcnt vmcnt(0)
	v_mad_u64_u32 v[2:3], s[0:1], v20, s19, v[18:19]
	v_lshlrev_b32_e32 v20, 1, v2
	s_lshl_b32 s2, s19, 7
	s_and_b32 s1, s5, 0xffff
	s_mov_b32 s3, 0x20000
	s_mov_b32 s0, s4
	v_add_lshl_u32 v21, v2, s19, 1
	s_movk_i32 s13, 0x80
	buffer_load_dwordx4 v[2:5], v20, s[0:3], 0 offen
	buffer_load_dwordx4 v[10:13], v20, s[0:3], s13 offen
	;; [unrolled: 1-line block ×4, first 2 shown]
.LBB375_45:
	v_lshrrev_b32_e32 v30, 2, v43
	s_cbranch_execnz .LBB375_58
.LBB375_46:
	s_and_b64 vcc, exec, s[6:7]
	s_cbranch_vccz .LBB375_56
; %bb.47:
	s_waitcnt vmcnt(0)
	v_lshlrev_b32_e32 v7, 1, v23
	v_cmp_gt_i32_e32 vcc, s47, v7
	v_mov_b32_e32 v6, 0
	v_lshlrev_b32_e32 v14, 9, v23
	v_mov_b32_e32 v2, 0
	v_mov_b32_e32 v3, 0
	v_mov_b32_e32 v4, 0
	v_mov_b32_e32 v5, 0
	s_and_saveexec_b64 s[0:1], vcc
	s_cbranch_execz .LBB375_49
; %bb.48:
	v_mov_b32_e32 v15, 0
	v_lshl_add_u64 v[2:3], s[4:5], 0, v[14:15]
	v_lshlrev_b32_e32 v4, 1, v18
	v_mov_b32_e32 v5, v15
	v_lshl_add_u64 v[2:3], v[2:3], 0, v[4:5]
	global_load_dwordx4 v[2:5], v[2:3], off
.LBB375_49:
	s_or_b64 exec, exec, s[0:1]
	v_or_b32_e32 v7, 1, v7
	v_cmp_gt_i32_e64 s[0:1], s47, v7
	v_lshlrev_b32_e32 v20, 8, v7
	v_mov_b32_e32 v7, 0
	v_mov_b32_e32 v8, 0
	;; [unrolled: 1-line block ×3, first 2 shown]
	s_and_saveexec_b64 s[2:3], s[0:1]
	s_cbranch_execz .LBB375_51
; %bb.50:
	v_mov_b32_e32 v21, 0
	v_lshl_add_u64 v[6:7], s[4:5], 0, v[20:21]
	v_lshlrev_b32_e32 v8, 1, v18
	v_mov_b32_e32 v9, v21
	v_lshl_add_u64 v[6:7], v[6:7], 0, v[8:9]
	global_load_dwordx4 v[6:9], v[6:7], off
.LBB375_51:
	s_or_b64 exec, exec, s[2:3]
	v_mov_b32_e32 v17, 0
	v_mov_b32_e32 v10, 0
	;; [unrolled: 1-line block ×5, first 2 shown]
	s_and_saveexec_b64 s[2:3], vcc
	s_cbranch_execz .LBB375_53
; %bb.52:
	v_mov_b32_e32 v15, 0
	v_lshl_add_u64 v[10:11], s[4:5], 0, v[14:15]
	v_lshlrev_b32_e32 v14, 1, v18
	v_lshl_add_u64 v[10:11], v[10:11], 0, v[14:15]
	global_load_dwordx4 v[10:13], v[10:11], off offset:128
.LBB375_53:
	s_or_b64 exec, exec, s[2:3]
	v_mov_b32_e32 v16, 0
	v_mov_b32_e32 v15, 0
	;; [unrolled: 1-line block ×3, first 2 shown]
	s_and_saveexec_b64 s[2:3], s[0:1]
	s_cbranch_execz .LBB375_55
; %bb.54:
	v_mov_b32_e32 v21, 0
	v_lshl_add_u64 v[14:15], s[4:5], 0, v[20:21]
	v_lshlrev_b32_e32 v20, 1, v18
	v_lshl_add_u64 v[14:15], v[14:15], 0, v[20:21]
	global_load_dwordx4 v[14:17], v[14:15], off offset:128
.LBB375_55:
	s_or_b64 exec, exec, s[2:3]
	s_branch .LBB375_58
.LBB375_56:
                                        ; implicit-def: $vgpr5
                                        ; implicit-def: $vgpr9
                                        ; implicit-def: $vgpr13
                                        ; implicit-def: $vgpr17
	s_cbranch_execz .LBB375_58
; %bb.57:
	s_waitcnt vmcnt(0)
	v_lshlrev_b32_e32 v2, 1, v18
	v_lshl_or_b32 v18, v23, 9, v2
	s_and_b32 s5, s5, 0xffff
	s_mov_b32 s7, 0x20000
	s_movk_i32 s6, 0x4000
	s_movk_i32 s0, 0x80
	buffer_load_dwordx4 v[2:5], v18, s[4:7], 0 offen
	buffer_load_dwordx4 v[6:9], v18, s[4:7], 0 offen offset:256
	buffer_load_dwordx4 v[10:13], v18, s[4:7], s0 offen
	buffer_load_dwordx4 v[14:17], v18, s[4:7], s0 offen offset:256
.LBB375_58:
	ds_read_b64 v[20:21], v25 offset:32768
	v_add_u32_e32 v18, 0xb000, v24
	ds_read2_b64 v[32:35], v18 offset1:16
	ds_read_b64 v[40:41], v26 offset:32768
	ds_read_b64 v[26:27], v27 offset:32768
	;; [unrolled: 1-line block ×3, first 2 shown]
	v_and_b32_e32 v18, 6, v0
	v_xor_b32_e32 v23, v23, v18
	v_lshlrev_b32_e32 v23, 2, v23
	v_and_b32_e32 v0, 1, v0
	v_xor_b32_e32 v28, 0x440, v23
	v_cmp_eq_u32_e32 vcc, 0, v0
	s_waitcnt lgkmcnt(3)
	v_mfma_f32_16x16x16_bf16 a[0:3], v[20:21], v[32:33], a[0:3]
	s_mov_b32 s0, 0x1000504
	v_cndmask_b32_e32 v0, v28, v23, vcc
	v_lshl_or_b32 v0, v18, 10, v0
	v_mfma_f32_16x16x16_bf16 a[4:7], v[20:21], v[34:35], a[4:7]
	ds_read2st64_b64 v[32:35], v24 offset0:90 offset1:92
	ds_read2st64_b64 v[36:39], v29 offset0:90 offset1:92
	ds_read_b64 v[20:21], v24 offset:48128
	ds_read_b64 v[24:25], v29 offset:48128
	s_waitcnt vmcnt(0)
	v_perm_b32 v18, v2, v6, s0
	s_waitcnt lgkmcnt(3)
	v_mfma_f32_16x16x16_bf16 a[0:3], v[40:41], v[32:33], a[0:3]
	s_mov_b32 s1, 0x3020706
	v_perm_b32 v2, v2, v6, s1
	v_perm_b32 v6, v10, v14, s1
	s_waitcnt lgkmcnt(2)
	v_mfma_f32_16x16x16_bf16 a[4:7], v[40:41], v[36:37], a[4:7]
	v_mfma_f32_16x16x16_bf16 a[0:3], v[26:27], v[34:35], a[0:3]
	;; [unrolled: 1-line block ×3, first 2 shown]
	s_waitcnt lgkmcnt(1)
	v_mfma_f32_16x16x16_bf16 a[4:7], v[44:45], v[20:21], a[0:3]
	v_perm_b32 v20, v10, v14, s0
	ds_write2st64_b32 v0, v18, v20 offset0:32 offset1:64
	v_xor_b32_e32 v18, 8, v0
	v_add_u32_e32 v10, 0x80, v18
	ds_write2st64_b32 v10, v2, v6 offset0:32 offset1:64
	v_xor_b32_e32 v2, 16, v0
	v_perm_b32 v6, v3, v7, s0
	v_perm_b32 v10, v11, v15, s0
	ds_write2st64_b32 v2, v6, v10 offset0:33 offset1:65
	v_xor_b32_e32 v2, 24, v0
	v_perm_b32 v3, v3, v7, s1
	v_perm_b32 v6, v11, v15, s1
	v_add_u32_e32 v2, 0x80, v2
	ds_write2st64_b32 v2, v3, v6 offset0:33 offset1:65
	v_xor_b32_e32 v2, 32, v0
	v_perm_b32 v3, v4, v8, s0
	v_perm_b32 v6, v12, v16, s0
	s_waitcnt lgkmcnt(4)
	v_mfma_f32_16x16x16_bf16 a[0:3], v[44:45], v[24:25], a[8:11]
	ds_write2st64_b32 v2, v3, v6 offset0:34 offset1:66
	v_xor_b32_e32 v2, 40, v0
	v_perm_b32 v3, v4, v8, s1
	v_perm_b32 v4, v12, v16, s1
	v_add_u32_e32 v2, 0x80, v2
	ds_write2st64_b32 v2, v3, v4 offset0:34 offset1:66
	v_xor_b32_e32 v2, 48, v0
	v_perm_b32 v3, v5, v9, s0
	v_perm_b32 v4, v13, v17, s0
	v_xor_b32_e32 v0, 56, v0
	v_and_or_b32 v21, v30, 12, v1
	ds_write2st64_b32 v2, v3, v4 offset0:35 offset1:67
	v_perm_b32 v2, v5, v9, s1
	v_perm_b32 v3, v13, v17, s1
	v_add_u32_e32 v0, 0x80, v0
	v_cmp_gt_i32_e32 vcc, s47, v21
	v_mov_b32_e32 v16, 0
	v_mov_b32_e32 v18, 0
	ds_write2st64_b32 v0, v2, v3 offset0:35 offset1:67
	s_and_saveexec_b64 s[0:1], vcc
	s_cbranch_execz .LBB375_60
; %bb.59:
	v_add_u32_e32 v0, s38, v21
	v_ashrrev_i32_e32 v1, 31, v0
	v_mul_lo_u32 v2, v1, s34
	v_mul_lo_u32 v3, v0, s35
	v_mad_u64_u32 v[0:1], s[2:3], v0, s34, 0
	v_add3_u32 v1, v1, v3, v2
	v_lshl_add_u64 v[0:1], v[0:1], 2, s[10:11]
	global_load_dword v0, v[0:1], off
	s_waitcnt vmcnt(0)
	v_sub_f32_e32 v0, s12, v0
	v_mul_f32_e32 v0, 0x3fb8aa3b, v0
	v_exp_f32_e32 v18, v0
.LBB375_60:
	s_or_b64 exec, exec, s[0:1]
	v_or_b32_e32 v10, 1, v21
	v_cmp_gt_i32_e64 s[0:1], s47, v10
	s_and_saveexec_b64 s[2:3], s[0:1]
	s_cbranch_execz .LBB375_62
; %bb.61:
	v_add_u32_e32 v0, s38, v10
	v_ashrrev_i32_e32 v1, 31, v0
	v_mul_lo_u32 v2, v1, s34
	v_mul_lo_u32 v3, v0, s35
	v_mad_u64_u32 v[0:1], s[4:5], v0, s34, 0
	v_add3_u32 v1, v1, v3, v2
	v_lshl_add_u64 v[0:1], v[0:1], 2, s[10:11]
	global_load_dword v0, v[0:1], off
	s_waitcnt vmcnt(0)
	v_sub_f32_e32 v0, s12, v0
	v_mul_f32_e32 v0, 0x3fb8aa3b, v0
	v_exp_f32_e32 v16, v0
.LBB375_62:
	s_or_b64 exec, exec, s[2:3]
	v_or_b32_e32 v12, 2, v21
	v_cmp_gt_i32_e64 s[2:3], s47, v12
	v_mov_b32_e32 v17, 0
	v_mov_b32_e32 v20, 0
	s_and_saveexec_b64 s[4:5], s[2:3]
	s_cbranch_execz .LBB375_64
; %bb.63:
	v_add_u32_e32 v0, s38, v12
	v_ashrrev_i32_e32 v1, 31, v0
	v_mul_lo_u32 v2, v1, s34
	v_mul_lo_u32 v3, v0, s35
	v_mad_u64_u32 v[0:1], s[6:7], v0, s34, 0
	v_add3_u32 v1, v1, v3, v2
	v_lshl_add_u64 v[0:1], v[0:1], 2, s[10:11]
	global_load_dword v0, v[0:1], off
	s_waitcnt vmcnt(0)
	v_sub_f32_e32 v0, s12, v0
	v_mul_f32_e32 v0, 0x3fb8aa3b, v0
	v_exp_f32_e32 v20, v0
.LBB375_64:
	s_or_b64 exec, exec, s[4:5]
	v_or_b32_e32 v14, 3, v21
	v_cmp_gt_i32_e64 s[4:5], s47, v14
	s_and_saveexec_b64 s[6:7], s[4:5]
	s_cbranch_execz .LBB375_66
; %bb.65:
	v_add_u32_e32 v0, s38, v14
	v_ashrrev_i32_e32 v1, 31, v0
	v_mul_lo_u32 v2, v1, s34
	v_mul_lo_u32 v3, v0, s35
	v_mad_u64_u32 v[0:1], s[16:17], v0, s34, 0
	v_add3_u32 v1, v1, v3, v2
	v_lshl_add_u64 v[0:1], v[0:1], 2, s[10:11]
	global_load_dword v0, v[0:1], off
	s_waitcnt vmcnt(0)
	v_sub_f32_e32 v0, s12, v0
	v_mul_f32_e32 v0, 0x3fb8aa3b, v0
	v_exp_f32_e32 v17, v0
.LBB375_66:
	s_or_b64 exec, exec, s[6:7]
	s_add_u32 s6, s8, s28
	v_or_b32_e32 v4, s36, v42
	s_addc_u32 s7, s9, s29
	s_add_u32 s8, s14, s28
	v_ashrrev_i32_e32 v5, 31, v4
	v_accvgpr_read_b32 v0, a4
	s_addc_u32 s9, s15, s29
	v_lshlrev_b64 v[4:5], 1, v[4:5]
	v_accvgpr_read_b32 v1, a5
	v_accvgpr_read_b32 v2, a6
	;; [unrolled: 1-line block ×3, first 2 shown]
	v_lshl_add_u64 v[6:7], s[6:7], 0, v[4:5]
	v_lshl_add_u64 v[4:5], s[8:9], 0, v[4:5]
	v_mov_b32_e32 v11, 0
	v_lshlrev_b32_e32 v8, 8, v21
	v_mov_b32_e32 v9, 0
	s_and_saveexec_b64 s[6:7], vcc
	s_cbranch_execz .LBB375_68
; %bb.67:
	v_mov_b32_e32 v9, 0
	v_lshl_add_u64 v[24:25], v[6:7], 0, v[8:9]
	global_load_ushort v13, v[24:25], off
	v_lshl_add_u64 v[24:25], v[4:5], 0, v[8:9]
	s_waitcnt vmcnt(0)
	v_lshlrev_b32_e32 v9, 16, v13
	v_sub_f32_e32 v0, v9, v0
	global_store_short_d16_hi v[24:25], v0, off
	v_mul_f32_e32 v0, v18, v0
	v_lshrrev_b32_e32 v9, 16, v0
.LBB375_68:
	s_or_b64 exec, exec, s[6:7]
	v_lshlrev_b32_e32 v10, 8, v10
	s_and_saveexec_b64 s[6:7], s[0:1]
	s_cbranch_execz .LBB375_70
; %bb.69:
	v_mov_b32_e32 v11, 0
	v_lshl_add_u64 v[24:25], v[6:7], 0, v[10:11]
	global_load_ushort v0, v[24:25], off
	v_lshl_add_u64 v[24:25], v[4:5], 0, v[10:11]
	s_waitcnt vmcnt(0)
	v_lshlrev_b32_e32 v0, 16, v0
	v_sub_f32_e32 v0, v0, v1
	global_store_short_d16_hi v[24:25], v0, off
	v_mul_f32_e32 v0, v16, v0
	v_lshrrev_b32_e32 v11, 16, v0
.LBB375_70:
	s_or_b64 exec, exec, s[6:7]
	v_mov_b32_e32 v15, 0
	v_lshlrev_b32_e32 v12, 8, v12
	v_mov_b32_e32 v13, 0
	s_and_saveexec_b64 s[6:7], s[2:3]
	s_cbranch_execz .LBB375_72
; %bb.71:
	v_mov_b32_e32 v13, 0
	v_lshl_add_u64 v[0:1], v[6:7], 0, v[12:13]
	global_load_ushort v23, v[0:1], off
	v_lshl_add_u64 v[0:1], v[4:5], 0, v[12:13]
	s_waitcnt vmcnt(0)
	v_lshlrev_b32_e32 v13, 16, v23
	v_sub_f32_e32 v2, v13, v2
	global_store_short_d16_hi v[0:1], v2, off
	v_mul_f32_e32 v0, v20, v2
	v_lshrrev_b32_e32 v13, 16, v0
.LBB375_72:
	s_or_b64 exec, exec, s[6:7]
	v_lshlrev_b32_e32 v14, 8, v14
	s_and_saveexec_b64 s[6:7], s[4:5]
	s_cbranch_execz .LBB375_74
; %bb.73:
	v_mov_b32_e32 v15, 0
	v_lshl_add_u64 v[0:1], v[6:7], 0, v[14:15]
	global_load_ushort v2, v[0:1], off
	v_lshl_add_u64 v[0:1], v[4:5], 0, v[14:15]
	s_waitcnt vmcnt(0)
	v_lshlrev_b32_e32 v2, 16, v2
	v_sub_f32_e32 v2, v2, v3
	global_store_short_d16_hi v[0:1], v2, off
	v_mul_f32_e32 v0, v17, v2
	v_lshrrev_b32_e32 v15, 16, v0
.LBB375_74:
	s_or_b64 exec, exec, s[6:7]
	v_lshlrev_b32_e32 v21, 5, v21
	s_mov_b32 s6, 0x5040100
	v_perm_b32 v24, v11, v9, s6
	v_or_b32_e32 v9, v21, v22
	v_accvgpr_read_b32 v0, a0
	v_perm_b32 v25, v15, v13, s6
	v_lshlrev_b32_e32 v9, 1, v9
	v_accvgpr_read_b32 v1, a1
	v_accvgpr_read_b32 v2, a2
	;; [unrolled: 1-line block ×3, first 2 shown]
	ds_write_b64 v9, v[24:25] offset:45056
	v_mov_b32_e32 v11, 0
	v_mov_b32_e32 v9, 0
	s_and_saveexec_b64 s[6:7], vcc
	s_cbranch_execz .LBB375_76
; %bb.75:
	v_mov_b32_e32 v9, 0
	v_lshl_add_u64 v[22:23], v[6:7], 0, v[8:9]
	global_load_ushort v13, v[22:23], off offset:32
	v_lshl_add_u64 v[8:9], v[4:5], 0, v[8:9]
	s_waitcnt vmcnt(0)
	v_lshlrev_b32_e32 v13, 16, v13
	v_sub_f32_e32 v0, v13, v0
	global_store_short_d16_hi v[8:9], v0, off offset:32
	v_mul_f32_e32 v0, v18, v0
	v_lshrrev_b32_e32 v9, 16, v0
.LBB375_76:
	s_or_b64 exec, exec, s[6:7]
	s_and_saveexec_b64 s[6:7], s[0:1]
	s_cbranch_execz .LBB375_78
; %bb.77:
	v_mov_b32_e32 v11, 0
	v_lshl_add_u64 v[22:23], v[6:7], 0, v[10:11]
	global_load_ushort v0, v[22:23], off offset:32
	v_lshl_add_u64 v[10:11], v[4:5], 0, v[10:11]
	s_waitcnt vmcnt(0)
	v_lshlrev_b32_e32 v0, 16, v0
	v_sub_f32_e32 v0, v0, v1
	global_store_short_d16_hi v[10:11], v0, off offset:32
	v_mul_f32_e32 v0, v16, v0
	v_lshrrev_b32_e32 v11, 16, v0
.LBB375_78:
	s_or_b64 exec, exec, s[6:7]
	v_mov_b32_e32 v0, 0
	v_mov_b32_e32 v1, 0
	s_and_saveexec_b64 s[0:1], s[2:3]
	s_cbranch_execz .LBB375_80
; %bb.79:
	v_mov_b32_e32 v13, 0
	v_lshl_add_u64 v[22:23], v[6:7], 0, v[12:13]
	global_load_ushort v1, v[22:23], off offset:32
	v_lshl_add_u64 v[12:13], v[4:5], 0, v[12:13]
	s_waitcnt vmcnt(0)
	v_lshlrev_b32_e32 v1, 16, v1
	v_sub_f32_e32 v1, v1, v2
	global_store_short_d16_hi v[12:13], v1, off offset:32
	v_mul_f32_e32 v1, v20, v1
	v_lshrrev_b32_e32 v1, 16, v1
.LBB375_80:
	s_or_b64 exec, exec, s[0:1]
	s_and_saveexec_b64 s[0:1], s[4:5]
	s_cbranch_execz .LBB375_82
; %bb.81:
	v_mov_b32_e32 v15, 0
	v_lshl_add_u64 v[6:7], v[6:7], 0, v[14:15]
	global_load_ushort v0, v[6:7], off offset:32
	v_lshl_add_u64 v[4:5], v[4:5], 0, v[14:15]
	s_waitcnt vmcnt(0)
	v_lshlrev_b32_e32 v0, 16, v0
	v_sub_f32_e32 v0, v0, v3
	global_store_short_d16_hi v[4:5], v0, off offset:32
	v_mul_f32_e32 v0, v17, v0
	v_lshrrev_b32_e32 v0, 16, v0
.LBB375_82:
	s_or_b64 exec, exec, s[0:1]
	s_mov_b32 s0, 0x5040100
	v_or_b32_e32 v2, v21, v19
	v_perm_b32 v1, v0, v1, s0
	v_perm_b32 v0, v11, v9, s0
	v_lshlrev_b32_e32 v2, 1, v2
	ds_write_b64 v2, v[0:1] offset:45056
	s_waitcnt lgkmcnt(0)
	s_barrier
.LBB375_83:
	s_endpgm
	.section	.rodata,"a",@progbits
	.p2align	6, 0x0
	.amdhsa_kernel _ZN12_GLOBAL__N_139chunk_gated_delta_rule_fwd_h_hip_kernelILi32ELb0ELb0ELb1ELb1ELb0ELb0ELb0ELb1EEEvPK12hip_bfloat16S3_S3_PKfS5_PKvPS1_S8_PvPKiSB_iiiiilll
		.amdhsa_group_segment_fixed_size 49152
		.amdhsa_private_segment_fixed_size 0
		.amdhsa_kernarg_size 136
		.amdhsa_user_sgpr_count 2
		.amdhsa_user_sgpr_dispatch_ptr 0
		.amdhsa_user_sgpr_queue_ptr 0
		.amdhsa_user_sgpr_kernarg_segment_ptr 1
		.amdhsa_user_sgpr_dispatch_id 0
		.amdhsa_user_sgpr_kernarg_preload_length 0
		.amdhsa_user_sgpr_kernarg_preload_offset 0
		.amdhsa_user_sgpr_private_segment_size 0
		.amdhsa_uses_dynamic_stack 0
		.amdhsa_enable_private_segment 0
		.amdhsa_system_sgpr_workgroup_id_x 1
		.amdhsa_system_sgpr_workgroup_id_y 1
		.amdhsa_system_sgpr_workgroup_id_z 0
		.amdhsa_system_sgpr_workgroup_info 0
		.amdhsa_system_vgpr_workitem_id 0
		.amdhsa_next_free_vgpr 156
		.amdhsa_next_free_sgpr 62
		.amdhsa_accum_offset 136
		.amdhsa_reserve_vcc 1
		.amdhsa_float_round_mode_32 0
		.amdhsa_float_round_mode_16_64 0
		.amdhsa_float_denorm_mode_32 3
		.amdhsa_float_denorm_mode_16_64 3
		.amdhsa_dx10_clamp 1
		.amdhsa_ieee_mode 1
		.amdhsa_fp16_overflow 0
		.amdhsa_tg_split 0
		.amdhsa_exception_fp_ieee_invalid_op 0
		.amdhsa_exception_fp_denorm_src 0
		.amdhsa_exception_fp_ieee_div_zero 0
		.amdhsa_exception_fp_ieee_overflow 0
		.amdhsa_exception_fp_ieee_underflow 0
		.amdhsa_exception_fp_ieee_inexact 0
		.amdhsa_exception_int_div_zero 0
	.end_amdhsa_kernel
	.section	.text._ZN12_GLOBAL__N_139chunk_gated_delta_rule_fwd_h_hip_kernelILi32ELb0ELb0ELb1ELb1ELb0ELb0ELb0ELb1EEEvPK12hip_bfloat16S3_S3_PKfS5_PKvPS1_S8_PvPKiSB_iiiiilll,"axG",@progbits,_ZN12_GLOBAL__N_139chunk_gated_delta_rule_fwd_h_hip_kernelILi32ELb0ELb0ELb1ELb1ELb0ELb0ELb0ELb1EEEvPK12hip_bfloat16S3_S3_PKfS5_PKvPS1_S8_PvPKiSB_iiiiilll,comdat
.Lfunc_end375:
	.size	_ZN12_GLOBAL__N_139chunk_gated_delta_rule_fwd_h_hip_kernelILi32ELb0ELb0ELb1ELb1ELb0ELb0ELb0ELb1EEEvPK12hip_bfloat16S3_S3_PKfS5_PKvPS1_S8_PvPKiSB_iiiiilll, .Lfunc_end375-_ZN12_GLOBAL__N_139chunk_gated_delta_rule_fwd_h_hip_kernelILi32ELb0ELb0ELb1ELb1ELb0ELb0ELb0ELb1EEEvPK12hip_bfloat16S3_S3_PKfS5_PKvPS1_S8_PvPKiSB_iiiiilll
                                        ; -- End function
	.section	.AMDGPU.csdata,"",@progbits
; Kernel info:
; codeLenInByte = 8604
; NumSgprs: 68
; NumVgprs: 134
; NumAgprs: 20
; TotalNumVgprs: 156
; ScratchSize: 0
; MemoryBound: 0
; FloatMode: 240
; IeeeMode: 1
; LDSByteSize: 49152 bytes/workgroup (compile time only)
; SGPRBlocks: 8
; VGPRBlocks: 19
; NumSGPRsForWavesPerEU: 68
; NumVGPRsForWavesPerEU: 156
; AccumOffset: 136
; Occupancy: 1
; WaveLimiterHint : 1
; COMPUTE_PGM_RSRC2:SCRATCH_EN: 0
; COMPUTE_PGM_RSRC2:USER_SGPR: 2
; COMPUTE_PGM_RSRC2:TRAP_HANDLER: 0
; COMPUTE_PGM_RSRC2:TGID_X_EN: 1
; COMPUTE_PGM_RSRC2:TGID_Y_EN: 1
; COMPUTE_PGM_RSRC2:TGID_Z_EN: 0
; COMPUTE_PGM_RSRC2:TIDIG_COMP_CNT: 0
; COMPUTE_PGM_RSRC3_GFX90A:ACCUM_OFFSET: 33
; COMPUTE_PGM_RSRC3_GFX90A:TG_SPLIT: 0
	.section	.text._ZN12_GLOBAL__N_139chunk_gated_delta_rule_fwd_h_hip_kernelILi32ELb0ELb0ELb0ELb1ELb0ELb0ELb0ELb1EEEvPK12hip_bfloat16S3_S3_PKfS5_PKvPS1_S8_PvPKiSB_iiiiilll,"axG",@progbits,_ZN12_GLOBAL__N_139chunk_gated_delta_rule_fwd_h_hip_kernelILi32ELb0ELb0ELb0ELb1ELb0ELb0ELb0ELb1EEEvPK12hip_bfloat16S3_S3_PKfS5_PKvPS1_S8_PvPKiSB_iiiiilll,comdat
	.globl	_ZN12_GLOBAL__N_139chunk_gated_delta_rule_fwd_h_hip_kernelILi32ELb0ELb0ELb0ELb1ELb0ELb0ELb0ELb1EEEvPK12hip_bfloat16S3_S3_PKfS5_PKvPS1_S8_PvPKiSB_iiiiilll ; -- Begin function _ZN12_GLOBAL__N_139chunk_gated_delta_rule_fwd_h_hip_kernelILi32ELb0ELb0ELb0ELb1ELb0ELb0ELb0ELb1EEEvPK12hip_bfloat16S3_S3_PKfS5_PKvPS1_S8_PvPKiSB_iiiiilll
	.p2align	8
	.type	_ZN12_GLOBAL__N_139chunk_gated_delta_rule_fwd_h_hip_kernelILi32ELb0ELb0ELb0ELb1ELb0ELb0ELb0ELb1EEEvPK12hip_bfloat16S3_S3_PKfS5_PKvPS1_S8_PvPKiSB_iiiiilll,@function
_ZN12_GLOBAL__N_139chunk_gated_delta_rule_fwd_h_hip_kernelILi32ELb0ELb0ELb0ELb1ELb0ELb0ELb0ELb1EEEvPK12hip_bfloat16S3_S3_PKfS5_PKvPS1_S8_PvPKiSB_iiiiilll: ; @_ZN12_GLOBAL__N_139chunk_gated_delta_rule_fwd_h_hip_kernelILi32ELb0ELb0ELb0ELb1ELb0ELb0ELb0ELb1EEEvPK12hip_bfloat16S3_S3_PKfS5_PKvPS1_S8_PvPKiSB_iiiiilll
; %bb.0:
	s_load_dwordx4 s[12:15], s[0:1], 0x5c
	s_load_dwordx4 s[16:19], s[0:1], 0x70
	s_abs_i32 s21, s3
	s_ashr_i32 s20, s3, 31
	s_load_dwordx2 s[36:37], s[0:1], 0x30
	s_load_dwordx4 s[24:27], s[0:1], 0x48
	s_waitcnt lgkmcnt(0)
	s_abs_i32 s28, s13
	v_cvt_f32_u32_e32 v1, s28
	s_sub_i32 s22, 0, s28
	s_ashr_i32 s29, s13, 31
	s_xor_b32 s20, s20, s29
	v_rcp_iflag_f32_e32 v1, v1
	s_load_dwordx8 s[4:11], s[0:1], 0x0
	v_lshrrev_b32_e32 v42, 6, v0
	v_bfe_u32 v43, v0, 4, 2
	v_mul_f32_e32 v1, 0x4f7ffffe, v1
	v_cvt_u32_f32_e32 v1, v1
	v_lshlrev_b32_e32 v2, 2, v43
	v_and_b32_e32 v41, 63, v0
	v_and_b32_e32 v40, 15, v0
	v_readfirstlane_b32 s23, v1
	s_mul_i32 s22, s22, s23
	s_mul_hi_u32 s22, s23, s22
	s_add_i32 s23, s23, s22
	s_mul_hi_u32 s22, s21, s23
	s_mul_i32 s23, s22, s28
	s_sub_i32 s21, s21, s23
	s_add_i32 s30, s22, 1
	s_sub_i32 s23, s21, s28
	s_cmp_ge_u32 s21, s28
	s_cselect_b32 s22, s30, s22
	s_cselect_b32 s21, s23, s21
	s_add_i32 s23, s22, 1
	s_cmp_ge_u32 s21, s28
	s_cselect_b32 s21, s23, s22
	s_xor_b32 s21, s21, s20
	s_sub_i32 s20, s21, s20
	s_mul_i32 s21, s20, s13
	s_sub_i32 s33, s3, s21
	s_ashr_i32 s21, s20, 31
	s_lshl_b64 s[22:23], s[20:21], 2
	s_add_u32 s24, s24, s22
	s_addc_u32 s25, s25, s23
	s_add_u32 s22, s26, s22
	s_addc_u32 s23, s27, s23
	s_abs_i32 s3, s14
	v_cvt_f32_u32_e32 v1, s3
	s_load_dwordx2 s[34:35], s[24:25], 0x0
	s_sub_i32 s25, 0, s3
	s_load_dword s44, s[22:23], 0x0
	v_rcp_iflag_f32_e32 v1, v1
	v_mov_b32_e32 v3, 0
	s_waitcnt lgkmcnt(0)
	s_sub_i32 s45, s35, s34
	s_ashr_i32 s24, s45, 31
	v_mul_f32_e32 v1, 0x4f7ffffe, v1
	v_cvt_u32_f32_e32 v1, v1
	s_lshr_b32 s24, s24, 26
	s_add_i32 s24, s45, s24
	s_ashr_i32 s43, s24, 6
	v_readfirstlane_b32 s26, v1
	s_mul_i32 s25, s25, s26
	s_mul_hi_u32 s25, s26, s25
	s_add_i32 s26, s26, s25
	s_mul_hi_u32 s25, s28, s26
	s_mul_i32 s26, s25, s3
	s_ashr_i32 s24, s14, 31
	s_sub_i32 s26, s28, s26
	s_xor_b32 s24, s29, s24
	s_add_i32 s27, s25, 1
	s_sub_i32 s28, s26, s3
	s_cmp_ge_u32 s26, s3
	s_cselect_b32 s25, s27, s25
	s_cselect_b32 s26, s28, s26
	s_add_i32 s27, s25, 1
	s_cmp_ge_u32 s26, s3
	s_cselect_b32 s3, s27, s25
	s_xor_b32 s3, s3, s24
	s_sub_i32 s3, s3, s24
	s_abs_i32 s24, s3
	v_cvt_f32_u32_e32 v1, s24
	s_load_dwordx2 s[28:29], s[0:1], 0x80
	s_xor_b32 s0, s33, s3
	s_sub_i32 s3, 0, s24
	v_rcp_iflag_f32_e32 v1, v1
	s_abs_i32 s1, s33
	s_ashr_i32 s0, s0, 31
	s_mul_hi_i32 s46, s33, s12
	v_mul_f32_e32 v1, 0x4f7ffffe, v1
	v_cvt_u32_f32_e32 v1, v1
	s_mul_i32 s47, s33, s12
	v_lshrrev_b32_e32 v45, 3, v41
	v_lshlrev_b32_e32 v44, 3, v0
	v_readfirstlane_b32 s22, v1
	s_mul_i32 s3, s3, s22
	s_mul_hi_u32 s3, s22, s3
	s_add_i32 s22, s22, s3
	s_mul_hi_u32 s3, s1, s22
	s_mul_i32 s22, s3, s24
	s_sub_i32 s1, s1, s22
	s_add_i32 s22, s3, 1
	s_sub_i32 s23, s1, s24
	s_cmp_ge_u32 s1, s24
	s_cselect_b32 s3, s22, s3
	s_cselect_b32 s1, s23, s1
	s_add_i32 s22, s3, 1
	s_cmp_ge_u32 s1, s24
	s_cselect_b32 s1, s22, s3
	s_xor_b32 s1, s1, s0
	v_lshlrev_b32_e32 v1, 4, v42
	s_sub_i32 s48, s1, s0
	v_or_b32_e32 v46, v2, v1
	s_lshl_b32 s30, s2, 5
	v_or_b32_e32 v47, 64, v46
	s_cmp_lt_i32 s45, 64
	s_mul_i32 s40, s20, s17
	s_mul_hi_u32 s41, s20, s16
	s_mul_i32 s42, s21, s16
	s_mul_i32 s16, s20, s16
	v_mov_b32_e32 v64, 0
	v_mov_b32_e32 v62, 0
	;; [unrolled: 1-line block ×15, first 2 shown]
	s_cbranch_scc1 .LBB376_18
; %bb.1:
	s_ashr_i32 s51, s33, 31
	s_ashr_i32 s1, s34, 31
	s_add_u32 s0, s47, s34
	s_addc_u32 s1, s46, s1
	s_lshl_b64 s[0:1], s[0:1], 8
	v_and_b32_e32 v49, 56, v44
	s_add_u32 s0, s6, s0
	v_lshl_or_b32 v48, v42, 3, v45
	v_lshlrev_b32_e32 v3, 1, v49
	s_addc_u32 s1, s7, s1
	v_lshl_or_b32 v50, v48, 8, v3
	s_and_b32 s1, s1, 0xffff
	s_mov_b32 s3, 0x20000
	s_movk_i32 s2, 0x4000
	s_movk_i32 s17, 0x80
	v_or_b32_e32 v51, 0x2000, v50
	buffer_load_dwordx4 v[4:7], v50, s[0:3], 0 offen
	buffer_load_dwordx4 v[8:11], v50, s[0:3], s17 offen
	buffer_load_dwordx4 v[12:15], v51, s[0:3], 0 offen
	buffer_load_dwordx4 v[16:19], v51, s[0:3], s17 offen
	v_lshlrev_b32_e32 v20, 3, v48
	v_and_or_b32 v22, v0, 7, v20
	v_and_b32_e32 v20, 0x78, v20
	v_lshlrev_b32_e32 v22, 4, v22
	v_xor_b32_e32 v52, v22, v20
	v_mul_lo_u32 v21, v48, s15
	v_or_b32_e32 v53, 0x1000, v52
	s_cmpk_eq_i32 s15, 0x80
	s_mov_b32 s49, s13
	s_mov_b32 s50, s34
	v_xor_b32_e32 v20, 8, v52
	v_xor_b32_e32 v22, 8, v53
	s_cselect_b64 s[0:1], -1, 0
	s_cmpk_lg_i32 s15, 0x80
	s_waitcnt vmcnt(3)
	ds_write_b64 v52, v[4:5] offset:24576
	ds_write_b64 v20, v[6:7] offset:24576
	s_waitcnt vmcnt(2)
	ds_write_b64 v52, v[8:9] offset:32768
	ds_write_b64 v20, v[10:11] offset:32768
	;; [unrolled: 3-line block ×4, first 2 shown]
	v_lshl_add_u32 v4, v21, 1, v49
	s_cbranch_scc0 .LBB376_3
; %bb.2:
	v_lshlrev_b32_e32 v6, 1, v4
	v_add_lshl_u32 v5, v4, s15, 1
	s_lshl_b32 s22, s15, 7
	v_lshl_or_b32 v3, v48, 9, v3
	s_cbranch_execz .LBB376_4
	s_branch .LBB376_5
.LBB376_3:
                                        ; implicit-def: $vgpr5
                                        ; implicit-def: $vgpr6
                                        ; implicit-def: $sgpr22
	v_lshl_or_b32 v3, v48, 9, v3
.LBB376_4:
	v_or_b32_e32 v5, 0x100, v3
	s_movk_i32 s22, 0x4000
	v_mov_b32_e32 v6, v3
.LBB376_5:
	s_mul_i32 s2, s34, s14
	s_ashr_i32 s52, s48, 31
	s_mul_hi_i32 s3, s34, s14
	s_add_u32 s2, s2, s48
	s_addc_u32 s3, s3, s52
	s_lshl_b64 s[2:3], s[2:3], 8
	s_add_u32 s20, s4, s2
	s_addc_u32 s2, s5, s3
	s_and_b32 s21, s2, 0xffff
	s_mov_b32 s23, 0x20000
	s_movk_i32 s53, 0x80
	buffer_load_dwordx4 v[8:11], v6, s[20:23], 0 offen
	buffer_load_dwordx4 v[12:15], v6, s[20:23], s53 offen
	;; [unrolled: 1-line block ×4, first 2 shown]
	v_and_b32_e32 v5, 6, v0
	v_lshlrev_b32_e32 v24, 6, v46
	v_or_b32_e32 v26, 16, v40
	v_xor_b32_e32 v27, v48, v5
	v_and_b32_e32 v6, 1, v0
	s_mul_i32 s2, s33, s19
	s_mul_hi_u32 s3, s33, s18
	v_lshl_or_b32 v30, v40, 3, v24
	v_lshl_or_b32 v24, v26, 3, v24
	v_lshlrev_b32_e32 v27, 2, v27
	s_add_i32 s17, s41, s40
	v_lshlrev_b32_e32 v7, 2, v40
	s_mul_i32 s20, s51, s18
	v_or_b32_e32 v56, 0xa000, v24
	v_or_b32_e32 v57, 0xb000, v24
	v_xor_b32_e32 v24, 0x440, v27
	v_cmp_eq_u32_e32 vcc, 0, v6
	s_add_i32 s2, s3, s2
	s_add_i32 s17, s17, s42
	v_xor_b32_e32 v28, v46, v7
	v_xor_b32_e32 v29, v47, v7
	v_cndmask_b32_e32 v6, v24, v27, vcc
	s_add_i32 s3, s2, s20
	s_lshl_b64 s[20:21], s[16:17], 2
	s_mov_b32 s54, 0x1000504
	v_lshlrev_b32_e32 v25, 8, v40
	v_lshlrev_b32_e32 v26, 8, v26
	;; [unrolled: 1-line block ×4, first 2 shown]
	v_lshl_or_b32 v5, v5, 10, v6
	s_mul_i32 s2, s33, s18
	s_add_u32 s17, s10, s20
	s_mov_b32 s55, 0x3020706
	v_or_b32_e32 v54, 0xa000, v30
	v_or_b32_e32 v55, 0xb000, v30
	;; [unrolled: 1-line block ×5, first 2 shown]
	v_xor_b32_e32 v6, 8, v5
	v_xor_b32_e32 v25, 24, v5
	;; [unrolled: 1-line block ×4, first 2 shown]
	s_addc_u32 s20, s11, s21
	s_lshl_b64 s[2:3], s[2:3], 2
	v_or_b32_e32 v60, v26, v28
	v_xor_b32_e32 v24, 16, v5
	v_xor_b32_e32 v26, 32, v5
	;; [unrolled: 1-line block ×3, first 2 shown]
	v_add_u32_e32 v6, 0x80, v6
	v_add_u32_e32 v25, 0x80, v25
	;; [unrolled: 1-line block ×4, first 2 shown]
	s_add_u32 s2, s17, s2
	s_addc_u32 s3, s20, s3
	s_movk_i32 s20, 0xf8
	s_ashr_i32 s31, s30, 31
	s_lshl_b32 s26, s15, 7
	s_movk_i32 s24, 0x100
	v_mov_b32_e32 v35, 0
	v_lshlrev_b32_e32 v34, 4, v40
	v_cmp_gt_u32_e32 vcc, s24, v0
	s_mov_b32 s56, 0
	s_movk_i32 s17, 0x1000
	s_movk_i32 s22, 0x4000
	v_add_u32_e32 v91, v1, v2
	v_mov_b32_e32 v92, 0x3fb8aa3b
	v_mov_b32_e32 v73, v35
	;; [unrolled: 1-line block ×13, first 2 shown]
	s_waitcnt vmcnt(1)
	v_perm_b32 v30, v8, v16, s54
	s_waitcnt vmcnt(0)
	v_perm_b32 v31, v12, v20, s54
	v_perm_b32 v8, v8, v16, s55
	;; [unrolled: 1-line block ×15, first 2 shown]
	ds_write2st64_b32 v5, v30, v31 offset0:32 offset1:64
	ds_write2st64_b32 v6, v8, v12 offset0:32 offset1:64
	;; [unrolled: 1-line block ×8, first 2 shown]
	v_or_b32_e32 v5, v1, v40
	v_lshlrev_b32_e32 v5, 3, v5
	v_lshrrev_b32_e32 v8, 5, v41
	v_and_or_b32 v8, v5, s20, v8
	v_lshlrev_b32_e32 v8, 4, v8
	v_lshlrev_b32_e32 v9, 11, v42
	v_and_b32_e32 v5, 0x78, v5
	v_or_b32_e32 v13, 32, v8
	v_and_b32_e32 v6, 0x1000, v9
	v_lshrrev_b32_e32 v11, 1, v0
	v_xor_b32_e32 v13, v13, v5
	v_and_b32_e32 v12, 8, v11
	v_or_b32_e32 v13, v13, v6
	v_xor_b32_e32 v10, v8, v5
	v_xor_b32_e32 v76, v13, v12
	v_or_b32_e32 v13, 64, v8
	v_or_b32_e32 v8, 0x60, v8
	v_xor_b32_e32 v13, v13, v5
	v_xor_b32_e32 v5, v8, v5
	v_or_b32_e32 v10, v10, v6
	v_or_b32_e32 v13, v13, v6
	;; [unrolled: 1-line block ×3, first 2 shown]
	s_lshl_b64 s[20:21], s[30:31], 8
	v_xor_b32_e32 v70, v10, v12
	v_xor_b32_e32 v78, v13, v12
	;; [unrolled: 1-line block ×3, first 2 shown]
	v_lshlrev_b32_e32 v12, 1, v4
	v_add_lshl_u32 v13, v4, s15, 1
	s_add_u32 s20, s36, s20
	v_lshlrev_b32_e32 v4, 1, v40
	v_lshrrev_b32_e32 v15, 4, v0
	s_addc_u32 s21, s37, s21
	v_or_b32_e32 v5, 1, v4
	v_mov_b32_e32 v19, 0x4000
	v_mov_b32_e32 v20, 0x2000
	v_xor_b32_e32 v16, v15, v4
	v_xor_b32_e32 v17, v5, v15
	v_lshl_add_u64 v[4:5], s[20:21], 0, v[34:35]
	v_lshlrev_b32_e32 v34, 8, v15
	v_cndmask_b32_e32 v19, v19, v20, vcc
	v_lshlrev_b32_e32 v20, 3, v42
	v_and_b32_e32 v11, 24, v11
	v_lshl_or_b32 v82, v16, 3, v34
	v_and_b32_e32 v16, 8, v0
	v_xor_b32_e32 v21, v20, v11
	v_or_b32_e32 v22, 0x440, v21
	v_cmp_eq_u32_e32 vcc, 0, v16
	v_and_b32_e32 v15, 7, v0
	v_lshlrev_b32_e32 v10, 7, v43
	v_cndmask_b32_e32 v16, v22, v21, vcc
	v_lshl_or_b32 v83, v17, 3, v34
	v_lshlrev_b32_e32 v17, 3, v15
	v_lshlrev_b32_e32 v15, 7, v15
	;; [unrolled: 1-line block ×3, first 2 shown]
	v_or_b32_e32 v16, v16, v9
	v_or_b32_e32 v7, v10, v7
	v_xad_u32 v84, v16, v17, v15
	v_and_or_b32 v10, v18, 60, v10
	v_mov_b32_e32 v16, 0xb000
	v_lshl_or_b32 v85, v10, 1, v16
	v_or_b32_e32 v10, 32, v11
	v_xor_b32_e32 v10, v20, v10
	v_or_b32_e32 v16, 0x440, v10
	v_cndmask_b32_e32 v10, v16, v10, vcc
	v_or_b32_e32 v10, v10, v9
	v_xad_u32 v86, v10, v17, v15
	v_or_b32_e32 v10, 64, v11
	v_xor_b32_e32 v10, v20, v10
	v_xor_b32_e32 v16, 0x440, v10
	v_cndmask_b32_e32 v10, v16, v10, vcc
	v_or_b32_e32 v10, v10, v9
	v_xad_u32 v87, v10, v17, v15
	v_or_b32_e32 v10, 0x60, v11
	v_xor_b32_e32 v10, v20, v10
	v_xor_b32_e32 v11, 0x440, v10
	v_cndmask_b32_e32 v10, v11, v10, vcc
	v_lshlrev_b32_e32 v7, 1, v7
	v_or_b32_e32 v6, s30, v40
	v_or_b32_e32 v9, v10, v9
	;; [unrolled: 1-line block ×6, first 2 shown]
	v_lshlrev_b32_e32 v8, 7, v46
	v_ashrrev_i32_e32 v7, 31, v6
	v_or_b32_e32 v14, 0x100, v3
	v_xad_u32 v88, v9, v17, v15
	v_cndmask_b32_e64 v89, v12, v3, s[0:1]
	v_cndmask_b32_e64 v90, v13, v14, s[0:1]
	v_lshl_add_u64 v[36:37], v[6:7], 1, s[8:9]
	v_lshl_add_u64 v[38:39], v[4:5], 0, v[34:35]
	s_mov_b32 s31, 0x7060302
	v_lshlrev_b32_e32 v34, 1, v8
	v_add_u32_e32 v93, v19, v84
	v_add_u32_e32 v94, v19, v86
	;; [unrolled: 1-line block ×4, first 2 shown]
	v_mov_b32_e32 v63, v35
	v_mov_b32_e32 v62, v35
	;; [unrolled: 1-line block ×4, first 2 shown]
	s_waitcnt lgkmcnt(0)
	s_barrier
.LBB376_6:                              ; =>This Inner Loop Header: Depth=1
	s_add_i32 s57, s56, 1
	s_cmp_lt_i32 s57, s43
	s_mov_b64 s[24:25], 0
	s_cselect_b64 s[38:39], -1, 0
	s_cmp_ge_i32 s57, s43
	s_mov_b64 s[20:21], 0
	s_cbranch_scc1 .LBB376_8
; %bb.7:                                ;   in Loop: Header=BB376_6 Depth=1
	s_add_i32 s0, s50, 64
	s_ashr_i32 s1, s0, 31
	s_add_u32 s0, s47, s0
	s_addc_u32 s1, s46, s1
	s_lshl_b64 s[0:1], s[0:1], 8
	s_add_u32 s20, s6, s0
	s_addc_u32 s21, s7, s1
.LBB376_8:                              ;   in Loop: Header=BB376_6 Depth=1
	v_cndmask_b32_e64 v2, 0, 1, s[38:39]
	v_cmp_ne_u32_e64 s[0:1], 1, v2
	s_andn2_b64 vcc, exec, s[38:39]
	s_cbranch_vccnz .LBB376_10
; %bb.9:                                ;   in Loop: Header=BB376_6 Depth=1
	s_add_i32 s24, s50, 64
	s_mul_hi_i32 s25, s24, s14
	s_mul_i32 s24, s24, s14
	s_add_u32 s24, s24, s48
	s_addc_u32 s25, s25, s52
	s_lshl_b64 s[24:25], s[24:25], 8
	s_add_u32 s24, s4, s24
	s_addc_u32 s25, s5, s25
.LBB376_10:                             ;   in Loop: Header=BB376_6 Depth=1
	v_perm_b32 v3, v99, v75, s31
	v_perm_b32 v2, v72, v73, s31
	;; [unrolled: 1-line block ×4, first 2 shown]
	ds_write_b64 v54, v[2:3]
	ds_write_b64 v55, v[4:5]
	;; [unrolled: 1-line block ×4, first 2 shown]
	v_perm_b32 v3, v100, v67, s31
	v_perm_b32 v2, v65, v66, s31
	;; [unrolled: 1-line block ×4, first 2 shown]
	ds_write_b64 v56, v[2:3]
	ds_write_b64 v57, v[4:5]
	;; [unrolled: 1-line block ×4, first 2 shown]
	s_waitcnt lgkmcnt(0)
	s_barrier
	ds_read_b64 v[6:7], v70 offset:24576
	ds_read2_b64 v[2:5], v74 offset1:16
	ds_read_b64 v[10:11], v77 offset:3072
	ds_read_b64 v[12:13], v74 offset:3072
	ds_read_b64 v[14:15], v76 offset:24576
	s_waitcnt lgkmcnt(3)
	v_mfma_f32_16x16x16_bf16 a[0:3], v[6:7], v[2:3], 0
	s_add_i32 s27, s50, 63
	s_ashr_i32 s38, s27, 31
	s_mul_i32 s39, s27, s29
	v_mfma_f32_16x16x16_bf16 a[4:7], v[6:7], v[4:5], 0
	ds_read2st64_b64 v[2:5], v74 offset0:2 offset1:4
	s_mul_hi_u32 s58, s27, s28
	s_add_i32 s39, s58, s39
	s_waitcnt lgkmcnt(0)
	v_mfma_f32_16x16x16_bf16 a[0:3], v[14:15], v[2:3], a[0:3]
	ds_read2st64_b64 v[6:9], v77 offset0:2 offset1:4
	ds_read_b64 v[2:3], v78 offset:24576
	s_mul_i32 s38, s38, s28
	s_add_i32 s39, s39, s38
	s_waitcnt lgkmcnt(1)
	v_mfma_f32_16x16x16_bf16 a[4:7], v[14:15], v[6:7], a[4:7]
	ds_read_b64 v[6:7], v79 offset:24576
	s_mul_i32 s38, s27, s28
	s_lshl_b64 s[38:39], s[38:39], 2
	s_waitcnt lgkmcnt(1)
	v_mfma_f32_16x16x16_bf16 a[0:3], v[2:3], v[4:5], a[0:3]
	s_add_u32 s38, s2, s38
	s_addc_u32 s39, s3, s39
	s_and_b64 vcc, exec, s[0:1]
	v_mfma_f32_16x16x16_bf16 a[4:7], v[2:3], v[8:9], a[4:7]
	v_mov_b32_e32 v103, 0
	v_mov_b32_e32 v102, 0
	;; [unrolled: 1-line block ×3, first 2 shown]
	s_waitcnt lgkmcnt(0)
	v_mfma_f32_16x16x16_bf16 a[0:3], v[6:7], v[12:13], a[0:3]
	v_mov_b32_e32 v2, 0
	v_mov_b32_e32 v3, 0
	v_mov_b32_e32 v4, 0
	v_mfma_f32_16x16x16_bf16 a[4:7], v[6:7], v[10:11], a[4:7]
	v_mov_b32_e32 v5, 0
	v_mov_b32_e32 v6, 0
	;; [unrolled: 1-line block ×13, first 2 shown]
	s_cbranch_vccnz .LBB376_12
; %bb.11:                               ;   in Loop: Header=BB376_6 Depth=1
	s_and_b32 s21, s21, 0xffff
	buffer_load_dwordx4 v[14:17], v50, s[20:23], 0 offen
	buffer_load_dwordx4 v[10:13], v50, s[20:23], s53 offen
	buffer_load_dwordx4 v[6:9], v51, s[20:23], 0 offen
	buffer_load_dwordx4 v[2:5], v51, s[20:23], s53 offen
	v_mov_b32_e32 v102, v52
	v_mov_b32_e32 v101, v53
.LBB376_12:                             ;   in Loop: Header=BB376_6 Depth=1
	s_waitcnt vmcnt(4)
	ds_read_b64 v[22:23], v70 offset:32768
	s_waitcnt vmcnt(2)
	ds_read2_b64 v[18:21], v80 offset1:16
	ds_read_b64 v[26:27], v76 offset:32768
	ds_read_b64 v[28:29], v78 offset:32768
	;; [unrolled: 1-line block ×3, first 2 shown]
	v_add_u32_e32 v32, s50, v91
	s_waitcnt lgkmcnt(3)
	v_mfma_f32_16x16x16_bf16 a[0:3], v[22:23], v[18:19], a[0:3]
	v_mul_lo_u32 v33, v32, s29
	v_mfma_f32_16x16x16_bf16 a[4:7], v[22:23], v[20:21], a[4:7]
	ds_read2st64_b64 v[18:21], v80 offset0:2 offset1:4
	ds_read2st64_b64 v[22:25], v81 offset0:2 offset1:4
	s_waitcnt lgkmcnt(1)
	v_mfma_f32_16x16x16_bf16 a[0:3], v[26:27], v[18:19], a[0:3]
	v_ashrrev_i32_e32 v18, 31, v32
	v_mul_lo_u32 v104, v18, s28
	v_mad_u64_u32 v[18:19], s[20:21], v32, s28, 0
	v_mfma_f32_16x16x16_bf16 a[0:3], v[28:29], v[20:21], a[0:3]
	v_add_u32_e32 v20, 1, v32
	v_ashrrev_i32_e32 v21, 31, v20
	v_add3_u32 v19, v19, v33, v104
	s_waitcnt lgkmcnt(0)
	v_mfma_f32_16x16x16_bf16 a[4:7], v[26:27], v[22:23], a[4:7]
	v_mul_lo_u32 v22, v21, s28
	v_mul_lo_u32 v23, v20, s29
	v_mad_u64_u32 v[20:21], s[20:21], v20, s28, 0
	v_add3_u32 v21, v21, v23, v22
	v_add_u32_e32 v22, 2, v32
	v_ashrrev_i32_e32 v23, 31, v22
	v_mul_lo_u32 v26, v23, s28
	v_mul_lo_u32 v27, v22, s29
	v_mad_u64_u32 v[22:23], s[20:21], v22, s28, 0
	v_add3_u32 v23, v23, v27, v26
	v_add_u32_e32 v26, 3, v32
	v_ashrrev_i32_e32 v27, 31, v26
	v_mul_lo_u32 v32, v27, s28
	v_mul_lo_u32 v33, v26, s29
	v_mad_u64_u32 v[26:27], s[20:21], v26, s28, 0
	v_add3_u32 v27, v27, v33, v32
	s_ashr_i32 s21, s50, 31
	v_lshl_add_u64 v[18:19], v[18:19], 2, s[2:3]
	v_lshl_add_u64 v[26:27], v[26:27], 2, s[2:3]
	s_add_u32 s20, s47, s50
	v_lshl_add_u64 v[20:21], v[20:21], 2, s[2:3]
	v_lshl_add_u64 v[22:23], v[22:23], 2, s[2:3]
	global_load_dword v32, v[18:19], off
	global_load_dword v33, v[20:21], off
	;; [unrolled: 1-line block ×3, first 2 shown]
	s_nop 0
	global_load_dword v26, v[26:27], off
	s_addc_u32 s21, s46, s21
	s_lshl_b64 s[20:21], s[20:21], 8
	v_lshl_add_u64 v[18:19], v[36:37], 0, s[20:21]
	v_lshl_add_u64 v[18:19], v[18:19], 0, v[34:35]
	global_load_ushort v27, v[18:19], off offset:256
	global_load_ushort v105, v[18:19], off
	global_load_ushort v106, v[18:19], off offset:768
	global_load_ushort v107, v[18:19], off offset:512
	ds_read_b64 v[20:21], v80 offset:3072
	ds_read_b64 v[22:23], v81 offset:3072
	global_load_ushort v108, v[18:19], off offset:800
	global_load_ushort v109, v[18:19], off offset:544
	;; [unrolled: 1-line block ×4, first 2 shown]
	s_load_dword s20, s[38:39], 0x0
	v_mfma_f32_16x16x16_bf16 a[4:7], v[28:29], v[24:25], a[4:7]
	s_and_b64 vcc, exec, s[0:1]
	s_waitcnt vmcnt(11) lgkmcnt(0)
	v_sub_f32_e32 v24, s20, v32
	v_mfma_f32_16x16x16_bf16 a[0:3], v[30:31], v[20:21], a[0:3]
	s_waitcnt vmcnt(10)
	v_sub_f32_e32 v29, s20, v33
	v_mul_f32_e32 v28, 0x3fb8aa3b, v24
	v_mul_f32_e32 v29, 0x3fb8aa3b, v29
	v_mfma_f32_16x16x16_bf16 a[4:7], v[30:31], v[22:23], a[4:7]
	s_waitcnt vmcnt(9)
	v_sub_f32_e32 v30, s20, v104
	s_waitcnt vmcnt(8)
	v_sub_f32_e32 v31, s20, v26
	v_mul_f32_e32 v30, 0x3fb8aa3b, v30
	v_mul_f32_e32 v31, 0x3fb8aa3b, v31
	v_exp_f32_e32 v28, v28
	v_exp_f32_e32 v29, v29
	;; [unrolled: 1-line block ×4, first 2 shown]
	v_accvgpr_read_b32 v23, a1
	v_accvgpr_read_b32 v19, a3
	;; [unrolled: 1-line block ×4, first 2 shown]
	s_waitcnt vmcnt(7)
	v_lshlrev_b32_e32 v25, 16, v27
	s_waitcnt vmcnt(6)
	v_lshlrev_b32_e32 v24, 16, v105
	;; [unrolled: 2-line block ×4, first 2 shown]
	v_pk_add_f32 v[22:23], v[24:25], v[22:23] neg_lo:[0,1] neg_hi:[0,1]
	v_pk_add_f32 v[18:19], v[26:27], v[18:19] neg_lo:[0,1] neg_hi:[0,1]
	v_pk_mul_f32 v[22:23], v[28:29], v[22:23]
	v_pk_mul_f32 v[18:19], v[30:31], v[18:19]
	v_accvgpr_read_b32 v25, a5
	v_perm_b32 v19, v19, v18, s31
	v_perm_b32 v18, v23, v22, s31
	s_waitcnt vmcnt(1)
	v_lshlrev_b32_e32 v23, 16, v110
	s_waitcnt vmcnt(0)
	v_lshlrev_b32_e32 v22, 16, v111
	v_accvgpr_read_b32 v24, a4
	v_accvgpr_read_b32 v21, a7
	v_accvgpr_read_b32 v20, a6
	v_pk_add_f32 v[22:23], v[22:23], v[24:25] neg_lo:[0,1] neg_hi:[0,1]
	v_lshlrev_b32_e32 v25, 16, v108
	v_lshlrev_b32_e32 v24, 16, v109
	v_pk_add_f32 v[20:21], v[24:25], v[20:21] neg_lo:[0,1] neg_hi:[0,1]
	v_pk_mul_f32 v[22:23], v[28:29], v[22:23]
	v_pk_mul_f32 v[20:21], v[30:31], v[20:21]
	v_mov_b32_e32 v104, 0
	v_perm_b32 v21, v21, v20, s31
	v_perm_b32 v20, v23, v22, s31
	ds_write2_b64 v55, v[18:19], v[20:21] offset1:16
	v_mov_b32_e32 v18, 0
	v_mov_b32_e32 v19, 0
	v_mov_b32_e32 v20, 0
	v_mov_b32_e32 v21, 0
	v_mov_b32_e32 v22, 0
	v_mov_b32_e32 v23, 0
	v_mov_b32_e32 v24, 0
	v_mov_b32_e32 v25, 0
	v_mov_b32_e32 v26, 0
	v_mov_b32_e32 v27, 0
	v_mov_b32_e32 v28, 0
	v_mov_b32_e32 v29, 0
	v_mov_b32_e32 v30, 0
	v_mov_b32_e32 v31, 0
	v_mov_b32_e32 v32, 0
	v_mov_b32_e32 v33, 0
	s_cbranch_vccnz .LBB376_14
; %bb.13:                               ;   in Loop: Header=BB376_6 Depth=1
	s_and_b32 s25, s25, 0xffff
	s_mov_b32 s27, s23
	buffer_load_dwordx4 v[30:33], v89, s[24:27], 0 offen
	buffer_load_dwordx4 v[22:25], v89, s[24:27], s53 offen
	;; [unrolled: 1-line block ×4, first 2 shown]
	v_mov_b32_e32 v103, v49
	v_mov_b32_e32 v104, v48
.LBB376_14:                             ;   in Loop: Header=BB376_6 Depth=1
	s_waitcnt lgkmcnt(0)
	s_barrier
	ds_read_b64 v[110:111], v93
	ds_read_b64 v[118:119], v85
	;; [unrolled: 1-line block ×5, first 2 shown]
	ds_read_b64 v[124:125], v86 offset:16384
	ds_read_b64 v[126:127], v84 offset:16384
	ds_read2_b64 v[106:109], v80 offset0:16 offset1:128
	s_waitcnt lgkmcnt(6)
	v_mfma_f32_16x16x16_bf16 a[0:3], v[110:111], v[118:119], 0
	ds_read_b64 v[128:129], v81 offset:3072
	ds_read_b64 v[130:131], v88 offset:16384
	s_add_i32 s21, s44, s56
	s_waitcnt lgkmcnt(2)
	v_mfma_f32_16x16x16_bf16 a[4:7], v[110:111], v[106:107], 0
	ds_read2st64_b64 v[110:113], v81 offset0:2 offset1:4
	s_mul_hi_i32 s25, s21, s49
	s_mul_i32 s21, s21, s49
	v_mfma_f32_16x16x16_bf16 a[0:3], v[114:115], v[108:109], a[0:3]
	s_add_u32 s24, s21, s33
	s_addc_u32 s25, s25, s51
	s_lshl_b64 s[24:25], s[24:25], 15
	s_waitcnt lgkmcnt(0)
	v_mfma_f32_16x16x16_bf16 a[4:7], v[114:115], v[110:111], a[4:7]
	ds_read2st64_b64 v[114:117], v80 offset0:4 offset1:6
	s_waitcnt lgkmcnt(0)
	v_mfma_f32_16x16x16_bf16 a[0:3], v[120:121], v[114:115], a[0:3]
	v_mfma_f32_16x16x16_bf16 a[8:11], v[120:121], v[112:113], a[4:7]
	;; [unrolled: 1-line block ×5, first 2 shown]
	ds_read2st64_b64 v[118:121], v83 offset1:8
	v_mfma_f32_16x16x16_bf16 a[12:15], v[126:127], v[106:107], 0
	ds_read_b64 v[126:127], v87 offset:16384
	v_mfma_f32_16x16x16_bf16 a[8:11], v[124:125], v[108:109], a[8:11]
	ds_read2st64_b64 v[106:109], v82 offset1:8
	s_waitcnt lgkmcnt(0)
	v_mov_b32_e32 v122, v106
	v_mfma_f32_16x16x16_bf16 a[12:15], v[124:125], v[110:111], a[12:15]
	v_lshl_add_u64 v[110:111], v[38:39], 0, s[24:25]
	v_add_co_u32_e32 v106, vcc, s17, v110
	v_mfma_f32_16x16x16_bf16 a[8:11], v[126:127], v[114:115], a[8:11]
	v_mov_b32_e32 v123, v107
	v_addc_co_u32_e32 v107, vcc, 0, v111, vcc
	v_mfma_f32_16x16x16_bf16 a[16:19], v[126:127], v[112:113], a[12:15]
	v_mov_b32_e32 v124, v118
	v_mov_b32_e32 v125, v119
	;; [unrolled: 1-line block ×3, first 2 shown]
	v_mfma_f32_16x16x16_bf16 a[12:15], v[130:131], v[116:117], a[8:11]
	v_mov_b32_e32 v119, v109
	s_and_b64 vcc, exec, s[0:1]
	global_store_dwordx4 v[110:111], v[122:125], off
	v_mfma_f32_16x16x16_bf16 a[8:11], v[130:131], v[128:129], a[16:19]
	global_store_dwordx4 v[106:107], v[118:121], off
	s_cbranch_vccnz .LBB376_16
; %bb.15:                               ;   in Loop: Header=BB376_6 Depth=1
	v_lshrrev_b32_e32 v105, 3, v103
	v_and_b32_e32 v105, 6, v105
	v_xor_b32_e32 v104, v105, v104
	v_lshlrev_b32_e32 v104, 2, v104
	v_and_b32_e32 v103, 8, v103
	v_xor_b32_e32 v106, 0x440, v104
	v_cmp_eq_u32_e32 vcc, 0, v103
	s_barrier
	s_nop 0
	v_cndmask_b32_e32 v103, v106, v104, vcc
	v_lshl_or_b32 v103, v105, 10, v103
	s_waitcnt vmcnt(3)
	v_perm_b32 v104, v30, v26, s54
	s_waitcnt vmcnt(2)
	v_perm_b32 v105, v22, v18, s54
	ds_write2st64_b32 v103, v104, v105 offset0:32 offset1:64
	v_xor_b32_e32 v104, 8, v103
	v_perm_b32 v26, v30, v26, s55
	v_perm_b32 v18, v22, v18, s55
	v_add_u32_e32 v22, 0x80, v104
	ds_write2st64_b32 v22, v26, v18 offset0:32 offset1:64
	v_xor_b32_e32 v18, 16, v103
	v_perm_b32 v22, v31, v27, s54
	v_perm_b32 v26, v23, v19, s54
	ds_write2st64_b32 v18, v22, v26 offset0:33 offset1:65
	v_xor_b32_e32 v18, 24, v103
	v_perm_b32 v22, v31, v27, s55
	v_perm_b32 v19, v23, v19, s55
	v_add_u32_e32 v18, 0x80, v18
	ds_write2st64_b32 v18, v22, v19 offset0:33 offset1:65
	v_xor_b32_e32 v18, 32, v103
	v_perm_b32 v19, v32, v28, s54
	;; [unrolled: 9-line block ×3, first 2 shown]
	v_perm_b32 v20, v25, v21, s54
	ds_write2st64_b32 v18, v19, v20 offset0:35 offset1:67
	v_xor_b32_e32 v18, 56, v103
	v_perm_b32 v19, v33, v29, s55
	v_perm_b32 v20, v25, v21, s55
	v_add_u32_e32 v18, 0x80, v18
	ds_write2st64_b32 v18, v19, v20 offset0:35 offset1:67
	ds_write_b64 v102, v[14:15] offset:24576
	v_xor_b32_e32 v14, 8, v102
	ds_write_b64 v14, v[16:17] offset:24576
	ds_write_b64 v102, v[10:11] offset:32768
	;; [unrolled: 1-line block ×4, first 2 shown]
	v_xor_b32_e32 v6, 8, v101
	ds_write_b64 v6, v[8:9] offset:24576
	ds_write_b64 v101, v[2:3] offset:32768
	;; [unrolled: 1-line block ×3, first 2 shown]
.LBB376_16:                             ;   in Loop: Header=BB376_6 Depth=1
	v_mul_f32_e32 v2, s20, v92
	v_exp_f32_e32 v2, v2
	v_accvgpr_read_b32 v3, a4
	v_accvgpr_read_b32 v4, a5
	;; [unrolled: 1-line block ×3, first 2 shown]
	v_fma_f32 v73, v73, v2, v3
	v_accvgpr_read_b32 v3, a6
	v_fma_f32 v75, v75, v2, v3
	v_accvgpr_read_b32 v3, a0
	;; [unrolled: 2-line block ×11, first 2 shown]
	v_accvgpr_read_b32 v6, a15
	v_fma_f32 v64, v64, v2, v3
	v_accvgpr_read_b32 v3, a11
	s_add_i32 s50, s50, 64
	v_fmac_f32_e32 v5, v99, v2
	v_fmac_f32_e32 v4, v100, v2
	;; [unrolled: 1-line block ×3, first 2 shown]
	s_cmp_eq_u32 s43, s57
	v_fmac_f32_e32 v3, v98, v2
	s_cbranch_scc1 .LBB376_18
; %bb.17:                               ;   in Loop: Header=BB376_6 Depth=1
	s_mov_b32 s56, s57
	v_mov_b32_e32 v99, v5
	v_mov_b32_e32 v97, v6
	;; [unrolled: 1-line block ×4, first 2 shown]
	s_branch .LBB376_6
.LBB376_18:
	s_lshl_b32 s0, s43, 6
	s_sub_i32 s45, s45, s0
	s_cmp_gt_i32 s45, 0
	s_cbranch_scc0 .LBB376_83
; %bb.19:
	s_add_i32 s34, s0, s34
	s_ashr_i32 s2, s34, 31
	s_cmpk_lg_i32 s15, 0x80
	s_cselect_b64 s[26:27], -1, 0
	s_and_b64 vcc, exec, s[26:27]
	s_cbranch_vccz .LBB376_21
; %bb.20:
	s_mul_i32 s1, s34, s14
	s_ashr_i32 s3, s48, 31
	s_mul_hi_i32 s0, s34, s14
	s_add_u32 s38, s1, s48
	s_addc_u32 s39, s0, s3
	s_cbranch_execz .LBB376_22
	s_branch .LBB376_23
.LBB376_21:
                                        ; implicit-def: $sgpr38_sgpr39
.LBB376_22:
	s_mul_i32 s1, s48, s12
	s_mul_hi_i32 s0, s48, s12
	s_add_u32 s38, s1, s34
	s_addc_u32 s39, s0, s2
.LBB376_23:
	s_add_i32 s3, s43, s44
	s_ashr_i32 s12, s33, 31
	s_add_u32 s0, s47, s34
	s_addc_u32 s1, s46, s2
	v_lshlrev_b32_e32 v10, 5, v46
	s_waitcnt vmcnt(4)
	v_lshlrev_b32_e32 v22, 2, v40
	s_mov_b32 s2, 0x7060302
	v_xor_b32_e32 v2, v46, v22
	v_perm_b32 v9, v5, v75, s2
	v_or_b32_e32 v5, v10, v22
	v_perm_b32 v8, v72, v73, s2
	v_perm_b32 v7, v6, v71, s2
	;; [unrolled: 1-line block ×3, first 2 shown]
	v_lshlrev_b32_e32 v5, 1, v5
	v_lshlrev_b32_e32 v12, 1, v2
	;; [unrolled: 1-line block ×3, first 2 shown]
	s_lshl_b64 s[24:25], s[0:1], 8
	v_xor_b32_e32 v11, v47, v22
	ds_write2st64_b64 v5, v[8:9], v[6:7] offset0:80 offset1:88
	v_or_b32_e32 v5, v12, v2
	s_add_u32 s0, s6, s24
	ds_write_b64 v5, v[8:9]
	v_lshlrev_b32_e32 v8, 1, v11
	s_addc_u32 s1, s7, s25
	v_or_b32_e32 v2, v8, v2
	s_mul_hi_i32 s6, s3, s13
	s_mul_i32 s3, s3, s13
	ds_write_b64 v2, v[6:7]
	v_perm_b32 v5, v4, v67, s2
	v_perm_b32 v4, v65, v66, s2
	;; [unrolled: 1-line block ×4, first 2 shown]
	v_or_b32_e32 v6, 16, v40
	s_add_u32 s2, s3, s33
	s_waitcnt vmcnt(2)
	v_lshlrev_b32_e32 v19, 2, v6
	s_addc_u32 s3, s6, s12
	v_or_b32_e32 v7, v10, v19
	s_ashr_i32 s31, s30, 31
	s_lshl_b64 s[2:3], s[2:3], 15
	v_lshlrev_b32_e32 v7, 1, v7
	v_lshlrev_b32_e32 v6, 8, v6
	s_add_u32 s6, s36, s2
	ds_write2st64_b64 v7, v[4:5], v[2:3] offset0:80 offset1:88
	v_or_b32_e32 v7, v12, v6
	s_addc_u32 s7, s37, s3
	s_lshl_b64 s[2:3], s[30:31], 8
	ds_write_b64 v7, v[4:5]
	v_or_b32_e32 v4, v8, v6
	s_add_u32 s2, s6, s2
	ds_write_b64 v4, v[2:3]
	v_lshrrev_b32_e32 v2, 4, v0
	s_addc_u32 s3, s7, s3
	v_lshlrev_b32_e32 v3, 1, v40
	v_lshlrev_b32_e32 v10, 4, v40
	v_mov_b32_e32 v11, 0
	v_or_b32_e32 v4, 1, v3
	v_xor_b32_e32 v3, v2, v3
	v_lshl_add_u64 v[12:13], s[2:3], 0, v[10:11]
	v_lshlrev_b32_e32 v10, 8, v2
	v_xor_b32_e32 v6, v4, v2
	v_lshl_or_b32 v2, v3, 3, v10
	s_waitcnt lgkmcnt(0)
	s_barrier
	ds_read2st64_b64 v[2:5], v2 offset1:8
	v_lshl_or_b32 v6, v6, 3, v10
	ds_read2st64_b64 v[6:9], v6 offset1:8
	v_lshl_add_u64 v[14:15], v[12:13], 0, v[10:11]
	s_movk_i32 s2, 0x1000
	s_waitcnt lgkmcnt(1)
	v_mov_b32_e32 v10, v2
	v_add_co_u32_e32 v2, vcc, s2, v14
	s_cmp_lg_u32 s45, 64
	v_mov_b32_e32 v11, v3
	v_addc_co_u32_e32 v3, vcc, 0, v15, vcc
	s_cselect_b64 s[6:7], -1, 0
	v_lshl_or_b32 v23, v42, 3, v45
	s_waitcnt lgkmcnt(0)
	v_mov_b32_e32 v12, v6
	v_mov_b32_e32 v13, v7
	;; [unrolled: 1-line block ×4, first 2 shown]
	s_mov_b32 s20, 0
	v_or_b32_e32 v20, 32, v23
	v_and_b32_e32 v18, 56, v44
	s_and_b64 vcc, exec, s[6:7]
	global_store_dwordx4 v[14:15], v[10:13], off
	global_store_dwordx4 v[2:3], v[6:9], off
	s_cbranch_vccz .LBB376_29
; %bb.24:
	s_mov_b32 s21, s20
	s_mov_b32 s22, s20
	;; [unrolled: 1-line block ×3, first 2 shown]
	v_mov_b64_e32 v[6:7], s[20:21]
	v_mov_b64_e32 v[8:9], s[22:23]
	;; [unrolled: 1-line block ×3, first 2 shown]
	v_cmp_gt_i32_e32 vcc, s45, v23
	v_mov_b64_e32 v[4:5], v[8:9]
	s_and_saveexec_b64 s[2:3], vcc
	s_cbranch_execz .LBB376_26
; %bb.25:
	v_lshlrev_b32_e32 v2, 8, v23
	v_mov_b32_e32 v3, 0
	v_lshl_add_u64 v[4:5], s[0:1], 0, v[2:3]
	v_lshlrev_b32_e32 v2, 1, v18
	v_lshl_add_u64 v[10:11], v[4:5], 0, v[2:3]
	global_load_dwordx4 v[6:9], v[10:11], off
	global_load_dwordx4 v[2:5], v[10:11], off offset:128
.LBB376_26:
	s_or_b64 exec, exec, s[2:3]
	s_mov_b32 s21, s20
	s_mov_b32 s22, s20
	;; [unrolled: 1-line block ×3, first 2 shown]
	v_mov_b64_e32 v[14:15], s[20:21]
	v_mov_b64_e32 v[16:17], s[22:23]
	;; [unrolled: 1-line block ×3, first 2 shown]
	v_cmp_gt_i32_e32 vcc, s45, v20
	v_lshlrev_b32_e32 v21, 7, v20
	v_mov_b64_e32 v[12:13], v[16:17]
	s_and_saveexec_b64 s[2:3], vcc
	s_cbranch_execz .LBB376_28
; %bb.27:
	v_lshlrev_b32_e32 v10, 1, v21
	v_mov_b32_e32 v11, 0
	v_lshl_add_u64 v[12:13], s[0:1], 0, v[10:11]
	v_lshlrev_b32_e32 v10, 1, v18
	v_lshl_add_u64 v[24:25], v[12:13], 0, v[10:11]
	global_load_dwordx4 v[14:17], v[24:25], off
	global_load_dwordx4 v[10:13], v[24:25], off offset:128
.LBB376_28:
	s_or_b64 exec, exec, s[2:3]
	v_lshrrev_b32_e32 v24, 3, v18
	v_lshlrev_b32_e32 v25, 3, v23
	v_or_b32_e32 v24, v25, v24
	v_lshlrev_b32_e32 v24, 4, v24
	v_and_b32_e32 v25, 0x78, v25
	v_xor_b32_e32 v24, v24, v25
	s_branch .LBB376_31
.LBB376_29:
                                        ; implicit-def: $vgpr24
                                        ; implicit-def: $vgpr21
                                        ; implicit-def: $vgpr6_vgpr7_vgpr8_vgpr9
                                        ; implicit-def: $vgpr2_vgpr3_vgpr4_vgpr5
                                        ; implicit-def: $vgpr14_vgpr15_vgpr16_vgpr17
                                        ; implicit-def: $vgpr10_vgpr11_vgpr12_vgpr13
	s_cbranch_execz .LBB376_31
; %bb.30:
	s_waitcnt vmcnt(0)
	v_lshlrev_b32_e32 v2, 1, v18
	v_lshl_or_b32 v21, v23, 8, v2
	s_and_b32 s1, s1, 0xffff
	s_mov_b32 s3, 0x20000
	s_movk_i32 s2, 0x4000
	v_lshl_or_b32 v24, v20, 8, v2
	s_movk_i32 s13, 0x80
	buffer_load_dwordx4 v[6:9], v21, s[0:3], 0 offen
	buffer_load_dwordx4 v[2:5], v21, s[0:3], s13 offen
	;; [unrolled: 1-line block ×4, first 2 shown]
	v_lshrrev_b32_e32 v21, 3, v18
	v_lshlrev_b32_e32 v24, 3, v23
	v_or_b32_e32 v21, v24, v21
	v_lshlrev_b32_e32 v21, 4, v21
	v_and_b32_e32 v24, 0x78, v24
	v_xor_b32_e32 v24, v21, v24
	v_lshlrev_b32_e32 v21, 7, v20
.LBB376_31:
	s_lshl_b64 s[0:1], s[38:39], 8
	s_add_u32 s4, s4, s0
	s_movk_i32 s0, 0x1000
	v_and_or_b32 v20, v21, s0, v24
	s_waitcnt vmcnt(1)
	ds_write_b64 v24, v[6:7] offset:24576
	v_xor_b32_e32 v6, 8, v24
	ds_write_b64 v6, v[8:9] offset:24576
	s_waitcnt vmcnt(0)
	ds_write_b64 v24, v[2:3] offset:32768
	ds_write_b64 v6, v[4:5] offset:32768
	;; [unrolled: 1-line block ×3, first 2 shown]
	v_xor_b32_e32 v2, 8, v20
	ds_write_b64 v2, v[16:17] offset:24576
	ds_write_b64 v20, v[10:11] offset:32768
	;; [unrolled: 1-line block ×3, first 2 shown]
	v_or_b32_e32 v2, v1, v40
	v_lshlrev_b32_e32 v3, 11, v42
	v_lshlrev_b32_e32 v2, 3, v2
	v_and_b32_e32 v6, 0x1000, v3
	v_lshrrev_b32_e32 v3, 5, v41
	s_movk_i32 s13, 0xf8
	v_and_or_b32 v3, v2, s13, v3
	v_lshlrev_b32_e32 v7, 4, v3
	v_and_b32_e32 v8, 0x78, v2
	v_or_b32_e32 v10, 32, v7
	v_lshrrev_b32_e32 v3, 1, v41
	v_xor_b32_e32 v10, v10, v8
	v_xor_b32_e32 v2, v7, v8
	v_and_b32_e32 v9, 8, v3
	v_or_b32_e32 v10, v10, v6
	v_or_b32_e32 v2, v2, v6
	v_xor_b32_e32 v26, v10, v9
	v_or_b32_e32 v10, 64, v7
	v_xor_b32_e32 v25, v2, v9
	v_xor_b32_e32 v10, v10, v8
	s_waitcnt lgkmcnt(0)
	s_barrier
	v_or_b32_e32 v12, v10, v6
	ds_read_b64 v[10:11], v25 offset:24576
	v_lshl_or_b32 v20, v43, 7, v22
	v_lshlrev_b32_e32 v24, 1, v20
	v_add_u32_e32 v2, 0xa000, v24
	ds_read2_b64 v[2:5], v2 offset1:16
	v_or_b32_e32 v7, 0x60, v7
	v_xor_b32_e32 v7, v7, v8
	s_waitcnt lgkmcnt(0)
	v_mfma_f32_16x16x16_bf16 a[0:3], v[10:11], v[2:3], 0
	v_or_b32_e32 v2, 64, v20
	v_or_b32_e32 v6, v7, v6
	v_lshlrev_b32_e32 v29, 1, v2
	v_xor_b32_e32 v27, v12, v9
	v_xor_b32_e32 v28, v6, v9
	ds_read_b64 v[12:13], v26 offset:24576
	ds_read_b64 v[14:15], v27 offset:24576
	;; [unrolled: 1-line block ×3, first 2 shown]
	v_mfma_f32_16x16x16_bf16 a[4:7], v[10:11], v[4:5], 0
	ds_read2st64_b64 v[2:5], v29 offset0:82 offset1:84
	ds_read2st64_b64 v[6:9], v24 offset0:82 offset1:84
	s_addc_u32 s5, s5, s1
	s_add_i32 s0, s41, s40
	s_add_i32 s2, s35, -1
	s_add_i32 s17, s0, s42
	s_mul_i32 s0, s33, s19
	s_mul_hi_u32 s1, s33, s18
	s_add_i32 s0, s1, s0
	s_mul_i32 s1, s12, s18
	s_ashr_i32 s3, s2, 31
	s_mul_i32 s12, s2, s29
	s_mul_hi_u32 s13, s2, s28
	s_add_i32 s12, s13, s12
	s_mul_i32 s3, s3, s28
	s_waitcnt lgkmcnt(1)
	v_mfma_f32_16x16x16_bf16 a[4:7], v[12:13], v[2:3], a[4:7]
	s_add_i32 s1, s0, s1
	s_add_i32 s3, s12, s3
	s_lshl_b64 s[12:13], s[16:17], 2
	s_waitcnt lgkmcnt(0)
	v_mfma_f32_16x16x16_bf16 a[0:3], v[12:13], v[6:7], a[0:3]
	s_mul_i32 s0, s33, s18
	s_add_u32 s10, s10, s12
	s_addc_u32 s11, s11, s13
	s_lshl_b64 s[0:1], s[0:1], 2
	s_mul_i32 s2, s2, s28
	s_add_u32 s10, s10, s0
	ds_read_b64 v[2:3], v24 offset:44032
	v_mfma_f32_16x16x16_bf16 a[4:7], v[14:15], v[4:5], a[4:7]
	ds_read_b64 v[4:5], v29 offset:44032
	s_addc_u32 s11, s11, s1
	s_lshl_b64 s[0:1], s[2:3], 2
	v_mfma_f32_16x16x16_bf16 a[0:3], v[14:15], v[8:9], a[0:3]
	s_add_u32 s0, s10, s0
	s_addc_u32 s1, s11, s1
	s_load_dword s12, s[0:1], 0x0
	s_waitcnt lgkmcnt(0)
	v_mfma_f32_16x16x16_bf16 a[0:3], v[16:17], v[2:3], a[0:3]
	s_and_b64 vcc, exec, s[26:27]
	v_mfma_f32_16x16x16_bf16 a[4:7], v[16:17], v[4:5], a[4:7]
	s_cbranch_vccz .LBB376_42
; %bb.32:
	v_lshlrev_b32_e32 v20, 1, v23
	s_and_b64 vcc, exec, s[6:7]
	s_cbranch_vccz .LBB376_43
; %bb.33:
	v_cmp_gt_i32_e32 vcc, s45, v20
	v_mov_b32_e32 v6, 0
	v_mov_b32_e32 v2, 0
	;; [unrolled: 1-line block ×5, first 2 shown]
	s_and_saveexec_b64 s[0:1], vcc
	s_cbranch_execz .LBB376_35
; %bb.34:
	v_mad_i64_i32 v[2:3], s[2:3], s15, v20, 0
	v_lshl_add_u64 v[2:3], v[2:3], 1, s[4:5]
	v_lshlrev_b32_e32 v4, 1, v18
	v_mov_b32_e32 v5, 0
	v_lshl_add_u64 v[2:3], v[2:3], 0, v[4:5]
	global_load_dwordx4 v[2:5], v[2:3], off
.LBB376_35:
	s_or_b64 exec, exec, s[0:1]
	v_or_b32_e32 v21, 1, v20
	v_cmp_gt_i32_e64 s[0:1], s45, v21
	v_mov_b32_e32 v7, 0
	v_mov_b32_e32 v8, 0
	;; [unrolled: 1-line block ×3, first 2 shown]
	s_and_saveexec_b64 s[2:3], s[0:1]
	s_cbranch_execz .LBB376_37
; %bb.36:
	v_mad_i64_i32 v[6:7], s[16:17], s15, v21, 0
	v_lshl_add_u64 v[6:7], v[6:7], 1, s[4:5]
	v_lshlrev_b32_e32 v8, 1, v18
	v_mov_b32_e32 v9, 0
	v_lshl_add_u64 v[6:7], v[6:7], 0, v[8:9]
	global_load_dwordx4 v[6:9], v[6:7], off
.LBB376_37:
	s_or_b64 exec, exec, s[2:3]
	v_mov_b32_e32 v17, 0
	v_mov_b32_e32 v10, 0
	;; [unrolled: 1-line block ×5, first 2 shown]
	s_and_saveexec_b64 s[2:3], vcc
	s_cbranch_execz .LBB376_39
; %bb.38:
	v_mad_i64_i32 v[10:11], s[16:17], s15, v20, 0
	v_lshl_add_u64 v[10:11], v[10:11], 1, s[4:5]
	v_lshlrev_b32_e32 v12, 1, v18
	v_mov_b32_e32 v13, 0
	v_lshl_add_u64 v[10:11], v[10:11], 0, v[12:13]
	global_load_dwordx4 v[10:13], v[10:11], off offset:128
.LBB376_39:
	s_or_b64 exec, exec, s[2:3]
	v_mov_b32_e32 v16, 0
	v_mov_b32_e32 v15, 0
	;; [unrolled: 1-line block ×3, first 2 shown]
	s_and_saveexec_b64 s[2:3], s[0:1]
	s_cbranch_execz .LBB376_41
; %bb.40:
	v_mad_i64_i32 v[14:15], s[0:1], s15, v21, 0
	v_lshl_add_u64 v[14:15], v[14:15], 1, s[4:5]
	v_lshlrev_b32_e32 v16, 1, v18
	v_mov_b32_e32 v17, 0
	v_lshl_add_u64 v[14:15], v[14:15], 0, v[16:17]
	global_load_dwordx4 v[14:17], v[14:15], off offset:128
.LBB376_41:
	s_or_b64 exec, exec, s[2:3]
	s_branch .LBB376_45
.LBB376_42:
                                        ; implicit-def: $vgpr5
                                        ; implicit-def: $vgpr9
                                        ; implicit-def: $vgpr13
                                        ; implicit-def: $vgpr17
	v_lshrrev_b32_e32 v30, 2, v41
	s_branch .LBB376_46
.LBB376_43:
                                        ; implicit-def: $vgpr5
                                        ; implicit-def: $vgpr9
                                        ; implicit-def: $vgpr13
                                        ; implicit-def: $vgpr17
	s_cbranch_execz .LBB376_45
; %bb.44:
	s_waitcnt vmcnt(0)
	v_mad_u64_u32 v[2:3], s[0:1], v20, s15, v[18:19]
	v_lshlrev_b32_e32 v20, 1, v2
	s_lshl_b32 s2, s15, 7
	s_and_b32 s1, s5, 0xffff
	s_mov_b32 s3, 0x20000
	s_mov_b32 s0, s4
	v_add_lshl_u32 v21, v2, s15, 1
	s_movk_i32 s13, 0x80
	buffer_load_dwordx4 v[2:5], v20, s[0:3], 0 offen
	buffer_load_dwordx4 v[10:13], v20, s[0:3], s13 offen
	;; [unrolled: 1-line block ×4, first 2 shown]
.LBB376_45:
	v_lshrrev_b32_e32 v30, 2, v41
	s_cbranch_execnz .LBB376_58
.LBB376_46:
	s_and_b64 vcc, exec, s[6:7]
	s_cbranch_vccz .LBB376_56
; %bb.47:
	s_waitcnt vmcnt(0)
	v_lshlrev_b32_e32 v7, 1, v23
	v_cmp_gt_i32_e32 vcc, s45, v7
	v_mov_b32_e32 v6, 0
	v_lshlrev_b32_e32 v14, 9, v23
	v_mov_b32_e32 v2, 0
	v_mov_b32_e32 v3, 0
	;; [unrolled: 1-line block ×4, first 2 shown]
	s_and_saveexec_b64 s[0:1], vcc
	s_cbranch_execz .LBB376_49
; %bb.48:
	v_mov_b32_e32 v15, 0
	v_lshl_add_u64 v[2:3], s[4:5], 0, v[14:15]
	v_lshlrev_b32_e32 v4, 1, v18
	v_mov_b32_e32 v5, v15
	v_lshl_add_u64 v[2:3], v[2:3], 0, v[4:5]
	global_load_dwordx4 v[2:5], v[2:3], off
.LBB376_49:
	s_or_b64 exec, exec, s[0:1]
	v_or_b32_e32 v7, 1, v7
	v_cmp_gt_i32_e64 s[0:1], s45, v7
	v_lshlrev_b32_e32 v20, 8, v7
	v_mov_b32_e32 v7, 0
	v_mov_b32_e32 v8, 0
	;; [unrolled: 1-line block ×3, first 2 shown]
	s_and_saveexec_b64 s[2:3], s[0:1]
	s_cbranch_execz .LBB376_51
; %bb.50:
	v_mov_b32_e32 v21, 0
	v_lshl_add_u64 v[6:7], s[4:5], 0, v[20:21]
	v_lshlrev_b32_e32 v8, 1, v18
	v_mov_b32_e32 v9, v21
	v_lshl_add_u64 v[6:7], v[6:7], 0, v[8:9]
	global_load_dwordx4 v[6:9], v[6:7], off
.LBB376_51:
	s_or_b64 exec, exec, s[2:3]
	v_mov_b32_e32 v17, 0
	v_mov_b32_e32 v10, 0
	;; [unrolled: 1-line block ×5, first 2 shown]
	s_and_saveexec_b64 s[2:3], vcc
	s_cbranch_execz .LBB376_53
; %bb.52:
	v_mov_b32_e32 v15, 0
	v_lshl_add_u64 v[10:11], s[4:5], 0, v[14:15]
	v_lshlrev_b32_e32 v14, 1, v18
	v_lshl_add_u64 v[10:11], v[10:11], 0, v[14:15]
	global_load_dwordx4 v[10:13], v[10:11], off offset:128
.LBB376_53:
	s_or_b64 exec, exec, s[2:3]
	v_mov_b32_e32 v16, 0
	v_mov_b32_e32 v15, 0
	;; [unrolled: 1-line block ×3, first 2 shown]
	s_and_saveexec_b64 s[2:3], s[0:1]
	s_cbranch_execz .LBB376_55
; %bb.54:
	v_mov_b32_e32 v21, 0
	v_lshl_add_u64 v[14:15], s[4:5], 0, v[20:21]
	v_lshlrev_b32_e32 v20, 1, v18
	v_lshl_add_u64 v[14:15], v[14:15], 0, v[20:21]
	global_load_dwordx4 v[14:17], v[14:15], off offset:128
.LBB376_55:
	s_or_b64 exec, exec, s[2:3]
	s_branch .LBB376_58
.LBB376_56:
                                        ; implicit-def: $vgpr5
                                        ; implicit-def: $vgpr9
                                        ; implicit-def: $vgpr13
                                        ; implicit-def: $vgpr17
	s_cbranch_execz .LBB376_58
; %bb.57:
	s_waitcnt vmcnt(0)
	v_lshlrev_b32_e32 v2, 1, v18
	v_lshl_or_b32 v18, v23, 9, v2
	s_and_b32 s5, s5, 0xffff
	s_mov_b32 s7, 0x20000
	s_movk_i32 s6, 0x4000
	s_movk_i32 s0, 0x80
	buffer_load_dwordx4 v[2:5], v18, s[4:7], 0 offen
	buffer_load_dwordx4 v[6:9], v18, s[4:7], 0 offen offset:256
	buffer_load_dwordx4 v[10:13], v18, s[4:7], s0 offen
	buffer_load_dwordx4 v[14:17], v18, s[4:7], s0 offen offset:256
.LBB376_58:
	ds_read_b64 v[20:21], v25 offset:32768
	v_add_u32_e32 v18, 0xb000, v24
	ds_read2_b64 v[32:35], v18 offset1:16
	ds_read_b64 v[42:43], v26 offset:32768
	ds_read_b64 v[26:27], v27 offset:32768
	;; [unrolled: 1-line block ×3, first 2 shown]
	v_and_b32_e32 v18, 6, v0
	v_xor_b32_e32 v23, v23, v18
	v_lshlrev_b32_e32 v23, 2, v23
	v_and_b32_e32 v0, 1, v0
	v_xor_b32_e32 v28, 0x440, v23
	v_cmp_eq_u32_e32 vcc, 0, v0
	s_waitcnt lgkmcnt(3)
	v_mfma_f32_16x16x16_bf16 a[0:3], v[20:21], v[32:33], a[0:3]
	s_mov_b32 s0, 0x1000504
	v_cndmask_b32_e32 v0, v28, v23, vcc
	v_lshl_or_b32 v0, v18, 10, v0
	v_mfma_f32_16x16x16_bf16 a[4:7], v[20:21], v[34:35], a[4:7]
	ds_read2st64_b64 v[32:35], v24 offset0:90 offset1:92
	ds_read2st64_b64 v[36:39], v29 offset0:90 offset1:92
	ds_read_b64 v[20:21], v24 offset:48128
	ds_read_b64 v[24:25], v29 offset:48128
	s_waitcnt vmcnt(0)
	v_perm_b32 v18, v2, v6, s0
	s_waitcnt lgkmcnt(3)
	v_mfma_f32_16x16x16_bf16 a[0:3], v[42:43], v[32:33], a[0:3]
	s_mov_b32 s1, 0x3020706
	v_perm_b32 v2, v2, v6, s1
	v_perm_b32 v6, v10, v14, s1
	s_waitcnt lgkmcnt(2)
	v_mfma_f32_16x16x16_bf16 a[4:7], v[42:43], v[36:37], a[4:7]
	v_mfma_f32_16x16x16_bf16 a[0:3], v[26:27], v[34:35], a[0:3]
	;; [unrolled: 1-line block ×3, first 2 shown]
	s_waitcnt lgkmcnt(1)
	v_mfma_f32_16x16x16_bf16 a[4:7], v[44:45], v[20:21], a[0:3]
	v_perm_b32 v20, v10, v14, s0
	ds_write2st64_b32 v0, v18, v20 offset0:32 offset1:64
	v_xor_b32_e32 v18, 8, v0
	v_add_u32_e32 v10, 0x80, v18
	ds_write2st64_b32 v10, v2, v6 offset0:32 offset1:64
	v_xor_b32_e32 v2, 16, v0
	v_perm_b32 v6, v3, v7, s0
	v_perm_b32 v10, v11, v15, s0
	ds_write2st64_b32 v2, v6, v10 offset0:33 offset1:65
	v_xor_b32_e32 v2, 24, v0
	v_perm_b32 v3, v3, v7, s1
	v_perm_b32 v6, v11, v15, s1
	v_add_u32_e32 v2, 0x80, v2
	ds_write2st64_b32 v2, v3, v6 offset0:33 offset1:65
	v_xor_b32_e32 v2, 32, v0
	v_perm_b32 v3, v4, v8, s0
	v_perm_b32 v6, v12, v16, s0
	ds_write2st64_b32 v2, v3, v6 offset0:34 offset1:66
	v_xor_b32_e32 v2, 40, v0
	s_waitcnt lgkmcnt(5)
	v_mfma_f32_16x16x16_bf16 a[0:3], v[44:45], v[24:25], a[8:11]
	v_perm_b32 v3, v4, v8, s1
	v_perm_b32 v4, v12, v16, s1
	v_add_u32_e32 v2, 0x80, v2
	ds_write2st64_b32 v2, v3, v4 offset0:34 offset1:66
	v_xor_b32_e32 v2, 48, v0
	v_perm_b32 v3, v5, v9, s0
	v_perm_b32 v4, v13, v17, s0
	ds_write2st64_b32 v2, v3, v4 offset0:35 offset1:67
	v_xor_b32_e32 v0, 56, v0
	v_perm_b32 v3, v13, v17, s1
	v_and_or_b32 v17, v30, 12, v1
	v_perm_b32 v2, v5, v9, s1
	v_add_u32_e32 v0, 0x80, v0
	v_cmp_gt_i32_e32 vcc, s45, v17
	v_mov_b32_e32 v14, 0
	v_mov_b32_e32 v16, 0
	ds_write2st64_b32 v0, v2, v3 offset0:35 offset1:67
	s_and_saveexec_b64 s[0:1], vcc
	s_cbranch_execz .LBB376_60
; %bb.59:
	v_add_u32_e32 v0, s34, v17
	v_ashrrev_i32_e32 v1, 31, v0
	v_mul_lo_u32 v2, v1, s28
	v_mul_lo_u32 v3, v0, s29
	v_mad_u64_u32 v[0:1], s[2:3], v0, s28, 0
	v_add3_u32 v1, v1, v3, v2
	v_lshl_add_u64 v[0:1], v[0:1], 2, s[10:11]
	global_load_dword v0, v[0:1], off
	s_waitcnt vmcnt(0)
	v_sub_f32_e32 v0, s12, v0
	v_mul_f32_e32 v0, 0x3fb8aa3b, v0
	v_exp_f32_e32 v16, v0
.LBB376_60:
	s_or_b64 exec, exec, s[0:1]
	v_or_b32_e32 v8, 1, v17
	v_cmp_gt_i32_e64 s[0:1], s45, v8
	s_and_saveexec_b64 s[2:3], s[0:1]
	s_cbranch_execz .LBB376_62
; %bb.61:
	v_add_u32_e32 v0, s34, v8
	v_ashrrev_i32_e32 v1, 31, v0
	v_mul_lo_u32 v2, v1, s28
	v_mul_lo_u32 v3, v0, s29
	v_mad_u64_u32 v[0:1], s[4:5], v0, s28, 0
	v_add3_u32 v1, v1, v3, v2
	v_lshl_add_u64 v[0:1], v[0:1], 2, s[10:11]
	global_load_dword v0, v[0:1], off
	s_waitcnt vmcnt(0)
	v_sub_f32_e32 v0, s12, v0
	v_mul_f32_e32 v0, 0x3fb8aa3b, v0
	v_exp_f32_e32 v14, v0
.LBB376_62:
	s_or_b64 exec, exec, s[2:3]
	v_or_b32_e32 v10, 2, v17
	v_cmp_gt_i32_e64 s[2:3], s45, v10
	v_mov_b32_e32 v15, 0
	v_mov_b32_e32 v18, 0
	s_and_saveexec_b64 s[4:5], s[2:3]
	s_cbranch_execz .LBB376_64
; %bb.63:
	v_add_u32_e32 v0, s34, v10
	v_ashrrev_i32_e32 v1, 31, v0
	v_mul_lo_u32 v2, v1, s28
	v_mul_lo_u32 v3, v0, s29
	v_mad_u64_u32 v[0:1], s[6:7], v0, s28, 0
	v_add3_u32 v1, v1, v3, v2
	v_lshl_add_u64 v[0:1], v[0:1], 2, s[10:11]
	global_load_dword v0, v[0:1], off
	s_waitcnt vmcnt(0)
	v_sub_f32_e32 v0, s12, v0
	v_mul_f32_e32 v0, 0x3fb8aa3b, v0
	v_exp_f32_e32 v18, v0
.LBB376_64:
	s_or_b64 exec, exec, s[4:5]
	v_or_b32_e32 v12, 3, v17
	v_cmp_gt_i32_e64 s[4:5], s45, v12
	s_and_saveexec_b64 s[6:7], s[4:5]
	s_cbranch_execz .LBB376_66
; %bb.65:
	v_add_u32_e32 v0, s34, v12
	v_ashrrev_i32_e32 v1, 31, v0
	v_mul_lo_u32 v2, v1, s28
	v_mul_lo_u32 v3, v0, s29
	v_mad_u64_u32 v[0:1], s[14:15], v0, s28, 0
	v_add3_u32 v1, v1, v3, v2
	v_lshl_add_u64 v[0:1], v[0:1], 2, s[10:11]
	global_load_dword v0, v[0:1], off
	s_waitcnt vmcnt(0)
	v_sub_f32_e32 v0, s12, v0
	v_mul_f32_e32 v0, 0x3fb8aa3b, v0
	v_exp_f32_e32 v15, v0
.LBB376_66:
	s_or_b64 exec, exec, s[6:7]
	v_or_b32_e32 v4, s30, v40
	s_add_u32 s6, s8, s24
	v_accvgpr_read_b32 v0, a4
	s_addc_u32 s7, s9, s25
	v_ashrrev_i32_e32 v5, 31, v4
	v_accvgpr_read_b32 v1, a5
	v_accvgpr_read_b32 v2, a6
	;; [unrolled: 1-line block ×3, first 2 shown]
	v_lshl_add_u64 v[4:5], v[4:5], 1, s[6:7]
	v_mov_b32_e32 v9, 0
	v_lshlrev_b32_e32 v6, 8, v17
	v_mov_b32_e32 v7, 0
	s_and_saveexec_b64 s[6:7], vcc
	s_cbranch_execz .LBB376_68
; %bb.67:
	v_mov_b32_e32 v7, 0
	v_lshl_add_u64 v[20:21], v[4:5], 0, v[6:7]
	global_load_ushort v7, v[20:21], off
	s_waitcnt vmcnt(0)
	v_lshlrev_b32_e32 v7, 16, v7
	v_sub_f32_e32 v0, v7, v0
	v_mul_f32_e32 v0, v16, v0
	v_lshrrev_b32_e32 v7, 16, v0
.LBB376_68:
	s_or_b64 exec, exec, s[6:7]
	v_lshlrev_b32_e32 v8, 8, v8
	s_and_saveexec_b64 s[6:7], s[0:1]
	s_cbranch_execz .LBB376_70
; %bb.69:
	v_mov_b32_e32 v9, 0
	v_lshl_add_u64 v[20:21], v[4:5], 0, v[8:9]
	global_load_ushort v0, v[20:21], off
	s_waitcnt vmcnt(0)
	v_lshlrev_b32_e32 v0, 16, v0
	v_sub_f32_e32 v0, v0, v1
	v_mul_f32_e32 v0, v14, v0
	v_lshrrev_b32_e32 v9, 16, v0
.LBB376_70:
	s_or_b64 exec, exec, s[6:7]
	v_mov_b32_e32 v13, 0
	v_lshlrev_b32_e32 v10, 8, v10
	v_mov_b32_e32 v11, 0
	s_and_saveexec_b64 s[6:7], s[2:3]
	s_cbranch_execz .LBB376_72
; %bb.71:
	v_mov_b32_e32 v11, 0
	v_lshl_add_u64 v[0:1], v[4:5], 0, v[10:11]
	global_load_ushort v0, v[0:1], off
	s_waitcnt vmcnt(0)
	v_lshlrev_b32_e32 v0, 16, v0
	v_sub_f32_e32 v0, v0, v2
	v_mul_f32_e32 v0, v18, v0
	v_lshrrev_b32_e32 v11, 16, v0
.LBB376_72:
	s_or_b64 exec, exec, s[6:7]
	v_lshlrev_b32_e32 v12, 8, v12
	s_and_saveexec_b64 s[6:7], s[4:5]
	s_cbranch_execz .LBB376_74
; %bb.73:
	v_mov_b32_e32 v13, 0
	v_lshl_add_u64 v[0:1], v[4:5], 0, v[12:13]
	global_load_ushort v0, v[0:1], off
	s_waitcnt vmcnt(0)
	v_lshlrev_b32_e32 v0, 16, v0
	v_sub_f32_e32 v0, v0, v3
	v_mul_f32_e32 v0, v15, v0
	v_lshrrev_b32_e32 v13, 16, v0
.LBB376_74:
	s_or_b64 exec, exec, s[6:7]
	v_lshlrev_b32_e32 v17, 5, v17
	s_mov_b32 s6, 0x5040100
	v_perm_b32 v20, v9, v7, s6
	v_or_b32_e32 v7, v17, v22
	v_accvgpr_read_b32 v0, a0
	v_perm_b32 v21, v13, v11, s6
	v_lshlrev_b32_e32 v7, 1, v7
	v_accvgpr_read_b32 v1, a1
	v_accvgpr_read_b32 v2, a2
	;; [unrolled: 1-line block ×3, first 2 shown]
	ds_write_b64 v7, v[20:21] offset:45056
	v_mov_b32_e32 v9, 0
	v_mov_b32_e32 v7, 0
	s_and_saveexec_b64 s[6:7], vcc
	s_cbranch_execz .LBB376_76
; %bb.75:
	v_mov_b32_e32 v7, 0
	v_lshl_add_u64 v[6:7], v[4:5], 0, v[6:7]
	global_load_ushort v6, v[6:7], off offset:32
	s_waitcnt vmcnt(0)
	v_lshlrev_b32_e32 v6, 16, v6
	v_sub_f32_e32 v0, v6, v0
	v_mul_f32_e32 v0, v16, v0
	v_lshrrev_b32_e32 v7, 16, v0
.LBB376_76:
	s_or_b64 exec, exec, s[6:7]
	s_and_saveexec_b64 s[6:7], s[0:1]
	s_cbranch_execz .LBB376_78
; %bb.77:
	v_mov_b32_e32 v9, 0
	v_lshl_add_u64 v[8:9], v[4:5], 0, v[8:9]
	global_load_ushort v0, v[8:9], off offset:32
	s_waitcnt vmcnt(0)
	v_lshlrev_b32_e32 v0, 16, v0
	v_sub_f32_e32 v0, v0, v1
	v_mul_f32_e32 v0, v14, v0
	v_lshrrev_b32_e32 v9, 16, v0
.LBB376_78:
	s_or_b64 exec, exec, s[6:7]
	v_mov_b32_e32 v0, 0
	v_mov_b32_e32 v1, 0
	s_and_saveexec_b64 s[0:1], s[2:3]
	s_cbranch_execz .LBB376_80
; %bb.79:
	v_mov_b32_e32 v11, 0
	v_lshl_add_u64 v[10:11], v[4:5], 0, v[10:11]
	global_load_ushort v1, v[10:11], off offset:32
	s_waitcnt vmcnt(0)
	v_lshlrev_b32_e32 v1, 16, v1
	v_sub_f32_e32 v1, v1, v2
	v_mul_f32_e32 v1, v18, v1
	v_lshrrev_b32_e32 v1, 16, v1
.LBB376_80:
	s_or_b64 exec, exec, s[0:1]
	s_and_saveexec_b64 s[0:1], s[4:5]
	s_cbranch_execz .LBB376_82
; %bb.81:
	v_mov_b32_e32 v13, 0
	v_lshl_add_u64 v[4:5], v[4:5], 0, v[12:13]
	global_load_ushort v0, v[4:5], off offset:32
	s_waitcnt vmcnt(0)
	v_lshlrev_b32_e32 v0, 16, v0
	v_sub_f32_e32 v0, v0, v3
	v_mul_f32_e32 v0, v15, v0
	v_lshrrev_b32_e32 v0, 16, v0
.LBB376_82:
	s_or_b64 exec, exec, s[0:1]
	s_mov_b32 s0, 0x5040100
	v_or_b32_e32 v2, v17, v19
	v_perm_b32 v1, v0, v1, s0
	v_perm_b32 v0, v9, v7, s0
	v_lshlrev_b32_e32 v2, 1, v2
	ds_write_b64 v2, v[0:1] offset:45056
	s_waitcnt lgkmcnt(0)
	s_barrier
.LBB376_83:
	s_endpgm
	.section	.rodata,"a",@progbits
	.p2align	6, 0x0
	.amdhsa_kernel _ZN12_GLOBAL__N_139chunk_gated_delta_rule_fwd_h_hip_kernelILi32ELb0ELb0ELb0ELb1ELb0ELb0ELb0ELb1EEEvPK12hip_bfloat16S3_S3_PKfS5_PKvPS1_S8_PvPKiSB_iiiiilll
		.amdhsa_group_segment_fixed_size 49152
		.amdhsa_private_segment_fixed_size 0
		.amdhsa_kernarg_size 136
		.amdhsa_user_sgpr_count 2
		.amdhsa_user_sgpr_dispatch_ptr 0
		.amdhsa_user_sgpr_queue_ptr 0
		.amdhsa_user_sgpr_kernarg_segment_ptr 1
		.amdhsa_user_sgpr_dispatch_id 0
		.amdhsa_user_sgpr_kernarg_preload_length 0
		.amdhsa_user_sgpr_kernarg_preload_offset 0
		.amdhsa_user_sgpr_private_segment_size 0
		.amdhsa_uses_dynamic_stack 0
		.amdhsa_enable_private_segment 0
		.amdhsa_system_sgpr_workgroup_id_x 1
		.amdhsa_system_sgpr_workgroup_id_y 1
		.amdhsa_system_sgpr_workgroup_id_z 0
		.amdhsa_system_sgpr_workgroup_info 0
		.amdhsa_system_vgpr_workitem_id 0
		.amdhsa_next_free_vgpr 152
		.amdhsa_next_free_sgpr 59
		.amdhsa_accum_offset 132
		.amdhsa_reserve_vcc 1
		.amdhsa_float_round_mode_32 0
		.amdhsa_float_round_mode_16_64 0
		.amdhsa_float_denorm_mode_32 3
		.amdhsa_float_denorm_mode_16_64 3
		.amdhsa_dx10_clamp 1
		.amdhsa_ieee_mode 1
		.amdhsa_fp16_overflow 0
		.amdhsa_tg_split 0
		.amdhsa_exception_fp_ieee_invalid_op 0
		.amdhsa_exception_fp_denorm_src 0
		.amdhsa_exception_fp_ieee_div_zero 0
		.amdhsa_exception_fp_ieee_overflow 0
		.amdhsa_exception_fp_ieee_underflow 0
		.amdhsa_exception_fp_ieee_inexact 0
		.amdhsa_exception_int_div_zero 0
	.end_amdhsa_kernel
	.section	.text._ZN12_GLOBAL__N_139chunk_gated_delta_rule_fwd_h_hip_kernelILi32ELb0ELb0ELb0ELb1ELb0ELb0ELb0ELb1EEEvPK12hip_bfloat16S3_S3_PKfS5_PKvPS1_S8_PvPKiSB_iiiiilll,"axG",@progbits,_ZN12_GLOBAL__N_139chunk_gated_delta_rule_fwd_h_hip_kernelILi32ELb0ELb0ELb0ELb1ELb0ELb0ELb0ELb1EEEvPK12hip_bfloat16S3_S3_PKfS5_PKvPS1_S8_PvPKiSB_iiiiilll,comdat
.Lfunc_end376:
	.size	_ZN12_GLOBAL__N_139chunk_gated_delta_rule_fwd_h_hip_kernelILi32ELb0ELb0ELb0ELb1ELb0ELb0ELb0ELb1EEEvPK12hip_bfloat16S3_S3_PKfS5_PKvPS1_S8_PvPKiSB_iiiiilll, .Lfunc_end376-_ZN12_GLOBAL__N_139chunk_gated_delta_rule_fwd_h_hip_kernelILi32ELb0ELb0ELb0ELb1ELb0ELb0ELb0ELb1EEEvPK12hip_bfloat16S3_S3_PKfS5_PKvPS1_S8_PvPKiSB_iiiiilll
                                        ; -- End function
	.section	.AMDGPU.csdata,"",@progbits
; Kernel info:
; codeLenInByte = 8368
; NumSgprs: 65
; NumVgprs: 132
; NumAgprs: 20
; TotalNumVgprs: 152
; ScratchSize: 0
; MemoryBound: 0
; FloatMode: 240
; IeeeMode: 1
; LDSByteSize: 49152 bytes/workgroup (compile time only)
; SGPRBlocks: 8
; VGPRBlocks: 18
; NumSGPRsForWavesPerEU: 65
; NumVGPRsForWavesPerEU: 152
; AccumOffset: 132
; Occupancy: 1
; WaveLimiterHint : 1
; COMPUTE_PGM_RSRC2:SCRATCH_EN: 0
; COMPUTE_PGM_RSRC2:USER_SGPR: 2
; COMPUTE_PGM_RSRC2:TRAP_HANDLER: 0
; COMPUTE_PGM_RSRC2:TGID_X_EN: 1
; COMPUTE_PGM_RSRC2:TGID_Y_EN: 1
; COMPUTE_PGM_RSRC2:TGID_Z_EN: 0
; COMPUTE_PGM_RSRC2:TIDIG_COMP_CNT: 0
; COMPUTE_PGM_RSRC3_GFX90A:ACCUM_OFFSET: 32
; COMPUTE_PGM_RSRC3_GFX90A:TG_SPLIT: 0
	.section	.text._ZN12_GLOBAL__N_139chunk_gated_delta_rule_fwd_h_hip_kernelILi32ELb1ELb1ELb1ELb0ELb0ELb0ELb0ELb1EEEvPK12hip_bfloat16S3_S3_PKfS5_PKvPS1_S8_PvPKiSB_iiiiilll,"axG",@progbits,_ZN12_GLOBAL__N_139chunk_gated_delta_rule_fwd_h_hip_kernelILi32ELb1ELb1ELb1ELb0ELb0ELb0ELb0ELb1EEEvPK12hip_bfloat16S3_S3_PKfS5_PKvPS1_S8_PvPKiSB_iiiiilll,comdat
	.globl	_ZN12_GLOBAL__N_139chunk_gated_delta_rule_fwd_h_hip_kernelILi32ELb1ELb1ELb1ELb0ELb0ELb0ELb0ELb1EEEvPK12hip_bfloat16S3_S3_PKfS5_PKvPS1_S8_PvPKiSB_iiiiilll ; -- Begin function _ZN12_GLOBAL__N_139chunk_gated_delta_rule_fwd_h_hip_kernelILi32ELb1ELb1ELb1ELb0ELb0ELb0ELb0ELb1EEEvPK12hip_bfloat16S3_S3_PKfS5_PKvPS1_S8_PvPKiSB_iiiiilll
	.p2align	8
	.type	_ZN12_GLOBAL__N_139chunk_gated_delta_rule_fwd_h_hip_kernelILi32ELb1ELb1ELb1ELb0ELb0ELb0ELb0ELb1EEEvPK12hip_bfloat16S3_S3_PKfS5_PKvPS1_S8_PvPKiSB_iiiiilll,@function
_ZN12_GLOBAL__N_139chunk_gated_delta_rule_fwd_h_hip_kernelILi32ELb1ELb1ELb1ELb0ELb0ELb0ELb0ELb1EEEvPK12hip_bfloat16S3_S3_PKfS5_PKvPS1_S8_PvPKiSB_iiiiilll: ; @_ZN12_GLOBAL__N_139chunk_gated_delta_rule_fwd_h_hip_kernelILi32ELb1ELb1ELb1ELb0ELb0ELb0ELb0ELb1EEEvPK12hip_bfloat16S3_S3_PKfS5_PKvPS1_S8_PvPKiSB_iiiiilll
; %bb.0:
	s_load_dwordx4 s[20:23], s[0:1], 0x5c
	s_load_dwordx4 s[24:27], s[0:1], 0x70
	s_abs_i32 s6, s3
	s_ashr_i32 s5, s3, 31
	v_and_b32_e32 v68, 15, v0
	s_waitcnt lgkmcnt(0)
	s_abs_i32 s4, s21
	v_cvt_f32_u32_e32 v1, s4
	s_sub_i32 s8, 0, s4
	s_ashr_i32 s7, s21, 31
	s_xor_b32 s5, s5, s7
	v_rcp_iflag_f32_e32 v1, v1
	v_bfe_u32 v67, v0, 4, 2
	v_mov_b32_e32 v51, 0
	v_lshlrev_b32_e32 v69, 3, v0
	v_mul_f32_e32 v1, 0x4f7ffffe, v1
	v_cvt_u32_f32_e32 v1, v1
	s_nop 0
	v_readfirstlane_b32 s9, v1
	s_mul_i32 s8, s8, s9
	s_mul_hi_u32 s8, s9, s8
	s_add_i32 s9, s9, s8
	s_mul_hi_u32 s8, s6, s9
	s_mul_i32 s9, s8, s4
	s_sub_i32 s6, s6, s9
	s_add_i32 s10, s8, 1
	s_sub_i32 s9, s6, s4
	s_cmp_ge_u32 s6, s4
	s_cselect_b32 s8, s10, s8
	s_cselect_b32 s6, s9, s6
	s_add_i32 s9, s8, 1
	s_cmp_ge_u32 s6, s4
	s_cselect_b32 s6, s9, s8
	s_xor_b32 s6, s6, s5
	s_add_i32 s8, s20, 63
	s_sub_i32 s55, s6, s5
	s_ashr_i32 s9, s8, 31
	s_mul_i32 s12, s55, s21
	s_sub_i32 s53, s3, s12
	s_lshr_b32 s3, s9, 26
	s_add_i32 s8, s8, s3
	s_abs_i32 s3, s22
	v_cvt_f32_u32_e32 v1, s3
	s_ashr_i32 s54, s20, 31
	s_lshr_b32 s5, s54, 26
	s_add_i32 s5, s20, s5
	v_rcp_iflag_f32_e32 v1, v1
	s_ashr_i32 s58, s22, 31
	s_ashr_i32 s56, s5, 6
	s_xor_b32 s5, s7, s58
	v_mul_f32_e32 v1, 0x4f7ffffe, v1
	v_cvt_u32_f32_e32 v1, v1
	s_sub_i32 s6, 0, s3
	s_ashr_i32 s28, s8, 6
	s_lshl_b32 s2, s2, 5
	v_readfirstlane_b32 s7, v1
	s_mul_i32 s6, s6, s7
	s_mul_hi_u32 s6, s7, s6
	s_add_i32 s7, s7, s6
	s_mul_hi_u32 s6, s4, s7
	s_mul_i32 s7, s6, s3
	s_sub_i32 s4, s4, s7
	s_add_i32 s7, s6, 1
	s_sub_i32 s8, s4, s3
	s_cmp_ge_u32 s4, s3
	s_cselect_b32 s6, s7, s6
	s_cselect_b32 s4, s8, s4
	s_add_i32 s7, s6, 1
	s_cmp_ge_u32 s4, s3
	s_cselect_b32 s3, s7, s6
	s_xor_b32 s3, s3, s5
	s_sub_i32 s3, s3, s5
	s_abs_i32 s13, s3
	v_cvt_f32_u32_e32 v1, s13
	s_sub_i32 s15, 0, s13
	s_abs_i32 s14, s53
	s_xor_b32 s3, s53, s3
	v_rcp_iflag_f32_e32 v2, v1
	s_ashr_i32 s3, s3, 31
	s_load_dwordx8 s[4:11], s[0:1], 0x28
	v_or_b32_e32 v56, s2, v68
	v_mul_f32_e32 v2, 0x4f7ffffe, v2
	v_cvt_u32_f32_e32 v2, v2
	v_lshrrev_b32_e32 v1, 6, v0
	v_lshlrev_b32_e32 v52, 7, v56
	v_lshlrev_b32_e32 v66, 4, v1
	v_readfirstlane_b32 s16, v2
	s_mul_i32 s15, s15, s16
	s_mul_hi_u32 s15, s16, s15
	s_add_i32 s16, s16, s15
	s_mul_hi_u32 s15, s14, s16
	s_mul_i32 s16, s15, s13
	s_sub_i32 s14, s14, s16
	s_add_i32 s16, s15, 1
	s_sub_i32 s17, s14, s13
	s_cmp_ge_u32 s14, s13
	s_cselect_b32 s15, s16, s15
	s_cselect_b32 s14, s17, s14
	s_add_i32 s16, s15, 1
	s_cmp_ge_u32 s14, s13
	s_cselect_b32 s13, s16, s15
	s_xor_b32 s13, s13, s3
	s_sub_i32 s59, s13, s3
	s_ashr_i32 s3, s55, 31
	s_ashr_i32 s57, s53, 31
	s_mul_hi_i32 s13, s55, s21
	s_add_u32 s42, s12, s53
	s_addc_u32 s43, s13, s57
	s_lshl_b64 s[34:35], s[42:43], 15
	s_waitcnt lgkmcnt(0)
	s_add_u32 s4, s4, s34
	v_or_b32_e32 v54, 0x800, v52
	v_lshl_or_b32 v71, v67, 2, v66
	s_addc_u32 s5, s5, s35
	v_ashrrev_i32_e32 v53, 31, v52
	v_ashrrev_i32_e32 v55, 31, v54
	v_lshl_add_u64 v[2:3], v[52:53], 1, s[4:5]
	v_lshlrev_b32_e32 v50, 1, v71
	v_lshl_add_u64 v[6:7], v[54:55], 1, s[4:5]
	v_lshl_add_u64 v[2:3], v[2:3], 0, v[50:51]
	;; [unrolled: 1-line block ×3, first 2 shown]
	global_load_dwordx2 v[4:5], v[2:3], off
	v_and_b32_e32 v51, 63, v0
	global_load_dwordx2 v[2:3], v[2:3], off offset:128
	s_nop 0
	global_load_dwordx2 v[8:9], v[6:7], off
	global_load_dwordx2 v[10:11], v[6:7], off offset:128
	s_load_dwordx8 s[12:19], s[0:1], 0x0
	s_load_dwordx2 s[36:37], s[0:1], 0x80
	v_lshrrev_b32_e32 v70, 3, v51
	v_or_b32_e32 v72, 64, v71
	s_mul_i32 s33, s55, s25
	s_mul_hi_u32 s48, s55, s24
	s_mul_i32 s38, s55, s24
	s_mul_i32 s60, s55, s28
	;; [unrolled: 1-line block ×3, first 2 shown]
	s_mul_hi_u32 s50, s53, s26
	s_mul_i32 s52, s3, s24
	s_mul_i32 s51, s57, s26
	s_mul_hi_u32 s61, s42, s20
	s_mul_i32 s4, s42, s20
	s_mul_i32 s43, s43, s20
	s_cmp_lt_i32 s20, 64
	s_mul_i32 s40, s53, s26
	s_waitcnt vmcnt(3)
	v_and_b32_e32 v19, 0xffff0000, v4
	v_lshlrev_b32_e32 v18, 16, v4
	v_and_b32_e32 v21, 0xffff0000, v5
	v_lshlrev_b32_e32 v20, 16, v5
	s_waitcnt vmcnt(2)
	v_and_b32_e32 v23, 0xffff0000, v2
	v_lshlrev_b32_e32 v22, 16, v2
	v_and_b32_e32 v25, 0xffff0000, v3
	v_lshlrev_b32_e32 v24, 16, v3
	;; [unrolled: 5-line block ×4, first 2 shown]
	s_cbranch_scc1 .LBB377_3
; %bb.1:
	s_add_i32 s5, s61, s43
	s_lshl_b64 s[0:1], s[4:5], 8
	v_and_b32_e32 v74, 56, v69
	s_waitcnt lgkmcnt(0)
	s_add_u32 s24, s14, s0
	v_lshl_or_b32 v73, v1, 3, v70
	v_lshlrev_b32_e32 v2, 1, v74
	s_addc_u32 s0, s15, s1
	v_lshl_or_b32 v75, v73, 8, v2
	s_and_b32 s25, s0, 0xffff
	s_mov_b32 s27, 0x20000
	s_movk_i32 s26, 0x4000
	s_movk_i32 s0, 0x80
	v_or_b32_e32 v76, 0x2000, v75
	buffer_load_dwordx4 v[4:7], v75, s[24:27], 0 offen
	buffer_load_dwordx4 v[8:11], v75, s[24:27], s0 offen
	;; [unrolled: 1-line block ×4, first 2 shown]
	v_lshlrev_b32_e32 v3, 3, v73
	v_and_or_b32 v17, v0, 7, v3
	v_and_b32_e32 v3, 0x78, v3
	v_lshlrev_b32_e32 v17, 4, v17
	v_xor_b32_e32 v77, v17, v3
	v_mul_lo_u32 v16, v73, s23
	v_or_b32_e32 v78, 0x1000, v77
	v_xor_b32_e32 v3, 8, v77
	s_cmpk_eq_i32 s23, 0x80
	s_mov_b32 s62, s22
	v_xor_b32_e32 v17, 8, v78
	s_cselect_b64 s[0:1], -1, 0
	s_cmpk_lg_i32 s23, 0x80
	s_waitcnt vmcnt(3)
	ds_write_b64 v77, v[4:5] offset:24576
	ds_write_b64 v3, v[6:7] offset:24576
	s_waitcnt vmcnt(2)
	ds_write_b64 v77, v[8:9] offset:32768
	ds_write_b64 v3, v[10:11] offset:32768
	;; [unrolled: 3-line block ×4, first 2 shown]
	v_lshl_add_u32 v3, v16, 1, v74
	s_cbranch_scc0 .LBB377_29
; %bb.2:
	v_lshlrev_b32_e32 v5, 1, v3
	v_add_lshl_u32 v4, v3, s23, 1
	s_lshl_b32 s26, s23, 7
	v_lshl_or_b32 v2, v73, 9, v2
	s_cbranch_execz .LBB377_30
	s_branch .LBB377_31
.LBB377_3:
	v_mov_b64_e32 v[2:3], v[18:19]
	v_mov_b64_e32 v[4:5], v[20:21]
	;; [unrolled: 1-line block ×8, first 2 shown]
.LBB377_4:
	s_lshl_b32 s30, s56, 6
	s_sub_i32 s31, s20, s30
	s_cmp_gt_i32 s31, 0
	s_cbranch_scc0 .LBB377_83
; %bb.5:
	s_ashr_i32 s3, s30, 31
	s_cmpk_lg_i32 s23, 0x80
	s_cselect_b64 s[26:27], -1, 0
	s_and_b64 vcc, exec, s[26:27]
	s_cbranch_vccz .LBB377_7
; %bb.6:
	s_mul_i32 s1, s55, s20
	s_mul_hi_i32 s0, s55, s20
	s_add_u32 s1, s1, s30
	s_addc_u32 s0, s0, s3
	s_mul_i32 s5, s1, s58
	s_mul_hi_u32 s24, s1, s22
	s_add_i32 s5, s24, s5
	s_mul_i32 s0, s0, s22
	s_add_i32 s5, s5, s0
	s_mul_i32 s1, s1, s22
	s_ashr_i32 s0, s59, 31
	s_add_u32 s28, s1, s59
	s_addc_u32 s29, s5, s0
	s_cbranch_execz .LBB377_8
	s_branch .LBB377_9
.LBB377_7:
                                        ; implicit-def: $sgpr28_sgpr29
.LBB377_8:
	s_mul_hi_i32 s0, s55, s22
	s_mul_i32 s55, s55, s22
	s_ashr_i32 s1, s59, 31
	s_add_u32 s5, s55, s59
	s_addc_u32 s0, s0, s1
	s_mul_i32 s1, s5, s54
	s_mul_hi_u32 s22, s5, s20
	s_add_i32 s1, s22, s1
	s_mul_i32 s0, s0, s20
	s_add_i32 s1, s1, s0
	s_mul_i32 s5, s5, s20
	s_add_u32 s28, s5, s30
	s_addc_u32 s29, s1, s3
.LBB377_9:
	s_mul_i32 s0, s42, s54
	s_add_i32 s0, s61, s0
	s_add_i32 s5, s60, s56
	;; [unrolled: 1-line block ×3, first 2 shown]
	s_add_u32 s0, s4, s30
	v_lshlrev_b32_e32 v22, 5, v71
	v_lshlrev_b32_e32 v38, 2, v68
	s_addc_u32 s1, s1, s3
	s_mov_b32 s3, 0x7060302
	v_or_b32_e32 v25, v22, v38
	v_xor_b32_e32 v23, v71, v38
	v_perm_b32 v19, v5, v4, s3
	v_perm_b32 v18, v3, v2, s3
	;; [unrolled: 1-line block ×4, first 2 shown]
	v_lshlrev_b32_e32 v25, 1, v25
	v_xor_b32_e32 v24, v72, v38
	ds_write2st64_b64 v25, v[18:19], v[20:21] offset0:80 offset1:88
	v_lshlrev_b32_e32 v23, 1, v23
	v_lshlrev_b32_e32 v25, 8, v68
	s_lshl_b64 s[24:25], s[0:1], 8
	v_or_b32_e32 v26, v23, v25
	v_lshlrev_b32_e32 v24, 1, v24
	s_waitcnt lgkmcnt(0)
	s_add_u32 s0, s14, s24
	ds_write_b64 v26, v[18:19]
	v_or_b32_e32 v18, v24, v25
	s_addc_u32 s1, s15, s25
	ds_write_b64 v18, v[20:21]
	v_perm_b32 v19, v13, v12, s3
	v_perm_b32 v18, v11, v10, s3
	;; [unrolled: 1-line block ×4, first 2 shown]
	v_or_b32_e32 v25, 16, v68
	s_mul_hi_i32 s3, s5, s21
	s_mul_i32 s5, s5, s21
	v_lshlrev_b32_e32 v35, 2, v25
	s_add_u32 s4, s5, s53
	v_or_b32_e32 v22, v22, v35
	s_addc_u32 s5, s3, s57
	v_lshlrev_b32_e32 v22, 1, v22
	s_ashr_i32 s3, s2, 31
	s_lshl_b64 s[4:5], s[4:5], 15
	ds_write2st64_b64 v22, v[18:19], v[20:21] offset0:80 offset1:88
	v_lshlrev_b32_e32 v22, 8, v25
	s_add_u32 s4, s6, s4
	v_or_b32_e32 v23, v23, v22
	s_addc_u32 s5, s7, s5
	s_lshl_b64 s[2:3], s[2:3], 8
	ds_write_b64 v23, v[18:19]
	v_or_b32_e32 v18, v24, v22
	s_add_u32 s2, s4, s2
	ds_write_b64 v18, v[20:21]
	v_lshrrev_b32_e32 v18, 4, v0
	s_addc_u32 s3, s5, s3
	v_lshlrev_b32_e32 v19, 1, v68
	v_lshlrev_b32_e32 v26, 4, v68
	v_mov_b32_e32 v27, 0
	v_or_b32_e32 v20, 1, v19
	v_xor_b32_e32 v19, v18, v19
	v_lshl_add_u64 v[28:29], s[2:3], 0, v[26:27]
	v_lshlrev_b32_e32 v26, 8, v18
	v_xor_b32_e32 v22, v20, v18
	v_lshl_or_b32 v18, v19, 3, v26
	s_waitcnt lgkmcnt(0)
	s_barrier
	ds_read2st64_b64 v[18:21], v18 offset1:8
	v_lshl_or_b32 v22, v22, 3, v26
	ds_read2st64_b64 v[22:25], v22 offset1:8
	v_lshl_add_u64 v[30:31], v[28:29], 0, v[26:27]
	s_movk_i32 s2, 0x1000
	s_waitcnt lgkmcnt(1)
	v_mov_b32_e32 v26, v18
	v_add_co_u32_e32 v18, vcc, s2, v30
	s_cmp_lg_u32 s31, 64
	v_mov_b32_e32 v27, v19
	v_addc_co_u32_e32 v19, vcc, 0, v31, vcc
	s_cselect_b64 s[14:15], -1, 0
	v_lshl_or_b32 v42, v1, 3, v70
	s_waitcnt lgkmcnt(0)
	v_mov_b32_e32 v28, v22
	v_mov_b32_e32 v29, v23
	;; [unrolled: 1-line block ×4, first 2 shown]
	s_mov_b32 s4, 0
	v_or_b32_e32 v36, 32, v42
	v_and_b32_e32 v34, 56, v69
	s_and_b64 vcc, exec, s[14:15]
	global_store_dwordx4 v[30:31], v[26:29], off
	global_store_dwordx4 v[18:19], v[22:25], off
	s_cbranch_vccz .LBB377_15
; %bb.10:
	s_mov_b32 s6, s4
	s_mov_b32 s7, s4
	;; [unrolled: 1-line block ×3, first 2 shown]
	v_mov_b64_e32 v[24:25], s[6:7]
	v_mov_b64_e32 v[22:23], s[4:5]
	;; [unrolled: 1-line block ×3, first 2 shown]
	v_cmp_gt_i32_e32 vcc, s31, v42
	v_mov_b64_e32 v[20:21], v[24:25]
	s_and_saveexec_b64 s[2:3], vcc
	s_cbranch_execz .LBB377_12
; %bb.11:
	v_lshlrev_b32_e32 v18, 8, v42
	v_mov_b32_e32 v19, 0
	v_lshl_add_u64 v[20:21], s[0:1], 0, v[18:19]
	v_lshlrev_b32_e32 v18, 1, v34
	v_lshl_add_u64 v[26:27], v[20:21], 0, v[18:19]
	global_load_dwordx4 v[22:25], v[26:27], off
	global_load_dwordx4 v[18:21], v[26:27], off offset:128
.LBB377_12:
	s_or_b64 exec, exec, s[2:3]
	s_mov_b32 s6, s4
	s_mov_b32 s7, s4
	;; [unrolled: 1-line block ×3, first 2 shown]
	v_mov_b64_e32 v[32:33], s[6:7]
	v_mov_b64_e32 v[30:31], s[4:5]
	;; [unrolled: 1-line block ×3, first 2 shown]
	v_cmp_gt_i32_e32 vcc, s31, v36
	v_lshlrev_b32_e32 v37, 7, v36
	v_mov_b64_e32 v[28:29], v[32:33]
	s_and_saveexec_b64 s[2:3], vcc
	s_cbranch_execz .LBB377_14
; %bb.13:
	v_lshlrev_b32_e32 v26, 1, v37
	v_mov_b32_e32 v27, 0
	v_lshl_add_u64 v[28:29], s[0:1], 0, v[26:27]
	v_lshlrev_b32_e32 v26, 1, v34
	v_lshl_add_u64 v[40:41], v[28:29], 0, v[26:27]
	global_load_dwordx4 v[30:33], v[40:41], off
	global_load_dwordx4 v[26:29], v[40:41], off offset:128
.LBB377_14:
	s_or_b64 exec, exec, s[2:3]
	v_lshrrev_b32_e32 v39, 3, v34
	v_lshlrev_b32_e32 v40, 3, v42
	v_or_b32_e32 v39, v40, v39
	v_lshlrev_b32_e32 v39, 4, v39
	v_and_b32_e32 v40, 0x78, v40
	v_xor_b32_e32 v39, v39, v40
	s_branch .LBB377_17
.LBB377_15:
                                        ; implicit-def: $vgpr39
                                        ; implicit-def: $vgpr37
                                        ; implicit-def: $vgpr22_vgpr23_vgpr24_vgpr25
                                        ; implicit-def: $vgpr18_vgpr19_vgpr20_vgpr21
                                        ; implicit-def: $vgpr30_vgpr31_vgpr32_vgpr33
                                        ; implicit-def: $vgpr26_vgpr27_vgpr28_vgpr29
	s_cbranch_execz .LBB377_17
; %bb.16:
	s_waitcnt vmcnt(0)
	v_lshlrev_b32_e32 v18, 1, v34
	v_lshl_or_b32 v37, v42, 8, v18
	s_and_b32 s1, s1, 0xffff
	s_mov_b32 s3, 0x20000
	s_movk_i32 s2, 0x4000
	v_lshl_or_b32 v39, v36, 8, v18
	s_movk_i32 s4, 0x80
	buffer_load_dwordx4 v[22:25], v37, s[0:3], 0 offen
	buffer_load_dwordx4 v[18:21], v37, s[0:3], s4 offen
	buffer_load_dwordx4 v[30:33], v39, s[0:3], 0 offen
	buffer_load_dwordx4 v[26:29], v39, s[0:3], s4 offen
	v_lshrrev_b32_e32 v37, 3, v34
	v_lshlrev_b32_e32 v39, 3, v42
	v_or_b32_e32 v37, v39, v37
	v_lshlrev_b32_e32 v37, 4, v37
	v_and_b32_e32 v39, 0x78, v39
	v_xor_b32_e32 v39, v37, v39
	v_lshlrev_b32_e32 v37, 7, v36
.LBB377_17:
	s_lshl_b64 s[0:1], s[28:29], 8
	s_add_u32 s4, s12, s0
	s_movk_i32 s0, 0x1000
	v_and_or_b32 v36, v37, s0, v39
	s_waitcnt vmcnt(1)
	ds_write_b64 v39, v[22:23] offset:24576
	v_xor_b32_e32 v22, 8, v39
	ds_write_b64 v22, v[24:25] offset:24576
	s_waitcnt vmcnt(0)
	ds_write_b64 v39, v[18:19] offset:32768
	ds_write_b64 v22, v[20:21] offset:32768
	;; [unrolled: 1-line block ×3, first 2 shown]
	v_xor_b32_e32 v18, 8, v36
	ds_write_b64 v18, v[32:33] offset:24576
	ds_write_b64 v36, v[26:27] offset:32768
	;; [unrolled: 1-line block ×3, first 2 shown]
	v_or_b32_e32 v18, v66, v68
	v_lshlrev_b32_e32 v18, 3, v18
	v_lshrrev_b32_e32 v19, 5, v51
	s_movk_i32 s3, 0xf8
	v_and_or_b32 v19, v18, s3, v19
	v_lshlrev_b32_e32 v23, 4, v19
	v_lshlrev_b32_e32 v39, 11, v1
	v_and_b32_e32 v24, 0x78, v18
	v_or_b32_e32 v26, 32, v23
	v_and_b32_e32 v22, 0x1000, v39
	v_lshrrev_b32_e32 v19, 1, v51
	v_xor_b32_e32 v26, v26, v24
	v_xor_b32_e32 v18, v23, v24
	v_and_b32_e32 v25, 8, v19
	v_or_b32_e32 v26, v26, v22
	v_or_b32_e32 v18, v18, v22
	v_xor_b32_e32 v44, v26, v25
	v_or_b32_e32 v26, 64, v23
	v_xor_b32_e32 v43, v18, v25
	v_xor_b32_e32 v26, v26, v24
	s_waitcnt lgkmcnt(0)
	s_barrier
	v_or_b32_e32 v28, v26, v22
	ds_read_b64 v[26:27], v43 offset:24576
	v_lshl_or_b32 v36, v67, 7, v38
	v_lshlrev_b32_e32 v40, 1, v36
	v_add_u32_e32 v18, 0xa000, v40
	ds_read2_b64 v[18:21], v18 offset1:16
	v_or_b32_e32 v23, 0x60, v23
	v_xor_b32_e32 v23, v23, v24
	s_waitcnt lgkmcnt(0)
	v_mfma_f32_16x16x16_bf16 a[0:3], v[26:27], v[18:19], 0
	v_or_b32_e32 v18, 64, v36
	v_or_b32_e32 v22, v23, v22
	v_lshlrev_b32_e32 v41, 1, v18
	v_xor_b32_e32 v45, v28, v25
	v_xor_b32_e32 v46, v22, v25
	ds_read_b64 v[28:29], v44 offset:24576
	ds_read_b64 v[30:31], v45 offset:24576
	ds_read_b64 v[32:33], v46 offset:24576
	v_mfma_f32_16x16x16_bf16 a[4:7], v[26:27], v[20:21], 0
	ds_read2st64_b64 v[18:21], v41 offset0:82 offset1:84
	ds_read2st64_b64 v[22:25], v40 offset0:82 offset1:84
	s_addc_u32 s5, s13, s1
	s_add_i32 s1, s48, s33
	s_add_i32 s0, s20, -1
	s_add_i32 s39, s1, s52
	s_add_i32 s1, s50, s49
	;; [unrolled: 1-line block ×3, first 2 shown]
	s_ashr_i32 s1, s0, 31
	s_mul_i32 s2, s0, s37
	s_mul_hi_u32 s3, s0, s36
	s_add_i32 s2, s3, s2
	s_mul_i32 s1, s1, s36
	s_waitcnt lgkmcnt(1)
	v_mfma_f32_16x16x16_bf16 a[4:7], v[28:29], v[18:19], a[4:7]
	s_add_i32 s1, s2, s1
	s_lshl_b64 s[2:3], s[38:39], 2
	s_add_u32 s6, s18, s2
	s_waitcnt lgkmcnt(0)
	v_mfma_f32_16x16x16_bf16 a[0:3], v[28:29], v[22:23], a[0:3]
	s_addc_u32 s7, s19, s3
	s_lshl_b64 s[2:3], s[40:41], 2
	s_mul_i32 s0, s0, s36
	s_add_u32 s12, s6, s2
	ds_read_b64 v[18:19], v40 offset:44032
	v_mfma_f32_16x16x16_bf16 a[4:7], v[30:31], v[20:21], a[4:7]
	ds_read_b64 v[20:21], v41 offset:44032
	s_addc_u32 s13, s7, s3
	s_lshl_b64 s[0:1], s[0:1], 2
	v_mfma_f32_16x16x16_bf16 a[0:3], v[30:31], v[24:25], a[0:3]
	s_add_u32 s0, s12, s0
	s_addc_u32 s1, s13, s1
	s_load_dword s18, s[0:1], 0x0
	s_waitcnt lgkmcnt(0)
	v_mfma_f32_16x16x16_bf16 a[0:3], v[32:33], v[18:19], a[0:3]
	s_and_b64 vcc, exec, s[26:27]
	v_mfma_f32_16x16x16_bf16 a[4:7], v[32:33], v[20:21], a[4:7]
	s_cbranch_vccz .LBB377_28
; %bb.18:
	v_lshlrev_b32_e32 v36, 1, v42
	s_and_b64 vcc, exec, s[14:15]
	s_cbranch_vccz .LBB377_43
; %bb.19:
	v_cmp_gt_i32_e32 vcc, s31, v36
	v_mov_b32_e32 v22, 0
	v_mov_b32_e32 v18, 0
	;; [unrolled: 1-line block ×5, first 2 shown]
	s_and_saveexec_b64 s[0:1], vcc
	s_cbranch_execz .LBB377_21
; %bb.20:
	v_mad_i64_i32 v[18:19], s[2:3], s23, v36, 0
	v_lshl_add_u64 v[18:19], v[18:19], 1, s[4:5]
	v_lshlrev_b32_e32 v20, 1, v34
	v_mov_b32_e32 v21, 0
	v_lshl_add_u64 v[18:19], v[18:19], 0, v[20:21]
	global_load_dwordx4 v[18:21], v[18:19], off
.LBB377_21:
	s_or_b64 exec, exec, s[0:1]
	v_or_b32_e32 v37, 1, v36
	v_cmp_gt_i32_e64 s[0:1], s31, v37
	v_mov_b32_e32 v23, 0
	v_mov_b32_e32 v24, 0
	;; [unrolled: 1-line block ×3, first 2 shown]
	s_and_saveexec_b64 s[2:3], s[0:1]
	s_cbranch_execz .LBB377_23
; %bb.22:
	v_mad_i64_i32 v[22:23], s[6:7], s23, v37, 0
	v_lshl_add_u64 v[22:23], v[22:23], 1, s[4:5]
	v_lshlrev_b32_e32 v24, 1, v34
	v_mov_b32_e32 v25, 0
	v_lshl_add_u64 v[22:23], v[22:23], 0, v[24:25]
	global_load_dwordx4 v[22:25], v[22:23], off
.LBB377_23:
	s_or_b64 exec, exec, s[2:3]
	v_mov_b32_e32 v33, 0
	v_mov_b32_e32 v26, 0
	;; [unrolled: 1-line block ×5, first 2 shown]
	s_and_saveexec_b64 s[2:3], vcc
	s_cbranch_execz .LBB377_25
; %bb.24:
	v_mad_i64_i32 v[26:27], s[6:7], s23, v36, 0
	v_lshl_add_u64 v[26:27], v[26:27], 1, s[4:5]
	v_lshlrev_b32_e32 v28, 1, v34
	v_mov_b32_e32 v29, 0
	v_lshl_add_u64 v[26:27], v[26:27], 0, v[28:29]
	global_load_dwordx4 v[26:29], v[26:27], off offset:128
.LBB377_25:
	s_or_b64 exec, exec, s[2:3]
	v_mov_b32_e32 v32, 0
	v_mov_b32_e32 v31, 0
	;; [unrolled: 1-line block ×3, first 2 shown]
	s_and_saveexec_b64 s[2:3], s[0:1]
	s_cbranch_execz .LBB377_27
; %bb.26:
	v_mad_i64_i32 v[30:31], s[0:1], s23, v37, 0
	v_lshl_add_u64 v[30:31], v[30:31], 1, s[4:5]
	v_lshlrev_b32_e32 v32, 1, v34
	v_mov_b32_e32 v33, 0
	v_lshl_add_u64 v[30:31], v[30:31], 0, v[32:33]
	global_load_dwordx4 v[30:33], v[30:31], off offset:128
.LBB377_27:
	s_or_b64 exec, exec, s[2:3]
	s_branch .LBB377_45
.LBB377_28:
                                        ; implicit-def: $vgpr21
                                        ; implicit-def: $vgpr25
                                        ; implicit-def: $vgpr29
                                        ; implicit-def: $vgpr33
	v_lshrrev_b32_e32 v47, 2, v51
	s_branch .LBB377_46
.LBB377_29:
                                        ; implicit-def: $vgpr4
                                        ; implicit-def: $vgpr5
                                        ; implicit-def: $sgpr26
	v_lshl_or_b32 v2, v73, 9, v2
.LBB377_30:
	v_or_b32_e32 v4, 0x100, v2
	s_movk_i32 s26, 0x4000
	v_mov_b32_e32 v5, v2
.LBB377_31:
	s_mul_hi_u32 s24, s22, s20
	s_mul_i32 s25, s58, s20
	s_add_i32 s24, s24, s25
	s_mul_i32 s25, s22, s20
	s_mul_i32 s27, s25, s3
	s_mul_hi_u32 s28, s25, s55
	s_add_i32 s27, s28, s27
	s_mul_i32 s24, s24, s55
	s_add_i32 s27, s27, s24
	s_mul_i32 s25, s25, s55
	s_ashr_i32 s63, s59, 31
	s_add_u32 s24, s25, s59
	s_addc_u32 s25, s27, s63
	s_lshl_b64 s[24:25], s[24:25], 8
	s_add_u32 s24, s12, s24
	s_addc_u32 s25, s13, s25
	s_and_b32 s25, s25, 0xffff
	s_mov_b32 s27, 0x20000
	s_movk_i32 s64, 0x80
	buffer_load_dwordx4 v[6:9], v5, s[24:27], 0 offen
	buffer_load_dwordx4 v[10:13], v5, s[24:27], s64 offen
	;; [unrolled: 1-line block ×4, first 2 shown]
	v_and_b32_e32 v4, 6, v0
	v_lshlrev_b32_e32 v39, 6, v71
	v_or_b32_e32 v41, 16, v68
	v_xor_b32_e32 v42, v73, v4
	v_and_b32_e32 v5, 1, v0
	v_lshl_or_b32 v45, v68, 3, v39
	v_lshl_or_b32 v39, v41, 3, v39
	v_lshlrev_b32_e32 v42, 2, v42
	s_mul_i32 s3, s3, s20
	s_mul_hi_u32 s24, s55, s20
	v_lshlrev_b32_e32 v38, 2, v68
	v_or_b32_e32 v81, 0xa000, v39
	v_or_b32_e32 v82, 0xb000, v39
	v_xor_b32_e32 v39, 0x440, v42
	v_cmp_eq_u32_e32 vcc, 0, v5
	v_xor_b32_e32 v43, v71, v38
	v_xor_b32_e32 v44, v72, v38
	v_cndmask_b32_e32 v5, v39, v42, vcc
	s_add_i32 s69, s24, s3
	s_add_i32 s3, s48, s33
	s_mov_b32 s66, 0x1000504
	v_lshlrev_b32_e32 v40, 8, v68
	v_lshlrev_b32_e32 v43, 1, v43
	;; [unrolled: 1-line block ×3, first 2 shown]
	v_lshl_or_b32 v4, v4, 10, v5
	s_add_i32 s39, s3, s52
	s_add_i32 s3, s50, s49
	s_mov_b32 s67, 0x3020706
	v_or_b32_e32 v79, 0xa000, v45
	v_or_b32_e32 v80, 0xb000, v45
	;; [unrolled: 1-line block ×4, first 2 shown]
	v_xor_b32_e32 v5, 8, v4
	v_xor_b32_e32 v40, 24, v4
	v_xor_b32_e32 v45, 40, v4
	v_xor_b32_e32 v47, 56, v4
	s_add_i32 s41, s3, s51
	s_lshl_b64 s[24:25], s[38:39], 2
	v_xor_b32_e32 v39, 16, v4
	v_xor_b32_e32 v42, 32, v4
	;; [unrolled: 1-line block ×3, first 2 shown]
	v_add_u32_e32 v5, 0x80, v5
	v_add_u32_e32 v40, 0x80, v40
	;; [unrolled: 1-line block ×4, first 2 shown]
	s_add_u32 s3, s18, s24
	s_addc_u32 s26, s19, s25
	s_lshl_b64 s[24:25], s[40:41], 2
	s_add_u32 s44, s3, s24
	s_movk_i32 s3, 0xf8
	s_addc_u32 s45, s26, s25
	s_lshl_b32 s30, s23, 7
	s_movk_i32 s28, 0x100
	v_mov_b32_e32 v59, 0
	v_lshlrev_b32_e32 v58, 4, v68
	v_cmp_gt_u32_e32 vcc, s28, v0
	v_ashrrev_i32_e32 v57, 31, v56
	s_mov_b32 s65, 0
	s_mul_i32 s68, s55, s20
	s_movk_i32 s39, 0x1000
	s_movk_i32 s26, 0x4000
	v_mov_b32_e32 v107, 0x3fb8aa3b
	s_mov_b32 s70, 0
	s_waitcnt vmcnt(1)
	v_perm_b32 v48, v6, v14, s66
	s_waitcnt vmcnt(0)
	v_perm_b32 v49, v10, v34, s66
	v_perm_b32 v6, v6, v14, s67
	;; [unrolled: 1-line block ×15, first 2 shown]
	ds_write2st64_b32 v4, v48, v49 offset0:32 offset1:64
	ds_write2st64_b32 v5, v6, v10 offset0:32 offset1:64
	;; [unrolled: 1-line block ×8, first 2 shown]
	v_lshlrev_b32_e32 v4, 8, v41
	v_or_b32_e32 v85, v4, v43
	v_or_b32_e32 v86, v4, v44
	;; [unrolled: 1-line block ×3, first 2 shown]
	v_lshlrev_b32_e32 v4, 3, v4
	v_lshrrev_b32_e32 v7, 5, v51
	v_and_or_b32 v7, v4, s3, v7
	v_lshlrev_b32_e32 v7, 4, v7
	v_lshlrev_b32_e32 v5, 11, v1
	v_and_b32_e32 v4, 0x78, v4
	v_or_b32_e32 v12, 32, v7
	v_and_b32_e32 v6, 0x1000, v5
	v_lshrrev_b32_e32 v9, 1, v0
	v_xor_b32_e32 v12, v12, v4
	v_and_b32_e32 v10, 8, v9
	v_or_b32_e32 v12, v12, v6
	v_xor_b32_e32 v8, v7, v4
	v_xor_b32_e32 v89, v12, v10
	v_or_b32_e32 v12, 64, v7
	v_or_b32_e32 v7, 0x60, v7
	s_ashr_i32 s3, s2, 31
	v_xor_b32_e32 v12, v12, v4
	v_xor_b32_e32 v4, v7, v4
	s_lshl_b64 s[24:25], s[2:3], 8
	v_or_b32_e32 v8, v8, v6
	v_or_b32_e32 v12, v12, v6
	;; [unrolled: 1-line block ×3, first 2 shown]
	s_add_u32 s24, s6, s24
	v_lshlrev_b32_e32 v6, 1, v68
	v_xor_b32_e32 v91, v12, v10
	v_lshrrev_b32_e32 v12, 4, v0
	s_addc_u32 s25, s7, s25
	v_or_b32_e32 v7, 1, v6
	v_mov_b32_e32 v16, 0x4000
	v_mov_b32_e32 v17, 0x2000
	v_xor_b32_e32 v13, v12, v6
	v_xor_b32_e32 v14, v7, v12
	v_lshl_add_u64 v[6:7], s[24:25], 0, v[58:59]
	v_lshlrev_b32_e32 v58, 8, v12
	v_cndmask_b32_e32 v16, v16, v17, vcc
	v_lshlrev_b32_e32 v17, 3, v1
	v_and_b32_e32 v9, 24, v9
	v_lshl_or_b32 v95, v13, 3, v58
	v_and_b32_e32 v13, 8, v0
	v_xor_b32_e32 v34, v17, v9
	v_or_b32_e32 v35, 0x440, v34
	v_cmp_eq_u32_e32 vcc, 0, v13
	v_and_b32_e32 v12, 7, v0
	v_xor_b32_e32 v87, v8, v10
	v_cndmask_b32_e32 v13, v35, v34, vcc
	v_lshlrev_b32_e32 v8, 7, v67
	v_lshl_or_b32 v96, v14, 3, v58
	v_lshlrev_b32_e32 v14, 3, v12
	v_lshlrev_b32_e32 v12, 7, v12
	v_lshlrev_b32_e32 v15, 2, v0
	v_or_b32_e32 v13, v13, v5
	v_or_b32_e32 v11, v8, v38
	v_xad_u32 v97, v13, v14, v12
	v_and_or_b32 v8, v15, 60, v8
	v_mov_b32_e32 v13, 0xb000
	v_lshl_or_b32 v98, v8, 1, v13
	v_or_b32_e32 v8, 32, v9
	v_xor_b32_e32 v8, v17, v8
	v_or_b32_e32 v13, 0x440, v8
	v_cndmask_b32_e32 v8, v13, v8, vcc
	v_or_b32_e32 v8, v8, v5
	v_xad_u32 v99, v8, v14, v12
	v_or_b32_e32 v8, 64, v9
	v_xor_b32_e32 v8, v17, v8
	v_xor_b32_e32 v13, 0x440, v8
	v_cndmask_b32_e32 v8, v13, v8, vcc
	v_or_b32_e32 v8, v8, v5
	v_xad_u32 v100, v8, v14, v12
	v_or_b32_e32 v8, 0x60, v9
	v_xor_b32_e32 v8, v17, v8
	v_xor_b32_e32 v9, 0x440, v8
	v_lshlrev_b32_e32 v11, 1, v11
	v_cndmask_b32_e32 v8, v9, v8, vcc
	v_or_b32_e32 v88, 0xa000, v11
	v_or_b32_e32 v90, 0xa080, v11
	v_xor_b32_e32 v92, v4, v10
	v_or_b32_e32 v93, 0xb000, v11
	v_or_b32_e32 v94, 0xb080, v11
	v_lshlrev_b32_e32 v10, 1, v3
	v_add_lshl_u32 v3, v3, s23, 1
	v_or_b32_e32 v11, 0x100, v2
	v_or_b32_e32 v5, v8, v5
	v_lshlrev_b32_e32 v4, 7, v71
	v_xad_u32 v101, v5, v14, v12
	v_cndmask_b32_e64 v102, v10, v2, s[0:1]
	v_cndmask_b32_e64 v103, v3, v11, s[0:1]
	v_lshlrev_b64 v[2:3], 1, v[56:57]
	v_lshl_add_u64 v[60:61], s[16:17], 0, v[2:3]
	v_lshl_add_u64 v[62:63], s[8:9], 0, v[2:3]
	;; [unrolled: 1-line block ×3, first 2 shown]
	s_mov_b32 s3, 0x7060302
	v_lshlrev_b32_e32 v58, 1, v4
	v_add_u32_e32 v57, v16, v97
	v_add_u32_e32 v104, v16, v99
	;; [unrolled: 1-line block ×4, first 2 shown]
	s_waitcnt lgkmcnt(0)
	s_barrier
	s_branch .LBB377_33
.LBB377_32:                             ;   in Loop: Header=BB377_33 Depth=1
	v_mul_f32_e32 v6, s24, v107
	s_waitcnt vmcnt(2)
	v_exp_f32_e32 v34, v6
	s_nop 1
	v_accvgpr_read_b32 v17, a15
	v_accvgpr_read_b32 v2, a4
	;; [unrolled: 1-line block ×16, first 2 shown]
	v_fma_f32 v16, v32, v34, v16
	v_fmac_f32_e32 v17, v33, v34
	v_fma_f32 v2, v18, v34, v2
	v_fma_f32 v3, v19, v34, v3
	v_fma_f32 v4, v20, v34, v4
	v_fmac_f32_e32 v5, v21, v34
	v_fma_f32 v10, v26, v34, v10
	v_fma_f32 v11, v27, v34, v11
	;; [unrolled: 4-line block ×4, first 2 shown]
	s_add_i32 s65, s65, 64
	v_mov_b64_e32 v[32:33], v[16:17]
	s_cmp_eq_u32 s56, s41
	s_mov_b32 s70, s41
	v_mov_b64_e32 v[30:31], v[14:15]
	v_mov_b64_e32 v[28:29], v[12:13]
	;; [unrolled: 1-line block ×7, first 2 shown]
	s_cbranch_scc1 .LBB377_4
.LBB377_33:                             ; =>This Inner Loop Header: Depth=1
	s_add_i32 s41, s70, 1
	s_cmp_lt_i32 s41, s56
	s_mov_b64 s[28:29], 0
	s_cselect_b64 s[46:47], -1, 0
	s_cmp_ge_i32 s41, s56
	s_mov_b64 s[24:25], 0
	s_cbranch_scc1 .LBB377_35
; %bb.34:                               ;   in Loop: Header=BB377_33 Depth=1
	s_add_i32 s0, s65, 64
	s_add_u32 s0, s4, s0
	s_addc_u32 s1, s5, 0
	s_lshl_b64 s[0:1], s[0:1], 8
	s_add_u32 s24, s14, s0
	s_addc_u32 s25, s15, s1
.LBB377_35:                             ;   in Loop: Header=BB377_33 Depth=1
	v_cndmask_b32_e64 v2, 0, 1, s[46:47]
	v_cmp_ne_u32_e64 s[0:1], 1, v2
	s_andn2_b64 vcc, exec, s[46:47]
	s_cbranch_vccnz .LBB377_37
; %bb.36:                               ;   in Loop: Header=BB377_33 Depth=1
	s_add_i32 s28, s65, 64
	s_add_u32 s28, s68, s28
	s_addc_u32 s29, s69, 0
	s_mul_i32 s31, s28, s58
	s_mul_hi_u32 s46, s28, s62
	s_add_i32 s31, s46, s31
	s_mul_i32 s29, s29, s62
	s_add_i32 s31, s31, s29
	s_mul_i32 s28, s28, s62
	s_add_u32 s28, s28, s59
	s_addc_u32 s29, s31, s63
	s_lshl_b64 s[28:29], s[28:29], 8
	s_add_u32 s28, s12, s28
	s_addc_u32 s29, s13, s29
.LBB377_37:                             ;   in Loop: Header=BB377_33 Depth=1
	v_perm_b32 v3, v21, v20, s3
	v_perm_b32 v2, v19, v18, s3
	;; [unrolled: 1-line block ×4, first 2 shown]
	ds_write_b64 v79, v[2:3]
	ds_write_b64 v80, v[4:5]
	;; [unrolled: 1-line block ×4, first 2 shown]
	v_perm_b32 v3, v29, v28, s3
	v_perm_b32 v2, v27, v26, s3
	;; [unrolled: 1-line block ×4, first 2 shown]
	ds_write_b64 v81, v[2:3]
	ds_write_b64 v82, v[4:5]
	;; [unrolled: 1-line block ×4, first 2 shown]
	s_waitcnt lgkmcnt(0)
	s_barrier
	ds_read_b64 v[6:7], v87 offset:24576
	ds_read2_b64 v[2:5], v88 offset1:16
	ds_read_b64 v[10:11], v90 offset:3072
	ds_read_b64 v[12:13], v88 offset:3072
	;; [unrolled: 1-line block ×3, first 2 shown]
	s_waitcnt lgkmcnt(3)
	v_mfma_f32_16x16x16_bf16 a[0:3], v[6:7], v[2:3], 0
	s_add_i32 s31, s65, 63
	s_mul_i32 s46, s31, s37
	s_mul_hi_u32 s47, s31, s36
	v_mfma_f32_16x16x16_bf16 a[4:7], v[6:7], v[4:5], 0
	ds_read2st64_b64 v[2:5], v88 offset0:2 offset1:4
	ds_read2st64_b64 v[6:9], v90 offset0:2 offset1:4
	s_add_i32 s47, s47, s46
	s_waitcnt lgkmcnt(1)
	v_mfma_f32_16x16x16_bf16 a[0:3], v[14:15], v[2:3], a[0:3]
	s_mul_i32 s46, s31, s36
	s_lshl_b64 s[46:47], s[46:47], 2
	s_add_u32 s46, s44, s46
	s_waitcnt lgkmcnt(0)
	v_mfma_f32_16x16x16_bf16 a[4:7], v[14:15], v[6:7], a[4:7]
	ds_read_b64 v[2:3], v91 offset:24576
	ds_read_b64 v[6:7], v92 offset:24576
	s_addc_u32 s47, s45, s47
	s_and_b64 vcc, exec, s[0:1]
	s_waitcnt lgkmcnt(1)
	v_mfma_f32_16x16x16_bf16 a[0:3], v[2:3], v[4:5], a[0:3]
	v_mov_b32_e32 v110, 0
	v_mov_b32_e32 v109, 0
	;; [unrolled: 1-line block ×3, first 2 shown]
	v_mfma_f32_16x16x16_bf16 a[8:11], v[2:3], v[8:9], a[4:7]
	v_mov_b32_e32 v2, 0
	v_mov_b32_e32 v3, 0
	;; [unrolled: 1-line block ×3, first 2 shown]
	s_waitcnt lgkmcnt(0)
	v_mfma_f32_16x16x16_bf16 a[4:7], v[6:7], v[12:13], a[0:3]
	v_mov_b32_e32 v5, 0
	v_mov_b32_e32 v8, 0
	;; [unrolled: 1-line block ×3, first 2 shown]
	v_mfma_f32_16x16x16_bf16 a[0:3], v[6:7], v[10:11], a[8:11]
	v_mov_b32_e32 v6, 0
	v_mov_b32_e32 v7, 0
	;; [unrolled: 1-line block ×10, first 2 shown]
	s_cbranch_vccnz .LBB377_39
; %bb.38:                               ;   in Loop: Header=BB377_33 Depth=1
	s_and_b32 s25, s25, 0xffff
	buffer_load_dwordx4 v[14:17], v75, s[24:27], 0 offen
	buffer_load_dwordx4 v[10:13], v75, s[24:27], s64 offen
	;; [unrolled: 1-line block ×4, first 2 shown]
	v_mov_b32_e32 v109, v77
	v_mov_b32_e32 v108, v78
.LBB377_39:                             ;   in Loop: Header=BB377_33 Depth=1
	ds_read_b64 v[42:43], v87 offset:32768
	ds_read2_b64 v[34:37], v93 offset1:16
	ds_read_b64 v[44:45], v89 offset:32768
	ds_read_b64 v[46:47], v91 offset:32768
	;; [unrolled: 1-line block ×3, first 2 shown]
	v_add_u32_e32 v111, s65, v71
	s_waitcnt lgkmcnt(3)
	v_mfma_f32_16x16x16_bf16 a[4:7], v[42:43], v[34:35], a[4:7]
	v_ashrrev_i32_e32 v34, 31, v111
	ds_read2st64_b64 v[38:41], v93 offset0:2 offset1:4
	v_mfma_f32_16x16x16_bf16 a[0:3], v[42:43], v[36:37], a[0:3]
	v_mul_lo_u32 v36, v34, s36
	v_mul_lo_u32 v37, v111, s37
	v_mad_u64_u32 v[34:35], s[24:25], v111, s36, 0
	v_add3_u32 v35, v35, v37, v36
	v_add_u32_e32 v36, 1, v111
	v_ashrrev_i32_e32 v37, 31, v36
	v_mul_lo_u32 v42, v37, s36
	v_mul_lo_u32 v43, v36, s37
	v_mad_u64_u32 v[36:37], s[24:25], v36, s36, 0
	v_add3_u32 v37, v37, v43, v42
	v_add_u32_e32 v42, 2, v111
	v_ashrrev_i32_e32 v43, 31, v42
	v_mul_lo_u32 v112, v43, s36
	v_mul_lo_u32 v113, v42, s37
	v_mad_u64_u32 v[42:43], s[24:25], v42, s36, 0
	v_add_u32_e32 v111, 3, v111
	v_add3_u32 v43, v43, v113, v112
	v_ashrrev_i32_e32 v112, 31, v111
	v_mul_lo_u32 v114, v112, s36
	v_mad_u64_u32 v[112:113], s[24:25], v111, s36, 0
	s_add_u32 s24, s4, s65
	s_addc_u32 s25, s5, 0
	v_mul_lo_u32 v115, v111, s37
	s_lshl_b64 s[72:73], s[24:25], 8
	v_lshl_add_u64 v[34:35], v[34:35], 2, s[44:45]
	v_lshl_add_u64 v[36:37], v[36:37], 2, s[44:45]
	v_add3_u32 v113, v113, v115, v114
	v_lshl_add_u64 v[114:115], v[60:61], 0, s[72:73]
	v_lshl_add_u64 v[42:43], v[42:43], 2, s[44:45]
	;; [unrolled: 1-line block ×3, first 2 shown]
	global_load_dword v111, v[34:35], off
	global_load_ushort v116, v[114:115], off offset:256
	global_load_ushort v117, v[114:115], off
	v_lshl_add_u64 v[34:35], v[112:113], 2, s[44:45]
	global_load_dword v112, v[36:37], off
	global_load_dword v113, v[42:43], off
	;; [unrolled: 1-line block ×3, first 2 shown]
	ds_read2st64_b64 v[34:37], v94 offset0:2 offset1:4
	global_load_ushort v119, v[114:115], off offset:768
	global_load_ushort v120, v[114:115], off offset:512
	;; [unrolled: 1-line block ×5, first 2 shown]
	s_nop 0
	global_load_ushort v114, v[114:115], off offset:32
	s_waitcnt lgkmcnt(1)
	v_mfma_f32_16x16x16_bf16 a[4:7], v[44:45], v[38:39], a[4:7]
	s_and_b64 vcc, exec, s[0:1]
	s_waitcnt vmcnt(10)
	v_lshlrev_b32_e32 v43, 16, v116
	s_waitcnt lgkmcnt(0)
	v_mfma_f32_16x16x16_bf16 a[0:3], v[44:45], v[34:35], a[0:3]
	s_waitcnt vmcnt(9)
	v_lshlrev_b32_e32 v42, 16, v117
	v_mfma_f32_16x16x16_bf16 a[4:7], v[46:47], v[40:41], a[4:7]
	v_mfma_f32_16x16x16_bf16 a[0:3], v[46:47], v[36:37], a[0:3]
	ds_read_b64 v[34:35], v93 offset:3072
	ds_read_b64 v[36:37], v94 offset:3072
	s_load_dword s24, s[46:47], 0x0
	s_waitcnt lgkmcnt(0)
	v_sub_f32_e32 v44, s24, v111
	v_mfma_f32_16x16x16_bf16 a[4:7], v[48:49], v[34:35], a[4:7]
	v_mul_f32_e32 v44, 0x3fb8aa3b, v44
	s_waitcnt vmcnt(8)
	v_sub_f32_e32 v45, s24, v112
	s_waitcnt vmcnt(7)
	v_sub_f32_e32 v46, s24, v113
	;; [unrolled: 2-line block ×3, first 2 shown]
	v_mfma_f32_16x16x16_bf16 a[0:3], v[48:49], v[36:37], a[0:3]
	v_lshl_add_u64 v[34:35], v[62:63], 0, s[72:73]
	v_lshl_add_u64 v[34:35], v[34:35], 0, v[58:59]
	v_accvgpr_read_b32 v41, a5
	v_accvgpr_read_b32 v40, a4
	v_pk_add_f32 v[40:41], v[42:43], v[40:41] neg_lo:[0,1] neg_hi:[0,1]
	v_exp_f32_e32 v42, v44
	v_mul_f32_e32 v43, 0x3fb8aa3b, v45
	v_mul_f32_e32 v44, 0x3fb8aa3b, v46
	;; [unrolled: 1-line block ×3, first 2 shown]
	v_exp_f32_e32 v43, v43
	v_exp_f32_e32 v44, v44
	;; [unrolled: 1-line block ×3, first 2 shown]
	v_accvgpr_read_b32 v37, a7
	v_accvgpr_read_b32 v36, a6
	s_waitcnt vmcnt(5)
	v_lshlrev_b32_e32 v47, 16, v119
	s_waitcnt vmcnt(4)
	v_lshlrev_b32_e32 v46, 16, v120
	v_pk_add_f32 v[36:37], v[46:47], v[36:37] neg_lo:[0,1] neg_hi:[0,1]
	global_store_short_d16_hi v[34:35], v40, off
	global_store_short_d16_hi v[34:35], v41, off offset:256
	global_store_short_d16_hi v[34:35], v36, off offset:512
	;; [unrolled: 1-line block ×3, first 2 shown]
	v_pk_mul_f32 v[40:41], v[42:43], v[40:41]
	v_pk_mul_f32 v[36:37], v[44:45], v[36:37]
	v_accvgpr_read_b32 v47, a1
	v_perm_b32 v37, v37, v36, s3
	v_perm_b32 v36, v41, v40, s3
	s_waitcnt vmcnt(5)
	v_lshlrev_b32_e32 v41, 16, v123
	s_waitcnt vmcnt(4)
	v_lshlrev_b32_e32 v40, 16, v114
	v_accvgpr_read_b32 v46, a0
	v_accvgpr_read_b32 v39, a3
	;; [unrolled: 1-line block ×3, first 2 shown]
	v_pk_add_f32 v[40:41], v[40:41], v[46:47] neg_lo:[0,1] neg_hi:[0,1]
	v_lshlrev_b32_e32 v47, 16, v121
	v_lshlrev_b32_e32 v46, 16, v122
	v_pk_add_f32 v[38:39], v[46:47], v[38:39] neg_lo:[0,1] neg_hi:[0,1]
	global_store_short_d16_hi v[34:35], v40, off offset:32
	global_store_short_d16_hi v[34:35], v41, off offset:288
	;; [unrolled: 1-line block ×4, first 2 shown]
	v_pk_mul_f32 v[34:35], v[42:43], v[40:41]
	v_pk_mul_f32 v[38:39], v[44:45], v[38:39]
	v_mov_b32_e32 v111, 0
	v_perm_b32 v39, v39, v38, s3
	v_perm_b32 v38, v35, v34, s3
	ds_write2_b64 v80, v[36:37], v[38:39] offset1:16
	v_mov_b32_e32 v34, 0
	v_mov_b32_e32 v35, 0
	;; [unrolled: 1-line block ×16, first 2 shown]
	s_cbranch_vccnz .LBB377_41
; %bb.40:                               ;   in Loop: Header=BB377_33 Depth=1
	s_and_b32 s29, s29, 0xffff
	s_mov_b32 s31, s27
	buffer_load_dwordx4 v[46:49], v102, s[28:31], 0 offen
	buffer_load_dwordx4 v[38:41], v102, s[28:31], s64 offen
	;; [unrolled: 1-line block ×4, first 2 shown]
	v_mov_b32_e32 v110, v74
	v_mov_b32_e32 v111, v73
.LBB377_41:                             ;   in Loop: Header=BB377_33 Depth=1
	s_waitcnt lgkmcnt(0)
	s_barrier
	ds_read_b64 v[116:117], v57
	ds_read_b64 v[124:125], v98
	;; [unrolled: 1-line block ×5, first 2 shown]
	ds_read_b64 v[130:131], v99 offset:16384
	ds_read_b64 v[132:133], v97 offset:16384
	ds_read2_b64 v[112:115], v93 offset0:16 offset1:128
	s_waitcnt lgkmcnt(6)
	v_mfma_f32_16x16x16_bf16 a[0:3], v[116:117], v[124:125], 0
	ds_read_b64 v[134:135], v94 offset:3072
	ds_read_b64 v[136:137], v101 offset:16384
	s_add_i32 s25, s60, s70
	s_waitcnt lgkmcnt(2)
	v_mfma_f32_16x16x16_bf16 a[4:7], v[116:117], v[112:113], 0
	ds_read2st64_b64 v[116:119], v94 offset0:2 offset1:4
	s_mul_hi_i32 s29, s25, s21
	s_mul_i32 s25, s25, s21
	v_mfma_f32_16x16x16_bf16 a[0:3], v[120:121], v[114:115], a[0:3]
	s_add_u32 s28, s25, s53
	s_addc_u32 s29, s29, s57
	s_lshl_b64 s[28:29], s[28:29], 15
	s_waitcnt lgkmcnt(0)
	v_mfma_f32_16x16x16_bf16 a[4:7], v[120:121], v[116:117], a[4:7]
	ds_read2st64_b64 v[120:123], v93 offset0:4 offset1:6
	s_waitcnt lgkmcnt(0)
	v_mfma_f32_16x16x16_bf16 a[0:3], v[126:127], v[120:121], a[0:3]
	v_mfma_f32_16x16x16_bf16 a[8:11], v[126:127], v[118:119], a[4:7]
	;; [unrolled: 1-line block ×5, first 2 shown]
	ds_read2st64_b64 v[124:127], v96 offset1:8
	v_mfma_f32_16x16x16_bf16 a[12:15], v[132:133], v[112:113], 0
	ds_read_b64 v[132:133], v100 offset:16384
	v_mfma_f32_16x16x16_bf16 a[8:11], v[130:131], v[114:115], a[8:11]
	ds_read2st64_b64 v[112:115], v95 offset1:8
	s_waitcnt lgkmcnt(0)
	v_mov_b32_e32 v128, v112
	v_mfma_f32_16x16x16_bf16 a[12:15], v[130:131], v[116:117], a[12:15]
	v_lshl_add_u64 v[116:117], v[64:65], 0, s[28:29]
	v_add_co_u32_e32 v112, vcc, s39, v116
	v_mfma_f32_16x16x16_bf16 a[8:11], v[132:133], v[120:121], a[8:11]
	v_mov_b32_e32 v129, v113
	v_addc_co_u32_e32 v113, vcc, 0, v117, vcc
	v_mfma_f32_16x16x16_bf16 a[12:15], v[132:133], v[118:119], a[12:15]
	v_mov_b32_e32 v130, v124
	v_mov_b32_e32 v131, v125
	v_mov_b32_e32 v124, v114
	v_mfma_f32_16x16x16_bf16 a[8:11], v[136:137], v[122:123], a[8:11]
	v_mov_b32_e32 v125, v115
	s_and_b64 vcc, exec, s[0:1]
	global_store_dwordx4 v[116:117], v[128:131], off
	v_mfma_f32_16x16x16_bf16 a[12:15], v[136:137], v[134:135], a[12:15]
	global_store_dwordx4 v[112:113], v[124:127], off
	s_cbranch_vccnz .LBB377_32
; %bb.42:                               ;   in Loop: Header=BB377_33 Depth=1
	v_lshrrev_b32_e32 v112, 3, v110
	v_and_b32_e32 v112, 6, v112
	v_xor_b32_e32 v111, v112, v111
	v_lshlrev_b32_e32 v111, 2, v111
	v_and_b32_e32 v110, 8, v110
	v_xor_b32_e32 v113, 0x440, v111
	v_cmp_eq_u32_e32 vcc, 0, v110
	s_barrier
	s_nop 0
	v_cndmask_b32_e32 v110, v113, v111, vcc
	v_lshl_or_b32 v110, v112, 10, v110
	s_waitcnt vmcnt(3)
	v_perm_b32 v111, v46, v42, s66
	s_waitcnt vmcnt(2)
	v_perm_b32 v112, v38, v34, s66
	ds_write2st64_b32 v110, v111, v112 offset0:32 offset1:64
	v_xor_b32_e32 v111, 8, v110
	v_perm_b32 v42, v46, v42, s67
	v_perm_b32 v34, v38, v34, s67
	v_add_u32_e32 v38, 0x80, v111
	ds_write2st64_b32 v38, v42, v34 offset0:32 offset1:64
	v_xor_b32_e32 v34, 16, v110
	v_perm_b32 v38, v47, v43, s66
	v_perm_b32 v42, v39, v35, s66
	ds_write2st64_b32 v34, v38, v42 offset0:33 offset1:65
	v_xor_b32_e32 v34, 24, v110
	v_perm_b32 v38, v47, v43, s67
	v_perm_b32 v35, v39, v35, s67
	v_add_u32_e32 v34, 0x80, v34
	ds_write2st64_b32 v34, v38, v35 offset0:33 offset1:65
	v_xor_b32_e32 v34, 32, v110
	v_perm_b32 v35, v48, v44, s66
	;; [unrolled: 9-line block ×3, first 2 shown]
	v_perm_b32 v36, v41, v37, s66
	ds_write2st64_b32 v34, v35, v36 offset0:35 offset1:67
	v_xor_b32_e32 v34, 56, v110
	v_perm_b32 v35, v49, v45, s67
	v_perm_b32 v36, v41, v37, s67
	v_add_u32_e32 v34, 0x80, v34
	ds_write2st64_b32 v34, v35, v36 offset0:35 offset1:67
	ds_write_b64 v109, v[14:15] offset:24576
	v_xor_b32_e32 v14, 8, v109
	ds_write_b64 v14, v[16:17] offset:24576
	ds_write_b64 v109, v[10:11] offset:32768
	;; [unrolled: 1-line block ×4, first 2 shown]
	v_xor_b32_e32 v6, 8, v108
	ds_write_b64 v6, v[8:9] offset:24576
	ds_write_b64 v108, v[2:3] offset:32768
	;; [unrolled: 1-line block ×3, first 2 shown]
	s_branch .LBB377_32
.LBB377_43:
                                        ; implicit-def: $vgpr21
                                        ; implicit-def: $vgpr25
                                        ; implicit-def: $vgpr29
                                        ; implicit-def: $vgpr33
	s_cbranch_execz .LBB377_45
; %bb.44:
	s_waitcnt vmcnt(0)
	v_mad_u64_u32 v[18:19], s[0:1], v36, s23, v[34:35]
	v_lshlrev_b32_e32 v36, 1, v18
	s_lshl_b32 s2, s23, 7
	s_and_b32 s1, s5, 0xffff
	s_mov_b32 s3, 0x20000
	s_mov_b32 s0, s4
	v_add_lshl_u32 v37, v18, s23, 1
	s_movk_i32 s6, 0x80
	buffer_load_dwordx4 v[18:21], v36, s[0:3], 0 offen
	buffer_load_dwordx4 v[26:29], v36, s[0:3], s6 offen
	;; [unrolled: 1-line block ×4, first 2 shown]
.LBB377_45:
	v_lshrrev_b32_e32 v47, 2, v51
	s_cbranch_execnz .LBB377_58
.LBB377_46:
	s_and_b64 vcc, exec, s[14:15]
	s_cbranch_vccz .LBB377_56
; %bb.47:
	s_waitcnt vmcnt(0)
	v_lshlrev_b32_e32 v23, 1, v42
	v_cmp_gt_i32_e32 vcc, s31, v23
	v_mov_b32_e32 v22, 0
	v_lshlrev_b32_e32 v30, 9, v42
	v_mov_b32_e32 v18, 0
	v_mov_b32_e32 v19, 0
	;; [unrolled: 1-line block ×4, first 2 shown]
	s_and_saveexec_b64 s[0:1], vcc
	s_cbranch_execz .LBB377_49
; %bb.48:
	v_mov_b32_e32 v31, 0
	v_lshl_add_u64 v[18:19], s[4:5], 0, v[30:31]
	v_lshlrev_b32_e32 v20, 1, v34
	v_mov_b32_e32 v21, v31
	v_lshl_add_u64 v[18:19], v[18:19], 0, v[20:21]
	global_load_dwordx4 v[18:21], v[18:19], off
.LBB377_49:
	s_or_b64 exec, exec, s[0:1]
	v_or_b32_e32 v23, 1, v23
	v_cmp_gt_i32_e64 s[0:1], s31, v23
	v_lshlrev_b32_e32 v36, 8, v23
	v_mov_b32_e32 v23, 0
	v_mov_b32_e32 v24, 0
	;; [unrolled: 1-line block ×3, first 2 shown]
	s_and_saveexec_b64 s[2:3], s[0:1]
	s_cbranch_execz .LBB377_51
; %bb.50:
	v_mov_b32_e32 v37, 0
	v_lshl_add_u64 v[22:23], s[4:5], 0, v[36:37]
	v_lshlrev_b32_e32 v24, 1, v34
	v_mov_b32_e32 v25, v37
	v_lshl_add_u64 v[22:23], v[22:23], 0, v[24:25]
	global_load_dwordx4 v[22:25], v[22:23], off
.LBB377_51:
	s_or_b64 exec, exec, s[2:3]
	v_mov_b32_e32 v33, 0
	v_mov_b32_e32 v26, 0
	;; [unrolled: 1-line block ×5, first 2 shown]
	s_and_saveexec_b64 s[2:3], vcc
	s_cbranch_execz .LBB377_53
; %bb.52:
	v_mov_b32_e32 v31, 0
	v_lshl_add_u64 v[26:27], s[4:5], 0, v[30:31]
	v_lshlrev_b32_e32 v30, 1, v34
	v_lshl_add_u64 v[26:27], v[26:27], 0, v[30:31]
	global_load_dwordx4 v[26:29], v[26:27], off offset:128
.LBB377_53:
	s_or_b64 exec, exec, s[2:3]
	v_mov_b32_e32 v32, 0
	v_mov_b32_e32 v31, 0
	;; [unrolled: 1-line block ×3, first 2 shown]
	s_and_saveexec_b64 s[2:3], s[0:1]
	s_cbranch_execz .LBB377_55
; %bb.54:
	v_mov_b32_e32 v37, 0
	v_lshl_add_u64 v[30:31], s[4:5], 0, v[36:37]
	v_lshlrev_b32_e32 v36, 1, v34
	v_lshl_add_u64 v[30:31], v[30:31], 0, v[36:37]
	global_load_dwordx4 v[30:33], v[30:31], off offset:128
.LBB377_55:
	s_or_b64 exec, exec, s[2:3]
	s_branch .LBB377_58
.LBB377_56:
                                        ; implicit-def: $vgpr21
                                        ; implicit-def: $vgpr25
                                        ; implicit-def: $vgpr29
                                        ; implicit-def: $vgpr33
	s_cbranch_execz .LBB377_58
; %bb.57:
	s_waitcnt vmcnt(0)
	v_lshlrev_b32_e32 v18, 1, v34
	v_lshl_or_b32 v34, v42, 9, v18
	s_and_b32 s5, s5, 0xffff
	s_mov_b32 s7, 0x20000
	s_movk_i32 s6, 0x4000
	s_movk_i32 s0, 0x80
	buffer_load_dwordx4 v[18:21], v34, s[4:7], 0 offen
	buffer_load_dwordx4 v[22:25], v34, s[4:7], 0 offen offset:256
	buffer_load_dwordx4 v[26:29], v34, s[4:7], s0 offen
	buffer_load_dwordx4 v[30:33], v34, s[4:7], s0 offen offset:256
.LBB377_58:
	ds_read_b64 v[36:37], v43 offset:32768
	v_add_u32_e32 v34, 0xb000, v40
	ds_read2_b64 v[58:61], v34 offset1:16
	ds_read_b64 v[48:49], v44 offset:32768
	ds_read_b64 v[44:45], v45 offset:32768
	;; [unrolled: 1-line block ×3, first 2 shown]
	v_and_b32_e32 v34, 6, v0
	v_xor_b32_e32 v42, v42, v34
	v_lshlrev_b32_e32 v42, 2, v42
	v_and_b32_e32 v43, 1, v0
	v_xor_b32_e32 v46, 0x440, v42
	v_cmp_eq_u32_e32 vcc, 0, v43
	s_waitcnt lgkmcnt(3)
	v_mfma_f32_16x16x16_bf16 a[0:3], v[36:37], v[58:59], a[0:3]
	s_mov_b32 s0, 0x1000504
	v_cndmask_b32_e32 v42, v46, v42, vcc
	v_lshl_or_b32 v34, v34, 10, v42
	v_mfma_f32_16x16x16_bf16 a[4:7], v[36:37], v[60:61], a[4:7]
	ds_read2st64_b64 v[58:61], v40 offset0:90 offset1:92
	ds_read2st64_b64 v[62:65], v41 offset0:90 offset1:92
	s_waitcnt vmcnt(0)
	v_perm_b32 v42, v18, v22, s0
	s_mov_b32 s1, 0x3020706
	s_waitcnt lgkmcnt(1)
	v_mfma_f32_16x16x16_bf16 a[0:3], v[48:49], v[58:59], a[0:3]
	ds_read_b64 v[36:37], v40 offset:48128
	ds_read_b64 v[58:59], v41 offset:48128
	v_perm_b32 v18, v18, v22, s1
	v_perm_b32 v22, v26, v30, s1
	s_waitcnt lgkmcnt(2)
	v_mfma_f32_16x16x16_bf16 a[4:7], v[48:49], v[62:63], a[4:7]
	v_and_or_b32 v43, v47, 12, v66
	v_cmp_gt_i32_e32 vcc, s31, v43
	v_mfma_f32_16x16x16_bf16 a[0:3], v[44:45], v[60:61], a[0:3]
	v_mfma_f32_16x16x16_bf16 a[8:11], v[44:45], v[64:65], a[4:7]
	s_waitcnt lgkmcnt(1)
	v_mfma_f32_16x16x16_bf16 a[4:7], v[68:69], v[36:37], a[0:3]
	v_perm_b32 v36, v26, v30, s0
	ds_write2st64_b32 v34, v42, v36 offset0:32 offset1:64
	v_xor_b32_e32 v36, 8, v34
	v_add_u32_e32 v26, 0x80, v36
	ds_write2st64_b32 v26, v18, v22 offset0:32 offset1:64
	v_xor_b32_e32 v18, 16, v34
	v_perm_b32 v22, v19, v23, s0
	v_perm_b32 v26, v27, v31, s0
	ds_write2st64_b32 v18, v22, v26 offset0:33 offset1:65
	v_xor_b32_e32 v18, 24, v34
	v_perm_b32 v19, v19, v23, s1
	v_perm_b32 v22, v27, v31, s1
	v_add_u32_e32 v18, 0x80, v18
	ds_write2st64_b32 v18, v19, v22 offset0:33 offset1:65
	v_xor_b32_e32 v18, 32, v34
	v_perm_b32 v19, v20, v24, s0
	v_perm_b32 v22, v28, v32, s0
	ds_write2st64_b32 v18, v19, v22 offset0:34 offset1:66
	v_xor_b32_e32 v18, 40, v34
	s_waitcnt lgkmcnt(5)
	v_mfma_f32_16x16x16_bf16 a[0:3], v[68:69], v[58:59], a[8:11]
	v_perm_b32 v19, v20, v24, s1
	v_perm_b32 v20, v28, v32, s1
	v_add_u32_e32 v18, 0x80, v18
	ds_write2st64_b32 v18, v19, v20 offset0:34 offset1:66
	v_xor_b32_e32 v18, 48, v34
	v_perm_b32 v19, v21, v25, s0
	v_perm_b32 v20, v29, v33, s0
	ds_write2st64_b32 v18, v19, v20 offset0:35 offset1:67
	v_xor_b32_e32 v18, 56, v34
	v_perm_b32 v19, v21, v25, s1
	v_perm_b32 v20, v29, v33, s1
	v_add_u32_e32 v18, 0x80, v18
	v_mov_b32_e32 v34, 0
	v_mov_b32_e32 v37, 0
	ds_write2st64_b32 v18, v19, v20 offset0:35 offset1:67
	s_and_saveexec_b64 s[0:1], vcc
	s_cbranch_execz .LBB377_60
; %bb.59:
	v_add_u32_e32 v18, s30, v43
	v_ashrrev_i32_e32 v19, 31, v18
	v_mul_lo_u32 v20, v19, s36
	v_mul_lo_u32 v21, v18, s37
	v_mad_u64_u32 v[18:19], s[2:3], v18, s36, 0
	v_add3_u32 v19, v19, v21, v20
	v_lshl_add_u64 v[18:19], v[18:19], 2, s[12:13]
	global_load_dword v18, v[18:19], off
	s_waitcnt vmcnt(0)
	v_sub_f32_e32 v18, s18, v18
	v_mul_f32_e32 v18, 0x3fb8aa3b, v18
	v_exp_f32_e32 v37, v18
.LBB377_60:
	s_or_b64 exec, exec, s[0:1]
	v_or_b32_e32 v29, 1, v43
	v_cmp_gt_i32_e64 s[0:1], s31, v29
	s_and_saveexec_b64 s[2:3], s[0:1]
	s_cbranch_execz .LBB377_62
; %bb.61:
	v_add_u32_e32 v18, s30, v29
	v_ashrrev_i32_e32 v19, 31, v18
	v_mul_lo_u32 v20, v19, s36
	v_mul_lo_u32 v21, v18, s37
	v_mad_u64_u32 v[18:19], s[4:5], v18, s36, 0
	v_add3_u32 v19, v19, v21, v20
	v_lshl_add_u64 v[18:19], v[18:19], 2, s[12:13]
	global_load_dword v18, v[18:19], off
	s_waitcnt vmcnt(0)
	v_sub_f32_e32 v18, s18, v18
	v_mul_f32_e32 v18, 0x3fb8aa3b, v18
	v_exp_f32_e32 v34, v18
.LBB377_62:
	s_or_b64 exec, exec, s[2:3]
	v_or_b32_e32 v28, 2, v43
	v_cmp_gt_i32_e64 s[2:3], s31, v28
	v_mov_b32_e32 v36, 0
	v_mov_b32_e32 v42, 0
	s_and_saveexec_b64 s[4:5], s[2:3]
	s_cbranch_execz .LBB377_64
; %bb.63:
	v_add_u32_e32 v18, s30, v28
	v_ashrrev_i32_e32 v19, 31, v18
	v_mul_lo_u32 v20, v19, s36
	v_mul_lo_u32 v21, v18, s37
	v_mad_u64_u32 v[18:19], s[6:7], v18, s36, 0
	v_add3_u32 v19, v19, v21, v20
	v_lshl_add_u64 v[18:19], v[18:19], 2, s[12:13]
	global_load_dword v18, v[18:19], off
	s_waitcnt vmcnt(0)
	v_sub_f32_e32 v18, s18, v18
	v_mul_f32_e32 v18, 0x3fb8aa3b, v18
	v_exp_f32_e32 v42, v18
.LBB377_64:
	s_or_b64 exec, exec, s[4:5]
	v_or_b32_e32 v44, 3, v43
	v_cmp_gt_i32_e64 s[4:5], s31, v44
	s_and_saveexec_b64 s[6:7], s[4:5]
	s_cbranch_execz .LBB377_66
; %bb.65:
	v_add_u32_e32 v18, s30, v44
	v_ashrrev_i32_e32 v19, 31, v18
	v_mul_lo_u32 v20, v19, s36
	v_mul_lo_u32 v21, v18, s37
	v_mad_u64_u32 v[18:19], s[14:15], v18, s36, 0
	v_add3_u32 v19, v19, v21, v20
	v_lshl_add_u64 v[18:19], v[18:19], 2, s[12:13]
	global_load_dword v18, v[18:19], off
	s_waitcnt vmcnt(0)
	v_sub_f32_e32 v18, s18, v18
	v_mul_f32_e32 v18, 0x3fb8aa3b, v18
	v_exp_f32_e32 v36, v18
.LBB377_66:
	s_or_b64 exec, exec, s[6:7]
	s_add_u32 s6, s16, s24
	s_addc_u32 s7, s17, s25
	s_add_u32 s8, s8, s24
	v_ashrrev_i32_e32 v57, 31, v56
	v_accvgpr_read_b32 v21, a7
	s_addc_u32 s9, s9, s25
	v_lshlrev_b64 v[22:23], 1, v[56:57]
	v_accvgpr_read_b32 v20, a6
	v_accvgpr_read_b32 v19, a5
	;; [unrolled: 1-line block ×3, first 2 shown]
	v_lshl_add_u64 v[24:25], s[6:7], 0, v[22:23]
	v_lshl_add_u64 v[22:23], s[8:9], 0, v[22:23]
	v_mov_b32_e32 v31, 0
	v_lshlrev_b32_e32 v26, 8, v43
	v_mov_b32_e32 v27, 0
	s_and_saveexec_b64 s[6:7], vcc
	s_cbranch_execz .LBB377_68
; %bb.67:
	v_mov_b32_e32 v27, 0
	v_lshl_add_u64 v[32:33], v[24:25], 0, v[26:27]
	global_load_ushort v30, v[32:33], off
	v_lshl_add_u64 v[32:33], v[22:23], 0, v[26:27]
	s_waitcnt vmcnt(0)
	v_lshlrev_b32_e32 v27, 16, v30
	v_sub_f32_e32 v18, v27, v18
	global_store_short_d16_hi v[32:33], v18, off
	v_mul_f32_e32 v18, v37, v18
	v_lshrrev_b32_e32 v27, 16, v18
.LBB377_68:
	s_or_b64 exec, exec, s[6:7]
	v_lshlrev_b32_e32 v30, 8, v29
	s_and_saveexec_b64 s[6:7], s[0:1]
	s_cbranch_execz .LBB377_70
; %bb.69:
	v_mov_b32_e32 v31, 0
	v_lshl_add_u64 v[32:33], v[24:25], 0, v[30:31]
	global_load_ushort v18, v[32:33], off
	v_lshl_add_u64 v[32:33], v[22:23], 0, v[30:31]
	s_waitcnt vmcnt(0)
	v_lshlrev_b32_e32 v18, 16, v18
	v_sub_f32_e32 v18, v18, v19
	global_store_short_d16_hi v[32:33], v18, off
	v_mul_f32_e32 v18, v34, v18
	v_lshrrev_b32_e32 v31, 16, v18
.LBB377_70:
	s_or_b64 exec, exec, s[6:7]
	v_mov_b32_e32 v29, 0
	v_lshlrev_b32_e32 v32, 8, v28
	v_mov_b32_e32 v33, 0
	s_and_saveexec_b64 s[6:7], s[2:3]
	s_cbranch_execz .LBB377_72
; %bb.71:
	v_mov_b32_e32 v33, 0
	v_lshl_add_u64 v[18:19], v[24:25], 0, v[32:33]
	global_load_ushort v28, v[18:19], off
	v_lshl_add_u64 v[18:19], v[22:23], 0, v[32:33]
	s_waitcnt vmcnt(0)
	v_lshlrev_b32_e32 v28, 16, v28
	v_sub_f32_e32 v20, v28, v20
	global_store_short_d16_hi v[18:19], v20, off
	v_mul_f32_e32 v18, v42, v20
	v_lshrrev_b32_e32 v33, 16, v18
.LBB377_72:
	s_or_b64 exec, exec, s[6:7]
	v_lshlrev_b32_e32 v28, 8, v44
	s_and_saveexec_b64 s[6:7], s[4:5]
	s_cbranch_execz .LBB377_74
; %bb.73:
	v_mov_b32_e32 v29, 0
	v_lshl_add_u64 v[18:19], v[24:25], 0, v[28:29]
	global_load_ushort v20, v[18:19], off
	v_lshl_add_u64 v[18:19], v[22:23], 0, v[28:29]
	s_waitcnt vmcnt(0)
	v_lshlrev_b32_e32 v20, 16, v20
	v_sub_f32_e32 v20, v20, v21
	global_store_short_d16_hi v[18:19], v20, off
	v_mul_f32_e32 v18, v36, v20
	v_lshrrev_b32_e32 v29, 16, v18
.LBB377_74:
	s_or_b64 exec, exec, s[6:7]
	v_lshlrev_b32_e32 v43, 5, v43
	s_mov_b32 s6, 0x5040100
	v_perm_b32 v44, v31, v27, s6
	v_or_b32_e32 v27, v43, v38
	v_accvgpr_read_b32 v21, a3
	v_perm_b32 v45, v29, v33, s6
	v_lshlrev_b32_e32 v27, 1, v27
	v_accvgpr_read_b32 v20, a2
	v_accvgpr_read_b32 v19, a1
	;; [unrolled: 1-line block ×3, first 2 shown]
	ds_write_b64 v27, v[44:45] offset:45056
	v_mov_b32_e32 v31, 0
	v_mov_b32_e32 v27, 0
	s_and_saveexec_b64 s[6:7], vcc
	s_cbranch_execz .LBB377_76
; %bb.75:
	v_mov_b32_e32 v27, 0
	v_lshl_add_u64 v[44:45], v[24:25], 0, v[26:27]
	global_load_ushort v29, v[44:45], off offset:32
	v_lshl_add_u64 v[26:27], v[22:23], 0, v[26:27]
	s_waitcnt vmcnt(0)
	v_lshlrev_b32_e32 v29, 16, v29
	v_sub_f32_e32 v18, v29, v18
	global_store_short_d16_hi v[26:27], v18, off offset:32
	v_mul_f32_e32 v18, v37, v18
	v_lshrrev_b32_e32 v27, 16, v18
.LBB377_76:
	s_or_b64 exec, exec, s[6:7]
	s_and_saveexec_b64 s[6:7], s[0:1]
	s_cbranch_execz .LBB377_78
; %bb.77:
	v_mov_b32_e32 v31, 0
	v_lshl_add_u64 v[44:45], v[24:25], 0, v[30:31]
	global_load_ushort v18, v[44:45], off offset:32
	v_lshl_add_u64 v[30:31], v[22:23], 0, v[30:31]
	s_waitcnt vmcnt(0)
	v_lshlrev_b32_e32 v18, 16, v18
	v_sub_f32_e32 v18, v18, v19
	global_store_short_d16_hi v[30:31], v18, off offset:32
	v_mul_f32_e32 v18, v34, v18
	v_lshrrev_b32_e32 v31, 16, v18
.LBB377_78:
	s_or_b64 exec, exec, s[6:7]
	v_mov_b32_e32 v26, 0
	v_mov_b32_e32 v30, 0
	s_and_saveexec_b64 s[0:1], s[2:3]
	s_cbranch_execz .LBB377_80
; %bb.79:
	v_mov_b32_e32 v33, 0
	v_lshl_add_u64 v[18:19], v[24:25], 0, v[32:33]
	global_load_ushort v29, v[18:19], off offset:32
	v_lshl_add_u64 v[18:19], v[22:23], 0, v[32:33]
	s_waitcnt vmcnt(0)
	v_lshlrev_b32_e32 v29, 16, v29
	v_sub_f32_e32 v20, v29, v20
	global_store_short_d16_hi v[18:19], v20, off offset:32
	v_mul_f32_e32 v18, v42, v20
	v_lshrrev_b32_e32 v30, 16, v18
.LBB377_80:
	s_or_b64 exec, exec, s[0:1]
	v_or_b32_e32 v19, 0xb000, v40
	v_or_b32_e32 v18, 0xb000, v41
	s_and_saveexec_b64 s[0:1], s[4:5]
	s_cbranch_execz .LBB377_82
; %bb.81:
	v_mov_b32_e32 v29, 0
	v_lshl_add_u64 v[24:25], v[24:25], 0, v[28:29]
	global_load_ushort v20, v[24:25], off offset:32
	v_lshl_add_u64 v[22:23], v[22:23], 0, v[28:29]
	s_waitcnt vmcnt(0)
	v_lshlrev_b32_e32 v20, 16, v20
	v_sub_f32_e32 v20, v20, v21
	global_store_short_d16_hi v[22:23], v20, off offset:32
	v_mul_f32_e32 v20, v36, v20
	v_lshrrev_b32_e32 v26, 16, v20
.LBB377_82:
	s_or_b64 exec, exec, s[0:1]
	s_mov_b32 s0, 0x5040100
	v_or_b32_e32 v22, v43, v35
	v_perm_b32 v21, v26, v30, s0
	v_perm_b32 v20, v31, v27, s0
	v_lshlrev_b32_e32 v22, 1, v22
	s_movk_i32 s0, 0x100
	ds_write_b64 v22, v[20:21] offset:45056
	v_and_b32_e32 v20, 7, v0
	v_and_b32_e32 v21, 8, v0
	v_cmp_gt_u32_e32 vcc, s0, v0
	v_lshrrev_b32_e32 v0, 1, v0
	v_lshlrev_b32_e32 v37, 3, v1
	v_and_b32_e32 v38, 24, v0
	v_lshlrev_b32_e32 v34, 3, v20
	v_lshlrev_b32_e32 v35, 7, v20
	v_mov_b32_e32 v20, 0x4000
	v_mov_b32_e32 v22, 0x2000
	v_xor_b32_e32 v0, v37, v38
	v_cndmask_b32_e32 v36, v20, v22, vcc
	v_or_b32_e32 v1, 0x440, v0
	v_cmp_eq_u32_e32 vcc, 0, v21
	s_waitcnt lgkmcnt(0)
	s_barrier
	v_cndmask_b32_e32 v0, v1, v0, vcc
	v_or_b32_e32 v0, v0, v39
	v_xad_u32 v40, v0, v34, v35
	v_add_u32_e32 v0, v36, v40
	ds_read_b64 v[0:1], v0
	ds_read2_b64 v[20:23], v19 offset1:16
	v_or_b32_e32 v24, 32, v38
	v_xor_b32_e32 v24, v37, v24
	v_or_b32_e32 v25, 0x440, v24
	v_cndmask_b32_e32 v24, v25, v24, vcc
	s_waitcnt lgkmcnt(0)
	v_mfma_f32_16x16x16_bf16 a[0:3], v[0:1], v[20:21], 0
	v_or_b32_e32 v24, v24, v39
	v_xad_u32 v41, v24, v34, v35
	v_add_u32_e32 v24, v36, v41
	v_mfma_f32_16x16x16_bf16 a[4:7], v[0:1], v[22:23], 0
	v_or_b32_e32 v0, 64, v38
	v_xor_b32_e32 v0, v37, v0
	v_xor_b32_e32 v1, 0x440, v0
	ds_read_b64 v[32:33], v24
	v_cndmask_b32_e32 v0, v1, v0, vcc
	v_or_b32_e32 v0, v0, v39
	v_xad_u32 v42, v0, v34, v35
	v_add_u32_e32 v0, v36, v42
	ds_read_b64 v[0:1], v0
	ds_read2st64_b64 v[24:27], v19 offset0:2 offset1:4
	ds_read2st64_b64 v[28:31], v18 offset0:2 offset1:4
	s_waitcnt lgkmcnt(1)
	v_mfma_f32_16x16x16_bf16 a[0:3], v[32:33], v[24:25], a[0:3]
	s_waitcnt lgkmcnt(0)
	v_mfma_f32_16x16x16_bf16 a[4:7], v[32:33], v[28:29], a[4:7]
	v_or_b32_e32 v32, 0x60, v38
	v_xor_b32_e32 v32, v37, v32
	v_xor_b32_e32 v33, 0x440, v32
	v_cndmask_b32_e32 v32, v33, v32, vcc
	v_or_b32_e32 v32, v32, v39
	v_xad_u32 v37, v32, v34, v35
	v_add_u32_e32 v32, v36, v37
	ds_read_b64 v[32:33], v32
	v_mfma_f32_16x16x16_bf16 a[0:3], v[0:1], v[26:27], a[0:3]
	v_mov_b32_e32 v36, 0x3fb8aa3b
	v_mfma_f32_16x16x16_bf16 a[4:7], v[0:1], v[30:31], a[4:7]
	ds_read_b64 v[0:1], v19 offset:3072
	ds_read_b64 v[34:35], v18 offset:3072
	;; [unrolled: 1-line block ×3, first 2 shown]
	s_waitcnt lgkmcnt(2)
	v_mfma_f32_16x16x16_bf16 a[0:3], v[32:33], v[0:1], a[0:3]
	s_waitcnt lgkmcnt(1)
	v_mfma_f32_16x16x16_bf16 a[4:7], v[32:33], v[34:35], a[4:7]
	ds_read_b64 v[32:33], v41 offset:16384
	s_waitcnt lgkmcnt(1)
	v_mfma_f32_16x16x16_bf16 a[8:11], v[18:19], v[20:21], 0
	v_mul_f32_e32 v20, s18, v36
	v_exp_f32_e32 v36, v20
	v_accvgpr_read_b32 v21, a3
	v_mfma_f32_16x16x16_bf16 a[12:15], v[18:19], v[22:23], 0
	ds_read_b64 v[22:23], v42 offset:16384
	v_accvgpr_read_b32 v18, a0
	v_fma_f32 v18, v2, v36, v18
	v_accvgpr_read_b32 v2, a1
	v_fma_f32 v19, v3, v36, v2
	;; [unrolled: 2-line block ×3, first 2 shown]
	ds_read_b64 v[2:3], v37 offset:16384
	s_waitcnt lgkmcnt(2)
	v_mfma_f32_16x16x16_bf16 a[8:11], v[32:33], v[24:25], a[8:11]
	v_accvgpr_read_b32 v4, a4
	v_fmac_f32_e32 v21, v5, v36
	v_mfma_f32_16x16x16_bf16 a[12:15], v[32:33], v[28:29], a[12:15]
	v_accvgpr_read_b32 v29, a7
	v_fmac_f32_e32 v29, v13, v36
	s_waitcnt lgkmcnt(1)
	v_mfma_f32_16x16x16_bf16 a[0:3], v[22:23], v[26:27], a[8:11]
	v_fma_f32 v26, v10, v36, v4
	v_accvgpr_read_b32 v4, a5
	v_fma_f32 v27, v11, v36, v4
	v_mfma_f32_16x16x16_bf16 a[8:11], v[22:23], v[30:31], a[12:15]
	v_accvgpr_read_b32 v4, a6
	v_fma_f32 v28, v12, v36, v4
	s_waitcnt lgkmcnt(0)
	v_mfma_f32_16x16x16_bf16 a[0:3], v[2:3], v[0:1], a[0:3]
	v_mfma_f32_16x16x16_bf16 a[4:7], v[2:3], v[34:35], a[8:11]
	s_nop 5
	v_accvgpr_read_b32 v0, a0
	v_fma_f32 v22, v6, v36, v0
	v_accvgpr_read_b32 v0, a1
	v_fma_f32 v23, v7, v36, v0
	;; [unrolled: 2-line block ×4, first 2 shown]
	v_accvgpr_read_b32 v0, a5
	v_accvgpr_read_b32 v25, a3
	v_fma_f32 v31, v15, v36, v0
	v_accvgpr_read_b32 v0, a6
	v_accvgpr_read_b32 v33, a7
	v_fmac_f32_e32 v25, v9, v36
	v_fma_f32 v32, v16, v36, v0
	v_fmac_f32_e32 v33, v17, v36
	v_mov_b64_e32 v[2:3], v[18:19]
	v_mov_b64_e32 v[4:5], v[20:21]
	;; [unrolled: 1-line block ×8, first 2 shown]
.LBB377_83:
	s_add_u32 s0, s10, s34
	s_addc_u32 s1, s11, s35
	v_lshl_add_u64 v[0:1], v[52:53], 1, s[0:1]
	v_mov_b32_e32 v51, 0
	s_mov_b32 s2, 0x7060302
	v_lshl_add_u64 v[0:1], v[0:1], 0, v[50:51]
	v_perm_b32 v5, v5, v4, s2
	v_perm_b32 v4, v3, v2, s2
	;; [unrolled: 1-line block ×4, first 2 shown]
	global_store_dwordx2 v[0:1], v[4:5], off
	global_store_dwordx2 v[0:1], v[2:3], off offset:128
	v_lshl_add_u64 v[0:1], v[54:55], 1, s[0:1]
	v_lshl_add_u64 v[0:1], v[0:1], 0, v[50:51]
	v_perm_b32 v3, v13, v12, s2
	v_perm_b32 v2, v11, v10, s2
	global_store_dwordx2 v[0:1], v[2:3], off
	v_perm_b32 v3, v17, v16, s2
	v_perm_b32 v2, v15, v14, s2
	global_store_dwordx2 v[0:1], v[2:3], off offset:128
	s_endpgm
	.section	.rodata,"a",@progbits
	.p2align	6, 0x0
	.amdhsa_kernel _ZN12_GLOBAL__N_139chunk_gated_delta_rule_fwd_h_hip_kernelILi32ELb1ELb1ELb1ELb0ELb0ELb0ELb0ELb1EEEvPK12hip_bfloat16S3_S3_PKfS5_PKvPS1_S8_PvPKiSB_iiiiilll
		.amdhsa_group_segment_fixed_size 49152
		.amdhsa_private_segment_fixed_size 0
		.amdhsa_kernarg_size 136
		.amdhsa_user_sgpr_count 2
		.amdhsa_user_sgpr_dispatch_ptr 0
		.amdhsa_user_sgpr_queue_ptr 0
		.amdhsa_user_sgpr_kernarg_segment_ptr 1
		.amdhsa_user_sgpr_dispatch_id 0
		.amdhsa_user_sgpr_kernarg_preload_length 0
		.amdhsa_user_sgpr_kernarg_preload_offset 0
		.amdhsa_user_sgpr_private_segment_size 0
		.amdhsa_uses_dynamic_stack 0
		.amdhsa_enable_private_segment 0
		.amdhsa_system_sgpr_workgroup_id_x 1
		.amdhsa_system_sgpr_workgroup_id_y 1
		.amdhsa_system_sgpr_workgroup_id_z 0
		.amdhsa_system_sgpr_workgroup_info 0
		.amdhsa_system_vgpr_workitem_id 0
		.amdhsa_next_free_vgpr 156
		.amdhsa_next_free_sgpr 74
		.amdhsa_accum_offset 140
		.amdhsa_reserve_vcc 1
		.amdhsa_float_round_mode_32 0
		.amdhsa_float_round_mode_16_64 0
		.amdhsa_float_denorm_mode_32 3
		.amdhsa_float_denorm_mode_16_64 3
		.amdhsa_dx10_clamp 1
		.amdhsa_ieee_mode 1
		.amdhsa_fp16_overflow 0
		.amdhsa_tg_split 0
		.amdhsa_exception_fp_ieee_invalid_op 0
		.amdhsa_exception_fp_denorm_src 0
		.amdhsa_exception_fp_ieee_div_zero 0
		.amdhsa_exception_fp_ieee_overflow 0
		.amdhsa_exception_fp_ieee_underflow 0
		.amdhsa_exception_fp_ieee_inexact 0
		.amdhsa_exception_int_div_zero 0
	.end_amdhsa_kernel
	.section	.text._ZN12_GLOBAL__N_139chunk_gated_delta_rule_fwd_h_hip_kernelILi32ELb1ELb1ELb1ELb0ELb0ELb0ELb0ELb1EEEvPK12hip_bfloat16S3_S3_PKfS5_PKvPS1_S8_PvPKiSB_iiiiilll,"axG",@progbits,_ZN12_GLOBAL__N_139chunk_gated_delta_rule_fwd_h_hip_kernelILi32ELb1ELb1ELb1ELb0ELb0ELb0ELb0ELb1EEEvPK12hip_bfloat16S3_S3_PKfS5_PKvPS1_S8_PvPKiSB_iiiiilll,comdat
.Lfunc_end377:
	.size	_ZN12_GLOBAL__N_139chunk_gated_delta_rule_fwd_h_hip_kernelILi32ELb1ELb1ELb1ELb0ELb0ELb0ELb0ELb1EEEvPK12hip_bfloat16S3_S3_PKfS5_PKvPS1_S8_PvPKiSB_iiiiilll, .Lfunc_end377-_ZN12_GLOBAL__N_139chunk_gated_delta_rule_fwd_h_hip_kernelILi32ELb1ELb1ELb1ELb0ELb0ELb0ELb0ELb1EEEvPK12hip_bfloat16S3_S3_PKfS5_PKvPS1_S8_PvPKiSB_iiiiilll
                                        ; -- End function
	.section	.AMDGPU.csdata,"",@progbits
; Kernel info:
; codeLenInByte = 9776
; NumSgprs: 80
; NumVgprs: 138
; NumAgprs: 16
; TotalNumVgprs: 156
; ScratchSize: 0
; MemoryBound: 0
; FloatMode: 240
; IeeeMode: 1
; LDSByteSize: 49152 bytes/workgroup (compile time only)
; SGPRBlocks: 9
; VGPRBlocks: 19
; NumSGPRsForWavesPerEU: 80
; NumVGPRsForWavesPerEU: 156
; AccumOffset: 140
; Occupancy: 1
; WaveLimiterHint : 1
; COMPUTE_PGM_RSRC2:SCRATCH_EN: 0
; COMPUTE_PGM_RSRC2:USER_SGPR: 2
; COMPUTE_PGM_RSRC2:TRAP_HANDLER: 0
; COMPUTE_PGM_RSRC2:TGID_X_EN: 1
; COMPUTE_PGM_RSRC2:TGID_Y_EN: 1
; COMPUTE_PGM_RSRC2:TGID_Z_EN: 0
; COMPUTE_PGM_RSRC2:TIDIG_COMP_CNT: 0
; COMPUTE_PGM_RSRC3_GFX90A:ACCUM_OFFSET: 34
; COMPUTE_PGM_RSRC3_GFX90A:TG_SPLIT: 0
	.section	.text._ZN12_GLOBAL__N_139chunk_gated_delta_rule_fwd_h_hip_kernelILi32ELb1ELb1ELb0ELb0ELb0ELb0ELb0ELb1EEEvPK12hip_bfloat16S3_S3_PKfS5_PKvPS1_S8_PvPKiSB_iiiiilll,"axG",@progbits,_ZN12_GLOBAL__N_139chunk_gated_delta_rule_fwd_h_hip_kernelILi32ELb1ELb1ELb0ELb0ELb0ELb0ELb0ELb1EEEvPK12hip_bfloat16S3_S3_PKfS5_PKvPS1_S8_PvPKiSB_iiiiilll,comdat
	.globl	_ZN12_GLOBAL__N_139chunk_gated_delta_rule_fwd_h_hip_kernelILi32ELb1ELb1ELb0ELb0ELb0ELb0ELb0ELb1EEEvPK12hip_bfloat16S3_S3_PKfS5_PKvPS1_S8_PvPKiSB_iiiiilll ; -- Begin function _ZN12_GLOBAL__N_139chunk_gated_delta_rule_fwd_h_hip_kernelILi32ELb1ELb1ELb0ELb0ELb0ELb0ELb0ELb1EEEvPK12hip_bfloat16S3_S3_PKfS5_PKvPS1_S8_PvPKiSB_iiiiilll
	.p2align	8
	.type	_ZN12_GLOBAL__N_139chunk_gated_delta_rule_fwd_h_hip_kernelILi32ELb1ELb1ELb0ELb0ELb0ELb0ELb0ELb1EEEvPK12hip_bfloat16S3_S3_PKfS5_PKvPS1_S8_PvPKiSB_iiiiilll,@function
_ZN12_GLOBAL__N_139chunk_gated_delta_rule_fwd_h_hip_kernelILi32ELb1ELb1ELb0ELb0ELb0ELb0ELb0ELb1EEEvPK12hip_bfloat16S3_S3_PKfS5_PKvPS1_S8_PvPKiSB_iiiiilll: ; @_ZN12_GLOBAL__N_139chunk_gated_delta_rule_fwd_h_hip_kernelILi32ELb1ELb1ELb0ELb0ELb0ELb0ELb0ELb1EEEvPK12hip_bfloat16S3_S3_PKfS5_PKvPS1_S8_PvPKiSB_iiiiilll
; %bb.0:
	s_load_dwordx4 s[12:15], s[0:1], 0x5c
	s_load_dwordx4 s[20:23], s[0:1], 0x70
	s_abs_i32 s6, s3
	s_ashr_i32 s5, s3, 31
	s_load_dwordx4 s[16:19], s[0:1], 0x28
	s_waitcnt lgkmcnt(0)
	s_abs_i32 s4, s13
	v_cvt_f32_u32_e32 v1, s4
	s_sub_i32 s8, 0, s4
	s_ashr_i32 s7, s13, 31
	s_xor_b32 s5, s5, s7
	v_rcp_iflag_f32_e32 v1, v1
	v_and_b32_e32 v66, 15, v0
	v_bfe_u32 v65, v0, 4, 2
	v_mov_b32_e32 v51, 0
	v_mul_f32_e32 v1, 0x4f7ffffe, v1
	v_cvt_u32_f32_e32 v1, v1
	v_lshlrev_b32_e32 v67, 3, v0
	v_readfirstlane_b32 s9, v1
	s_mul_i32 s8, s8, s9
	s_mul_hi_u32 s8, s9, s8
	s_add_i32 s9, s9, s8
	s_mul_hi_u32 s8, s6, s9
	s_mul_i32 s9, s8, s4
	s_sub_i32 s6, s6, s9
	s_add_i32 s10, s8, 1
	s_sub_i32 s9, s6, s4
	s_cmp_ge_u32 s6, s4
	s_cselect_b32 s8, s10, s8
	s_cselect_b32 s6, s9, s6
	s_add_i32 s9, s8, 1
	s_cmp_ge_u32 s6, s4
	s_cselect_b32 s6, s9, s8
	s_xor_b32 s6, s6, s5
	s_add_i32 s8, s12, 63
	s_sub_i32 s53, s6, s5
	s_ashr_i32 s9, s8, 31
	s_mul_i32 s5, s53, s13
	s_sub_i32 s51, s3, s5
	s_lshr_b32 s3, s9, 26
	s_add_i32 s8, s8, s3
	s_abs_i32 s3, s14
	v_cvt_f32_u32_e32 v1, s3
	s_ashr_i32 s52, s12, 31
	s_lshr_b32 s6, s52, 26
	s_add_i32 s6, s12, s6
	v_rcp_iflag_f32_e32 v1, v1
	s_ashr_i32 s56, s14, 31
	s_ashr_i32 s24, s8, 6
	;; [unrolled: 1-line block ×3, first 2 shown]
	v_mul_f32_e32 v1, 0x4f7ffffe, v1
	v_cvt_u32_f32_e32 v1, v1
	s_xor_b32 s6, s7, s56
	s_sub_i32 s7, 0, s3
	s_lshl_b32 s2, s2, 5
	v_readfirstlane_b32 s8, v1
	s_mul_i32 s7, s7, s8
	s_mul_hi_u32 s7, s8, s7
	s_add_i32 s8, s8, s7
	s_mul_hi_u32 s7, s4, s8
	s_mul_i32 s8, s7, s3
	s_sub_i32 s4, s4, s8
	s_add_i32 s8, s7, 1
	s_sub_i32 s9, s4, s3
	s_cmp_ge_u32 s4, s3
	s_cselect_b32 s7, s8, s7
	s_cselect_b32 s4, s9, s4
	s_add_i32 s8, s7, 1
	s_cmp_ge_u32 s4, s3
	s_cselect_b32 s3, s8, s7
	s_xor_b32 s3, s3, s6
	s_sub_i32 s3, s3, s6
	s_abs_i32 s4, s3
	v_cvt_f32_u32_e32 v1, s4
	s_sub_i32 s7, 0, s4
	s_abs_i32 s6, s51
	s_xor_b32 s3, s51, s3
	v_rcp_iflag_f32_e32 v2, v1
	s_ashr_i32 s3, s3, 31
	v_or_b32_e32 v56, s2, v66
	v_lshrrev_b32_e32 v1, 6, v0
	v_mul_f32_e32 v2, 0x4f7ffffe, v2
	v_cvt_u32_f32_e32 v2, v2
	v_lshlrev_b32_e32 v52, 7, v56
	v_lshlrev_b32_e32 v64, 4, v1
	v_or_b32_e32 v54, 0x800, v52
	v_readfirstlane_b32 s8, v2
	s_mul_i32 s7, s7, s8
	s_mul_hi_u32 s7, s8, s7
	s_add_i32 s8, s8, s7
	s_mul_hi_u32 s7, s6, s8
	s_mul_i32 s8, s7, s4
	s_sub_i32 s6, s6, s8
	s_add_i32 s8, s7, 1
	s_sub_i32 s9, s6, s4
	s_cmp_ge_u32 s6, s4
	s_cselect_b32 s7, s8, s7
	s_cselect_b32 s6, s9, s6
	s_add_i32 s8, s7, 1
	s_cmp_ge_u32 s6, s4
	s_cselect_b32 s4, s8, s7
	s_xor_b32 s4, s4, s3
	s_sub_i32 s57, s4, s3
	s_ashr_i32 s3, s53, 31
	s_ashr_i32 s55, s51, 31
	s_mul_hi_i32 s4, s53, s13
	s_add_u32 s40, s5, s51
	s_addc_u32 s41, s4, s55
	s_lshl_b64 s[28:29], s[40:41], 15
	s_add_u32 s4, s16, s28
	v_lshl_or_b32 v69, v65, 2, v64
	s_addc_u32 s5, s17, s29
	v_ashrrev_i32_e32 v53, 31, v52
	v_ashrrev_i32_e32 v55, 31, v54
	v_lshl_add_u64 v[2:3], v[52:53], 1, s[4:5]
	v_lshlrev_b32_e32 v50, 1, v69
	v_lshl_add_u64 v[6:7], v[54:55], 1, s[4:5]
	v_lshl_add_u64 v[2:3], v[2:3], 0, v[50:51]
	;; [unrolled: 1-line block ×3, first 2 shown]
	global_load_dwordx2 v[4:5], v[2:3], off
	v_and_b32_e32 v51, 63, v0
	global_load_dwordx2 v[2:3], v[2:3], off offset:128
	s_nop 0
	global_load_dwordx2 v[8:9], v[6:7], off
	global_load_dwordx2 v[10:11], v[6:7], off offset:128
	s_load_dwordx2 s[30:31], s[0:1], 0x40
	s_load_dwordx8 s[4:11], s[0:1], 0x0
	s_load_dwordx2 s[34:35], s[0:1], 0x80
	v_lshrrev_b32_e32 v68, 3, v51
	v_or_b32_e32 v70, 64, v69
	s_mul_i32 s33, s53, s21
	s_mul_hi_u32 s46, s53, s20
	s_mul_i32 s36, s53, s20
	s_mul_i32 s58, s53, s24
	s_mul_i32 s47, s51, s23
	s_mul_hi_u32 s48, s51, s22
	s_mul_i32 s50, s3, s20
	s_mul_i32 s49, s55, s22
	s_mul_hi_u32 s59, s40, s12
	s_mul_i32 s16, s40, s12
	s_mul_i32 s41, s41, s12
	s_cmp_lt_i32 s12, 64
	s_mul_i32 s38, s51, s22
	s_waitcnt vmcnt(3)
	v_and_b32_e32 v19, 0xffff0000, v4
	v_lshlrev_b32_e32 v18, 16, v4
	v_and_b32_e32 v21, 0xffff0000, v5
	v_lshlrev_b32_e32 v20, 16, v5
	s_waitcnt vmcnt(2)
	v_and_b32_e32 v23, 0xffff0000, v2
	v_lshlrev_b32_e32 v22, 16, v2
	v_and_b32_e32 v25, 0xffff0000, v3
	v_lshlrev_b32_e32 v24, 16, v3
	;; [unrolled: 5-line block ×4, first 2 shown]
	s_cbranch_scc1 .LBB378_3
; %bb.1:
	s_add_i32 s17, s59, s41
	s_lshl_b64 s[0:1], s[16:17], 8
	v_and_b32_e32 v72, 56, v67
	s_waitcnt lgkmcnt(0)
	s_add_u32 s20, s6, s0
	v_lshl_or_b32 v71, v1, 3, v68
	v_lshlrev_b32_e32 v2, 1, v72
	s_addc_u32 s0, s7, s1
	v_lshl_or_b32 v73, v71, 8, v2
	s_and_b32 s21, s0, 0xffff
	s_mov_b32 s23, 0x20000
	s_movk_i32 s22, 0x4000
	s_movk_i32 s0, 0x80
	v_or_b32_e32 v74, 0x2000, v73
	buffer_load_dwordx4 v[4:7], v73, s[20:23], 0 offen
	buffer_load_dwordx4 v[8:11], v73, s[20:23], s0 offen
	;; [unrolled: 1-line block ×4, first 2 shown]
	v_lshlrev_b32_e32 v3, 3, v71
	v_and_or_b32 v17, v0, 7, v3
	v_and_b32_e32 v3, 0x78, v3
	v_lshlrev_b32_e32 v17, 4, v17
	v_xor_b32_e32 v75, v17, v3
	v_mul_lo_u32 v16, v71, s15
	v_or_b32_e32 v76, 0x1000, v75
	v_xor_b32_e32 v3, 8, v75
	s_cmpk_eq_i32 s15, 0x80
	s_mov_b32 s60, s14
	v_xor_b32_e32 v17, 8, v76
	s_cselect_b64 s[0:1], -1, 0
	s_cmpk_lg_i32 s15, 0x80
	s_waitcnt vmcnt(3)
	ds_write_b64 v75, v[4:5] offset:24576
	ds_write_b64 v3, v[6:7] offset:24576
	s_waitcnt vmcnt(2)
	ds_write_b64 v75, v[8:9] offset:32768
	ds_write_b64 v3, v[10:11] offset:32768
	;; [unrolled: 3-line block ×4, first 2 shown]
	v_lshl_add_u32 v3, v16, 1, v72
	s_cbranch_scc0 .LBB378_29
; %bb.2:
	v_lshlrev_b32_e32 v5, 1, v3
	v_add_lshl_u32 v4, v3, s15, 1
	s_lshl_b32 s22, s15, 7
	v_lshl_or_b32 v2, v71, 9, v2
	s_cbranch_execz .LBB378_30
	s_branch .LBB378_31
.LBB378_3:
	v_mov_b64_e32 v[2:3], v[18:19]
	v_mov_b64_e32 v[4:5], v[20:21]
	;; [unrolled: 1-line block ×8, first 2 shown]
.LBB378_4:
	s_lshl_b32 s26, s54, 6
	s_sub_i32 s27, s12, s26
	s_cmp_gt_i32 s27, 0
	s_cbranch_scc0 .LBB378_83
; %bb.5:
	s_ashr_i32 s3, s26, 31
	s_cmpk_lg_i32 s15, 0x80
	s_cselect_b64 s[22:23], -1, 0
	s_and_b64 vcc, exec, s[22:23]
	s_cbranch_vccz .LBB378_7
; %bb.6:
	s_mul_i32 s1, s53, s12
	s_mul_hi_i32 s0, s53, s12
	s_add_u32 s1, s1, s26
	s_addc_u32 s0, s0, s3
	s_mul_i32 s17, s1, s56
	s_mul_hi_u32 s20, s1, s14
	s_add_i32 s17, s20, s17
	s_mul_i32 s0, s0, s14
	s_add_i32 s17, s17, s0
	s_mul_i32 s1, s1, s14
	s_ashr_i32 s0, s57, 31
	s_add_u32 s24, s1, s57
	s_addc_u32 s25, s17, s0
	s_cbranch_execz .LBB378_8
	s_branch .LBB378_9
.LBB378_7:
                                        ; implicit-def: $sgpr24_sgpr25
.LBB378_8:
	s_mul_hi_i32 s0, s53, s14
	s_mul_i32 s53, s53, s14
	s_ashr_i32 s1, s57, 31
	s_add_u32 s14, s53, s57
	s_addc_u32 s0, s0, s1
	s_mul_i32 s1, s14, s52
	s_mul_hi_u32 s17, s14, s12
	s_add_i32 s1, s17, s1
	s_mul_i32 s0, s0, s12
	s_add_i32 s1, s1, s0
	s_mul_i32 s14, s14, s12
	s_add_u32 s24, s14, s26
	s_addc_u32 s25, s1, s3
.LBB378_9:
	s_mul_i32 s0, s40, s52
	s_add_i32 s0, s59, s0
	s_add_i32 s14, s58, s54
	;; [unrolled: 1-line block ×3, first 2 shown]
	s_add_u32 s0, s16, s26
	v_lshlrev_b32_e32 v22, 5, v69
	v_lshlrev_b32_e32 v38, 2, v66
	s_addc_u32 s1, s1, s3
	s_mov_b32 s3, 0x7060302
	v_or_b32_e32 v25, v22, v38
	v_xor_b32_e32 v23, v69, v38
	v_perm_b32 v19, v5, v4, s3
	v_perm_b32 v18, v3, v2, s3
	;; [unrolled: 1-line block ×4, first 2 shown]
	v_lshlrev_b32_e32 v25, 1, v25
	v_xor_b32_e32 v24, v70, v38
	ds_write2st64_b64 v25, v[18:19], v[20:21] offset0:80 offset1:88
	v_lshlrev_b32_e32 v23, 1, v23
	v_lshlrev_b32_e32 v25, 8, v66
	s_lshl_b64 s[20:21], s[0:1], 8
	v_or_b32_e32 v26, v23, v25
	v_lshlrev_b32_e32 v24, 1, v24
	s_waitcnt lgkmcnt(0)
	s_add_u32 s0, s6, s20
	ds_write_b64 v26, v[18:19]
	v_or_b32_e32 v18, v24, v25
	s_addc_u32 s1, s7, s21
	ds_write_b64 v18, v[20:21]
	v_perm_b32 v19, v13, v12, s3
	v_perm_b32 v18, v11, v10, s3
	;; [unrolled: 1-line block ×4, first 2 shown]
	v_or_b32_e32 v25, 16, v66
	s_mul_hi_i32 s3, s14, s13
	s_mul_i32 s14, s14, s13
	v_lshlrev_b32_e32 v35, 2, v25
	s_add_u32 s6, s14, s51
	v_or_b32_e32 v22, v22, v35
	s_addc_u32 s7, s3, s55
	v_lshlrev_b32_e32 v22, 1, v22
	s_ashr_i32 s3, s2, 31
	s_lshl_b64 s[6:7], s[6:7], 15
	ds_write2st64_b64 v22, v[18:19], v[20:21] offset0:80 offset1:88
	v_lshlrev_b32_e32 v22, 8, v25
	s_add_u32 s6, s18, s6
	v_or_b32_e32 v23, v23, v22
	s_addc_u32 s7, s19, s7
	s_lshl_b64 s[2:3], s[2:3], 8
	ds_write_b64 v23, v[18:19]
	v_or_b32_e32 v18, v24, v22
	s_add_u32 s2, s6, s2
	ds_write_b64 v18, v[20:21]
	v_lshrrev_b32_e32 v18, 4, v0
	s_addc_u32 s3, s7, s3
	v_lshlrev_b32_e32 v19, 1, v66
	v_lshlrev_b32_e32 v26, 4, v66
	v_mov_b32_e32 v27, 0
	v_or_b32_e32 v20, 1, v19
	v_xor_b32_e32 v19, v18, v19
	v_lshl_add_u64 v[28:29], s[2:3], 0, v[26:27]
	v_lshlrev_b32_e32 v26, 8, v18
	v_xor_b32_e32 v22, v20, v18
	v_lshl_or_b32 v18, v19, 3, v26
	s_waitcnt lgkmcnt(0)
	s_barrier
	ds_read2st64_b64 v[18:21], v18 offset1:8
	v_lshl_or_b32 v22, v22, 3, v26
	ds_read2st64_b64 v[22:25], v22 offset1:8
	v_lshl_add_u64 v[30:31], v[28:29], 0, v[26:27]
	s_movk_i32 s2, 0x1000
	s_waitcnt lgkmcnt(1)
	v_mov_b32_e32 v26, v18
	v_add_co_u32_e32 v18, vcc, s2, v30
	s_cmp_lg_u32 s27, 64
	v_mov_b32_e32 v27, v19
	v_addc_co_u32_e32 v19, vcc, 0, v31, vcc
	s_cselect_b64 s[6:7], -1, 0
	v_lshl_or_b32 v42, v1, 3, v68
	s_waitcnt lgkmcnt(0)
	v_mov_b32_e32 v28, v22
	v_mov_b32_e32 v29, v23
	;; [unrolled: 1-line block ×4, first 2 shown]
	s_mov_b32 s16, 0
	v_or_b32_e32 v36, 32, v42
	v_and_b32_e32 v34, 56, v67
	s_and_b64 vcc, exec, s[6:7]
	global_store_dwordx4 v[30:31], v[26:29], off
	global_store_dwordx4 v[18:19], v[22:25], off
	s_cbranch_vccz .LBB378_15
; %bb.10:
	s_mov_b32 s18, s16
	s_mov_b32 s19, s16
	;; [unrolled: 1-line block ×3, first 2 shown]
	v_mov_b64_e32 v[24:25], s[18:19]
	v_mov_b64_e32 v[22:23], s[16:17]
	;; [unrolled: 1-line block ×3, first 2 shown]
	v_cmp_gt_i32_e32 vcc, s27, v42
	v_mov_b64_e32 v[20:21], v[24:25]
	s_and_saveexec_b64 s[2:3], vcc
	s_cbranch_execz .LBB378_12
; %bb.11:
	v_lshlrev_b32_e32 v18, 8, v42
	v_mov_b32_e32 v19, 0
	v_lshl_add_u64 v[20:21], s[0:1], 0, v[18:19]
	v_lshlrev_b32_e32 v18, 1, v34
	v_lshl_add_u64 v[26:27], v[20:21], 0, v[18:19]
	global_load_dwordx4 v[22:25], v[26:27], off
	global_load_dwordx4 v[18:21], v[26:27], off offset:128
.LBB378_12:
	s_or_b64 exec, exec, s[2:3]
	s_mov_b32 s18, s16
	s_mov_b32 s19, s16
	;; [unrolled: 1-line block ×3, first 2 shown]
	v_mov_b64_e32 v[32:33], s[18:19]
	v_mov_b64_e32 v[30:31], s[16:17]
	;; [unrolled: 1-line block ×3, first 2 shown]
	v_cmp_gt_i32_e32 vcc, s27, v36
	v_lshlrev_b32_e32 v37, 7, v36
	v_mov_b64_e32 v[28:29], v[32:33]
	s_and_saveexec_b64 s[2:3], vcc
	s_cbranch_execz .LBB378_14
; %bb.13:
	v_lshlrev_b32_e32 v26, 1, v37
	v_mov_b32_e32 v27, 0
	v_lshl_add_u64 v[28:29], s[0:1], 0, v[26:27]
	v_lshlrev_b32_e32 v26, 1, v34
	v_lshl_add_u64 v[40:41], v[28:29], 0, v[26:27]
	global_load_dwordx4 v[30:33], v[40:41], off
	global_load_dwordx4 v[26:29], v[40:41], off offset:128
.LBB378_14:
	s_or_b64 exec, exec, s[2:3]
	v_lshrrev_b32_e32 v39, 3, v34
	v_lshlrev_b32_e32 v40, 3, v42
	v_or_b32_e32 v39, v40, v39
	v_lshlrev_b32_e32 v39, 4, v39
	v_and_b32_e32 v40, 0x78, v40
	v_xor_b32_e32 v39, v39, v40
	s_branch .LBB378_17
.LBB378_15:
                                        ; implicit-def: $vgpr39
                                        ; implicit-def: $vgpr37
                                        ; implicit-def: $vgpr22_vgpr23_vgpr24_vgpr25
                                        ; implicit-def: $vgpr18_vgpr19_vgpr20_vgpr21
                                        ; implicit-def: $vgpr30_vgpr31_vgpr32_vgpr33
                                        ; implicit-def: $vgpr26_vgpr27_vgpr28_vgpr29
	s_cbranch_execz .LBB378_17
; %bb.16:
	s_waitcnt vmcnt(0)
	v_lshlrev_b32_e32 v18, 1, v34
	v_lshl_or_b32 v37, v42, 8, v18
	s_and_b32 s1, s1, 0xffff
	s_mov_b32 s3, 0x20000
	s_movk_i32 s2, 0x4000
	v_lshl_or_b32 v39, v36, 8, v18
	s_movk_i32 s13, 0x80
	buffer_load_dwordx4 v[22:25], v37, s[0:3], 0 offen
	buffer_load_dwordx4 v[18:21], v37, s[0:3], s13 offen
	;; [unrolled: 1-line block ×4, first 2 shown]
	v_lshrrev_b32_e32 v37, 3, v34
	v_lshlrev_b32_e32 v39, 3, v42
	v_or_b32_e32 v37, v39, v37
	v_lshlrev_b32_e32 v37, 4, v37
	v_and_b32_e32 v39, 0x78, v39
	v_xor_b32_e32 v39, v37, v39
	v_lshlrev_b32_e32 v37, 7, v36
.LBB378_17:
	s_lshl_b64 s[0:1], s[24:25], 8
	s_add_u32 s4, s4, s0
	s_movk_i32 s0, 0x1000
	v_and_or_b32 v36, v37, s0, v39
	s_waitcnt vmcnt(1)
	ds_write_b64 v39, v[22:23] offset:24576
	v_xor_b32_e32 v22, 8, v39
	ds_write_b64 v22, v[24:25] offset:24576
	s_waitcnt vmcnt(0)
	ds_write_b64 v39, v[18:19] offset:32768
	ds_write_b64 v22, v[20:21] offset:32768
	ds_write_b64 v36, v[30:31] offset:24576
	v_xor_b32_e32 v18, 8, v36
	ds_write_b64 v18, v[32:33] offset:24576
	ds_write_b64 v36, v[26:27] offset:32768
	;; [unrolled: 1-line block ×3, first 2 shown]
	v_or_b32_e32 v18, v64, v66
	v_lshlrev_b32_e32 v18, 3, v18
	v_lshrrev_b32_e32 v19, 5, v51
	s_movk_i32 s3, 0xf8
	v_and_or_b32 v19, v18, s3, v19
	v_lshlrev_b32_e32 v23, 4, v19
	v_lshlrev_b32_e32 v39, 11, v1
	v_and_b32_e32 v24, 0x78, v18
	v_or_b32_e32 v26, 32, v23
	v_and_b32_e32 v22, 0x1000, v39
	v_lshrrev_b32_e32 v19, 1, v51
	v_xor_b32_e32 v26, v26, v24
	v_xor_b32_e32 v18, v23, v24
	v_and_b32_e32 v25, 8, v19
	v_or_b32_e32 v26, v26, v22
	v_or_b32_e32 v18, v18, v22
	v_xor_b32_e32 v44, v26, v25
	v_or_b32_e32 v26, 64, v23
	v_xor_b32_e32 v43, v18, v25
	v_xor_b32_e32 v26, v26, v24
	s_waitcnt lgkmcnt(0)
	s_barrier
	v_or_b32_e32 v28, v26, v22
	ds_read_b64 v[26:27], v43 offset:24576
	v_lshl_or_b32 v36, v65, 7, v38
	v_lshlrev_b32_e32 v40, 1, v36
	v_add_u32_e32 v18, 0xa000, v40
	ds_read2_b64 v[18:21], v18 offset1:16
	v_or_b32_e32 v23, 0x60, v23
	v_xor_b32_e32 v23, v23, v24
	s_waitcnt lgkmcnt(0)
	v_mfma_f32_16x16x16_bf16 a[0:3], v[26:27], v[18:19], 0
	v_or_b32_e32 v18, 64, v36
	v_or_b32_e32 v22, v23, v22
	v_lshlrev_b32_e32 v41, 1, v18
	v_xor_b32_e32 v45, v28, v25
	v_xor_b32_e32 v46, v22, v25
	ds_read_b64 v[28:29], v44 offset:24576
	ds_read_b64 v[30:31], v45 offset:24576
	;; [unrolled: 1-line block ×3, first 2 shown]
	v_mfma_f32_16x16x16_bf16 a[4:7], v[26:27], v[20:21], 0
	ds_read2st64_b64 v[18:21], v41 offset0:82 offset1:84
	ds_read2st64_b64 v[22:25], v40 offset0:82 offset1:84
	s_addc_u32 s5, s5, s1
	s_add_i32 s1, s46, s33
	s_add_i32 s0, s12, -1
	s_add_i32 s37, s1, s50
	s_add_i32 s1, s48, s47
	;; [unrolled: 1-line block ×3, first 2 shown]
	s_ashr_i32 s1, s0, 31
	s_mul_i32 s2, s0, s35
	s_mul_hi_u32 s3, s0, s34
	s_add_i32 s2, s3, s2
	s_mul_i32 s1, s1, s34
	s_waitcnt lgkmcnt(1)
	v_mfma_f32_16x16x16_bf16 a[4:7], v[28:29], v[18:19], a[4:7]
	s_add_i32 s1, s2, s1
	s_lshl_b64 s[2:3], s[36:37], 2
	s_add_u32 s10, s10, s2
	s_waitcnt lgkmcnt(0)
	v_mfma_f32_16x16x16_bf16 a[0:3], v[28:29], v[22:23], a[0:3]
	s_addc_u32 s11, s11, s3
	s_lshl_b64 s[2:3], s[38:39], 2
	s_mul_i32 s0, s0, s34
	s_add_u32 s10, s10, s2
	ds_read_b64 v[18:19], v40 offset:44032
	v_mfma_f32_16x16x16_bf16 a[4:7], v[30:31], v[20:21], a[4:7]
	ds_read_b64 v[20:21], v41 offset:44032
	s_addc_u32 s11, s11, s3
	s_lshl_b64 s[0:1], s[0:1], 2
	v_mfma_f32_16x16x16_bf16 a[0:3], v[30:31], v[24:25], a[0:3]
	s_add_u32 s0, s10, s0
	s_addc_u32 s1, s11, s1
	s_load_dword s12, s[0:1], 0x0
	s_waitcnt lgkmcnt(0)
	v_mfma_f32_16x16x16_bf16 a[0:3], v[32:33], v[18:19], a[0:3]
	s_and_b64 vcc, exec, s[22:23]
	v_mfma_f32_16x16x16_bf16 a[4:7], v[32:33], v[20:21], a[4:7]
	s_cbranch_vccz .LBB378_28
; %bb.18:
	v_lshlrev_b32_e32 v36, 1, v42
	s_and_b64 vcc, exec, s[6:7]
	s_cbranch_vccz .LBB378_43
; %bb.19:
	v_cmp_gt_i32_e32 vcc, s27, v36
	v_mov_b32_e32 v22, 0
	v_mov_b32_e32 v18, 0
	;; [unrolled: 1-line block ×5, first 2 shown]
	s_and_saveexec_b64 s[0:1], vcc
	s_cbranch_execz .LBB378_21
; %bb.20:
	v_mad_i64_i32 v[18:19], s[2:3], s15, v36, 0
	v_lshl_add_u64 v[18:19], v[18:19], 1, s[4:5]
	v_lshlrev_b32_e32 v20, 1, v34
	v_mov_b32_e32 v21, 0
	v_lshl_add_u64 v[18:19], v[18:19], 0, v[20:21]
	global_load_dwordx4 v[18:21], v[18:19], off
.LBB378_21:
	s_or_b64 exec, exec, s[0:1]
	v_or_b32_e32 v37, 1, v36
	v_cmp_gt_i32_e64 s[0:1], s27, v37
	v_mov_b32_e32 v23, 0
	v_mov_b32_e32 v24, 0
	;; [unrolled: 1-line block ×3, first 2 shown]
	s_and_saveexec_b64 s[2:3], s[0:1]
	s_cbranch_execz .LBB378_23
; %bb.22:
	v_mad_i64_i32 v[22:23], s[16:17], s15, v37, 0
	v_lshl_add_u64 v[22:23], v[22:23], 1, s[4:5]
	v_lshlrev_b32_e32 v24, 1, v34
	v_mov_b32_e32 v25, 0
	v_lshl_add_u64 v[22:23], v[22:23], 0, v[24:25]
	global_load_dwordx4 v[22:25], v[22:23], off
.LBB378_23:
	s_or_b64 exec, exec, s[2:3]
	v_mov_b32_e32 v33, 0
	v_mov_b32_e32 v26, 0
	;; [unrolled: 1-line block ×5, first 2 shown]
	s_and_saveexec_b64 s[2:3], vcc
	s_cbranch_execz .LBB378_25
; %bb.24:
	v_mad_i64_i32 v[26:27], s[16:17], s15, v36, 0
	v_lshl_add_u64 v[26:27], v[26:27], 1, s[4:5]
	v_lshlrev_b32_e32 v28, 1, v34
	v_mov_b32_e32 v29, 0
	v_lshl_add_u64 v[26:27], v[26:27], 0, v[28:29]
	global_load_dwordx4 v[26:29], v[26:27], off offset:128
.LBB378_25:
	s_or_b64 exec, exec, s[2:3]
	v_mov_b32_e32 v32, 0
	v_mov_b32_e32 v31, 0
	v_mov_b32_e32 v30, 0
	s_and_saveexec_b64 s[2:3], s[0:1]
	s_cbranch_execz .LBB378_27
; %bb.26:
	v_mad_i64_i32 v[30:31], s[0:1], s15, v37, 0
	v_lshl_add_u64 v[30:31], v[30:31], 1, s[4:5]
	v_lshlrev_b32_e32 v32, 1, v34
	v_mov_b32_e32 v33, 0
	v_lshl_add_u64 v[30:31], v[30:31], 0, v[32:33]
	global_load_dwordx4 v[30:33], v[30:31], off offset:128
.LBB378_27:
	s_or_b64 exec, exec, s[2:3]
	s_branch .LBB378_45
.LBB378_28:
                                        ; implicit-def: $vgpr21
                                        ; implicit-def: $vgpr25
                                        ; implicit-def: $vgpr29
                                        ; implicit-def: $vgpr33
	v_lshrrev_b32_e32 v47, 2, v51
	s_branch .LBB378_46
.LBB378_29:
                                        ; implicit-def: $vgpr4
                                        ; implicit-def: $vgpr5
                                        ; implicit-def: $sgpr22
	v_lshl_or_b32 v2, v71, 9, v2
.LBB378_30:
	v_or_b32_e32 v4, 0x100, v2
	s_movk_i32 s22, 0x4000
	v_mov_b32_e32 v5, v2
.LBB378_31:
	s_mul_hi_u32 s20, s14, s12
	s_mul_i32 s21, s56, s12
	s_add_i32 s20, s20, s21
	s_mul_i32 s21, s14, s12
	s_mul_i32 s23, s21, s3
	s_mul_hi_u32 s24, s21, s53
	s_add_i32 s23, s24, s23
	s_mul_i32 s20, s20, s53
	s_add_i32 s23, s23, s20
	s_mul_i32 s21, s21, s53
	s_ashr_i32 s61, s57, 31
	s_add_u32 s20, s21, s57
	s_addc_u32 s21, s23, s61
	s_lshl_b64 s[20:21], s[20:21], 8
	s_add_u32 s20, s4, s20
	s_addc_u32 s21, s5, s21
	s_and_b32 s21, s21, 0xffff
	s_mov_b32 s23, 0x20000
	s_movk_i32 s62, 0x80
	buffer_load_dwordx4 v[6:9], v5, s[20:23], 0 offen
	buffer_load_dwordx4 v[10:13], v5, s[20:23], s62 offen
	;; [unrolled: 1-line block ×4, first 2 shown]
	v_and_b32_e32 v4, 6, v0
	v_lshlrev_b32_e32 v39, 6, v69
	v_or_b32_e32 v41, 16, v66
	v_xor_b32_e32 v42, v71, v4
	v_and_b32_e32 v5, 1, v0
	v_lshl_or_b32 v45, v66, 3, v39
	v_lshl_or_b32 v39, v41, 3, v39
	v_lshlrev_b32_e32 v42, 2, v42
	s_mul_i32 s3, s3, s12
	s_mul_hi_u32 s20, s53, s12
	v_lshlrev_b32_e32 v38, 2, v66
	v_or_b32_e32 v79, 0xa000, v39
	v_or_b32_e32 v80, 0xb000, v39
	v_xor_b32_e32 v39, 0x440, v42
	v_cmp_eq_u32_e32 vcc, 0, v5
	v_xor_b32_e32 v43, v69, v38
	v_xor_b32_e32 v44, v70, v38
	v_cndmask_b32_e32 v5, v39, v42, vcc
	s_add_i32 s67, s20, s3
	s_add_i32 s3, s46, s33
	s_mov_b32 s64, 0x1000504
	v_lshlrev_b32_e32 v40, 8, v66
	v_lshlrev_b32_e32 v43, 1, v43
	;; [unrolled: 1-line block ×3, first 2 shown]
	v_lshl_or_b32 v4, v4, 10, v5
	s_add_i32 s37, s3, s50
	s_add_i32 s3, s48, s47
	s_mov_b32 s65, 0x3020706
	v_or_b32_e32 v77, 0xa000, v45
	v_or_b32_e32 v78, 0xb000, v45
	;; [unrolled: 1-line block ×4, first 2 shown]
	v_xor_b32_e32 v5, 8, v4
	v_xor_b32_e32 v40, 24, v4
	;; [unrolled: 1-line block ×4, first 2 shown]
	s_add_i32 s39, s3, s49
	s_lshl_b64 s[20:21], s[36:37], 2
	v_xor_b32_e32 v39, 16, v4
	v_xor_b32_e32 v42, 32, v4
	;; [unrolled: 1-line block ×3, first 2 shown]
	v_add_u32_e32 v5, 0x80, v5
	v_add_u32_e32 v40, 0x80, v40
	;; [unrolled: 1-line block ×4, first 2 shown]
	s_add_u32 s3, s10, s20
	s_addc_u32 s22, s11, s21
	s_lshl_b64 s[20:21], s[38:39], 2
	s_add_u32 s42, s3, s20
	s_movk_i32 s3, 0xf8
	s_addc_u32 s43, s22, s21
	s_lshl_b32 s26, s15, 7
	s_movk_i32 s24, 0x100
	v_mov_b32_e32 v59, 0
	v_lshlrev_b32_e32 v58, 4, v66
	v_cmp_gt_u32_e32 vcc, s24, v0
	v_ashrrev_i32_e32 v57, 31, v56
	s_mov_b32 s63, 0
	s_mul_i32 s66, s53, s12
	s_movk_i32 s37, 0x1000
	s_movk_i32 s22, 0x4000
	v_lshl_add_u64 v[60:61], v[56:57], 1, s[8:9]
	v_mov_b32_e32 v105, 0x3fb8aa3b
	s_mov_b32 s68, 0
	s_waitcnt vmcnt(1)
	v_perm_b32 v48, v6, v14, s64
	s_waitcnt vmcnt(0)
	v_perm_b32 v49, v10, v34, s64
	v_perm_b32 v6, v6, v14, s65
	;; [unrolled: 1-line block ×15, first 2 shown]
	ds_write2st64_b32 v4, v48, v49 offset0:32 offset1:64
	ds_write2st64_b32 v5, v6, v10 offset0:32 offset1:64
	;; [unrolled: 1-line block ×8, first 2 shown]
	v_lshlrev_b32_e32 v4, 8, v41
	v_or_b32_e32 v83, v4, v43
	v_or_b32_e32 v84, v4, v44
	;; [unrolled: 1-line block ×3, first 2 shown]
	v_lshlrev_b32_e32 v4, 3, v4
	v_lshrrev_b32_e32 v7, 5, v51
	v_and_or_b32 v7, v4, s3, v7
	v_lshlrev_b32_e32 v7, 4, v7
	v_lshlrev_b32_e32 v5, 11, v1
	v_and_b32_e32 v4, 0x78, v4
	v_or_b32_e32 v12, 32, v7
	v_and_b32_e32 v6, 0x1000, v5
	v_lshrrev_b32_e32 v9, 1, v0
	v_xor_b32_e32 v12, v12, v4
	v_and_b32_e32 v10, 8, v9
	v_or_b32_e32 v12, v12, v6
	v_xor_b32_e32 v8, v7, v4
	v_xor_b32_e32 v87, v12, v10
	v_or_b32_e32 v12, 64, v7
	v_or_b32_e32 v7, 0x60, v7
	s_ashr_i32 s3, s2, 31
	v_xor_b32_e32 v12, v12, v4
	v_xor_b32_e32 v4, v7, v4
	s_lshl_b64 s[20:21], s[2:3], 8
	v_or_b32_e32 v8, v8, v6
	v_or_b32_e32 v12, v12, v6
	;; [unrolled: 1-line block ×3, first 2 shown]
	s_add_u32 s20, s18, s20
	v_lshlrev_b32_e32 v6, 1, v66
	v_xor_b32_e32 v89, v12, v10
	v_lshrrev_b32_e32 v12, 4, v0
	s_addc_u32 s21, s19, s21
	v_or_b32_e32 v7, 1, v6
	v_mov_b32_e32 v16, 0x4000
	v_mov_b32_e32 v17, 0x2000
	v_xor_b32_e32 v13, v12, v6
	v_xor_b32_e32 v14, v7, v12
	v_lshl_add_u64 v[6:7], s[20:21], 0, v[58:59]
	v_lshlrev_b32_e32 v58, 8, v12
	v_cndmask_b32_e32 v16, v16, v17, vcc
	v_lshlrev_b32_e32 v17, 3, v1
	v_and_b32_e32 v9, 24, v9
	v_lshl_or_b32 v93, v13, 3, v58
	v_and_b32_e32 v13, 8, v0
	v_xor_b32_e32 v34, v17, v9
	v_or_b32_e32 v35, 0x440, v34
	v_cmp_eq_u32_e32 vcc, 0, v13
	v_and_b32_e32 v12, 7, v0
	v_xor_b32_e32 v85, v8, v10
	v_cndmask_b32_e32 v13, v35, v34, vcc
	v_lshlrev_b32_e32 v8, 7, v65
	v_lshl_or_b32 v94, v14, 3, v58
	v_lshlrev_b32_e32 v14, 3, v12
	v_lshlrev_b32_e32 v12, 7, v12
	;; [unrolled: 1-line block ×3, first 2 shown]
	v_or_b32_e32 v13, v13, v5
	v_or_b32_e32 v11, v8, v38
	v_xad_u32 v95, v13, v14, v12
	v_and_or_b32 v8, v15, 60, v8
	v_mov_b32_e32 v13, 0xb000
	v_lshl_or_b32 v96, v8, 1, v13
	v_or_b32_e32 v8, 32, v9
	v_xor_b32_e32 v8, v17, v8
	v_or_b32_e32 v13, 0x440, v8
	v_cndmask_b32_e32 v8, v13, v8, vcc
	v_or_b32_e32 v8, v8, v5
	v_xad_u32 v97, v8, v14, v12
	v_or_b32_e32 v8, 64, v9
	v_xor_b32_e32 v8, v17, v8
	v_xor_b32_e32 v13, 0x440, v8
	v_cndmask_b32_e32 v8, v13, v8, vcc
	v_or_b32_e32 v8, v8, v5
	v_xad_u32 v98, v8, v14, v12
	v_or_b32_e32 v8, 0x60, v9
	v_xor_b32_e32 v8, v17, v8
	v_xor_b32_e32 v9, 0x440, v8
	v_cndmask_b32_e32 v8, v9, v8, vcc
	v_lshlrev_b32_e32 v11, 1, v11
	v_or_b32_e32 v5, v8, v5
	v_or_b32_e32 v86, 0xa000, v11
	;; [unrolled: 1-line block ×3, first 2 shown]
	v_xor_b32_e32 v90, v4, v10
	v_or_b32_e32 v91, 0xb000, v11
	v_or_b32_e32 v92, 0xb080, v11
	v_lshlrev_b32_e32 v4, 7, v69
	v_lshlrev_b32_e32 v10, 1, v3
	v_add_lshl_u32 v3, v3, s15, 1
	v_or_b32_e32 v11, 0x100, v2
	v_xad_u32 v99, v5, v14, v12
	v_cndmask_b32_e64 v100, v10, v2, s[0:1]
	v_cndmask_b32_e64 v101, v3, v11, s[0:1]
	v_lshl_add_u64 v[62:63], v[6:7], 0, v[58:59]
	s_mov_b32 s3, 0x7060302
	v_lshlrev_b32_e32 v58, 1, v4
	v_add_u32_e32 v57, v16, v95
	v_add_u32_e32 v102, v16, v97
	;; [unrolled: 1-line block ×4, first 2 shown]
	s_waitcnt lgkmcnt(0)
	s_barrier
	s_branch .LBB378_33
.LBB378_32:                             ;   in Loop: Header=BB378_33 Depth=1
	v_mul_f32_e32 v6, s20, v105
	s_waitcnt vmcnt(2)
	v_exp_f32_e32 v34, v6
	s_nop 1
	v_accvgpr_read_b32 v17, a15
	v_accvgpr_read_b32 v2, a4
	;; [unrolled: 1-line block ×16, first 2 shown]
	v_fma_f32 v16, v32, v34, v16
	v_fmac_f32_e32 v17, v33, v34
	v_fma_f32 v2, v18, v34, v2
	v_fma_f32 v3, v19, v34, v3
	v_fma_f32 v4, v20, v34, v4
	v_fmac_f32_e32 v5, v21, v34
	v_fma_f32 v10, v26, v34, v10
	v_fma_f32 v11, v27, v34, v11
	;; [unrolled: 4-line block ×4, first 2 shown]
	s_add_i32 s63, s63, 64
	v_mov_b64_e32 v[32:33], v[16:17]
	s_cmp_eq_u32 s54, s39
	s_mov_b32 s68, s39
	v_mov_b64_e32 v[30:31], v[14:15]
	v_mov_b64_e32 v[28:29], v[12:13]
	v_mov_b64_e32 v[26:27], v[10:11]
	v_mov_b64_e32 v[24:25], v[8:9]
	v_mov_b64_e32 v[22:23], v[6:7]
	v_mov_b64_e32 v[20:21], v[4:5]
	v_mov_b64_e32 v[18:19], v[2:3]
	s_cbranch_scc1 .LBB378_4
.LBB378_33:                             ; =>This Inner Loop Header: Depth=1
	s_add_i32 s39, s68, 1
	s_cmp_lt_i32 s39, s54
	s_mov_b64 s[24:25], 0
	s_cselect_b64 s[44:45], -1, 0
	s_cmp_ge_i32 s39, s54
	s_mov_b64 s[20:21], 0
	s_cbranch_scc1 .LBB378_35
; %bb.34:                               ;   in Loop: Header=BB378_33 Depth=1
	s_add_i32 s0, s63, 64
	s_add_u32 s0, s16, s0
	s_addc_u32 s1, s17, 0
	s_lshl_b64 s[0:1], s[0:1], 8
	s_add_u32 s20, s6, s0
	s_addc_u32 s21, s7, s1
.LBB378_35:                             ;   in Loop: Header=BB378_33 Depth=1
	v_cndmask_b32_e64 v2, 0, 1, s[44:45]
	v_cmp_ne_u32_e64 s[0:1], 1, v2
	s_andn2_b64 vcc, exec, s[44:45]
	s_cbranch_vccnz .LBB378_37
; %bb.36:                               ;   in Loop: Header=BB378_33 Depth=1
	s_add_i32 s24, s63, 64
	s_add_u32 s24, s66, s24
	s_addc_u32 s25, s67, 0
	s_mul_i32 s27, s24, s56
	s_mul_hi_u32 s44, s24, s60
	s_add_i32 s27, s44, s27
	s_mul_i32 s25, s25, s60
	s_add_i32 s27, s27, s25
	s_mul_i32 s24, s24, s60
	s_add_u32 s24, s24, s57
	s_addc_u32 s25, s27, s61
	s_lshl_b64 s[24:25], s[24:25], 8
	s_add_u32 s24, s4, s24
	s_addc_u32 s25, s5, s25
.LBB378_37:                             ;   in Loop: Header=BB378_33 Depth=1
	v_perm_b32 v3, v21, v20, s3
	v_perm_b32 v2, v19, v18, s3
	;; [unrolled: 1-line block ×4, first 2 shown]
	ds_write_b64 v77, v[2:3]
	ds_write_b64 v78, v[4:5]
	;; [unrolled: 1-line block ×4, first 2 shown]
	v_perm_b32 v3, v29, v28, s3
	v_perm_b32 v2, v27, v26, s3
	;; [unrolled: 1-line block ×4, first 2 shown]
	ds_write_b64 v79, v[2:3]
	ds_write_b64 v80, v[4:5]
	;; [unrolled: 1-line block ×4, first 2 shown]
	s_waitcnt lgkmcnt(0)
	s_barrier
	ds_read_b64 v[6:7], v85 offset:24576
	ds_read2_b64 v[2:5], v86 offset1:16
	ds_read_b64 v[10:11], v88 offset:3072
	ds_read_b64 v[12:13], v86 offset:3072
	;; [unrolled: 1-line block ×3, first 2 shown]
	s_waitcnt lgkmcnt(3)
	v_mfma_f32_16x16x16_bf16 a[0:3], v[6:7], v[2:3], 0
	s_add_i32 s27, s63, 63
	s_mul_i32 s44, s27, s35
	s_mul_hi_u32 s45, s27, s34
	v_mfma_f32_16x16x16_bf16 a[4:7], v[6:7], v[4:5], 0
	ds_read2st64_b64 v[2:5], v86 offset0:2 offset1:4
	ds_read2st64_b64 v[6:9], v88 offset0:2 offset1:4
	s_add_i32 s45, s45, s44
	s_waitcnt lgkmcnt(1)
	v_mfma_f32_16x16x16_bf16 a[0:3], v[14:15], v[2:3], a[0:3]
	s_mul_i32 s44, s27, s34
	s_lshl_b64 s[44:45], s[44:45], 2
	s_add_u32 s44, s42, s44
	s_waitcnt lgkmcnt(0)
	v_mfma_f32_16x16x16_bf16 a[4:7], v[14:15], v[6:7], a[4:7]
	ds_read_b64 v[2:3], v89 offset:24576
	ds_read_b64 v[6:7], v90 offset:24576
	s_addc_u32 s45, s43, s45
	s_and_b64 vcc, exec, s[0:1]
	s_waitcnt lgkmcnt(1)
	v_mfma_f32_16x16x16_bf16 a[0:3], v[2:3], v[4:5], a[0:3]
	v_mov_b32_e32 v108, 0
	v_mov_b32_e32 v107, 0
	;; [unrolled: 1-line block ×3, first 2 shown]
	v_mfma_f32_16x16x16_bf16 a[4:7], v[2:3], v[8:9], a[4:7]
	v_mov_b32_e32 v2, 0
	v_mov_b32_e32 v3, 0
	;; [unrolled: 1-line block ×3, first 2 shown]
	s_waitcnt lgkmcnt(0)
	v_mfma_f32_16x16x16_bf16 a[0:3], v[6:7], v[12:13], a[0:3]
	v_mov_b32_e32 v5, 0
	v_mov_b32_e32 v8, 0
	v_mov_b32_e32 v9, 0
	v_mfma_f32_16x16x16_bf16 a[4:7], v[6:7], v[10:11], a[4:7]
	v_mov_b32_e32 v6, 0
	v_mov_b32_e32 v7, 0
	;; [unrolled: 1-line block ×10, first 2 shown]
	s_cbranch_vccnz .LBB378_39
; %bb.38:                               ;   in Loop: Header=BB378_33 Depth=1
	s_and_b32 s21, s21, 0xffff
	buffer_load_dwordx4 v[14:17], v73, s[20:23], 0 offen
	buffer_load_dwordx4 v[10:13], v73, s[20:23], s62 offen
	;; [unrolled: 1-line block ×4, first 2 shown]
	v_mov_b32_e32 v107, v75
	v_mov_b32_e32 v106, v76
.LBB378_39:                             ;   in Loop: Header=BB378_33 Depth=1
	ds_read_b64 v[38:39], v85 offset:32768
	ds_read2_b64 v[34:37], v91 offset1:16
	ds_read_b64 v[42:43], v87 offset:32768
	ds_read_b64 v[44:45], v89 offset:32768
	;; [unrolled: 1-line block ×3, first 2 shown]
	v_add_u32_e32 v48, s63, v69
	s_waitcnt lgkmcnt(3)
	v_mfma_f32_16x16x16_bf16 a[0:3], v[38:39], v[34:35], a[0:3]
	v_mul_lo_u32 v49, v48, s35
	v_mfma_f32_16x16x16_bf16 a[4:7], v[38:39], v[36:37], a[4:7]
	ds_read2st64_b64 v[34:37], v91 offset0:2 offset1:4
	ds_read2st64_b64 v[38:41], v92 offset0:2 offset1:4
	s_waitcnt lgkmcnt(1)
	v_mfma_f32_16x16x16_bf16 a[0:3], v[42:43], v[34:35], a[0:3]
	v_ashrrev_i32_e32 v34, 31, v48
	v_mul_lo_u32 v109, v34, s34
	v_mad_u64_u32 v[34:35], s[20:21], v48, s34, 0
	v_mfma_f32_16x16x16_bf16 a[0:3], v[44:45], v[36:37], a[0:3]
	v_add_u32_e32 v36, 1, v48
	v_ashrrev_i32_e32 v37, 31, v36
	v_add3_u32 v35, v35, v49, v109
	s_waitcnt lgkmcnt(0)
	v_mfma_f32_16x16x16_bf16 a[4:7], v[42:43], v[38:39], a[4:7]
	v_mul_lo_u32 v38, v37, s34
	v_mul_lo_u32 v39, v36, s35
	v_mad_u64_u32 v[36:37], s[20:21], v36, s34, 0
	v_add3_u32 v37, v37, v39, v38
	v_add_u32_e32 v38, 2, v48
	v_ashrrev_i32_e32 v39, 31, v38
	v_mul_lo_u32 v42, v39, s34
	v_mul_lo_u32 v43, v38, s35
	v_mad_u64_u32 v[38:39], s[20:21], v38, s34, 0
	v_add3_u32 v39, v39, v43, v42
	v_add_u32_e32 v42, 3, v48
	v_ashrrev_i32_e32 v43, 31, v42
	v_mul_lo_u32 v48, v43, s34
	v_mul_lo_u32 v49, v42, s35
	v_mad_u64_u32 v[42:43], s[20:21], v42, s34, 0
	s_add_u32 s20, s16, s63
	s_addc_u32 s21, s17, 0
	s_lshl_b64 s[20:21], s[20:21], 8
	v_lshl_add_u64 v[34:35], v[34:35], 2, s[42:43]
	v_lshl_add_u64 v[36:37], v[36:37], 2, s[42:43]
	v_add3_u32 v43, v43, v49, v48
	v_lshl_add_u64 v[48:49], v[60:61], 0, s[20:21]
	v_lshl_add_u64 v[38:39], v[38:39], 2, s[42:43]
	;; [unrolled: 1-line block ×3, first 2 shown]
	global_load_dword v109, v[34:35], off
	global_load_ushort v110, v[48:49], off offset:256
	global_load_ushort v111, v[48:49], off
	global_load_ushort v112, v[48:49], off offset:768
	global_load_ushort v113, v[48:49], off offset:512
	v_lshl_add_u64 v[34:35], v[42:43], 2, s[42:43]
	global_load_dword v114, v[36:37], off
	global_load_dword v115, v[38:39], off
	;; [unrolled: 1-line block ×3, first 2 shown]
	ds_read_b64 v[34:35], v91 offset:3072
	ds_read_b64 v[36:37], v92 offset:3072
	global_load_ushort v117, v[48:49], off offset:800
	global_load_ushort v118, v[48:49], off offset:544
	;; [unrolled: 1-line block ×3, first 2 shown]
	s_nop 0
	global_load_ushort v48, v[48:49], off offset:32
	s_load_dword s20, s[44:45], 0x0
	v_mfma_f32_16x16x16_bf16 a[4:7], v[44:45], v[40:41], a[4:7]
	s_and_b64 vcc, exec, s[0:1]
	v_mov_b32_e32 v49, 0
	s_waitcnt vmcnt(11) lgkmcnt(0)
	v_sub_f32_e32 v44, s20, v109
	v_mfma_f32_16x16x16_bf16 a[0:3], v[46:47], v[34:35], a[0:3]
	v_mul_f32_e32 v44, 0x3fb8aa3b, v44
	v_exp_f32_e32 v44, v44
	s_waitcnt vmcnt(6)
	v_sub_f32_e32 v45, s20, v114
	v_mfma_f32_16x16x16_bf16 a[4:7], v[46:47], v[36:37], a[4:7]
	s_waitcnt vmcnt(5)
	v_sub_f32_e32 v46, s20, v115
	s_waitcnt vmcnt(4)
	v_sub_f32_e32 v47, s20, v116
	v_mul_f32_e32 v45, 0x3fb8aa3b, v45
	v_mul_f32_e32 v46, 0x3fb8aa3b, v46
	;; [unrolled: 1-line block ×3, first 2 shown]
	v_exp_f32_e32 v45, v45
	v_exp_f32_e32 v46, v46
	;; [unrolled: 1-line block ×3, first 2 shown]
	v_accvgpr_read_b32 v39, a1
	v_accvgpr_read_b32 v35, a3
	;; [unrolled: 1-line block ×4, first 2 shown]
	v_lshlrev_b32_e32 v41, 16, v110
	v_lshlrev_b32_e32 v40, 16, v111
	;; [unrolled: 1-line block ×4, first 2 shown]
	v_pk_add_f32 v[38:39], v[40:41], v[38:39] neg_lo:[0,1] neg_hi:[0,1]
	v_pk_add_f32 v[34:35], v[42:43], v[34:35] neg_lo:[0,1] neg_hi:[0,1]
	v_pk_mul_f32 v[38:39], v[44:45], v[38:39]
	v_pk_mul_f32 v[34:35], v[46:47], v[34:35]
	v_accvgpr_read_b32 v41, a5
	v_perm_b32 v35, v35, v34, s3
	v_perm_b32 v34, v39, v38, s3
	s_waitcnt vmcnt(1)
	v_lshlrev_b32_e32 v39, 16, v119
	s_waitcnt vmcnt(0)
	v_lshlrev_b32_e32 v38, 16, v48
	v_accvgpr_read_b32 v40, a4
	v_accvgpr_read_b32 v37, a7
	;; [unrolled: 1-line block ×3, first 2 shown]
	v_pk_add_f32 v[38:39], v[38:39], v[40:41] neg_lo:[0,1] neg_hi:[0,1]
	v_lshlrev_b32_e32 v41, 16, v117
	v_lshlrev_b32_e32 v40, 16, v118
	v_pk_add_f32 v[36:37], v[40:41], v[36:37] neg_lo:[0,1] neg_hi:[0,1]
	v_pk_mul_f32 v[38:39], v[44:45], v[38:39]
	v_pk_mul_f32 v[36:37], v[46:47], v[36:37]
	v_mov_b32_e32 v109, 0
	v_perm_b32 v37, v37, v36, s3
	v_perm_b32 v36, v39, v38, s3
	ds_write2_b64 v78, v[34:35], v[36:37] offset1:16
	v_mov_b32_e32 v34, 0
	v_mov_b32_e32 v35, 0
	;; [unrolled: 1-line block ×15, first 2 shown]
	s_cbranch_vccnz .LBB378_41
; %bb.40:                               ;   in Loop: Header=BB378_33 Depth=1
	s_and_b32 s25, s25, 0xffff
	s_mov_b32 s27, s23
	buffer_load_dwordx4 v[46:49], v100, s[24:27], 0 offen
	buffer_load_dwordx4 v[38:41], v100, s[24:27], s62 offen
	;; [unrolled: 1-line block ×4, first 2 shown]
	v_mov_b32_e32 v108, v72
	v_mov_b32_e32 v109, v71
.LBB378_41:                             ;   in Loop: Header=BB378_33 Depth=1
	s_waitcnt lgkmcnt(0)
	s_barrier
	ds_read_b64 v[114:115], v57
	ds_read_b64 v[122:123], v96
	;; [unrolled: 1-line block ×5, first 2 shown]
	ds_read_b64 v[128:129], v97 offset:16384
	ds_read_b64 v[130:131], v95 offset:16384
	ds_read2_b64 v[110:113], v91 offset0:16 offset1:128
	s_waitcnt lgkmcnt(6)
	v_mfma_f32_16x16x16_bf16 a[0:3], v[114:115], v[122:123], 0
	ds_read_b64 v[132:133], v92 offset:3072
	ds_read_b64 v[134:135], v99 offset:16384
	s_add_i32 s21, s58, s68
	s_waitcnt lgkmcnt(2)
	v_mfma_f32_16x16x16_bf16 a[4:7], v[114:115], v[110:111], 0
	ds_read2st64_b64 v[114:117], v92 offset0:2 offset1:4
	s_mul_hi_i32 s25, s21, s13
	s_mul_i32 s21, s21, s13
	v_mfma_f32_16x16x16_bf16 a[0:3], v[118:119], v[112:113], a[0:3]
	s_add_u32 s24, s21, s51
	s_addc_u32 s25, s25, s55
	s_lshl_b64 s[24:25], s[24:25], 15
	s_waitcnt lgkmcnt(0)
	v_mfma_f32_16x16x16_bf16 a[4:7], v[118:119], v[114:115], a[4:7]
	ds_read2st64_b64 v[118:121], v91 offset0:4 offset1:6
	s_waitcnt lgkmcnt(0)
	v_mfma_f32_16x16x16_bf16 a[0:3], v[124:125], v[118:119], a[0:3]
	v_mfma_f32_16x16x16_bf16 a[8:11], v[124:125], v[116:117], a[4:7]
	;; [unrolled: 1-line block ×5, first 2 shown]
	ds_read2st64_b64 v[122:125], v94 offset1:8
	v_mfma_f32_16x16x16_bf16 a[12:15], v[130:131], v[110:111], 0
	ds_read_b64 v[130:131], v98 offset:16384
	v_mfma_f32_16x16x16_bf16 a[8:11], v[128:129], v[112:113], a[8:11]
	ds_read2st64_b64 v[110:113], v93 offset1:8
	s_waitcnt lgkmcnt(0)
	v_mov_b32_e32 v126, v110
	v_mfma_f32_16x16x16_bf16 a[12:15], v[128:129], v[114:115], a[12:15]
	v_lshl_add_u64 v[114:115], v[62:63], 0, s[24:25]
	v_add_co_u32_e32 v110, vcc, s37, v114
	v_mfma_f32_16x16x16_bf16 a[8:11], v[130:131], v[118:119], a[8:11]
	v_mov_b32_e32 v127, v111
	v_addc_co_u32_e32 v111, vcc, 0, v115, vcc
	v_mfma_f32_16x16x16_bf16 a[12:15], v[130:131], v[116:117], a[12:15]
	v_mov_b32_e32 v128, v122
	v_mov_b32_e32 v129, v123
	;; [unrolled: 1-line block ×3, first 2 shown]
	v_mfma_f32_16x16x16_bf16 a[8:11], v[134:135], v[120:121], a[8:11]
	v_mov_b32_e32 v123, v113
	s_and_b64 vcc, exec, s[0:1]
	global_store_dwordx4 v[114:115], v[126:129], off
	v_mfma_f32_16x16x16_bf16 a[12:15], v[134:135], v[132:133], a[12:15]
	global_store_dwordx4 v[110:111], v[122:125], off
	s_cbranch_vccnz .LBB378_32
; %bb.42:                               ;   in Loop: Header=BB378_33 Depth=1
	v_lshrrev_b32_e32 v110, 3, v108
	v_and_b32_e32 v110, 6, v110
	v_xor_b32_e32 v109, v110, v109
	v_lshlrev_b32_e32 v109, 2, v109
	v_and_b32_e32 v108, 8, v108
	v_xor_b32_e32 v111, 0x440, v109
	v_cmp_eq_u32_e32 vcc, 0, v108
	s_barrier
	s_nop 0
	v_cndmask_b32_e32 v108, v111, v109, vcc
	v_lshl_or_b32 v108, v110, 10, v108
	s_waitcnt vmcnt(3)
	v_perm_b32 v109, v46, v42, s64
	s_waitcnt vmcnt(2)
	v_perm_b32 v110, v38, v34, s64
	ds_write2st64_b32 v108, v109, v110 offset0:32 offset1:64
	v_xor_b32_e32 v109, 8, v108
	v_perm_b32 v42, v46, v42, s65
	v_perm_b32 v34, v38, v34, s65
	v_add_u32_e32 v38, 0x80, v109
	ds_write2st64_b32 v38, v42, v34 offset0:32 offset1:64
	v_xor_b32_e32 v34, 16, v108
	v_perm_b32 v38, v47, v43, s64
	v_perm_b32 v42, v39, v35, s64
	ds_write2st64_b32 v34, v38, v42 offset0:33 offset1:65
	v_xor_b32_e32 v34, 24, v108
	v_perm_b32 v38, v47, v43, s65
	v_perm_b32 v35, v39, v35, s65
	v_add_u32_e32 v34, 0x80, v34
	ds_write2st64_b32 v34, v38, v35 offset0:33 offset1:65
	v_xor_b32_e32 v34, 32, v108
	v_perm_b32 v35, v48, v44, s64
	;; [unrolled: 9-line block ×3, first 2 shown]
	v_perm_b32 v36, v41, v37, s64
	ds_write2st64_b32 v34, v35, v36 offset0:35 offset1:67
	v_xor_b32_e32 v34, 56, v108
	v_perm_b32 v35, v49, v45, s65
	v_perm_b32 v36, v41, v37, s65
	v_add_u32_e32 v34, 0x80, v34
	ds_write2st64_b32 v34, v35, v36 offset0:35 offset1:67
	ds_write_b64 v107, v[14:15] offset:24576
	v_xor_b32_e32 v14, 8, v107
	ds_write_b64 v14, v[16:17] offset:24576
	ds_write_b64 v107, v[10:11] offset:32768
	;; [unrolled: 1-line block ×4, first 2 shown]
	v_xor_b32_e32 v6, 8, v106
	ds_write_b64 v6, v[8:9] offset:24576
	ds_write_b64 v106, v[2:3] offset:32768
	;; [unrolled: 1-line block ×3, first 2 shown]
	s_branch .LBB378_32
.LBB378_43:
                                        ; implicit-def: $vgpr21
                                        ; implicit-def: $vgpr25
                                        ; implicit-def: $vgpr29
                                        ; implicit-def: $vgpr33
	s_cbranch_execz .LBB378_45
; %bb.44:
	s_waitcnt vmcnt(0)
	v_mad_u64_u32 v[18:19], s[0:1], v36, s15, v[34:35]
	v_lshlrev_b32_e32 v36, 1, v18
	s_lshl_b32 s2, s15, 7
	s_and_b32 s1, s5, 0xffff
	s_mov_b32 s3, 0x20000
	s_mov_b32 s0, s4
	v_add_lshl_u32 v37, v18, s15, 1
	s_movk_i32 s13, 0x80
	buffer_load_dwordx4 v[18:21], v36, s[0:3], 0 offen
	buffer_load_dwordx4 v[26:29], v36, s[0:3], s13 offen
	buffer_load_dwordx4 v[22:25], v37, s[0:3], 0 offen
	buffer_load_dwordx4 v[30:33], v37, s[0:3], s13 offen
.LBB378_45:
	v_lshrrev_b32_e32 v47, 2, v51
	s_cbranch_execnz .LBB378_58
.LBB378_46:
	s_and_b64 vcc, exec, s[6:7]
	s_cbranch_vccz .LBB378_56
; %bb.47:
	s_waitcnt vmcnt(0)
	v_lshlrev_b32_e32 v23, 1, v42
	v_cmp_gt_i32_e32 vcc, s27, v23
	v_mov_b32_e32 v22, 0
	v_lshlrev_b32_e32 v30, 9, v42
	v_mov_b32_e32 v18, 0
	v_mov_b32_e32 v19, 0
	;; [unrolled: 1-line block ×4, first 2 shown]
	s_and_saveexec_b64 s[0:1], vcc
	s_cbranch_execz .LBB378_49
; %bb.48:
	v_mov_b32_e32 v31, 0
	v_lshl_add_u64 v[18:19], s[4:5], 0, v[30:31]
	v_lshlrev_b32_e32 v20, 1, v34
	v_mov_b32_e32 v21, v31
	v_lshl_add_u64 v[18:19], v[18:19], 0, v[20:21]
	global_load_dwordx4 v[18:21], v[18:19], off
.LBB378_49:
	s_or_b64 exec, exec, s[0:1]
	v_or_b32_e32 v23, 1, v23
	v_cmp_gt_i32_e64 s[0:1], s27, v23
	v_lshlrev_b32_e32 v36, 8, v23
	v_mov_b32_e32 v23, 0
	v_mov_b32_e32 v24, 0
	;; [unrolled: 1-line block ×3, first 2 shown]
	s_and_saveexec_b64 s[2:3], s[0:1]
	s_cbranch_execz .LBB378_51
; %bb.50:
	v_mov_b32_e32 v37, 0
	v_lshl_add_u64 v[22:23], s[4:5], 0, v[36:37]
	v_lshlrev_b32_e32 v24, 1, v34
	v_mov_b32_e32 v25, v37
	v_lshl_add_u64 v[22:23], v[22:23], 0, v[24:25]
	global_load_dwordx4 v[22:25], v[22:23], off
.LBB378_51:
	s_or_b64 exec, exec, s[2:3]
	v_mov_b32_e32 v33, 0
	v_mov_b32_e32 v26, 0
	;; [unrolled: 1-line block ×5, first 2 shown]
	s_and_saveexec_b64 s[2:3], vcc
	s_cbranch_execz .LBB378_53
; %bb.52:
	v_mov_b32_e32 v31, 0
	v_lshl_add_u64 v[26:27], s[4:5], 0, v[30:31]
	v_lshlrev_b32_e32 v30, 1, v34
	v_lshl_add_u64 v[26:27], v[26:27], 0, v[30:31]
	global_load_dwordx4 v[26:29], v[26:27], off offset:128
.LBB378_53:
	s_or_b64 exec, exec, s[2:3]
	v_mov_b32_e32 v32, 0
	v_mov_b32_e32 v31, 0
	;; [unrolled: 1-line block ×3, first 2 shown]
	s_and_saveexec_b64 s[2:3], s[0:1]
	s_cbranch_execz .LBB378_55
; %bb.54:
	v_mov_b32_e32 v37, 0
	v_lshl_add_u64 v[30:31], s[4:5], 0, v[36:37]
	v_lshlrev_b32_e32 v36, 1, v34
	v_lshl_add_u64 v[30:31], v[30:31], 0, v[36:37]
	global_load_dwordx4 v[30:33], v[30:31], off offset:128
.LBB378_55:
	s_or_b64 exec, exec, s[2:3]
	s_branch .LBB378_58
.LBB378_56:
                                        ; implicit-def: $vgpr21
                                        ; implicit-def: $vgpr25
                                        ; implicit-def: $vgpr29
                                        ; implicit-def: $vgpr33
	s_cbranch_execz .LBB378_58
; %bb.57:
	s_waitcnt vmcnt(0)
	v_lshlrev_b32_e32 v18, 1, v34
	v_lshl_or_b32 v34, v42, 9, v18
	s_and_b32 s5, s5, 0xffff
	s_mov_b32 s7, 0x20000
	s_movk_i32 s6, 0x4000
	s_movk_i32 s0, 0x80
	buffer_load_dwordx4 v[18:21], v34, s[4:7], 0 offen
	buffer_load_dwordx4 v[22:25], v34, s[4:7], 0 offen offset:256
	buffer_load_dwordx4 v[26:29], v34, s[4:7], s0 offen
	buffer_load_dwordx4 v[30:33], v34, s[4:7], s0 offen offset:256
.LBB378_58:
	ds_read_b64 v[36:37], v43 offset:32768
	v_add_u32_e32 v34, 0xb000, v40
	ds_read2_b64 v[58:61], v34 offset1:16
	ds_read_b64 v[48:49], v44 offset:32768
	ds_read_b64 v[44:45], v45 offset:32768
	;; [unrolled: 1-line block ×3, first 2 shown]
	v_and_b32_e32 v34, 6, v0
	v_xor_b32_e32 v42, v42, v34
	v_lshlrev_b32_e32 v42, 2, v42
	v_and_b32_e32 v43, 1, v0
	v_xor_b32_e32 v46, 0x440, v42
	v_cmp_eq_u32_e32 vcc, 0, v43
	s_waitcnt lgkmcnt(3)
	v_mfma_f32_16x16x16_bf16 a[0:3], v[36:37], v[58:59], a[0:3]
	s_mov_b32 s0, 0x1000504
	v_cndmask_b32_e32 v42, v46, v42, vcc
	v_lshl_or_b32 v34, v34, 10, v42
	v_mfma_f32_16x16x16_bf16 a[4:7], v[36:37], v[60:61], a[4:7]
	ds_read2st64_b64 v[58:61], v40 offset0:90 offset1:92
	ds_read2st64_b64 v[66:69], v41 offset0:90 offset1:92
	s_waitcnt vmcnt(0)
	v_perm_b32 v42, v18, v22, s0
	s_mov_b32 s1, 0x3020706
	s_waitcnt lgkmcnt(1)
	v_mfma_f32_16x16x16_bf16 a[0:3], v[48:49], v[58:59], a[0:3]
	ds_read_b64 v[36:37], v40 offset:48128
	ds_read_b64 v[58:59], v41 offset:48128
	v_perm_b32 v18, v18, v22, s1
	v_perm_b32 v22, v26, v30, s1
	s_waitcnt lgkmcnt(2)
	v_mfma_f32_16x16x16_bf16 a[4:7], v[48:49], v[66:67], a[4:7]
	v_mfma_f32_16x16x16_bf16 a[0:3], v[44:45], v[60:61], a[0:3]
	;; [unrolled: 1-line block ×3, first 2 shown]
	s_waitcnt lgkmcnt(1)
	v_mfma_f32_16x16x16_bf16 a[4:7], v[62:63], v[36:37], a[0:3]
	v_perm_b32 v36, v26, v30, s0
	ds_write2st64_b32 v34, v42, v36 offset0:32 offset1:64
	v_xor_b32_e32 v36, 8, v34
	v_add_u32_e32 v26, 0x80, v36
	ds_write2st64_b32 v26, v18, v22 offset0:32 offset1:64
	v_xor_b32_e32 v18, 16, v34
	v_perm_b32 v22, v19, v23, s0
	v_perm_b32 v26, v27, v31, s0
	ds_write2st64_b32 v18, v22, v26 offset0:33 offset1:65
	v_xor_b32_e32 v18, 24, v34
	v_perm_b32 v19, v19, v23, s1
	v_perm_b32 v22, v27, v31, s1
	v_add_u32_e32 v18, 0x80, v18
	ds_write2st64_b32 v18, v19, v22 offset0:33 offset1:65
	v_xor_b32_e32 v18, 32, v34
	v_perm_b32 v19, v20, v24, s0
	v_perm_b32 v22, v28, v32, s0
	ds_write2st64_b32 v18, v19, v22 offset0:34 offset1:66
	v_xor_b32_e32 v18, 40, v34
	s_waitcnt lgkmcnt(5)
	v_mfma_f32_16x16x16_bf16 a[0:3], v[62:63], v[58:59], a[8:11]
	v_perm_b32 v19, v20, v24, s1
	v_perm_b32 v20, v28, v32, s1
	v_add_u32_e32 v18, 0x80, v18
	ds_write2st64_b32 v18, v19, v20 offset0:34 offset1:66
	v_xor_b32_e32 v18, 48, v34
	v_perm_b32 v19, v21, v25, s0
	v_perm_b32 v20, v29, v33, s0
	ds_write2st64_b32 v18, v19, v20 offset0:35 offset1:67
	v_xor_b32_e32 v18, 56, v34
	v_and_or_b32 v36, v47, 12, v64
	v_perm_b32 v19, v21, v25, s1
	v_perm_b32 v20, v29, v33, s1
	v_add_u32_e32 v18, 0x80, v18
	v_cmp_gt_i32_e32 vcc, s27, v36
	v_mov_b32_e32 v32, 0
	v_mov_b32_e32 v34, 0
	ds_write2st64_b32 v18, v19, v20 offset0:35 offset1:67
	s_and_saveexec_b64 s[0:1], vcc
	s_cbranch_execz .LBB378_60
; %bb.59:
	v_add_u32_e32 v18, s26, v36
	v_ashrrev_i32_e32 v19, 31, v18
	v_mul_lo_u32 v20, v19, s34
	v_mul_lo_u32 v21, v18, s35
	v_mad_u64_u32 v[18:19], s[2:3], v18, s34, 0
	v_add3_u32 v19, v19, v21, v20
	v_lshl_add_u64 v[18:19], v[18:19], 2, s[10:11]
	global_load_dword v18, v[18:19], off
	s_waitcnt vmcnt(0)
	v_sub_f32_e32 v18, s12, v18
	v_mul_f32_e32 v18, 0x3fb8aa3b, v18
	v_exp_f32_e32 v34, v18
.LBB378_60:
	s_or_b64 exec, exec, s[0:1]
	v_or_b32_e32 v26, 1, v36
	v_cmp_gt_i32_e64 s[0:1], s27, v26
	s_and_saveexec_b64 s[2:3], s[0:1]
	s_cbranch_execz .LBB378_62
; %bb.61:
	v_add_u32_e32 v18, s26, v26
	v_ashrrev_i32_e32 v19, 31, v18
	v_mul_lo_u32 v20, v19, s34
	v_mul_lo_u32 v21, v18, s35
	v_mad_u64_u32 v[18:19], s[4:5], v18, s34, 0
	v_add3_u32 v19, v19, v21, v20
	v_lshl_add_u64 v[18:19], v[18:19], 2, s[10:11]
	global_load_dword v18, v[18:19], off
	s_waitcnt vmcnt(0)
	v_sub_f32_e32 v18, s12, v18
	v_mul_f32_e32 v18, 0x3fb8aa3b, v18
	v_exp_f32_e32 v32, v18
.LBB378_62:
	s_or_b64 exec, exec, s[2:3]
	v_or_b32_e32 v27, 2, v36
	v_cmp_gt_i32_e64 s[2:3], s27, v27
	v_mov_b32_e32 v33, 0
	v_mov_b32_e32 v37, 0
	s_and_saveexec_b64 s[4:5], s[2:3]
	s_cbranch_execz .LBB378_64
; %bb.63:
	v_add_u32_e32 v18, s26, v27
	v_ashrrev_i32_e32 v19, 31, v18
	v_mul_lo_u32 v20, v19, s34
	v_mul_lo_u32 v21, v18, s35
	v_mad_u64_u32 v[18:19], s[6:7], v18, s34, 0
	v_add3_u32 v19, v19, v21, v20
	v_lshl_add_u64 v[18:19], v[18:19], 2, s[10:11]
	global_load_dword v18, v[18:19], off
	s_waitcnt vmcnt(0)
	v_sub_f32_e32 v18, s12, v18
	v_mul_f32_e32 v18, 0x3fb8aa3b, v18
	v_exp_f32_e32 v37, v18
.LBB378_64:
	s_or_b64 exec, exec, s[4:5]
	v_or_b32_e32 v42, 3, v36
	v_cmp_gt_i32_e64 s[4:5], s27, v42
	s_and_saveexec_b64 s[6:7], s[4:5]
	s_cbranch_execz .LBB378_66
; %bb.65:
	v_add_u32_e32 v18, s26, v42
	v_ashrrev_i32_e32 v19, 31, v18
	v_mul_lo_u32 v20, v19, s34
	v_mul_lo_u32 v21, v18, s35
	v_mad_u64_u32 v[18:19], s[14:15], v18, s34, 0
	v_add3_u32 v19, v19, v21, v20
	v_lshl_add_u64 v[18:19], v[18:19], 2, s[10:11]
	global_load_dword v18, v[18:19], off
	s_waitcnt vmcnt(0)
	v_sub_f32_e32 v18, s12, v18
	v_mul_f32_e32 v18, 0x3fb8aa3b, v18
	v_exp_f32_e32 v33, v18
.LBB378_66:
	s_or_b64 exec, exec, s[6:7]
	s_add_u32 s6, s8, s20
	v_accvgpr_read_b32 v21, a7
	s_addc_u32 s7, s9, s21
	v_ashrrev_i32_e32 v57, 31, v56
	v_accvgpr_read_b32 v20, a6
	v_accvgpr_read_b32 v19, a5
	;; [unrolled: 1-line block ×3, first 2 shown]
	v_lshl_add_u64 v[22:23], v[56:57], 1, s[6:7]
	v_mov_b32_e32 v29, 0
	v_lshlrev_b32_e32 v24, 8, v36
	v_mov_b32_e32 v25, 0
	s_and_saveexec_b64 s[6:7], vcc
	s_cbranch_execz .LBB378_68
; %bb.67:
	v_mov_b32_e32 v25, 0
	v_lshl_add_u64 v[30:31], v[22:23], 0, v[24:25]
	global_load_ushort v25, v[30:31], off
	s_waitcnt vmcnt(0)
	v_lshlrev_b32_e32 v25, 16, v25
	v_sub_f32_e32 v18, v25, v18
	v_mul_f32_e32 v18, v34, v18
	v_lshrrev_b32_e32 v25, 16, v18
.LBB378_68:
	s_or_b64 exec, exec, s[6:7]
	v_lshlrev_b32_e32 v28, 8, v26
	s_and_saveexec_b64 s[6:7], s[0:1]
	s_cbranch_execz .LBB378_70
; %bb.69:
	v_mov_b32_e32 v29, 0
	v_lshl_add_u64 v[30:31], v[22:23], 0, v[28:29]
	global_load_ushort v18, v[30:31], off
	s_waitcnt vmcnt(0)
	v_lshlrev_b32_e32 v18, 16, v18
	v_sub_f32_e32 v18, v18, v19
	v_mul_f32_e32 v18, v32, v18
	v_lshrrev_b32_e32 v29, 16, v18
.LBB378_70:
	s_or_b64 exec, exec, s[6:7]
	v_mov_b32_e32 v43, 0
	v_lshlrev_b32_e32 v30, 8, v27
	v_mov_b32_e32 v31, 0
	s_and_saveexec_b64 s[6:7], s[2:3]
	s_cbranch_execz .LBB378_72
; %bb.71:
	v_mov_b32_e32 v31, 0
	v_lshl_add_u64 v[18:19], v[22:23], 0, v[30:31]
	global_load_ushort v18, v[18:19], off
	s_waitcnt vmcnt(0)
	v_lshlrev_b32_e32 v18, 16, v18
	v_sub_f32_e32 v18, v18, v20
	v_mul_f32_e32 v18, v37, v18
	v_lshrrev_b32_e32 v31, 16, v18
.LBB378_72:
	s_or_b64 exec, exec, s[6:7]
	v_lshlrev_b32_e32 v26, 8, v42
	s_and_saveexec_b64 s[6:7], s[4:5]
	s_cbranch_execz .LBB378_74
; %bb.73:
	v_mov_b32_e32 v27, 0
	v_lshl_add_u64 v[18:19], v[22:23], 0, v[26:27]
	global_load_ushort v18, v[18:19], off
	s_waitcnt vmcnt(0)
	v_lshlrev_b32_e32 v18, 16, v18
	v_sub_f32_e32 v18, v18, v21
	v_mul_f32_e32 v18, v33, v18
	v_lshrrev_b32_e32 v43, 16, v18
.LBB378_74:
	s_or_b64 exec, exec, s[6:7]
	v_lshlrev_b32_e32 v36, 5, v36
	s_mov_b32 s6, 0x5040100
	v_perm_b32 v42, v29, v25, s6
	v_or_b32_e32 v25, v36, v38
	v_accvgpr_read_b32 v21, a3
	v_perm_b32 v43, v43, v31, s6
	v_lshlrev_b32_e32 v25, 1, v25
	v_accvgpr_read_b32 v20, a2
	v_accvgpr_read_b32 v19, a1
	;; [unrolled: 1-line block ×3, first 2 shown]
	ds_write_b64 v25, v[42:43] offset:45056
	v_mov_b32_e32 v29, 0
	v_mov_b32_e32 v25, 0
	s_and_saveexec_b64 s[6:7], vcc
	s_cbranch_execz .LBB378_76
; %bb.75:
	v_mov_b32_e32 v25, 0
	v_lshl_add_u64 v[24:25], v[22:23], 0, v[24:25]
	global_load_ushort v24, v[24:25], off offset:32
	s_waitcnt vmcnt(0)
	v_lshlrev_b32_e32 v24, 16, v24
	v_sub_f32_e32 v18, v24, v18
	v_mul_f32_e32 v18, v34, v18
	v_lshrrev_b32_e32 v25, 16, v18
.LBB378_76:
	s_or_b64 exec, exec, s[6:7]
	s_and_saveexec_b64 s[6:7], s[0:1]
	s_cbranch_execz .LBB378_78
; %bb.77:
	v_mov_b32_e32 v29, 0
	v_lshl_add_u64 v[28:29], v[22:23], 0, v[28:29]
	global_load_ushort v18, v[28:29], off offset:32
	s_waitcnt vmcnt(0)
	v_lshlrev_b32_e32 v18, 16, v18
	v_sub_f32_e32 v18, v18, v19
	v_mul_f32_e32 v18, v32, v18
	v_lshrrev_b32_e32 v29, 16, v18
.LBB378_78:
	s_or_b64 exec, exec, s[6:7]
	v_mov_b32_e32 v24, 0
	v_mov_b32_e32 v28, 0
	s_and_saveexec_b64 s[0:1], s[2:3]
	s_cbranch_execz .LBB378_80
; %bb.79:
	v_mov_b32_e32 v31, 0
	v_lshl_add_u64 v[18:19], v[22:23], 0, v[30:31]
	global_load_ushort v18, v[18:19], off offset:32
	s_waitcnt vmcnt(0)
	v_lshlrev_b32_e32 v18, 16, v18
	v_sub_f32_e32 v18, v18, v20
	v_mul_f32_e32 v18, v37, v18
	v_lshrrev_b32_e32 v28, 16, v18
.LBB378_80:
	s_or_b64 exec, exec, s[0:1]
	v_or_b32_e32 v19, 0xb000, v40
	v_or_b32_e32 v18, 0xb000, v41
	s_and_saveexec_b64 s[0:1], s[4:5]
	s_cbranch_execz .LBB378_82
; %bb.81:
	v_mov_b32_e32 v27, 0
	v_lshl_add_u64 v[22:23], v[22:23], 0, v[26:27]
	global_load_ushort v20, v[22:23], off offset:32
	s_waitcnt vmcnt(0)
	v_lshlrev_b32_e32 v20, 16, v20
	v_sub_f32_e32 v20, v20, v21
	v_mul_f32_e32 v20, v33, v20
	v_lshrrev_b32_e32 v24, 16, v20
.LBB378_82:
	s_or_b64 exec, exec, s[0:1]
	s_mov_b32 s0, 0x5040100
	v_or_b32_e32 v22, v36, v35
	v_perm_b32 v21, v24, v28, s0
	v_perm_b32 v20, v29, v25, s0
	v_lshlrev_b32_e32 v22, 1, v22
	s_movk_i32 s0, 0x100
	ds_write_b64 v22, v[20:21] offset:45056
	v_and_b32_e32 v20, 7, v0
	v_and_b32_e32 v21, 8, v0
	v_cmp_gt_u32_e32 vcc, s0, v0
	v_lshrrev_b32_e32 v0, 1, v0
	v_lshlrev_b32_e32 v37, 3, v1
	v_and_b32_e32 v38, 24, v0
	v_lshlrev_b32_e32 v34, 3, v20
	v_lshlrev_b32_e32 v35, 7, v20
	v_mov_b32_e32 v20, 0x4000
	v_mov_b32_e32 v22, 0x2000
	v_xor_b32_e32 v0, v37, v38
	v_cndmask_b32_e32 v36, v20, v22, vcc
	v_or_b32_e32 v1, 0x440, v0
	v_cmp_eq_u32_e32 vcc, 0, v21
	s_waitcnt lgkmcnt(0)
	s_barrier
	v_cndmask_b32_e32 v0, v1, v0, vcc
	v_or_b32_e32 v0, v0, v39
	v_xad_u32 v40, v0, v34, v35
	v_add_u32_e32 v0, v36, v40
	ds_read_b64 v[0:1], v0
	ds_read2_b64 v[20:23], v19 offset1:16
	v_or_b32_e32 v24, 32, v38
	v_xor_b32_e32 v24, v37, v24
	v_or_b32_e32 v25, 0x440, v24
	v_cndmask_b32_e32 v24, v25, v24, vcc
	s_waitcnt lgkmcnt(0)
	v_mfma_f32_16x16x16_bf16 a[0:3], v[0:1], v[20:21], 0
	v_or_b32_e32 v24, v24, v39
	v_xad_u32 v41, v24, v34, v35
	v_add_u32_e32 v24, v36, v41
	v_mfma_f32_16x16x16_bf16 a[4:7], v[0:1], v[22:23], 0
	v_or_b32_e32 v0, 64, v38
	v_xor_b32_e32 v0, v37, v0
	v_xor_b32_e32 v1, 0x440, v0
	ds_read_b64 v[32:33], v24
	v_cndmask_b32_e32 v0, v1, v0, vcc
	v_or_b32_e32 v0, v0, v39
	v_xad_u32 v42, v0, v34, v35
	v_add_u32_e32 v0, v36, v42
	ds_read_b64 v[0:1], v0
	ds_read2st64_b64 v[24:27], v19 offset0:2 offset1:4
	ds_read2st64_b64 v[28:31], v18 offset0:2 offset1:4
	s_waitcnt lgkmcnt(1)
	v_mfma_f32_16x16x16_bf16 a[0:3], v[32:33], v[24:25], a[0:3]
	s_waitcnt lgkmcnt(0)
	v_mfma_f32_16x16x16_bf16 a[4:7], v[32:33], v[28:29], a[4:7]
	v_or_b32_e32 v32, 0x60, v38
	v_xor_b32_e32 v32, v37, v32
	v_xor_b32_e32 v33, 0x440, v32
	v_cndmask_b32_e32 v32, v33, v32, vcc
	v_or_b32_e32 v32, v32, v39
	v_xad_u32 v37, v32, v34, v35
	v_add_u32_e32 v32, v36, v37
	ds_read_b64 v[32:33], v32
	v_mfma_f32_16x16x16_bf16 a[0:3], v[0:1], v[26:27], a[0:3]
	v_mov_b32_e32 v36, 0x3fb8aa3b
	v_mfma_f32_16x16x16_bf16 a[4:7], v[0:1], v[30:31], a[4:7]
	ds_read_b64 v[0:1], v19 offset:3072
	ds_read_b64 v[34:35], v18 offset:3072
	;; [unrolled: 1-line block ×3, first 2 shown]
	s_waitcnt lgkmcnt(2)
	v_mfma_f32_16x16x16_bf16 a[0:3], v[32:33], v[0:1], a[0:3]
	s_waitcnt lgkmcnt(1)
	v_mfma_f32_16x16x16_bf16 a[4:7], v[32:33], v[34:35], a[4:7]
	ds_read_b64 v[32:33], v41 offset:16384
	s_waitcnt lgkmcnt(1)
	v_mfma_f32_16x16x16_bf16 a[8:11], v[18:19], v[20:21], 0
	v_mul_f32_e32 v20, s12, v36
	v_exp_f32_e32 v36, v20
	v_accvgpr_read_b32 v21, a3
	v_mfma_f32_16x16x16_bf16 a[12:15], v[18:19], v[22:23], 0
	ds_read_b64 v[22:23], v42 offset:16384
	v_accvgpr_read_b32 v18, a0
	v_fma_f32 v18, v2, v36, v18
	v_accvgpr_read_b32 v2, a1
	v_fma_f32 v19, v3, v36, v2
	;; [unrolled: 2-line block ×3, first 2 shown]
	ds_read_b64 v[2:3], v37 offset:16384
	s_waitcnt lgkmcnt(2)
	v_mfma_f32_16x16x16_bf16 a[8:11], v[32:33], v[24:25], a[8:11]
	v_accvgpr_read_b32 v4, a4
	v_fmac_f32_e32 v21, v5, v36
	v_mfma_f32_16x16x16_bf16 a[12:15], v[32:33], v[28:29], a[12:15]
	v_accvgpr_read_b32 v29, a7
	v_fmac_f32_e32 v29, v13, v36
	s_waitcnt lgkmcnt(1)
	v_mfma_f32_16x16x16_bf16 a[0:3], v[22:23], v[26:27], a[8:11]
	v_fma_f32 v26, v10, v36, v4
	v_accvgpr_read_b32 v4, a5
	v_fma_f32 v27, v11, v36, v4
	v_mfma_f32_16x16x16_bf16 a[8:11], v[22:23], v[30:31], a[12:15]
	v_accvgpr_read_b32 v4, a6
	v_fma_f32 v28, v12, v36, v4
	s_waitcnt lgkmcnt(0)
	v_mfma_f32_16x16x16_bf16 a[0:3], v[2:3], v[0:1], a[0:3]
	v_mfma_f32_16x16x16_bf16 a[4:7], v[2:3], v[34:35], a[8:11]
	s_nop 5
	v_accvgpr_read_b32 v0, a0
	v_fma_f32 v22, v6, v36, v0
	v_accvgpr_read_b32 v0, a1
	v_fma_f32 v23, v7, v36, v0
	v_accvgpr_read_b32 v0, a2
	v_fma_f32 v24, v8, v36, v0
	v_accvgpr_read_b32 v0, a4
	v_fma_f32 v30, v14, v36, v0
	v_accvgpr_read_b32 v0, a5
	v_accvgpr_read_b32 v25, a3
	v_fma_f32 v31, v15, v36, v0
	v_accvgpr_read_b32 v0, a6
	v_accvgpr_read_b32 v33, a7
	v_fmac_f32_e32 v25, v9, v36
	v_fma_f32 v32, v16, v36, v0
	v_fmac_f32_e32 v33, v17, v36
	v_mov_b64_e32 v[2:3], v[18:19]
	v_mov_b64_e32 v[4:5], v[20:21]
	v_mov_b64_e32 v[6:7], v[22:23]
	v_mov_b64_e32 v[8:9], v[24:25]
	v_mov_b64_e32 v[10:11], v[26:27]
	v_mov_b64_e32 v[12:13], v[28:29]
	v_mov_b64_e32 v[14:15], v[30:31]
	v_mov_b64_e32 v[16:17], v[32:33]
.LBB378_83:
	s_waitcnt lgkmcnt(0)
	s_add_u32 s0, s30, s28
	s_addc_u32 s1, s31, s29
	v_lshl_add_u64 v[0:1], v[52:53], 1, s[0:1]
	v_mov_b32_e32 v51, 0
	s_mov_b32 s2, 0x7060302
	v_lshl_add_u64 v[0:1], v[0:1], 0, v[50:51]
	v_perm_b32 v5, v5, v4, s2
	v_perm_b32 v4, v3, v2, s2
	;; [unrolled: 1-line block ×4, first 2 shown]
	global_store_dwordx2 v[0:1], v[4:5], off
	global_store_dwordx2 v[0:1], v[2:3], off offset:128
	v_lshl_add_u64 v[0:1], v[54:55], 1, s[0:1]
	v_lshl_add_u64 v[0:1], v[0:1], 0, v[50:51]
	v_perm_b32 v3, v13, v12, s2
	v_perm_b32 v2, v11, v10, s2
	global_store_dwordx2 v[0:1], v[2:3], off
	v_perm_b32 v3, v17, v16, s2
	v_perm_b32 v2, v15, v14, s2
	global_store_dwordx2 v[0:1], v[2:3], off offset:128
	s_endpgm
	.section	.rodata,"a",@progbits
	.p2align	6, 0x0
	.amdhsa_kernel _ZN12_GLOBAL__N_139chunk_gated_delta_rule_fwd_h_hip_kernelILi32ELb1ELb1ELb0ELb0ELb0ELb0ELb0ELb1EEEvPK12hip_bfloat16S3_S3_PKfS5_PKvPS1_S8_PvPKiSB_iiiiilll
		.amdhsa_group_segment_fixed_size 49152
		.amdhsa_private_segment_fixed_size 0
		.amdhsa_kernarg_size 136
		.amdhsa_user_sgpr_count 2
		.amdhsa_user_sgpr_dispatch_ptr 0
		.amdhsa_user_sgpr_queue_ptr 0
		.amdhsa_user_sgpr_kernarg_segment_ptr 1
		.amdhsa_user_sgpr_dispatch_id 0
		.amdhsa_user_sgpr_kernarg_preload_length 0
		.amdhsa_user_sgpr_kernarg_preload_offset 0
		.amdhsa_user_sgpr_private_segment_size 0
		.amdhsa_uses_dynamic_stack 0
		.amdhsa_enable_private_segment 0
		.amdhsa_system_sgpr_workgroup_id_x 1
		.amdhsa_system_sgpr_workgroup_id_y 1
		.amdhsa_system_sgpr_workgroup_id_z 0
		.amdhsa_system_sgpr_workgroup_info 0
		.amdhsa_system_vgpr_workitem_id 0
		.amdhsa_next_free_vgpr 152
		.amdhsa_next_free_sgpr 69
		.amdhsa_accum_offset 136
		.amdhsa_reserve_vcc 1
		.amdhsa_float_round_mode_32 0
		.amdhsa_float_round_mode_16_64 0
		.amdhsa_float_denorm_mode_32 3
		.amdhsa_float_denorm_mode_16_64 3
		.amdhsa_dx10_clamp 1
		.amdhsa_ieee_mode 1
		.amdhsa_fp16_overflow 0
		.amdhsa_tg_split 0
		.amdhsa_exception_fp_ieee_invalid_op 0
		.amdhsa_exception_fp_denorm_src 0
		.amdhsa_exception_fp_ieee_div_zero 0
		.amdhsa_exception_fp_ieee_overflow 0
		.amdhsa_exception_fp_ieee_underflow 0
		.amdhsa_exception_fp_ieee_inexact 0
		.amdhsa_exception_int_div_zero 0
	.end_amdhsa_kernel
	.section	.text._ZN12_GLOBAL__N_139chunk_gated_delta_rule_fwd_h_hip_kernelILi32ELb1ELb1ELb0ELb0ELb0ELb0ELb0ELb1EEEvPK12hip_bfloat16S3_S3_PKfS5_PKvPS1_S8_PvPKiSB_iiiiilll,"axG",@progbits,_ZN12_GLOBAL__N_139chunk_gated_delta_rule_fwd_h_hip_kernelILi32ELb1ELb1ELb0ELb0ELb0ELb0ELb0ELb1EEEvPK12hip_bfloat16S3_S3_PKfS5_PKvPS1_S8_PvPKiSB_iiiiilll,comdat
.Lfunc_end378:
	.size	_ZN12_GLOBAL__N_139chunk_gated_delta_rule_fwd_h_hip_kernelILi32ELb1ELb1ELb0ELb0ELb0ELb0ELb0ELb1EEEvPK12hip_bfloat16S3_S3_PKfS5_PKvPS1_S8_PvPKiSB_iiiiilll, .Lfunc_end378-_ZN12_GLOBAL__N_139chunk_gated_delta_rule_fwd_h_hip_kernelILi32ELb1ELb1ELb0ELb0ELb0ELb0ELb0ELb1EEEvPK12hip_bfloat16S3_S3_PKfS5_PKvPS1_S8_PvPKiSB_iiiiilll
                                        ; -- End function
	.section	.AMDGPU.csdata,"",@progbits
; Kernel info:
; codeLenInByte = 9516
; NumSgprs: 75
; NumVgprs: 136
; NumAgprs: 16
; TotalNumVgprs: 152
; ScratchSize: 0
; MemoryBound: 0
; FloatMode: 240
; IeeeMode: 1
; LDSByteSize: 49152 bytes/workgroup (compile time only)
; SGPRBlocks: 9
; VGPRBlocks: 18
; NumSGPRsForWavesPerEU: 75
; NumVGPRsForWavesPerEU: 152
; AccumOffset: 136
; Occupancy: 1
; WaveLimiterHint : 1
; COMPUTE_PGM_RSRC2:SCRATCH_EN: 0
; COMPUTE_PGM_RSRC2:USER_SGPR: 2
; COMPUTE_PGM_RSRC2:TRAP_HANDLER: 0
; COMPUTE_PGM_RSRC2:TGID_X_EN: 1
; COMPUTE_PGM_RSRC2:TGID_Y_EN: 1
; COMPUTE_PGM_RSRC2:TGID_Z_EN: 0
; COMPUTE_PGM_RSRC2:TIDIG_COMP_CNT: 0
; COMPUTE_PGM_RSRC3_GFX90A:ACCUM_OFFSET: 33
; COMPUTE_PGM_RSRC3_GFX90A:TG_SPLIT: 0
	.section	.text._ZN12_GLOBAL__N_139chunk_gated_delta_rule_fwd_h_hip_kernelILi32ELb1ELb0ELb1ELb0ELb0ELb0ELb0ELb1EEEvPK12hip_bfloat16S3_S3_PKfS5_PKvPS1_S8_PvPKiSB_iiiiilll,"axG",@progbits,_ZN12_GLOBAL__N_139chunk_gated_delta_rule_fwd_h_hip_kernelILi32ELb1ELb0ELb1ELb0ELb0ELb0ELb0ELb1EEEvPK12hip_bfloat16S3_S3_PKfS5_PKvPS1_S8_PvPKiSB_iiiiilll,comdat
	.globl	_ZN12_GLOBAL__N_139chunk_gated_delta_rule_fwd_h_hip_kernelILi32ELb1ELb0ELb1ELb0ELb0ELb0ELb0ELb1EEEvPK12hip_bfloat16S3_S3_PKfS5_PKvPS1_S8_PvPKiSB_iiiiilll ; -- Begin function _ZN12_GLOBAL__N_139chunk_gated_delta_rule_fwd_h_hip_kernelILi32ELb1ELb0ELb1ELb0ELb0ELb0ELb0ELb1EEEvPK12hip_bfloat16S3_S3_PKfS5_PKvPS1_S8_PvPKiSB_iiiiilll
	.p2align	8
	.type	_ZN12_GLOBAL__N_139chunk_gated_delta_rule_fwd_h_hip_kernelILi32ELb1ELb0ELb1ELb0ELb0ELb0ELb0ELb1EEEvPK12hip_bfloat16S3_S3_PKfS5_PKvPS1_S8_PvPKiSB_iiiiilll,@function
_ZN12_GLOBAL__N_139chunk_gated_delta_rule_fwd_h_hip_kernelILi32ELb1ELb0ELb1ELb0ELb0ELb0ELb0ELb1EEEvPK12hip_bfloat16S3_S3_PKfS5_PKvPS1_S8_PvPKiSB_iiiiilll: ; @_ZN12_GLOBAL__N_139chunk_gated_delta_rule_fwd_h_hip_kernelILi32ELb1ELb0ELb1ELb0ELb0ELb0ELb0ELb1EEEvPK12hip_bfloat16S3_S3_PKfS5_PKvPS1_S8_PvPKiSB_iiiiilll
; %bb.0:
	s_load_dwordx4 s[12:15], s[0:1], 0x5c
	s_load_dwordx4 s[20:23], s[0:1], 0x70
	s_abs_i32 s6, s3
	s_ashr_i32 s5, s3, 31
	s_load_dwordx4 s[16:19], s[0:1], 0x28
	s_load_dwordx2 s[28:29], s[0:1], 0x38
	s_waitcnt lgkmcnt(0)
	s_abs_i32 s4, s13
	v_cvt_f32_u32_e32 v1, s4
	s_sub_i32 s8, 0, s4
	s_ashr_i32 s7, s13, 31
	s_xor_b32 s5, s5, s7
	v_rcp_iflag_f32_e32 v1, v1
	v_and_b32_e32 v63, 15, v0
	v_lshrrev_b32_e32 v61, 6, v0
	v_bfe_u32 v62, v0, 4, 2
	v_mul_f32_e32 v1, 0x4f7ffffe, v1
	v_cvt_u32_f32_e32 v1, v1
	v_mov_b32_e32 v7, 0
	v_and_b32_e32 v60, 63, v0
	v_lshlrev_b32_e32 v64, 3, v0
	v_readfirstlane_b32 s9, v1
	s_mul_i32 s8, s8, s9
	s_mul_hi_u32 s8, s9, s8
	s_add_i32 s9, s9, s8
	s_mul_hi_u32 s8, s6, s9
	s_mul_i32 s9, s8, s4
	s_sub_i32 s6, s6, s9
	s_add_i32 s10, s8, 1
	s_sub_i32 s9, s6, s4
	s_cmp_ge_u32 s6, s4
	s_cselect_b32 s8, s10, s8
	s_cselect_b32 s6, s9, s6
	s_add_i32 s9, s8, 1
	s_cmp_ge_u32 s6, s4
	s_cselect_b32 s6, s9, s8
	s_xor_b32 s6, s6, s5
	s_add_i32 s8, s12, 63
	s_sub_i32 s51, s6, s5
	s_ashr_i32 s9, s8, 31
	s_mul_i32 s5, s51, s13
	s_sub_i32 s49, s3, s5
	s_lshr_b32 s3, s9, 26
	s_add_i32 s8, s8, s3
	s_abs_i32 s3, s14
	v_cvt_f32_u32_e32 v1, s3
	s_ashr_i32 s50, s12, 31
	s_lshr_b32 s6, s50, 26
	s_add_i32 s6, s12, s6
	v_rcp_iflag_f32_e32 v1, v1
	s_ashr_i32 s54, s14, 31
	s_ashr_i32 s24, s8, 6
	;; [unrolled: 1-line block ×3, first 2 shown]
	v_mul_f32_e32 v1, 0x4f7ffffe, v1
	v_cvt_u32_f32_e32 v1, v1
	s_xor_b32 s6, s7, s54
	s_sub_i32 s7, 0, s3
	s_lshl_b32 s2, s2, 5
	v_readfirstlane_b32 s8, v1
	s_mul_i32 s7, s7, s8
	s_mul_hi_u32 s7, s8, s7
	s_add_i32 s8, s8, s7
	s_mul_hi_u32 s7, s4, s8
	s_mul_i32 s8, s7, s3
	s_sub_i32 s4, s4, s8
	s_add_i32 s8, s7, 1
	s_sub_i32 s9, s4, s3
	s_cmp_ge_u32 s4, s3
	s_cselect_b32 s7, s8, s7
	s_cselect_b32 s4, s9, s4
	s_add_i32 s8, s7, 1
	s_cmp_ge_u32 s4, s3
	s_cselect_b32 s3, s8, s7
	s_xor_b32 s3, s3, s6
	s_sub_i32 s3, s3, s6
	s_abs_i32 s4, s3
	v_cvt_f32_u32_e32 v1, s4
	s_sub_i32 s7, 0, s4
	s_abs_i32 s6, s49
	s_xor_b32 s3, s49, s3
	v_rcp_iflag_f32_e32 v1, v1
	s_ashr_i32 s3, s3, 31
	v_or_b32_e32 v50, s2, v63
	v_lshlrev_b32_e32 v2, 7, v50
	v_mul_f32_e32 v1, 0x4f7ffffe, v1
	v_cvt_u32_f32_e32 v1, v1
	v_ashrrev_i32_e32 v3, 31, v2
	v_lshrrev_b32_e32 v65, 3, v60
	s_mul_i32 s33, s51, s21
	v_readfirstlane_b32 s8, v1
	s_mul_i32 s7, s7, s8
	s_mul_hi_u32 s7, s8, s7
	s_add_i32 s8, s8, s7
	s_mul_hi_u32 s7, s6, s8
	s_mul_i32 s8, s7, s4
	s_sub_i32 s6, s6, s8
	s_add_i32 s8, s7, 1
	s_sub_i32 s9, s6, s4
	s_cmp_ge_u32 s6, s4
	s_cselect_b32 s7, s8, s7
	s_cselect_b32 s6, s9, s6
	s_add_i32 s8, s7, 1
	s_cmp_ge_u32 s6, s4
	s_cselect_b32 s4, s8, s7
	s_xor_b32 s4, s4, s3
	s_sub_i32 s55, s4, s3
	s_ashr_i32 s3, s51, 31
	s_ashr_i32 s53, s49, 31
	s_mul_hi_i32 s4, s51, s13
	s_add_u32 s38, s5, s49
	s_addc_u32 s39, s4, s53
	s_lshl_b64 s[4:5], s[38:39], 15
	s_add_u32 s4, s16, s4
	s_addc_u32 s5, s17, s5
	v_lshlrev_b32_e32 v1, 4, v61
	v_lshl_add_u64 v[4:5], v[2:3], 1, s[4:5]
	v_or_b32_e32 v2, 0x800, v2
	v_lshl_or_b32 v66, v62, 2, v1
	v_ashrrev_i32_e32 v3, 31, v2
	v_lshlrev_b32_e32 v6, 1, v66
	v_lshl_add_u64 v[2:3], v[2:3], 1, s[4:5]
	v_lshl_add_u64 v[4:5], v[4:5], 0, v[6:7]
	;; [unrolled: 1-line block ×3, first 2 shown]
	global_load_dwordx2 v[8:9], v[4:5], off
	v_or_b32_e32 v67, 64, v66
	global_load_dwordx2 v[4:5], v[4:5], off offset:128
	s_nop 0
	global_load_dwordx2 v[6:7], v[2:3], off
	global_load_dwordx2 v[10:11], v[2:3], off offset:128
	s_load_dwordx8 s[4:11], s[0:1], 0x0
	s_load_dwordx2 s[30:31], s[0:1], 0x80
	s_mul_hi_u32 s44, s51, s20
	s_mul_i32 s34, s51, s20
	s_mul_i32 s56, s51, s24
	;; [unrolled: 1-line block ×3, first 2 shown]
	s_mul_hi_u32 s46, s49, s22
	s_mul_i32 s48, s3, s20
	s_mul_i32 s47, s53, s22
	s_mul_hi_u32 s57, s38, s12
	s_mul_i32 s16, s38, s12
	s_mul_i32 s39, s39, s12
	s_cmp_lt_i32 s12, 64
	s_mul_i32 s36, s49, s22
	s_waitcnt vmcnt(3)
	v_and_b32_e32 v19, 0xffff0000, v8
	v_lshlrev_b32_e32 v18, 16, v8
	v_and_b32_e32 v21, 0xffff0000, v9
	v_lshlrev_b32_e32 v20, 16, v9
	s_waitcnt vmcnt(2)
	v_and_b32_e32 v23, 0xffff0000, v4
	v_lshlrev_b32_e32 v22, 16, v4
	v_and_b32_e32 v25, 0xffff0000, v5
	v_lshlrev_b32_e32 v24, 16, v5
	;; [unrolled: 5-line block ×4, first 2 shown]
	s_cbranch_scc1 .LBB379_17
; %bb.1:
	s_add_i32 s17, s57, s39
	s_lshl_b64 s[0:1], s[16:17], 8
	v_and_b32_e32 v69, 56, v64
	s_waitcnt lgkmcnt(0)
	s_add_u32 s20, s6, s0
	v_lshl_or_b32 v68, v61, 3, v65
	v_lshlrev_b32_e32 v2, 1, v69
	s_addc_u32 s0, s7, s1
	v_lshl_or_b32 v70, v68, 8, v2
	s_and_b32 s21, s0, 0xffff
	s_mov_b32 s23, 0x20000
	s_movk_i32 s22, 0x4000
	s_movk_i32 s0, 0x80
	v_or_b32_e32 v71, 0x2000, v70
	buffer_load_dwordx4 v[4:7], v70, s[20:23], 0 offen
	buffer_load_dwordx4 v[8:11], v70, s[20:23], s0 offen
	;; [unrolled: 1-line block ×4, first 2 shown]
	v_lshlrev_b32_e32 v3, 3, v68
	v_and_or_b32 v17, v0, 7, v3
	v_and_b32_e32 v3, 0x78, v3
	v_lshlrev_b32_e32 v17, 4, v17
	v_xor_b32_e32 v72, v17, v3
	v_mul_lo_u32 v16, v68, s15
	v_or_b32_e32 v73, 0x1000, v72
	v_xor_b32_e32 v3, 8, v72
	s_cmpk_eq_i32 s15, 0x80
	s_mov_b32 s58, s14
	v_xor_b32_e32 v17, 8, v73
	s_cselect_b64 s[0:1], -1, 0
	s_cmpk_lg_i32 s15, 0x80
	s_waitcnt vmcnt(3)
	ds_write_b64 v72, v[4:5] offset:24576
	ds_write_b64 v3, v[6:7] offset:24576
	s_waitcnt vmcnt(2)
	ds_write_b64 v72, v[8:9] offset:32768
	ds_write_b64 v3, v[10:11] offset:32768
	;; [unrolled: 3-line block ×4, first 2 shown]
	v_lshl_add_u32 v3, v16, 1, v69
	s_cbranch_scc0 .LBB379_3
; %bb.2:
	v_lshlrev_b32_e32 v5, 1, v3
	v_add_lshl_u32 v4, v3, s15, 1
	s_lshl_b32 s22, s15, 7
	v_lshl_or_b32 v2, v68, 9, v2
	s_cbranch_execz .LBB379_4
	s_branch .LBB379_5
.LBB379_3:
                                        ; implicit-def: $vgpr4
                                        ; implicit-def: $vgpr5
                                        ; implicit-def: $sgpr22
	v_lshl_or_b32 v2, v68, 9, v2
.LBB379_4:
	v_or_b32_e32 v4, 0x100, v2
	s_movk_i32 s22, 0x4000
	v_mov_b32_e32 v5, v2
.LBB379_5:
	s_mul_hi_u32 s20, s14, s12
	s_mul_i32 s21, s54, s12
	s_add_i32 s20, s20, s21
	s_mul_i32 s21, s14, s12
	s_mul_i32 s23, s21, s3
	s_mul_hi_u32 s24, s21, s51
	s_add_i32 s23, s24, s23
	s_mul_i32 s20, s20, s51
	s_add_i32 s23, s23, s20
	s_mul_i32 s21, s21, s51
	s_ashr_i32 s59, s55, 31
	s_add_u32 s20, s21, s55
	s_addc_u32 s21, s23, s59
	s_lshl_b64 s[20:21], s[20:21], 8
	s_add_u32 s20, s4, s20
	s_addc_u32 s21, s5, s21
	s_and_b32 s21, s21, 0xffff
	s_mov_b32 s23, 0x20000
	s_movk_i32 s60, 0x80
	buffer_load_dwordx4 v[6:9], v5, s[20:23], 0 offen
	buffer_load_dwordx4 v[10:13], v5, s[20:23], s60 offen
	;; [unrolled: 1-line block ×4, first 2 shown]
	v_and_b32_e32 v4, 6, v0
	v_lshlrev_b32_e32 v39, 6, v66
	v_or_b32_e32 v41, 16, v63
	v_xor_b32_e32 v42, v68, v4
	v_and_b32_e32 v5, 1, v0
	v_lshl_or_b32 v45, v63, 3, v39
	v_lshl_or_b32 v39, v41, 3, v39
	v_lshlrev_b32_e32 v42, 2, v42
	s_mul_i32 s3, s3, s12
	s_mul_hi_u32 s20, s51, s12
	v_lshlrev_b32_e32 v38, 2, v63
	v_or_b32_e32 v76, 0xa000, v39
	v_or_b32_e32 v77, 0xb000, v39
	v_xor_b32_e32 v39, 0x440, v42
	v_cmp_eq_u32_e32 vcc, 0, v5
	v_xor_b32_e32 v43, v66, v38
	v_xor_b32_e32 v44, v67, v38
	v_cndmask_b32_e32 v5, v39, v42, vcc
	s_add_i32 s65, s20, s3
	s_add_i32 s3, s44, s33
	s_mov_b32 s62, 0x1000504
	v_lshlrev_b32_e32 v40, 8, v63
	v_lshlrev_b32_e32 v43, 1, v43
	;; [unrolled: 1-line block ×3, first 2 shown]
	v_lshl_or_b32 v4, v4, 10, v5
	s_add_i32 s35, s3, s48
	s_add_i32 s3, s46, s45
	s_mov_b32 s63, 0x3020706
	v_or_b32_e32 v74, 0xa000, v45
	v_or_b32_e32 v75, 0xb000, v45
	;; [unrolled: 1-line block ×4, first 2 shown]
	v_xor_b32_e32 v5, 8, v4
	v_xor_b32_e32 v40, 24, v4
	;; [unrolled: 1-line block ×4, first 2 shown]
	s_add_i32 s37, s3, s47
	s_lshl_b64 s[20:21], s[34:35], 2
	v_xor_b32_e32 v39, 16, v4
	v_xor_b32_e32 v42, 32, v4
	;; [unrolled: 1-line block ×3, first 2 shown]
	v_add_u32_e32 v5, 0x80, v5
	v_add_u32_e32 v40, 0x80, v40
	;; [unrolled: 1-line block ×4, first 2 shown]
	s_add_u32 s3, s10, s20
	s_addc_u32 s22, s11, s21
	s_lshl_b64 s[20:21], s[36:37], 2
	s_add_u32 s40, s3, s20
	s_movk_i32 s3, 0xf8
	s_addc_u32 s41, s22, s21
	s_lshl_b32 s26, s15, 7
	s_movk_i32 s24, 0x100
	v_mov_b32_e32 v53, 0
	v_lshlrev_b32_e32 v52, 4, v63
	v_cmp_gt_u32_e32 vcc, s24, v0
	v_ashrrev_i32_e32 v51, 31, v50
	s_mov_b32 s61, 0
	s_mul_i32 s64, s51, s12
	s_movk_i32 s35, 0x1000
	s_movk_i32 s22, 0x4000
	v_mov_b32_e32 v102, 0x3fb8aa3b
	s_mov_b32 s66, 0
	s_waitcnt vmcnt(1)
	v_perm_b32 v48, v6, v14, s62
	s_waitcnt vmcnt(0)
	v_perm_b32 v49, v10, v34, s62
	v_perm_b32 v6, v6, v14, s63
	v_perm_b32 v10, v10, v34, s63
	v_perm_b32 v14, v7, v15, s62
	v_perm_b32 v34, v11, v35, s62
	v_perm_b32 v7, v7, v15, s63
	v_perm_b32 v11, v11, v35, s63
	v_perm_b32 v15, v8, v16, s62
	v_perm_b32 v35, v12, v36, s62
	v_perm_b32 v8, v8, v16, s63
	v_perm_b32 v12, v12, v36, s63
	v_perm_b32 v16, v9, v17, s62
	v_perm_b32 v36, v13, v37, s62
	v_perm_b32 v9, v9, v17, s63
	v_perm_b32 v13, v13, v37, s63
	ds_write2st64_b32 v4, v48, v49 offset0:32 offset1:64
	ds_write2st64_b32 v5, v6, v10 offset0:32 offset1:64
	;; [unrolled: 1-line block ×8, first 2 shown]
	v_lshlrev_b32_e32 v4, 8, v41
	v_or_b32_e32 v80, v4, v43
	v_or_b32_e32 v81, v4, v44
	;; [unrolled: 1-line block ×3, first 2 shown]
	v_lshlrev_b32_e32 v4, 3, v4
	v_lshrrev_b32_e32 v7, 5, v60
	v_and_or_b32 v7, v4, s3, v7
	v_lshlrev_b32_e32 v7, 4, v7
	v_lshlrev_b32_e32 v5, 11, v61
	v_and_b32_e32 v4, 0x78, v4
	v_or_b32_e32 v12, 32, v7
	v_and_b32_e32 v6, 0x1000, v5
	v_lshrrev_b32_e32 v9, 1, v0
	v_xor_b32_e32 v12, v12, v4
	v_and_b32_e32 v10, 8, v9
	v_or_b32_e32 v12, v12, v6
	v_xor_b32_e32 v8, v7, v4
	v_xor_b32_e32 v84, v12, v10
	v_or_b32_e32 v12, 64, v7
	v_or_b32_e32 v7, 0x60, v7
	s_ashr_i32 s3, s2, 31
	v_xor_b32_e32 v12, v12, v4
	v_xor_b32_e32 v4, v7, v4
	s_lshl_b64 s[20:21], s[2:3], 8
	v_or_b32_e32 v8, v8, v6
	v_or_b32_e32 v12, v12, v6
	;; [unrolled: 1-line block ×3, first 2 shown]
	s_add_u32 s20, s18, s20
	v_lshlrev_b32_e32 v6, 1, v63
	v_xor_b32_e32 v86, v12, v10
	v_lshrrev_b32_e32 v12, 4, v0
	s_addc_u32 s21, s19, s21
	v_or_b32_e32 v7, 1, v6
	v_mov_b32_e32 v16, 0x4000
	v_mov_b32_e32 v17, 0x2000
	v_xor_b32_e32 v13, v12, v6
	v_xor_b32_e32 v14, v7, v12
	v_lshl_add_u64 v[6:7], s[20:21], 0, v[52:53]
	v_lshlrev_b32_e32 v52, 8, v12
	v_cndmask_b32_e32 v16, v16, v17, vcc
	v_lshlrev_b32_e32 v17, 3, v61
	v_and_b32_e32 v9, 24, v9
	v_lshl_or_b32 v90, v13, 3, v52
	v_and_b32_e32 v13, 8, v0
	v_xor_b32_e32 v34, v17, v9
	v_or_b32_e32 v35, 0x440, v34
	v_cmp_eq_u32_e32 vcc, 0, v13
	v_and_b32_e32 v12, 7, v0
	v_xor_b32_e32 v82, v8, v10
	v_cndmask_b32_e32 v13, v35, v34, vcc
	v_lshlrev_b32_e32 v8, 7, v62
	v_lshl_or_b32 v91, v14, 3, v52
	v_lshlrev_b32_e32 v14, 3, v12
	v_lshlrev_b32_e32 v12, 7, v12
	;; [unrolled: 1-line block ×3, first 2 shown]
	v_or_b32_e32 v13, v13, v5
	v_or_b32_e32 v11, v8, v38
	v_xad_u32 v92, v13, v14, v12
	v_and_or_b32 v8, v15, 60, v8
	v_mov_b32_e32 v13, 0xb000
	v_lshl_or_b32 v93, v8, 1, v13
	v_or_b32_e32 v8, 32, v9
	v_xor_b32_e32 v8, v17, v8
	v_or_b32_e32 v13, 0x440, v8
	v_cndmask_b32_e32 v8, v13, v8, vcc
	v_or_b32_e32 v8, v8, v5
	v_xad_u32 v94, v8, v14, v12
	v_or_b32_e32 v8, 64, v9
	v_xor_b32_e32 v8, v17, v8
	v_xor_b32_e32 v13, 0x440, v8
	v_cndmask_b32_e32 v8, v13, v8, vcc
	v_or_b32_e32 v8, v8, v5
	v_xad_u32 v95, v8, v14, v12
	v_or_b32_e32 v8, 0x60, v9
	v_xor_b32_e32 v8, v17, v8
	v_xor_b32_e32 v9, 0x440, v8
	v_lshlrev_b32_e32 v11, 1, v11
	v_cndmask_b32_e32 v8, v9, v8, vcc
	v_or_b32_e32 v83, 0xa000, v11
	v_or_b32_e32 v85, 0xa080, v11
	v_xor_b32_e32 v87, v4, v10
	v_or_b32_e32 v88, 0xb000, v11
	v_or_b32_e32 v89, 0xb080, v11
	v_lshlrev_b32_e32 v10, 1, v3
	v_add_lshl_u32 v3, v3, s15, 1
	v_or_b32_e32 v11, 0x100, v2
	v_or_b32_e32 v5, v8, v5
	v_lshlrev_b32_e32 v4, 7, v66
	v_xad_u32 v96, v5, v14, v12
	v_cndmask_b32_e64 v97, v10, v2, s[0:1]
	v_cndmask_b32_e64 v98, v3, v11, s[0:1]
	v_lshlrev_b64 v[2:3], 1, v[50:51]
	v_lshl_add_u64 v[54:55], s[8:9], 0, v[2:3]
	v_lshl_add_u64 v[56:57], s[28:29], 0, v[2:3]
	;; [unrolled: 1-line block ×3, first 2 shown]
	v_lshlrev_b32_e32 v52, 1, v4
	v_add_u32_e32 v51, v16, v92
	v_add_u32_e32 v99, v16, v94
	v_add_u32_e32 v100, v16, v95
	v_add_u32_e32 v101, v16, v96
	v_mov_b64_e32 v[2:3], v[18:19]
	s_mov_b32 s3, 0x7060302
	v_mov_b64_e32 v[4:5], v[20:21]
	v_mov_b64_e32 v[6:7], v[22:23]
	;; [unrolled: 1-line block ×7, first 2 shown]
	s_waitcnt lgkmcnt(0)
	s_barrier
	s_branch .LBB379_7
.LBB379_6:                              ;   in Loop: Header=BB379_7 Depth=1
	v_mul_f32_e32 v22, s20, v102
	s_waitcnt vmcnt(2)
	v_exp_f32_e32 v34, v22
	v_accvgpr_read_b32 v21, a7
	v_accvgpr_read_b32 v19, a5
	;; [unrolled: 1-line block ×16, first 2 shown]
	v_fma_f32 v18, v2, v34, v18
	v_fma_f32 v19, v3, v34, v19
	v_fma_f32 v20, v4, v34, v20
	v_fmac_f32_e32 v21, v5, v34
	v_fma_f32 v26, v10, v34, v26
	v_fma_f32 v27, v11, v34, v27
	v_fma_f32 v28, v12, v34, v28
	v_fmac_f32_e32 v29, v13, v34
	;; [unrolled: 4-line block ×4, first 2 shown]
	s_add_i32 s61, s61, 64
	v_mov_b64_e32 v[2:3], v[18:19]
	s_cmp_eq_u32 s52, s37
	s_mov_b32 s66, s37
	v_mov_b64_e32 v[4:5], v[20:21]
	v_mov_b64_e32 v[6:7], v[22:23]
	;; [unrolled: 1-line block ×7, first 2 shown]
	s_cbranch_scc1 .LBB379_17
.LBB379_7:                              ; =>This Inner Loop Header: Depth=1
	s_add_i32 s37, s66, 1
	s_cmp_lt_i32 s37, s52
	s_mov_b64 s[24:25], 0
	s_cselect_b64 s[42:43], -1, 0
	s_cmp_ge_i32 s37, s52
	s_mov_b64 s[20:21], 0
	s_cbranch_scc1 .LBB379_9
; %bb.8:                                ;   in Loop: Header=BB379_7 Depth=1
	s_add_i32 s0, s61, 64
	s_add_u32 s0, s16, s0
	s_addc_u32 s1, s17, 0
	s_lshl_b64 s[0:1], s[0:1], 8
	s_add_u32 s20, s6, s0
	s_addc_u32 s21, s7, s1
.LBB379_9:                              ;   in Loop: Header=BB379_7 Depth=1
	v_cndmask_b32_e64 v18, 0, 1, s[42:43]
	v_cmp_ne_u32_e64 s[0:1], 1, v18
	s_andn2_b64 vcc, exec, s[42:43]
	s_cbranch_vccnz .LBB379_11
; %bb.10:                               ;   in Loop: Header=BB379_7 Depth=1
	s_add_i32 s24, s61, 64
	s_add_u32 s24, s64, s24
	s_addc_u32 s25, s65, 0
	s_mul_i32 s27, s24, s54
	s_mul_hi_u32 s42, s24, s58
	s_add_i32 s27, s42, s27
	s_mul_i32 s25, s25, s58
	s_add_i32 s27, s27, s25
	s_mul_i32 s24, s24, s58
	s_add_u32 s24, s24, s55
	s_addc_u32 s25, s27, s59
	s_lshl_b64 s[24:25], s[24:25], 8
	s_add_u32 s24, s4, s24
	s_addc_u32 s25, s5, s25
.LBB379_11:                             ;   in Loop: Header=BB379_7 Depth=1
	v_perm_b32 v19, v5, v4, s3
	v_perm_b32 v18, v3, v2, s3
	;; [unrolled: 1-line block ×4, first 2 shown]
	ds_write_b64 v74, v[18:19]
	ds_write_b64 v75, v[20:21]
	;; [unrolled: 1-line block ×4, first 2 shown]
	v_perm_b32 v19, v13, v12, s3
	v_perm_b32 v18, v11, v10, s3
	;; [unrolled: 1-line block ×4, first 2 shown]
	ds_write_b64 v76, v[18:19]
	ds_write_b64 v77, v[20:21]
	;; [unrolled: 1-line block ×4, first 2 shown]
	s_waitcnt lgkmcnt(0)
	s_barrier
	ds_read_b64 v[22:23], v82 offset:24576
	ds_read2_b64 v[18:21], v83 offset1:16
	ds_read_b64 v[26:27], v85 offset:3072
	ds_read_b64 v[28:29], v83 offset:3072
	ds_read_b64 v[30:31], v84 offset:24576
	s_waitcnt lgkmcnt(3)
	v_mfma_f32_16x16x16_bf16 a[0:3], v[22:23], v[18:19], 0
	s_add_i32 s27, s61, 63
	s_mul_i32 s42, s27, s31
	s_mul_hi_u32 s43, s27, s30
	v_mfma_f32_16x16x16_bf16 a[4:7], v[22:23], v[20:21], 0
	ds_read2st64_b64 v[18:21], v83 offset0:2 offset1:4
	ds_read2st64_b64 v[22:25], v85 offset0:2 offset1:4
	s_add_i32 s43, s43, s42
	s_waitcnt lgkmcnt(1)
	v_mfma_f32_16x16x16_bf16 a[0:3], v[30:31], v[18:19], a[0:3]
	s_mul_i32 s42, s27, s30
	s_lshl_b64 s[42:43], s[42:43], 2
	s_add_u32 s42, s40, s42
	s_waitcnt lgkmcnt(0)
	v_mfma_f32_16x16x16_bf16 a[4:7], v[30:31], v[22:23], a[4:7]
	ds_read_b64 v[18:19], v86 offset:24576
	ds_read_b64 v[22:23], v87 offset:24576
	s_addc_u32 s43, s41, s43
	s_and_b64 vcc, exec, s[0:1]
	s_waitcnt lgkmcnt(1)
	v_mfma_f32_16x16x16_bf16 a[0:3], v[18:19], v[20:21], a[0:3]
	v_mov_b32_e32 v105, 0
	v_mov_b32_e32 v104, 0
	;; [unrolled: 1-line block ×3, first 2 shown]
	v_mfma_f32_16x16x16_bf16 a[8:11], v[18:19], v[24:25], a[4:7]
	v_mov_b32_e32 v18, 0
	v_mov_b32_e32 v19, 0
	;; [unrolled: 1-line block ×3, first 2 shown]
	s_waitcnt lgkmcnt(0)
	v_mfma_f32_16x16x16_bf16 a[4:7], v[22:23], v[28:29], a[0:3]
	v_mov_b32_e32 v21, 0
	v_mov_b32_e32 v24, 0
	;; [unrolled: 1-line block ×3, first 2 shown]
	v_mfma_f32_16x16x16_bf16 a[0:3], v[22:23], v[26:27], a[8:11]
	v_mov_b32_e32 v22, 0
	v_mov_b32_e32 v23, 0
	;; [unrolled: 1-line block ×10, first 2 shown]
	s_cbranch_vccnz .LBB379_13
; %bb.12:                               ;   in Loop: Header=BB379_7 Depth=1
	s_and_b32 s21, s21, 0xffff
	buffer_load_dwordx4 v[30:33], v70, s[20:23], 0 offen
	buffer_load_dwordx4 v[26:29], v70, s[20:23], s60 offen
	;; [unrolled: 1-line block ×4, first 2 shown]
	v_mov_b32_e32 v104, v72
	v_mov_b32_e32 v103, v73
.LBB379_13:                             ;   in Loop: Header=BB379_7 Depth=1
	ds_read_b64 v[42:43], v82 offset:32768
	ds_read2_b64 v[34:37], v88 offset1:16
	ds_read_b64 v[44:45], v84 offset:32768
	ds_read_b64 v[46:47], v86 offset:32768
	;; [unrolled: 1-line block ×3, first 2 shown]
	v_add_u32_e32 v106, s61, v66
	s_waitcnt lgkmcnt(3)
	v_mfma_f32_16x16x16_bf16 a[4:7], v[42:43], v[34:35], a[4:7]
	v_ashrrev_i32_e32 v34, 31, v106
	ds_read2st64_b64 v[38:41], v88 offset0:2 offset1:4
	v_mfma_f32_16x16x16_bf16 a[0:3], v[42:43], v[36:37], a[0:3]
	v_mul_lo_u32 v36, v34, s30
	v_mul_lo_u32 v37, v106, s31
	v_mad_u64_u32 v[34:35], s[20:21], v106, s30, 0
	v_add3_u32 v35, v35, v37, v36
	v_add_u32_e32 v36, 1, v106
	v_ashrrev_i32_e32 v37, 31, v36
	v_mul_lo_u32 v42, v37, s30
	v_mul_lo_u32 v43, v36, s31
	v_mad_u64_u32 v[36:37], s[20:21], v36, s30, 0
	v_add3_u32 v37, v37, v43, v42
	v_add_u32_e32 v42, 2, v106
	v_ashrrev_i32_e32 v43, 31, v42
	v_mul_lo_u32 v107, v43, s30
	v_mul_lo_u32 v108, v42, s31
	v_mad_u64_u32 v[42:43], s[20:21], v42, s30, 0
	v_add_u32_e32 v106, 3, v106
	v_add3_u32 v43, v43, v108, v107
	v_ashrrev_i32_e32 v107, 31, v106
	v_mul_lo_u32 v108, v107, s30
	v_mul_lo_u32 v109, v106, s31
	v_mad_u64_u32 v[106:107], s[20:21], v106, s30, 0
	s_add_u32 s20, s16, s61
	s_addc_u32 s21, s17, 0
	s_lshl_b64 s[68:69], s[20:21], 8
	v_lshl_add_u64 v[34:35], v[34:35], 2, s[40:41]
	v_lshl_add_u64 v[36:37], v[36:37], 2, s[40:41]
	v_add3_u32 v107, v107, v109, v108
	v_lshl_add_u64 v[108:109], v[54:55], 0, s[68:69]
	v_lshl_add_u64 v[42:43], v[42:43], 2, s[40:41]
	;; [unrolled: 1-line block ×3, first 2 shown]
	global_load_dword v110, v[34:35], off
	global_load_ushort v111, v[108:109], off offset:256
	global_load_ushort v112, v[108:109], off
	v_lshl_add_u64 v[34:35], v[106:107], 2, s[40:41]
	global_load_dword v106, v[36:37], off
	global_load_dword v107, v[42:43], off
	;; [unrolled: 1-line block ×3, first 2 shown]
	ds_read2st64_b64 v[34:37], v89 offset0:2 offset1:4
	global_load_ushort v114, v[108:109], off offset:768
	global_load_ushort v115, v[108:109], off offset:512
	;; [unrolled: 1-line block ×5, first 2 shown]
	s_nop 0
	global_load_ushort v108, v[108:109], off offset:32
	s_waitcnt lgkmcnt(1)
	v_mfma_f32_16x16x16_bf16 a[4:7], v[44:45], v[38:39], a[4:7]
	s_and_b64 vcc, exec, s[0:1]
	s_waitcnt vmcnt(10)
	v_lshlrev_b32_e32 v43, 16, v111
	s_waitcnt lgkmcnt(0)
	v_mfma_f32_16x16x16_bf16 a[0:3], v[44:45], v[34:35], a[0:3]
	s_waitcnt vmcnt(9)
	v_lshlrev_b32_e32 v42, 16, v112
	v_mfma_f32_16x16x16_bf16 a[4:7], v[46:47], v[40:41], a[4:7]
	v_mfma_f32_16x16x16_bf16 a[0:3], v[46:47], v[36:37], a[0:3]
	ds_read_b64 v[34:35], v88 offset:3072
	ds_read_b64 v[36:37], v89 offset:3072
	s_load_dword s20, s[42:43], 0x0
	s_waitcnt lgkmcnt(0)
	v_sub_f32_e32 v44, s20, v110
	v_mfma_f32_16x16x16_bf16 a[4:7], v[48:49], v[34:35], a[4:7]
	v_mul_f32_e32 v44, 0x3fb8aa3b, v44
	s_waitcnt vmcnt(8)
	v_sub_f32_e32 v45, s20, v106
	s_waitcnt vmcnt(7)
	v_sub_f32_e32 v46, s20, v107
	;; [unrolled: 2-line block ×3, first 2 shown]
	v_mfma_f32_16x16x16_bf16 a[0:3], v[48:49], v[36:37], a[0:3]
	v_lshl_add_u64 v[34:35], v[56:57], 0, s[68:69]
	v_lshl_add_u64 v[34:35], v[34:35], 0, v[52:53]
	v_accvgpr_read_b32 v41, a5
	v_accvgpr_read_b32 v40, a4
	v_pk_add_f32 v[40:41], v[42:43], v[40:41] neg_lo:[0,1] neg_hi:[0,1]
	v_exp_f32_e32 v42, v44
	v_mul_f32_e32 v43, 0x3fb8aa3b, v45
	v_mul_f32_e32 v44, 0x3fb8aa3b, v46
	;; [unrolled: 1-line block ×3, first 2 shown]
	v_exp_f32_e32 v43, v43
	v_exp_f32_e32 v44, v44
	;; [unrolled: 1-line block ×3, first 2 shown]
	v_accvgpr_read_b32 v37, a7
	v_accvgpr_read_b32 v36, a6
	s_waitcnt vmcnt(5)
	v_lshlrev_b32_e32 v47, 16, v114
	s_waitcnt vmcnt(4)
	v_lshlrev_b32_e32 v46, 16, v115
	v_pk_add_f32 v[36:37], v[46:47], v[36:37] neg_lo:[0,1] neg_hi:[0,1]
	global_store_short_d16_hi v[34:35], v40, off
	global_store_short_d16_hi v[34:35], v41, off offset:256
	global_store_short_d16_hi v[34:35], v36, off offset:512
	;; [unrolled: 1-line block ×3, first 2 shown]
	v_pk_mul_f32 v[40:41], v[42:43], v[40:41]
	v_pk_mul_f32 v[36:37], v[44:45], v[36:37]
	v_accvgpr_read_b32 v47, a1
	v_perm_b32 v37, v37, v36, s3
	v_perm_b32 v36, v41, v40, s3
	s_waitcnt vmcnt(5)
	v_lshlrev_b32_e32 v41, 16, v118
	s_waitcnt vmcnt(4)
	v_lshlrev_b32_e32 v40, 16, v108
	v_accvgpr_read_b32 v46, a0
	v_accvgpr_read_b32 v39, a3
	;; [unrolled: 1-line block ×3, first 2 shown]
	v_pk_add_f32 v[40:41], v[40:41], v[46:47] neg_lo:[0,1] neg_hi:[0,1]
	v_lshlrev_b32_e32 v47, 16, v116
	v_lshlrev_b32_e32 v46, 16, v117
	v_pk_add_f32 v[38:39], v[46:47], v[38:39] neg_lo:[0,1] neg_hi:[0,1]
	global_store_short_d16_hi v[34:35], v40, off offset:32
	global_store_short_d16_hi v[34:35], v41, off offset:288
	;; [unrolled: 1-line block ×4, first 2 shown]
	v_pk_mul_f32 v[34:35], v[42:43], v[40:41]
	v_pk_mul_f32 v[38:39], v[44:45], v[38:39]
	v_mov_b32_e32 v106, 0
	v_perm_b32 v39, v39, v38, s3
	v_perm_b32 v38, v35, v34, s3
	ds_write2_b64 v75, v[36:37], v[38:39] offset1:16
	v_mov_b32_e32 v34, 0
	v_mov_b32_e32 v35, 0
	;; [unrolled: 1-line block ×16, first 2 shown]
	s_cbranch_vccnz .LBB379_15
; %bb.14:                               ;   in Loop: Header=BB379_7 Depth=1
	s_and_b32 s25, s25, 0xffff
	s_mov_b32 s27, s23
	buffer_load_dwordx4 v[46:49], v97, s[24:27], 0 offen
	buffer_load_dwordx4 v[38:41], v97, s[24:27], s60 offen
	buffer_load_dwordx4 v[42:45], v98, s[24:27], 0 offen
	buffer_load_dwordx4 v[34:37], v98, s[24:27], s60 offen
	v_mov_b32_e32 v105, v69
	v_mov_b32_e32 v106, v68
.LBB379_15:                             ;   in Loop: Header=BB379_7 Depth=1
	s_waitcnt lgkmcnt(0)
	s_barrier
	ds_read_b64 v[112:113], v51
	ds_read_b64 v[120:121], v93
	ds_read_b64 v[116:117], v99
	ds_read_b64 v[122:123], v100
	ds_read_b64 v[124:125], v101
	ds_read_b64 v[126:127], v94 offset:16384
	ds_read_b64 v[128:129], v92 offset:16384
	ds_read2_b64 v[108:111], v88 offset0:16 offset1:128
	s_waitcnt lgkmcnt(6)
	v_mfma_f32_16x16x16_bf16 a[0:3], v[112:113], v[120:121], 0
	ds_read_b64 v[130:131], v89 offset:3072
	ds_read_b64 v[132:133], v96 offset:16384
	s_add_i32 s21, s56, s66
	s_waitcnt lgkmcnt(2)
	v_mfma_f32_16x16x16_bf16 a[4:7], v[112:113], v[108:109], 0
	ds_read2st64_b64 v[112:115], v89 offset0:2 offset1:4
	s_mul_hi_i32 s25, s21, s13
	s_mul_i32 s21, s21, s13
	v_mfma_f32_16x16x16_bf16 a[0:3], v[116:117], v[110:111], a[0:3]
	s_add_u32 s24, s21, s49
	s_addc_u32 s25, s25, s53
	s_lshl_b64 s[24:25], s[24:25], 15
	s_waitcnt lgkmcnt(0)
	v_mfma_f32_16x16x16_bf16 a[4:7], v[116:117], v[112:113], a[4:7]
	ds_read2st64_b64 v[116:119], v88 offset0:4 offset1:6
	s_waitcnt lgkmcnt(0)
	v_mfma_f32_16x16x16_bf16 a[0:3], v[122:123], v[116:117], a[0:3]
	v_mfma_f32_16x16x16_bf16 a[8:11], v[122:123], v[114:115], a[4:7]
	;; [unrolled: 1-line block ×5, first 2 shown]
	ds_read2st64_b64 v[120:123], v91 offset1:8
	v_mfma_f32_16x16x16_bf16 a[12:15], v[128:129], v[108:109], 0
	ds_read_b64 v[128:129], v95 offset:16384
	v_mfma_f32_16x16x16_bf16 a[8:11], v[126:127], v[110:111], a[8:11]
	ds_read2st64_b64 v[108:111], v90 offset1:8
	s_waitcnt lgkmcnt(0)
	v_mov_b32_e32 v124, v108
	v_mfma_f32_16x16x16_bf16 a[12:15], v[126:127], v[112:113], a[12:15]
	v_lshl_add_u64 v[112:113], v[58:59], 0, s[24:25]
	v_add_co_u32_e32 v108, vcc, s35, v112
	v_mfma_f32_16x16x16_bf16 a[8:11], v[128:129], v[116:117], a[8:11]
	v_mov_b32_e32 v125, v109
	v_addc_co_u32_e32 v109, vcc, 0, v113, vcc
	v_mfma_f32_16x16x16_bf16 a[12:15], v[128:129], v[114:115], a[12:15]
	v_mov_b32_e32 v126, v120
	v_mov_b32_e32 v127, v121
	;; [unrolled: 1-line block ×3, first 2 shown]
	v_mfma_f32_16x16x16_bf16 a[8:11], v[132:133], v[118:119], a[8:11]
	v_mov_b32_e32 v121, v111
	s_and_b64 vcc, exec, s[0:1]
	global_store_dwordx4 v[112:113], v[124:127], off
	v_mfma_f32_16x16x16_bf16 a[12:15], v[132:133], v[130:131], a[12:15]
	global_store_dwordx4 v[108:109], v[120:123], off
	s_cbranch_vccnz .LBB379_6
; %bb.16:                               ;   in Loop: Header=BB379_7 Depth=1
	v_lshrrev_b32_e32 v107, 3, v105
	v_and_b32_e32 v107, 6, v107
	v_xor_b32_e32 v106, v107, v106
	v_lshlrev_b32_e32 v106, 2, v106
	v_and_b32_e32 v105, 8, v105
	v_xor_b32_e32 v108, 0x440, v106
	v_cmp_eq_u32_e32 vcc, 0, v105
	s_barrier
	s_nop 0
	v_cndmask_b32_e32 v105, v108, v106, vcc
	v_lshl_or_b32 v105, v107, 10, v105
	s_waitcnt vmcnt(3)
	v_perm_b32 v106, v46, v42, s62
	s_waitcnt vmcnt(2)
	v_perm_b32 v107, v38, v34, s62
	ds_write2st64_b32 v105, v106, v107 offset0:32 offset1:64
	v_xor_b32_e32 v106, 8, v105
	v_perm_b32 v42, v46, v42, s63
	v_perm_b32 v34, v38, v34, s63
	v_add_u32_e32 v38, 0x80, v106
	ds_write2st64_b32 v38, v42, v34 offset0:32 offset1:64
	v_xor_b32_e32 v34, 16, v105
	v_perm_b32 v38, v47, v43, s62
	v_perm_b32 v42, v39, v35, s62
	ds_write2st64_b32 v34, v38, v42 offset0:33 offset1:65
	v_xor_b32_e32 v34, 24, v105
	v_perm_b32 v38, v47, v43, s63
	v_perm_b32 v35, v39, v35, s63
	v_add_u32_e32 v34, 0x80, v34
	ds_write2st64_b32 v34, v38, v35 offset0:33 offset1:65
	v_xor_b32_e32 v34, 32, v105
	v_perm_b32 v35, v48, v44, s62
	;; [unrolled: 9-line block ×3, first 2 shown]
	v_perm_b32 v36, v41, v37, s62
	ds_write2st64_b32 v34, v35, v36 offset0:35 offset1:67
	v_xor_b32_e32 v34, 56, v105
	v_perm_b32 v35, v49, v45, s63
	v_perm_b32 v36, v41, v37, s63
	v_add_u32_e32 v34, 0x80, v34
	ds_write2st64_b32 v34, v35, v36 offset0:35 offset1:67
	ds_write_b64 v104, v[30:31] offset:24576
	v_xor_b32_e32 v30, 8, v104
	ds_write_b64 v30, v[32:33] offset:24576
	ds_write_b64 v104, v[26:27] offset:32768
	;; [unrolled: 1-line block ×4, first 2 shown]
	v_xor_b32_e32 v22, 8, v103
	ds_write_b64 v22, v[24:25] offset:24576
	ds_write_b64 v103, v[18:19] offset:32768
	;; [unrolled: 1-line block ×3, first 2 shown]
	s_branch .LBB379_6
.LBB379_17:
	s_lshl_b32 s26, s52, 6
	s_sub_i32 s27, s12, s26
	s_cmp_gt_i32 s27, 0
	s_cbranch_scc0 .LBB379_82
; %bb.18:
	s_ashr_i32 s3, s26, 31
	s_cmpk_lg_i32 s15, 0x80
	s_cselect_b64 s[22:23], -1, 0
	s_and_b64 vcc, exec, s[22:23]
	s_cbranch_vccz .LBB379_20
; %bb.19:
	s_mul_i32 s1, s51, s12
	s_mul_hi_i32 s0, s51, s12
	s_add_u32 s1, s1, s26
	s_addc_u32 s0, s0, s3
	s_mul_i32 s17, s1, s54
	s_mul_hi_u32 s20, s1, s14
	s_add_i32 s17, s20, s17
	s_mul_i32 s0, s0, s14
	s_add_i32 s17, s17, s0
	s_mul_i32 s1, s1, s14
	s_ashr_i32 s0, s55, 31
	s_add_u32 s24, s1, s55
	s_addc_u32 s25, s17, s0
	s_cbranch_execz .LBB379_21
	s_branch .LBB379_22
.LBB379_20:
                                        ; implicit-def: $sgpr24_sgpr25
.LBB379_21:
	s_mul_hi_i32 s0, s51, s14
	s_mul_i32 s51, s51, s14
	s_ashr_i32 s1, s55, 31
	s_add_u32 s14, s51, s55
	s_addc_u32 s0, s0, s1
	s_mul_i32 s1, s14, s50
	s_mul_hi_u32 s17, s14, s12
	s_add_i32 s1, s17, s1
	s_mul_i32 s0, s0, s12
	s_add_i32 s1, s1, s0
	s_mul_i32 s14, s14, s12
	s_add_u32 s24, s14, s26
	s_addc_u32 s25, s1, s3
.LBB379_22:
	s_mul_i32 s0, s38, s50
	s_add_i32 s0, s57, s0
	s_add_i32 s14, s56, s52
	;; [unrolled: 1-line block ×3, first 2 shown]
	s_add_u32 s0, s16, s26
	v_lshlrev_b32_e32 v6, 5, v66
	v_lshlrev_b32_e32 v34, 2, v63
	s_addc_u32 s1, s1, s3
	s_mov_b32 s3, 0x7060302
	v_or_b32_e32 v9, v6, v34
	v_xor_b32_e32 v7, v66, v34
	v_perm_b32 v3, v21, v20, s3
	v_perm_b32 v2, v19, v18, s3
	;; [unrolled: 1-line block ×4, first 2 shown]
	v_lshlrev_b32_e32 v9, 1, v9
	v_xor_b32_e32 v8, v67, v34
	ds_write2st64_b64 v9, v[2:3], v[4:5] offset0:80 offset1:88
	v_lshlrev_b32_e32 v7, 1, v7
	v_lshlrev_b32_e32 v9, 8, v63
	s_lshl_b64 s[20:21], s[0:1], 8
	v_or_b32_e32 v10, v7, v9
	v_lshlrev_b32_e32 v8, 1, v8
	s_waitcnt lgkmcnt(0)
	s_add_u32 s0, s6, s20
	ds_write_b64 v10, v[2:3]
	v_or_b32_e32 v2, v8, v9
	s_addc_u32 s1, s7, s21
	ds_write_b64 v2, v[4:5]
	v_perm_b32 v3, v29, v28, s3
	v_perm_b32 v2, v27, v26, s3
	;; [unrolled: 1-line block ×4, first 2 shown]
	v_or_b32_e32 v9, 16, v63
	s_mul_hi_i32 s3, s14, s13
	s_mul_i32 s14, s14, s13
	v_lshlrev_b32_e32 v19, 2, v9
	s_add_u32 s6, s14, s49
	v_or_b32_e32 v6, v6, v19
	s_addc_u32 s7, s3, s53
	v_lshlrev_b32_e32 v6, 1, v6
	s_ashr_i32 s3, s2, 31
	s_lshl_b64 s[6:7], s[6:7], 15
	ds_write2st64_b64 v6, v[2:3], v[4:5] offset0:80 offset1:88
	v_lshlrev_b32_e32 v6, 8, v9
	s_add_u32 s6, s18, s6
	v_or_b32_e32 v7, v7, v6
	s_addc_u32 s7, s19, s7
	s_lshl_b64 s[2:3], s[2:3], 8
	ds_write_b64 v7, v[2:3]
	v_or_b32_e32 v2, v8, v6
	s_add_u32 s2, s6, s2
	ds_write_b64 v2, v[4:5]
	v_lshrrev_b32_e32 v2, 4, v0
	s_addc_u32 s3, s7, s3
	v_lshlrev_b32_e32 v3, 1, v63
	v_lshlrev_b32_e32 v10, 4, v63
	v_mov_b32_e32 v11, 0
	v_or_b32_e32 v4, 1, v3
	v_xor_b32_e32 v3, v2, v3
	v_lshl_add_u64 v[12:13], s[2:3], 0, v[10:11]
	v_lshlrev_b32_e32 v10, 8, v2
	v_xor_b32_e32 v6, v4, v2
	v_lshl_or_b32 v2, v3, 3, v10
	s_waitcnt lgkmcnt(0)
	s_barrier
	ds_read2st64_b64 v[2:5], v2 offset1:8
	v_lshl_or_b32 v6, v6, 3, v10
	ds_read2st64_b64 v[6:9], v6 offset1:8
	v_lshl_add_u64 v[14:15], v[12:13], 0, v[10:11]
	s_movk_i32 s2, 0x1000
	s_waitcnt lgkmcnt(1)
	v_mov_b32_e32 v10, v2
	v_add_co_u32_e32 v2, vcc, s2, v14
	s_cmp_lg_u32 s27, 64
	v_mov_b32_e32 v11, v3
	v_addc_co_u32_e32 v3, vcc, 0, v15, vcc
	s_cselect_b64 s[6:7], -1, 0
	v_lshl_or_b32 v22, v61, 3, v65
	s_waitcnt lgkmcnt(0)
	v_mov_b32_e32 v12, v6
	v_mov_b32_e32 v13, v7
	;; [unrolled: 1-line block ×4, first 2 shown]
	s_mov_b32 s16, 0
	v_or_b32_e32 v20, 32, v22
	v_and_b32_e32 v18, 56, v64
	s_and_b64 vcc, exec, s[6:7]
	global_store_dwordx4 v[14:15], v[10:13], off
	global_store_dwordx4 v[2:3], v[6:9], off
	s_cbranch_vccz .LBB379_28
; %bb.23:
	s_mov_b32 s17, s16
	s_mov_b32 s18, s16
	;; [unrolled: 1-line block ×3, first 2 shown]
	v_mov_b64_e32 v[6:7], s[16:17]
	v_mov_b64_e32 v[8:9], s[18:19]
	;; [unrolled: 1-line block ×3, first 2 shown]
	v_cmp_gt_i32_e32 vcc, s27, v22
	v_mov_b64_e32 v[4:5], v[8:9]
	s_and_saveexec_b64 s[2:3], vcc
	s_cbranch_execz .LBB379_25
; %bb.24:
	v_lshlrev_b32_e32 v2, 8, v22
	v_mov_b32_e32 v3, 0
	v_lshl_add_u64 v[4:5], s[0:1], 0, v[2:3]
	v_lshlrev_b32_e32 v2, 1, v18
	v_lshl_add_u64 v[10:11], v[4:5], 0, v[2:3]
	global_load_dwordx4 v[6:9], v[10:11], off
	global_load_dwordx4 v[2:5], v[10:11], off offset:128
.LBB379_25:
	s_or_b64 exec, exec, s[2:3]
	s_mov_b32 s17, s16
	s_mov_b32 s18, s16
	;; [unrolled: 1-line block ×3, first 2 shown]
	v_mov_b64_e32 v[14:15], s[16:17]
	v_mov_b64_e32 v[16:17], s[18:19]
	;; [unrolled: 1-line block ×3, first 2 shown]
	v_cmp_gt_i32_e32 vcc, s27, v20
	v_lshlrev_b32_e32 v21, 7, v20
	v_mov_b64_e32 v[12:13], v[16:17]
	s_and_saveexec_b64 s[2:3], vcc
	s_cbranch_execz .LBB379_27
; %bb.26:
	v_lshlrev_b32_e32 v10, 1, v21
	v_mov_b32_e32 v11, 0
	v_lshl_add_u64 v[12:13], s[0:1], 0, v[10:11]
	v_lshlrev_b32_e32 v10, 1, v18
	v_lshl_add_u64 v[24:25], v[12:13], 0, v[10:11]
	global_load_dwordx4 v[14:17], v[24:25], off
	global_load_dwordx4 v[10:13], v[24:25], off offset:128
.LBB379_27:
	s_or_b64 exec, exec, s[2:3]
	v_lshrrev_b32_e32 v23, 3, v18
	v_lshlrev_b32_e32 v24, 3, v22
	v_or_b32_e32 v23, v24, v23
	v_lshlrev_b32_e32 v23, 4, v23
	v_and_b32_e32 v24, 0x78, v24
	v_xor_b32_e32 v23, v23, v24
	s_branch .LBB379_30
.LBB379_28:
                                        ; implicit-def: $vgpr23
                                        ; implicit-def: $vgpr21
                                        ; implicit-def: $vgpr6_vgpr7_vgpr8_vgpr9
                                        ; implicit-def: $vgpr2_vgpr3_vgpr4_vgpr5
                                        ; implicit-def: $vgpr14_vgpr15_vgpr16_vgpr17
                                        ; implicit-def: $vgpr10_vgpr11_vgpr12_vgpr13
	s_cbranch_execz .LBB379_30
; %bb.29:
	s_waitcnt vmcnt(0)
	v_lshlrev_b32_e32 v2, 1, v18
	v_lshl_or_b32 v21, v22, 8, v2
	s_and_b32 s1, s1, 0xffff
	s_mov_b32 s3, 0x20000
	s_movk_i32 s2, 0x4000
	v_lshl_or_b32 v23, v20, 8, v2
	s_movk_i32 s13, 0x80
	buffer_load_dwordx4 v[6:9], v21, s[0:3], 0 offen
	buffer_load_dwordx4 v[2:5], v21, s[0:3], s13 offen
	;; [unrolled: 1-line block ×4, first 2 shown]
	v_lshrrev_b32_e32 v21, 3, v18
	v_lshlrev_b32_e32 v23, 3, v22
	v_or_b32_e32 v21, v23, v21
	v_lshlrev_b32_e32 v21, 4, v21
	v_and_b32_e32 v23, 0x78, v23
	v_xor_b32_e32 v23, v21, v23
	v_lshlrev_b32_e32 v21, 7, v20
.LBB379_30:
	s_lshl_b64 s[0:1], s[24:25], 8
	s_add_u32 s4, s4, s0
	s_movk_i32 s0, 0x1000
	v_and_or_b32 v20, v21, s0, v23
	s_waitcnt vmcnt(1)
	ds_write_b64 v23, v[6:7] offset:24576
	v_xor_b32_e32 v6, 8, v23
	ds_write_b64 v6, v[8:9] offset:24576
	s_waitcnt vmcnt(0)
	ds_write_b64 v23, v[2:3] offset:32768
	ds_write_b64 v6, v[4:5] offset:32768
	;; [unrolled: 1-line block ×3, first 2 shown]
	v_xor_b32_e32 v2, 8, v20
	ds_write_b64 v2, v[16:17] offset:24576
	ds_write_b64 v20, v[10:11] offset:32768
	;; [unrolled: 1-line block ×3, first 2 shown]
	v_or_b32_e32 v2, v1, v63
	v_lshlrev_b32_e32 v3, 11, v61
	v_lshlrev_b32_e32 v2, 3, v2
	v_and_b32_e32 v6, 0x1000, v3
	v_lshrrev_b32_e32 v3, 5, v60
	s_movk_i32 s3, 0xf8
	v_and_or_b32 v3, v2, s3, v3
	v_lshlrev_b32_e32 v7, 4, v3
	v_and_b32_e32 v8, 0x78, v2
	v_or_b32_e32 v10, 32, v7
	v_lshrrev_b32_e32 v3, 1, v60
	v_xor_b32_e32 v10, v10, v8
	v_xor_b32_e32 v2, v7, v8
	v_and_b32_e32 v9, 8, v3
	v_or_b32_e32 v10, v10, v6
	v_or_b32_e32 v2, v2, v6
	v_xor_b32_e32 v25, v10, v9
	v_or_b32_e32 v10, 64, v7
	v_xor_b32_e32 v24, v2, v9
	v_xor_b32_e32 v10, v10, v8
	s_waitcnt lgkmcnt(0)
	s_barrier
	v_or_b32_e32 v12, v10, v6
	ds_read_b64 v[10:11], v24 offset:24576
	v_lshl_or_b32 v20, v62, 7, v34
	v_lshlrev_b32_e32 v23, 1, v20
	v_add_u32_e32 v2, 0xa000, v23
	ds_read2_b64 v[2:5], v2 offset1:16
	v_or_b32_e32 v7, 0x60, v7
	v_xor_b32_e32 v7, v7, v8
	s_waitcnt lgkmcnt(0)
	v_mfma_f32_16x16x16_bf16 a[0:3], v[10:11], v[2:3], 0
	v_or_b32_e32 v2, 64, v20
	v_or_b32_e32 v6, v7, v6
	v_lshlrev_b32_e32 v28, 1, v2
	v_xor_b32_e32 v26, v12, v9
	v_xor_b32_e32 v27, v6, v9
	ds_read_b64 v[12:13], v25 offset:24576
	ds_read_b64 v[14:15], v26 offset:24576
	;; [unrolled: 1-line block ×3, first 2 shown]
	v_mfma_f32_16x16x16_bf16 a[4:7], v[10:11], v[4:5], 0
	ds_read2st64_b64 v[2:5], v28 offset0:82 offset1:84
	ds_read2st64_b64 v[6:9], v23 offset0:82 offset1:84
	s_addc_u32 s5, s5, s1
	s_add_i32 s1, s44, s33
	s_add_i32 s0, s12, -1
	s_add_i32 s35, s1, s48
	s_add_i32 s1, s46, s45
	;; [unrolled: 1-line block ×3, first 2 shown]
	s_ashr_i32 s1, s0, 31
	s_mul_i32 s2, s0, s31
	s_mul_hi_u32 s3, s0, s30
	s_add_i32 s2, s3, s2
	s_mul_i32 s1, s1, s30
	s_waitcnt lgkmcnt(1)
	v_mfma_f32_16x16x16_bf16 a[4:7], v[12:13], v[2:3], a[4:7]
	s_add_i32 s1, s2, s1
	s_lshl_b64 s[2:3], s[34:35], 2
	s_add_u32 s10, s10, s2
	s_waitcnt lgkmcnt(0)
	v_mfma_f32_16x16x16_bf16 a[0:3], v[12:13], v[6:7], a[0:3]
	s_addc_u32 s11, s11, s3
	s_lshl_b64 s[2:3], s[36:37], 2
	s_mul_i32 s0, s0, s30
	s_add_u32 s10, s10, s2
	ds_read_b64 v[2:3], v23 offset:44032
	v_mfma_f32_16x16x16_bf16 a[4:7], v[14:15], v[4:5], a[4:7]
	ds_read_b64 v[4:5], v28 offset:44032
	s_addc_u32 s11, s11, s3
	s_lshl_b64 s[0:1], s[0:1], 2
	v_mfma_f32_16x16x16_bf16 a[0:3], v[14:15], v[8:9], a[0:3]
	s_add_u32 s0, s10, s0
	s_addc_u32 s1, s11, s1
	s_load_dword s12, s[0:1], 0x0
	s_waitcnt lgkmcnt(0)
	v_mfma_f32_16x16x16_bf16 a[0:3], v[16:17], v[2:3], a[0:3]
	s_and_b64 vcc, exec, s[22:23]
	v_mfma_f32_16x16x16_bf16 a[4:7], v[16:17], v[4:5], a[4:7]
	s_cbranch_vccz .LBB379_41
; %bb.31:
	v_lshlrev_b32_e32 v20, 1, v22
	s_and_b64 vcc, exec, s[6:7]
	s_cbranch_vccz .LBB379_42
; %bb.32:
	v_cmp_gt_i32_e32 vcc, s27, v20
	v_mov_b32_e32 v6, 0
	v_mov_b32_e32 v2, 0
	;; [unrolled: 1-line block ×5, first 2 shown]
	s_and_saveexec_b64 s[0:1], vcc
	s_cbranch_execz .LBB379_34
; %bb.33:
	v_mad_i64_i32 v[2:3], s[2:3], s15, v20, 0
	v_lshl_add_u64 v[2:3], v[2:3], 1, s[4:5]
	v_lshlrev_b32_e32 v4, 1, v18
	v_mov_b32_e32 v5, 0
	v_lshl_add_u64 v[2:3], v[2:3], 0, v[4:5]
	global_load_dwordx4 v[2:5], v[2:3], off
.LBB379_34:
	s_or_b64 exec, exec, s[0:1]
	v_or_b32_e32 v21, 1, v20
	v_cmp_gt_i32_e64 s[0:1], s27, v21
	v_mov_b32_e32 v7, 0
	v_mov_b32_e32 v8, 0
	;; [unrolled: 1-line block ×3, first 2 shown]
	s_and_saveexec_b64 s[2:3], s[0:1]
	s_cbranch_execz .LBB379_36
; %bb.35:
	v_mad_i64_i32 v[6:7], s[16:17], s15, v21, 0
	v_lshl_add_u64 v[6:7], v[6:7], 1, s[4:5]
	v_lshlrev_b32_e32 v8, 1, v18
	v_mov_b32_e32 v9, 0
	v_lshl_add_u64 v[6:7], v[6:7], 0, v[8:9]
	global_load_dwordx4 v[6:9], v[6:7], off
.LBB379_36:
	s_or_b64 exec, exec, s[2:3]
	v_mov_b32_e32 v17, 0
	v_mov_b32_e32 v10, 0
	;; [unrolled: 1-line block ×5, first 2 shown]
	s_and_saveexec_b64 s[2:3], vcc
	s_cbranch_execz .LBB379_38
; %bb.37:
	v_mad_i64_i32 v[10:11], s[16:17], s15, v20, 0
	v_lshl_add_u64 v[10:11], v[10:11], 1, s[4:5]
	v_lshlrev_b32_e32 v12, 1, v18
	v_mov_b32_e32 v13, 0
	v_lshl_add_u64 v[10:11], v[10:11], 0, v[12:13]
	global_load_dwordx4 v[10:13], v[10:11], off offset:128
.LBB379_38:
	s_or_b64 exec, exec, s[2:3]
	v_mov_b32_e32 v16, 0
	v_mov_b32_e32 v15, 0
	;; [unrolled: 1-line block ×3, first 2 shown]
	s_and_saveexec_b64 s[2:3], s[0:1]
	s_cbranch_execz .LBB379_40
; %bb.39:
	v_mad_i64_i32 v[14:15], s[0:1], s15, v21, 0
	v_lshl_add_u64 v[14:15], v[14:15], 1, s[4:5]
	v_lshlrev_b32_e32 v16, 1, v18
	v_mov_b32_e32 v17, 0
	v_lshl_add_u64 v[14:15], v[14:15], 0, v[16:17]
	global_load_dwordx4 v[14:17], v[14:15], off offset:128
.LBB379_40:
	s_or_b64 exec, exec, s[2:3]
	s_branch .LBB379_44
.LBB379_41:
                                        ; implicit-def: $vgpr5
                                        ; implicit-def: $vgpr9
                                        ; implicit-def: $vgpr13
                                        ; implicit-def: $vgpr17
	v_lshrrev_b32_e32 v29, 2, v60
	s_branch .LBB379_45
.LBB379_42:
                                        ; implicit-def: $vgpr5
                                        ; implicit-def: $vgpr9
                                        ; implicit-def: $vgpr13
                                        ; implicit-def: $vgpr17
	s_cbranch_execz .LBB379_44
; %bb.43:
	s_waitcnt vmcnt(0)
	v_mad_u64_u32 v[2:3], s[0:1], v20, s15, v[18:19]
	v_lshlrev_b32_e32 v20, 1, v2
	s_lshl_b32 s2, s15, 7
	s_and_b32 s1, s5, 0xffff
	s_mov_b32 s3, 0x20000
	s_mov_b32 s0, s4
	v_add_lshl_u32 v21, v2, s15, 1
	s_movk_i32 s13, 0x80
	buffer_load_dwordx4 v[2:5], v20, s[0:3], 0 offen
	buffer_load_dwordx4 v[10:13], v20, s[0:3], s13 offen
	;; [unrolled: 1-line block ×4, first 2 shown]
.LBB379_44:
	v_lshrrev_b32_e32 v29, 2, v60
	s_cbranch_execnz .LBB379_57
.LBB379_45:
	s_and_b64 vcc, exec, s[6:7]
	s_cbranch_vccz .LBB379_55
; %bb.46:
	s_waitcnt vmcnt(0)
	v_lshlrev_b32_e32 v7, 1, v22
	v_cmp_gt_i32_e32 vcc, s27, v7
	v_mov_b32_e32 v6, 0
	v_lshlrev_b32_e32 v14, 9, v22
	v_mov_b32_e32 v2, 0
	v_mov_b32_e32 v3, 0
	;; [unrolled: 1-line block ×4, first 2 shown]
	s_and_saveexec_b64 s[0:1], vcc
	s_cbranch_execz .LBB379_48
; %bb.47:
	v_mov_b32_e32 v15, 0
	v_lshl_add_u64 v[2:3], s[4:5], 0, v[14:15]
	v_lshlrev_b32_e32 v4, 1, v18
	v_mov_b32_e32 v5, v15
	v_lshl_add_u64 v[2:3], v[2:3], 0, v[4:5]
	global_load_dwordx4 v[2:5], v[2:3], off
.LBB379_48:
	s_or_b64 exec, exec, s[0:1]
	v_or_b32_e32 v7, 1, v7
	v_cmp_gt_i32_e64 s[0:1], s27, v7
	v_lshlrev_b32_e32 v20, 8, v7
	v_mov_b32_e32 v7, 0
	v_mov_b32_e32 v8, 0
	;; [unrolled: 1-line block ×3, first 2 shown]
	s_and_saveexec_b64 s[2:3], s[0:1]
	s_cbranch_execz .LBB379_50
; %bb.49:
	v_mov_b32_e32 v21, 0
	v_lshl_add_u64 v[6:7], s[4:5], 0, v[20:21]
	v_lshlrev_b32_e32 v8, 1, v18
	v_mov_b32_e32 v9, v21
	v_lshl_add_u64 v[6:7], v[6:7], 0, v[8:9]
	global_load_dwordx4 v[6:9], v[6:7], off
.LBB379_50:
	s_or_b64 exec, exec, s[2:3]
	v_mov_b32_e32 v17, 0
	v_mov_b32_e32 v10, 0
	;; [unrolled: 1-line block ×5, first 2 shown]
	s_and_saveexec_b64 s[2:3], vcc
	s_cbranch_execz .LBB379_52
; %bb.51:
	v_mov_b32_e32 v15, 0
	v_lshl_add_u64 v[10:11], s[4:5], 0, v[14:15]
	v_lshlrev_b32_e32 v14, 1, v18
	v_lshl_add_u64 v[10:11], v[10:11], 0, v[14:15]
	global_load_dwordx4 v[10:13], v[10:11], off offset:128
.LBB379_52:
	s_or_b64 exec, exec, s[2:3]
	v_mov_b32_e32 v16, 0
	v_mov_b32_e32 v15, 0
	;; [unrolled: 1-line block ×3, first 2 shown]
	s_and_saveexec_b64 s[2:3], s[0:1]
	s_cbranch_execz .LBB379_54
; %bb.53:
	v_mov_b32_e32 v21, 0
	v_lshl_add_u64 v[14:15], s[4:5], 0, v[20:21]
	v_lshlrev_b32_e32 v20, 1, v18
	v_lshl_add_u64 v[14:15], v[14:15], 0, v[20:21]
	global_load_dwordx4 v[14:17], v[14:15], off offset:128
.LBB379_54:
	s_or_b64 exec, exec, s[2:3]
	s_branch .LBB379_57
.LBB379_55:
                                        ; implicit-def: $vgpr5
                                        ; implicit-def: $vgpr9
                                        ; implicit-def: $vgpr13
                                        ; implicit-def: $vgpr17
	s_cbranch_execz .LBB379_57
; %bb.56:
	s_waitcnt vmcnt(0)
	v_lshlrev_b32_e32 v2, 1, v18
	v_lshl_or_b32 v18, v22, 9, v2
	s_and_b32 s5, s5, 0xffff
	s_mov_b32 s7, 0x20000
	s_movk_i32 s6, 0x4000
	s_movk_i32 s0, 0x80
	buffer_load_dwordx4 v[2:5], v18, s[4:7], 0 offen
	buffer_load_dwordx4 v[6:9], v18, s[4:7], 0 offen offset:256
	buffer_load_dwordx4 v[10:13], v18, s[4:7], s0 offen
	buffer_load_dwordx4 v[14:17], v18, s[4:7], s0 offen offset:256
.LBB379_57:
	ds_read_b64 v[20:21], v24 offset:32768
	v_add_u32_e32 v18, 0xb000, v23
	ds_read2_b64 v[30:33], v18 offset1:16
	ds_read_b64 v[36:37], v25 offset:32768
	ds_read_b64 v[38:39], v26 offset:32768
	;; [unrolled: 1-line block ×3, first 2 shown]
	v_and_b32_e32 v18, 6, v0
	v_xor_b32_e32 v22, v22, v18
	v_lshlrev_b32_e32 v22, 2, v22
	v_and_b32_e32 v0, 1, v0
	v_cmp_eq_u32_e32 vcc, 0, v0
	s_mov_b32 s0, 0x1000504
	s_waitcnt lgkmcnt(3)
	v_mfma_f32_16x16x16_bf16 a[0:3], v[20:21], v[30:31], a[0:3]
	s_mov_b32 s1, 0x3020706
	v_mfma_f32_16x16x16_bf16 a[4:7], v[20:21], v[32:33], a[4:7]
	ds_read2st64_b64 v[24:27], v23 offset0:90 offset1:92
	ds_read2st64_b64 v[30:33], v28 offset0:90 offset1:92
	s_waitcnt lgkmcnt(1)
	v_mfma_f32_16x16x16_bf16 a[0:3], v[36:37], v[24:25], a[0:3]
	ds_read_b64 v[20:21], v23 offset:48128
	ds_read_b64 v[24:25], v28 offset:48128
	v_xor_b32_e32 v23, 0x440, v22
	v_cndmask_b32_e32 v0, v23, v22, vcc
	s_waitcnt lgkmcnt(2)
	v_mfma_f32_16x16x16_bf16 a[4:7], v[36:37], v[30:31], a[4:7]
	v_lshl_or_b32 v0, v18, 10, v0
	s_waitcnt vmcnt(0)
	v_perm_b32 v18, v2, v6, s0
	v_perm_b32 v2, v2, v6, s1
	v_mfma_f32_16x16x16_bf16 a[0:3], v[38:39], v[26:27], a[0:3]
	v_perm_b32 v6, v10, v14, s1
	v_mfma_f32_16x16x16_bf16 a[8:11], v[38:39], v[32:33], a[4:7]
	s_waitcnt lgkmcnt(1)
	v_mfma_f32_16x16x16_bf16 a[4:7], v[40:41], v[20:21], a[0:3]
	v_perm_b32 v20, v10, v14, s0
	ds_write2st64_b32 v0, v18, v20 offset0:32 offset1:64
	v_xor_b32_e32 v18, 8, v0
	v_add_u32_e32 v10, 0x80, v18
	ds_write2st64_b32 v10, v2, v6 offset0:32 offset1:64
	v_xor_b32_e32 v2, 16, v0
	v_perm_b32 v6, v3, v7, s0
	v_perm_b32 v10, v11, v15, s0
	ds_write2st64_b32 v2, v6, v10 offset0:33 offset1:65
	v_xor_b32_e32 v2, 24, v0
	v_perm_b32 v3, v3, v7, s1
	v_perm_b32 v6, v11, v15, s1
	v_add_u32_e32 v2, 0x80, v2
	ds_write2st64_b32 v2, v3, v6 offset0:33 offset1:65
	v_xor_b32_e32 v2, 32, v0
	v_perm_b32 v3, v4, v8, s0
	v_perm_b32 v6, v12, v16, s0
	s_waitcnt lgkmcnt(4)
	v_mfma_f32_16x16x16_bf16 a[0:3], v[40:41], v[24:25], a[8:11]
	ds_write2st64_b32 v2, v3, v6 offset0:34 offset1:66
	v_xor_b32_e32 v2, 40, v0
	v_perm_b32 v3, v4, v8, s1
	v_perm_b32 v4, v12, v16, s1
	v_add_u32_e32 v2, 0x80, v2
	ds_write2st64_b32 v2, v3, v4 offset0:34 offset1:66
	v_xor_b32_e32 v2, 48, v0
	v_perm_b32 v3, v5, v9, s0
	v_perm_b32 v4, v13, v17, s0
	v_xor_b32_e32 v0, 56, v0
	v_and_or_b32 v21, v29, 12, v1
	ds_write2st64_b32 v2, v3, v4 offset0:35 offset1:67
	v_perm_b32 v2, v5, v9, s1
	v_perm_b32 v3, v13, v17, s1
	v_add_u32_e32 v0, 0x80, v0
	v_cmp_gt_i32_e32 vcc, s27, v21
	v_mov_b32_e32 v16, 0
	v_mov_b32_e32 v18, 0
	ds_write2st64_b32 v0, v2, v3 offset0:35 offset1:67
	s_and_saveexec_b64 s[0:1], vcc
	s_cbranch_execz .LBB379_59
; %bb.58:
	v_add_u32_e32 v0, s26, v21
	v_ashrrev_i32_e32 v1, 31, v0
	v_mul_lo_u32 v2, v1, s30
	v_mul_lo_u32 v3, v0, s31
	v_mad_u64_u32 v[0:1], s[2:3], v0, s30, 0
	v_add3_u32 v1, v1, v3, v2
	v_lshl_add_u64 v[0:1], v[0:1], 2, s[10:11]
	global_load_dword v0, v[0:1], off
	s_waitcnt vmcnt(0)
	v_sub_f32_e32 v0, s12, v0
	v_mul_f32_e32 v0, 0x3fb8aa3b, v0
	v_exp_f32_e32 v18, v0
.LBB379_59:
	s_or_b64 exec, exec, s[0:1]
	v_or_b32_e32 v10, 1, v21
	v_cmp_gt_i32_e64 s[0:1], s27, v10
	s_and_saveexec_b64 s[2:3], s[0:1]
	s_cbranch_execz .LBB379_61
; %bb.60:
	v_add_u32_e32 v0, s26, v10
	v_ashrrev_i32_e32 v1, 31, v0
	v_mul_lo_u32 v2, v1, s30
	v_mul_lo_u32 v3, v0, s31
	v_mad_u64_u32 v[0:1], s[4:5], v0, s30, 0
	v_add3_u32 v1, v1, v3, v2
	v_lshl_add_u64 v[0:1], v[0:1], 2, s[10:11]
	global_load_dword v0, v[0:1], off
	s_waitcnt vmcnt(0)
	v_sub_f32_e32 v0, s12, v0
	v_mul_f32_e32 v0, 0x3fb8aa3b, v0
	v_exp_f32_e32 v16, v0
.LBB379_61:
	s_or_b64 exec, exec, s[2:3]
	v_or_b32_e32 v12, 2, v21
	v_cmp_gt_i32_e64 s[2:3], s27, v12
	v_mov_b32_e32 v17, 0
	v_mov_b32_e32 v20, 0
	s_and_saveexec_b64 s[4:5], s[2:3]
	s_cbranch_execz .LBB379_63
; %bb.62:
	v_add_u32_e32 v0, s26, v12
	v_ashrrev_i32_e32 v1, 31, v0
	v_mul_lo_u32 v2, v1, s30
	v_mul_lo_u32 v3, v0, s31
	v_mad_u64_u32 v[0:1], s[6:7], v0, s30, 0
	v_add3_u32 v1, v1, v3, v2
	v_lshl_add_u64 v[0:1], v[0:1], 2, s[10:11]
	global_load_dword v0, v[0:1], off
	s_waitcnt vmcnt(0)
	v_sub_f32_e32 v0, s12, v0
	v_mul_f32_e32 v0, 0x3fb8aa3b, v0
	v_exp_f32_e32 v20, v0
.LBB379_63:
	s_or_b64 exec, exec, s[4:5]
	v_or_b32_e32 v14, 3, v21
	v_cmp_gt_i32_e64 s[4:5], s27, v14
	s_and_saveexec_b64 s[6:7], s[4:5]
	s_cbranch_execz .LBB379_65
; %bb.64:
	v_add_u32_e32 v0, s26, v14
	v_ashrrev_i32_e32 v1, 31, v0
	v_mul_lo_u32 v2, v1, s30
	v_mul_lo_u32 v3, v0, s31
	v_mad_u64_u32 v[0:1], s[14:15], v0, s30, 0
	v_add3_u32 v1, v1, v3, v2
	v_lshl_add_u64 v[0:1], v[0:1], 2, s[10:11]
	global_load_dword v0, v[0:1], off
	s_waitcnt vmcnt(0)
	v_sub_f32_e32 v0, s12, v0
	v_mul_f32_e32 v0, 0x3fb8aa3b, v0
	v_exp_f32_e32 v17, v0
.LBB379_65:
	s_or_b64 exec, exec, s[6:7]
	s_add_u32 s6, s8, s20
	s_addc_u32 s7, s9, s21
	s_add_u32 s8, s28, s20
	v_ashrrev_i32_e32 v51, 31, v50
	v_accvgpr_read_b32 v0, a4
	s_addc_u32 s9, s29, s21
	v_lshlrev_b64 v[4:5], 1, v[50:51]
	v_accvgpr_read_b32 v1, a5
	v_accvgpr_read_b32 v2, a6
	;; [unrolled: 1-line block ×3, first 2 shown]
	v_lshl_add_u64 v[6:7], s[6:7], 0, v[4:5]
	v_lshl_add_u64 v[4:5], s[8:9], 0, v[4:5]
	v_mov_b32_e32 v11, 0
	v_lshlrev_b32_e32 v8, 8, v21
	v_mov_b32_e32 v9, 0
	s_and_saveexec_b64 s[6:7], vcc
	s_cbranch_execz .LBB379_67
; %bb.66:
	v_mov_b32_e32 v9, 0
	v_lshl_add_u64 v[22:23], v[6:7], 0, v[8:9]
	global_load_ushort v13, v[22:23], off
	v_lshl_add_u64 v[22:23], v[4:5], 0, v[8:9]
	s_waitcnt vmcnt(0)
	v_lshlrev_b32_e32 v9, 16, v13
	v_sub_f32_e32 v0, v9, v0
	global_store_short_d16_hi v[22:23], v0, off
	v_mul_f32_e32 v0, v18, v0
	v_lshrrev_b32_e32 v9, 16, v0
.LBB379_67:
	s_or_b64 exec, exec, s[6:7]
	v_lshlrev_b32_e32 v10, 8, v10
	s_and_saveexec_b64 s[6:7], s[0:1]
	s_cbranch_execz .LBB379_69
; %bb.68:
	v_mov_b32_e32 v11, 0
	v_lshl_add_u64 v[22:23], v[6:7], 0, v[10:11]
	global_load_ushort v0, v[22:23], off
	v_lshl_add_u64 v[22:23], v[4:5], 0, v[10:11]
	s_waitcnt vmcnt(0)
	v_lshlrev_b32_e32 v0, 16, v0
	v_sub_f32_e32 v0, v0, v1
	global_store_short_d16_hi v[22:23], v0, off
	v_mul_f32_e32 v0, v16, v0
	v_lshrrev_b32_e32 v11, 16, v0
.LBB379_69:
	s_or_b64 exec, exec, s[6:7]
	v_mov_b32_e32 v15, 0
	v_lshlrev_b32_e32 v12, 8, v12
	v_mov_b32_e32 v13, 0
	s_and_saveexec_b64 s[6:7], s[2:3]
	s_cbranch_execz .LBB379_71
; %bb.70:
	v_mov_b32_e32 v13, 0
	v_lshl_add_u64 v[0:1], v[6:7], 0, v[12:13]
	global_load_ushort v22, v[0:1], off
	v_lshl_add_u64 v[0:1], v[4:5], 0, v[12:13]
	s_waitcnt vmcnt(0)
	v_lshlrev_b32_e32 v13, 16, v22
	v_sub_f32_e32 v2, v13, v2
	global_store_short_d16_hi v[0:1], v2, off
	v_mul_f32_e32 v0, v20, v2
	v_lshrrev_b32_e32 v13, 16, v0
.LBB379_71:
	s_or_b64 exec, exec, s[6:7]
	v_lshlrev_b32_e32 v14, 8, v14
	s_and_saveexec_b64 s[6:7], s[4:5]
	s_cbranch_execz .LBB379_73
; %bb.72:
	v_mov_b32_e32 v15, 0
	v_lshl_add_u64 v[0:1], v[6:7], 0, v[14:15]
	global_load_ushort v2, v[0:1], off
	v_lshl_add_u64 v[0:1], v[4:5], 0, v[14:15]
	s_waitcnt vmcnt(0)
	v_lshlrev_b32_e32 v2, 16, v2
	v_sub_f32_e32 v2, v2, v3
	global_store_short_d16_hi v[0:1], v2, off
	v_mul_f32_e32 v0, v17, v2
	v_lshrrev_b32_e32 v15, 16, v0
.LBB379_73:
	s_or_b64 exec, exec, s[6:7]
	v_lshlrev_b32_e32 v21, 5, v21
	s_mov_b32 s6, 0x5040100
	v_perm_b32 v22, v11, v9, s6
	v_or_b32_e32 v9, v21, v34
	v_accvgpr_read_b32 v0, a0
	v_perm_b32 v23, v15, v13, s6
	v_lshlrev_b32_e32 v9, 1, v9
	v_accvgpr_read_b32 v1, a1
	v_accvgpr_read_b32 v2, a2
	;; [unrolled: 1-line block ×3, first 2 shown]
	ds_write_b64 v9, v[22:23] offset:45056
	v_mov_b32_e32 v11, 0
	v_mov_b32_e32 v9, 0
	s_and_saveexec_b64 s[6:7], vcc
	s_cbranch_execz .LBB379_75
; %bb.74:
	v_mov_b32_e32 v9, 0
	v_lshl_add_u64 v[22:23], v[6:7], 0, v[8:9]
	global_load_ushort v13, v[22:23], off offset:32
	v_lshl_add_u64 v[8:9], v[4:5], 0, v[8:9]
	s_waitcnt vmcnt(0)
	v_lshlrev_b32_e32 v13, 16, v13
	v_sub_f32_e32 v0, v13, v0
	global_store_short_d16_hi v[8:9], v0, off offset:32
	v_mul_f32_e32 v0, v18, v0
	v_lshrrev_b32_e32 v9, 16, v0
.LBB379_75:
	s_or_b64 exec, exec, s[6:7]
	s_and_saveexec_b64 s[6:7], s[0:1]
	s_cbranch_execz .LBB379_77
; %bb.76:
	v_mov_b32_e32 v11, 0
	v_lshl_add_u64 v[22:23], v[6:7], 0, v[10:11]
	global_load_ushort v0, v[22:23], off offset:32
	v_lshl_add_u64 v[10:11], v[4:5], 0, v[10:11]
	s_waitcnt vmcnt(0)
	v_lshlrev_b32_e32 v0, 16, v0
	v_sub_f32_e32 v0, v0, v1
	global_store_short_d16_hi v[10:11], v0, off offset:32
	v_mul_f32_e32 v0, v16, v0
	v_lshrrev_b32_e32 v11, 16, v0
.LBB379_77:
	s_or_b64 exec, exec, s[6:7]
	v_mov_b32_e32 v0, 0
	v_mov_b32_e32 v1, 0
	s_and_saveexec_b64 s[0:1], s[2:3]
	s_cbranch_execz .LBB379_79
; %bb.78:
	v_mov_b32_e32 v13, 0
	v_lshl_add_u64 v[22:23], v[6:7], 0, v[12:13]
	global_load_ushort v1, v[22:23], off offset:32
	v_lshl_add_u64 v[12:13], v[4:5], 0, v[12:13]
	s_waitcnt vmcnt(0)
	v_lshlrev_b32_e32 v1, 16, v1
	v_sub_f32_e32 v1, v1, v2
	global_store_short_d16_hi v[12:13], v1, off offset:32
	v_mul_f32_e32 v1, v20, v1
	v_lshrrev_b32_e32 v1, 16, v1
.LBB379_79:
	s_or_b64 exec, exec, s[0:1]
	s_and_saveexec_b64 s[0:1], s[4:5]
	s_cbranch_execz .LBB379_81
; %bb.80:
	v_mov_b32_e32 v15, 0
	v_lshl_add_u64 v[6:7], v[6:7], 0, v[14:15]
	global_load_ushort v0, v[6:7], off offset:32
	v_lshl_add_u64 v[4:5], v[4:5], 0, v[14:15]
	s_waitcnt vmcnt(0)
	v_lshlrev_b32_e32 v0, 16, v0
	v_sub_f32_e32 v0, v0, v3
	global_store_short_d16_hi v[4:5], v0, off offset:32
	v_mul_f32_e32 v0, v17, v0
	v_lshrrev_b32_e32 v0, 16, v0
.LBB379_81:
	s_or_b64 exec, exec, s[0:1]
	s_mov_b32 s0, 0x5040100
	v_or_b32_e32 v2, v21, v19
	v_perm_b32 v1, v0, v1, s0
	v_perm_b32 v0, v11, v9, s0
	v_lshlrev_b32_e32 v2, 1, v2
	ds_write_b64 v2, v[0:1] offset:45056
	s_waitcnt lgkmcnt(0)
	s_barrier
.LBB379_82:
	s_endpgm
	.section	.rodata,"a",@progbits
	.p2align	6, 0x0
	.amdhsa_kernel _ZN12_GLOBAL__N_139chunk_gated_delta_rule_fwd_h_hip_kernelILi32ELb1ELb0ELb1ELb0ELb0ELb0ELb0ELb1EEEvPK12hip_bfloat16S3_S3_PKfS5_PKvPS1_S8_PvPKiSB_iiiiilll
		.amdhsa_group_segment_fixed_size 49152
		.amdhsa_private_segment_fixed_size 0
		.amdhsa_kernarg_size 136
		.amdhsa_user_sgpr_count 2
		.amdhsa_user_sgpr_dispatch_ptr 0
		.amdhsa_user_sgpr_queue_ptr 0
		.amdhsa_user_sgpr_kernarg_segment_ptr 1
		.amdhsa_user_sgpr_dispatch_id 0
		.amdhsa_user_sgpr_kernarg_preload_length 0
		.amdhsa_user_sgpr_kernarg_preload_offset 0
		.amdhsa_user_sgpr_private_segment_size 0
		.amdhsa_uses_dynamic_stack 0
		.amdhsa_enable_private_segment 0
		.amdhsa_system_sgpr_workgroup_id_x 1
		.amdhsa_system_sgpr_workgroup_id_y 1
		.amdhsa_system_sgpr_workgroup_id_z 0
		.amdhsa_system_sgpr_workgroup_info 0
		.amdhsa_system_vgpr_workitem_id 0
		.amdhsa_next_free_vgpr 152
		.amdhsa_next_free_sgpr 70
		.amdhsa_accum_offset 136
		.amdhsa_reserve_vcc 1
		.amdhsa_float_round_mode_32 0
		.amdhsa_float_round_mode_16_64 0
		.amdhsa_float_denorm_mode_32 3
		.amdhsa_float_denorm_mode_16_64 3
		.amdhsa_dx10_clamp 1
		.amdhsa_ieee_mode 1
		.amdhsa_fp16_overflow 0
		.amdhsa_tg_split 0
		.amdhsa_exception_fp_ieee_invalid_op 0
		.amdhsa_exception_fp_denorm_src 0
		.amdhsa_exception_fp_ieee_div_zero 0
		.amdhsa_exception_fp_ieee_overflow 0
		.amdhsa_exception_fp_ieee_underflow 0
		.amdhsa_exception_fp_ieee_inexact 0
		.amdhsa_exception_int_div_zero 0
	.end_amdhsa_kernel
	.section	.text._ZN12_GLOBAL__N_139chunk_gated_delta_rule_fwd_h_hip_kernelILi32ELb1ELb0ELb1ELb0ELb0ELb0ELb0ELb1EEEvPK12hip_bfloat16S3_S3_PKfS5_PKvPS1_S8_PvPKiSB_iiiiilll,"axG",@progbits,_ZN12_GLOBAL__N_139chunk_gated_delta_rule_fwd_h_hip_kernelILi32ELb1ELb0ELb1ELb0ELb0ELb0ELb0ELb1EEEvPK12hip_bfloat16S3_S3_PKfS5_PKvPS1_S8_PvPKiSB_iiiiilll,comdat
.Lfunc_end379:
	.size	_ZN12_GLOBAL__N_139chunk_gated_delta_rule_fwd_h_hip_kernelILi32ELb1ELb0ELb1ELb0ELb0ELb0ELb0ELb1EEEvPK12hip_bfloat16S3_S3_PKfS5_PKvPS1_S8_PvPKiSB_iiiiilll, .Lfunc_end379-_ZN12_GLOBAL__N_139chunk_gated_delta_rule_fwd_h_hip_kernelILi32ELb1ELb0ELb1ELb0ELb0ELb0ELb0ELb1EEEvPK12hip_bfloat16S3_S3_PKfS5_PKvPS1_S8_PvPKiSB_iiiiilll
                                        ; -- End function
	.section	.AMDGPU.csdata,"",@progbits
; Kernel info:
; codeLenInByte = 8844
; NumSgprs: 76
; NumVgprs: 134
; NumAgprs: 16
; TotalNumVgprs: 152
; ScratchSize: 0
; MemoryBound: 0
; FloatMode: 240
; IeeeMode: 1
; LDSByteSize: 49152 bytes/workgroup (compile time only)
; SGPRBlocks: 9
; VGPRBlocks: 18
; NumSGPRsForWavesPerEU: 76
; NumVGPRsForWavesPerEU: 152
; AccumOffset: 136
; Occupancy: 1
; WaveLimiterHint : 1
; COMPUTE_PGM_RSRC2:SCRATCH_EN: 0
; COMPUTE_PGM_RSRC2:USER_SGPR: 2
; COMPUTE_PGM_RSRC2:TRAP_HANDLER: 0
; COMPUTE_PGM_RSRC2:TGID_X_EN: 1
; COMPUTE_PGM_RSRC2:TGID_Y_EN: 1
; COMPUTE_PGM_RSRC2:TGID_Z_EN: 0
; COMPUTE_PGM_RSRC2:TIDIG_COMP_CNT: 0
; COMPUTE_PGM_RSRC3_GFX90A:ACCUM_OFFSET: 33
; COMPUTE_PGM_RSRC3_GFX90A:TG_SPLIT: 0
	.section	.text._ZN12_GLOBAL__N_139chunk_gated_delta_rule_fwd_h_hip_kernelILi32ELb1ELb0ELb0ELb0ELb0ELb0ELb0ELb1EEEvPK12hip_bfloat16S3_S3_PKfS5_PKvPS1_S8_PvPKiSB_iiiiilll,"axG",@progbits,_ZN12_GLOBAL__N_139chunk_gated_delta_rule_fwd_h_hip_kernelILi32ELb1ELb0ELb0ELb0ELb0ELb0ELb0ELb1EEEvPK12hip_bfloat16S3_S3_PKfS5_PKvPS1_S8_PvPKiSB_iiiiilll,comdat
	.globl	_ZN12_GLOBAL__N_139chunk_gated_delta_rule_fwd_h_hip_kernelILi32ELb1ELb0ELb0ELb0ELb0ELb0ELb0ELb1EEEvPK12hip_bfloat16S3_S3_PKfS5_PKvPS1_S8_PvPKiSB_iiiiilll ; -- Begin function _ZN12_GLOBAL__N_139chunk_gated_delta_rule_fwd_h_hip_kernelILi32ELb1ELb0ELb0ELb0ELb0ELb0ELb0ELb1EEEvPK12hip_bfloat16S3_S3_PKfS5_PKvPS1_S8_PvPKiSB_iiiiilll
	.p2align	8
	.type	_ZN12_GLOBAL__N_139chunk_gated_delta_rule_fwd_h_hip_kernelILi32ELb1ELb0ELb0ELb0ELb0ELb0ELb0ELb1EEEvPK12hip_bfloat16S3_S3_PKfS5_PKvPS1_S8_PvPKiSB_iiiiilll,@function
_ZN12_GLOBAL__N_139chunk_gated_delta_rule_fwd_h_hip_kernelILi32ELb1ELb0ELb0ELb0ELb0ELb0ELb0ELb1EEEvPK12hip_bfloat16S3_S3_PKfS5_PKvPS1_S8_PvPKiSB_iiiiilll: ; @_ZN12_GLOBAL__N_139chunk_gated_delta_rule_fwd_h_hip_kernelILi32ELb1ELb0ELb0ELb0ELb0ELb0ELb0ELb1EEEvPK12hip_bfloat16S3_S3_PKfS5_PKvPS1_S8_PvPKiSB_iiiiilll
; %bb.0:
	s_load_dwordx4 s[12:15], s[0:1], 0x5c
	s_load_dwordx4 s[16:19], s[0:1], 0x28
	s_abs_i32 s6, s3
	s_ashr_i32 s5, s3, 31
	v_and_b32_e32 v61, 15, v0
	s_waitcnt lgkmcnt(0)
	s_abs_i32 s4, s13
	v_cvt_f32_u32_e32 v1, s4
	s_sub_i32 s8, 0, s4
	s_ashr_i32 s7, s13, 31
	s_xor_b32 s5, s5, s7
	v_rcp_iflag_f32_e32 v1, v1
	v_lshrrev_b32_e32 v59, 6, v0
	v_bfe_u32 v60, v0, 4, 2
	v_mov_b32_e32 v7, 0
	v_mul_f32_e32 v1, 0x4f7ffffe, v1
	v_cvt_u32_f32_e32 v1, v1
	v_and_b32_e32 v58, 63, v0
	v_lshlrev_b32_e32 v62, 3, v0
	v_lshrrev_b32_e32 v63, 3, v58
	v_readfirstlane_b32 s9, v1
	s_mul_i32 s8, s8, s9
	s_mul_hi_u32 s8, s9, s8
	s_add_i32 s9, s9, s8
	s_mul_hi_u32 s8, s6, s9
	s_mul_i32 s9, s8, s4
	s_sub_i32 s6, s6, s9
	s_add_i32 s10, s8, 1
	s_sub_i32 s9, s6, s4
	s_cmp_ge_u32 s6, s4
	s_cselect_b32 s8, s10, s8
	s_cselect_b32 s6, s9, s6
	s_add_i32 s9, s8, 1
	s_cmp_ge_u32 s6, s4
	s_cselect_b32 s6, s9, s8
	s_xor_b32 s6, s6, s5
	s_sub_i32 s49, s6, s5
	s_mul_i32 s6, s49, s13
	s_sub_i32 s47, s3, s6
	s_abs_i32 s3, s14
	v_cvt_f32_u32_e32 v1, s3
	s_add_i32 s8, s12, 63
	s_ashr_i32 s9, s8, 31
	s_lshr_b32 s5, s9, 26
	v_rcp_iflag_f32_e32 v1, v1
	s_ashr_i32 s48, s12, 31
	s_add_i32 s8, s8, s5
	s_lshr_b32 s5, s48, 26
	v_mul_f32_e32 v1, 0x4f7ffffe, v1
	v_cvt_u32_f32_e32 v1, v1
	s_add_i32 s5, s12, s5
	s_ashr_i32 s52, s14, 31
	s_ashr_i32 s24, s8, 6
	;; [unrolled: 1-line block ×3, first 2 shown]
	s_xor_b32 s5, s7, s52
	s_sub_i32 s7, 0, s3
	v_readfirstlane_b32 s8, v1
	s_mul_i32 s7, s7, s8
	s_mul_hi_u32 s7, s8, s7
	s_add_i32 s8, s8, s7
	s_mul_hi_u32 s7, s4, s8
	s_mul_i32 s8, s7, s3
	s_sub_i32 s4, s4, s8
	s_lshl_b32 s2, s2, 5
	s_add_i32 s8, s7, 1
	s_sub_i32 s9, s4, s3
	s_cmp_ge_u32 s4, s3
	s_cselect_b32 s7, s8, s7
	s_cselect_b32 s4, s9, s4
	s_add_i32 s8, s7, 1
	s_cmp_ge_u32 s4, s3
	s_cselect_b32 s3, s8, s7
	s_xor_b32 s3, s3, s5
	s_sub_i32 s3, s3, s5
	s_abs_i32 s4, s3
	v_cvt_f32_u32_e32 v1, s4
	s_sub_i32 s7, 0, s4
	s_abs_i32 s5, s47
	s_xor_b32 s3, s47, s3
	v_rcp_iflag_f32_e32 v1, v1
	s_ashr_i32 s3, s3, 31
	v_or_b32_e32 v50, s2, v61
	v_lshlrev_b32_e32 v2, 7, v50
	v_mul_f32_e32 v1, 0x4f7ffffe, v1
	v_cvt_u32_f32_e32 v1, v1
	v_ashrrev_i32_e32 v3, 31, v2
	s_mul_i32 s54, s49, s24
	v_readfirstlane_b32 s8, v1
	s_mul_i32 s7, s7, s8
	s_mul_hi_u32 s7, s8, s7
	s_add_i32 s8, s8, s7
	s_mul_hi_u32 s7, s5, s8
	s_mul_i32 s8, s7, s4
	s_sub_i32 s5, s5, s8
	s_add_i32 s8, s7, 1
	s_sub_i32 s9, s5, s4
	s_cmp_ge_u32 s5, s4
	s_cselect_b32 s7, s8, s7
	s_cselect_b32 s5, s9, s5
	s_add_i32 s8, s7, 1
	s_cmp_ge_u32 s5, s4
	s_cselect_b32 s4, s8, s7
	s_xor_b32 s4, s4, s3
	s_sub_i32 s53, s4, s3
	s_ashr_i32 s3, s49, 31
	s_ashr_i32 s51, s47, 31
	s_mul_hi_i32 s4, s49, s13
	s_add_u32 s36, s6, s47
	s_addc_u32 s37, s4, s51
	s_lshl_b64 s[4:5], s[36:37], 15
	s_add_u32 s4, s16, s4
	s_addc_u32 s5, s17, s5
	v_lshlrev_b32_e32 v1, 4, v59
	v_lshl_add_u64 v[4:5], v[2:3], 1, s[4:5]
	v_or_b32_e32 v2, 0x800, v2
	v_lshl_or_b32 v64, v60, 2, v1
	v_ashrrev_i32_e32 v3, 31, v2
	v_lshlrev_b32_e32 v6, 1, v64
	v_lshl_add_u64 v[2:3], v[2:3], 1, s[4:5]
	v_lshl_add_u64 v[4:5], v[4:5], 0, v[6:7]
	;; [unrolled: 1-line block ×3, first 2 shown]
	global_load_dwordx2 v[8:9], v[4:5], off
	v_or_b32_e32 v65, 64, v64
	global_load_dwordx2 v[4:5], v[4:5], off offset:128
	s_nop 0
	global_load_dwordx2 v[6:7], v[2:3], off
	global_load_dwordx2 v[10:11], v[2:3], off offset:128
	s_load_dwordx8 s[4:11], s[0:1], 0x0
	s_load_dwordx2 s[28:29], s[0:1], 0x80
	s_load_dwordx4 s[20:23], s[0:1], 0x70
	s_mul_hi_u32 s55, s36, s12
	s_mul_i32 s16, s36, s12
	s_mul_i32 s37, s37, s12
	s_cmp_lt_i32 s12, 64
	s_waitcnt lgkmcnt(0)
	s_mul_i32 s33, s49, s21
	s_mul_hi_u32 s42, s49, s20
	s_mul_i32 s30, s49, s20
	s_mul_i32 s43, s47, s23
	s_mul_hi_u32 s44, s47, s22
	s_mul_i32 s46, s3, s20
	s_mul_i32 s45, s51, s22
	;; [unrolled: 1-line block ×3, first 2 shown]
	s_waitcnt vmcnt(3)
	v_and_b32_e32 v19, 0xffff0000, v8
	v_lshlrev_b32_e32 v18, 16, v8
	v_and_b32_e32 v21, 0xffff0000, v9
	v_lshlrev_b32_e32 v20, 16, v9
	s_waitcnt vmcnt(2)
	v_and_b32_e32 v23, 0xffff0000, v4
	v_lshlrev_b32_e32 v22, 16, v4
	v_and_b32_e32 v25, 0xffff0000, v5
	v_lshlrev_b32_e32 v24, 16, v5
	;; [unrolled: 5-line block ×4, first 2 shown]
	s_cbranch_scc1 .LBB380_17
; %bb.1:
	s_add_i32 s17, s55, s37
	s_lshl_b64 s[0:1], s[16:17], 8
	v_and_b32_e32 v67, 56, v62
	s_add_u32 s20, s6, s0
	v_lshl_or_b32 v66, v59, 3, v63
	v_lshlrev_b32_e32 v2, 1, v67
	s_addc_u32 s0, s7, s1
	v_lshl_or_b32 v68, v66, 8, v2
	s_and_b32 s21, s0, 0xffff
	s_mov_b32 s23, 0x20000
	s_movk_i32 s22, 0x4000
	s_movk_i32 s0, 0x80
	v_or_b32_e32 v69, 0x2000, v68
	buffer_load_dwordx4 v[4:7], v68, s[20:23], 0 offen
	buffer_load_dwordx4 v[8:11], v68, s[20:23], s0 offen
	;; [unrolled: 1-line block ×4, first 2 shown]
	v_lshlrev_b32_e32 v3, 3, v66
	v_and_or_b32 v17, v0, 7, v3
	v_and_b32_e32 v3, 0x78, v3
	v_lshlrev_b32_e32 v17, 4, v17
	v_xor_b32_e32 v70, v17, v3
	v_mul_lo_u32 v16, v66, s15
	v_or_b32_e32 v71, 0x1000, v70
	v_xor_b32_e32 v3, 8, v70
	s_cmpk_eq_i32 s15, 0x80
	s_mov_b32 s56, s14
	v_xor_b32_e32 v17, 8, v71
	s_cselect_b64 s[0:1], -1, 0
	s_cmpk_lg_i32 s15, 0x80
	s_waitcnt vmcnt(3)
	ds_write_b64 v70, v[4:5] offset:24576
	ds_write_b64 v3, v[6:7] offset:24576
	s_waitcnt vmcnt(2)
	ds_write_b64 v70, v[8:9] offset:32768
	ds_write_b64 v3, v[10:11] offset:32768
	;; [unrolled: 3-line block ×4, first 2 shown]
	v_lshl_add_u32 v3, v16, 1, v67
	s_cbranch_scc0 .LBB380_3
; %bb.2:
	v_lshlrev_b32_e32 v5, 1, v3
	v_add_lshl_u32 v4, v3, s15, 1
	s_lshl_b32 s22, s15, 7
	v_lshl_or_b32 v2, v66, 9, v2
	s_cbranch_execz .LBB380_4
	s_branch .LBB380_5
.LBB380_3:
                                        ; implicit-def: $vgpr4
                                        ; implicit-def: $vgpr5
                                        ; implicit-def: $sgpr22
	v_lshl_or_b32 v2, v66, 9, v2
.LBB380_4:
	v_or_b32_e32 v4, 0x100, v2
	s_movk_i32 s22, 0x4000
	v_mov_b32_e32 v5, v2
.LBB380_5:
	s_mul_hi_u32 s20, s14, s12
	s_mul_i32 s21, s52, s12
	s_add_i32 s20, s20, s21
	s_mul_i32 s21, s14, s12
	s_mul_i32 s23, s21, s3
	s_mul_hi_u32 s24, s21, s49
	s_add_i32 s23, s24, s23
	s_mul_i32 s20, s20, s49
	s_add_i32 s23, s23, s20
	s_mul_i32 s21, s21, s49
	s_ashr_i32 s57, s53, 31
	s_add_u32 s20, s21, s53
	s_addc_u32 s21, s23, s57
	s_lshl_b64 s[20:21], s[20:21], 8
	s_add_u32 s20, s4, s20
	s_addc_u32 s21, s5, s21
	s_and_b32 s21, s21, 0xffff
	s_mov_b32 s23, 0x20000
	s_movk_i32 s58, 0x80
	buffer_load_dwordx4 v[6:9], v5, s[20:23], 0 offen
	buffer_load_dwordx4 v[10:13], v5, s[20:23], s58 offen
	;; [unrolled: 1-line block ×4, first 2 shown]
	v_and_b32_e32 v4, 6, v0
	v_lshlrev_b32_e32 v39, 6, v64
	v_or_b32_e32 v41, 16, v61
	v_xor_b32_e32 v42, v66, v4
	v_and_b32_e32 v5, 1, v0
	v_lshl_or_b32 v45, v61, 3, v39
	v_lshl_or_b32 v39, v41, 3, v39
	v_lshlrev_b32_e32 v42, 2, v42
	s_mul_i32 s3, s3, s12
	s_mul_hi_u32 s20, s49, s12
	v_lshlrev_b32_e32 v38, 2, v61
	v_or_b32_e32 v74, 0xa000, v39
	v_or_b32_e32 v75, 0xb000, v39
	v_xor_b32_e32 v39, 0x440, v42
	v_cmp_eq_u32_e32 vcc, 0, v5
	v_xor_b32_e32 v43, v64, v38
	v_xor_b32_e32 v44, v65, v38
	v_cndmask_b32_e32 v5, v39, v42, vcc
	s_add_i32 s63, s20, s3
	s_add_i32 s3, s42, s33
	s_mov_b32 s60, 0x1000504
	v_lshlrev_b32_e32 v40, 8, v61
	v_lshlrev_b32_e32 v43, 1, v43
	;; [unrolled: 1-line block ×3, first 2 shown]
	v_lshl_or_b32 v4, v4, 10, v5
	s_add_i32 s31, s3, s46
	s_add_i32 s3, s44, s43
	s_mov_b32 s61, 0x3020706
	v_or_b32_e32 v72, 0xa000, v45
	v_or_b32_e32 v73, 0xb000, v45
	;; [unrolled: 1-line block ×4, first 2 shown]
	v_xor_b32_e32 v5, 8, v4
	v_xor_b32_e32 v40, 24, v4
	;; [unrolled: 1-line block ×4, first 2 shown]
	s_add_i32 s35, s3, s45
	s_lshl_b64 s[20:21], s[30:31], 2
	v_xor_b32_e32 v39, 16, v4
	v_xor_b32_e32 v42, 32, v4
	;; [unrolled: 1-line block ×3, first 2 shown]
	v_add_u32_e32 v5, 0x80, v5
	v_add_u32_e32 v40, 0x80, v40
	;; [unrolled: 1-line block ×4, first 2 shown]
	s_add_u32 s3, s10, s20
	s_addc_u32 s22, s11, s21
	s_lshl_b64 s[20:21], s[34:35], 2
	s_add_u32 s38, s3, s20
	s_movk_i32 s3, 0xf8
	s_addc_u32 s39, s22, s21
	s_lshl_b32 s26, s15, 7
	s_movk_i32 s24, 0x100
	v_mov_b32_e32 v53, 0
	v_lshlrev_b32_e32 v52, 4, v61
	v_cmp_gt_u32_e32 vcc, s24, v0
	v_ashrrev_i32_e32 v51, 31, v50
	v_lshl_add_u64 v[54:55], v[50:51], 1, s[8:9]
	s_mov_b32 s59, 0
	s_mul_i32 s62, s49, s12
	s_movk_i32 s31, 0x1000
	s_movk_i32 s22, 0x4000
	v_mov_b32_e32 v100, 0x3fb8aa3b
	s_mov_b32 s64, 0
	s_waitcnt vmcnt(1)
	v_perm_b32 v48, v6, v14, s60
	s_waitcnt vmcnt(0)
	v_perm_b32 v49, v10, v34, s60
	v_perm_b32 v6, v6, v14, s61
	;; [unrolled: 1-line block ×15, first 2 shown]
	ds_write2st64_b32 v4, v48, v49 offset0:32 offset1:64
	ds_write2st64_b32 v5, v6, v10 offset0:32 offset1:64
	;; [unrolled: 1-line block ×8, first 2 shown]
	v_lshlrev_b32_e32 v4, 8, v41
	v_or_b32_e32 v78, v4, v43
	v_or_b32_e32 v79, v4, v44
	;; [unrolled: 1-line block ×3, first 2 shown]
	v_lshlrev_b32_e32 v4, 3, v4
	v_lshrrev_b32_e32 v7, 5, v58
	v_and_or_b32 v7, v4, s3, v7
	v_lshlrev_b32_e32 v7, 4, v7
	v_lshlrev_b32_e32 v5, 11, v59
	v_and_b32_e32 v4, 0x78, v4
	v_or_b32_e32 v12, 32, v7
	v_and_b32_e32 v6, 0x1000, v5
	v_lshrrev_b32_e32 v9, 1, v0
	v_xor_b32_e32 v12, v12, v4
	v_and_b32_e32 v10, 8, v9
	v_or_b32_e32 v12, v12, v6
	v_xor_b32_e32 v8, v7, v4
	v_xor_b32_e32 v82, v12, v10
	v_or_b32_e32 v12, 64, v7
	v_or_b32_e32 v7, 0x60, v7
	s_ashr_i32 s3, s2, 31
	v_xor_b32_e32 v12, v12, v4
	v_xor_b32_e32 v4, v7, v4
	s_lshl_b64 s[20:21], s[2:3], 8
	v_or_b32_e32 v8, v8, v6
	v_or_b32_e32 v12, v12, v6
	;; [unrolled: 1-line block ×3, first 2 shown]
	s_add_u32 s20, s18, s20
	v_lshlrev_b32_e32 v6, 1, v61
	v_xor_b32_e32 v84, v12, v10
	v_lshrrev_b32_e32 v12, 4, v0
	s_addc_u32 s21, s19, s21
	v_or_b32_e32 v7, 1, v6
	v_mov_b32_e32 v16, 0x4000
	v_mov_b32_e32 v17, 0x2000
	v_xor_b32_e32 v13, v12, v6
	v_xor_b32_e32 v14, v7, v12
	v_lshl_add_u64 v[6:7], s[20:21], 0, v[52:53]
	v_lshlrev_b32_e32 v52, 8, v12
	v_cndmask_b32_e32 v16, v16, v17, vcc
	v_lshlrev_b32_e32 v17, 3, v59
	v_and_b32_e32 v9, 24, v9
	v_lshl_or_b32 v88, v13, 3, v52
	v_and_b32_e32 v13, 8, v0
	v_xor_b32_e32 v34, v17, v9
	v_or_b32_e32 v35, 0x440, v34
	v_cmp_eq_u32_e32 vcc, 0, v13
	v_and_b32_e32 v12, 7, v0
	v_xor_b32_e32 v80, v8, v10
	v_cndmask_b32_e32 v13, v35, v34, vcc
	v_lshlrev_b32_e32 v8, 7, v60
	v_lshl_or_b32 v89, v14, 3, v52
	v_lshlrev_b32_e32 v14, 3, v12
	v_lshlrev_b32_e32 v12, 7, v12
	;; [unrolled: 1-line block ×3, first 2 shown]
	v_or_b32_e32 v13, v13, v5
	v_or_b32_e32 v11, v8, v38
	v_xad_u32 v90, v13, v14, v12
	v_and_or_b32 v8, v15, 60, v8
	v_mov_b32_e32 v13, 0xb000
	v_lshl_or_b32 v91, v8, 1, v13
	v_or_b32_e32 v8, 32, v9
	v_xor_b32_e32 v8, v17, v8
	v_or_b32_e32 v13, 0x440, v8
	v_cndmask_b32_e32 v8, v13, v8, vcc
	v_or_b32_e32 v8, v8, v5
	v_xad_u32 v92, v8, v14, v12
	v_or_b32_e32 v8, 64, v9
	v_xor_b32_e32 v8, v17, v8
	v_xor_b32_e32 v13, 0x440, v8
	v_cndmask_b32_e32 v8, v13, v8, vcc
	v_or_b32_e32 v8, v8, v5
	v_xad_u32 v93, v8, v14, v12
	v_or_b32_e32 v8, 0x60, v9
	v_xor_b32_e32 v8, v17, v8
	v_xor_b32_e32 v9, 0x440, v8
	v_cndmask_b32_e32 v8, v9, v8, vcc
	v_lshlrev_b32_e32 v11, 1, v11
	v_or_b32_e32 v5, v8, v5
	v_or_b32_e32 v81, 0xa000, v11
	;; [unrolled: 1-line block ×3, first 2 shown]
	v_xor_b32_e32 v85, v4, v10
	v_or_b32_e32 v86, 0xb000, v11
	v_or_b32_e32 v87, 0xb080, v11
	v_lshlrev_b32_e32 v4, 7, v64
	v_lshlrev_b32_e32 v10, 1, v3
	v_add_lshl_u32 v3, v3, s15, 1
	v_or_b32_e32 v11, 0x100, v2
	v_xad_u32 v94, v5, v14, v12
	v_cndmask_b32_e64 v95, v10, v2, s[0:1]
	v_cndmask_b32_e64 v96, v3, v11, s[0:1]
	v_lshl_add_u64 v[56:57], v[6:7], 0, v[52:53]
	v_lshlrev_b32_e32 v52, 1, v4
	v_add_u32_e32 v51, v16, v90
	v_add_u32_e32 v97, v16, v92
	;; [unrolled: 1-line block ×4, first 2 shown]
	v_mov_b64_e32 v[2:3], v[18:19]
	s_mov_b32 s3, 0x7060302
	v_mov_b64_e32 v[4:5], v[20:21]
	v_mov_b64_e32 v[6:7], v[22:23]
	;; [unrolled: 1-line block ×7, first 2 shown]
	s_waitcnt lgkmcnt(0)
	s_barrier
	s_branch .LBB380_7
.LBB380_6:                              ;   in Loop: Header=BB380_7 Depth=1
	v_mul_f32_e32 v22, s20, v100
	s_waitcnt vmcnt(2)
	v_exp_f32_e32 v34, v22
	v_accvgpr_read_b32 v21, a7
	v_accvgpr_read_b32 v19, a5
	;; [unrolled: 1-line block ×16, first 2 shown]
	v_fma_f32 v18, v2, v34, v18
	v_fma_f32 v19, v3, v34, v19
	v_fma_f32 v20, v4, v34, v20
	v_fmac_f32_e32 v21, v5, v34
	v_fma_f32 v26, v10, v34, v26
	v_fma_f32 v27, v11, v34, v27
	v_fma_f32 v28, v12, v34, v28
	v_fmac_f32_e32 v29, v13, v34
	;; [unrolled: 4-line block ×4, first 2 shown]
	s_add_i32 s59, s59, 64
	v_mov_b64_e32 v[2:3], v[18:19]
	s_cmp_eq_u32 s50, s35
	s_mov_b32 s64, s35
	v_mov_b64_e32 v[4:5], v[20:21]
	v_mov_b64_e32 v[6:7], v[22:23]
	;; [unrolled: 1-line block ×7, first 2 shown]
	s_cbranch_scc1 .LBB380_17
.LBB380_7:                              ; =>This Inner Loop Header: Depth=1
	s_add_i32 s35, s64, 1
	s_cmp_lt_i32 s35, s50
	s_mov_b64 s[24:25], 0
	s_cselect_b64 s[40:41], -1, 0
	s_cmp_ge_i32 s35, s50
	s_mov_b64 s[20:21], 0
	s_cbranch_scc1 .LBB380_9
; %bb.8:                                ;   in Loop: Header=BB380_7 Depth=1
	s_add_i32 s0, s59, 64
	s_add_u32 s0, s16, s0
	s_addc_u32 s1, s17, 0
	s_lshl_b64 s[0:1], s[0:1], 8
	s_add_u32 s20, s6, s0
	s_addc_u32 s21, s7, s1
.LBB380_9:                              ;   in Loop: Header=BB380_7 Depth=1
	v_cndmask_b32_e64 v18, 0, 1, s[40:41]
	v_cmp_ne_u32_e64 s[0:1], 1, v18
	s_andn2_b64 vcc, exec, s[40:41]
	s_cbranch_vccnz .LBB380_11
; %bb.10:                               ;   in Loop: Header=BB380_7 Depth=1
	s_add_i32 s24, s59, 64
	s_add_u32 s24, s62, s24
	s_addc_u32 s25, s63, 0
	s_mul_i32 s27, s24, s52
	s_mul_hi_u32 s40, s24, s56
	s_add_i32 s27, s40, s27
	s_mul_i32 s25, s25, s56
	s_add_i32 s27, s27, s25
	s_mul_i32 s24, s24, s56
	s_add_u32 s24, s24, s53
	s_addc_u32 s25, s27, s57
	s_lshl_b64 s[24:25], s[24:25], 8
	s_add_u32 s24, s4, s24
	s_addc_u32 s25, s5, s25
.LBB380_11:                             ;   in Loop: Header=BB380_7 Depth=1
	v_perm_b32 v19, v5, v4, s3
	v_perm_b32 v18, v3, v2, s3
	;; [unrolled: 1-line block ×4, first 2 shown]
	ds_write_b64 v72, v[18:19]
	ds_write_b64 v73, v[20:21]
	;; [unrolled: 1-line block ×4, first 2 shown]
	v_perm_b32 v19, v13, v12, s3
	v_perm_b32 v18, v11, v10, s3
	;; [unrolled: 1-line block ×4, first 2 shown]
	ds_write_b64 v74, v[18:19]
	ds_write_b64 v75, v[20:21]
	;; [unrolled: 1-line block ×4, first 2 shown]
	s_waitcnt lgkmcnt(0)
	s_barrier
	ds_read_b64 v[22:23], v80 offset:24576
	ds_read2_b64 v[18:21], v81 offset1:16
	ds_read_b64 v[26:27], v83 offset:3072
	ds_read_b64 v[28:29], v81 offset:3072
	;; [unrolled: 1-line block ×3, first 2 shown]
	s_waitcnt lgkmcnt(3)
	v_mfma_f32_16x16x16_bf16 a[0:3], v[22:23], v[18:19], 0
	s_add_i32 s27, s59, 63
	s_mul_i32 s40, s27, s29
	s_mul_hi_u32 s41, s27, s28
	v_mfma_f32_16x16x16_bf16 a[4:7], v[22:23], v[20:21], 0
	ds_read2st64_b64 v[18:21], v81 offset0:2 offset1:4
	ds_read2st64_b64 v[22:25], v83 offset0:2 offset1:4
	s_add_i32 s41, s41, s40
	s_waitcnt lgkmcnt(1)
	v_mfma_f32_16x16x16_bf16 a[0:3], v[30:31], v[18:19], a[0:3]
	s_mul_i32 s40, s27, s28
	s_lshl_b64 s[40:41], s[40:41], 2
	s_add_u32 s40, s38, s40
	s_waitcnt lgkmcnt(0)
	v_mfma_f32_16x16x16_bf16 a[4:7], v[30:31], v[22:23], a[4:7]
	ds_read_b64 v[18:19], v84 offset:24576
	ds_read_b64 v[22:23], v85 offset:24576
	s_addc_u32 s41, s39, s41
	s_and_b64 vcc, exec, s[0:1]
	s_waitcnt lgkmcnt(1)
	v_mfma_f32_16x16x16_bf16 a[0:3], v[18:19], v[20:21], a[0:3]
	v_mov_b32_e32 v103, 0
	v_mov_b32_e32 v102, 0
	;; [unrolled: 1-line block ×3, first 2 shown]
	v_mfma_f32_16x16x16_bf16 a[4:7], v[18:19], v[24:25], a[4:7]
	v_mov_b32_e32 v18, 0
	v_mov_b32_e32 v19, 0
	;; [unrolled: 1-line block ×3, first 2 shown]
	s_waitcnt lgkmcnt(0)
	v_mfma_f32_16x16x16_bf16 a[0:3], v[22:23], v[28:29], a[0:3]
	v_mov_b32_e32 v21, 0
	v_mov_b32_e32 v24, 0
	;; [unrolled: 1-line block ×3, first 2 shown]
	v_mfma_f32_16x16x16_bf16 a[4:7], v[22:23], v[26:27], a[4:7]
	v_mov_b32_e32 v22, 0
	v_mov_b32_e32 v23, 0
	;; [unrolled: 1-line block ×10, first 2 shown]
	s_cbranch_vccnz .LBB380_13
; %bb.12:                               ;   in Loop: Header=BB380_7 Depth=1
	s_and_b32 s21, s21, 0xffff
	buffer_load_dwordx4 v[30:33], v68, s[20:23], 0 offen
	buffer_load_dwordx4 v[26:29], v68, s[20:23], s58 offen
	;; [unrolled: 1-line block ×4, first 2 shown]
	v_mov_b32_e32 v102, v70
	v_mov_b32_e32 v101, v71
.LBB380_13:                             ;   in Loop: Header=BB380_7 Depth=1
	ds_read_b64 v[38:39], v80 offset:32768
	ds_read2_b64 v[34:37], v86 offset1:16
	ds_read_b64 v[42:43], v82 offset:32768
	ds_read_b64 v[44:45], v84 offset:32768
	;; [unrolled: 1-line block ×3, first 2 shown]
	v_add_u32_e32 v48, s59, v64
	s_waitcnt lgkmcnt(3)
	v_mfma_f32_16x16x16_bf16 a[0:3], v[38:39], v[34:35], a[0:3]
	v_mul_lo_u32 v49, v48, s29
	v_mfma_f32_16x16x16_bf16 a[4:7], v[38:39], v[36:37], a[4:7]
	ds_read2st64_b64 v[34:37], v86 offset0:2 offset1:4
	ds_read2st64_b64 v[38:41], v87 offset0:2 offset1:4
	s_waitcnt lgkmcnt(1)
	v_mfma_f32_16x16x16_bf16 a[0:3], v[42:43], v[34:35], a[0:3]
	v_ashrrev_i32_e32 v34, 31, v48
	v_mul_lo_u32 v104, v34, s28
	v_mad_u64_u32 v[34:35], s[20:21], v48, s28, 0
	v_mfma_f32_16x16x16_bf16 a[0:3], v[44:45], v[36:37], a[0:3]
	v_add_u32_e32 v36, 1, v48
	v_ashrrev_i32_e32 v37, 31, v36
	v_add3_u32 v35, v35, v49, v104
	s_waitcnt lgkmcnt(0)
	v_mfma_f32_16x16x16_bf16 a[4:7], v[42:43], v[38:39], a[4:7]
	v_mul_lo_u32 v38, v37, s28
	v_mul_lo_u32 v39, v36, s29
	v_mad_u64_u32 v[36:37], s[20:21], v36, s28, 0
	v_add3_u32 v37, v37, v39, v38
	v_add_u32_e32 v38, 2, v48
	v_ashrrev_i32_e32 v39, 31, v38
	v_mul_lo_u32 v42, v39, s28
	v_mul_lo_u32 v43, v38, s29
	v_mad_u64_u32 v[38:39], s[20:21], v38, s28, 0
	v_add3_u32 v39, v39, v43, v42
	v_add_u32_e32 v42, 3, v48
	v_ashrrev_i32_e32 v43, 31, v42
	v_mul_lo_u32 v48, v43, s28
	v_mul_lo_u32 v49, v42, s29
	v_mad_u64_u32 v[42:43], s[20:21], v42, s28, 0
	s_add_u32 s20, s16, s59
	s_addc_u32 s21, s17, 0
	s_lshl_b64 s[20:21], s[20:21], 8
	v_lshl_add_u64 v[34:35], v[34:35], 2, s[38:39]
	v_lshl_add_u64 v[36:37], v[36:37], 2, s[38:39]
	v_add3_u32 v43, v43, v49, v48
	v_lshl_add_u64 v[48:49], v[54:55], 0, s[20:21]
	v_lshl_add_u64 v[38:39], v[38:39], 2, s[38:39]
	v_lshl_add_u64 v[48:49], v[48:49], 0, v[52:53]
	global_load_dword v104, v[34:35], off
	global_load_ushort v105, v[48:49], off offset:256
	global_load_ushort v106, v[48:49], off
	global_load_ushort v107, v[48:49], off offset:768
	global_load_ushort v108, v[48:49], off offset:512
	v_lshl_add_u64 v[34:35], v[42:43], 2, s[38:39]
	global_load_dword v109, v[36:37], off
	global_load_dword v110, v[38:39], off
	global_load_dword v111, v[34:35], off
	ds_read_b64 v[34:35], v86 offset:3072
	ds_read_b64 v[36:37], v87 offset:3072
	global_load_ushort v112, v[48:49], off offset:800
	global_load_ushort v113, v[48:49], off offset:544
	;; [unrolled: 1-line block ×3, first 2 shown]
	s_nop 0
	global_load_ushort v48, v[48:49], off offset:32
	s_load_dword s20, s[40:41], 0x0
	v_mfma_f32_16x16x16_bf16 a[4:7], v[44:45], v[40:41], a[4:7]
	s_and_b64 vcc, exec, s[0:1]
	v_mov_b32_e32 v49, 0
	s_waitcnt vmcnt(11) lgkmcnt(0)
	v_sub_f32_e32 v44, s20, v104
	v_mfma_f32_16x16x16_bf16 a[0:3], v[46:47], v[34:35], a[0:3]
	v_mul_f32_e32 v44, 0x3fb8aa3b, v44
	v_exp_f32_e32 v44, v44
	s_waitcnt vmcnt(6)
	v_sub_f32_e32 v45, s20, v109
	v_mfma_f32_16x16x16_bf16 a[4:7], v[46:47], v[36:37], a[4:7]
	s_waitcnt vmcnt(5)
	v_sub_f32_e32 v46, s20, v110
	s_waitcnt vmcnt(4)
	v_sub_f32_e32 v47, s20, v111
	v_mul_f32_e32 v45, 0x3fb8aa3b, v45
	v_mul_f32_e32 v46, 0x3fb8aa3b, v46
	;; [unrolled: 1-line block ×3, first 2 shown]
	v_exp_f32_e32 v45, v45
	v_exp_f32_e32 v46, v46
	;; [unrolled: 1-line block ×3, first 2 shown]
	v_accvgpr_read_b32 v39, a1
	v_accvgpr_read_b32 v35, a3
	;; [unrolled: 1-line block ×4, first 2 shown]
	v_lshlrev_b32_e32 v41, 16, v105
	v_lshlrev_b32_e32 v40, 16, v106
	;; [unrolled: 1-line block ×4, first 2 shown]
	v_pk_add_f32 v[38:39], v[40:41], v[38:39] neg_lo:[0,1] neg_hi:[0,1]
	v_pk_add_f32 v[34:35], v[42:43], v[34:35] neg_lo:[0,1] neg_hi:[0,1]
	v_pk_mul_f32 v[38:39], v[44:45], v[38:39]
	v_pk_mul_f32 v[34:35], v[46:47], v[34:35]
	v_accvgpr_read_b32 v41, a5
	v_perm_b32 v35, v35, v34, s3
	v_perm_b32 v34, v39, v38, s3
	s_waitcnt vmcnt(1)
	v_lshlrev_b32_e32 v39, 16, v114
	s_waitcnt vmcnt(0)
	v_lshlrev_b32_e32 v38, 16, v48
	v_accvgpr_read_b32 v40, a4
	v_accvgpr_read_b32 v37, a7
	;; [unrolled: 1-line block ×3, first 2 shown]
	v_pk_add_f32 v[38:39], v[38:39], v[40:41] neg_lo:[0,1] neg_hi:[0,1]
	v_lshlrev_b32_e32 v41, 16, v112
	v_lshlrev_b32_e32 v40, 16, v113
	v_pk_add_f32 v[36:37], v[40:41], v[36:37] neg_lo:[0,1] neg_hi:[0,1]
	v_pk_mul_f32 v[38:39], v[44:45], v[38:39]
	v_pk_mul_f32 v[36:37], v[46:47], v[36:37]
	v_mov_b32_e32 v104, 0
	v_perm_b32 v37, v37, v36, s3
	v_perm_b32 v36, v39, v38, s3
	ds_write2_b64 v73, v[34:35], v[36:37] offset1:16
	v_mov_b32_e32 v34, 0
	v_mov_b32_e32 v35, 0
	v_mov_b32_e32 v36, 0
	v_mov_b32_e32 v37, 0
	v_mov_b32_e32 v38, 0
	v_mov_b32_e32 v39, 0
	v_mov_b32_e32 v40, 0
	v_mov_b32_e32 v41, 0
	v_mov_b32_e32 v42, 0
	v_mov_b32_e32 v43, 0
	v_mov_b32_e32 v44, 0
	v_mov_b32_e32 v45, 0
	v_mov_b32_e32 v46, 0
	v_mov_b32_e32 v47, 0
	v_mov_b32_e32 v48, 0
	s_cbranch_vccnz .LBB380_15
; %bb.14:                               ;   in Loop: Header=BB380_7 Depth=1
	s_and_b32 s25, s25, 0xffff
	s_mov_b32 s27, s23
	buffer_load_dwordx4 v[46:49], v95, s[24:27], 0 offen
	buffer_load_dwordx4 v[38:41], v95, s[24:27], s58 offen
	;; [unrolled: 1-line block ×4, first 2 shown]
	v_mov_b32_e32 v103, v67
	v_mov_b32_e32 v104, v66
.LBB380_15:                             ;   in Loop: Header=BB380_7 Depth=1
	s_waitcnt lgkmcnt(0)
	s_barrier
	ds_read_b64 v[110:111], v51
	ds_read_b64 v[118:119], v91
	;; [unrolled: 1-line block ×5, first 2 shown]
	ds_read_b64 v[124:125], v92 offset:16384
	ds_read_b64 v[126:127], v90 offset:16384
	ds_read2_b64 v[106:109], v86 offset0:16 offset1:128
	s_waitcnt lgkmcnt(6)
	v_mfma_f32_16x16x16_bf16 a[0:3], v[110:111], v[118:119], 0
	ds_read_b64 v[128:129], v87 offset:3072
	ds_read_b64 v[130:131], v94 offset:16384
	s_add_i32 s21, s54, s64
	s_waitcnt lgkmcnt(2)
	v_mfma_f32_16x16x16_bf16 a[4:7], v[110:111], v[106:107], 0
	ds_read2st64_b64 v[110:113], v87 offset0:2 offset1:4
	s_mul_hi_i32 s25, s21, s13
	s_mul_i32 s21, s21, s13
	v_mfma_f32_16x16x16_bf16 a[0:3], v[114:115], v[108:109], a[0:3]
	s_add_u32 s24, s21, s47
	s_addc_u32 s25, s25, s51
	s_lshl_b64 s[24:25], s[24:25], 15
	s_waitcnt lgkmcnt(0)
	v_mfma_f32_16x16x16_bf16 a[4:7], v[114:115], v[110:111], a[4:7]
	ds_read2st64_b64 v[114:117], v86 offset0:4 offset1:6
	s_waitcnt lgkmcnt(0)
	v_mfma_f32_16x16x16_bf16 a[0:3], v[120:121], v[114:115], a[0:3]
	v_mfma_f32_16x16x16_bf16 a[8:11], v[120:121], v[112:113], a[4:7]
	;; [unrolled: 1-line block ×5, first 2 shown]
	ds_read2st64_b64 v[118:121], v89 offset1:8
	v_mfma_f32_16x16x16_bf16 a[12:15], v[126:127], v[106:107], 0
	ds_read_b64 v[126:127], v93 offset:16384
	v_mfma_f32_16x16x16_bf16 a[8:11], v[124:125], v[108:109], a[8:11]
	ds_read2st64_b64 v[106:109], v88 offset1:8
	s_waitcnt lgkmcnt(0)
	v_mov_b32_e32 v122, v106
	v_mfma_f32_16x16x16_bf16 a[12:15], v[124:125], v[110:111], a[12:15]
	v_lshl_add_u64 v[110:111], v[56:57], 0, s[24:25]
	v_add_co_u32_e32 v106, vcc, s31, v110
	v_mfma_f32_16x16x16_bf16 a[8:11], v[126:127], v[114:115], a[8:11]
	v_mov_b32_e32 v123, v107
	v_addc_co_u32_e32 v107, vcc, 0, v111, vcc
	v_mfma_f32_16x16x16_bf16 a[12:15], v[126:127], v[112:113], a[12:15]
	v_mov_b32_e32 v124, v118
	v_mov_b32_e32 v125, v119
	;; [unrolled: 1-line block ×3, first 2 shown]
	v_mfma_f32_16x16x16_bf16 a[8:11], v[130:131], v[116:117], a[8:11]
	v_mov_b32_e32 v119, v109
	s_and_b64 vcc, exec, s[0:1]
	global_store_dwordx4 v[110:111], v[122:125], off
	v_mfma_f32_16x16x16_bf16 a[12:15], v[130:131], v[128:129], a[12:15]
	global_store_dwordx4 v[106:107], v[118:121], off
	s_cbranch_vccnz .LBB380_6
; %bb.16:                               ;   in Loop: Header=BB380_7 Depth=1
	v_lshrrev_b32_e32 v105, 3, v103
	v_and_b32_e32 v105, 6, v105
	v_xor_b32_e32 v104, v105, v104
	v_lshlrev_b32_e32 v104, 2, v104
	v_and_b32_e32 v103, 8, v103
	v_xor_b32_e32 v106, 0x440, v104
	v_cmp_eq_u32_e32 vcc, 0, v103
	s_barrier
	s_nop 0
	v_cndmask_b32_e32 v103, v106, v104, vcc
	v_lshl_or_b32 v103, v105, 10, v103
	s_waitcnt vmcnt(3)
	v_perm_b32 v104, v46, v42, s60
	s_waitcnt vmcnt(2)
	v_perm_b32 v105, v38, v34, s60
	ds_write2st64_b32 v103, v104, v105 offset0:32 offset1:64
	v_xor_b32_e32 v104, 8, v103
	v_perm_b32 v42, v46, v42, s61
	v_perm_b32 v34, v38, v34, s61
	v_add_u32_e32 v38, 0x80, v104
	ds_write2st64_b32 v38, v42, v34 offset0:32 offset1:64
	v_xor_b32_e32 v34, 16, v103
	v_perm_b32 v38, v47, v43, s60
	v_perm_b32 v42, v39, v35, s60
	ds_write2st64_b32 v34, v38, v42 offset0:33 offset1:65
	v_xor_b32_e32 v34, 24, v103
	v_perm_b32 v38, v47, v43, s61
	v_perm_b32 v35, v39, v35, s61
	v_add_u32_e32 v34, 0x80, v34
	ds_write2st64_b32 v34, v38, v35 offset0:33 offset1:65
	v_xor_b32_e32 v34, 32, v103
	v_perm_b32 v35, v48, v44, s60
	;; [unrolled: 9-line block ×3, first 2 shown]
	v_perm_b32 v36, v41, v37, s60
	ds_write2st64_b32 v34, v35, v36 offset0:35 offset1:67
	v_xor_b32_e32 v34, 56, v103
	v_perm_b32 v35, v49, v45, s61
	v_perm_b32 v36, v41, v37, s61
	v_add_u32_e32 v34, 0x80, v34
	ds_write2st64_b32 v34, v35, v36 offset0:35 offset1:67
	ds_write_b64 v102, v[30:31] offset:24576
	v_xor_b32_e32 v30, 8, v102
	ds_write_b64 v30, v[32:33] offset:24576
	ds_write_b64 v102, v[26:27] offset:32768
	;; [unrolled: 1-line block ×4, first 2 shown]
	v_xor_b32_e32 v22, 8, v101
	ds_write_b64 v22, v[24:25] offset:24576
	ds_write_b64 v101, v[18:19] offset:32768
	;; [unrolled: 1-line block ×3, first 2 shown]
	s_branch .LBB380_6
.LBB380_17:
	s_lshl_b32 s26, s50, 6
	s_sub_i32 s27, s12, s26
	s_cmp_gt_i32 s27, 0
	s_cbranch_scc0 .LBB380_82
; %bb.18:
	s_ashr_i32 s3, s26, 31
	s_cmpk_lg_i32 s15, 0x80
	s_cselect_b64 s[22:23], -1, 0
	s_and_b64 vcc, exec, s[22:23]
	s_cbranch_vccz .LBB380_20
; %bb.19:
	s_mul_i32 s1, s49, s12
	s_mul_hi_i32 s0, s49, s12
	s_add_u32 s1, s1, s26
	s_addc_u32 s0, s0, s3
	s_mul_i32 s17, s1, s52
	s_mul_hi_u32 s20, s1, s14
	s_add_i32 s17, s20, s17
	s_mul_i32 s0, s0, s14
	s_add_i32 s17, s17, s0
	s_mul_i32 s1, s1, s14
	s_ashr_i32 s0, s53, 31
	s_add_u32 s24, s1, s53
	s_addc_u32 s25, s17, s0
	s_cbranch_execz .LBB380_21
	s_branch .LBB380_22
.LBB380_20:
                                        ; implicit-def: $sgpr24_sgpr25
.LBB380_21:
	s_mul_hi_i32 s0, s49, s14
	s_mul_i32 s49, s49, s14
	s_ashr_i32 s1, s53, 31
	s_add_u32 s14, s49, s53
	s_addc_u32 s0, s0, s1
	s_mul_i32 s1, s14, s48
	s_mul_hi_u32 s17, s14, s12
	s_add_i32 s1, s17, s1
	s_mul_i32 s0, s0, s12
	s_add_i32 s1, s1, s0
	s_mul_i32 s14, s14, s12
	s_add_u32 s24, s14, s26
	s_addc_u32 s25, s1, s3
.LBB380_22:
	s_mul_i32 s0, s36, s48
	s_add_i32 s0, s55, s0
	s_add_i32 s14, s54, s50
	;; [unrolled: 1-line block ×3, first 2 shown]
	s_add_u32 s0, s16, s26
	v_lshlrev_b32_e32 v6, 5, v64
	v_lshlrev_b32_e32 v34, 2, v61
	s_addc_u32 s1, s1, s3
	s_mov_b32 s3, 0x7060302
	v_or_b32_e32 v9, v6, v34
	v_xor_b32_e32 v7, v64, v34
	v_perm_b32 v3, v21, v20, s3
	v_perm_b32 v2, v19, v18, s3
	v_perm_b32 v5, v25, v24, s3
	v_perm_b32 v4, v23, v22, s3
	v_lshlrev_b32_e32 v9, 1, v9
	v_xor_b32_e32 v8, v65, v34
	ds_write2st64_b64 v9, v[2:3], v[4:5] offset0:80 offset1:88
	v_lshlrev_b32_e32 v7, 1, v7
	v_lshlrev_b32_e32 v9, 8, v61
	s_lshl_b64 s[20:21], s[0:1], 8
	v_or_b32_e32 v10, v7, v9
	v_lshlrev_b32_e32 v8, 1, v8
	s_add_u32 s0, s6, s20
	ds_write_b64 v10, v[2:3]
	v_or_b32_e32 v2, v8, v9
	s_addc_u32 s1, s7, s21
	ds_write_b64 v2, v[4:5]
	v_perm_b32 v3, v29, v28, s3
	v_perm_b32 v2, v27, v26, s3
	;; [unrolled: 1-line block ×4, first 2 shown]
	v_or_b32_e32 v9, 16, v61
	s_mul_hi_i32 s3, s14, s13
	s_mul_i32 s14, s14, s13
	v_lshlrev_b32_e32 v19, 2, v9
	s_add_u32 s6, s14, s47
	v_or_b32_e32 v6, v6, v19
	s_addc_u32 s7, s3, s51
	v_lshlrev_b32_e32 v6, 1, v6
	s_ashr_i32 s3, s2, 31
	s_lshl_b64 s[6:7], s[6:7], 15
	ds_write2st64_b64 v6, v[2:3], v[4:5] offset0:80 offset1:88
	v_lshlrev_b32_e32 v6, 8, v9
	s_add_u32 s6, s18, s6
	v_or_b32_e32 v7, v7, v6
	s_addc_u32 s7, s19, s7
	s_lshl_b64 s[2:3], s[2:3], 8
	ds_write_b64 v7, v[2:3]
	v_or_b32_e32 v2, v8, v6
	s_add_u32 s2, s6, s2
	ds_write_b64 v2, v[4:5]
	v_lshrrev_b32_e32 v2, 4, v0
	s_addc_u32 s3, s7, s3
	v_lshlrev_b32_e32 v3, 1, v61
	v_lshlrev_b32_e32 v10, 4, v61
	v_mov_b32_e32 v11, 0
	v_or_b32_e32 v4, 1, v3
	v_xor_b32_e32 v3, v2, v3
	v_lshl_add_u64 v[12:13], s[2:3], 0, v[10:11]
	v_lshlrev_b32_e32 v10, 8, v2
	v_xor_b32_e32 v6, v4, v2
	v_lshl_or_b32 v2, v3, 3, v10
	s_waitcnt lgkmcnt(0)
	s_barrier
	ds_read2st64_b64 v[2:5], v2 offset1:8
	v_lshl_or_b32 v6, v6, 3, v10
	ds_read2st64_b64 v[6:9], v6 offset1:8
	v_lshl_add_u64 v[14:15], v[12:13], 0, v[10:11]
	s_movk_i32 s2, 0x1000
	s_waitcnt lgkmcnt(1)
	v_mov_b32_e32 v10, v2
	v_add_co_u32_e32 v2, vcc, s2, v14
	s_cmp_lg_u32 s27, 64
	v_mov_b32_e32 v11, v3
	v_addc_co_u32_e32 v3, vcc, 0, v15, vcc
	s_cselect_b64 s[6:7], -1, 0
	v_lshl_or_b32 v22, v59, 3, v63
	s_waitcnt lgkmcnt(0)
	v_mov_b32_e32 v12, v6
	v_mov_b32_e32 v13, v7
	;; [unrolled: 1-line block ×4, first 2 shown]
	s_mov_b32 s16, 0
	v_or_b32_e32 v20, 32, v22
	v_and_b32_e32 v18, 56, v62
	s_and_b64 vcc, exec, s[6:7]
	global_store_dwordx4 v[14:15], v[10:13], off
	global_store_dwordx4 v[2:3], v[6:9], off
	s_cbranch_vccz .LBB380_28
; %bb.23:
	s_mov_b32 s17, s16
	s_mov_b32 s18, s16
	;; [unrolled: 1-line block ×3, first 2 shown]
	v_mov_b64_e32 v[6:7], s[16:17]
	v_mov_b64_e32 v[8:9], s[18:19]
	;; [unrolled: 1-line block ×3, first 2 shown]
	v_cmp_gt_i32_e32 vcc, s27, v22
	v_mov_b64_e32 v[4:5], v[8:9]
	s_and_saveexec_b64 s[2:3], vcc
	s_cbranch_execz .LBB380_25
; %bb.24:
	v_lshlrev_b32_e32 v2, 8, v22
	v_mov_b32_e32 v3, 0
	v_lshl_add_u64 v[4:5], s[0:1], 0, v[2:3]
	v_lshlrev_b32_e32 v2, 1, v18
	v_lshl_add_u64 v[10:11], v[4:5], 0, v[2:3]
	global_load_dwordx4 v[6:9], v[10:11], off
	global_load_dwordx4 v[2:5], v[10:11], off offset:128
.LBB380_25:
	s_or_b64 exec, exec, s[2:3]
	s_mov_b32 s17, s16
	s_mov_b32 s18, s16
	s_mov_b32 s19, s16
	v_mov_b64_e32 v[14:15], s[16:17]
	v_mov_b64_e32 v[16:17], s[18:19]
	;; [unrolled: 1-line block ×3, first 2 shown]
	v_cmp_gt_i32_e32 vcc, s27, v20
	v_lshlrev_b32_e32 v21, 7, v20
	v_mov_b64_e32 v[12:13], v[16:17]
	s_and_saveexec_b64 s[2:3], vcc
	s_cbranch_execz .LBB380_27
; %bb.26:
	v_lshlrev_b32_e32 v10, 1, v21
	v_mov_b32_e32 v11, 0
	v_lshl_add_u64 v[12:13], s[0:1], 0, v[10:11]
	v_lshlrev_b32_e32 v10, 1, v18
	v_lshl_add_u64 v[24:25], v[12:13], 0, v[10:11]
	global_load_dwordx4 v[14:17], v[24:25], off
	global_load_dwordx4 v[10:13], v[24:25], off offset:128
.LBB380_27:
	s_or_b64 exec, exec, s[2:3]
	v_lshrrev_b32_e32 v23, 3, v18
	v_lshlrev_b32_e32 v24, 3, v22
	v_or_b32_e32 v23, v24, v23
	v_lshlrev_b32_e32 v23, 4, v23
	v_and_b32_e32 v24, 0x78, v24
	v_xor_b32_e32 v23, v23, v24
	s_branch .LBB380_30
.LBB380_28:
                                        ; implicit-def: $vgpr23
                                        ; implicit-def: $vgpr21
                                        ; implicit-def: $vgpr6_vgpr7_vgpr8_vgpr9
                                        ; implicit-def: $vgpr2_vgpr3_vgpr4_vgpr5
                                        ; implicit-def: $vgpr14_vgpr15_vgpr16_vgpr17
                                        ; implicit-def: $vgpr10_vgpr11_vgpr12_vgpr13
	s_cbranch_execz .LBB380_30
; %bb.29:
	s_waitcnt vmcnt(0)
	v_lshlrev_b32_e32 v2, 1, v18
	v_lshl_or_b32 v21, v22, 8, v2
	s_and_b32 s1, s1, 0xffff
	s_mov_b32 s3, 0x20000
	s_movk_i32 s2, 0x4000
	v_lshl_or_b32 v23, v20, 8, v2
	s_movk_i32 s13, 0x80
	buffer_load_dwordx4 v[6:9], v21, s[0:3], 0 offen
	buffer_load_dwordx4 v[2:5], v21, s[0:3], s13 offen
	;; [unrolled: 1-line block ×4, first 2 shown]
	v_lshrrev_b32_e32 v21, 3, v18
	v_lshlrev_b32_e32 v23, 3, v22
	v_or_b32_e32 v21, v23, v21
	v_lshlrev_b32_e32 v21, 4, v21
	v_and_b32_e32 v23, 0x78, v23
	v_xor_b32_e32 v23, v21, v23
	v_lshlrev_b32_e32 v21, 7, v20
.LBB380_30:
	s_lshl_b64 s[0:1], s[24:25], 8
	s_add_u32 s4, s4, s0
	s_movk_i32 s0, 0x1000
	v_and_or_b32 v20, v21, s0, v23
	s_waitcnt vmcnt(1)
	ds_write_b64 v23, v[6:7] offset:24576
	v_xor_b32_e32 v6, 8, v23
	ds_write_b64 v6, v[8:9] offset:24576
	s_waitcnt vmcnt(0)
	ds_write_b64 v23, v[2:3] offset:32768
	ds_write_b64 v6, v[4:5] offset:32768
	;; [unrolled: 1-line block ×3, first 2 shown]
	v_xor_b32_e32 v2, 8, v20
	ds_write_b64 v2, v[16:17] offset:24576
	ds_write_b64 v20, v[10:11] offset:32768
	;; [unrolled: 1-line block ×3, first 2 shown]
	v_or_b32_e32 v2, v1, v61
	v_lshlrev_b32_e32 v3, 11, v59
	v_lshlrev_b32_e32 v2, 3, v2
	v_and_b32_e32 v6, 0x1000, v3
	v_lshrrev_b32_e32 v3, 5, v58
	s_movk_i32 s3, 0xf8
	v_and_or_b32 v3, v2, s3, v3
	v_lshlrev_b32_e32 v7, 4, v3
	v_and_b32_e32 v8, 0x78, v2
	v_or_b32_e32 v10, 32, v7
	v_lshrrev_b32_e32 v3, 1, v58
	v_xor_b32_e32 v10, v10, v8
	v_xor_b32_e32 v2, v7, v8
	v_and_b32_e32 v9, 8, v3
	v_or_b32_e32 v10, v10, v6
	v_or_b32_e32 v2, v2, v6
	v_xor_b32_e32 v25, v10, v9
	v_or_b32_e32 v10, 64, v7
	v_xor_b32_e32 v24, v2, v9
	v_xor_b32_e32 v10, v10, v8
	s_waitcnt lgkmcnt(0)
	s_barrier
	v_or_b32_e32 v12, v10, v6
	ds_read_b64 v[10:11], v24 offset:24576
	v_lshl_or_b32 v20, v60, 7, v34
	v_lshlrev_b32_e32 v23, 1, v20
	v_add_u32_e32 v2, 0xa000, v23
	ds_read2_b64 v[2:5], v2 offset1:16
	v_or_b32_e32 v7, 0x60, v7
	v_xor_b32_e32 v7, v7, v8
	s_waitcnt lgkmcnt(0)
	v_mfma_f32_16x16x16_bf16 a[0:3], v[10:11], v[2:3], 0
	v_or_b32_e32 v2, 64, v20
	v_or_b32_e32 v6, v7, v6
	v_lshlrev_b32_e32 v28, 1, v2
	v_xor_b32_e32 v26, v12, v9
	v_xor_b32_e32 v27, v6, v9
	ds_read_b64 v[12:13], v25 offset:24576
	ds_read_b64 v[14:15], v26 offset:24576
	;; [unrolled: 1-line block ×3, first 2 shown]
	v_mfma_f32_16x16x16_bf16 a[4:7], v[10:11], v[4:5], 0
	ds_read2st64_b64 v[2:5], v28 offset0:82 offset1:84
	ds_read2st64_b64 v[6:9], v23 offset0:82 offset1:84
	s_addc_u32 s5, s5, s1
	s_add_i32 s1, s42, s33
	s_add_i32 s0, s12, -1
	s_add_i32 s31, s1, s46
	s_add_i32 s1, s44, s43
	s_add_i32 s35, s1, s45
	s_ashr_i32 s1, s0, 31
	s_mul_i32 s2, s0, s29
	s_mul_hi_u32 s3, s0, s28
	s_add_i32 s2, s3, s2
	s_mul_i32 s1, s1, s28
	s_waitcnt lgkmcnt(1)
	v_mfma_f32_16x16x16_bf16 a[4:7], v[12:13], v[2:3], a[4:7]
	s_add_i32 s1, s2, s1
	s_lshl_b64 s[2:3], s[30:31], 2
	s_add_u32 s10, s10, s2
	s_waitcnt lgkmcnt(0)
	v_mfma_f32_16x16x16_bf16 a[0:3], v[12:13], v[6:7], a[0:3]
	s_addc_u32 s11, s11, s3
	s_lshl_b64 s[2:3], s[34:35], 2
	s_mul_i32 s0, s0, s28
	s_add_u32 s10, s10, s2
	ds_read_b64 v[2:3], v23 offset:44032
	v_mfma_f32_16x16x16_bf16 a[4:7], v[14:15], v[4:5], a[4:7]
	ds_read_b64 v[4:5], v28 offset:44032
	s_addc_u32 s11, s11, s3
	s_lshl_b64 s[0:1], s[0:1], 2
	v_mfma_f32_16x16x16_bf16 a[0:3], v[14:15], v[8:9], a[0:3]
	s_add_u32 s0, s10, s0
	s_addc_u32 s1, s11, s1
	s_load_dword s12, s[0:1], 0x0
	s_waitcnt lgkmcnt(0)
	v_mfma_f32_16x16x16_bf16 a[0:3], v[16:17], v[2:3], a[0:3]
	s_and_b64 vcc, exec, s[22:23]
	v_mfma_f32_16x16x16_bf16 a[4:7], v[16:17], v[4:5], a[4:7]
	s_cbranch_vccz .LBB380_41
; %bb.31:
	v_lshlrev_b32_e32 v20, 1, v22
	s_and_b64 vcc, exec, s[6:7]
	s_cbranch_vccz .LBB380_42
; %bb.32:
	v_cmp_gt_i32_e32 vcc, s27, v20
	v_mov_b32_e32 v6, 0
	v_mov_b32_e32 v2, 0
	;; [unrolled: 1-line block ×5, first 2 shown]
	s_and_saveexec_b64 s[0:1], vcc
	s_cbranch_execz .LBB380_34
; %bb.33:
	v_mad_i64_i32 v[2:3], s[2:3], s15, v20, 0
	v_lshl_add_u64 v[2:3], v[2:3], 1, s[4:5]
	v_lshlrev_b32_e32 v4, 1, v18
	v_mov_b32_e32 v5, 0
	v_lshl_add_u64 v[2:3], v[2:3], 0, v[4:5]
	global_load_dwordx4 v[2:5], v[2:3], off
.LBB380_34:
	s_or_b64 exec, exec, s[0:1]
	v_or_b32_e32 v21, 1, v20
	v_cmp_gt_i32_e64 s[0:1], s27, v21
	v_mov_b32_e32 v7, 0
	v_mov_b32_e32 v8, 0
	;; [unrolled: 1-line block ×3, first 2 shown]
	s_and_saveexec_b64 s[2:3], s[0:1]
	s_cbranch_execz .LBB380_36
; %bb.35:
	v_mad_i64_i32 v[6:7], s[16:17], s15, v21, 0
	v_lshl_add_u64 v[6:7], v[6:7], 1, s[4:5]
	v_lshlrev_b32_e32 v8, 1, v18
	v_mov_b32_e32 v9, 0
	v_lshl_add_u64 v[6:7], v[6:7], 0, v[8:9]
	global_load_dwordx4 v[6:9], v[6:7], off
.LBB380_36:
	s_or_b64 exec, exec, s[2:3]
	v_mov_b32_e32 v17, 0
	v_mov_b32_e32 v10, 0
	;; [unrolled: 1-line block ×5, first 2 shown]
	s_and_saveexec_b64 s[2:3], vcc
	s_cbranch_execz .LBB380_38
; %bb.37:
	v_mad_i64_i32 v[10:11], s[16:17], s15, v20, 0
	v_lshl_add_u64 v[10:11], v[10:11], 1, s[4:5]
	v_lshlrev_b32_e32 v12, 1, v18
	v_mov_b32_e32 v13, 0
	v_lshl_add_u64 v[10:11], v[10:11], 0, v[12:13]
	global_load_dwordx4 v[10:13], v[10:11], off offset:128
.LBB380_38:
	s_or_b64 exec, exec, s[2:3]
	v_mov_b32_e32 v16, 0
	v_mov_b32_e32 v15, 0
	;; [unrolled: 1-line block ×3, first 2 shown]
	s_and_saveexec_b64 s[2:3], s[0:1]
	s_cbranch_execz .LBB380_40
; %bb.39:
	v_mad_i64_i32 v[14:15], s[0:1], s15, v21, 0
	v_lshl_add_u64 v[14:15], v[14:15], 1, s[4:5]
	v_lshlrev_b32_e32 v16, 1, v18
	v_mov_b32_e32 v17, 0
	v_lshl_add_u64 v[14:15], v[14:15], 0, v[16:17]
	global_load_dwordx4 v[14:17], v[14:15], off offset:128
.LBB380_40:
	s_or_b64 exec, exec, s[2:3]
	s_branch .LBB380_44
.LBB380_41:
                                        ; implicit-def: $vgpr5
                                        ; implicit-def: $vgpr9
                                        ; implicit-def: $vgpr13
                                        ; implicit-def: $vgpr17
	v_lshrrev_b32_e32 v29, 2, v58
	s_branch .LBB380_45
.LBB380_42:
                                        ; implicit-def: $vgpr5
                                        ; implicit-def: $vgpr9
                                        ; implicit-def: $vgpr13
                                        ; implicit-def: $vgpr17
	s_cbranch_execz .LBB380_44
; %bb.43:
	s_waitcnt vmcnt(0)
	v_mad_u64_u32 v[2:3], s[0:1], v20, s15, v[18:19]
	v_lshlrev_b32_e32 v20, 1, v2
	s_lshl_b32 s2, s15, 7
	s_and_b32 s1, s5, 0xffff
	s_mov_b32 s3, 0x20000
	s_mov_b32 s0, s4
	v_add_lshl_u32 v21, v2, s15, 1
	s_movk_i32 s13, 0x80
	buffer_load_dwordx4 v[2:5], v20, s[0:3], 0 offen
	buffer_load_dwordx4 v[10:13], v20, s[0:3], s13 offen
	;; [unrolled: 1-line block ×4, first 2 shown]
.LBB380_44:
	v_lshrrev_b32_e32 v29, 2, v58
	s_cbranch_execnz .LBB380_57
.LBB380_45:
	s_and_b64 vcc, exec, s[6:7]
	s_cbranch_vccz .LBB380_55
; %bb.46:
	s_waitcnt vmcnt(0)
	v_lshlrev_b32_e32 v7, 1, v22
	v_cmp_gt_i32_e32 vcc, s27, v7
	v_mov_b32_e32 v6, 0
	v_lshlrev_b32_e32 v14, 9, v22
	v_mov_b32_e32 v2, 0
	v_mov_b32_e32 v3, 0
	;; [unrolled: 1-line block ×4, first 2 shown]
	s_and_saveexec_b64 s[0:1], vcc
	s_cbranch_execz .LBB380_48
; %bb.47:
	v_mov_b32_e32 v15, 0
	v_lshl_add_u64 v[2:3], s[4:5], 0, v[14:15]
	v_lshlrev_b32_e32 v4, 1, v18
	v_mov_b32_e32 v5, v15
	v_lshl_add_u64 v[2:3], v[2:3], 0, v[4:5]
	global_load_dwordx4 v[2:5], v[2:3], off
.LBB380_48:
	s_or_b64 exec, exec, s[0:1]
	v_or_b32_e32 v7, 1, v7
	v_cmp_gt_i32_e64 s[0:1], s27, v7
	v_lshlrev_b32_e32 v20, 8, v7
	v_mov_b32_e32 v7, 0
	v_mov_b32_e32 v8, 0
	;; [unrolled: 1-line block ×3, first 2 shown]
	s_and_saveexec_b64 s[2:3], s[0:1]
	s_cbranch_execz .LBB380_50
; %bb.49:
	v_mov_b32_e32 v21, 0
	v_lshl_add_u64 v[6:7], s[4:5], 0, v[20:21]
	v_lshlrev_b32_e32 v8, 1, v18
	v_mov_b32_e32 v9, v21
	v_lshl_add_u64 v[6:7], v[6:7], 0, v[8:9]
	global_load_dwordx4 v[6:9], v[6:7], off
.LBB380_50:
	s_or_b64 exec, exec, s[2:3]
	v_mov_b32_e32 v17, 0
	v_mov_b32_e32 v10, 0
	;; [unrolled: 1-line block ×5, first 2 shown]
	s_and_saveexec_b64 s[2:3], vcc
	s_cbranch_execz .LBB380_52
; %bb.51:
	v_mov_b32_e32 v15, 0
	v_lshl_add_u64 v[10:11], s[4:5], 0, v[14:15]
	v_lshlrev_b32_e32 v14, 1, v18
	v_lshl_add_u64 v[10:11], v[10:11], 0, v[14:15]
	global_load_dwordx4 v[10:13], v[10:11], off offset:128
.LBB380_52:
	s_or_b64 exec, exec, s[2:3]
	v_mov_b32_e32 v16, 0
	v_mov_b32_e32 v15, 0
	;; [unrolled: 1-line block ×3, first 2 shown]
	s_and_saveexec_b64 s[2:3], s[0:1]
	s_cbranch_execz .LBB380_54
; %bb.53:
	v_mov_b32_e32 v21, 0
	v_lshl_add_u64 v[14:15], s[4:5], 0, v[20:21]
	v_lshlrev_b32_e32 v20, 1, v18
	v_lshl_add_u64 v[14:15], v[14:15], 0, v[20:21]
	global_load_dwordx4 v[14:17], v[14:15], off offset:128
.LBB380_54:
	s_or_b64 exec, exec, s[2:3]
	s_branch .LBB380_57
.LBB380_55:
                                        ; implicit-def: $vgpr5
                                        ; implicit-def: $vgpr9
                                        ; implicit-def: $vgpr13
                                        ; implicit-def: $vgpr17
	s_cbranch_execz .LBB380_57
; %bb.56:
	s_waitcnt vmcnt(0)
	v_lshlrev_b32_e32 v2, 1, v18
	v_lshl_or_b32 v18, v22, 9, v2
	s_and_b32 s5, s5, 0xffff
	s_mov_b32 s7, 0x20000
	s_movk_i32 s6, 0x4000
	s_movk_i32 s0, 0x80
	buffer_load_dwordx4 v[2:5], v18, s[4:7], 0 offen
	buffer_load_dwordx4 v[6:9], v18, s[4:7], 0 offen offset:256
	buffer_load_dwordx4 v[10:13], v18, s[4:7], s0 offen
	buffer_load_dwordx4 v[14:17], v18, s[4:7], s0 offen offset:256
.LBB380_57:
	ds_read_b64 v[20:21], v24 offset:32768
	v_add_u32_e32 v18, 0xb000, v23
	ds_read2_b64 v[30:33], v18 offset1:16
	ds_read_b64 v[36:37], v25 offset:32768
	ds_read_b64 v[38:39], v26 offset:32768
	;; [unrolled: 1-line block ×3, first 2 shown]
	v_and_b32_e32 v18, 6, v0
	v_xor_b32_e32 v22, v22, v18
	v_lshlrev_b32_e32 v22, 2, v22
	v_and_b32_e32 v0, 1, v0
	v_cmp_eq_u32_e32 vcc, 0, v0
	s_mov_b32 s0, 0x1000504
	s_waitcnt lgkmcnt(3)
	v_mfma_f32_16x16x16_bf16 a[0:3], v[20:21], v[30:31], a[0:3]
	s_mov_b32 s1, 0x3020706
	v_mfma_f32_16x16x16_bf16 a[4:7], v[20:21], v[32:33], a[4:7]
	ds_read2st64_b64 v[24:27], v23 offset0:90 offset1:92
	ds_read2st64_b64 v[30:33], v28 offset0:90 offset1:92
	s_waitcnt lgkmcnt(1)
	v_mfma_f32_16x16x16_bf16 a[0:3], v[36:37], v[24:25], a[0:3]
	ds_read_b64 v[20:21], v23 offset:48128
	ds_read_b64 v[24:25], v28 offset:48128
	v_xor_b32_e32 v23, 0x440, v22
	v_cndmask_b32_e32 v0, v23, v22, vcc
	s_waitcnt lgkmcnt(2)
	v_mfma_f32_16x16x16_bf16 a[4:7], v[36:37], v[30:31], a[4:7]
	v_lshl_or_b32 v0, v18, 10, v0
	s_waitcnt vmcnt(0)
	v_perm_b32 v18, v2, v6, s0
	v_perm_b32 v2, v2, v6, s1
	v_mfma_f32_16x16x16_bf16 a[0:3], v[38:39], v[26:27], a[0:3]
	v_perm_b32 v6, v10, v14, s1
	v_mfma_f32_16x16x16_bf16 a[8:11], v[38:39], v[32:33], a[4:7]
	s_waitcnt lgkmcnt(1)
	v_mfma_f32_16x16x16_bf16 a[4:7], v[40:41], v[20:21], a[0:3]
	v_perm_b32 v20, v10, v14, s0
	ds_write2st64_b32 v0, v18, v20 offset0:32 offset1:64
	v_xor_b32_e32 v18, 8, v0
	v_add_u32_e32 v10, 0x80, v18
	ds_write2st64_b32 v10, v2, v6 offset0:32 offset1:64
	v_xor_b32_e32 v2, 16, v0
	v_perm_b32 v6, v3, v7, s0
	v_perm_b32 v10, v11, v15, s0
	ds_write2st64_b32 v2, v6, v10 offset0:33 offset1:65
	v_xor_b32_e32 v2, 24, v0
	v_perm_b32 v3, v3, v7, s1
	v_perm_b32 v6, v11, v15, s1
	v_add_u32_e32 v2, 0x80, v2
	ds_write2st64_b32 v2, v3, v6 offset0:33 offset1:65
	v_xor_b32_e32 v2, 32, v0
	v_perm_b32 v3, v4, v8, s0
	v_perm_b32 v6, v12, v16, s0
	ds_write2st64_b32 v2, v3, v6 offset0:34 offset1:66
	v_xor_b32_e32 v2, 40, v0
	s_waitcnt lgkmcnt(5)
	v_mfma_f32_16x16x16_bf16 a[0:3], v[40:41], v[24:25], a[8:11]
	v_perm_b32 v3, v4, v8, s1
	v_perm_b32 v4, v12, v16, s1
	v_add_u32_e32 v2, 0x80, v2
	ds_write2st64_b32 v2, v3, v4 offset0:34 offset1:66
	v_xor_b32_e32 v2, 48, v0
	v_perm_b32 v3, v5, v9, s0
	v_perm_b32 v4, v13, v17, s0
	ds_write2st64_b32 v2, v3, v4 offset0:35 offset1:67
	v_xor_b32_e32 v0, 56, v0
	v_perm_b32 v3, v13, v17, s1
	v_and_or_b32 v17, v29, 12, v1
	v_perm_b32 v2, v5, v9, s1
	v_add_u32_e32 v0, 0x80, v0
	v_cmp_gt_i32_e32 vcc, s27, v17
	v_mov_b32_e32 v14, 0
	v_mov_b32_e32 v16, 0
	ds_write2st64_b32 v0, v2, v3 offset0:35 offset1:67
	s_and_saveexec_b64 s[0:1], vcc
	s_cbranch_execz .LBB380_59
; %bb.58:
	v_add_u32_e32 v0, s26, v17
	v_ashrrev_i32_e32 v1, 31, v0
	v_mul_lo_u32 v2, v1, s28
	v_mul_lo_u32 v3, v0, s29
	v_mad_u64_u32 v[0:1], s[2:3], v0, s28, 0
	v_add3_u32 v1, v1, v3, v2
	v_lshl_add_u64 v[0:1], v[0:1], 2, s[10:11]
	global_load_dword v0, v[0:1], off
	s_waitcnt vmcnt(0)
	v_sub_f32_e32 v0, s12, v0
	v_mul_f32_e32 v0, 0x3fb8aa3b, v0
	v_exp_f32_e32 v16, v0
.LBB380_59:
	s_or_b64 exec, exec, s[0:1]
	v_or_b32_e32 v8, 1, v17
	v_cmp_gt_i32_e64 s[0:1], s27, v8
	s_and_saveexec_b64 s[2:3], s[0:1]
	s_cbranch_execz .LBB380_61
; %bb.60:
	v_add_u32_e32 v0, s26, v8
	v_ashrrev_i32_e32 v1, 31, v0
	v_mul_lo_u32 v2, v1, s28
	v_mul_lo_u32 v3, v0, s29
	v_mad_u64_u32 v[0:1], s[4:5], v0, s28, 0
	v_add3_u32 v1, v1, v3, v2
	v_lshl_add_u64 v[0:1], v[0:1], 2, s[10:11]
	global_load_dword v0, v[0:1], off
	s_waitcnt vmcnt(0)
	v_sub_f32_e32 v0, s12, v0
	v_mul_f32_e32 v0, 0x3fb8aa3b, v0
	v_exp_f32_e32 v14, v0
.LBB380_61:
	s_or_b64 exec, exec, s[2:3]
	v_or_b32_e32 v10, 2, v17
	v_cmp_gt_i32_e64 s[2:3], s27, v10
	v_mov_b32_e32 v15, 0
	v_mov_b32_e32 v18, 0
	s_and_saveexec_b64 s[4:5], s[2:3]
	s_cbranch_execz .LBB380_63
; %bb.62:
	v_add_u32_e32 v0, s26, v10
	v_ashrrev_i32_e32 v1, 31, v0
	v_mul_lo_u32 v2, v1, s28
	v_mul_lo_u32 v3, v0, s29
	v_mad_u64_u32 v[0:1], s[6:7], v0, s28, 0
	v_add3_u32 v1, v1, v3, v2
	v_lshl_add_u64 v[0:1], v[0:1], 2, s[10:11]
	global_load_dword v0, v[0:1], off
	s_waitcnt vmcnt(0)
	v_sub_f32_e32 v0, s12, v0
	v_mul_f32_e32 v0, 0x3fb8aa3b, v0
	v_exp_f32_e32 v18, v0
.LBB380_63:
	s_or_b64 exec, exec, s[4:5]
	v_or_b32_e32 v12, 3, v17
	v_cmp_gt_i32_e64 s[4:5], s27, v12
	s_and_saveexec_b64 s[6:7], s[4:5]
	s_cbranch_execz .LBB380_65
; %bb.64:
	v_add_u32_e32 v0, s26, v12
	v_ashrrev_i32_e32 v1, 31, v0
	v_mul_lo_u32 v2, v1, s28
	v_mul_lo_u32 v3, v0, s29
	v_mad_u64_u32 v[0:1], s[14:15], v0, s28, 0
	v_add3_u32 v1, v1, v3, v2
	v_lshl_add_u64 v[0:1], v[0:1], 2, s[10:11]
	global_load_dword v0, v[0:1], off
	s_waitcnt vmcnt(0)
	v_sub_f32_e32 v0, s12, v0
	v_mul_f32_e32 v0, 0x3fb8aa3b, v0
	v_exp_f32_e32 v15, v0
.LBB380_65:
	s_or_b64 exec, exec, s[6:7]
	s_add_u32 s6, s8, s20
	v_accvgpr_read_b32 v0, a4
	s_addc_u32 s7, s9, s21
	v_ashrrev_i32_e32 v51, 31, v50
	v_accvgpr_read_b32 v1, a5
	v_accvgpr_read_b32 v2, a6
	;; [unrolled: 1-line block ×3, first 2 shown]
	v_lshl_add_u64 v[4:5], v[50:51], 1, s[6:7]
	v_mov_b32_e32 v9, 0
	v_lshlrev_b32_e32 v6, 8, v17
	v_mov_b32_e32 v7, 0
	s_and_saveexec_b64 s[6:7], vcc
	s_cbranch_execz .LBB380_67
; %bb.66:
	v_mov_b32_e32 v7, 0
	v_lshl_add_u64 v[20:21], v[4:5], 0, v[6:7]
	global_load_ushort v7, v[20:21], off
	s_waitcnt vmcnt(0)
	v_lshlrev_b32_e32 v7, 16, v7
	v_sub_f32_e32 v0, v7, v0
	v_mul_f32_e32 v0, v16, v0
	v_lshrrev_b32_e32 v7, 16, v0
.LBB380_67:
	s_or_b64 exec, exec, s[6:7]
	v_lshlrev_b32_e32 v8, 8, v8
	s_and_saveexec_b64 s[6:7], s[0:1]
	s_cbranch_execz .LBB380_69
; %bb.68:
	v_mov_b32_e32 v9, 0
	v_lshl_add_u64 v[20:21], v[4:5], 0, v[8:9]
	global_load_ushort v0, v[20:21], off
	s_waitcnt vmcnt(0)
	v_lshlrev_b32_e32 v0, 16, v0
	v_sub_f32_e32 v0, v0, v1
	v_mul_f32_e32 v0, v14, v0
	v_lshrrev_b32_e32 v9, 16, v0
.LBB380_69:
	s_or_b64 exec, exec, s[6:7]
	v_mov_b32_e32 v13, 0
	v_lshlrev_b32_e32 v10, 8, v10
	v_mov_b32_e32 v11, 0
	s_and_saveexec_b64 s[6:7], s[2:3]
	s_cbranch_execz .LBB380_71
; %bb.70:
	v_mov_b32_e32 v11, 0
	v_lshl_add_u64 v[0:1], v[4:5], 0, v[10:11]
	global_load_ushort v0, v[0:1], off
	s_waitcnt vmcnt(0)
	v_lshlrev_b32_e32 v0, 16, v0
	v_sub_f32_e32 v0, v0, v2
	v_mul_f32_e32 v0, v18, v0
	v_lshrrev_b32_e32 v11, 16, v0
.LBB380_71:
	s_or_b64 exec, exec, s[6:7]
	v_lshlrev_b32_e32 v12, 8, v12
	s_and_saveexec_b64 s[6:7], s[4:5]
	s_cbranch_execz .LBB380_73
; %bb.72:
	v_mov_b32_e32 v13, 0
	v_lshl_add_u64 v[0:1], v[4:5], 0, v[12:13]
	global_load_ushort v0, v[0:1], off
	s_waitcnt vmcnt(0)
	v_lshlrev_b32_e32 v0, 16, v0
	v_sub_f32_e32 v0, v0, v3
	v_mul_f32_e32 v0, v15, v0
	v_lshrrev_b32_e32 v13, 16, v0
.LBB380_73:
	s_or_b64 exec, exec, s[6:7]
	v_lshlrev_b32_e32 v17, 5, v17
	s_mov_b32 s6, 0x5040100
	v_perm_b32 v20, v9, v7, s6
	v_or_b32_e32 v7, v17, v34
	v_accvgpr_read_b32 v0, a0
	v_perm_b32 v21, v13, v11, s6
	v_lshlrev_b32_e32 v7, 1, v7
	v_accvgpr_read_b32 v1, a1
	v_accvgpr_read_b32 v2, a2
	;; [unrolled: 1-line block ×3, first 2 shown]
	ds_write_b64 v7, v[20:21] offset:45056
	v_mov_b32_e32 v9, 0
	v_mov_b32_e32 v7, 0
	s_and_saveexec_b64 s[6:7], vcc
	s_cbranch_execz .LBB380_75
; %bb.74:
	v_mov_b32_e32 v7, 0
	v_lshl_add_u64 v[6:7], v[4:5], 0, v[6:7]
	global_load_ushort v6, v[6:7], off offset:32
	s_waitcnt vmcnt(0)
	v_lshlrev_b32_e32 v6, 16, v6
	v_sub_f32_e32 v0, v6, v0
	v_mul_f32_e32 v0, v16, v0
	v_lshrrev_b32_e32 v7, 16, v0
.LBB380_75:
	s_or_b64 exec, exec, s[6:7]
	s_and_saveexec_b64 s[6:7], s[0:1]
	s_cbranch_execz .LBB380_77
; %bb.76:
	v_mov_b32_e32 v9, 0
	v_lshl_add_u64 v[8:9], v[4:5], 0, v[8:9]
	global_load_ushort v0, v[8:9], off offset:32
	s_waitcnt vmcnt(0)
	v_lshlrev_b32_e32 v0, 16, v0
	v_sub_f32_e32 v0, v0, v1
	v_mul_f32_e32 v0, v14, v0
	v_lshrrev_b32_e32 v9, 16, v0
.LBB380_77:
	s_or_b64 exec, exec, s[6:7]
	v_mov_b32_e32 v0, 0
	v_mov_b32_e32 v1, 0
	s_and_saveexec_b64 s[0:1], s[2:3]
	s_cbranch_execz .LBB380_79
; %bb.78:
	v_mov_b32_e32 v11, 0
	v_lshl_add_u64 v[10:11], v[4:5], 0, v[10:11]
	global_load_ushort v1, v[10:11], off offset:32
	s_waitcnt vmcnt(0)
	v_lshlrev_b32_e32 v1, 16, v1
	v_sub_f32_e32 v1, v1, v2
	v_mul_f32_e32 v1, v18, v1
	v_lshrrev_b32_e32 v1, 16, v1
.LBB380_79:
	s_or_b64 exec, exec, s[0:1]
	s_and_saveexec_b64 s[0:1], s[4:5]
	s_cbranch_execz .LBB380_81
; %bb.80:
	v_mov_b32_e32 v13, 0
	v_lshl_add_u64 v[4:5], v[4:5], 0, v[12:13]
	global_load_ushort v0, v[4:5], off offset:32
	s_waitcnt vmcnt(0)
	v_lshlrev_b32_e32 v0, 16, v0
	v_sub_f32_e32 v0, v0, v3
	v_mul_f32_e32 v0, v15, v0
	v_lshrrev_b32_e32 v0, 16, v0
.LBB380_81:
	s_or_b64 exec, exec, s[0:1]
	s_mov_b32 s0, 0x5040100
	v_or_b32_e32 v2, v17, v19
	v_perm_b32 v1, v0, v1, s0
	v_perm_b32 v0, v9, v7, s0
	v_lshlrev_b32_e32 v2, 1, v2
	ds_write_b64 v2, v[0:1] offset:45056
	s_waitcnt lgkmcnt(0)
	s_barrier
.LBB380_82:
	s_endpgm
	.section	.rodata,"a",@progbits
	.p2align	6, 0x0
	.amdhsa_kernel _ZN12_GLOBAL__N_139chunk_gated_delta_rule_fwd_h_hip_kernelILi32ELb1ELb0ELb0ELb0ELb0ELb0ELb0ELb1EEEvPK12hip_bfloat16S3_S3_PKfS5_PKvPS1_S8_PvPKiSB_iiiiilll
		.amdhsa_group_segment_fixed_size 49152
		.amdhsa_private_segment_fixed_size 0
		.amdhsa_kernarg_size 136
		.amdhsa_user_sgpr_count 2
		.amdhsa_user_sgpr_dispatch_ptr 0
		.amdhsa_user_sgpr_queue_ptr 0
		.amdhsa_user_sgpr_kernarg_segment_ptr 1
		.amdhsa_user_sgpr_dispatch_id 0
		.amdhsa_user_sgpr_kernarg_preload_length 0
		.amdhsa_user_sgpr_kernarg_preload_offset 0
		.amdhsa_user_sgpr_private_segment_size 0
		.amdhsa_uses_dynamic_stack 0
		.amdhsa_enable_private_segment 0
		.amdhsa_system_sgpr_workgroup_id_x 1
		.amdhsa_system_sgpr_workgroup_id_y 1
		.amdhsa_system_sgpr_workgroup_id_z 0
		.amdhsa_system_sgpr_workgroup_info 0
		.amdhsa_system_vgpr_workitem_id 0
		.amdhsa_next_free_vgpr 148
		.amdhsa_next_free_sgpr 65
		.amdhsa_accum_offset 132
		.amdhsa_reserve_vcc 1
		.amdhsa_float_round_mode_32 0
		.amdhsa_float_round_mode_16_64 0
		.amdhsa_float_denorm_mode_32 3
		.amdhsa_float_denorm_mode_16_64 3
		.amdhsa_dx10_clamp 1
		.amdhsa_ieee_mode 1
		.amdhsa_fp16_overflow 0
		.amdhsa_tg_split 0
		.amdhsa_exception_fp_ieee_invalid_op 0
		.amdhsa_exception_fp_denorm_src 0
		.amdhsa_exception_fp_ieee_div_zero 0
		.amdhsa_exception_fp_ieee_overflow 0
		.amdhsa_exception_fp_ieee_underflow 0
		.amdhsa_exception_fp_ieee_inexact 0
		.amdhsa_exception_int_div_zero 0
	.end_amdhsa_kernel
	.section	.text._ZN12_GLOBAL__N_139chunk_gated_delta_rule_fwd_h_hip_kernelILi32ELb1ELb0ELb0ELb0ELb0ELb0ELb0ELb1EEEvPK12hip_bfloat16S3_S3_PKfS5_PKvPS1_S8_PvPKiSB_iiiiilll,"axG",@progbits,_ZN12_GLOBAL__N_139chunk_gated_delta_rule_fwd_h_hip_kernelILi32ELb1ELb0ELb0ELb0ELb0ELb0ELb0ELb1EEEvPK12hip_bfloat16S3_S3_PKfS5_PKvPS1_S8_PvPKiSB_iiiiilll,comdat
.Lfunc_end380:
	.size	_ZN12_GLOBAL__N_139chunk_gated_delta_rule_fwd_h_hip_kernelILi32ELb1ELb0ELb0ELb0ELb0ELb0ELb0ELb1EEEvPK12hip_bfloat16S3_S3_PKfS5_PKvPS1_S8_PvPKiSB_iiiiilll, .Lfunc_end380-_ZN12_GLOBAL__N_139chunk_gated_delta_rule_fwd_h_hip_kernelILi32ELb1ELb0ELb0ELb0ELb0ELb0ELb0ELb1EEEvPK12hip_bfloat16S3_S3_PKfS5_PKvPS1_S8_PvPKiSB_iiiiilll
                                        ; -- End function
	.section	.AMDGPU.csdata,"",@progbits
; Kernel info:
; codeLenInByte = 8568
; NumSgprs: 71
; NumVgprs: 132
; NumAgprs: 16
; TotalNumVgprs: 148
; ScratchSize: 0
; MemoryBound: 0
; FloatMode: 240
; IeeeMode: 1
; LDSByteSize: 49152 bytes/workgroup (compile time only)
; SGPRBlocks: 8
; VGPRBlocks: 18
; NumSGPRsForWavesPerEU: 71
; NumVGPRsForWavesPerEU: 148
; AccumOffset: 132
; Occupancy: 1
; WaveLimiterHint : 1
; COMPUTE_PGM_RSRC2:SCRATCH_EN: 0
; COMPUTE_PGM_RSRC2:USER_SGPR: 2
; COMPUTE_PGM_RSRC2:TRAP_HANDLER: 0
; COMPUTE_PGM_RSRC2:TGID_X_EN: 1
; COMPUTE_PGM_RSRC2:TGID_Y_EN: 1
; COMPUTE_PGM_RSRC2:TGID_Z_EN: 0
; COMPUTE_PGM_RSRC2:TIDIG_COMP_CNT: 0
; COMPUTE_PGM_RSRC3_GFX90A:ACCUM_OFFSET: 32
; COMPUTE_PGM_RSRC3_GFX90A:TG_SPLIT: 0
	.section	.text._ZN12_GLOBAL__N_139chunk_gated_delta_rule_fwd_h_hip_kernelILi32ELb0ELb1ELb1ELb0ELb0ELb0ELb0ELb1EEEvPK12hip_bfloat16S3_S3_PKfS5_PKvPS1_S8_PvPKiSB_iiiiilll,"axG",@progbits,_ZN12_GLOBAL__N_139chunk_gated_delta_rule_fwd_h_hip_kernelILi32ELb0ELb1ELb1ELb0ELb0ELb0ELb0ELb1EEEvPK12hip_bfloat16S3_S3_PKfS5_PKvPS1_S8_PvPKiSB_iiiiilll,comdat
	.globl	_ZN12_GLOBAL__N_139chunk_gated_delta_rule_fwd_h_hip_kernelILi32ELb0ELb1ELb1ELb0ELb0ELb0ELb0ELb1EEEvPK12hip_bfloat16S3_S3_PKfS5_PKvPS1_S8_PvPKiSB_iiiiilll ; -- Begin function _ZN12_GLOBAL__N_139chunk_gated_delta_rule_fwd_h_hip_kernelILi32ELb0ELb1ELb1ELb0ELb0ELb0ELb0ELb1EEEvPK12hip_bfloat16S3_S3_PKfS5_PKvPS1_S8_PvPKiSB_iiiiilll
	.p2align	8
	.type	_ZN12_GLOBAL__N_139chunk_gated_delta_rule_fwd_h_hip_kernelILi32ELb0ELb1ELb1ELb0ELb0ELb0ELb0ELb1EEEvPK12hip_bfloat16S3_S3_PKfS5_PKvPS1_S8_PvPKiSB_iiiiilll,@function
_ZN12_GLOBAL__N_139chunk_gated_delta_rule_fwd_h_hip_kernelILi32ELb0ELb1ELb1ELb0ELb0ELb0ELb0ELb1EEEvPK12hip_bfloat16S3_S3_PKfS5_PKvPS1_S8_PvPKiSB_iiiiilll: ; @_ZN12_GLOBAL__N_139chunk_gated_delta_rule_fwd_h_hip_kernelILi32ELb0ELb1ELb1ELb0ELb0ELb0ELb0ELb1EEEvPK12hip_bfloat16S3_S3_PKfS5_PKvPS1_S8_PvPKiSB_iiiiilll
; %bb.0:
	s_load_dwordx4 s[28:31], s[0:1], 0x5c
	s_load_dwordx4 s[36:39], s[0:1], 0x70
	s_abs_i32 s6, s3
	s_ashr_i32 s5, s3, 31
	s_load_dwordx8 s[16:23], s[0:1], 0x0
	s_waitcnt lgkmcnt(0)
	s_abs_i32 s4, s29
	v_cvt_f32_u32_e32 v1, s4
	s_sub_i32 s8, 0, s4
	s_ashr_i32 s7, s29, 31
	s_xor_b32 s5, s5, s7
	v_rcp_iflag_f32_e32 v1, v1
	s_load_dwordx2 s[34:35], s[0:1], 0x40
	s_load_dwordx4 s[24:27], s[0:1], 0x30
	s_load_dwordx2 s[40:41], s[0:1], 0x80
	s_mov_b32 s0, 0
	v_mul_f32_e32 v1, 0x4f7ffffe, v1
	v_cvt_u32_f32_e32 v1, v1
	v_lshrrev_b32_e32 v58, 6, v0
	v_bfe_u32 v61, v0, 4, 2
	v_lshlrev_b32_e32 v59, 4, v58
	v_readfirstlane_b32 s9, v1
	s_mul_i32 s8, s8, s9
	s_mul_hi_u32 s8, s9, s8
	s_add_i32 s9, s9, s8
	s_mul_hi_u32 s8, s6, s9
	s_mul_i32 s9, s8, s4
	s_sub_i32 s6, s6, s9
	s_add_i32 s10, s8, 1
	s_sub_i32 s9, s6, s4
	s_cmp_ge_u32 s6, s4
	s_cselect_b32 s8, s10, s8
	s_cselect_b32 s6, s9, s6
	s_add_i32 s9, s8, 1
	s_cmp_ge_u32 s6, s4
	s_cselect_b32 s6, s9, s8
	s_xor_b32 s6, s6, s5
	s_sub_i32 s51, s6, s5
	s_abs_i32 s6, s30
	v_cvt_f32_u32_e32 v1, s6
	s_mul_i32 s49, s51, s29
	s_sub_i32 s33, s3, s49
	s_add_i32 s3, s28, 63
	v_rcp_iflag_f32_e32 v1, v1
	s_ashr_i32 s5, s3, 31
	s_lshr_b32 s5, s5, 26
	s_ashr_i32 s50, s28, 31
	v_mul_f32_e32 v1, 0x4f7ffffe, v1
	v_cvt_u32_f32_e32 v1, v1
	s_add_i32 s3, s3, s5
	s_lshr_b32 s5, s50, 26
	s_add_i32 s5, s28, s5
	s_ashr_i32 s46, s30, 31
	s_ashr_i32 s52, s5, 6
	s_xor_b32 s5, s7, s46
	s_sub_i32 s7, 0, s6
	v_readfirstlane_b32 s8, v1
	s_mul_i32 s7, s7, s8
	s_mul_hi_u32 s7, s8, s7
	s_add_i32 s8, s8, s7
	s_mul_hi_u32 s7, s4, s8
	s_mul_i32 s8, s7, s6
	s_sub_i32 s4, s4, s8
	s_ashr_i32 s3, s3, 6
	s_add_i32 s8, s7, 1
	s_sub_i32 s9, s4, s6
	s_cmp_ge_u32 s4, s6
	s_cselect_b32 s7, s8, s7
	s_cselect_b32 s4, s9, s4
	s_add_i32 s8, s7, 1
	s_cmp_ge_u32 s4, s6
	s_cselect_b32 s4, s8, s7
	s_xor_b32 s4, s4, s5
	s_sub_i32 s4, s4, s5
	s_abs_i32 s5, s4
	v_cvt_f32_u32_e32 v1, s5
	s_sub_i32 s6, 0, s5
	s_xor_b32 s1, s33, s4
	s_abs_i32 s4, s33
	v_rcp_iflag_f32_e32 v1, v1
	s_ashr_i32 s1, s1, 31
	v_lshlrev_b32_e32 v18, 2, v61
	s_mov_b32 s14, s0
	v_mul_f32_e32 v1, 0x4f7ffffe, v1
	v_cvt_u32_f32_e32 v1, v1
	s_mov_b32 s15, s0
	v_and_b32_e32 v60, 63, v0
	s_mul_i32 s55, s51, s3
	v_readfirstlane_b32 s7, v1
	s_mul_i32 s6, s6, s7
	s_mul_hi_u32 s6, s7, s6
	s_add_i32 s7, s7, s6
	s_mul_hi_u32 s6, s4, s7
	s_mul_i32 s7, s6, s5
	s_sub_i32 s4, s4, s7
	s_add_i32 s7, s6, 1
	s_sub_i32 s8, s4, s5
	s_cmp_ge_u32 s4, s5
	s_cselect_b32 s6, s7, s6
	s_cselect_b32 s4, s8, s4
	s_add_i32 s7, s6, 1
	s_cmp_ge_u32 s4, s5
	s_cselect_b32 s4, s7, s6
	s_xor_b32 s4, s4, s1
	s_sub_i32 s56, s4, s1
	v_or_b32_e32 v1, v18, v59
	s_lshl_b32 s42, s2, 5
	s_mov_b32 s1, s0
	s_mov_b32 s2, s0
	;; [unrolled: 1-line block ×13, first 2 shown]
	v_mov_b64_e32 v[16:17], s[14:15]
	v_and_b32_e32 v62, 15, v0
	v_or_b32_e32 v65, 64, v1
	s_cmp_lt_i32 s28, 64
	v_mov_b64_e32 v[14:15], s[12:13]
	v_mov_b64_e32 v[12:13], s[10:11]
	;; [unrolled: 1-line block ×7, first 2 shown]
	s_mul_hi_i32 s57, s51, s29
	v_lshrrev_b32_e32 v64, 3, v60
	v_lshlrev_b32_e32 v63, 3, v0
	s_mul_i32 s37, s51, s37
	s_mul_hi_u32 s48, s51, s36
	s_mul_i32 s12, s51, s36
	s_cbranch_scc1 .LBB381_19
; %bb.1:
	s_ashr_i32 s8, s51, 31
	s_ashr_i32 s53, s33, 31
	s_add_u32 s0, s49, s33
	s_addc_u32 s1, s57, s53
	s_mul_i32 s1, s28, s1
	s_mul_hi_u32 s2, s28, s0
	s_add_i32 s3, s2, s1
	s_mul_i32 s2, s28, s0
	s_lshl_b64 s[0:1], s[2:3], 8
	v_and_b32_e32 v9, 56, v63
	s_add_u32 s4, s18, s0
	v_lshl_or_b32 v5, v58, 3, v64
	v_lshlrev_b32_e32 v2, 1, v9
	s_addc_u32 s0, s19, s1
	v_lshl_or_b32 v13, v5, 8, v2
	s_and_b32 s5, s0, 0xffff
	s_mov_b32 s7, 0x20000
	s_movk_i32 s6, 0x4000
	s_movk_i32 s0, 0x80
	v_or_b32_e32 v17, 0x2000, v13
	buffer_load_dwordx4 v[20:23], v13, s[4:7], 0 offen
	buffer_load_dwordx4 v[24:27], v13, s[4:7], s0 offen
	;; [unrolled: 1-line block ×4, first 2 shown]
	v_lshlrev_b32_e32 v3, 3, v5
	v_and_or_b32 v6, v0, 7, v3
	v_and_b32_e32 v3, 0x78, v3
	v_lshlrev_b32_e32 v6, 4, v6
	v_xor_b32_e32 v66, v6, v3
	v_mul_lo_u32 v4, v5, s31
	v_or_b32_e32 v67, 0x1000, v66
	v_xor_b32_e32 v3, 8, v66
	s_cmpk_eq_i32 s31, 0x80
	s_mov_b32 s47, s30
	v_xor_b32_e32 v6, 8, v67
	s_cselect_b64 s[0:1], -1, 0
	s_cmpk_lg_i32 s31, 0x80
	s_waitcnt vmcnt(3)
	ds_write_b64 v66, v[20:21] offset:24576
	ds_write_b64 v3, v[22:23] offset:24576
	s_waitcnt vmcnt(2)
	ds_write_b64 v66, v[24:25] offset:32768
	ds_write_b64 v3, v[26:27] offset:32768
	;; [unrolled: 3-line block ×4, first 2 shown]
	v_lshl_add_u32 v3, v4, 1, v9
	s_cbranch_scc0 .LBB381_3
; %bb.2:
	v_lshlrev_b32_e32 v6, 1, v3
	v_add_lshl_u32 v4, v3, s31, 1
	s_lshl_b32 s6, s31, 7
	v_lshl_or_b32 v2, v5, 9, v2
	s_cbranch_execz .LBB381_4
	s_branch .LBB381_5
.LBB381_3:
                                        ; implicit-def: $vgpr4
                                        ; implicit-def: $vgpr6
                                        ; implicit-def: $sgpr6
	v_lshl_or_b32 v2, v5, 9, v2
.LBB381_4:
	v_or_b32_e32 v4, 0x100, v2
	s_movk_i32 s6, 0x4000
	v_mov_b32_e32 v6, v2
.LBB381_5:
	s_mul_hi_u32 s4, s30, s28
	s_mul_i32 s5, s46, s28
	s_add_i32 s4, s4, s5
	s_mul_i32 s5, s30, s28
	s_mul_i32 s7, s5, s8
	s_mul_hi_u32 s9, s5, s51
	s_add_i32 s7, s9, s7
	s_mul_i32 s4, s4, s51
	s_add_i32 s7, s7, s4
	s_mul_i32 s5, s5, s51
	s_ashr_i32 s54, s56, 31
	s_add_u32 s4, s5, s56
	s_addc_u32 s5, s7, s54
	s_lshl_b64 s[4:5], s[4:5], 8
	s_add_u32 s4, s16, s4
	s_addc_u32 s5, s17, s5
	s_and_b32 s5, s5, 0xffff
	s_mov_b32 s7, 0x20000
	s_movk_i32 s58, 0x80
	buffer_load_dwordx4 v[20:23], v6, s[4:7], 0 offen
	buffer_load_dwordx4 v[24:27], v6, s[4:7], s58 offen
	buffer_load_dwordx4 v[28:31], v4, s[4:7], 0 offen
	buffer_load_dwordx4 v[32:35], v4, s[4:7], s58 offen
	v_and_b32_e32 v4, 6, v0
	v_lshlrev_b32_e32 v8, 6, v1
	v_or_b32_e32 v11, 16, v62
	v_xor_b32_e32 v12, v5, v4
	v_and_b32_e32 v6, 1, v0
	s_mul_i32 s4, s8, s28
	s_mul_hi_u32 s5, s51, s28
	v_lshl_or_b32 v16, v62, 3, v8
	v_lshl_or_b32 v8, v11, 3, v8
	v_lshlrev_b32_e32 v12, 2, v12
	v_lshlrev_b32_e32 v7, 2, v62
	v_or_b32_e32 v70, 0xa000, v8
	v_or_b32_e32 v71, 0xb000, v8
	v_xor_b32_e32 v8, 0x440, v12
	v_cmp_eq_u32_e32 vcc, 0, v6
	s_add_i32 s63, s5, s4
	s_add_i32 s4, s48, s37
	s_mul_i32 s8, s8, s36
	v_xor_b32_e32 v14, v1, v7
	v_xor_b32_e32 v15, v65, v7
	v_cndmask_b32_e32 v6, v8, v12, vcc
	s_add_i32 s13, s4, s8
	s_mul_i32 s4, s33, s39
	s_mul_hi_u32 s5, s33, s38
	s_mov_b32 s60, 0x1000504
	v_lshlrev_b32_e32 v10, 8, v62
	v_lshlrev_b32_e32 v14, 1, v14
	;; [unrolled: 1-line block ×3, first 2 shown]
	v_lshl_or_b32 v4, v4, 10, v6
	s_add_i32 s4, s5, s4
	s_mul_i32 s5, s53, s38
	s_mov_b32 s61, 0x3020706
	v_or_b32_e32 v68, 0xa000, v16
	v_or_b32_e32 v69, 0xb000, v16
	v_or_b32_e32 v72, v10, v14
	v_or_b32_e32 v73, v10, v15
	v_xor_b32_e32 v6, 8, v4
	v_xor_b32_e32 v10, 24, v4
	v_xor_b32_e32 v16, 40, v4
	v_xor_b32_e32 v36, 56, v4
	s_add_i32 s5, s4, s5
	s_lshl_b64 s[8:9], s[12:13], 2
	v_xor_b32_e32 v8, 16, v4
	v_xor_b32_e32 v12, 32, v4
	v_xor_b32_e32 v19, 48, v4
	v_add_u32_e32 v6, 0x80, v6
	v_add_u32_e32 v10, 0x80, v10
	;; [unrolled: 1-line block ×4, first 2 shown]
	s_mul_i32 s4, s33, s38
	s_add_u32 s6, s22, s8
	s_addc_u32 s8, s23, s9
	s_lshl_b64 s[4:5], s[4:5], 2
	s_add_u32 s14, s6, s4
	s_movk_i32 s4, 0xf8
	s_addc_u32 s15, s8, s5
	s_ashr_i32 s43, s42, 31
	s_lshl_b32 s10, s31, 7
	s_movk_i32 s8, 0x100
	v_mov_b32_e32 v51, 0
	v_lshlrev_b32_e32 v50, 4, v62
	v_cmp_gt_u32_e32 vcc, s8, v0
	s_mov_b32 s59, 0
	s_mul_i32 s62, s51, s28
	s_movk_i32 s13, 0x1000
	s_movk_i32 s6, 0x4000
	v_add_u32_e32 v93, v59, v18
	v_mov_b32_e32 v98, 0x3fb8aa3b
	s_mov_b32 s65, 0
	v_mov_b32_e32 v100, v51
	v_mov_b32_e32 v99, v51
	;; [unrolled: 1-line block ×4, first 2 shown]
	s_waitcnt vmcnt(1)
	v_perm_b32 v37, v20, v28, s60
	s_waitcnt vmcnt(0)
	v_perm_b32 v38, v24, v32, s60
	v_perm_b32 v20, v20, v28, s61
	;; [unrolled: 1-line block ×15, first 2 shown]
	ds_write2st64_b32 v4, v37, v38 offset0:32 offset1:64
	ds_write2st64_b32 v6, v20, v24 offset0:32 offset1:64
	;; [unrolled: 1-line block ×8, first 2 shown]
	v_lshlrev_b32_e32 v4, 8, v11
	v_or_b32_e32 v74, v4, v14
	v_or_b32_e32 v75, v4, v15
	;; [unrolled: 1-line block ×3, first 2 shown]
	v_lshlrev_b32_e32 v4, 3, v4
	v_lshrrev_b32_e32 v10, 5, v60
	v_and_or_b32 v10, v4, s4, v10
	v_lshlrev_b32_e32 v8, 11, v58
	v_lshlrev_b32_e32 v10, 4, v10
	v_and_b32_e32 v4, 0x78, v4
	v_and_b32_e32 v6, 0x1000, v8
	v_xor_b32_e32 v11, v10, v4
	v_lshrrev_b32_e32 v12, 1, v0
	v_or_b32_e32 v11, v11, v6
	v_and_b32_e32 v14, 8, v12
	v_xor_b32_e32 v76, v11, v14
	v_or_b32_e32 v11, 32, v10
	v_xor_b32_e32 v11, v11, v4
	v_or_b32_e32 v11, v11, v6
	;; [unrolled: 2-line block ×4, first 2 shown]
	s_lshl_b64 s[4:5], s[42:43], 8
	v_or_b32_e32 v11, v11, v6
	v_xor_b32_e32 v4, v10, v4
	s_waitcnt lgkmcnt(0)
	s_add_u32 s4, s24, s4
	v_lshlrev_b32_e32 v10, 1, v62
	v_xor_b32_e32 v80, v11, v14
	v_lshrrev_b32_e32 v19, 4, v0
	s_addc_u32 s5, s25, s5
	v_or_b32_e32 v11, 1, v10
	v_mov_b32_e32 v23, 0x4000
	v_mov_b32_e32 v24, 0x2000
	v_xor_b32_e32 v20, v19, v10
	v_xor_b32_e32 v21, v11, v19
	v_lshl_add_u64 v[10:11], s[4:5], 0, v[50:51]
	v_lshlrev_b32_e32 v50, 8, v19
	v_cndmask_b32_e32 v23, v23, v24, vcc
	v_lshlrev_b32_e32 v24, 3, v58
	v_and_b32_e32 v12, 24, v12
	v_lshl_or_b32 v84, v20, 3, v50
	v_and_b32_e32 v20, 8, v0
	v_xor_b32_e32 v25, v24, v12
	v_or_b32_e32 v26, 0x440, v25
	v_cmp_eq_u32_e32 vcc, 0, v20
	v_and_b32_e32 v19, 7, v0
	v_lshlrev_b32_e32 v15, 7, v61
	v_cndmask_b32_e32 v20, v26, v25, vcc
	v_lshl_or_b32 v85, v21, 3, v50
	v_lshlrev_b32_e32 v21, 3, v19
	v_lshlrev_b32_e32 v19, 7, v19
	;; [unrolled: 1-line block ×3, first 2 shown]
	v_or_b32_e32 v20, v20, v8
	v_or_b32_e32 v7, v15, v7
	v_xad_u32 v86, v20, v21, v19
	v_and_or_b32 v15, v22, 60, v15
	v_mov_b32_e32 v20, 0xb000
	v_lshl_or_b32 v87, v15, 1, v20
	v_or_b32_e32 v15, 32, v12
	v_xor_b32_e32 v15, v24, v15
	v_or_b32_e32 v20, 0x440, v15
	v_cndmask_b32_e32 v15, v20, v15, vcc
	v_or_b32_e32 v15, v15, v8
	v_xad_u32 v88, v15, v21, v19
	v_or_b32_e32 v15, 64, v12
	v_xor_b32_e32 v15, v24, v15
	v_xor_b32_e32 v20, 0x440, v15
	v_cndmask_b32_e32 v15, v20, v15, vcc
	v_or_b32_e32 v12, 0x60, v12
	v_or_b32_e32 v15, v15, v8
	v_xor_b32_e32 v12, v24, v12
	v_xad_u32 v89, v15, v21, v19
	v_xor_b32_e32 v15, 0x440, v12
	v_lshlrev_b32_e32 v7, 1, v7
	v_or_b32_e32 v4, v4, v6
	v_or_b32_e32 v6, s42, v62
	v_cndmask_b32_e32 v12, v15, v12, vcc
	v_or_b32_e32 v77, 0xa000, v7
	v_or_b32_e32 v79, 0xa080, v7
	v_xor_b32_e32 v81, v4, v14
	v_or_b32_e32 v82, 0xb000, v7
	v_or_b32_e32 v83, 0xb080, v7
	v_ashrrev_i32_e32 v7, 31, v6
	v_lshlrev_b32_e32 v14, 1, v3
	v_add_lshl_u32 v3, v3, s31, 1
	v_or_b32_e32 v16, 0x100, v2
	v_or_b32_e32 v8, v12, v8
	v_lshlrev_b32_e32 v4, 7, v1
	v_xad_u32 v90, v8, v21, v19
	v_cndmask_b32_e64 v91, v14, v2, s[0:1]
	v_cndmask_b32_e64 v92, v3, v16, s[0:1]
	v_lshlrev_b64 v[2:3], 1, v[6:7]
	v_lshl_add_u64 v[52:53], s[20:21], 0, v[2:3]
	v_lshl_add_u64 v[54:55], s[26:27], 0, v[2:3]
	;; [unrolled: 1-line block ×3, first 2 shown]
	s_mov_b32 s43, 0x7060302
	v_lshlrev_b32_e32 v50, 1, v4
	v_add_u32_e32 v94, v23, v86
	v_add_u32_e32 v95, v23, v88
	;; [unrolled: 1-line block ×4, first 2 shown]
	v_mov_b32_e32 v2, v51
	v_mov_b32_e32 v3, v51
	;; [unrolled: 1-line block ×12, first 2 shown]
	s_barrier
.LBB381_6:                              ; =>This Inner Loop Header: Depth=1
	s_add_i32 s64, s65, 1
	s_cmp_lt_i32 s64, s52
	s_mov_b64 s[8:9], 0
	s_cselect_b64 s[44:45], -1, 0
	s_cmp_ge_i32 s64, s52
	s_mov_b64 s[4:5], 0
	s_cbranch_scc1 .LBB381_8
; %bb.7:                                ;   in Loop: Header=BB381_6 Depth=1
	s_add_i32 s0, s59, 64
	s_add_u32 s0, s2, s0
	s_addc_u32 s1, s3, 0
	s_lshl_b64 s[0:1], s[0:1], 8
	s_add_u32 s4, s18, s0
	s_addc_u32 s5, s19, s1
.LBB381_8:                              ;   in Loop: Header=BB381_6 Depth=1
	v_cndmask_b32_e64 v18, 0, 1, s[44:45]
	v_cmp_ne_u32_e64 s[0:1], 1, v18
	s_andn2_b64 vcc, exec, s[44:45]
	s_cbranch_vccnz .LBB381_10
; %bb.9:                                ;   in Loop: Header=BB381_6 Depth=1
	s_add_i32 s8, s59, 64
	s_add_u32 s8, s62, s8
	s_addc_u32 s9, s63, 0
	s_mul_i32 s11, s8, s46
	s_mul_hi_u32 s44, s8, s47
	s_add_i32 s11, s44, s11
	s_mul_i32 s9, s9, s47
	s_add_i32 s11, s11, s9
	s_mul_i32 s8, s8, s47
	s_add_u32 s8, s8, s56
	s_addc_u32 s9, s11, s54
	s_lshl_b64 s[8:9], s[8:9], 8
	s_add_u32 s8, s16, s8
	s_addc_u32 s9, s17, s9
.LBB381_10:                             ;   in Loop: Header=BB381_6 Depth=1
	v_perm_b32 v19, v100, v4, s43
	v_perm_b32 v18, v3, v2, s43
	v_perm_b32 v21, v99, v8, s43
	v_perm_b32 v20, v7, v6, s43
	ds_write_b64 v68, v[18:19]
	ds_write_b64 v69, v[20:21]
	;; [unrolled: 1-line block ×4, first 2 shown]
	v_perm_b32 v19, v102, v12, s43
	v_perm_b32 v18, v11, v10, s43
	;; [unrolled: 1-line block ×4, first 2 shown]
	ds_write_b64 v70, v[18:19]
	ds_write_b64 v71, v[20:21]
	;; [unrolled: 1-line block ×4, first 2 shown]
	s_waitcnt lgkmcnt(0)
	s_barrier
	ds_read_b64 v[22:23], v76 offset:24576
	ds_read2_b64 v[18:21], v77 offset1:16
	ds_read_b64 v[26:27], v79 offset:3072
	ds_read_b64 v[28:29], v77 offset:3072
	;; [unrolled: 1-line block ×3, first 2 shown]
	s_waitcnt lgkmcnt(3)
	v_mfma_f32_16x16x16_bf16 a[0:3], v[22:23], v[18:19], 0
	s_add_i32 s11, s59, 63
	s_mul_i32 s44, s11, s41
	s_mul_hi_u32 s45, s11, s40
	v_mfma_f32_16x16x16_bf16 a[4:7], v[22:23], v[20:21], 0
	ds_read2st64_b64 v[18:21], v77 offset0:2 offset1:4
	ds_read2st64_b64 v[22:25], v79 offset0:2 offset1:4
	s_add_i32 s45, s45, s44
	s_waitcnt lgkmcnt(1)
	v_mfma_f32_16x16x16_bf16 a[0:3], v[30:31], v[18:19], a[0:3]
	s_mul_i32 s44, s11, s40
	s_lshl_b64 s[44:45], s[44:45], 2
	s_add_u32 s44, s14, s44
	s_waitcnt lgkmcnt(0)
	v_mfma_f32_16x16x16_bf16 a[4:7], v[30:31], v[22:23], a[4:7]
	ds_read_b64 v[18:19], v80 offset:24576
	ds_read_b64 v[22:23], v81 offset:24576
	s_addc_u32 s45, s15, s45
	s_and_b64 vcc, exec, s[0:1]
	s_waitcnt lgkmcnt(1)
	v_mfma_f32_16x16x16_bf16 a[0:3], v[18:19], v[20:21], a[0:3]
	v_mov_b32_e32 v105, 0
	v_mov_b32_e32 v104, 0
	;; [unrolled: 1-line block ×3, first 2 shown]
	v_mfma_f32_16x16x16_bf16 a[8:11], v[18:19], v[24:25], a[4:7]
	v_mov_b32_e32 v18, 0
	v_mov_b32_e32 v19, 0
	;; [unrolled: 1-line block ×3, first 2 shown]
	s_waitcnt lgkmcnt(0)
	v_mfma_f32_16x16x16_bf16 a[4:7], v[22:23], v[28:29], a[0:3]
	v_mov_b32_e32 v21, 0
	v_mov_b32_e32 v24, 0
	;; [unrolled: 1-line block ×3, first 2 shown]
	v_mfma_f32_16x16x16_bf16 a[0:3], v[22:23], v[26:27], a[8:11]
	v_mov_b32_e32 v22, 0
	v_mov_b32_e32 v23, 0
	;; [unrolled: 1-line block ×10, first 2 shown]
	s_cbranch_vccnz .LBB381_12
; %bb.11:                               ;   in Loop: Header=BB381_6 Depth=1
	s_and_b32 s5, s5, 0xffff
	buffer_load_dwordx4 v[30:33], v13, s[4:7], 0 offen
	buffer_load_dwordx4 v[26:29], v13, s[4:7], s58 offen
	;; [unrolled: 1-line block ×4, first 2 shown]
	v_mov_b32_e32 v104, v66
	v_mov_b32_e32 v103, v67
.LBB381_12:                             ;   in Loop: Header=BB381_6 Depth=1
	ds_read_b64 v[42:43], v76 offset:32768
	ds_read2_b64 v[34:37], v82 offset1:16
	ds_read_b64 v[44:45], v78 offset:32768
	ds_read_b64 v[46:47], v80 offset:32768
	;; [unrolled: 1-line block ×3, first 2 shown]
	v_add_u32_e32 v106, s59, v93
	s_waitcnt lgkmcnt(3)
	v_mfma_f32_16x16x16_bf16 a[4:7], v[42:43], v[34:35], a[4:7]
	v_ashrrev_i32_e32 v34, 31, v106
	ds_read2st64_b64 v[38:41], v82 offset0:2 offset1:4
	v_mfma_f32_16x16x16_bf16 a[0:3], v[42:43], v[36:37], a[0:3]
	v_mul_lo_u32 v36, v34, s40
	v_mul_lo_u32 v37, v106, s41
	v_mad_u64_u32 v[34:35], s[4:5], v106, s40, 0
	v_add3_u32 v35, v35, v37, v36
	v_add_u32_e32 v36, 1, v106
	v_ashrrev_i32_e32 v37, 31, v36
	v_mul_lo_u32 v42, v37, s40
	v_mul_lo_u32 v43, v36, s41
	v_mad_u64_u32 v[36:37], s[4:5], v36, s40, 0
	v_add3_u32 v37, v37, v43, v42
	v_add_u32_e32 v42, 2, v106
	v_ashrrev_i32_e32 v43, 31, v42
	v_mul_lo_u32 v107, v43, s40
	v_mul_lo_u32 v108, v42, s41
	v_mad_u64_u32 v[42:43], s[4:5], v42, s40, 0
	v_add_u32_e32 v106, 3, v106
	v_add3_u32 v43, v43, v108, v107
	v_ashrrev_i32_e32 v107, 31, v106
	v_mul_lo_u32 v108, v107, s40
	v_mul_lo_u32 v109, v106, s41
	v_mad_u64_u32 v[106:107], s[4:5], v106, s40, 0
	s_add_u32 s4, s2, s59
	s_addc_u32 s5, s3, 0
	s_lshl_b64 s[66:67], s[4:5], 8
	v_lshl_add_u64 v[34:35], v[34:35], 2, s[14:15]
	v_lshl_add_u64 v[36:37], v[36:37], 2, s[14:15]
	v_add3_u32 v107, v107, v109, v108
	v_lshl_add_u64 v[108:109], v[52:53], 0, s[66:67]
	v_lshl_add_u64 v[42:43], v[42:43], 2, s[14:15]
	;; [unrolled: 1-line block ×3, first 2 shown]
	global_load_dword v110, v[34:35], off
	global_load_ushort v111, v[108:109], off offset:256
	global_load_ushort v112, v[108:109], off
	v_lshl_add_u64 v[34:35], v[106:107], 2, s[14:15]
	global_load_dword v106, v[36:37], off
	global_load_dword v107, v[42:43], off
	;; [unrolled: 1-line block ×3, first 2 shown]
	ds_read2st64_b64 v[34:37], v83 offset0:2 offset1:4
	global_load_ushort v114, v[108:109], off offset:768
	global_load_ushort v115, v[108:109], off offset:512
	;; [unrolled: 1-line block ×5, first 2 shown]
	s_nop 0
	global_load_ushort v108, v[108:109], off offset:32
	s_waitcnt lgkmcnt(1)
	v_mfma_f32_16x16x16_bf16 a[4:7], v[44:45], v[38:39], a[4:7]
	s_and_b64 vcc, exec, s[0:1]
	s_waitcnt vmcnt(10)
	v_lshlrev_b32_e32 v43, 16, v111
	s_waitcnt lgkmcnt(0)
	v_mfma_f32_16x16x16_bf16 a[0:3], v[44:45], v[34:35], a[0:3]
	s_waitcnt vmcnt(9)
	v_lshlrev_b32_e32 v42, 16, v112
	v_mfma_f32_16x16x16_bf16 a[4:7], v[46:47], v[40:41], a[4:7]
	v_mfma_f32_16x16x16_bf16 a[0:3], v[46:47], v[36:37], a[0:3]
	ds_read_b64 v[34:35], v82 offset:3072
	ds_read_b64 v[36:37], v83 offset:3072
	s_load_dword s4, s[44:45], 0x0
	s_waitcnt lgkmcnt(0)
	v_sub_f32_e32 v44, s4, v110
	v_mfma_f32_16x16x16_bf16 a[4:7], v[48:49], v[34:35], a[4:7]
	v_mul_f32_e32 v44, 0x3fb8aa3b, v44
	s_waitcnt vmcnt(8)
	v_sub_f32_e32 v45, s4, v106
	s_waitcnt vmcnt(7)
	v_sub_f32_e32 v46, s4, v107
	s_waitcnt vmcnt(6)
	v_sub_f32_e32 v47, s4, v113
	v_mfma_f32_16x16x16_bf16 a[0:3], v[48:49], v[36:37], a[0:3]
	v_lshl_add_u64 v[34:35], v[54:55], 0, s[66:67]
	v_lshl_add_u64 v[34:35], v[34:35], 0, v[50:51]
	v_accvgpr_read_b32 v41, a5
	v_accvgpr_read_b32 v40, a4
	v_pk_add_f32 v[40:41], v[42:43], v[40:41] neg_lo:[0,1] neg_hi:[0,1]
	v_exp_f32_e32 v42, v44
	v_mul_f32_e32 v43, 0x3fb8aa3b, v45
	v_mul_f32_e32 v44, 0x3fb8aa3b, v46
	v_mul_f32_e32 v45, 0x3fb8aa3b, v47
	v_exp_f32_e32 v43, v43
	v_exp_f32_e32 v44, v44
	v_exp_f32_e32 v45, v45
	v_accvgpr_read_b32 v37, a7
	v_accvgpr_read_b32 v36, a6
	s_waitcnt vmcnt(5)
	v_lshlrev_b32_e32 v47, 16, v114
	s_waitcnt vmcnt(4)
	v_lshlrev_b32_e32 v46, 16, v115
	v_pk_add_f32 v[36:37], v[46:47], v[36:37] neg_lo:[0,1] neg_hi:[0,1]
	global_store_short_d16_hi v[34:35], v40, off
	global_store_short_d16_hi v[34:35], v41, off offset:256
	global_store_short_d16_hi v[34:35], v36, off offset:512
	;; [unrolled: 1-line block ×3, first 2 shown]
	v_pk_mul_f32 v[40:41], v[42:43], v[40:41]
	v_pk_mul_f32 v[36:37], v[44:45], v[36:37]
	v_accvgpr_read_b32 v47, a1
	v_perm_b32 v37, v37, v36, s43
	v_perm_b32 v36, v41, v40, s43
	s_waitcnt vmcnt(5)
	v_lshlrev_b32_e32 v41, 16, v118
	s_waitcnt vmcnt(4)
	v_lshlrev_b32_e32 v40, 16, v108
	v_accvgpr_read_b32 v46, a0
	v_accvgpr_read_b32 v39, a3
	;; [unrolled: 1-line block ×3, first 2 shown]
	v_pk_add_f32 v[40:41], v[40:41], v[46:47] neg_lo:[0,1] neg_hi:[0,1]
	v_lshlrev_b32_e32 v47, 16, v116
	v_lshlrev_b32_e32 v46, 16, v117
	v_pk_add_f32 v[38:39], v[46:47], v[38:39] neg_lo:[0,1] neg_hi:[0,1]
	global_store_short_d16_hi v[34:35], v40, off offset:32
	global_store_short_d16_hi v[34:35], v41, off offset:288
	;; [unrolled: 1-line block ×4, first 2 shown]
	v_pk_mul_f32 v[34:35], v[42:43], v[40:41]
	v_pk_mul_f32 v[38:39], v[44:45], v[38:39]
	v_mov_b32_e32 v106, 0
	v_perm_b32 v39, v39, v38, s43
	v_perm_b32 v38, v35, v34, s43
	ds_write2_b64 v69, v[36:37], v[38:39] offset1:16
	v_mov_b32_e32 v34, 0
	v_mov_b32_e32 v35, 0
	;; [unrolled: 1-line block ×16, first 2 shown]
	s_cbranch_vccnz .LBB381_14
; %bb.13:                               ;   in Loop: Header=BB381_6 Depth=1
	s_and_b32 s9, s9, 0xffff
	s_mov_b32 s11, s7
	buffer_load_dwordx4 v[46:49], v91, s[8:11], 0 offen
	buffer_load_dwordx4 v[38:41], v91, s[8:11], s58 offen
	;; [unrolled: 1-line block ×4, first 2 shown]
	v_mov_b32_e32 v105, v9
	v_mov_b32_e32 v106, v5
.LBB381_14:                             ;   in Loop: Header=BB381_6 Depth=1
	s_waitcnt lgkmcnt(0)
	s_barrier
	ds_read_b64 v[112:113], v94
	ds_read_b64 v[120:121], v87
	;; [unrolled: 1-line block ×5, first 2 shown]
	ds_read_b64 v[126:127], v88 offset:16384
	ds_read_b64 v[128:129], v86 offset:16384
	ds_read2_b64 v[108:111], v82 offset0:16 offset1:128
	s_waitcnt lgkmcnt(6)
	v_mfma_f32_16x16x16_bf16 a[0:3], v[112:113], v[120:121], 0
	ds_read_b64 v[130:131], v83 offset:3072
	ds_read_b64 v[132:133], v90 offset:16384
	s_add_i32 s5, s55, s65
	s_waitcnt lgkmcnt(2)
	v_mfma_f32_16x16x16_bf16 a[4:7], v[112:113], v[108:109], 0
	ds_read2st64_b64 v[112:115], v83 offset0:2 offset1:4
	s_mul_hi_i32 s9, s5, s29
	s_mul_i32 s5, s5, s29
	v_mfma_f32_16x16x16_bf16 a[0:3], v[116:117], v[110:111], a[0:3]
	s_add_u32 s8, s5, s33
	s_addc_u32 s9, s9, s53
	s_lshl_b64 s[8:9], s[8:9], 15
	s_waitcnt lgkmcnt(0)
	v_mfma_f32_16x16x16_bf16 a[4:7], v[116:117], v[112:113], a[4:7]
	ds_read2st64_b64 v[116:119], v82 offset0:4 offset1:6
	s_waitcnt lgkmcnt(0)
	v_mfma_f32_16x16x16_bf16 a[0:3], v[122:123], v[116:117], a[0:3]
	v_mfma_f32_16x16x16_bf16 a[8:11], v[122:123], v[114:115], a[4:7]
	v_mfma_f32_16x16x16_bf16 a[4:7], v[124:125], v[118:119], a[0:3]
	v_mfma_f32_16x16x16_bf16 a[0:3], v[124:125], v[130:131], a[8:11]
	v_mfma_f32_16x16x16_bf16 a[8:11], v[128:129], v[120:121], 0
	ds_read2st64_b64 v[120:123], v85 offset1:8
	v_mfma_f32_16x16x16_bf16 a[12:15], v[128:129], v[108:109], 0
	ds_read_b64 v[128:129], v89 offset:16384
	v_mfma_f32_16x16x16_bf16 a[8:11], v[126:127], v[110:111], a[8:11]
	ds_read2st64_b64 v[108:111], v84 offset1:8
	s_waitcnt lgkmcnt(0)
	v_mov_b32_e32 v124, v108
	v_mfma_f32_16x16x16_bf16 a[12:15], v[126:127], v[112:113], a[12:15]
	v_lshl_add_u64 v[112:113], v[56:57], 0, s[8:9]
	v_add_co_u32_e32 v108, vcc, s13, v112
	v_mfma_f32_16x16x16_bf16 a[8:11], v[128:129], v[116:117], a[8:11]
	v_mov_b32_e32 v125, v109
	v_addc_co_u32_e32 v109, vcc, 0, v113, vcc
	v_mfma_f32_16x16x16_bf16 a[12:15], v[128:129], v[114:115], a[12:15]
	v_mov_b32_e32 v126, v120
	v_mov_b32_e32 v127, v121
	;; [unrolled: 1-line block ×3, first 2 shown]
	v_mfma_f32_16x16x16_bf16 a[8:11], v[132:133], v[118:119], a[8:11]
	v_mov_b32_e32 v121, v111
	s_and_b64 vcc, exec, s[0:1]
	global_store_dwordx4 v[112:113], v[124:127], off
	v_mfma_f32_16x16x16_bf16 a[12:15], v[132:133], v[130:131], a[12:15]
	global_store_dwordx4 v[108:109], v[120:123], off
	s_cbranch_vccnz .LBB381_16
; %bb.15:                               ;   in Loop: Header=BB381_6 Depth=1
	v_lshrrev_b32_e32 v107, 3, v105
	v_and_b32_e32 v107, 6, v107
	v_xor_b32_e32 v106, v107, v106
	v_lshlrev_b32_e32 v106, 2, v106
	v_and_b32_e32 v105, 8, v105
	v_xor_b32_e32 v108, 0x440, v106
	v_cmp_eq_u32_e32 vcc, 0, v105
	s_barrier
	s_nop 0
	v_cndmask_b32_e32 v105, v108, v106, vcc
	v_lshl_or_b32 v105, v107, 10, v105
	s_waitcnt vmcnt(3)
	v_perm_b32 v106, v46, v42, s60
	s_waitcnt vmcnt(2)
	v_perm_b32 v107, v38, v34, s60
	ds_write2st64_b32 v105, v106, v107 offset0:32 offset1:64
	v_xor_b32_e32 v106, 8, v105
	v_perm_b32 v42, v46, v42, s61
	v_perm_b32 v34, v38, v34, s61
	v_add_u32_e32 v38, 0x80, v106
	ds_write2st64_b32 v38, v42, v34 offset0:32 offset1:64
	v_xor_b32_e32 v34, 16, v105
	v_perm_b32 v38, v47, v43, s60
	v_perm_b32 v42, v39, v35, s60
	ds_write2st64_b32 v34, v38, v42 offset0:33 offset1:65
	v_xor_b32_e32 v34, 24, v105
	v_perm_b32 v38, v47, v43, s61
	v_perm_b32 v35, v39, v35, s61
	v_add_u32_e32 v34, 0x80, v34
	ds_write2st64_b32 v34, v38, v35 offset0:33 offset1:65
	v_xor_b32_e32 v34, 32, v105
	v_perm_b32 v35, v48, v44, s60
	;; [unrolled: 9-line block ×3, first 2 shown]
	v_perm_b32 v36, v41, v37, s60
	ds_write2st64_b32 v34, v35, v36 offset0:35 offset1:67
	v_xor_b32_e32 v34, 56, v105
	v_perm_b32 v35, v49, v45, s61
	v_perm_b32 v36, v41, v37, s61
	v_add_u32_e32 v34, 0x80, v34
	ds_write2st64_b32 v34, v35, v36 offset0:35 offset1:67
	ds_write_b64 v104, v[30:31] offset:24576
	v_xor_b32_e32 v30, 8, v104
	ds_write_b64 v30, v[32:33] offset:24576
	ds_write_b64 v104, v[26:27] offset:32768
	;; [unrolled: 1-line block ×4, first 2 shown]
	v_xor_b32_e32 v22, 8, v103
	ds_write_b64 v22, v[24:25] offset:24576
	ds_write_b64 v103, v[18:19] offset:32768
	;; [unrolled: 1-line block ×3, first 2 shown]
.LBB381_16:                             ;   in Loop: Header=BB381_6 Depth=1
	v_mul_f32_e32 v18, s4, v98
	s_waitcnt vmcnt(2)
	v_exp_f32_e32 v34, v18
	v_accvgpr_read_b32 v33, a7
	v_accvgpr_read_b32 v25, a3
	v_accvgpr_read_b32 v29, a11
	v_accvgpr_read_b32 v21, a15
	v_accvgpr_read_b32 v32, a6
	v_accvgpr_read_b32 v31, a5
	v_accvgpr_read_b32 v30, a4
	v_accvgpr_read_b32 v24, a2
	v_accvgpr_read_b32 v23, a1
	v_accvgpr_read_b32 v22, a0
	v_accvgpr_read_b32 v28, a10
	v_accvgpr_read_b32 v27, a9
	v_accvgpr_read_b32 v26, a8
	v_accvgpr_read_b32 v20, a14
	v_accvgpr_read_b32 v19, a13
	v_accvgpr_read_b32 v18, a12
	s_add_i32 s59, s59, 64
	v_fma_f32 v2, v2, v34, v30
	v_fma_f32 v3, v3, v34, v31
	v_fma_f32 v4, v4, v34, v32
	v_fmac_f32_e32 v33, v100, v34
	v_fma_f32 v10, v10, v34, v22
	v_fma_f32 v11, v11, v34, v23
	v_fma_f32 v12, v12, v34, v24
	v_fmac_f32_e32 v25, v102, v34
	;; [unrolled: 4-line block ×3, first 2 shown]
	v_fma_f32 v14, v14, v34, v18
	v_fma_f32 v15, v15, v34, v19
	;; [unrolled: 1-line block ×3, first 2 shown]
	s_cmp_eq_u32 s52, s64
	v_fmac_f32_e32 v21, v101, v34
	s_cbranch_scc1 .LBB381_18
; %bb.17:                               ;   in Loop: Header=BB381_6 Depth=1
	s_mov_b32 s65, s64
	v_mov_b32_e32 v100, v33
	v_mov_b32_e32 v99, v29
	;; [unrolled: 1-line block ×4, first 2 shown]
	s_branch .LBB381_6
.LBB381_18:
	v_mov_b32_e32 v5, v33
	v_mov_b32_e32 v9, v29
	v_mov_b32_e32 v13, v25
	v_mov_b32_e32 v17, v21
.LBB381_19:
	s_lshl_b32 s53, s52, 6
	s_sub_i32 s54, s28, s53
	s_cmp_gt_i32 s54, 0
	v_or_b32_e32 v34, s42, v62
	s_cbranch_scc1 .LBB381_21
; %bb.20:
	s_ashr_i32 s0, s33, 31
	s_add_u32 s8, s49, s33
	s_addc_u32 s9, s57, s0
	v_or_b32_e32 v18, s42, v62
	s_cbranch_execz .LBB381_22
	s_branch .LBB381_86
.LBB381_21:
                                        ; implicit-def: $sgpr8_sgpr9
                                        ; implicit-def: $vgpr18
.LBB381_22:
	s_ashr_i32 s13, s51, 31
	s_ashr_i32 s2, s53, 31
	s_cmpk_lg_i32 s31, 0x80
	s_cselect_b64 s[44:45], -1, 0
	s_and_b64 vcc, exec, s[44:45]
	s_cbranch_vccz .LBB381_24
; %bb.23:
	s_mul_i32 s1, s51, s28
	s_mul_hi_i32 s0, s51, s28
	s_add_u32 s1, s1, s53
	s_addc_u32 s0, s0, s2
	s_mul_i32 s3, s1, s46
	s_mul_hi_u32 s4, s1, s30
	s_add_i32 s3, s4, s3
	s_mul_i32 s0, s0, s30
	s_add_i32 s3, s3, s0
	s_mul_i32 s1, s1, s30
	s_ashr_i32 s0, s56, 31
	s_add_u32 s46, s1, s56
	s_addc_u32 s47, s3, s0
	s_cbranch_execz .LBB381_25
	s_branch .LBB381_26
.LBB381_24:
                                        ; implicit-def: $sgpr46_sgpr47
.LBB381_25:
	s_mul_hi_i32 s0, s51, s30
	s_mul_i32 s51, s51, s30
	s_ashr_i32 s1, s56, 31
	s_add_u32 s3, s51, s56
	s_addc_u32 s0, s0, s1
	s_mul_i32 s1, s3, s50
	s_mul_hi_u32 s4, s3, s28
	s_add_i32 s1, s4, s1
	s_mul_i32 s0, s0, s28
	s_add_i32 s1, s1, s0
	s_mul_i32 s3, s3, s28
	s_add_u32 s46, s3, s53
	s_addc_u32 s47, s1, s2
.LBB381_26:
	s_add_i32 s3, s55, s52
	s_ashr_i32 s30, s33, 31
	s_add_u32 s8, s49, s33
	s_addc_u32 s9, s57, s30
	s_mul_i32 s0, s8, s50
	s_mul_hi_u32 s1, s8, s28
	s_add_i32 s0, s1, s0
	s_mul_i32 s1, s9, s28
	s_add_i32 s1, s0, s1
	s_mul_i32 s0, s8, s28
	s_add_u32 s0, s0, s53
	v_lshlrev_b32_e32 v22, 5, v1
	v_lshlrev_b32_e32 v40, 2, v62
	s_addc_u32 s1, s1, s2
	s_mov_b32 s2, 0x7060302
	v_or_b32_e32 v25, v22, v40
	v_xor_b32_e32 v23, v1, v40
	v_perm_b32 v19, v5, v4, s2
	v_perm_b32 v18, v3, v2, s2
	;; [unrolled: 1-line block ×4, first 2 shown]
	v_lshlrev_b32_e32 v25, 1, v25
	s_lshl_b64 s[10:11], s[0:1], 8
	v_xor_b32_e32 v24, v65, v40
	ds_write2st64_b64 v25, v[18:19], v[20:21] offset0:80 offset1:88
	v_lshlrev_b32_e32 v23, 1, v23
	v_lshlrev_b32_e32 v25, 8, v62
	s_add_u32 s0, s18, s10
	v_or_b32_e32 v26, v23, v25
	v_lshlrev_b32_e32 v24, 1, v24
	s_addc_u32 s1, s19, s11
	ds_write_b64 v26, v[18:19]
	v_or_b32_e32 v18, v24, v25
	v_or_b32_e32 v25, 16, v62
	s_mul_hi_i32 s4, s3, s29
	s_mul_i32 s3, s3, s29
	ds_write_b64 v18, v[20:21]
	v_perm_b32 v19, v13, v12, s2
	v_perm_b32 v18, v11, v10, s2
	;; [unrolled: 1-line block ×4, first 2 shown]
	v_lshlrev_b32_e32 v37, 2, v25
	s_add_u32 s2, s3, s33
	v_or_b32_e32 v22, v22, v37
	s_addc_u32 s3, s4, s30
	v_lshlrev_b32_e32 v22, 1, v22
	s_ashr_i32 s43, s42, 31
	s_lshl_b64 s[2:3], s[2:3], 15
	ds_write2st64_b64 v22, v[18:19], v[20:21] offset0:80 offset1:88
	v_lshlrev_b32_e32 v22, 8, v25
	s_waitcnt lgkmcnt(0)
	s_add_u32 s4, s24, s2
	v_or_b32_e32 v23, v23, v22
	s_addc_u32 s5, s25, s3
	s_lshl_b64 s[2:3], s[42:43], 8
	ds_write_b64 v23, v[18:19]
	v_or_b32_e32 v18, v24, v22
	s_add_u32 s2, s4, s2
	ds_write_b64 v18, v[20:21]
	v_lshrrev_b32_e32 v18, 4, v0
	s_addc_u32 s3, s5, s3
	v_lshlrev_b32_e32 v19, 1, v62
	v_lshlrev_b32_e32 v26, 4, v62
	v_mov_b32_e32 v27, 0
	v_or_b32_e32 v20, 1, v19
	v_xor_b32_e32 v19, v18, v19
	v_lshl_add_u64 v[28:29], s[2:3], 0, v[26:27]
	v_lshlrev_b32_e32 v26, 8, v18
	v_xor_b32_e32 v22, v20, v18
	v_lshl_or_b32 v18, v19, 3, v26
	s_waitcnt lgkmcnt(0)
	s_barrier
	ds_read2st64_b64 v[18:21], v18 offset1:8
	v_lshl_or_b32 v22, v22, 3, v26
	ds_read2st64_b64 v[22:25], v22 offset1:8
	v_lshl_add_u64 v[30:31], v[28:29], 0, v[26:27]
	s_movk_i32 s2, 0x1000
	s_waitcnt lgkmcnt(1)
	v_mov_b32_e32 v26, v18
	v_add_co_u32_e32 v18, vcc, s2, v30
	s_cmp_lg_u32 s54, 64
	v_mov_b32_e32 v27, v19
	v_addc_co_u32_e32 v19, vcc, 0, v31, vcc
	s_cselect_b64 s[14:15], -1, 0
	v_lshl_or_b32 v35, v58, 3, v64
	s_waitcnt lgkmcnt(0)
	v_mov_b32_e32 v28, v22
	v_mov_b32_e32 v29, v23
	v_mov_b32_e32 v22, v20
	v_mov_b32_e32 v23, v21
	s_mov_b32 s4, 0
	v_or_b32_e32 v38, 32, v35
	v_and_b32_e32 v36, 56, v63
	s_and_b64 vcc, exec, s[14:15]
	global_store_dwordx4 v[30:31], v[26:29], off
	global_store_dwordx4 v[18:19], v[22:25], off
	s_cbranch_vccz .LBB381_32
; %bb.27:
	s_mov_b32 s6, s4
	s_mov_b32 s7, s4
	;; [unrolled: 1-line block ×3, first 2 shown]
	v_mov_b64_e32 v[24:25], s[6:7]
	v_mov_b64_e32 v[22:23], s[4:5]
	;; [unrolled: 1-line block ×3, first 2 shown]
	v_cmp_gt_i32_e32 vcc, s54, v35
	v_mov_b64_e32 v[20:21], v[24:25]
	s_and_saveexec_b64 s[2:3], vcc
	s_cbranch_execz .LBB381_29
; %bb.28:
	v_lshlrev_b32_e32 v18, 8, v35
	v_mov_b32_e32 v19, 0
	v_lshl_add_u64 v[20:21], s[0:1], 0, v[18:19]
	v_lshlrev_b32_e32 v18, 1, v36
	v_lshl_add_u64 v[26:27], v[20:21], 0, v[18:19]
	global_load_dwordx4 v[22:25], v[26:27], off
	global_load_dwordx4 v[18:21], v[26:27], off offset:128
.LBB381_29:
	s_or_b64 exec, exec, s[2:3]
	s_mov_b32 s6, s4
	s_mov_b32 s7, s4
	s_mov_b32 s5, s4
	v_mov_b64_e32 v[32:33], s[6:7]
	v_mov_b64_e32 v[30:31], s[4:5]
	;; [unrolled: 1-line block ×3, first 2 shown]
	v_cmp_gt_i32_e32 vcc, s54, v38
	v_lshlrev_b32_e32 v39, 7, v38
	v_mov_b64_e32 v[28:29], v[32:33]
	s_and_saveexec_b64 s[2:3], vcc
	s_cbranch_execz .LBB381_31
; %bb.30:
	v_lshlrev_b32_e32 v26, 1, v39
	v_mov_b32_e32 v27, 0
	v_lshl_add_u64 v[28:29], s[0:1], 0, v[26:27]
	v_lshlrev_b32_e32 v26, 1, v36
	v_lshl_add_u64 v[42:43], v[28:29], 0, v[26:27]
	global_load_dwordx4 v[30:33], v[42:43], off
	global_load_dwordx4 v[26:29], v[42:43], off offset:128
.LBB381_31:
	s_or_b64 exec, exec, s[2:3]
	v_lshrrev_b32_e32 v41, 3, v36
	v_lshlrev_b32_e32 v42, 3, v35
	v_or_b32_e32 v41, v42, v41
	v_lshlrev_b32_e32 v41, 4, v41
	v_and_b32_e32 v42, 0x78, v42
	v_xor_b32_e32 v41, v41, v42
	s_branch .LBB381_34
.LBB381_32:
                                        ; implicit-def: $vgpr41
                                        ; implicit-def: $vgpr39
                                        ; implicit-def: $vgpr22_vgpr23_vgpr24_vgpr25
                                        ; implicit-def: $vgpr18_vgpr19_vgpr20_vgpr21
                                        ; implicit-def: $vgpr30_vgpr31_vgpr32_vgpr33
                                        ; implicit-def: $vgpr26_vgpr27_vgpr28_vgpr29
	s_cbranch_execz .LBB381_34
; %bb.33:
	s_waitcnt vmcnt(0)
	v_lshlrev_b32_e32 v18, 1, v36
	v_lshl_or_b32 v39, v35, 8, v18
	s_and_b32 s1, s1, 0xffff
	s_mov_b32 s3, 0x20000
	s_movk_i32 s2, 0x4000
	v_lshl_or_b32 v41, v38, 8, v18
	s_movk_i32 s4, 0x80
	buffer_load_dwordx4 v[22:25], v39, s[0:3], 0 offen
	buffer_load_dwordx4 v[18:21], v39, s[0:3], s4 offen
	;; [unrolled: 1-line block ×4, first 2 shown]
	v_lshrrev_b32_e32 v39, 3, v36
	v_lshlrev_b32_e32 v41, 3, v35
	v_or_b32_e32 v39, v41, v39
	v_lshlrev_b32_e32 v39, 4, v39
	v_and_b32_e32 v41, 0x78, v41
	v_xor_b32_e32 v41, v39, v41
	v_lshlrev_b32_e32 v39, 7, v38
.LBB381_34:
	s_lshl_b64 s[0:1], s[46:47], 8
	s_add_u32 s4, s16, s0
	s_movk_i32 s0, 0x1000
	v_and_or_b32 v38, v39, s0, v41
	s_waitcnt vmcnt(1)
	ds_write_b64 v41, v[22:23] offset:24576
	v_xor_b32_e32 v22, 8, v41
	ds_write_b64 v22, v[24:25] offset:24576
	s_waitcnt vmcnt(0)
	ds_write_b64 v41, v[18:19] offset:32768
	ds_write_b64 v22, v[20:21] offset:32768
	;; [unrolled: 1-line block ×3, first 2 shown]
	v_xor_b32_e32 v18, 8, v38
	ds_write_b64 v18, v[32:33] offset:24576
	ds_write_b64 v38, v[26:27] offset:32768
	;; [unrolled: 1-line block ×3, first 2 shown]
	v_or_b32_e32 v18, v59, v62
	v_lshlrev_b32_e32 v18, 3, v18
	v_lshrrev_b32_e32 v19, 5, v60
	s_movk_i32 s7, 0xf8
	v_and_or_b32 v19, v18, s7, v19
	v_lshlrev_b32_e32 v23, 4, v19
	v_lshlrev_b32_e32 v41, 11, v58
	v_and_b32_e32 v24, 0x78, v18
	v_or_b32_e32 v26, 32, v23
	v_and_b32_e32 v22, 0x1000, v41
	v_lshrrev_b32_e32 v19, 1, v60
	v_xor_b32_e32 v26, v26, v24
	v_xor_b32_e32 v18, v23, v24
	v_and_b32_e32 v25, 8, v19
	v_or_b32_e32 v26, v26, v22
	v_or_b32_e32 v18, v18, v22
	v_xor_b32_e32 v45, v26, v25
	v_or_b32_e32 v26, 64, v23
	v_xor_b32_e32 v44, v18, v25
	v_xor_b32_e32 v26, v26, v24
	s_waitcnt lgkmcnt(0)
	s_barrier
	v_or_b32_e32 v28, v26, v22
	ds_read_b64 v[26:27], v44 offset:24576
	v_lshl_or_b32 v38, v61, 7, v40
	v_lshlrev_b32_e32 v42, 1, v38
	v_add_u32_e32 v18, 0xa000, v42
	ds_read2_b64 v[18:21], v18 offset1:16
	v_or_b32_e32 v23, 0x60, v23
	v_xor_b32_e32 v23, v23, v24
	s_waitcnt lgkmcnt(0)
	v_mfma_f32_16x16x16_bf16 a[0:3], v[26:27], v[18:19], 0
	v_or_b32_e32 v18, 64, v38
	v_or_b32_e32 v22, v23, v22
	v_lshlrev_b32_e32 v43, 1, v18
	v_xor_b32_e32 v46, v28, v25
	v_xor_b32_e32 v47, v22, v25
	ds_read_b64 v[28:29], v45 offset:24576
	ds_read_b64 v[30:31], v46 offset:24576
	ds_read_b64 v[32:33], v47 offset:24576
	v_mfma_f32_16x16x16_bf16 a[4:7], v[26:27], v[20:21], 0
	ds_read2st64_b64 v[18:21], v43 offset0:82 offset1:84
	ds_read2st64_b64 v[22:25], v42 offset0:82 offset1:84
	s_addc_u32 s5, s17, s1
	s_add_i32 s2, s28, -1
	s_add_i32 s0, s48, s37
	s_mul_i32 s13, s13, s36
	s_add_i32 s13, s0, s13
	s_mul_i32 s0, s33, s39
	s_mul_hi_u32 s1, s33, s38
	s_ashr_i32 s3, s2, 31
	s_mul_i32 s6, s2, s41
	s_mul_hi_u32 s7, s2, s40
	s_add_i32 s0, s1, s0
	s_mul_i32 s1, s30, s38
	s_add_i32 s6, s7, s6
	s_mul_i32 s3, s3, s40
	s_waitcnt lgkmcnt(1)
	v_mfma_f32_16x16x16_bf16 a[4:7], v[28:29], v[18:19], a[4:7]
	s_add_i32 s1, s0, s1
	s_add_i32 s3, s6, s3
	s_lshl_b64 s[6:7], s[12:13], 2
	s_waitcnt lgkmcnt(0)
	v_mfma_f32_16x16x16_bf16 a[0:3], v[28:29], v[22:23], a[0:3]
	s_mul_i32 s0, s33, s38
	s_add_u32 s6, s22, s6
	s_addc_u32 s7, s23, s7
	s_lshl_b64 s[0:1], s[0:1], 2
	s_mul_i32 s2, s2, s40
	s_add_u32 s12, s6, s0
	ds_read_b64 v[18:19], v42 offset:44032
	v_mfma_f32_16x16x16_bf16 a[4:7], v[30:31], v[20:21], a[4:7]
	ds_read_b64 v[20:21], v43 offset:44032
	s_addc_u32 s13, s7, s1
	s_lshl_b64 s[0:1], s[2:3], 2
	v_mfma_f32_16x16x16_bf16 a[0:3], v[30:31], v[24:25], a[0:3]
	s_add_u32 s0, s12, s0
	s_addc_u32 s1, s13, s1
	s_load_dword s16, s[0:1], 0x0
	s_waitcnt lgkmcnt(0)
	v_mfma_f32_16x16x16_bf16 a[0:3], v[32:33], v[18:19], a[0:3]
	s_and_b64 vcc, exec, s[44:45]
	v_mfma_f32_16x16x16_bf16 a[4:7], v[32:33], v[20:21], a[4:7]
	s_cbranch_vccz .LBB381_45
; %bb.35:
	v_lshlrev_b32_e32 v38, 1, v35
	s_and_b64 vcc, exec, s[14:15]
	s_cbranch_vccz .LBB381_46
; %bb.36:
	v_cmp_gt_i32_e32 vcc, s54, v38
	v_mov_b32_e32 v22, 0
	v_mov_b32_e32 v18, 0
	;; [unrolled: 1-line block ×5, first 2 shown]
	s_and_saveexec_b64 s[0:1], vcc
	s_cbranch_execz .LBB381_38
; %bb.37:
	v_mad_i64_i32 v[18:19], s[2:3], s31, v38, 0
	v_lshl_add_u64 v[18:19], v[18:19], 1, s[4:5]
	v_lshlrev_b32_e32 v20, 1, v36
	v_mov_b32_e32 v21, 0
	v_lshl_add_u64 v[18:19], v[18:19], 0, v[20:21]
	global_load_dwordx4 v[18:21], v[18:19], off
.LBB381_38:
	s_or_b64 exec, exec, s[0:1]
	v_or_b32_e32 v39, 1, v38
	v_cmp_gt_i32_e64 s[0:1], s54, v39
	v_mov_b32_e32 v23, 0
	v_mov_b32_e32 v24, 0
	;; [unrolled: 1-line block ×3, first 2 shown]
	s_and_saveexec_b64 s[2:3], s[0:1]
	s_cbranch_execz .LBB381_40
; %bb.39:
	v_mad_i64_i32 v[22:23], s[6:7], s31, v39, 0
	v_lshl_add_u64 v[22:23], v[22:23], 1, s[4:5]
	v_lshlrev_b32_e32 v24, 1, v36
	v_mov_b32_e32 v25, 0
	v_lshl_add_u64 v[22:23], v[22:23], 0, v[24:25]
	global_load_dwordx4 v[22:25], v[22:23], off
.LBB381_40:
	s_or_b64 exec, exec, s[2:3]
	v_mov_b32_e32 v33, 0
	v_mov_b32_e32 v26, 0
	;; [unrolled: 1-line block ×5, first 2 shown]
	s_and_saveexec_b64 s[2:3], vcc
	s_cbranch_execz .LBB381_42
; %bb.41:
	v_mad_i64_i32 v[26:27], s[6:7], s31, v38, 0
	v_lshl_add_u64 v[26:27], v[26:27], 1, s[4:5]
	v_lshlrev_b32_e32 v28, 1, v36
	v_mov_b32_e32 v29, 0
	v_lshl_add_u64 v[26:27], v[26:27], 0, v[28:29]
	global_load_dwordx4 v[26:29], v[26:27], off offset:128
.LBB381_42:
	s_or_b64 exec, exec, s[2:3]
	v_mov_b32_e32 v32, 0
	v_mov_b32_e32 v31, 0
	;; [unrolled: 1-line block ×3, first 2 shown]
	s_and_saveexec_b64 s[2:3], s[0:1]
	s_cbranch_execz .LBB381_44
; %bb.43:
	v_mad_i64_i32 v[30:31], s[0:1], s31, v39, 0
	v_lshl_add_u64 v[30:31], v[30:31], 1, s[4:5]
	v_lshlrev_b32_e32 v32, 1, v36
	v_mov_b32_e32 v33, 0
	v_lshl_add_u64 v[30:31], v[30:31], 0, v[32:33]
	global_load_dwordx4 v[30:33], v[30:31], off offset:128
.LBB381_44:
	s_or_b64 exec, exec, s[2:3]
	s_branch .LBB381_48
.LBB381_45:
                                        ; implicit-def: $vgpr21
                                        ; implicit-def: $vgpr25
                                        ; implicit-def: $vgpr29
                                        ; implicit-def: $vgpr33
	v_lshrrev_b32_e32 v48, 2, v60
	s_branch .LBB381_49
.LBB381_46:
                                        ; implicit-def: $vgpr21
                                        ; implicit-def: $vgpr25
                                        ; implicit-def: $vgpr29
                                        ; implicit-def: $vgpr33
	s_cbranch_execz .LBB381_48
; %bb.47:
	s_waitcnt vmcnt(0)
	v_mad_u64_u32 v[18:19], s[0:1], v38, s31, v[36:37]
	v_lshlrev_b32_e32 v38, 1, v18
	s_lshl_b32 s2, s31, 7
	s_and_b32 s1, s5, 0xffff
	s_mov_b32 s3, 0x20000
	s_mov_b32 s0, s4
	v_add_lshl_u32 v39, v18, s31, 1
	s_movk_i32 s6, 0x80
	buffer_load_dwordx4 v[18:21], v38, s[0:3], 0 offen
	buffer_load_dwordx4 v[26:29], v38, s[0:3], s6 offen
	;; [unrolled: 1-line block ×4, first 2 shown]
.LBB381_48:
	v_lshrrev_b32_e32 v48, 2, v60
	s_cbranch_execnz .LBB381_61
.LBB381_49:
	s_and_b64 vcc, exec, s[14:15]
	s_cbranch_vccz .LBB381_59
; %bb.50:
	s_waitcnt vmcnt(0)
	v_lshlrev_b32_e32 v23, 1, v35
	v_cmp_gt_i32_e32 vcc, s54, v23
	v_mov_b32_e32 v22, 0
	v_lshlrev_b32_e32 v30, 9, v35
	v_mov_b32_e32 v18, 0
	v_mov_b32_e32 v19, 0
	v_mov_b32_e32 v20, 0
	v_mov_b32_e32 v21, 0
	s_and_saveexec_b64 s[0:1], vcc
	s_cbranch_execz .LBB381_52
; %bb.51:
	v_mov_b32_e32 v31, 0
	v_lshl_add_u64 v[18:19], s[4:5], 0, v[30:31]
	v_lshlrev_b32_e32 v20, 1, v36
	v_mov_b32_e32 v21, v31
	v_lshl_add_u64 v[18:19], v[18:19], 0, v[20:21]
	global_load_dwordx4 v[18:21], v[18:19], off
.LBB381_52:
	s_or_b64 exec, exec, s[0:1]
	v_or_b32_e32 v23, 1, v23
	v_cmp_gt_i32_e64 s[0:1], s54, v23
	v_lshlrev_b32_e32 v38, 8, v23
	v_mov_b32_e32 v23, 0
	v_mov_b32_e32 v24, 0
	;; [unrolled: 1-line block ×3, first 2 shown]
	s_and_saveexec_b64 s[2:3], s[0:1]
	s_cbranch_execz .LBB381_54
; %bb.53:
	v_mov_b32_e32 v39, 0
	v_lshl_add_u64 v[22:23], s[4:5], 0, v[38:39]
	v_lshlrev_b32_e32 v24, 1, v36
	v_mov_b32_e32 v25, v39
	v_lshl_add_u64 v[22:23], v[22:23], 0, v[24:25]
	global_load_dwordx4 v[22:25], v[22:23], off
.LBB381_54:
	s_or_b64 exec, exec, s[2:3]
	v_mov_b32_e32 v33, 0
	v_mov_b32_e32 v26, 0
	;; [unrolled: 1-line block ×5, first 2 shown]
	s_and_saveexec_b64 s[2:3], vcc
	s_cbranch_execz .LBB381_56
; %bb.55:
	v_mov_b32_e32 v31, 0
	v_lshl_add_u64 v[26:27], s[4:5], 0, v[30:31]
	v_lshlrev_b32_e32 v30, 1, v36
	v_lshl_add_u64 v[26:27], v[26:27], 0, v[30:31]
	global_load_dwordx4 v[26:29], v[26:27], off offset:128
.LBB381_56:
	s_or_b64 exec, exec, s[2:3]
	v_mov_b32_e32 v32, 0
	v_mov_b32_e32 v31, 0
	;; [unrolled: 1-line block ×3, first 2 shown]
	s_and_saveexec_b64 s[2:3], s[0:1]
	s_cbranch_execz .LBB381_58
; %bb.57:
	v_mov_b32_e32 v39, 0
	v_lshl_add_u64 v[30:31], s[4:5], 0, v[38:39]
	v_lshlrev_b32_e32 v38, 1, v36
	v_lshl_add_u64 v[30:31], v[30:31], 0, v[38:39]
	global_load_dwordx4 v[30:33], v[30:31], off offset:128
.LBB381_58:
	s_or_b64 exec, exec, s[2:3]
	s_branch .LBB381_61
.LBB381_59:
                                        ; implicit-def: $vgpr21
                                        ; implicit-def: $vgpr25
                                        ; implicit-def: $vgpr29
                                        ; implicit-def: $vgpr33
	s_cbranch_execz .LBB381_61
; %bb.60:
	s_waitcnt vmcnt(0)
	v_lshlrev_b32_e32 v18, 1, v36
	v_lshl_or_b32 v36, v35, 9, v18
	s_and_b32 s5, s5, 0xffff
	s_mov_b32 s7, 0x20000
	s_movk_i32 s6, 0x4000
	s_movk_i32 s0, 0x80
	buffer_load_dwordx4 v[18:21], v36, s[4:7], 0 offen
	buffer_load_dwordx4 v[22:25], v36, s[4:7], 0 offen offset:256
	buffer_load_dwordx4 v[26:29], v36, s[4:7], s0 offen
	buffer_load_dwordx4 v[30:33], v36, s[4:7], s0 offen offset:256
.LBB381_61:
	ds_read_b64 v[38:39], v44 offset:32768
	v_add_u32_e32 v36, 0xb000, v42
	ds_read2_b64 v[50:53], v36 offset1:16
	ds_read_b64 v[54:55], v45 offset:32768
	ds_read_b64 v[56:57], v46 offset:32768
	ds_read_b64 v[60:61], v47 offset:32768
	v_and_b32_e32 v36, 6, v0
	v_xor_b32_e32 v35, v35, v36
	v_lshlrev_b32_e32 v35, 2, v35
	v_and_b32_e32 v49, 1, v0
	v_cmp_eq_u32_e32 vcc, 0, v49
	s_mov_b32 s0, 0x1000504
	s_waitcnt lgkmcnt(3)
	v_mfma_f32_16x16x16_bf16 a[0:3], v[38:39], v[50:51], a[0:3]
	s_mov_b32 s1, 0x3020706
	v_mfma_f32_16x16x16_bf16 a[4:7], v[38:39], v[52:53], a[4:7]
	ds_read2st64_b64 v[44:47], v42 offset0:90 offset1:92
	ds_read2st64_b64 v[50:53], v43 offset0:90 offset1:92
	s_waitcnt lgkmcnt(1)
	v_mfma_f32_16x16x16_bf16 a[0:3], v[54:55], v[44:45], a[0:3]
	ds_read_b64 v[38:39], v42 offset:48128
	ds_read_b64 v[44:45], v43 offset:48128
	s_waitcnt lgkmcnt(2)
	v_mfma_f32_16x16x16_bf16 a[4:7], v[54:55], v[50:51], a[4:7]
	v_mfma_f32_16x16x16_bf16 a[0:3], v[56:57], v[46:47], a[0:3]
	v_xor_b32_e32 v46, 0x440, v35
	v_cndmask_b32_e32 v35, v46, v35, vcc
	v_lshl_or_b32 v35, v36, 10, v35
	v_mfma_f32_16x16x16_bf16 a[8:11], v[56:57], v[52:53], a[4:7]
	s_waitcnt vmcnt(0)
	v_perm_b32 v36, v18, v22, s0
	v_perm_b32 v18, v18, v22, s1
	;; [unrolled: 1-line block ×3, first 2 shown]
	s_waitcnt lgkmcnt(1)
	v_mfma_f32_16x16x16_bf16 a[4:7], v[60:61], v[38:39], a[0:3]
	v_perm_b32 v38, v26, v30, s0
	ds_write2st64_b32 v35, v36, v38 offset0:32 offset1:64
	v_xor_b32_e32 v36, 8, v35
	v_add_u32_e32 v26, 0x80, v36
	ds_write2st64_b32 v26, v18, v22 offset0:32 offset1:64
	v_xor_b32_e32 v18, 16, v35
	v_perm_b32 v22, v19, v23, s0
	v_perm_b32 v26, v27, v31, s0
	ds_write2st64_b32 v18, v22, v26 offset0:33 offset1:65
	v_xor_b32_e32 v18, 24, v35
	v_perm_b32 v19, v19, v23, s1
	v_perm_b32 v22, v27, v31, s1
	v_add_u32_e32 v18, 0x80, v18
	ds_write2st64_b32 v18, v19, v22 offset0:33 offset1:65
	v_xor_b32_e32 v18, 32, v35
	v_perm_b32 v19, v20, v24, s0
	v_perm_b32 v22, v28, v32, s0
	ds_write2st64_b32 v18, v19, v22 offset0:34 offset1:66
	v_xor_b32_e32 v18, 40, v35
	s_waitcnt lgkmcnt(5)
	v_mfma_f32_16x16x16_bf16 a[0:3], v[60:61], v[44:45], a[8:11]
	v_perm_b32 v19, v20, v24, s1
	v_perm_b32 v20, v28, v32, s1
	v_add_u32_e32 v18, 0x80, v18
	ds_write2st64_b32 v18, v19, v20 offset0:34 offset1:66
	v_xor_b32_e32 v18, 48, v35
	v_perm_b32 v19, v21, v25, s0
	v_perm_b32 v20, v29, v33, s0
	ds_write2st64_b32 v18, v19, v20 offset0:35 offset1:67
	v_xor_b32_e32 v18, 56, v35
	v_and_or_b32 v45, v48, 12, v59
	v_perm_b32 v19, v21, v25, s1
	v_perm_b32 v20, v29, v33, s1
	v_add_u32_e32 v18, 0x80, v18
	v_cmp_gt_i32_e32 vcc, s54, v45
	v_mov_b32_e32 v36, 0
	v_mov_b32_e32 v39, 0
	ds_write2st64_b32 v18, v19, v20 offset0:35 offset1:67
	s_and_saveexec_b64 s[0:1], vcc
	s_cbranch_execz .LBB381_63
; %bb.62:
	v_add_u32_e32 v18, s53, v45
	v_ashrrev_i32_e32 v19, 31, v18
	v_mul_lo_u32 v20, v19, s40
	v_mul_lo_u32 v21, v18, s41
	v_mad_u64_u32 v[18:19], s[2:3], v18, s40, 0
	v_add3_u32 v19, v19, v21, v20
	v_lshl_add_u64 v[18:19], v[18:19], 2, s[12:13]
	global_load_dword v18, v[18:19], off
	s_waitcnt vmcnt(0)
	v_sub_f32_e32 v18, s16, v18
	v_mul_f32_e32 v18, 0x3fb8aa3b, v18
	v_exp_f32_e32 v39, v18
.LBB381_63:
	s_or_b64 exec, exec, s[0:1]
	v_or_b32_e32 v29, 1, v45
	v_cmp_gt_i32_e64 s[0:1], s54, v29
	s_and_saveexec_b64 s[2:3], s[0:1]
	s_cbranch_execz .LBB381_65
; %bb.64:
	v_add_u32_e32 v18, s53, v29
	v_ashrrev_i32_e32 v19, 31, v18
	v_mul_lo_u32 v20, v19, s40
	v_mul_lo_u32 v21, v18, s41
	v_mad_u64_u32 v[18:19], s[4:5], v18, s40, 0
	v_add3_u32 v19, v19, v21, v20
	v_lshl_add_u64 v[18:19], v[18:19], 2, s[12:13]
	global_load_dword v18, v[18:19], off
	s_waitcnt vmcnt(0)
	v_sub_f32_e32 v18, s16, v18
	v_mul_f32_e32 v18, 0x3fb8aa3b, v18
	v_exp_f32_e32 v36, v18
.LBB381_65:
	s_or_b64 exec, exec, s[2:3]
	v_or_b32_e32 v28, 2, v45
	v_cmp_gt_i32_e64 s[2:3], s54, v28
	v_mov_b32_e32 v38, 0
	v_mov_b32_e32 v44, 0
	s_and_saveexec_b64 s[4:5], s[2:3]
	s_cbranch_execz .LBB381_67
; %bb.66:
	v_add_u32_e32 v18, s53, v28
	v_ashrrev_i32_e32 v19, 31, v18
	v_mul_lo_u32 v20, v19, s40
	v_mul_lo_u32 v21, v18, s41
	v_mad_u64_u32 v[18:19], s[6:7], v18, s40, 0
	v_add3_u32 v19, v19, v21, v20
	v_lshl_add_u64 v[18:19], v[18:19], 2, s[12:13]
	global_load_dword v18, v[18:19], off
	s_waitcnt vmcnt(0)
	v_sub_f32_e32 v18, s16, v18
	v_mul_f32_e32 v18, 0x3fb8aa3b, v18
	v_exp_f32_e32 v44, v18
.LBB381_67:
	s_or_b64 exec, exec, s[4:5]
	v_or_b32_e32 v46, 3, v45
	v_cmp_gt_i32_e64 s[4:5], s54, v46
	s_and_saveexec_b64 s[6:7], s[4:5]
	s_cbranch_execz .LBB381_69
; %bb.68:
	v_add_u32_e32 v18, s53, v46
	v_ashrrev_i32_e32 v19, 31, v18
	v_mul_lo_u32 v20, v19, s40
	v_mul_lo_u32 v21, v18, s41
	v_mad_u64_u32 v[18:19], s[14:15], v18, s40, 0
	v_add3_u32 v19, v19, v21, v20
	v_lshl_add_u64 v[18:19], v[18:19], 2, s[12:13]
	global_load_dword v18, v[18:19], off
	s_waitcnt vmcnt(0)
	v_sub_f32_e32 v18, s16, v18
	v_mul_f32_e32 v18, 0x3fb8aa3b, v18
	v_exp_f32_e32 v38, v18
.LBB381_69:
	s_or_b64 exec, exec, s[6:7]
	s_add_u32 s6, s20, s10
	s_addc_u32 s7, s21, s11
	s_add_u32 s10, s26, s10
	v_ashrrev_i32_e32 v35, 31, v34
	v_accvgpr_read_b32 v21, a7
	s_addc_u32 s11, s27, s11
	v_lshlrev_b64 v[22:23], 1, v[34:35]
	v_accvgpr_read_b32 v20, a6
	v_accvgpr_read_b32 v19, a5
	;; [unrolled: 1-line block ×3, first 2 shown]
	v_lshl_add_u64 v[24:25], s[6:7], 0, v[22:23]
	v_lshl_add_u64 v[22:23], s[10:11], 0, v[22:23]
	v_mov_b32_e32 v31, 0
	v_lshlrev_b32_e32 v26, 8, v45
	v_mov_b32_e32 v27, 0
	s_and_saveexec_b64 s[6:7], vcc
	s_cbranch_execz .LBB381_71
; %bb.70:
	v_mov_b32_e32 v27, 0
	v_lshl_add_u64 v[32:33], v[24:25], 0, v[26:27]
	global_load_ushort v30, v[32:33], off
	v_lshl_add_u64 v[32:33], v[22:23], 0, v[26:27]
	s_waitcnt vmcnt(0)
	v_lshlrev_b32_e32 v27, 16, v30
	v_sub_f32_e32 v18, v27, v18
	global_store_short_d16_hi v[32:33], v18, off
	v_mul_f32_e32 v18, v39, v18
	v_lshrrev_b32_e32 v27, 16, v18
.LBB381_71:
	s_or_b64 exec, exec, s[6:7]
	v_lshlrev_b32_e32 v30, 8, v29
	s_and_saveexec_b64 s[6:7], s[0:1]
	s_cbranch_execz .LBB381_73
; %bb.72:
	v_mov_b32_e32 v31, 0
	v_lshl_add_u64 v[32:33], v[24:25], 0, v[30:31]
	global_load_ushort v18, v[32:33], off
	v_lshl_add_u64 v[32:33], v[22:23], 0, v[30:31]
	s_waitcnt vmcnt(0)
	v_lshlrev_b32_e32 v18, 16, v18
	v_sub_f32_e32 v18, v18, v19
	global_store_short_d16_hi v[32:33], v18, off
	v_mul_f32_e32 v18, v36, v18
	v_lshrrev_b32_e32 v31, 16, v18
.LBB381_73:
	s_or_b64 exec, exec, s[6:7]
	v_mov_b32_e32 v29, 0
	v_lshlrev_b32_e32 v32, 8, v28
	v_mov_b32_e32 v33, 0
	s_and_saveexec_b64 s[6:7], s[2:3]
	s_cbranch_execz .LBB381_75
; %bb.74:
	v_mov_b32_e32 v33, 0
	v_lshl_add_u64 v[18:19], v[24:25], 0, v[32:33]
	global_load_ushort v28, v[18:19], off
	v_lshl_add_u64 v[18:19], v[22:23], 0, v[32:33]
	s_waitcnt vmcnt(0)
	v_lshlrev_b32_e32 v28, 16, v28
	v_sub_f32_e32 v20, v28, v20
	global_store_short_d16_hi v[18:19], v20, off
	v_mul_f32_e32 v18, v44, v20
	v_lshrrev_b32_e32 v33, 16, v18
.LBB381_75:
	s_or_b64 exec, exec, s[6:7]
	v_lshlrev_b32_e32 v28, 8, v46
	s_and_saveexec_b64 s[6:7], s[4:5]
	s_cbranch_execz .LBB381_77
; %bb.76:
	v_mov_b32_e32 v29, 0
	v_lshl_add_u64 v[18:19], v[24:25], 0, v[28:29]
	global_load_ushort v20, v[18:19], off
	v_lshl_add_u64 v[18:19], v[22:23], 0, v[28:29]
	s_waitcnt vmcnt(0)
	v_lshlrev_b32_e32 v20, 16, v20
	v_sub_f32_e32 v20, v20, v21
	global_store_short_d16_hi v[18:19], v20, off
	v_mul_f32_e32 v18, v38, v20
	v_lshrrev_b32_e32 v29, 16, v18
.LBB381_77:
	s_or_b64 exec, exec, s[6:7]
	v_lshlrev_b32_e32 v35, 5, v45
	s_mov_b32 s6, 0x5040100
	v_perm_b32 v46, v31, v27, s6
	v_or_b32_e32 v27, v35, v40
	v_accvgpr_read_b32 v21, a3
	v_perm_b32 v47, v29, v33, s6
	v_lshlrev_b32_e32 v27, 1, v27
	v_accvgpr_read_b32 v20, a2
	v_accvgpr_read_b32 v19, a1
	;; [unrolled: 1-line block ×3, first 2 shown]
	ds_write_b64 v27, v[46:47] offset:45056
	v_mov_b32_e32 v31, 0
	v_mov_b32_e32 v27, 0
	s_and_saveexec_b64 s[6:7], vcc
	s_cbranch_execz .LBB381_79
; %bb.78:
	v_mov_b32_e32 v27, 0
	v_lshl_add_u64 v[46:47], v[24:25], 0, v[26:27]
	global_load_ushort v29, v[46:47], off offset:32
	v_lshl_add_u64 v[26:27], v[22:23], 0, v[26:27]
	s_waitcnt vmcnt(0)
	v_lshlrev_b32_e32 v29, 16, v29
	v_sub_f32_e32 v18, v29, v18
	global_store_short_d16_hi v[26:27], v18, off offset:32
	v_mul_f32_e32 v18, v39, v18
	v_lshrrev_b32_e32 v27, 16, v18
.LBB381_79:
	s_or_b64 exec, exec, s[6:7]
	s_and_saveexec_b64 s[6:7], s[0:1]
	s_cbranch_execz .LBB381_81
; %bb.80:
	v_mov_b32_e32 v31, 0
	v_lshl_add_u64 v[46:47], v[24:25], 0, v[30:31]
	global_load_ushort v18, v[46:47], off offset:32
	v_lshl_add_u64 v[30:31], v[22:23], 0, v[30:31]
	s_waitcnt vmcnt(0)
	v_lshlrev_b32_e32 v18, 16, v18
	v_sub_f32_e32 v18, v18, v19
	global_store_short_d16_hi v[30:31], v18, off offset:32
	v_mul_f32_e32 v18, v36, v18
	v_lshrrev_b32_e32 v31, 16, v18
.LBB381_81:
	s_or_b64 exec, exec, s[6:7]
	v_mov_b32_e32 v26, 0
	v_mov_b32_e32 v30, 0
	s_and_saveexec_b64 s[0:1], s[2:3]
	s_cbranch_execz .LBB381_83
; %bb.82:
	v_mov_b32_e32 v33, 0
	v_lshl_add_u64 v[18:19], v[24:25], 0, v[32:33]
	global_load_ushort v29, v[18:19], off offset:32
	v_lshl_add_u64 v[18:19], v[22:23], 0, v[32:33]
	s_waitcnt vmcnt(0)
	v_lshlrev_b32_e32 v29, 16, v29
	v_sub_f32_e32 v20, v29, v20
	global_store_short_d16_hi v[18:19], v20, off offset:32
	v_mul_f32_e32 v18, v44, v20
	v_lshrrev_b32_e32 v30, 16, v18
.LBB381_83:
	s_or_b64 exec, exec, s[0:1]
	v_or_b32_e32 v19, 0xb000, v42
	v_or_b32_e32 v18, 0xb000, v43
	s_and_saveexec_b64 s[0:1], s[4:5]
	s_cbranch_execz .LBB381_85
; %bb.84:
	v_mov_b32_e32 v29, 0
	v_lshl_add_u64 v[24:25], v[24:25], 0, v[28:29]
	global_load_ushort v20, v[24:25], off offset:32
	v_lshl_add_u64 v[22:23], v[22:23], 0, v[28:29]
	s_waitcnt vmcnt(0)
	v_lshlrev_b32_e32 v20, 16, v20
	v_sub_f32_e32 v20, v20, v21
	global_store_short_d16_hi v[22:23], v20, off offset:32
	v_mul_f32_e32 v20, v38, v20
	v_lshrrev_b32_e32 v26, 16, v20
.LBB381_85:
	s_or_b64 exec, exec, s[0:1]
	s_mov_b32 s0, 0x5040100
	v_or_b32_e32 v22, v35, v37
	v_perm_b32 v21, v26, v30, s0
	v_perm_b32 v20, v31, v27, s0
	v_lshlrev_b32_e32 v22, 1, v22
	s_movk_i32 s0, 0x100
	ds_write_b64 v22, v[20:21] offset:45056
	v_and_b32_e32 v20, 7, v0
	v_and_b32_e32 v21, 8, v0
	v_cmp_gt_u32_e32 vcc, s0, v0
	v_lshrrev_b32_e32 v0, 1, v0
	v_lshlrev_b32_e32 v35, 3, v20
	v_lshlrev_b32_e32 v36, 7, v20
	v_mov_b32_e32 v20, 0x4000
	v_mov_b32_e32 v22, 0x2000
	v_lshlrev_b32_e32 v38, 3, v58
	v_and_b32_e32 v0, 24, v0
	v_cndmask_b32_e32 v37, v20, v22, vcc
	v_xor_b32_e32 v20, v38, v0
	v_or_b32_e32 v26, 32, v0
	v_or_b32_e32 v22, 0x440, v20
	v_cmp_eq_u32_e32 vcc, 0, v21
	v_xor_b32_e32 v26, v38, v26
	v_or_b32_e32 v27, 0x440, v26
	v_cndmask_b32_e32 v20, v22, v20, vcc
	v_or_b32_e32 v20, v20, v41
	v_cndmask_b32_e32 v26, v27, v26, vcc
	v_xad_u32 v40, v20, v35, v36
	v_or_b32_e32 v26, v26, v41
	v_add_u32_e32 v20, v37, v40
	v_xad_u32 v42, v26, v35, v36
	s_waitcnt lgkmcnt(0)
	s_barrier
	ds_read_b64 v[24:25], v20
	ds_read2_b64 v[20:23], v19 offset1:16
	v_add_u32_e32 v26, v37, v42
	ds_read_b64 v[32:33], v26
	s_waitcnt lgkmcnt(1)
	v_mfma_f32_16x16x16_bf16 a[0:3], v[24:25], v[20:21], 0
	ds_read2st64_b64 v[28:31], v18 offset0:2 offset1:4
	v_mfma_f32_16x16x16_bf16 a[4:7], v[24:25], v[22:23], 0
	ds_read2st64_b64 v[24:27], v19 offset0:2 offset1:4
	s_waitcnt lgkmcnt(0)
	v_mfma_f32_16x16x16_bf16 a[0:3], v[32:33], v[24:25], a[0:3]
	v_mfma_f32_16x16x16_bf16 a[4:7], v[32:33], v[28:29], a[4:7]
	v_or_b32_e32 v32, 64, v0
	v_xor_b32_e32 v32, v38, v32
	v_xor_b32_e32 v33, 0x440, v32
	v_cndmask_b32_e32 v32, v33, v32, vcc
	v_or_b32_e32 v32, v32, v41
	v_or_b32_e32 v0, 0x60, v0
	v_xad_u32 v43, v32, v35, v36
	v_xor_b32_e32 v0, v38, v0
	v_add_u32_e32 v32, v37, v43
	v_xor_b32_e32 v38, 0x440, v0
	ds_read_b64 v[32:33], v32
	v_cndmask_b32_e32 v0, v38, v0, vcc
	v_or_b32_e32 v0, v0, v41
	v_xad_u32 v0, v0, v35, v36
	v_add_u32_e32 v35, v37, v0
	ds_read_b64 v[36:37], v35
	s_waitcnt lgkmcnt(1)
	v_mfma_f32_16x16x16_bf16 a[0:3], v[32:33], v[26:27], a[0:3]
	v_mov_b32_e32 v35, 0x3fb8aa3b
	v_mfma_f32_16x16x16_bf16 a[4:7], v[32:33], v[30:31], a[4:7]
	ds_read_b64 v[32:33], v19 offset:3072
	ds_read_b64 v[38:39], v18 offset:3072
	ds_read_b64 v[18:19], v40 offset:16384
	s_waitcnt lgkmcnt(2)
	v_mfma_f32_16x16x16_bf16 a[0:3], v[36:37], v[32:33], a[0:3]
	s_waitcnt lgkmcnt(1)
	v_mfma_f32_16x16x16_bf16 a[4:7], v[36:37], v[38:39], a[4:7]
	ds_read_b64 v[36:37], v42 offset:16384
	s_waitcnt lgkmcnt(1)
	v_mfma_f32_16x16x16_bf16 a[8:11], v[18:19], v[20:21], 0
	v_mul_f32_e32 v20, s16, v35
	v_exp_f32_e32 v35, v20
	v_accvgpr_read_b32 v21, a3
	v_mfma_f32_16x16x16_bf16 a[12:15], v[18:19], v[22:23], 0
	ds_read_b64 v[22:23], v43 offset:16384
	v_accvgpr_read_b32 v18, a0
	v_fma_f32 v18, v2, v35, v18
	v_accvgpr_read_b32 v2, a1
	v_fma_f32 v19, v3, v35, v2
	;; [unrolled: 2-line block ×3, first 2 shown]
	ds_read_b64 v[2:3], v0 offset:16384
	s_waitcnt lgkmcnt(2)
	v_mfma_f32_16x16x16_bf16 a[8:11], v[36:37], v[24:25], a[8:11]
	v_accvgpr_read_b32 v0, a4
	v_fmac_f32_e32 v21, v5, v35
	v_mfma_f32_16x16x16_bf16 a[12:15], v[36:37], v[28:29], a[12:15]
	v_accvgpr_read_b32 v29, a7
	v_fmac_f32_e32 v29, v13, v35
	s_waitcnt lgkmcnt(1)
	v_mfma_f32_16x16x16_bf16 a[0:3], v[22:23], v[26:27], a[8:11]
	v_fma_f32 v26, v10, v35, v0
	v_accvgpr_read_b32 v0, a5
	v_fma_f32 v27, v11, v35, v0
	v_mfma_f32_16x16x16_bf16 a[8:11], v[22:23], v[30:31], a[12:15]
	v_accvgpr_read_b32 v0, a6
	v_fma_f32 v28, v12, v35, v0
	s_waitcnt lgkmcnt(0)
	v_mfma_f32_16x16x16_bf16 a[0:3], v[2:3], v[32:33], a[0:3]
	v_mfma_f32_16x16x16_bf16 a[4:7], v[2:3], v[38:39], a[8:11]
	s_nop 5
	v_accvgpr_read_b32 v0, a0
	v_fma_f32 v22, v6, v35, v0
	v_accvgpr_read_b32 v0, a1
	v_fma_f32 v23, v7, v35, v0
	;; [unrolled: 2-line block ×4, first 2 shown]
	v_accvgpr_read_b32 v0, a5
	v_accvgpr_read_b32 v25, a3
	v_fma_f32 v31, v15, v35, v0
	v_accvgpr_read_b32 v0, a6
	v_accvgpr_read_b32 v33, a7
	v_fmac_f32_e32 v25, v9, v35
	v_fma_f32 v32, v16, v35, v0
	v_fmac_f32_e32 v33, v17, v35
	v_mov_b64_e32 v[2:3], v[18:19]
	v_mov_b64_e32 v[4:5], v[20:21]
	;; [unrolled: 1-line block ×8, first 2 shown]
	v_mov_b32_e32 v18, v34
.LBB381_86:
	s_lshl_b64 s[0:1], s[8:9], 15
	s_waitcnt lgkmcnt(0)
	s_add_u32 s0, s34, s0
	v_lshlrev_b32_e32 v18, 7, v18
	s_addc_u32 s1, s35, s1
	v_ashrrev_i32_e32 v19, 31, v18
	v_lshl_add_u64 v[20:21], v[18:19], 1, s[0:1]
	v_lshlrev_b32_e32 v0, 1, v1
	v_mov_b32_e32 v1, 0
	s_mov_b32 s2, 0x7060302
	v_lshl_add_u64 v[20:21], v[20:21], 0, v[0:1]
	v_perm_b32 v5, v5, v4, s2
	v_perm_b32 v4, v3, v2, s2
	;; [unrolled: 1-line block ×4, first 2 shown]
	global_store_dwordx2 v[20:21], v[2:3], off offset:128
	v_or_b32_e32 v2, 0x800, v18
	v_ashrrev_i32_e32 v3, 31, v2
	v_lshl_add_u64 v[2:3], v[2:3], 1, s[0:1]
	v_lshl_add_u64 v[0:1], v[2:3], 0, v[0:1]
	v_perm_b32 v3, v13, v12, s2
	v_perm_b32 v2, v11, v10, s2
	global_store_dwordx2 v[0:1], v[2:3], off
	v_perm_b32 v3, v17, v16, s2
	v_perm_b32 v2, v15, v14, s2
	global_store_dwordx2 v[20:21], v[4:5], off
	global_store_dwordx2 v[0:1], v[2:3], off offset:128
	s_endpgm
	.section	.rodata,"a",@progbits
	.p2align	6, 0x0
	.amdhsa_kernel _ZN12_GLOBAL__N_139chunk_gated_delta_rule_fwd_h_hip_kernelILi32ELb0ELb1ELb1ELb0ELb0ELb0ELb0ELb1EEEvPK12hip_bfloat16S3_S3_PKfS5_PKvPS1_S8_PvPKiSB_iiiiilll
		.amdhsa_group_segment_fixed_size 49152
		.amdhsa_private_segment_fixed_size 0
		.amdhsa_kernarg_size 136
		.amdhsa_user_sgpr_count 2
		.amdhsa_user_sgpr_dispatch_ptr 0
		.amdhsa_user_sgpr_queue_ptr 0
		.amdhsa_user_sgpr_kernarg_segment_ptr 1
		.amdhsa_user_sgpr_dispatch_id 0
		.amdhsa_user_sgpr_kernarg_preload_length 0
		.amdhsa_user_sgpr_kernarg_preload_offset 0
		.amdhsa_user_sgpr_private_segment_size 0
		.amdhsa_uses_dynamic_stack 0
		.amdhsa_enable_private_segment 0
		.amdhsa_system_sgpr_workgroup_id_x 1
		.amdhsa_system_sgpr_workgroup_id_y 1
		.amdhsa_system_sgpr_workgroup_id_z 0
		.amdhsa_system_sgpr_workgroup_info 0
		.amdhsa_system_vgpr_workitem_id 0
		.amdhsa_next_free_vgpr 152
		.amdhsa_next_free_sgpr 68
		.amdhsa_accum_offset 136
		.amdhsa_reserve_vcc 1
		.amdhsa_float_round_mode_32 0
		.amdhsa_float_round_mode_16_64 0
		.amdhsa_float_denorm_mode_32 3
		.amdhsa_float_denorm_mode_16_64 3
		.amdhsa_dx10_clamp 1
		.amdhsa_ieee_mode 1
		.amdhsa_fp16_overflow 0
		.amdhsa_tg_split 0
		.amdhsa_exception_fp_ieee_invalid_op 0
		.amdhsa_exception_fp_denorm_src 0
		.amdhsa_exception_fp_ieee_div_zero 0
		.amdhsa_exception_fp_ieee_overflow 0
		.amdhsa_exception_fp_ieee_underflow 0
		.amdhsa_exception_fp_ieee_inexact 0
		.amdhsa_exception_int_div_zero 0
	.end_amdhsa_kernel
	.section	.text._ZN12_GLOBAL__N_139chunk_gated_delta_rule_fwd_h_hip_kernelILi32ELb0ELb1ELb1ELb0ELb0ELb0ELb0ELb1EEEvPK12hip_bfloat16S3_S3_PKfS5_PKvPS1_S8_PvPKiSB_iiiiilll,"axG",@progbits,_ZN12_GLOBAL__N_139chunk_gated_delta_rule_fwd_h_hip_kernelILi32ELb0ELb1ELb1ELb0ELb0ELb0ELb0ELb1EEEvPK12hip_bfloat16S3_S3_PKfS5_PKvPS1_S8_PvPKiSB_iiiiilll,comdat
.Lfunc_end381:
	.size	_ZN12_GLOBAL__N_139chunk_gated_delta_rule_fwd_h_hip_kernelILi32ELb0ELb1ELb1ELb0ELb0ELb0ELb0ELb1EEEvPK12hip_bfloat16S3_S3_PKfS5_PKvPS1_S8_PvPKiSB_iiiiilll, .Lfunc_end381-_ZN12_GLOBAL__N_139chunk_gated_delta_rule_fwd_h_hip_kernelILi32ELb0ELb1ELb1ELb0ELb0ELb0ELb0ELb1EEEvPK12hip_bfloat16S3_S3_PKfS5_PKvPS1_S8_PvPKiSB_iiiiilll
                                        ; -- End function
	.section	.AMDGPU.csdata,"",@progbits
; Kernel info:
; codeLenInByte = 9788
; NumSgprs: 74
; NumVgprs: 134
; NumAgprs: 16
; TotalNumVgprs: 152
; ScratchSize: 0
; MemoryBound: 0
; FloatMode: 240
; IeeeMode: 1
; LDSByteSize: 49152 bytes/workgroup (compile time only)
; SGPRBlocks: 9
; VGPRBlocks: 18
; NumSGPRsForWavesPerEU: 74
; NumVGPRsForWavesPerEU: 152
; AccumOffset: 136
; Occupancy: 1
; WaveLimiterHint : 1
; COMPUTE_PGM_RSRC2:SCRATCH_EN: 0
; COMPUTE_PGM_RSRC2:USER_SGPR: 2
; COMPUTE_PGM_RSRC2:TRAP_HANDLER: 0
; COMPUTE_PGM_RSRC2:TGID_X_EN: 1
; COMPUTE_PGM_RSRC2:TGID_Y_EN: 1
; COMPUTE_PGM_RSRC2:TGID_Z_EN: 0
; COMPUTE_PGM_RSRC2:TIDIG_COMP_CNT: 0
; COMPUTE_PGM_RSRC3_GFX90A:ACCUM_OFFSET: 33
; COMPUTE_PGM_RSRC3_GFX90A:TG_SPLIT: 0
	.section	.text._ZN12_GLOBAL__N_139chunk_gated_delta_rule_fwd_h_hip_kernelILi32ELb0ELb1ELb0ELb0ELb0ELb0ELb0ELb1EEEvPK12hip_bfloat16S3_S3_PKfS5_PKvPS1_S8_PvPKiSB_iiiiilll,"axG",@progbits,_ZN12_GLOBAL__N_139chunk_gated_delta_rule_fwd_h_hip_kernelILi32ELb0ELb1ELb0ELb0ELb0ELb0ELb0ELb1EEEvPK12hip_bfloat16S3_S3_PKfS5_PKvPS1_S8_PvPKiSB_iiiiilll,comdat
	.globl	_ZN12_GLOBAL__N_139chunk_gated_delta_rule_fwd_h_hip_kernelILi32ELb0ELb1ELb0ELb0ELb0ELb0ELb0ELb1EEEvPK12hip_bfloat16S3_S3_PKfS5_PKvPS1_S8_PvPKiSB_iiiiilll ; -- Begin function _ZN12_GLOBAL__N_139chunk_gated_delta_rule_fwd_h_hip_kernelILi32ELb0ELb1ELb0ELb0ELb0ELb0ELb0ELb1EEEvPK12hip_bfloat16S3_S3_PKfS5_PKvPS1_S8_PvPKiSB_iiiiilll
	.p2align	8
	.type	_ZN12_GLOBAL__N_139chunk_gated_delta_rule_fwd_h_hip_kernelILi32ELb0ELb1ELb0ELb0ELb0ELb0ELb0ELb1EEEvPK12hip_bfloat16S3_S3_PKfS5_PKvPS1_S8_PvPKiSB_iiiiilll,@function
_ZN12_GLOBAL__N_139chunk_gated_delta_rule_fwd_h_hip_kernelILi32ELb0ELb1ELb0ELb0ELb0ELb0ELb0ELb1EEEvPK12hip_bfloat16S3_S3_PKfS5_PKvPS1_S8_PvPKiSB_iiiiilll: ; @_ZN12_GLOBAL__N_139chunk_gated_delta_rule_fwd_h_hip_kernelILi32ELb0ELb1ELb0ELb0ELb0ELb0ELb0ELb1EEEvPK12hip_bfloat16S3_S3_PKfS5_PKvPS1_S8_PvPKiSB_iiiiilll
; %bb.0:
	s_load_dwordx4 s[24:27], s[0:1], 0x5c
	s_load_dwordx4 s[28:31], s[0:1], 0x70
	s_abs_i32 s6, s3
	s_ashr_i32 s5, s3, 31
	s_load_dwordx8 s[16:23], s[0:1], 0x0
	s_waitcnt lgkmcnt(0)
	s_abs_i32 s4, s25
	v_cvt_f32_u32_e32 v1, s4
	s_sub_i32 s8, 0, s4
	s_ashr_i32 s7, s25, 31
	s_xor_b32 s5, s5, s7
	v_rcp_iflag_f32_e32 v1, v1
	s_load_dwordx2 s[34:35], s[0:1], 0x40
	s_load_dwordx2 s[38:39], s[0:1], 0x30
	;; [unrolled: 1-line block ×3, first 2 shown]
	s_mov_b32 s0, 0
	v_mul_f32_e32 v1, 0x4f7ffffe, v1
	v_cvt_u32_f32_e32 v1, v1
	v_lshrrev_b32_e32 v56, 6, v0
	v_bfe_u32 v59, v0, 4, 2
	v_lshlrev_b32_e32 v57, 4, v56
	v_readfirstlane_b32 s9, v1
	s_mul_i32 s8, s8, s9
	s_mul_hi_u32 s8, s9, s8
	s_add_i32 s9, s9, s8
	s_mul_hi_u32 s8, s6, s9
	s_mul_i32 s9, s8, s4
	s_sub_i32 s6, s6, s9
	s_add_i32 s10, s8, 1
	s_sub_i32 s9, s6, s4
	s_cmp_ge_u32 s6, s4
	s_cselect_b32 s8, s10, s8
	s_cselect_b32 s6, s9, s6
	s_add_i32 s9, s8, 1
	s_cmp_ge_u32 s6, s4
	s_cselect_b32 s6, s9, s8
	s_xor_b32 s6, s6, s5
	s_sub_i32 s49, s6, s5
	s_abs_i32 s6, s26
	v_cvt_f32_u32_e32 v1, s6
	s_mul_i32 s47, s49, s25
	s_sub_i32 s33, s3, s47
	s_add_i32 s3, s24, 63
	v_rcp_iflag_f32_e32 v1, v1
	s_ashr_i32 s5, s3, 31
	s_lshr_b32 s5, s5, 26
	s_ashr_i32 s48, s24, 31
	v_mul_f32_e32 v1, 0x4f7ffffe, v1
	v_cvt_u32_f32_e32 v1, v1
	s_add_i32 s3, s3, s5
	s_lshr_b32 s5, s48, 26
	s_add_i32 s5, s24, s5
	s_ashr_i32 s44, s26, 31
	s_ashr_i32 s50, s5, 6
	s_xor_b32 s5, s7, s44
	s_sub_i32 s7, 0, s6
	v_readfirstlane_b32 s8, v1
	s_mul_i32 s7, s7, s8
	s_mul_hi_u32 s7, s8, s7
	s_add_i32 s8, s8, s7
	s_mul_hi_u32 s7, s4, s8
	s_mul_i32 s8, s7, s6
	s_sub_i32 s4, s4, s8
	s_ashr_i32 s3, s3, 6
	s_add_i32 s8, s7, 1
	s_sub_i32 s9, s4, s6
	s_cmp_ge_u32 s4, s6
	s_cselect_b32 s7, s8, s7
	s_cselect_b32 s4, s9, s4
	s_add_i32 s8, s7, 1
	s_cmp_ge_u32 s4, s6
	s_cselect_b32 s4, s8, s7
	s_xor_b32 s4, s4, s5
	s_sub_i32 s4, s4, s5
	s_abs_i32 s5, s4
	v_cvt_f32_u32_e32 v1, s5
	s_sub_i32 s6, 0, s5
	s_xor_b32 s1, s33, s4
	s_abs_i32 s4, s33
	v_rcp_iflag_f32_e32 v1, v1
	s_ashr_i32 s1, s1, 31
	v_lshlrev_b32_e32 v18, 2, v59
	s_mov_b32 s14, s0
	v_mul_f32_e32 v1, 0x4f7ffffe, v1
	v_cvt_u32_f32_e32 v1, v1
	s_mov_b32 s15, s0
	v_and_b32_e32 v58, 63, v0
	s_mul_i32 s53, s49, s3
	v_readfirstlane_b32 s7, v1
	s_mul_i32 s6, s6, s7
	s_mul_hi_u32 s6, s7, s6
	s_add_i32 s7, s7, s6
	s_mul_hi_u32 s6, s4, s7
	s_mul_i32 s7, s6, s5
	s_sub_i32 s4, s4, s7
	s_add_i32 s7, s6, 1
	s_sub_i32 s8, s4, s5
	s_cmp_ge_u32 s4, s5
	s_cselect_b32 s6, s7, s6
	s_cselect_b32 s4, s8, s4
	s_add_i32 s7, s6, 1
	s_cmp_ge_u32 s4, s5
	s_cselect_b32 s4, s7, s6
	s_xor_b32 s4, s4, s1
	s_sub_i32 s54, s4, s1
	v_or_b32_e32 v1, v18, v57
	s_lshl_b32 s40, s2, 5
	s_mov_b32 s1, s0
	s_mov_b32 s2, s0
	;; [unrolled: 1-line block ×13, first 2 shown]
	v_mov_b64_e32 v[16:17], s[14:15]
	v_and_b32_e32 v60, 15, v0
	v_or_b32_e32 v63, 64, v1
	s_cmp_lt_i32 s24, 64
	v_mov_b64_e32 v[14:15], s[12:13]
	v_mov_b64_e32 v[12:13], s[10:11]
	;; [unrolled: 1-line block ×7, first 2 shown]
	s_mul_hi_i32 s55, s49, s25
	v_lshrrev_b32_e32 v62, 3, v58
	v_lshlrev_b32_e32 v61, 3, v0
	s_mul_i32 s29, s49, s29
	s_mul_hi_u32 s46, s49, s28
	s_mul_i32 s12, s49, s28
	s_cbranch_scc1 .LBB382_19
; %bb.1:
	s_ashr_i32 s8, s49, 31
	s_ashr_i32 s51, s33, 31
	s_add_u32 s0, s47, s33
	s_addc_u32 s1, s55, s51
	s_mul_i32 s1, s24, s1
	s_mul_hi_u32 s2, s24, s0
	s_add_i32 s3, s2, s1
	s_mul_i32 s2, s24, s0
	s_lshl_b64 s[0:1], s[2:3], 8
	v_and_b32_e32 v9, 56, v61
	s_add_u32 s4, s18, s0
	v_lshl_or_b32 v5, v56, 3, v62
	v_lshlrev_b32_e32 v2, 1, v9
	s_addc_u32 s0, s19, s1
	v_lshl_or_b32 v13, v5, 8, v2
	s_and_b32 s5, s0, 0xffff
	s_mov_b32 s7, 0x20000
	s_movk_i32 s6, 0x4000
	s_movk_i32 s0, 0x80
	v_or_b32_e32 v17, 0x2000, v13
	buffer_load_dwordx4 v[20:23], v13, s[4:7], 0 offen
	buffer_load_dwordx4 v[24:27], v13, s[4:7], s0 offen
	;; [unrolled: 1-line block ×4, first 2 shown]
	v_lshlrev_b32_e32 v3, 3, v5
	v_and_or_b32 v6, v0, 7, v3
	v_and_b32_e32 v3, 0x78, v3
	v_lshlrev_b32_e32 v6, 4, v6
	v_xor_b32_e32 v64, v6, v3
	v_mul_lo_u32 v4, v5, s27
	v_or_b32_e32 v65, 0x1000, v64
	v_xor_b32_e32 v3, 8, v64
	s_cmpk_eq_i32 s27, 0x80
	s_mov_b32 s45, s26
	v_xor_b32_e32 v6, 8, v65
	s_cselect_b64 s[0:1], -1, 0
	s_cmpk_lg_i32 s27, 0x80
	s_waitcnt vmcnt(3)
	ds_write_b64 v64, v[20:21] offset:24576
	ds_write_b64 v3, v[22:23] offset:24576
	s_waitcnt vmcnt(2)
	ds_write_b64 v64, v[24:25] offset:32768
	ds_write_b64 v3, v[26:27] offset:32768
	;; [unrolled: 3-line block ×4, first 2 shown]
	v_lshl_add_u32 v3, v4, 1, v9
	s_cbranch_scc0 .LBB382_3
; %bb.2:
	v_lshlrev_b32_e32 v6, 1, v3
	v_add_lshl_u32 v4, v3, s27, 1
	s_lshl_b32 s6, s27, 7
	v_lshl_or_b32 v2, v5, 9, v2
	s_cbranch_execz .LBB382_4
	s_branch .LBB382_5
.LBB382_3:
                                        ; implicit-def: $vgpr4
                                        ; implicit-def: $vgpr6
                                        ; implicit-def: $sgpr6
	v_lshl_or_b32 v2, v5, 9, v2
.LBB382_4:
	v_or_b32_e32 v4, 0x100, v2
	s_movk_i32 s6, 0x4000
	v_mov_b32_e32 v6, v2
.LBB382_5:
	s_mul_hi_u32 s4, s26, s24
	s_mul_i32 s5, s44, s24
	s_add_i32 s4, s4, s5
	s_mul_i32 s5, s26, s24
	s_mul_i32 s7, s5, s8
	s_mul_hi_u32 s9, s5, s49
	s_add_i32 s7, s9, s7
	s_mul_i32 s4, s4, s49
	s_add_i32 s7, s7, s4
	s_mul_i32 s5, s5, s49
	s_ashr_i32 s52, s54, 31
	s_add_u32 s4, s5, s54
	s_addc_u32 s5, s7, s52
	s_lshl_b64 s[4:5], s[4:5], 8
	s_add_u32 s4, s16, s4
	s_addc_u32 s5, s17, s5
	s_and_b32 s5, s5, 0xffff
	s_mov_b32 s7, 0x20000
	s_movk_i32 s56, 0x80
	buffer_load_dwordx4 v[20:23], v6, s[4:7], 0 offen
	buffer_load_dwordx4 v[24:27], v6, s[4:7], s56 offen
	;; [unrolled: 1-line block ×4, first 2 shown]
	v_and_b32_e32 v4, 6, v0
	v_lshlrev_b32_e32 v8, 6, v1
	v_or_b32_e32 v11, 16, v60
	v_xor_b32_e32 v12, v5, v4
	v_and_b32_e32 v6, 1, v0
	s_mul_i32 s4, s8, s24
	s_mul_hi_u32 s5, s49, s24
	v_lshl_or_b32 v16, v60, 3, v8
	v_lshl_or_b32 v8, v11, 3, v8
	v_lshlrev_b32_e32 v12, 2, v12
	v_lshlrev_b32_e32 v7, 2, v60
	v_or_b32_e32 v68, 0xa000, v8
	v_or_b32_e32 v69, 0xb000, v8
	v_xor_b32_e32 v8, 0x440, v12
	v_cmp_eq_u32_e32 vcc, 0, v6
	s_add_i32 s61, s5, s4
	s_add_i32 s4, s46, s29
	s_mul_i32 s8, s8, s28
	v_xor_b32_e32 v14, v1, v7
	v_xor_b32_e32 v15, v63, v7
	v_cndmask_b32_e32 v6, v8, v12, vcc
	s_add_i32 s13, s4, s8
	s_mul_i32 s4, s33, s31
	s_mul_hi_u32 s5, s33, s30
	s_mov_b32 s58, 0x1000504
	v_lshlrev_b32_e32 v10, 8, v60
	v_lshlrev_b32_e32 v14, 1, v14
	;; [unrolled: 1-line block ×3, first 2 shown]
	v_lshl_or_b32 v4, v4, 10, v6
	s_add_i32 s4, s5, s4
	s_mul_i32 s5, s51, s30
	s_mov_b32 s59, 0x3020706
	v_or_b32_e32 v66, 0xa000, v16
	v_or_b32_e32 v67, 0xb000, v16
	;; [unrolled: 1-line block ×4, first 2 shown]
	v_xor_b32_e32 v6, 8, v4
	v_xor_b32_e32 v10, 24, v4
	;; [unrolled: 1-line block ×4, first 2 shown]
	s_add_i32 s5, s4, s5
	s_lshl_b64 s[8:9], s[12:13], 2
	v_xor_b32_e32 v8, 16, v4
	v_xor_b32_e32 v12, 32, v4
	;; [unrolled: 1-line block ×3, first 2 shown]
	v_add_u32_e32 v6, 0x80, v6
	v_add_u32_e32 v10, 0x80, v10
	;; [unrolled: 1-line block ×4, first 2 shown]
	s_mul_i32 s4, s33, s30
	s_add_u32 s6, s22, s8
	s_addc_u32 s8, s23, s9
	s_lshl_b64 s[4:5], s[4:5], 2
	s_add_u32 s14, s6, s4
	s_movk_i32 s4, 0xf8
	s_addc_u32 s15, s8, s5
	s_ashr_i32 s41, s40, 31
	s_lshl_b32 s10, s27, 7
	s_movk_i32 s8, 0x100
	v_mov_b32_e32 v51, 0
	v_lshlrev_b32_e32 v50, 4, v60
	v_cmp_gt_u32_e32 vcc, s8, v0
	s_mov_b32 s57, 0
	s_mul_i32 s60, s49, s24
	s_movk_i32 s13, 0x1000
	s_movk_i32 s6, 0x4000
	v_add_u32_e32 v91, v57, v18
	v_mov_b32_e32 v96, 0x3fb8aa3b
	s_mov_b32 s63, 0
	v_mov_b32_e32 v98, v51
	v_mov_b32_e32 v97, v51
	;; [unrolled: 1-line block ×4, first 2 shown]
	s_waitcnt vmcnt(1)
	v_perm_b32 v37, v20, v28, s58
	s_waitcnt vmcnt(0)
	v_perm_b32 v38, v24, v32, s58
	v_perm_b32 v20, v20, v28, s59
	;; [unrolled: 1-line block ×15, first 2 shown]
	ds_write2st64_b32 v4, v37, v38 offset0:32 offset1:64
	ds_write2st64_b32 v6, v20, v24 offset0:32 offset1:64
	;; [unrolled: 1-line block ×8, first 2 shown]
	v_lshlrev_b32_e32 v4, 8, v11
	v_or_b32_e32 v72, v4, v14
	v_or_b32_e32 v73, v4, v15
	;; [unrolled: 1-line block ×3, first 2 shown]
	v_lshlrev_b32_e32 v4, 3, v4
	v_lshrrev_b32_e32 v10, 5, v58
	v_and_or_b32 v10, v4, s4, v10
	v_lshlrev_b32_e32 v8, 11, v56
	v_lshlrev_b32_e32 v10, 4, v10
	v_and_b32_e32 v4, 0x78, v4
	v_and_b32_e32 v6, 0x1000, v8
	v_xor_b32_e32 v11, v10, v4
	v_lshrrev_b32_e32 v12, 1, v0
	v_or_b32_e32 v11, v11, v6
	v_and_b32_e32 v14, 8, v12
	v_xor_b32_e32 v74, v11, v14
	v_or_b32_e32 v11, 32, v10
	v_xor_b32_e32 v11, v11, v4
	v_or_b32_e32 v11, v11, v6
	v_xor_b32_e32 v76, v11, v14
	v_or_b32_e32 v11, 64, v10
	v_xor_b32_e32 v11, v11, v4
	v_or_b32_e32 v10, 0x60, v10
	s_lshl_b64 s[4:5], s[40:41], 8
	v_or_b32_e32 v11, v11, v6
	v_xor_b32_e32 v4, v10, v4
	s_waitcnt lgkmcnt(0)
	s_add_u32 s4, s38, s4
	v_lshlrev_b32_e32 v10, 1, v60
	v_xor_b32_e32 v78, v11, v14
	v_lshrrev_b32_e32 v19, 4, v0
	s_addc_u32 s5, s39, s5
	v_or_b32_e32 v11, 1, v10
	v_mov_b32_e32 v23, 0x4000
	v_mov_b32_e32 v24, 0x2000
	v_xor_b32_e32 v20, v19, v10
	v_xor_b32_e32 v21, v11, v19
	v_lshl_add_u64 v[10:11], s[4:5], 0, v[50:51]
	v_lshlrev_b32_e32 v50, 8, v19
	v_cndmask_b32_e32 v23, v23, v24, vcc
	v_lshlrev_b32_e32 v24, 3, v56
	v_and_b32_e32 v12, 24, v12
	v_lshl_or_b32 v82, v20, 3, v50
	v_and_b32_e32 v20, 8, v0
	v_xor_b32_e32 v25, v24, v12
	v_or_b32_e32 v26, 0x440, v25
	v_cmp_eq_u32_e32 vcc, 0, v20
	v_and_b32_e32 v19, 7, v0
	v_lshlrev_b32_e32 v15, 7, v59
	v_cndmask_b32_e32 v20, v26, v25, vcc
	v_lshl_or_b32 v83, v21, 3, v50
	v_lshlrev_b32_e32 v21, 3, v19
	v_lshlrev_b32_e32 v19, 7, v19
	;; [unrolled: 1-line block ×3, first 2 shown]
	v_or_b32_e32 v20, v20, v8
	v_or_b32_e32 v7, v15, v7
	v_xad_u32 v84, v20, v21, v19
	v_and_or_b32 v15, v22, 60, v15
	v_mov_b32_e32 v20, 0xb000
	v_lshl_or_b32 v85, v15, 1, v20
	v_or_b32_e32 v15, 32, v12
	v_xor_b32_e32 v15, v24, v15
	v_or_b32_e32 v20, 0x440, v15
	v_cndmask_b32_e32 v15, v20, v15, vcc
	v_or_b32_e32 v15, v15, v8
	v_xad_u32 v86, v15, v21, v19
	v_or_b32_e32 v15, 64, v12
	v_xor_b32_e32 v15, v24, v15
	v_xor_b32_e32 v20, 0x440, v15
	v_cndmask_b32_e32 v15, v20, v15, vcc
	v_or_b32_e32 v12, 0x60, v12
	v_or_b32_e32 v15, v15, v8
	v_xor_b32_e32 v12, v24, v12
	v_xad_u32 v87, v15, v21, v19
	v_xor_b32_e32 v15, 0x440, v12
	v_cndmask_b32_e32 v12, v15, v12, vcc
	v_lshlrev_b32_e32 v7, 1, v7
	v_or_b32_e32 v4, v4, v6
	v_or_b32_e32 v6, s40, v60
	;; [unrolled: 1-line block ×5, first 2 shown]
	v_xor_b32_e32 v79, v4, v14
	v_or_b32_e32 v80, 0xb000, v7
	v_or_b32_e32 v81, 0xb080, v7
	v_lshlrev_b32_e32 v4, 7, v1
	v_ashrrev_i32_e32 v7, 31, v6
	v_lshlrev_b32_e32 v14, 1, v3
	v_add_lshl_u32 v3, v3, s27, 1
	v_or_b32_e32 v16, 0x100, v2
	v_xad_u32 v88, v8, v21, v19
	v_cndmask_b32_e64 v89, v14, v2, s[0:1]
	v_cndmask_b32_e64 v90, v3, v16, s[0:1]
	v_lshl_add_u64 v[52:53], v[6:7], 1, s[20:21]
	v_lshl_add_u64 v[54:55], v[10:11], 0, v[50:51]
	s_mov_b32 s41, 0x7060302
	v_lshlrev_b32_e32 v50, 1, v4
	v_add_u32_e32 v92, v23, v84
	v_add_u32_e32 v93, v23, v86
	;; [unrolled: 1-line block ×4, first 2 shown]
	v_mov_b32_e32 v2, v51
	v_mov_b32_e32 v3, v51
	;; [unrolled: 1-line block ×12, first 2 shown]
	s_barrier
.LBB382_6:                              ; =>This Inner Loop Header: Depth=1
	s_add_i32 s62, s63, 1
	s_cmp_lt_i32 s62, s50
	s_mov_b64 s[8:9], 0
	s_cselect_b64 s[42:43], -1, 0
	s_cmp_ge_i32 s62, s50
	s_mov_b64 s[4:5], 0
	s_cbranch_scc1 .LBB382_8
; %bb.7:                                ;   in Loop: Header=BB382_6 Depth=1
	s_add_i32 s0, s57, 64
	s_add_u32 s0, s2, s0
	s_addc_u32 s1, s3, 0
	s_lshl_b64 s[0:1], s[0:1], 8
	s_add_u32 s4, s18, s0
	s_addc_u32 s5, s19, s1
.LBB382_8:                              ;   in Loop: Header=BB382_6 Depth=1
	v_cndmask_b32_e64 v18, 0, 1, s[42:43]
	v_cmp_ne_u32_e64 s[0:1], 1, v18
	s_andn2_b64 vcc, exec, s[42:43]
	s_cbranch_vccnz .LBB382_10
; %bb.9:                                ;   in Loop: Header=BB382_6 Depth=1
	s_add_i32 s8, s57, 64
	s_add_u32 s8, s60, s8
	s_addc_u32 s9, s61, 0
	s_mul_i32 s11, s8, s44
	s_mul_hi_u32 s42, s8, s45
	s_add_i32 s11, s42, s11
	s_mul_i32 s9, s9, s45
	s_add_i32 s11, s11, s9
	s_mul_i32 s8, s8, s45
	s_add_u32 s8, s8, s54
	s_addc_u32 s9, s11, s52
	s_lshl_b64 s[8:9], s[8:9], 8
	s_add_u32 s8, s16, s8
	s_addc_u32 s9, s17, s9
.LBB382_10:                             ;   in Loop: Header=BB382_6 Depth=1
	v_perm_b32 v19, v98, v4, s41
	v_perm_b32 v18, v3, v2, s41
	;; [unrolled: 1-line block ×4, first 2 shown]
	ds_write_b64 v66, v[18:19]
	ds_write_b64 v67, v[20:21]
	ds_write_b64 v70, v[18:19]
	ds_write_b64 v71, v[20:21]
	v_perm_b32 v19, v100, v12, s41
	v_perm_b32 v18, v11, v10, s41
	;; [unrolled: 1-line block ×4, first 2 shown]
	ds_write_b64 v68, v[18:19]
	ds_write_b64 v69, v[20:21]
	;; [unrolled: 1-line block ×4, first 2 shown]
	s_waitcnt lgkmcnt(0)
	s_barrier
	ds_read_b64 v[22:23], v74 offset:24576
	ds_read2_b64 v[18:21], v75 offset1:16
	ds_read_b64 v[26:27], v77 offset:3072
	ds_read_b64 v[28:29], v75 offset:3072
	;; [unrolled: 1-line block ×3, first 2 shown]
	s_waitcnt lgkmcnt(3)
	v_mfma_f32_16x16x16_bf16 a[0:3], v[22:23], v[18:19], 0
	s_add_i32 s11, s57, 63
	s_mul_i32 s42, s11, s37
	s_mul_hi_u32 s43, s11, s36
	v_mfma_f32_16x16x16_bf16 a[4:7], v[22:23], v[20:21], 0
	ds_read2st64_b64 v[18:21], v75 offset0:2 offset1:4
	ds_read2st64_b64 v[22:25], v77 offset0:2 offset1:4
	s_add_i32 s43, s43, s42
	s_waitcnt lgkmcnt(1)
	v_mfma_f32_16x16x16_bf16 a[0:3], v[30:31], v[18:19], a[0:3]
	s_mul_i32 s42, s11, s36
	s_lshl_b64 s[42:43], s[42:43], 2
	s_add_u32 s42, s14, s42
	s_waitcnt lgkmcnt(0)
	v_mfma_f32_16x16x16_bf16 a[4:7], v[30:31], v[22:23], a[4:7]
	ds_read_b64 v[18:19], v78 offset:24576
	ds_read_b64 v[22:23], v79 offset:24576
	s_addc_u32 s43, s15, s43
	s_and_b64 vcc, exec, s[0:1]
	s_waitcnt lgkmcnt(1)
	v_mfma_f32_16x16x16_bf16 a[0:3], v[18:19], v[20:21], a[0:3]
	v_mov_b32_e32 v103, 0
	v_mov_b32_e32 v102, 0
	;; [unrolled: 1-line block ×3, first 2 shown]
	v_mfma_f32_16x16x16_bf16 a[4:7], v[18:19], v[24:25], a[4:7]
	v_mov_b32_e32 v18, 0
	v_mov_b32_e32 v19, 0
	;; [unrolled: 1-line block ×3, first 2 shown]
	s_waitcnt lgkmcnt(0)
	v_mfma_f32_16x16x16_bf16 a[0:3], v[22:23], v[28:29], a[0:3]
	v_mov_b32_e32 v21, 0
	v_mov_b32_e32 v24, 0
	;; [unrolled: 1-line block ×3, first 2 shown]
	v_mfma_f32_16x16x16_bf16 a[4:7], v[22:23], v[26:27], a[4:7]
	v_mov_b32_e32 v22, 0
	v_mov_b32_e32 v23, 0
	;; [unrolled: 1-line block ×10, first 2 shown]
	s_cbranch_vccnz .LBB382_12
; %bb.11:                               ;   in Loop: Header=BB382_6 Depth=1
	s_and_b32 s5, s5, 0xffff
	buffer_load_dwordx4 v[30:33], v13, s[4:7], 0 offen
	buffer_load_dwordx4 v[26:29], v13, s[4:7], s56 offen
	buffer_load_dwordx4 v[22:25], v17, s[4:7], 0 offen
	buffer_load_dwordx4 v[18:21], v17, s[4:7], s56 offen
	v_mov_b32_e32 v102, v64
	v_mov_b32_e32 v101, v65
.LBB382_12:                             ;   in Loop: Header=BB382_6 Depth=1
	ds_read_b64 v[38:39], v74 offset:32768
	ds_read2_b64 v[34:37], v80 offset1:16
	ds_read_b64 v[42:43], v76 offset:32768
	ds_read_b64 v[44:45], v78 offset:32768
	ds_read_b64 v[46:47], v79 offset:32768
	v_add_u32_e32 v48, s57, v91
	s_waitcnt lgkmcnt(3)
	v_mfma_f32_16x16x16_bf16 a[0:3], v[38:39], v[34:35], a[0:3]
	v_mul_lo_u32 v49, v48, s37
	v_mfma_f32_16x16x16_bf16 a[4:7], v[38:39], v[36:37], a[4:7]
	ds_read2st64_b64 v[34:37], v80 offset0:2 offset1:4
	ds_read2st64_b64 v[38:41], v81 offset0:2 offset1:4
	s_waitcnt lgkmcnt(1)
	v_mfma_f32_16x16x16_bf16 a[0:3], v[42:43], v[34:35], a[0:3]
	v_ashrrev_i32_e32 v34, 31, v48
	v_mul_lo_u32 v104, v34, s36
	v_mad_u64_u32 v[34:35], s[4:5], v48, s36, 0
	v_mfma_f32_16x16x16_bf16 a[0:3], v[44:45], v[36:37], a[0:3]
	v_add_u32_e32 v36, 1, v48
	v_ashrrev_i32_e32 v37, 31, v36
	v_add3_u32 v35, v35, v49, v104
	s_waitcnt lgkmcnt(0)
	v_mfma_f32_16x16x16_bf16 a[4:7], v[42:43], v[38:39], a[4:7]
	v_mul_lo_u32 v38, v37, s36
	v_mul_lo_u32 v39, v36, s37
	v_mad_u64_u32 v[36:37], s[4:5], v36, s36, 0
	v_add3_u32 v37, v37, v39, v38
	v_add_u32_e32 v38, 2, v48
	v_ashrrev_i32_e32 v39, 31, v38
	v_mul_lo_u32 v42, v39, s36
	v_mul_lo_u32 v43, v38, s37
	v_mad_u64_u32 v[38:39], s[4:5], v38, s36, 0
	v_add3_u32 v39, v39, v43, v42
	v_add_u32_e32 v42, 3, v48
	v_ashrrev_i32_e32 v43, 31, v42
	v_mul_lo_u32 v48, v43, s36
	v_mul_lo_u32 v49, v42, s37
	v_mad_u64_u32 v[42:43], s[4:5], v42, s36, 0
	s_add_u32 s4, s2, s57
	s_addc_u32 s5, s3, 0
	s_lshl_b64 s[4:5], s[4:5], 8
	v_lshl_add_u64 v[34:35], v[34:35], 2, s[14:15]
	v_lshl_add_u64 v[36:37], v[36:37], 2, s[14:15]
	v_add3_u32 v43, v43, v49, v48
	v_lshl_add_u64 v[48:49], v[52:53], 0, s[4:5]
	v_lshl_add_u64 v[38:39], v[38:39], 2, s[14:15]
	;; [unrolled: 1-line block ×3, first 2 shown]
	global_load_dword v104, v[34:35], off
	global_load_ushort v105, v[48:49], off offset:256
	global_load_ushort v106, v[48:49], off
	global_load_ushort v107, v[48:49], off offset:768
	global_load_ushort v108, v[48:49], off offset:512
	v_lshl_add_u64 v[34:35], v[42:43], 2, s[14:15]
	global_load_dword v109, v[36:37], off
	global_load_dword v110, v[38:39], off
	;; [unrolled: 1-line block ×3, first 2 shown]
	ds_read_b64 v[34:35], v80 offset:3072
	ds_read_b64 v[36:37], v81 offset:3072
	global_load_ushort v112, v[48:49], off offset:800
	global_load_ushort v113, v[48:49], off offset:544
	global_load_ushort v114, v[48:49], off offset:288
	s_nop 0
	global_load_ushort v48, v[48:49], off offset:32
	s_load_dword s4, s[42:43], 0x0
	v_mfma_f32_16x16x16_bf16 a[4:7], v[44:45], v[40:41], a[4:7]
	s_and_b64 vcc, exec, s[0:1]
	v_mov_b32_e32 v49, 0
	s_waitcnt vmcnt(11) lgkmcnt(0)
	v_sub_f32_e32 v44, s4, v104
	v_mfma_f32_16x16x16_bf16 a[0:3], v[46:47], v[34:35], a[0:3]
	v_mul_f32_e32 v44, 0x3fb8aa3b, v44
	v_exp_f32_e32 v44, v44
	s_waitcnt vmcnt(6)
	v_sub_f32_e32 v45, s4, v109
	v_mfma_f32_16x16x16_bf16 a[4:7], v[46:47], v[36:37], a[4:7]
	s_waitcnt vmcnt(5)
	v_sub_f32_e32 v46, s4, v110
	s_waitcnt vmcnt(4)
	v_sub_f32_e32 v47, s4, v111
	v_mul_f32_e32 v45, 0x3fb8aa3b, v45
	v_mul_f32_e32 v46, 0x3fb8aa3b, v46
	;; [unrolled: 1-line block ×3, first 2 shown]
	v_exp_f32_e32 v45, v45
	v_exp_f32_e32 v46, v46
	v_exp_f32_e32 v47, v47
	v_accvgpr_read_b32 v39, a1
	v_accvgpr_read_b32 v35, a3
	;; [unrolled: 1-line block ×4, first 2 shown]
	v_lshlrev_b32_e32 v41, 16, v105
	v_lshlrev_b32_e32 v40, 16, v106
	v_lshlrev_b32_e32 v43, 16, v107
	v_lshlrev_b32_e32 v42, 16, v108
	v_pk_add_f32 v[38:39], v[40:41], v[38:39] neg_lo:[0,1] neg_hi:[0,1]
	v_pk_add_f32 v[34:35], v[42:43], v[34:35] neg_lo:[0,1] neg_hi:[0,1]
	v_pk_mul_f32 v[38:39], v[44:45], v[38:39]
	v_pk_mul_f32 v[34:35], v[46:47], v[34:35]
	v_accvgpr_read_b32 v41, a5
	v_perm_b32 v35, v35, v34, s41
	v_perm_b32 v34, v39, v38, s41
	s_waitcnt vmcnt(1)
	v_lshlrev_b32_e32 v39, 16, v114
	s_waitcnt vmcnt(0)
	v_lshlrev_b32_e32 v38, 16, v48
	v_accvgpr_read_b32 v40, a4
	v_accvgpr_read_b32 v37, a7
	;; [unrolled: 1-line block ×3, first 2 shown]
	v_pk_add_f32 v[38:39], v[38:39], v[40:41] neg_lo:[0,1] neg_hi:[0,1]
	v_lshlrev_b32_e32 v41, 16, v112
	v_lshlrev_b32_e32 v40, 16, v113
	v_pk_add_f32 v[36:37], v[40:41], v[36:37] neg_lo:[0,1] neg_hi:[0,1]
	v_pk_mul_f32 v[38:39], v[44:45], v[38:39]
	v_pk_mul_f32 v[36:37], v[46:47], v[36:37]
	v_mov_b32_e32 v104, 0
	v_perm_b32 v37, v37, v36, s41
	v_perm_b32 v36, v39, v38, s41
	ds_write2_b64 v67, v[34:35], v[36:37] offset1:16
	v_mov_b32_e32 v34, 0
	v_mov_b32_e32 v35, 0
	v_mov_b32_e32 v36, 0
	v_mov_b32_e32 v37, 0
	v_mov_b32_e32 v38, 0
	v_mov_b32_e32 v39, 0
	v_mov_b32_e32 v40, 0
	v_mov_b32_e32 v41, 0
	v_mov_b32_e32 v42, 0
	v_mov_b32_e32 v43, 0
	v_mov_b32_e32 v44, 0
	v_mov_b32_e32 v45, 0
	v_mov_b32_e32 v46, 0
	v_mov_b32_e32 v47, 0
	v_mov_b32_e32 v48, 0
	s_cbranch_vccnz .LBB382_14
; %bb.13:                               ;   in Loop: Header=BB382_6 Depth=1
	s_and_b32 s9, s9, 0xffff
	s_mov_b32 s11, s7
	buffer_load_dwordx4 v[46:49], v89, s[8:11], 0 offen
	buffer_load_dwordx4 v[38:41], v89, s[8:11], s56 offen
	;; [unrolled: 1-line block ×4, first 2 shown]
	v_mov_b32_e32 v103, v9
	v_mov_b32_e32 v104, v5
.LBB382_14:                             ;   in Loop: Header=BB382_6 Depth=1
	s_waitcnt lgkmcnt(0)
	s_barrier
	ds_read_b64 v[110:111], v92
	ds_read_b64 v[118:119], v85
	;; [unrolled: 1-line block ×5, first 2 shown]
	ds_read_b64 v[124:125], v86 offset:16384
	ds_read_b64 v[126:127], v84 offset:16384
	ds_read2_b64 v[106:109], v80 offset0:16 offset1:128
	s_waitcnt lgkmcnt(6)
	v_mfma_f32_16x16x16_bf16 a[0:3], v[110:111], v[118:119], 0
	ds_read_b64 v[128:129], v81 offset:3072
	ds_read_b64 v[130:131], v88 offset:16384
	s_add_i32 s5, s53, s63
	s_waitcnt lgkmcnt(2)
	v_mfma_f32_16x16x16_bf16 a[4:7], v[110:111], v[106:107], 0
	ds_read2st64_b64 v[110:113], v81 offset0:2 offset1:4
	s_mul_hi_i32 s9, s5, s25
	s_mul_i32 s5, s5, s25
	v_mfma_f32_16x16x16_bf16 a[0:3], v[114:115], v[108:109], a[0:3]
	s_add_u32 s8, s5, s33
	s_addc_u32 s9, s9, s51
	s_lshl_b64 s[8:9], s[8:9], 15
	s_waitcnt lgkmcnt(0)
	v_mfma_f32_16x16x16_bf16 a[4:7], v[114:115], v[110:111], a[4:7]
	ds_read2st64_b64 v[114:117], v80 offset0:4 offset1:6
	s_waitcnt lgkmcnt(0)
	v_mfma_f32_16x16x16_bf16 a[0:3], v[120:121], v[114:115], a[0:3]
	v_mfma_f32_16x16x16_bf16 a[8:11], v[120:121], v[112:113], a[4:7]
	;; [unrolled: 1-line block ×5, first 2 shown]
	ds_read2st64_b64 v[118:121], v83 offset1:8
	v_mfma_f32_16x16x16_bf16 a[12:15], v[126:127], v[106:107], 0
	ds_read_b64 v[126:127], v87 offset:16384
	v_mfma_f32_16x16x16_bf16 a[8:11], v[124:125], v[108:109], a[8:11]
	ds_read2st64_b64 v[106:109], v82 offset1:8
	s_waitcnt lgkmcnt(0)
	v_mov_b32_e32 v122, v106
	v_mfma_f32_16x16x16_bf16 a[12:15], v[124:125], v[110:111], a[12:15]
	v_lshl_add_u64 v[110:111], v[54:55], 0, s[8:9]
	v_add_co_u32_e32 v106, vcc, s13, v110
	v_mfma_f32_16x16x16_bf16 a[8:11], v[126:127], v[114:115], a[8:11]
	v_mov_b32_e32 v123, v107
	v_addc_co_u32_e32 v107, vcc, 0, v111, vcc
	v_mfma_f32_16x16x16_bf16 a[12:15], v[126:127], v[112:113], a[12:15]
	v_mov_b32_e32 v124, v118
	v_mov_b32_e32 v125, v119
	;; [unrolled: 1-line block ×3, first 2 shown]
	v_mfma_f32_16x16x16_bf16 a[8:11], v[130:131], v[116:117], a[8:11]
	v_mov_b32_e32 v119, v109
	s_and_b64 vcc, exec, s[0:1]
	global_store_dwordx4 v[110:111], v[122:125], off
	v_mfma_f32_16x16x16_bf16 a[12:15], v[130:131], v[128:129], a[12:15]
	global_store_dwordx4 v[106:107], v[118:121], off
	s_cbranch_vccnz .LBB382_16
; %bb.15:                               ;   in Loop: Header=BB382_6 Depth=1
	v_lshrrev_b32_e32 v105, 3, v103
	v_and_b32_e32 v105, 6, v105
	v_xor_b32_e32 v104, v105, v104
	v_lshlrev_b32_e32 v104, 2, v104
	v_and_b32_e32 v103, 8, v103
	v_xor_b32_e32 v106, 0x440, v104
	v_cmp_eq_u32_e32 vcc, 0, v103
	s_barrier
	s_nop 0
	v_cndmask_b32_e32 v103, v106, v104, vcc
	v_lshl_or_b32 v103, v105, 10, v103
	s_waitcnt vmcnt(3)
	v_perm_b32 v104, v46, v42, s58
	s_waitcnt vmcnt(2)
	v_perm_b32 v105, v38, v34, s58
	ds_write2st64_b32 v103, v104, v105 offset0:32 offset1:64
	v_xor_b32_e32 v104, 8, v103
	v_perm_b32 v42, v46, v42, s59
	v_perm_b32 v34, v38, v34, s59
	v_add_u32_e32 v38, 0x80, v104
	ds_write2st64_b32 v38, v42, v34 offset0:32 offset1:64
	v_xor_b32_e32 v34, 16, v103
	v_perm_b32 v38, v47, v43, s58
	v_perm_b32 v42, v39, v35, s58
	ds_write2st64_b32 v34, v38, v42 offset0:33 offset1:65
	v_xor_b32_e32 v34, 24, v103
	v_perm_b32 v38, v47, v43, s59
	v_perm_b32 v35, v39, v35, s59
	v_add_u32_e32 v34, 0x80, v34
	ds_write2st64_b32 v34, v38, v35 offset0:33 offset1:65
	v_xor_b32_e32 v34, 32, v103
	v_perm_b32 v35, v48, v44, s58
	;; [unrolled: 9-line block ×3, first 2 shown]
	v_perm_b32 v36, v41, v37, s58
	ds_write2st64_b32 v34, v35, v36 offset0:35 offset1:67
	v_xor_b32_e32 v34, 56, v103
	v_perm_b32 v35, v49, v45, s59
	v_perm_b32 v36, v41, v37, s59
	v_add_u32_e32 v34, 0x80, v34
	ds_write2st64_b32 v34, v35, v36 offset0:35 offset1:67
	ds_write_b64 v102, v[30:31] offset:24576
	v_xor_b32_e32 v30, 8, v102
	ds_write_b64 v30, v[32:33] offset:24576
	ds_write_b64 v102, v[26:27] offset:32768
	;; [unrolled: 1-line block ×4, first 2 shown]
	v_xor_b32_e32 v22, 8, v101
	ds_write_b64 v22, v[24:25] offset:24576
	ds_write_b64 v101, v[18:19] offset:32768
	;; [unrolled: 1-line block ×3, first 2 shown]
.LBB382_16:                             ;   in Loop: Header=BB382_6 Depth=1
	v_mul_f32_e32 v18, s4, v96
	s_waitcnt vmcnt(2)
	v_exp_f32_e32 v34, v18
	v_accvgpr_read_b32 v33, a7
	v_accvgpr_read_b32 v25, a3
	;; [unrolled: 1-line block ×16, first 2 shown]
	s_add_i32 s57, s57, 64
	v_fma_f32 v2, v2, v34, v30
	v_fma_f32 v3, v3, v34, v31
	v_fma_f32 v4, v4, v34, v32
	v_fmac_f32_e32 v33, v98, v34
	v_fma_f32 v10, v10, v34, v22
	v_fma_f32 v11, v11, v34, v23
	v_fma_f32 v12, v12, v34, v24
	v_fmac_f32_e32 v25, v100, v34
	;; [unrolled: 4-line block ×3, first 2 shown]
	v_fma_f32 v14, v14, v34, v18
	v_fma_f32 v15, v15, v34, v19
	;; [unrolled: 1-line block ×3, first 2 shown]
	s_cmp_eq_u32 s50, s62
	v_fmac_f32_e32 v21, v99, v34
	s_cbranch_scc1 .LBB382_18
; %bb.17:                               ;   in Loop: Header=BB382_6 Depth=1
	s_mov_b32 s63, s62
	v_mov_b32_e32 v98, v33
	v_mov_b32_e32 v97, v29
	;; [unrolled: 1-line block ×4, first 2 shown]
	s_branch .LBB382_6
.LBB382_18:
	v_mov_b32_e32 v5, v33
	v_mov_b32_e32 v9, v29
	;; [unrolled: 1-line block ×4, first 2 shown]
.LBB382_19:
	s_lshl_b32 s51, s50, 6
	s_sub_i32 s52, s24, s51
	s_cmp_gt_i32 s52, 0
	v_or_b32_e32 v34, s40, v60
	s_cbranch_scc1 .LBB382_21
; %bb.20:
	s_ashr_i32 s0, s33, 31
	s_add_u32 s8, s47, s33
	s_addc_u32 s9, s55, s0
	v_or_b32_e32 v18, s40, v60
	s_cbranch_execz .LBB382_22
	s_branch .LBB382_86
.LBB382_21:
                                        ; implicit-def: $sgpr8_sgpr9
                                        ; implicit-def: $vgpr18
.LBB382_22:
	s_ashr_i32 s13, s49, 31
	s_ashr_i32 s2, s51, 31
	s_cmpk_lg_i32 s27, 0x80
	s_cselect_b64 s[42:43], -1, 0
	s_and_b64 vcc, exec, s[42:43]
	s_cbranch_vccz .LBB382_24
; %bb.23:
	s_mul_i32 s1, s49, s24
	s_mul_hi_i32 s0, s49, s24
	s_add_u32 s1, s1, s51
	s_addc_u32 s0, s0, s2
	s_mul_i32 s3, s1, s44
	s_mul_hi_u32 s4, s1, s26
	s_add_i32 s3, s4, s3
	s_mul_i32 s0, s0, s26
	s_add_i32 s3, s3, s0
	s_mul_i32 s1, s1, s26
	s_ashr_i32 s0, s54, 31
	s_add_u32 s44, s1, s54
	s_addc_u32 s45, s3, s0
	s_cbranch_execz .LBB382_25
	s_branch .LBB382_26
.LBB382_24:
                                        ; implicit-def: $sgpr44_sgpr45
.LBB382_25:
	s_mul_hi_i32 s0, s49, s26
	s_mul_i32 s49, s49, s26
	s_ashr_i32 s1, s54, 31
	s_add_u32 s3, s49, s54
	s_addc_u32 s0, s0, s1
	s_mul_i32 s1, s3, s48
	s_mul_hi_u32 s4, s3, s24
	s_add_i32 s1, s4, s1
	s_mul_i32 s0, s0, s24
	s_add_i32 s1, s1, s0
	s_mul_i32 s3, s3, s24
	s_add_u32 s44, s3, s51
	s_addc_u32 s45, s1, s2
.LBB382_26:
	s_add_i32 s3, s53, s50
	s_ashr_i32 s26, s33, 31
	s_add_u32 s8, s47, s33
	s_addc_u32 s9, s55, s26
	s_mul_i32 s0, s8, s48
	s_mul_hi_u32 s1, s8, s24
	s_add_i32 s0, s1, s0
	s_mul_i32 s1, s9, s24
	s_add_i32 s1, s0, s1
	s_mul_i32 s0, s8, s24
	s_add_u32 s0, s0, s51
	v_lshlrev_b32_e32 v22, 5, v1
	v_lshlrev_b32_e32 v40, 2, v60
	s_addc_u32 s1, s1, s2
	s_mov_b32 s2, 0x7060302
	v_or_b32_e32 v25, v22, v40
	v_xor_b32_e32 v23, v1, v40
	v_perm_b32 v19, v5, v4, s2
	v_perm_b32 v18, v3, v2, s2
	;; [unrolled: 1-line block ×4, first 2 shown]
	v_lshlrev_b32_e32 v25, 1, v25
	s_lshl_b64 s[10:11], s[0:1], 8
	v_xor_b32_e32 v24, v63, v40
	ds_write2st64_b64 v25, v[18:19], v[20:21] offset0:80 offset1:88
	v_lshlrev_b32_e32 v23, 1, v23
	v_lshlrev_b32_e32 v25, 8, v60
	s_add_u32 s0, s18, s10
	v_or_b32_e32 v26, v23, v25
	v_lshlrev_b32_e32 v24, 1, v24
	s_addc_u32 s1, s19, s11
	ds_write_b64 v26, v[18:19]
	v_or_b32_e32 v18, v24, v25
	v_or_b32_e32 v25, 16, v60
	s_mul_hi_i32 s4, s3, s25
	s_mul_i32 s3, s3, s25
	ds_write_b64 v18, v[20:21]
	v_perm_b32 v19, v13, v12, s2
	v_perm_b32 v18, v11, v10, s2
	;; [unrolled: 1-line block ×4, first 2 shown]
	v_lshlrev_b32_e32 v37, 2, v25
	s_add_u32 s2, s3, s33
	v_or_b32_e32 v22, v22, v37
	s_addc_u32 s3, s4, s26
	v_lshlrev_b32_e32 v22, 1, v22
	s_ashr_i32 s41, s40, 31
	s_lshl_b64 s[2:3], s[2:3], 15
	ds_write2st64_b64 v22, v[18:19], v[20:21] offset0:80 offset1:88
	v_lshlrev_b32_e32 v22, 8, v25
	s_waitcnt lgkmcnt(0)
	s_add_u32 s4, s38, s2
	v_or_b32_e32 v23, v23, v22
	s_addc_u32 s5, s39, s3
	s_lshl_b64 s[2:3], s[40:41], 8
	ds_write_b64 v23, v[18:19]
	v_or_b32_e32 v18, v24, v22
	s_add_u32 s2, s4, s2
	ds_write_b64 v18, v[20:21]
	v_lshrrev_b32_e32 v18, 4, v0
	s_addc_u32 s3, s5, s3
	v_lshlrev_b32_e32 v19, 1, v60
	v_lshlrev_b32_e32 v26, 4, v60
	v_mov_b32_e32 v27, 0
	v_or_b32_e32 v20, 1, v19
	v_xor_b32_e32 v19, v18, v19
	v_lshl_add_u64 v[28:29], s[2:3], 0, v[26:27]
	v_lshlrev_b32_e32 v26, 8, v18
	v_xor_b32_e32 v22, v20, v18
	v_lshl_or_b32 v18, v19, 3, v26
	s_waitcnt lgkmcnt(0)
	s_barrier
	ds_read2st64_b64 v[18:21], v18 offset1:8
	v_lshl_or_b32 v22, v22, 3, v26
	ds_read2st64_b64 v[22:25], v22 offset1:8
	v_lshl_add_u64 v[30:31], v[28:29], 0, v[26:27]
	s_movk_i32 s2, 0x1000
	s_waitcnt lgkmcnt(1)
	v_mov_b32_e32 v26, v18
	v_add_co_u32_e32 v18, vcc, s2, v30
	s_cmp_lg_u32 s52, 64
	v_mov_b32_e32 v27, v19
	v_addc_co_u32_e32 v19, vcc, 0, v31, vcc
	s_cselect_b64 s[14:15], -1, 0
	v_lshl_or_b32 v35, v56, 3, v62
	s_waitcnt lgkmcnt(0)
	v_mov_b32_e32 v28, v22
	v_mov_b32_e32 v29, v23
	;; [unrolled: 1-line block ×4, first 2 shown]
	s_mov_b32 s4, 0
	v_or_b32_e32 v38, 32, v35
	v_and_b32_e32 v36, 56, v61
	s_and_b64 vcc, exec, s[14:15]
	global_store_dwordx4 v[30:31], v[26:29], off
	global_store_dwordx4 v[18:19], v[22:25], off
	s_cbranch_vccz .LBB382_32
; %bb.27:
	s_mov_b32 s6, s4
	s_mov_b32 s7, s4
	;; [unrolled: 1-line block ×3, first 2 shown]
	v_mov_b64_e32 v[24:25], s[6:7]
	v_mov_b64_e32 v[22:23], s[4:5]
	;; [unrolled: 1-line block ×3, first 2 shown]
	v_cmp_gt_i32_e32 vcc, s52, v35
	v_mov_b64_e32 v[20:21], v[24:25]
	s_and_saveexec_b64 s[2:3], vcc
	s_cbranch_execz .LBB382_29
; %bb.28:
	v_lshlrev_b32_e32 v18, 8, v35
	v_mov_b32_e32 v19, 0
	v_lshl_add_u64 v[20:21], s[0:1], 0, v[18:19]
	v_lshlrev_b32_e32 v18, 1, v36
	v_lshl_add_u64 v[26:27], v[20:21], 0, v[18:19]
	global_load_dwordx4 v[22:25], v[26:27], off
	global_load_dwordx4 v[18:21], v[26:27], off offset:128
.LBB382_29:
	s_or_b64 exec, exec, s[2:3]
	s_mov_b32 s6, s4
	s_mov_b32 s7, s4
	;; [unrolled: 1-line block ×3, first 2 shown]
	v_mov_b64_e32 v[32:33], s[6:7]
	v_mov_b64_e32 v[30:31], s[4:5]
	;; [unrolled: 1-line block ×3, first 2 shown]
	v_cmp_gt_i32_e32 vcc, s52, v38
	v_lshlrev_b32_e32 v39, 7, v38
	v_mov_b64_e32 v[28:29], v[32:33]
	s_and_saveexec_b64 s[2:3], vcc
	s_cbranch_execz .LBB382_31
; %bb.30:
	v_lshlrev_b32_e32 v26, 1, v39
	v_mov_b32_e32 v27, 0
	v_lshl_add_u64 v[28:29], s[0:1], 0, v[26:27]
	v_lshlrev_b32_e32 v26, 1, v36
	v_lshl_add_u64 v[42:43], v[28:29], 0, v[26:27]
	global_load_dwordx4 v[30:33], v[42:43], off
	global_load_dwordx4 v[26:29], v[42:43], off offset:128
.LBB382_31:
	s_or_b64 exec, exec, s[2:3]
	v_lshrrev_b32_e32 v41, 3, v36
	v_lshlrev_b32_e32 v42, 3, v35
	v_or_b32_e32 v41, v42, v41
	v_lshlrev_b32_e32 v41, 4, v41
	v_and_b32_e32 v42, 0x78, v42
	v_xor_b32_e32 v41, v41, v42
	s_branch .LBB382_34
.LBB382_32:
                                        ; implicit-def: $vgpr41
                                        ; implicit-def: $vgpr39
                                        ; implicit-def: $vgpr22_vgpr23_vgpr24_vgpr25
                                        ; implicit-def: $vgpr18_vgpr19_vgpr20_vgpr21
                                        ; implicit-def: $vgpr30_vgpr31_vgpr32_vgpr33
                                        ; implicit-def: $vgpr26_vgpr27_vgpr28_vgpr29
	s_cbranch_execz .LBB382_34
; %bb.33:
	s_waitcnt vmcnt(0)
	v_lshlrev_b32_e32 v18, 1, v36
	v_lshl_or_b32 v39, v35, 8, v18
	s_and_b32 s1, s1, 0xffff
	s_mov_b32 s3, 0x20000
	s_movk_i32 s2, 0x4000
	v_lshl_or_b32 v41, v38, 8, v18
	s_movk_i32 s4, 0x80
	buffer_load_dwordx4 v[22:25], v39, s[0:3], 0 offen
	buffer_load_dwordx4 v[18:21], v39, s[0:3], s4 offen
	;; [unrolled: 1-line block ×4, first 2 shown]
	v_lshrrev_b32_e32 v39, 3, v36
	v_lshlrev_b32_e32 v41, 3, v35
	v_or_b32_e32 v39, v41, v39
	v_lshlrev_b32_e32 v39, 4, v39
	v_and_b32_e32 v41, 0x78, v41
	v_xor_b32_e32 v41, v39, v41
	v_lshlrev_b32_e32 v39, 7, v38
.LBB382_34:
	s_lshl_b64 s[0:1], s[44:45], 8
	s_add_u32 s4, s16, s0
	s_movk_i32 s0, 0x1000
	v_and_or_b32 v38, v39, s0, v41
	s_waitcnt vmcnt(1)
	ds_write_b64 v41, v[22:23] offset:24576
	v_xor_b32_e32 v22, 8, v41
	ds_write_b64 v22, v[24:25] offset:24576
	s_waitcnt vmcnt(0)
	ds_write_b64 v41, v[18:19] offset:32768
	ds_write_b64 v22, v[20:21] offset:32768
	;; [unrolled: 1-line block ×3, first 2 shown]
	v_xor_b32_e32 v18, 8, v38
	ds_write_b64 v18, v[32:33] offset:24576
	ds_write_b64 v38, v[26:27] offset:32768
	;; [unrolled: 1-line block ×3, first 2 shown]
	v_or_b32_e32 v18, v57, v60
	v_lshlrev_b32_e32 v18, 3, v18
	v_lshrrev_b32_e32 v19, 5, v58
	s_movk_i32 s7, 0xf8
	v_and_or_b32 v19, v18, s7, v19
	v_lshlrev_b32_e32 v23, 4, v19
	v_lshlrev_b32_e32 v41, 11, v56
	v_and_b32_e32 v24, 0x78, v18
	v_or_b32_e32 v26, 32, v23
	v_and_b32_e32 v22, 0x1000, v41
	v_lshrrev_b32_e32 v19, 1, v58
	v_xor_b32_e32 v26, v26, v24
	v_xor_b32_e32 v18, v23, v24
	v_and_b32_e32 v25, 8, v19
	v_or_b32_e32 v26, v26, v22
	v_or_b32_e32 v18, v18, v22
	v_xor_b32_e32 v45, v26, v25
	v_or_b32_e32 v26, 64, v23
	v_xor_b32_e32 v44, v18, v25
	v_xor_b32_e32 v26, v26, v24
	s_waitcnt lgkmcnt(0)
	s_barrier
	v_or_b32_e32 v28, v26, v22
	ds_read_b64 v[26:27], v44 offset:24576
	v_lshl_or_b32 v38, v59, 7, v40
	v_lshlrev_b32_e32 v42, 1, v38
	v_add_u32_e32 v18, 0xa000, v42
	ds_read2_b64 v[18:21], v18 offset1:16
	v_or_b32_e32 v23, 0x60, v23
	v_xor_b32_e32 v23, v23, v24
	s_waitcnt lgkmcnt(0)
	v_mfma_f32_16x16x16_bf16 a[0:3], v[26:27], v[18:19], 0
	v_or_b32_e32 v18, 64, v38
	v_or_b32_e32 v22, v23, v22
	v_lshlrev_b32_e32 v43, 1, v18
	v_xor_b32_e32 v46, v28, v25
	v_xor_b32_e32 v47, v22, v25
	ds_read_b64 v[28:29], v45 offset:24576
	ds_read_b64 v[30:31], v46 offset:24576
	;; [unrolled: 1-line block ×3, first 2 shown]
	v_mfma_f32_16x16x16_bf16 a[4:7], v[26:27], v[20:21], 0
	ds_read2st64_b64 v[18:21], v43 offset0:82 offset1:84
	ds_read2st64_b64 v[22:25], v42 offset0:82 offset1:84
	s_addc_u32 s5, s17, s1
	s_add_i32 s2, s24, -1
	s_add_i32 s0, s46, s29
	s_mul_i32 s13, s13, s28
	s_add_i32 s13, s0, s13
	s_mul_i32 s0, s33, s31
	s_mul_hi_u32 s1, s33, s30
	s_ashr_i32 s3, s2, 31
	s_mul_i32 s6, s2, s37
	s_mul_hi_u32 s7, s2, s36
	s_add_i32 s0, s1, s0
	s_mul_i32 s1, s26, s30
	s_add_i32 s6, s7, s6
	s_mul_i32 s3, s3, s36
	s_waitcnt lgkmcnt(1)
	v_mfma_f32_16x16x16_bf16 a[4:7], v[28:29], v[18:19], a[4:7]
	s_add_i32 s1, s0, s1
	s_add_i32 s3, s6, s3
	s_lshl_b64 s[6:7], s[12:13], 2
	s_waitcnt lgkmcnt(0)
	v_mfma_f32_16x16x16_bf16 a[0:3], v[28:29], v[22:23], a[0:3]
	s_mul_i32 s0, s33, s30
	s_add_u32 s6, s22, s6
	s_addc_u32 s7, s23, s7
	s_lshl_b64 s[0:1], s[0:1], 2
	s_mul_i32 s2, s2, s36
	s_add_u32 s12, s6, s0
	ds_read_b64 v[18:19], v42 offset:44032
	v_mfma_f32_16x16x16_bf16 a[4:7], v[30:31], v[20:21], a[4:7]
	ds_read_b64 v[20:21], v43 offset:44032
	s_addc_u32 s13, s7, s1
	s_lshl_b64 s[0:1], s[2:3], 2
	v_mfma_f32_16x16x16_bf16 a[0:3], v[30:31], v[24:25], a[0:3]
	s_add_u32 s0, s12, s0
	s_addc_u32 s1, s13, s1
	s_load_dword s16, s[0:1], 0x0
	s_waitcnt lgkmcnt(0)
	v_mfma_f32_16x16x16_bf16 a[0:3], v[32:33], v[18:19], a[0:3]
	s_and_b64 vcc, exec, s[42:43]
	v_mfma_f32_16x16x16_bf16 a[4:7], v[32:33], v[20:21], a[4:7]
	s_cbranch_vccz .LBB382_45
; %bb.35:
	v_lshlrev_b32_e32 v38, 1, v35
	s_and_b64 vcc, exec, s[14:15]
	s_cbranch_vccz .LBB382_46
; %bb.36:
	v_cmp_gt_i32_e32 vcc, s52, v38
	v_mov_b32_e32 v22, 0
	v_mov_b32_e32 v18, 0
	;; [unrolled: 1-line block ×5, first 2 shown]
	s_and_saveexec_b64 s[0:1], vcc
	s_cbranch_execz .LBB382_38
; %bb.37:
	v_mad_i64_i32 v[18:19], s[2:3], s27, v38, 0
	v_lshl_add_u64 v[18:19], v[18:19], 1, s[4:5]
	v_lshlrev_b32_e32 v20, 1, v36
	v_mov_b32_e32 v21, 0
	v_lshl_add_u64 v[18:19], v[18:19], 0, v[20:21]
	global_load_dwordx4 v[18:21], v[18:19], off
.LBB382_38:
	s_or_b64 exec, exec, s[0:1]
	v_or_b32_e32 v39, 1, v38
	v_cmp_gt_i32_e64 s[0:1], s52, v39
	v_mov_b32_e32 v23, 0
	v_mov_b32_e32 v24, 0
	;; [unrolled: 1-line block ×3, first 2 shown]
	s_and_saveexec_b64 s[2:3], s[0:1]
	s_cbranch_execz .LBB382_40
; %bb.39:
	v_mad_i64_i32 v[22:23], s[6:7], s27, v39, 0
	v_lshl_add_u64 v[22:23], v[22:23], 1, s[4:5]
	v_lshlrev_b32_e32 v24, 1, v36
	v_mov_b32_e32 v25, 0
	v_lshl_add_u64 v[22:23], v[22:23], 0, v[24:25]
	global_load_dwordx4 v[22:25], v[22:23], off
.LBB382_40:
	s_or_b64 exec, exec, s[2:3]
	v_mov_b32_e32 v33, 0
	v_mov_b32_e32 v26, 0
	;; [unrolled: 1-line block ×5, first 2 shown]
	s_and_saveexec_b64 s[2:3], vcc
	s_cbranch_execz .LBB382_42
; %bb.41:
	v_mad_i64_i32 v[26:27], s[6:7], s27, v38, 0
	v_lshl_add_u64 v[26:27], v[26:27], 1, s[4:5]
	v_lshlrev_b32_e32 v28, 1, v36
	v_mov_b32_e32 v29, 0
	v_lshl_add_u64 v[26:27], v[26:27], 0, v[28:29]
	global_load_dwordx4 v[26:29], v[26:27], off offset:128
.LBB382_42:
	s_or_b64 exec, exec, s[2:3]
	v_mov_b32_e32 v32, 0
	v_mov_b32_e32 v31, 0
	;; [unrolled: 1-line block ×3, first 2 shown]
	s_and_saveexec_b64 s[2:3], s[0:1]
	s_cbranch_execz .LBB382_44
; %bb.43:
	v_mad_i64_i32 v[30:31], s[0:1], s27, v39, 0
	v_lshl_add_u64 v[30:31], v[30:31], 1, s[4:5]
	v_lshlrev_b32_e32 v32, 1, v36
	v_mov_b32_e32 v33, 0
	v_lshl_add_u64 v[30:31], v[30:31], 0, v[32:33]
	global_load_dwordx4 v[30:33], v[30:31], off offset:128
.LBB382_44:
	s_or_b64 exec, exec, s[2:3]
	s_branch .LBB382_48
.LBB382_45:
                                        ; implicit-def: $vgpr21
                                        ; implicit-def: $vgpr25
                                        ; implicit-def: $vgpr29
                                        ; implicit-def: $vgpr33
	v_lshrrev_b32_e32 v48, 2, v58
	s_branch .LBB382_49
.LBB382_46:
                                        ; implicit-def: $vgpr21
                                        ; implicit-def: $vgpr25
                                        ; implicit-def: $vgpr29
                                        ; implicit-def: $vgpr33
	s_cbranch_execz .LBB382_48
; %bb.47:
	s_waitcnt vmcnt(0)
	v_mad_u64_u32 v[18:19], s[0:1], v38, s27, v[36:37]
	v_lshlrev_b32_e32 v38, 1, v18
	s_lshl_b32 s2, s27, 7
	s_and_b32 s1, s5, 0xffff
	s_mov_b32 s3, 0x20000
	s_mov_b32 s0, s4
	v_add_lshl_u32 v39, v18, s27, 1
	s_movk_i32 s6, 0x80
	buffer_load_dwordx4 v[18:21], v38, s[0:3], 0 offen
	buffer_load_dwordx4 v[26:29], v38, s[0:3], s6 offen
	;; [unrolled: 1-line block ×4, first 2 shown]
.LBB382_48:
	v_lshrrev_b32_e32 v48, 2, v58
	s_cbranch_execnz .LBB382_61
.LBB382_49:
	s_and_b64 vcc, exec, s[14:15]
	s_cbranch_vccz .LBB382_59
; %bb.50:
	s_waitcnt vmcnt(0)
	v_lshlrev_b32_e32 v23, 1, v35
	v_cmp_gt_i32_e32 vcc, s52, v23
	v_mov_b32_e32 v22, 0
	v_lshlrev_b32_e32 v30, 9, v35
	v_mov_b32_e32 v18, 0
	v_mov_b32_e32 v19, 0
	;; [unrolled: 1-line block ×4, first 2 shown]
	s_and_saveexec_b64 s[0:1], vcc
	s_cbranch_execz .LBB382_52
; %bb.51:
	v_mov_b32_e32 v31, 0
	v_lshl_add_u64 v[18:19], s[4:5], 0, v[30:31]
	v_lshlrev_b32_e32 v20, 1, v36
	v_mov_b32_e32 v21, v31
	v_lshl_add_u64 v[18:19], v[18:19], 0, v[20:21]
	global_load_dwordx4 v[18:21], v[18:19], off
.LBB382_52:
	s_or_b64 exec, exec, s[0:1]
	v_or_b32_e32 v23, 1, v23
	v_cmp_gt_i32_e64 s[0:1], s52, v23
	v_lshlrev_b32_e32 v38, 8, v23
	v_mov_b32_e32 v23, 0
	v_mov_b32_e32 v24, 0
	;; [unrolled: 1-line block ×3, first 2 shown]
	s_and_saveexec_b64 s[2:3], s[0:1]
	s_cbranch_execz .LBB382_54
; %bb.53:
	v_mov_b32_e32 v39, 0
	v_lshl_add_u64 v[22:23], s[4:5], 0, v[38:39]
	v_lshlrev_b32_e32 v24, 1, v36
	v_mov_b32_e32 v25, v39
	v_lshl_add_u64 v[22:23], v[22:23], 0, v[24:25]
	global_load_dwordx4 v[22:25], v[22:23], off
.LBB382_54:
	s_or_b64 exec, exec, s[2:3]
	v_mov_b32_e32 v33, 0
	v_mov_b32_e32 v26, 0
	;; [unrolled: 1-line block ×5, first 2 shown]
	s_and_saveexec_b64 s[2:3], vcc
	s_cbranch_execz .LBB382_56
; %bb.55:
	v_mov_b32_e32 v31, 0
	v_lshl_add_u64 v[26:27], s[4:5], 0, v[30:31]
	v_lshlrev_b32_e32 v30, 1, v36
	v_lshl_add_u64 v[26:27], v[26:27], 0, v[30:31]
	global_load_dwordx4 v[26:29], v[26:27], off offset:128
.LBB382_56:
	s_or_b64 exec, exec, s[2:3]
	v_mov_b32_e32 v32, 0
	v_mov_b32_e32 v31, 0
	;; [unrolled: 1-line block ×3, first 2 shown]
	s_and_saveexec_b64 s[2:3], s[0:1]
	s_cbranch_execz .LBB382_58
; %bb.57:
	v_mov_b32_e32 v39, 0
	v_lshl_add_u64 v[30:31], s[4:5], 0, v[38:39]
	v_lshlrev_b32_e32 v38, 1, v36
	v_lshl_add_u64 v[30:31], v[30:31], 0, v[38:39]
	global_load_dwordx4 v[30:33], v[30:31], off offset:128
.LBB382_58:
	s_or_b64 exec, exec, s[2:3]
	s_branch .LBB382_61
.LBB382_59:
                                        ; implicit-def: $vgpr21
                                        ; implicit-def: $vgpr25
                                        ; implicit-def: $vgpr29
                                        ; implicit-def: $vgpr33
	s_cbranch_execz .LBB382_61
; %bb.60:
	s_waitcnt vmcnt(0)
	v_lshlrev_b32_e32 v18, 1, v36
	v_lshl_or_b32 v36, v35, 9, v18
	s_and_b32 s5, s5, 0xffff
	s_mov_b32 s7, 0x20000
	s_movk_i32 s6, 0x4000
	s_movk_i32 s0, 0x80
	buffer_load_dwordx4 v[18:21], v36, s[4:7], 0 offen
	buffer_load_dwordx4 v[22:25], v36, s[4:7], 0 offen offset:256
	buffer_load_dwordx4 v[26:29], v36, s[4:7], s0 offen
	buffer_load_dwordx4 v[30:33], v36, s[4:7], s0 offen offset:256
.LBB382_61:
	ds_read_b64 v[38:39], v44 offset:32768
	v_add_u32_e32 v36, 0xb000, v42
	ds_read2_b64 v[50:53], v36 offset1:16
	ds_read_b64 v[54:55], v45 offset:32768
	ds_read_b64 v[58:59], v46 offset:32768
	;; [unrolled: 1-line block ×3, first 2 shown]
	v_and_b32_e32 v36, 6, v0
	v_xor_b32_e32 v35, v35, v36
	v_lshlrev_b32_e32 v35, 2, v35
	v_and_b32_e32 v49, 1, v0
	v_cmp_eq_u32_e32 vcc, 0, v49
	s_mov_b32 s0, 0x1000504
	s_waitcnt lgkmcnt(3)
	v_mfma_f32_16x16x16_bf16 a[0:3], v[38:39], v[50:51], a[0:3]
	s_mov_b32 s1, 0x3020706
	v_mfma_f32_16x16x16_bf16 a[4:7], v[38:39], v[52:53], a[4:7]
	ds_read2st64_b64 v[44:47], v42 offset0:90 offset1:92
	ds_read2st64_b64 v[50:53], v43 offset0:90 offset1:92
	s_waitcnt lgkmcnt(1)
	v_mfma_f32_16x16x16_bf16 a[0:3], v[54:55], v[44:45], a[0:3]
	ds_read_b64 v[38:39], v42 offset:48128
	ds_read_b64 v[44:45], v43 offset:48128
	s_waitcnt lgkmcnt(2)
	v_mfma_f32_16x16x16_bf16 a[4:7], v[54:55], v[50:51], a[4:7]
	v_mfma_f32_16x16x16_bf16 a[0:3], v[58:59], v[46:47], a[0:3]
	v_xor_b32_e32 v46, 0x440, v35
	v_cndmask_b32_e32 v35, v46, v35, vcc
	v_lshl_or_b32 v35, v36, 10, v35
	v_mfma_f32_16x16x16_bf16 a[8:11], v[58:59], v[52:53], a[4:7]
	s_waitcnt vmcnt(0)
	v_perm_b32 v36, v18, v22, s0
	v_perm_b32 v18, v18, v22, s1
	;; [unrolled: 1-line block ×3, first 2 shown]
	s_waitcnt lgkmcnt(1)
	v_mfma_f32_16x16x16_bf16 a[4:7], v[60:61], v[38:39], a[0:3]
	v_perm_b32 v38, v26, v30, s0
	ds_write2st64_b32 v35, v36, v38 offset0:32 offset1:64
	v_xor_b32_e32 v36, 8, v35
	v_add_u32_e32 v26, 0x80, v36
	ds_write2st64_b32 v26, v18, v22 offset0:32 offset1:64
	v_xor_b32_e32 v18, 16, v35
	v_perm_b32 v22, v19, v23, s0
	v_perm_b32 v26, v27, v31, s0
	ds_write2st64_b32 v18, v22, v26 offset0:33 offset1:65
	v_xor_b32_e32 v18, 24, v35
	v_perm_b32 v19, v19, v23, s1
	v_perm_b32 v22, v27, v31, s1
	v_add_u32_e32 v18, 0x80, v18
	ds_write2st64_b32 v18, v19, v22 offset0:33 offset1:65
	v_xor_b32_e32 v18, 32, v35
	v_perm_b32 v19, v20, v24, s0
	v_perm_b32 v22, v28, v32, s0
	ds_write2st64_b32 v18, v19, v22 offset0:34 offset1:66
	v_xor_b32_e32 v18, 40, v35
	s_waitcnt lgkmcnt(5)
	v_mfma_f32_16x16x16_bf16 a[0:3], v[60:61], v[44:45], a[8:11]
	v_perm_b32 v19, v20, v24, s1
	v_perm_b32 v20, v28, v32, s1
	v_add_u32_e32 v18, 0x80, v18
	ds_write2st64_b32 v18, v19, v20 offset0:34 offset1:66
	v_xor_b32_e32 v18, 48, v35
	v_perm_b32 v19, v21, v25, s0
	v_perm_b32 v20, v29, v33, s0
	ds_write2st64_b32 v18, v19, v20 offset0:35 offset1:67
	v_xor_b32_e32 v18, 56, v35
	v_and_or_b32 v38, v48, 12, v57
	v_perm_b32 v19, v21, v25, s1
	v_perm_b32 v20, v29, v33, s1
	v_add_u32_e32 v18, 0x80, v18
	v_cmp_gt_i32_e32 vcc, s52, v38
	v_mov_b32_e32 v32, 0
	v_mov_b32_e32 v36, 0
	ds_write2st64_b32 v18, v19, v20 offset0:35 offset1:67
	s_and_saveexec_b64 s[0:1], vcc
	s_cbranch_execz .LBB382_63
; %bb.62:
	v_add_u32_e32 v18, s51, v38
	v_ashrrev_i32_e32 v19, 31, v18
	v_mul_lo_u32 v20, v19, s36
	v_mul_lo_u32 v21, v18, s37
	v_mad_u64_u32 v[18:19], s[2:3], v18, s36, 0
	v_add3_u32 v19, v19, v21, v20
	v_lshl_add_u64 v[18:19], v[18:19], 2, s[12:13]
	global_load_dword v18, v[18:19], off
	s_waitcnt vmcnt(0)
	v_sub_f32_e32 v18, s16, v18
	v_mul_f32_e32 v18, 0x3fb8aa3b, v18
	v_exp_f32_e32 v36, v18
.LBB382_63:
	s_or_b64 exec, exec, s[0:1]
	v_or_b32_e32 v26, 1, v38
	v_cmp_gt_i32_e64 s[0:1], s52, v26
	s_and_saveexec_b64 s[2:3], s[0:1]
	s_cbranch_execz .LBB382_65
; %bb.64:
	v_add_u32_e32 v18, s51, v26
	v_ashrrev_i32_e32 v19, 31, v18
	v_mul_lo_u32 v20, v19, s36
	v_mul_lo_u32 v21, v18, s37
	v_mad_u64_u32 v[18:19], s[4:5], v18, s36, 0
	v_add3_u32 v19, v19, v21, v20
	v_lshl_add_u64 v[18:19], v[18:19], 2, s[12:13]
	global_load_dword v18, v[18:19], off
	s_waitcnt vmcnt(0)
	v_sub_f32_e32 v18, s16, v18
	v_mul_f32_e32 v18, 0x3fb8aa3b, v18
	v_exp_f32_e32 v32, v18
.LBB382_65:
	s_or_b64 exec, exec, s[2:3]
	v_or_b32_e32 v27, 2, v38
	v_cmp_gt_i32_e64 s[2:3], s52, v27
	v_mov_b32_e32 v33, 0
	v_mov_b32_e32 v39, 0
	s_and_saveexec_b64 s[4:5], s[2:3]
	s_cbranch_execz .LBB382_67
; %bb.66:
	v_add_u32_e32 v18, s51, v27
	v_ashrrev_i32_e32 v19, 31, v18
	v_mul_lo_u32 v20, v19, s36
	v_mul_lo_u32 v21, v18, s37
	v_mad_u64_u32 v[18:19], s[6:7], v18, s36, 0
	v_add3_u32 v19, v19, v21, v20
	v_lshl_add_u64 v[18:19], v[18:19], 2, s[12:13]
	global_load_dword v18, v[18:19], off
	s_waitcnt vmcnt(0)
	v_sub_f32_e32 v18, s16, v18
	v_mul_f32_e32 v18, 0x3fb8aa3b, v18
	v_exp_f32_e32 v39, v18
.LBB382_67:
	s_or_b64 exec, exec, s[4:5]
	v_or_b32_e32 v44, 3, v38
	v_cmp_gt_i32_e64 s[4:5], s52, v44
	s_and_saveexec_b64 s[6:7], s[4:5]
	s_cbranch_execz .LBB382_69
; %bb.68:
	v_add_u32_e32 v18, s51, v44
	v_ashrrev_i32_e32 v19, 31, v18
	v_mul_lo_u32 v20, v19, s36
	v_mul_lo_u32 v21, v18, s37
	v_mad_u64_u32 v[18:19], s[14:15], v18, s36, 0
	v_add3_u32 v19, v19, v21, v20
	v_lshl_add_u64 v[18:19], v[18:19], 2, s[12:13]
	global_load_dword v18, v[18:19], off
	s_waitcnt vmcnt(0)
	v_sub_f32_e32 v18, s16, v18
	v_mul_f32_e32 v18, 0x3fb8aa3b, v18
	v_exp_f32_e32 v33, v18
.LBB382_69:
	s_or_b64 exec, exec, s[6:7]
	s_add_u32 s6, s20, s10
	v_accvgpr_read_b32 v21, a7
	s_addc_u32 s7, s21, s11
	v_ashrrev_i32_e32 v35, 31, v34
	v_accvgpr_read_b32 v20, a6
	v_accvgpr_read_b32 v19, a5
	v_accvgpr_read_b32 v18, a4
	v_lshl_add_u64 v[22:23], v[34:35], 1, s[6:7]
	v_mov_b32_e32 v29, 0
	v_lshlrev_b32_e32 v24, 8, v38
	v_mov_b32_e32 v25, 0
	s_and_saveexec_b64 s[6:7], vcc
	s_cbranch_execz .LBB382_71
; %bb.70:
	v_mov_b32_e32 v25, 0
	v_lshl_add_u64 v[30:31], v[22:23], 0, v[24:25]
	global_load_ushort v25, v[30:31], off
	s_waitcnt vmcnt(0)
	v_lshlrev_b32_e32 v25, 16, v25
	v_sub_f32_e32 v18, v25, v18
	v_mul_f32_e32 v18, v36, v18
	v_lshrrev_b32_e32 v25, 16, v18
.LBB382_71:
	s_or_b64 exec, exec, s[6:7]
	v_lshlrev_b32_e32 v28, 8, v26
	s_and_saveexec_b64 s[6:7], s[0:1]
	s_cbranch_execz .LBB382_73
; %bb.72:
	v_mov_b32_e32 v29, 0
	v_lshl_add_u64 v[30:31], v[22:23], 0, v[28:29]
	global_load_ushort v18, v[30:31], off
	s_waitcnt vmcnt(0)
	v_lshlrev_b32_e32 v18, 16, v18
	v_sub_f32_e32 v18, v18, v19
	v_mul_f32_e32 v18, v32, v18
	v_lshrrev_b32_e32 v29, 16, v18
.LBB382_73:
	s_or_b64 exec, exec, s[6:7]
	v_mov_b32_e32 v45, 0
	v_lshlrev_b32_e32 v30, 8, v27
	v_mov_b32_e32 v31, 0
	s_and_saveexec_b64 s[6:7], s[2:3]
	s_cbranch_execz .LBB382_75
; %bb.74:
	v_mov_b32_e32 v31, 0
	v_lshl_add_u64 v[18:19], v[22:23], 0, v[30:31]
	global_load_ushort v18, v[18:19], off
	s_waitcnt vmcnt(0)
	v_lshlrev_b32_e32 v18, 16, v18
	v_sub_f32_e32 v18, v18, v20
	v_mul_f32_e32 v18, v39, v18
	v_lshrrev_b32_e32 v31, 16, v18
.LBB382_75:
	s_or_b64 exec, exec, s[6:7]
	v_lshlrev_b32_e32 v26, 8, v44
	s_and_saveexec_b64 s[6:7], s[4:5]
	s_cbranch_execz .LBB382_77
; %bb.76:
	v_mov_b32_e32 v27, 0
	v_lshl_add_u64 v[18:19], v[22:23], 0, v[26:27]
	global_load_ushort v18, v[18:19], off
	s_waitcnt vmcnt(0)
	v_lshlrev_b32_e32 v18, 16, v18
	v_sub_f32_e32 v18, v18, v21
	v_mul_f32_e32 v18, v33, v18
	v_lshrrev_b32_e32 v45, 16, v18
.LBB382_77:
	s_or_b64 exec, exec, s[6:7]
	v_lshlrev_b32_e32 v35, 5, v38
	s_mov_b32 s6, 0x5040100
	v_perm_b32 v44, v29, v25, s6
	v_or_b32_e32 v25, v35, v40
	v_accvgpr_read_b32 v21, a3
	v_perm_b32 v45, v45, v31, s6
	v_lshlrev_b32_e32 v25, 1, v25
	v_accvgpr_read_b32 v20, a2
	v_accvgpr_read_b32 v19, a1
	;; [unrolled: 1-line block ×3, first 2 shown]
	ds_write_b64 v25, v[44:45] offset:45056
	v_mov_b32_e32 v29, 0
	v_mov_b32_e32 v25, 0
	s_and_saveexec_b64 s[6:7], vcc
	s_cbranch_execz .LBB382_79
; %bb.78:
	v_mov_b32_e32 v25, 0
	v_lshl_add_u64 v[24:25], v[22:23], 0, v[24:25]
	global_load_ushort v24, v[24:25], off offset:32
	s_waitcnt vmcnt(0)
	v_lshlrev_b32_e32 v24, 16, v24
	v_sub_f32_e32 v18, v24, v18
	v_mul_f32_e32 v18, v36, v18
	v_lshrrev_b32_e32 v25, 16, v18
.LBB382_79:
	s_or_b64 exec, exec, s[6:7]
	s_and_saveexec_b64 s[6:7], s[0:1]
	s_cbranch_execz .LBB382_81
; %bb.80:
	v_mov_b32_e32 v29, 0
	v_lshl_add_u64 v[28:29], v[22:23], 0, v[28:29]
	global_load_ushort v18, v[28:29], off offset:32
	s_waitcnt vmcnt(0)
	v_lshlrev_b32_e32 v18, 16, v18
	v_sub_f32_e32 v18, v18, v19
	v_mul_f32_e32 v18, v32, v18
	v_lshrrev_b32_e32 v29, 16, v18
.LBB382_81:
	s_or_b64 exec, exec, s[6:7]
	v_mov_b32_e32 v24, 0
	v_mov_b32_e32 v28, 0
	s_and_saveexec_b64 s[0:1], s[2:3]
	s_cbranch_execz .LBB382_83
; %bb.82:
	v_mov_b32_e32 v31, 0
	v_lshl_add_u64 v[18:19], v[22:23], 0, v[30:31]
	global_load_ushort v18, v[18:19], off offset:32
	s_waitcnt vmcnt(0)
	v_lshlrev_b32_e32 v18, 16, v18
	v_sub_f32_e32 v18, v18, v20
	v_mul_f32_e32 v18, v39, v18
	v_lshrrev_b32_e32 v28, 16, v18
.LBB382_83:
	s_or_b64 exec, exec, s[0:1]
	v_or_b32_e32 v19, 0xb000, v42
	v_or_b32_e32 v18, 0xb000, v43
	s_and_saveexec_b64 s[0:1], s[4:5]
	s_cbranch_execz .LBB382_85
; %bb.84:
	v_mov_b32_e32 v27, 0
	v_lshl_add_u64 v[22:23], v[22:23], 0, v[26:27]
	global_load_ushort v20, v[22:23], off offset:32
	s_waitcnt vmcnt(0)
	v_lshlrev_b32_e32 v20, 16, v20
	v_sub_f32_e32 v20, v20, v21
	v_mul_f32_e32 v20, v33, v20
	v_lshrrev_b32_e32 v24, 16, v20
.LBB382_85:
	s_or_b64 exec, exec, s[0:1]
	s_mov_b32 s0, 0x5040100
	v_or_b32_e32 v22, v35, v37
	v_perm_b32 v21, v24, v28, s0
	v_perm_b32 v20, v29, v25, s0
	v_lshlrev_b32_e32 v22, 1, v22
	s_movk_i32 s0, 0x100
	ds_write_b64 v22, v[20:21] offset:45056
	v_and_b32_e32 v20, 7, v0
	v_and_b32_e32 v21, 8, v0
	v_cmp_gt_u32_e32 vcc, s0, v0
	v_lshrrev_b32_e32 v0, 1, v0
	v_lshlrev_b32_e32 v35, 3, v20
	v_lshlrev_b32_e32 v36, 7, v20
	v_mov_b32_e32 v20, 0x4000
	v_mov_b32_e32 v22, 0x2000
	v_lshlrev_b32_e32 v38, 3, v56
	v_and_b32_e32 v0, 24, v0
	v_cndmask_b32_e32 v37, v20, v22, vcc
	v_xor_b32_e32 v20, v38, v0
	v_or_b32_e32 v26, 32, v0
	v_or_b32_e32 v22, 0x440, v20
	v_cmp_eq_u32_e32 vcc, 0, v21
	v_xor_b32_e32 v26, v38, v26
	v_or_b32_e32 v27, 0x440, v26
	v_cndmask_b32_e32 v20, v22, v20, vcc
	v_or_b32_e32 v20, v20, v41
	v_cndmask_b32_e32 v26, v27, v26, vcc
	v_xad_u32 v40, v20, v35, v36
	v_or_b32_e32 v26, v26, v41
	v_add_u32_e32 v20, v37, v40
	v_xad_u32 v42, v26, v35, v36
	s_waitcnt lgkmcnt(0)
	s_barrier
	ds_read_b64 v[24:25], v20
	ds_read2_b64 v[20:23], v19 offset1:16
	v_add_u32_e32 v26, v37, v42
	ds_read_b64 v[32:33], v26
	s_waitcnt lgkmcnt(1)
	v_mfma_f32_16x16x16_bf16 a[0:3], v[24:25], v[20:21], 0
	ds_read2st64_b64 v[28:31], v18 offset0:2 offset1:4
	v_mfma_f32_16x16x16_bf16 a[4:7], v[24:25], v[22:23], 0
	ds_read2st64_b64 v[24:27], v19 offset0:2 offset1:4
	s_waitcnt lgkmcnt(0)
	v_mfma_f32_16x16x16_bf16 a[0:3], v[32:33], v[24:25], a[0:3]
	v_mfma_f32_16x16x16_bf16 a[4:7], v[32:33], v[28:29], a[4:7]
	v_or_b32_e32 v32, 64, v0
	v_xor_b32_e32 v32, v38, v32
	v_xor_b32_e32 v33, 0x440, v32
	v_cndmask_b32_e32 v32, v33, v32, vcc
	v_or_b32_e32 v32, v32, v41
	v_or_b32_e32 v0, 0x60, v0
	v_xad_u32 v43, v32, v35, v36
	v_xor_b32_e32 v0, v38, v0
	v_add_u32_e32 v32, v37, v43
	v_xor_b32_e32 v38, 0x440, v0
	ds_read_b64 v[32:33], v32
	v_cndmask_b32_e32 v0, v38, v0, vcc
	v_or_b32_e32 v0, v0, v41
	v_xad_u32 v0, v0, v35, v36
	v_add_u32_e32 v35, v37, v0
	ds_read_b64 v[36:37], v35
	s_waitcnt lgkmcnt(1)
	v_mfma_f32_16x16x16_bf16 a[0:3], v[32:33], v[26:27], a[0:3]
	v_mov_b32_e32 v35, 0x3fb8aa3b
	v_mfma_f32_16x16x16_bf16 a[4:7], v[32:33], v[30:31], a[4:7]
	ds_read_b64 v[32:33], v19 offset:3072
	ds_read_b64 v[38:39], v18 offset:3072
	;; [unrolled: 1-line block ×3, first 2 shown]
	s_waitcnt lgkmcnt(2)
	v_mfma_f32_16x16x16_bf16 a[0:3], v[36:37], v[32:33], a[0:3]
	s_waitcnt lgkmcnt(1)
	v_mfma_f32_16x16x16_bf16 a[4:7], v[36:37], v[38:39], a[4:7]
	ds_read_b64 v[36:37], v42 offset:16384
	s_waitcnt lgkmcnt(1)
	v_mfma_f32_16x16x16_bf16 a[8:11], v[18:19], v[20:21], 0
	v_mul_f32_e32 v20, s16, v35
	v_exp_f32_e32 v35, v20
	v_accvgpr_read_b32 v21, a3
	v_mfma_f32_16x16x16_bf16 a[12:15], v[18:19], v[22:23], 0
	ds_read_b64 v[22:23], v43 offset:16384
	v_accvgpr_read_b32 v18, a0
	v_fma_f32 v18, v2, v35, v18
	v_accvgpr_read_b32 v2, a1
	v_fma_f32 v19, v3, v35, v2
	;; [unrolled: 2-line block ×3, first 2 shown]
	ds_read_b64 v[2:3], v0 offset:16384
	s_waitcnt lgkmcnt(2)
	v_mfma_f32_16x16x16_bf16 a[8:11], v[36:37], v[24:25], a[8:11]
	v_accvgpr_read_b32 v0, a4
	v_fmac_f32_e32 v21, v5, v35
	v_mfma_f32_16x16x16_bf16 a[12:15], v[36:37], v[28:29], a[12:15]
	v_accvgpr_read_b32 v29, a7
	v_fmac_f32_e32 v29, v13, v35
	s_waitcnt lgkmcnt(1)
	v_mfma_f32_16x16x16_bf16 a[0:3], v[22:23], v[26:27], a[8:11]
	v_fma_f32 v26, v10, v35, v0
	v_accvgpr_read_b32 v0, a5
	v_fma_f32 v27, v11, v35, v0
	v_mfma_f32_16x16x16_bf16 a[8:11], v[22:23], v[30:31], a[12:15]
	v_accvgpr_read_b32 v0, a6
	v_fma_f32 v28, v12, v35, v0
	s_waitcnt lgkmcnt(0)
	v_mfma_f32_16x16x16_bf16 a[0:3], v[2:3], v[32:33], a[0:3]
	v_mfma_f32_16x16x16_bf16 a[4:7], v[2:3], v[38:39], a[8:11]
	s_nop 5
	v_accvgpr_read_b32 v0, a0
	v_fma_f32 v22, v6, v35, v0
	v_accvgpr_read_b32 v0, a1
	v_fma_f32 v23, v7, v35, v0
	;; [unrolled: 2-line block ×4, first 2 shown]
	v_accvgpr_read_b32 v0, a5
	v_accvgpr_read_b32 v25, a3
	v_fma_f32 v31, v15, v35, v0
	v_accvgpr_read_b32 v0, a6
	v_accvgpr_read_b32 v33, a7
	v_fmac_f32_e32 v25, v9, v35
	v_fma_f32 v32, v16, v35, v0
	v_fmac_f32_e32 v33, v17, v35
	v_mov_b64_e32 v[2:3], v[18:19]
	v_mov_b64_e32 v[4:5], v[20:21]
	v_mov_b64_e32 v[6:7], v[22:23]
	v_mov_b64_e32 v[8:9], v[24:25]
	v_mov_b64_e32 v[10:11], v[26:27]
	v_mov_b64_e32 v[12:13], v[28:29]
	v_mov_b64_e32 v[14:15], v[30:31]
	v_mov_b64_e32 v[16:17], v[32:33]
	v_mov_b32_e32 v18, v34
.LBB382_86:
	s_lshl_b64 s[0:1], s[8:9], 15
	s_waitcnt lgkmcnt(0)
	s_add_u32 s0, s34, s0
	v_lshlrev_b32_e32 v18, 7, v18
	s_addc_u32 s1, s35, s1
	v_ashrrev_i32_e32 v19, 31, v18
	v_lshl_add_u64 v[20:21], v[18:19], 1, s[0:1]
	v_lshlrev_b32_e32 v0, 1, v1
	v_mov_b32_e32 v1, 0
	s_mov_b32 s2, 0x7060302
	v_lshl_add_u64 v[20:21], v[20:21], 0, v[0:1]
	v_perm_b32 v5, v5, v4, s2
	v_perm_b32 v4, v3, v2, s2
	;; [unrolled: 1-line block ×4, first 2 shown]
	global_store_dwordx2 v[20:21], v[2:3], off offset:128
	v_or_b32_e32 v2, 0x800, v18
	v_ashrrev_i32_e32 v3, 31, v2
	v_lshl_add_u64 v[2:3], v[2:3], 1, s[0:1]
	v_lshl_add_u64 v[0:1], v[2:3], 0, v[0:1]
	v_perm_b32 v3, v13, v12, s2
	v_perm_b32 v2, v11, v10, s2
	global_store_dwordx2 v[0:1], v[2:3], off
	v_perm_b32 v3, v17, v16, s2
	v_perm_b32 v2, v15, v14, s2
	global_store_dwordx2 v[20:21], v[4:5], off
	global_store_dwordx2 v[0:1], v[2:3], off offset:128
	s_endpgm
	.section	.rodata,"a",@progbits
	.p2align	6, 0x0
	.amdhsa_kernel _ZN12_GLOBAL__N_139chunk_gated_delta_rule_fwd_h_hip_kernelILi32ELb0ELb1ELb0ELb0ELb0ELb0ELb0ELb1EEEvPK12hip_bfloat16S3_S3_PKfS5_PKvPS1_S8_PvPKiSB_iiiiilll
		.amdhsa_group_segment_fixed_size 49152
		.amdhsa_private_segment_fixed_size 0
		.amdhsa_kernarg_size 136
		.amdhsa_user_sgpr_count 2
		.amdhsa_user_sgpr_dispatch_ptr 0
		.amdhsa_user_sgpr_queue_ptr 0
		.amdhsa_user_sgpr_kernarg_segment_ptr 1
		.amdhsa_user_sgpr_dispatch_id 0
		.amdhsa_user_sgpr_kernarg_preload_length 0
		.amdhsa_user_sgpr_kernarg_preload_offset 0
		.amdhsa_user_sgpr_private_segment_size 0
		.amdhsa_uses_dynamic_stack 0
		.amdhsa_enable_private_segment 0
		.amdhsa_system_sgpr_workgroup_id_x 1
		.amdhsa_system_sgpr_workgroup_id_y 1
		.amdhsa_system_sgpr_workgroup_id_z 0
		.amdhsa_system_sgpr_workgroup_info 0
		.amdhsa_system_vgpr_workitem_id 0
		.amdhsa_next_free_vgpr 148
		.amdhsa_next_free_sgpr 64
		.amdhsa_accum_offset 132
		.amdhsa_reserve_vcc 1
		.amdhsa_float_round_mode_32 0
		.amdhsa_float_round_mode_16_64 0
		.amdhsa_float_denorm_mode_32 3
		.amdhsa_float_denorm_mode_16_64 3
		.amdhsa_dx10_clamp 1
		.amdhsa_ieee_mode 1
		.amdhsa_fp16_overflow 0
		.amdhsa_tg_split 0
		.amdhsa_exception_fp_ieee_invalid_op 0
		.amdhsa_exception_fp_denorm_src 0
		.amdhsa_exception_fp_ieee_div_zero 0
		.amdhsa_exception_fp_ieee_overflow 0
		.amdhsa_exception_fp_ieee_underflow 0
		.amdhsa_exception_fp_ieee_inexact 0
		.amdhsa_exception_int_div_zero 0
	.end_amdhsa_kernel
	.section	.text._ZN12_GLOBAL__N_139chunk_gated_delta_rule_fwd_h_hip_kernelILi32ELb0ELb1ELb0ELb0ELb0ELb0ELb0ELb1EEEvPK12hip_bfloat16S3_S3_PKfS5_PKvPS1_S8_PvPKiSB_iiiiilll,"axG",@progbits,_ZN12_GLOBAL__N_139chunk_gated_delta_rule_fwd_h_hip_kernelILi32ELb0ELb1ELb0ELb0ELb0ELb0ELb0ELb1EEEvPK12hip_bfloat16S3_S3_PKfS5_PKvPS1_S8_PvPKiSB_iiiiilll,comdat
.Lfunc_end382:
	.size	_ZN12_GLOBAL__N_139chunk_gated_delta_rule_fwd_h_hip_kernelILi32ELb0ELb1ELb0ELb0ELb0ELb0ELb0ELb1EEEvPK12hip_bfloat16S3_S3_PKfS5_PKvPS1_S8_PvPKiSB_iiiiilll, .Lfunc_end382-_ZN12_GLOBAL__N_139chunk_gated_delta_rule_fwd_h_hip_kernelILi32ELb0ELb1ELb0ELb0ELb0ELb0ELb0ELb1EEEvPK12hip_bfloat16S3_S3_PKfS5_PKvPS1_S8_PvPKiSB_iiiiilll
                                        ; -- End function
	.section	.AMDGPU.csdata,"",@progbits
; Kernel info:
; codeLenInByte = 9524
; NumSgprs: 70
; NumVgprs: 132
; NumAgprs: 16
; TotalNumVgprs: 148
; ScratchSize: 0
; MemoryBound: 0
; FloatMode: 240
; IeeeMode: 1
; LDSByteSize: 49152 bytes/workgroup (compile time only)
; SGPRBlocks: 8
; VGPRBlocks: 18
; NumSGPRsForWavesPerEU: 70
; NumVGPRsForWavesPerEU: 148
; AccumOffset: 132
; Occupancy: 1
; WaveLimiterHint : 1
; COMPUTE_PGM_RSRC2:SCRATCH_EN: 0
; COMPUTE_PGM_RSRC2:USER_SGPR: 2
; COMPUTE_PGM_RSRC2:TRAP_HANDLER: 0
; COMPUTE_PGM_RSRC2:TGID_X_EN: 1
; COMPUTE_PGM_RSRC2:TGID_Y_EN: 1
; COMPUTE_PGM_RSRC2:TGID_Z_EN: 0
; COMPUTE_PGM_RSRC2:TIDIG_COMP_CNT: 0
; COMPUTE_PGM_RSRC3_GFX90A:ACCUM_OFFSET: 32
; COMPUTE_PGM_RSRC3_GFX90A:TG_SPLIT: 0
	.section	.text._ZN12_GLOBAL__N_139chunk_gated_delta_rule_fwd_h_hip_kernelILi32ELb0ELb0ELb1ELb0ELb0ELb0ELb0ELb1EEEvPK12hip_bfloat16S3_S3_PKfS5_PKvPS1_S8_PvPKiSB_iiiiilll,"axG",@progbits,_ZN12_GLOBAL__N_139chunk_gated_delta_rule_fwd_h_hip_kernelILi32ELb0ELb0ELb1ELb0ELb0ELb0ELb0ELb1EEEvPK12hip_bfloat16S3_S3_PKfS5_PKvPS1_S8_PvPKiSB_iiiiilll,comdat
	.globl	_ZN12_GLOBAL__N_139chunk_gated_delta_rule_fwd_h_hip_kernelILi32ELb0ELb0ELb1ELb0ELb0ELb0ELb0ELb1EEEvPK12hip_bfloat16S3_S3_PKfS5_PKvPS1_S8_PvPKiSB_iiiiilll ; -- Begin function _ZN12_GLOBAL__N_139chunk_gated_delta_rule_fwd_h_hip_kernelILi32ELb0ELb0ELb1ELb0ELb0ELb0ELb0ELb1EEEvPK12hip_bfloat16S3_S3_PKfS5_PKvPS1_S8_PvPKiSB_iiiiilll
	.p2align	8
	.type	_ZN12_GLOBAL__N_139chunk_gated_delta_rule_fwd_h_hip_kernelILi32ELb0ELb0ELb1ELb0ELb0ELb0ELb0ELb1EEEvPK12hip_bfloat16S3_S3_PKfS5_PKvPS1_S8_PvPKiSB_iiiiilll,@function
_ZN12_GLOBAL__N_139chunk_gated_delta_rule_fwd_h_hip_kernelILi32ELb0ELb0ELb1ELb0ELb0ELb0ELb0ELb1EEEvPK12hip_bfloat16S3_S3_PKfS5_PKvPS1_S8_PvPKiSB_iiiiilll: ; @_ZN12_GLOBAL__N_139chunk_gated_delta_rule_fwd_h_hip_kernelILi32ELb0ELb0ELb1ELb0ELb0ELb0ELb0ELb1EEEvPK12hip_bfloat16S3_S3_PKfS5_PKvPS1_S8_PvPKiSB_iiiiilll
; %bb.0:
	s_load_dwordx4 s[16:19], s[0:1], 0x5c
	s_load_dwordx4 s[12:15], s[0:1], 0x30
	s_abs_i32 s22, s3
	s_ashr_i32 s21, s3, 31
	s_load_dwordx8 s[4:11], s[0:1], 0x0
	s_waitcnt lgkmcnt(0)
	s_abs_i32 s20, s17
	v_cvt_f32_u32_e32 v1, s20
	s_sub_i32 s24, 0, s20
	s_ashr_i32 s23, s17, 31
	s_xor_b32 s21, s21, s23
	v_rcp_iflag_f32_e32 v1, v1
	v_lshrrev_b32_e32 v44, 6, v0
	v_bfe_u32 v45, v0, 4, 2
	v_lshlrev_b32_e32 v2, 2, v45
	v_mul_f32_e32 v1, 0x4f7ffffe, v1
	v_cvt_u32_f32_e32 v1, v1
	v_and_b32_e32 v43, 63, v0
	v_and_b32_e32 v42, 15, v0
	v_mov_b32_e32 v3, 0
	v_readfirstlane_b32 s25, v1
	s_mul_i32 s24, s24, s25
	s_mul_hi_u32 s24, s25, s24
	s_add_i32 s25, s25, s24
	s_mul_hi_u32 s24, s22, s25
	s_mul_i32 s25, s24, s20
	s_sub_i32 s22, s22, s25
	s_add_i32 s26, s24, 1
	s_sub_i32 s25, s22, s20
	s_cmp_ge_u32 s22, s20
	s_cselect_b32 s24, s26, s24
	s_cselect_b32 s22, s25, s22
	s_add_i32 s25, s24, 1
	s_cmp_ge_u32 s22, s20
	s_cselect_b32 s22, s25, s24
	s_xor_b32 s22, s22, s21
	s_sub_i32 s47, s22, s21
	s_abs_i32 s21, s18
	v_cvt_f32_u32_e32 v1, s21
	s_add_i32 s24, s16, 63
	s_mul_i32 s45, s47, s17
	s_sub_i32 s33, s3, s45
	v_rcp_iflag_f32_e32 v1, v1
	s_ashr_i32 s3, s24, 31
	s_ashr_i32 s46, s16, 31
	s_lshr_b32 s3, s3, 26
	v_mul_f32_e32 v1, 0x4f7ffffe, v1
	v_cvt_u32_f32_e32 v1, v1
	s_lshr_b32 s22, s46, 26
	s_add_i32 s24, s24, s3
	s_add_i32 s22, s16, s22
	s_ashr_i32 s49, s18, 31
	s_ashr_i32 s3, s24, 6
	;; [unrolled: 1-line block ×3, first 2 shown]
	s_xor_b32 s22, s23, s49
	s_sub_i32 s23, 0, s21
	v_readfirstlane_b32 s24, v1
	s_mul_i32 s23, s23, s24
	s_mul_hi_u32 s23, s24, s23
	s_add_i32 s24, s24, s23
	s_mul_hi_u32 s23, s20, s24
	s_mul_i32 s24, s23, s21
	s_sub_i32 s20, s20, s24
	s_add_i32 s24, s23, 1
	s_sub_i32 s25, s20, s21
	s_cmp_ge_u32 s20, s21
	s_cselect_b32 s23, s24, s23
	s_cselect_b32 s20, s25, s20
	s_add_i32 s24, s23, 1
	s_cmp_ge_u32 s20, s21
	s_cselect_b32 s20, s24, s23
	s_xor_b32 s20, s20, s22
	s_sub_i32 s24, s20, s22
	s_abs_i32 s25, s24
	v_cvt_f32_u32_e32 v1, s25
	s_load_dwordx2 s[34:35], s[0:1], 0x80
	s_load_dwordx4 s[20:23], s[0:1], 0x70
	s_xor_b32 s0, s33, s24
	s_sub_i32 s24, 0, s25
	v_rcp_iflag_f32_e32 v1, v1
	s_abs_i32 s1, s33
	s_ashr_i32 s0, s0, 31
	s_mul_i32 s50, s47, s3
	v_mul_f32_e32 v1, 0x4f7ffffe, v1
	v_cvt_u32_f32_e32 v1, v1
	s_mul_hi_i32 s51, s47, s17
	v_lshrrev_b32_e32 v47, 3, v43
	v_lshlrev_b32_e32 v46, 3, v0
	v_readfirstlane_b32 s26, v1
	s_mul_i32 s24, s24, s26
	s_mul_hi_u32 s24, s26, s24
	s_add_i32 s26, s26, s24
	s_mul_hi_u32 s24, s1, s26
	s_mul_i32 s26, s24, s25
	s_sub_i32 s1, s1, s26
	s_add_i32 s26, s24, 1
	s_sub_i32 s27, s1, s25
	s_cmp_ge_u32 s1, s25
	s_cselect_b32 s24, s26, s24
	s_cselect_b32 s1, s27, s1
	s_add_i32 s26, s24, 1
	s_cmp_ge_u32 s1, s25
	s_cselect_b32 s1, s26, s24
	s_xor_b32 s1, s1, s0
	v_lshlrev_b32_e32 v1, 4, v44
	s_sub_i32 s52, s1, s0
	v_or_b32_e32 v48, v2, v1
	s_lshl_b32 s36, s2, 5
	v_or_b32_e32 v49, 64, v48
	s_cmp_lt_i32 s16, 64
	s_waitcnt lgkmcnt(0)
	s_mul_i32 s21, s47, s21
	s_mul_hi_u32 s44, s47, s20
	s_mul_i32 s38, s47, s20
	v_mov_b32_e32 v64, 0
	v_mov_b32_e32 v62, 0
	v_mov_b32_e32 v63, 0
	v_mov_b32_e32 v4, 0
	v_mov_b32_e32 v67, 0
	v_mov_b32_e32 v65, 0
	v_mov_b32_e32 v66, 0
	v_mov_b32_e32 v6, 0
	v_mov_b32_e32 v72, 0
	v_mov_b32_e32 v70, 0
	v_mov_b32_e32 v71, 0
	v_mov_b32_e32 v5, 0
	v_mov_b32_e32 v75, 0
	v_mov_b32_e32 v73, 0
	v_mov_b32_e32 v74, 0
	s_cbranch_scc1 .LBB383_18
; %bb.1:
	s_ashr_i32 s28, s47, 31
	s_ashr_i32 s54, s33, 31
	s_add_u32 s0, s45, s33
	s_addc_u32 s1, s51, s54
	s_mul_i32 s1, s16, s1
	s_mul_hi_u32 s2, s16, s0
	s_add_i32 s3, s2, s1
	s_mul_i32 s2, s16, s0
	s_lshl_b64 s[0:1], s[2:3], 8
	v_and_b32_e32 v51, 56, v46
	s_add_u32 s24, s6, s0
	v_lshl_or_b32 v50, v44, 3, v47
	v_lshlrev_b32_e32 v3, 1, v51
	s_addc_u32 s0, s7, s1
	v_lshl_or_b32 v52, v50, 8, v3
	s_and_b32 s25, s0, 0xffff
	s_mov_b32 s27, 0x20000
	s_movk_i32 s26, 0x4000
	s_movk_i32 s0, 0x80
	v_or_b32_e32 v53, 0x2000, v52
	buffer_load_dwordx4 v[4:7], v52, s[24:27], 0 offen
	buffer_load_dwordx4 v[8:11], v52, s[24:27], s0 offen
	;; [unrolled: 1-line block ×4, first 2 shown]
	v_lshlrev_b32_e32 v20, 3, v50
	v_and_or_b32 v22, v0, 7, v20
	v_and_b32_e32 v20, 0x78, v20
	v_lshlrev_b32_e32 v22, 4, v22
	v_xor_b32_e32 v54, v22, v20
	v_mul_lo_u32 v21, v50, s19
	v_or_b32_e32 v55, 0x1000, v54
	s_cmpk_eq_i32 s19, 0x80
	s_mov_b32 s53, s18
	v_xor_b32_e32 v20, 8, v54
	v_xor_b32_e32 v22, 8, v55
	s_cselect_b64 s[0:1], -1, 0
	s_cmpk_lg_i32 s19, 0x80
	s_waitcnt vmcnt(3)
	ds_write_b64 v54, v[4:5] offset:24576
	ds_write_b64 v20, v[6:7] offset:24576
	s_waitcnt vmcnt(2)
	ds_write_b64 v54, v[8:9] offset:32768
	ds_write_b64 v20, v[10:11] offset:32768
	s_waitcnt vmcnt(1)
	ds_write_b64 v54, v[12:13] offset:28672
	ds_write_b64 v22, v[14:15] offset:24576
	s_waitcnt vmcnt(0)
	ds_write_b64 v54, v[16:17] offset:36864
	ds_write_b64 v22, v[18:19] offset:32768
	v_lshl_add_u32 v4, v21, 1, v51
	s_cbranch_scc0 .LBB383_3
; %bb.2:
	v_lshlrev_b32_e32 v6, 1, v4
	v_add_lshl_u32 v5, v4, s19, 1
	s_lshl_b32 s26, s19, 7
	v_lshl_or_b32 v3, v50, 9, v3
	s_cbranch_execz .LBB383_4
	s_branch .LBB383_5
.LBB383_3:
                                        ; implicit-def: $vgpr5
                                        ; implicit-def: $vgpr6
                                        ; implicit-def: $sgpr26
	v_lshl_or_b32 v3, v50, 9, v3
.LBB383_4:
	v_or_b32_e32 v5, 0x100, v3
	s_movk_i32 s26, 0x4000
	v_mov_b32_e32 v6, v3
.LBB383_5:
	s_mul_hi_u32 s24, s18, s16
	s_mul_i32 s25, s49, s16
	s_add_i32 s24, s24, s25
	s_mul_i32 s25, s18, s16
	s_mul_i32 s27, s25, s28
	s_mul_hi_u32 s29, s25, s47
	s_add_i32 s27, s29, s27
	s_mul_i32 s24, s24, s47
	s_add_i32 s27, s27, s24
	s_mul_i32 s25, s25, s47
	s_ashr_i32 s55, s52, 31
	s_add_u32 s24, s25, s52
	s_addc_u32 s25, s27, s55
	s_lshl_b64 s[24:25], s[24:25], 8
	s_add_u32 s24, s4, s24
	s_addc_u32 s25, s5, s25
	s_and_b32 s25, s25, 0xffff
	s_mov_b32 s27, 0x20000
	s_movk_i32 s56, 0x80
	buffer_load_dwordx4 v[8:11], v6, s[24:27], 0 offen
	buffer_load_dwordx4 v[12:15], v6, s[24:27], s56 offen
	;; [unrolled: 1-line block ×4, first 2 shown]
	v_and_b32_e32 v5, 6, v0
	v_lshlrev_b32_e32 v24, 6, v48
	v_or_b32_e32 v26, 16, v42
	v_xor_b32_e32 v27, v50, v5
	v_and_b32_e32 v6, 1, v0
	s_mul_i32 s24, s28, s16
	s_mul_hi_u32 s25, s47, s16
	v_lshl_or_b32 v30, v42, 3, v24
	v_lshl_or_b32 v24, v26, 3, v24
	v_lshlrev_b32_e32 v27, 2, v27
	v_lshlrev_b32_e32 v7, 2, v42
	v_or_b32_e32 v58, 0xa000, v24
	v_or_b32_e32 v59, 0xb000, v24
	v_xor_b32_e32 v24, 0x440, v27
	v_cmp_eq_u32_e32 vcc, 0, v6
	s_add_i32 s61, s25, s24
	s_add_i32 s24, s44, s21
	s_mul_i32 s28, s28, s20
	v_xor_b32_e32 v28, v48, v7
	v_xor_b32_e32 v29, v49, v7
	v_cndmask_b32_e32 v6, v24, v27, vcc
	s_add_i32 s39, s24, s28
	s_mul_i32 s24, s33, s23
	s_mul_hi_u32 s25, s33, s22
	s_mov_b32 s58, 0x1000504
	v_lshlrev_b32_e32 v25, 8, v42
	v_lshlrev_b32_e32 v28, 1, v28
	;; [unrolled: 1-line block ×3, first 2 shown]
	v_lshl_or_b32 v5, v5, 10, v6
	s_add_i32 s24, s25, s24
	s_mul_i32 s25, s54, s22
	s_mov_b32 s59, 0x3020706
	v_or_b32_e32 v56, 0xa000, v30
	v_or_b32_e32 v57, 0xb000, v30
	;; [unrolled: 1-line block ×4, first 2 shown]
	v_xor_b32_e32 v6, 8, v5
	v_xor_b32_e32 v25, 24, v5
	;; [unrolled: 1-line block ×4, first 2 shown]
	s_add_i32 s25, s24, s25
	s_lshl_b64 s[28:29], s[38:39], 2
	v_xor_b32_e32 v24, 16, v5
	v_xor_b32_e32 v27, 32, v5
	;; [unrolled: 1-line block ×3, first 2 shown]
	v_add_u32_e32 v6, 0x80, v6
	v_add_u32_e32 v25, 0x80, v25
	;; [unrolled: 1-line block ×4, first 2 shown]
	s_mul_i32 s24, s33, s22
	s_add_u32 s26, s10, s28
	s_addc_u32 s28, s11, s29
	s_lshl_b64 s[24:25], s[24:25], 2
	s_add_u32 s40, s26, s24
	s_movk_i32 s24, 0xf8
	s_addc_u32 s41, s28, s25
	s_ashr_i32 s37, s36, 31
	s_lshl_b32 s30, s19, 7
	s_movk_i32 s28, 0x100
	v_mov_b32_e32 v35, 0
	v_cmp_gt_u32_e32 vcc, s28, v0
	s_mov_b32 s57, 0
	s_mul_i32 s60, s47, s16
	s_movk_i32 s39, 0x1000
	s_movk_i32 s26, 0x4000
	v_add_u32_e32 v93, v1, v2
	v_mov_b32_e32 v94, 0x3fb8aa3b
	s_mov_b32 s63, 0
	v_mov_b32_e32 v74, v35
	v_mov_b32_e32 v73, v35
	;; [unrolled: 1-line block ×10, first 2 shown]
	s_waitcnt vmcnt(1)
	v_perm_b32 v33, v8, v16, s58
	s_waitcnt vmcnt(0)
	v_perm_b32 v34, v12, v20, s58
	v_perm_b32 v8, v8, v16, s59
	;; [unrolled: 1-line block ×15, first 2 shown]
	ds_write2st64_b32 v5, v33, v34 offset0:32 offset1:64
	ds_write2st64_b32 v6, v8, v12 offset0:32 offset1:64
	;; [unrolled: 1-line block ×8, first 2 shown]
	v_lshlrev_b32_e32 v5, 8, v26
	v_or_b32_e32 v68, v5, v28
	v_or_b32_e32 v69, v5, v29
	;; [unrolled: 1-line block ×3, first 2 shown]
	v_lshlrev_b32_e32 v5, 3, v5
	v_lshrrev_b32_e32 v8, 5, v43
	v_and_or_b32 v8, v5, s24, v8
	v_lshlrev_b32_e32 v8, 4, v8
	v_lshlrev_b32_e32 v9, 11, v44
	v_and_b32_e32 v5, 0x78, v5
	v_or_b32_e32 v13, 32, v8
	v_and_b32_e32 v6, 0x1000, v9
	v_lshrrev_b32_e32 v11, 1, v0
	v_xor_b32_e32 v13, v13, v5
	v_and_b32_e32 v12, 8, v11
	v_or_b32_e32 v13, v13, v6
	v_xor_b32_e32 v10, v8, v5
	v_xor_b32_e32 v78, v13, v12
	v_or_b32_e32 v13, 64, v8
	v_or_b32_e32 v8, 0x60, v8
	v_xor_b32_e32 v13, v13, v5
	v_xor_b32_e32 v5, v8, v5
	v_or_b32_e32 v10, v10, v6
	v_or_b32_e32 v13, v13, v6
	;; [unrolled: 1-line block ×3, first 2 shown]
	s_lshl_b64 s[24:25], s[36:37], 8
	v_xor_b32_e32 v76, v10, v12
	v_xor_b32_e32 v80, v13, v12
	;; [unrolled: 1-line block ×3, first 2 shown]
	v_lshlrev_b32_e32 v12, 1, v4
	v_add_lshl_u32 v13, v4, s19, 1
	s_add_u32 s24, s12, s24
	v_lshlrev_b32_e32 v4, 1, v42
	v_lshrrev_b32_e32 v15, 4, v0
	s_addc_u32 s25, s13, s25
	v_or_b32_e32 v5, 1, v4
	v_lshlrev_b32_e32 v34, 4, v42
	v_mov_b32_e32 v19, 0x4000
	v_mov_b32_e32 v20, 0x2000
	v_xor_b32_e32 v16, v15, v4
	v_xor_b32_e32 v17, v5, v15
	v_lshl_add_u64 v[4:5], s[24:25], 0, v[34:35]
	v_lshlrev_b32_e32 v34, 8, v15
	v_cndmask_b32_e32 v19, v19, v20, vcc
	v_lshlrev_b32_e32 v20, 3, v44
	v_and_b32_e32 v11, 24, v11
	v_lshl_or_b32 v84, v16, 3, v34
	v_and_b32_e32 v16, 8, v0
	v_xor_b32_e32 v21, v20, v11
	v_or_b32_e32 v22, 0x440, v21
	v_cmp_eq_u32_e32 vcc, 0, v16
	v_and_b32_e32 v15, 7, v0
	v_lshlrev_b32_e32 v10, 7, v45
	v_cndmask_b32_e32 v16, v22, v21, vcc
	v_lshl_or_b32 v85, v17, 3, v34
	v_lshlrev_b32_e32 v17, 3, v15
	v_lshlrev_b32_e32 v15, 7, v15
	;; [unrolled: 1-line block ×3, first 2 shown]
	v_or_b32_e32 v16, v16, v9
	v_or_b32_e32 v7, v10, v7
	v_xad_u32 v86, v16, v17, v15
	v_and_or_b32 v10, v18, 60, v10
	v_mov_b32_e32 v16, 0xb000
	v_lshl_or_b32 v87, v10, 1, v16
	v_or_b32_e32 v10, 32, v11
	v_xor_b32_e32 v10, v20, v10
	v_or_b32_e32 v16, 0x440, v10
	v_cndmask_b32_e32 v10, v16, v10, vcc
	v_or_b32_e32 v10, v10, v9
	v_xad_u32 v88, v10, v17, v15
	v_or_b32_e32 v10, 64, v11
	v_xor_b32_e32 v10, v20, v10
	v_xor_b32_e32 v16, 0x440, v10
	v_cndmask_b32_e32 v10, v16, v10, vcc
	v_or_b32_e32 v10, v10, v9
	v_xad_u32 v89, v10, v17, v15
	v_or_b32_e32 v10, 0x60, v11
	v_xor_b32_e32 v10, v20, v10
	v_xor_b32_e32 v11, 0x440, v10
	v_lshlrev_b32_e32 v7, 1, v7
	v_or_b32_e32 v6, s36, v42
	v_cndmask_b32_e32 v10, v11, v10, vcc
	v_or_b32_e32 v77, 0xa000, v7
	v_or_b32_e32 v79, 0xa080, v7
	;; [unrolled: 1-line block ×4, first 2 shown]
	v_ashrrev_i32_e32 v7, 31, v6
	v_or_b32_e32 v9, v10, v9
	v_lshlrev_b32_e32 v8, 7, v48
	v_or_b32_e32 v14, 0x100, v3
	v_xad_u32 v90, v9, v17, v15
	v_lshlrev_b64 v[6:7], 1, v[6:7]
	v_cndmask_b32_e64 v91, v12, v3, s[0:1]
	v_cndmask_b32_e64 v92, v13, v14, s[0:1]
	v_lshl_add_u64 v[36:37], s[8:9], 0, v[6:7]
	v_lshl_add_u64 v[38:39], s[14:15], 0, v[6:7]
	;; [unrolled: 1-line block ×3, first 2 shown]
	s_mov_b32 s37, 0x7060302
	v_lshlrev_b32_e32 v34, 1, v8
	v_add_u32_e32 v95, v19, v86
	v_add_u32_e32 v96, v19, v88
	;; [unrolled: 1-line block ×4, first 2 shown]
	v_mov_b32_e32 v67, v35
	v_mov_b32_e32 v102, v35
	v_mov_b32_e32 v63, v35
	v_mov_b32_e32 v62, v35
	v_mov_b32_e32 v64, v35
	v_mov_b32_e32 v100, v35
	s_waitcnt lgkmcnt(0)
	s_barrier
.LBB383_6:                              ; =>This Inner Loop Header: Depth=1
	s_add_i32 s62, s63, 1
	s_cmp_lt_i32 s62, s48
	s_mov_b64 s[28:29], 0
	s_cselect_b64 s[42:43], -1, 0
	s_cmp_ge_i32 s62, s48
	s_mov_b64 s[24:25], 0
	s_cbranch_scc1 .LBB383_8
; %bb.7:                                ;   in Loop: Header=BB383_6 Depth=1
	s_add_i32 s0, s57, 64
	s_add_u32 s0, s2, s0
	s_addc_u32 s1, s3, 0
	s_lshl_b64 s[0:1], s[0:1], 8
	s_add_u32 s24, s6, s0
	s_addc_u32 s25, s7, s1
.LBB383_8:                              ;   in Loop: Header=BB383_6 Depth=1
	v_cndmask_b32_e64 v2, 0, 1, s[42:43]
	v_cmp_ne_u32_e64 s[0:1], 1, v2
	s_andn2_b64 vcc, exec, s[42:43]
	s_cbranch_vccnz .LBB383_10
; %bb.9:                                ;   in Loop: Header=BB383_6 Depth=1
	s_add_i32 s28, s57, 64
	s_add_u32 s28, s60, s28
	s_addc_u32 s29, s61, 0
	s_mul_i32 s31, s28, s49
	s_mul_hi_u32 s42, s28, s53
	s_add_i32 s31, s42, s31
	s_mul_i32 s29, s29, s53
	s_add_i32 s31, s31, s29
	s_mul_i32 s28, s28, s53
	s_add_u32 s28, s28, s52
	s_addc_u32 s29, s31, s55
	s_lshl_b64 s[28:29], s[28:29], 8
	s_add_u32 s28, s4, s28
	s_addc_u32 s29, s5, s29
.LBB383_10:                             ;   in Loop: Header=BB383_6 Depth=1
	v_perm_b32 v3, v101, v75, s37
	v_perm_b32 v2, v73, v74, s37
	;; [unrolled: 1-line block ×4, first 2 shown]
	ds_write_b64 v56, v[2:3]
	ds_write_b64 v57, v[4:5]
	;; [unrolled: 1-line block ×4, first 2 shown]
	v_perm_b32 v3, v102, v67, s37
	v_perm_b32 v2, v65, v66, s37
	;; [unrolled: 1-line block ×4, first 2 shown]
	ds_write_b64 v58, v[2:3]
	ds_write_b64 v59, v[4:5]
	;; [unrolled: 1-line block ×4, first 2 shown]
	s_waitcnt lgkmcnt(0)
	s_barrier
	ds_read_b64 v[6:7], v76 offset:24576
	ds_read2_b64 v[2:5], v77 offset1:16
	ds_read_b64 v[10:11], v79 offset:3072
	ds_read_b64 v[12:13], v77 offset:3072
	ds_read_b64 v[14:15], v78 offset:24576
	s_waitcnt lgkmcnt(3)
	v_mfma_f32_16x16x16_bf16 a[0:3], v[6:7], v[2:3], 0
	s_add_i32 s31, s57, 63
	s_mul_i32 s42, s31, s35
	s_mul_hi_u32 s43, s31, s34
	v_mfma_f32_16x16x16_bf16 a[4:7], v[6:7], v[4:5], 0
	ds_read2st64_b64 v[2:5], v77 offset0:2 offset1:4
	ds_read2st64_b64 v[6:9], v79 offset0:2 offset1:4
	s_add_i32 s43, s43, s42
	s_waitcnt lgkmcnt(1)
	v_mfma_f32_16x16x16_bf16 a[0:3], v[14:15], v[2:3], a[0:3]
	s_mul_i32 s42, s31, s34
	s_lshl_b64 s[42:43], s[42:43], 2
	s_add_u32 s42, s40, s42
	s_waitcnt lgkmcnt(0)
	v_mfma_f32_16x16x16_bf16 a[4:7], v[14:15], v[6:7], a[4:7]
	ds_read_b64 v[2:3], v80 offset:24576
	ds_read_b64 v[6:7], v81 offset:24576
	s_addc_u32 s43, s41, s43
	s_and_b64 vcc, exec, s[0:1]
	s_waitcnt lgkmcnt(1)
	v_mfma_f32_16x16x16_bf16 a[0:3], v[2:3], v[4:5], a[0:3]
	v_mov_b32_e32 v105, 0
	v_mov_b32_e32 v104, 0
	v_mov_b32_e32 v103, 0
	v_mfma_f32_16x16x16_bf16 a[8:11], v[2:3], v[8:9], a[4:7]
	v_mov_b32_e32 v2, 0
	v_mov_b32_e32 v3, 0
	;; [unrolled: 1-line block ×3, first 2 shown]
	s_waitcnt lgkmcnt(0)
	v_mfma_f32_16x16x16_bf16 a[4:7], v[6:7], v[12:13], a[0:3]
	v_mov_b32_e32 v5, 0
	v_mov_b32_e32 v8, 0
	;; [unrolled: 1-line block ×3, first 2 shown]
	v_mfma_f32_16x16x16_bf16 a[0:3], v[6:7], v[10:11], a[8:11]
	v_mov_b32_e32 v6, 0
	v_mov_b32_e32 v7, 0
	;; [unrolled: 1-line block ×10, first 2 shown]
	s_cbranch_vccnz .LBB383_12
; %bb.11:                               ;   in Loop: Header=BB383_6 Depth=1
	s_and_b32 s25, s25, 0xffff
	buffer_load_dwordx4 v[14:17], v52, s[24:27], 0 offen
	buffer_load_dwordx4 v[10:13], v52, s[24:27], s56 offen
	;; [unrolled: 1-line block ×4, first 2 shown]
	v_mov_b32_e32 v104, v54
	v_mov_b32_e32 v103, v55
.LBB383_12:                             ;   in Loop: Header=BB383_6 Depth=1
	s_waitcnt vmcnt(3)
	ds_read_b64 v[26:27], v76 offset:32768
	s_waitcnt vmcnt(2)
	ds_read2_b64 v[18:21], v82 offset1:16
	ds_read_b64 v[28:29], v78 offset:32768
	ds_read_b64 v[30:31], v80 offset:32768
	;; [unrolled: 1-line block ×3, first 2 shown]
	v_add_u32_e32 v106, s57, v93
	s_waitcnt lgkmcnt(3)
	v_mfma_f32_16x16x16_bf16 a[4:7], v[26:27], v[18:19], a[4:7]
	v_ashrrev_i32_e32 v18, 31, v106
	ds_read2st64_b64 v[22:25], v82 offset0:2 offset1:4
	v_mfma_f32_16x16x16_bf16 a[0:3], v[26:27], v[20:21], a[0:3]
	v_mul_lo_u32 v20, v18, s34
	v_mul_lo_u32 v21, v106, s35
	v_mad_u64_u32 v[18:19], s[24:25], v106, s34, 0
	v_add3_u32 v19, v19, v21, v20
	v_add_u32_e32 v20, 1, v106
	v_ashrrev_i32_e32 v21, 31, v20
	v_mul_lo_u32 v26, v21, s34
	v_mul_lo_u32 v27, v20, s35
	v_mad_u64_u32 v[20:21], s[24:25], v20, s34, 0
	v_add3_u32 v21, v21, v27, v26
	v_add_u32_e32 v26, 2, v106
	v_ashrrev_i32_e32 v27, 31, v26
	v_mul_lo_u32 v107, v27, s34
	v_mul_lo_u32 v108, v26, s35
	v_mad_u64_u32 v[26:27], s[24:25], v26, s34, 0
	v_add_u32_e32 v106, 3, v106
	v_add3_u32 v27, v27, v108, v107
	v_ashrrev_i32_e32 v107, 31, v106
	v_mul_lo_u32 v108, v107, s34
	v_mul_lo_u32 v109, v106, s35
	v_mad_u64_u32 v[106:107], s[24:25], v106, s34, 0
	s_add_u32 s24, s2, s57
	s_addc_u32 s25, s3, 0
	s_lshl_b64 s[64:65], s[24:25], 8
	v_lshl_add_u64 v[18:19], v[18:19], 2, s[40:41]
	v_lshl_add_u64 v[20:21], v[20:21], 2, s[40:41]
	v_add3_u32 v107, v107, v109, v108
	v_lshl_add_u64 v[108:109], v[36:37], 0, s[64:65]
	v_lshl_add_u64 v[26:27], v[26:27], 2, s[40:41]
	v_lshl_add_u64 v[108:109], v[108:109], 0, v[34:35]
	global_load_dword v110, v[18:19], off
	global_load_ushort v111, v[108:109], off offset:256
	global_load_ushort v112, v[108:109], off
	v_lshl_add_u64 v[18:19], v[106:107], 2, s[40:41]
	global_load_dword v106, v[20:21], off
	global_load_dword v107, v[26:27], off
	;; [unrolled: 1-line block ×3, first 2 shown]
	ds_read2st64_b64 v[18:21], v83 offset0:2 offset1:4
	global_load_ushort v114, v[108:109], off offset:768
	global_load_ushort v115, v[108:109], off offset:512
	;; [unrolled: 1-line block ×5, first 2 shown]
	s_nop 0
	global_load_ushort v108, v[108:109], off offset:32
	s_waitcnt lgkmcnt(1)
	v_mfma_f32_16x16x16_bf16 a[4:7], v[28:29], v[22:23], a[4:7]
	s_and_b64 vcc, exec, s[0:1]
	s_waitcnt vmcnt(10)
	v_lshlrev_b32_e32 v27, 16, v111
	s_waitcnt lgkmcnt(0)
	v_mfma_f32_16x16x16_bf16 a[0:3], v[28:29], v[18:19], a[0:3]
	s_waitcnt vmcnt(9)
	v_lshlrev_b32_e32 v26, 16, v112
	v_mfma_f32_16x16x16_bf16 a[4:7], v[30:31], v[24:25], a[4:7]
	v_mfma_f32_16x16x16_bf16 a[0:3], v[30:31], v[20:21], a[0:3]
	ds_read_b64 v[18:19], v82 offset:3072
	ds_read_b64 v[20:21], v83 offset:3072
	s_load_dword s24, s[42:43], 0x0
	s_waitcnt lgkmcnt(0)
	v_sub_f32_e32 v28, s24, v110
	v_mfma_f32_16x16x16_bf16 a[4:7], v[32:33], v[18:19], a[4:7]
	v_mul_f32_e32 v28, 0x3fb8aa3b, v28
	s_waitcnt vmcnt(8)
	v_sub_f32_e32 v29, s24, v106
	s_waitcnt vmcnt(7)
	v_sub_f32_e32 v30, s24, v107
	;; [unrolled: 2-line block ×3, first 2 shown]
	v_mfma_f32_16x16x16_bf16 a[0:3], v[32:33], v[20:21], a[0:3]
	v_lshl_add_u64 v[18:19], v[38:39], 0, s[64:65]
	v_lshl_add_u64 v[18:19], v[18:19], 0, v[34:35]
	v_accvgpr_read_b32 v25, a5
	v_accvgpr_read_b32 v24, a4
	v_pk_add_f32 v[24:25], v[26:27], v[24:25] neg_lo:[0,1] neg_hi:[0,1]
	v_exp_f32_e32 v26, v28
	v_mul_f32_e32 v27, 0x3fb8aa3b, v29
	v_mul_f32_e32 v28, 0x3fb8aa3b, v30
	;; [unrolled: 1-line block ×3, first 2 shown]
	v_exp_f32_e32 v27, v27
	v_exp_f32_e32 v28, v28
	;; [unrolled: 1-line block ×3, first 2 shown]
	v_accvgpr_read_b32 v21, a7
	v_accvgpr_read_b32 v20, a6
	s_waitcnt vmcnt(5)
	v_lshlrev_b32_e32 v31, 16, v114
	s_waitcnt vmcnt(4)
	v_lshlrev_b32_e32 v30, 16, v115
	v_pk_add_f32 v[20:21], v[30:31], v[20:21] neg_lo:[0,1] neg_hi:[0,1]
	global_store_short_d16_hi v[18:19], v24, off
	global_store_short_d16_hi v[18:19], v25, off offset:256
	global_store_short_d16_hi v[18:19], v20, off offset:512
	;; [unrolled: 1-line block ×3, first 2 shown]
	v_pk_mul_f32 v[24:25], v[26:27], v[24:25]
	v_pk_mul_f32 v[20:21], v[28:29], v[20:21]
	v_accvgpr_read_b32 v31, a1
	v_perm_b32 v21, v21, v20, s37
	v_perm_b32 v20, v25, v24, s37
	s_waitcnt vmcnt(5)
	v_lshlrev_b32_e32 v25, 16, v118
	s_waitcnt vmcnt(4)
	v_lshlrev_b32_e32 v24, 16, v108
	v_accvgpr_read_b32 v30, a0
	v_accvgpr_read_b32 v23, a3
	v_accvgpr_read_b32 v22, a2
	v_pk_add_f32 v[24:25], v[24:25], v[30:31] neg_lo:[0,1] neg_hi:[0,1]
	v_lshlrev_b32_e32 v31, 16, v116
	v_lshlrev_b32_e32 v30, 16, v117
	v_pk_add_f32 v[22:23], v[30:31], v[22:23] neg_lo:[0,1] neg_hi:[0,1]
	global_store_short_d16_hi v[18:19], v24, off offset:32
	global_store_short_d16_hi v[18:19], v25, off offset:288
	;; [unrolled: 1-line block ×4, first 2 shown]
	v_pk_mul_f32 v[18:19], v[26:27], v[24:25]
	v_pk_mul_f32 v[22:23], v[28:29], v[22:23]
	v_mov_b32_e32 v106, 0
	v_perm_b32 v23, v23, v22, s37
	v_perm_b32 v22, v19, v18, s37
	ds_write2_b64 v57, v[20:21], v[22:23] offset1:16
	v_mov_b32_e32 v18, 0
	v_mov_b32_e32 v19, 0
	;; [unrolled: 1-line block ×16, first 2 shown]
	s_cbranch_vccnz .LBB383_14
; %bb.13:                               ;   in Loop: Header=BB383_6 Depth=1
	s_and_b32 s29, s29, 0xffff
	s_mov_b32 s31, s27
	buffer_load_dwordx4 v[30:33], v91, s[28:31], 0 offen
	buffer_load_dwordx4 v[22:25], v91, s[28:31], s56 offen
	buffer_load_dwordx4 v[26:29], v92, s[28:31], 0 offen
	buffer_load_dwordx4 v[18:21], v92, s[28:31], s56 offen
	v_mov_b32_e32 v105, v51
	v_mov_b32_e32 v106, v50
.LBB383_14:                             ;   in Loop: Header=BB383_6 Depth=1
	s_waitcnt lgkmcnt(0)
	s_barrier
	ds_read_b64 v[112:113], v95
	ds_read_b64 v[120:121], v87
	;; [unrolled: 1-line block ×5, first 2 shown]
	ds_read_b64 v[126:127], v88 offset:16384
	ds_read_b64 v[128:129], v86 offset:16384
	ds_read2_b64 v[108:111], v82 offset0:16 offset1:128
	s_waitcnt lgkmcnt(6)
	v_mfma_f32_16x16x16_bf16 a[0:3], v[112:113], v[120:121], 0
	ds_read_b64 v[130:131], v83 offset:3072
	ds_read_b64 v[132:133], v90 offset:16384
	s_add_i32 s25, s50, s63
	s_waitcnt lgkmcnt(2)
	v_mfma_f32_16x16x16_bf16 a[4:7], v[112:113], v[108:109], 0
	ds_read2st64_b64 v[112:115], v83 offset0:2 offset1:4
	s_mul_hi_i32 s29, s25, s17
	s_mul_i32 s25, s25, s17
	v_mfma_f32_16x16x16_bf16 a[0:3], v[116:117], v[110:111], a[0:3]
	s_add_u32 s28, s25, s33
	s_addc_u32 s29, s29, s54
	s_lshl_b64 s[28:29], s[28:29], 15
	s_waitcnt lgkmcnt(0)
	v_mfma_f32_16x16x16_bf16 a[4:7], v[116:117], v[112:113], a[4:7]
	ds_read2st64_b64 v[116:119], v82 offset0:4 offset1:6
	s_waitcnt lgkmcnt(0)
	v_mfma_f32_16x16x16_bf16 a[0:3], v[122:123], v[116:117], a[0:3]
	v_mfma_f32_16x16x16_bf16 a[8:11], v[122:123], v[114:115], a[4:7]
	;; [unrolled: 1-line block ×5, first 2 shown]
	ds_read2st64_b64 v[120:123], v85 offset1:8
	v_mfma_f32_16x16x16_bf16 a[12:15], v[128:129], v[108:109], 0
	ds_read_b64 v[128:129], v89 offset:16384
	v_mfma_f32_16x16x16_bf16 a[8:11], v[126:127], v[110:111], a[8:11]
	ds_read2st64_b64 v[108:111], v84 offset1:8
	s_waitcnt lgkmcnt(0)
	v_mov_b32_e32 v124, v108
	v_mfma_f32_16x16x16_bf16 a[12:15], v[126:127], v[112:113], a[12:15]
	v_lshl_add_u64 v[112:113], v[40:41], 0, s[28:29]
	v_add_co_u32_e32 v108, vcc, s39, v112
	v_mfma_f32_16x16x16_bf16 a[8:11], v[128:129], v[116:117], a[8:11]
	v_mov_b32_e32 v125, v109
	v_addc_co_u32_e32 v109, vcc, 0, v113, vcc
	v_mfma_f32_16x16x16_bf16 a[16:19], v[128:129], v[114:115], a[12:15]
	v_mov_b32_e32 v126, v120
	v_mov_b32_e32 v127, v121
	v_mov_b32_e32 v120, v110
	v_mfma_f32_16x16x16_bf16 a[12:15], v[132:133], v[118:119], a[8:11]
	v_mov_b32_e32 v121, v111
	s_and_b64 vcc, exec, s[0:1]
	global_store_dwordx4 v[112:113], v[124:127], off
	v_mfma_f32_16x16x16_bf16 a[8:11], v[132:133], v[130:131], a[16:19]
	global_store_dwordx4 v[108:109], v[120:123], off
	s_cbranch_vccnz .LBB383_16
; %bb.15:                               ;   in Loop: Header=BB383_6 Depth=1
	v_lshrrev_b32_e32 v107, 3, v105
	v_and_b32_e32 v107, 6, v107
	v_xor_b32_e32 v106, v107, v106
	v_lshlrev_b32_e32 v106, 2, v106
	v_and_b32_e32 v105, 8, v105
	v_xor_b32_e32 v108, 0x440, v106
	v_cmp_eq_u32_e32 vcc, 0, v105
	s_barrier
	s_nop 0
	v_cndmask_b32_e32 v105, v108, v106, vcc
	v_lshl_or_b32 v105, v107, 10, v105
	s_waitcnt vmcnt(3)
	v_perm_b32 v106, v30, v26, s58
	s_waitcnt vmcnt(2)
	v_perm_b32 v107, v22, v18, s58
	ds_write2st64_b32 v105, v106, v107 offset0:32 offset1:64
	v_xor_b32_e32 v106, 8, v105
	v_perm_b32 v26, v30, v26, s59
	v_perm_b32 v18, v22, v18, s59
	v_add_u32_e32 v22, 0x80, v106
	ds_write2st64_b32 v22, v26, v18 offset0:32 offset1:64
	v_xor_b32_e32 v18, 16, v105
	v_perm_b32 v22, v31, v27, s58
	v_perm_b32 v26, v23, v19, s58
	ds_write2st64_b32 v18, v22, v26 offset0:33 offset1:65
	v_xor_b32_e32 v18, 24, v105
	v_perm_b32 v22, v31, v27, s59
	v_perm_b32 v19, v23, v19, s59
	v_add_u32_e32 v18, 0x80, v18
	ds_write2st64_b32 v18, v22, v19 offset0:33 offset1:65
	v_xor_b32_e32 v18, 32, v105
	v_perm_b32 v19, v32, v28, s58
	;; [unrolled: 9-line block ×3, first 2 shown]
	v_perm_b32 v20, v25, v21, s58
	ds_write2st64_b32 v18, v19, v20 offset0:35 offset1:67
	v_xor_b32_e32 v18, 56, v105
	v_perm_b32 v19, v33, v29, s59
	v_perm_b32 v20, v25, v21, s59
	v_add_u32_e32 v18, 0x80, v18
	ds_write2st64_b32 v18, v19, v20 offset0:35 offset1:67
	ds_write_b64 v104, v[14:15] offset:24576
	v_xor_b32_e32 v14, 8, v104
	ds_write_b64 v14, v[16:17] offset:24576
	ds_write_b64 v104, v[10:11] offset:32768
	;; [unrolled: 1-line block ×4, first 2 shown]
	v_xor_b32_e32 v6, 8, v103
	ds_write_b64 v6, v[8:9] offset:24576
	ds_write_b64 v103, v[2:3] offset:32768
	;; [unrolled: 1-line block ×3, first 2 shown]
.LBB383_16:                             ;   in Loop: Header=BB383_6 Depth=1
	v_mul_f32_e32 v2, s24, v94
	v_exp_f32_e32 v2, v2
	v_accvgpr_read_b32 v3, a4
	v_accvgpr_read_b32 v4, a5
	;; [unrolled: 1-line block ×3, first 2 shown]
	v_fma_f32 v74, v74, v2, v3
	v_accvgpr_read_b32 v3, a6
	v_fma_f32 v75, v75, v2, v3
	v_accvgpr_read_b32 v3, a0
	;; [unrolled: 2-line block ×11, first 2 shown]
	v_accvgpr_read_b32 v6, a15
	v_fma_f32 v64, v64, v2, v3
	v_accvgpr_read_b32 v3, a11
	s_add_i32 s57, s57, 64
	v_fmac_f32_e32 v5, v101, v2
	v_fmac_f32_e32 v4, v102, v2
	;; [unrolled: 1-line block ×3, first 2 shown]
	s_cmp_eq_u32 s48, s62
	v_fmac_f32_e32 v3, v100, v2
	s_cbranch_scc1 .LBB383_18
; %bb.17:                               ;   in Loop: Header=BB383_6 Depth=1
	s_mov_b32 s63, s62
	v_mov_b32_e32 v101, v5
	v_mov_b32_e32 v99, v6
	;; [unrolled: 1-line block ×4, first 2 shown]
	s_branch .LBB383_6
.LBB383_18:
	s_lshl_b32 s42, s48, 6
	s_sub_i32 s43, s16, s42
	s_cmp_gt_i32 s43, 0
	s_cbranch_scc0 .LBB383_83
; %bb.19:
	s_ashr_i32 s39, s47, 31
	s_ashr_i32 s2, s42, 31
	s_cmpk_lg_i32 s19, 0x80
	s_cselect_b64 s[30:31], -1, 0
	s_and_b64 vcc, exec, s[30:31]
	s_cbranch_vccz .LBB383_21
; %bb.20:
	s_mul_i32 s1, s47, s16
	s_mul_hi_i32 s0, s47, s16
	s_add_u32 s1, s1, s42
	s_addc_u32 s0, s0, s2
	s_mul_i32 s3, s1, s49
	s_mul_hi_u32 s24, s1, s18
	s_add_i32 s3, s24, s3
	s_mul_i32 s0, s0, s18
	s_add_i32 s3, s3, s0
	s_mul_i32 s1, s1, s18
	s_ashr_i32 s0, s52, 31
	s_add_u32 s40, s1, s52
	s_addc_u32 s41, s3, s0
	s_cbranch_execz .LBB383_22
	s_branch .LBB383_23
.LBB383_21:
                                        ; implicit-def: $sgpr40_sgpr41
.LBB383_22:
	s_mul_hi_i32 s0, s47, s18
	s_mul_i32 s47, s47, s18
	s_ashr_i32 s1, s52, 31
	s_add_u32 s3, s47, s52
	s_addc_u32 s0, s0, s1
	s_mul_i32 s1, s3, s46
	s_mul_hi_u32 s18, s3, s16
	s_add_i32 s1, s18, s1
	s_mul_i32 s0, s0, s16
	s_add_i32 s1, s1, s0
	s_mul_i32 s3, s3, s16
	s_add_u32 s40, s3, s42
	s_addc_u32 s41, s1, s2
.LBB383_23:
	s_add_i32 s3, s50, s48
	s_ashr_i32 s18, s33, 31
	s_add_u32 s0, s45, s33
	s_addc_u32 s1, s51, s18
	s_mul_i32 s24, s0, s46
	s_mul_hi_u32 s25, s0, s16
	s_add_i32 s24, s25, s24
	s_mul_i32 s1, s1, s16
	s_add_i32 s24, s24, s1
	s_mul_i32 s0, s0, s16
	s_add_u32 s0, s0, s42
	s_addc_u32 s1, s24, s2
	v_lshlrev_b32_e32 v10, 5, v48
	s_waitcnt vmcnt(4)
	v_lshlrev_b32_e32 v22, 2, v42
	s_mov_b32 s2, 0x7060302
	v_xor_b32_e32 v2, v48, v22
	v_perm_b32 v9, v5, v75, s2
	v_or_b32_e32 v5, v10, v22
	v_perm_b32 v8, v73, v74, s2
	v_perm_b32 v7, v6, v72, s2
	;; [unrolled: 1-line block ×3, first 2 shown]
	v_lshlrev_b32_e32 v5, 1, v5
	v_lshlrev_b32_e32 v12, 1, v2
	;; [unrolled: 1-line block ×3, first 2 shown]
	s_lshl_b64 s[28:29], s[0:1], 8
	v_xor_b32_e32 v11, v49, v22
	ds_write2st64_b64 v5, v[8:9], v[6:7] offset0:80 offset1:88
	v_or_b32_e32 v5, v12, v2
	s_add_u32 s0, s6, s28
	ds_write_b64 v5, v[8:9]
	v_lshlrev_b32_e32 v8, 1, v11
	s_addc_u32 s1, s7, s29
	v_or_b32_e32 v2, v8, v2
	s_mul_hi_i32 s6, s3, s17
	s_mul_i32 s3, s3, s17
	ds_write_b64 v2, v[6:7]
	v_perm_b32 v5, v4, v67, s2
	v_perm_b32 v4, v65, v66, s2
	;; [unrolled: 1-line block ×4, first 2 shown]
	v_or_b32_e32 v6, 16, v42
	s_add_u32 s2, s3, s33
	s_waitcnt vmcnt(2)
	v_lshlrev_b32_e32 v19, 2, v6
	s_addc_u32 s3, s6, s18
	v_or_b32_e32 v7, v10, v19
	s_ashr_i32 s37, s36, 31
	s_lshl_b64 s[2:3], s[2:3], 15
	v_lshlrev_b32_e32 v7, 1, v7
	v_lshlrev_b32_e32 v6, 8, v6
	s_add_u32 s6, s12, s2
	ds_write2st64_b64 v7, v[4:5], v[2:3] offset0:80 offset1:88
	v_or_b32_e32 v7, v12, v6
	s_addc_u32 s7, s13, s3
	s_lshl_b64 s[2:3], s[36:37], 8
	ds_write_b64 v7, v[4:5]
	v_or_b32_e32 v4, v8, v6
	s_add_u32 s2, s6, s2
	ds_write_b64 v4, v[2:3]
	v_lshrrev_b32_e32 v2, 4, v0
	s_addc_u32 s3, s7, s3
	v_lshlrev_b32_e32 v3, 1, v42
	v_lshlrev_b32_e32 v10, 4, v42
	v_mov_b32_e32 v11, 0
	v_or_b32_e32 v4, 1, v3
	v_xor_b32_e32 v3, v2, v3
	v_lshl_add_u64 v[12:13], s[2:3], 0, v[10:11]
	v_lshlrev_b32_e32 v10, 8, v2
	v_xor_b32_e32 v6, v4, v2
	v_lshl_or_b32 v2, v3, 3, v10
	s_waitcnt lgkmcnt(0)
	s_barrier
	ds_read2st64_b64 v[2:5], v2 offset1:8
	v_lshl_or_b32 v6, v6, 3, v10
	ds_read2st64_b64 v[6:9], v6 offset1:8
	v_lshl_add_u64 v[14:15], v[12:13], 0, v[10:11]
	s_movk_i32 s2, 0x1000
	s_waitcnt lgkmcnt(1)
	v_mov_b32_e32 v10, v2
	v_add_co_u32_e32 v2, vcc, s2, v14
	s_cmp_lg_u32 s43, 64
	v_mov_b32_e32 v11, v3
	v_addc_co_u32_e32 v3, vcc, 0, v15, vcc
	s_cselect_b64 s[6:7], -1, 0
	v_lshl_or_b32 v23, v44, 3, v47
	s_waitcnt lgkmcnt(0)
	v_mov_b32_e32 v12, v6
	v_mov_b32_e32 v13, v7
	;; [unrolled: 1-line block ×4, first 2 shown]
	s_mov_b32 s24, 0
	v_or_b32_e32 v20, 32, v23
	v_and_b32_e32 v18, 56, v46
	s_and_b64 vcc, exec, s[6:7]
	global_store_dwordx4 v[14:15], v[10:13], off
	global_store_dwordx4 v[2:3], v[6:9], off
	s_cbranch_vccz .LBB383_29
; %bb.24:
	s_mov_b32 s25, s24
	s_mov_b32 s26, s24
	s_mov_b32 s27, s24
	v_mov_b64_e32 v[6:7], s[24:25]
	v_mov_b64_e32 v[8:9], s[26:27]
	v_mov_b64_e32 v[2:3], v[6:7]
	v_cmp_gt_i32_e32 vcc, s43, v23
	v_mov_b64_e32 v[4:5], v[8:9]
	s_and_saveexec_b64 s[2:3], vcc
	s_cbranch_execz .LBB383_26
; %bb.25:
	v_lshlrev_b32_e32 v2, 8, v23
	v_mov_b32_e32 v3, 0
	v_lshl_add_u64 v[4:5], s[0:1], 0, v[2:3]
	v_lshlrev_b32_e32 v2, 1, v18
	v_lshl_add_u64 v[10:11], v[4:5], 0, v[2:3]
	global_load_dwordx4 v[6:9], v[10:11], off
	global_load_dwordx4 v[2:5], v[10:11], off offset:128
.LBB383_26:
	s_or_b64 exec, exec, s[2:3]
	s_mov_b32 s25, s24
	s_mov_b32 s26, s24
	;; [unrolled: 1-line block ×3, first 2 shown]
	v_mov_b64_e32 v[14:15], s[24:25]
	v_mov_b64_e32 v[16:17], s[26:27]
	;; [unrolled: 1-line block ×3, first 2 shown]
	v_cmp_gt_i32_e32 vcc, s43, v20
	v_lshlrev_b32_e32 v21, 7, v20
	v_mov_b64_e32 v[12:13], v[16:17]
	s_and_saveexec_b64 s[2:3], vcc
	s_cbranch_execz .LBB383_28
; %bb.27:
	v_lshlrev_b32_e32 v10, 1, v21
	v_mov_b32_e32 v11, 0
	v_lshl_add_u64 v[12:13], s[0:1], 0, v[10:11]
	v_lshlrev_b32_e32 v10, 1, v18
	v_lshl_add_u64 v[24:25], v[12:13], 0, v[10:11]
	global_load_dwordx4 v[14:17], v[24:25], off
	global_load_dwordx4 v[10:13], v[24:25], off offset:128
.LBB383_28:
	s_or_b64 exec, exec, s[2:3]
	v_lshrrev_b32_e32 v24, 3, v18
	v_lshlrev_b32_e32 v25, 3, v23
	v_or_b32_e32 v24, v25, v24
	v_lshlrev_b32_e32 v24, 4, v24
	v_and_b32_e32 v25, 0x78, v25
	v_xor_b32_e32 v24, v24, v25
	s_branch .LBB383_31
.LBB383_29:
                                        ; implicit-def: $vgpr24
                                        ; implicit-def: $vgpr21
                                        ; implicit-def: $vgpr6_vgpr7_vgpr8_vgpr9
                                        ; implicit-def: $vgpr2_vgpr3_vgpr4_vgpr5
                                        ; implicit-def: $vgpr14_vgpr15_vgpr16_vgpr17
                                        ; implicit-def: $vgpr10_vgpr11_vgpr12_vgpr13
	s_cbranch_execz .LBB383_31
; %bb.30:
	s_waitcnt vmcnt(0)
	v_lshlrev_b32_e32 v2, 1, v18
	v_lshl_or_b32 v21, v23, 8, v2
	s_and_b32 s1, s1, 0xffff
	s_mov_b32 s3, 0x20000
	s_movk_i32 s2, 0x4000
	v_lshl_or_b32 v24, v20, 8, v2
	s_movk_i32 s12, 0x80
	buffer_load_dwordx4 v[6:9], v21, s[0:3], 0 offen
	buffer_load_dwordx4 v[2:5], v21, s[0:3], s12 offen
	;; [unrolled: 1-line block ×4, first 2 shown]
	v_lshrrev_b32_e32 v21, 3, v18
	v_lshlrev_b32_e32 v24, 3, v23
	v_or_b32_e32 v21, v24, v21
	v_lshlrev_b32_e32 v21, 4, v21
	v_and_b32_e32 v24, 0x78, v24
	v_xor_b32_e32 v24, v21, v24
	v_lshlrev_b32_e32 v21, 7, v20
.LBB383_31:
	s_lshl_b64 s[0:1], s[40:41], 8
	s_add_u32 s4, s4, s0
	s_movk_i32 s0, 0x1000
	v_and_or_b32 v20, v21, s0, v24
	s_waitcnt vmcnt(1)
	ds_write_b64 v24, v[6:7] offset:24576
	v_xor_b32_e32 v6, 8, v24
	ds_write_b64 v6, v[8:9] offset:24576
	s_waitcnt vmcnt(0)
	ds_write_b64 v24, v[2:3] offset:32768
	ds_write_b64 v6, v[4:5] offset:32768
	ds_write_b64 v20, v[14:15] offset:24576
	v_xor_b32_e32 v2, 8, v20
	ds_write_b64 v2, v[16:17] offset:24576
	ds_write_b64 v20, v[10:11] offset:32768
	ds_write_b64 v2, v[12:13] offset:32768
	v_or_b32_e32 v2, v1, v42
	v_lshlrev_b32_e32 v3, 11, v44
	v_lshlrev_b32_e32 v2, 3, v2
	v_and_b32_e32 v6, 0x1000, v3
	v_lshrrev_b32_e32 v3, 5, v43
	s_movk_i32 s13, 0xf8
	v_and_or_b32 v3, v2, s13, v3
	v_lshlrev_b32_e32 v7, 4, v3
	v_and_b32_e32 v8, 0x78, v2
	v_or_b32_e32 v10, 32, v7
	v_lshrrev_b32_e32 v3, 1, v43
	v_xor_b32_e32 v10, v10, v8
	v_xor_b32_e32 v2, v7, v8
	v_and_b32_e32 v9, 8, v3
	v_or_b32_e32 v10, v10, v6
	v_or_b32_e32 v2, v2, v6
	v_xor_b32_e32 v26, v10, v9
	v_or_b32_e32 v10, 64, v7
	v_xor_b32_e32 v25, v2, v9
	v_xor_b32_e32 v10, v10, v8
	s_waitcnt lgkmcnt(0)
	s_barrier
	v_or_b32_e32 v12, v10, v6
	ds_read_b64 v[10:11], v25 offset:24576
	v_lshl_or_b32 v20, v45, 7, v22
	v_lshlrev_b32_e32 v24, 1, v20
	v_add_u32_e32 v2, 0xa000, v24
	ds_read2_b64 v[2:5], v2 offset1:16
	v_or_b32_e32 v7, 0x60, v7
	v_xor_b32_e32 v7, v7, v8
	s_waitcnt lgkmcnt(0)
	v_mfma_f32_16x16x16_bf16 a[0:3], v[10:11], v[2:3], 0
	v_or_b32_e32 v2, 64, v20
	v_or_b32_e32 v6, v7, v6
	v_lshlrev_b32_e32 v29, 1, v2
	v_xor_b32_e32 v27, v12, v9
	v_xor_b32_e32 v28, v6, v9
	ds_read_b64 v[12:13], v26 offset:24576
	ds_read_b64 v[14:15], v27 offset:24576
	;; [unrolled: 1-line block ×3, first 2 shown]
	v_mfma_f32_16x16x16_bf16 a[4:7], v[10:11], v[4:5], 0
	ds_read2st64_b64 v[2:5], v29 offset0:82 offset1:84
	ds_read2st64_b64 v[6:9], v24 offset0:82 offset1:84
	s_addc_u32 s5, s5, s1
	s_add_i32 s2, s16, -1
	s_add_i32 s0, s44, s21
	s_mul_i32 s39, s39, s20
	s_add_i32 s39, s0, s39
	s_mul_i32 s0, s33, s23
	s_mul_hi_u32 s1, s33, s22
	s_ashr_i32 s3, s2, 31
	s_mul_i32 s12, s2, s35
	s_mul_hi_u32 s13, s2, s34
	s_add_i32 s0, s1, s0
	s_mul_i32 s1, s18, s22
	s_add_i32 s12, s13, s12
	s_mul_i32 s3, s3, s34
	s_waitcnt lgkmcnt(1)
	v_mfma_f32_16x16x16_bf16 a[4:7], v[12:13], v[2:3], a[4:7]
	s_add_i32 s1, s0, s1
	s_add_i32 s3, s12, s3
	s_lshl_b64 s[12:13], s[38:39], 2
	s_waitcnt lgkmcnt(0)
	v_mfma_f32_16x16x16_bf16 a[0:3], v[12:13], v[6:7], a[0:3]
	s_mul_i32 s0, s33, s22
	s_add_u32 s10, s10, s12
	s_addc_u32 s11, s11, s13
	s_lshl_b64 s[0:1], s[0:1], 2
	s_mul_i32 s2, s2, s34
	s_add_u32 s10, s10, s0
	ds_read_b64 v[2:3], v24 offset:44032
	v_mfma_f32_16x16x16_bf16 a[4:7], v[14:15], v[4:5], a[4:7]
	ds_read_b64 v[4:5], v29 offset:44032
	s_addc_u32 s11, s11, s1
	s_lshl_b64 s[0:1], s[2:3], 2
	v_mfma_f32_16x16x16_bf16 a[0:3], v[14:15], v[8:9], a[0:3]
	s_add_u32 s0, s10, s0
	s_addc_u32 s1, s11, s1
	s_load_dword s12, s[0:1], 0x0
	s_waitcnt lgkmcnt(0)
	v_mfma_f32_16x16x16_bf16 a[0:3], v[16:17], v[2:3], a[0:3]
	s_and_b64 vcc, exec, s[30:31]
	v_mfma_f32_16x16x16_bf16 a[4:7], v[16:17], v[4:5], a[4:7]
	s_cbranch_vccz .LBB383_42
; %bb.32:
	v_lshlrev_b32_e32 v20, 1, v23
	s_and_b64 vcc, exec, s[6:7]
	s_cbranch_vccz .LBB383_43
; %bb.33:
	v_cmp_gt_i32_e32 vcc, s43, v20
	v_mov_b32_e32 v6, 0
	v_mov_b32_e32 v2, 0
	;; [unrolled: 1-line block ×5, first 2 shown]
	s_and_saveexec_b64 s[0:1], vcc
	s_cbranch_execz .LBB383_35
; %bb.34:
	v_mad_i64_i32 v[2:3], s[2:3], s19, v20, 0
	v_lshl_add_u64 v[2:3], v[2:3], 1, s[4:5]
	v_lshlrev_b32_e32 v4, 1, v18
	v_mov_b32_e32 v5, 0
	v_lshl_add_u64 v[2:3], v[2:3], 0, v[4:5]
	global_load_dwordx4 v[2:5], v[2:3], off
.LBB383_35:
	s_or_b64 exec, exec, s[0:1]
	v_or_b32_e32 v21, 1, v20
	v_cmp_gt_i32_e64 s[0:1], s43, v21
	v_mov_b32_e32 v7, 0
	v_mov_b32_e32 v8, 0
	;; [unrolled: 1-line block ×3, first 2 shown]
	s_and_saveexec_b64 s[2:3], s[0:1]
	s_cbranch_execz .LBB383_37
; %bb.36:
	v_mad_i64_i32 v[6:7], s[16:17], s19, v21, 0
	v_lshl_add_u64 v[6:7], v[6:7], 1, s[4:5]
	v_lshlrev_b32_e32 v8, 1, v18
	v_mov_b32_e32 v9, 0
	v_lshl_add_u64 v[6:7], v[6:7], 0, v[8:9]
	global_load_dwordx4 v[6:9], v[6:7], off
.LBB383_37:
	s_or_b64 exec, exec, s[2:3]
	v_mov_b32_e32 v17, 0
	v_mov_b32_e32 v10, 0
	;; [unrolled: 1-line block ×5, first 2 shown]
	s_and_saveexec_b64 s[2:3], vcc
	s_cbranch_execz .LBB383_39
; %bb.38:
	v_mad_i64_i32 v[10:11], s[16:17], s19, v20, 0
	v_lshl_add_u64 v[10:11], v[10:11], 1, s[4:5]
	v_lshlrev_b32_e32 v12, 1, v18
	v_mov_b32_e32 v13, 0
	v_lshl_add_u64 v[10:11], v[10:11], 0, v[12:13]
	global_load_dwordx4 v[10:13], v[10:11], off offset:128
.LBB383_39:
	s_or_b64 exec, exec, s[2:3]
	v_mov_b32_e32 v16, 0
	v_mov_b32_e32 v15, 0
	;; [unrolled: 1-line block ×3, first 2 shown]
	s_and_saveexec_b64 s[2:3], s[0:1]
	s_cbranch_execz .LBB383_41
; %bb.40:
	v_mad_i64_i32 v[14:15], s[0:1], s19, v21, 0
	v_lshl_add_u64 v[14:15], v[14:15], 1, s[4:5]
	v_lshlrev_b32_e32 v16, 1, v18
	v_mov_b32_e32 v17, 0
	v_lshl_add_u64 v[14:15], v[14:15], 0, v[16:17]
	global_load_dwordx4 v[14:17], v[14:15], off offset:128
.LBB383_41:
	s_or_b64 exec, exec, s[2:3]
	s_branch .LBB383_45
.LBB383_42:
                                        ; implicit-def: $vgpr5
                                        ; implicit-def: $vgpr9
                                        ; implicit-def: $vgpr13
                                        ; implicit-def: $vgpr17
	v_lshrrev_b32_e32 v30, 2, v43
	s_branch .LBB383_46
.LBB383_43:
                                        ; implicit-def: $vgpr5
                                        ; implicit-def: $vgpr9
                                        ; implicit-def: $vgpr13
                                        ; implicit-def: $vgpr17
	s_cbranch_execz .LBB383_45
; %bb.44:
	s_waitcnt vmcnt(0)
	v_mad_u64_u32 v[2:3], s[0:1], v20, s19, v[18:19]
	v_lshlrev_b32_e32 v20, 1, v2
	s_lshl_b32 s2, s19, 7
	s_and_b32 s1, s5, 0xffff
	s_mov_b32 s3, 0x20000
	s_mov_b32 s0, s4
	v_add_lshl_u32 v21, v2, s19, 1
	s_movk_i32 s13, 0x80
	buffer_load_dwordx4 v[2:5], v20, s[0:3], 0 offen
	buffer_load_dwordx4 v[10:13], v20, s[0:3], s13 offen
	;; [unrolled: 1-line block ×4, first 2 shown]
.LBB383_45:
	v_lshrrev_b32_e32 v30, 2, v43
	s_cbranch_execnz .LBB383_58
.LBB383_46:
	s_and_b64 vcc, exec, s[6:7]
	s_cbranch_vccz .LBB383_56
; %bb.47:
	s_waitcnt vmcnt(0)
	v_lshlrev_b32_e32 v7, 1, v23
	v_cmp_gt_i32_e32 vcc, s43, v7
	v_mov_b32_e32 v6, 0
	v_lshlrev_b32_e32 v14, 9, v23
	v_mov_b32_e32 v2, 0
	v_mov_b32_e32 v3, 0
	;; [unrolled: 1-line block ×4, first 2 shown]
	s_and_saveexec_b64 s[0:1], vcc
	s_cbranch_execz .LBB383_49
; %bb.48:
	v_mov_b32_e32 v15, 0
	v_lshl_add_u64 v[2:3], s[4:5], 0, v[14:15]
	v_lshlrev_b32_e32 v4, 1, v18
	v_mov_b32_e32 v5, v15
	v_lshl_add_u64 v[2:3], v[2:3], 0, v[4:5]
	global_load_dwordx4 v[2:5], v[2:3], off
.LBB383_49:
	s_or_b64 exec, exec, s[0:1]
	v_or_b32_e32 v7, 1, v7
	v_cmp_gt_i32_e64 s[0:1], s43, v7
	v_lshlrev_b32_e32 v20, 8, v7
	v_mov_b32_e32 v7, 0
	v_mov_b32_e32 v8, 0
	v_mov_b32_e32 v9, 0
	s_and_saveexec_b64 s[2:3], s[0:1]
	s_cbranch_execz .LBB383_51
; %bb.50:
	v_mov_b32_e32 v21, 0
	v_lshl_add_u64 v[6:7], s[4:5], 0, v[20:21]
	v_lshlrev_b32_e32 v8, 1, v18
	v_mov_b32_e32 v9, v21
	v_lshl_add_u64 v[6:7], v[6:7], 0, v[8:9]
	global_load_dwordx4 v[6:9], v[6:7], off
.LBB383_51:
	s_or_b64 exec, exec, s[2:3]
	v_mov_b32_e32 v17, 0
	v_mov_b32_e32 v10, 0
	;; [unrolled: 1-line block ×5, first 2 shown]
	s_and_saveexec_b64 s[2:3], vcc
	s_cbranch_execz .LBB383_53
; %bb.52:
	v_mov_b32_e32 v15, 0
	v_lshl_add_u64 v[10:11], s[4:5], 0, v[14:15]
	v_lshlrev_b32_e32 v14, 1, v18
	v_lshl_add_u64 v[10:11], v[10:11], 0, v[14:15]
	global_load_dwordx4 v[10:13], v[10:11], off offset:128
.LBB383_53:
	s_or_b64 exec, exec, s[2:3]
	v_mov_b32_e32 v16, 0
	v_mov_b32_e32 v15, 0
	;; [unrolled: 1-line block ×3, first 2 shown]
	s_and_saveexec_b64 s[2:3], s[0:1]
	s_cbranch_execz .LBB383_55
; %bb.54:
	v_mov_b32_e32 v21, 0
	v_lshl_add_u64 v[14:15], s[4:5], 0, v[20:21]
	v_lshlrev_b32_e32 v20, 1, v18
	v_lshl_add_u64 v[14:15], v[14:15], 0, v[20:21]
	global_load_dwordx4 v[14:17], v[14:15], off offset:128
.LBB383_55:
	s_or_b64 exec, exec, s[2:3]
	s_branch .LBB383_58
.LBB383_56:
                                        ; implicit-def: $vgpr5
                                        ; implicit-def: $vgpr9
                                        ; implicit-def: $vgpr13
                                        ; implicit-def: $vgpr17
	s_cbranch_execz .LBB383_58
; %bb.57:
	s_waitcnt vmcnt(0)
	v_lshlrev_b32_e32 v2, 1, v18
	v_lshl_or_b32 v18, v23, 9, v2
	s_and_b32 s5, s5, 0xffff
	s_mov_b32 s7, 0x20000
	s_movk_i32 s6, 0x4000
	s_movk_i32 s0, 0x80
	buffer_load_dwordx4 v[2:5], v18, s[4:7], 0 offen
	buffer_load_dwordx4 v[6:9], v18, s[4:7], 0 offen offset:256
	buffer_load_dwordx4 v[10:13], v18, s[4:7], s0 offen
	buffer_load_dwordx4 v[14:17], v18, s[4:7], s0 offen offset:256
.LBB383_58:
	ds_read_b64 v[20:21], v25 offset:32768
	v_add_u32_e32 v18, 0xb000, v24
	ds_read2_b64 v[32:35], v18 offset1:16
	ds_read_b64 v[40:41], v26 offset:32768
	ds_read_b64 v[26:27], v27 offset:32768
	;; [unrolled: 1-line block ×3, first 2 shown]
	v_and_b32_e32 v18, 6, v0
	v_xor_b32_e32 v23, v23, v18
	v_lshlrev_b32_e32 v23, 2, v23
	v_and_b32_e32 v0, 1, v0
	v_xor_b32_e32 v28, 0x440, v23
	v_cmp_eq_u32_e32 vcc, 0, v0
	s_waitcnt lgkmcnt(3)
	v_mfma_f32_16x16x16_bf16 a[0:3], v[20:21], v[32:33], a[0:3]
	s_mov_b32 s0, 0x1000504
	v_cndmask_b32_e32 v0, v28, v23, vcc
	v_lshl_or_b32 v0, v18, 10, v0
	v_mfma_f32_16x16x16_bf16 a[4:7], v[20:21], v[34:35], a[4:7]
	ds_read2st64_b64 v[32:35], v24 offset0:90 offset1:92
	ds_read2st64_b64 v[36:39], v29 offset0:90 offset1:92
	ds_read_b64 v[20:21], v24 offset:48128
	ds_read_b64 v[24:25], v29 offset:48128
	s_waitcnt vmcnt(0)
	v_perm_b32 v18, v2, v6, s0
	s_waitcnt lgkmcnt(3)
	v_mfma_f32_16x16x16_bf16 a[0:3], v[40:41], v[32:33], a[0:3]
	s_mov_b32 s1, 0x3020706
	v_perm_b32 v2, v2, v6, s1
	v_perm_b32 v6, v10, v14, s1
	s_waitcnt lgkmcnt(2)
	v_mfma_f32_16x16x16_bf16 a[4:7], v[40:41], v[36:37], a[4:7]
	v_mfma_f32_16x16x16_bf16 a[0:3], v[26:27], v[34:35], a[0:3]
	;; [unrolled: 1-line block ×3, first 2 shown]
	s_waitcnt lgkmcnt(1)
	v_mfma_f32_16x16x16_bf16 a[4:7], v[44:45], v[20:21], a[0:3]
	v_perm_b32 v20, v10, v14, s0
	ds_write2st64_b32 v0, v18, v20 offset0:32 offset1:64
	v_xor_b32_e32 v18, 8, v0
	v_add_u32_e32 v10, 0x80, v18
	ds_write2st64_b32 v10, v2, v6 offset0:32 offset1:64
	v_xor_b32_e32 v2, 16, v0
	v_perm_b32 v6, v3, v7, s0
	v_perm_b32 v10, v11, v15, s0
	ds_write2st64_b32 v2, v6, v10 offset0:33 offset1:65
	v_xor_b32_e32 v2, 24, v0
	v_perm_b32 v3, v3, v7, s1
	v_perm_b32 v6, v11, v15, s1
	v_add_u32_e32 v2, 0x80, v2
	ds_write2st64_b32 v2, v3, v6 offset0:33 offset1:65
	v_xor_b32_e32 v2, 32, v0
	v_perm_b32 v3, v4, v8, s0
	v_perm_b32 v6, v12, v16, s0
	s_waitcnt lgkmcnt(4)
	v_mfma_f32_16x16x16_bf16 a[0:3], v[44:45], v[24:25], a[8:11]
	ds_write2st64_b32 v2, v3, v6 offset0:34 offset1:66
	v_xor_b32_e32 v2, 40, v0
	v_perm_b32 v3, v4, v8, s1
	v_perm_b32 v4, v12, v16, s1
	v_add_u32_e32 v2, 0x80, v2
	ds_write2st64_b32 v2, v3, v4 offset0:34 offset1:66
	v_xor_b32_e32 v2, 48, v0
	v_perm_b32 v3, v5, v9, s0
	v_perm_b32 v4, v13, v17, s0
	v_xor_b32_e32 v0, 56, v0
	v_and_or_b32 v21, v30, 12, v1
	ds_write2st64_b32 v2, v3, v4 offset0:35 offset1:67
	v_perm_b32 v2, v5, v9, s1
	v_perm_b32 v3, v13, v17, s1
	v_add_u32_e32 v0, 0x80, v0
	v_cmp_gt_i32_e32 vcc, s43, v21
	v_mov_b32_e32 v16, 0
	v_mov_b32_e32 v18, 0
	ds_write2st64_b32 v0, v2, v3 offset0:35 offset1:67
	s_and_saveexec_b64 s[0:1], vcc
	s_cbranch_execz .LBB383_60
; %bb.59:
	v_add_u32_e32 v0, s42, v21
	v_ashrrev_i32_e32 v1, 31, v0
	v_mul_lo_u32 v2, v1, s34
	v_mul_lo_u32 v3, v0, s35
	v_mad_u64_u32 v[0:1], s[2:3], v0, s34, 0
	v_add3_u32 v1, v1, v3, v2
	v_lshl_add_u64 v[0:1], v[0:1], 2, s[10:11]
	global_load_dword v0, v[0:1], off
	s_waitcnt vmcnt(0)
	v_sub_f32_e32 v0, s12, v0
	v_mul_f32_e32 v0, 0x3fb8aa3b, v0
	v_exp_f32_e32 v18, v0
.LBB383_60:
	s_or_b64 exec, exec, s[0:1]
	v_or_b32_e32 v10, 1, v21
	v_cmp_gt_i32_e64 s[0:1], s43, v10
	s_and_saveexec_b64 s[2:3], s[0:1]
	s_cbranch_execz .LBB383_62
; %bb.61:
	v_add_u32_e32 v0, s42, v10
	v_ashrrev_i32_e32 v1, 31, v0
	v_mul_lo_u32 v2, v1, s34
	v_mul_lo_u32 v3, v0, s35
	v_mad_u64_u32 v[0:1], s[4:5], v0, s34, 0
	v_add3_u32 v1, v1, v3, v2
	v_lshl_add_u64 v[0:1], v[0:1], 2, s[10:11]
	global_load_dword v0, v[0:1], off
	s_waitcnt vmcnt(0)
	v_sub_f32_e32 v0, s12, v0
	v_mul_f32_e32 v0, 0x3fb8aa3b, v0
	v_exp_f32_e32 v16, v0
.LBB383_62:
	s_or_b64 exec, exec, s[2:3]
	v_or_b32_e32 v12, 2, v21
	v_cmp_gt_i32_e64 s[2:3], s43, v12
	v_mov_b32_e32 v17, 0
	v_mov_b32_e32 v20, 0
	s_and_saveexec_b64 s[4:5], s[2:3]
	s_cbranch_execz .LBB383_64
; %bb.63:
	v_add_u32_e32 v0, s42, v12
	v_ashrrev_i32_e32 v1, 31, v0
	v_mul_lo_u32 v2, v1, s34
	v_mul_lo_u32 v3, v0, s35
	v_mad_u64_u32 v[0:1], s[6:7], v0, s34, 0
	v_add3_u32 v1, v1, v3, v2
	v_lshl_add_u64 v[0:1], v[0:1], 2, s[10:11]
	global_load_dword v0, v[0:1], off
	s_waitcnt vmcnt(0)
	v_sub_f32_e32 v0, s12, v0
	v_mul_f32_e32 v0, 0x3fb8aa3b, v0
	v_exp_f32_e32 v20, v0
.LBB383_64:
	s_or_b64 exec, exec, s[4:5]
	v_or_b32_e32 v14, 3, v21
	v_cmp_gt_i32_e64 s[4:5], s43, v14
	s_and_saveexec_b64 s[6:7], s[4:5]
	s_cbranch_execz .LBB383_66
; %bb.65:
	v_add_u32_e32 v0, s42, v14
	v_ashrrev_i32_e32 v1, 31, v0
	v_mul_lo_u32 v2, v1, s34
	v_mul_lo_u32 v3, v0, s35
	v_mad_u64_u32 v[0:1], s[16:17], v0, s34, 0
	v_add3_u32 v1, v1, v3, v2
	v_lshl_add_u64 v[0:1], v[0:1], 2, s[10:11]
	global_load_dword v0, v[0:1], off
	s_waitcnt vmcnt(0)
	v_sub_f32_e32 v0, s12, v0
	v_mul_f32_e32 v0, 0x3fb8aa3b, v0
	v_exp_f32_e32 v17, v0
.LBB383_66:
	s_or_b64 exec, exec, s[6:7]
	s_add_u32 s6, s8, s28
	v_or_b32_e32 v4, s36, v42
	s_addc_u32 s7, s9, s29
	s_add_u32 s8, s14, s28
	v_ashrrev_i32_e32 v5, 31, v4
	v_accvgpr_read_b32 v0, a4
	s_addc_u32 s9, s15, s29
	v_lshlrev_b64 v[4:5], 1, v[4:5]
	v_accvgpr_read_b32 v1, a5
	v_accvgpr_read_b32 v2, a6
	;; [unrolled: 1-line block ×3, first 2 shown]
	v_lshl_add_u64 v[6:7], s[6:7], 0, v[4:5]
	v_lshl_add_u64 v[4:5], s[8:9], 0, v[4:5]
	v_mov_b32_e32 v11, 0
	v_lshlrev_b32_e32 v8, 8, v21
	v_mov_b32_e32 v9, 0
	s_and_saveexec_b64 s[6:7], vcc
	s_cbranch_execz .LBB383_68
; %bb.67:
	v_mov_b32_e32 v9, 0
	v_lshl_add_u64 v[24:25], v[6:7], 0, v[8:9]
	global_load_ushort v13, v[24:25], off
	v_lshl_add_u64 v[24:25], v[4:5], 0, v[8:9]
	s_waitcnt vmcnt(0)
	v_lshlrev_b32_e32 v9, 16, v13
	v_sub_f32_e32 v0, v9, v0
	global_store_short_d16_hi v[24:25], v0, off
	v_mul_f32_e32 v0, v18, v0
	v_lshrrev_b32_e32 v9, 16, v0
.LBB383_68:
	s_or_b64 exec, exec, s[6:7]
	v_lshlrev_b32_e32 v10, 8, v10
	s_and_saveexec_b64 s[6:7], s[0:1]
	s_cbranch_execz .LBB383_70
; %bb.69:
	v_mov_b32_e32 v11, 0
	v_lshl_add_u64 v[24:25], v[6:7], 0, v[10:11]
	global_load_ushort v0, v[24:25], off
	v_lshl_add_u64 v[24:25], v[4:5], 0, v[10:11]
	s_waitcnt vmcnt(0)
	v_lshlrev_b32_e32 v0, 16, v0
	v_sub_f32_e32 v0, v0, v1
	global_store_short_d16_hi v[24:25], v0, off
	v_mul_f32_e32 v0, v16, v0
	v_lshrrev_b32_e32 v11, 16, v0
.LBB383_70:
	s_or_b64 exec, exec, s[6:7]
	v_mov_b32_e32 v15, 0
	v_lshlrev_b32_e32 v12, 8, v12
	v_mov_b32_e32 v13, 0
	s_and_saveexec_b64 s[6:7], s[2:3]
	s_cbranch_execz .LBB383_72
; %bb.71:
	v_mov_b32_e32 v13, 0
	v_lshl_add_u64 v[0:1], v[6:7], 0, v[12:13]
	global_load_ushort v23, v[0:1], off
	v_lshl_add_u64 v[0:1], v[4:5], 0, v[12:13]
	s_waitcnt vmcnt(0)
	v_lshlrev_b32_e32 v13, 16, v23
	v_sub_f32_e32 v2, v13, v2
	global_store_short_d16_hi v[0:1], v2, off
	v_mul_f32_e32 v0, v20, v2
	v_lshrrev_b32_e32 v13, 16, v0
.LBB383_72:
	s_or_b64 exec, exec, s[6:7]
	v_lshlrev_b32_e32 v14, 8, v14
	s_and_saveexec_b64 s[6:7], s[4:5]
	s_cbranch_execz .LBB383_74
; %bb.73:
	v_mov_b32_e32 v15, 0
	v_lshl_add_u64 v[0:1], v[6:7], 0, v[14:15]
	global_load_ushort v2, v[0:1], off
	v_lshl_add_u64 v[0:1], v[4:5], 0, v[14:15]
	s_waitcnt vmcnt(0)
	v_lshlrev_b32_e32 v2, 16, v2
	v_sub_f32_e32 v2, v2, v3
	global_store_short_d16_hi v[0:1], v2, off
	v_mul_f32_e32 v0, v17, v2
	v_lshrrev_b32_e32 v15, 16, v0
.LBB383_74:
	s_or_b64 exec, exec, s[6:7]
	v_lshlrev_b32_e32 v21, 5, v21
	s_mov_b32 s6, 0x5040100
	v_perm_b32 v24, v11, v9, s6
	v_or_b32_e32 v9, v21, v22
	v_accvgpr_read_b32 v0, a0
	v_perm_b32 v25, v15, v13, s6
	v_lshlrev_b32_e32 v9, 1, v9
	v_accvgpr_read_b32 v1, a1
	v_accvgpr_read_b32 v2, a2
	;; [unrolled: 1-line block ×3, first 2 shown]
	ds_write_b64 v9, v[24:25] offset:45056
	v_mov_b32_e32 v11, 0
	v_mov_b32_e32 v9, 0
	s_and_saveexec_b64 s[6:7], vcc
	s_cbranch_execz .LBB383_76
; %bb.75:
	v_mov_b32_e32 v9, 0
	v_lshl_add_u64 v[22:23], v[6:7], 0, v[8:9]
	global_load_ushort v13, v[22:23], off offset:32
	v_lshl_add_u64 v[8:9], v[4:5], 0, v[8:9]
	s_waitcnt vmcnt(0)
	v_lshlrev_b32_e32 v13, 16, v13
	v_sub_f32_e32 v0, v13, v0
	global_store_short_d16_hi v[8:9], v0, off offset:32
	v_mul_f32_e32 v0, v18, v0
	v_lshrrev_b32_e32 v9, 16, v0
.LBB383_76:
	s_or_b64 exec, exec, s[6:7]
	s_and_saveexec_b64 s[6:7], s[0:1]
	s_cbranch_execz .LBB383_78
; %bb.77:
	v_mov_b32_e32 v11, 0
	v_lshl_add_u64 v[22:23], v[6:7], 0, v[10:11]
	global_load_ushort v0, v[22:23], off offset:32
	v_lshl_add_u64 v[10:11], v[4:5], 0, v[10:11]
	s_waitcnt vmcnt(0)
	v_lshlrev_b32_e32 v0, 16, v0
	v_sub_f32_e32 v0, v0, v1
	global_store_short_d16_hi v[10:11], v0, off offset:32
	v_mul_f32_e32 v0, v16, v0
	v_lshrrev_b32_e32 v11, 16, v0
.LBB383_78:
	s_or_b64 exec, exec, s[6:7]
	v_mov_b32_e32 v0, 0
	v_mov_b32_e32 v1, 0
	s_and_saveexec_b64 s[0:1], s[2:3]
	s_cbranch_execz .LBB383_80
; %bb.79:
	v_mov_b32_e32 v13, 0
	v_lshl_add_u64 v[22:23], v[6:7], 0, v[12:13]
	global_load_ushort v1, v[22:23], off offset:32
	v_lshl_add_u64 v[12:13], v[4:5], 0, v[12:13]
	s_waitcnt vmcnt(0)
	v_lshlrev_b32_e32 v1, 16, v1
	v_sub_f32_e32 v1, v1, v2
	global_store_short_d16_hi v[12:13], v1, off offset:32
	v_mul_f32_e32 v1, v20, v1
	v_lshrrev_b32_e32 v1, 16, v1
.LBB383_80:
	s_or_b64 exec, exec, s[0:1]
	s_and_saveexec_b64 s[0:1], s[4:5]
	s_cbranch_execz .LBB383_82
; %bb.81:
	v_mov_b32_e32 v15, 0
	v_lshl_add_u64 v[6:7], v[6:7], 0, v[14:15]
	global_load_ushort v0, v[6:7], off offset:32
	v_lshl_add_u64 v[4:5], v[4:5], 0, v[14:15]
	s_waitcnt vmcnt(0)
	v_lshlrev_b32_e32 v0, 16, v0
	v_sub_f32_e32 v0, v0, v3
	global_store_short_d16_hi v[4:5], v0, off offset:32
	v_mul_f32_e32 v0, v17, v0
	v_lshrrev_b32_e32 v0, 16, v0
.LBB383_82:
	s_or_b64 exec, exec, s[0:1]
	s_mov_b32 s0, 0x5040100
	v_or_b32_e32 v2, v21, v19
	v_perm_b32 v1, v0, v1, s0
	v_perm_b32 v0, v11, v9, s0
	v_lshlrev_b32_e32 v2, 1, v2
	ds_write_b64 v2, v[0:1] offset:45056
	s_waitcnt lgkmcnt(0)
	s_barrier
.LBB383_83:
	s_endpgm
	.section	.rodata,"a",@progbits
	.p2align	6, 0x0
	.amdhsa_kernel _ZN12_GLOBAL__N_139chunk_gated_delta_rule_fwd_h_hip_kernelILi32ELb0ELb0ELb1ELb0ELb0ELb0ELb0ELb1EEEvPK12hip_bfloat16S3_S3_PKfS5_PKvPS1_S8_PvPKiSB_iiiiilll
		.amdhsa_group_segment_fixed_size 49152
		.amdhsa_private_segment_fixed_size 0
		.amdhsa_kernarg_size 136
		.amdhsa_user_sgpr_count 2
		.amdhsa_user_sgpr_dispatch_ptr 0
		.amdhsa_user_sgpr_queue_ptr 0
		.amdhsa_user_sgpr_kernarg_segment_ptr 1
		.amdhsa_user_sgpr_dispatch_id 0
		.amdhsa_user_sgpr_kernarg_preload_length 0
		.amdhsa_user_sgpr_kernarg_preload_offset 0
		.amdhsa_user_sgpr_private_segment_size 0
		.amdhsa_uses_dynamic_stack 0
		.amdhsa_enable_private_segment 0
		.amdhsa_system_sgpr_workgroup_id_x 1
		.amdhsa_system_sgpr_workgroup_id_y 1
		.amdhsa_system_sgpr_workgroup_id_z 0
		.amdhsa_system_sgpr_workgroup_info 0
		.amdhsa_system_vgpr_workitem_id 0
		.amdhsa_next_free_vgpr 156
		.amdhsa_next_free_sgpr 66
		.amdhsa_accum_offset 136
		.amdhsa_reserve_vcc 1
		.amdhsa_float_round_mode_32 0
		.amdhsa_float_round_mode_16_64 0
		.amdhsa_float_denorm_mode_32 3
		.amdhsa_float_denorm_mode_16_64 3
		.amdhsa_dx10_clamp 1
		.amdhsa_ieee_mode 1
		.amdhsa_fp16_overflow 0
		.amdhsa_tg_split 0
		.amdhsa_exception_fp_ieee_invalid_op 0
		.amdhsa_exception_fp_denorm_src 0
		.amdhsa_exception_fp_ieee_div_zero 0
		.amdhsa_exception_fp_ieee_overflow 0
		.amdhsa_exception_fp_ieee_underflow 0
		.amdhsa_exception_fp_ieee_inexact 0
		.amdhsa_exception_int_div_zero 0
	.end_amdhsa_kernel
	.section	.text._ZN12_GLOBAL__N_139chunk_gated_delta_rule_fwd_h_hip_kernelILi32ELb0ELb0ELb1ELb0ELb0ELb0ELb0ELb1EEEvPK12hip_bfloat16S3_S3_PKfS5_PKvPS1_S8_PvPKiSB_iiiiilll,"axG",@progbits,_ZN12_GLOBAL__N_139chunk_gated_delta_rule_fwd_h_hip_kernelILi32ELb0ELb0ELb1ELb0ELb0ELb0ELb0ELb1EEEvPK12hip_bfloat16S3_S3_PKfS5_PKvPS1_S8_PvPKiSB_iiiiilll,comdat
.Lfunc_end383:
	.size	_ZN12_GLOBAL__N_139chunk_gated_delta_rule_fwd_h_hip_kernelILi32ELb0ELb0ELb1ELb0ELb0ELb0ELb0ELb1EEEvPK12hip_bfloat16S3_S3_PKfS5_PKvPS1_S8_PvPKiSB_iiiiilll, .Lfunc_end383-_ZN12_GLOBAL__N_139chunk_gated_delta_rule_fwd_h_hip_kernelILi32ELb0ELb0ELb1ELb0ELb0ELb0ELb0ELb1EEEvPK12hip_bfloat16S3_S3_PKfS5_PKvPS1_S8_PvPKiSB_iiiiilll
                                        ; -- End function
	.section	.AMDGPU.csdata,"",@progbits
; Kernel info:
; codeLenInByte = 8756
; NumSgprs: 72
; NumVgprs: 134
; NumAgprs: 20
; TotalNumVgprs: 156
; ScratchSize: 0
; MemoryBound: 0
; FloatMode: 240
; IeeeMode: 1
; LDSByteSize: 49152 bytes/workgroup (compile time only)
; SGPRBlocks: 8
; VGPRBlocks: 19
; NumSGPRsForWavesPerEU: 72
; NumVGPRsForWavesPerEU: 156
; AccumOffset: 136
; Occupancy: 1
; WaveLimiterHint : 1
; COMPUTE_PGM_RSRC2:SCRATCH_EN: 0
; COMPUTE_PGM_RSRC2:USER_SGPR: 2
; COMPUTE_PGM_RSRC2:TRAP_HANDLER: 0
; COMPUTE_PGM_RSRC2:TGID_X_EN: 1
; COMPUTE_PGM_RSRC2:TGID_Y_EN: 1
; COMPUTE_PGM_RSRC2:TGID_Z_EN: 0
; COMPUTE_PGM_RSRC2:TIDIG_COMP_CNT: 0
; COMPUTE_PGM_RSRC3_GFX90A:ACCUM_OFFSET: 33
; COMPUTE_PGM_RSRC3_GFX90A:TG_SPLIT: 0
	.section	.text._ZN12_GLOBAL__N_139chunk_gated_delta_rule_fwd_h_hip_kernelILi32ELb0ELb0ELb0ELb0ELb0ELb0ELb0ELb1EEEvPK12hip_bfloat16S3_S3_PKfS5_PKvPS1_S8_PvPKiSB_iiiiilll,"axG",@progbits,_ZN12_GLOBAL__N_139chunk_gated_delta_rule_fwd_h_hip_kernelILi32ELb0ELb0ELb0ELb0ELb0ELb0ELb0ELb1EEEvPK12hip_bfloat16S3_S3_PKfS5_PKvPS1_S8_PvPKiSB_iiiiilll,comdat
	.globl	_ZN12_GLOBAL__N_139chunk_gated_delta_rule_fwd_h_hip_kernelILi32ELb0ELb0ELb0ELb0ELb0ELb0ELb0ELb1EEEvPK12hip_bfloat16S3_S3_PKfS5_PKvPS1_S8_PvPKiSB_iiiiilll ; -- Begin function _ZN12_GLOBAL__N_139chunk_gated_delta_rule_fwd_h_hip_kernelILi32ELb0ELb0ELb0ELb0ELb0ELb0ELb0ELb1EEEvPK12hip_bfloat16S3_S3_PKfS5_PKvPS1_S8_PvPKiSB_iiiiilll
	.p2align	8
	.type	_ZN12_GLOBAL__N_139chunk_gated_delta_rule_fwd_h_hip_kernelILi32ELb0ELb0ELb0ELb0ELb0ELb0ELb0ELb1EEEvPK12hip_bfloat16S3_S3_PKfS5_PKvPS1_S8_PvPKiSB_iiiiilll,@function
_ZN12_GLOBAL__N_139chunk_gated_delta_rule_fwd_h_hip_kernelILi32ELb0ELb0ELb0ELb0ELb0ELb0ELb0ELb1EEEvPK12hip_bfloat16S3_S3_PKfS5_PKvPS1_S8_PvPKiSB_iiiiilll: ; @_ZN12_GLOBAL__N_139chunk_gated_delta_rule_fwd_h_hip_kernelILi32ELb0ELb0ELb0ELb0ELb0ELb0ELb0ELb1EEEvPK12hip_bfloat16S3_S3_PKfS5_PKvPS1_S8_PvPKiSB_iiiiilll
; %bb.0:
	s_load_dwordx4 s[12:15], s[0:1], 0x5c
	s_load_dwordx2 s[36:37], s[0:1], 0x30
	s_abs_i32 s18, s3
	s_ashr_i32 s17, s3, 31
	s_load_dwordx8 s[4:11], s[0:1], 0x0
	s_waitcnt lgkmcnt(0)
	s_abs_i32 s16, s13
	v_cvt_f32_u32_e32 v1, s16
	s_sub_i32 s20, 0, s16
	s_ashr_i32 s19, s13, 31
	s_xor_b32 s17, s17, s19
	v_rcp_iflag_f32_e32 v1, v1
	v_lshrrev_b32_e32 v42, 6, v0
	v_bfe_u32 v43, v0, 4, 2
	v_lshlrev_b32_e32 v2, 2, v43
	v_mul_f32_e32 v1, 0x4f7ffffe, v1
	v_cvt_u32_f32_e32 v1, v1
	v_and_b32_e32 v41, 63, v0
	v_and_b32_e32 v40, 15, v0
	v_mov_b32_e32 v3, 0
	v_readfirstlane_b32 s21, v1
	s_mul_i32 s20, s20, s21
	s_mul_hi_u32 s20, s21, s20
	s_add_i32 s21, s21, s20
	s_mul_hi_u32 s20, s18, s21
	s_mul_i32 s21, s20, s16
	s_sub_i32 s18, s18, s21
	s_add_i32 s22, s20, 1
	s_sub_i32 s21, s18, s16
	s_cmp_ge_u32 s18, s16
	s_cselect_b32 s20, s22, s20
	s_cselect_b32 s18, s21, s18
	s_add_i32 s21, s20, 1
	s_cmp_ge_u32 s18, s16
	s_cselect_b32 s18, s21, s20
	s_xor_b32 s18, s18, s17
	s_sub_i32 s45, s18, s17
	s_abs_i32 s17, s14
	v_cvt_f32_u32_e32 v1, s17
	s_add_i32 s20, s12, 63
	s_mul_i32 s43, s45, s13
	s_sub_i32 s33, s3, s43
	v_rcp_iflag_f32_e32 v1, v1
	s_ashr_i32 s3, s20, 31
	s_ashr_i32 s44, s12, 31
	s_lshr_b32 s3, s3, 26
	v_mul_f32_e32 v1, 0x4f7ffffe, v1
	v_cvt_u32_f32_e32 v1, v1
	s_lshr_b32 s18, s44, 26
	s_add_i32 s20, s20, s3
	s_add_i32 s18, s12, s18
	s_ashr_i32 s47, s14, 31
	s_ashr_i32 s3, s20, 6
	;; [unrolled: 1-line block ×3, first 2 shown]
	s_xor_b32 s18, s19, s47
	s_sub_i32 s19, 0, s17
	v_readfirstlane_b32 s20, v1
	s_mul_i32 s19, s19, s20
	s_mul_hi_u32 s19, s20, s19
	s_add_i32 s20, s20, s19
	s_mul_hi_u32 s19, s16, s20
	s_mul_i32 s20, s19, s17
	s_sub_i32 s16, s16, s20
	s_add_i32 s20, s19, 1
	s_sub_i32 s21, s16, s17
	s_cmp_ge_u32 s16, s17
	s_cselect_b32 s19, s20, s19
	s_cselect_b32 s16, s21, s16
	s_add_i32 s20, s19, 1
	s_cmp_ge_u32 s16, s17
	s_cselect_b32 s16, s20, s19
	s_xor_b32 s16, s16, s18
	s_sub_i32 s20, s16, s18
	s_abs_i32 s21, s20
	v_cvt_f32_u32_e32 v1, s21
	s_load_dwordx2 s[28:29], s[0:1], 0x80
	s_load_dwordx4 s[16:19], s[0:1], 0x70
	s_xor_b32 s0, s33, s20
	s_sub_i32 s20, 0, s21
	v_rcp_iflag_f32_e32 v1, v1
	s_abs_i32 s1, s33
	s_ashr_i32 s0, s0, 31
	s_mul_i32 s48, s45, s3
	v_mul_f32_e32 v1, 0x4f7ffffe, v1
	v_cvt_u32_f32_e32 v1, v1
	s_mul_hi_i32 s49, s45, s13
	v_lshrrev_b32_e32 v45, 3, v41
	v_lshlrev_b32_e32 v44, 3, v0
	v_readfirstlane_b32 s22, v1
	s_mul_i32 s20, s20, s22
	s_mul_hi_u32 s20, s22, s20
	s_add_i32 s22, s22, s20
	s_mul_hi_u32 s20, s1, s22
	s_mul_i32 s22, s20, s21
	s_sub_i32 s1, s1, s22
	s_add_i32 s22, s20, 1
	s_sub_i32 s23, s1, s21
	s_cmp_ge_u32 s1, s21
	s_cselect_b32 s20, s22, s20
	s_cselect_b32 s1, s23, s1
	s_add_i32 s22, s20, 1
	s_cmp_ge_u32 s1, s21
	s_cselect_b32 s1, s22, s20
	s_xor_b32 s1, s1, s0
	v_lshlrev_b32_e32 v1, 4, v42
	s_sub_i32 s50, s1, s0
	v_or_b32_e32 v46, v2, v1
	s_lshl_b32 s30, s2, 5
	v_or_b32_e32 v47, 64, v46
	s_cmp_lt_i32 s12, 64
	s_waitcnt lgkmcnt(0)
	s_mul_i32 s17, s45, s17
	s_mul_hi_u32 s42, s45, s16
	s_mul_i32 s34, s45, s16
	v_mov_b32_e32 v62, 0
	v_mov_b32_e32 v60, 0
	;; [unrolled: 1-line block ×15, first 2 shown]
	s_cbranch_scc1 .LBB384_18
; %bb.1:
	s_ashr_i32 s24, s45, 31
	s_ashr_i32 s52, s33, 31
	s_add_u32 s0, s43, s33
	s_addc_u32 s1, s49, s52
	s_mul_i32 s1, s12, s1
	s_mul_hi_u32 s2, s12, s0
	s_add_i32 s3, s2, s1
	s_mul_i32 s2, s12, s0
	s_lshl_b64 s[0:1], s[2:3], 8
	v_and_b32_e32 v49, 56, v44
	s_add_u32 s20, s6, s0
	v_lshl_or_b32 v48, v42, 3, v45
	v_lshlrev_b32_e32 v3, 1, v49
	s_addc_u32 s0, s7, s1
	v_lshl_or_b32 v50, v48, 8, v3
	s_and_b32 s21, s0, 0xffff
	s_mov_b32 s23, 0x20000
	s_movk_i32 s22, 0x4000
	s_movk_i32 s0, 0x80
	v_or_b32_e32 v51, 0x2000, v50
	buffer_load_dwordx4 v[4:7], v50, s[20:23], 0 offen
	buffer_load_dwordx4 v[8:11], v50, s[20:23], s0 offen
	;; [unrolled: 1-line block ×4, first 2 shown]
	v_lshlrev_b32_e32 v20, 3, v48
	v_and_or_b32 v22, v0, 7, v20
	v_and_b32_e32 v20, 0x78, v20
	v_lshlrev_b32_e32 v22, 4, v22
	v_xor_b32_e32 v52, v22, v20
	v_mul_lo_u32 v21, v48, s15
	v_or_b32_e32 v53, 0x1000, v52
	s_cmpk_eq_i32 s15, 0x80
	s_mov_b32 s51, s14
	v_xor_b32_e32 v20, 8, v52
	v_xor_b32_e32 v22, 8, v53
	s_cselect_b64 s[0:1], -1, 0
	s_cmpk_lg_i32 s15, 0x80
	s_waitcnt vmcnt(3)
	ds_write_b64 v52, v[4:5] offset:24576
	ds_write_b64 v20, v[6:7] offset:24576
	s_waitcnt vmcnt(2)
	ds_write_b64 v52, v[8:9] offset:32768
	ds_write_b64 v20, v[10:11] offset:32768
	;; [unrolled: 3-line block ×4, first 2 shown]
	v_lshl_add_u32 v4, v21, 1, v49
	s_cbranch_scc0 .LBB384_3
; %bb.2:
	v_lshlrev_b32_e32 v6, 1, v4
	v_add_lshl_u32 v5, v4, s15, 1
	s_lshl_b32 s22, s15, 7
	v_lshl_or_b32 v3, v48, 9, v3
	s_cbranch_execz .LBB384_4
	s_branch .LBB384_5
.LBB384_3:
                                        ; implicit-def: $vgpr5
                                        ; implicit-def: $vgpr6
                                        ; implicit-def: $sgpr22
	v_lshl_or_b32 v3, v48, 9, v3
.LBB384_4:
	v_or_b32_e32 v5, 0x100, v3
	s_movk_i32 s22, 0x4000
	v_mov_b32_e32 v6, v3
.LBB384_5:
	s_mul_hi_u32 s20, s14, s12
	s_mul_i32 s21, s47, s12
	s_add_i32 s20, s20, s21
	s_mul_i32 s21, s14, s12
	s_mul_i32 s23, s21, s24
	s_mul_hi_u32 s25, s21, s45
	s_add_i32 s23, s25, s23
	s_mul_i32 s20, s20, s45
	s_add_i32 s23, s23, s20
	s_mul_i32 s21, s21, s45
	s_ashr_i32 s53, s50, 31
	s_add_u32 s20, s21, s50
	s_addc_u32 s21, s23, s53
	s_lshl_b64 s[20:21], s[20:21], 8
	s_add_u32 s20, s4, s20
	s_addc_u32 s21, s5, s21
	s_and_b32 s21, s21, 0xffff
	s_mov_b32 s23, 0x20000
	s_movk_i32 s54, 0x80
	buffer_load_dwordx4 v[8:11], v6, s[20:23], 0 offen
	buffer_load_dwordx4 v[12:15], v6, s[20:23], s54 offen
	;; [unrolled: 1-line block ×4, first 2 shown]
	v_and_b32_e32 v5, 6, v0
	v_lshlrev_b32_e32 v24, 6, v46
	v_or_b32_e32 v26, 16, v40
	v_xor_b32_e32 v27, v48, v5
	v_and_b32_e32 v6, 1, v0
	s_mul_i32 s20, s24, s12
	s_mul_hi_u32 s21, s45, s12
	v_lshl_or_b32 v30, v40, 3, v24
	v_lshl_or_b32 v24, v26, 3, v24
	v_lshlrev_b32_e32 v27, 2, v27
	v_lshlrev_b32_e32 v7, 2, v40
	v_or_b32_e32 v56, 0xa000, v24
	v_or_b32_e32 v57, 0xb000, v24
	v_xor_b32_e32 v24, 0x440, v27
	v_cmp_eq_u32_e32 vcc, 0, v6
	s_add_i32 s59, s21, s20
	s_add_i32 s20, s42, s17
	s_mul_i32 s24, s24, s16
	v_xor_b32_e32 v28, v46, v7
	v_xor_b32_e32 v29, v47, v7
	v_cndmask_b32_e32 v6, v24, v27, vcc
	s_add_i32 s35, s20, s24
	s_mul_i32 s20, s33, s19
	s_mul_hi_u32 s21, s33, s18
	s_mov_b32 s56, 0x1000504
	v_lshlrev_b32_e32 v25, 8, v40
	v_lshlrev_b32_e32 v28, 1, v28
	;; [unrolled: 1-line block ×3, first 2 shown]
	v_lshl_or_b32 v5, v5, 10, v6
	s_add_i32 s20, s21, s20
	s_mul_i32 s21, s52, s18
	s_mov_b32 s57, 0x3020706
	v_or_b32_e32 v54, 0xa000, v30
	v_or_b32_e32 v55, 0xb000, v30
	;; [unrolled: 1-line block ×4, first 2 shown]
	v_xor_b32_e32 v6, 8, v5
	v_xor_b32_e32 v25, 24, v5
	;; [unrolled: 1-line block ×4, first 2 shown]
	s_add_i32 s21, s20, s21
	s_lshl_b64 s[24:25], s[34:35], 2
	v_xor_b32_e32 v24, 16, v5
	v_xor_b32_e32 v27, 32, v5
	;; [unrolled: 1-line block ×3, first 2 shown]
	v_add_u32_e32 v6, 0x80, v6
	v_add_u32_e32 v25, 0x80, v25
	;; [unrolled: 1-line block ×4, first 2 shown]
	s_mul_i32 s20, s33, s18
	s_add_u32 s22, s10, s24
	s_addc_u32 s24, s11, s25
	s_lshl_b64 s[20:21], s[20:21], 2
	s_add_u32 s38, s22, s20
	s_movk_i32 s20, 0xf8
	s_addc_u32 s39, s24, s21
	s_ashr_i32 s31, s30, 31
	s_lshl_b32 s26, s15, 7
	s_movk_i32 s24, 0x100
	v_mov_b32_e32 v35, 0
	v_cmp_gt_u32_e32 vcc, s24, v0
	s_mov_b32 s55, 0
	s_mul_i32 s58, s45, s12
	s_movk_i32 s35, 0x1000
	s_movk_i32 s22, 0x4000
	v_add_u32_e32 v91, v1, v2
	v_mov_b32_e32 v92, 0x3fb8aa3b
	s_mov_b32 s61, 0
	v_mov_b32_e32 v72, v35
	v_mov_b32_e32 v71, v35
	;; [unrolled: 1-line block ×10, first 2 shown]
	s_waitcnt vmcnt(1)
	v_perm_b32 v33, v8, v16, s56
	s_waitcnt vmcnt(0)
	v_perm_b32 v34, v12, v20, s56
	v_perm_b32 v8, v8, v16, s57
	;; [unrolled: 1-line block ×15, first 2 shown]
	ds_write2st64_b32 v5, v33, v34 offset0:32 offset1:64
	ds_write2st64_b32 v6, v8, v12 offset0:32 offset1:64
	;; [unrolled: 1-line block ×8, first 2 shown]
	v_lshlrev_b32_e32 v5, 8, v26
	v_or_b32_e32 v66, v5, v28
	v_or_b32_e32 v67, v5, v29
	;; [unrolled: 1-line block ×3, first 2 shown]
	v_lshlrev_b32_e32 v5, 3, v5
	v_lshrrev_b32_e32 v8, 5, v41
	v_and_or_b32 v8, v5, s20, v8
	v_lshlrev_b32_e32 v8, 4, v8
	v_lshlrev_b32_e32 v9, 11, v42
	v_and_b32_e32 v5, 0x78, v5
	v_or_b32_e32 v13, 32, v8
	v_and_b32_e32 v6, 0x1000, v9
	v_lshrrev_b32_e32 v11, 1, v0
	v_xor_b32_e32 v13, v13, v5
	v_and_b32_e32 v12, 8, v11
	v_or_b32_e32 v13, v13, v6
	v_xor_b32_e32 v10, v8, v5
	v_xor_b32_e32 v76, v13, v12
	v_or_b32_e32 v13, 64, v8
	v_or_b32_e32 v8, 0x60, v8
	v_xor_b32_e32 v13, v13, v5
	v_xor_b32_e32 v5, v8, v5
	v_or_b32_e32 v10, v10, v6
	v_or_b32_e32 v13, v13, v6
	;; [unrolled: 1-line block ×3, first 2 shown]
	s_lshl_b64 s[20:21], s[30:31], 8
	v_xor_b32_e32 v74, v10, v12
	v_xor_b32_e32 v78, v13, v12
	;; [unrolled: 1-line block ×3, first 2 shown]
	v_lshlrev_b32_e32 v12, 1, v4
	v_add_lshl_u32 v13, v4, s15, 1
	s_add_u32 s20, s36, s20
	v_lshlrev_b32_e32 v4, 1, v40
	v_lshrrev_b32_e32 v15, 4, v0
	s_addc_u32 s21, s37, s21
	v_or_b32_e32 v5, 1, v4
	v_lshlrev_b32_e32 v34, 4, v40
	v_mov_b32_e32 v19, 0x4000
	v_mov_b32_e32 v20, 0x2000
	v_xor_b32_e32 v16, v15, v4
	v_xor_b32_e32 v17, v5, v15
	v_lshl_add_u64 v[4:5], s[20:21], 0, v[34:35]
	v_lshlrev_b32_e32 v34, 8, v15
	v_cndmask_b32_e32 v19, v19, v20, vcc
	v_lshlrev_b32_e32 v20, 3, v42
	v_and_b32_e32 v11, 24, v11
	v_lshl_or_b32 v82, v16, 3, v34
	v_and_b32_e32 v16, 8, v0
	v_xor_b32_e32 v21, v20, v11
	v_or_b32_e32 v22, 0x440, v21
	v_cmp_eq_u32_e32 vcc, 0, v16
	v_and_b32_e32 v15, 7, v0
	v_lshlrev_b32_e32 v10, 7, v43
	v_cndmask_b32_e32 v16, v22, v21, vcc
	v_lshl_or_b32 v83, v17, 3, v34
	v_lshlrev_b32_e32 v17, 3, v15
	v_lshlrev_b32_e32 v15, 7, v15
	;; [unrolled: 1-line block ×3, first 2 shown]
	v_or_b32_e32 v16, v16, v9
	v_or_b32_e32 v7, v10, v7
	v_xad_u32 v84, v16, v17, v15
	v_and_or_b32 v10, v18, 60, v10
	v_mov_b32_e32 v16, 0xb000
	v_lshl_or_b32 v85, v10, 1, v16
	v_or_b32_e32 v10, 32, v11
	v_xor_b32_e32 v10, v20, v10
	v_or_b32_e32 v16, 0x440, v10
	v_cndmask_b32_e32 v10, v16, v10, vcc
	v_or_b32_e32 v10, v10, v9
	v_xad_u32 v86, v10, v17, v15
	v_or_b32_e32 v10, 64, v11
	v_xor_b32_e32 v10, v20, v10
	v_xor_b32_e32 v16, 0x440, v10
	v_cndmask_b32_e32 v10, v16, v10, vcc
	v_or_b32_e32 v10, v10, v9
	v_xad_u32 v87, v10, v17, v15
	v_or_b32_e32 v10, 0x60, v11
	v_xor_b32_e32 v10, v20, v10
	v_xor_b32_e32 v11, 0x440, v10
	v_cndmask_b32_e32 v10, v11, v10, vcc
	v_lshlrev_b32_e32 v7, 1, v7
	v_or_b32_e32 v6, s30, v40
	v_or_b32_e32 v9, v10, v9
	;; [unrolled: 1-line block ×6, first 2 shown]
	v_lshlrev_b32_e32 v8, 7, v46
	v_ashrrev_i32_e32 v7, 31, v6
	v_or_b32_e32 v14, 0x100, v3
	v_xad_u32 v88, v9, v17, v15
	v_cndmask_b32_e64 v89, v12, v3, s[0:1]
	v_cndmask_b32_e64 v90, v13, v14, s[0:1]
	v_lshl_add_u64 v[36:37], v[6:7], 1, s[8:9]
	v_lshl_add_u64 v[38:39], v[4:5], 0, v[34:35]
	s_mov_b32 s31, 0x7060302
	v_lshlrev_b32_e32 v34, 1, v8
	v_add_u32_e32 v93, v19, v84
	v_add_u32_e32 v94, v19, v86
	;; [unrolled: 1-line block ×4, first 2 shown]
	v_mov_b32_e32 v65, v35
	v_mov_b32_e32 v100, v35
	;; [unrolled: 1-line block ×6, first 2 shown]
	s_waitcnt lgkmcnt(0)
	s_barrier
.LBB384_6:                              ; =>This Inner Loop Header: Depth=1
	s_add_i32 s60, s61, 1
	s_cmp_lt_i32 s60, s46
	s_mov_b64 s[24:25], 0
	s_cselect_b64 s[40:41], -1, 0
	s_cmp_ge_i32 s60, s46
	s_mov_b64 s[20:21], 0
	s_cbranch_scc1 .LBB384_8
; %bb.7:                                ;   in Loop: Header=BB384_6 Depth=1
	s_add_i32 s0, s55, 64
	s_add_u32 s0, s2, s0
	s_addc_u32 s1, s3, 0
	s_lshl_b64 s[0:1], s[0:1], 8
	s_add_u32 s20, s6, s0
	s_addc_u32 s21, s7, s1
.LBB384_8:                              ;   in Loop: Header=BB384_6 Depth=1
	v_cndmask_b32_e64 v2, 0, 1, s[40:41]
	v_cmp_ne_u32_e64 s[0:1], 1, v2
	s_andn2_b64 vcc, exec, s[40:41]
	s_cbranch_vccnz .LBB384_10
; %bb.9:                                ;   in Loop: Header=BB384_6 Depth=1
	s_add_i32 s24, s55, 64
	s_add_u32 s24, s58, s24
	s_addc_u32 s25, s59, 0
	s_mul_i32 s27, s24, s47
	s_mul_hi_u32 s40, s24, s51
	s_add_i32 s27, s40, s27
	s_mul_i32 s25, s25, s51
	s_add_i32 s27, s27, s25
	s_mul_i32 s24, s24, s51
	s_add_u32 s24, s24, s50
	s_addc_u32 s25, s27, s53
	s_lshl_b64 s[24:25], s[24:25], 8
	s_add_u32 s24, s4, s24
	s_addc_u32 s25, s5, s25
.LBB384_10:                             ;   in Loop: Header=BB384_6 Depth=1
	v_perm_b32 v3, v99, v73, s31
	v_perm_b32 v2, v71, v72, s31
	;; [unrolled: 1-line block ×4, first 2 shown]
	ds_write_b64 v54, v[2:3]
	ds_write_b64 v55, v[4:5]
	;; [unrolled: 1-line block ×4, first 2 shown]
	v_perm_b32 v3, v100, v65, s31
	v_perm_b32 v2, v63, v64, s31
	v_perm_b32 v5, v98, v62, s31
	v_perm_b32 v4, v60, v61, s31
	ds_write_b64 v56, v[2:3]
	ds_write_b64 v57, v[4:5]
	;; [unrolled: 1-line block ×4, first 2 shown]
	s_waitcnt lgkmcnt(0)
	s_barrier
	ds_read_b64 v[6:7], v74 offset:24576
	ds_read2_b64 v[2:5], v75 offset1:16
	ds_read_b64 v[10:11], v77 offset:3072
	ds_read_b64 v[12:13], v75 offset:3072
	;; [unrolled: 1-line block ×3, first 2 shown]
	s_waitcnt lgkmcnt(3)
	v_mfma_f32_16x16x16_bf16 a[0:3], v[6:7], v[2:3], 0
	s_add_i32 s27, s55, 63
	s_mul_i32 s40, s27, s29
	s_mul_hi_u32 s41, s27, s28
	v_mfma_f32_16x16x16_bf16 a[4:7], v[6:7], v[4:5], 0
	ds_read2st64_b64 v[2:5], v75 offset0:2 offset1:4
	ds_read2st64_b64 v[6:9], v77 offset0:2 offset1:4
	s_add_i32 s41, s41, s40
	s_waitcnt lgkmcnt(1)
	v_mfma_f32_16x16x16_bf16 a[0:3], v[14:15], v[2:3], a[0:3]
	s_mul_i32 s40, s27, s28
	s_lshl_b64 s[40:41], s[40:41], 2
	s_add_u32 s40, s38, s40
	s_waitcnt lgkmcnt(0)
	v_mfma_f32_16x16x16_bf16 a[4:7], v[14:15], v[6:7], a[4:7]
	ds_read_b64 v[2:3], v78 offset:24576
	ds_read_b64 v[6:7], v79 offset:24576
	s_addc_u32 s41, s39, s41
	s_and_b64 vcc, exec, s[0:1]
	s_waitcnt lgkmcnt(1)
	v_mfma_f32_16x16x16_bf16 a[0:3], v[2:3], v[4:5], a[0:3]
	v_mov_b32_e32 v103, 0
	v_mov_b32_e32 v102, 0
	;; [unrolled: 1-line block ×3, first 2 shown]
	v_mfma_f32_16x16x16_bf16 a[4:7], v[2:3], v[8:9], a[4:7]
	v_mov_b32_e32 v2, 0
	v_mov_b32_e32 v3, 0
	;; [unrolled: 1-line block ×3, first 2 shown]
	s_waitcnt lgkmcnt(0)
	v_mfma_f32_16x16x16_bf16 a[0:3], v[6:7], v[12:13], a[0:3]
	v_mov_b32_e32 v5, 0
	v_mov_b32_e32 v8, 0
	;; [unrolled: 1-line block ×3, first 2 shown]
	v_mfma_f32_16x16x16_bf16 a[4:7], v[6:7], v[10:11], a[4:7]
	v_mov_b32_e32 v6, 0
	v_mov_b32_e32 v7, 0
	;; [unrolled: 1-line block ×10, first 2 shown]
	s_cbranch_vccnz .LBB384_12
; %bb.11:                               ;   in Loop: Header=BB384_6 Depth=1
	s_and_b32 s21, s21, 0xffff
	buffer_load_dwordx4 v[14:17], v50, s[20:23], 0 offen
	buffer_load_dwordx4 v[10:13], v50, s[20:23], s54 offen
	;; [unrolled: 1-line block ×4, first 2 shown]
	v_mov_b32_e32 v102, v52
	v_mov_b32_e32 v101, v53
.LBB384_12:                             ;   in Loop: Header=BB384_6 Depth=1
	s_waitcnt vmcnt(4)
	ds_read_b64 v[22:23], v74 offset:32768
	s_waitcnt vmcnt(2)
	ds_read2_b64 v[18:21], v80 offset1:16
	ds_read_b64 v[26:27], v76 offset:32768
	ds_read_b64 v[28:29], v78 offset:32768
	;; [unrolled: 1-line block ×3, first 2 shown]
	v_add_u32_e32 v32, s55, v91
	s_waitcnt lgkmcnt(3)
	v_mfma_f32_16x16x16_bf16 a[0:3], v[22:23], v[18:19], a[0:3]
	v_mul_lo_u32 v33, v32, s29
	v_mfma_f32_16x16x16_bf16 a[4:7], v[22:23], v[20:21], a[4:7]
	ds_read2st64_b64 v[18:21], v80 offset0:2 offset1:4
	ds_read2st64_b64 v[22:25], v81 offset0:2 offset1:4
	s_waitcnt lgkmcnt(1)
	v_mfma_f32_16x16x16_bf16 a[0:3], v[26:27], v[18:19], a[0:3]
	v_ashrrev_i32_e32 v18, 31, v32
	v_mul_lo_u32 v104, v18, s28
	v_mad_u64_u32 v[18:19], s[20:21], v32, s28, 0
	v_mfma_f32_16x16x16_bf16 a[0:3], v[28:29], v[20:21], a[0:3]
	v_add_u32_e32 v20, 1, v32
	v_ashrrev_i32_e32 v21, 31, v20
	v_add3_u32 v19, v19, v33, v104
	s_waitcnt lgkmcnt(0)
	v_mfma_f32_16x16x16_bf16 a[4:7], v[26:27], v[22:23], a[4:7]
	v_mul_lo_u32 v22, v21, s28
	v_mul_lo_u32 v23, v20, s29
	v_mad_u64_u32 v[20:21], s[20:21], v20, s28, 0
	v_add3_u32 v21, v21, v23, v22
	v_add_u32_e32 v22, 2, v32
	v_ashrrev_i32_e32 v23, 31, v22
	v_mul_lo_u32 v26, v23, s28
	v_mul_lo_u32 v27, v22, s29
	v_mad_u64_u32 v[22:23], s[20:21], v22, s28, 0
	v_add3_u32 v23, v23, v27, v26
	v_add_u32_e32 v26, 3, v32
	v_ashrrev_i32_e32 v27, 31, v26
	v_mul_lo_u32 v32, v27, s28
	v_mul_lo_u32 v33, v26, s29
	v_mad_u64_u32 v[26:27], s[20:21], v26, s28, 0
	s_add_u32 s20, s2, s55
	s_addc_u32 s21, s3, 0
	s_lshl_b64 s[20:21], s[20:21], 8
	v_lshl_add_u64 v[18:19], v[18:19], 2, s[38:39]
	v_lshl_add_u64 v[20:21], v[20:21], 2, s[38:39]
	v_add3_u32 v27, v27, v33, v32
	v_lshl_add_u64 v[32:33], v[36:37], 0, s[20:21]
	v_lshl_add_u64 v[22:23], v[22:23], 2, s[38:39]
	;; [unrolled: 1-line block ×3, first 2 shown]
	global_load_dword v104, v[18:19], off
	global_load_ushort v105, v[32:33], off offset:256
	global_load_ushort v106, v[32:33], off
	global_load_ushort v107, v[32:33], off offset:768
	global_load_ushort v108, v[32:33], off offset:512
	v_lshl_add_u64 v[18:19], v[26:27], 2, s[38:39]
	global_load_dword v109, v[20:21], off
	global_load_dword v110, v[22:23], off
	;; [unrolled: 1-line block ×3, first 2 shown]
	ds_read_b64 v[18:19], v80 offset:3072
	ds_read_b64 v[20:21], v81 offset:3072
	global_load_ushort v112, v[32:33], off offset:800
	global_load_ushort v113, v[32:33], off offset:544
	;; [unrolled: 1-line block ×3, first 2 shown]
	s_nop 0
	global_load_ushort v32, v[32:33], off offset:32
	s_load_dword s20, s[40:41], 0x0
	v_mfma_f32_16x16x16_bf16 a[4:7], v[28:29], v[24:25], a[4:7]
	s_and_b64 vcc, exec, s[0:1]
	v_mov_b32_e32 v33, 0
	s_waitcnt vmcnt(11) lgkmcnt(0)
	v_sub_f32_e32 v28, s20, v104
	v_mfma_f32_16x16x16_bf16 a[0:3], v[30:31], v[18:19], a[0:3]
	v_mul_f32_e32 v28, 0x3fb8aa3b, v28
	v_exp_f32_e32 v28, v28
	s_waitcnt vmcnt(6)
	v_sub_f32_e32 v29, s20, v109
	v_mfma_f32_16x16x16_bf16 a[4:7], v[30:31], v[20:21], a[4:7]
	s_waitcnt vmcnt(5)
	v_sub_f32_e32 v30, s20, v110
	s_waitcnt vmcnt(4)
	v_sub_f32_e32 v31, s20, v111
	v_mul_f32_e32 v29, 0x3fb8aa3b, v29
	v_mul_f32_e32 v30, 0x3fb8aa3b, v30
	;; [unrolled: 1-line block ×3, first 2 shown]
	v_exp_f32_e32 v29, v29
	v_exp_f32_e32 v30, v30
	v_exp_f32_e32 v31, v31
	v_accvgpr_read_b32 v23, a1
	v_accvgpr_read_b32 v19, a3
	v_accvgpr_read_b32 v18, a2
	v_accvgpr_read_b32 v22, a0
	v_lshlrev_b32_e32 v25, 16, v105
	v_lshlrev_b32_e32 v24, 16, v106
	v_lshlrev_b32_e32 v27, 16, v107
	v_lshlrev_b32_e32 v26, 16, v108
	v_pk_add_f32 v[22:23], v[24:25], v[22:23] neg_lo:[0,1] neg_hi:[0,1]
	v_pk_add_f32 v[18:19], v[26:27], v[18:19] neg_lo:[0,1] neg_hi:[0,1]
	v_pk_mul_f32 v[22:23], v[28:29], v[22:23]
	v_pk_mul_f32 v[18:19], v[30:31], v[18:19]
	v_accvgpr_read_b32 v25, a5
	v_perm_b32 v19, v19, v18, s31
	v_perm_b32 v18, v23, v22, s31
	s_waitcnt vmcnt(1)
	v_lshlrev_b32_e32 v23, 16, v114
	s_waitcnt vmcnt(0)
	v_lshlrev_b32_e32 v22, 16, v32
	v_accvgpr_read_b32 v24, a4
	v_accvgpr_read_b32 v21, a7
	v_accvgpr_read_b32 v20, a6
	v_pk_add_f32 v[22:23], v[22:23], v[24:25] neg_lo:[0,1] neg_hi:[0,1]
	v_lshlrev_b32_e32 v25, 16, v112
	v_lshlrev_b32_e32 v24, 16, v113
	v_pk_add_f32 v[20:21], v[24:25], v[20:21] neg_lo:[0,1] neg_hi:[0,1]
	v_pk_mul_f32 v[22:23], v[28:29], v[22:23]
	v_pk_mul_f32 v[20:21], v[30:31], v[20:21]
	v_mov_b32_e32 v104, 0
	v_perm_b32 v21, v21, v20, s31
	v_perm_b32 v20, v23, v22, s31
	ds_write2_b64 v55, v[18:19], v[20:21] offset1:16
	v_mov_b32_e32 v18, 0
	v_mov_b32_e32 v19, 0
	;; [unrolled: 1-line block ×15, first 2 shown]
	s_cbranch_vccnz .LBB384_14
; %bb.13:                               ;   in Loop: Header=BB384_6 Depth=1
	s_and_b32 s25, s25, 0xffff
	s_mov_b32 s27, s23
	buffer_load_dwordx4 v[30:33], v89, s[24:27], 0 offen
	buffer_load_dwordx4 v[22:25], v89, s[24:27], s54 offen
	;; [unrolled: 1-line block ×4, first 2 shown]
	v_mov_b32_e32 v103, v49
	v_mov_b32_e32 v104, v48
.LBB384_14:                             ;   in Loop: Header=BB384_6 Depth=1
	s_waitcnt lgkmcnt(0)
	s_barrier
	ds_read_b64 v[110:111], v93
	ds_read_b64 v[118:119], v85
	;; [unrolled: 1-line block ×5, first 2 shown]
	ds_read_b64 v[124:125], v86 offset:16384
	ds_read_b64 v[126:127], v84 offset:16384
	ds_read2_b64 v[106:109], v80 offset0:16 offset1:128
	s_waitcnt lgkmcnt(6)
	v_mfma_f32_16x16x16_bf16 a[0:3], v[110:111], v[118:119], 0
	ds_read_b64 v[128:129], v81 offset:3072
	ds_read_b64 v[130:131], v88 offset:16384
	s_add_i32 s21, s48, s61
	s_waitcnt lgkmcnt(2)
	v_mfma_f32_16x16x16_bf16 a[4:7], v[110:111], v[106:107], 0
	ds_read2st64_b64 v[110:113], v81 offset0:2 offset1:4
	s_mul_hi_i32 s25, s21, s13
	s_mul_i32 s21, s21, s13
	v_mfma_f32_16x16x16_bf16 a[0:3], v[114:115], v[108:109], a[0:3]
	s_add_u32 s24, s21, s33
	s_addc_u32 s25, s25, s52
	s_lshl_b64 s[24:25], s[24:25], 15
	s_waitcnt lgkmcnt(0)
	v_mfma_f32_16x16x16_bf16 a[4:7], v[114:115], v[110:111], a[4:7]
	ds_read2st64_b64 v[114:117], v80 offset0:4 offset1:6
	s_waitcnt lgkmcnt(0)
	v_mfma_f32_16x16x16_bf16 a[0:3], v[120:121], v[114:115], a[0:3]
	v_mfma_f32_16x16x16_bf16 a[8:11], v[120:121], v[112:113], a[4:7]
	;; [unrolled: 1-line block ×5, first 2 shown]
	ds_read2st64_b64 v[118:121], v83 offset1:8
	v_mfma_f32_16x16x16_bf16 a[12:15], v[126:127], v[106:107], 0
	ds_read_b64 v[126:127], v87 offset:16384
	v_mfma_f32_16x16x16_bf16 a[8:11], v[124:125], v[108:109], a[8:11]
	ds_read2st64_b64 v[106:109], v82 offset1:8
	s_waitcnt lgkmcnt(0)
	v_mov_b32_e32 v122, v106
	v_mfma_f32_16x16x16_bf16 a[12:15], v[124:125], v[110:111], a[12:15]
	v_lshl_add_u64 v[110:111], v[38:39], 0, s[24:25]
	v_add_co_u32_e32 v106, vcc, s35, v110
	v_mfma_f32_16x16x16_bf16 a[8:11], v[126:127], v[114:115], a[8:11]
	v_mov_b32_e32 v123, v107
	v_addc_co_u32_e32 v107, vcc, 0, v111, vcc
	v_mfma_f32_16x16x16_bf16 a[16:19], v[126:127], v[112:113], a[12:15]
	v_mov_b32_e32 v124, v118
	v_mov_b32_e32 v125, v119
	;; [unrolled: 1-line block ×3, first 2 shown]
	v_mfma_f32_16x16x16_bf16 a[12:15], v[130:131], v[116:117], a[8:11]
	v_mov_b32_e32 v119, v109
	s_and_b64 vcc, exec, s[0:1]
	global_store_dwordx4 v[110:111], v[122:125], off
	v_mfma_f32_16x16x16_bf16 a[8:11], v[130:131], v[128:129], a[16:19]
	global_store_dwordx4 v[106:107], v[118:121], off
	s_cbranch_vccnz .LBB384_16
; %bb.15:                               ;   in Loop: Header=BB384_6 Depth=1
	v_lshrrev_b32_e32 v105, 3, v103
	v_and_b32_e32 v105, 6, v105
	v_xor_b32_e32 v104, v105, v104
	v_lshlrev_b32_e32 v104, 2, v104
	v_and_b32_e32 v103, 8, v103
	v_xor_b32_e32 v106, 0x440, v104
	v_cmp_eq_u32_e32 vcc, 0, v103
	s_barrier
	s_nop 0
	v_cndmask_b32_e32 v103, v106, v104, vcc
	v_lshl_or_b32 v103, v105, 10, v103
	s_waitcnt vmcnt(3)
	v_perm_b32 v104, v30, v26, s56
	s_waitcnt vmcnt(2)
	v_perm_b32 v105, v22, v18, s56
	ds_write2st64_b32 v103, v104, v105 offset0:32 offset1:64
	v_xor_b32_e32 v104, 8, v103
	v_perm_b32 v26, v30, v26, s57
	v_perm_b32 v18, v22, v18, s57
	v_add_u32_e32 v22, 0x80, v104
	ds_write2st64_b32 v22, v26, v18 offset0:32 offset1:64
	v_xor_b32_e32 v18, 16, v103
	v_perm_b32 v22, v31, v27, s56
	v_perm_b32 v26, v23, v19, s56
	ds_write2st64_b32 v18, v22, v26 offset0:33 offset1:65
	v_xor_b32_e32 v18, 24, v103
	v_perm_b32 v22, v31, v27, s57
	v_perm_b32 v19, v23, v19, s57
	v_add_u32_e32 v18, 0x80, v18
	ds_write2st64_b32 v18, v22, v19 offset0:33 offset1:65
	v_xor_b32_e32 v18, 32, v103
	v_perm_b32 v19, v32, v28, s56
	;; [unrolled: 9-line block ×3, first 2 shown]
	v_perm_b32 v20, v25, v21, s56
	ds_write2st64_b32 v18, v19, v20 offset0:35 offset1:67
	v_xor_b32_e32 v18, 56, v103
	v_perm_b32 v19, v33, v29, s57
	v_perm_b32 v20, v25, v21, s57
	v_add_u32_e32 v18, 0x80, v18
	ds_write2st64_b32 v18, v19, v20 offset0:35 offset1:67
	ds_write_b64 v102, v[14:15] offset:24576
	v_xor_b32_e32 v14, 8, v102
	ds_write_b64 v14, v[16:17] offset:24576
	ds_write_b64 v102, v[10:11] offset:32768
	;; [unrolled: 1-line block ×4, first 2 shown]
	v_xor_b32_e32 v6, 8, v101
	ds_write_b64 v6, v[8:9] offset:24576
	ds_write_b64 v101, v[2:3] offset:32768
	;; [unrolled: 1-line block ×3, first 2 shown]
.LBB384_16:                             ;   in Loop: Header=BB384_6 Depth=1
	v_mul_f32_e32 v2, s20, v92
	v_exp_f32_e32 v2, v2
	v_accvgpr_read_b32 v3, a4
	v_accvgpr_read_b32 v4, a5
	;; [unrolled: 1-line block ×3, first 2 shown]
	v_fma_f32 v72, v72, v2, v3
	v_accvgpr_read_b32 v3, a6
	v_fma_f32 v73, v73, v2, v3
	v_accvgpr_read_b32 v3, a0
	;; [unrolled: 2-line block ×11, first 2 shown]
	v_accvgpr_read_b32 v6, a15
	v_fma_f32 v62, v62, v2, v3
	v_accvgpr_read_b32 v3, a11
	s_add_i32 s55, s55, 64
	v_fmac_f32_e32 v5, v99, v2
	v_fmac_f32_e32 v4, v100, v2
	;; [unrolled: 1-line block ×3, first 2 shown]
	s_cmp_eq_u32 s46, s60
	v_fmac_f32_e32 v3, v98, v2
	s_cbranch_scc1 .LBB384_18
; %bb.17:                               ;   in Loop: Header=BB384_6 Depth=1
	s_mov_b32 s61, s60
	v_mov_b32_e32 v99, v5
	v_mov_b32_e32 v97, v6
	;; [unrolled: 1-line block ×4, first 2 shown]
	s_branch .LBB384_6
.LBB384_18:
	s_lshl_b32 s40, s46, 6
	s_sub_i32 s41, s12, s40
	s_cmp_gt_i32 s41, 0
	s_cbranch_scc0 .LBB384_83
; %bb.19:
	s_ashr_i32 s35, s45, 31
	s_ashr_i32 s2, s40, 31
	s_cmpk_lg_i32 s15, 0x80
	s_cselect_b64 s[26:27], -1, 0
	s_and_b64 vcc, exec, s[26:27]
	s_cbranch_vccz .LBB384_21
; %bb.20:
	s_mul_i32 s1, s45, s12
	s_mul_hi_i32 s0, s45, s12
	s_add_u32 s1, s1, s40
	s_addc_u32 s0, s0, s2
	s_mul_i32 s3, s1, s47
	s_mul_hi_u32 s20, s1, s14
	s_add_i32 s3, s20, s3
	s_mul_i32 s0, s0, s14
	s_add_i32 s3, s3, s0
	s_mul_i32 s1, s1, s14
	s_ashr_i32 s0, s50, 31
	s_add_u32 s38, s1, s50
	s_addc_u32 s39, s3, s0
	s_cbranch_execz .LBB384_22
	s_branch .LBB384_23
.LBB384_21:
                                        ; implicit-def: $sgpr38_sgpr39
.LBB384_22:
	s_mul_hi_i32 s0, s45, s14
	s_mul_i32 s45, s45, s14
	s_ashr_i32 s1, s50, 31
	s_add_u32 s3, s45, s50
	s_addc_u32 s0, s0, s1
	s_mul_i32 s1, s3, s44
	s_mul_hi_u32 s14, s3, s12
	s_add_i32 s1, s14, s1
	s_mul_i32 s0, s0, s12
	s_add_i32 s1, s1, s0
	s_mul_i32 s3, s3, s12
	s_add_u32 s38, s3, s40
	s_addc_u32 s39, s1, s2
.LBB384_23:
	s_add_i32 s3, s48, s46
	s_ashr_i32 s14, s33, 31
	s_add_u32 s0, s43, s33
	s_addc_u32 s1, s49, s14
	s_mul_i32 s20, s0, s44
	s_mul_hi_u32 s21, s0, s12
	s_add_i32 s20, s21, s20
	s_mul_i32 s1, s1, s12
	s_add_i32 s20, s20, s1
	s_mul_i32 s0, s0, s12
	s_add_u32 s0, s0, s40
	s_addc_u32 s1, s20, s2
	v_lshlrev_b32_e32 v10, 5, v46
	s_waitcnt vmcnt(4)
	v_lshlrev_b32_e32 v22, 2, v40
	s_mov_b32 s2, 0x7060302
	v_xor_b32_e32 v2, v46, v22
	v_perm_b32 v9, v5, v73, s2
	v_or_b32_e32 v5, v10, v22
	v_perm_b32 v8, v71, v72, s2
	v_perm_b32 v7, v6, v70, s2
	;; [unrolled: 1-line block ×3, first 2 shown]
	v_lshlrev_b32_e32 v5, 1, v5
	v_lshlrev_b32_e32 v12, 1, v2
	;; [unrolled: 1-line block ×3, first 2 shown]
	s_lshl_b64 s[24:25], s[0:1], 8
	v_xor_b32_e32 v11, v47, v22
	ds_write2st64_b64 v5, v[8:9], v[6:7] offset0:80 offset1:88
	v_or_b32_e32 v5, v12, v2
	s_add_u32 s0, s6, s24
	ds_write_b64 v5, v[8:9]
	v_lshlrev_b32_e32 v8, 1, v11
	s_addc_u32 s1, s7, s25
	v_or_b32_e32 v2, v8, v2
	s_mul_hi_i32 s6, s3, s13
	s_mul_i32 s3, s3, s13
	ds_write_b64 v2, v[6:7]
	v_perm_b32 v5, v4, v65, s2
	v_perm_b32 v4, v63, v64, s2
	;; [unrolled: 1-line block ×4, first 2 shown]
	v_or_b32_e32 v6, 16, v40
	s_add_u32 s2, s3, s33
	s_waitcnt vmcnt(2)
	v_lshlrev_b32_e32 v19, 2, v6
	s_addc_u32 s3, s6, s14
	v_or_b32_e32 v7, v10, v19
	s_ashr_i32 s31, s30, 31
	s_lshl_b64 s[2:3], s[2:3], 15
	v_lshlrev_b32_e32 v7, 1, v7
	v_lshlrev_b32_e32 v6, 8, v6
	s_add_u32 s6, s36, s2
	ds_write2st64_b64 v7, v[4:5], v[2:3] offset0:80 offset1:88
	v_or_b32_e32 v7, v12, v6
	s_addc_u32 s7, s37, s3
	s_lshl_b64 s[2:3], s[30:31], 8
	ds_write_b64 v7, v[4:5]
	v_or_b32_e32 v4, v8, v6
	s_add_u32 s2, s6, s2
	ds_write_b64 v4, v[2:3]
	v_lshrrev_b32_e32 v2, 4, v0
	s_addc_u32 s3, s7, s3
	v_lshlrev_b32_e32 v3, 1, v40
	v_lshlrev_b32_e32 v10, 4, v40
	v_mov_b32_e32 v11, 0
	v_or_b32_e32 v4, 1, v3
	v_xor_b32_e32 v3, v2, v3
	v_lshl_add_u64 v[12:13], s[2:3], 0, v[10:11]
	v_lshlrev_b32_e32 v10, 8, v2
	v_xor_b32_e32 v6, v4, v2
	v_lshl_or_b32 v2, v3, 3, v10
	s_waitcnt lgkmcnt(0)
	s_barrier
	ds_read2st64_b64 v[2:5], v2 offset1:8
	v_lshl_or_b32 v6, v6, 3, v10
	ds_read2st64_b64 v[6:9], v6 offset1:8
	v_lshl_add_u64 v[14:15], v[12:13], 0, v[10:11]
	s_movk_i32 s2, 0x1000
	s_waitcnt lgkmcnt(1)
	v_mov_b32_e32 v10, v2
	v_add_co_u32_e32 v2, vcc, s2, v14
	s_cmp_lg_u32 s41, 64
	v_mov_b32_e32 v11, v3
	v_addc_co_u32_e32 v3, vcc, 0, v15, vcc
	s_cselect_b64 s[6:7], -1, 0
	v_lshl_or_b32 v23, v42, 3, v45
	s_waitcnt lgkmcnt(0)
	v_mov_b32_e32 v12, v6
	v_mov_b32_e32 v13, v7
	;; [unrolled: 1-line block ×4, first 2 shown]
	s_mov_b32 s20, 0
	v_or_b32_e32 v20, 32, v23
	v_and_b32_e32 v18, 56, v44
	s_and_b64 vcc, exec, s[6:7]
	global_store_dwordx4 v[14:15], v[10:13], off
	global_store_dwordx4 v[2:3], v[6:9], off
	s_cbranch_vccz .LBB384_29
; %bb.24:
	s_mov_b32 s21, s20
	s_mov_b32 s22, s20
	;; [unrolled: 1-line block ×3, first 2 shown]
	v_mov_b64_e32 v[6:7], s[20:21]
	v_mov_b64_e32 v[8:9], s[22:23]
	;; [unrolled: 1-line block ×3, first 2 shown]
	v_cmp_gt_i32_e32 vcc, s41, v23
	v_mov_b64_e32 v[4:5], v[8:9]
	s_and_saveexec_b64 s[2:3], vcc
	s_cbranch_execz .LBB384_26
; %bb.25:
	v_lshlrev_b32_e32 v2, 8, v23
	v_mov_b32_e32 v3, 0
	v_lshl_add_u64 v[4:5], s[0:1], 0, v[2:3]
	v_lshlrev_b32_e32 v2, 1, v18
	v_lshl_add_u64 v[10:11], v[4:5], 0, v[2:3]
	global_load_dwordx4 v[6:9], v[10:11], off
	global_load_dwordx4 v[2:5], v[10:11], off offset:128
.LBB384_26:
	s_or_b64 exec, exec, s[2:3]
	s_mov_b32 s21, s20
	s_mov_b32 s22, s20
	s_mov_b32 s23, s20
	v_mov_b64_e32 v[14:15], s[20:21]
	v_mov_b64_e32 v[16:17], s[22:23]
	;; [unrolled: 1-line block ×3, first 2 shown]
	v_cmp_gt_i32_e32 vcc, s41, v20
	v_lshlrev_b32_e32 v21, 7, v20
	v_mov_b64_e32 v[12:13], v[16:17]
	s_and_saveexec_b64 s[2:3], vcc
	s_cbranch_execz .LBB384_28
; %bb.27:
	v_lshlrev_b32_e32 v10, 1, v21
	v_mov_b32_e32 v11, 0
	v_lshl_add_u64 v[12:13], s[0:1], 0, v[10:11]
	v_lshlrev_b32_e32 v10, 1, v18
	v_lshl_add_u64 v[24:25], v[12:13], 0, v[10:11]
	global_load_dwordx4 v[14:17], v[24:25], off
	global_load_dwordx4 v[10:13], v[24:25], off offset:128
.LBB384_28:
	s_or_b64 exec, exec, s[2:3]
	v_lshrrev_b32_e32 v24, 3, v18
	v_lshlrev_b32_e32 v25, 3, v23
	v_or_b32_e32 v24, v25, v24
	v_lshlrev_b32_e32 v24, 4, v24
	v_and_b32_e32 v25, 0x78, v25
	v_xor_b32_e32 v24, v24, v25
	s_branch .LBB384_31
.LBB384_29:
                                        ; implicit-def: $vgpr24
                                        ; implicit-def: $vgpr21
                                        ; implicit-def: $vgpr6_vgpr7_vgpr8_vgpr9
                                        ; implicit-def: $vgpr2_vgpr3_vgpr4_vgpr5
                                        ; implicit-def: $vgpr14_vgpr15_vgpr16_vgpr17
                                        ; implicit-def: $vgpr10_vgpr11_vgpr12_vgpr13
	s_cbranch_execz .LBB384_31
; %bb.30:
	s_waitcnt vmcnt(0)
	v_lshlrev_b32_e32 v2, 1, v18
	v_lshl_or_b32 v21, v23, 8, v2
	s_and_b32 s1, s1, 0xffff
	s_mov_b32 s3, 0x20000
	s_movk_i32 s2, 0x4000
	v_lshl_or_b32 v24, v20, 8, v2
	s_movk_i32 s13, 0x80
	buffer_load_dwordx4 v[6:9], v21, s[0:3], 0 offen
	buffer_load_dwordx4 v[2:5], v21, s[0:3], s13 offen
	;; [unrolled: 1-line block ×4, first 2 shown]
	v_lshrrev_b32_e32 v21, 3, v18
	v_lshlrev_b32_e32 v24, 3, v23
	v_or_b32_e32 v21, v24, v21
	v_lshlrev_b32_e32 v21, 4, v21
	v_and_b32_e32 v24, 0x78, v24
	v_xor_b32_e32 v24, v21, v24
	v_lshlrev_b32_e32 v21, 7, v20
.LBB384_31:
	s_lshl_b64 s[0:1], s[38:39], 8
	s_add_u32 s4, s4, s0
	s_movk_i32 s0, 0x1000
	v_and_or_b32 v20, v21, s0, v24
	s_waitcnt vmcnt(1)
	ds_write_b64 v24, v[6:7] offset:24576
	v_xor_b32_e32 v6, 8, v24
	ds_write_b64 v6, v[8:9] offset:24576
	s_waitcnt vmcnt(0)
	ds_write_b64 v24, v[2:3] offset:32768
	ds_write_b64 v6, v[4:5] offset:32768
	;; [unrolled: 1-line block ×3, first 2 shown]
	v_xor_b32_e32 v2, 8, v20
	ds_write_b64 v2, v[16:17] offset:24576
	ds_write_b64 v20, v[10:11] offset:32768
	;; [unrolled: 1-line block ×3, first 2 shown]
	v_or_b32_e32 v2, v1, v40
	v_lshlrev_b32_e32 v3, 11, v42
	v_lshlrev_b32_e32 v2, 3, v2
	v_and_b32_e32 v6, 0x1000, v3
	v_lshrrev_b32_e32 v3, 5, v41
	s_movk_i32 s13, 0xf8
	v_and_or_b32 v3, v2, s13, v3
	v_lshlrev_b32_e32 v7, 4, v3
	v_and_b32_e32 v8, 0x78, v2
	v_or_b32_e32 v10, 32, v7
	v_lshrrev_b32_e32 v3, 1, v41
	v_xor_b32_e32 v10, v10, v8
	v_xor_b32_e32 v2, v7, v8
	v_and_b32_e32 v9, 8, v3
	v_or_b32_e32 v10, v10, v6
	v_or_b32_e32 v2, v2, v6
	v_xor_b32_e32 v26, v10, v9
	v_or_b32_e32 v10, 64, v7
	v_xor_b32_e32 v25, v2, v9
	v_xor_b32_e32 v10, v10, v8
	s_waitcnt lgkmcnt(0)
	s_barrier
	v_or_b32_e32 v12, v10, v6
	ds_read_b64 v[10:11], v25 offset:24576
	v_lshl_or_b32 v20, v43, 7, v22
	v_lshlrev_b32_e32 v24, 1, v20
	v_add_u32_e32 v2, 0xa000, v24
	ds_read2_b64 v[2:5], v2 offset1:16
	v_or_b32_e32 v7, 0x60, v7
	v_xor_b32_e32 v7, v7, v8
	s_waitcnt lgkmcnt(0)
	v_mfma_f32_16x16x16_bf16 a[0:3], v[10:11], v[2:3], 0
	v_or_b32_e32 v2, 64, v20
	v_or_b32_e32 v6, v7, v6
	v_lshlrev_b32_e32 v29, 1, v2
	v_xor_b32_e32 v27, v12, v9
	v_xor_b32_e32 v28, v6, v9
	ds_read_b64 v[12:13], v26 offset:24576
	ds_read_b64 v[14:15], v27 offset:24576
	;; [unrolled: 1-line block ×3, first 2 shown]
	v_mfma_f32_16x16x16_bf16 a[4:7], v[10:11], v[4:5], 0
	ds_read2st64_b64 v[2:5], v29 offset0:82 offset1:84
	ds_read2st64_b64 v[6:9], v24 offset0:82 offset1:84
	s_addc_u32 s5, s5, s1
	s_add_i32 s2, s12, -1
	s_add_i32 s0, s42, s17
	s_mul_i32 s35, s35, s16
	s_add_i32 s35, s0, s35
	s_mul_i32 s0, s33, s19
	s_mul_hi_u32 s1, s33, s18
	s_ashr_i32 s3, s2, 31
	s_mul_i32 s12, s2, s29
	s_mul_hi_u32 s13, s2, s28
	s_add_i32 s0, s1, s0
	s_mul_i32 s1, s14, s18
	s_add_i32 s12, s13, s12
	s_mul_i32 s3, s3, s28
	s_waitcnt lgkmcnt(1)
	v_mfma_f32_16x16x16_bf16 a[4:7], v[12:13], v[2:3], a[4:7]
	s_add_i32 s1, s0, s1
	s_add_i32 s3, s12, s3
	s_lshl_b64 s[12:13], s[34:35], 2
	s_waitcnt lgkmcnt(0)
	v_mfma_f32_16x16x16_bf16 a[0:3], v[12:13], v[6:7], a[0:3]
	s_mul_i32 s0, s33, s18
	s_add_u32 s10, s10, s12
	s_addc_u32 s11, s11, s13
	s_lshl_b64 s[0:1], s[0:1], 2
	s_mul_i32 s2, s2, s28
	s_add_u32 s10, s10, s0
	ds_read_b64 v[2:3], v24 offset:44032
	v_mfma_f32_16x16x16_bf16 a[4:7], v[14:15], v[4:5], a[4:7]
	ds_read_b64 v[4:5], v29 offset:44032
	s_addc_u32 s11, s11, s1
	s_lshl_b64 s[0:1], s[2:3], 2
	v_mfma_f32_16x16x16_bf16 a[0:3], v[14:15], v[8:9], a[0:3]
	s_add_u32 s0, s10, s0
	s_addc_u32 s1, s11, s1
	s_load_dword s12, s[0:1], 0x0
	s_waitcnt lgkmcnt(0)
	v_mfma_f32_16x16x16_bf16 a[0:3], v[16:17], v[2:3], a[0:3]
	s_and_b64 vcc, exec, s[26:27]
	v_mfma_f32_16x16x16_bf16 a[4:7], v[16:17], v[4:5], a[4:7]
	s_cbranch_vccz .LBB384_42
; %bb.32:
	v_lshlrev_b32_e32 v20, 1, v23
	s_and_b64 vcc, exec, s[6:7]
	s_cbranch_vccz .LBB384_43
; %bb.33:
	v_cmp_gt_i32_e32 vcc, s41, v20
	v_mov_b32_e32 v6, 0
	v_mov_b32_e32 v2, 0
	;; [unrolled: 1-line block ×5, first 2 shown]
	s_and_saveexec_b64 s[0:1], vcc
	s_cbranch_execz .LBB384_35
; %bb.34:
	v_mad_i64_i32 v[2:3], s[2:3], s15, v20, 0
	v_lshl_add_u64 v[2:3], v[2:3], 1, s[4:5]
	v_lshlrev_b32_e32 v4, 1, v18
	v_mov_b32_e32 v5, 0
	v_lshl_add_u64 v[2:3], v[2:3], 0, v[4:5]
	global_load_dwordx4 v[2:5], v[2:3], off
.LBB384_35:
	s_or_b64 exec, exec, s[0:1]
	v_or_b32_e32 v21, 1, v20
	v_cmp_gt_i32_e64 s[0:1], s41, v21
	v_mov_b32_e32 v7, 0
	v_mov_b32_e32 v8, 0
	;; [unrolled: 1-line block ×3, first 2 shown]
	s_and_saveexec_b64 s[2:3], s[0:1]
	s_cbranch_execz .LBB384_37
; %bb.36:
	v_mad_i64_i32 v[6:7], s[16:17], s15, v21, 0
	v_lshl_add_u64 v[6:7], v[6:7], 1, s[4:5]
	v_lshlrev_b32_e32 v8, 1, v18
	v_mov_b32_e32 v9, 0
	v_lshl_add_u64 v[6:7], v[6:7], 0, v[8:9]
	global_load_dwordx4 v[6:9], v[6:7], off
.LBB384_37:
	s_or_b64 exec, exec, s[2:3]
	v_mov_b32_e32 v17, 0
	v_mov_b32_e32 v10, 0
	;; [unrolled: 1-line block ×5, first 2 shown]
	s_and_saveexec_b64 s[2:3], vcc
	s_cbranch_execz .LBB384_39
; %bb.38:
	v_mad_i64_i32 v[10:11], s[16:17], s15, v20, 0
	v_lshl_add_u64 v[10:11], v[10:11], 1, s[4:5]
	v_lshlrev_b32_e32 v12, 1, v18
	v_mov_b32_e32 v13, 0
	v_lshl_add_u64 v[10:11], v[10:11], 0, v[12:13]
	global_load_dwordx4 v[10:13], v[10:11], off offset:128
.LBB384_39:
	s_or_b64 exec, exec, s[2:3]
	v_mov_b32_e32 v16, 0
	v_mov_b32_e32 v15, 0
	;; [unrolled: 1-line block ×3, first 2 shown]
	s_and_saveexec_b64 s[2:3], s[0:1]
	s_cbranch_execz .LBB384_41
; %bb.40:
	v_mad_i64_i32 v[14:15], s[0:1], s15, v21, 0
	v_lshl_add_u64 v[14:15], v[14:15], 1, s[4:5]
	v_lshlrev_b32_e32 v16, 1, v18
	v_mov_b32_e32 v17, 0
	v_lshl_add_u64 v[14:15], v[14:15], 0, v[16:17]
	global_load_dwordx4 v[14:17], v[14:15], off offset:128
.LBB384_41:
	s_or_b64 exec, exec, s[2:3]
	s_branch .LBB384_45
.LBB384_42:
                                        ; implicit-def: $vgpr5
                                        ; implicit-def: $vgpr9
                                        ; implicit-def: $vgpr13
                                        ; implicit-def: $vgpr17
	v_lshrrev_b32_e32 v30, 2, v41
	s_branch .LBB384_46
.LBB384_43:
                                        ; implicit-def: $vgpr5
                                        ; implicit-def: $vgpr9
                                        ; implicit-def: $vgpr13
                                        ; implicit-def: $vgpr17
	s_cbranch_execz .LBB384_45
; %bb.44:
	s_waitcnt vmcnt(0)
	v_mad_u64_u32 v[2:3], s[0:1], v20, s15, v[18:19]
	v_lshlrev_b32_e32 v20, 1, v2
	s_lshl_b32 s2, s15, 7
	s_and_b32 s1, s5, 0xffff
	s_mov_b32 s3, 0x20000
	s_mov_b32 s0, s4
	v_add_lshl_u32 v21, v2, s15, 1
	s_movk_i32 s13, 0x80
	buffer_load_dwordx4 v[2:5], v20, s[0:3], 0 offen
	buffer_load_dwordx4 v[10:13], v20, s[0:3], s13 offen
	;; [unrolled: 1-line block ×4, first 2 shown]
.LBB384_45:
	v_lshrrev_b32_e32 v30, 2, v41
	s_cbranch_execnz .LBB384_58
.LBB384_46:
	s_and_b64 vcc, exec, s[6:7]
	s_cbranch_vccz .LBB384_56
; %bb.47:
	s_waitcnt vmcnt(0)
	v_lshlrev_b32_e32 v7, 1, v23
	v_cmp_gt_i32_e32 vcc, s41, v7
	v_mov_b32_e32 v6, 0
	v_lshlrev_b32_e32 v14, 9, v23
	v_mov_b32_e32 v2, 0
	v_mov_b32_e32 v3, 0
	;; [unrolled: 1-line block ×4, first 2 shown]
	s_and_saveexec_b64 s[0:1], vcc
	s_cbranch_execz .LBB384_49
; %bb.48:
	v_mov_b32_e32 v15, 0
	v_lshl_add_u64 v[2:3], s[4:5], 0, v[14:15]
	v_lshlrev_b32_e32 v4, 1, v18
	v_mov_b32_e32 v5, v15
	v_lshl_add_u64 v[2:3], v[2:3], 0, v[4:5]
	global_load_dwordx4 v[2:5], v[2:3], off
.LBB384_49:
	s_or_b64 exec, exec, s[0:1]
	v_or_b32_e32 v7, 1, v7
	v_cmp_gt_i32_e64 s[0:1], s41, v7
	v_lshlrev_b32_e32 v20, 8, v7
	v_mov_b32_e32 v7, 0
	v_mov_b32_e32 v8, 0
	v_mov_b32_e32 v9, 0
	s_and_saveexec_b64 s[2:3], s[0:1]
	s_cbranch_execz .LBB384_51
; %bb.50:
	v_mov_b32_e32 v21, 0
	v_lshl_add_u64 v[6:7], s[4:5], 0, v[20:21]
	v_lshlrev_b32_e32 v8, 1, v18
	v_mov_b32_e32 v9, v21
	v_lshl_add_u64 v[6:7], v[6:7], 0, v[8:9]
	global_load_dwordx4 v[6:9], v[6:7], off
.LBB384_51:
	s_or_b64 exec, exec, s[2:3]
	v_mov_b32_e32 v17, 0
	v_mov_b32_e32 v10, 0
	;; [unrolled: 1-line block ×5, first 2 shown]
	s_and_saveexec_b64 s[2:3], vcc
	s_cbranch_execz .LBB384_53
; %bb.52:
	v_mov_b32_e32 v15, 0
	v_lshl_add_u64 v[10:11], s[4:5], 0, v[14:15]
	v_lshlrev_b32_e32 v14, 1, v18
	v_lshl_add_u64 v[10:11], v[10:11], 0, v[14:15]
	global_load_dwordx4 v[10:13], v[10:11], off offset:128
.LBB384_53:
	s_or_b64 exec, exec, s[2:3]
	v_mov_b32_e32 v16, 0
	v_mov_b32_e32 v15, 0
	;; [unrolled: 1-line block ×3, first 2 shown]
	s_and_saveexec_b64 s[2:3], s[0:1]
	s_cbranch_execz .LBB384_55
; %bb.54:
	v_mov_b32_e32 v21, 0
	v_lshl_add_u64 v[14:15], s[4:5], 0, v[20:21]
	v_lshlrev_b32_e32 v20, 1, v18
	v_lshl_add_u64 v[14:15], v[14:15], 0, v[20:21]
	global_load_dwordx4 v[14:17], v[14:15], off offset:128
.LBB384_55:
	s_or_b64 exec, exec, s[2:3]
	s_branch .LBB384_58
.LBB384_56:
                                        ; implicit-def: $vgpr5
                                        ; implicit-def: $vgpr9
                                        ; implicit-def: $vgpr13
                                        ; implicit-def: $vgpr17
	s_cbranch_execz .LBB384_58
; %bb.57:
	s_waitcnt vmcnt(0)
	v_lshlrev_b32_e32 v2, 1, v18
	v_lshl_or_b32 v18, v23, 9, v2
	s_and_b32 s5, s5, 0xffff
	s_mov_b32 s7, 0x20000
	s_movk_i32 s6, 0x4000
	s_movk_i32 s0, 0x80
	buffer_load_dwordx4 v[2:5], v18, s[4:7], 0 offen
	buffer_load_dwordx4 v[6:9], v18, s[4:7], 0 offen offset:256
	buffer_load_dwordx4 v[10:13], v18, s[4:7], s0 offen
	buffer_load_dwordx4 v[14:17], v18, s[4:7], s0 offen offset:256
.LBB384_58:
	ds_read_b64 v[20:21], v25 offset:32768
	v_add_u32_e32 v18, 0xb000, v24
	ds_read2_b64 v[32:35], v18 offset1:16
	ds_read_b64 v[42:43], v26 offset:32768
	ds_read_b64 v[26:27], v27 offset:32768
	;; [unrolled: 1-line block ×3, first 2 shown]
	v_and_b32_e32 v18, 6, v0
	v_xor_b32_e32 v23, v23, v18
	v_lshlrev_b32_e32 v23, 2, v23
	v_and_b32_e32 v0, 1, v0
	v_xor_b32_e32 v28, 0x440, v23
	v_cmp_eq_u32_e32 vcc, 0, v0
	s_waitcnt lgkmcnt(3)
	v_mfma_f32_16x16x16_bf16 a[0:3], v[20:21], v[32:33], a[0:3]
	s_mov_b32 s0, 0x1000504
	v_cndmask_b32_e32 v0, v28, v23, vcc
	v_lshl_or_b32 v0, v18, 10, v0
	v_mfma_f32_16x16x16_bf16 a[4:7], v[20:21], v[34:35], a[4:7]
	ds_read2st64_b64 v[32:35], v24 offset0:90 offset1:92
	ds_read2st64_b64 v[36:39], v29 offset0:90 offset1:92
	ds_read_b64 v[20:21], v24 offset:48128
	ds_read_b64 v[24:25], v29 offset:48128
	s_waitcnt vmcnt(0)
	v_perm_b32 v18, v2, v6, s0
	s_waitcnt lgkmcnt(3)
	v_mfma_f32_16x16x16_bf16 a[0:3], v[42:43], v[32:33], a[0:3]
	s_mov_b32 s1, 0x3020706
	v_perm_b32 v2, v2, v6, s1
	v_perm_b32 v6, v10, v14, s1
	s_waitcnt lgkmcnt(2)
	v_mfma_f32_16x16x16_bf16 a[4:7], v[42:43], v[36:37], a[4:7]
	v_mfma_f32_16x16x16_bf16 a[0:3], v[26:27], v[34:35], a[0:3]
	;; [unrolled: 1-line block ×3, first 2 shown]
	s_waitcnt lgkmcnt(1)
	v_mfma_f32_16x16x16_bf16 a[4:7], v[44:45], v[20:21], a[0:3]
	v_perm_b32 v20, v10, v14, s0
	ds_write2st64_b32 v0, v18, v20 offset0:32 offset1:64
	v_xor_b32_e32 v18, 8, v0
	v_add_u32_e32 v10, 0x80, v18
	ds_write2st64_b32 v10, v2, v6 offset0:32 offset1:64
	v_xor_b32_e32 v2, 16, v0
	v_perm_b32 v6, v3, v7, s0
	v_perm_b32 v10, v11, v15, s0
	ds_write2st64_b32 v2, v6, v10 offset0:33 offset1:65
	v_xor_b32_e32 v2, 24, v0
	v_perm_b32 v3, v3, v7, s1
	v_perm_b32 v6, v11, v15, s1
	v_add_u32_e32 v2, 0x80, v2
	ds_write2st64_b32 v2, v3, v6 offset0:33 offset1:65
	v_xor_b32_e32 v2, 32, v0
	v_perm_b32 v3, v4, v8, s0
	v_perm_b32 v6, v12, v16, s0
	ds_write2st64_b32 v2, v3, v6 offset0:34 offset1:66
	v_xor_b32_e32 v2, 40, v0
	s_waitcnt lgkmcnt(5)
	v_mfma_f32_16x16x16_bf16 a[0:3], v[44:45], v[24:25], a[8:11]
	v_perm_b32 v3, v4, v8, s1
	v_perm_b32 v4, v12, v16, s1
	v_add_u32_e32 v2, 0x80, v2
	ds_write2st64_b32 v2, v3, v4 offset0:34 offset1:66
	v_xor_b32_e32 v2, 48, v0
	v_perm_b32 v3, v5, v9, s0
	v_perm_b32 v4, v13, v17, s0
	ds_write2st64_b32 v2, v3, v4 offset0:35 offset1:67
	v_xor_b32_e32 v0, 56, v0
	v_perm_b32 v3, v13, v17, s1
	v_and_or_b32 v17, v30, 12, v1
	v_perm_b32 v2, v5, v9, s1
	v_add_u32_e32 v0, 0x80, v0
	v_cmp_gt_i32_e32 vcc, s41, v17
	v_mov_b32_e32 v14, 0
	v_mov_b32_e32 v16, 0
	ds_write2st64_b32 v0, v2, v3 offset0:35 offset1:67
	s_and_saveexec_b64 s[0:1], vcc
	s_cbranch_execz .LBB384_60
; %bb.59:
	v_add_u32_e32 v0, s40, v17
	v_ashrrev_i32_e32 v1, 31, v0
	v_mul_lo_u32 v2, v1, s28
	v_mul_lo_u32 v3, v0, s29
	v_mad_u64_u32 v[0:1], s[2:3], v0, s28, 0
	v_add3_u32 v1, v1, v3, v2
	v_lshl_add_u64 v[0:1], v[0:1], 2, s[10:11]
	global_load_dword v0, v[0:1], off
	s_waitcnt vmcnt(0)
	v_sub_f32_e32 v0, s12, v0
	v_mul_f32_e32 v0, 0x3fb8aa3b, v0
	v_exp_f32_e32 v16, v0
.LBB384_60:
	s_or_b64 exec, exec, s[0:1]
	v_or_b32_e32 v8, 1, v17
	v_cmp_gt_i32_e64 s[0:1], s41, v8
	s_and_saveexec_b64 s[2:3], s[0:1]
	s_cbranch_execz .LBB384_62
; %bb.61:
	v_add_u32_e32 v0, s40, v8
	v_ashrrev_i32_e32 v1, 31, v0
	v_mul_lo_u32 v2, v1, s28
	v_mul_lo_u32 v3, v0, s29
	v_mad_u64_u32 v[0:1], s[4:5], v0, s28, 0
	v_add3_u32 v1, v1, v3, v2
	v_lshl_add_u64 v[0:1], v[0:1], 2, s[10:11]
	global_load_dword v0, v[0:1], off
	s_waitcnt vmcnt(0)
	v_sub_f32_e32 v0, s12, v0
	v_mul_f32_e32 v0, 0x3fb8aa3b, v0
	v_exp_f32_e32 v14, v0
.LBB384_62:
	s_or_b64 exec, exec, s[2:3]
	v_or_b32_e32 v10, 2, v17
	v_cmp_gt_i32_e64 s[2:3], s41, v10
	v_mov_b32_e32 v15, 0
	v_mov_b32_e32 v18, 0
	s_and_saveexec_b64 s[4:5], s[2:3]
	s_cbranch_execz .LBB384_64
; %bb.63:
	v_add_u32_e32 v0, s40, v10
	v_ashrrev_i32_e32 v1, 31, v0
	v_mul_lo_u32 v2, v1, s28
	v_mul_lo_u32 v3, v0, s29
	v_mad_u64_u32 v[0:1], s[6:7], v0, s28, 0
	v_add3_u32 v1, v1, v3, v2
	v_lshl_add_u64 v[0:1], v[0:1], 2, s[10:11]
	global_load_dword v0, v[0:1], off
	s_waitcnt vmcnt(0)
	v_sub_f32_e32 v0, s12, v0
	v_mul_f32_e32 v0, 0x3fb8aa3b, v0
	v_exp_f32_e32 v18, v0
.LBB384_64:
	s_or_b64 exec, exec, s[4:5]
	v_or_b32_e32 v12, 3, v17
	v_cmp_gt_i32_e64 s[4:5], s41, v12
	s_and_saveexec_b64 s[6:7], s[4:5]
	s_cbranch_execz .LBB384_66
; %bb.65:
	v_add_u32_e32 v0, s40, v12
	v_ashrrev_i32_e32 v1, 31, v0
	v_mul_lo_u32 v2, v1, s28
	v_mul_lo_u32 v3, v0, s29
	v_mad_u64_u32 v[0:1], s[14:15], v0, s28, 0
	v_add3_u32 v1, v1, v3, v2
	v_lshl_add_u64 v[0:1], v[0:1], 2, s[10:11]
	global_load_dword v0, v[0:1], off
	s_waitcnt vmcnt(0)
	v_sub_f32_e32 v0, s12, v0
	v_mul_f32_e32 v0, 0x3fb8aa3b, v0
	v_exp_f32_e32 v15, v0
.LBB384_66:
	s_or_b64 exec, exec, s[6:7]
	v_or_b32_e32 v4, s30, v40
	s_add_u32 s6, s8, s24
	v_accvgpr_read_b32 v0, a4
	s_addc_u32 s7, s9, s25
	v_ashrrev_i32_e32 v5, 31, v4
	v_accvgpr_read_b32 v1, a5
	v_accvgpr_read_b32 v2, a6
	;; [unrolled: 1-line block ×3, first 2 shown]
	v_lshl_add_u64 v[4:5], v[4:5], 1, s[6:7]
	v_mov_b32_e32 v9, 0
	v_lshlrev_b32_e32 v6, 8, v17
	v_mov_b32_e32 v7, 0
	s_and_saveexec_b64 s[6:7], vcc
	s_cbranch_execz .LBB384_68
; %bb.67:
	v_mov_b32_e32 v7, 0
	v_lshl_add_u64 v[20:21], v[4:5], 0, v[6:7]
	global_load_ushort v7, v[20:21], off
	s_waitcnt vmcnt(0)
	v_lshlrev_b32_e32 v7, 16, v7
	v_sub_f32_e32 v0, v7, v0
	v_mul_f32_e32 v0, v16, v0
	v_lshrrev_b32_e32 v7, 16, v0
.LBB384_68:
	s_or_b64 exec, exec, s[6:7]
	v_lshlrev_b32_e32 v8, 8, v8
	s_and_saveexec_b64 s[6:7], s[0:1]
	s_cbranch_execz .LBB384_70
; %bb.69:
	v_mov_b32_e32 v9, 0
	v_lshl_add_u64 v[20:21], v[4:5], 0, v[8:9]
	global_load_ushort v0, v[20:21], off
	s_waitcnt vmcnt(0)
	v_lshlrev_b32_e32 v0, 16, v0
	v_sub_f32_e32 v0, v0, v1
	v_mul_f32_e32 v0, v14, v0
	v_lshrrev_b32_e32 v9, 16, v0
.LBB384_70:
	s_or_b64 exec, exec, s[6:7]
	v_mov_b32_e32 v13, 0
	v_lshlrev_b32_e32 v10, 8, v10
	v_mov_b32_e32 v11, 0
	s_and_saveexec_b64 s[6:7], s[2:3]
	s_cbranch_execz .LBB384_72
; %bb.71:
	v_mov_b32_e32 v11, 0
	v_lshl_add_u64 v[0:1], v[4:5], 0, v[10:11]
	global_load_ushort v0, v[0:1], off
	s_waitcnt vmcnt(0)
	v_lshlrev_b32_e32 v0, 16, v0
	v_sub_f32_e32 v0, v0, v2
	v_mul_f32_e32 v0, v18, v0
	v_lshrrev_b32_e32 v11, 16, v0
.LBB384_72:
	s_or_b64 exec, exec, s[6:7]
	v_lshlrev_b32_e32 v12, 8, v12
	s_and_saveexec_b64 s[6:7], s[4:5]
	s_cbranch_execz .LBB384_74
; %bb.73:
	v_mov_b32_e32 v13, 0
	v_lshl_add_u64 v[0:1], v[4:5], 0, v[12:13]
	global_load_ushort v0, v[0:1], off
	s_waitcnt vmcnt(0)
	v_lshlrev_b32_e32 v0, 16, v0
	v_sub_f32_e32 v0, v0, v3
	v_mul_f32_e32 v0, v15, v0
	v_lshrrev_b32_e32 v13, 16, v0
.LBB384_74:
	s_or_b64 exec, exec, s[6:7]
	v_lshlrev_b32_e32 v17, 5, v17
	s_mov_b32 s6, 0x5040100
	v_perm_b32 v20, v9, v7, s6
	v_or_b32_e32 v7, v17, v22
	v_accvgpr_read_b32 v0, a0
	v_perm_b32 v21, v13, v11, s6
	v_lshlrev_b32_e32 v7, 1, v7
	v_accvgpr_read_b32 v1, a1
	v_accvgpr_read_b32 v2, a2
	;; [unrolled: 1-line block ×3, first 2 shown]
	ds_write_b64 v7, v[20:21] offset:45056
	v_mov_b32_e32 v9, 0
	v_mov_b32_e32 v7, 0
	s_and_saveexec_b64 s[6:7], vcc
	s_cbranch_execz .LBB384_76
; %bb.75:
	v_mov_b32_e32 v7, 0
	v_lshl_add_u64 v[6:7], v[4:5], 0, v[6:7]
	global_load_ushort v6, v[6:7], off offset:32
	s_waitcnt vmcnt(0)
	v_lshlrev_b32_e32 v6, 16, v6
	v_sub_f32_e32 v0, v6, v0
	v_mul_f32_e32 v0, v16, v0
	v_lshrrev_b32_e32 v7, 16, v0
.LBB384_76:
	s_or_b64 exec, exec, s[6:7]
	s_and_saveexec_b64 s[6:7], s[0:1]
	s_cbranch_execz .LBB384_78
; %bb.77:
	v_mov_b32_e32 v9, 0
	v_lshl_add_u64 v[8:9], v[4:5], 0, v[8:9]
	global_load_ushort v0, v[8:9], off offset:32
	s_waitcnt vmcnt(0)
	v_lshlrev_b32_e32 v0, 16, v0
	v_sub_f32_e32 v0, v0, v1
	v_mul_f32_e32 v0, v14, v0
	v_lshrrev_b32_e32 v9, 16, v0
.LBB384_78:
	s_or_b64 exec, exec, s[6:7]
	v_mov_b32_e32 v0, 0
	v_mov_b32_e32 v1, 0
	s_and_saveexec_b64 s[0:1], s[2:3]
	s_cbranch_execz .LBB384_80
; %bb.79:
	v_mov_b32_e32 v11, 0
	v_lshl_add_u64 v[10:11], v[4:5], 0, v[10:11]
	global_load_ushort v1, v[10:11], off offset:32
	s_waitcnt vmcnt(0)
	v_lshlrev_b32_e32 v1, 16, v1
	v_sub_f32_e32 v1, v1, v2
	v_mul_f32_e32 v1, v18, v1
	v_lshrrev_b32_e32 v1, 16, v1
.LBB384_80:
	s_or_b64 exec, exec, s[0:1]
	s_and_saveexec_b64 s[0:1], s[4:5]
	s_cbranch_execz .LBB384_82
; %bb.81:
	v_mov_b32_e32 v13, 0
	v_lshl_add_u64 v[4:5], v[4:5], 0, v[12:13]
	global_load_ushort v0, v[4:5], off offset:32
	s_waitcnt vmcnt(0)
	v_lshlrev_b32_e32 v0, 16, v0
	v_sub_f32_e32 v0, v0, v3
	v_mul_f32_e32 v0, v15, v0
	v_lshrrev_b32_e32 v0, 16, v0
.LBB384_82:
	s_or_b64 exec, exec, s[0:1]
	s_mov_b32 s0, 0x5040100
	v_or_b32_e32 v2, v17, v19
	v_perm_b32 v1, v0, v1, s0
	v_perm_b32 v0, v9, v7, s0
	v_lshlrev_b32_e32 v2, 1, v2
	ds_write_b64 v2, v[0:1] offset:45056
	s_waitcnt lgkmcnt(0)
	s_barrier
.LBB384_83:
	s_endpgm
	.section	.rodata,"a",@progbits
	.p2align	6, 0x0
	.amdhsa_kernel _ZN12_GLOBAL__N_139chunk_gated_delta_rule_fwd_h_hip_kernelILi32ELb0ELb0ELb0ELb0ELb0ELb0ELb0ELb1EEEvPK12hip_bfloat16S3_S3_PKfS5_PKvPS1_S8_PvPKiSB_iiiiilll
		.amdhsa_group_segment_fixed_size 49152
		.amdhsa_private_segment_fixed_size 0
		.amdhsa_kernarg_size 136
		.amdhsa_user_sgpr_count 2
		.amdhsa_user_sgpr_dispatch_ptr 0
		.amdhsa_user_sgpr_queue_ptr 0
		.amdhsa_user_sgpr_kernarg_segment_ptr 1
		.amdhsa_user_sgpr_dispatch_id 0
		.amdhsa_user_sgpr_kernarg_preload_length 0
		.amdhsa_user_sgpr_kernarg_preload_offset 0
		.amdhsa_user_sgpr_private_segment_size 0
		.amdhsa_uses_dynamic_stack 0
		.amdhsa_enable_private_segment 0
		.amdhsa_system_sgpr_workgroup_id_x 1
		.amdhsa_system_sgpr_workgroup_id_y 1
		.amdhsa_system_sgpr_workgroup_id_z 0
		.amdhsa_system_sgpr_workgroup_info 0
		.amdhsa_system_vgpr_workitem_id 0
		.amdhsa_next_free_vgpr 152
		.amdhsa_next_free_sgpr 62
		.amdhsa_accum_offset 132
		.amdhsa_reserve_vcc 1
		.amdhsa_float_round_mode_32 0
		.amdhsa_float_round_mode_16_64 0
		.amdhsa_float_denorm_mode_32 3
		.amdhsa_float_denorm_mode_16_64 3
		.amdhsa_dx10_clamp 1
		.amdhsa_ieee_mode 1
		.amdhsa_fp16_overflow 0
		.amdhsa_tg_split 0
		.amdhsa_exception_fp_ieee_invalid_op 0
		.amdhsa_exception_fp_denorm_src 0
		.amdhsa_exception_fp_ieee_div_zero 0
		.amdhsa_exception_fp_ieee_overflow 0
		.amdhsa_exception_fp_ieee_underflow 0
		.amdhsa_exception_fp_ieee_inexact 0
		.amdhsa_exception_int_div_zero 0
	.end_amdhsa_kernel
	.section	.text._ZN12_GLOBAL__N_139chunk_gated_delta_rule_fwd_h_hip_kernelILi32ELb0ELb0ELb0ELb0ELb0ELb0ELb0ELb1EEEvPK12hip_bfloat16S3_S3_PKfS5_PKvPS1_S8_PvPKiSB_iiiiilll,"axG",@progbits,_ZN12_GLOBAL__N_139chunk_gated_delta_rule_fwd_h_hip_kernelILi32ELb0ELb0ELb0ELb0ELb0ELb0ELb0ELb1EEEvPK12hip_bfloat16S3_S3_PKfS5_PKvPS1_S8_PvPKiSB_iiiiilll,comdat
.Lfunc_end384:
	.size	_ZN12_GLOBAL__N_139chunk_gated_delta_rule_fwd_h_hip_kernelILi32ELb0ELb0ELb0ELb0ELb0ELb0ELb0ELb1EEEvPK12hip_bfloat16S3_S3_PKfS5_PKvPS1_S8_PvPKiSB_iiiiilll, .Lfunc_end384-_ZN12_GLOBAL__N_139chunk_gated_delta_rule_fwd_h_hip_kernelILi32ELb0ELb0ELb0ELb0ELb0ELb0ELb0ELb1EEEvPK12hip_bfloat16S3_S3_PKfS5_PKvPS1_S8_PvPKiSB_iiiiilll
                                        ; -- End function
	.section	.AMDGPU.csdata,"",@progbits
; Kernel info:
; codeLenInByte = 8492
; NumSgprs: 68
; NumVgprs: 132
; NumAgprs: 20
; TotalNumVgprs: 152
; ScratchSize: 0
; MemoryBound: 0
; FloatMode: 240
; IeeeMode: 1
; LDSByteSize: 49152 bytes/workgroup (compile time only)
; SGPRBlocks: 8
; VGPRBlocks: 18
; NumSGPRsForWavesPerEU: 68
; NumVGPRsForWavesPerEU: 152
; AccumOffset: 132
; Occupancy: 1
; WaveLimiterHint : 1
; COMPUTE_PGM_RSRC2:SCRATCH_EN: 0
; COMPUTE_PGM_RSRC2:USER_SGPR: 2
; COMPUTE_PGM_RSRC2:TRAP_HANDLER: 0
; COMPUTE_PGM_RSRC2:TGID_X_EN: 1
; COMPUTE_PGM_RSRC2:TGID_Y_EN: 1
; COMPUTE_PGM_RSRC2:TGID_Z_EN: 0
; COMPUTE_PGM_RSRC2:TIDIG_COMP_CNT: 0
; COMPUTE_PGM_RSRC3_GFX90A:ACCUM_OFFSET: 32
; COMPUTE_PGM_RSRC3_GFX90A:TG_SPLIT: 0
	.section	.text._ZN12_GLOBAL__N_139chunk_gated_delta_rule_fwd_h_hip_kernelILi32ELb1ELb1ELb1ELb1ELb1ELb1ELb1ELb0EEEvPK12hip_bfloat16S3_S3_PKfS5_PKvPS1_S8_PvPKiSB_iiiiilll,"axG",@progbits,_ZN12_GLOBAL__N_139chunk_gated_delta_rule_fwd_h_hip_kernelILi32ELb1ELb1ELb1ELb1ELb1ELb1ELb1ELb0EEEvPK12hip_bfloat16S3_S3_PKfS5_PKvPS1_S8_PvPKiSB_iiiiilll,comdat
	.globl	_ZN12_GLOBAL__N_139chunk_gated_delta_rule_fwd_h_hip_kernelILi32ELb1ELb1ELb1ELb1ELb1ELb1ELb1ELb0EEEvPK12hip_bfloat16S3_S3_PKfS5_PKvPS1_S8_PvPKiSB_iiiiilll ; -- Begin function _ZN12_GLOBAL__N_139chunk_gated_delta_rule_fwd_h_hip_kernelILi32ELb1ELb1ELb1ELb1ELb1ELb1ELb1ELb0EEEvPK12hip_bfloat16S3_S3_PKfS5_PKvPS1_S8_PvPKiSB_iiiiilll
	.p2align	8
	.type	_ZN12_GLOBAL__N_139chunk_gated_delta_rule_fwd_h_hip_kernelILi32ELb1ELb1ELb1ELb1ELb1ELb1ELb1ELb0EEEvPK12hip_bfloat16S3_S3_PKfS5_PKvPS1_S8_PvPKiSB_iiiiilll,@function
_ZN12_GLOBAL__N_139chunk_gated_delta_rule_fwd_h_hip_kernelILi32ELb1ELb1ELb1ELb1ELb1ELb1ELb1ELb0EEEvPK12hip_bfloat16S3_S3_PKfS5_PKvPS1_S8_PvPKiSB_iiiiilll: ; @_ZN12_GLOBAL__N_139chunk_gated_delta_rule_fwd_h_hip_kernelILi32ELb1ELb1ELb1ELb1ELb1ELb1ELb1ELb0EEEvPK12hip_bfloat16S3_S3_PKfS5_PKvPS1_S8_PvPKiSB_iiiiilll
; %bb.0:
	s_load_dwordx4 s[28:31], s[0:1], 0x5c
	s_load_dwordx4 s[4:7], s[0:1], 0x70
	s_abs_i32 s11, s3
	s_ashr_i32 s10, s3, 31
	s_load_dwordx4 s[24:27], s[0:1], 0x40
	s_load_dwordx2 s[8:9], s[0:1], 0x50
	s_waitcnt lgkmcnt(0)
	s_abs_i32 s14, s29
	v_cvt_f32_u32_e32 v1, s14
	s_sub_i32 s12, 0, s14
	s_ashr_i32 s15, s29, 31
	s_xor_b32 s10, s10, s15
	v_rcp_iflag_f32_e32 v1, v1
	v_and_b32_e32 v79, 15, v0
	v_bfe_u32 v78, v0, 4, 2
	v_mov_b32_e32 v63, 0
	v_mul_f32_e32 v1, 0x4f7ffffe, v1
	v_cvt_u32_f32_e32 v1, v1
	v_lshlrev_b32_e32 v80, 3, v0
	v_readfirstlane_b32 s13, v1
	s_mul_i32 s12, s12, s13
	s_mul_hi_u32 s12, s13, s12
	s_add_i32 s13, s13, s12
	s_mul_hi_u32 s12, s11, s13
	s_mul_i32 s13, s12, s14
	s_sub_i32 s11, s11, s13
	s_add_i32 s16, s12, 1
	s_sub_i32 s13, s11, s14
	s_cmp_ge_u32 s11, s14
	s_cselect_b32 s12, s16, s12
	s_cselect_b32 s11, s13, s11
	s_add_i32 s13, s12, 1
	s_cmp_ge_u32 s11, s14
	s_cselect_b32 s11, s13, s12
	s_xor_b32 s11, s11, s10
	s_sub_i32 s36, s11, s10
	s_mul_i32 s16, s36, s29
	s_ashr_i32 s37, s36, 31
	s_sub_i32 s33, s3, s16
	s_lshl_b64 s[10:11], s[36:37], 2
	s_add_u32 s12, s26, s10
	s_addc_u32 s13, s27, s11
	s_add_u32 s38, s8, s10
	s_addc_u32 s39, s9, s11
	s_abs_i32 s3, s30
	v_cvt_f32_u32_e32 v1, s3
	s_load_dwordx2 s[34:35], s[12:13], 0x0
	s_sub_i32 s9, 0, s3
	s_lshl_b32 s2, s2, 5
	v_rcp_iflag_f32_e32 v1, v1
	v_or_b32_e32 v68, s2, v79
	s_waitcnt lgkmcnt(0)
	s_sub_i32 s56, s35, s34
	s_ashr_i32 s8, s56, 31
	v_mul_f32_e32 v1, 0x4f7ffffe, v1
	v_cvt_u32_f32_e32 v1, v1
	s_lshr_b32 s8, s8, 26
	s_add_i32 s8, s56, s8
	s_ashr_i32 s55, s8, 6
	v_readfirstlane_b32 s10, v1
	s_mul_i32 s9, s9, s10
	s_mul_hi_u32 s9, s10, s9
	s_add_i32 s10, s10, s9
	s_mul_hi_u32 s9, s14, s10
	s_mul_i32 s10, s9, s3
	s_ashr_i32 s8, s30, 31
	s_sub_i32 s10, s14, s10
	s_xor_b32 s8, s15, s8
	s_add_i32 s11, s9, 1
	s_sub_i32 s12, s10, s3
	s_cmp_ge_u32 s10, s3
	s_cselect_b32 s9, s11, s9
	s_cselect_b32 s10, s12, s10
	s_add_i32 s11, s9, 1
	s_cmp_ge_u32 s10, s3
	s_cselect_b32 s3, s11, s9
	s_xor_b32 s3, s3, s8
	s_sub_i32 s3, s3, s8
	s_abs_i32 s17, s3
	v_cvt_f32_u32_e32 v1, s17
	s_sub_i32 s19, 0, s17
	s_abs_i32 s18, s33
	s_xor_b32 s3, s33, s3
	v_rcp_iflag_f32_e32 v2, v1
	s_ashr_i32 s3, s3, 31
	s_load_dwordx8 s[8:15], s[0:1], 0x20
	v_lshrrev_b32_e32 v1, 6, v0
	v_mul_f32_e32 v2, 0x4f7ffffe, v2
	v_cvt_u32_f32_e32 v2, v2
	v_lshlrev_b32_e32 v61, 4, v1
	v_lshlrev_b32_e32 v66, 7, v68
	v_lshl_or_b32 v82, v78, 2, v61
	v_readfirstlane_b32 s20, v2
	s_mul_i32 s19, s19, s20
	s_mul_hi_u32 s19, s20, s19
	s_add_i32 s20, s20, s19
	s_mul_hi_u32 s19, s18, s20
	s_mul_i32 s20, s19, s17
	s_sub_i32 s18, s18, s20
	s_add_i32 s20, s19, 1
	s_sub_i32 s21, s18, s17
	s_cmp_ge_u32 s18, s17
	s_cselect_b32 s19, s20, s19
	s_cselect_b32 s18, s21, s18
	s_add_i32 s20, s19, 1
	s_cmp_ge_u32 s18, s17
	s_cselect_b32 s17, s20, s19
	s_xor_b32 s17, s17, s3
	s_sub_i32 s57, s17, s3
	s_ashr_i32 s48, s33, 31
	s_mul_hi_i32 s3, s36, s29
	s_add_u32 s16, s16, s33
	s_addc_u32 s17, s3, s48
	s_lshl_b64 s[26:27], s[16:17], 16
	s_waitcnt lgkmcnt(0)
	s_add_u32 s10, s10, s26
	s_addc_u32 s11, s11, s27
	v_ashrrev_i32_e32 v67, 31, v66
	v_lshl_add_u64 v[2:3], v[66:67], 2, s[10:11]
	v_lshlrev_b32_e32 v62, 2, v82
	v_or_b32_e32 v64, 0x800, v66
	v_lshl_add_u64 v[10:11], v[2:3], 0, v[62:63]
	v_ashrrev_i32_e32 v65, 31, v64
	global_load_dwordx4 v[2:5], v[10:11], off
	global_load_dwordx4 v[6:9], v[10:11], off offset:256
	v_lshl_add_u64 v[10:11], v[64:65], 2, s[10:11]
	v_lshl_add_u64 v[10:11], v[10:11], 0, v[62:63]
	global_load_dwordx4 v[18:21], v[10:11], off
	global_load_dwordx4 v[22:25], v[10:11], off offset:256
	s_load_dwordx8 s[16:23], s[0:1], 0x0
	s_load_dwordx2 s[10:11], s[0:1], 0x80
	s_load_dword s58, s[38:39], 0x0
	v_and_b32_e32 v63, 63, v0
	v_or_b32_e32 v83, 64, v82
	s_cmp_lt_i32 s56, 64
	s_mul_hi_i32 s59, s33, s28
	s_mul_i32 s60, s33, s28
	v_lshrrev_b32_e32 v81, 3, v63
	s_mul_i32 s49, s36, s5
	s_mul_hi_u32 s51, s36, s4
	s_mul_i32 s52, s37, s4
	s_mul_i32 s40, s36, s4
	;; [unrolled: 1-line block ×3, first 2 shown]
	s_mul_hi_u32 s53, s33, s6
	s_mul_i32 s54, s48, s6
	s_mul_i32 s42, s33, s6
	s_cbranch_scc1 .LBB385_3
; %bb.1:
	s_ashr_i32 s1, s34, 31
	s_add_u32 s0, s60, s34
	s_addc_u32 s1, s59, s1
	s_lshl_b64 s[0:1], s[0:1], 8
	v_and_b32_e32 v85, 56, v80
	s_waitcnt lgkmcnt(0)
	s_add_u32 s4, s18, s0
	v_lshl_or_b32 v84, v1, 3, v81
	v_lshlrev_b32_e32 v10, 1, v85
	s_addc_u32 s0, s19, s1
	v_lshl_or_b32 v86, v84, 8, v10
	s_and_b32 s5, s0, 0xffff
	s_mov_b32 s7, 0x20000
	s_movk_i32 s6, 0x4000
	s_movk_i32 s0, 0x80
	v_or_b32_e32 v87, 0x2000, v86
	buffer_load_dwordx4 v[12:15], v86, s[4:7], 0 offen
	buffer_load_dwordx4 v[26:29], v86, s[4:7], s0 offen
	;; [unrolled: 1-line block ×4, first 2 shown]
	v_lshlrev_b32_e32 v11, 3, v84
	v_and_or_b32 v17, v0, 7, v11
	v_and_b32_e32 v11, 0x78, v11
	v_lshlrev_b32_e32 v17, 4, v17
	v_xor_b32_e32 v88, v17, v11
	v_mul_lo_u32 v16, v84, s31
	v_or_b32_e32 v89, 0x1000, v88
	v_xor_b32_e32 v11, 8, v88
	s_cmpk_eq_i32 s31, 0x80
	s_mov_b32 s61, s34
	v_xor_b32_e32 v17, 8, v89
	s_cselect_b64 s[0:1], -1, 0
	s_cmpk_lg_i32 s31, 0x80
	s_waitcnt vmcnt(3)
	ds_write_b64 v88, v[12:13] offset:24576
	ds_write_b64 v11, v[14:15] offset:24576
	s_waitcnt vmcnt(2)
	ds_write_b64 v88, v[26:27] offset:32768
	ds_write_b64 v11, v[28:29] offset:32768
	;; [unrolled: 3-line block ×4, first 2 shown]
	v_lshl_add_u32 v11, v16, 1, v85
	s_cbranch_scc0 .LBB385_4
; %bb.2:
	v_lshlrev_b32_e32 v13, 1, v11
	v_add_lshl_u32 v12, v11, s31, 1
	s_lshl_b32 s6, s31, 7
	v_lshl_or_b32 v10, v84, 9, v10
	s_cbranch_execz .LBB385_5
	s_branch .LBB385_6
.LBB385_3:
	s_waitcnt vmcnt(0)
	v_mov_b32_e32 v17, v25
	v_mov_b32_e32 v16, v24
	;; [unrolled: 1-line block ×5, first 2 shown]
	s_branch .LBB385_20
.LBB385_4:
                                        ; implicit-def: $vgpr12
                                        ; implicit-def: $vgpr13
                                        ; implicit-def: $sgpr6
	v_lshl_or_b32 v10, v84, 9, v10
.LBB385_5:
	v_or_b32_e32 v12, 0x100, v10
	s_movk_i32 s6, 0x4000
	v_mov_b32_e32 v13, v10
.LBB385_6:
	s_mul_i32 s4, s34, s30
	s_ashr_i32 s62, s57, 31
	s_mul_hi_i32 s3, s34, s30
	s_add_u32 s4, s4, s57
	s_addc_u32 s5, s3, s62
	s_lshl_b64 s[4:5], s[4:5], 8
	s_add_u32 s4, s16, s4
	s_addc_u32 s3, s17, s5
	s_and_b32 s5, s3, 0xffff
	s_movk_i32 s63, 0x80
	buffer_load_dwordx4 v[14:17], v13, s[4:7], 0 offen
	buffer_load_dwordx4 v[26:29], v13, s[4:7], s63 offen
	;; [unrolled: 1-line block ×4, first 2 shown]
	v_and_b32_e32 v12, 6, v0
	v_lshlrev_b32_e32 v39, 6, v82
	v_or_b32_e32 v41, 16, v79
	v_xor_b32_e32 v42, v84, v12
	v_and_b32_e32 v13, 1, v0
	v_lshl_or_b32 v45, v79, 3, v39
	v_lshl_or_b32 v39, v41, 3, v39
	v_lshlrev_b32_e32 v42, 2, v42
	v_lshlrev_b32_e32 v38, 2, v79
	v_or_b32_e32 v92, 0xa000, v39
	v_or_b32_e32 v93, 0xb000, v39
	v_xor_b32_e32 v39, 0x440, v42
	v_cmp_eq_u32_e32 vcc, 0, v13
	s_add_i32 s3, s51, s49
	v_xor_b32_e32 v43, v82, v38
	v_xor_b32_e32 v44, v83, v38
	v_cndmask_b32_e32 v13, v39, v42, vcc
	s_add_i32 s4, s53, s50
	s_add_i32 s41, s3, s52
	s_mov_b32 s64, 0x1000504
	v_lshlrev_b32_e32 v40, 8, v79
	v_lshlrev_b32_e32 v41, 8, v41
	;; [unrolled: 1-line block ×4, first 2 shown]
	v_lshl_or_b32 v12, v12, 10, v13
	s_add_i32 s43, s4, s54
	s_lshl_b64 s[4:5], s[40:41], 2
	s_mov_b32 s65, 0x3020706
	v_or_b32_e32 v90, 0xa000, v45
	v_or_b32_e32 v91, 0xb000, v45
	;; [unrolled: 1-line block ×5, first 2 shown]
	v_xor_b32_e32 v13, 8, v12
	v_xor_b32_e32 v40, 24, v12
	;; [unrolled: 1-line block ×4, first 2 shown]
	s_add_u32 s3, s22, s4
	v_or_b32_e32 v96, v41, v43
	v_xor_b32_e32 v39, 16, v12
	v_xor_b32_e32 v41, 32, v12
	;; [unrolled: 1-line block ×3, first 2 shown]
	v_add_u32_e32 v13, 0x80, v13
	v_add_u32_e32 v40, 0x80, v40
	;; [unrolled: 1-line block ×4, first 2 shown]
	s_addc_u32 s6, s23, s5
	s_lshl_b64 s[4:5], s[42:43], 2
	s_add_u32 s44, s3, s4
	s_movk_i32 s3, 0xf8
	s_addc_u32 s45, s6, s5
	s_lshl_b32 s38, s31, 7
	s_movk_i32 s36, 0x100
	v_mov_b32_e32 v71, 0
	v_lshlrev_b32_e32 v70, 4, v79
	v_cmp_gt_u32_e32 vcc, s36, v0
	v_ashrrev_i32_e32 v69, 31, v68
	s_mov_b32 s66, 0
	s_movk_i32 s41, 0x1000
	s_movk_i32 s6, 0x4000
	s_waitcnt vmcnt(1)
	v_perm_b32 v45, v14, v30, s64
	s_waitcnt vmcnt(0)
	v_perm_b32 v46, v26, v34, s64
	v_perm_b32 v14, v14, v30, s65
	;; [unrolled: 1-line block ×15, first 2 shown]
	ds_write2st64_b32 v12, v45, v46 offset0:32 offset1:64
	ds_write2st64_b32 v13, v14, v26 offset0:32 offset1:64
	;; [unrolled: 1-line block ×8, first 2 shown]
	v_or_b32_e32 v12, v61, v79
	v_lshlrev_b32_e32 v12, 3, v12
	v_lshrrev_b32_e32 v15, 5, v63
	v_and_or_b32 v15, v12, s3, v15
	v_lshlrev_b32_e32 v15, 4, v15
	v_lshlrev_b32_e32 v17, 11, v1
	v_and_b32_e32 v12, 0x78, v12
	v_or_b32_e32 v28, 32, v15
	v_and_b32_e32 v14, 0x1000, v17
	v_lshrrev_b32_e32 v26, 1, v63
	v_xor_b32_e32 v28, v28, v12
	v_xor_b32_e32 v16, v15, v12
	v_and_b32_e32 v26, 8, v26
	v_or_b32_e32 v28, v28, v14
	v_or_b32_e32 v16, v16, v14
	v_lshlrev_b32_e32 v27, 7, v78
	v_xor_b32_e32 v100, v28, v26
	v_or_b32_e32 v28, 64, v15
	v_or_b32_e32 v15, 0x60, v15
	s_ashr_i32 s3, s2, 31
	v_xor_b32_e32 v98, v16, v26
	v_or_b32_e32 v16, v27, v38
	v_xor_b32_e32 v28, v28, v12
	v_xor_b32_e32 v12, v15, v12
	s_lshl_b64 s[4:5], s[2:3], 8
	v_lshlrev_b32_e32 v16, 1, v16
	v_or_b32_e32 v28, v28, v14
	v_or_b32_e32 v12, v12, v14
	s_add_u32 s4, s12, s4
	v_lshlrev_b32_e32 v14, 1, v79
	v_or_b32_e32 v99, 0xa000, v16
	v_or_b32_e32 v101, 0xa080, v16
	;; [unrolled: 1-line block ×4, first 2 shown]
	v_lshrrev_b32_e32 v16, 4, v0
	s_addc_u32 s5, s13, s5
	v_or_b32_e32 v15, 1, v14
	v_mov_b32_e32 v33, 0x4000
	v_mov_b32_e32 v34, 0x2000
	v_lshrrev_b32_e32 v35, 1, v0
	v_xor_b32_e32 v102, v28, v26
	v_xor_b32_e32 v103, v12, v26
	;; [unrolled: 1-line block ×4, first 2 shown]
	v_lshl_add_u64 v[14:15], s[4:5], 0, v[70:71]
	v_lshlrev_b32_e32 v70, 8, v16
	v_cndmask_b32_e32 v33, v33, v34, vcc
	v_lshlrev_b32_e32 v34, 3, v1
	v_and_b32_e32 v35, 24, v35
	v_lshl_or_b32 v106, v26, 3, v70
	v_and_b32_e32 v26, 8, v0
	v_xor_b32_e32 v36, v34, v35
	v_or_b32_e32 v37, 0x440, v36
	v_cmp_eq_u32_e32 vcc, 0, v26
	v_and_b32_e32 v16, 7, v0
	v_lshl_or_b32 v107, v30, 3, v70
	v_cndmask_b32_e32 v26, v37, v36, vcc
	v_lshlrev_b32_e32 v30, 3, v16
	v_lshlrev_b32_e32 v32, 2, v0
	v_or_b32_e32 v26, v26, v17
	v_xor_b32_e32 v36, v26, v30
	v_and_or_b32 v26, v32, 60, v27
	v_mov_b32_e32 v27, 0xb000
	v_lshl_or_b32 v108, v26, 1, v27
	v_or_b32_e32 v26, 32, v35
	v_xor_b32_e32 v26, v34, v26
	v_or_b32_e32 v27, 0x440, v26
	v_cndmask_b32_e32 v26, v27, v26, vcc
	v_or_b32_e32 v26, v26, v17
	v_xor_b32_e32 v27, v26, v30
	v_or_b32_e32 v26, 64, v35
	v_xor_b32_e32 v26, v34, v26
	v_xor_b32_e32 v38, 0x440, v26
	v_cndmask_b32_e32 v26, v38, v26, vcc
	v_or_b32_e32 v26, v26, v17
	v_xor_b32_e32 v38, v26, v30
	v_or_b32_e32 v26, 0x60, v35
	v_xor_b32_e32 v26, v34, v26
	v_xor_b32_e32 v34, 0x440, v26
	v_cndmask_b32_e32 v26, v34, v26, vcc
	v_lshrrev_b32_e32 v13, 2, v63
	v_or_b32_e32 v17, v26, v17
	v_and_b32_e32 v13, 12, v13
	v_lshlrev_b32_e32 v28, 1, v11
	v_add_lshl_u32 v11, v11, s31, 1
	v_or_b32_e32 v29, 0x100, v10
	v_xor_b32_e32 v17, v17, v30
	v_lshlrev_b32_e32 v12, 7, v82
	v_lshlrev_b32_e32 v31, 7, v16
	v_or_b32_e32 v16, v13, v61
	v_add_u32_e32 v37, v33, v36
	v_add_u32_e32 v32, v33, v27
	;; [unrolled: 1-line block ×4, first 2 shown]
	v_or3_b32 v26, v61, v13, 64
	v_add_u32_e32 v13, 0x4000, v36
	v_add_u32_e32 v27, 0x4000, v27
	v_add_u32_e32 v33, 0x4000, v38
	v_add_u32_e32 v17, 0x4000, v17
	v_cndmask_b32_e64 v109, v28, v10, s[0:1]
	v_cndmask_b32_e64 v110, v11, v29, s[0:1]
	v_lshlrev_b64 v[10:11], 1, v[68:69]
	v_lshl_add_u64 v[72:73], s[20:21], 0, v[10:11]
	v_lshl_add_u64 v[74:75], s[14:15], 0, v[10:11]
	;; [unrolled: 1-line block ×3, first 2 shown]
	s_mov_b32 s3, 0x7060302
	v_lshlrev_b32_e32 v70, 1, v12
	v_lshlrev_b32_e32 v69, 2, v16
	v_add_u32_e32 v111, v37, v31
	v_add_u32_e32 v112, v32, v31
	;; [unrolled: 1-line block ×4, first 2 shown]
	v_lshlrev_b32_e32 v115, 2, v26
	v_add_u32_e32 v116, v13, v31
	v_add_u32_e32 v117, v27, v31
	v_add_u32_e32 v118, v33, v31
	v_add_u32_e32 v119, v17, v31
	s_waitcnt lgkmcnt(0)
	s_barrier
.LBB385_7:                              ; =>This Inner Loop Header: Depth=1
	s_add_i32 s43, s66, 1
	s_cmp_lt_i32 s43, s55
	s_mov_b64 s[36:37], 0
	s_cselect_b64 s[46:47], -1, 0
	s_cmp_ge_i32 s43, s55
	s_mov_b64 s[4:5], 0
	s_cbranch_scc1 .LBB385_9
; %bb.8:                                ;   in Loop: Header=BB385_7 Depth=1
	s_add_i32 s0, s61, 64
	s_ashr_i32 s1, s0, 31
	s_add_u32 s0, s60, s0
	s_addc_u32 s1, s59, s1
	s_lshl_b64 s[0:1], s[0:1], 8
	s_add_u32 s4, s18, s0
	s_addc_u32 s5, s19, s1
.LBB385_9:                              ;   in Loop: Header=BB385_7 Depth=1
	v_cndmask_b32_e64 v10, 0, 1, s[46:47]
	v_cmp_ne_u32_e64 s[0:1], 1, v10
	s_andn2_b64 vcc, exec, s[46:47]
	s_cbranch_vccnz .LBB385_11
; %bb.10:                               ;   in Loop: Header=BB385_7 Depth=1
	s_add_i32 s36, s61, 64
	s_mul_hi_i32 s37, s36, s30
	s_mul_i32 s36, s36, s30
	s_add_u32 s36, s36, s57
	s_addc_u32 s37, s37, s62
	s_lshl_b64 s[36:37], s[36:37], 8
	s_add_u32 s36, s16, s36
	s_addc_u32 s37, s17, s37
.LBB385_11:                             ;   in Loop: Header=BB385_7 Depth=1
	v_perm_b32 v11, v5, v4, s3
	v_perm_b32 v10, v3, v2, s3
	;; [unrolled: 1-line block ×4, first 2 shown]
	ds_write_b64 v90, v[10:11]
	ds_write_b64 v91, v[12:13]
	;; [unrolled: 1-line block ×4, first 2 shown]
	v_perm_b32 v11, v21, v20, s3
	v_perm_b32 v10, v19, v18, s3
	v_perm_b32 v13, v25, v24, s3
	v_perm_b32 v12, v23, v22, s3
	ds_write_b64 v92, v[10:11]
	ds_write_b64 v93, v[12:13]
	;; [unrolled: 1-line block ×4, first 2 shown]
	s_waitcnt lgkmcnt(0)
	s_barrier
	ds_read_b64 v[14:15], v98 offset:24576
	ds_read2_b64 v[10:13], v99 offset1:16
	ds_read_b64 v[26:27], v101 offset:3072
	ds_read_b64 v[28:29], v99 offset:3072
	;; [unrolled: 1-line block ×3, first 2 shown]
	s_waitcnt lgkmcnt(3)
	v_mfma_f32_16x16x16_bf16 a[0:3], v[14:15], v[10:11], 0
	s_add_i32 s67, s61, 63
	s_ashr_i32 s39, s67, 31
	s_mul_i32 s46, s67, s11
	v_mfma_f32_16x16x16_bf16 a[4:7], v[14:15], v[12:13], 0
	ds_read2st64_b64 v[10:13], v99 offset0:2 offset1:4
	s_mul_hi_u32 s47, s67, s10
	s_add_i32 s46, s47, s46
	s_waitcnt lgkmcnt(0)
	v_mfma_f32_16x16x16_bf16 a[0:3], v[30:31], v[10:11], a[0:3]
	ds_read2st64_b64 v[14:17], v101 offset0:2 offset1:4
	ds_read_b64 v[10:11], v102 offset:24576
	s_mul_i32 s39, s39, s10
	s_add_i32 s47, s46, s39
	s_waitcnt lgkmcnt(1)
	v_mfma_f32_16x16x16_bf16 a[4:7], v[30:31], v[14:15], a[4:7]
	ds_read_b64 v[14:15], v103 offset:24576
	s_mul_i32 s46, s67, s10
	s_lshl_b64 s[46:47], s[46:47], 2
	s_waitcnt lgkmcnt(1)
	v_mfma_f32_16x16x16_bf16 a[0:3], v[10:11], v[12:13], a[0:3]
	s_add_u32 s46, s44, s46
	s_addc_u32 s47, s45, s47
	s_and_b64 vcc, exec, s[0:1]
	v_mfma_f32_16x16x16_bf16 a[8:11], v[10:11], v[16:17], a[4:7]
	v_mov_b32_e32 v122, 0
	v_mov_b32_e32 v121, 0
	;; [unrolled: 1-line block ×3, first 2 shown]
	s_waitcnt lgkmcnt(0)
	v_mfma_f32_16x16x16_bf16 a[4:7], v[14:15], v[28:29], a[0:3]
	v_mov_b32_e32 v10, 0
	v_mov_b32_e32 v11, 0
	;; [unrolled: 1-line block ×3, first 2 shown]
	v_mfma_f32_16x16x16_bf16 a[0:3], v[14:15], v[26:27], a[8:11]
	v_mov_b32_e32 v13, 0
	v_mov_b32_e32 v14, 0
	;; [unrolled: 1-line block ×13, first 2 shown]
	s_cbranch_vccnz .LBB385_13
; %bb.12:                               ;   in Loop: Header=BB385_7 Depth=1
	s_and_b32 s5, s5, 0xffff
	buffer_load_dwordx4 v[30:33], v86, s[4:7], 0 offen
	buffer_load_dwordx4 v[26:29], v86, s[4:7], s63 offen
	;; [unrolled: 1-line block ×4, first 2 shown]
	v_mov_b32_e32 v121, v88
	v_mov_b32_e32 v120, v89
.LBB385_13:                             ;   in Loop: Header=BB385_7 Depth=1
	ds_read_b64 v[42:43], v98 offset:32768
	ds_read2_b64 v[34:37], v104 offset1:16
	ds_read_b64 v[44:45], v100 offset:32768
	ds_read_b64 v[46:47], v102 offset:32768
	ds_read_b64 v[48:49], v103 offset:32768
	ds_read2st64_b64 v[38:41], v104 offset0:2 offset1:4
	v_add_u32_e32 v50, s61, v82
	s_waitcnt lgkmcnt(4)
	v_mfma_f32_16x16x16_bf16 a[4:7], v[42:43], v[34:35], a[4:7]
	v_ashrrev_i32_e32 v34, 31, v50
	v_mov_b32_e32 v123, 0
	v_mfma_f32_16x16x16_bf16 a[0:3], v[42:43], v[36:37], a[0:3]
	v_mul_lo_u32 v36, v50, s11
	v_mul_lo_u32 v37, v34, s10
	v_mad_u64_u32 v[34:35], s[4:5], v50, s10, 0
	v_add3_u32 v35, v35, v36, v37
	v_add_u32_e32 v36, 1, v50
	v_ashrrev_i32_e32 v37, 31, v36
	s_waitcnt lgkmcnt(0)
	v_mfma_f32_16x16x16_bf16 a[4:7], v[44:45], v[38:39], a[4:7]
	v_mul_lo_u32 v38, v37, s10
	v_mul_lo_u32 v39, v36, s11
	v_mad_u64_u32 v[36:37], s[4:5], v36, s10, 0
	v_add3_u32 v37, v37, v39, v38
	v_add_u32_e32 v38, 2, v50
	v_ashrrev_i32_e32 v39, 31, v38
	v_mul_lo_u32 v42, v39, s10
	v_mul_lo_u32 v43, v38, s11
	v_mad_u64_u32 v[38:39], s[4:5], v38, s10, 0
	v_add3_u32 v39, v39, v43, v42
	v_add_u32_e32 v42, 3, v50
	v_ashrrev_i32_e32 v43, 31, v42
	v_mul_lo_u32 v50, v43, s10
	v_mul_lo_u32 v51, v42, s11
	v_mad_u64_u32 v[42:43], s[4:5], v42, s10, 0
	s_ashr_i32 s5, s61, 31
	v_add3_u32 v43, v43, v51, v50
	s_add_u32 s4, s60, s61
	v_lshl_add_u64 v[34:35], v[34:35], 2, s[44:45]
	v_lshl_add_u64 v[42:43], v[42:43], 2, s[44:45]
	s_addc_u32 s5, s59, s5
	v_lshl_add_u64 v[36:37], v[36:37], 2, s[44:45]
	v_lshl_add_u64 v[38:39], v[38:39], 2, s[44:45]
	global_load_dword v50, v[34:35], off
	global_load_dword v51, v[36:37], off
	;; [unrolled: 1-line block ×3, first 2 shown]
	s_nop 0
	global_load_dword v43, v[42:43], off
	s_lshl_b64 s[68:69], s[4:5], 8
	v_lshl_add_u64 v[34:35], v[72:73], 0, s[68:69]
	v_lshl_add_u64 v[38:39], v[34:35], 0, v[70:71]
	global_load_ushort v53, v[38:39], off offset:256
	global_load_ushort v54, v[38:39], off
	global_load_ushort v55, v[38:39], off offset:768
	global_load_ushort v56, v[38:39], off offset:512
	ds_read2st64_b64 v[34:37], v105 offset0:2 offset1:4
	global_load_ushort v57, v[38:39], off offset:800
	global_load_ushort v58, v[38:39], off offset:544
	;; [unrolled: 1-line block ×4, first 2 shown]
	s_waitcnt lgkmcnt(0)
	v_mfma_f32_16x16x16_bf16 a[0:3], v[44:45], v[34:35], a[0:3]
	s_and_b64 vcc, exec, s[0:1]
	s_waitcnt vmcnt(7)
	v_lshlrev_b32_e32 v45, 16, v53
	v_mfma_f32_16x16x16_bf16 a[4:7], v[46:47], v[40:41], a[4:7]
	s_waitcnt vmcnt(6)
	v_lshlrev_b32_e32 v44, 16, v54
	v_mfma_f32_16x16x16_bf16 a[0:3], v[46:47], v[36:37], a[0:3]
	ds_read_b64 v[34:35], v104 offset:3072
	ds_read_b64 v[36:37], v105 offset:3072
	s_load_dword s4, s[46:47], 0x0
	s_waitcnt vmcnt(5)
	v_lshlrev_b32_e32 v47, 16, v55
	s_waitcnt lgkmcnt(0)
	v_mfma_f32_16x16x16_bf16 a[4:7], v[48:49], v[34:35], a[4:7]
	v_lshl_add_u64 v[34:35], v[74:75], 0, s[68:69]
	v_sub_f32_e32 v42, s4, v50
	v_sub_f32_e32 v46, s4, v51
	v_mfma_f32_16x16x16_bf16 a[0:3], v[48:49], v[36:37], a[0:3]
	v_sub_f32_e32 v48, s4, v52
	v_sub_f32_e32 v49, s4, v43
	v_exp_f32_e32 v42, v42
	v_exp_f32_e32 v43, v46
	;; [unrolled: 1-line block ×4, first 2 shown]
	v_accvgpr_read_b32 v41, a5
	v_accvgpr_read_b32 v37, a7
	;; [unrolled: 1-line block ×4, first 2 shown]
	s_waitcnt vmcnt(4)
	v_lshlrev_b32_e32 v46, 16, v56
	v_lshl_add_u64 v[34:35], v[34:35], 0, v[70:71]
	v_pk_add_f32 v[40:41], v[44:45], v[40:41] neg_lo:[0,1] neg_hi:[0,1]
	v_pk_add_f32 v[36:37], v[46:47], v[36:37] neg_lo:[0,1] neg_hi:[0,1]
	global_store_short_d16_hi v[34:35], v40, off
	global_store_short_d16_hi v[34:35], v41, off offset:256
	global_store_short_d16_hi v[34:35], v36, off offset:512
	;; [unrolled: 1-line block ×3, first 2 shown]
	v_pk_mul_f32 v[40:41], v[42:43], v[40:41]
	v_pk_mul_f32 v[36:37], v[48:49], v[36:37]
	v_accvgpr_read_b32 v45, a1
	v_perm_b32 v40, v41, v40, s3
	v_perm_b32 v41, v37, v36, s3
	s_waitcnt vmcnt(5)
	v_lshlrev_b32_e32 v37, 16, v59
	s_waitcnt vmcnt(4)
	v_lshlrev_b32_e32 v36, 16, v60
	v_accvgpr_read_b32 v44, a0
	v_accvgpr_read_b32 v39, a3
	;; [unrolled: 1-line block ×3, first 2 shown]
	v_pk_add_f32 v[36:37], v[36:37], v[44:45] neg_lo:[0,1] neg_hi:[0,1]
	v_lshlrev_b32_e32 v45, 16, v57
	v_lshlrev_b32_e32 v44, 16, v58
	v_pk_add_f32 v[38:39], v[44:45], v[38:39] neg_lo:[0,1] neg_hi:[0,1]
	global_store_short_d16_hi v[34:35], v36, off offset:32
	global_store_short_d16_hi v[34:35], v37, off offset:288
	;; [unrolled: 1-line block ×4, first 2 shown]
	v_pk_mul_f32 v[34:35], v[42:43], v[36:37]
	v_pk_mul_f32 v[36:37], v[48:49], v[38:39]
	v_mov_b32_e32 v38, 0
	v_perm_b32 v37, v37, v36, s3
	v_perm_b32 v36, v35, v34, s3
	ds_write2_b64 v91, v[40:41], v[36:37] offset1:16
	v_mov_b32_e32 v34, 0
	v_mov_b32_e32 v35, 0
	;; [unrolled: 1-line block ×15, first 2 shown]
	s_cbranch_vccnz .LBB385_15
; %bb.14:                               ;   in Loop: Header=BB385_7 Depth=1
	s_and_b32 s37, s37, 0xffff
	s_mov_b32 s39, s7
	buffer_load_dwordx4 v[46:49], v109, s[36:39], 0 offen
	buffer_load_dwordx4 v[38:41], v109, s[36:39], s63 offen
	;; [unrolled: 1-line block ×4, first 2 shown]
	v_mov_b32_e32 v122, v85
	v_mov_b32_e32 v123, v84
.LBB385_15:                             ;   in Loop: Header=BB385_7 Depth=1
	s_waitcnt lgkmcnt(0)
	s_barrier
	ds_read_b64 v[54:55], v111
	ds_read_b64 v[128:129], v108
	ds_read_b64 v[130:131], v112
	ds_read_b64 v[132:133], v113
	ds_read_b64 v[140:141], v114
	ds_read_b64 v[142:143], v105 offset:3072
	ds_read2_b64 v[50:53], v104 offset0:16 offset1:128
	s_waitcnt lgkmcnt(5)
	v_mfma_f32_16x16x16_bf16 a[0:3], v[54:55], v[128:129], 0
	s_add_i32 s5, s58, s66
	s_mul_hi_i32 s37, s5, s29
	s_mul_i32 s5, s5, s29
	s_waitcnt lgkmcnt(0)
	v_mfma_f32_16x16x16_bf16 a[4:7], v[54:55], v[50:51], 0
	ds_read_b64 v[54:55], v116
	ds_read2st64_b64 v[56:59], v105 offset0:2 offset1:4
	s_add_u32 s36, s5, s33
	s_addc_u32 s37, s37, s48
	s_lshl_b64 s[36:37], s[36:37], 15
	s_mul_i32 s39, s67, s29
	s_mul_hi_i32 s5, s67, s29
	s_add_u32 s46, s39, s33
	s_waitcnt lgkmcnt(1)
	v_mfma_f32_16x16x16_bf16 a[8:11], v[54:55], v[128:129], 0
	s_addc_u32 s47, s5, s48
	ds_read2st64_b64 v[124:127], v104 offset0:4 offset1:6
	s_lshl_b64 s[46:47], s[46:47], 9
	v_mfma_f32_16x16x16_bf16 a[0:3], v[130:131], v[52:53], a[0:3]
	s_add_u32 s46, s8, s46
	s_addc_u32 s47, s9, s47
	s_waitcnt lgkmcnt(1)
	v_mfma_f32_16x16x16_bf16 a[4:7], v[130:131], v[56:57], a[4:7]
	ds_read_b64 v[130:131], v117
	ds_read_b64 v[138:139], v118
	;; [unrolled: 1-line block ×3, first 2 shown]
	v_mfma_f32_16x16x16_bf16 a[12:15], v[54:55], v[50:51], 0
	s_waitcnt lgkmcnt(2)
	v_mfma_f32_16x16x16_bf16 a[8:11], v[130:131], v[52:53], a[8:11]
	global_load_dwordx4 v[50:53], v115, s[46:47]
	v_mfma_f32_16x16x16_bf16 a[12:15], v[130:131], v[56:57], a[12:15]
	global_load_dwordx4 v[54:57], v69, s[46:47]
	ds_read2st64_b64 v[128:131], v106 offset1:8
	s_waitcnt lgkmcnt(0)
	v_mov_b32_e32 v136, v128
	v_mfma_f32_16x16x16_bf16 a[0:3], v[132:133], v[124:125], a[0:3]
	v_mov_b32_e32 v137, v129
	v_mfma_f32_16x16x16_bf16 a[4:7], v[132:133], v[58:59], a[4:7]
	ds_read2st64_b64 v[132:135], v107 offset1:8
	v_mfma_f32_16x16x16_bf16 a[8:11], v[138:139], v[124:125], a[8:11]
	v_lshl_add_u64 v[124:125], v[76:77], 0, s[36:37]
	v_mfma_f32_16x16x16_bf16 a[16:19], v[138:139], v[58:59], a[12:15]
	v_add_co_u32_e32 v58, vcc, s41, v124
	s_waitcnt lgkmcnt(0)
	v_mov_b32_e32 v138, v132
	v_mfma_f32_16x16x16_bf16 a[0:3], v[140:141], v[126:127], a[0:3]
	v_mov_b32_e32 v139, v133
	v_mov_b32_e32 v132, v130
	;; [unrolled: 1-line block ×3, first 2 shown]
	v_mfma_f32_16x16x16_bf16 a[4:7], v[140:141], v[142:143], a[4:7]
	v_addc_co_u32_e32 v59, vcc, 0, v125, vcc
	global_store_dwordx4 v[58:59], v[132:135], off
	v_mfma_f32_16x16x16_bf16 a[12:15], v[144:145], v[126:127], a[8:11]
	s_and_b64 vcc, exec, s[0:1]
	global_store_dwordx4 v[124:125], v[136:139], off
	s_waitcnt vmcnt(3)
	v_mov_b32_e32 v60, v53
	v_mfma_f32_16x16x16_bf16 a[8:11], v[144:145], v[142:143], a[16:19]
	v_mov_b32_e32 v59, v52
	v_mov_b32_e32 v58, v51
	s_cbranch_vccnz .LBB385_17
; %bb.16:                               ;   in Loop: Header=BB385_7 Depth=1
	v_lshrrev_b32_e32 v51, 3, v122
	v_and_b32_e32 v51, 6, v51
	v_xor_b32_e32 v52, v51, v123
	v_lshlrev_b32_e32 v52, 2, v52
	v_and_b32_e32 v53, 8, v122
	v_xor_b32_e32 v122, 0x440, v52
	v_cmp_eq_u32_e32 vcc, 0, v53
	v_perm_b32 v53, v38, v34, s64
	s_nop 0
	v_cndmask_b32_e32 v52, v122, v52, vcc
	v_lshl_or_b32 v51, v51, 10, v52
	v_perm_b32 v52, v46, v42, s64
	s_barrier
	ds_write2st64_b32 v51, v52, v53 offset0:32 offset1:64
	v_xor_b32_e32 v52, 8, v51
	v_perm_b32 v42, v46, v42, s65
	v_perm_b32 v34, v38, v34, s65
	v_add_u32_e32 v38, 0x80, v52
	ds_write2st64_b32 v38, v42, v34 offset0:32 offset1:64
	v_xor_b32_e32 v34, 16, v51
	v_perm_b32 v38, v47, v43, s64
	v_perm_b32 v42, v39, v35, s64
	ds_write2st64_b32 v34, v38, v42 offset0:33 offset1:65
	v_xor_b32_e32 v34, 24, v51
	v_perm_b32 v38, v47, v43, s65
	v_perm_b32 v35, v39, v35, s65
	v_add_u32_e32 v34, 0x80, v34
	ds_write2st64_b32 v34, v38, v35 offset0:33 offset1:65
	v_xor_b32_e32 v34, 32, v51
	v_perm_b32 v35, v48, v44, s64
	v_perm_b32 v38, v40, v36, s64
	;; [unrolled: 9-line block ×3, first 2 shown]
	ds_write2st64_b32 v34, v35, v36 offset0:35 offset1:67
	v_xor_b32_e32 v34, 56, v51
	v_perm_b32 v35, v49, v45, s65
	v_perm_b32 v36, v41, v37, s65
	v_add_u32_e32 v34, 0x80, v34
	ds_write2st64_b32 v34, v35, v36 offset0:35 offset1:67
	ds_write_b64 v121, v[30:31] offset:24576
	v_xor_b32_e32 v30, 8, v121
	ds_write_b64 v30, v[32:33] offset:24576
	ds_write_b64 v121, v[26:27] offset:32768
	;; [unrolled: 1-line block ×4, first 2 shown]
	v_xor_b32_e32 v14, 8, v120
	ds_write_b64 v14, v[16:17] offset:24576
	ds_write_b64 v120, v[10:11] offset:32768
	;; [unrolled: 1-line block ×3, first 2 shown]
.LBB385_17:                             ;   in Loop: Header=BB385_7 Depth=1
	v_exp_f32_e32 v34, s4
	s_waitcnt vmcnt(2)
	v_exp_f32_e32 v36, v54
	v_exp_f32_e32 v37, v55
	;; [unrolled: 1-line block ×4, first 2 shown]
	v_accvgpr_read_b32 v29, a3
	v_accvgpr_read_b32 v27, a1
	;; [unrolled: 1-line block ×4, first 2 shown]
	v_pk_mul_f32 v[36:37], v[34:35], v[36:37] op_sel_hi:[0,1]
	v_accvgpr_read_b32 v28, a2
	v_accvgpr_read_b32 v11, a5
	;; [unrolled: 1-line block ×3, first 2 shown]
	v_pk_fma_f32 v[2:3], v[2:3], v[36:37], v[26:27]
	v_pk_mul_f32 v[26:27], v[34:35], v[38:39] op_sel_hi:[0,1]
	v_pk_fma_f32 v[4:5], v[4:5], v[26:27], v[28:29]
	v_fma_f32 v18, v18, v36, v10
	v_fma_f32 v19, v19, v37, v11
	v_exp_f32_e32 v10, v50
	v_exp_f32_e32 v11, v58
	;; [unrolled: 1-line block ×4, first 2 shown]
	v_accvgpr_read_b32 v12, a6
	v_accvgpr_read_b32 v33, a15
	;; [unrolled: 1-line block ×9, first 2 shown]
	v_fma_f32 v20, v20, v26, v12
	v_fmac_f32_e32 v13, v21, v27
	v_pk_mul_f32 v[10:11], v[34:35], v[10:11] op_sel_hi:[0,1]
	v_pk_mul_f32 v[26:27], v[34:35], v[28:29] op_sel_hi:[0,1]
	s_add_i32 s61, s61, 64
	v_pk_fma_f32 v[6:7], v[6:7], v[10:11], v[30:31]
	v_pk_fma_f32 v[8:9], v[8:9], v[26:27], v[32:33]
	v_fma_f32 v22, v22, v10, v14
	v_fma_f32 v23, v23, v11, v15
	;; [unrolled: 1-line block ×3, first 2 shown]
	s_cmp_eq_u32 s55, s43
	v_fmac_f32_e32 v17, v25, v27
	s_cbranch_scc1 .LBB385_19
; %bb.18:                               ;   in Loop: Header=BB385_7 Depth=1
	s_mov_b32 s66, s43
	v_mov_b32_e32 v21, v13
	v_mov_b32_e32 v25, v17
	s_branch .LBB385_7
.LBB385_19:
	v_mov_b32_e32 v16, v24
	v_mov_b32_e32 v15, v23
	;; [unrolled: 1-line block ×3, first 2 shown]
.LBB385_20:
	s_lshl_b32 s0, s55, 6
	s_sub_i32 s46, s56, s0
	v_mov_b32_e32 v12, v20
	v_mov_b32_e32 v11, v19
	;; [unrolled: 1-line block ×3, first 2 shown]
	s_cmp_gt_i32 s46, 0
	s_cbranch_scc0 .LBB385_85
; %bb.21:
	s_add_i32 s34, s0, s34
	s_ashr_i32 s3, s34, 31
	s_cmpk_lg_i32 s31, 0x80
	s_cselect_b64 s[38:39], -1, 0
	s_and_b64 vcc, exec, s[38:39]
	s_cbranch_vccz .LBB385_23
; %bb.22:
	s_mul_i32 s1, s34, s30
	s_ashr_i32 s4, s57, 31
	s_mul_hi_i32 s0, s34, s30
	s_add_u32 s44, s1, s57
	s_addc_u32 s45, s0, s4
	s_cbranch_execz .LBB385_24
	s_branch .LBB385_25
.LBB385_23:
                                        ; implicit-def: $sgpr44_sgpr45
.LBB385_24:
	s_mul_i32 s1, s57, s28
	s_mul_hi_i32 s0, s57, s28
	s_add_u32 s44, s1, s34
	s_addc_u32 s45, s0, s3
.LBB385_25:
	s_waitcnt lgkmcnt(0)
	s_add_i32 s4, s55, s58
	s_add_u32 s0, s60, s34
	v_lshlrev_b32_e32 v22, 5, v82
	v_lshlrev_b32_e32 v38, 2, v79
	s_addc_u32 s1, s59, s3
	s_mov_b32 s3, 0x7060302
	v_or_b32_e32 v25, v22, v38
	v_xor_b32_e32 v23, v82, v38
	v_perm_b32 v19, v5, v4, s3
	v_perm_b32 v18, v3, v2, s3
	;; [unrolled: 1-line block ×4, first 2 shown]
	v_lshlrev_b32_e32 v25, 1, v25
	v_xor_b32_e32 v24, v83, v38
	ds_write2st64_b64 v25, v[18:19], v[20:21] offset0:80 offset1:88
	v_lshlrev_b32_e32 v23, 1, v23
	v_lshlrev_b32_e32 v25, 8, v79
	s_lshl_b64 s[36:37], s[0:1], 8
	v_or_b32_e32 v26, v23, v25
	v_lshlrev_b32_e32 v24, 1, v24
	s_add_u32 s0, s18, s36
	ds_write_b64 v26, v[18:19]
	v_or_b32_e32 v18, v24, v25
	s_addc_u32 s1, s19, s37
	ds_write_b64 v18, v[20:21]
	v_perm_b32 v19, v13, v12, s3
	v_perm_b32 v18, v11, v10, s3
	;; [unrolled: 1-line block ×4, first 2 shown]
	v_or_b32_e32 v25, 16, v79
	s_mul_hi_i32 s3, s4, s29
	s_mul_i32 s4, s4, s29
	v_lshlrev_b32_e32 v35, 2, v25
	s_add_u32 s4, s4, s33
	v_or_b32_e32 v22, v22, v35
	s_addc_u32 s5, s3, s48
	v_lshlrev_b32_e32 v22, 1, v22
	s_ashr_i32 s3, s2, 31
	s_lshl_b64 s[4:5], s[4:5], 15
	ds_write2st64_b64 v22, v[18:19], v[20:21] offset0:80 offset1:88
	v_lshlrev_b32_e32 v22, 8, v25
	s_add_u32 s4, s12, s4
	v_or_b32_e32 v23, v23, v22
	s_addc_u32 s5, s13, s5
	s_lshl_b64 s[2:3], s[2:3], 8
	ds_write_b64 v23, v[18:19]
	v_or_b32_e32 v18, v24, v22
	s_add_u32 s2, s4, s2
	ds_write_b64 v18, v[20:21]
	v_lshrrev_b32_e32 v18, 4, v0
	s_addc_u32 s3, s5, s3
	v_lshlrev_b32_e32 v19, 1, v79
	v_lshlrev_b32_e32 v26, 4, v79
	v_mov_b32_e32 v27, 0
	v_or_b32_e32 v20, 1, v19
	v_xor_b32_e32 v19, v18, v19
	v_lshl_add_u64 v[28:29], s[2:3], 0, v[26:27]
	v_lshlrev_b32_e32 v26, 8, v18
	v_xor_b32_e32 v22, v20, v18
	v_lshl_or_b32 v18, v19, 3, v26
	s_waitcnt lgkmcnt(0)
	s_barrier
	ds_read2st64_b64 v[18:21], v18 offset1:8
	v_lshl_or_b32 v22, v22, 3, v26
	ds_read2st64_b64 v[22:25], v22 offset1:8
	v_lshl_add_u64 v[30:31], v[28:29], 0, v[26:27]
	s_movk_i32 s2, 0x1000
	s_waitcnt lgkmcnt(1)
	v_mov_b32_e32 v26, v18
	v_add_co_u32_e32 v18, vcc, s2, v30
	s_cmp_lg_u32 s46, 64
	v_mov_b32_e32 v27, v19
	v_addc_co_u32_e32 v19, vcc, 0, v31, vcc
	s_cselect_b64 s[18:19], -1, 0
	v_lshl_or_b32 v42, v1, 3, v81
	s_waitcnt lgkmcnt(0)
	v_mov_b32_e32 v28, v22
	v_mov_b32_e32 v29, v23
	;; [unrolled: 1-line block ×4, first 2 shown]
	s_mov_b32 s4, 0
	v_or_b32_e32 v36, 32, v42
	v_and_b32_e32 v34, 56, v80
	s_and_b64 vcc, exec, s[18:19]
	global_store_dwordx4 v[30:31], v[26:29], off
	global_store_dwordx4 v[18:19], v[22:25], off
	s_cbranch_vccz .LBB385_31
; %bb.26:
	s_mov_b32 s6, s4
	s_mov_b32 s7, s4
	;; [unrolled: 1-line block ×3, first 2 shown]
	v_mov_b64_e32 v[24:25], s[6:7]
	v_mov_b64_e32 v[22:23], s[4:5]
	;; [unrolled: 1-line block ×3, first 2 shown]
	v_cmp_gt_i32_e32 vcc, s46, v42
	v_mov_b64_e32 v[20:21], v[24:25]
	s_and_saveexec_b64 s[2:3], vcc
	s_cbranch_execz .LBB385_28
; %bb.27:
	v_lshlrev_b32_e32 v18, 8, v42
	v_mov_b32_e32 v19, 0
	v_lshl_add_u64 v[20:21], s[0:1], 0, v[18:19]
	v_lshlrev_b32_e32 v18, 1, v34
	v_lshl_add_u64 v[26:27], v[20:21], 0, v[18:19]
	global_load_dwordx4 v[22:25], v[26:27], off
	global_load_dwordx4 v[18:21], v[26:27], off offset:128
.LBB385_28:
	s_or_b64 exec, exec, s[2:3]
	s_mov_b32 s6, s4
	s_mov_b32 s7, s4
	;; [unrolled: 1-line block ×3, first 2 shown]
	v_mov_b64_e32 v[32:33], s[6:7]
	v_mov_b64_e32 v[30:31], s[4:5]
	;; [unrolled: 1-line block ×3, first 2 shown]
	v_cmp_gt_i32_e32 vcc, s46, v36
	v_lshlrev_b32_e32 v37, 7, v36
	v_mov_b64_e32 v[28:29], v[32:33]
	s_and_saveexec_b64 s[2:3], vcc
	s_cbranch_execz .LBB385_30
; %bb.29:
	v_lshlrev_b32_e32 v26, 1, v37
	v_mov_b32_e32 v27, 0
	v_lshl_add_u64 v[28:29], s[0:1], 0, v[26:27]
	v_lshlrev_b32_e32 v26, 1, v34
	v_lshl_add_u64 v[40:41], v[28:29], 0, v[26:27]
	global_load_dwordx4 v[30:33], v[40:41], off
	global_load_dwordx4 v[26:29], v[40:41], off offset:128
.LBB385_30:
	s_or_b64 exec, exec, s[2:3]
	v_lshrrev_b32_e32 v39, 3, v34
	v_lshlrev_b32_e32 v40, 3, v42
	v_or_b32_e32 v39, v40, v39
	v_lshlrev_b32_e32 v39, 4, v39
	v_and_b32_e32 v40, 0x78, v40
	v_xor_b32_e32 v39, v39, v40
	s_branch .LBB385_33
.LBB385_31:
                                        ; implicit-def: $vgpr39
                                        ; implicit-def: $vgpr37
                                        ; implicit-def: $vgpr22_vgpr23_vgpr24_vgpr25
                                        ; implicit-def: $vgpr18_vgpr19_vgpr20_vgpr21
                                        ; implicit-def: $vgpr30_vgpr31_vgpr32_vgpr33
                                        ; implicit-def: $vgpr26_vgpr27_vgpr28_vgpr29
	s_cbranch_execz .LBB385_33
; %bb.32:
	s_waitcnt vmcnt(0)
	v_lshlrev_b32_e32 v18, 1, v34
	v_lshl_or_b32 v37, v42, 8, v18
	s_and_b32 s1, s1, 0xffff
	s_mov_b32 s3, 0x20000
	s_movk_i32 s2, 0x4000
	v_lshl_or_b32 v39, v36, 8, v18
	s_movk_i32 s4, 0x80
	buffer_load_dwordx4 v[22:25], v37, s[0:3], 0 offen
	buffer_load_dwordx4 v[18:21], v37, s[0:3], s4 offen
	;; [unrolled: 1-line block ×4, first 2 shown]
	v_lshrrev_b32_e32 v37, 3, v34
	v_lshlrev_b32_e32 v39, 3, v42
	v_or_b32_e32 v37, v39, v37
	v_lshlrev_b32_e32 v37, 4, v37
	v_and_b32_e32 v39, 0x78, v39
	v_xor_b32_e32 v39, v37, v39
	v_lshlrev_b32_e32 v37, 7, v36
.LBB385_33:
	s_lshl_b64 s[0:1], s[44:45], 8
	s_add_u32 s4, s16, s0
	s_movk_i32 s0, 0x1000
	v_and_or_b32 v36, v37, s0, v39
	s_waitcnt vmcnt(1)
	ds_write_b64 v39, v[22:23] offset:24576
	v_xor_b32_e32 v22, 8, v39
	ds_write_b64 v22, v[24:25] offset:24576
	s_waitcnt vmcnt(0)
	ds_write_b64 v39, v[18:19] offset:32768
	ds_write_b64 v22, v[20:21] offset:32768
	;; [unrolled: 1-line block ×3, first 2 shown]
	v_xor_b32_e32 v18, 8, v36
	ds_write_b64 v18, v[32:33] offset:24576
	ds_write_b64 v36, v[26:27] offset:32768
	;; [unrolled: 1-line block ×3, first 2 shown]
	v_or_b32_e32 v18, v61, v79
	v_lshlrev_b32_e32 v18, 3, v18
	v_lshrrev_b32_e32 v19, 5, v63
	s_movk_i32 s2, 0xf8
	v_and_or_b32 v19, v18, s2, v19
	v_lshlrev_b32_e32 v23, 4, v19
	v_lshlrev_b32_e32 v39, 11, v1
	v_and_b32_e32 v24, 0x78, v18
	v_or_b32_e32 v26, 32, v23
	v_and_b32_e32 v22, 0x1000, v39
	v_lshrrev_b32_e32 v19, 1, v63
	v_xor_b32_e32 v26, v26, v24
	v_xor_b32_e32 v18, v23, v24
	v_and_b32_e32 v25, 8, v19
	v_or_b32_e32 v26, v26, v22
	v_or_b32_e32 v18, v18, v22
	v_xor_b32_e32 v44, v26, v25
	v_or_b32_e32 v26, 64, v23
	v_xor_b32_e32 v43, v18, v25
	v_xor_b32_e32 v26, v26, v24
	s_waitcnt lgkmcnt(0)
	s_barrier
	v_or_b32_e32 v28, v26, v22
	ds_read_b64 v[26:27], v43 offset:24576
	v_lshl_or_b32 v36, v78, 7, v38
	v_lshlrev_b32_e32 v40, 1, v36
	v_add_u32_e32 v18, 0xa000, v40
	ds_read2_b64 v[18:21], v18 offset1:16
	v_or_b32_e32 v23, 0x60, v23
	v_xor_b32_e32 v23, v23, v24
	s_waitcnt lgkmcnt(0)
	v_mfma_f32_16x16x16_bf16 a[0:3], v[26:27], v[18:19], 0
	v_or_b32_e32 v18, 64, v36
	v_or_b32_e32 v22, v23, v22
	v_lshlrev_b32_e32 v41, 1, v18
	v_xor_b32_e32 v45, v28, v25
	v_xor_b32_e32 v46, v22, v25
	ds_read_b64 v[28:29], v44 offset:24576
	ds_read_b64 v[30:31], v45 offset:24576
	;; [unrolled: 1-line block ×3, first 2 shown]
	v_mfma_f32_16x16x16_bf16 a[4:7], v[26:27], v[20:21], 0
	ds_read2st64_b64 v[18:21], v41 offset0:82 offset1:84
	ds_read2st64_b64 v[22:25], v40 offset0:82 offset1:84
	s_addc_u32 s5, s17, s1
	s_add_i32 s0, s51, s49
	s_add_i32 s16, s35, -1
	s_add_i32 s41, s0, s52
	s_add_i32 s0, s53, s50
	;; [unrolled: 1-line block ×3, first 2 shown]
	s_ashr_i32 s0, s16, 31
	s_mul_i32 s1, s16, s11
	s_mul_hi_u32 s2, s16, s10
	s_add_i32 s1, s2, s1
	s_mul_i32 s0, s0, s10
	s_waitcnt lgkmcnt(1)
	v_mfma_f32_16x16x16_bf16 a[4:7], v[28:29], v[18:19], a[4:7]
	s_add_i32 s1, s1, s0
	s_lshl_b64 s[2:3], s[40:41], 2
	s_add_u32 s6, s22, s2
	s_waitcnt lgkmcnt(0)
	v_mfma_f32_16x16x16_bf16 a[0:3], v[28:29], v[22:23], a[0:3]
	s_addc_u32 s7, s23, s3
	s_lshl_b64 s[2:3], s[42:43], 2
	s_mul_i32 s0, s16, s10
	s_add_u32 s12, s6, s2
	ds_read_b64 v[18:19], v40 offset:44032
	v_mfma_f32_16x16x16_bf16 a[4:7], v[30:31], v[20:21], a[4:7]
	ds_read_b64 v[20:21], v41 offset:44032
	s_addc_u32 s13, s7, s3
	s_lshl_b64 s[0:1], s[0:1], 2
	v_mfma_f32_16x16x16_bf16 a[0:3], v[30:31], v[24:25], a[0:3]
	s_add_u32 s0, s12, s0
	s_addc_u32 s1, s13, s1
	s_load_dword s17, s[0:1], 0x0
	s_waitcnt lgkmcnt(0)
	v_mfma_f32_16x16x16_bf16 a[0:3], v[32:33], v[18:19], a[0:3]
	s_and_b64 vcc, exec, s[38:39]
	v_mfma_f32_16x16x16_bf16 a[4:7], v[32:33], v[20:21], a[4:7]
	s_cbranch_vccz .LBB385_44
; %bb.34:
	v_lshlrev_b32_e32 v36, 1, v42
	s_and_b64 vcc, exec, s[18:19]
	s_cbranch_vccz .LBB385_45
; %bb.35:
	v_cmp_gt_i32_e32 vcc, s46, v36
	v_mov_b32_e32 v22, 0
	v_mov_b32_e32 v18, 0
	;; [unrolled: 1-line block ×5, first 2 shown]
	s_and_saveexec_b64 s[0:1], vcc
	s_cbranch_execz .LBB385_37
; %bb.36:
	v_mad_i64_i32 v[18:19], s[2:3], s31, v36, 0
	v_lshl_add_u64 v[18:19], v[18:19], 1, s[4:5]
	v_lshlrev_b32_e32 v20, 1, v34
	v_mov_b32_e32 v21, 0
	v_lshl_add_u64 v[18:19], v[18:19], 0, v[20:21]
	global_load_dwordx4 v[18:21], v[18:19], off
.LBB385_37:
	s_or_b64 exec, exec, s[0:1]
	v_or_b32_e32 v37, 1, v36
	v_cmp_gt_i32_e64 s[0:1], s46, v37
	v_mov_b32_e32 v23, 0
	v_mov_b32_e32 v24, 0
	;; [unrolled: 1-line block ×3, first 2 shown]
	s_and_saveexec_b64 s[2:3], s[0:1]
	s_cbranch_execz .LBB385_39
; %bb.38:
	v_mad_i64_i32 v[22:23], s[6:7], s31, v37, 0
	v_lshl_add_u64 v[22:23], v[22:23], 1, s[4:5]
	v_lshlrev_b32_e32 v24, 1, v34
	v_mov_b32_e32 v25, 0
	v_lshl_add_u64 v[22:23], v[22:23], 0, v[24:25]
	global_load_dwordx4 v[22:25], v[22:23], off
.LBB385_39:
	s_or_b64 exec, exec, s[2:3]
	v_mov_b32_e32 v33, 0
	v_mov_b32_e32 v26, 0
	;; [unrolled: 1-line block ×5, first 2 shown]
	s_and_saveexec_b64 s[2:3], vcc
	s_cbranch_execz .LBB385_41
; %bb.40:
	v_mad_i64_i32 v[26:27], s[6:7], s31, v36, 0
	v_lshl_add_u64 v[26:27], v[26:27], 1, s[4:5]
	v_lshlrev_b32_e32 v28, 1, v34
	v_mov_b32_e32 v29, 0
	v_lshl_add_u64 v[26:27], v[26:27], 0, v[28:29]
	global_load_dwordx4 v[26:29], v[26:27], off offset:128
.LBB385_41:
	s_or_b64 exec, exec, s[2:3]
	v_mov_b32_e32 v32, 0
	v_mov_b32_e32 v31, 0
	;; [unrolled: 1-line block ×3, first 2 shown]
	s_and_saveexec_b64 s[2:3], s[0:1]
	s_cbranch_execz .LBB385_43
; %bb.42:
	v_mad_i64_i32 v[30:31], s[0:1], s31, v37, 0
	v_lshl_add_u64 v[30:31], v[30:31], 1, s[4:5]
	v_lshlrev_b32_e32 v32, 1, v34
	v_mov_b32_e32 v33, 0
	v_lshl_add_u64 v[30:31], v[30:31], 0, v[32:33]
	global_load_dwordx4 v[30:33], v[30:31], off offset:128
.LBB385_43:
	s_or_b64 exec, exec, s[2:3]
	s_branch .LBB385_47
.LBB385_44:
                                        ; implicit-def: $vgpr21
                                        ; implicit-def: $vgpr25
                                        ; implicit-def: $vgpr29
                                        ; implicit-def: $vgpr33
	v_lshrrev_b32_e32 v47, 2, v63
	s_branch .LBB385_48
.LBB385_45:
                                        ; implicit-def: $vgpr21
                                        ; implicit-def: $vgpr25
                                        ; implicit-def: $vgpr29
                                        ; implicit-def: $vgpr33
	s_cbranch_execz .LBB385_47
; %bb.46:
	s_waitcnt vmcnt(0)
	v_mad_u64_u32 v[18:19], s[0:1], v36, s31, v[34:35]
	v_lshlrev_b32_e32 v36, 1, v18
	s_lshl_b32 s2, s31, 7
	s_and_b32 s1, s5, 0xffff
	s_mov_b32 s3, 0x20000
	s_mov_b32 s0, s4
	v_add_lshl_u32 v37, v18, s31, 1
	s_movk_i32 s6, 0x80
	buffer_load_dwordx4 v[18:21], v36, s[0:3], 0 offen
	buffer_load_dwordx4 v[26:29], v36, s[0:3], s6 offen
	;; [unrolled: 1-line block ×4, first 2 shown]
.LBB385_47:
	v_lshrrev_b32_e32 v47, 2, v63
	s_cbranch_execnz .LBB385_60
.LBB385_48:
	s_and_b64 vcc, exec, s[18:19]
	s_cbranch_vccz .LBB385_58
; %bb.49:
	s_waitcnt vmcnt(0)
	v_lshlrev_b32_e32 v23, 1, v42
	v_cmp_gt_i32_e32 vcc, s46, v23
	v_mov_b32_e32 v22, 0
	v_lshlrev_b32_e32 v30, 9, v42
	v_mov_b32_e32 v18, 0
	v_mov_b32_e32 v19, 0
	;; [unrolled: 1-line block ×4, first 2 shown]
	s_and_saveexec_b64 s[0:1], vcc
	s_cbranch_execz .LBB385_51
; %bb.50:
	v_mov_b32_e32 v31, 0
	v_lshl_add_u64 v[18:19], s[4:5], 0, v[30:31]
	v_lshlrev_b32_e32 v20, 1, v34
	v_mov_b32_e32 v21, v31
	v_lshl_add_u64 v[18:19], v[18:19], 0, v[20:21]
	global_load_dwordx4 v[18:21], v[18:19], off
.LBB385_51:
	s_or_b64 exec, exec, s[0:1]
	v_or_b32_e32 v23, 1, v23
	v_cmp_gt_i32_e64 s[0:1], s46, v23
	v_lshlrev_b32_e32 v36, 8, v23
	v_mov_b32_e32 v23, 0
	v_mov_b32_e32 v24, 0
	;; [unrolled: 1-line block ×3, first 2 shown]
	s_and_saveexec_b64 s[2:3], s[0:1]
	s_cbranch_execz .LBB385_53
; %bb.52:
	v_mov_b32_e32 v37, 0
	v_lshl_add_u64 v[22:23], s[4:5], 0, v[36:37]
	v_lshlrev_b32_e32 v24, 1, v34
	v_mov_b32_e32 v25, v37
	v_lshl_add_u64 v[22:23], v[22:23], 0, v[24:25]
	global_load_dwordx4 v[22:25], v[22:23], off
.LBB385_53:
	s_or_b64 exec, exec, s[2:3]
	v_mov_b32_e32 v33, 0
	v_mov_b32_e32 v26, 0
	;; [unrolled: 1-line block ×5, first 2 shown]
	s_and_saveexec_b64 s[2:3], vcc
	s_cbranch_execz .LBB385_55
; %bb.54:
	v_mov_b32_e32 v31, 0
	v_lshl_add_u64 v[26:27], s[4:5], 0, v[30:31]
	v_lshlrev_b32_e32 v30, 1, v34
	v_lshl_add_u64 v[26:27], v[26:27], 0, v[30:31]
	global_load_dwordx4 v[26:29], v[26:27], off offset:128
.LBB385_55:
	s_or_b64 exec, exec, s[2:3]
	v_mov_b32_e32 v32, 0
	v_mov_b32_e32 v31, 0
	;; [unrolled: 1-line block ×3, first 2 shown]
	s_and_saveexec_b64 s[2:3], s[0:1]
	s_cbranch_execz .LBB385_57
; %bb.56:
	v_mov_b32_e32 v37, 0
	v_lshl_add_u64 v[30:31], s[4:5], 0, v[36:37]
	v_lshlrev_b32_e32 v36, 1, v34
	v_lshl_add_u64 v[30:31], v[30:31], 0, v[36:37]
	global_load_dwordx4 v[30:33], v[30:31], off offset:128
.LBB385_57:
	s_or_b64 exec, exec, s[2:3]
	s_branch .LBB385_60
.LBB385_58:
                                        ; implicit-def: $vgpr21
                                        ; implicit-def: $vgpr25
                                        ; implicit-def: $vgpr29
                                        ; implicit-def: $vgpr33
	s_cbranch_execz .LBB385_60
; %bb.59:
	s_waitcnt vmcnt(0)
	v_lshlrev_b32_e32 v18, 1, v34
	v_lshl_or_b32 v34, v42, 9, v18
	s_and_b32 s5, s5, 0xffff
	s_mov_b32 s7, 0x20000
	s_movk_i32 s6, 0x4000
	s_movk_i32 s0, 0x80
	buffer_load_dwordx4 v[18:21], v34, s[4:7], 0 offen
	buffer_load_dwordx4 v[22:25], v34, s[4:7], 0 offen offset:256
	buffer_load_dwordx4 v[26:29], v34, s[4:7], s0 offen
	buffer_load_dwordx4 v[30:33], v34, s[4:7], s0 offen offset:256
.LBB385_60:
	ds_read_b64 v[36:37], v43 offset:32768
	v_add_u32_e32 v34, 0xb000, v40
	ds_read2_b64 v[48:51], v34 offset1:16
	ds_read_b64 v[56:57], v44 offset:32768
	ds_read_b64 v[44:45], v45 offset:32768
	;; [unrolled: 1-line block ×3, first 2 shown]
	ds_read2st64_b64 v[52:55], v41 offset0:90 offset1:92
	v_and_b32_e32 v43, 6, v0
	v_and_b32_e32 v34, 12, v47
	v_xor_b32_e32 v42, v42, v43
	v_lshlrev_b32_e32 v42, 2, v42
	s_mov_b32 s0, 0x1000504
	s_waitcnt lgkmcnt(4)
	v_mfma_f32_16x16x16_bf16 a[0:3], v[36:37], v[48:49], a[0:3]
	s_mov_b32 s1, 0x3020706
	v_mfma_f32_16x16x16_bf16 a[4:7], v[36:37], v[50:51], a[4:7]
	ds_read2st64_b64 v[48:51], v40 offset0:90 offset1:92
	ds_read_b64 v[36:37], v40 offset:48128
	ds_read_b64 v[46:47], v41 offset:48128
	s_waitcnt lgkmcnt(2)
	v_mfma_f32_16x16x16_bf16 a[0:3], v[56:57], v[48:49], a[0:3]
	v_and_b32_e32 v48, 1, v0
	v_xor_b32_e32 v49, 0x440, v42
	v_cmp_eq_u32_e32 vcc, 0, v48
	v_mfma_f32_16x16x16_bf16 a[4:7], v[56:57], v[52:53], a[4:7]
	s_nop 0
	v_cndmask_b32_e32 v42, v49, v42, vcc
	v_lshl_or_b32 v42, v43, 10, v42
	v_mfma_f32_16x16x16_bf16 a[0:3], v[44:45], v[50:51], a[0:3]
	v_mov_b32_e32 v43, 0
	v_mfma_f32_16x16x16_bf16 a[8:11], v[44:45], v[54:55], a[4:7]
	s_waitcnt lgkmcnt(1)
	v_mfma_f32_16x16x16_bf16 a[4:7], v[58:59], v[36:37], a[0:3]
	s_waitcnt vmcnt(0)
	v_perm_b32 v36, v18, v22, s0
	v_perm_b32 v37, v26, v30, s0
	ds_write2st64_b32 v42, v36, v37 offset0:32 offset1:64
	v_xor_b32_e32 v36, 8, v42
	v_perm_b32 v18, v18, v22, s1
	v_perm_b32 v22, v26, v30, s1
	v_add_u32_e32 v26, 0x80, v36
	ds_write2st64_b32 v26, v18, v22 offset0:32 offset1:64
	v_xor_b32_e32 v18, 16, v42
	v_perm_b32 v22, v19, v23, s0
	v_perm_b32 v26, v27, v31, s0
	ds_write2st64_b32 v18, v22, v26 offset0:33 offset1:65
	v_xor_b32_e32 v18, 24, v42
	v_perm_b32 v19, v19, v23, s1
	v_perm_b32 v22, v27, v31, s1
	v_add_u32_e32 v18, 0x80, v18
	ds_write2st64_b32 v18, v19, v22 offset0:33 offset1:65
	v_xor_b32_e32 v18, 32, v42
	v_perm_b32 v19, v20, v24, s0
	v_perm_b32 v22, v28, v32, s0
	ds_write2st64_b32 v18, v19, v22 offset0:34 offset1:66
	v_xor_b32_e32 v18, 40, v42
	s_waitcnt lgkmcnt(5)
	v_mfma_f32_16x16x16_bf16 a[0:3], v[58:59], v[46:47], a[8:11]
	v_perm_b32 v19, v20, v24, s1
	v_perm_b32 v20, v28, v32, s1
	v_add_u32_e32 v18, 0x80, v18
	ds_write2st64_b32 v18, v19, v20 offset0:34 offset1:66
	v_xor_b32_e32 v18, 48, v42
	v_perm_b32 v19, v21, v25, s0
	v_perm_b32 v20, v29, v33, s0
	ds_write2st64_b32 v18, v19, v20 offset0:35 offset1:67
	v_xor_b32_e32 v18, 56, v42
	v_or_b32_e32 v36, v34, v61
	v_perm_b32 v19, v21, v25, s1
	v_perm_b32 v20, v29, v33, s1
	v_add_u32_e32 v18, 0x80, v18
	v_cmp_gt_i32_e64 s[0:1], s46, v36
	v_mov_b32_e32 v42, 0
	ds_write2st64_b32 v18, v19, v20 offset0:35 offset1:67
	s_and_saveexec_b64 s[2:3], s[0:1]
	s_cbranch_execz .LBB385_62
; %bb.61:
	v_add_u32_e32 v18, s34, v36
	v_ashrrev_i32_e32 v19, 31, v18
	v_mul_lo_u32 v20, v19, s10
	v_mul_lo_u32 v21, v18, s11
	v_mad_u64_u32 v[18:19], s[4:5], v18, s10, 0
	v_add3_u32 v19, v19, v21, v20
	v_lshl_add_u64 v[18:19], v[18:19], 2, s[12:13]
	global_load_dword v18, v[18:19], off
	s_waitcnt vmcnt(0)
	v_sub_f32_e32 v18, s17, v18
	v_exp_f32_e32 v43, v18
.LBB385_62:
	s_or_b64 exec, exec, s[2:3]
	v_or_b32_e32 v30, 1, v36
	v_cmp_gt_i32_e64 s[4:5], s46, v30
	s_and_saveexec_b64 s[2:3], s[4:5]
	s_cbranch_execz .LBB385_64
; %bb.63:
	v_add_u32_e32 v18, s34, v30
	v_ashrrev_i32_e32 v19, 31, v18
	v_mul_lo_u32 v20, v19, s10
	v_mul_lo_u32 v21, v18, s11
	v_mad_u64_u32 v[18:19], s[6:7], v18, s10, 0
	v_add3_u32 v19, v19, v21, v20
	v_lshl_add_u64 v[18:19], v[18:19], 2, s[12:13]
	global_load_dword v18, v[18:19], off
	s_waitcnt vmcnt(0)
	v_sub_f32_e32 v18, s17, v18
	v_exp_f32_e32 v42, v18
.LBB385_64:
	s_or_b64 exec, exec, s[2:3]
	v_or_b32_e32 v28, 2, v36
	v_cmp_gt_i32_e64 s[2:3], s46, v28
	v_mov_b32_e32 v37, 0
	v_mov_b32_e32 v44, 0
	s_and_saveexec_b64 s[6:7], s[2:3]
	s_cbranch_execz .LBB385_66
; %bb.65:
	v_add_u32_e32 v18, s34, v28
	v_ashrrev_i32_e32 v19, 31, v18
	v_mul_lo_u32 v20, v19, s10
	v_mul_lo_u32 v21, v18, s11
	v_mad_u64_u32 v[18:19], s[18:19], v18, s10, 0
	v_add3_u32 v19, v19, v21, v20
	v_lshl_add_u64 v[18:19], v[18:19], 2, s[12:13]
	global_load_dword v18, v[18:19], off
	s_waitcnt vmcnt(0)
	v_sub_f32_e32 v18, s17, v18
	v_exp_f32_e32 v44, v18
.LBB385_66:
	s_or_b64 exec, exec, s[6:7]
	v_or_b32_e32 v29, 3, v36
	v_cmp_gt_i32_e32 vcc, s46, v29
	s_and_saveexec_b64 s[6:7], vcc
	s_cbranch_execz .LBB385_68
; %bb.67:
	v_add_u32_e32 v18, s34, v29
	v_ashrrev_i32_e32 v19, 31, v18
	v_mul_lo_u32 v20, v19, s10
	v_mul_lo_u32 v21, v18, s11
	v_mad_u64_u32 v[18:19], s[10:11], v18, s10, 0
	v_add3_u32 v19, v19, v21, v20
	v_lshl_add_u64 v[18:19], v[18:19], 2, s[12:13]
	global_load_dword v18, v[18:19], off
	s_waitcnt vmcnt(0)
	v_sub_f32_e32 v18, s17, v18
	v_exp_f32_e32 v37, v18
.LBB385_68:
	s_or_b64 exec, exec, s[6:7]
	s_add_u32 s6, s20, s36
	s_addc_u32 s7, s21, s37
	s_add_u32 s10, s14, s36
	v_ashrrev_i32_e32 v69, 31, v68
	v_accvgpr_read_b32 v21, a7
	s_addc_u32 s11, s15, s37
	v_lshlrev_b64 v[22:23], 1, v[68:69]
	v_accvgpr_read_b32 v20, a6
	v_accvgpr_read_b32 v19, a5
	;; [unrolled: 1-line block ×3, first 2 shown]
	v_lshl_add_u64 v[24:25], s[6:7], 0, v[22:23]
	v_lshl_add_u64 v[22:23], s[10:11], 0, v[22:23]
	v_mov_b32_e32 v31, 0
	v_lshlrev_b32_e32 v26, 8, v36
	v_mov_b32_e32 v27, 0
	s_and_saveexec_b64 s[6:7], s[0:1]
	s_cbranch_execz .LBB385_70
; %bb.69:
	v_mov_b32_e32 v27, 0
	v_lshl_add_u64 v[32:33], v[24:25], 0, v[26:27]
	global_load_ushort v45, v[32:33], off
	v_lshl_add_u64 v[32:33], v[22:23], 0, v[26:27]
	s_waitcnt vmcnt(0)
	v_lshlrev_b32_e32 v27, 16, v45
	v_sub_f32_e32 v18, v27, v18
	global_store_short_d16_hi v[32:33], v18, off
	v_mul_f32_e32 v18, v43, v18
	v_lshrrev_b32_e32 v27, 16, v18
.LBB385_70:
	s_or_b64 exec, exec, s[6:7]
	v_lshlrev_b32_e32 v30, 8, v30
	s_and_saveexec_b64 s[6:7], s[4:5]
	s_cbranch_execz .LBB385_72
; %bb.71:
	v_mov_b32_e32 v31, 0
	v_lshl_add_u64 v[32:33], v[24:25], 0, v[30:31]
	global_load_ushort v18, v[32:33], off
	v_lshl_add_u64 v[32:33], v[22:23], 0, v[30:31]
	s_waitcnt vmcnt(0)
	v_lshlrev_b32_e32 v18, 16, v18
	v_sub_f32_e32 v18, v18, v19
	global_store_short_d16_hi v[32:33], v18, off
	v_mul_f32_e32 v18, v42, v18
	v_lshrrev_b32_e32 v31, 16, v18
.LBB385_72:
	s_or_b64 exec, exec, s[6:7]
	v_mov_b32_e32 v46, 0
	v_lshlrev_b32_e32 v32, 8, v28
	v_mov_b32_e32 v33, 0
	s_and_saveexec_b64 s[6:7], s[2:3]
	s_cbranch_execz .LBB385_74
; %bb.73:
	v_mov_b32_e32 v33, 0
	v_lshl_add_u64 v[18:19], v[24:25], 0, v[32:33]
	global_load_ushort v28, v[18:19], off
	v_lshl_add_u64 v[18:19], v[22:23], 0, v[32:33]
	s_waitcnt vmcnt(0)
	v_lshlrev_b32_e32 v28, 16, v28
	v_sub_f32_e32 v20, v28, v20
	global_store_short_d16_hi v[18:19], v20, off
	v_mul_f32_e32 v18, v44, v20
	v_lshrrev_b32_e32 v33, 16, v18
.LBB385_74:
	s_or_b64 exec, exec, s[6:7]
	v_lshlrev_b32_e32 v28, 8, v29
	s_and_saveexec_b64 s[6:7], vcc
	s_cbranch_execz .LBB385_76
; %bb.75:
	v_mov_b32_e32 v29, 0
	v_lshl_add_u64 v[18:19], v[24:25], 0, v[28:29]
	global_load_ushort v20, v[18:19], off
	v_lshl_add_u64 v[18:19], v[22:23], 0, v[28:29]
	s_waitcnt vmcnt(0)
	v_lshlrev_b32_e32 v20, 16, v20
	v_sub_f32_e32 v20, v20, v21
	global_store_short_d16_hi v[18:19], v20, off
	v_mul_f32_e32 v18, v37, v20
	v_lshrrev_b32_e32 v46, 16, v18
.LBB385_76:
	s_or_b64 exec, exec, s[6:7]
	v_lshlrev_b32_e32 v45, 5, v36
	s_mov_b32 s6, 0x5040100
	v_perm_b32 v47, v46, v33, s6
	v_perm_b32 v46, v31, v27, s6
	v_or_b32_e32 v27, v45, v38
	v_accvgpr_read_b32 v21, a3
	v_lshlrev_b32_e32 v27, 1, v27
	v_accvgpr_read_b32 v20, a2
	v_accvgpr_read_b32 v19, a1
	;; [unrolled: 1-line block ×3, first 2 shown]
	ds_write_b64 v27, v[46:47] offset:45056
	v_mov_b32_e32 v31, 0
	v_mov_b32_e32 v27, 0
	s_and_saveexec_b64 s[6:7], s[0:1]
	s_cbranch_execz .LBB385_78
; %bb.77:
	v_mov_b32_e32 v27, 0
	v_lshl_add_u64 v[46:47], v[24:25], 0, v[26:27]
	global_load_ushort v29, v[46:47], off offset:32
	v_lshl_add_u64 v[26:27], v[22:23], 0, v[26:27]
	s_waitcnt vmcnt(0)
	v_lshlrev_b32_e32 v29, 16, v29
	v_sub_f32_e32 v18, v29, v18
	global_store_short_d16_hi v[26:27], v18, off offset:32
	v_mul_f32_e32 v18, v43, v18
	v_lshrrev_b32_e32 v27, 16, v18
.LBB385_78:
	s_or_b64 exec, exec, s[6:7]
	s_and_saveexec_b64 s[0:1], s[4:5]
	s_cbranch_execz .LBB385_80
; %bb.79:
	v_mov_b32_e32 v31, 0
	v_lshl_add_u64 v[46:47], v[24:25], 0, v[30:31]
	global_load_ushort v18, v[46:47], off offset:32
	v_lshl_add_u64 v[30:31], v[22:23], 0, v[30:31]
	s_waitcnt vmcnt(0)
	v_lshlrev_b32_e32 v18, 16, v18
	v_sub_f32_e32 v18, v18, v19
	global_store_short_d16_hi v[30:31], v18, off offset:32
	v_mul_f32_e32 v18, v42, v18
	v_lshrrev_b32_e32 v31, 16, v18
.LBB385_80:
	s_or_b64 exec, exec, s[0:1]
	v_mov_b32_e32 v26, 0
	v_mov_b32_e32 v30, 0
	s_and_saveexec_b64 s[0:1], s[2:3]
	s_cbranch_execz .LBB385_82
; %bb.81:
	v_mov_b32_e32 v33, 0
	v_lshl_add_u64 v[18:19], v[24:25], 0, v[32:33]
	global_load_ushort v29, v[18:19], off offset:32
	v_lshl_add_u64 v[18:19], v[22:23], 0, v[32:33]
	s_waitcnt vmcnt(0)
	v_lshlrev_b32_e32 v29, 16, v29
	v_sub_f32_e32 v20, v29, v20
	global_store_short_d16_hi v[18:19], v20, off offset:32
	v_mul_f32_e32 v18, v44, v20
	v_lshrrev_b32_e32 v30, 16, v18
.LBB385_82:
	s_or_b64 exec, exec, s[0:1]
	v_or_b32_e32 v19, 0xb000, v40
	v_or_b32_e32 v18, 0xb000, v41
	s_and_saveexec_b64 s[0:1], vcc
	s_cbranch_execz .LBB385_84
; %bb.83:
	v_mov_b32_e32 v29, 0
	v_lshl_add_u64 v[24:25], v[24:25], 0, v[28:29]
	global_load_ushort v20, v[24:25], off offset:32
	v_lshl_add_u64 v[22:23], v[22:23], 0, v[28:29]
	s_waitcnt vmcnt(0)
	v_lshlrev_b32_e32 v20, 16, v20
	v_sub_f32_e32 v20, v20, v21
	global_store_short_d16_hi v[22:23], v20, off offset:32
	v_mul_f32_e32 v20, v37, v20
	v_lshrrev_b32_e32 v26, 16, v20
.LBB385_84:
	s_or_b64 exec, exec, s[0:1]
	s_mov_b32 s0, 0x5040100
	v_or_b32_e32 v22, v45, v35
	v_perm_b32 v21, v26, v30, s0
	v_perm_b32 v20, v31, v27, s0
	v_lshlrev_b32_e32 v22, 1, v22
	s_movk_i32 s2, 0x100
	ds_write_b64 v22, v[20:21] offset:45056
	v_and_b32_e32 v20, 7, v0
	v_and_b32_e32 v21, 8, v0
	v_cmp_gt_u32_e32 vcc, s2, v0
	v_lshrrev_b32_e32 v0, 1, v0
	v_lshlrev_b32_e32 v26, 3, v20
	v_lshlrev_b32_e32 v47, 7, v20
	v_mov_b32_e32 v20, 0x4000
	v_mov_b32_e32 v22, 0x2000
	v_lshlrev_b32_e32 v24, 3, v1
	v_and_b32_e32 v0, 24, v0
	v_cndmask_b32_e32 v27, v20, v22, vcc
	v_xor_b32_e32 v20, v24, v0
	v_or_b32_e32 v22, 0x440, v20
	v_cmp_eq_u32_e32 vcc, 0, v21
	v_or_b32_e32 v28, 32, v0
	v_xor_b32_e32 v28, v24, v28
	v_cndmask_b32_e32 v20, v22, v20, vcc
	v_or_b32_e32 v20, v20, v39
	v_xor_b32_e32 v48, v20, v26
	v_or_b32_e32 v29, 0x440, v28
	v_add3_u32 v25, v27, v48, v47
	v_cndmask_b32_e32 v28, v29, v28, vcc
	v_or_b32_e32 v29, 64, v0
	v_or_b32_e32 v0, 0x60, v0
	s_waitcnt lgkmcnt(0)
	s_barrier
	v_xor_b32_e32 v29, v24, v29
	v_xor_b32_e32 v0, v24, v0
	ds_read_b64 v[24:25], v25
	v_xor_b32_e32 v30, 0x440, v29
	v_cndmask_b32_e32 v29, v30, v29, vcc
	v_xor_b32_e32 v30, 0x440, v0
	ds_read2_b64 v[20:23], v19 offset1:16
	v_cndmask_b32_e32 v0, v30, v0, vcc
	v_or_b32_e32 v28, v28, v39
	v_or_b32_e32 v29, v29, v39
	v_or_b32_e32 v0, v0, v39
	v_xor_b32_e32 v49, v28, v26
	v_xor_b32_e32 v50, v29, v26
	;; [unrolled: 1-line block ×3, first 2 shown]
	v_add3_u32 v28, v27, v49, v47
	v_add3_u32 v29, v27, v50, v47
	;; [unrolled: 1-line block ×3, first 2 shown]
	s_mul_i32 s0, s16, s29
	ds_read_b64 v[26:27], v28
	ds_read_b64 v[32:33], v29
	;; [unrolled: 1-line block ×3, first 2 shown]
	ds_read2st64_b64 v[28:31], v19 offset0:2 offset1:4
	s_mul_hi_i32 s1, s16, s29
	ds_read2st64_b64 v[38:41], v18 offset0:2 offset1:4
	s_add_u32 s0, s0, s33
	s_waitcnt lgkmcnt(5)
	v_mfma_f32_16x16x16_bf16 a[0:3], v[24:25], v[20:21], 0
	s_addc_u32 s1, s1, s48
	s_lshl_b64 s[0:1], s[0:1], 9
	s_add_u32 s0, s8, s0
	v_mfma_f32_16x16x16_bf16 a[4:7], v[24:25], v[22:23], 0
	s_addc_u32 s1, s9, s1
	v_lshlrev_b32_e32 v24, 2, v36
	v_lshlrev_b32_e32 v1, 6, v1
	s_waitcnt lgkmcnt(1)
	v_mfma_f32_16x16x16_bf16 a[0:3], v[26:27], v[28:29], a[0:3]
	v_add_u32_e32 v48, v48, v47
	v_exp_f32_e32 v46, s17
	v_add_u32_e32 v0, v0, v47
	s_waitcnt lgkmcnt(0)
	v_mfma_f32_16x16x16_bf16 a[4:7], v[26:27], v[38:39], a[4:7]
	global_load_dwordx4 v[24:27], v24, s[0:1]
	ds_read_b64 v[36:37], v19 offset:3072
	ds_read_b64 v[44:45], v18 offset:3072
	v_lshlrev_b32_e32 v18, 2, v34
	v_or3_b32 v1, v1, v18, s2
	v_mfma_f32_16x16x16_bf16 a[0:3], v[32:33], v[30:31], a[0:3]
	s_waitcnt vmcnt(0)
	v_exp_f32_e32 v18, v24
	v_mfma_f32_16x16x16_bf16 a[4:7], v[32:33], v[40:41], a[4:7]
	global_load_dwordx4 v[32:35], v1, s[0:1]
	v_exp_f32_e32 v19, v25
	ds_read_b64 v[24:25], v48 offset:16384
	s_waitcnt lgkmcnt(2)
	v_mfma_f32_16x16x16_bf16 a[0:3], v[42:43], v[36:37], a[0:3]
	v_add_u32_e32 v48, v50, v47
	v_pk_mul_f32 v[52:53], v[46:47], v[18:19] op_sel_hi:[0,1]
	v_exp_f32_e32 v26, v26
	s_waitcnt lgkmcnt(1)
	v_mfma_f32_16x16x16_bf16 a[4:7], v[42:43], v[44:45], a[4:7]
	v_add_u32_e32 v42, v49, v47
	ds_read_b64 v[42:43], v42 offset:16384
	ds_read_b64 v[48:49], v48 offset:16384
	;; [unrolled: 1-line block ×3, first 2 shown]
	v_accvgpr_read_b32 v19, a1
	s_waitcnt lgkmcnt(3)
	v_mfma_f32_16x16x16_bf16 a[8:11], v[24:25], v[20:21], 0
	v_accvgpr_read_b32 v1, a3
	v_accvgpr_read_b32 v0, a2
	v_accvgpr_read_b32 v18, a0
	v_mfma_f32_16x16x16_bf16 a[0:3], v[24:25], v[22:23], 0
	v_exp_f32_e32 v27, v27
	v_pk_fma_f32 v[18:19], v[2:3], v[52:53], v[18:19]
	v_pk_mul_f32 v[2:3], v[46:47], v[26:27] op_sel_hi:[0,1]
	s_waitcnt lgkmcnt(2)
	v_mfma_f32_16x16x16_bf16 a[8:11], v[42:43], v[28:29], a[8:11]
	v_pk_fma_f32 v[20:21], v[4:5], v[2:3], v[0:1]
	v_accvgpr_read_b32 v0, a4
	v_fma_f32 v26, v10, v52, v0
	v_mfma_f32_16x16x16_bf16 a[0:3], v[42:43], v[38:39], a[0:3]
	v_accvgpr_read_b32 v0, a5
	v_fma_f32 v27, v11, v53, v0
	v_accvgpr_read_b32 v0, a6
	s_waitcnt lgkmcnt(1)
	v_mfma_f32_16x16x16_bf16 a[8:11], v[48:49], v[30:31], a[8:11]
	v_fma_f32 v28, v12, v2, v0
	v_accvgpr_read_b32 v29, a7
	v_fmac_f32_e32 v29, v13, v3
	v_mfma_f32_16x16x16_bf16 a[0:3], v[48:49], v[40:41], a[0:3]
	s_waitcnt vmcnt(0)
	v_mov_b32_e32 v0, v33
	v_mov_b32_e32 v1, v34
	;; [unrolled: 1-line block ×3, first 2 shown]
	v_exp_f32_e32 v5, v0
	v_exp_f32_e32 v0, v1
	s_waitcnt lgkmcnt(0)
	v_mfma_f32_16x16x16_bf16 a[4:7], v[50:51], v[36:37], a[8:11]
	v_exp_f32_e32 v1, v2
	v_exp_f32_e32 v4, v32
	v_pk_mul_f32 v[0:1], v[46:47], v[0:1] op_sel_hi:[0,1]
	v_mfma_f32_16x16x16_bf16 a[0:3], v[50:51], v[44:45], a[0:3]
	v_pk_mul_f32 v[4:5], v[46:47], v[4:5] op_sel_hi:[0,1]
	s_nop 1
	v_accvgpr_read_b32 v3, a7
	v_accvgpr_read_b32 v2, a6
	v_pk_fma_f32 v[24:25], v[8:9], v[0:1], v[2:3]
	v_accvgpr_read_b32 v11, a5
	v_accvgpr_read_b32 v10, a4
	v_pk_fma_f32 v[22:23], v[6:7], v[4:5], v[10:11]
	v_accvgpr_read_b32 v2, a0
	v_fma_f32 v30, v14, v4, v2
	v_accvgpr_read_b32 v2, a1
	v_fma_f32 v31, v15, v5, v2
	v_accvgpr_read_b32 v2, a2
	v_accvgpr_read_b32 v33, a3
	v_fma_f32 v32, v16, v0, v2
	v_fmac_f32_e32 v33, v17, v1
	v_mov_b64_e32 v[2:3], v[18:19]
	v_mov_b64_e32 v[4:5], v[20:21]
	;; [unrolled: 1-line block ×8, first 2 shown]
.LBB385_85:
	s_add_u32 s0, s24, s26
	s_addc_u32 s1, s25, s27
	v_lshl_add_u64 v[0:1], v[66:67], 2, s[0:1]
	v_mov_b32_e32 v63, 0
	v_lshl_add_u64 v[0:1], v[0:1], 0, v[62:63]
	global_store_dwordx4 v[0:1], v[2:5], off
	global_store_dwordx4 v[0:1], v[6:9], off offset:256
	v_lshl_add_u64 v[0:1], v[64:65], 2, s[0:1]
	v_lshl_add_u64 v[0:1], v[0:1], 0, v[62:63]
	global_store_dwordx4 v[0:1], v[10:13], off
	global_store_dwordx4 v[0:1], v[14:17], off offset:256
	s_endpgm
	.section	.rodata,"a",@progbits
	.p2align	6, 0x0
	.amdhsa_kernel _ZN12_GLOBAL__N_139chunk_gated_delta_rule_fwd_h_hip_kernelILi32ELb1ELb1ELb1ELb1ELb1ELb1ELb1ELb0EEEvPK12hip_bfloat16S3_S3_PKfS5_PKvPS1_S8_PvPKiSB_iiiiilll
		.amdhsa_group_segment_fixed_size 49152
		.amdhsa_private_segment_fixed_size 0
		.amdhsa_kernarg_size 136
		.amdhsa_user_sgpr_count 2
		.amdhsa_user_sgpr_dispatch_ptr 0
		.amdhsa_user_sgpr_queue_ptr 0
		.amdhsa_user_sgpr_kernarg_segment_ptr 1
		.amdhsa_user_sgpr_dispatch_id 0
		.amdhsa_user_sgpr_kernarg_preload_length 0
		.amdhsa_user_sgpr_kernarg_preload_offset 0
		.amdhsa_user_sgpr_private_segment_size 0
		.amdhsa_uses_dynamic_stack 0
		.amdhsa_enable_private_segment 0
		.amdhsa_system_sgpr_workgroup_id_x 1
		.amdhsa_system_sgpr_workgroup_id_y 1
		.amdhsa_system_sgpr_workgroup_id_z 0
		.amdhsa_system_sgpr_workgroup_info 0
		.amdhsa_system_vgpr_workitem_id 0
		.amdhsa_next_free_vgpr 168
		.amdhsa_next_free_sgpr 70
		.amdhsa_accum_offset 148
		.amdhsa_reserve_vcc 1
		.amdhsa_float_round_mode_32 0
		.amdhsa_float_round_mode_16_64 0
		.amdhsa_float_denorm_mode_32 3
		.amdhsa_float_denorm_mode_16_64 3
		.amdhsa_dx10_clamp 1
		.amdhsa_ieee_mode 1
		.amdhsa_fp16_overflow 0
		.amdhsa_tg_split 0
		.amdhsa_exception_fp_ieee_invalid_op 0
		.amdhsa_exception_fp_denorm_src 0
		.amdhsa_exception_fp_ieee_div_zero 0
		.amdhsa_exception_fp_ieee_overflow 0
		.amdhsa_exception_fp_ieee_underflow 0
		.amdhsa_exception_fp_ieee_inexact 0
		.amdhsa_exception_int_div_zero 0
	.end_amdhsa_kernel
	.section	.text._ZN12_GLOBAL__N_139chunk_gated_delta_rule_fwd_h_hip_kernelILi32ELb1ELb1ELb1ELb1ELb1ELb1ELb1ELb0EEEvPK12hip_bfloat16S3_S3_PKfS5_PKvPS1_S8_PvPKiSB_iiiiilll,"axG",@progbits,_ZN12_GLOBAL__N_139chunk_gated_delta_rule_fwd_h_hip_kernelILi32ELb1ELb1ELb1ELb1ELb1ELb1ELb1ELb0EEEvPK12hip_bfloat16S3_S3_PKfS5_PKvPS1_S8_PvPKiSB_iiiiilll,comdat
.Lfunc_end385:
	.size	_ZN12_GLOBAL__N_139chunk_gated_delta_rule_fwd_h_hip_kernelILi32ELb1ELb1ELb1ELb1ELb1ELb1ELb1ELb0EEEvPK12hip_bfloat16S3_S3_PKfS5_PKvPS1_S8_PvPKiSB_iiiiilll, .Lfunc_end385-_ZN12_GLOBAL__N_139chunk_gated_delta_rule_fwd_h_hip_kernelILi32ELb1ELb1ELb1ELb1ELb1ELb1ELb1ELb0EEEvPK12hip_bfloat16S3_S3_PKfS5_PKvPS1_S8_PvPKiSB_iiiiilll
                                        ; -- End function
	.section	.AMDGPU.csdata,"",@progbits
; Kernel info:
; codeLenInByte = 9692
; NumSgprs: 76
; NumVgprs: 146
; NumAgprs: 20
; TotalNumVgprs: 168
; ScratchSize: 0
; MemoryBound: 0
; FloatMode: 240
; IeeeMode: 1
; LDSByteSize: 49152 bytes/workgroup (compile time only)
; SGPRBlocks: 9
; VGPRBlocks: 20
; NumSGPRsForWavesPerEU: 76
; NumVGPRsForWavesPerEU: 168
; AccumOffset: 148
; Occupancy: 1
; WaveLimiterHint : 1
; COMPUTE_PGM_RSRC2:SCRATCH_EN: 0
; COMPUTE_PGM_RSRC2:USER_SGPR: 2
; COMPUTE_PGM_RSRC2:TRAP_HANDLER: 0
; COMPUTE_PGM_RSRC2:TGID_X_EN: 1
; COMPUTE_PGM_RSRC2:TGID_Y_EN: 1
; COMPUTE_PGM_RSRC2:TGID_Z_EN: 0
; COMPUTE_PGM_RSRC2:TIDIG_COMP_CNT: 0
; COMPUTE_PGM_RSRC3_GFX90A:ACCUM_OFFSET: 36
; COMPUTE_PGM_RSRC3_GFX90A:TG_SPLIT: 0
	.section	.text._ZN12_GLOBAL__N_139chunk_gated_delta_rule_fwd_h_hip_kernelILi32ELb1ELb1ELb0ELb1ELb1ELb1ELb1ELb0EEEvPK12hip_bfloat16S3_S3_PKfS5_PKvPS1_S8_PvPKiSB_iiiiilll,"axG",@progbits,_ZN12_GLOBAL__N_139chunk_gated_delta_rule_fwd_h_hip_kernelILi32ELb1ELb1ELb0ELb1ELb1ELb1ELb1ELb0EEEvPK12hip_bfloat16S3_S3_PKfS5_PKvPS1_S8_PvPKiSB_iiiiilll,comdat
	.globl	_ZN12_GLOBAL__N_139chunk_gated_delta_rule_fwd_h_hip_kernelILi32ELb1ELb1ELb0ELb1ELb1ELb1ELb1ELb0EEEvPK12hip_bfloat16S3_S3_PKfS5_PKvPS1_S8_PvPKiSB_iiiiilll ; -- Begin function _ZN12_GLOBAL__N_139chunk_gated_delta_rule_fwd_h_hip_kernelILi32ELb1ELb1ELb0ELb1ELb1ELb1ELb1ELb0EEEvPK12hip_bfloat16S3_S3_PKfS5_PKvPS1_S8_PvPKiSB_iiiiilll
	.p2align	8
	.type	_ZN12_GLOBAL__N_139chunk_gated_delta_rule_fwd_h_hip_kernelILi32ELb1ELb1ELb0ELb1ELb1ELb1ELb1ELb0EEEvPK12hip_bfloat16S3_S3_PKfS5_PKvPS1_S8_PvPKiSB_iiiiilll,@function
_ZN12_GLOBAL__N_139chunk_gated_delta_rule_fwd_h_hip_kernelILi32ELb1ELb1ELb0ELb1ELb1ELb1ELb1ELb0EEEvPK12hip_bfloat16S3_S3_PKfS5_PKvPS1_S8_PvPKiSB_iiiiilll: ; @_ZN12_GLOBAL__N_139chunk_gated_delta_rule_fwd_h_hip_kernelILi32ELb1ELb1ELb0ELb1ELb1ELb1ELb1ELb0EEEvPK12hip_bfloat16S3_S3_PKfS5_PKvPS1_S8_PvPKiSB_iiiiilll
; %bb.0:
	s_load_dwordx4 s[16:19], s[0:1], 0x5c
	s_load_dwordx4 s[24:27], s[0:1], 0x70
	s_abs_i32 s7, s3
	s_ashr_i32 s6, s3, 31
	s_load_dwordx4 s[12:15], s[0:1], 0x40
	s_load_dwordx2 s[4:5], s[0:1], 0x50
	s_waitcnt lgkmcnt(0)
	s_abs_i32 s10, s17
	v_cvt_f32_u32_e32 v1, s10
	s_sub_i32 s8, 0, s10
	s_ashr_i32 s11, s17, 31
	s_xor_b32 s6, s6, s11
	v_rcp_iflag_f32_e32 v1, v1
	v_and_b32_e32 v77, 15, v0
	v_bfe_u32 v76, v0, 4, 2
	v_mov_b32_e32 v63, 0
	v_mul_f32_e32 v1, 0x4f7ffffe, v1
	v_cvt_u32_f32_e32 v1, v1
	v_lshlrev_b32_e32 v78, 3, v0
	v_readfirstlane_b32 s9, v1
	s_mul_i32 s8, s8, s9
	s_mul_hi_u32 s8, s9, s8
	s_add_i32 s9, s9, s8
	s_mul_hi_u32 s8, s7, s9
	s_mul_i32 s9, s8, s10
	s_sub_i32 s7, s7, s9
	s_add_i32 s20, s8, 1
	s_sub_i32 s9, s7, s10
	s_cmp_ge_u32 s7, s10
	s_cselect_b32 s8, s20, s8
	s_cselect_b32 s7, s9, s7
	s_add_i32 s9, s8, 1
	s_cmp_ge_u32 s7, s10
	s_cselect_b32 s7, s9, s8
	s_xor_b32 s7, s7, s6
	s_sub_i32 s28, s7, s6
	s_mul_i32 s36, s28, s17
	s_ashr_i32 s29, s28, 31
	s_sub_i32 s33, s3, s36
	s_lshl_b64 s[6:7], s[28:29], 2
	s_add_u32 s8, s14, s6
	s_addc_u32 s9, s15, s7
	s_add_u32 s30, s4, s6
	s_addc_u32 s31, s5, s7
	s_abs_i32 s3, s18
	v_cvt_f32_u32_e32 v1, s3
	s_load_dwordx2 s[34:35], s[8:9], 0x0
	s_sub_i32 s5, 0, s3
	s_lshl_b32 s2, s2, 5
	v_rcp_iflag_f32_e32 v1, v1
	s_load_dwordx4 s[20:23], s[0:1], 0x20
	s_load_dwordx2 s[40:41], s[0:1], 0x30
	s_waitcnt lgkmcnt(0)
	s_sub_i32 s54, s35, s34
	s_ashr_i32 s4, s54, 31
	v_mul_f32_e32 v1, 0x4f7ffffe, v1
	v_cvt_u32_f32_e32 v1, v1
	s_lshr_b32 s4, s4, 26
	s_add_i32 s4, s54, s4
	s_ashr_i32 s53, s4, 6
	v_readfirstlane_b32 s6, v1
	s_mul_i32 s5, s5, s6
	s_mul_hi_u32 s5, s6, s5
	s_add_i32 s6, s6, s5
	s_mul_hi_u32 s5, s10, s6
	s_mul_i32 s6, s5, s3
	s_ashr_i32 s4, s18, 31
	s_sub_i32 s6, s10, s6
	s_xor_b32 s4, s11, s4
	s_add_i32 s7, s5, 1
	s_sub_i32 s8, s6, s3
	s_cmp_ge_u32 s6, s3
	s_cselect_b32 s5, s7, s5
	s_cselect_b32 s6, s8, s6
	s_add_i32 s7, s5, 1
	s_cmp_ge_u32 s6, s3
	s_cselect_b32 s3, s7, s5
	s_xor_b32 s3, s3, s4
	s_sub_i32 s3, s3, s4
	s_abs_i32 s4, s3
	v_cvt_f32_u32_e32 v1, s4
	s_sub_i32 s6, 0, s4
	s_abs_i32 s5, s33
	s_xor_b32 s3, s33, s3
	v_rcp_iflag_f32_e32 v2, v1
	s_ashr_i32 s3, s3, 31
	v_lshrrev_b32_e32 v1, 6, v0
	v_or_b32_e32 v68, s2, v77
	v_mul_f32_e32 v2, 0x4f7ffffe, v2
	v_cvt_u32_f32_e32 v2, v2
	v_lshlrev_b32_e32 v61, 4, v1
	v_lshlrev_b32_e32 v66, 7, v68
	v_lshl_or_b32 v80, v76, 2, v61
	v_readfirstlane_b32 s7, v2
	s_mul_i32 s6, s6, s7
	s_mul_hi_u32 s6, s7, s6
	s_add_i32 s7, s7, s6
	s_mul_hi_u32 s6, s5, s7
	s_mul_i32 s7, s6, s4
	s_sub_i32 s5, s5, s7
	s_add_i32 s7, s6, 1
	s_sub_i32 s8, s5, s4
	s_cmp_ge_u32 s5, s4
	s_cselect_b32 s6, s7, s6
	s_cselect_b32 s5, s8, s5
	s_add_i32 s7, s6, 1
	s_cmp_ge_u32 s5, s4
	s_cselect_b32 s4, s7, s6
	s_xor_b32 s4, s4, s3
	s_sub_i32 s55, s4, s3
	s_ashr_i32 s46, s33, 31
	s_mul_hi_i32 s3, s28, s17
	s_add_u32 s4, s36, s33
	s_addc_u32 s5, s3, s46
	s_lshl_b64 s[14:15], s[4:5], 16
	s_add_u32 s4, s22, s14
	s_addc_u32 s5, s23, s15
	v_ashrrev_i32_e32 v67, 31, v66
	v_lshl_add_u64 v[2:3], v[66:67], 2, s[4:5]
	v_lshlrev_b32_e32 v62, 2, v80
	v_or_b32_e32 v64, 0x800, v66
	v_lshl_add_u64 v[10:11], v[2:3], 0, v[62:63]
	v_ashrrev_i32_e32 v65, 31, v64
	global_load_dwordx4 v[2:5], v[10:11], off
	global_load_dwordx4 v[6:9], v[10:11], off offset:256
	v_lshl_add_u64 v[10:11], v[64:65], 2, s[4:5]
	v_lshl_add_u64 v[10:11], v[10:11], 0, v[62:63]
	global_load_dwordx4 v[18:21], v[10:11], off
	global_load_dwordx4 v[22:25], v[10:11], off offset:256
	s_load_dwordx8 s[4:11], s[0:1], 0x0
	s_load_dwordx2 s[22:23], s[0:1], 0x80
	s_load_dword s56, s[30:31], 0x0
	v_and_b32_e32 v63, 63, v0
	v_or_b32_e32 v81, 64, v80
	s_cmp_lt_i32 s54, 64
	s_mul_hi_i32 s57, s33, s16
	s_mul_i32 s58, s33, s16
	v_lshrrev_b32_e32 v79, 3, v63
	s_mul_i32 s47, s28, s25
	s_mul_hi_u32 s49, s28, s24
	s_mul_i32 s50, s29, s24
	s_mul_i32 s36, s28, s24
	;; [unrolled: 1-line block ×3, first 2 shown]
	s_mul_hi_u32 s51, s33, s26
	s_mul_i32 s52, s46, s26
	s_mul_i32 s38, s33, s26
	s_cbranch_scc1 .LBB386_3
; %bb.1:
	s_ashr_i32 s1, s34, 31
	s_add_u32 s0, s58, s34
	s_addc_u32 s1, s57, s1
	s_lshl_b64 s[0:1], s[0:1], 8
	v_and_b32_e32 v83, 56, v78
	s_waitcnt lgkmcnt(0)
	s_add_u32 s24, s6, s0
	v_lshl_or_b32 v82, v1, 3, v79
	v_lshlrev_b32_e32 v10, 1, v83
	s_addc_u32 s0, s7, s1
	v_lshl_or_b32 v84, v82, 8, v10
	s_and_b32 s25, s0, 0xffff
	s_mov_b32 s27, 0x20000
	s_movk_i32 s26, 0x4000
	s_movk_i32 s0, 0x80
	v_or_b32_e32 v85, 0x2000, v84
	buffer_load_dwordx4 v[12:15], v84, s[24:27], 0 offen
	buffer_load_dwordx4 v[26:29], v84, s[24:27], s0 offen
	;; [unrolled: 1-line block ×4, first 2 shown]
	v_lshlrev_b32_e32 v11, 3, v82
	v_and_or_b32 v17, v0, 7, v11
	v_and_b32_e32 v11, 0x78, v11
	v_lshlrev_b32_e32 v17, 4, v17
	v_xor_b32_e32 v86, v17, v11
	v_mul_lo_u32 v16, v82, s19
	v_or_b32_e32 v87, 0x1000, v86
	v_xor_b32_e32 v11, 8, v86
	s_cmpk_eq_i32 s19, 0x80
	s_mov_b32 s59, s34
	v_xor_b32_e32 v17, 8, v87
	s_cselect_b64 s[0:1], -1, 0
	s_cmpk_lg_i32 s19, 0x80
	s_waitcnt vmcnt(3)
	ds_write_b64 v86, v[12:13] offset:24576
	ds_write_b64 v11, v[14:15] offset:24576
	s_waitcnt vmcnt(2)
	ds_write_b64 v86, v[26:27] offset:32768
	ds_write_b64 v11, v[28:29] offset:32768
	s_waitcnt vmcnt(1)
	ds_write_b64 v86, v[30:31] offset:28672
	ds_write_b64 v17, v[32:33] offset:24576
	s_waitcnt vmcnt(0)
	ds_write_b64 v86, v[34:35] offset:36864
	ds_write_b64 v17, v[36:37] offset:32768
	v_lshl_add_u32 v11, v16, 1, v83
	s_cbranch_scc0 .LBB386_4
; %bb.2:
	v_lshlrev_b32_e32 v13, 1, v11
	v_add_lshl_u32 v12, v11, s19, 1
	s_lshl_b32 s26, s19, 7
	v_lshl_or_b32 v10, v82, 9, v10
	s_cbranch_execz .LBB386_5
	s_branch .LBB386_6
.LBB386_3:
	s_waitcnt vmcnt(0)
	v_mov_b32_e32 v17, v25
	v_mov_b32_e32 v16, v24
	;; [unrolled: 1-line block ×5, first 2 shown]
	s_branch .LBB386_20
.LBB386_4:
                                        ; implicit-def: $vgpr12
                                        ; implicit-def: $vgpr13
                                        ; implicit-def: $sgpr26
	v_lshl_or_b32 v10, v82, 9, v10
.LBB386_5:
	v_or_b32_e32 v12, 0x100, v10
	s_movk_i32 s26, 0x4000
	v_mov_b32_e32 v13, v10
.LBB386_6:
	s_mul_i32 s24, s34, s18
	s_ashr_i32 s60, s55, 31
	s_mul_hi_i32 s3, s34, s18
	s_add_u32 s24, s24, s55
	s_addc_u32 s25, s3, s60
	s_lshl_b64 s[24:25], s[24:25], 8
	s_add_u32 s24, s4, s24
	s_addc_u32 s3, s5, s25
	s_and_b32 s25, s3, 0xffff
	s_movk_i32 s61, 0x80
	buffer_load_dwordx4 v[14:17], v13, s[24:27], 0 offen
	buffer_load_dwordx4 v[26:29], v13, s[24:27], s61 offen
	;; [unrolled: 1-line block ×4, first 2 shown]
	v_and_b32_e32 v12, 6, v0
	v_lshlrev_b32_e32 v39, 6, v80
	v_or_b32_e32 v41, 16, v77
	v_xor_b32_e32 v42, v82, v12
	v_and_b32_e32 v13, 1, v0
	v_lshl_or_b32 v45, v77, 3, v39
	v_lshl_or_b32 v39, v41, 3, v39
	v_lshlrev_b32_e32 v42, 2, v42
	v_lshlrev_b32_e32 v38, 2, v77
	v_or_b32_e32 v90, 0xa000, v39
	v_or_b32_e32 v91, 0xb000, v39
	v_xor_b32_e32 v39, 0x440, v42
	v_cmp_eq_u32_e32 vcc, 0, v13
	s_add_i32 s3, s49, s47
	v_xor_b32_e32 v43, v80, v38
	v_xor_b32_e32 v44, v81, v38
	v_cndmask_b32_e32 v13, v39, v42, vcc
	s_add_i32 s24, s51, s48
	s_add_i32 s37, s3, s50
	s_mov_b32 s62, 0x1000504
	v_lshlrev_b32_e32 v40, 8, v77
	v_lshlrev_b32_e32 v41, 8, v41
	;; [unrolled: 1-line block ×4, first 2 shown]
	v_lshl_or_b32 v12, v12, 10, v13
	s_add_i32 s39, s24, s52
	s_lshl_b64 s[24:25], s[36:37], 2
	s_mov_b32 s63, 0x3020706
	v_or_b32_e32 v88, 0xa000, v45
	v_or_b32_e32 v89, 0xb000, v45
	;; [unrolled: 1-line block ×5, first 2 shown]
	v_xor_b32_e32 v13, 8, v12
	v_xor_b32_e32 v40, 24, v12
	;; [unrolled: 1-line block ×4, first 2 shown]
	s_add_u32 s3, s10, s24
	v_or_b32_e32 v94, v41, v43
	v_xor_b32_e32 v39, 16, v12
	v_xor_b32_e32 v41, 32, v12
	;; [unrolled: 1-line block ×3, first 2 shown]
	v_add_u32_e32 v13, 0x80, v13
	v_add_u32_e32 v40, 0x80, v40
	;; [unrolled: 1-line block ×4, first 2 shown]
	s_addc_u32 s26, s11, s25
	s_lshl_b64 s[24:25], s[38:39], 2
	s_add_u32 s42, s3, s24
	s_movk_i32 s3, 0xf8
	s_addc_u32 s43, s26, s25
	s_lshl_b32 s30, s19, 7
	s_movk_i32 s28, 0x100
	v_mov_b32_e32 v71, 0
	v_lshlrev_b32_e32 v70, 4, v77
	v_cmp_gt_u32_e32 vcc, s28, v0
	v_ashrrev_i32_e32 v69, 31, v68
	s_mov_b32 s64, 0
	s_movk_i32 s37, 0x1000
	s_movk_i32 s26, 0x4000
	v_lshl_add_u64 v[72:73], v[68:69], 1, s[8:9]
	s_waitcnt vmcnt(1)
	v_perm_b32 v45, v14, v30, s62
	s_waitcnt vmcnt(0)
	v_perm_b32 v46, v26, v34, s62
	v_perm_b32 v14, v14, v30, s63
	;; [unrolled: 1-line block ×15, first 2 shown]
	ds_write2st64_b32 v12, v45, v46 offset0:32 offset1:64
	ds_write2st64_b32 v13, v14, v26 offset0:32 offset1:64
	;; [unrolled: 1-line block ×8, first 2 shown]
	v_or_b32_e32 v12, v61, v77
	v_lshlrev_b32_e32 v12, 3, v12
	v_lshrrev_b32_e32 v15, 5, v63
	v_and_or_b32 v15, v12, s3, v15
	v_lshlrev_b32_e32 v15, 4, v15
	v_lshlrev_b32_e32 v17, 11, v1
	v_and_b32_e32 v12, 0x78, v12
	v_or_b32_e32 v28, 32, v15
	v_and_b32_e32 v14, 0x1000, v17
	v_lshrrev_b32_e32 v26, 1, v63
	v_xor_b32_e32 v28, v28, v12
	v_xor_b32_e32 v16, v15, v12
	v_and_b32_e32 v26, 8, v26
	v_or_b32_e32 v28, v28, v14
	v_or_b32_e32 v16, v16, v14
	v_lshlrev_b32_e32 v27, 7, v76
	v_xor_b32_e32 v98, v28, v26
	v_or_b32_e32 v28, 64, v15
	v_or_b32_e32 v15, 0x60, v15
	s_ashr_i32 s3, s2, 31
	v_xor_b32_e32 v96, v16, v26
	v_or_b32_e32 v16, v27, v38
	v_xor_b32_e32 v28, v28, v12
	v_xor_b32_e32 v12, v15, v12
	s_lshl_b64 s[24:25], s[2:3], 8
	v_lshlrev_b32_e32 v16, 1, v16
	v_or_b32_e32 v28, v28, v14
	v_or_b32_e32 v12, v12, v14
	s_add_u32 s24, s40, s24
	v_lshlrev_b32_e32 v14, 1, v77
	v_or_b32_e32 v97, 0xa000, v16
	v_or_b32_e32 v99, 0xa080, v16
	;; [unrolled: 1-line block ×4, first 2 shown]
	v_lshrrev_b32_e32 v16, 4, v0
	s_addc_u32 s25, s41, s25
	v_or_b32_e32 v15, 1, v14
	v_mov_b32_e32 v33, 0x4000
	v_mov_b32_e32 v34, 0x2000
	v_lshrrev_b32_e32 v35, 1, v0
	v_xor_b32_e32 v100, v28, v26
	v_xor_b32_e32 v101, v12, v26
	;; [unrolled: 1-line block ×4, first 2 shown]
	v_lshl_add_u64 v[14:15], s[24:25], 0, v[70:71]
	v_lshlrev_b32_e32 v70, 8, v16
	v_cndmask_b32_e32 v33, v33, v34, vcc
	v_lshlrev_b32_e32 v34, 3, v1
	v_and_b32_e32 v35, 24, v35
	v_lshl_or_b32 v104, v26, 3, v70
	v_and_b32_e32 v26, 8, v0
	v_xor_b32_e32 v36, v34, v35
	v_or_b32_e32 v37, 0x440, v36
	v_cmp_eq_u32_e32 vcc, 0, v26
	v_and_b32_e32 v16, 7, v0
	v_lshl_or_b32 v105, v30, 3, v70
	v_cndmask_b32_e32 v26, v37, v36, vcc
	v_lshlrev_b32_e32 v30, 3, v16
	v_lshlrev_b32_e32 v32, 2, v0
	v_or_b32_e32 v26, v26, v17
	v_xor_b32_e32 v36, v26, v30
	v_and_or_b32 v26, v32, 60, v27
	v_mov_b32_e32 v27, 0xb000
	v_lshl_or_b32 v106, v26, 1, v27
	v_or_b32_e32 v26, 32, v35
	v_xor_b32_e32 v26, v34, v26
	v_or_b32_e32 v27, 0x440, v26
	v_cndmask_b32_e32 v26, v27, v26, vcc
	v_or_b32_e32 v26, v26, v17
	v_xor_b32_e32 v27, v26, v30
	v_or_b32_e32 v26, 64, v35
	v_xor_b32_e32 v26, v34, v26
	v_xor_b32_e32 v38, 0x440, v26
	v_cndmask_b32_e32 v26, v38, v26, vcc
	v_or_b32_e32 v26, v26, v17
	v_xor_b32_e32 v38, v26, v30
	v_or_b32_e32 v26, 0x60, v35
	v_xor_b32_e32 v26, v34, v26
	v_xor_b32_e32 v34, 0x440, v26
	v_cndmask_b32_e32 v26, v34, v26, vcc
	v_lshrrev_b32_e32 v13, 2, v63
	v_or_b32_e32 v17, v26, v17
	v_and_b32_e32 v13, 12, v13
	v_xor_b32_e32 v17, v17, v30
	v_lshlrev_b32_e32 v12, 7, v80
	v_lshlrev_b32_e32 v28, 1, v11
	v_add_lshl_u32 v11, v11, s19, 1
	v_or_b32_e32 v29, 0x100, v10
	v_lshlrev_b32_e32 v31, 7, v16
	v_or_b32_e32 v16, v13, v61
	v_add_u32_e32 v37, v33, v36
	v_add_u32_e32 v32, v33, v27
	v_add_u32_e32 v39, v33, v38
	v_add_u32_e32 v30, v33, v17
	v_or3_b32 v26, v61, v13, 64
	v_add_u32_e32 v13, 0x4000, v36
	v_add_u32_e32 v27, 0x4000, v27
	v_add_u32_e32 v33, 0x4000, v38
	v_add_u32_e32 v17, 0x4000, v17
	v_cndmask_b32_e64 v107, v28, v10, s[0:1]
	v_cndmask_b32_e64 v108, v11, v29, s[0:1]
	v_lshl_add_u64 v[74:75], v[14:15], 0, v[70:71]
	s_mov_b32 s3, 0x7060302
	v_lshlrev_b32_e32 v70, 1, v12
	v_lshlrev_b32_e32 v69, 2, v16
	v_add_u32_e32 v109, v37, v31
	v_add_u32_e32 v110, v32, v31
	;; [unrolled: 1-line block ×4, first 2 shown]
	v_lshlrev_b32_e32 v113, 2, v26
	v_add_u32_e32 v114, v13, v31
	v_add_u32_e32 v115, v27, v31
	;; [unrolled: 1-line block ×4, first 2 shown]
	s_waitcnt lgkmcnt(0)
	s_barrier
.LBB386_7:                              ; =>This Inner Loop Header: Depth=1
	s_add_i32 s39, s64, 1
	s_cmp_lt_i32 s39, s53
	s_mov_b64 s[28:29], 0
	s_cselect_b64 s[44:45], -1, 0
	s_cmp_ge_i32 s39, s53
	s_mov_b64 s[24:25], 0
	s_cbranch_scc1 .LBB386_9
; %bb.8:                                ;   in Loop: Header=BB386_7 Depth=1
	s_add_i32 s0, s59, 64
	s_ashr_i32 s1, s0, 31
	s_add_u32 s0, s58, s0
	s_addc_u32 s1, s57, s1
	s_lshl_b64 s[0:1], s[0:1], 8
	s_add_u32 s24, s6, s0
	s_addc_u32 s25, s7, s1
.LBB386_9:                              ;   in Loop: Header=BB386_7 Depth=1
	v_cndmask_b32_e64 v10, 0, 1, s[44:45]
	v_cmp_ne_u32_e64 s[0:1], 1, v10
	s_andn2_b64 vcc, exec, s[44:45]
	s_cbranch_vccnz .LBB386_11
; %bb.10:                               ;   in Loop: Header=BB386_7 Depth=1
	s_add_i32 s28, s59, 64
	s_mul_hi_i32 s29, s28, s18
	s_mul_i32 s28, s28, s18
	s_add_u32 s28, s28, s55
	s_addc_u32 s29, s29, s60
	s_lshl_b64 s[28:29], s[28:29], 8
	s_add_u32 s28, s4, s28
	s_addc_u32 s29, s5, s29
.LBB386_11:                             ;   in Loop: Header=BB386_7 Depth=1
	v_perm_b32 v11, v5, v4, s3
	v_perm_b32 v10, v3, v2, s3
	v_perm_b32 v13, v9, v8, s3
	v_perm_b32 v12, v7, v6, s3
	ds_write_b64 v88, v[10:11]
	ds_write_b64 v89, v[12:13]
	;; [unrolled: 1-line block ×4, first 2 shown]
	v_perm_b32 v11, v21, v20, s3
	v_perm_b32 v10, v19, v18, s3
	;; [unrolled: 1-line block ×4, first 2 shown]
	ds_write_b64 v90, v[10:11]
	ds_write_b64 v91, v[12:13]
	ds_write_b64 v94, v[10:11]
	ds_write_b64 v95, v[12:13]
	s_waitcnt lgkmcnt(0)
	s_barrier
	ds_read_b64 v[14:15], v96 offset:24576
	ds_read2_b64 v[10:13], v97 offset1:16
	ds_read_b64 v[26:27], v99 offset:3072
	ds_read_b64 v[28:29], v97 offset:3072
	;; [unrolled: 1-line block ×3, first 2 shown]
	s_waitcnt lgkmcnt(3)
	v_mfma_f32_16x16x16_bf16 a[0:3], v[14:15], v[10:11], 0
	s_add_i32 s65, s59, 63
	s_ashr_i32 s31, s65, 31
	s_mul_i32 s44, s65, s23
	v_mfma_f32_16x16x16_bf16 a[4:7], v[14:15], v[12:13], 0
	ds_read2st64_b64 v[10:13], v97 offset0:2 offset1:4
	s_mul_hi_u32 s45, s65, s22
	s_add_i32 s44, s45, s44
	s_waitcnt lgkmcnt(0)
	v_mfma_f32_16x16x16_bf16 a[0:3], v[30:31], v[10:11], a[0:3]
	ds_read2st64_b64 v[14:17], v99 offset0:2 offset1:4
	ds_read_b64 v[10:11], v100 offset:24576
	s_mul_i32 s31, s31, s22
	s_add_i32 s45, s44, s31
	s_waitcnt lgkmcnt(1)
	v_mfma_f32_16x16x16_bf16 a[4:7], v[30:31], v[14:15], a[4:7]
	ds_read_b64 v[14:15], v101 offset:24576
	s_mul_i32 s44, s65, s22
	s_lshl_b64 s[44:45], s[44:45], 2
	s_waitcnt lgkmcnt(1)
	v_mfma_f32_16x16x16_bf16 a[0:3], v[10:11], v[12:13], a[0:3]
	s_add_u32 s44, s42, s44
	s_addc_u32 s45, s43, s45
	s_and_b64 vcc, exec, s[0:1]
	v_mfma_f32_16x16x16_bf16 a[4:7], v[10:11], v[16:17], a[4:7]
	v_mov_b32_e32 v120, 0
	v_mov_b32_e32 v119, 0
	;; [unrolled: 1-line block ×3, first 2 shown]
	s_waitcnt lgkmcnt(0)
	v_mfma_f32_16x16x16_bf16 a[0:3], v[14:15], v[28:29], a[0:3]
	v_mov_b32_e32 v10, 0
	v_mov_b32_e32 v11, 0
	;; [unrolled: 1-line block ×3, first 2 shown]
	v_mfma_f32_16x16x16_bf16 a[4:7], v[14:15], v[26:27], a[4:7]
	v_mov_b32_e32 v13, 0
	v_mov_b32_e32 v14, 0
	v_mov_b32_e32 v15, 0
	v_mov_b32_e32 v16, 0
	v_mov_b32_e32 v17, 0
	v_mov_b32_e32 v26, 0
	v_mov_b32_e32 v27, 0
	v_mov_b32_e32 v28, 0
	v_mov_b32_e32 v29, 0
	v_mov_b32_e32 v30, 0
	v_mov_b32_e32 v31, 0
	v_mov_b32_e32 v32, 0
	v_mov_b32_e32 v33, 0
	s_cbranch_vccnz .LBB386_13
; %bb.12:                               ;   in Loop: Header=BB386_7 Depth=1
	s_and_b32 s25, s25, 0xffff
	buffer_load_dwordx4 v[30:33], v84, s[24:27], 0 offen
	buffer_load_dwordx4 v[26:29], v84, s[24:27], s61 offen
	buffer_load_dwordx4 v[14:17], v85, s[24:27], 0 offen
	buffer_load_dwordx4 v[10:13], v85, s[24:27], s61 offen
	v_mov_b32_e32 v119, v86
	v_mov_b32_e32 v118, v87
.LBB386_13:                             ;   in Loop: Header=BB386_7 Depth=1
	ds_read_b64 v[38:39], v96 offset:32768
	ds_read2_b64 v[34:37], v102 offset1:16
	ds_read_b64 v[42:43], v98 offset:32768
	ds_read_b64 v[44:45], v100 offset:32768
	;; [unrolled: 1-line block ×3, first 2 shown]
	v_add_u32_e32 v50, s59, v80
	s_waitcnt lgkmcnt(3)
	v_mfma_f32_16x16x16_bf16 a[0:3], v[38:39], v[34:35], a[0:3]
	v_mov_b32_e32 v121, 0
	v_mfma_f32_16x16x16_bf16 a[4:7], v[38:39], v[36:37], a[4:7]
	ds_read2st64_b64 v[34:37], v102 offset0:2 offset1:4
	ds_read2st64_b64 v[38:41], v103 offset0:2 offset1:4
	s_waitcnt lgkmcnt(1)
	v_mfma_f32_16x16x16_bf16 a[0:3], v[42:43], v[34:35], a[0:3]
	ds_read_b64 v[34:35], v102 offset:3072
	ds_read_b64 v[48:49], v103 offset:3072
	s_waitcnt lgkmcnt(2)
	v_mfma_f32_16x16x16_bf16 a[4:7], v[42:43], v[38:39], a[4:7]
	v_ashrrev_i32_e32 v38, 31, v50
	v_mul_lo_u32 v39, v50, s23
	v_mul_lo_u32 v38, v38, s22
	v_mfma_f32_16x16x16_bf16 a[0:3], v[44:45], v[36:37], a[0:3]
	v_mad_u64_u32 v[36:37], s[24:25], v50, s22, 0
	v_add3_u32 v37, v37, v39, v38
	v_add_u32_e32 v38, 1, v50
	v_ashrrev_i32_e32 v39, 31, v38
	v_mfma_f32_16x16x16_bf16 a[4:7], v[44:45], v[40:41], a[4:7]
	v_mul_lo_u32 v39, v39, s22
	v_mul_lo_u32 v40, v38, s23
	v_lshl_add_u64 v[36:37], v[36:37], 2, s[42:43]
	s_waitcnt lgkmcnt(1)
	v_mfma_f32_16x16x16_bf16 a[0:3], v[46:47], v[34:35], a[0:3]
	v_mad_u64_u32 v[34:35], s[24:25], v38, s22, 0
	v_add_u32_e32 v38, 2, v50
	v_add3_u32 v35, v35, v40, v39
	v_ashrrev_i32_e32 v39, 31, v38
	v_mul_lo_u32 v40, v39, s22
	v_mul_lo_u32 v41, v38, s23
	v_mad_u64_u32 v[38:39], s[24:25], v38, s22, 0
	v_add3_u32 v39, v39, v41, v40
	v_add_u32_e32 v40, 3, v50
	v_ashrrev_i32_e32 v41, 31, v40
	v_mul_lo_u32 v42, v41, s22
	v_mul_lo_u32 v43, v40, s23
	v_mad_u64_u32 v[40:41], s[24:25], v40, s22, 0
	v_add3_u32 v41, v41, v43, v42
	v_lshl_add_u64 v[40:41], v[40:41], 2, s[42:43]
	s_ashr_i32 s25, s59, 31
	v_lshl_add_u64 v[34:35], v[34:35], 2, s[42:43]
	v_lshl_add_u64 v[38:39], v[38:39], 2, s[42:43]
	global_load_dword v42, v[36:37], off
	global_load_dword v43, v[34:35], off
	global_load_dword v44, v[38:39], off
	s_nop 0
	global_load_dword v41, v[40:41], off
	s_add_u32 s24, s58, s59
	s_addc_u32 s25, s57, s25
	s_lshl_b64 s[24:25], s[24:25], 8
	v_lshl_add_u64 v[34:35], v[72:73], 0, s[24:25]
	v_lshl_add_u64 v[34:35], v[34:35], 0, v[70:71]
	global_load_ushort v45, v[34:35], off
	global_load_ushort v50, v[34:35], off offset:256
	global_load_ushort v51, v[34:35], off offset:800
	;; [unrolled: 1-line block ×7, first 2 shown]
	s_load_dword s24, s[44:45], 0x0
	s_waitcnt lgkmcnt(0)
	v_mfma_f32_16x16x16_bf16 a[4:7], v[46:47], v[48:49], a[4:7]
	v_accvgpr_read_b32 v39, a1
	v_accvgpr_read_b32 v35, a3
	;; [unrolled: 1-line block ×4, first 2 shown]
	s_and_b64 vcc, exec, s[0:1]
	s_waitcnt vmcnt(11)
	v_sub_f32_e32 v40, s24, v42
	s_waitcnt vmcnt(10)
	v_sub_f32_e32 v48, s24, v43
	s_waitcnt vmcnt(9)
	v_sub_f32_e32 v49, s24, v44
	s_waitcnt vmcnt(8)
	v_sub_f32_e32 v57, s24, v41
	v_exp_f32_e32 v40, v40
	v_exp_f32_e32 v41, v48
	;; [unrolled: 1-line block ×4, first 2 shown]
	s_waitcnt vmcnt(6)
	v_lshlrev_b32_e32 v43, 16, v50
	v_lshlrev_b32_e32 v42, 16, v45
	s_waitcnt vmcnt(4)
	v_lshlrev_b32_e32 v45, 16, v52
	s_waitcnt vmcnt(2)
	v_lshlrev_b32_e32 v44, 16, v54
	v_pk_add_f32 v[38:39], v[42:43], v[38:39] neg_lo:[0,1] neg_hi:[0,1]
	v_pk_add_f32 v[34:35], v[44:45], v[34:35] neg_lo:[0,1] neg_hi:[0,1]
	v_pk_mul_f32 v[38:39], v[40:41], v[38:39]
	v_pk_mul_f32 v[34:35], v[48:49], v[34:35]
	s_waitcnt vmcnt(1)
	v_lshlrev_b32_e32 v47, 16, v55
	v_perm_b32 v35, v35, v34, s3
	v_perm_b32 v34, v39, v38, s3
	v_accvgpr_read_b32 v39, a5
	s_waitcnt vmcnt(0)
	v_lshlrev_b32_e32 v46, 16, v56
	v_accvgpr_read_b32 v38, a4
	v_pk_add_f32 v[38:39], v[46:47], v[38:39] neg_lo:[0,1] neg_hi:[0,1]
	v_accvgpr_read_b32 v37, a7
	v_accvgpr_read_b32 v36, a6
	v_pk_mul_f32 v[38:39], v[40:41], v[38:39]
	v_lshlrev_b32_e32 v41, 16, v51
	v_lshlrev_b32_e32 v40, 16, v53
	v_pk_add_f32 v[36:37], v[40:41], v[36:37] neg_lo:[0,1] neg_hi:[0,1]
	v_mov_b32_e32 v40, 0
	v_pk_mul_f32 v[36:37], v[48:49], v[36:37]
	v_mov_b32_e32 v41, 0
	v_perm_b32 v37, v37, v36, s3
	v_perm_b32 v36, v39, v38, s3
	ds_write2_b64 v89, v[34:35], v[36:37] offset1:16
	v_mov_b32_e32 v34, 0
	v_mov_b32_e32 v35, 0
	;; [unrolled: 1-line block ×14, first 2 shown]
	s_cbranch_vccnz .LBB386_15
; %bb.14:                               ;   in Loop: Header=BB386_7 Depth=1
	s_and_b32 s29, s29, 0xffff
	s_mov_b32 s31, s27
	buffer_load_dwordx4 v[46:49], v107, s[28:31], 0 offen
	buffer_load_dwordx4 v[38:41], v107, s[28:31], s61 offen
	;; [unrolled: 1-line block ×4, first 2 shown]
	v_mov_b32_e32 v120, v83
	v_mov_b32_e32 v121, v82
.LBB386_15:                             ;   in Loop: Header=BB386_7 Depth=1
	s_waitcnt lgkmcnt(0)
	s_barrier
	ds_read_b64 v[54:55], v109
	ds_read_b64 v[126:127], v106
	ds_read_b64 v[128:129], v110
	ds_read_b64 v[130:131], v111
	ds_read_b64 v[138:139], v112
	ds_read_b64 v[140:141], v103 offset:3072
	ds_read2_b64 v[50:53], v102 offset0:16 offset1:128
	s_waitcnt lgkmcnt(5)
	v_mfma_f32_16x16x16_bf16 a[0:3], v[54:55], v[126:127], 0
	s_add_i32 s25, s56, s64
	s_mul_hi_i32 s29, s25, s17
	s_mul_i32 s25, s25, s17
	s_waitcnt lgkmcnt(0)
	v_mfma_f32_16x16x16_bf16 a[4:7], v[54:55], v[50:51], 0
	ds_read_b64 v[54:55], v114
	ds_read2st64_b64 v[56:59], v103 offset0:2 offset1:4
	s_add_u32 s28, s25, s33
	s_addc_u32 s29, s29, s46
	s_lshl_b64 s[28:29], s[28:29], 15
	s_mul_i32 s31, s65, s17
	s_mul_hi_i32 s25, s65, s17
	s_add_u32 s44, s31, s33
	s_waitcnt lgkmcnt(1)
	v_mfma_f32_16x16x16_bf16 a[8:11], v[54:55], v[126:127], 0
	s_addc_u32 s45, s25, s46
	ds_read2st64_b64 v[122:125], v102 offset0:4 offset1:6
	s_lshl_b64 s[44:45], s[44:45], 9
	v_mfma_f32_16x16x16_bf16 a[0:3], v[128:129], v[52:53], a[0:3]
	s_add_u32 s44, s20, s44
	s_addc_u32 s45, s21, s45
	s_waitcnt lgkmcnt(1)
	v_mfma_f32_16x16x16_bf16 a[4:7], v[128:129], v[56:57], a[4:7]
	ds_read_b64 v[128:129], v115
	ds_read_b64 v[136:137], v116
	;; [unrolled: 1-line block ×3, first 2 shown]
	v_mfma_f32_16x16x16_bf16 a[12:15], v[54:55], v[50:51], 0
	s_waitcnt lgkmcnt(2)
	v_mfma_f32_16x16x16_bf16 a[8:11], v[128:129], v[52:53], a[8:11]
	global_load_dwordx4 v[50:53], v113, s[44:45]
	v_mfma_f32_16x16x16_bf16 a[12:15], v[128:129], v[56:57], a[12:15]
	global_load_dwordx4 v[54:57], v69, s[44:45]
	ds_read2st64_b64 v[126:129], v104 offset1:8
	s_waitcnt lgkmcnt(0)
	v_mov_b32_e32 v134, v126
	v_mfma_f32_16x16x16_bf16 a[0:3], v[130:131], v[122:123], a[0:3]
	v_mov_b32_e32 v135, v127
	v_mfma_f32_16x16x16_bf16 a[4:7], v[130:131], v[58:59], a[4:7]
	ds_read2st64_b64 v[130:133], v105 offset1:8
	v_mfma_f32_16x16x16_bf16 a[8:11], v[136:137], v[122:123], a[8:11]
	v_lshl_add_u64 v[122:123], v[74:75], 0, s[28:29]
	v_mfma_f32_16x16x16_bf16 a[16:19], v[136:137], v[58:59], a[12:15]
	v_add_co_u32_e32 v58, vcc, s37, v122
	s_waitcnt lgkmcnt(0)
	v_mov_b32_e32 v136, v130
	v_mfma_f32_16x16x16_bf16 a[0:3], v[138:139], v[124:125], a[0:3]
	v_mov_b32_e32 v137, v131
	v_mov_b32_e32 v130, v128
	;; [unrolled: 1-line block ×3, first 2 shown]
	v_mfma_f32_16x16x16_bf16 a[4:7], v[138:139], v[140:141], a[4:7]
	v_addc_co_u32_e32 v59, vcc, 0, v123, vcc
	global_store_dwordx4 v[58:59], v[130:133], off
	v_mfma_f32_16x16x16_bf16 a[12:15], v[142:143], v[124:125], a[8:11]
	s_and_b64 vcc, exec, s[0:1]
	global_store_dwordx4 v[122:123], v[134:137], off
	s_waitcnt vmcnt(3)
	v_mov_b32_e32 v60, v53
	v_mfma_f32_16x16x16_bf16 a[8:11], v[142:143], v[140:141], a[16:19]
	v_mov_b32_e32 v59, v52
	v_mov_b32_e32 v58, v51
	s_cbranch_vccnz .LBB386_17
; %bb.16:                               ;   in Loop: Header=BB386_7 Depth=1
	v_lshrrev_b32_e32 v51, 3, v120
	v_and_b32_e32 v51, 6, v51
	v_xor_b32_e32 v52, v51, v121
	v_lshlrev_b32_e32 v52, 2, v52
	v_and_b32_e32 v53, 8, v120
	v_xor_b32_e32 v120, 0x440, v52
	v_cmp_eq_u32_e32 vcc, 0, v53
	v_perm_b32 v53, v38, v34, s62
	s_nop 0
	v_cndmask_b32_e32 v52, v120, v52, vcc
	v_lshl_or_b32 v51, v51, 10, v52
	v_perm_b32 v52, v46, v42, s62
	s_barrier
	ds_write2st64_b32 v51, v52, v53 offset0:32 offset1:64
	v_xor_b32_e32 v52, 8, v51
	v_perm_b32 v42, v46, v42, s63
	v_perm_b32 v34, v38, v34, s63
	v_add_u32_e32 v38, 0x80, v52
	ds_write2st64_b32 v38, v42, v34 offset0:32 offset1:64
	v_xor_b32_e32 v34, 16, v51
	v_perm_b32 v38, v47, v43, s62
	v_perm_b32 v42, v39, v35, s62
	ds_write2st64_b32 v34, v38, v42 offset0:33 offset1:65
	v_xor_b32_e32 v34, 24, v51
	v_perm_b32 v38, v47, v43, s63
	v_perm_b32 v35, v39, v35, s63
	v_add_u32_e32 v34, 0x80, v34
	ds_write2st64_b32 v34, v38, v35 offset0:33 offset1:65
	v_xor_b32_e32 v34, 32, v51
	v_perm_b32 v35, v48, v44, s62
	v_perm_b32 v38, v40, v36, s62
	;; [unrolled: 9-line block ×3, first 2 shown]
	ds_write2st64_b32 v34, v35, v36 offset0:35 offset1:67
	v_xor_b32_e32 v34, 56, v51
	v_perm_b32 v35, v49, v45, s63
	v_perm_b32 v36, v41, v37, s63
	v_add_u32_e32 v34, 0x80, v34
	ds_write2st64_b32 v34, v35, v36 offset0:35 offset1:67
	ds_write_b64 v119, v[30:31] offset:24576
	v_xor_b32_e32 v30, 8, v119
	ds_write_b64 v30, v[32:33] offset:24576
	ds_write_b64 v119, v[26:27] offset:32768
	;; [unrolled: 1-line block ×4, first 2 shown]
	v_xor_b32_e32 v14, 8, v118
	ds_write_b64 v14, v[16:17] offset:24576
	ds_write_b64 v118, v[10:11] offset:32768
	;; [unrolled: 1-line block ×3, first 2 shown]
.LBB386_17:                             ;   in Loop: Header=BB386_7 Depth=1
	v_exp_f32_e32 v34, s24
	s_waitcnt vmcnt(2)
	v_exp_f32_e32 v36, v54
	v_exp_f32_e32 v37, v55
	;; [unrolled: 1-line block ×4, first 2 shown]
	v_accvgpr_read_b32 v29, a3
	v_accvgpr_read_b32 v27, a1
	;; [unrolled: 1-line block ×4, first 2 shown]
	v_pk_mul_f32 v[36:37], v[34:35], v[36:37] op_sel_hi:[0,1]
	v_accvgpr_read_b32 v28, a2
	v_accvgpr_read_b32 v11, a5
	;; [unrolled: 1-line block ×3, first 2 shown]
	v_pk_fma_f32 v[2:3], v[2:3], v[36:37], v[26:27]
	v_pk_mul_f32 v[26:27], v[34:35], v[38:39] op_sel_hi:[0,1]
	v_pk_fma_f32 v[4:5], v[4:5], v[26:27], v[28:29]
	v_fma_f32 v18, v18, v36, v10
	v_fma_f32 v19, v19, v37, v11
	v_exp_f32_e32 v10, v50
	v_exp_f32_e32 v11, v58
	;; [unrolled: 1-line block ×4, first 2 shown]
	v_accvgpr_read_b32 v12, a6
	v_accvgpr_read_b32 v33, a15
	;; [unrolled: 1-line block ×9, first 2 shown]
	v_fma_f32 v20, v20, v26, v12
	v_fmac_f32_e32 v13, v21, v27
	v_pk_mul_f32 v[10:11], v[34:35], v[10:11] op_sel_hi:[0,1]
	v_pk_mul_f32 v[26:27], v[34:35], v[28:29] op_sel_hi:[0,1]
	s_add_i32 s59, s59, 64
	v_pk_fma_f32 v[6:7], v[6:7], v[10:11], v[30:31]
	v_pk_fma_f32 v[8:9], v[8:9], v[26:27], v[32:33]
	v_fma_f32 v22, v22, v10, v14
	v_fma_f32 v23, v23, v11, v15
	;; [unrolled: 1-line block ×3, first 2 shown]
	s_cmp_eq_u32 s53, s39
	v_fmac_f32_e32 v17, v25, v27
	s_cbranch_scc1 .LBB386_19
; %bb.18:                               ;   in Loop: Header=BB386_7 Depth=1
	s_mov_b32 s64, s39
	v_mov_b32_e32 v21, v13
	v_mov_b32_e32 v25, v17
	s_branch .LBB386_7
.LBB386_19:
	v_mov_b32_e32 v16, v24
	v_mov_b32_e32 v15, v23
	;; [unrolled: 1-line block ×3, first 2 shown]
.LBB386_20:
	s_lshl_b32 s0, s53, 6
	s_sub_i32 s44, s54, s0
	v_mov_b32_e32 v12, v20
	v_mov_b32_e32 v11, v19
	;; [unrolled: 1-line block ×3, first 2 shown]
	s_cmp_gt_i32 s44, 0
	s_cbranch_scc0 .LBB386_85
; %bb.21:
	s_add_i32 s34, s0, s34
	s_ashr_i32 s3, s34, 31
	s_cmpk_lg_i32 s19, 0x80
	s_cselect_b64 s[30:31], -1, 0
	s_and_b64 vcc, exec, s[30:31]
	s_cbranch_vccz .LBB386_23
; %bb.22:
	s_mul_hi_i32 s0, s34, s18
	s_mul_i32 s1, s34, s18
	s_ashr_i32 s18, s55, 31
	s_add_u32 s42, s1, s55
	s_addc_u32 s43, s0, s18
	s_cbranch_execz .LBB386_24
	s_branch .LBB386_25
.LBB386_23:
                                        ; implicit-def: $sgpr42_sgpr43
.LBB386_24:
	s_mul_i32 s1, s55, s16
	s_mul_hi_i32 s0, s55, s16
	s_add_u32 s42, s1, s34
	s_addc_u32 s43, s0, s3
.LBB386_25:
	s_waitcnt lgkmcnt(0)
	s_add_i32 s16, s53, s56
	s_add_u32 s0, s58, s34
	v_lshlrev_b32_e32 v22, 5, v80
	v_lshlrev_b32_e32 v38, 2, v77
	s_addc_u32 s1, s57, s3
	s_mov_b32 s3, 0x7060302
	v_or_b32_e32 v25, v22, v38
	v_xor_b32_e32 v23, v80, v38
	v_perm_b32 v19, v5, v4, s3
	v_perm_b32 v18, v3, v2, s3
	;; [unrolled: 1-line block ×4, first 2 shown]
	v_lshlrev_b32_e32 v25, 1, v25
	v_xor_b32_e32 v24, v81, v38
	ds_write2st64_b64 v25, v[18:19], v[20:21] offset0:80 offset1:88
	v_lshlrev_b32_e32 v23, 1, v23
	v_lshlrev_b32_e32 v25, 8, v77
	s_lshl_b64 s[28:29], s[0:1], 8
	v_or_b32_e32 v26, v23, v25
	v_lshlrev_b32_e32 v24, 1, v24
	s_add_u32 s0, s6, s28
	ds_write_b64 v26, v[18:19]
	v_or_b32_e32 v18, v24, v25
	s_addc_u32 s1, s7, s29
	ds_write_b64 v18, v[20:21]
	v_perm_b32 v19, v13, v12, s3
	v_perm_b32 v18, v11, v10, s3
	;; [unrolled: 1-line block ×4, first 2 shown]
	v_or_b32_e32 v25, 16, v77
	s_mul_hi_i32 s3, s16, s17
	s_mul_i32 s16, s16, s17
	v_lshlrev_b32_e32 v35, 2, v25
	s_add_u32 s6, s16, s33
	v_or_b32_e32 v22, v22, v35
	s_addc_u32 s7, s3, s46
	v_lshlrev_b32_e32 v22, 1, v22
	s_ashr_i32 s3, s2, 31
	s_lshl_b64 s[6:7], s[6:7], 15
	ds_write2st64_b64 v22, v[18:19], v[20:21] offset0:80 offset1:88
	v_lshlrev_b32_e32 v22, 8, v25
	s_add_u32 s6, s40, s6
	v_or_b32_e32 v23, v23, v22
	s_addc_u32 s7, s41, s7
	s_lshl_b64 s[2:3], s[2:3], 8
	ds_write_b64 v23, v[18:19]
	v_or_b32_e32 v18, v24, v22
	s_add_u32 s2, s6, s2
	ds_write_b64 v18, v[20:21]
	v_lshrrev_b32_e32 v18, 4, v0
	s_addc_u32 s3, s7, s3
	v_lshlrev_b32_e32 v19, 1, v77
	v_lshlrev_b32_e32 v26, 4, v77
	v_mov_b32_e32 v27, 0
	v_or_b32_e32 v20, 1, v19
	v_xor_b32_e32 v19, v18, v19
	v_lshl_add_u64 v[28:29], s[2:3], 0, v[26:27]
	v_lshlrev_b32_e32 v26, 8, v18
	v_xor_b32_e32 v22, v20, v18
	v_lshl_or_b32 v18, v19, 3, v26
	s_waitcnt lgkmcnt(0)
	s_barrier
	ds_read2st64_b64 v[18:21], v18 offset1:8
	v_lshl_or_b32 v22, v22, 3, v26
	ds_read2st64_b64 v[22:25], v22 offset1:8
	v_lshl_add_u64 v[30:31], v[28:29], 0, v[26:27]
	s_movk_i32 s2, 0x1000
	s_waitcnt lgkmcnt(1)
	v_mov_b32_e32 v26, v18
	v_add_co_u32_e32 v18, vcc, s2, v30
	s_cmp_lg_u32 s44, 64
	v_mov_b32_e32 v27, v19
	v_addc_co_u32_e32 v19, vcc, 0, v31, vcc
	s_cselect_b64 s[6:7], -1, 0
	v_lshl_or_b32 v42, v1, 3, v79
	s_waitcnt lgkmcnt(0)
	v_mov_b32_e32 v28, v22
	v_mov_b32_e32 v29, v23
	;; [unrolled: 1-line block ×4, first 2 shown]
	s_mov_b32 s24, 0
	v_or_b32_e32 v36, 32, v42
	v_and_b32_e32 v34, 56, v78
	s_and_b64 vcc, exec, s[6:7]
	global_store_dwordx4 v[30:31], v[26:29], off
	global_store_dwordx4 v[18:19], v[22:25], off
	s_cbranch_vccz .LBB386_31
; %bb.26:
	s_mov_b32 s25, s24
	s_mov_b32 s26, s24
	;; [unrolled: 1-line block ×3, first 2 shown]
	v_mov_b64_e32 v[22:23], s[24:25]
	v_mov_b64_e32 v[24:25], s[26:27]
	;; [unrolled: 1-line block ×3, first 2 shown]
	v_cmp_gt_i32_e32 vcc, s44, v42
	v_mov_b64_e32 v[20:21], v[24:25]
	s_and_saveexec_b64 s[2:3], vcc
	s_cbranch_execz .LBB386_28
; %bb.27:
	v_lshlrev_b32_e32 v18, 8, v42
	v_mov_b32_e32 v19, 0
	v_lshl_add_u64 v[20:21], s[0:1], 0, v[18:19]
	v_lshlrev_b32_e32 v18, 1, v34
	v_lshl_add_u64 v[26:27], v[20:21], 0, v[18:19]
	global_load_dwordx4 v[22:25], v[26:27], off
	global_load_dwordx4 v[18:21], v[26:27], off offset:128
.LBB386_28:
	s_or_b64 exec, exec, s[2:3]
	s_mov_b32 s26, s24
	s_mov_b32 s27, s24
	;; [unrolled: 1-line block ×3, first 2 shown]
	v_mov_b64_e32 v[32:33], s[26:27]
	v_mov_b64_e32 v[30:31], s[24:25]
	;; [unrolled: 1-line block ×3, first 2 shown]
	v_cmp_gt_i32_e32 vcc, s44, v36
	v_lshlrev_b32_e32 v37, 7, v36
	v_mov_b64_e32 v[28:29], v[32:33]
	s_and_saveexec_b64 s[2:3], vcc
	s_cbranch_execz .LBB386_30
; %bb.29:
	v_lshlrev_b32_e32 v26, 1, v37
	v_mov_b32_e32 v27, 0
	v_lshl_add_u64 v[28:29], s[0:1], 0, v[26:27]
	v_lshlrev_b32_e32 v26, 1, v34
	v_lshl_add_u64 v[40:41], v[28:29], 0, v[26:27]
	global_load_dwordx4 v[30:33], v[40:41], off
	global_load_dwordx4 v[26:29], v[40:41], off offset:128
.LBB386_30:
	s_or_b64 exec, exec, s[2:3]
	v_lshrrev_b32_e32 v39, 3, v34
	v_lshlrev_b32_e32 v40, 3, v42
	v_or_b32_e32 v39, v40, v39
	v_lshlrev_b32_e32 v39, 4, v39
	v_and_b32_e32 v40, 0x78, v40
	v_xor_b32_e32 v39, v39, v40
	s_branch .LBB386_33
.LBB386_31:
                                        ; implicit-def: $vgpr39
                                        ; implicit-def: $vgpr37
                                        ; implicit-def: $vgpr22_vgpr23_vgpr24_vgpr25
                                        ; implicit-def: $vgpr18_vgpr19_vgpr20_vgpr21
                                        ; implicit-def: $vgpr30_vgpr31_vgpr32_vgpr33
                                        ; implicit-def: $vgpr26_vgpr27_vgpr28_vgpr29
	s_cbranch_execz .LBB386_33
; %bb.32:
	s_waitcnt vmcnt(0)
	v_lshlrev_b32_e32 v18, 1, v34
	v_lshl_or_b32 v37, v42, 8, v18
	s_and_b32 s1, s1, 0xffff
	s_mov_b32 s3, 0x20000
	s_movk_i32 s2, 0x4000
	v_lshl_or_b32 v39, v36, 8, v18
	s_movk_i32 s16, 0x80
	buffer_load_dwordx4 v[22:25], v37, s[0:3], 0 offen
	buffer_load_dwordx4 v[18:21], v37, s[0:3], s16 offen
	;; [unrolled: 1-line block ×4, first 2 shown]
	v_lshrrev_b32_e32 v37, 3, v34
	v_lshlrev_b32_e32 v39, 3, v42
	v_or_b32_e32 v37, v39, v37
	v_lshlrev_b32_e32 v37, 4, v37
	v_and_b32_e32 v39, 0x78, v39
	v_xor_b32_e32 v39, v37, v39
	v_lshlrev_b32_e32 v37, 7, v36
.LBB386_33:
	s_lshl_b64 s[0:1], s[42:43], 8
	s_add_u32 s4, s4, s0
	s_movk_i32 s0, 0x1000
	v_and_or_b32 v36, v37, s0, v39
	s_waitcnt vmcnt(1)
	ds_write_b64 v39, v[22:23] offset:24576
	v_xor_b32_e32 v22, 8, v39
	ds_write_b64 v22, v[24:25] offset:24576
	s_waitcnt vmcnt(0)
	ds_write_b64 v39, v[18:19] offset:32768
	ds_write_b64 v22, v[20:21] offset:32768
	;; [unrolled: 1-line block ×3, first 2 shown]
	v_xor_b32_e32 v18, 8, v36
	ds_write_b64 v18, v[32:33] offset:24576
	ds_write_b64 v36, v[26:27] offset:32768
	;; [unrolled: 1-line block ×3, first 2 shown]
	v_or_b32_e32 v18, v61, v77
	v_lshlrev_b32_e32 v18, 3, v18
	v_lshrrev_b32_e32 v19, 5, v63
	s_movk_i32 s2, 0xf8
	v_and_or_b32 v19, v18, s2, v19
	v_lshlrev_b32_e32 v23, 4, v19
	v_lshlrev_b32_e32 v39, 11, v1
	v_and_b32_e32 v24, 0x78, v18
	v_or_b32_e32 v26, 32, v23
	v_and_b32_e32 v22, 0x1000, v39
	v_lshrrev_b32_e32 v19, 1, v63
	v_xor_b32_e32 v26, v26, v24
	v_xor_b32_e32 v18, v23, v24
	v_and_b32_e32 v25, 8, v19
	v_or_b32_e32 v26, v26, v22
	v_or_b32_e32 v18, v18, v22
	v_xor_b32_e32 v44, v26, v25
	v_or_b32_e32 v26, 64, v23
	v_xor_b32_e32 v43, v18, v25
	v_xor_b32_e32 v26, v26, v24
	s_waitcnt lgkmcnt(0)
	s_barrier
	v_or_b32_e32 v28, v26, v22
	ds_read_b64 v[26:27], v43 offset:24576
	v_lshl_or_b32 v36, v76, 7, v38
	v_lshlrev_b32_e32 v40, 1, v36
	v_add_u32_e32 v18, 0xa000, v40
	ds_read2_b64 v[18:21], v18 offset1:16
	v_or_b32_e32 v23, 0x60, v23
	v_xor_b32_e32 v23, v23, v24
	s_waitcnt lgkmcnt(0)
	v_mfma_f32_16x16x16_bf16 a[0:3], v[26:27], v[18:19], 0
	v_or_b32_e32 v18, 64, v36
	v_or_b32_e32 v22, v23, v22
	v_lshlrev_b32_e32 v41, 1, v18
	v_xor_b32_e32 v45, v28, v25
	v_xor_b32_e32 v46, v22, v25
	ds_read_b64 v[28:29], v44 offset:24576
	ds_read_b64 v[30:31], v45 offset:24576
	;; [unrolled: 1-line block ×3, first 2 shown]
	v_mfma_f32_16x16x16_bf16 a[4:7], v[26:27], v[20:21], 0
	ds_read2st64_b64 v[18:21], v41 offset0:82 offset1:84
	ds_read2st64_b64 v[22:25], v40 offset0:82 offset1:84
	s_addc_u32 s5, s5, s1
	s_add_i32 s0, s49, s47
	s_add_i32 s16, s35, -1
	s_add_i32 s37, s0, s50
	s_add_i32 s0, s51, s48
	;; [unrolled: 1-line block ×3, first 2 shown]
	s_ashr_i32 s0, s16, 31
	s_mul_i32 s1, s16, s23
	s_mul_hi_u32 s2, s16, s22
	s_add_i32 s1, s2, s1
	s_mul_i32 s0, s0, s22
	s_waitcnt lgkmcnt(1)
	v_mfma_f32_16x16x16_bf16 a[4:7], v[28:29], v[18:19], a[4:7]
	s_add_i32 s1, s1, s0
	s_lshl_b64 s[2:3], s[36:37], 2
	s_add_u32 s10, s10, s2
	s_waitcnt lgkmcnt(0)
	v_mfma_f32_16x16x16_bf16 a[0:3], v[28:29], v[22:23], a[0:3]
	s_addc_u32 s11, s11, s3
	s_lshl_b64 s[2:3], s[38:39], 2
	s_mul_i32 s0, s16, s22
	s_add_u32 s10, s10, s2
	ds_read_b64 v[18:19], v40 offset:44032
	v_mfma_f32_16x16x16_bf16 a[4:7], v[30:31], v[20:21], a[4:7]
	ds_read_b64 v[20:21], v41 offset:44032
	s_addc_u32 s11, s11, s3
	s_lshl_b64 s[0:1], s[0:1], 2
	v_mfma_f32_16x16x16_bf16 a[0:3], v[30:31], v[24:25], a[0:3]
	s_add_u32 s0, s10, s0
	s_addc_u32 s1, s11, s1
	s_load_dword s18, s[0:1], 0x0
	s_waitcnt lgkmcnt(0)
	v_mfma_f32_16x16x16_bf16 a[0:3], v[32:33], v[18:19], a[0:3]
	s_and_b64 vcc, exec, s[30:31]
	v_mfma_f32_16x16x16_bf16 a[4:7], v[32:33], v[20:21], a[4:7]
	s_cbranch_vccz .LBB386_44
; %bb.34:
	v_lshlrev_b32_e32 v36, 1, v42
	s_and_b64 vcc, exec, s[6:7]
	s_cbranch_vccz .LBB386_45
; %bb.35:
	v_cmp_gt_i32_e32 vcc, s44, v36
	v_mov_b32_e32 v22, 0
	v_mov_b32_e32 v18, 0
	v_mov_b32_e32 v19, 0
	v_mov_b32_e32 v20, 0
	v_mov_b32_e32 v21, 0
	s_and_saveexec_b64 s[0:1], vcc
	s_cbranch_execz .LBB386_37
; %bb.36:
	v_mad_i64_i32 v[18:19], s[2:3], s19, v36, 0
	v_lshl_add_u64 v[18:19], v[18:19], 1, s[4:5]
	v_lshlrev_b32_e32 v20, 1, v34
	v_mov_b32_e32 v21, 0
	v_lshl_add_u64 v[18:19], v[18:19], 0, v[20:21]
	global_load_dwordx4 v[18:21], v[18:19], off
.LBB386_37:
	s_or_b64 exec, exec, s[0:1]
	v_or_b32_e32 v37, 1, v36
	v_cmp_gt_i32_e64 s[0:1], s44, v37
	v_mov_b32_e32 v23, 0
	v_mov_b32_e32 v24, 0
	;; [unrolled: 1-line block ×3, first 2 shown]
	s_and_saveexec_b64 s[2:3], s[0:1]
	s_cbranch_execz .LBB386_39
; %bb.38:
	v_mad_i64_i32 v[22:23], s[24:25], s19, v37, 0
	v_lshl_add_u64 v[22:23], v[22:23], 1, s[4:5]
	v_lshlrev_b32_e32 v24, 1, v34
	v_mov_b32_e32 v25, 0
	v_lshl_add_u64 v[22:23], v[22:23], 0, v[24:25]
	global_load_dwordx4 v[22:25], v[22:23], off
.LBB386_39:
	s_or_b64 exec, exec, s[2:3]
	v_mov_b32_e32 v33, 0
	v_mov_b32_e32 v26, 0
	;; [unrolled: 1-line block ×5, first 2 shown]
	s_and_saveexec_b64 s[2:3], vcc
	s_cbranch_execz .LBB386_41
; %bb.40:
	v_mad_i64_i32 v[26:27], s[24:25], s19, v36, 0
	v_lshl_add_u64 v[26:27], v[26:27], 1, s[4:5]
	v_lshlrev_b32_e32 v28, 1, v34
	v_mov_b32_e32 v29, 0
	v_lshl_add_u64 v[26:27], v[26:27], 0, v[28:29]
	global_load_dwordx4 v[26:29], v[26:27], off offset:128
.LBB386_41:
	s_or_b64 exec, exec, s[2:3]
	v_mov_b32_e32 v32, 0
	v_mov_b32_e32 v31, 0
	;; [unrolled: 1-line block ×3, first 2 shown]
	s_and_saveexec_b64 s[2:3], s[0:1]
	s_cbranch_execz .LBB386_43
; %bb.42:
	v_mad_i64_i32 v[30:31], s[0:1], s19, v37, 0
	v_lshl_add_u64 v[30:31], v[30:31], 1, s[4:5]
	v_lshlrev_b32_e32 v32, 1, v34
	v_mov_b32_e32 v33, 0
	v_lshl_add_u64 v[30:31], v[30:31], 0, v[32:33]
	global_load_dwordx4 v[30:33], v[30:31], off offset:128
.LBB386_43:
	s_or_b64 exec, exec, s[2:3]
	s_branch .LBB386_47
.LBB386_44:
                                        ; implicit-def: $vgpr21
                                        ; implicit-def: $vgpr25
                                        ; implicit-def: $vgpr29
                                        ; implicit-def: $vgpr33
	v_lshrrev_b32_e32 v47, 2, v63
	s_branch .LBB386_48
.LBB386_45:
                                        ; implicit-def: $vgpr21
                                        ; implicit-def: $vgpr25
                                        ; implicit-def: $vgpr29
                                        ; implicit-def: $vgpr33
	s_cbranch_execz .LBB386_47
; %bb.46:
	s_waitcnt vmcnt(0)
	v_mad_u64_u32 v[18:19], s[0:1], v36, s19, v[34:35]
	v_lshlrev_b32_e32 v36, 1, v18
	s_lshl_b32 s2, s19, 7
	s_and_b32 s1, s5, 0xffff
	s_mov_b32 s3, 0x20000
	s_mov_b32 s0, s4
	v_add_lshl_u32 v37, v18, s19, 1
	s_movk_i32 s19, 0x80
	buffer_load_dwordx4 v[18:21], v36, s[0:3], 0 offen
	buffer_load_dwordx4 v[26:29], v36, s[0:3], s19 offen
	;; [unrolled: 1-line block ×4, first 2 shown]
.LBB386_47:
	v_lshrrev_b32_e32 v47, 2, v63
	s_cbranch_execnz .LBB386_60
.LBB386_48:
	s_and_b64 vcc, exec, s[6:7]
	s_cbranch_vccz .LBB386_58
; %bb.49:
	s_waitcnt vmcnt(0)
	v_lshlrev_b32_e32 v23, 1, v42
	v_cmp_gt_i32_e32 vcc, s44, v23
	v_mov_b32_e32 v22, 0
	v_lshlrev_b32_e32 v30, 9, v42
	v_mov_b32_e32 v18, 0
	v_mov_b32_e32 v19, 0
	;; [unrolled: 1-line block ×4, first 2 shown]
	s_and_saveexec_b64 s[0:1], vcc
	s_cbranch_execz .LBB386_51
; %bb.50:
	v_mov_b32_e32 v31, 0
	v_lshl_add_u64 v[18:19], s[4:5], 0, v[30:31]
	v_lshlrev_b32_e32 v20, 1, v34
	v_mov_b32_e32 v21, v31
	v_lshl_add_u64 v[18:19], v[18:19], 0, v[20:21]
	global_load_dwordx4 v[18:21], v[18:19], off
.LBB386_51:
	s_or_b64 exec, exec, s[0:1]
	v_or_b32_e32 v23, 1, v23
	v_cmp_gt_i32_e64 s[0:1], s44, v23
	v_lshlrev_b32_e32 v36, 8, v23
	v_mov_b32_e32 v23, 0
	v_mov_b32_e32 v24, 0
	;; [unrolled: 1-line block ×3, first 2 shown]
	s_and_saveexec_b64 s[2:3], s[0:1]
	s_cbranch_execz .LBB386_53
; %bb.52:
	v_mov_b32_e32 v37, 0
	v_lshl_add_u64 v[22:23], s[4:5], 0, v[36:37]
	v_lshlrev_b32_e32 v24, 1, v34
	v_mov_b32_e32 v25, v37
	v_lshl_add_u64 v[22:23], v[22:23], 0, v[24:25]
	global_load_dwordx4 v[22:25], v[22:23], off
.LBB386_53:
	s_or_b64 exec, exec, s[2:3]
	v_mov_b32_e32 v33, 0
	v_mov_b32_e32 v26, 0
	;; [unrolled: 1-line block ×5, first 2 shown]
	s_and_saveexec_b64 s[2:3], vcc
	s_cbranch_execz .LBB386_55
; %bb.54:
	v_mov_b32_e32 v31, 0
	v_lshl_add_u64 v[26:27], s[4:5], 0, v[30:31]
	v_lshlrev_b32_e32 v30, 1, v34
	v_lshl_add_u64 v[26:27], v[26:27], 0, v[30:31]
	global_load_dwordx4 v[26:29], v[26:27], off offset:128
.LBB386_55:
	s_or_b64 exec, exec, s[2:3]
	v_mov_b32_e32 v32, 0
	v_mov_b32_e32 v31, 0
	;; [unrolled: 1-line block ×3, first 2 shown]
	s_and_saveexec_b64 s[2:3], s[0:1]
	s_cbranch_execz .LBB386_57
; %bb.56:
	v_mov_b32_e32 v37, 0
	v_lshl_add_u64 v[30:31], s[4:5], 0, v[36:37]
	v_lshlrev_b32_e32 v36, 1, v34
	v_lshl_add_u64 v[30:31], v[30:31], 0, v[36:37]
	global_load_dwordx4 v[30:33], v[30:31], off offset:128
.LBB386_57:
	s_or_b64 exec, exec, s[2:3]
	s_branch .LBB386_60
.LBB386_58:
                                        ; implicit-def: $vgpr21
                                        ; implicit-def: $vgpr25
                                        ; implicit-def: $vgpr29
                                        ; implicit-def: $vgpr33
	s_cbranch_execz .LBB386_60
; %bb.59:
	s_waitcnt vmcnt(0)
	v_lshlrev_b32_e32 v18, 1, v34
	v_lshl_or_b32 v34, v42, 9, v18
	s_and_b32 s5, s5, 0xffff
	s_mov_b32 s7, 0x20000
	s_movk_i32 s6, 0x4000
	s_movk_i32 s0, 0x80
	buffer_load_dwordx4 v[18:21], v34, s[4:7], 0 offen
	buffer_load_dwordx4 v[22:25], v34, s[4:7], 0 offen offset:256
	buffer_load_dwordx4 v[26:29], v34, s[4:7], s0 offen
	buffer_load_dwordx4 v[30:33], v34, s[4:7], s0 offen offset:256
.LBB386_60:
	ds_read_b64 v[36:37], v43 offset:32768
	v_add_u32_e32 v34, 0xb000, v40
	ds_read2_b64 v[48:51], v34 offset1:16
	ds_read_b64 v[56:57], v44 offset:32768
	ds_read_b64 v[44:45], v45 offset:32768
	;; [unrolled: 1-line block ×3, first 2 shown]
	ds_read2st64_b64 v[52:55], v41 offset0:90 offset1:92
	v_and_b32_e32 v43, 6, v0
	v_and_b32_e32 v34, 12, v47
	v_xor_b32_e32 v42, v42, v43
	v_lshlrev_b32_e32 v42, 2, v42
	s_mov_b32 s0, 0x1000504
	s_waitcnt lgkmcnt(4)
	v_mfma_f32_16x16x16_bf16 a[0:3], v[36:37], v[48:49], a[0:3]
	s_mov_b32 s1, 0x3020706
	v_mfma_f32_16x16x16_bf16 a[4:7], v[36:37], v[50:51], a[4:7]
	ds_read2st64_b64 v[48:51], v40 offset0:90 offset1:92
	ds_read_b64 v[36:37], v40 offset:48128
	ds_read_b64 v[46:47], v41 offset:48128
	s_waitcnt lgkmcnt(2)
	v_mfma_f32_16x16x16_bf16 a[0:3], v[56:57], v[48:49], a[0:3]
	v_and_b32_e32 v48, 1, v0
	v_xor_b32_e32 v49, 0x440, v42
	v_cmp_eq_u32_e32 vcc, 0, v48
	v_mfma_f32_16x16x16_bf16 a[4:7], v[56:57], v[52:53], a[4:7]
	s_nop 0
	v_cndmask_b32_e32 v42, v49, v42, vcc
	v_lshl_or_b32 v42, v43, 10, v42
	v_mfma_f32_16x16x16_bf16 a[0:3], v[44:45], v[50:51], a[0:3]
	v_mfma_f32_16x16x16_bf16 a[8:11], v[44:45], v[54:55], a[4:7]
	s_waitcnt lgkmcnt(1)
	v_mfma_f32_16x16x16_bf16 a[4:7], v[58:59], v[36:37], a[0:3]
	s_waitcnt vmcnt(0)
	v_perm_b32 v36, v18, v22, s0
	v_perm_b32 v37, v26, v30, s0
	ds_write2st64_b32 v42, v36, v37 offset0:32 offset1:64
	v_xor_b32_e32 v36, 8, v42
	v_perm_b32 v18, v18, v22, s1
	v_perm_b32 v22, v26, v30, s1
	v_add_u32_e32 v26, 0x80, v36
	ds_write2st64_b32 v26, v18, v22 offset0:32 offset1:64
	v_xor_b32_e32 v18, 16, v42
	v_perm_b32 v22, v19, v23, s0
	v_perm_b32 v26, v27, v31, s0
	ds_write2st64_b32 v18, v22, v26 offset0:33 offset1:65
	v_xor_b32_e32 v18, 24, v42
	v_perm_b32 v19, v19, v23, s1
	v_perm_b32 v22, v27, v31, s1
	v_add_u32_e32 v18, 0x80, v18
	ds_write2st64_b32 v18, v19, v22 offset0:33 offset1:65
	v_xor_b32_e32 v18, 32, v42
	v_perm_b32 v19, v20, v24, s0
	v_perm_b32 v22, v28, v32, s0
	ds_write2st64_b32 v18, v19, v22 offset0:34 offset1:66
	v_xor_b32_e32 v18, 40, v42
	s_waitcnt lgkmcnt(5)
	v_mfma_f32_16x16x16_bf16 a[0:3], v[58:59], v[46:47], a[8:11]
	v_perm_b32 v19, v20, v24, s1
	v_perm_b32 v20, v28, v32, s1
	v_add_u32_e32 v18, 0x80, v18
	ds_write2st64_b32 v18, v19, v20 offset0:34 offset1:66
	v_xor_b32_e32 v18, 48, v42
	v_perm_b32 v19, v21, v25, s0
	v_perm_b32 v20, v29, v33, s0
	ds_write2st64_b32 v18, v19, v20 offset0:35 offset1:67
	v_xor_b32_e32 v18, 56, v42
	v_or_b32_e32 v32, v34, v61
	v_perm_b32 v19, v21, v25, s1
	v_perm_b32 v20, v29, v33, s1
	v_add_u32_e32 v18, 0x80, v18
	v_cmp_gt_i32_e32 vcc, s44, v32
	v_mov_b32_e32 v33, 0
	v_mov_b32_e32 v37, 0
	ds_write2st64_b32 v18, v19, v20 offset0:35 offset1:67
	s_and_saveexec_b64 s[0:1], vcc
	s_cbranch_execz .LBB386_62
; %bb.61:
	v_add_u32_e32 v18, s34, v32
	v_ashrrev_i32_e32 v19, 31, v18
	v_mul_lo_u32 v20, v19, s22
	v_mul_lo_u32 v21, v18, s23
	v_mad_u64_u32 v[18:19], s[2:3], v18, s22, 0
	v_add3_u32 v19, v19, v21, v20
	v_lshl_add_u64 v[18:19], v[18:19], 2, s[10:11]
	global_load_dword v18, v[18:19], off
	s_waitcnt vmcnt(0)
	v_sub_f32_e32 v18, s18, v18
	v_exp_f32_e32 v37, v18
.LBB386_62:
	s_or_b64 exec, exec, s[0:1]
	v_or_b32_e32 v26, 1, v32
	v_cmp_gt_i32_e64 s[0:1], s44, v26
	s_and_saveexec_b64 s[2:3], s[0:1]
	s_cbranch_execz .LBB386_64
; %bb.63:
	v_add_u32_e32 v18, s34, v26
	v_ashrrev_i32_e32 v19, 31, v18
	v_mul_lo_u32 v20, v19, s22
	v_mul_lo_u32 v21, v18, s23
	v_mad_u64_u32 v[18:19], s[4:5], v18, s22, 0
	v_add3_u32 v19, v19, v21, v20
	v_lshl_add_u64 v[18:19], v[18:19], 2, s[10:11]
	global_load_dword v18, v[18:19], off
	s_waitcnt vmcnt(0)
	v_sub_f32_e32 v18, s18, v18
	v_exp_f32_e32 v33, v18
.LBB386_64:
	s_or_b64 exec, exec, s[2:3]
	v_or_b32_e32 v27, 2, v32
	v_cmp_gt_i32_e64 s[2:3], s44, v27
	v_mov_b32_e32 v36, 0
	v_mov_b32_e32 v42, 0
	s_and_saveexec_b64 s[4:5], s[2:3]
	s_cbranch_execz .LBB386_66
; %bb.65:
	v_add_u32_e32 v18, s34, v27
	v_ashrrev_i32_e32 v19, 31, v18
	v_mul_lo_u32 v20, v19, s22
	v_mul_lo_u32 v21, v18, s23
	v_mad_u64_u32 v[18:19], s[6:7], v18, s22, 0
	v_add3_u32 v19, v19, v21, v20
	v_lshl_add_u64 v[18:19], v[18:19], 2, s[10:11]
	global_load_dword v18, v[18:19], off
	s_waitcnt vmcnt(0)
	v_sub_f32_e32 v18, s18, v18
	v_exp_f32_e32 v42, v18
.LBB386_66:
	s_or_b64 exec, exec, s[4:5]
	v_or_b32_e32 v43, 3, v32
	v_cmp_gt_i32_e64 s[4:5], s44, v43
	s_and_saveexec_b64 s[6:7], s[4:5]
	s_cbranch_execz .LBB386_68
; %bb.67:
	v_add_u32_e32 v18, s34, v43
	v_ashrrev_i32_e32 v19, 31, v18
	v_mul_lo_u32 v20, v19, s22
	v_mul_lo_u32 v21, v18, s23
	v_mad_u64_u32 v[18:19], s[22:23], v18, s22, 0
	v_add3_u32 v19, v19, v21, v20
	v_lshl_add_u64 v[18:19], v[18:19], 2, s[10:11]
	global_load_dword v18, v[18:19], off
	s_waitcnt vmcnt(0)
	v_sub_f32_e32 v18, s18, v18
	v_exp_f32_e32 v36, v18
.LBB386_68:
	s_or_b64 exec, exec, s[6:7]
	s_add_u32 s6, s8, s28
	v_accvgpr_read_b32 v21, a7
	s_addc_u32 s7, s9, s29
	v_ashrrev_i32_e32 v69, 31, v68
	v_accvgpr_read_b32 v20, a6
	v_accvgpr_read_b32 v19, a5
	;; [unrolled: 1-line block ×3, first 2 shown]
	v_lshl_add_u64 v[22:23], v[68:69], 1, s[6:7]
	v_mov_b32_e32 v29, 0
	v_lshlrev_b32_e32 v24, 8, v32
	v_mov_b32_e32 v25, 0
	s_and_saveexec_b64 s[6:7], vcc
	s_cbranch_execz .LBB386_70
; %bb.69:
	v_mov_b32_e32 v25, 0
	v_lshl_add_u64 v[30:31], v[22:23], 0, v[24:25]
	global_load_ushort v25, v[30:31], off
	s_waitcnt vmcnt(0)
	v_lshlrev_b32_e32 v25, 16, v25
	v_sub_f32_e32 v18, v25, v18
	v_mul_f32_e32 v18, v37, v18
	v_lshrrev_b32_e32 v25, 16, v18
.LBB386_70:
	s_or_b64 exec, exec, s[6:7]
	v_lshlrev_b32_e32 v28, 8, v26
	s_and_saveexec_b64 s[6:7], s[0:1]
	s_cbranch_execz .LBB386_72
; %bb.71:
	v_mov_b32_e32 v29, 0
	v_lshl_add_u64 v[30:31], v[22:23], 0, v[28:29]
	global_load_ushort v18, v[30:31], off
	s_waitcnt vmcnt(0)
	v_lshlrev_b32_e32 v18, 16, v18
	v_sub_f32_e32 v18, v18, v19
	v_mul_f32_e32 v18, v33, v18
	v_lshrrev_b32_e32 v29, 16, v18
.LBB386_72:
	s_or_b64 exec, exec, s[6:7]
	v_mov_b32_e32 v44, 0
	v_lshlrev_b32_e32 v30, 8, v27
	v_mov_b32_e32 v31, 0
	s_and_saveexec_b64 s[6:7], s[2:3]
	s_cbranch_execz .LBB386_74
; %bb.73:
	v_mov_b32_e32 v31, 0
	v_lshl_add_u64 v[18:19], v[22:23], 0, v[30:31]
	global_load_ushort v18, v[18:19], off
	s_waitcnt vmcnt(0)
	v_lshlrev_b32_e32 v18, 16, v18
	v_sub_f32_e32 v18, v18, v20
	v_mul_f32_e32 v18, v42, v18
	v_lshrrev_b32_e32 v31, 16, v18
.LBB386_74:
	s_or_b64 exec, exec, s[6:7]
	v_lshlrev_b32_e32 v26, 8, v43
	s_and_saveexec_b64 s[6:7], s[4:5]
	s_cbranch_execz .LBB386_76
; %bb.75:
	v_mov_b32_e32 v27, 0
	v_lshl_add_u64 v[18:19], v[22:23], 0, v[26:27]
	global_load_ushort v18, v[18:19], off
	s_waitcnt vmcnt(0)
	v_lshlrev_b32_e32 v18, 16, v18
	v_sub_f32_e32 v18, v18, v21
	v_mul_f32_e32 v18, v36, v18
	v_lshrrev_b32_e32 v44, 16, v18
.LBB386_76:
	s_or_b64 exec, exec, s[6:7]
	v_lshlrev_b32_e32 v43, 5, v32
	s_mov_b32 s6, 0x5040100
	v_perm_b32 v45, v44, v31, s6
	v_perm_b32 v44, v29, v25, s6
	v_or_b32_e32 v25, v43, v38
	v_accvgpr_read_b32 v21, a3
	v_lshlrev_b32_e32 v25, 1, v25
	v_accvgpr_read_b32 v20, a2
	v_accvgpr_read_b32 v19, a1
	;; [unrolled: 1-line block ×3, first 2 shown]
	ds_write_b64 v25, v[44:45] offset:45056
	v_mov_b32_e32 v29, 0
	v_mov_b32_e32 v25, 0
	s_and_saveexec_b64 s[6:7], vcc
	s_cbranch_execz .LBB386_78
; %bb.77:
	v_mov_b32_e32 v25, 0
	v_lshl_add_u64 v[24:25], v[22:23], 0, v[24:25]
	global_load_ushort v24, v[24:25], off offset:32
	s_waitcnt vmcnt(0)
	v_lshlrev_b32_e32 v24, 16, v24
	v_sub_f32_e32 v18, v24, v18
	v_mul_f32_e32 v18, v37, v18
	v_lshrrev_b32_e32 v25, 16, v18
.LBB386_78:
	s_or_b64 exec, exec, s[6:7]
	s_and_saveexec_b64 s[6:7], s[0:1]
	s_cbranch_execz .LBB386_80
; %bb.79:
	v_mov_b32_e32 v29, 0
	v_lshl_add_u64 v[28:29], v[22:23], 0, v[28:29]
	global_load_ushort v18, v[28:29], off offset:32
	s_waitcnt vmcnt(0)
	v_lshlrev_b32_e32 v18, 16, v18
	v_sub_f32_e32 v18, v18, v19
	v_mul_f32_e32 v18, v33, v18
	v_lshrrev_b32_e32 v29, 16, v18
.LBB386_80:
	s_or_b64 exec, exec, s[6:7]
	v_mov_b32_e32 v24, 0
	v_mov_b32_e32 v28, 0
	s_and_saveexec_b64 s[0:1], s[2:3]
	s_cbranch_execz .LBB386_82
; %bb.81:
	v_mov_b32_e32 v31, 0
	v_lshl_add_u64 v[18:19], v[22:23], 0, v[30:31]
	global_load_ushort v18, v[18:19], off offset:32
	s_waitcnt vmcnt(0)
	v_lshlrev_b32_e32 v18, 16, v18
	v_sub_f32_e32 v18, v18, v20
	v_mul_f32_e32 v18, v42, v18
	v_lshrrev_b32_e32 v28, 16, v18
.LBB386_82:
	s_or_b64 exec, exec, s[0:1]
	v_or_b32_e32 v19, 0xb000, v40
	v_or_b32_e32 v18, 0xb000, v41
	s_and_saveexec_b64 s[0:1], s[4:5]
	s_cbranch_execz .LBB386_84
; %bb.83:
	v_mov_b32_e32 v27, 0
	v_lshl_add_u64 v[22:23], v[22:23], 0, v[26:27]
	global_load_ushort v20, v[22:23], off offset:32
	s_waitcnt vmcnt(0)
	v_lshlrev_b32_e32 v20, 16, v20
	v_sub_f32_e32 v20, v20, v21
	v_mul_f32_e32 v20, v36, v20
	v_lshrrev_b32_e32 v24, 16, v20
.LBB386_84:
	s_or_b64 exec, exec, s[0:1]
	s_mov_b32 s0, 0x5040100
	v_or_b32_e32 v22, v43, v35
	v_perm_b32 v21, v24, v28, s0
	v_perm_b32 v20, v29, v25, s0
	v_lshlrev_b32_e32 v22, 1, v22
	s_movk_i32 s2, 0x100
	ds_write_b64 v22, v[20:21] offset:45056
	v_and_b32_e32 v20, 7, v0
	v_and_b32_e32 v21, 8, v0
	v_cmp_gt_u32_e32 vcc, s2, v0
	v_lshrrev_b32_e32 v0, 1, v0
	v_lshlrev_b32_e32 v26, 3, v20
	v_lshlrev_b32_e32 v47, 7, v20
	v_mov_b32_e32 v20, 0x4000
	v_mov_b32_e32 v22, 0x2000
	v_lshlrev_b32_e32 v24, 3, v1
	v_and_b32_e32 v0, 24, v0
	v_cndmask_b32_e32 v27, v20, v22, vcc
	v_xor_b32_e32 v20, v24, v0
	v_or_b32_e32 v22, 0x440, v20
	v_cmp_eq_u32_e32 vcc, 0, v21
	v_or_b32_e32 v28, 32, v0
	v_xor_b32_e32 v28, v24, v28
	v_cndmask_b32_e32 v20, v22, v20, vcc
	v_or_b32_e32 v20, v20, v39
	v_xor_b32_e32 v48, v20, v26
	v_or_b32_e32 v29, 0x440, v28
	v_add3_u32 v25, v27, v48, v47
	v_cndmask_b32_e32 v28, v29, v28, vcc
	v_or_b32_e32 v29, 64, v0
	v_or_b32_e32 v0, 0x60, v0
	s_waitcnt lgkmcnt(0)
	s_barrier
	v_xor_b32_e32 v29, v24, v29
	v_xor_b32_e32 v0, v24, v0
	ds_read_b64 v[24:25], v25
	v_xor_b32_e32 v30, 0x440, v29
	v_cndmask_b32_e32 v29, v30, v29, vcc
	v_xor_b32_e32 v30, 0x440, v0
	ds_read2_b64 v[20:23], v19 offset1:16
	v_cndmask_b32_e32 v0, v30, v0, vcc
	v_or_b32_e32 v28, v28, v39
	v_or_b32_e32 v29, v29, v39
	;; [unrolled: 1-line block ×3, first 2 shown]
	v_xor_b32_e32 v49, v28, v26
	v_xor_b32_e32 v50, v29, v26
	;; [unrolled: 1-line block ×3, first 2 shown]
	v_add3_u32 v28, v27, v49, v47
	v_add3_u32 v29, v27, v50, v47
	;; [unrolled: 1-line block ×3, first 2 shown]
	s_mul_i32 s0, s16, s17
	ds_read_b64 v[26:27], v28
	ds_read_b64 v[40:41], v29
	;; [unrolled: 1-line block ×3, first 2 shown]
	ds_read2st64_b64 v[28:31], v19 offset0:2 offset1:4
	s_mul_hi_i32 s1, s16, s17
	ds_read2st64_b64 v[36:39], v18 offset0:2 offset1:4
	s_add_u32 s0, s0, s33
	s_waitcnt lgkmcnt(5)
	v_mfma_f32_16x16x16_bf16 a[0:3], v[24:25], v[20:21], 0
	s_addc_u32 s1, s1, s46
	s_lshl_b64 s[0:1], s[0:1], 9
	s_add_u32 s0, s20, s0
	v_mfma_f32_16x16x16_bf16 a[4:7], v[24:25], v[22:23], 0
	s_addc_u32 s1, s21, s1
	v_lshlrev_b32_e32 v24, 2, v32
	v_lshlrev_b32_e32 v1, 6, v1
	s_waitcnt lgkmcnt(1)
	v_mfma_f32_16x16x16_bf16 a[0:3], v[26:27], v[28:29], a[0:3]
	v_add_u32_e32 v48, v48, v47
	v_exp_f32_e32 v46, s18
	v_add_u32_e32 v0, v0, v47
	s_waitcnt lgkmcnt(0)
	v_mfma_f32_16x16x16_bf16 a[4:7], v[26:27], v[36:37], a[4:7]
	global_load_dwordx4 v[24:27], v24, s[0:1]
	s_waitcnt vmcnt(0)
	v_exp_f32_e32 v26, v26
	v_mfma_f32_16x16x16_bf16 a[0:3], v[40:41], v[30:31], a[0:3]
	v_exp_f32_e32 v27, v27
	v_mfma_f32_16x16x16_bf16 a[4:7], v[40:41], v[38:39], a[4:7]
	ds_read_b64 v[40:41], v19 offset:3072
	ds_read_b64 v[44:45], v18 offset:3072
	v_lshlrev_b32_e32 v18, 2, v34
	v_or3_b32 v1, v1, v18, s2
	global_load_dwordx4 v[32:35], v1, s[0:1]
	v_exp_f32_e32 v18, v24
	v_exp_f32_e32 v19, v25
	ds_read_b64 v[24:25], v48 offset:16384
	s_waitcnt lgkmcnt(2)
	v_mfma_f32_16x16x16_bf16 a[0:3], v[42:43], v[40:41], a[0:3]
	v_add_u32_e32 v48, v50, v47
	v_pk_mul_f32 v[52:53], v[46:47], v[18:19] op_sel_hi:[0,1]
	s_waitcnt lgkmcnt(1)
	v_mfma_f32_16x16x16_bf16 a[4:7], v[42:43], v[44:45], a[4:7]
	v_add_u32_e32 v42, v49, v47
	ds_read_b64 v[42:43], v42 offset:16384
	ds_read_b64 v[48:49], v48 offset:16384
	;; [unrolled: 1-line block ×3, first 2 shown]
	v_accvgpr_read_b32 v19, a1
	s_waitcnt lgkmcnt(3)
	v_mfma_f32_16x16x16_bf16 a[8:11], v[24:25], v[20:21], 0
	v_accvgpr_read_b32 v1, a3
	v_accvgpr_read_b32 v0, a2
	;; [unrolled: 1-line block ×3, first 2 shown]
	v_mfma_f32_16x16x16_bf16 a[0:3], v[24:25], v[22:23], 0
	v_pk_fma_f32 v[18:19], v[2:3], v[52:53], v[18:19]
	v_pk_mul_f32 v[2:3], v[46:47], v[26:27] op_sel_hi:[0,1]
	v_pk_fma_f32 v[20:21], v[4:5], v[2:3], v[0:1]
	s_waitcnt lgkmcnt(2)
	v_mfma_f32_16x16x16_bf16 a[8:11], v[42:43], v[28:29], a[8:11]
	v_accvgpr_read_b32 v0, a4
	v_fma_f32 v26, v10, v52, v0
	v_accvgpr_read_b32 v0, a5
	v_mfma_f32_16x16x16_bf16 a[0:3], v[42:43], v[36:37], a[0:3]
	v_fma_f32 v27, v11, v53, v0
	v_accvgpr_read_b32 v0, a6
	v_fma_f32 v28, v12, v2, v0
	s_waitcnt lgkmcnt(1)
	v_mfma_f32_16x16x16_bf16 a[8:11], v[48:49], v[30:31], a[8:11]
	v_accvgpr_read_b32 v29, a7
	v_fmac_f32_e32 v29, v13, v3
	s_waitcnt vmcnt(0)
	v_mov_b32_e32 v0, v33
	v_mfma_f32_16x16x16_bf16 a[0:3], v[48:49], v[38:39], a[0:3]
	v_mov_b32_e32 v1, v34
	v_mov_b32_e32 v2, v35
	v_exp_f32_e32 v5, v0
	v_exp_f32_e32 v0, v1
	s_waitcnt lgkmcnt(0)
	v_mfma_f32_16x16x16_bf16 a[4:7], v[50:51], v[40:41], a[8:11]
	v_exp_f32_e32 v1, v2
	v_exp_f32_e32 v4, v32
	v_pk_mul_f32 v[0:1], v[46:47], v[0:1] op_sel_hi:[0,1]
	v_mfma_f32_16x16x16_bf16 a[0:3], v[50:51], v[44:45], a[0:3]
	v_pk_mul_f32 v[4:5], v[46:47], v[4:5] op_sel_hi:[0,1]
	s_nop 1
	v_accvgpr_read_b32 v3, a7
	v_accvgpr_read_b32 v2, a6
	v_pk_fma_f32 v[24:25], v[8:9], v[0:1], v[2:3]
	v_accvgpr_read_b32 v11, a5
	v_accvgpr_read_b32 v10, a4
	v_pk_fma_f32 v[22:23], v[6:7], v[4:5], v[10:11]
	v_accvgpr_read_b32 v2, a0
	v_fma_f32 v30, v14, v4, v2
	v_accvgpr_read_b32 v2, a1
	v_fma_f32 v31, v15, v5, v2
	v_accvgpr_read_b32 v2, a2
	v_accvgpr_read_b32 v33, a3
	v_fma_f32 v32, v16, v0, v2
	v_fmac_f32_e32 v33, v17, v1
	v_mov_b64_e32 v[2:3], v[18:19]
	v_mov_b64_e32 v[4:5], v[20:21]
	;; [unrolled: 1-line block ×8, first 2 shown]
.LBB386_85:
	s_add_u32 s0, s12, s14
	s_addc_u32 s1, s13, s15
	v_lshl_add_u64 v[0:1], v[66:67], 2, s[0:1]
	v_mov_b32_e32 v63, 0
	v_lshl_add_u64 v[0:1], v[0:1], 0, v[62:63]
	global_store_dwordx4 v[0:1], v[2:5], off
	global_store_dwordx4 v[0:1], v[6:9], off offset:256
	v_lshl_add_u64 v[0:1], v[64:65], 2, s[0:1]
	v_lshl_add_u64 v[0:1], v[0:1], 0, v[62:63]
	global_store_dwordx4 v[0:1], v[10:13], off
	global_store_dwordx4 v[0:1], v[14:17], off offset:256
	s_endpgm
	.section	.rodata,"a",@progbits
	.p2align	6, 0x0
	.amdhsa_kernel _ZN12_GLOBAL__N_139chunk_gated_delta_rule_fwd_h_hip_kernelILi32ELb1ELb1ELb0ELb1ELb1ELb1ELb1ELb0EEEvPK12hip_bfloat16S3_S3_PKfS5_PKvPS1_S8_PvPKiSB_iiiiilll
		.amdhsa_group_segment_fixed_size 49152
		.amdhsa_private_segment_fixed_size 0
		.amdhsa_kernarg_size 136
		.amdhsa_user_sgpr_count 2
		.amdhsa_user_sgpr_dispatch_ptr 0
		.amdhsa_user_sgpr_queue_ptr 0
		.amdhsa_user_sgpr_kernarg_segment_ptr 1
		.amdhsa_user_sgpr_dispatch_id 0
		.amdhsa_user_sgpr_kernarg_preload_length 0
		.amdhsa_user_sgpr_kernarg_preload_offset 0
		.amdhsa_user_sgpr_private_segment_size 0
		.amdhsa_uses_dynamic_stack 0
		.amdhsa_enable_private_segment 0
		.amdhsa_system_sgpr_workgroup_id_x 1
		.amdhsa_system_sgpr_workgroup_id_y 1
		.amdhsa_system_sgpr_workgroup_id_z 0
		.amdhsa_system_sgpr_workgroup_info 0
		.amdhsa_system_vgpr_workitem_id 0
		.amdhsa_next_free_vgpr 164
		.amdhsa_next_free_sgpr 66
		.amdhsa_accum_offset 144
		.amdhsa_reserve_vcc 1
		.amdhsa_float_round_mode_32 0
		.amdhsa_float_round_mode_16_64 0
		.amdhsa_float_denorm_mode_32 3
		.amdhsa_float_denorm_mode_16_64 3
		.amdhsa_dx10_clamp 1
		.amdhsa_ieee_mode 1
		.amdhsa_fp16_overflow 0
		.amdhsa_tg_split 0
		.amdhsa_exception_fp_ieee_invalid_op 0
		.amdhsa_exception_fp_denorm_src 0
		.amdhsa_exception_fp_ieee_div_zero 0
		.amdhsa_exception_fp_ieee_overflow 0
		.amdhsa_exception_fp_ieee_underflow 0
		.amdhsa_exception_fp_ieee_inexact 0
		.amdhsa_exception_int_div_zero 0
	.end_amdhsa_kernel
	.section	.text._ZN12_GLOBAL__N_139chunk_gated_delta_rule_fwd_h_hip_kernelILi32ELb1ELb1ELb0ELb1ELb1ELb1ELb1ELb0EEEvPK12hip_bfloat16S3_S3_PKfS5_PKvPS1_S8_PvPKiSB_iiiiilll,"axG",@progbits,_ZN12_GLOBAL__N_139chunk_gated_delta_rule_fwd_h_hip_kernelILi32ELb1ELb1ELb0ELb1ELb1ELb1ELb1ELb0EEEvPK12hip_bfloat16S3_S3_PKfS5_PKvPS1_S8_PvPKiSB_iiiiilll,comdat
.Lfunc_end386:
	.size	_ZN12_GLOBAL__N_139chunk_gated_delta_rule_fwd_h_hip_kernelILi32ELb1ELb1ELb0ELb1ELb1ELb1ELb1ELb0EEEvPK12hip_bfloat16S3_S3_PKfS5_PKvPS1_S8_PvPKiSB_iiiiilll, .Lfunc_end386-_ZN12_GLOBAL__N_139chunk_gated_delta_rule_fwd_h_hip_kernelILi32ELb1ELb1ELb0ELb1ELb1ELb1ELb1ELb0EEEvPK12hip_bfloat16S3_S3_PKfS5_PKvPS1_S8_PvPKiSB_iiiiilll
                                        ; -- End function
	.section	.AMDGPU.csdata,"",@progbits
; Kernel info:
; codeLenInByte = 9464
; NumSgprs: 72
; NumVgprs: 144
; NumAgprs: 20
; TotalNumVgprs: 164
; ScratchSize: 0
; MemoryBound: 0
; FloatMode: 240
; IeeeMode: 1
; LDSByteSize: 49152 bytes/workgroup (compile time only)
; SGPRBlocks: 8
; VGPRBlocks: 20
; NumSGPRsForWavesPerEU: 72
; NumVGPRsForWavesPerEU: 164
; AccumOffset: 144
; Occupancy: 1
; WaveLimiterHint : 1
; COMPUTE_PGM_RSRC2:SCRATCH_EN: 0
; COMPUTE_PGM_RSRC2:USER_SGPR: 2
; COMPUTE_PGM_RSRC2:TRAP_HANDLER: 0
; COMPUTE_PGM_RSRC2:TGID_X_EN: 1
; COMPUTE_PGM_RSRC2:TGID_Y_EN: 1
; COMPUTE_PGM_RSRC2:TGID_Z_EN: 0
; COMPUTE_PGM_RSRC2:TIDIG_COMP_CNT: 0
; COMPUTE_PGM_RSRC3_GFX90A:ACCUM_OFFSET: 35
; COMPUTE_PGM_RSRC3_GFX90A:TG_SPLIT: 0
	.section	.text._ZN12_GLOBAL__N_139chunk_gated_delta_rule_fwd_h_hip_kernelILi32ELb1ELb0ELb1ELb1ELb1ELb1ELb1ELb0EEEvPK12hip_bfloat16S3_S3_PKfS5_PKvPS1_S8_PvPKiSB_iiiiilll,"axG",@progbits,_ZN12_GLOBAL__N_139chunk_gated_delta_rule_fwd_h_hip_kernelILi32ELb1ELb0ELb1ELb1ELb1ELb1ELb1ELb0EEEvPK12hip_bfloat16S3_S3_PKfS5_PKvPS1_S8_PvPKiSB_iiiiilll,comdat
	.globl	_ZN12_GLOBAL__N_139chunk_gated_delta_rule_fwd_h_hip_kernelILi32ELb1ELb0ELb1ELb1ELb1ELb1ELb1ELb0EEEvPK12hip_bfloat16S3_S3_PKfS5_PKvPS1_S8_PvPKiSB_iiiiilll ; -- Begin function _ZN12_GLOBAL__N_139chunk_gated_delta_rule_fwd_h_hip_kernelILi32ELb1ELb0ELb1ELb1ELb1ELb1ELb1ELb0EEEvPK12hip_bfloat16S3_S3_PKfS5_PKvPS1_S8_PvPKiSB_iiiiilll
	.p2align	8
	.type	_ZN12_GLOBAL__N_139chunk_gated_delta_rule_fwd_h_hip_kernelILi32ELb1ELb0ELb1ELb1ELb1ELb1ELb1ELb0EEEvPK12hip_bfloat16S3_S3_PKfS5_PKvPS1_S8_PvPKiSB_iiiiilll,@function
_ZN12_GLOBAL__N_139chunk_gated_delta_rule_fwd_h_hip_kernelILi32ELb1ELb0ELb1ELb1ELb1ELb1ELb1ELb0EEEvPK12hip_bfloat16S3_S3_PKfS5_PKvPS1_S8_PvPKiSB_iiiiilll: ; @_ZN12_GLOBAL__N_139chunk_gated_delta_rule_fwd_h_hip_kernelILi32ELb1ELb0ELb1ELb1ELb1ELb1ELb1ELb0EEEvPK12hip_bfloat16S3_S3_PKfS5_PKvPS1_S8_PvPKiSB_iiiiilll
; %bb.0:
	s_load_dwordx4 s[12:15], s[0:1], 0x5c
	s_load_dwordx4 s[4:7], s[0:1], 0x48
	s_abs_i32 s9, s3
	s_ashr_i32 s8, s3, 31
	v_and_b32_e32 v74, 15, v0
	s_waitcnt lgkmcnt(0)
	s_abs_i32 s10, s13
	v_cvt_f32_u32_e32 v1, s10
	s_sub_i32 s16, 0, s10
	s_ashr_i32 s11, s13, 31
	s_xor_b32 s8, s8, s11
	v_rcp_iflag_f32_e32 v1, v1
	v_lshrrev_b32_e32 v72, 6, v0
	v_bfe_u32 v73, v0, 4, 2
	v_mov_b32_e32 v7, 0
	v_mul_f32_e32 v1, 0x4f7ffffe, v1
	v_cvt_u32_f32_e32 v1, v1
	v_and_b32_e32 v61, 63, v0
	v_lshrrev_b32_e32 v76, 3, v61
	v_lshlrev_b32_e32 v75, 3, v0
	v_readfirstlane_b32 s17, v1
	s_mul_i32 s16, s16, s17
	s_mul_hi_u32 s16, s17, s16
	s_add_i32 s17, s17, s16
	s_mul_hi_u32 s16, s9, s17
	s_mul_i32 s17, s16, s10
	s_sub_i32 s9, s9, s17
	s_add_i32 s18, s16, 1
	s_sub_i32 s17, s9, s10
	s_cmp_ge_u32 s9, s10
	s_cselect_b32 s16, s18, s16
	s_cselect_b32 s9, s17, s9
	s_add_i32 s17, s16, 1
	s_cmp_ge_u32 s9, s10
	s_cselect_b32 s9, s17, s16
	s_xor_b32 s9, s9, s8
	s_sub_i32 s20, s9, s8
	s_mul_i32 s24, s20, s13
	s_ashr_i32 s21, s20, 31
	s_sub_i32 s49, s3, s24
	s_lshl_b64 s[8:9], s[20:21], 2
	s_add_u32 s4, s4, s8
	s_addc_u32 s5, s5, s9
	s_add_u32 s22, s6, s8
	s_addc_u32 s23, s7, s9
	s_abs_i32 s3, s14
	v_cvt_f32_u32_e32 v1, s3
	s_load_dwordx2 s[34:35], s[4:5], 0x0
	s_lshl_b32 s40, s2, 5
	s_ashr_i32 s2, s14, 31
	v_rcp_iflag_f32_e32 v1, v1
	s_xor_b32 s2, s11, s2
	s_waitcnt lgkmcnt(0)
	s_sub_i32 s52, s35, s34
	s_ashr_i32 s4, s52, 31
	v_mul_f32_e32 v1, 0x4f7ffffe, v1
	v_cvt_u32_f32_e32 v1, v1
	s_lshr_b32 s4, s4, 26
	s_add_i32 s4, s52, s4
	s_ashr_i32 s50, s4, 6
	s_sub_i32 s4, 0, s3
	v_readfirstlane_b32 s5, v1
	s_mul_i32 s4, s4, s5
	s_mul_hi_u32 s4, s5, s4
	s_add_i32 s5, s5, s4
	s_mul_hi_u32 s4, s10, s5
	s_mul_i32 s5, s4, s3
	s_sub_i32 s5, s10, s5
	s_add_i32 s6, s4, 1
	s_sub_i32 s7, s5, s3
	s_cmp_ge_u32 s5, s3
	s_cselect_b32 s4, s6, s4
	s_cselect_b32 s5, s7, s5
	s_add_i32 s6, s4, 1
	s_cmp_ge_u32 s5, s3
	s_cselect_b32 s3, s6, s4
	s_xor_b32 s3, s3, s2
	s_sub_i32 s2, s3, s2
	s_abs_i32 s3, s2
	v_cvt_f32_u32_e32 v1, s3
	s_sub_i32 s5, 0, s3
	s_abs_i32 s4, s49
	s_xor_b32 s2, s49, s2
	v_rcp_iflag_f32_e32 v1, v1
	s_ashr_i32 s2, s2, 31
	s_load_dwordx4 s[16:19], s[0:1], 0x28
	s_load_dwordx2 s[28:29], s[0:1], 0x38
	v_or_b32_e32 v62, s40, v74
	v_mul_f32_e32 v1, 0x4f7ffffe, v1
	v_cvt_u32_f32_e32 v1, v1
	v_lshlrev_b32_e32 v2, 7, v62
	v_ashrrev_i32_e32 v3, 31, v2
	s_mul_hi_i32 s55, s49, s12
	v_readfirstlane_b32 s6, v1
	s_mul_i32 s5, s5, s6
	s_mul_hi_u32 s5, s6, s5
	s_add_i32 s6, s6, s5
	s_mul_hi_u32 s5, s4, s6
	s_mul_i32 s6, s5, s3
	s_sub_i32 s4, s4, s6
	s_add_i32 s6, s5, 1
	s_sub_i32 s7, s4, s3
	s_cmp_ge_u32 s4, s3
	s_cselect_b32 s5, s6, s5
	s_cselect_b32 s4, s7, s4
	s_add_i32 s6, s5, 1
	s_cmp_ge_u32 s4, s3
	s_cselect_b32 s3, s6, s5
	s_xor_b32 s3, s3, s2
	s_sub_i32 s53, s3, s2
	s_ashr_i32 s51, s49, 31
	s_mul_hi_i32 s3, s20, s13
	s_add_u32 s2, s24, s49
	s_addc_u32 s3, s3, s51
	s_lshl_b64 s[2:3], s[2:3], 16
	s_waitcnt lgkmcnt(0)
	s_add_u32 s2, s16, s2
	s_addc_u32 s3, s17, s3
	v_lshlrev_b32_e32 v1, 4, v72
	v_lshl_add_u64 v[4:5], v[2:3], 2, s[2:3]
	v_or_b32_e32 v2, 0x800, v2
	v_lshl_or_b32 v77, v73, 2, v1
	v_ashrrev_i32_e32 v3, 31, v2
	v_lshlrev_b32_e32 v6, 2, v77
	v_lshl_add_u64 v[2:3], v[2:3], 2, s[2:3]
	v_lshl_add_u64 v[4:5], v[4:5], 0, v[6:7]
	;; [unrolled: 1-line block ×3, first 2 shown]
	global_load_dwordx4 v[14:17], v[4:5], off
	global_load_dwordx4 v[10:13], v[4:5], off offset:256
	global_load_dwordx4 v[6:9], v[18:19], off
	s_nop 0
	global_load_dwordx4 v[2:5], v[18:19], off offset:256
	s_load_dwordx8 s[4:11], s[0:1], 0x0
	s_load_dwordx2 s[30:31], s[0:1], 0x80
	s_load_dwordx4 s[24:27], s[0:1], 0x70
	s_load_dword s54, s[22:23], 0x0
	v_or_b32_e32 v78, 64, v77
	s_cmp_lt_i32 s52, 64
	s_mul_i32 s56, s49, s12
	s_waitcnt lgkmcnt(0)
	s_mul_i32 s33, s20, s25
	s_mul_hi_u32 s45, s20, s24
	s_mul_i32 s46, s21, s24
	s_mul_i32 s36, s20, s24
	;; [unrolled: 1-line block ×3, first 2 shown]
	s_mul_hi_u32 s47, s49, s26
	s_mul_i32 s48, s51, s26
	s_mul_i32 s38, s49, s26
	s_cbranch_scc1 .LBB387_3
; %bb.1:
	s_ashr_i32 s3, s34, 31
	s_add_u32 s2, s56, s34
	s_addc_u32 s3, s55, s3
	s_lshl_b64 s[2:3], s[2:3], 8
	v_and_b32_e32 v80, 56, v75
	s_add_u32 s20, s6, s2
	v_lshl_or_b32 v79, v72, 3, v76
	v_lshlrev_b32_e32 v18, 1, v80
	s_addc_u32 s2, s7, s3
	v_lshl_or_b32 v81, v79, 8, v18
	s_and_b32 s21, s2, 0xffff
	s_mov_b32 s23, 0x20000
	s_movk_i32 s22, 0x4000
	s_movk_i32 s2, 0x80
	v_or_b32_e32 v82, 0x2000, v81
	buffer_load_dwordx4 v[20:23], v81, s[20:23], 0 offen
	buffer_load_dwordx4 v[24:27], v81, s[20:23], s2 offen
	;; [unrolled: 1-line block ×4, first 2 shown]
	v_lshlrev_b32_e32 v19, 3, v79
	v_and_or_b32 v37, v0, 7, v19
	v_and_b32_e32 v19, 0x78, v19
	v_lshlrev_b32_e32 v37, 4, v37
	v_xor_b32_e32 v83, v37, v19
	v_mul_lo_u32 v36, v79, s15
	v_or_b32_e32 v84, 0x1000, v83
	v_xor_b32_e32 v19, 8, v83
	s_cmpk_eq_i32 s15, 0x80
	s_mov_b32 s57, s34
	v_xor_b32_e32 v37, 8, v84
	s_cselect_b64 s[2:3], -1, 0
	s_cmpk_lg_i32 s15, 0x80
	s_waitcnt vmcnt(3)
	ds_write_b64 v83, v[20:21] offset:24576
	ds_write_b64 v19, v[22:23] offset:24576
	s_waitcnt vmcnt(2)
	ds_write_b64 v83, v[24:25] offset:32768
	ds_write_b64 v19, v[26:27] offset:32768
	;; [unrolled: 3-line block ×4, first 2 shown]
	v_lshl_add_u32 v19, v36, 1, v80
	s_cbranch_scc0 .LBB387_29
; %bb.2:
	v_lshlrev_b32_e32 v21, 1, v19
	v_add_lshl_u32 v20, v19, s15, 1
	s_lshl_b32 s22, s15, 7
	s_load_dwordx2 s[16:17], s[0:1], 0x20
	v_lshl_or_b32 v18, v79, 9, v18
	s_cbranch_execz .LBB387_30
	s_branch .LBB387_31
.LBB387_3:
	s_waitcnt vmcnt(0)
	v_mov_b32_e32 v21, v5
	v_mov_b32_e32 v25, v9
.LBB387_4:
	s_lshl_b32 s26, s50, 6
	s_sub_i32 s27, s52, s26
	s_cmp_gt_i32 s27, 0
	s_cbranch_scc0 .LBB387_84
; %bb.5:
	s_add_i32 s26, s26, s34
	s_ashr_i32 s2, s26, 31
	s_cmpk_lg_i32 s15, 0x80
	s_cselect_b64 s[22:23], -1, 0
	s_and_b64 vcc, exec, s[22:23]
	s_cbranch_vccz .LBB387_7
; %bb.6:
	s_mul_i32 s1, s26, s14
	s_ashr_i32 s3, s53, 31
	s_mul_hi_i32 s0, s26, s14
	s_add_u32 s24, s1, s53
	s_addc_u32 s25, s0, s3
	s_cbranch_execz .LBB387_8
	s_branch .LBB387_9
.LBB387_7:
                                        ; implicit-def: $sgpr24_sgpr25
.LBB387_8:
	s_mul_i32 s1, s53, s12
	s_mul_hi_i32 s0, s53, s12
	s_add_u32 s24, s1, s26
	s_addc_u32 s25, s0, s2
.LBB387_9:
	s_add_i32 s3, s50, s54
	s_add_u32 s0, s56, s26
	s_addc_u32 s1, s55, s2
	v_lshlrev_b32_e32 v18, 5, v77
	v_lshlrev_b32_e32 v22, 2, v74
	s_mov_b32 s2, 0x7060302
	v_perm_b32 v13, v13, v12, s2
	v_perm_b32 v12, v11, v10, s2
	v_or_b32_e32 v10, v18, v22
	v_xor_b32_e32 v5, v77, v22
	v_perm_b32 v17, v17, v16, s2
	v_perm_b32 v16, v15, v14, s2
	v_lshlrev_b32_e32 v10, 1, v10
	ds_write2st64_b64 v10, v[16:17], v[12:13] offset0:80 offset1:88
	v_lshlrev_b32_e32 v10, 1, v5
	v_lshlrev_b32_e32 v5, 8, v74
	s_lshl_b64 s[20:21], s[0:1], 8
	v_xor_b32_e32 v9, v78, v22
	v_or_b32_e32 v11, v10, v5
	s_add_u32 s0, s6, s20
	ds_write_b64 v11, v[16:17]
	v_lshlrev_b32_e32 v11, 1, v9
	s_addc_u32 s1, s7, s21
	v_or_b32_e32 v5, v11, v5
	s_mul_hi_i32 s6, s3, s13
	s_mul_i32 s3, s3, s13
	ds_write_b64 v5, v[12:13]
	v_perm_b32 v9, v25, v8, s2
	v_perm_b32 v8, v7, v6, s2
	;; [unrolled: 1-line block ×4, first 2 shown]
	s_add_u32 s2, s3, s49
	v_or_b32_e32 v2, 16, v74
	s_addc_u32 s3, s6, s51
	v_lshlrev_b32_e32 v19, 2, v2
	s_ashr_i32 s41, s40, 31
	s_lshl_b64 s[2:3], s[2:3], 15
	v_or_b32_e32 v3, v18, v19
	s_add_u32 s6, s18, s2
	v_lshlrev_b32_e32 v3, 1, v3
	v_lshlrev_b32_e32 v2, 8, v2
	s_addc_u32 s7, s19, s3
	s_lshl_b64 s[2:3], s[40:41], 8
	ds_write2st64_b64 v3, v[8:9], v[4:5] offset0:80 offset1:88
	v_or_b32_e32 v3, v10, v2
	v_or_b32_e32 v2, v11, v2
	s_add_u32 s2, s6, s2
	ds_write_b64 v3, v[8:9]
	ds_write_b64 v2, v[4:5]
	v_lshrrev_b32_e32 v2, 4, v0
	s_addc_u32 s3, s7, s3
	v_lshlrev_b32_e32 v3, 1, v74
	v_lshlrev_b32_e32 v10, 4, v74
	v_mov_b32_e32 v11, 0
	v_or_b32_e32 v4, 1, v3
	v_xor_b32_e32 v3, v2, v3
	v_lshl_add_u64 v[12:13], s[2:3], 0, v[10:11]
	v_lshlrev_b32_e32 v10, 8, v2
	v_xor_b32_e32 v6, v4, v2
	v_lshl_or_b32 v2, v3, 3, v10
	s_waitcnt lgkmcnt(0)
	s_barrier
	ds_read2st64_b64 v[2:5], v2 offset1:8
	v_lshl_or_b32 v6, v6, 3, v10
	ds_read2st64_b64 v[6:9], v6 offset1:8
	v_lshl_add_u64 v[14:15], v[12:13], 0, v[10:11]
	s_movk_i32 s2, 0x1000
	s_waitcnt lgkmcnt(1)
	v_mov_b32_e32 v10, v2
	v_add_co_u32_e32 v2, vcc, s2, v14
	s_cmp_lg_u32 s27, 64
	v_mov_b32_e32 v11, v3
	v_addc_co_u32_e32 v3, vcc, 0, v15, vcc
	s_cselect_b64 s[6:7], -1, 0
	v_lshl_or_b32 v23, v72, 3, v76
	s_waitcnt lgkmcnt(0)
	v_mov_b32_e32 v12, v6
	v_mov_b32_e32 v13, v7
	;; [unrolled: 1-line block ×4, first 2 shown]
	s_mov_b32 s16, 0
	v_or_b32_e32 v20, 32, v23
	v_and_b32_e32 v18, 56, v75
	s_and_b64 vcc, exec, s[6:7]
	global_store_dwordx4 v[14:15], v[10:13], off
	global_store_dwordx4 v[2:3], v[6:9], off
	s_cbranch_vccz .LBB387_15
; %bb.10:
	s_mov_b32 s17, s16
	s_mov_b32 s18, s16
	;; [unrolled: 1-line block ×3, first 2 shown]
	v_mov_b64_e32 v[6:7], s[16:17]
	v_mov_b64_e32 v[8:9], s[18:19]
	;; [unrolled: 1-line block ×3, first 2 shown]
	v_cmp_gt_i32_e32 vcc, s27, v23
	v_mov_b64_e32 v[4:5], v[8:9]
	s_and_saveexec_b64 s[2:3], vcc
	s_cbranch_execz .LBB387_12
; %bb.11:
	v_lshlrev_b32_e32 v2, 8, v23
	v_mov_b32_e32 v3, 0
	v_lshl_add_u64 v[4:5], s[0:1], 0, v[2:3]
	v_lshlrev_b32_e32 v2, 1, v18
	v_lshl_add_u64 v[10:11], v[4:5], 0, v[2:3]
	global_load_dwordx4 v[6:9], v[10:11], off
	global_load_dwordx4 v[2:5], v[10:11], off offset:128
.LBB387_12:
	s_or_b64 exec, exec, s[2:3]
	s_mov_b32 s17, s16
	s_mov_b32 s18, s16
	;; [unrolled: 1-line block ×3, first 2 shown]
	v_mov_b64_e32 v[14:15], s[16:17]
	v_mov_b64_e32 v[16:17], s[18:19]
	;; [unrolled: 1-line block ×3, first 2 shown]
	v_cmp_gt_i32_e32 vcc, s27, v20
	v_lshlrev_b32_e32 v21, 7, v20
	v_mov_b64_e32 v[12:13], v[16:17]
	s_and_saveexec_b64 s[2:3], vcc
	s_cbranch_execz .LBB387_14
; %bb.13:
	v_lshlrev_b32_e32 v10, 1, v21
	v_mov_b32_e32 v11, 0
	v_lshl_add_u64 v[12:13], s[0:1], 0, v[10:11]
	v_lshlrev_b32_e32 v10, 1, v18
	v_lshl_add_u64 v[24:25], v[12:13], 0, v[10:11]
	global_load_dwordx4 v[14:17], v[24:25], off
	global_load_dwordx4 v[10:13], v[24:25], off offset:128
.LBB387_14:
	s_or_b64 exec, exec, s[2:3]
	v_lshrrev_b32_e32 v24, 3, v18
	v_lshlrev_b32_e32 v25, 3, v23
	v_or_b32_e32 v24, v25, v24
	v_lshlrev_b32_e32 v24, 4, v24
	v_and_b32_e32 v25, 0x78, v25
	v_xor_b32_e32 v24, v24, v25
	s_branch .LBB387_17
.LBB387_15:
                                        ; implicit-def: $vgpr24
                                        ; implicit-def: $vgpr21
                                        ; implicit-def: $vgpr6_vgpr7_vgpr8_vgpr9
                                        ; implicit-def: $vgpr2_vgpr3_vgpr4_vgpr5
                                        ; implicit-def: $vgpr14_vgpr15_vgpr16_vgpr17
                                        ; implicit-def: $vgpr10_vgpr11_vgpr12_vgpr13
	s_cbranch_execz .LBB387_17
; %bb.16:
	s_waitcnt vmcnt(0)
	v_lshlrev_b32_e32 v2, 1, v18
	v_lshl_or_b32 v21, v23, 8, v2
	s_and_b32 s1, s1, 0xffff
	s_mov_b32 s3, 0x20000
	s_movk_i32 s2, 0x4000
	v_lshl_or_b32 v24, v20, 8, v2
	s_movk_i32 s12, 0x80
	buffer_load_dwordx4 v[6:9], v21, s[0:3], 0 offen
	buffer_load_dwordx4 v[2:5], v21, s[0:3], s12 offen
	;; [unrolled: 1-line block ×4, first 2 shown]
	v_lshrrev_b32_e32 v21, 3, v18
	v_lshlrev_b32_e32 v24, 3, v23
	v_or_b32_e32 v21, v24, v21
	v_lshlrev_b32_e32 v21, 4, v21
	v_and_b32_e32 v24, 0x78, v24
	v_xor_b32_e32 v24, v21, v24
	v_lshlrev_b32_e32 v21, 7, v20
.LBB387_17:
	s_lshl_b64 s[0:1], s[24:25], 8
	s_add_u32 s4, s4, s0
	s_movk_i32 s0, 0x1000
	v_and_or_b32 v20, v21, s0, v24
	s_waitcnt vmcnt(1)
	ds_write_b64 v24, v[6:7] offset:24576
	v_xor_b32_e32 v6, 8, v24
	ds_write_b64 v6, v[8:9] offset:24576
	s_waitcnt vmcnt(0)
	ds_write_b64 v24, v[2:3] offset:32768
	ds_write_b64 v6, v[4:5] offset:32768
	;; [unrolled: 1-line block ×3, first 2 shown]
	v_xor_b32_e32 v2, 8, v20
	ds_write_b64 v2, v[16:17] offset:24576
	ds_write_b64 v20, v[10:11] offset:32768
	;; [unrolled: 1-line block ×3, first 2 shown]
	v_or_b32_e32 v2, v1, v74
	v_lshlrev_b32_e32 v3, 11, v72
	v_lshlrev_b32_e32 v2, 3, v2
	v_and_b32_e32 v6, 0x1000, v3
	v_lshrrev_b32_e32 v3, 5, v61
	s_movk_i32 s3, 0xf8
	v_and_or_b32 v3, v2, s3, v3
	v_lshlrev_b32_e32 v7, 4, v3
	v_and_b32_e32 v8, 0x78, v2
	v_or_b32_e32 v10, 32, v7
	v_lshrrev_b32_e32 v3, 1, v61
	v_xor_b32_e32 v10, v10, v8
	v_xor_b32_e32 v2, v7, v8
	v_and_b32_e32 v9, 8, v3
	v_or_b32_e32 v10, v10, v6
	v_or_b32_e32 v2, v2, v6
	v_xor_b32_e32 v26, v10, v9
	v_or_b32_e32 v10, 64, v7
	v_xor_b32_e32 v25, v2, v9
	v_xor_b32_e32 v10, v10, v8
	s_waitcnt lgkmcnt(0)
	s_barrier
	v_or_b32_e32 v12, v10, v6
	ds_read_b64 v[10:11], v25 offset:24576
	v_lshl_or_b32 v20, v73, 7, v22
	v_lshlrev_b32_e32 v24, 1, v20
	v_add_u32_e32 v2, 0xa000, v24
	ds_read2_b64 v[2:5], v2 offset1:16
	v_or_b32_e32 v7, 0x60, v7
	v_xor_b32_e32 v7, v7, v8
	s_waitcnt lgkmcnt(0)
	v_mfma_f32_16x16x16_bf16 a[0:3], v[10:11], v[2:3], 0
	v_or_b32_e32 v2, 64, v20
	v_or_b32_e32 v6, v7, v6
	v_lshlrev_b32_e32 v29, 1, v2
	v_xor_b32_e32 v27, v12, v9
	v_xor_b32_e32 v28, v6, v9
	ds_read_b64 v[12:13], v26 offset:24576
	ds_read_b64 v[14:15], v27 offset:24576
	;; [unrolled: 1-line block ×3, first 2 shown]
	v_mfma_f32_16x16x16_bf16 a[4:7], v[10:11], v[4:5], 0
	ds_read2st64_b64 v[2:5], v29 offset0:82 offset1:84
	ds_read2st64_b64 v[6:9], v24 offset0:82 offset1:84
	s_addc_u32 s5, s5, s1
	s_add_i32 s1, s45, s33
	s_add_i32 s0, s35, -1
	s_add_i32 s37, s1, s46
	s_add_i32 s1, s47, s44
	;; [unrolled: 1-line block ×3, first 2 shown]
	s_ashr_i32 s1, s0, 31
	s_mul_i32 s2, s0, s31
	s_mul_hi_u32 s3, s0, s30
	s_add_i32 s2, s3, s2
	s_mul_i32 s1, s1, s30
	s_waitcnt lgkmcnt(1)
	v_mfma_f32_16x16x16_bf16 a[4:7], v[12:13], v[2:3], a[4:7]
	s_add_i32 s1, s2, s1
	s_lshl_b64 s[2:3], s[36:37], 2
	s_add_u32 s10, s10, s2
	s_waitcnt lgkmcnt(0)
	v_mfma_f32_16x16x16_bf16 a[0:3], v[12:13], v[6:7], a[0:3]
	s_addc_u32 s11, s11, s3
	s_lshl_b64 s[2:3], s[38:39], 2
	s_mul_i32 s0, s0, s30
	s_add_u32 s10, s10, s2
	ds_read_b64 v[2:3], v24 offset:44032
	v_mfma_f32_16x16x16_bf16 a[4:7], v[14:15], v[4:5], a[4:7]
	ds_read_b64 v[4:5], v29 offset:44032
	s_addc_u32 s11, s11, s3
	s_lshl_b64 s[0:1], s[0:1], 2
	v_mfma_f32_16x16x16_bf16 a[0:3], v[14:15], v[8:9], a[0:3]
	s_add_u32 s0, s10, s0
	s_addc_u32 s1, s11, s1
	s_load_dword s12, s[0:1], 0x0
	s_waitcnt lgkmcnt(0)
	v_mfma_f32_16x16x16_bf16 a[0:3], v[16:17], v[2:3], a[0:3]
	s_and_b64 vcc, exec, s[22:23]
	v_mfma_f32_16x16x16_bf16 a[4:7], v[16:17], v[4:5], a[4:7]
	s_cbranch_vccz .LBB387_28
; %bb.18:
	v_lshlrev_b32_e32 v20, 1, v23
	s_and_b64 vcc, exec, s[6:7]
	s_cbranch_vccz .LBB387_44
; %bb.19:
	v_cmp_gt_i32_e32 vcc, s27, v20
	v_mov_b32_e32 v6, 0
	v_mov_b32_e32 v2, 0
	;; [unrolled: 1-line block ×5, first 2 shown]
	s_and_saveexec_b64 s[0:1], vcc
	s_cbranch_execz .LBB387_21
; %bb.20:
	v_mad_i64_i32 v[2:3], s[2:3], s15, v20, 0
	v_lshl_add_u64 v[2:3], v[2:3], 1, s[4:5]
	v_lshlrev_b32_e32 v4, 1, v18
	v_mov_b32_e32 v5, 0
	v_lshl_add_u64 v[2:3], v[2:3], 0, v[4:5]
	global_load_dwordx4 v[2:5], v[2:3], off
.LBB387_21:
	s_or_b64 exec, exec, s[0:1]
	v_or_b32_e32 v21, 1, v20
	v_cmp_gt_i32_e64 s[0:1], s27, v21
	v_mov_b32_e32 v7, 0
	v_mov_b32_e32 v8, 0
	v_mov_b32_e32 v9, 0
	s_and_saveexec_b64 s[2:3], s[0:1]
	s_cbranch_execz .LBB387_23
; %bb.22:
	v_mad_i64_i32 v[6:7], s[16:17], s15, v21, 0
	v_lshl_add_u64 v[6:7], v[6:7], 1, s[4:5]
	v_lshlrev_b32_e32 v8, 1, v18
	v_mov_b32_e32 v9, 0
	v_lshl_add_u64 v[6:7], v[6:7], 0, v[8:9]
	global_load_dwordx4 v[6:9], v[6:7], off
.LBB387_23:
	s_or_b64 exec, exec, s[2:3]
	v_mov_b32_e32 v17, 0
	v_mov_b32_e32 v10, 0
	;; [unrolled: 1-line block ×5, first 2 shown]
	s_and_saveexec_b64 s[2:3], vcc
	s_cbranch_execz .LBB387_25
; %bb.24:
	v_mad_i64_i32 v[10:11], s[16:17], s15, v20, 0
	v_lshl_add_u64 v[10:11], v[10:11], 1, s[4:5]
	v_lshlrev_b32_e32 v12, 1, v18
	v_mov_b32_e32 v13, 0
	v_lshl_add_u64 v[10:11], v[10:11], 0, v[12:13]
	global_load_dwordx4 v[10:13], v[10:11], off offset:128
.LBB387_25:
	s_or_b64 exec, exec, s[2:3]
	v_mov_b32_e32 v16, 0
	v_mov_b32_e32 v15, 0
	;; [unrolled: 1-line block ×3, first 2 shown]
	s_and_saveexec_b64 s[2:3], s[0:1]
	s_cbranch_execz .LBB387_27
; %bb.26:
	v_mad_i64_i32 v[14:15], s[0:1], s15, v21, 0
	v_lshl_add_u64 v[14:15], v[14:15], 1, s[4:5]
	v_lshlrev_b32_e32 v16, 1, v18
	v_mov_b32_e32 v17, 0
	v_lshl_add_u64 v[14:15], v[14:15], 0, v[16:17]
	global_load_dwordx4 v[14:17], v[14:15], off offset:128
.LBB387_27:
	s_or_b64 exec, exec, s[2:3]
	s_branch .LBB387_46
.LBB387_28:
                                        ; implicit-def: $vgpr5
                                        ; implicit-def: $vgpr9
                                        ; implicit-def: $vgpr13
                                        ; implicit-def: $vgpr17
	v_lshrrev_b32_e32 v30, 2, v61
	s_branch .LBB387_47
.LBB387_29:
                                        ; implicit-def: $vgpr20
                                        ; implicit-def: $vgpr21
                                        ; implicit-def: $sgpr22
	s_load_dwordx2 s[16:17], s[0:1], 0x20
	v_lshl_or_b32 v18, v79, 9, v18
.LBB387_30:
	v_or_b32_e32 v20, 0x100, v18
	s_movk_i32 s22, 0x4000
	v_mov_b32_e32 v21, v18
.LBB387_31:
	s_mul_i32 s0, s34, s14
	s_ashr_i32 s58, s53, 31
	s_mul_hi_i32 s1, s34, s14
	s_add_u32 s0, s0, s53
	s_addc_u32 s1, s1, s58
	s_lshl_b64 s[0:1], s[0:1], 8
	s_add_u32 s20, s4, s0
	s_addc_u32 s0, s5, s1
	s_and_b32 s21, s0, 0xffff
	s_movk_i32 s59, 0x80
	buffer_load_dwordx4 v[22:25], v21, s[20:23], 0 offen
	buffer_load_dwordx4 v[26:29], v21, s[20:23], s59 offen
	;; [unrolled: 1-line block ×4, first 2 shown]
	v_and_b32_e32 v20, 6, v0
	v_lshlrev_b32_e32 v39, 6, v77
	v_or_b32_e32 v41, 16, v74
	v_xor_b32_e32 v42, v79, v20
	v_and_b32_e32 v21, 1, v0
	v_lshl_or_b32 v45, v74, 3, v39
	v_lshl_or_b32 v39, v41, 3, v39
	v_lshlrev_b32_e32 v42, 2, v42
	v_lshlrev_b32_e32 v38, 2, v74
	v_or_b32_e32 v87, 0xa000, v39
	v_or_b32_e32 v88, 0xb000, v39
	v_xor_b32_e32 v39, 0x440, v42
	v_cmp_eq_u32_e32 vcc, 0, v21
	s_add_i32 s0, s45, s33
	v_xor_b32_e32 v43, v77, v38
	v_xor_b32_e32 v44, v78, v38
	v_cndmask_b32_e32 v21, v39, v42, vcc
	s_add_i32 s1, s47, s44
	s_add_i32 s37, s0, s46
	s_mov_b32 s60, 0x1000504
	v_lshlrev_b32_e32 v40, 8, v74
	v_lshlrev_b32_e32 v41, 8, v41
	;; [unrolled: 1-line block ×4, first 2 shown]
	v_lshl_or_b32 v20, v20, 10, v21
	s_add_i32 s39, s1, s48
	s_lshl_b64 s[0:1], s[36:37], 2
	s_mov_b32 s61, 0x3020706
	v_or_b32_e32 v85, 0xa000, v45
	v_or_b32_e32 v86, 0xb000, v45
	;; [unrolled: 1-line block ×5, first 2 shown]
	v_xor_b32_e32 v21, 8, v20
	v_xor_b32_e32 v40, 24, v20
	;; [unrolled: 1-line block ×4, first 2 shown]
	s_add_u32 s20, s10, s0
	v_or_b32_e32 v91, v41, v43
	v_xor_b32_e32 v39, 16, v20
	v_xor_b32_e32 v41, 32, v20
	v_xor_b32_e32 v43, 48, v20
	v_add_u32_e32 v21, 0x80, v21
	v_add_u32_e32 v40, 0x80, v40
	v_add_u32_e32 v42, 0x80, v42
	v_add_u32_e32 v44, 0x80, v44
	s_addc_u32 s21, s11, s1
	s_lshl_b64 s[0:1], s[38:39], 2
	s_add_u32 s42, s20, s0
	s_movk_i32 s0, 0xf8
	s_addc_u32 s43, s21, s1
	s_ashr_i32 s41, s40, 31
	s_lshl_b32 s26, s15, 7
	s_movk_i32 s20, 0x100
	v_mov_b32_e32 v65, 0
	v_lshlrev_b32_e32 v64, 4, v74
	v_cmp_gt_u32_e32 vcc, s20, v0
	v_ashrrev_i32_e32 v63, 31, v62
	s_mov_b32 s62, 0
	s_movk_i32 s37, 0x1000
	s_movk_i32 s22, 0x4000
	s_mov_b32 s39, 0x7060302
	s_waitcnt vmcnt(1)
	v_perm_b32 v45, v22, v30, s60
	s_waitcnt vmcnt(0)
	v_perm_b32 v46, v26, v34, s60
	v_perm_b32 v22, v22, v30, s61
	v_perm_b32 v26, v26, v34, s61
	v_perm_b32 v30, v23, v31, s60
	v_perm_b32 v34, v27, v35, s60
	v_perm_b32 v23, v23, v31, s61
	v_perm_b32 v27, v27, v35, s61
	v_perm_b32 v31, v24, v32, s60
	v_perm_b32 v35, v28, v36, s60
	v_perm_b32 v24, v24, v32, s61
	v_perm_b32 v28, v28, v36, s61
	v_perm_b32 v32, v25, v33, s60
	v_perm_b32 v36, v29, v37, s60
	v_perm_b32 v25, v25, v33, s61
	v_perm_b32 v29, v29, v37, s61
	ds_write2st64_b32 v20, v45, v46 offset0:32 offset1:64
	ds_write2st64_b32 v21, v22, v26 offset0:32 offset1:64
	;; [unrolled: 1-line block ×8, first 2 shown]
	v_or_b32_e32 v20, v1, v74
	v_lshlrev_b32_e32 v20, 3, v20
	v_lshrrev_b32_e32 v23, 5, v61
	v_and_or_b32 v23, v20, s0, v23
	v_lshlrev_b32_e32 v23, 4, v23
	v_lshlrev_b32_e32 v25, 11, v72
	v_and_b32_e32 v20, 0x78, v20
	v_or_b32_e32 v28, 32, v23
	v_and_b32_e32 v22, 0x1000, v25
	v_lshrrev_b32_e32 v26, 1, v61
	v_xor_b32_e32 v28, v28, v20
	v_xor_b32_e32 v24, v23, v20
	v_and_b32_e32 v26, 8, v26
	v_or_b32_e32 v28, v28, v22
	v_or_b32_e32 v24, v24, v22
	v_lshlrev_b32_e32 v27, 7, v73
	v_xor_b32_e32 v95, v28, v26
	v_or_b32_e32 v28, 64, v23
	v_or_b32_e32 v23, 0x60, v23
	v_xor_b32_e32 v93, v24, v26
	v_or_b32_e32 v24, v27, v38
	v_xor_b32_e32 v28, v28, v20
	v_xor_b32_e32 v20, v23, v20
	s_lshl_b64 s[0:1], s[40:41], 8
	v_lshlrev_b32_e32 v24, 1, v24
	v_or_b32_e32 v28, v28, v22
	v_or_b32_e32 v20, v20, v22
	s_add_u32 s0, s18, s0
	v_lshlrev_b32_e32 v22, 1, v74
	v_or_b32_e32 v94, 0xa000, v24
	v_or_b32_e32 v96, 0xa080, v24
	;; [unrolled: 1-line block ×4, first 2 shown]
	v_lshrrev_b32_e32 v24, 4, v0
	s_addc_u32 s1, s19, s1
	v_or_b32_e32 v23, 1, v22
	v_mov_b32_e32 v33, 0x4000
	v_mov_b32_e32 v34, 0x2000
	v_lshrrev_b32_e32 v35, 1, v0
	v_xor_b32_e32 v97, v28, v26
	v_xor_b32_e32 v98, v20, v26
	;; [unrolled: 1-line block ×4, first 2 shown]
	v_lshl_add_u64 v[22:23], s[0:1], 0, v[64:65]
	v_lshlrev_b32_e32 v64, 8, v24
	v_cndmask_b32_e32 v33, v33, v34, vcc
	v_lshlrev_b32_e32 v34, 3, v72
	v_and_b32_e32 v35, 24, v35
	v_lshl_or_b32 v101, v26, 3, v64
	v_and_b32_e32 v26, 8, v0
	v_xor_b32_e32 v36, v34, v35
	v_or_b32_e32 v37, 0x440, v36
	v_cmp_eq_u32_e32 vcc, 0, v26
	v_and_b32_e32 v24, 7, v0
	v_lshl_or_b32 v102, v30, 3, v64
	v_cndmask_b32_e32 v26, v37, v36, vcc
	v_lshlrev_b32_e32 v30, 3, v24
	v_lshlrev_b32_e32 v32, 2, v0
	v_or_b32_e32 v26, v26, v25
	v_xor_b32_e32 v36, v26, v30
	v_and_or_b32 v26, v32, 60, v27
	v_mov_b32_e32 v27, 0xb000
	v_lshl_or_b32 v103, v26, 1, v27
	v_or_b32_e32 v26, 32, v35
	v_xor_b32_e32 v26, v34, v26
	v_or_b32_e32 v27, 0x440, v26
	v_cndmask_b32_e32 v26, v27, v26, vcc
	v_or_b32_e32 v26, v26, v25
	v_xor_b32_e32 v27, v26, v30
	v_or_b32_e32 v26, 64, v35
	v_xor_b32_e32 v26, v34, v26
	v_xor_b32_e32 v38, 0x440, v26
	v_cndmask_b32_e32 v26, v38, v26, vcc
	v_or_b32_e32 v26, v26, v25
	v_xor_b32_e32 v38, v26, v30
	v_or_b32_e32 v26, 0x60, v35
	v_xor_b32_e32 v26, v34, v26
	v_xor_b32_e32 v34, 0x440, v26
	v_cndmask_b32_e32 v26, v34, v26, vcc
	v_lshrrev_b32_e32 v21, 2, v61
	v_or_b32_e32 v25, v26, v25
	v_and_b32_e32 v21, 12, v21
	v_lshlrev_b32_e32 v28, 1, v19
	v_add_lshl_u32 v19, v19, s15, 1
	v_or_b32_e32 v29, 0x100, v18
	v_xor_b32_e32 v25, v25, v30
	v_lshlrev_b32_e32 v20, 7, v77
	v_lshlrev_b32_e32 v31, 7, v24
	v_or_b32_e32 v24, v21, v1
	v_add_u32_e32 v37, v33, v36
	v_add_u32_e32 v32, v33, v27
	;; [unrolled: 1-line block ×4, first 2 shown]
	v_or3_b32 v26, v1, v21, 64
	v_add_u32_e32 v21, 0x4000, v36
	v_add_u32_e32 v27, 0x4000, v27
	;; [unrolled: 1-line block ×4, first 2 shown]
	v_cndmask_b32_e64 v104, v28, v18, s[2:3]
	v_cndmask_b32_e64 v105, v19, v29, s[2:3]
	v_lshlrev_b64 v[18:19], 1, v[62:63]
	v_lshl_add_u64 v[66:67], s[8:9], 0, v[18:19]
	v_lshl_add_u64 v[68:69], s[28:29], 0, v[18:19]
	v_lshl_add_u64 v[70:71], v[22:23], 0, v[64:65]
	v_lshlrev_b32_e32 v64, 1, v20
	v_lshlrev_b32_e32 v63, 2, v24
	v_add_u32_e32 v106, v37, v31
	v_add_u32_e32 v107, v32, v31
	;; [unrolled: 1-line block ×4, first 2 shown]
	v_lshlrev_b32_e32 v110, 2, v26
	v_add_u32_e32 v111, v21, v31
	v_add_u32_e32 v112, v27, v31
	;; [unrolled: 1-line block ×4, first 2 shown]
	s_waitcnt lgkmcnt(0)
	s_barrier
.LBB387_32:                             ; =>This Inner Loop Header: Depth=1
	s_add_i32 s41, s62, 1
	s_cmp_lt_i32 s41, s50
	s_mov_b64 s[24:25], 0
	s_cselect_b64 s[2:3], -1, 0
	s_cmp_ge_i32 s41, s50
	s_mov_b64 s[20:21], 0
	s_cbranch_scc1 .LBB387_34
; %bb.33:                               ;   in Loop: Header=BB387_32 Depth=1
	s_add_i32 s0, s57, 64
	s_ashr_i32 s1, s0, 31
	s_add_u32 s0, s56, s0
	s_addc_u32 s1, s55, s1
	s_lshl_b64 s[0:1], s[0:1], 8
	s_add_u32 s20, s6, s0
	s_addc_u32 s21, s7, s1
.LBB387_34:                             ;   in Loop: Header=BB387_32 Depth=1
	v_cndmask_b32_e64 v18, 0, 1, s[2:3]
	v_cmp_ne_u32_e64 s[0:1], 1, v18
	s_andn2_b64 vcc, exec, s[2:3]
	s_cbranch_vccnz .LBB387_36
; %bb.35:                               ;   in Loop: Header=BB387_32 Depth=1
	s_add_i32 s2, s57, 64
	s_mul_hi_i32 s3, s2, s14
	s_mul_i32 s2, s2, s14
	s_add_u32 s2, s2, s53
	s_addc_u32 s3, s3, s58
	s_lshl_b64 s[2:3], s[2:3], 8
	s_add_u32 s24, s4, s2
	s_addc_u32 s25, s5, s3
.LBB387_36:                             ;   in Loop: Header=BB387_32 Depth=1
	v_perm_b32 v19, v17, v16, s39
	v_perm_b32 v18, v15, v14, s39
	;; [unrolled: 1-line block ×4, first 2 shown]
	ds_write_b64 v85, v[18:19]
	ds_write_b64 v86, v[20:21]
	;; [unrolled: 1-line block ×4, first 2 shown]
	v_perm_b32 v19, v9, v8, s39
	v_perm_b32 v18, v7, v6, s39
	;; [unrolled: 1-line block ×4, first 2 shown]
	ds_write_b64 v87, v[18:19]
	ds_write_b64 v88, v[20:21]
	;; [unrolled: 1-line block ×4, first 2 shown]
	s_waitcnt lgkmcnt(0)
	s_barrier
	ds_read_b64 v[22:23], v93 offset:24576
	ds_read2_b64 v[18:21], v94 offset1:16
	ds_read_b64 v[26:27], v96 offset:3072
	ds_read_b64 v[28:29], v94 offset:3072
	;; [unrolled: 1-line block ×3, first 2 shown]
	s_waitcnt lgkmcnt(3)
	v_mfma_f32_16x16x16_bf16 a[0:3], v[22:23], v[18:19], 0
	s_add_i32 s63, s57, 63
	s_ashr_i32 s2, s63, 31
	s_mul_i32 s3, s63, s31
	v_mfma_f32_16x16x16_bf16 a[4:7], v[22:23], v[20:21], 0
	ds_read2st64_b64 v[18:21], v94 offset0:2 offset1:4
	s_mul_hi_u32 s27, s63, s30
	s_add_i32 s3, s27, s3
	s_waitcnt lgkmcnt(0)
	v_mfma_f32_16x16x16_bf16 a[0:3], v[30:31], v[18:19], a[0:3]
	ds_read2st64_b64 v[22:25], v96 offset0:2 offset1:4
	ds_read_b64 v[18:19], v97 offset:24576
	s_mul_i32 s2, s2, s30
	s_add_i32 s3, s3, s2
	s_waitcnt lgkmcnt(1)
	v_mfma_f32_16x16x16_bf16 a[4:7], v[30:31], v[22:23], a[4:7]
	ds_read_b64 v[22:23], v98 offset:24576
	s_mul_i32 s2, s63, s30
	s_lshl_b64 s[2:3], s[2:3], 2
	s_waitcnt lgkmcnt(1)
	v_mfma_f32_16x16x16_bf16 a[0:3], v[18:19], v[20:21], a[0:3]
	s_add_u32 s2, s42, s2
	s_addc_u32 s3, s43, s3
	s_and_b64 vcc, exec, s[0:1]
	v_mfma_f32_16x16x16_bf16 a[8:11], v[18:19], v[24:25], a[4:7]
	v_mov_b32_e32 v117, 0
	v_mov_b32_e32 v116, 0
	;; [unrolled: 1-line block ×3, first 2 shown]
	s_waitcnt lgkmcnt(0)
	v_mfma_f32_16x16x16_bf16 a[4:7], v[22:23], v[28:29], a[0:3]
	v_mov_b32_e32 v18, 0
	v_mov_b32_e32 v19, 0
	v_mov_b32_e32 v20, 0
	v_mfma_f32_16x16x16_bf16 a[0:3], v[22:23], v[26:27], a[8:11]
	v_mov_b32_e32 v21, 0
	v_mov_b32_e32 v22, 0
	;; [unrolled: 1-line block ×13, first 2 shown]
	s_cbranch_vccnz .LBB387_38
; %bb.37:                               ;   in Loop: Header=BB387_32 Depth=1
	s_and_b32 s21, s21, 0xffff
	buffer_load_dwordx4 v[30:33], v81, s[20:23], 0 offen
	buffer_load_dwordx4 v[26:29], v81, s[20:23], s59 offen
	;; [unrolled: 1-line block ×4, first 2 shown]
	v_mov_b32_e32 v116, v83
	v_mov_b32_e32 v115, v84
.LBB387_38:                             ;   in Loop: Header=BB387_32 Depth=1
	ds_read_b64 v[42:43], v93 offset:32768
	ds_read2_b64 v[34:37], v99 offset1:16
	ds_read_b64 v[44:45], v95 offset:32768
	ds_read_b64 v[46:47], v97 offset:32768
	;; [unrolled: 1-line block ×3, first 2 shown]
	ds_read2st64_b64 v[38:41], v99 offset0:2 offset1:4
	v_add_u32_e32 v50, s57, v77
	s_waitcnt lgkmcnt(4)
	v_mfma_f32_16x16x16_bf16 a[4:7], v[42:43], v[34:35], a[4:7]
	v_ashrrev_i32_e32 v34, 31, v50
	v_mov_b32_e32 v118, 0
	v_mfma_f32_16x16x16_bf16 a[0:3], v[42:43], v[36:37], a[0:3]
	v_mul_lo_u32 v36, v50, s31
	v_mul_lo_u32 v37, v34, s30
	v_mad_u64_u32 v[34:35], s[20:21], v50, s30, 0
	v_add3_u32 v35, v35, v36, v37
	v_add_u32_e32 v36, 1, v50
	v_ashrrev_i32_e32 v37, 31, v36
	s_waitcnt lgkmcnt(0)
	v_mfma_f32_16x16x16_bf16 a[4:7], v[44:45], v[38:39], a[4:7]
	v_mul_lo_u32 v38, v37, s30
	v_mul_lo_u32 v39, v36, s31
	v_mad_u64_u32 v[36:37], s[20:21], v36, s30, 0
	v_add3_u32 v37, v37, v39, v38
	v_add_u32_e32 v38, 2, v50
	v_ashrrev_i32_e32 v39, 31, v38
	v_mul_lo_u32 v42, v39, s30
	v_mul_lo_u32 v43, v38, s31
	v_mad_u64_u32 v[38:39], s[20:21], v38, s30, 0
	v_add3_u32 v39, v39, v43, v42
	v_add_u32_e32 v42, 3, v50
	v_ashrrev_i32_e32 v43, 31, v42
	v_mul_lo_u32 v50, v43, s30
	v_mul_lo_u32 v51, v42, s31
	v_mad_u64_u32 v[42:43], s[20:21], v42, s30, 0
	s_ashr_i32 s21, s57, 31
	v_add3_u32 v43, v43, v51, v50
	s_add_u32 s20, s56, s57
	v_lshl_add_u64 v[34:35], v[34:35], 2, s[42:43]
	v_lshl_add_u64 v[42:43], v[42:43], 2, s[42:43]
	s_addc_u32 s21, s55, s21
	v_lshl_add_u64 v[36:37], v[36:37], 2, s[42:43]
	v_lshl_add_u64 v[38:39], v[38:39], 2, s[42:43]
	global_load_dword v50, v[34:35], off
	global_load_dword v51, v[36:37], off
	;; [unrolled: 1-line block ×3, first 2 shown]
	s_nop 0
	global_load_dword v43, v[42:43], off
	s_lshl_b64 s[20:21], s[20:21], 8
	v_lshl_add_u64 v[34:35], v[66:67], 0, s[20:21]
	v_lshl_add_u64 v[38:39], v[34:35], 0, v[64:65]
	global_load_ushort v53, v[38:39], off offset:256
	global_load_ushort v54, v[38:39], off
	global_load_ushort v55, v[38:39], off offset:768
	global_load_ushort v56, v[38:39], off offset:512
	ds_read2st64_b64 v[34:37], v100 offset0:2 offset1:4
	global_load_ushort v57, v[38:39], off offset:800
	global_load_ushort v58, v[38:39], off offset:544
	;; [unrolled: 1-line block ×4, first 2 shown]
	s_waitcnt lgkmcnt(0)
	v_mfma_f32_16x16x16_bf16 a[0:3], v[44:45], v[34:35], a[0:3]
	s_and_b64 vcc, exec, s[0:1]
	s_waitcnt vmcnt(7)
	v_lshlrev_b32_e32 v45, 16, v53
	v_mfma_f32_16x16x16_bf16 a[4:7], v[46:47], v[40:41], a[4:7]
	s_waitcnt vmcnt(6)
	v_lshlrev_b32_e32 v44, 16, v54
	v_mfma_f32_16x16x16_bf16 a[0:3], v[46:47], v[36:37], a[0:3]
	ds_read_b64 v[34:35], v99 offset:3072
	ds_read_b64 v[36:37], v100 offset:3072
	s_load_dword s2, s[2:3], 0x0
	s_waitcnt vmcnt(5)
	v_lshlrev_b32_e32 v47, 16, v55
	s_waitcnt lgkmcnt(0)
	v_mfma_f32_16x16x16_bf16 a[4:7], v[48:49], v[34:35], a[4:7]
	v_lshl_add_u64 v[34:35], v[68:69], 0, s[20:21]
	v_sub_f32_e32 v42, s2, v50
	v_sub_f32_e32 v46, s2, v51
	v_mfma_f32_16x16x16_bf16 a[0:3], v[48:49], v[36:37], a[0:3]
	v_sub_f32_e32 v48, s2, v52
	v_sub_f32_e32 v49, s2, v43
	v_exp_f32_e32 v42, v42
	v_exp_f32_e32 v43, v46
	;; [unrolled: 1-line block ×4, first 2 shown]
	v_accvgpr_read_b32 v41, a5
	v_accvgpr_read_b32 v37, a7
	;; [unrolled: 1-line block ×4, first 2 shown]
	s_waitcnt vmcnt(4)
	v_lshlrev_b32_e32 v46, 16, v56
	v_lshl_add_u64 v[34:35], v[34:35], 0, v[64:65]
	v_pk_add_f32 v[40:41], v[44:45], v[40:41] neg_lo:[0,1] neg_hi:[0,1]
	v_pk_add_f32 v[36:37], v[46:47], v[36:37] neg_lo:[0,1] neg_hi:[0,1]
	global_store_short_d16_hi v[34:35], v40, off
	global_store_short_d16_hi v[34:35], v41, off offset:256
	global_store_short_d16_hi v[34:35], v36, off offset:512
	;; [unrolled: 1-line block ×3, first 2 shown]
	v_pk_mul_f32 v[40:41], v[42:43], v[40:41]
	v_pk_mul_f32 v[36:37], v[48:49], v[36:37]
	v_accvgpr_read_b32 v45, a1
	v_perm_b32 v40, v41, v40, s39
	v_perm_b32 v41, v37, v36, s39
	s_waitcnt vmcnt(5)
	v_lshlrev_b32_e32 v37, 16, v59
	s_waitcnt vmcnt(4)
	v_lshlrev_b32_e32 v36, 16, v60
	v_accvgpr_read_b32 v44, a0
	v_accvgpr_read_b32 v39, a3
	;; [unrolled: 1-line block ×3, first 2 shown]
	v_pk_add_f32 v[36:37], v[36:37], v[44:45] neg_lo:[0,1] neg_hi:[0,1]
	v_lshlrev_b32_e32 v45, 16, v57
	v_lshlrev_b32_e32 v44, 16, v58
	v_pk_add_f32 v[38:39], v[44:45], v[38:39] neg_lo:[0,1] neg_hi:[0,1]
	global_store_short_d16_hi v[34:35], v36, off offset:32
	global_store_short_d16_hi v[34:35], v37, off offset:288
	;; [unrolled: 1-line block ×4, first 2 shown]
	v_pk_mul_f32 v[34:35], v[42:43], v[36:37]
	v_pk_mul_f32 v[36:37], v[48:49], v[38:39]
	v_mov_b32_e32 v38, 0
	v_perm_b32 v37, v37, v36, s39
	v_perm_b32 v36, v35, v34, s39
	ds_write2_b64 v86, v[40:41], v[36:37] offset1:16
	v_mov_b32_e32 v34, 0
	v_mov_b32_e32 v35, 0
	;; [unrolled: 1-line block ×15, first 2 shown]
	s_cbranch_vccnz .LBB387_40
; %bb.39:                               ;   in Loop: Header=BB387_32 Depth=1
	s_and_b32 s25, s25, 0xffff
	s_mov_b32 s27, s23
	buffer_load_dwordx4 v[46:49], v104, s[24:27], 0 offen
	buffer_load_dwordx4 v[38:41], v104, s[24:27], s59 offen
	;; [unrolled: 1-line block ×4, first 2 shown]
	v_mov_b32_e32 v117, v80
	v_mov_b32_e32 v118, v79
.LBB387_40:                             ;   in Loop: Header=BB387_32 Depth=1
	s_waitcnt lgkmcnt(0)
	s_barrier
	ds_read_b64 v[54:55], v106
	ds_read_b64 v[124:125], v103
	;; [unrolled: 1-line block ×5, first 2 shown]
	ds_read_b64 v[138:139], v100 offset:3072
	ds_read2_b64 v[50:53], v99 offset0:16 offset1:128
	s_waitcnt lgkmcnt(5)
	v_mfma_f32_16x16x16_bf16 a[0:3], v[54:55], v[124:125], 0
	s_add_i32 s3, s54, s62
	s_mul_hi_i32 s21, s3, s13
	s_mul_i32 s3, s3, s13
	s_waitcnt lgkmcnt(0)
	v_mfma_f32_16x16x16_bf16 a[4:7], v[54:55], v[50:51], 0
	ds_read_b64 v[54:55], v111
	ds_read2st64_b64 v[56:59], v100 offset0:2 offset1:4
	s_add_u32 s20, s3, s49
	s_addc_u32 s21, s21, s51
	s_lshl_b64 s[20:21], s[20:21], 15
	s_mul_i32 s24, s63, s13
	s_mul_hi_i32 s3, s63, s13
	s_add_u32 s24, s24, s49
	s_waitcnt lgkmcnt(1)
	v_mfma_f32_16x16x16_bf16 a[8:11], v[54:55], v[124:125], 0
	s_addc_u32 s25, s3, s51
	ds_read2st64_b64 v[120:123], v99 offset0:4 offset1:6
	s_lshl_b64 s[24:25], s[24:25], 9
	v_mfma_f32_16x16x16_bf16 a[0:3], v[126:127], v[52:53], a[0:3]
	s_add_u32 s24, s16, s24
	s_addc_u32 s25, s17, s25
	s_waitcnt lgkmcnt(1)
	v_mfma_f32_16x16x16_bf16 a[4:7], v[126:127], v[56:57], a[4:7]
	ds_read_b64 v[126:127], v112
	ds_read_b64 v[134:135], v113
	;; [unrolled: 1-line block ×3, first 2 shown]
	v_mfma_f32_16x16x16_bf16 a[12:15], v[54:55], v[50:51], 0
	s_waitcnt lgkmcnt(2)
	v_mfma_f32_16x16x16_bf16 a[8:11], v[126:127], v[52:53], a[8:11]
	global_load_dwordx4 v[50:53], v110, s[24:25]
	v_mfma_f32_16x16x16_bf16 a[12:15], v[126:127], v[56:57], a[12:15]
	global_load_dwordx4 v[54:57], v63, s[24:25]
	ds_read2st64_b64 v[124:127], v101 offset1:8
	s_waitcnt lgkmcnt(0)
	v_mov_b32_e32 v132, v124
	v_mfma_f32_16x16x16_bf16 a[0:3], v[128:129], v[120:121], a[0:3]
	v_mov_b32_e32 v133, v125
	v_mfma_f32_16x16x16_bf16 a[4:7], v[128:129], v[58:59], a[4:7]
	ds_read2st64_b64 v[128:131], v102 offset1:8
	v_mfma_f32_16x16x16_bf16 a[8:11], v[134:135], v[120:121], a[8:11]
	v_lshl_add_u64 v[120:121], v[70:71], 0, s[20:21]
	v_mfma_f32_16x16x16_bf16 a[16:19], v[134:135], v[58:59], a[12:15]
	v_add_co_u32_e32 v58, vcc, s37, v120
	s_waitcnt lgkmcnt(0)
	v_mov_b32_e32 v134, v128
	v_mfma_f32_16x16x16_bf16 a[0:3], v[136:137], v[122:123], a[0:3]
	v_mov_b32_e32 v135, v129
	v_mov_b32_e32 v128, v126
	v_mov_b32_e32 v129, v127
	v_mfma_f32_16x16x16_bf16 a[4:7], v[136:137], v[138:139], a[4:7]
	v_addc_co_u32_e32 v59, vcc, 0, v121, vcc
	global_store_dwordx4 v[58:59], v[128:131], off
	v_mfma_f32_16x16x16_bf16 a[12:15], v[140:141], v[122:123], a[8:11]
	s_and_b64 vcc, exec, s[0:1]
	global_store_dwordx4 v[120:121], v[132:135], off
	s_waitcnt vmcnt(3)
	v_mov_b32_e32 v60, v53
	v_mfma_f32_16x16x16_bf16 a[8:11], v[140:141], v[138:139], a[16:19]
	v_mov_b32_e32 v59, v52
	v_mov_b32_e32 v58, v51
	s_cbranch_vccnz .LBB387_42
; %bb.41:                               ;   in Loop: Header=BB387_32 Depth=1
	v_lshrrev_b32_e32 v51, 3, v117
	v_and_b32_e32 v51, 6, v51
	v_xor_b32_e32 v52, v51, v118
	v_lshlrev_b32_e32 v52, 2, v52
	v_and_b32_e32 v53, 8, v117
	v_xor_b32_e32 v117, 0x440, v52
	v_cmp_eq_u32_e32 vcc, 0, v53
	v_perm_b32 v53, v38, v34, s60
	s_nop 0
	v_cndmask_b32_e32 v52, v117, v52, vcc
	v_lshl_or_b32 v51, v51, 10, v52
	v_perm_b32 v52, v46, v42, s60
	s_barrier
	ds_write2st64_b32 v51, v52, v53 offset0:32 offset1:64
	v_xor_b32_e32 v52, 8, v51
	v_perm_b32 v42, v46, v42, s61
	v_perm_b32 v34, v38, v34, s61
	v_add_u32_e32 v38, 0x80, v52
	ds_write2st64_b32 v38, v42, v34 offset0:32 offset1:64
	v_xor_b32_e32 v34, 16, v51
	v_perm_b32 v38, v47, v43, s60
	v_perm_b32 v42, v39, v35, s60
	ds_write2st64_b32 v34, v38, v42 offset0:33 offset1:65
	v_xor_b32_e32 v34, 24, v51
	v_perm_b32 v38, v47, v43, s61
	v_perm_b32 v35, v39, v35, s61
	v_add_u32_e32 v34, 0x80, v34
	ds_write2st64_b32 v34, v38, v35 offset0:33 offset1:65
	v_xor_b32_e32 v34, 32, v51
	v_perm_b32 v35, v48, v44, s60
	v_perm_b32 v38, v40, v36, s60
	;; [unrolled: 9-line block ×3, first 2 shown]
	ds_write2st64_b32 v34, v35, v36 offset0:35 offset1:67
	v_xor_b32_e32 v34, 56, v51
	v_perm_b32 v35, v49, v45, s61
	v_perm_b32 v36, v41, v37, s61
	v_add_u32_e32 v34, 0x80, v34
	ds_write2st64_b32 v34, v35, v36 offset0:35 offset1:67
	ds_write_b64 v116, v[30:31] offset:24576
	v_xor_b32_e32 v30, 8, v116
	ds_write_b64 v30, v[32:33] offset:24576
	ds_write_b64 v116, v[26:27] offset:32768
	;; [unrolled: 1-line block ×4, first 2 shown]
	v_xor_b32_e32 v22, 8, v115
	ds_write_b64 v22, v[24:25] offset:24576
	ds_write_b64 v115, v[18:19] offset:32768
	;; [unrolled: 1-line block ×3, first 2 shown]
.LBB387_42:                             ;   in Loop: Header=BB387_32 Depth=1
	v_exp_f32_e32 v34, s2
	s_waitcnt vmcnt(2)
	v_exp_f32_e32 v36, v54
	v_exp_f32_e32 v37, v55
	;; [unrolled: 1-line block ×4, first 2 shown]
	v_accvgpr_read_b32 v29, a3
	v_accvgpr_read_b32 v27, a1
	;; [unrolled: 1-line block ×4, first 2 shown]
	v_pk_mul_f32 v[36:37], v[34:35], v[36:37] op_sel_hi:[0,1]
	v_accvgpr_read_b32 v28, a2
	v_accvgpr_read_b32 v23, a5
	;; [unrolled: 1-line block ×3, first 2 shown]
	v_pk_fma_f32 v[14:15], v[14:15], v[36:37], v[26:27]
	v_pk_mul_f32 v[26:27], v[34:35], v[38:39] op_sel_hi:[0,1]
	v_pk_fma_f32 v[16:17], v[16:17], v[26:27], v[28:29]
	v_fma_f32 v6, v6, v36, v22
	v_fma_f32 v7, v7, v37, v23
	v_exp_f32_e32 v22, v50
	v_exp_f32_e32 v23, v58
	;; [unrolled: 1-line block ×4, first 2 shown]
	v_accvgpr_read_b32 v24, a6
	v_accvgpr_read_b32 v33, a15
	;; [unrolled: 1-line block ×9, first 2 shown]
	v_fma_f32 v8, v8, v26, v24
	v_fmac_f32_e32 v25, v9, v27
	v_pk_mul_f32 v[22:23], v[34:35], v[22:23] op_sel_hi:[0,1]
	v_pk_mul_f32 v[26:27], v[34:35], v[28:29] op_sel_hi:[0,1]
	s_add_i32 s57, s57, 64
	v_pk_fma_f32 v[10:11], v[10:11], v[22:23], v[30:31]
	v_pk_fma_f32 v[12:13], v[12:13], v[26:27], v[32:33]
	v_fma_f32 v2, v2, v22, v18
	v_fma_f32 v3, v3, v23, v19
	;; [unrolled: 1-line block ×3, first 2 shown]
	s_cmp_eq_u32 s50, s41
	v_fmac_f32_e32 v21, v5, v27
	s_cbranch_scc1 .LBB387_4
; %bb.43:                               ;   in Loop: Header=BB387_32 Depth=1
	s_mov_b32 s62, s41
	v_mov_b32_e32 v9, v25
	v_mov_b32_e32 v5, v21
	s_branch .LBB387_32
.LBB387_44:
                                        ; implicit-def: $vgpr5
                                        ; implicit-def: $vgpr9
                                        ; implicit-def: $vgpr13
                                        ; implicit-def: $vgpr17
	s_cbranch_execz .LBB387_46
; %bb.45:
	s_waitcnt vmcnt(0)
	v_mad_u64_u32 v[2:3], s[0:1], v20, s15, v[18:19]
	v_lshlrev_b32_e32 v20, 1, v2
	s_lshl_b32 s2, s15, 7
	s_and_b32 s1, s5, 0xffff
	s_mov_b32 s3, 0x20000
	s_mov_b32 s0, s4
	v_add_lshl_u32 v21, v2, s15, 1
	s_movk_i32 s13, 0x80
	buffer_load_dwordx4 v[2:5], v20, s[0:3], 0 offen
	buffer_load_dwordx4 v[10:13], v20, s[0:3], s13 offen
	;; [unrolled: 1-line block ×4, first 2 shown]
.LBB387_46:
	v_lshrrev_b32_e32 v30, 2, v61
	s_cbranch_execnz .LBB387_59
.LBB387_47:
	s_and_b64 vcc, exec, s[6:7]
	s_cbranch_vccz .LBB387_57
; %bb.48:
	s_waitcnt vmcnt(0)
	v_lshlrev_b32_e32 v7, 1, v23
	v_cmp_gt_i32_e32 vcc, s27, v7
	v_mov_b32_e32 v6, 0
	v_lshlrev_b32_e32 v14, 9, v23
	v_mov_b32_e32 v2, 0
	v_mov_b32_e32 v3, 0
	;; [unrolled: 1-line block ×4, first 2 shown]
	s_and_saveexec_b64 s[0:1], vcc
	s_cbranch_execz .LBB387_50
; %bb.49:
	v_mov_b32_e32 v15, 0
	v_lshl_add_u64 v[2:3], s[4:5], 0, v[14:15]
	v_lshlrev_b32_e32 v4, 1, v18
	v_mov_b32_e32 v5, v15
	v_lshl_add_u64 v[2:3], v[2:3], 0, v[4:5]
	global_load_dwordx4 v[2:5], v[2:3], off
.LBB387_50:
	s_or_b64 exec, exec, s[0:1]
	v_or_b32_e32 v7, 1, v7
	v_cmp_gt_i32_e64 s[0:1], s27, v7
	v_lshlrev_b32_e32 v20, 8, v7
	v_mov_b32_e32 v7, 0
	v_mov_b32_e32 v8, 0
	;; [unrolled: 1-line block ×3, first 2 shown]
	s_and_saveexec_b64 s[2:3], s[0:1]
	s_cbranch_execz .LBB387_52
; %bb.51:
	v_mov_b32_e32 v21, 0
	v_lshl_add_u64 v[6:7], s[4:5], 0, v[20:21]
	v_lshlrev_b32_e32 v8, 1, v18
	v_mov_b32_e32 v9, v21
	v_lshl_add_u64 v[6:7], v[6:7], 0, v[8:9]
	global_load_dwordx4 v[6:9], v[6:7], off
.LBB387_52:
	s_or_b64 exec, exec, s[2:3]
	v_mov_b32_e32 v17, 0
	v_mov_b32_e32 v10, 0
	;; [unrolled: 1-line block ×5, first 2 shown]
	s_and_saveexec_b64 s[2:3], vcc
	s_cbranch_execz .LBB387_54
; %bb.53:
	v_mov_b32_e32 v15, 0
	v_lshl_add_u64 v[10:11], s[4:5], 0, v[14:15]
	v_lshlrev_b32_e32 v14, 1, v18
	v_lshl_add_u64 v[10:11], v[10:11], 0, v[14:15]
	global_load_dwordx4 v[10:13], v[10:11], off offset:128
.LBB387_54:
	s_or_b64 exec, exec, s[2:3]
	v_mov_b32_e32 v16, 0
	v_mov_b32_e32 v15, 0
	;; [unrolled: 1-line block ×3, first 2 shown]
	s_and_saveexec_b64 s[2:3], s[0:1]
	s_cbranch_execz .LBB387_56
; %bb.55:
	v_mov_b32_e32 v21, 0
	v_lshl_add_u64 v[14:15], s[4:5], 0, v[20:21]
	v_lshlrev_b32_e32 v20, 1, v18
	v_lshl_add_u64 v[14:15], v[14:15], 0, v[20:21]
	global_load_dwordx4 v[14:17], v[14:15], off offset:128
.LBB387_56:
	s_or_b64 exec, exec, s[2:3]
	s_branch .LBB387_59
.LBB387_57:
                                        ; implicit-def: $vgpr5
                                        ; implicit-def: $vgpr9
                                        ; implicit-def: $vgpr13
                                        ; implicit-def: $vgpr17
	s_cbranch_execz .LBB387_59
; %bb.58:
	s_waitcnt vmcnt(0)
	v_lshlrev_b32_e32 v2, 1, v18
	v_lshl_or_b32 v18, v23, 9, v2
	s_and_b32 s5, s5, 0xffff
	s_mov_b32 s7, 0x20000
	s_movk_i32 s6, 0x4000
	s_movk_i32 s0, 0x80
	buffer_load_dwordx4 v[2:5], v18, s[4:7], 0 offen
	buffer_load_dwordx4 v[6:9], v18, s[4:7], 0 offen offset:256
	buffer_load_dwordx4 v[10:13], v18, s[4:7], s0 offen
	buffer_load_dwordx4 v[14:17], v18, s[4:7], s0 offen offset:256
.LBB387_59:
	ds_read_b64 v[20:21], v25 offset:32768
	v_add_u32_e32 v18, 0xb000, v24
	ds_read2_b64 v[32:35], v18 offset1:16
	ds_read_b64 v[40:41], v26 offset:32768
	ds_read_b64 v[26:27], v27 offset:32768
	;; [unrolled: 1-line block ×3, first 2 shown]
	v_and_b32_e32 v18, 6, v0
	v_xor_b32_e32 v23, v23, v18
	v_lshlrev_b32_e32 v23, 2, v23
	v_and_b32_e32 v0, 1, v0
	v_xor_b32_e32 v28, 0x440, v23
	v_cmp_eq_u32_e32 vcc, 0, v0
	s_waitcnt lgkmcnt(3)
	v_mfma_f32_16x16x16_bf16 a[0:3], v[20:21], v[32:33], a[0:3]
	s_mov_b32 s0, 0x1000504
	v_cndmask_b32_e32 v0, v28, v23, vcc
	v_lshl_or_b32 v0, v18, 10, v0
	v_mfma_f32_16x16x16_bf16 a[4:7], v[20:21], v[34:35], a[4:7]
	ds_read2st64_b64 v[32:35], v24 offset0:90 offset1:92
	ds_read2st64_b64 v[36:39], v29 offset0:90 offset1:92
	ds_read_b64 v[20:21], v24 offset:48128
	ds_read_b64 v[24:25], v29 offset:48128
	s_waitcnt vmcnt(0)
	v_perm_b32 v18, v2, v6, s0
	s_waitcnt lgkmcnt(3)
	v_mfma_f32_16x16x16_bf16 a[0:3], v[40:41], v[32:33], a[0:3]
	s_mov_b32 s1, 0x3020706
	v_perm_b32 v2, v2, v6, s1
	v_perm_b32 v6, v10, v14, s1
	s_waitcnt lgkmcnt(2)
	v_mfma_f32_16x16x16_bf16 a[4:7], v[40:41], v[36:37], a[4:7]
	v_mfma_f32_16x16x16_bf16 a[0:3], v[26:27], v[34:35], a[0:3]
	;; [unrolled: 1-line block ×3, first 2 shown]
	s_waitcnt lgkmcnt(1)
	v_mfma_f32_16x16x16_bf16 a[4:7], v[42:43], v[20:21], a[0:3]
	v_perm_b32 v20, v10, v14, s0
	ds_write2st64_b32 v0, v18, v20 offset0:32 offset1:64
	v_xor_b32_e32 v18, 8, v0
	v_add_u32_e32 v10, 0x80, v18
	ds_write2st64_b32 v10, v2, v6 offset0:32 offset1:64
	v_xor_b32_e32 v2, 16, v0
	v_perm_b32 v6, v3, v7, s0
	v_perm_b32 v10, v11, v15, s0
	ds_write2st64_b32 v2, v6, v10 offset0:33 offset1:65
	v_xor_b32_e32 v2, 24, v0
	v_perm_b32 v3, v3, v7, s1
	v_perm_b32 v6, v11, v15, s1
	v_add_u32_e32 v2, 0x80, v2
	ds_write2st64_b32 v2, v3, v6 offset0:33 offset1:65
	v_xor_b32_e32 v2, 32, v0
	v_perm_b32 v3, v4, v8, s0
	v_perm_b32 v6, v12, v16, s0
	s_waitcnt lgkmcnt(4)
	v_mfma_f32_16x16x16_bf16 a[0:3], v[42:43], v[24:25], a[8:11]
	ds_write2st64_b32 v2, v3, v6 offset0:34 offset1:66
	v_xor_b32_e32 v2, 40, v0
	v_perm_b32 v3, v4, v8, s1
	v_perm_b32 v4, v12, v16, s1
	v_add_u32_e32 v2, 0x80, v2
	ds_write2st64_b32 v2, v3, v4 offset0:34 offset1:66
	v_xor_b32_e32 v2, 48, v0
	v_perm_b32 v3, v5, v9, s0
	v_perm_b32 v4, v13, v17, s0
	v_xor_b32_e32 v0, 56, v0
	v_and_or_b32 v21, v30, 12, v1
	ds_write2st64_b32 v2, v3, v4 offset0:35 offset1:67
	v_perm_b32 v2, v5, v9, s1
	v_perm_b32 v3, v13, v17, s1
	v_add_u32_e32 v0, 0x80, v0
	v_cmp_gt_i32_e32 vcc, s27, v21
	v_mov_b32_e32 v16, 0
	v_mov_b32_e32 v18, 0
	ds_write2st64_b32 v0, v2, v3 offset0:35 offset1:67
	s_and_saveexec_b64 s[0:1], vcc
	s_cbranch_execz .LBB387_61
; %bb.60:
	v_add_u32_e32 v0, s26, v21
	v_ashrrev_i32_e32 v1, 31, v0
	v_mul_lo_u32 v2, v1, s30
	v_mul_lo_u32 v3, v0, s31
	v_mad_u64_u32 v[0:1], s[2:3], v0, s30, 0
	v_add3_u32 v1, v1, v3, v2
	v_lshl_add_u64 v[0:1], v[0:1], 2, s[10:11]
	global_load_dword v0, v[0:1], off
	s_waitcnt vmcnt(0)
	v_sub_f32_e32 v0, s12, v0
	v_exp_f32_e32 v18, v0
.LBB387_61:
	s_or_b64 exec, exec, s[0:1]
	v_or_b32_e32 v10, 1, v21
	v_cmp_gt_i32_e64 s[2:3], s27, v10
	s_and_saveexec_b64 s[0:1], s[2:3]
	s_cbranch_execz .LBB387_63
; %bb.62:
	v_add_u32_e32 v0, s26, v10
	v_ashrrev_i32_e32 v1, 31, v0
	v_mul_lo_u32 v2, v1, s30
	v_mul_lo_u32 v3, v0, s31
	v_mad_u64_u32 v[0:1], s[4:5], v0, s30, 0
	v_add3_u32 v1, v1, v3, v2
	v_lshl_add_u64 v[0:1], v[0:1], 2, s[10:11]
	global_load_dword v0, v[0:1], off
	s_waitcnt vmcnt(0)
	v_sub_f32_e32 v0, s12, v0
	v_exp_f32_e32 v16, v0
.LBB387_63:
	s_or_b64 exec, exec, s[0:1]
	v_or_b32_e32 v12, 2, v21
	v_cmp_gt_i32_e64 s[0:1], s27, v12
	v_mov_b32_e32 v17, 0
	v_mov_b32_e32 v20, 0
	s_and_saveexec_b64 s[4:5], s[0:1]
	s_cbranch_execz .LBB387_65
; %bb.64:
	v_add_u32_e32 v0, s26, v12
	v_ashrrev_i32_e32 v1, 31, v0
	v_mul_lo_u32 v2, v1, s30
	v_mul_lo_u32 v3, v0, s31
	v_mad_u64_u32 v[0:1], s[6:7], v0, s30, 0
	v_add3_u32 v1, v1, v3, v2
	v_lshl_add_u64 v[0:1], v[0:1], 2, s[10:11]
	global_load_dword v0, v[0:1], off
	s_waitcnt vmcnt(0)
	v_sub_f32_e32 v0, s12, v0
	v_exp_f32_e32 v20, v0
.LBB387_65:
	s_or_b64 exec, exec, s[4:5]
	v_or_b32_e32 v14, 3, v21
	v_cmp_gt_i32_e64 s[4:5], s27, v14
	s_and_saveexec_b64 s[6:7], s[4:5]
	s_cbranch_execz .LBB387_67
; %bb.66:
	v_add_u32_e32 v0, s26, v14
	v_ashrrev_i32_e32 v1, 31, v0
	v_mul_lo_u32 v2, v1, s30
	v_mul_lo_u32 v3, v0, s31
	v_mad_u64_u32 v[0:1], s[14:15], v0, s30, 0
	v_add3_u32 v1, v1, v3, v2
	v_lshl_add_u64 v[0:1], v[0:1], 2, s[10:11]
	global_load_dword v0, v[0:1], off
	s_waitcnt vmcnt(0)
	v_sub_f32_e32 v0, s12, v0
	v_exp_f32_e32 v17, v0
.LBB387_67:
	s_or_b64 exec, exec, s[6:7]
	s_add_u32 s6, s8, s20
	s_addc_u32 s7, s9, s21
	s_add_u32 s8, s28, s20
	v_ashrrev_i32_e32 v63, 31, v62
	v_accvgpr_read_b32 v0, a4
	s_addc_u32 s9, s29, s21
	v_lshlrev_b64 v[4:5], 1, v[62:63]
	v_accvgpr_read_b32 v1, a5
	v_accvgpr_read_b32 v2, a6
	;; [unrolled: 1-line block ×3, first 2 shown]
	v_lshl_add_u64 v[6:7], s[6:7], 0, v[4:5]
	v_lshl_add_u64 v[4:5], s[8:9], 0, v[4:5]
	v_mov_b32_e32 v11, 0
	v_lshlrev_b32_e32 v8, 8, v21
	v_mov_b32_e32 v9, 0
	s_and_saveexec_b64 s[6:7], vcc
	s_cbranch_execz .LBB387_69
; %bb.68:
	v_mov_b32_e32 v9, 0
	v_lshl_add_u64 v[24:25], v[6:7], 0, v[8:9]
	global_load_ushort v13, v[24:25], off
	v_lshl_add_u64 v[24:25], v[4:5], 0, v[8:9]
	s_waitcnt vmcnt(0)
	v_lshlrev_b32_e32 v9, 16, v13
	v_sub_f32_e32 v0, v9, v0
	global_store_short_d16_hi v[24:25], v0, off
	v_mul_f32_e32 v0, v18, v0
	v_lshrrev_b32_e32 v9, 16, v0
.LBB387_69:
	s_or_b64 exec, exec, s[6:7]
	v_lshlrev_b32_e32 v10, 8, v10
	s_and_saveexec_b64 s[6:7], s[2:3]
	s_cbranch_execz .LBB387_71
; %bb.70:
	v_mov_b32_e32 v11, 0
	v_lshl_add_u64 v[24:25], v[6:7], 0, v[10:11]
	global_load_ushort v0, v[24:25], off
	v_lshl_add_u64 v[24:25], v[4:5], 0, v[10:11]
	s_waitcnt vmcnt(0)
	v_lshlrev_b32_e32 v0, 16, v0
	v_sub_f32_e32 v0, v0, v1
	global_store_short_d16_hi v[24:25], v0, off
	v_mul_f32_e32 v0, v16, v0
	v_lshrrev_b32_e32 v11, 16, v0
.LBB387_71:
	s_or_b64 exec, exec, s[6:7]
	v_mov_b32_e32 v15, 0
	v_lshlrev_b32_e32 v12, 8, v12
	v_mov_b32_e32 v13, 0
	s_and_saveexec_b64 s[6:7], s[0:1]
	s_cbranch_execz .LBB387_73
; %bb.72:
	v_mov_b32_e32 v13, 0
	v_lshl_add_u64 v[0:1], v[6:7], 0, v[12:13]
	global_load_ushort v23, v[0:1], off
	v_lshl_add_u64 v[0:1], v[4:5], 0, v[12:13]
	s_waitcnt vmcnt(0)
	v_lshlrev_b32_e32 v13, 16, v23
	v_sub_f32_e32 v2, v13, v2
	global_store_short_d16_hi v[0:1], v2, off
	v_mul_f32_e32 v0, v20, v2
	v_lshrrev_b32_e32 v13, 16, v0
.LBB387_73:
	s_or_b64 exec, exec, s[6:7]
	v_lshlrev_b32_e32 v14, 8, v14
	s_and_saveexec_b64 s[6:7], s[4:5]
	s_cbranch_execz .LBB387_75
; %bb.74:
	v_mov_b32_e32 v15, 0
	v_lshl_add_u64 v[0:1], v[6:7], 0, v[14:15]
	global_load_ushort v2, v[0:1], off
	v_lshl_add_u64 v[0:1], v[4:5], 0, v[14:15]
	s_waitcnt vmcnt(0)
	v_lshlrev_b32_e32 v2, 16, v2
	v_sub_f32_e32 v2, v2, v3
	global_store_short_d16_hi v[0:1], v2, off
	v_mul_f32_e32 v0, v17, v2
	v_lshrrev_b32_e32 v15, 16, v0
.LBB387_75:
	s_or_b64 exec, exec, s[6:7]
	v_lshlrev_b32_e32 v21, 5, v21
	s_mov_b32 s6, 0x5040100
	v_perm_b32 v24, v11, v9, s6
	v_or_b32_e32 v9, v21, v22
	v_accvgpr_read_b32 v0, a0
	v_perm_b32 v25, v15, v13, s6
	v_lshlrev_b32_e32 v9, 1, v9
	v_accvgpr_read_b32 v1, a1
	v_accvgpr_read_b32 v2, a2
	v_accvgpr_read_b32 v3, a3
	ds_write_b64 v9, v[24:25] offset:45056
	v_mov_b32_e32 v11, 0
	v_mov_b32_e32 v9, 0
	s_and_saveexec_b64 s[6:7], vcc
	s_cbranch_execz .LBB387_77
; %bb.76:
	v_mov_b32_e32 v9, 0
	v_lshl_add_u64 v[22:23], v[6:7], 0, v[8:9]
	global_load_ushort v13, v[22:23], off offset:32
	v_lshl_add_u64 v[8:9], v[4:5], 0, v[8:9]
	s_waitcnt vmcnt(0)
	v_lshlrev_b32_e32 v13, 16, v13
	v_sub_f32_e32 v0, v13, v0
	global_store_short_d16_hi v[8:9], v0, off offset:32
	v_mul_f32_e32 v0, v18, v0
	v_lshrrev_b32_e32 v9, 16, v0
.LBB387_77:
	s_or_b64 exec, exec, s[6:7]
	s_and_saveexec_b64 s[6:7], s[2:3]
	s_cbranch_execz .LBB387_79
; %bb.78:
	v_mov_b32_e32 v11, 0
	v_lshl_add_u64 v[22:23], v[6:7], 0, v[10:11]
	global_load_ushort v0, v[22:23], off offset:32
	v_lshl_add_u64 v[10:11], v[4:5], 0, v[10:11]
	s_waitcnt vmcnt(0)
	v_lshlrev_b32_e32 v0, 16, v0
	v_sub_f32_e32 v0, v0, v1
	global_store_short_d16_hi v[10:11], v0, off offset:32
	v_mul_f32_e32 v0, v16, v0
	v_lshrrev_b32_e32 v11, 16, v0
.LBB387_79:
	s_or_b64 exec, exec, s[6:7]
	v_mov_b32_e32 v0, 0
	v_mov_b32_e32 v1, 0
	s_and_saveexec_b64 s[2:3], s[0:1]
	s_cbranch_execz .LBB387_81
; %bb.80:
	v_mov_b32_e32 v13, 0
	v_lshl_add_u64 v[22:23], v[6:7], 0, v[12:13]
	global_load_ushort v1, v[22:23], off offset:32
	v_lshl_add_u64 v[12:13], v[4:5], 0, v[12:13]
	s_waitcnt vmcnt(0)
	v_lshlrev_b32_e32 v1, 16, v1
	v_sub_f32_e32 v1, v1, v2
	global_store_short_d16_hi v[12:13], v1, off offset:32
	v_mul_f32_e32 v1, v20, v1
	v_lshrrev_b32_e32 v1, 16, v1
.LBB387_81:
	s_or_b64 exec, exec, s[2:3]
	s_and_saveexec_b64 s[0:1], s[4:5]
	s_cbranch_execz .LBB387_83
; %bb.82:
	v_mov_b32_e32 v15, 0
	v_lshl_add_u64 v[6:7], v[6:7], 0, v[14:15]
	global_load_ushort v0, v[6:7], off offset:32
	v_lshl_add_u64 v[4:5], v[4:5], 0, v[14:15]
	s_waitcnt vmcnt(0)
	v_lshlrev_b32_e32 v0, 16, v0
	v_sub_f32_e32 v0, v0, v3
	global_store_short_d16_hi v[4:5], v0, off offset:32
	v_mul_f32_e32 v0, v17, v0
	v_lshrrev_b32_e32 v0, 16, v0
.LBB387_83:
	s_or_b64 exec, exec, s[0:1]
	s_mov_b32 s0, 0x5040100
	v_or_b32_e32 v2, v21, v19
	v_perm_b32 v1, v0, v1, s0
	v_perm_b32 v0, v11, v9, s0
	v_lshlrev_b32_e32 v2, 1, v2
	ds_write_b64 v2, v[0:1] offset:45056
	s_waitcnt lgkmcnt(0)
	s_barrier
.LBB387_84:
	s_endpgm
	.section	.rodata,"a",@progbits
	.p2align	6, 0x0
	.amdhsa_kernel _ZN12_GLOBAL__N_139chunk_gated_delta_rule_fwd_h_hip_kernelILi32ELb1ELb0ELb1ELb1ELb1ELb1ELb1ELb0EEEvPK12hip_bfloat16S3_S3_PKfS5_PKvPS1_S8_PvPKiSB_iiiiilll
		.amdhsa_group_segment_fixed_size 49152
		.amdhsa_private_segment_fixed_size 0
		.amdhsa_kernarg_size 136
		.amdhsa_user_sgpr_count 2
		.amdhsa_user_sgpr_dispatch_ptr 0
		.amdhsa_user_sgpr_queue_ptr 0
		.amdhsa_user_sgpr_kernarg_segment_ptr 1
		.amdhsa_user_sgpr_dispatch_id 0
		.amdhsa_user_sgpr_kernarg_preload_length 0
		.amdhsa_user_sgpr_kernarg_preload_offset 0
		.amdhsa_user_sgpr_private_segment_size 0
		.amdhsa_uses_dynamic_stack 0
		.amdhsa_enable_private_segment 0
		.amdhsa_system_sgpr_workgroup_id_x 1
		.amdhsa_system_sgpr_workgroup_id_y 1
		.amdhsa_system_sgpr_workgroup_id_z 0
		.amdhsa_system_sgpr_workgroup_info 0
		.amdhsa_system_vgpr_workitem_id 0
		.amdhsa_next_free_vgpr 164
		.amdhsa_next_free_sgpr 64
		.amdhsa_accum_offset 144
		.amdhsa_reserve_vcc 1
		.amdhsa_float_round_mode_32 0
		.amdhsa_float_round_mode_16_64 0
		.amdhsa_float_denorm_mode_32 3
		.amdhsa_float_denorm_mode_16_64 3
		.amdhsa_dx10_clamp 1
		.amdhsa_ieee_mode 1
		.amdhsa_fp16_overflow 0
		.amdhsa_tg_split 0
		.amdhsa_exception_fp_ieee_invalid_op 0
		.amdhsa_exception_fp_denorm_src 0
		.amdhsa_exception_fp_ieee_div_zero 0
		.amdhsa_exception_fp_ieee_overflow 0
		.amdhsa_exception_fp_ieee_underflow 0
		.amdhsa_exception_fp_ieee_inexact 0
		.amdhsa_exception_int_div_zero 0
	.end_amdhsa_kernel
	.section	.text._ZN12_GLOBAL__N_139chunk_gated_delta_rule_fwd_h_hip_kernelILi32ELb1ELb0ELb1ELb1ELb1ELb1ELb1ELb0EEEvPK12hip_bfloat16S3_S3_PKfS5_PKvPS1_S8_PvPKiSB_iiiiilll,"axG",@progbits,_ZN12_GLOBAL__N_139chunk_gated_delta_rule_fwd_h_hip_kernelILi32ELb1ELb0ELb1ELb1ELb1ELb1ELb1ELb0EEEvPK12hip_bfloat16S3_S3_PKfS5_PKvPS1_S8_PvPKiSB_iiiiilll,comdat
.Lfunc_end387:
	.size	_ZN12_GLOBAL__N_139chunk_gated_delta_rule_fwd_h_hip_kernelILi32ELb1ELb0ELb1ELb1ELb1ELb1ELb1ELb0EEEvPK12hip_bfloat16S3_S3_PKfS5_PKvPS1_S8_PvPKiSB_iiiiilll, .Lfunc_end387-_ZN12_GLOBAL__N_139chunk_gated_delta_rule_fwd_h_hip_kernelILi32ELb1ELb0ELb1ELb1ELb1ELb1ELb1ELb0EEEvPK12hip_bfloat16S3_S3_PKfS5_PKvPS1_S8_PvPKiSB_iiiiilll
                                        ; -- End function
	.section	.AMDGPU.csdata,"",@progbits
; Kernel info:
; codeLenInByte = 8684
; NumSgprs: 70
; NumVgprs: 142
; NumAgprs: 20
; TotalNumVgprs: 164
; ScratchSize: 0
; MemoryBound: 0
; FloatMode: 240
; IeeeMode: 1
; LDSByteSize: 49152 bytes/workgroup (compile time only)
; SGPRBlocks: 8
; VGPRBlocks: 20
; NumSGPRsForWavesPerEU: 70
; NumVGPRsForWavesPerEU: 164
; AccumOffset: 144
; Occupancy: 1
; WaveLimiterHint : 1
; COMPUTE_PGM_RSRC2:SCRATCH_EN: 0
; COMPUTE_PGM_RSRC2:USER_SGPR: 2
; COMPUTE_PGM_RSRC2:TRAP_HANDLER: 0
; COMPUTE_PGM_RSRC2:TGID_X_EN: 1
; COMPUTE_PGM_RSRC2:TGID_Y_EN: 1
; COMPUTE_PGM_RSRC2:TGID_Z_EN: 0
; COMPUTE_PGM_RSRC2:TIDIG_COMP_CNT: 0
; COMPUTE_PGM_RSRC3_GFX90A:ACCUM_OFFSET: 35
; COMPUTE_PGM_RSRC3_GFX90A:TG_SPLIT: 0
	.section	.text._ZN12_GLOBAL__N_139chunk_gated_delta_rule_fwd_h_hip_kernelILi32ELb1ELb0ELb0ELb1ELb1ELb1ELb1ELb0EEEvPK12hip_bfloat16S3_S3_PKfS5_PKvPS1_S8_PvPKiSB_iiiiilll,"axG",@progbits,_ZN12_GLOBAL__N_139chunk_gated_delta_rule_fwd_h_hip_kernelILi32ELb1ELb0ELb0ELb1ELb1ELb1ELb1ELb0EEEvPK12hip_bfloat16S3_S3_PKfS5_PKvPS1_S8_PvPKiSB_iiiiilll,comdat
	.globl	_ZN12_GLOBAL__N_139chunk_gated_delta_rule_fwd_h_hip_kernelILi32ELb1ELb0ELb0ELb1ELb1ELb1ELb1ELb0EEEvPK12hip_bfloat16S3_S3_PKfS5_PKvPS1_S8_PvPKiSB_iiiiilll ; -- Begin function _ZN12_GLOBAL__N_139chunk_gated_delta_rule_fwd_h_hip_kernelILi32ELb1ELb0ELb0ELb1ELb1ELb1ELb1ELb0EEEvPK12hip_bfloat16S3_S3_PKfS5_PKvPS1_S8_PvPKiSB_iiiiilll
	.p2align	8
	.type	_ZN12_GLOBAL__N_139chunk_gated_delta_rule_fwd_h_hip_kernelILi32ELb1ELb0ELb0ELb1ELb1ELb1ELb1ELb0EEEvPK12hip_bfloat16S3_S3_PKfS5_PKvPS1_S8_PvPKiSB_iiiiilll,@function
_ZN12_GLOBAL__N_139chunk_gated_delta_rule_fwd_h_hip_kernelILi32ELb1ELb0ELb0ELb1ELb1ELb1ELb1ELb0EEEvPK12hip_bfloat16S3_S3_PKfS5_PKvPS1_S8_PvPKiSB_iiiiilll: ; @_ZN12_GLOBAL__N_139chunk_gated_delta_rule_fwd_h_hip_kernelILi32ELb1ELb0ELb0ELb1ELb1ELb1ELb1ELb0EEEvPK12hip_bfloat16S3_S3_PKfS5_PKvPS1_S8_PvPKiSB_iiiiilll
; %bb.0:
	s_load_dwordx4 s[12:15], s[0:1], 0x5c
	s_load_dwordx4 s[20:23], s[0:1], 0x70
	s_abs_i32 s9, s3
	s_ashr_i32 s8, s3, 31
	s_load_dwordx4 s[4:7], s[0:1], 0x48
	s_waitcnt lgkmcnt(0)
	s_abs_i32 s10, s13
	v_cvt_f32_u32_e32 v1, s10
	s_sub_i32 s16, 0, s10
	s_ashr_i32 s11, s13, 31
	s_xor_b32 s8, s8, s11
	v_rcp_iflag_f32_e32 v1, v1
	v_and_b32_e32 v72, 15, v0
	v_lshrrev_b32_e32 v70, 6, v0
	v_bfe_u32 v71, v0, 4, 2
	v_mul_f32_e32 v1, 0x4f7ffffe, v1
	v_cvt_u32_f32_e32 v1, v1
	v_mov_b32_e32 v7, 0
	v_and_b32_e32 v61, 63, v0
	v_lshrrev_b32_e32 v74, 3, v61
	v_readfirstlane_b32 s17, v1
	s_mul_i32 s16, s16, s17
	s_mul_hi_u32 s16, s17, s16
	s_add_i32 s17, s17, s16
	s_mul_hi_u32 s16, s9, s17
	s_mul_i32 s17, s16, s10
	s_sub_i32 s9, s9, s17
	s_add_i32 s18, s16, 1
	s_sub_i32 s17, s9, s10
	s_cmp_ge_u32 s9, s10
	s_cselect_b32 s16, s18, s16
	s_cselect_b32 s9, s17, s9
	s_add_i32 s17, s16, 1
	s_cmp_ge_u32 s9, s10
	s_cselect_b32 s9, s17, s16
	s_load_dwordx4 s[16:19], s[0:1], 0x28
	s_xor_b32 s9, s9, s8
	s_sub_i32 s24, s9, s8
	s_mul_i32 s28, s24, s13
	s_ashr_i32 s25, s24, 31
	s_sub_i32 s47, s3, s28
	s_lshl_b64 s[8:9], s[24:25], 2
	s_add_u32 s4, s4, s8
	s_addc_u32 s5, s5, s9
	s_add_u32 s26, s6, s8
	s_addc_u32 s27, s7, s9
	s_abs_i32 s3, s14
	v_cvt_f32_u32_e32 v1, s3
	s_load_dwordx2 s[30:31], s[4:5], 0x0
	s_lshl_b32 s38, s2, 5
	s_ashr_i32 s2, s14, 31
	v_rcp_iflag_f32_e32 v1, v1
	s_xor_b32 s2, s11, s2
	s_waitcnt lgkmcnt(0)
	s_sub_i32 s50, s31, s30
	s_ashr_i32 s4, s50, 31
	v_mul_f32_e32 v1, 0x4f7ffffe, v1
	v_cvt_u32_f32_e32 v1, v1
	s_lshr_b32 s4, s4, 26
	s_add_i32 s4, s50, s4
	s_ashr_i32 s48, s4, 6
	s_sub_i32 s4, 0, s3
	v_readfirstlane_b32 s5, v1
	s_mul_i32 s4, s4, s5
	s_mul_hi_u32 s4, s5, s4
	s_add_i32 s5, s5, s4
	s_mul_hi_u32 s4, s10, s5
	s_mul_i32 s5, s4, s3
	s_sub_i32 s5, s10, s5
	s_add_i32 s6, s4, 1
	s_sub_i32 s7, s5, s3
	s_cmp_ge_u32 s5, s3
	s_cselect_b32 s4, s6, s4
	s_cselect_b32 s5, s7, s5
	s_add_i32 s6, s4, 1
	s_cmp_ge_u32 s5, s3
	s_cselect_b32 s3, s6, s4
	s_xor_b32 s3, s3, s2
	s_sub_i32 s2, s3, s2
	s_abs_i32 s3, s2
	v_cvt_f32_u32_e32 v1, s3
	s_sub_i32 s5, 0, s3
	s_abs_i32 s4, s47
	s_xor_b32 s2, s47, s2
	v_rcp_iflag_f32_e32 v1, v1
	s_ashr_i32 s2, s2, 31
	v_or_b32_e32 v62, s38, v72
	v_lshlrev_b32_e32 v2, 7, v62
	v_mul_f32_e32 v1, 0x4f7ffffe, v1
	v_cvt_u32_f32_e32 v1, v1
	v_ashrrev_i32_e32 v3, 31, v2
	s_mul_hi_i32 s53, s47, s12
	s_mul_i32 s54, s47, s12
	v_readfirstlane_b32 s6, v1
	s_mul_i32 s5, s5, s6
	s_mul_hi_u32 s5, s6, s5
	s_add_i32 s6, s6, s5
	s_mul_hi_u32 s5, s4, s6
	s_mul_i32 s6, s5, s3
	s_sub_i32 s4, s4, s6
	s_add_i32 s6, s5, 1
	s_sub_i32 s7, s4, s3
	s_cmp_ge_u32 s4, s3
	s_cselect_b32 s5, s6, s5
	s_cselect_b32 s4, s7, s4
	s_add_i32 s6, s5, 1
	s_cmp_ge_u32 s4, s3
	s_cselect_b32 s3, s6, s5
	s_xor_b32 s3, s3, s2
	s_sub_i32 s51, s3, s2
	s_ashr_i32 s49, s47, 31
	s_mul_hi_i32 s3, s24, s13
	s_add_u32 s2, s28, s47
	s_addc_u32 s3, s3, s49
	s_lshl_b64 s[2:3], s[2:3], 16
	s_add_u32 s2, s16, s2
	s_addc_u32 s3, s17, s3
	v_lshlrev_b32_e32 v1, 4, v70
	v_lshl_add_u64 v[4:5], v[2:3], 2, s[2:3]
	v_or_b32_e32 v2, 0x800, v2
	v_lshl_or_b32 v75, v71, 2, v1
	v_ashrrev_i32_e32 v3, 31, v2
	v_lshlrev_b32_e32 v6, 2, v75
	v_lshl_add_u64 v[2:3], v[2:3], 2, s[2:3]
	v_lshl_add_u64 v[4:5], v[4:5], 0, v[6:7]
	;; [unrolled: 1-line block ×3, first 2 shown]
	global_load_dwordx4 v[14:17], v[4:5], off
	global_load_dwordx4 v[10:13], v[4:5], off offset:256
	global_load_dwordx4 v[6:9], v[18:19], off
	s_nop 0
	global_load_dwordx4 v[2:5], v[18:19], off offset:256
	s_load_dwordx8 s[4:11], s[0:1], 0x0
	s_load_dwordx2 s[28:29], s[0:1], 0x80
	s_load_dword s52, s[26:27], 0x0
	v_or_b32_e32 v76, 64, v75
	s_cmp_lt_i32 s50, 64
	v_lshlrev_b32_e32 v73, 3, v0
	s_mul_i32 s33, s24, s21
	s_mul_hi_u32 s43, s24, s20
	s_mul_i32 s44, s25, s20
	s_mul_i32 s34, s24, s20
	;; [unrolled: 1-line block ×3, first 2 shown]
	s_mul_hi_u32 s45, s47, s22
	s_mul_i32 s46, s49, s22
	s_mul_i32 s36, s47, s22
	s_cbranch_scc1 .LBB388_3
; %bb.1:
	s_ashr_i32 s3, s30, 31
	s_add_u32 s2, s54, s30
	s_addc_u32 s3, s53, s3
	s_lshl_b64 s[2:3], s[2:3], 8
	v_and_b32_e32 v78, 56, v73
	s_waitcnt lgkmcnt(0)
	s_add_u32 s20, s6, s2
	v_lshl_or_b32 v77, v70, 3, v74
	v_lshlrev_b32_e32 v18, 1, v78
	s_addc_u32 s2, s7, s3
	v_lshl_or_b32 v79, v77, 8, v18
	s_and_b32 s21, s2, 0xffff
	s_mov_b32 s23, 0x20000
	s_movk_i32 s22, 0x4000
	s_movk_i32 s2, 0x80
	v_or_b32_e32 v80, 0x2000, v79
	buffer_load_dwordx4 v[20:23], v79, s[20:23], 0 offen
	buffer_load_dwordx4 v[24:27], v79, s[20:23], s2 offen
	;; [unrolled: 1-line block ×4, first 2 shown]
	v_lshlrev_b32_e32 v19, 3, v77
	v_and_or_b32 v37, v0, 7, v19
	v_and_b32_e32 v19, 0x78, v19
	v_lshlrev_b32_e32 v37, 4, v37
	v_xor_b32_e32 v81, v37, v19
	v_mul_lo_u32 v36, v77, s15
	v_or_b32_e32 v82, 0x1000, v81
	v_xor_b32_e32 v19, 8, v81
	s_cmpk_eq_i32 s15, 0x80
	s_mov_b32 s55, s30
	v_xor_b32_e32 v37, 8, v82
	s_cselect_b64 s[2:3], -1, 0
	s_cmpk_lg_i32 s15, 0x80
	s_waitcnt vmcnt(3)
	ds_write_b64 v81, v[20:21] offset:24576
	ds_write_b64 v19, v[22:23] offset:24576
	s_waitcnt vmcnt(2)
	ds_write_b64 v81, v[24:25] offset:32768
	ds_write_b64 v19, v[26:27] offset:32768
	;; [unrolled: 3-line block ×4, first 2 shown]
	v_lshl_add_u32 v19, v36, 1, v78
	s_cbranch_scc0 .LBB388_29
; %bb.2:
	v_lshlrev_b32_e32 v21, 1, v19
	v_add_lshl_u32 v20, v19, s15, 1
	s_lshl_b32 s22, s15, 7
	s_load_dwordx2 s[16:17], s[0:1], 0x20
	v_lshl_or_b32 v18, v77, 9, v18
	s_cbranch_execz .LBB388_30
	s_branch .LBB388_31
.LBB388_3:
	s_waitcnt vmcnt(0)
	v_mov_b32_e32 v21, v5
	v_mov_b32_e32 v25, v9
.LBB388_4:
	s_lshl_b32 s26, s48, 6
	s_sub_i32 s27, s50, s26
	s_cmp_gt_i32 s27, 0
	s_cbranch_scc0 .LBB388_84
; %bb.5:
	s_add_i32 s26, s26, s30
	s_ashr_i32 s2, s26, 31
	s_cmpk_lg_i32 s15, 0x80
	s_cselect_b64 s[22:23], -1, 0
	s_and_b64 vcc, exec, s[22:23]
	s_cbranch_vccz .LBB388_7
; %bb.6:
	s_mul_i32 s1, s26, s14
	s_ashr_i32 s3, s51, 31
	s_mul_hi_i32 s0, s26, s14
	s_add_u32 s24, s1, s51
	s_addc_u32 s25, s0, s3
	s_cbranch_execz .LBB388_8
	s_branch .LBB388_9
.LBB388_7:
                                        ; implicit-def: $sgpr24_sgpr25
.LBB388_8:
	s_mul_i32 s1, s51, s12
	s_mul_hi_i32 s0, s51, s12
	s_add_u32 s24, s1, s26
	s_addc_u32 s25, s0, s2
.LBB388_9:
	s_waitcnt lgkmcnt(0)
	s_add_i32 s3, s48, s52
	s_add_u32 s0, s54, s26
	s_addc_u32 s1, s53, s2
	v_lshlrev_b32_e32 v18, 5, v75
	v_lshlrev_b32_e32 v22, 2, v72
	s_mov_b32 s2, 0x7060302
	v_perm_b32 v13, v13, v12, s2
	v_perm_b32 v12, v11, v10, s2
	v_or_b32_e32 v10, v18, v22
	v_xor_b32_e32 v5, v75, v22
	v_perm_b32 v17, v17, v16, s2
	v_perm_b32 v16, v15, v14, s2
	v_lshlrev_b32_e32 v10, 1, v10
	ds_write2st64_b64 v10, v[16:17], v[12:13] offset0:80 offset1:88
	v_lshlrev_b32_e32 v10, 1, v5
	v_lshlrev_b32_e32 v5, 8, v72
	s_lshl_b64 s[20:21], s[0:1], 8
	v_xor_b32_e32 v9, v76, v22
	v_or_b32_e32 v11, v10, v5
	s_add_u32 s0, s6, s20
	ds_write_b64 v11, v[16:17]
	v_lshlrev_b32_e32 v11, 1, v9
	s_addc_u32 s1, s7, s21
	v_or_b32_e32 v5, v11, v5
	s_mul_hi_i32 s6, s3, s13
	s_mul_i32 s3, s3, s13
	ds_write_b64 v5, v[12:13]
	v_perm_b32 v9, v25, v8, s2
	v_perm_b32 v8, v7, v6, s2
	;; [unrolled: 1-line block ×4, first 2 shown]
	s_add_u32 s2, s3, s47
	v_or_b32_e32 v2, 16, v72
	s_addc_u32 s3, s6, s49
	v_lshlrev_b32_e32 v19, 2, v2
	s_ashr_i32 s39, s38, 31
	s_lshl_b64 s[2:3], s[2:3], 15
	v_or_b32_e32 v3, v18, v19
	s_add_u32 s6, s18, s2
	v_lshlrev_b32_e32 v3, 1, v3
	v_lshlrev_b32_e32 v2, 8, v2
	s_addc_u32 s7, s19, s3
	s_lshl_b64 s[2:3], s[38:39], 8
	ds_write2st64_b64 v3, v[8:9], v[4:5] offset0:80 offset1:88
	v_or_b32_e32 v3, v10, v2
	v_or_b32_e32 v2, v11, v2
	s_add_u32 s2, s6, s2
	ds_write_b64 v3, v[8:9]
	ds_write_b64 v2, v[4:5]
	v_lshrrev_b32_e32 v2, 4, v0
	s_addc_u32 s3, s7, s3
	v_lshlrev_b32_e32 v3, 1, v72
	v_lshlrev_b32_e32 v10, 4, v72
	v_mov_b32_e32 v11, 0
	v_or_b32_e32 v4, 1, v3
	v_xor_b32_e32 v3, v2, v3
	v_lshl_add_u64 v[12:13], s[2:3], 0, v[10:11]
	v_lshlrev_b32_e32 v10, 8, v2
	v_xor_b32_e32 v6, v4, v2
	v_lshl_or_b32 v2, v3, 3, v10
	s_waitcnt lgkmcnt(0)
	s_barrier
	ds_read2st64_b64 v[2:5], v2 offset1:8
	v_lshl_or_b32 v6, v6, 3, v10
	ds_read2st64_b64 v[6:9], v6 offset1:8
	v_lshl_add_u64 v[14:15], v[12:13], 0, v[10:11]
	s_movk_i32 s2, 0x1000
	s_waitcnt lgkmcnt(1)
	v_mov_b32_e32 v10, v2
	v_add_co_u32_e32 v2, vcc, s2, v14
	s_cmp_lg_u32 s27, 64
	v_mov_b32_e32 v11, v3
	v_addc_co_u32_e32 v3, vcc, 0, v15, vcc
	s_cselect_b64 s[6:7], -1, 0
	v_lshl_or_b32 v23, v70, 3, v74
	s_waitcnt lgkmcnt(0)
	v_mov_b32_e32 v12, v6
	v_mov_b32_e32 v13, v7
	;; [unrolled: 1-line block ×4, first 2 shown]
	s_mov_b32 s16, 0
	v_or_b32_e32 v20, 32, v23
	v_and_b32_e32 v18, 56, v73
	s_and_b64 vcc, exec, s[6:7]
	global_store_dwordx4 v[14:15], v[10:13], off
	global_store_dwordx4 v[2:3], v[6:9], off
	s_cbranch_vccz .LBB388_15
; %bb.10:
	s_mov_b32 s17, s16
	s_mov_b32 s18, s16
	;; [unrolled: 1-line block ×3, first 2 shown]
	v_mov_b64_e32 v[6:7], s[16:17]
	v_mov_b64_e32 v[8:9], s[18:19]
	;; [unrolled: 1-line block ×3, first 2 shown]
	v_cmp_gt_i32_e32 vcc, s27, v23
	v_mov_b64_e32 v[4:5], v[8:9]
	s_and_saveexec_b64 s[2:3], vcc
	s_cbranch_execz .LBB388_12
; %bb.11:
	v_lshlrev_b32_e32 v2, 8, v23
	v_mov_b32_e32 v3, 0
	v_lshl_add_u64 v[4:5], s[0:1], 0, v[2:3]
	v_lshlrev_b32_e32 v2, 1, v18
	v_lshl_add_u64 v[10:11], v[4:5], 0, v[2:3]
	global_load_dwordx4 v[6:9], v[10:11], off
	global_load_dwordx4 v[2:5], v[10:11], off offset:128
.LBB388_12:
	s_or_b64 exec, exec, s[2:3]
	s_mov_b32 s17, s16
	s_mov_b32 s18, s16
	;; [unrolled: 1-line block ×3, first 2 shown]
	v_mov_b64_e32 v[14:15], s[16:17]
	v_mov_b64_e32 v[16:17], s[18:19]
	;; [unrolled: 1-line block ×3, first 2 shown]
	v_cmp_gt_i32_e32 vcc, s27, v20
	v_lshlrev_b32_e32 v21, 7, v20
	v_mov_b64_e32 v[12:13], v[16:17]
	s_and_saveexec_b64 s[2:3], vcc
	s_cbranch_execz .LBB388_14
; %bb.13:
	v_lshlrev_b32_e32 v10, 1, v21
	v_mov_b32_e32 v11, 0
	v_lshl_add_u64 v[12:13], s[0:1], 0, v[10:11]
	v_lshlrev_b32_e32 v10, 1, v18
	v_lshl_add_u64 v[24:25], v[12:13], 0, v[10:11]
	global_load_dwordx4 v[14:17], v[24:25], off
	global_load_dwordx4 v[10:13], v[24:25], off offset:128
.LBB388_14:
	s_or_b64 exec, exec, s[2:3]
	v_lshrrev_b32_e32 v24, 3, v18
	v_lshlrev_b32_e32 v25, 3, v23
	v_or_b32_e32 v24, v25, v24
	v_lshlrev_b32_e32 v24, 4, v24
	v_and_b32_e32 v25, 0x78, v25
	v_xor_b32_e32 v24, v24, v25
	s_branch .LBB388_17
.LBB388_15:
                                        ; implicit-def: $vgpr24
                                        ; implicit-def: $vgpr21
                                        ; implicit-def: $vgpr6_vgpr7_vgpr8_vgpr9
                                        ; implicit-def: $vgpr2_vgpr3_vgpr4_vgpr5
                                        ; implicit-def: $vgpr14_vgpr15_vgpr16_vgpr17
                                        ; implicit-def: $vgpr10_vgpr11_vgpr12_vgpr13
	s_cbranch_execz .LBB388_17
; %bb.16:
	s_waitcnt vmcnt(0)
	v_lshlrev_b32_e32 v2, 1, v18
	v_lshl_or_b32 v21, v23, 8, v2
	s_and_b32 s1, s1, 0xffff
	s_mov_b32 s3, 0x20000
	s_movk_i32 s2, 0x4000
	v_lshl_or_b32 v24, v20, 8, v2
	s_movk_i32 s12, 0x80
	buffer_load_dwordx4 v[6:9], v21, s[0:3], 0 offen
	buffer_load_dwordx4 v[2:5], v21, s[0:3], s12 offen
	;; [unrolled: 1-line block ×4, first 2 shown]
	v_lshrrev_b32_e32 v21, 3, v18
	v_lshlrev_b32_e32 v24, 3, v23
	v_or_b32_e32 v21, v24, v21
	v_lshlrev_b32_e32 v21, 4, v21
	v_and_b32_e32 v24, 0x78, v24
	v_xor_b32_e32 v24, v21, v24
	v_lshlrev_b32_e32 v21, 7, v20
.LBB388_17:
	s_lshl_b64 s[0:1], s[24:25], 8
	s_add_u32 s4, s4, s0
	s_movk_i32 s0, 0x1000
	v_and_or_b32 v20, v21, s0, v24
	s_waitcnt vmcnt(1)
	ds_write_b64 v24, v[6:7] offset:24576
	v_xor_b32_e32 v6, 8, v24
	ds_write_b64 v6, v[8:9] offset:24576
	s_waitcnt vmcnt(0)
	ds_write_b64 v24, v[2:3] offset:32768
	ds_write_b64 v6, v[4:5] offset:32768
	;; [unrolled: 1-line block ×3, first 2 shown]
	v_xor_b32_e32 v2, 8, v20
	ds_write_b64 v2, v[16:17] offset:24576
	ds_write_b64 v20, v[10:11] offset:32768
	;; [unrolled: 1-line block ×3, first 2 shown]
	v_or_b32_e32 v2, v1, v72
	v_lshlrev_b32_e32 v3, 11, v70
	v_lshlrev_b32_e32 v2, 3, v2
	v_and_b32_e32 v6, 0x1000, v3
	v_lshrrev_b32_e32 v3, 5, v61
	s_movk_i32 s3, 0xf8
	v_and_or_b32 v3, v2, s3, v3
	v_lshlrev_b32_e32 v7, 4, v3
	v_and_b32_e32 v8, 0x78, v2
	v_or_b32_e32 v10, 32, v7
	v_lshrrev_b32_e32 v3, 1, v61
	v_xor_b32_e32 v10, v10, v8
	v_xor_b32_e32 v2, v7, v8
	v_and_b32_e32 v9, 8, v3
	v_or_b32_e32 v10, v10, v6
	v_or_b32_e32 v2, v2, v6
	v_xor_b32_e32 v26, v10, v9
	v_or_b32_e32 v10, 64, v7
	v_xor_b32_e32 v25, v2, v9
	v_xor_b32_e32 v10, v10, v8
	s_waitcnt lgkmcnt(0)
	s_barrier
	v_or_b32_e32 v12, v10, v6
	ds_read_b64 v[10:11], v25 offset:24576
	v_lshl_or_b32 v20, v71, 7, v22
	v_lshlrev_b32_e32 v24, 1, v20
	v_add_u32_e32 v2, 0xa000, v24
	ds_read2_b64 v[2:5], v2 offset1:16
	v_or_b32_e32 v7, 0x60, v7
	v_xor_b32_e32 v7, v7, v8
	s_waitcnt lgkmcnt(0)
	v_mfma_f32_16x16x16_bf16 a[0:3], v[10:11], v[2:3], 0
	v_or_b32_e32 v2, 64, v20
	v_or_b32_e32 v6, v7, v6
	v_lshlrev_b32_e32 v29, 1, v2
	v_xor_b32_e32 v27, v12, v9
	v_xor_b32_e32 v28, v6, v9
	ds_read_b64 v[12:13], v26 offset:24576
	ds_read_b64 v[14:15], v27 offset:24576
	;; [unrolled: 1-line block ×3, first 2 shown]
	v_mfma_f32_16x16x16_bf16 a[4:7], v[10:11], v[4:5], 0
	ds_read2st64_b64 v[2:5], v29 offset0:82 offset1:84
	ds_read2st64_b64 v[6:9], v24 offset0:82 offset1:84
	s_addc_u32 s5, s5, s1
	s_add_i32 s1, s43, s33
	s_add_i32 s0, s31, -1
	s_add_i32 s35, s1, s44
	s_add_i32 s1, s45, s42
	;; [unrolled: 1-line block ×3, first 2 shown]
	s_ashr_i32 s1, s0, 31
	s_mul_i32 s2, s0, s29
	s_mul_hi_u32 s3, s0, s28
	s_add_i32 s2, s3, s2
	s_mul_i32 s1, s1, s28
	s_waitcnt lgkmcnt(1)
	v_mfma_f32_16x16x16_bf16 a[4:7], v[12:13], v[2:3], a[4:7]
	s_add_i32 s1, s2, s1
	s_lshl_b64 s[2:3], s[34:35], 2
	s_add_u32 s10, s10, s2
	s_waitcnt lgkmcnt(0)
	v_mfma_f32_16x16x16_bf16 a[0:3], v[12:13], v[6:7], a[0:3]
	s_addc_u32 s11, s11, s3
	s_lshl_b64 s[2:3], s[36:37], 2
	s_mul_i32 s0, s0, s28
	s_add_u32 s10, s10, s2
	ds_read_b64 v[2:3], v24 offset:44032
	v_mfma_f32_16x16x16_bf16 a[4:7], v[14:15], v[4:5], a[4:7]
	ds_read_b64 v[4:5], v29 offset:44032
	s_addc_u32 s11, s11, s3
	s_lshl_b64 s[0:1], s[0:1], 2
	v_mfma_f32_16x16x16_bf16 a[0:3], v[14:15], v[8:9], a[0:3]
	s_add_u32 s0, s10, s0
	s_addc_u32 s1, s11, s1
	s_load_dword s12, s[0:1], 0x0
	s_waitcnt lgkmcnt(0)
	v_mfma_f32_16x16x16_bf16 a[0:3], v[16:17], v[2:3], a[0:3]
	s_and_b64 vcc, exec, s[22:23]
	v_mfma_f32_16x16x16_bf16 a[4:7], v[16:17], v[4:5], a[4:7]
	s_cbranch_vccz .LBB388_28
; %bb.18:
	v_lshlrev_b32_e32 v20, 1, v23
	s_and_b64 vcc, exec, s[6:7]
	s_cbranch_vccz .LBB388_44
; %bb.19:
	v_cmp_gt_i32_e32 vcc, s27, v20
	v_mov_b32_e32 v6, 0
	v_mov_b32_e32 v2, 0
	;; [unrolled: 1-line block ×5, first 2 shown]
	s_and_saveexec_b64 s[0:1], vcc
	s_cbranch_execz .LBB388_21
; %bb.20:
	v_mad_i64_i32 v[2:3], s[2:3], s15, v20, 0
	v_lshl_add_u64 v[2:3], v[2:3], 1, s[4:5]
	v_lshlrev_b32_e32 v4, 1, v18
	v_mov_b32_e32 v5, 0
	v_lshl_add_u64 v[2:3], v[2:3], 0, v[4:5]
	global_load_dwordx4 v[2:5], v[2:3], off
.LBB388_21:
	s_or_b64 exec, exec, s[0:1]
	v_or_b32_e32 v21, 1, v20
	v_cmp_gt_i32_e64 s[0:1], s27, v21
	v_mov_b32_e32 v7, 0
	v_mov_b32_e32 v8, 0
	;; [unrolled: 1-line block ×3, first 2 shown]
	s_and_saveexec_b64 s[2:3], s[0:1]
	s_cbranch_execz .LBB388_23
; %bb.22:
	v_mad_i64_i32 v[6:7], s[16:17], s15, v21, 0
	v_lshl_add_u64 v[6:7], v[6:7], 1, s[4:5]
	v_lshlrev_b32_e32 v8, 1, v18
	v_mov_b32_e32 v9, 0
	v_lshl_add_u64 v[6:7], v[6:7], 0, v[8:9]
	global_load_dwordx4 v[6:9], v[6:7], off
.LBB388_23:
	s_or_b64 exec, exec, s[2:3]
	v_mov_b32_e32 v17, 0
	v_mov_b32_e32 v10, 0
	;; [unrolled: 1-line block ×5, first 2 shown]
	s_and_saveexec_b64 s[2:3], vcc
	s_cbranch_execz .LBB388_25
; %bb.24:
	v_mad_i64_i32 v[10:11], s[16:17], s15, v20, 0
	v_lshl_add_u64 v[10:11], v[10:11], 1, s[4:5]
	v_lshlrev_b32_e32 v12, 1, v18
	v_mov_b32_e32 v13, 0
	v_lshl_add_u64 v[10:11], v[10:11], 0, v[12:13]
	global_load_dwordx4 v[10:13], v[10:11], off offset:128
.LBB388_25:
	s_or_b64 exec, exec, s[2:3]
	v_mov_b32_e32 v16, 0
	v_mov_b32_e32 v15, 0
	;; [unrolled: 1-line block ×3, first 2 shown]
	s_and_saveexec_b64 s[2:3], s[0:1]
	s_cbranch_execz .LBB388_27
; %bb.26:
	v_mad_i64_i32 v[14:15], s[0:1], s15, v21, 0
	v_lshl_add_u64 v[14:15], v[14:15], 1, s[4:5]
	v_lshlrev_b32_e32 v16, 1, v18
	v_mov_b32_e32 v17, 0
	v_lshl_add_u64 v[14:15], v[14:15], 0, v[16:17]
	global_load_dwordx4 v[14:17], v[14:15], off offset:128
.LBB388_27:
	s_or_b64 exec, exec, s[2:3]
	s_branch .LBB388_46
.LBB388_28:
                                        ; implicit-def: $vgpr5
                                        ; implicit-def: $vgpr9
                                        ; implicit-def: $vgpr13
                                        ; implicit-def: $vgpr17
	v_lshrrev_b32_e32 v30, 2, v61
	s_branch .LBB388_47
.LBB388_29:
                                        ; implicit-def: $vgpr20
                                        ; implicit-def: $vgpr21
                                        ; implicit-def: $sgpr22
	s_load_dwordx2 s[16:17], s[0:1], 0x20
	v_lshl_or_b32 v18, v77, 9, v18
.LBB388_30:
	v_or_b32_e32 v20, 0x100, v18
	s_movk_i32 s22, 0x4000
	v_mov_b32_e32 v21, v18
.LBB388_31:
	s_mul_i32 s0, s30, s14
	s_ashr_i32 s56, s51, 31
	s_mul_hi_i32 s1, s30, s14
	s_add_u32 s0, s0, s51
	s_addc_u32 s1, s1, s56
	s_lshl_b64 s[0:1], s[0:1], 8
	s_add_u32 s20, s4, s0
	s_addc_u32 s0, s5, s1
	s_and_b32 s21, s0, 0xffff
	s_movk_i32 s57, 0x80
	buffer_load_dwordx4 v[22:25], v21, s[20:23], 0 offen
	buffer_load_dwordx4 v[26:29], v21, s[20:23], s57 offen
	;; [unrolled: 1-line block ×4, first 2 shown]
	v_and_b32_e32 v20, 6, v0
	v_lshlrev_b32_e32 v39, 6, v75
	v_or_b32_e32 v41, 16, v72
	v_xor_b32_e32 v42, v77, v20
	v_and_b32_e32 v21, 1, v0
	v_lshl_or_b32 v45, v72, 3, v39
	v_lshl_or_b32 v39, v41, 3, v39
	v_lshlrev_b32_e32 v42, 2, v42
	v_lshlrev_b32_e32 v38, 2, v72
	v_or_b32_e32 v85, 0xa000, v39
	v_or_b32_e32 v86, 0xb000, v39
	v_xor_b32_e32 v39, 0x440, v42
	v_cmp_eq_u32_e32 vcc, 0, v21
	s_add_i32 s0, s43, s33
	v_xor_b32_e32 v43, v75, v38
	v_xor_b32_e32 v44, v76, v38
	v_cndmask_b32_e32 v21, v39, v42, vcc
	s_add_i32 s1, s45, s42
	s_add_i32 s35, s0, s44
	s_mov_b32 s58, 0x1000504
	v_lshlrev_b32_e32 v40, 8, v72
	v_lshlrev_b32_e32 v41, 8, v41
	v_lshlrev_b32_e32 v43, 1, v43
	v_lshlrev_b32_e32 v44, 1, v44
	v_lshl_or_b32 v20, v20, 10, v21
	s_add_i32 s37, s1, s46
	s_lshl_b64 s[0:1], s[34:35], 2
	s_mov_b32 s59, 0x3020706
	v_or_b32_e32 v83, 0xa000, v45
	v_or_b32_e32 v84, 0xb000, v45
	;; [unrolled: 1-line block ×5, first 2 shown]
	v_xor_b32_e32 v21, 8, v20
	v_xor_b32_e32 v40, 24, v20
	;; [unrolled: 1-line block ×4, first 2 shown]
	s_add_u32 s20, s10, s0
	v_or_b32_e32 v89, v41, v43
	v_xor_b32_e32 v39, 16, v20
	v_xor_b32_e32 v41, 32, v20
	;; [unrolled: 1-line block ×3, first 2 shown]
	v_add_u32_e32 v21, 0x80, v21
	v_add_u32_e32 v40, 0x80, v40
	;; [unrolled: 1-line block ×4, first 2 shown]
	s_addc_u32 s21, s11, s1
	s_lshl_b64 s[0:1], s[36:37], 2
	s_add_u32 s40, s20, s0
	s_movk_i32 s0, 0xf8
	s_addc_u32 s41, s21, s1
	s_ashr_i32 s39, s38, 31
	s_lshl_b32 s26, s15, 7
	s_movk_i32 s20, 0x100
	v_mov_b32_e32 v65, 0
	v_lshlrev_b32_e32 v64, 4, v72
	v_cmp_gt_u32_e32 vcc, s20, v0
	v_ashrrev_i32_e32 v63, 31, v62
	s_mov_b32 s60, 0
	s_movk_i32 s35, 0x1000
	s_movk_i32 s22, 0x4000
	v_lshl_add_u64 v[66:67], v[62:63], 1, s[8:9]
	s_mov_b32 s37, 0x7060302
	s_waitcnt vmcnt(1)
	v_perm_b32 v45, v22, v30, s58
	s_waitcnt vmcnt(0)
	v_perm_b32 v46, v26, v34, s58
	v_perm_b32 v22, v22, v30, s59
	;; [unrolled: 1-line block ×15, first 2 shown]
	ds_write2st64_b32 v20, v45, v46 offset0:32 offset1:64
	ds_write2st64_b32 v21, v22, v26 offset0:32 offset1:64
	;; [unrolled: 1-line block ×8, first 2 shown]
	v_or_b32_e32 v20, v1, v72
	v_lshlrev_b32_e32 v20, 3, v20
	v_lshrrev_b32_e32 v23, 5, v61
	v_and_or_b32 v23, v20, s0, v23
	v_lshlrev_b32_e32 v23, 4, v23
	v_lshlrev_b32_e32 v25, 11, v70
	v_and_b32_e32 v20, 0x78, v20
	v_or_b32_e32 v28, 32, v23
	v_and_b32_e32 v22, 0x1000, v25
	v_lshrrev_b32_e32 v26, 1, v61
	v_xor_b32_e32 v28, v28, v20
	v_xor_b32_e32 v24, v23, v20
	v_and_b32_e32 v26, 8, v26
	v_or_b32_e32 v28, v28, v22
	v_or_b32_e32 v24, v24, v22
	v_lshlrev_b32_e32 v27, 7, v71
	v_xor_b32_e32 v93, v28, v26
	v_or_b32_e32 v28, 64, v23
	v_or_b32_e32 v23, 0x60, v23
	v_xor_b32_e32 v91, v24, v26
	v_or_b32_e32 v24, v27, v38
	v_xor_b32_e32 v28, v28, v20
	v_xor_b32_e32 v20, v23, v20
	s_lshl_b64 s[0:1], s[38:39], 8
	v_lshlrev_b32_e32 v24, 1, v24
	v_or_b32_e32 v28, v28, v22
	v_or_b32_e32 v20, v20, v22
	s_add_u32 s0, s18, s0
	v_lshlrev_b32_e32 v22, 1, v72
	v_or_b32_e32 v92, 0xa000, v24
	v_or_b32_e32 v94, 0xa080, v24
	;; [unrolled: 1-line block ×4, first 2 shown]
	v_lshrrev_b32_e32 v24, 4, v0
	s_addc_u32 s1, s19, s1
	v_or_b32_e32 v23, 1, v22
	v_mov_b32_e32 v33, 0x4000
	v_mov_b32_e32 v34, 0x2000
	v_lshrrev_b32_e32 v35, 1, v0
	v_xor_b32_e32 v95, v28, v26
	v_xor_b32_e32 v96, v20, v26
	;; [unrolled: 1-line block ×4, first 2 shown]
	v_lshl_add_u64 v[22:23], s[0:1], 0, v[64:65]
	v_lshlrev_b32_e32 v64, 8, v24
	v_cndmask_b32_e32 v33, v33, v34, vcc
	v_lshlrev_b32_e32 v34, 3, v70
	v_and_b32_e32 v35, 24, v35
	v_lshl_or_b32 v99, v26, 3, v64
	v_and_b32_e32 v26, 8, v0
	v_xor_b32_e32 v36, v34, v35
	v_or_b32_e32 v37, 0x440, v36
	v_cmp_eq_u32_e32 vcc, 0, v26
	v_and_b32_e32 v24, 7, v0
	v_lshl_or_b32 v100, v30, 3, v64
	v_cndmask_b32_e32 v26, v37, v36, vcc
	v_lshlrev_b32_e32 v30, 3, v24
	v_lshlrev_b32_e32 v32, 2, v0
	v_or_b32_e32 v26, v26, v25
	v_xor_b32_e32 v36, v26, v30
	v_and_or_b32 v26, v32, 60, v27
	v_mov_b32_e32 v27, 0xb000
	v_lshl_or_b32 v101, v26, 1, v27
	v_or_b32_e32 v26, 32, v35
	v_xor_b32_e32 v26, v34, v26
	v_or_b32_e32 v27, 0x440, v26
	v_cndmask_b32_e32 v26, v27, v26, vcc
	v_or_b32_e32 v26, v26, v25
	v_xor_b32_e32 v27, v26, v30
	v_or_b32_e32 v26, 64, v35
	v_xor_b32_e32 v26, v34, v26
	v_xor_b32_e32 v38, 0x440, v26
	v_cndmask_b32_e32 v26, v38, v26, vcc
	v_or_b32_e32 v26, v26, v25
	v_xor_b32_e32 v38, v26, v30
	v_or_b32_e32 v26, 0x60, v35
	v_xor_b32_e32 v26, v34, v26
	v_xor_b32_e32 v34, 0x440, v26
	v_cndmask_b32_e32 v26, v34, v26, vcc
	v_lshrrev_b32_e32 v21, 2, v61
	v_or_b32_e32 v25, v26, v25
	v_and_b32_e32 v21, 12, v21
	v_xor_b32_e32 v25, v25, v30
	v_lshlrev_b32_e32 v20, 7, v75
	v_lshlrev_b32_e32 v28, 1, v19
	v_add_lshl_u32 v19, v19, s15, 1
	v_or_b32_e32 v29, 0x100, v18
	v_lshlrev_b32_e32 v31, 7, v24
	v_or_b32_e32 v24, v21, v1
	v_add_u32_e32 v37, v33, v36
	v_add_u32_e32 v32, v33, v27
	;; [unrolled: 1-line block ×4, first 2 shown]
	v_or3_b32 v26, v1, v21, 64
	v_add_u32_e32 v21, 0x4000, v36
	v_add_u32_e32 v27, 0x4000, v27
	;; [unrolled: 1-line block ×4, first 2 shown]
	v_cndmask_b32_e64 v102, v28, v18, s[2:3]
	v_cndmask_b32_e64 v103, v19, v29, s[2:3]
	v_lshl_add_u64 v[68:69], v[22:23], 0, v[64:65]
	v_lshlrev_b32_e32 v64, 1, v20
	v_lshlrev_b32_e32 v63, 2, v24
	v_add_u32_e32 v104, v37, v31
	v_add_u32_e32 v105, v32, v31
	;; [unrolled: 1-line block ×4, first 2 shown]
	v_lshlrev_b32_e32 v108, 2, v26
	v_add_u32_e32 v109, v21, v31
	v_add_u32_e32 v110, v27, v31
	;; [unrolled: 1-line block ×4, first 2 shown]
	s_waitcnt lgkmcnt(0)
	s_barrier
.LBB388_32:                             ; =>This Inner Loop Header: Depth=1
	s_add_i32 s39, s60, 1
	s_cmp_lt_i32 s39, s48
	s_mov_b64 s[24:25], 0
	s_cselect_b64 s[2:3], -1, 0
	s_cmp_ge_i32 s39, s48
	s_mov_b64 s[20:21], 0
	s_cbranch_scc1 .LBB388_34
; %bb.33:                               ;   in Loop: Header=BB388_32 Depth=1
	s_add_i32 s0, s55, 64
	s_ashr_i32 s1, s0, 31
	s_add_u32 s0, s54, s0
	s_addc_u32 s1, s53, s1
	s_lshl_b64 s[0:1], s[0:1], 8
	s_add_u32 s20, s6, s0
	s_addc_u32 s21, s7, s1
.LBB388_34:                             ;   in Loop: Header=BB388_32 Depth=1
	v_cndmask_b32_e64 v18, 0, 1, s[2:3]
	v_cmp_ne_u32_e64 s[0:1], 1, v18
	s_andn2_b64 vcc, exec, s[2:3]
	s_cbranch_vccnz .LBB388_36
; %bb.35:                               ;   in Loop: Header=BB388_32 Depth=1
	s_add_i32 s2, s55, 64
	s_mul_hi_i32 s3, s2, s14
	s_mul_i32 s2, s2, s14
	s_add_u32 s2, s2, s51
	s_addc_u32 s3, s3, s56
	s_lshl_b64 s[2:3], s[2:3], 8
	s_add_u32 s24, s4, s2
	s_addc_u32 s25, s5, s3
.LBB388_36:                             ;   in Loop: Header=BB388_32 Depth=1
	v_perm_b32 v19, v17, v16, s37
	v_perm_b32 v18, v15, v14, s37
	;; [unrolled: 1-line block ×4, first 2 shown]
	ds_write_b64 v83, v[18:19]
	ds_write_b64 v84, v[20:21]
	;; [unrolled: 1-line block ×4, first 2 shown]
	v_perm_b32 v19, v9, v8, s37
	v_perm_b32 v18, v7, v6, s37
	;; [unrolled: 1-line block ×4, first 2 shown]
	ds_write_b64 v85, v[18:19]
	ds_write_b64 v86, v[20:21]
	;; [unrolled: 1-line block ×4, first 2 shown]
	s_waitcnt lgkmcnt(0)
	s_barrier
	ds_read_b64 v[22:23], v91 offset:24576
	ds_read2_b64 v[18:21], v92 offset1:16
	ds_read_b64 v[26:27], v94 offset:3072
	ds_read_b64 v[28:29], v92 offset:3072
	;; [unrolled: 1-line block ×3, first 2 shown]
	s_waitcnt lgkmcnt(3)
	v_mfma_f32_16x16x16_bf16 a[0:3], v[22:23], v[18:19], 0
	s_add_i32 s61, s55, 63
	s_ashr_i32 s2, s61, 31
	s_mul_i32 s3, s61, s29
	v_mfma_f32_16x16x16_bf16 a[4:7], v[22:23], v[20:21], 0
	ds_read2st64_b64 v[18:21], v92 offset0:2 offset1:4
	s_mul_hi_u32 s27, s61, s28
	s_add_i32 s3, s27, s3
	s_waitcnt lgkmcnt(0)
	v_mfma_f32_16x16x16_bf16 a[0:3], v[30:31], v[18:19], a[0:3]
	ds_read2st64_b64 v[22:25], v94 offset0:2 offset1:4
	ds_read_b64 v[18:19], v95 offset:24576
	s_mul_i32 s2, s2, s28
	s_add_i32 s3, s3, s2
	s_waitcnt lgkmcnt(1)
	v_mfma_f32_16x16x16_bf16 a[4:7], v[30:31], v[22:23], a[4:7]
	ds_read_b64 v[22:23], v96 offset:24576
	s_mul_i32 s2, s61, s28
	s_lshl_b64 s[2:3], s[2:3], 2
	s_waitcnt lgkmcnt(1)
	v_mfma_f32_16x16x16_bf16 a[0:3], v[18:19], v[20:21], a[0:3]
	s_add_u32 s2, s40, s2
	s_addc_u32 s3, s41, s3
	s_and_b64 vcc, exec, s[0:1]
	v_mfma_f32_16x16x16_bf16 a[4:7], v[18:19], v[24:25], a[4:7]
	v_mov_b32_e32 v115, 0
	v_mov_b32_e32 v114, 0
	;; [unrolled: 1-line block ×3, first 2 shown]
	s_waitcnt lgkmcnt(0)
	v_mfma_f32_16x16x16_bf16 a[0:3], v[22:23], v[28:29], a[0:3]
	v_mov_b32_e32 v18, 0
	v_mov_b32_e32 v19, 0
	;; [unrolled: 1-line block ×3, first 2 shown]
	v_mfma_f32_16x16x16_bf16 a[4:7], v[22:23], v[26:27], a[4:7]
	v_mov_b32_e32 v21, 0
	v_mov_b32_e32 v22, 0
	;; [unrolled: 1-line block ×13, first 2 shown]
	s_cbranch_vccnz .LBB388_38
; %bb.37:                               ;   in Loop: Header=BB388_32 Depth=1
	s_and_b32 s21, s21, 0xffff
	buffer_load_dwordx4 v[30:33], v79, s[20:23], 0 offen
	buffer_load_dwordx4 v[26:29], v79, s[20:23], s57 offen
	;; [unrolled: 1-line block ×4, first 2 shown]
	v_mov_b32_e32 v114, v81
	v_mov_b32_e32 v113, v82
.LBB388_38:                             ;   in Loop: Header=BB388_32 Depth=1
	ds_read_b64 v[38:39], v91 offset:32768
	ds_read2_b64 v[34:37], v97 offset1:16
	ds_read_b64 v[42:43], v93 offset:32768
	ds_read_b64 v[44:45], v95 offset:32768
	;; [unrolled: 1-line block ×3, first 2 shown]
	v_add_u32_e32 v50, s55, v75
	s_waitcnt lgkmcnt(3)
	v_mfma_f32_16x16x16_bf16 a[0:3], v[38:39], v[34:35], a[0:3]
	v_mov_b32_e32 v116, 0
	v_mfma_f32_16x16x16_bf16 a[4:7], v[38:39], v[36:37], a[4:7]
	ds_read2st64_b64 v[34:37], v97 offset0:2 offset1:4
	ds_read2st64_b64 v[38:41], v98 offset0:2 offset1:4
	s_waitcnt lgkmcnt(1)
	v_mfma_f32_16x16x16_bf16 a[0:3], v[42:43], v[34:35], a[0:3]
	ds_read_b64 v[34:35], v97 offset:3072
	ds_read_b64 v[48:49], v98 offset:3072
	s_waitcnt lgkmcnt(2)
	v_mfma_f32_16x16x16_bf16 a[4:7], v[42:43], v[38:39], a[4:7]
	v_ashrrev_i32_e32 v38, 31, v50
	v_mul_lo_u32 v39, v50, s29
	v_mul_lo_u32 v38, v38, s28
	v_mfma_f32_16x16x16_bf16 a[0:3], v[44:45], v[36:37], a[0:3]
	v_mad_u64_u32 v[36:37], s[20:21], v50, s28, 0
	v_add3_u32 v37, v37, v39, v38
	v_add_u32_e32 v38, 1, v50
	v_ashrrev_i32_e32 v39, 31, v38
	v_mfma_f32_16x16x16_bf16 a[4:7], v[44:45], v[40:41], a[4:7]
	v_mul_lo_u32 v39, v39, s28
	v_mul_lo_u32 v40, v38, s29
	v_lshl_add_u64 v[36:37], v[36:37], 2, s[40:41]
	s_waitcnt lgkmcnt(1)
	v_mfma_f32_16x16x16_bf16 a[0:3], v[46:47], v[34:35], a[0:3]
	v_mad_u64_u32 v[34:35], s[20:21], v38, s28, 0
	v_add_u32_e32 v38, 2, v50
	v_add3_u32 v35, v35, v40, v39
	v_ashrrev_i32_e32 v39, 31, v38
	v_mul_lo_u32 v40, v39, s28
	v_mul_lo_u32 v41, v38, s29
	v_mad_u64_u32 v[38:39], s[20:21], v38, s28, 0
	v_add3_u32 v39, v39, v41, v40
	v_add_u32_e32 v40, 3, v50
	v_ashrrev_i32_e32 v41, 31, v40
	v_mul_lo_u32 v42, v41, s28
	v_mul_lo_u32 v43, v40, s29
	v_mad_u64_u32 v[40:41], s[20:21], v40, s28, 0
	v_add3_u32 v41, v41, v43, v42
	v_lshl_add_u64 v[40:41], v[40:41], 2, s[40:41]
	s_ashr_i32 s21, s55, 31
	v_lshl_add_u64 v[34:35], v[34:35], 2, s[40:41]
	v_lshl_add_u64 v[38:39], v[38:39], 2, s[40:41]
	global_load_dword v42, v[36:37], off
	global_load_dword v43, v[34:35], off
	;; [unrolled: 1-line block ×3, first 2 shown]
	s_nop 0
	global_load_dword v41, v[40:41], off
	s_add_u32 s20, s54, s55
	s_addc_u32 s21, s53, s21
	s_lshl_b64 s[20:21], s[20:21], 8
	v_lshl_add_u64 v[34:35], v[66:67], 0, s[20:21]
	v_lshl_add_u64 v[34:35], v[34:35], 0, v[64:65]
	global_load_ushort v45, v[34:35], off
	global_load_ushort v50, v[34:35], off offset:256
	global_load_ushort v51, v[34:35], off offset:800
	;; [unrolled: 1-line block ×7, first 2 shown]
	s_load_dword s2, s[2:3], 0x0
	s_waitcnt lgkmcnt(0)
	v_mfma_f32_16x16x16_bf16 a[4:7], v[46:47], v[48:49], a[4:7]
	v_accvgpr_read_b32 v39, a1
	v_accvgpr_read_b32 v35, a3
	;; [unrolled: 1-line block ×4, first 2 shown]
	s_and_b64 vcc, exec, s[0:1]
	s_waitcnt vmcnt(11)
	v_sub_f32_e32 v40, s2, v42
	s_waitcnt vmcnt(10)
	v_sub_f32_e32 v48, s2, v43
	s_waitcnt vmcnt(9)
	v_sub_f32_e32 v49, s2, v44
	s_waitcnt vmcnt(8)
	v_sub_f32_e32 v57, s2, v41
	v_exp_f32_e32 v40, v40
	v_exp_f32_e32 v41, v48
	;; [unrolled: 1-line block ×4, first 2 shown]
	s_waitcnt vmcnt(6)
	v_lshlrev_b32_e32 v43, 16, v50
	v_lshlrev_b32_e32 v42, 16, v45
	s_waitcnt vmcnt(4)
	v_lshlrev_b32_e32 v45, 16, v52
	s_waitcnt vmcnt(2)
	v_lshlrev_b32_e32 v44, 16, v54
	v_pk_add_f32 v[38:39], v[42:43], v[38:39] neg_lo:[0,1] neg_hi:[0,1]
	v_pk_add_f32 v[34:35], v[44:45], v[34:35] neg_lo:[0,1] neg_hi:[0,1]
	v_pk_mul_f32 v[38:39], v[40:41], v[38:39]
	v_pk_mul_f32 v[34:35], v[48:49], v[34:35]
	s_waitcnt vmcnt(1)
	v_lshlrev_b32_e32 v47, 16, v55
	v_perm_b32 v35, v35, v34, s37
	v_perm_b32 v34, v39, v38, s37
	v_accvgpr_read_b32 v39, a5
	s_waitcnt vmcnt(0)
	v_lshlrev_b32_e32 v46, 16, v56
	v_accvgpr_read_b32 v38, a4
	v_pk_add_f32 v[38:39], v[46:47], v[38:39] neg_lo:[0,1] neg_hi:[0,1]
	v_accvgpr_read_b32 v37, a7
	v_accvgpr_read_b32 v36, a6
	v_pk_mul_f32 v[38:39], v[40:41], v[38:39]
	v_lshlrev_b32_e32 v41, 16, v51
	v_lshlrev_b32_e32 v40, 16, v53
	v_pk_add_f32 v[36:37], v[40:41], v[36:37] neg_lo:[0,1] neg_hi:[0,1]
	v_mov_b32_e32 v40, 0
	v_pk_mul_f32 v[36:37], v[48:49], v[36:37]
	v_mov_b32_e32 v41, 0
	v_perm_b32 v37, v37, v36, s37
	v_perm_b32 v36, v39, v38, s37
	ds_write2_b64 v84, v[34:35], v[36:37] offset1:16
	v_mov_b32_e32 v34, 0
	v_mov_b32_e32 v35, 0
	;; [unrolled: 1-line block ×14, first 2 shown]
	s_cbranch_vccnz .LBB388_40
; %bb.39:                               ;   in Loop: Header=BB388_32 Depth=1
	s_and_b32 s25, s25, 0xffff
	s_mov_b32 s27, s23
	buffer_load_dwordx4 v[46:49], v102, s[24:27], 0 offen
	buffer_load_dwordx4 v[38:41], v102, s[24:27], s57 offen
	;; [unrolled: 1-line block ×4, first 2 shown]
	v_mov_b32_e32 v115, v78
	v_mov_b32_e32 v116, v77
.LBB388_40:                             ;   in Loop: Header=BB388_32 Depth=1
	s_waitcnt lgkmcnt(0)
	s_barrier
	ds_read_b64 v[54:55], v104
	ds_read_b64 v[122:123], v101
	;; [unrolled: 1-line block ×5, first 2 shown]
	ds_read_b64 v[136:137], v98 offset:3072
	ds_read2_b64 v[50:53], v97 offset0:16 offset1:128
	s_waitcnt lgkmcnt(5)
	v_mfma_f32_16x16x16_bf16 a[0:3], v[54:55], v[122:123], 0
	s_add_i32 s3, s52, s60
	s_mul_hi_i32 s21, s3, s13
	s_mul_i32 s3, s3, s13
	s_waitcnt lgkmcnt(0)
	v_mfma_f32_16x16x16_bf16 a[4:7], v[54:55], v[50:51], 0
	ds_read_b64 v[54:55], v109
	ds_read2st64_b64 v[56:59], v98 offset0:2 offset1:4
	s_add_u32 s20, s3, s47
	s_addc_u32 s21, s21, s49
	s_lshl_b64 s[20:21], s[20:21], 15
	s_mul_i32 s24, s61, s13
	s_mul_hi_i32 s3, s61, s13
	s_add_u32 s24, s24, s47
	s_waitcnt lgkmcnt(1)
	v_mfma_f32_16x16x16_bf16 a[8:11], v[54:55], v[122:123], 0
	s_addc_u32 s25, s3, s49
	ds_read2st64_b64 v[118:121], v97 offset0:4 offset1:6
	s_lshl_b64 s[24:25], s[24:25], 9
	v_mfma_f32_16x16x16_bf16 a[0:3], v[124:125], v[52:53], a[0:3]
	s_add_u32 s24, s16, s24
	s_addc_u32 s25, s17, s25
	s_waitcnt lgkmcnt(1)
	v_mfma_f32_16x16x16_bf16 a[4:7], v[124:125], v[56:57], a[4:7]
	ds_read_b64 v[124:125], v110
	ds_read_b64 v[132:133], v111
	;; [unrolled: 1-line block ×3, first 2 shown]
	v_mfma_f32_16x16x16_bf16 a[12:15], v[54:55], v[50:51], 0
	s_waitcnt lgkmcnt(2)
	v_mfma_f32_16x16x16_bf16 a[8:11], v[124:125], v[52:53], a[8:11]
	global_load_dwordx4 v[50:53], v108, s[24:25]
	v_mfma_f32_16x16x16_bf16 a[12:15], v[124:125], v[56:57], a[12:15]
	global_load_dwordx4 v[54:57], v63, s[24:25]
	ds_read2st64_b64 v[122:125], v99 offset1:8
	s_waitcnt lgkmcnt(0)
	v_mov_b32_e32 v130, v122
	v_mfma_f32_16x16x16_bf16 a[0:3], v[126:127], v[118:119], a[0:3]
	v_mov_b32_e32 v131, v123
	v_mfma_f32_16x16x16_bf16 a[4:7], v[126:127], v[58:59], a[4:7]
	ds_read2st64_b64 v[126:129], v100 offset1:8
	v_mfma_f32_16x16x16_bf16 a[8:11], v[132:133], v[118:119], a[8:11]
	v_lshl_add_u64 v[118:119], v[68:69], 0, s[20:21]
	v_mfma_f32_16x16x16_bf16 a[16:19], v[132:133], v[58:59], a[12:15]
	v_add_co_u32_e32 v58, vcc, s35, v118
	s_waitcnt lgkmcnt(0)
	v_mov_b32_e32 v132, v126
	v_mfma_f32_16x16x16_bf16 a[0:3], v[134:135], v[120:121], a[0:3]
	v_mov_b32_e32 v133, v127
	v_mov_b32_e32 v126, v124
	;; [unrolled: 1-line block ×3, first 2 shown]
	v_mfma_f32_16x16x16_bf16 a[4:7], v[134:135], v[136:137], a[4:7]
	v_addc_co_u32_e32 v59, vcc, 0, v119, vcc
	global_store_dwordx4 v[58:59], v[126:129], off
	v_mfma_f32_16x16x16_bf16 a[12:15], v[138:139], v[120:121], a[8:11]
	s_and_b64 vcc, exec, s[0:1]
	global_store_dwordx4 v[118:119], v[130:133], off
	s_waitcnt vmcnt(3)
	v_mov_b32_e32 v60, v53
	v_mfma_f32_16x16x16_bf16 a[8:11], v[138:139], v[136:137], a[16:19]
	v_mov_b32_e32 v59, v52
	v_mov_b32_e32 v58, v51
	s_cbranch_vccnz .LBB388_42
; %bb.41:                               ;   in Loop: Header=BB388_32 Depth=1
	v_lshrrev_b32_e32 v51, 3, v115
	v_and_b32_e32 v51, 6, v51
	v_xor_b32_e32 v52, v51, v116
	v_lshlrev_b32_e32 v52, 2, v52
	v_and_b32_e32 v53, 8, v115
	v_xor_b32_e32 v115, 0x440, v52
	v_cmp_eq_u32_e32 vcc, 0, v53
	v_perm_b32 v53, v38, v34, s58
	s_nop 0
	v_cndmask_b32_e32 v52, v115, v52, vcc
	v_lshl_or_b32 v51, v51, 10, v52
	v_perm_b32 v52, v46, v42, s58
	s_barrier
	ds_write2st64_b32 v51, v52, v53 offset0:32 offset1:64
	v_xor_b32_e32 v52, 8, v51
	v_perm_b32 v42, v46, v42, s59
	v_perm_b32 v34, v38, v34, s59
	v_add_u32_e32 v38, 0x80, v52
	ds_write2st64_b32 v38, v42, v34 offset0:32 offset1:64
	v_xor_b32_e32 v34, 16, v51
	v_perm_b32 v38, v47, v43, s58
	v_perm_b32 v42, v39, v35, s58
	ds_write2st64_b32 v34, v38, v42 offset0:33 offset1:65
	v_xor_b32_e32 v34, 24, v51
	v_perm_b32 v38, v47, v43, s59
	v_perm_b32 v35, v39, v35, s59
	v_add_u32_e32 v34, 0x80, v34
	ds_write2st64_b32 v34, v38, v35 offset0:33 offset1:65
	v_xor_b32_e32 v34, 32, v51
	v_perm_b32 v35, v48, v44, s58
	v_perm_b32 v38, v40, v36, s58
	;; [unrolled: 9-line block ×3, first 2 shown]
	ds_write2st64_b32 v34, v35, v36 offset0:35 offset1:67
	v_xor_b32_e32 v34, 56, v51
	v_perm_b32 v35, v49, v45, s59
	v_perm_b32 v36, v41, v37, s59
	v_add_u32_e32 v34, 0x80, v34
	ds_write2st64_b32 v34, v35, v36 offset0:35 offset1:67
	ds_write_b64 v114, v[30:31] offset:24576
	v_xor_b32_e32 v30, 8, v114
	ds_write_b64 v30, v[32:33] offset:24576
	ds_write_b64 v114, v[26:27] offset:32768
	;; [unrolled: 1-line block ×4, first 2 shown]
	v_xor_b32_e32 v22, 8, v113
	ds_write_b64 v22, v[24:25] offset:24576
	ds_write_b64 v113, v[18:19] offset:32768
	;; [unrolled: 1-line block ×3, first 2 shown]
.LBB388_42:                             ;   in Loop: Header=BB388_32 Depth=1
	v_exp_f32_e32 v34, s2
	s_waitcnt vmcnt(2)
	v_exp_f32_e32 v36, v54
	v_exp_f32_e32 v37, v55
	;; [unrolled: 1-line block ×4, first 2 shown]
	v_accvgpr_read_b32 v29, a3
	v_accvgpr_read_b32 v27, a1
	;; [unrolled: 1-line block ×4, first 2 shown]
	v_pk_mul_f32 v[36:37], v[34:35], v[36:37] op_sel_hi:[0,1]
	v_accvgpr_read_b32 v28, a2
	v_accvgpr_read_b32 v23, a5
	;; [unrolled: 1-line block ×3, first 2 shown]
	v_pk_fma_f32 v[14:15], v[14:15], v[36:37], v[26:27]
	v_pk_mul_f32 v[26:27], v[34:35], v[38:39] op_sel_hi:[0,1]
	v_pk_fma_f32 v[16:17], v[16:17], v[26:27], v[28:29]
	v_fma_f32 v6, v6, v36, v22
	v_fma_f32 v7, v7, v37, v23
	v_exp_f32_e32 v22, v50
	v_exp_f32_e32 v23, v58
	;; [unrolled: 1-line block ×4, first 2 shown]
	v_accvgpr_read_b32 v24, a6
	v_accvgpr_read_b32 v33, a15
	;; [unrolled: 1-line block ×9, first 2 shown]
	v_fma_f32 v8, v8, v26, v24
	v_fmac_f32_e32 v25, v9, v27
	v_pk_mul_f32 v[22:23], v[34:35], v[22:23] op_sel_hi:[0,1]
	v_pk_mul_f32 v[26:27], v[34:35], v[28:29] op_sel_hi:[0,1]
	s_add_i32 s55, s55, 64
	v_pk_fma_f32 v[10:11], v[10:11], v[22:23], v[30:31]
	v_pk_fma_f32 v[12:13], v[12:13], v[26:27], v[32:33]
	v_fma_f32 v2, v2, v22, v18
	v_fma_f32 v3, v3, v23, v19
	;; [unrolled: 1-line block ×3, first 2 shown]
	s_cmp_eq_u32 s48, s39
	v_fmac_f32_e32 v21, v5, v27
	s_cbranch_scc1 .LBB388_4
; %bb.43:                               ;   in Loop: Header=BB388_32 Depth=1
	s_mov_b32 s60, s39
	v_mov_b32_e32 v9, v25
	v_mov_b32_e32 v5, v21
	s_branch .LBB388_32
.LBB388_44:
                                        ; implicit-def: $vgpr5
                                        ; implicit-def: $vgpr9
                                        ; implicit-def: $vgpr13
                                        ; implicit-def: $vgpr17
	s_cbranch_execz .LBB388_46
; %bb.45:
	s_waitcnt vmcnt(0)
	v_mad_u64_u32 v[2:3], s[0:1], v20, s15, v[18:19]
	v_lshlrev_b32_e32 v20, 1, v2
	s_lshl_b32 s2, s15, 7
	s_and_b32 s1, s5, 0xffff
	s_mov_b32 s3, 0x20000
	s_mov_b32 s0, s4
	v_add_lshl_u32 v21, v2, s15, 1
	s_movk_i32 s13, 0x80
	buffer_load_dwordx4 v[2:5], v20, s[0:3], 0 offen
	buffer_load_dwordx4 v[10:13], v20, s[0:3], s13 offen
	;; [unrolled: 1-line block ×4, first 2 shown]
.LBB388_46:
	v_lshrrev_b32_e32 v30, 2, v61
	s_cbranch_execnz .LBB388_59
.LBB388_47:
	s_and_b64 vcc, exec, s[6:7]
	s_cbranch_vccz .LBB388_57
; %bb.48:
	s_waitcnt vmcnt(0)
	v_lshlrev_b32_e32 v7, 1, v23
	v_cmp_gt_i32_e32 vcc, s27, v7
	v_mov_b32_e32 v6, 0
	v_lshlrev_b32_e32 v14, 9, v23
	v_mov_b32_e32 v2, 0
	v_mov_b32_e32 v3, 0
	;; [unrolled: 1-line block ×4, first 2 shown]
	s_and_saveexec_b64 s[0:1], vcc
	s_cbranch_execz .LBB388_50
; %bb.49:
	v_mov_b32_e32 v15, 0
	v_lshl_add_u64 v[2:3], s[4:5], 0, v[14:15]
	v_lshlrev_b32_e32 v4, 1, v18
	v_mov_b32_e32 v5, v15
	v_lshl_add_u64 v[2:3], v[2:3], 0, v[4:5]
	global_load_dwordx4 v[2:5], v[2:3], off
.LBB388_50:
	s_or_b64 exec, exec, s[0:1]
	v_or_b32_e32 v7, 1, v7
	v_cmp_gt_i32_e64 s[0:1], s27, v7
	v_lshlrev_b32_e32 v20, 8, v7
	v_mov_b32_e32 v7, 0
	v_mov_b32_e32 v8, 0
	;; [unrolled: 1-line block ×3, first 2 shown]
	s_and_saveexec_b64 s[2:3], s[0:1]
	s_cbranch_execz .LBB388_52
; %bb.51:
	v_mov_b32_e32 v21, 0
	v_lshl_add_u64 v[6:7], s[4:5], 0, v[20:21]
	v_lshlrev_b32_e32 v8, 1, v18
	v_mov_b32_e32 v9, v21
	v_lshl_add_u64 v[6:7], v[6:7], 0, v[8:9]
	global_load_dwordx4 v[6:9], v[6:7], off
.LBB388_52:
	s_or_b64 exec, exec, s[2:3]
	v_mov_b32_e32 v17, 0
	v_mov_b32_e32 v10, 0
	;; [unrolled: 1-line block ×5, first 2 shown]
	s_and_saveexec_b64 s[2:3], vcc
	s_cbranch_execz .LBB388_54
; %bb.53:
	v_mov_b32_e32 v15, 0
	v_lshl_add_u64 v[10:11], s[4:5], 0, v[14:15]
	v_lshlrev_b32_e32 v14, 1, v18
	v_lshl_add_u64 v[10:11], v[10:11], 0, v[14:15]
	global_load_dwordx4 v[10:13], v[10:11], off offset:128
.LBB388_54:
	s_or_b64 exec, exec, s[2:3]
	v_mov_b32_e32 v16, 0
	v_mov_b32_e32 v15, 0
	;; [unrolled: 1-line block ×3, first 2 shown]
	s_and_saveexec_b64 s[2:3], s[0:1]
	s_cbranch_execz .LBB388_56
; %bb.55:
	v_mov_b32_e32 v21, 0
	v_lshl_add_u64 v[14:15], s[4:5], 0, v[20:21]
	v_lshlrev_b32_e32 v20, 1, v18
	v_lshl_add_u64 v[14:15], v[14:15], 0, v[20:21]
	global_load_dwordx4 v[14:17], v[14:15], off offset:128
.LBB388_56:
	s_or_b64 exec, exec, s[2:3]
	s_branch .LBB388_59
.LBB388_57:
                                        ; implicit-def: $vgpr5
                                        ; implicit-def: $vgpr9
                                        ; implicit-def: $vgpr13
                                        ; implicit-def: $vgpr17
	s_cbranch_execz .LBB388_59
; %bb.58:
	s_waitcnt vmcnt(0)
	v_lshlrev_b32_e32 v2, 1, v18
	v_lshl_or_b32 v18, v23, 9, v2
	s_and_b32 s5, s5, 0xffff
	s_mov_b32 s7, 0x20000
	s_movk_i32 s6, 0x4000
	s_movk_i32 s0, 0x80
	buffer_load_dwordx4 v[2:5], v18, s[4:7], 0 offen
	buffer_load_dwordx4 v[6:9], v18, s[4:7], 0 offen offset:256
	buffer_load_dwordx4 v[10:13], v18, s[4:7], s0 offen
	buffer_load_dwordx4 v[14:17], v18, s[4:7], s0 offen offset:256
.LBB388_59:
	ds_read_b64 v[20:21], v25 offset:32768
	v_add_u32_e32 v18, 0xb000, v24
	ds_read2_b64 v[32:35], v18 offset1:16
	ds_read_b64 v[40:41], v26 offset:32768
	ds_read_b64 v[26:27], v27 offset:32768
	;; [unrolled: 1-line block ×3, first 2 shown]
	v_and_b32_e32 v18, 6, v0
	v_xor_b32_e32 v23, v23, v18
	v_lshlrev_b32_e32 v23, 2, v23
	v_and_b32_e32 v0, 1, v0
	v_xor_b32_e32 v28, 0x440, v23
	v_cmp_eq_u32_e32 vcc, 0, v0
	s_waitcnt lgkmcnt(3)
	v_mfma_f32_16x16x16_bf16 a[0:3], v[20:21], v[32:33], a[0:3]
	s_mov_b32 s0, 0x1000504
	v_cndmask_b32_e32 v0, v28, v23, vcc
	v_lshl_or_b32 v0, v18, 10, v0
	v_mfma_f32_16x16x16_bf16 a[4:7], v[20:21], v[34:35], a[4:7]
	ds_read2st64_b64 v[32:35], v24 offset0:90 offset1:92
	ds_read2st64_b64 v[36:39], v29 offset0:90 offset1:92
	ds_read_b64 v[20:21], v24 offset:48128
	ds_read_b64 v[24:25], v29 offset:48128
	s_waitcnt vmcnt(0)
	v_perm_b32 v18, v2, v6, s0
	s_waitcnt lgkmcnt(3)
	v_mfma_f32_16x16x16_bf16 a[0:3], v[40:41], v[32:33], a[0:3]
	s_mov_b32 s1, 0x3020706
	v_perm_b32 v2, v2, v6, s1
	v_perm_b32 v6, v10, v14, s1
	s_waitcnt lgkmcnt(2)
	v_mfma_f32_16x16x16_bf16 a[4:7], v[40:41], v[36:37], a[4:7]
	v_mfma_f32_16x16x16_bf16 a[0:3], v[26:27], v[34:35], a[0:3]
	;; [unrolled: 1-line block ×3, first 2 shown]
	s_waitcnt lgkmcnt(1)
	v_mfma_f32_16x16x16_bf16 a[4:7], v[42:43], v[20:21], a[0:3]
	v_perm_b32 v20, v10, v14, s0
	ds_write2st64_b32 v0, v18, v20 offset0:32 offset1:64
	v_xor_b32_e32 v18, 8, v0
	v_add_u32_e32 v10, 0x80, v18
	ds_write2st64_b32 v10, v2, v6 offset0:32 offset1:64
	v_xor_b32_e32 v2, 16, v0
	v_perm_b32 v6, v3, v7, s0
	v_perm_b32 v10, v11, v15, s0
	ds_write2st64_b32 v2, v6, v10 offset0:33 offset1:65
	v_xor_b32_e32 v2, 24, v0
	v_perm_b32 v3, v3, v7, s1
	v_perm_b32 v6, v11, v15, s1
	v_add_u32_e32 v2, 0x80, v2
	ds_write2st64_b32 v2, v3, v6 offset0:33 offset1:65
	v_xor_b32_e32 v2, 32, v0
	v_perm_b32 v3, v4, v8, s0
	v_perm_b32 v6, v12, v16, s0
	s_waitcnt lgkmcnt(4)
	v_mfma_f32_16x16x16_bf16 a[0:3], v[42:43], v[24:25], a[8:11]
	ds_write2st64_b32 v2, v3, v6 offset0:34 offset1:66
	v_xor_b32_e32 v2, 40, v0
	v_perm_b32 v3, v4, v8, s1
	v_perm_b32 v4, v12, v16, s1
	v_add_u32_e32 v2, 0x80, v2
	ds_write2st64_b32 v2, v3, v4 offset0:34 offset1:66
	v_xor_b32_e32 v2, 48, v0
	v_perm_b32 v3, v5, v9, s0
	v_perm_b32 v4, v13, v17, s0
	v_xor_b32_e32 v0, 56, v0
	v_and_or_b32 v18, v30, 12, v1
	ds_write2st64_b32 v2, v3, v4 offset0:35 offset1:67
	v_perm_b32 v2, v5, v9, s1
	v_perm_b32 v3, v13, v17, s1
	v_add_u32_e32 v0, 0x80, v0
	v_cmp_gt_i32_e32 vcc, s27, v18
	v_mov_b32_e32 v14, 0
	v_mov_b32_e32 v16, 0
	ds_write2st64_b32 v0, v2, v3 offset0:35 offset1:67
	s_and_saveexec_b64 s[0:1], vcc
	s_cbranch_execz .LBB388_61
; %bb.60:
	v_add_u32_e32 v0, s26, v18
	v_ashrrev_i32_e32 v1, 31, v0
	v_mul_lo_u32 v2, v1, s28
	v_mul_lo_u32 v3, v0, s29
	v_mad_u64_u32 v[0:1], s[2:3], v0, s28, 0
	v_add3_u32 v1, v1, v3, v2
	v_lshl_add_u64 v[0:1], v[0:1], 2, s[10:11]
	global_load_dword v0, v[0:1], off
	s_waitcnt vmcnt(0)
	v_sub_f32_e32 v0, s12, v0
	v_exp_f32_e32 v16, v0
.LBB388_61:
	s_or_b64 exec, exec, s[0:1]
	v_or_b32_e32 v8, 1, v18
	v_cmp_gt_i32_e64 s[0:1], s27, v8
	s_and_saveexec_b64 s[2:3], s[0:1]
	s_cbranch_execz .LBB388_63
; %bb.62:
	v_add_u32_e32 v0, s26, v8
	v_ashrrev_i32_e32 v1, 31, v0
	v_mul_lo_u32 v2, v1, s28
	v_mul_lo_u32 v3, v0, s29
	v_mad_u64_u32 v[0:1], s[4:5], v0, s28, 0
	v_add3_u32 v1, v1, v3, v2
	v_lshl_add_u64 v[0:1], v[0:1], 2, s[10:11]
	global_load_dword v0, v[0:1], off
	s_waitcnt vmcnt(0)
	v_sub_f32_e32 v0, s12, v0
	v_exp_f32_e32 v14, v0
.LBB388_63:
	s_or_b64 exec, exec, s[2:3]
	v_or_b32_e32 v10, 2, v18
	v_cmp_gt_i32_e64 s[2:3], s27, v10
	v_mov_b32_e32 v15, 0
	v_mov_b32_e32 v17, 0
	s_and_saveexec_b64 s[4:5], s[2:3]
	s_cbranch_execz .LBB388_65
; %bb.64:
	v_add_u32_e32 v0, s26, v10
	v_ashrrev_i32_e32 v1, 31, v0
	v_mul_lo_u32 v2, v1, s28
	v_mul_lo_u32 v3, v0, s29
	v_mad_u64_u32 v[0:1], s[6:7], v0, s28, 0
	v_add3_u32 v1, v1, v3, v2
	v_lshl_add_u64 v[0:1], v[0:1], 2, s[10:11]
	global_load_dword v0, v[0:1], off
	s_waitcnt vmcnt(0)
	v_sub_f32_e32 v0, s12, v0
	v_exp_f32_e32 v17, v0
.LBB388_65:
	s_or_b64 exec, exec, s[4:5]
	v_or_b32_e32 v12, 3, v18
	v_cmp_gt_i32_e64 s[4:5], s27, v12
	s_and_saveexec_b64 s[6:7], s[4:5]
	s_cbranch_execz .LBB388_67
; %bb.66:
	v_add_u32_e32 v0, s26, v12
	v_ashrrev_i32_e32 v1, 31, v0
	v_mul_lo_u32 v2, v1, s28
	v_mul_lo_u32 v3, v0, s29
	v_mad_u64_u32 v[0:1], s[14:15], v0, s28, 0
	v_add3_u32 v1, v1, v3, v2
	v_lshl_add_u64 v[0:1], v[0:1], 2, s[10:11]
	global_load_dword v0, v[0:1], off
	s_waitcnt vmcnt(0)
	v_sub_f32_e32 v0, s12, v0
	v_exp_f32_e32 v15, v0
.LBB388_67:
	s_or_b64 exec, exec, s[6:7]
	s_add_u32 s6, s8, s20
	v_accvgpr_read_b32 v0, a4
	s_addc_u32 s7, s9, s21
	v_ashrrev_i32_e32 v63, 31, v62
	v_accvgpr_read_b32 v1, a5
	v_accvgpr_read_b32 v2, a6
	;; [unrolled: 1-line block ×3, first 2 shown]
	v_lshl_add_u64 v[4:5], v[62:63], 1, s[6:7]
	v_mov_b32_e32 v9, 0
	v_lshlrev_b32_e32 v6, 8, v18
	v_mov_b32_e32 v7, 0
	s_and_saveexec_b64 s[6:7], vcc
	s_cbranch_execz .LBB388_69
; %bb.68:
	v_mov_b32_e32 v7, 0
	v_lshl_add_u64 v[20:21], v[4:5], 0, v[6:7]
	global_load_ushort v7, v[20:21], off
	s_waitcnt vmcnt(0)
	v_lshlrev_b32_e32 v7, 16, v7
	v_sub_f32_e32 v0, v7, v0
	v_mul_f32_e32 v0, v16, v0
	v_lshrrev_b32_e32 v7, 16, v0
.LBB388_69:
	s_or_b64 exec, exec, s[6:7]
	v_lshlrev_b32_e32 v8, 8, v8
	s_and_saveexec_b64 s[6:7], s[0:1]
	s_cbranch_execz .LBB388_71
; %bb.70:
	v_mov_b32_e32 v9, 0
	v_lshl_add_u64 v[20:21], v[4:5], 0, v[8:9]
	global_load_ushort v0, v[20:21], off
	s_waitcnt vmcnt(0)
	v_lshlrev_b32_e32 v0, 16, v0
	v_sub_f32_e32 v0, v0, v1
	v_mul_f32_e32 v0, v14, v0
	v_lshrrev_b32_e32 v9, 16, v0
.LBB388_71:
	s_or_b64 exec, exec, s[6:7]
	v_mov_b32_e32 v13, 0
	v_lshlrev_b32_e32 v10, 8, v10
	v_mov_b32_e32 v11, 0
	s_and_saveexec_b64 s[6:7], s[2:3]
	s_cbranch_execz .LBB388_73
; %bb.72:
	v_mov_b32_e32 v11, 0
	v_lshl_add_u64 v[0:1], v[4:5], 0, v[10:11]
	global_load_ushort v0, v[0:1], off
	s_waitcnt vmcnt(0)
	v_lshlrev_b32_e32 v0, 16, v0
	v_sub_f32_e32 v0, v0, v2
	v_mul_f32_e32 v0, v17, v0
	v_lshrrev_b32_e32 v11, 16, v0
.LBB388_73:
	s_or_b64 exec, exec, s[6:7]
	v_lshlrev_b32_e32 v12, 8, v12
	s_and_saveexec_b64 s[6:7], s[4:5]
	s_cbranch_execz .LBB388_75
; %bb.74:
	v_mov_b32_e32 v13, 0
	v_lshl_add_u64 v[0:1], v[4:5], 0, v[12:13]
	global_load_ushort v0, v[0:1], off
	s_waitcnt vmcnt(0)
	v_lshlrev_b32_e32 v0, 16, v0
	v_sub_f32_e32 v0, v0, v3
	v_mul_f32_e32 v0, v15, v0
	v_lshrrev_b32_e32 v13, 16, v0
.LBB388_75:
	s_or_b64 exec, exec, s[6:7]
	v_lshlrev_b32_e32 v18, 5, v18
	s_mov_b32 s6, 0x5040100
	v_perm_b32 v20, v9, v7, s6
	v_or_b32_e32 v7, v18, v22
	v_accvgpr_read_b32 v0, a0
	v_perm_b32 v21, v13, v11, s6
	v_lshlrev_b32_e32 v7, 1, v7
	v_accvgpr_read_b32 v1, a1
	v_accvgpr_read_b32 v2, a2
	;; [unrolled: 1-line block ×3, first 2 shown]
	ds_write_b64 v7, v[20:21] offset:45056
	v_mov_b32_e32 v9, 0
	v_mov_b32_e32 v7, 0
	s_and_saveexec_b64 s[6:7], vcc
	s_cbranch_execz .LBB388_77
; %bb.76:
	v_mov_b32_e32 v7, 0
	v_lshl_add_u64 v[6:7], v[4:5], 0, v[6:7]
	global_load_ushort v6, v[6:7], off offset:32
	s_waitcnt vmcnt(0)
	v_lshlrev_b32_e32 v6, 16, v6
	v_sub_f32_e32 v0, v6, v0
	v_mul_f32_e32 v0, v16, v0
	v_lshrrev_b32_e32 v7, 16, v0
.LBB388_77:
	s_or_b64 exec, exec, s[6:7]
	s_and_saveexec_b64 s[6:7], s[0:1]
	s_cbranch_execz .LBB388_79
; %bb.78:
	v_mov_b32_e32 v9, 0
	v_lshl_add_u64 v[8:9], v[4:5], 0, v[8:9]
	global_load_ushort v0, v[8:9], off offset:32
	s_waitcnt vmcnt(0)
	v_lshlrev_b32_e32 v0, 16, v0
	v_sub_f32_e32 v0, v0, v1
	v_mul_f32_e32 v0, v14, v0
	v_lshrrev_b32_e32 v9, 16, v0
.LBB388_79:
	s_or_b64 exec, exec, s[6:7]
	v_mov_b32_e32 v0, 0
	v_mov_b32_e32 v1, 0
	s_and_saveexec_b64 s[0:1], s[2:3]
	s_cbranch_execz .LBB388_81
; %bb.80:
	v_mov_b32_e32 v11, 0
	v_lshl_add_u64 v[10:11], v[4:5], 0, v[10:11]
	global_load_ushort v1, v[10:11], off offset:32
	s_waitcnt vmcnt(0)
	v_lshlrev_b32_e32 v1, 16, v1
	v_sub_f32_e32 v1, v1, v2
	v_mul_f32_e32 v1, v17, v1
	v_lshrrev_b32_e32 v1, 16, v1
.LBB388_81:
	s_or_b64 exec, exec, s[0:1]
	s_and_saveexec_b64 s[0:1], s[4:5]
	s_cbranch_execz .LBB388_83
; %bb.82:
	v_mov_b32_e32 v13, 0
	v_lshl_add_u64 v[4:5], v[4:5], 0, v[12:13]
	global_load_ushort v0, v[4:5], off offset:32
	s_waitcnt vmcnt(0)
	v_lshlrev_b32_e32 v0, 16, v0
	v_sub_f32_e32 v0, v0, v3
	v_mul_f32_e32 v0, v15, v0
	v_lshrrev_b32_e32 v0, 16, v0
.LBB388_83:
	s_or_b64 exec, exec, s[0:1]
	s_mov_b32 s0, 0x5040100
	v_or_b32_e32 v2, v18, v19
	v_perm_b32 v1, v0, v1, s0
	v_perm_b32 v0, v9, v7, s0
	v_lshlrev_b32_e32 v2, 1, v2
	ds_write_b64 v2, v[0:1] offset:45056
	s_waitcnt lgkmcnt(0)
	s_barrier
.LBB388_84:
	s_endpgm
	.section	.rodata,"a",@progbits
	.p2align	6, 0x0
	.amdhsa_kernel _ZN12_GLOBAL__N_139chunk_gated_delta_rule_fwd_h_hip_kernelILi32ELb1ELb0ELb0ELb1ELb1ELb1ELb1ELb0EEEvPK12hip_bfloat16S3_S3_PKfS5_PKvPS1_S8_PvPKiSB_iiiiilll
		.amdhsa_group_segment_fixed_size 49152
		.amdhsa_private_segment_fixed_size 0
		.amdhsa_kernarg_size 136
		.amdhsa_user_sgpr_count 2
		.amdhsa_user_sgpr_dispatch_ptr 0
		.amdhsa_user_sgpr_queue_ptr 0
		.amdhsa_user_sgpr_kernarg_segment_ptr 1
		.amdhsa_user_sgpr_dispatch_id 0
		.amdhsa_user_sgpr_kernarg_preload_length 0
		.amdhsa_user_sgpr_kernarg_preload_offset 0
		.amdhsa_user_sgpr_private_segment_size 0
		.amdhsa_uses_dynamic_stack 0
		.amdhsa_enable_private_segment 0
		.amdhsa_system_sgpr_workgroup_id_x 1
		.amdhsa_system_sgpr_workgroup_id_y 1
		.amdhsa_system_sgpr_workgroup_id_z 0
		.amdhsa_system_sgpr_workgroup_info 0
		.amdhsa_system_vgpr_workitem_id 0
		.amdhsa_next_free_vgpr 160
		.amdhsa_next_free_sgpr 62
		.amdhsa_accum_offset 140
		.amdhsa_reserve_vcc 1
		.amdhsa_float_round_mode_32 0
		.amdhsa_float_round_mode_16_64 0
		.amdhsa_float_denorm_mode_32 3
		.amdhsa_float_denorm_mode_16_64 3
		.amdhsa_dx10_clamp 1
		.amdhsa_ieee_mode 1
		.amdhsa_fp16_overflow 0
		.amdhsa_tg_split 0
		.amdhsa_exception_fp_ieee_invalid_op 0
		.amdhsa_exception_fp_denorm_src 0
		.amdhsa_exception_fp_ieee_div_zero 0
		.amdhsa_exception_fp_ieee_overflow 0
		.amdhsa_exception_fp_ieee_underflow 0
		.amdhsa_exception_fp_ieee_inexact 0
		.amdhsa_exception_int_div_zero 0
	.end_amdhsa_kernel
	.section	.text._ZN12_GLOBAL__N_139chunk_gated_delta_rule_fwd_h_hip_kernelILi32ELb1ELb0ELb0ELb1ELb1ELb1ELb1ELb0EEEvPK12hip_bfloat16S3_S3_PKfS5_PKvPS1_S8_PvPKiSB_iiiiilll,"axG",@progbits,_ZN12_GLOBAL__N_139chunk_gated_delta_rule_fwd_h_hip_kernelILi32ELb1ELb0ELb0ELb1ELb1ELb1ELb1ELb0EEEvPK12hip_bfloat16S3_S3_PKfS5_PKvPS1_S8_PvPKiSB_iiiiilll,comdat
.Lfunc_end388:
	.size	_ZN12_GLOBAL__N_139chunk_gated_delta_rule_fwd_h_hip_kernelILi32ELb1ELb0ELb0ELb1ELb1ELb1ELb1ELb0EEEvPK12hip_bfloat16S3_S3_PKfS5_PKvPS1_S8_PvPKiSB_iiiiilll, .Lfunc_end388-_ZN12_GLOBAL__N_139chunk_gated_delta_rule_fwd_h_hip_kernelILi32ELb1ELb0ELb0ELb1ELb1ELb1ELb1ELb0EEEvPK12hip_bfloat16S3_S3_PKfS5_PKvPS1_S8_PvPKiSB_iiiiilll
                                        ; -- End function
	.section	.AMDGPU.csdata,"",@progbits
; Kernel info:
; codeLenInByte = 8444
; NumSgprs: 68
; NumVgprs: 140
; NumAgprs: 20
; TotalNumVgprs: 160
; ScratchSize: 0
; MemoryBound: 0
; FloatMode: 240
; IeeeMode: 1
; LDSByteSize: 49152 bytes/workgroup (compile time only)
; SGPRBlocks: 8
; VGPRBlocks: 19
; NumSGPRsForWavesPerEU: 68
; NumVGPRsForWavesPerEU: 160
; AccumOffset: 140
; Occupancy: 1
; WaveLimiterHint : 1
; COMPUTE_PGM_RSRC2:SCRATCH_EN: 0
; COMPUTE_PGM_RSRC2:USER_SGPR: 2
; COMPUTE_PGM_RSRC2:TRAP_HANDLER: 0
; COMPUTE_PGM_RSRC2:TGID_X_EN: 1
; COMPUTE_PGM_RSRC2:TGID_Y_EN: 1
; COMPUTE_PGM_RSRC2:TGID_Z_EN: 0
; COMPUTE_PGM_RSRC2:TIDIG_COMP_CNT: 0
; COMPUTE_PGM_RSRC3_GFX90A:ACCUM_OFFSET: 34
; COMPUTE_PGM_RSRC3_GFX90A:TG_SPLIT: 0
	.section	.text._ZN12_GLOBAL__N_139chunk_gated_delta_rule_fwd_h_hip_kernelILi32ELb0ELb1ELb1ELb1ELb1ELb1ELb1ELb0EEEvPK12hip_bfloat16S3_S3_PKfS5_PKvPS1_S8_PvPKiSB_iiiiilll,"axG",@progbits,_ZN12_GLOBAL__N_139chunk_gated_delta_rule_fwd_h_hip_kernelILi32ELb0ELb1ELb1ELb1ELb1ELb1ELb1ELb0EEEvPK12hip_bfloat16S3_S3_PKfS5_PKvPS1_S8_PvPKiSB_iiiiilll,comdat
	.globl	_ZN12_GLOBAL__N_139chunk_gated_delta_rule_fwd_h_hip_kernelILi32ELb0ELb1ELb1ELb1ELb1ELb1ELb1ELb0EEEvPK12hip_bfloat16S3_S3_PKfS5_PKvPS1_S8_PvPKiSB_iiiiilll ; -- Begin function _ZN12_GLOBAL__N_139chunk_gated_delta_rule_fwd_h_hip_kernelILi32ELb0ELb1ELb1ELb1ELb1ELb1ELb1ELb0EEEvPK12hip_bfloat16S3_S3_PKfS5_PKvPS1_S8_PvPKiSB_iiiiilll
	.p2align	8
	.type	_ZN12_GLOBAL__N_139chunk_gated_delta_rule_fwd_h_hip_kernelILi32ELb0ELb1ELb1ELb1ELb1ELb1ELb1ELb0EEEvPK12hip_bfloat16S3_S3_PKfS5_PKvPS1_S8_PvPKiSB_iiiiilll,@function
_ZN12_GLOBAL__N_139chunk_gated_delta_rule_fwd_h_hip_kernelILi32ELb0ELb1ELb1ELb1ELb1ELb1ELb1ELb0EEEvPK12hip_bfloat16S3_S3_PKfS5_PKvPS1_S8_PvPKiSB_iiiiilll: ; @_ZN12_GLOBAL__N_139chunk_gated_delta_rule_fwd_h_hip_kernelILi32ELb0ELb1ELb1ELb1ELb1ELb1ELb1ELb0EEEvPK12hip_bfloat16S3_S3_PKfS5_PKvPS1_S8_PvPKiSB_iiiiilll
; %bb.0:
	s_load_dwordx4 s[20:23], s[0:1], 0x5c
	s_load_dwordx2 s[40:41], s[0:1], 0x20
	s_abs_i32 s27, s3
	s_ashr_i32 s26, s3, 31
	s_load_dwordx2 s[24:25], s[0:1], 0x50
	s_load_dwordx8 s[4:11], s[0:1], 0x30
	s_load_dwordx8 s[12:19], s[0:1], 0x0
	s_waitcnt lgkmcnt(0)
	s_abs_i32 s30, s21
	v_cvt_f32_u32_e32 v1, s30
	s_sub_i32 s28, 0, s30
	s_ashr_i32 s33, s21, 31
	s_xor_b32 s26, s26, s33
	v_rcp_iflag_f32_e32 v1, v1
	v_lshrrev_b32_e32 v53, 6, v0
	v_bfe_u32 v64, v0, 4, 2
	v_lshlrev_b32_e32 v62, 4, v53
	v_mul_f32_e32 v1, 0x4f7ffffe, v1
	v_cvt_u32_f32_e32 v1, v1
	v_lshlrev_b32_e32 v18, 2, v64
	v_and_b32_e32 v63, 63, v0
	v_mov_b32_e32 v17, 0
	v_readfirstlane_b32 s29, v1
	s_mul_i32 s28, s28, s29
	s_mul_hi_u32 s28, s29, s28
	s_add_i32 s29, s29, s28
	s_mul_hi_u32 s28, s27, s29
	s_mul_i32 s29, s28, s30
	s_sub_i32 s27, s27, s29
	s_add_i32 s31, s28, 1
	s_sub_i32 s29, s27, s30
	s_cmp_ge_u32 s27, s30
	s_cselect_b32 s28, s31, s28
	s_cselect_b32 s27, s29, s27
	s_add_i32 s29, s28, 1
	s_cmp_ge_u32 s27, s30
	s_cselect_b32 s27, s29, s28
	s_xor_b32 s27, s27, s26
	s_sub_i32 s34, s27, s26
	s_mul_i32 s26, s34, s21
	s_ashr_i32 s35, s34, 31
	s_sub_i32 s48, s3, s26
	s_lshl_b64 s[26:27], s[34:35], 2
	s_add_u32 s10, s10, s26
	s_addc_u32 s11, s11, s27
	s_add_u32 s28, s24, s26
	s_addc_u32 s29, s25, s27
	s_abs_i32 s3, s22
	v_cvt_f32_u32_e32 v1, s3
	s_load_dwordx2 s[42:43], s[10:11], 0x0
	s_sub_i32 s11, 0, s3
	s_mov_b32 s49, s21
	v_rcp_iflag_f32_e32 v1, v1
	v_and_b32_e32 v65, 15, v0
	s_waitcnt lgkmcnt(0)
	s_sub_i32 s58, s43, s42
	s_ashr_i32 s10, s58, 31
	v_mul_f32_e32 v1, 0x4f7ffffe, v1
	v_cvt_u32_f32_e32 v1, v1
	s_lshr_b32 s10, s10, 26
	s_add_i32 s10, s58, s10
	s_ashr_i32 s53, s10, 6
	v_readfirstlane_b32 s24, v1
	s_mul_i32 s11, s11, s24
	s_mul_hi_u32 s11, s24, s11
	s_add_i32 s24, s24, s11
	s_mul_hi_u32 s11, s30, s24
	s_mul_i32 s24, s11, s3
	s_ashr_i32 s10, s22, 31
	s_sub_i32 s24, s30, s24
	s_xor_b32 s10, s33, s10
	s_add_i32 s25, s11, 1
	s_sub_i32 s26, s24, s3
	s_cmp_ge_u32 s24, s3
	s_cselect_b32 s11, s25, s11
	s_cselect_b32 s24, s26, s24
	s_add_i32 s25, s11, 1
	s_cmp_ge_u32 s24, s3
	s_cselect_b32 s3, s25, s11
	s_xor_b32 s3, s3, s10
	s_sub_i32 s3, s3, s10
	s_abs_i32 s30, s3
	v_cvt_f32_u32_e32 v1, s30
	s_load_dwordx2 s[10:11], s[0:1], 0x80
	s_load_dwordx4 s[24:27], s[0:1], 0x70
	s_load_dword s54, s[28:29], 0x0
	s_xor_b32 s0, s48, s3
	v_rcp_iflag_f32_e32 v1, v1
	s_sub_i32 s3, 0, s30
	s_abs_i32 s1, s48
	s_ashr_i32 s0, s0, 31
	v_mul_f32_e32 v1, 0x4f7ffffe, v1
	v_cvt_u32_f32_e32 v1, v1
	s_mul_hi_i32 s55, s48, s20
	s_mul_i32 s56, s48, s20
	v_lshrrev_b32_e32 v67, 3, v63
	v_readfirstlane_b32 s28, v1
	s_mul_i32 s3, s3, s28
	s_mul_hi_u32 s3, s28, s3
	s_add_i32 s28, s28, s3
	s_mul_hi_u32 s3, s1, s28
	s_mul_i32 s28, s3, s30
	s_sub_i32 s1, s1, s28
	s_add_i32 s28, s3, 1
	s_sub_i32 s29, s1, s30
	s_cmp_ge_u32 s1, s30
	s_cselect_b32 s3, s28, s3
	s_cselect_b32 s1, s29, s1
	s_add_i32 s28, s3, 1
	s_cmp_ge_u32 s1, s30
	s_cselect_b32 s1, s28, s3
	s_xor_b32 s1, s1, s0
	s_sub_i32 s57, s1, s0
	v_or_b32_e32 v1, v18, v62
	s_lshl_b32 s2, s2, 5
	v_or_b32_e32 v68, 64, v1
	s_cmp_lt_i32 s58, 64
	v_lshlrev_b32_e32 v66, 3, v0
	s_waitcnt lgkmcnt(0)
	s_mul_i32 s50, s34, s25
	s_mul_hi_u32 s51, s34, s24
	s_mul_i32 s52, s35, s24
	s_mul_i32 s24, s34, s24
	v_mov_b32_e32 v16, v17
	v_mov_b32_e32 v15, v17
	;; [unrolled: 1-line block ×15, first 2 shown]
	s_cbranch_scc1 .LBB389_19
; %bb.1:
	s_ashr_i32 s60, s48, 31
	s_ashr_i32 s1, s42, 31
	s_add_u32 s0, s56, s42
	s_addc_u32 s1, s55, s1
	s_lshl_b64 s[0:1], s[0:1], 8
	v_and_b32_e32 v70, 56, v66
	s_add_u32 s28, s14, s0
	v_lshl_or_b32 v69, v53, 3, v67
	v_lshlrev_b32_e32 v2, 1, v70
	s_addc_u32 s0, s15, s1
	v_lshl_or_b32 v71, v69, 8, v2
	s_and_b32 s29, s0, 0xffff
	s_mov_b32 s31, 0x20000
	s_movk_i32 s30, 0x4000
	s_movk_i32 s0, 0x80
	v_or_b32_e32 v72, 0x2000, v71
	buffer_load_dwordx4 v[4:7], v71, s[28:31], 0 offen
	buffer_load_dwordx4 v[8:11], v71, s[28:31], s0 offen
	;; [unrolled: 1-line block ×4, first 2 shown]
	v_lshlrev_b32_e32 v3, 3, v69
	v_and_or_b32 v17, v0, 7, v3
	v_and_b32_e32 v3, 0x78, v3
	v_lshlrev_b32_e32 v17, 4, v17
	v_xor_b32_e32 v73, v17, v3
	v_mul_lo_u32 v16, v69, s23
	v_or_b32_e32 v74, 0x1000, v73
	v_xor_b32_e32 v3, 8, v73
	s_cmpk_eq_i32 s23, 0x80
	s_mov_b32 s59, s42
	v_xor_b32_e32 v17, 8, v74
	s_cselect_b64 s[0:1], -1, 0
	s_cmpk_lg_i32 s23, 0x80
	s_waitcnt vmcnt(3)
	ds_write_b64 v73, v[4:5] offset:24576
	ds_write_b64 v3, v[6:7] offset:24576
	s_waitcnt vmcnt(2)
	ds_write_b64 v73, v[8:9] offset:32768
	ds_write_b64 v3, v[10:11] offset:32768
	;; [unrolled: 3-line block ×4, first 2 shown]
	v_lshl_add_u32 v3, v16, 1, v70
	s_cbranch_scc0 .LBB389_3
; %bb.2:
	v_lshlrev_b32_e32 v5, 1, v3
	v_add_lshl_u32 v4, v3, s23, 1
	s_lshl_b32 s30, s23, 7
	v_lshl_or_b32 v2, v69, 9, v2
	s_cbranch_execz .LBB389_4
	s_branch .LBB389_5
.LBB389_3:
                                        ; implicit-def: $vgpr4
                                        ; implicit-def: $vgpr5
                                        ; implicit-def: $sgpr30
	v_lshl_or_b32 v2, v69, 9, v2
.LBB389_4:
	v_or_b32_e32 v4, 0x100, v2
	s_movk_i32 s30, 0x4000
	v_mov_b32_e32 v5, v2
.LBB389_5:
	s_mul_i32 s25, s42, s22
	s_ashr_i32 s61, s57, 31
	s_mul_hi_i32 s3, s42, s22
	s_add_u32 s28, s25, s57
	s_addc_u32 s29, s3, s61
	s_lshl_b64 s[28:29], s[28:29], 8
	s_add_u32 s28, s12, s28
	s_addc_u32 s3, s13, s29
	s_and_b32 s29, s3, 0xffff
	s_movk_i32 s62, 0x80
	buffer_load_dwordx4 v[6:9], v5, s[28:31], 0 offen
	buffer_load_dwordx4 v[10:13], v5, s[28:31], s62 offen
	;; [unrolled: 1-line block ×4, first 2 shown]
	v_and_b32_e32 v4, 6, v0
	v_lshlrev_b32_e32 v24, 6, v1
	v_or_b32_e32 v26, 16, v65
	v_xor_b32_e32 v27, v69, v4
	v_and_b32_e32 v5, 1, v0
	v_lshl_or_b32 v30, v65, 3, v24
	v_lshl_or_b32 v24, v26, 3, v24
	v_lshlrev_b32_e32 v27, 2, v27
	v_lshlrev_b32_e32 v19, 2, v65
	s_mul_i32 s3, s48, s27
	s_mul_hi_u32 s25, s48, s26
	v_or_b32_e32 v77, 0xa000, v24
	v_or_b32_e32 v78, 0xb000, v24
	v_xor_b32_e32 v24, 0x440, v27
	v_cmp_eq_u32_e32 vcc, 0, v5
	s_add_i32 s29, s51, s50
	s_mul_i32 s28, s60, s26
	v_xor_b32_e32 v28, v1, v19
	v_xor_b32_e32 v29, v68, v19
	v_cndmask_b32_e32 v5, v24, v27, vcc
	s_add_i32 s3, s25, s3
	s_add_i32 s25, s29, s52
	s_mov_b32 s63, 0x1000504
	v_lshlrev_b32_e32 v25, 8, v65
	v_lshlrev_b32_e32 v26, 8, v26
	;; [unrolled: 1-line block ×4, first 2 shown]
	v_lshl_or_b32 v4, v4, 10, v5
	s_add_i32 s29, s3, s28
	s_lshl_b64 s[36:37], s[24:25], 2
	s_mov_b32 s64, 0x3020706
	v_or_b32_e32 v75, 0xa000, v30
	v_or_b32_e32 v76, 0xb000, v30
	;; [unrolled: 1-line block ×5, first 2 shown]
	v_xor_b32_e32 v5, 8, v4
	v_xor_b32_e32 v25, 24, v4
	;; [unrolled: 1-line block ×4, first 2 shown]
	s_mul_i32 s28, s48, s26
	s_add_u32 s3, s18, s36
	v_or_b32_e32 v81, v26, v28
	v_xor_b32_e32 v24, 16, v4
	v_xor_b32_e32 v26, 32, v4
	;; [unrolled: 1-line block ×3, first 2 shown]
	v_add_u32_e32 v5, 0x80, v5
	v_add_u32_e32 v25, 0x80, v25
	;; [unrolled: 1-line block ×4, first 2 shown]
	s_addc_u32 s25, s19, s37
	s_lshl_b64 s[28:29], s[28:29], 2
	s_add_u32 s44, s3, s28
	s_movk_i32 s3, 0xf8
	s_addc_u32 s45, s25, s29
	s_lshl_b32 s38, s23, 7
	s_movk_i32 s36, 0x100
	v_mov_b32_e32 v55, 0
	v_lshlrev_b32_e32 v54, 4, v65
	v_cmp_gt_u32_e32 vcc, s36, v0
	s_mov_b32 s65, 0
	s_movk_i32 s25, 0x1000
	s_movk_i32 s30, 0x4000
	v_add_u32_e32 v96, v62, v18
	v_mov_b32_e32 v107, v55
	v_mov_b32_e32 v108, v55
	v_mov_b32_e32 v109, v55
	v_mov_b32_e32 v114, v55
	v_mov_b32_e32 v110, v55
	v_mov_b32_e32 v111, v55
	v_mov_b32_e32 v112, v55
	v_mov_b32_e32 v113, v55
	s_waitcnt vmcnt(1)
	v_perm_b32 v30, v6, v14, s63
	s_waitcnt vmcnt(0)
	v_perm_b32 v31, v10, v20, s63
	v_perm_b32 v6, v6, v14, s64
	;; [unrolled: 1-line block ×15, first 2 shown]
	ds_write2st64_b32 v4, v30, v31 offset0:32 offset1:64
	ds_write2st64_b32 v5, v6, v10 offset0:32 offset1:64
	;; [unrolled: 1-line block ×8, first 2 shown]
	v_or_b32_e32 v4, v62, v65
	v_lshlrev_b32_e32 v4, 3, v4
	v_lshrrev_b32_e32 v6, 5, v63
	v_and_or_b32 v6, v4, s3, v6
	v_lshlrev_b32_e32 v6, 4, v6
	v_lshrrev_b32_e32 v5, 2, v63
	v_lshlrev_b32_e32 v11, 11, v53
	v_and_b32_e32 v4, 0x78, v4
	v_or_b32_e32 v10, 32, v6
	v_and_b32_e32 v7, 12, v5
	v_and_b32_e32 v5, 0x1000, v11
	v_xor_b32_e32 v8, v6, v4
	v_lshrrev_b32_e32 v9, 1, v63
	v_xor_b32_e32 v10, v10, v4
	v_or_b32_e32 v8, v8, v5
	v_and_b32_e32 v9, 8, v9
	v_lshlrev_b32_e32 v12, 7, v64
	v_or_b32_e32 v10, v10, v5
	v_xor_b32_e32 v83, v8, v9
	v_or_b32_e32 v8, v12, v19
	v_xor_b32_e32 v85, v10, v9
	v_or_b32_e32 v10, 64, v6
	v_or_b32_e32 v6, 0x60, v6
	s_ashr_i32 s3, s2, 31
	v_lshlrev_b32_e32 v8, 1, v8
	v_xor_b32_e32 v10, v10, v4
	v_xor_b32_e32 v4, v6, v4
	s_lshl_b64 s[28:29], s[2:3], 8
	v_or_b32_e32 v84, 0xa000, v8
	v_or_b32_e32 v86, 0xa080, v8
	;; [unrolled: 1-line block ×6, first 2 shown]
	s_add_u32 s28, s4, s28
	v_lshlrev_b32_e32 v8, 1, v65
	v_lshlrev_b32_e32 v19, 2, v0
	v_lshrrev_b32_e32 v22, 1, v0
	v_xor_b32_e32 v87, v10, v9
	v_xor_b32_e32 v88, v4, v9
	v_lshrrev_b32_e32 v10, 4, v0
	s_addc_u32 s29, s5, s29
	v_or_b32_e32 v9, 1, v8
	v_mov_b32_e32 v20, 0x4000
	v_mov_b32_e32 v21, 0x2000
	v_and_b32_e32 v22, 24, v22
	v_and_or_b32 v12, v19, 60, v12
	v_mov_b32_e32 v19, 0xb000
	v_xor_b32_e32 v15, v10, v8
	v_xor_b32_e32 v16, v9, v10
	v_lshl_add_u64 v[8:9], s[28:29], 0, v[54:55]
	v_lshlrev_b32_e32 v54, 8, v10
	v_cndmask_b32_e32 v20, v20, v21, vcc
	v_lshlrev_b32_e32 v21, 3, v53
	v_lshl_or_b32 v93, v12, 1, v19
	v_or_b32_e32 v12, 32, v22
	v_lshl_or_b32 v91, v15, 3, v54
	v_and_b32_e32 v15, 8, v0
	v_xor_b32_e32 v12, v21, v12
	v_cmp_eq_u32_e32 vcc, 0, v15
	v_or_b32_e32 v19, 0x440, v12
	v_and_b32_e32 v10, 7, v0
	v_cndmask_b32_e32 v12, v19, v12, vcc
	v_lshl_or_b32 v92, v16, 3, v54
	v_lshlrev_b32_e32 v16, 3, v10
	v_or_b32_e32 v12, v12, v11
	v_xor_b32_e32 v19, v12, v16
	v_or_b32_e32 v12, 64, v22
	v_xor_b32_e32 v12, v21, v12
	v_xor_b32_e32 v25, 0x440, v12
	v_cndmask_b32_e32 v12, v25, v12, vcc
	v_or_b32_e32 v12, v12, v11
	v_xor_b32_e32 v25, v12, v16
	v_or_b32_e32 v12, 0x60, v22
	v_xor_b32_e32 v23, v21, v22
	v_xor_b32_e32 v12, v21, v12
	v_or_b32_e32 v24, 0x440, v23
	v_xor_b32_e32 v21, 0x440, v12
	v_cndmask_b32_e32 v15, v24, v23, vcc
	v_cndmask_b32_e32 v12, v21, v12, vcc
	v_or_b32_e32 v4, s2, v65
	v_or_b32_e32 v15, v15, v11
	;; [unrolled: 1-line block ×3, first 2 shown]
	v_ashrrev_i32_e32 v5, 31, v4
	v_lshlrev_b32_e32 v13, 1, v3
	v_add_lshl_u32 v3, v3, s23, 1
	v_or_b32_e32 v14, 0x100, v2
	v_xor_b32_e32 v15, v15, v16
	v_xor_b32_e32 v11, v11, v16
	v_lshlrev_b32_e32 v6, 7, v1
	v_lshlrev_b32_e32 v17, 7, v10
	v_or_b32_e32 v10, v7, v62
	v_add_u32_e32 v23, v20, v15
	v_add_u32_e32 v24, v20, v19
	;; [unrolled: 1-line block ×4, first 2 shown]
	v_or3_b32 v12, v62, v7, 64
	v_add_u32_e32 v7, 0x4000, v15
	v_add_u32_e32 v15, 0x4000, v19
	;; [unrolled: 1-line block ×4, first 2 shown]
	v_cndmask_b32_e64 v94, v13, v2, s[0:1]
	v_cndmask_b32_e64 v95, v3, v14, s[0:1]
	v_lshlrev_b64 v[2:3], 1, v[4:5]
	v_lshl_add_u64 v[56:57], s[16:17], 0, v[2:3]
	v_lshl_add_u64 v[58:59], s[6:7], 0, v[2:3]
	v_lshl_add_u64 v[60:61], v[8:9], 0, v[54:55]
	s_mov_b32 s3, 0x7060302
	v_lshlrev_b32_e32 v54, 1, v6
	v_lshlrev_b32_e32 v97, 2, v10
	v_add_u32_e32 v98, v23, v17
	v_add_u32_e32 v99, v24, v17
	;; [unrolled: 1-line block ×4, first 2 shown]
	v_lshlrev_b32_e32 v102, 2, v12
	v_add_u32_e32 v103, v7, v17
	v_add_u32_e32 v104, v15, v17
	;; [unrolled: 1-line block ×4, first 2 shown]
	v_mov_b32_e32 v2, v55
	v_mov_b32_e32 v3, v55
	;; [unrolled: 1-line block ×8, first 2 shown]
	s_waitcnt lgkmcnt(0)
	s_barrier
.LBB389_6:                              ; =>This Inner Loop Header: Depth=1
	s_add_i32 s66, s65, 1
	s_cmp_lt_i32 s66, s53
	s_mov_b64 s[36:37], 0
	s_cselect_b64 s[46:47], -1, 0
	s_cmp_ge_i32 s66, s53
	s_mov_b64 s[28:29], 0
	s_cbranch_scc1 .LBB389_8
; %bb.7:                                ;   in Loop: Header=BB389_6 Depth=1
	s_add_i32 s0, s59, 64
	s_ashr_i32 s1, s0, 31
	s_add_u32 s0, s56, s0
	s_addc_u32 s1, s55, s1
	s_lshl_b64 s[0:1], s[0:1], 8
	s_add_u32 s28, s14, s0
	s_addc_u32 s29, s15, s1
.LBB389_8:                              ;   in Loop: Header=BB389_6 Depth=1
	v_cndmask_b32_e64 v10, 0, 1, s[46:47]
	v_cmp_ne_u32_e64 s[0:1], 1, v10
	s_andn2_b64 vcc, exec, s[46:47]
	s_cbranch_vccnz .LBB389_10
; %bb.9:                                ;   in Loop: Header=BB389_6 Depth=1
	s_add_i32 s36, s59, 64
	s_mul_hi_i32 s37, s36, s22
	s_mul_i32 s36, s36, s22
	s_add_u32 s36, s36, s57
	s_addc_u32 s37, s37, s61
	s_lshl_b64 s[36:37], s[36:37], 8
	s_add_u32 s36, s12, s36
	s_addc_u32 s37, s13, s37
.LBB389_10:                             ;   in Loop: Header=BB389_6 Depth=1
	v_perm_b32 v11, v5, v4, s3
	v_perm_b32 v10, v3, v2, s3
	;; [unrolled: 1-line block ×4, first 2 shown]
	ds_write_b64 v75, v[10:11]
	ds_write_b64 v76, v[12:13]
	;; [unrolled: 1-line block ×4, first 2 shown]
	v_perm_b32 v11, v114, v109, s3
	v_perm_b32 v10, v108, v107, s3
	;; [unrolled: 1-line block ×4, first 2 shown]
	ds_write_b64 v77, v[10:11]
	ds_write_b64 v78, v[12:13]
	;; [unrolled: 1-line block ×4, first 2 shown]
	s_waitcnt lgkmcnt(0)
	s_barrier
	ds_read_b64 v[14:15], v83 offset:24576
	ds_read2_b64 v[10:13], v84 offset1:16
	ds_read_b64 v[18:19], v86 offset:3072
	ds_read_b64 v[20:21], v84 offset:3072
	ds_read_b64 v[22:23], v85 offset:24576
	s_waitcnt lgkmcnt(3)
	v_mfma_f32_16x16x16_bf16 a[0:3], v[14:15], v[10:11], 0
	s_add_i32 s67, s59, 63
	s_ashr_i32 s39, s67, 31
	s_mul_i32 s46, s67, s11
	v_mfma_f32_16x16x16_bf16 a[4:7], v[14:15], v[12:13], 0
	ds_read2st64_b64 v[10:13], v84 offset0:2 offset1:4
	s_mul_hi_u32 s47, s67, s10
	s_add_i32 s46, s47, s46
	s_waitcnt lgkmcnt(0)
	v_mfma_f32_16x16x16_bf16 a[0:3], v[22:23], v[10:11], a[0:3]
	ds_read2st64_b64 v[14:17], v86 offset0:2 offset1:4
	ds_read_b64 v[10:11], v87 offset:24576
	s_mul_i32 s39, s39, s10
	s_add_i32 s47, s46, s39
	s_waitcnt lgkmcnt(1)
	v_mfma_f32_16x16x16_bf16 a[4:7], v[22:23], v[14:15], a[4:7]
	ds_read_b64 v[14:15], v88 offset:24576
	s_mul_i32 s46, s67, s10
	s_lshl_b64 s[46:47], s[46:47], 2
	s_waitcnt lgkmcnt(1)
	v_mfma_f32_16x16x16_bf16 a[0:3], v[10:11], v[12:13], a[0:3]
	s_add_u32 s46, s44, s46
	s_addc_u32 s47, s45, s47
	s_and_b64 vcc, exec, s[0:1]
	v_mfma_f32_16x16x16_bf16 a[8:11], v[10:11], v[16:17], a[4:7]
	v_mov_b32_e32 v117, 0
	v_mov_b32_e32 v116, 0
	;; [unrolled: 1-line block ×3, first 2 shown]
	s_waitcnt lgkmcnt(0)
	v_mfma_f32_16x16x16_bf16 a[4:7], v[14:15], v[20:21], a[0:3]
	v_mov_b32_e32 v10, 0
	v_mov_b32_e32 v11, 0
	;; [unrolled: 1-line block ×3, first 2 shown]
	v_mfma_f32_16x16x16_bf16 a[0:3], v[14:15], v[18:19], a[8:11]
	v_mov_b32_e32 v13, 0
	v_mov_b32_e32 v14, 0
	;; [unrolled: 1-line block ×13, first 2 shown]
	s_cbranch_vccnz .LBB389_12
; %bb.11:                               ;   in Loop: Header=BB389_6 Depth=1
	s_and_b32 s29, s29, 0xffff
	buffer_load_dwordx4 v[22:25], v71, s[28:31], 0 offen
	buffer_load_dwordx4 v[18:21], v71, s[28:31], s62 offen
	;; [unrolled: 1-line block ×4, first 2 shown]
	v_mov_b32_e32 v116, v73
	v_mov_b32_e32 v115, v74
.LBB389_12:                             ;   in Loop: Header=BB389_6 Depth=1
	ds_read_b64 v[34:35], v83 offset:32768
	ds_read2_b64 v[26:29], v89 offset1:16
	ds_read_b64 v[36:37], v85 offset:32768
	ds_read_b64 v[38:39], v87 offset:32768
	;; [unrolled: 1-line block ×3, first 2 shown]
	ds_read2st64_b64 v[30:33], v89 offset0:2 offset1:4
	v_add_u32_e32 v42, s59, v96
	s_waitcnt lgkmcnt(4)
	v_mfma_f32_16x16x16_bf16 a[4:7], v[34:35], v[26:27], a[4:7]
	v_ashrrev_i32_e32 v26, 31, v42
	v_mov_b32_e32 v118, 0
	v_mfma_f32_16x16x16_bf16 a[0:3], v[34:35], v[28:29], a[0:3]
	v_mul_lo_u32 v28, v42, s11
	v_mul_lo_u32 v29, v26, s10
	v_mad_u64_u32 v[26:27], s[28:29], v42, s10, 0
	v_add3_u32 v27, v27, v28, v29
	v_add_u32_e32 v28, 1, v42
	v_ashrrev_i32_e32 v29, 31, v28
	s_waitcnt lgkmcnt(0)
	v_mfma_f32_16x16x16_bf16 a[4:7], v[36:37], v[30:31], a[4:7]
	v_mul_lo_u32 v30, v29, s10
	v_mul_lo_u32 v31, v28, s11
	v_mad_u64_u32 v[28:29], s[28:29], v28, s10, 0
	v_add3_u32 v29, v29, v31, v30
	v_add_u32_e32 v30, 2, v42
	v_ashrrev_i32_e32 v31, 31, v30
	v_mul_lo_u32 v34, v31, s10
	v_mul_lo_u32 v35, v30, s11
	v_mad_u64_u32 v[30:31], s[28:29], v30, s10, 0
	v_add3_u32 v31, v31, v35, v34
	v_add_u32_e32 v34, 3, v42
	v_ashrrev_i32_e32 v35, 31, v34
	v_mul_lo_u32 v42, v35, s10
	v_mul_lo_u32 v43, v34, s11
	v_mad_u64_u32 v[34:35], s[28:29], v34, s10, 0
	s_ashr_i32 s29, s59, 31
	v_add3_u32 v35, v35, v43, v42
	s_add_u32 s28, s56, s59
	v_lshl_add_u64 v[26:27], v[26:27], 2, s[44:45]
	v_lshl_add_u64 v[34:35], v[34:35], 2, s[44:45]
	s_addc_u32 s29, s55, s29
	v_lshl_add_u64 v[28:29], v[28:29], 2, s[44:45]
	v_lshl_add_u64 v[30:31], v[30:31], 2, s[44:45]
	global_load_dword v42, v[26:27], off
	global_load_dword v43, v[28:29], off
	;; [unrolled: 1-line block ×3, first 2 shown]
	s_nop 0
	global_load_dword v35, v[34:35], off
	s_lshl_b64 s[68:69], s[28:29], 8
	v_lshl_add_u64 v[26:27], v[56:57], 0, s[68:69]
	v_lshl_add_u64 v[30:31], v[26:27], 0, v[54:55]
	global_load_ushort v45, v[30:31], off offset:256
	global_load_ushort v46, v[30:31], off
	global_load_ushort v47, v[30:31], off offset:768
	global_load_ushort v48, v[30:31], off offset:512
	ds_read2st64_b64 v[26:29], v90 offset0:2 offset1:4
	global_load_ushort v49, v[30:31], off offset:800
	global_load_ushort v50, v[30:31], off offset:544
	;; [unrolled: 1-line block ×4, first 2 shown]
	s_waitcnt lgkmcnt(0)
	v_mfma_f32_16x16x16_bf16 a[0:3], v[36:37], v[26:27], a[0:3]
	s_and_b64 vcc, exec, s[0:1]
	s_waitcnt vmcnt(7)
	v_lshlrev_b32_e32 v37, 16, v45
	v_mfma_f32_16x16x16_bf16 a[4:7], v[38:39], v[32:33], a[4:7]
	s_waitcnt vmcnt(6)
	v_lshlrev_b32_e32 v36, 16, v46
	v_mfma_f32_16x16x16_bf16 a[0:3], v[38:39], v[28:29], a[0:3]
	ds_read_b64 v[26:27], v89 offset:3072
	ds_read_b64 v[28:29], v90 offset:3072
	s_load_dword s28, s[46:47], 0x0
	s_waitcnt vmcnt(5)
	v_lshlrev_b32_e32 v39, 16, v47
	s_waitcnt lgkmcnt(0)
	v_mfma_f32_16x16x16_bf16 a[4:7], v[40:41], v[26:27], a[4:7]
	v_lshl_add_u64 v[26:27], v[58:59], 0, s[68:69]
	v_sub_f32_e32 v34, s28, v42
	v_sub_f32_e32 v38, s28, v43
	v_mfma_f32_16x16x16_bf16 a[0:3], v[40:41], v[28:29], a[0:3]
	v_sub_f32_e32 v40, s28, v44
	v_sub_f32_e32 v41, s28, v35
	v_exp_f32_e32 v34, v34
	v_exp_f32_e32 v35, v38
	;; [unrolled: 1-line block ×4, first 2 shown]
	v_accvgpr_read_b32 v33, a5
	v_accvgpr_read_b32 v29, a7
	;; [unrolled: 1-line block ×4, first 2 shown]
	s_waitcnt vmcnt(4)
	v_lshlrev_b32_e32 v38, 16, v48
	v_lshl_add_u64 v[26:27], v[26:27], 0, v[54:55]
	v_pk_add_f32 v[32:33], v[36:37], v[32:33] neg_lo:[0,1] neg_hi:[0,1]
	v_pk_add_f32 v[28:29], v[38:39], v[28:29] neg_lo:[0,1] neg_hi:[0,1]
	global_store_short_d16_hi v[26:27], v32, off
	global_store_short_d16_hi v[26:27], v33, off offset:256
	global_store_short_d16_hi v[26:27], v28, off offset:512
	;; [unrolled: 1-line block ×3, first 2 shown]
	v_pk_mul_f32 v[32:33], v[34:35], v[32:33]
	v_pk_mul_f32 v[28:29], v[40:41], v[28:29]
	v_accvgpr_read_b32 v37, a1
	v_perm_b32 v32, v33, v32, s3
	v_perm_b32 v33, v29, v28, s3
	s_waitcnt vmcnt(5)
	v_lshlrev_b32_e32 v29, 16, v51
	s_waitcnt vmcnt(4)
	v_lshlrev_b32_e32 v28, 16, v52
	v_accvgpr_read_b32 v36, a0
	v_accvgpr_read_b32 v31, a3
	;; [unrolled: 1-line block ×3, first 2 shown]
	v_pk_add_f32 v[28:29], v[28:29], v[36:37] neg_lo:[0,1] neg_hi:[0,1]
	v_lshlrev_b32_e32 v37, 16, v49
	v_lshlrev_b32_e32 v36, 16, v50
	v_pk_add_f32 v[30:31], v[36:37], v[30:31] neg_lo:[0,1] neg_hi:[0,1]
	global_store_short_d16_hi v[26:27], v28, off offset:32
	global_store_short_d16_hi v[26:27], v29, off offset:288
	global_store_short_d16_hi v[26:27], v30, off offset:544
	global_store_short_d16_hi v[26:27], v31, off offset:800
	v_pk_mul_f32 v[26:27], v[34:35], v[28:29]
	v_pk_mul_f32 v[28:29], v[40:41], v[30:31]
	v_mov_b32_e32 v30, 0
	v_perm_b32 v29, v29, v28, s3
	v_perm_b32 v28, v27, v26, s3
	ds_write2_b64 v76, v[32:33], v[28:29] offset1:16
	v_mov_b32_e32 v26, 0
	v_mov_b32_e32 v27, 0
	;; [unrolled: 1-line block ×15, first 2 shown]
	s_cbranch_vccnz .LBB389_14
; %bb.13:                               ;   in Loop: Header=BB389_6 Depth=1
	s_and_b32 s37, s37, 0xffff
	s_mov_b32 s39, s31
	buffer_load_dwordx4 v[38:41], v94, s[36:39], 0 offen
	buffer_load_dwordx4 v[30:33], v94, s[36:39], s62 offen
	;; [unrolled: 1-line block ×4, first 2 shown]
	v_mov_b32_e32 v117, v70
	v_mov_b32_e32 v118, v69
.LBB389_14:                             ;   in Loop: Header=BB389_6 Depth=1
	s_waitcnt lgkmcnt(0)
	s_barrier
	ds_read_b64 v[46:47], v98
	ds_read_b64 v[124:125], v93
	;; [unrolled: 1-line block ×5, first 2 shown]
	ds_read_b64 v[138:139], v90 offset:3072
	ds_read2_b64 v[42:45], v89 offset0:16 offset1:128
	s_waitcnt lgkmcnt(5)
	v_mfma_f32_16x16x16_bf16 a[0:3], v[46:47], v[124:125], 0
	s_add_i32 s29, s54, s65
	s_mul_hi_i32 s37, s29, s49
	s_mul_i32 s29, s29, s49
	s_waitcnt lgkmcnt(0)
	v_mfma_f32_16x16x16_bf16 a[4:7], v[46:47], v[42:43], 0
	ds_read_b64 v[46:47], v103
	ds_read2st64_b64 v[48:51], v90 offset0:2 offset1:4
	s_add_u32 s36, s29, s48
	s_addc_u32 s37, s37, s60
	s_lshl_b64 s[36:37], s[36:37], 15
	s_mul_i32 s39, s67, s49
	s_mul_hi_i32 s29, s67, s49
	s_add_u32 s46, s39, s48
	s_waitcnt lgkmcnt(1)
	v_mfma_f32_16x16x16_bf16 a[8:11], v[46:47], v[124:125], 0
	s_addc_u32 s47, s29, s60
	ds_read2st64_b64 v[120:123], v89 offset0:4 offset1:6
	s_lshl_b64 s[46:47], s[46:47], 9
	v_mfma_f32_16x16x16_bf16 a[0:3], v[126:127], v[44:45], a[0:3]
	s_add_u32 s46, s40, s46
	s_addc_u32 s47, s41, s47
	s_waitcnt lgkmcnt(1)
	v_mfma_f32_16x16x16_bf16 a[4:7], v[126:127], v[48:49], a[4:7]
	ds_read_b64 v[126:127], v104
	ds_read_b64 v[134:135], v105
	;; [unrolled: 1-line block ×3, first 2 shown]
	v_mfma_f32_16x16x16_bf16 a[12:15], v[46:47], v[42:43], 0
	s_waitcnt lgkmcnt(2)
	v_mfma_f32_16x16x16_bf16 a[8:11], v[126:127], v[44:45], a[8:11]
	global_load_dwordx4 v[42:45], v102, s[46:47]
	v_mfma_f32_16x16x16_bf16 a[12:15], v[126:127], v[48:49], a[12:15]
	global_load_dwordx4 v[46:49], v97, s[46:47]
	ds_read2st64_b64 v[124:127], v91 offset1:8
	s_waitcnt lgkmcnt(0)
	v_mov_b32_e32 v132, v124
	v_mfma_f32_16x16x16_bf16 a[0:3], v[128:129], v[120:121], a[0:3]
	v_mov_b32_e32 v133, v125
	v_mfma_f32_16x16x16_bf16 a[4:7], v[128:129], v[50:51], a[4:7]
	ds_read2st64_b64 v[128:131], v92 offset1:8
	v_mfma_f32_16x16x16_bf16 a[8:11], v[134:135], v[120:121], a[8:11]
	v_lshl_add_u64 v[120:121], v[60:61], 0, s[36:37]
	v_mfma_f32_16x16x16_bf16 a[16:19], v[134:135], v[50:51], a[12:15]
	v_add_co_u32_e32 v50, vcc, s25, v120
	s_waitcnt lgkmcnt(0)
	v_mov_b32_e32 v134, v128
	v_mfma_f32_16x16x16_bf16 a[0:3], v[136:137], v[122:123], a[0:3]
	v_mov_b32_e32 v135, v129
	v_mov_b32_e32 v128, v126
	;; [unrolled: 1-line block ×3, first 2 shown]
	v_mfma_f32_16x16x16_bf16 a[4:7], v[136:137], v[138:139], a[4:7]
	v_addc_co_u32_e32 v51, vcc, 0, v121, vcc
	global_store_dwordx4 v[50:51], v[128:131], off
	v_mfma_f32_16x16x16_bf16 a[12:15], v[140:141], v[122:123], a[8:11]
	s_and_b64 vcc, exec, s[0:1]
	global_store_dwordx4 v[120:121], v[132:135], off
	s_waitcnt vmcnt(3)
	v_mov_b32_e32 v52, v45
	v_mfma_f32_16x16x16_bf16 a[8:11], v[140:141], v[138:139], a[16:19]
	v_mov_b32_e32 v51, v44
	v_mov_b32_e32 v50, v43
	s_cbranch_vccnz .LBB389_16
; %bb.15:                               ;   in Loop: Header=BB389_6 Depth=1
	v_lshrrev_b32_e32 v43, 3, v117
	v_and_b32_e32 v43, 6, v43
	v_xor_b32_e32 v44, v43, v118
	v_lshlrev_b32_e32 v44, 2, v44
	v_and_b32_e32 v45, 8, v117
	v_xor_b32_e32 v117, 0x440, v44
	v_cmp_eq_u32_e32 vcc, 0, v45
	v_perm_b32 v45, v30, v26, s63
	s_nop 0
	v_cndmask_b32_e32 v44, v117, v44, vcc
	v_lshl_or_b32 v43, v43, 10, v44
	v_perm_b32 v44, v38, v34, s63
	s_barrier
	ds_write2st64_b32 v43, v44, v45 offset0:32 offset1:64
	v_xor_b32_e32 v44, 8, v43
	v_perm_b32 v34, v38, v34, s64
	v_perm_b32 v26, v30, v26, s64
	v_add_u32_e32 v30, 0x80, v44
	ds_write2st64_b32 v30, v34, v26 offset0:32 offset1:64
	v_xor_b32_e32 v26, 16, v43
	v_perm_b32 v30, v39, v35, s63
	v_perm_b32 v34, v31, v27, s63
	ds_write2st64_b32 v26, v30, v34 offset0:33 offset1:65
	v_xor_b32_e32 v26, 24, v43
	v_perm_b32 v30, v39, v35, s64
	v_perm_b32 v27, v31, v27, s64
	v_add_u32_e32 v26, 0x80, v26
	ds_write2st64_b32 v26, v30, v27 offset0:33 offset1:65
	v_xor_b32_e32 v26, 32, v43
	v_perm_b32 v27, v40, v36, s63
	v_perm_b32 v30, v32, v28, s63
	;; [unrolled: 9-line block ×3, first 2 shown]
	ds_write2st64_b32 v26, v27, v28 offset0:35 offset1:67
	v_xor_b32_e32 v26, 56, v43
	v_perm_b32 v27, v41, v37, s64
	v_perm_b32 v28, v33, v29, s64
	v_add_u32_e32 v26, 0x80, v26
	ds_write2st64_b32 v26, v27, v28 offset0:35 offset1:67
	ds_write_b64 v116, v[22:23] offset:24576
	v_xor_b32_e32 v22, 8, v116
	ds_write_b64 v22, v[24:25] offset:24576
	ds_write_b64 v116, v[18:19] offset:32768
	;; [unrolled: 1-line block ×4, first 2 shown]
	v_xor_b32_e32 v14, 8, v115
	ds_write_b64 v14, v[16:17] offset:24576
	ds_write_b64 v115, v[10:11] offset:32768
	;; [unrolled: 1-line block ×3, first 2 shown]
.LBB389_16:                             ;   in Loop: Header=BB389_6 Depth=1
	v_exp_f32_e32 v26, s28
	s_waitcnt vmcnt(2)
	v_exp_f32_e32 v28, v46
	v_exp_f32_e32 v29, v47
	;; [unrolled: 1-line block ×4, first 2 shown]
	v_accvgpr_read_b32 v21, a3
	v_accvgpr_read_b32 v19, a1
	;; [unrolled: 1-line block ×4, first 2 shown]
	v_pk_mul_f32 v[28:29], v[26:27], v[28:29] op_sel_hi:[0,1]
	v_accvgpr_read_b32 v20, a2
	v_accvgpr_read_b32 v11, a5
	;; [unrolled: 1-line block ×3, first 2 shown]
	v_pk_fma_f32 v[2:3], v[2:3], v[28:29], v[18:19]
	v_pk_mul_f32 v[18:19], v[26:27], v[30:31] op_sel_hi:[0,1]
	v_pk_fma_f32 v[4:5], v[4:5], v[18:19], v[20:21]
	v_fma_f32 v107, v107, v28, v10
	v_fma_f32 v108, v108, v29, v11
	v_exp_f32_e32 v10, v42
	v_exp_f32_e32 v11, v50
	;; [unrolled: 1-line block ×4, first 2 shown]
	v_accvgpr_read_b32 v12, a6
	v_accvgpr_read_b32 v25, a15
	;; [unrolled: 1-line block ×9, first 2 shown]
	v_fma_f32 v109, v109, v18, v12
	v_fmac_f32_e32 v13, v114, v19
	v_pk_mul_f32 v[10:11], v[26:27], v[10:11] op_sel_hi:[0,1]
	v_pk_mul_f32 v[18:19], v[26:27], v[20:21] op_sel_hi:[0,1]
	s_add_i32 s59, s59, 64
	v_pk_fma_f32 v[6:7], v[6:7], v[10:11], v[22:23]
	v_pk_fma_f32 v[8:9], v[8:9], v[18:19], v[24:25]
	v_fma_f32 v110, v110, v10, v14
	v_fma_f32 v111, v111, v11, v15
	;; [unrolled: 1-line block ×3, first 2 shown]
	s_cmp_eq_u32 s53, s66
	v_fmac_f32_e32 v17, v113, v19
	s_cbranch_scc1 .LBB389_18
; %bb.17:                               ;   in Loop: Header=BB389_6 Depth=1
	s_mov_b32 s65, s66
	v_mov_b32_e32 v114, v13
	v_mov_b32_e32 v113, v17
	s_branch .LBB389_6
.LBB389_18:
	v_mov_b32_e32 v16, v112
	v_mov_b32_e32 v15, v111
	;; [unrolled: 1-line block ×6, first 2 shown]
.LBB389_19:
	s_lshl_b32 s3, s53, 6
	s_sub_i32 s58, s58, s3
	s_cmp_gt_i32 s58, 0
	v_or_b32_e32 v34, s2, v65
	s_cbranch_scc1 .LBB389_21
; %bb.20:
	s_ashr_i32 s37, s48, 31
	v_or_b32_e32 v35, s2, v65
	s_cbranch_execz .LBB389_22
	s_branch .LBB389_86
.LBB389_21:
                                        ; implicit-def: $vgpr35
                                        ; implicit-def: $sgpr36_sgpr37
.LBB389_22:
	s_add_i32 s36, s3, s42
	s_ashr_i32 s3, s36, 31
	s_cmpk_lg_i32 s23, 0x80
	s_cselect_b64 s[44:45], -1, 0
	s_and_b64 vcc, exec, s[44:45]
	s_cbranch_vccz .LBB389_24
; %bb.23:
	s_mul_hi_i32 s0, s36, s22
	s_mul_i32 s1, s36, s22
	s_ashr_i32 s22, s57, 31
	s_add_u32 s46, s1, s57
	s_addc_u32 s47, s0, s22
	s_cbranch_execz .LBB389_25
	s_branch .LBB389_26
.LBB389_24:
                                        ; implicit-def: $sgpr46_sgpr47
.LBB389_25:
	s_mul_i32 s1, s57, s20
	s_mul_hi_i32 s0, s57, s20
	s_add_u32 s46, s1, s36
	s_addc_u32 s47, s0, s3
.LBB389_26:
	s_add_i32 s20, s53, s54
	s_ashr_i32 s37, s48, 31
	s_add_u32 s0, s56, s36
	v_lshlrev_b32_e32 v22, 5, v1
	v_lshlrev_b32_e32 v40, 2, v65
	s_addc_u32 s1, s55, s3
	s_mov_b32 s3, 0x7060302
	v_or_b32_e32 v25, v22, v40
	v_xor_b32_e32 v23, v1, v40
	v_perm_b32 v19, v5, v4, s3
	v_perm_b32 v18, v3, v2, s3
	;; [unrolled: 1-line block ×4, first 2 shown]
	v_lshlrev_b32_e32 v25, 1, v25
	v_xor_b32_e32 v24, v68, v40
	ds_write2st64_b64 v25, v[18:19], v[20:21] offset0:80 offset1:88
	v_lshlrev_b32_e32 v23, 1, v23
	v_lshlrev_b32_e32 v25, 8, v65
	s_lshl_b64 s[38:39], s[0:1], 8
	v_or_b32_e32 v26, v23, v25
	v_lshlrev_b32_e32 v24, 1, v24
	s_add_u32 s0, s14, s38
	ds_write_b64 v26, v[18:19]
	v_or_b32_e32 v18, v24, v25
	s_addc_u32 s1, s15, s39
	ds_write_b64 v18, v[20:21]
	v_perm_b32 v19, v13, v12, s3
	v_perm_b32 v18, v11, v10, s3
	;; [unrolled: 1-line block ×4, first 2 shown]
	v_or_b32_e32 v25, 16, v65
	s_mul_hi_i32 s3, s20, s21
	s_mul_i32 s20, s20, s21
	v_lshlrev_b32_e32 v37, 2, v25
	s_add_u32 s14, s20, s48
	v_or_b32_e32 v22, v22, v37
	s_addc_u32 s15, s3, s37
	v_lshlrev_b32_e32 v22, 1, v22
	s_ashr_i32 s3, s2, 31
	s_lshl_b64 s[14:15], s[14:15], 15
	ds_write2st64_b64 v22, v[18:19], v[20:21] offset0:80 offset1:88
	v_lshlrev_b32_e32 v22, 8, v25
	s_add_u32 s4, s4, s14
	v_or_b32_e32 v23, v23, v22
	s_addc_u32 s5, s5, s15
	s_lshl_b64 s[2:3], s[2:3], 8
	ds_write_b64 v23, v[18:19]
	v_or_b32_e32 v18, v24, v22
	s_add_u32 s2, s4, s2
	ds_write_b64 v18, v[20:21]
	v_lshrrev_b32_e32 v18, 4, v0
	s_addc_u32 s3, s5, s3
	v_lshlrev_b32_e32 v19, 1, v65
	v_lshlrev_b32_e32 v26, 4, v65
	v_mov_b32_e32 v27, 0
	v_or_b32_e32 v20, 1, v19
	v_xor_b32_e32 v19, v18, v19
	v_lshl_add_u64 v[28:29], s[2:3], 0, v[26:27]
	v_lshlrev_b32_e32 v26, 8, v18
	v_xor_b32_e32 v22, v20, v18
	v_lshl_or_b32 v18, v19, 3, v26
	s_waitcnt lgkmcnt(0)
	s_barrier
	ds_read2st64_b64 v[18:21], v18 offset1:8
	v_lshl_or_b32 v22, v22, 3, v26
	ds_read2st64_b64 v[22:25], v22 offset1:8
	v_lshl_add_u64 v[30:31], v[28:29], 0, v[26:27]
	s_movk_i32 s2, 0x1000
	s_waitcnt lgkmcnt(1)
	v_mov_b32_e32 v26, v18
	v_add_co_u32_e32 v18, vcc, s2, v30
	s_cmp_lg_u32 s58, 64
	v_mov_b32_e32 v27, v19
	v_addc_co_u32_e32 v19, vcc, 0, v31, vcc
	s_cselect_b64 s[4:5], -1, 0
	v_lshl_or_b32 v35, v53, 3, v67
	s_waitcnt lgkmcnt(0)
	v_mov_b32_e32 v28, v22
	v_mov_b32_e32 v29, v23
	;; [unrolled: 1-line block ×4, first 2 shown]
	s_mov_b32 s28, 0
	v_or_b32_e32 v38, 32, v35
	v_and_b32_e32 v36, 56, v66
	s_and_b64 vcc, exec, s[4:5]
	global_store_dwordx4 v[30:31], v[26:29], off
	global_store_dwordx4 v[18:19], v[22:25], off
	s_cbranch_vccz .LBB389_32
; %bb.27:
	s_mov_b32 s29, s28
	s_mov_b32 s30, s28
	s_mov_b32 s31, s28
	v_mov_b64_e32 v[22:23], s[28:29]
	v_mov_b64_e32 v[24:25], s[30:31]
	;; [unrolled: 1-line block ×3, first 2 shown]
	v_cmp_gt_i32_e32 vcc, s58, v35
	v_mov_b64_e32 v[20:21], v[24:25]
	s_and_saveexec_b64 s[2:3], vcc
	s_cbranch_execz .LBB389_29
; %bb.28:
	v_lshlrev_b32_e32 v18, 8, v35
	v_mov_b32_e32 v19, 0
	v_lshl_add_u64 v[20:21], s[0:1], 0, v[18:19]
	v_lshlrev_b32_e32 v18, 1, v36
	v_lshl_add_u64 v[26:27], v[20:21], 0, v[18:19]
	global_load_dwordx4 v[22:25], v[26:27], off
	global_load_dwordx4 v[18:21], v[26:27], off offset:128
.LBB389_29:
	s_or_b64 exec, exec, s[2:3]
	s_mov_b32 s30, s28
	s_mov_b32 s31, s28
	;; [unrolled: 1-line block ×3, first 2 shown]
	v_mov_b64_e32 v[32:33], s[30:31]
	v_mov_b64_e32 v[30:31], s[28:29]
	;; [unrolled: 1-line block ×3, first 2 shown]
	v_cmp_gt_i32_e32 vcc, s58, v38
	v_lshlrev_b32_e32 v39, 7, v38
	v_mov_b64_e32 v[28:29], v[32:33]
	s_and_saveexec_b64 s[2:3], vcc
	s_cbranch_execz .LBB389_31
; %bb.30:
	v_lshlrev_b32_e32 v26, 1, v39
	v_mov_b32_e32 v27, 0
	v_lshl_add_u64 v[28:29], s[0:1], 0, v[26:27]
	v_lshlrev_b32_e32 v26, 1, v36
	v_lshl_add_u64 v[42:43], v[28:29], 0, v[26:27]
	global_load_dwordx4 v[30:33], v[42:43], off
	global_load_dwordx4 v[26:29], v[42:43], off offset:128
.LBB389_31:
	s_or_b64 exec, exec, s[2:3]
	v_lshrrev_b32_e32 v41, 3, v36
	v_lshlrev_b32_e32 v42, 3, v35
	v_or_b32_e32 v41, v42, v41
	v_lshlrev_b32_e32 v41, 4, v41
	v_and_b32_e32 v42, 0x78, v42
	v_xor_b32_e32 v41, v41, v42
	s_branch .LBB389_34
.LBB389_32:
                                        ; implicit-def: $vgpr41
                                        ; implicit-def: $vgpr39
                                        ; implicit-def: $vgpr22_vgpr23_vgpr24_vgpr25
                                        ; implicit-def: $vgpr18_vgpr19_vgpr20_vgpr21
                                        ; implicit-def: $vgpr30_vgpr31_vgpr32_vgpr33
                                        ; implicit-def: $vgpr26_vgpr27_vgpr28_vgpr29
	s_cbranch_execz .LBB389_34
; %bb.33:
	s_waitcnt vmcnt(0)
	v_lshlrev_b32_e32 v18, 1, v36
	v_lshl_or_b32 v39, v35, 8, v18
	s_and_b32 s1, s1, 0xffff
	s_mov_b32 s3, 0x20000
	s_movk_i32 s2, 0x4000
	v_lshl_or_b32 v41, v38, 8, v18
	s_movk_i32 s14, 0x80
	buffer_load_dwordx4 v[22:25], v39, s[0:3], 0 offen
	buffer_load_dwordx4 v[18:21], v39, s[0:3], s14 offen
	;; [unrolled: 1-line block ×4, first 2 shown]
	v_lshrrev_b32_e32 v39, 3, v36
	v_lshlrev_b32_e32 v41, 3, v35
	v_or_b32_e32 v39, v41, v39
	v_lshlrev_b32_e32 v39, 4, v39
	v_and_b32_e32 v41, 0x78, v41
	v_xor_b32_e32 v41, v39, v41
	v_lshlrev_b32_e32 v39, 7, v38
.LBB389_34:
	s_lshl_b64 s[0:1], s[46:47], 8
	s_add_u32 s12, s12, s0
	s_movk_i32 s0, 0x1000
	v_and_or_b32 v38, v39, s0, v41
	s_waitcnt vmcnt(1)
	ds_write_b64 v41, v[22:23] offset:24576
	v_xor_b32_e32 v22, 8, v41
	ds_write_b64 v22, v[24:25] offset:24576
	s_waitcnt vmcnt(0)
	ds_write_b64 v41, v[18:19] offset:32768
	ds_write_b64 v22, v[20:21] offset:32768
	ds_write_b64 v38, v[30:31] offset:24576
	v_xor_b32_e32 v18, 8, v38
	ds_write_b64 v18, v[32:33] offset:24576
	ds_write_b64 v38, v[26:27] offset:32768
	;; [unrolled: 1-line block ×3, first 2 shown]
	v_or_b32_e32 v18, v62, v65
	v_lshlrev_b32_e32 v18, 3, v18
	v_lshrrev_b32_e32 v19, 5, v63
	s_movk_i32 s14, 0xf8
	v_and_or_b32 v19, v18, s14, v19
	v_lshlrev_b32_e32 v23, 4, v19
	v_lshlrev_b32_e32 v41, 11, v53
	v_and_b32_e32 v24, 0x78, v18
	v_or_b32_e32 v26, 32, v23
	v_and_b32_e32 v22, 0x1000, v41
	v_lshrrev_b32_e32 v19, 1, v63
	v_xor_b32_e32 v26, v26, v24
	v_xor_b32_e32 v18, v23, v24
	v_and_b32_e32 v25, 8, v19
	v_or_b32_e32 v26, v26, v22
	v_or_b32_e32 v18, v18, v22
	v_xor_b32_e32 v45, v26, v25
	v_or_b32_e32 v26, 64, v23
	v_xor_b32_e32 v44, v18, v25
	v_xor_b32_e32 v26, v26, v24
	s_waitcnt lgkmcnt(0)
	s_barrier
	v_or_b32_e32 v28, v26, v22
	ds_read_b64 v[26:27], v44 offset:24576
	v_lshl_or_b32 v38, v64, 7, v40
	v_lshlrev_b32_e32 v42, 1, v38
	v_add_u32_e32 v18, 0xa000, v42
	ds_read2_b64 v[18:21], v18 offset1:16
	v_or_b32_e32 v23, 0x60, v23
	v_xor_b32_e32 v23, v23, v24
	s_waitcnt lgkmcnt(0)
	v_mfma_f32_16x16x16_bf16 a[0:3], v[26:27], v[18:19], 0
	v_or_b32_e32 v18, 64, v38
	v_or_b32_e32 v22, v23, v22
	v_lshlrev_b32_e32 v43, 1, v18
	v_xor_b32_e32 v46, v28, v25
	v_xor_b32_e32 v47, v22, v25
	ds_read_b64 v[28:29], v45 offset:24576
	ds_read_b64 v[30:31], v46 offset:24576
	;; [unrolled: 1-line block ×3, first 2 shown]
	v_mfma_f32_16x16x16_bf16 a[4:7], v[26:27], v[20:21], 0
	ds_read2st64_b64 v[18:21], v43 offset0:82 offset1:84
	ds_read2st64_b64 v[22:25], v42 offset0:82 offset1:84
	s_addc_u32 s13, s13, s1
	s_add_i32 s20, s43, -1
	s_add_i32 s0, s51, s50
	s_add_i32 s25, s0, s52
	s_mul_i32 s0, s48, s27
	s_mul_hi_u32 s1, s48, s26
	s_ashr_i32 s2, s20, 31
	s_mul_i32 s3, s20, s11
	s_mul_hi_u32 s14, s20, s10
	s_add_i32 s0, s1, s0
	s_mul_i32 s1, s37, s26
	s_add_i32 s3, s14, s3
	s_mul_i32 s2, s2, s10
	s_waitcnt lgkmcnt(1)
	v_mfma_f32_16x16x16_bf16 a[4:7], v[28:29], v[18:19], a[4:7]
	s_add_i32 s1, s0, s1
	s_add_i32 s3, s3, s2
	s_lshl_b64 s[14:15], s[24:25], 2
	s_waitcnt lgkmcnt(0)
	v_mfma_f32_16x16x16_bf16 a[0:3], v[28:29], v[22:23], a[0:3]
	s_mul_i32 s0, s48, s26
	s_add_u32 s14, s18, s14
	s_addc_u32 s15, s19, s15
	s_lshl_b64 s[0:1], s[0:1], 2
	s_mul_i32 s2, s20, s10
	s_add_u32 s18, s14, s0
	ds_read_b64 v[18:19], v42 offset:44032
	v_mfma_f32_16x16x16_bf16 a[4:7], v[30:31], v[20:21], a[4:7]
	ds_read_b64 v[20:21], v43 offset:44032
	s_addc_u32 s19, s15, s1
	s_lshl_b64 s[0:1], s[2:3], 2
	v_mfma_f32_16x16x16_bf16 a[0:3], v[30:31], v[24:25], a[0:3]
	s_add_u32 s0, s18, s0
	s_addc_u32 s1, s19, s1
	s_load_dword s22, s[0:1], 0x0
	s_waitcnt lgkmcnt(0)
	v_mfma_f32_16x16x16_bf16 a[0:3], v[32:33], v[18:19], a[0:3]
	s_and_b64 vcc, exec, s[44:45]
	v_mfma_f32_16x16x16_bf16 a[4:7], v[32:33], v[20:21], a[4:7]
	s_cbranch_vccz .LBB389_45
; %bb.35:
	v_lshlrev_b32_e32 v38, 1, v35
	s_and_b64 vcc, exec, s[4:5]
	s_cbranch_vccz .LBB389_46
; %bb.36:
	v_cmp_gt_i32_e32 vcc, s58, v38
	v_mov_b32_e32 v22, 0
	v_mov_b32_e32 v18, 0
	;; [unrolled: 1-line block ×5, first 2 shown]
	s_and_saveexec_b64 s[0:1], vcc
	s_cbranch_execz .LBB389_38
; %bb.37:
	v_mad_i64_i32 v[18:19], s[2:3], s23, v38, 0
	v_lshl_add_u64 v[18:19], v[18:19], 1, s[12:13]
	v_lshlrev_b32_e32 v20, 1, v36
	v_mov_b32_e32 v21, 0
	v_lshl_add_u64 v[18:19], v[18:19], 0, v[20:21]
	global_load_dwordx4 v[18:21], v[18:19], off
.LBB389_38:
	s_or_b64 exec, exec, s[0:1]
	v_or_b32_e32 v39, 1, v38
	v_cmp_gt_i32_e64 s[0:1], s58, v39
	v_mov_b32_e32 v23, 0
	v_mov_b32_e32 v24, 0
	;; [unrolled: 1-line block ×3, first 2 shown]
	s_and_saveexec_b64 s[2:3], s[0:1]
	s_cbranch_execz .LBB389_40
; %bb.39:
	v_mad_i64_i32 v[22:23], s[14:15], s23, v39, 0
	v_lshl_add_u64 v[22:23], v[22:23], 1, s[12:13]
	v_lshlrev_b32_e32 v24, 1, v36
	v_mov_b32_e32 v25, 0
	v_lshl_add_u64 v[22:23], v[22:23], 0, v[24:25]
	global_load_dwordx4 v[22:25], v[22:23], off
.LBB389_40:
	s_or_b64 exec, exec, s[2:3]
	v_mov_b32_e32 v33, 0
	v_mov_b32_e32 v26, 0
	;; [unrolled: 1-line block ×5, first 2 shown]
	s_and_saveexec_b64 s[2:3], vcc
	s_cbranch_execz .LBB389_42
; %bb.41:
	v_mad_i64_i32 v[26:27], s[14:15], s23, v38, 0
	v_lshl_add_u64 v[26:27], v[26:27], 1, s[12:13]
	v_lshlrev_b32_e32 v28, 1, v36
	v_mov_b32_e32 v29, 0
	v_lshl_add_u64 v[26:27], v[26:27], 0, v[28:29]
	global_load_dwordx4 v[26:29], v[26:27], off offset:128
.LBB389_42:
	s_or_b64 exec, exec, s[2:3]
	v_mov_b32_e32 v32, 0
	v_mov_b32_e32 v31, 0
	;; [unrolled: 1-line block ×3, first 2 shown]
	s_and_saveexec_b64 s[2:3], s[0:1]
	s_cbranch_execz .LBB389_44
; %bb.43:
	v_mad_i64_i32 v[30:31], s[0:1], s23, v39, 0
	v_lshl_add_u64 v[30:31], v[30:31], 1, s[12:13]
	v_lshlrev_b32_e32 v32, 1, v36
	v_mov_b32_e32 v33, 0
	v_lshl_add_u64 v[30:31], v[30:31], 0, v[32:33]
	global_load_dwordx4 v[30:33], v[30:31], off offset:128
.LBB389_44:
	s_or_b64 exec, exec, s[2:3]
	s_branch .LBB389_48
.LBB389_45:
                                        ; implicit-def: $vgpr21
                                        ; implicit-def: $vgpr25
                                        ; implicit-def: $vgpr29
                                        ; implicit-def: $vgpr33
	v_lshrrev_b32_e32 v48, 2, v63
	s_branch .LBB389_49
.LBB389_46:
                                        ; implicit-def: $vgpr21
                                        ; implicit-def: $vgpr25
                                        ; implicit-def: $vgpr29
                                        ; implicit-def: $vgpr33
	s_cbranch_execz .LBB389_48
; %bb.47:
	s_waitcnt vmcnt(0)
	v_mad_u64_u32 v[18:19], s[0:1], v38, s23, v[36:37]
	v_lshlrev_b32_e32 v38, 1, v18
	s_lshl_b32 s2, s23, 7
	s_and_b32 s1, s13, 0xffff
	s_mov_b32 s3, 0x20000
	s_mov_b32 s0, s12
	v_add_lshl_u32 v39, v18, s23, 1
	s_movk_i32 s14, 0x80
	buffer_load_dwordx4 v[18:21], v38, s[0:3], 0 offen
	buffer_load_dwordx4 v[26:29], v38, s[0:3], s14 offen
	;; [unrolled: 1-line block ×4, first 2 shown]
.LBB389_48:
	v_lshrrev_b32_e32 v48, 2, v63
	s_cbranch_execnz .LBB389_61
.LBB389_49:
	s_and_b64 vcc, exec, s[4:5]
	s_cbranch_vccz .LBB389_59
; %bb.50:
	s_waitcnt vmcnt(0)
	v_lshlrev_b32_e32 v23, 1, v35
	v_cmp_gt_i32_e32 vcc, s58, v23
	v_mov_b32_e32 v22, 0
	v_lshlrev_b32_e32 v30, 9, v35
	v_mov_b32_e32 v18, 0
	v_mov_b32_e32 v19, 0
	;; [unrolled: 1-line block ×4, first 2 shown]
	s_and_saveexec_b64 s[0:1], vcc
	s_cbranch_execz .LBB389_52
; %bb.51:
	v_mov_b32_e32 v31, 0
	v_lshl_add_u64 v[18:19], s[12:13], 0, v[30:31]
	v_lshlrev_b32_e32 v20, 1, v36
	v_mov_b32_e32 v21, v31
	v_lshl_add_u64 v[18:19], v[18:19], 0, v[20:21]
	global_load_dwordx4 v[18:21], v[18:19], off
.LBB389_52:
	s_or_b64 exec, exec, s[0:1]
	v_or_b32_e32 v23, 1, v23
	v_cmp_gt_i32_e64 s[0:1], s58, v23
	v_lshlrev_b32_e32 v38, 8, v23
	v_mov_b32_e32 v23, 0
	v_mov_b32_e32 v24, 0
	;; [unrolled: 1-line block ×3, first 2 shown]
	s_and_saveexec_b64 s[2:3], s[0:1]
	s_cbranch_execz .LBB389_54
; %bb.53:
	v_mov_b32_e32 v39, 0
	v_lshl_add_u64 v[22:23], s[12:13], 0, v[38:39]
	v_lshlrev_b32_e32 v24, 1, v36
	v_mov_b32_e32 v25, v39
	v_lshl_add_u64 v[22:23], v[22:23], 0, v[24:25]
	global_load_dwordx4 v[22:25], v[22:23], off
.LBB389_54:
	s_or_b64 exec, exec, s[2:3]
	v_mov_b32_e32 v33, 0
	v_mov_b32_e32 v26, 0
	;; [unrolled: 1-line block ×5, first 2 shown]
	s_and_saveexec_b64 s[2:3], vcc
	s_cbranch_execz .LBB389_56
; %bb.55:
	v_mov_b32_e32 v31, 0
	v_lshl_add_u64 v[26:27], s[12:13], 0, v[30:31]
	v_lshlrev_b32_e32 v30, 1, v36
	v_lshl_add_u64 v[26:27], v[26:27], 0, v[30:31]
	global_load_dwordx4 v[26:29], v[26:27], off offset:128
.LBB389_56:
	s_or_b64 exec, exec, s[2:3]
	v_mov_b32_e32 v32, 0
	v_mov_b32_e32 v31, 0
	;; [unrolled: 1-line block ×3, first 2 shown]
	s_and_saveexec_b64 s[2:3], s[0:1]
	s_cbranch_execz .LBB389_58
; %bb.57:
	v_mov_b32_e32 v39, 0
	v_lshl_add_u64 v[30:31], s[12:13], 0, v[38:39]
	v_lshlrev_b32_e32 v38, 1, v36
	v_lshl_add_u64 v[30:31], v[30:31], 0, v[38:39]
	global_load_dwordx4 v[30:33], v[30:31], off offset:128
.LBB389_58:
	s_or_b64 exec, exec, s[2:3]
	s_branch .LBB389_61
.LBB389_59:
                                        ; implicit-def: $vgpr21
                                        ; implicit-def: $vgpr25
                                        ; implicit-def: $vgpr29
                                        ; implicit-def: $vgpr33
	s_cbranch_execz .LBB389_61
; %bb.60:
	s_waitcnt vmcnt(0)
	v_lshlrev_b32_e32 v18, 1, v36
	v_lshl_or_b32 v36, v35, 9, v18
	s_and_b32 s13, s13, 0xffff
	s_mov_b32 s15, 0x20000
	s_movk_i32 s14, 0x4000
	s_movk_i32 s0, 0x80
	buffer_load_dwordx4 v[18:21], v36, s[12:15], 0 offen
	buffer_load_dwordx4 v[22:25], v36, s[12:15], 0 offen offset:256
	buffer_load_dwordx4 v[26:29], v36, s[12:15], s0 offen
	buffer_load_dwordx4 v[30:33], v36, s[12:15], s0 offen offset:256
.LBB389_61:
	ds_read_b64 v[38:39], v44 offset:32768
	v_add_u32_e32 v36, 0xb000, v42
	ds_read2_b64 v[54:57], v36 offset1:16
	ds_read_b64 v[50:51], v45 offset:32768
	ds_read_b64 v[58:59], v46 offset:32768
	;; [unrolled: 1-line block ×3, first 2 shown]
	ds_read2st64_b64 v[44:47], v42 offset0:90 offset1:92
	v_and_b32_e32 v36, 12, v48
	v_and_b32_e32 v48, 6, v0
	v_xor_b32_e32 v35, v35, v48
	v_lshlrev_b32_e32 v35, 2, v35
	s_mov_b32 s0, 0x1000504
	s_waitcnt lgkmcnt(4)
	v_mfma_f32_16x16x16_bf16 a[0:3], v[38:39], v[54:55], a[0:3]
	s_mov_b32 s1, 0x3020706
	v_mfma_f32_16x16x16_bf16 a[4:7], v[38:39], v[56:57], a[4:7]
	ds_read2st64_b64 v[54:57], v43 offset0:90 offset1:92
	s_waitcnt lgkmcnt(1)
	v_mfma_f32_16x16x16_bf16 a[0:3], v[50:51], v[44:45], a[0:3]
	ds_read_b64 v[38:39], v42 offset:48128
	ds_read_b64 v[44:45], v43 offset:48128
	s_waitcnt lgkmcnt(2)
	v_mfma_f32_16x16x16_bf16 a[4:7], v[50:51], v[54:55], a[4:7]
	v_mfma_f32_16x16x16_bf16 a[0:3], v[58:59], v[46:47], a[0:3]
	v_and_b32_e32 v46, 1, v0
	v_xor_b32_e32 v47, 0x440, v35
	v_cmp_eq_u32_e32 vcc, 0, v46
	v_mfma_f32_16x16x16_bf16 a[8:11], v[58:59], v[56:57], a[4:7]
	s_nop 0
	v_cndmask_b32_e32 v35, v47, v35, vcc
	v_lshl_or_b32 v35, v48, 10, v35
	s_waitcnt lgkmcnt(1)
	v_mfma_f32_16x16x16_bf16 a[4:7], v[60:61], v[38:39], a[0:3]
	s_waitcnt vmcnt(0)
	v_perm_b32 v38, v18, v22, s0
	v_perm_b32 v39, v26, v30, s0
	ds_write2st64_b32 v35, v38, v39 offset0:32 offset1:64
	v_xor_b32_e32 v38, 8, v35
	v_perm_b32 v18, v18, v22, s1
	v_perm_b32 v22, v26, v30, s1
	v_add_u32_e32 v26, 0x80, v38
	ds_write2st64_b32 v26, v18, v22 offset0:32 offset1:64
	v_xor_b32_e32 v18, 16, v35
	v_perm_b32 v22, v19, v23, s0
	v_perm_b32 v26, v27, v31, s0
	ds_write2st64_b32 v18, v22, v26 offset0:33 offset1:65
	v_xor_b32_e32 v18, 24, v35
	v_perm_b32 v19, v19, v23, s1
	v_perm_b32 v22, v27, v31, s1
	v_add_u32_e32 v18, 0x80, v18
	ds_write2st64_b32 v18, v19, v22 offset0:33 offset1:65
	v_xor_b32_e32 v18, 32, v35
	v_perm_b32 v19, v20, v24, s0
	v_perm_b32 v22, v28, v32, s0
	ds_write2st64_b32 v18, v19, v22 offset0:34 offset1:66
	v_xor_b32_e32 v18, 40, v35
	s_waitcnt lgkmcnt(5)
	v_mfma_f32_16x16x16_bf16 a[0:3], v[60:61], v[44:45], a[8:11]
	v_perm_b32 v19, v20, v24, s1
	v_perm_b32 v20, v28, v32, s1
	v_add_u32_e32 v18, 0x80, v18
	ds_write2st64_b32 v18, v19, v20 offset0:34 offset1:66
	v_xor_b32_e32 v18, 48, v35
	v_perm_b32 v19, v21, v25, s0
	v_perm_b32 v20, v29, v33, s0
	ds_write2st64_b32 v18, v19, v20 offset0:35 offset1:67
	v_xor_b32_e32 v18, 56, v35
	v_or_b32_e32 v38, v36, v62
	v_perm_b32 v19, v21, v25, s1
	v_perm_b32 v20, v29, v33, s1
	v_add_u32_e32 v18, 0x80, v18
	v_cmp_gt_i32_e64 s[0:1], s58, v38
	v_mov_b32_e32 v44, 0
	v_mov_b32_e32 v45, 0
	ds_write2st64_b32 v18, v19, v20 offset0:35 offset1:67
	s_and_saveexec_b64 s[2:3], s[0:1]
	s_cbranch_execz .LBB389_63
; %bb.62:
	v_add_u32_e32 v18, s36, v38
	v_ashrrev_i32_e32 v19, 31, v18
	v_mul_lo_u32 v20, v19, s10
	v_mul_lo_u32 v21, v18, s11
	v_mad_u64_u32 v[18:19], s[4:5], v18, s10, 0
	v_add3_u32 v19, v19, v21, v20
	v_lshl_add_u64 v[18:19], v[18:19], 2, s[18:19]
	global_load_dword v18, v[18:19], off
	s_waitcnt vmcnt(0)
	v_sub_f32_e32 v18, s22, v18
	v_exp_f32_e32 v45, v18
.LBB389_63:
	s_or_b64 exec, exec, s[2:3]
	v_or_b32_e32 v30, 1, v38
	v_cmp_gt_i32_e64 s[4:5], s58, v30
	s_and_saveexec_b64 s[2:3], s[4:5]
	s_cbranch_execz .LBB389_65
; %bb.64:
	v_add_u32_e32 v18, s36, v30
	v_ashrrev_i32_e32 v19, 31, v18
	v_mul_lo_u32 v20, v19, s10
	v_mul_lo_u32 v21, v18, s11
	v_mad_u64_u32 v[18:19], s[12:13], v18, s10, 0
	v_add3_u32 v19, v19, v21, v20
	v_lshl_add_u64 v[18:19], v[18:19], 2, s[18:19]
	global_load_dword v18, v[18:19], off
	s_waitcnt vmcnt(0)
	v_sub_f32_e32 v18, s22, v18
	v_exp_f32_e32 v44, v18
.LBB389_65:
	s_or_b64 exec, exec, s[2:3]
	v_or_b32_e32 v26, 2, v38
	v_cmp_gt_i32_e64 s[2:3], s58, v26
	v_mov_b32_e32 v39, 0
	v_mov_b32_e32 v46, 0
	s_and_saveexec_b64 s[12:13], s[2:3]
	s_cbranch_execz .LBB389_67
; %bb.66:
	v_add_u32_e32 v18, s36, v26
	v_ashrrev_i32_e32 v19, 31, v18
	v_mul_lo_u32 v20, v19, s10
	v_mul_lo_u32 v21, v18, s11
	v_mad_u64_u32 v[18:19], s[14:15], v18, s10, 0
	v_add3_u32 v19, v19, v21, v20
	v_lshl_add_u64 v[18:19], v[18:19], 2, s[18:19]
	global_load_dword v18, v[18:19], off
	s_waitcnt vmcnt(0)
	v_sub_f32_e32 v18, s22, v18
	v_exp_f32_e32 v46, v18
.LBB389_67:
	s_or_b64 exec, exec, s[12:13]
	v_or_b32_e32 v27, 3, v38
	v_cmp_gt_i32_e32 vcc, s58, v27
	s_and_saveexec_b64 s[12:13], vcc
	s_cbranch_execz .LBB389_69
; %bb.68:
	v_add_u32_e32 v18, s36, v27
	v_ashrrev_i32_e32 v19, 31, v18
	v_mul_lo_u32 v20, v19, s10
	v_mul_lo_u32 v21, v18, s11
	v_mad_u64_u32 v[18:19], s[10:11], v18, s10, 0
	v_add3_u32 v19, v19, v21, v20
	v_lshl_add_u64 v[18:19], v[18:19], 2, s[18:19]
	global_load_dword v18, v[18:19], off
	s_waitcnt vmcnt(0)
	v_sub_f32_e32 v18, s22, v18
	v_exp_f32_e32 v39, v18
.LBB389_69:
	s_or_b64 exec, exec, s[12:13]
	s_add_u32 s10, s16, s38
	s_addc_u32 s11, s17, s39
	s_add_u32 s6, s6, s38
	v_ashrrev_i32_e32 v35, 31, v34
	v_accvgpr_read_b32 v21, a7
	s_addc_u32 s7, s7, s39
	v_lshlrev_b64 v[22:23], 1, v[34:35]
	v_accvgpr_read_b32 v20, a6
	v_accvgpr_read_b32 v19, a5
	;; [unrolled: 1-line block ×3, first 2 shown]
	v_lshl_add_u64 v[24:25], s[10:11], 0, v[22:23]
	v_lshl_add_u64 v[22:23], s[6:7], 0, v[22:23]
	v_mov_b32_e32 v31, 0
	v_lshlrev_b32_e32 v28, 8, v38
	v_mov_b32_e32 v29, 0
	s_and_saveexec_b64 s[6:7], s[0:1]
	s_cbranch_execz .LBB389_71
; %bb.70:
	v_mov_b32_e32 v29, 0
	v_lshl_add_u64 v[32:33], v[24:25], 0, v[28:29]
	global_load_ushort v35, v[32:33], off
	v_lshl_add_u64 v[32:33], v[22:23], 0, v[28:29]
	s_waitcnt vmcnt(0)
	v_lshlrev_b32_e32 v29, 16, v35
	v_sub_f32_e32 v18, v29, v18
	global_store_short_d16_hi v[32:33], v18, off
	v_mul_f32_e32 v18, v45, v18
	v_lshrrev_b32_e32 v29, 16, v18
.LBB389_71:
	s_or_b64 exec, exec, s[6:7]
	v_lshlrev_b32_e32 v30, 8, v30
	s_and_saveexec_b64 s[6:7], s[4:5]
	s_cbranch_execz .LBB389_73
; %bb.72:
	v_mov_b32_e32 v31, 0
	v_lshl_add_u64 v[32:33], v[24:25], 0, v[30:31]
	global_load_ushort v18, v[32:33], off
	v_lshl_add_u64 v[32:33], v[22:23], 0, v[30:31]
	s_waitcnt vmcnt(0)
	v_lshlrev_b32_e32 v18, 16, v18
	v_sub_f32_e32 v18, v18, v19
	global_store_short_d16_hi v[32:33], v18, off
	v_mul_f32_e32 v18, v44, v18
	v_lshrrev_b32_e32 v31, 16, v18
.LBB389_73:
	s_or_b64 exec, exec, s[6:7]
	v_mov_b32_e32 v47, 0
	v_lshlrev_b32_e32 v32, 8, v26
	v_mov_b32_e32 v33, 0
	s_and_saveexec_b64 s[6:7], s[2:3]
	s_cbranch_execz .LBB389_75
; %bb.74:
	v_mov_b32_e32 v33, 0
	v_lshl_add_u64 v[18:19], v[24:25], 0, v[32:33]
	global_load_ushort v26, v[18:19], off
	v_lshl_add_u64 v[18:19], v[22:23], 0, v[32:33]
	s_waitcnt vmcnt(0)
	v_lshlrev_b32_e32 v26, 16, v26
	v_sub_f32_e32 v20, v26, v20
	global_store_short_d16_hi v[18:19], v20, off
	v_mul_f32_e32 v18, v46, v20
	v_lshrrev_b32_e32 v33, 16, v18
.LBB389_75:
	s_or_b64 exec, exec, s[6:7]
	v_lshlrev_b32_e32 v26, 8, v27
	s_and_saveexec_b64 s[6:7], vcc
	s_cbranch_execz .LBB389_77
; %bb.76:
	v_mov_b32_e32 v27, 0
	v_lshl_add_u64 v[18:19], v[24:25], 0, v[26:27]
	global_load_ushort v20, v[18:19], off
	v_lshl_add_u64 v[18:19], v[22:23], 0, v[26:27]
	s_waitcnt vmcnt(0)
	v_lshlrev_b32_e32 v20, 16, v20
	v_sub_f32_e32 v20, v20, v21
	global_store_short_d16_hi v[18:19], v20, off
	v_mul_f32_e32 v18, v39, v20
	v_lshrrev_b32_e32 v47, 16, v18
.LBB389_77:
	s_or_b64 exec, exec, s[6:7]
	v_lshlrev_b32_e32 v35, 5, v38
	v_accvgpr_read_b32 v21, a3
	s_mov_b32 s6, 0x5040100
	v_or_b32_e32 v27, v35, v40
	v_accvgpr_read_b32 v20, a2
	v_accvgpr_read_b32 v19, a1
	;; [unrolled: 1-line block ×3, first 2 shown]
	v_perm_b32 v49, v47, v33, s6
	v_perm_b32 v48, v31, v29, s6
	v_lshlrev_b32_e32 v27, 1, v27
	v_mov_b32_e32 v31, 0
	v_mov_b32_e32 v29, 0
	ds_write_b64 v27, v[48:49] offset:45056
	s_and_saveexec_b64 s[6:7], s[0:1]
	s_cbranch_execz .LBB389_79
; %bb.78:
	v_mov_b32_e32 v29, 0
	v_lshl_add_u64 v[48:49], v[24:25], 0, v[28:29]
	global_load_ushort v27, v[48:49], off offset:32
	v_lshl_add_u64 v[28:29], v[22:23], 0, v[28:29]
	s_waitcnt vmcnt(0)
	v_lshlrev_b32_e32 v27, 16, v27
	v_sub_f32_e32 v18, v27, v18
	global_store_short_d16_hi v[28:29], v18, off offset:32
	v_mul_f32_e32 v18, v45, v18
	v_lshrrev_b32_e32 v29, 16, v18
.LBB389_79:
	s_or_b64 exec, exec, s[6:7]
	s_and_saveexec_b64 s[0:1], s[4:5]
	s_cbranch_execz .LBB389_81
; %bb.80:
	v_mov_b32_e32 v31, 0
	v_lshl_add_u64 v[48:49], v[24:25], 0, v[30:31]
	global_load_ushort v18, v[48:49], off offset:32
	v_lshl_add_u64 v[30:31], v[22:23], 0, v[30:31]
	s_waitcnt vmcnt(0)
	v_lshlrev_b32_e32 v18, 16, v18
	v_sub_f32_e32 v18, v18, v19
	global_store_short_d16_hi v[30:31], v18, off offset:32
	v_mul_f32_e32 v18, v44, v18
	v_lshrrev_b32_e32 v31, 16, v18
.LBB389_81:
	s_or_b64 exec, exec, s[0:1]
	v_mov_b32_e32 v27, 0
	v_mov_b32_e32 v28, 0
	s_and_saveexec_b64 s[0:1], s[2:3]
	s_cbranch_execz .LBB389_83
; %bb.82:
	v_mov_b32_e32 v33, 0
	v_lshl_add_u64 v[18:19], v[24:25], 0, v[32:33]
	global_load_ushort v28, v[18:19], off offset:32
	v_lshl_add_u64 v[18:19], v[22:23], 0, v[32:33]
	s_waitcnt vmcnt(0)
	v_lshlrev_b32_e32 v28, 16, v28
	v_sub_f32_e32 v20, v28, v20
	global_store_short_d16_hi v[18:19], v20, off offset:32
	v_mul_f32_e32 v18, v46, v20
	v_lshrrev_b32_e32 v28, 16, v18
.LBB389_83:
	s_or_b64 exec, exec, s[0:1]
	v_or_b32_e32 v19, 0xb000, v42
	v_or_b32_e32 v18, 0xb000, v43
	s_and_saveexec_b64 s[0:1], vcc
	s_cbranch_execz .LBB389_85
; %bb.84:
	v_mov_b32_e32 v27, 0
	v_lshl_add_u64 v[24:25], v[24:25], 0, v[26:27]
	global_load_ushort v20, v[24:25], off offset:32
	v_lshl_add_u64 v[22:23], v[22:23], 0, v[26:27]
	s_waitcnt vmcnt(0)
	v_lshlrev_b32_e32 v20, 16, v20
	v_sub_f32_e32 v20, v20, v21
	global_store_short_d16_hi v[22:23], v20, off offset:32
	v_mul_f32_e32 v20, v39, v20
	v_lshrrev_b32_e32 v27, 16, v20
.LBB389_85:
	s_or_b64 exec, exec, s[0:1]
	s_mov_b32 s0, 0x5040100
	v_or_b32_e32 v22, v35, v37
	v_perm_b32 v21, v27, v28, s0
	v_perm_b32 v20, v31, v29, s0
	v_lshlrev_b32_e32 v22, 1, v22
	s_movk_i32 s2, 0x100
	ds_write_b64 v22, v[20:21] offset:45056
	v_and_b32_e32 v20, 7, v0
	v_and_b32_e32 v21, 8, v0
	v_cmp_gt_u32_e32 vcc, s2, v0
	v_lshrrev_b32_e32 v0, 1, v0
	v_lshlrev_b32_e32 v26, 3, v20
	v_lshlrev_b32_e32 v35, 7, v20
	v_mov_b32_e32 v20, 0x4000
	v_mov_b32_e32 v22, 0x2000
	v_lshlrev_b32_e32 v24, 3, v53
	v_and_b32_e32 v0, 24, v0
	v_cndmask_b32_e32 v27, v20, v22, vcc
	v_xor_b32_e32 v20, v24, v0
	v_or_b32_e32 v22, 0x440, v20
	v_cmp_eq_u32_e32 vcc, 0, v21
	v_or_b32_e32 v28, 32, v0
	v_xor_b32_e32 v28, v24, v28
	v_cndmask_b32_e32 v20, v22, v20, vcc
	v_or_b32_e32 v20, v20, v41
	v_xor_b32_e32 v48, v20, v26
	v_or_b32_e32 v29, 0x440, v28
	v_add3_u32 v25, v27, v48, v35
	v_cndmask_b32_e32 v28, v29, v28, vcc
	v_or_b32_e32 v29, 64, v0
	v_or_b32_e32 v0, 0x60, v0
	s_waitcnt lgkmcnt(0)
	s_barrier
	v_xor_b32_e32 v29, v24, v29
	v_xor_b32_e32 v0, v24, v0
	ds_read_b64 v[24:25], v25
	v_xor_b32_e32 v30, 0x440, v29
	ds_read2_b64 v[20:23], v19 offset1:16
	v_cndmask_b32_e32 v29, v30, v29, vcc
	v_xor_b32_e32 v30, 0x440, v0
	v_or_b32_e32 v28, v28, v41
	v_or_b32_e32 v29, v29, v41
	v_cndmask_b32_e32 v0, v30, v0, vcc
	v_xor_b32_e32 v49, v28, v26
	v_xor_b32_e32 v50, v29, v26
	v_or_b32_e32 v0, v0, v41
	v_add3_u32 v28, v27, v49, v35
	v_add3_u32 v29, v27, v50, v35
	v_xor_b32_e32 v51, v0, v26
	s_mul_i32 s0, s20, s21
	v_add3_u32 v0, v27, v51, v35
	ds_read_b64 v[26:27], v28
	ds_read_b64 v[32:33], v29
	;; [unrolled: 1-line block ×3, first 2 shown]
	ds_read2st64_b64 v[28:31], v19 offset0:2 offset1:4
	s_mul_hi_i32 s1, s20, s21
	ds_read2st64_b64 v[40:43], v18 offset0:2 offset1:4
	s_add_u32 s0, s0, s48
	s_waitcnt lgkmcnt(5)
	v_mfma_f32_16x16x16_bf16 a[0:3], v[24:25], v[20:21], 0
	s_addc_u32 s1, s1, s37
	s_lshl_b64 s[0:1], s[0:1], 9
	s_add_u32 s0, s40, s0
	v_mfma_f32_16x16x16_bf16 a[4:7], v[24:25], v[22:23], 0
	s_addc_u32 s1, s41, s1
	v_lshlrev_b32_e32 v0, 2, v38
	v_add_u32_e32 v48, v48, v35
	s_waitcnt lgkmcnt(1)
	v_mfma_f32_16x16x16_bf16 a[0:3], v[26:27], v[28:29], a[0:3]
	v_add_u32_e32 v50, v50, v35
	s_waitcnt lgkmcnt(0)
	v_mfma_f32_16x16x16_bf16 a[4:7], v[26:27], v[40:41], a[4:7]
	global_load_dwordx4 v[24:27], v0, s[0:1]
	v_lshlrev_b32_e32 v0, 6, v53
	s_waitcnt vmcnt(0)
	v_exp_f32_e32 v26, v26
	v_mfma_f32_16x16x16_bf16 a[0:3], v[32:33], v[30:31], a[0:3]
	v_exp_f32_e32 v27, v27
	v_mfma_f32_16x16x16_bf16 a[4:7], v[32:33], v[42:43], a[4:7]
	ds_read_b64 v[32:33], v19 offset:3072
	ds_read_b64 v[46:47], v18 offset:3072
	v_lshlrev_b32_e32 v18, 2, v36
	v_or3_b32 v0, v0, v18, s2
	global_load_dwordx4 v[36:39], v0, s[0:1]
	v_exp_f32_e32 v18, v24
	v_exp_f32_e32 v19, v25
	ds_read_b64 v[24:25], v48 offset:16384
	s_waitcnt lgkmcnt(2)
	v_mfma_f32_16x16x16_bf16 a[0:3], v[44:45], v[32:33], a[0:3]
	v_exp_f32_e32 v0, s22
	s_nop 0
	v_pk_mul_f32 v[54:55], v[0:1], v[18:19] op_sel_hi:[0,1]
	s_waitcnt lgkmcnt(1)
	v_mfma_f32_16x16x16_bf16 a[4:7], v[44:45], v[46:47], a[4:7]
	v_add_u32_e32 v44, v49, v35
	s_nop 0
	v_accvgpr_read_b32 v19, a1
	v_accvgpr_read_b32 v45, a3
	v_add_u32_e32 v35, v51, v35
	ds_read_b64 v[48:49], v44 offset:16384
	ds_read_b64 v[50:51], v50 offset:16384
	;; [unrolled: 1-line block ×3, first 2 shown]
	v_accvgpr_read_b32 v44, a2
	v_accvgpr_read_b32 v18, a0
	s_waitcnt lgkmcnt(3)
	v_mfma_f32_16x16x16_bf16 a[0:3], v[24:25], v[22:23], 0
	v_pk_fma_f32 v[18:19], v[2:3], v[54:55], v[18:19]
	v_pk_mul_f32 v[2:3], v[0:1], v[26:27] op_sel_hi:[0,1]
	v_mov_b32_e32 v35, v34
	v_mfma_f32_16x16x16_bf16 a[8:11], v[24:25], v[20:21], 0
	v_pk_fma_f32 v[20:21], v[4:5], v[2:3], v[44:45]
	v_accvgpr_read_b32 v4, a4
	v_fma_f32 v26, v10, v54, v4
	s_waitcnt lgkmcnt(2)
	v_mfma_f32_16x16x16_bf16 a[0:3], v[48:49], v[40:41], a[0:3]
	v_accvgpr_read_b32 v4, a5
	v_fma_f32 v27, v11, v55, v4
	v_accvgpr_read_b32 v4, a6
	v_mfma_f32_16x16x16_bf16 a[8:11], v[48:49], v[28:29], a[8:11]
	v_accvgpr_read_b32 v29, a7
	v_fma_f32 v28, v12, v2, v4
	v_fmac_f32_e32 v29, v13, v3
	s_waitcnt lgkmcnt(1)
	v_mfma_f32_16x16x16_bf16 a[0:3], v[50:51], v[42:43], a[0:3]
	s_waitcnt vmcnt(0)
	v_mov_b32_e32 v2, v37
	v_mfma_f32_16x16x16_bf16 a[8:11], v[50:51], v[30:31], a[8:11]
	v_mov_b32_e32 v3, v38
	v_mov_b32_e32 v4, v39
	v_exp_f32_e32 v10, v36
	v_exp_f32_e32 v11, v2
	;; [unrolled: 1-line block ×4, first 2 shown]
	s_waitcnt lgkmcnt(0)
	v_mfma_f32_16x16x16_bf16 a[0:3], v[52:53], v[46:47], a[0:3]
	v_pk_mul_f32 v[10:11], v[0:1], v[10:11] op_sel_hi:[0,1]
	v_pk_mul_f32 v[2:3], v[0:1], v[2:3] op_sel_hi:[0,1]
	v_mfma_f32_16x16x16_bf16 a[4:7], v[52:53], v[32:33], a[8:11]
	s_nop 3
	v_accvgpr_read_b32 v0, a0
	v_fma_f32 v30, v14, v10, v0
	v_accvgpr_read_b32 v0, a1
	v_fma_f32 v31, v15, v11, v0
	v_accvgpr_read_b32 v13, a5
	v_accvgpr_read_b32 v5, a7
	;; [unrolled: 1-line block ×6, first 2 shown]
	v_pk_fma_f32 v[22:23], v[6:7], v[10:11], v[12:13]
	v_pk_fma_f32 v[24:25], v[8:9], v[2:3], v[4:5]
	v_fma_f32 v32, v16, v2, v0
	v_fmac_f32_e32 v33, v17, v3
	v_mov_b64_e32 v[2:3], v[18:19]
	v_mov_b64_e32 v[4:5], v[20:21]
	;; [unrolled: 1-line block ×8, first 2 shown]
.LBB389_86:
	s_mul_i32 s0, s49, s35
	s_mul_hi_u32 s1, s49, s34
	s_add_i32 s0, s1, s0
	s_mul_i32 s1, s33, s34
	s_add_i32 s1, s0, s1
	s_mul_i32 s0, s49, s34
	s_add_u32 s0, s0, s48
	s_addc_u32 s1, s1, s37
	s_lshl_b64 s[0:1], s[0:1], 16
	s_add_u32 s0, s8, s0
	v_lshlrev_b32_e32 v18, 7, v35
	s_addc_u32 s1, s9, s1
	v_ashrrev_i32_e32 v19, 31, v18
	v_lshl_add_u64 v[20:21], v[18:19], 2, s[0:1]
	v_lshlrev_b32_e32 v0, 2, v1
	v_mov_b32_e32 v1, 0
	v_lshl_add_u64 v[20:21], v[20:21], 0, v[0:1]
	global_store_dwordx4 v[20:21], v[2:5], off
	global_store_dwordx4 v[20:21], v[6:9], off offset:256
	s_nop 0
	v_or_b32_e32 v2, 0x800, v18
	v_ashrrev_i32_e32 v3, 31, v2
	v_lshl_add_u64 v[2:3], v[2:3], 2, s[0:1]
	v_lshl_add_u64 v[0:1], v[2:3], 0, v[0:1]
	global_store_dwordx4 v[0:1], v[10:13], off
	global_store_dwordx4 v[0:1], v[14:17], off offset:256
	s_endpgm
	.section	.rodata,"a",@progbits
	.p2align	6, 0x0
	.amdhsa_kernel _ZN12_GLOBAL__N_139chunk_gated_delta_rule_fwd_h_hip_kernelILi32ELb0ELb1ELb1ELb1ELb1ELb1ELb1ELb0EEEvPK12hip_bfloat16S3_S3_PKfS5_PKvPS1_S8_PvPKiSB_iiiiilll
		.amdhsa_group_segment_fixed_size 49152
		.amdhsa_private_segment_fixed_size 0
		.amdhsa_kernarg_size 136
		.amdhsa_user_sgpr_count 2
		.amdhsa_user_sgpr_dispatch_ptr 0
		.amdhsa_user_sgpr_queue_ptr 0
		.amdhsa_user_sgpr_kernarg_segment_ptr 1
		.amdhsa_user_sgpr_dispatch_id 0
		.amdhsa_user_sgpr_kernarg_preload_length 0
		.amdhsa_user_sgpr_kernarg_preload_offset 0
		.amdhsa_user_sgpr_private_segment_size 0
		.amdhsa_uses_dynamic_stack 0
		.amdhsa_enable_private_segment 0
		.amdhsa_system_sgpr_workgroup_id_x 1
		.amdhsa_system_sgpr_workgroup_id_y 1
		.amdhsa_system_sgpr_workgroup_id_z 0
		.amdhsa_system_sgpr_workgroup_info 0
		.amdhsa_system_vgpr_workitem_id 0
		.amdhsa_next_free_vgpr 164
		.amdhsa_next_free_sgpr 70
		.amdhsa_accum_offset 144
		.amdhsa_reserve_vcc 1
		.amdhsa_float_round_mode_32 0
		.amdhsa_float_round_mode_16_64 0
		.amdhsa_float_denorm_mode_32 3
		.amdhsa_float_denorm_mode_16_64 3
		.amdhsa_dx10_clamp 1
		.amdhsa_ieee_mode 1
		.amdhsa_fp16_overflow 0
		.amdhsa_tg_split 0
		.amdhsa_exception_fp_ieee_invalid_op 0
		.amdhsa_exception_fp_denorm_src 0
		.amdhsa_exception_fp_ieee_div_zero 0
		.amdhsa_exception_fp_ieee_overflow 0
		.amdhsa_exception_fp_ieee_underflow 0
		.amdhsa_exception_fp_ieee_inexact 0
		.amdhsa_exception_int_div_zero 0
	.end_amdhsa_kernel
	.section	.text._ZN12_GLOBAL__N_139chunk_gated_delta_rule_fwd_h_hip_kernelILi32ELb0ELb1ELb1ELb1ELb1ELb1ELb1ELb0EEEvPK12hip_bfloat16S3_S3_PKfS5_PKvPS1_S8_PvPKiSB_iiiiilll,"axG",@progbits,_ZN12_GLOBAL__N_139chunk_gated_delta_rule_fwd_h_hip_kernelILi32ELb0ELb1ELb1ELb1ELb1ELb1ELb1ELb0EEEvPK12hip_bfloat16S3_S3_PKfS5_PKvPS1_S8_PvPKiSB_iiiiilll,comdat
.Lfunc_end389:
	.size	_ZN12_GLOBAL__N_139chunk_gated_delta_rule_fwd_h_hip_kernelILi32ELb0ELb1ELb1ELb1ELb1ELb1ELb1ELb0EEEvPK12hip_bfloat16S3_S3_PKfS5_PKvPS1_S8_PvPKiSB_iiiiilll, .Lfunc_end389-_ZN12_GLOBAL__N_139chunk_gated_delta_rule_fwd_h_hip_kernelILi32ELb0ELb1ELb1ELb1ELb1ELb1ELb1ELb0EEEvPK12hip_bfloat16S3_S3_PKfS5_PKvPS1_S8_PvPKiSB_iiiiilll
                                        ; -- End function
	.section	.AMDGPU.csdata,"",@progbits
; Kernel info:
; codeLenInByte = 9796
; NumSgprs: 76
; NumVgprs: 142
; NumAgprs: 20
; TotalNumVgprs: 164
; ScratchSize: 0
; MemoryBound: 0
; FloatMode: 240
; IeeeMode: 1
; LDSByteSize: 49152 bytes/workgroup (compile time only)
; SGPRBlocks: 9
; VGPRBlocks: 20
; NumSGPRsForWavesPerEU: 76
; NumVGPRsForWavesPerEU: 164
; AccumOffset: 144
; Occupancy: 1
; WaveLimiterHint : 1
; COMPUTE_PGM_RSRC2:SCRATCH_EN: 0
; COMPUTE_PGM_RSRC2:USER_SGPR: 2
; COMPUTE_PGM_RSRC2:TRAP_HANDLER: 0
; COMPUTE_PGM_RSRC2:TGID_X_EN: 1
; COMPUTE_PGM_RSRC2:TGID_Y_EN: 1
; COMPUTE_PGM_RSRC2:TGID_Z_EN: 0
; COMPUTE_PGM_RSRC2:TIDIG_COMP_CNT: 0
; COMPUTE_PGM_RSRC3_GFX90A:ACCUM_OFFSET: 35
; COMPUTE_PGM_RSRC3_GFX90A:TG_SPLIT: 0
	.section	.text._ZN12_GLOBAL__N_139chunk_gated_delta_rule_fwd_h_hip_kernelILi32ELb0ELb1ELb0ELb1ELb1ELb1ELb1ELb0EEEvPK12hip_bfloat16S3_S3_PKfS5_PKvPS1_S8_PvPKiSB_iiiiilll,"axG",@progbits,_ZN12_GLOBAL__N_139chunk_gated_delta_rule_fwd_h_hip_kernelILi32ELb0ELb1ELb0ELb1ELb1ELb1ELb1ELb0EEEvPK12hip_bfloat16S3_S3_PKfS5_PKvPS1_S8_PvPKiSB_iiiiilll,comdat
	.globl	_ZN12_GLOBAL__N_139chunk_gated_delta_rule_fwd_h_hip_kernelILi32ELb0ELb1ELb0ELb1ELb1ELb1ELb1ELb0EEEvPK12hip_bfloat16S3_S3_PKfS5_PKvPS1_S8_PvPKiSB_iiiiilll ; -- Begin function _ZN12_GLOBAL__N_139chunk_gated_delta_rule_fwd_h_hip_kernelILi32ELb0ELb1ELb0ELb1ELb1ELb1ELb1ELb0EEEvPK12hip_bfloat16S3_S3_PKfS5_PKvPS1_S8_PvPKiSB_iiiiilll
	.p2align	8
	.type	_ZN12_GLOBAL__N_139chunk_gated_delta_rule_fwd_h_hip_kernelILi32ELb0ELb1ELb0ELb1ELb1ELb1ELb1ELb0EEEvPK12hip_bfloat16S3_S3_PKfS5_PKvPS1_S8_PvPKiSB_iiiiilll,@function
_ZN12_GLOBAL__N_139chunk_gated_delta_rule_fwd_h_hip_kernelILi32ELb0ELb1ELb0ELb1ELb1ELb1ELb1ELb0EEEvPK12hip_bfloat16S3_S3_PKfS5_PKvPS1_S8_PvPKiSB_iiiiilll: ; @_ZN12_GLOBAL__N_139chunk_gated_delta_rule_fwd_h_hip_kernelILi32ELb0ELb1ELb0ELb1ELb1ELb1ELb1ELb0EEEvPK12hip_bfloat16S3_S3_PKfS5_PKvPS1_S8_PvPKiSB_iiiiilll
; %bb.0:
	s_load_dwordx4 s[16:19], s[0:1], 0x5c
	s_load_dwordx4 s[20:23], s[0:1], 0x70
	s_abs_i32 s27, s3
	s_ashr_i32 s26, s3, 31
	s_load_dwordx8 s[4:11], s[0:1], 0x0
	s_load_dwordx2 s[36:37], s[0:1], 0x20
	s_load_dwordx2 s[40:41], s[0:1], 0x30
	s_waitcnt lgkmcnt(0)
	s_abs_i32 s28, s17
	v_cvt_f32_u32_e32 v1, s28
	s_sub_i32 s29, 0, s28
	s_ashr_i32 s33, s17, 31
	s_xor_b32 s26, s26, s33
	v_rcp_iflag_f32_e32 v1, v1
	s_load_dwordx4 s[12:15], s[0:1], 0x40
	s_load_dwordx2 s[24:25], s[0:1], 0x50
	v_lshrrev_b32_e32 v53, 6, v0
	v_bfe_u32 v62, v0, 4, 2
	v_mul_f32_e32 v1, 0x4f7ffffe, v1
	v_cvt_u32_f32_e32 v1, v1
	v_lshlrev_b32_e32 v60, 4, v53
	v_lshlrev_b32_e32 v18, 2, v62
	v_and_b32_e32 v61, 63, v0
	v_readfirstlane_b32 s30, v1
	s_mul_i32 s29, s29, s30
	s_mul_hi_u32 s29, s30, s29
	s_add_i32 s30, s30, s29
	s_mul_hi_u32 s29, s27, s30
	s_mul_i32 s30, s29, s28
	s_sub_i32 s27, s27, s30
	s_add_i32 s30, s29, 1
	s_sub_i32 s31, s27, s28
	s_cmp_ge_u32 s27, s28
	s_cselect_b32 s29, s30, s29
	s_cselect_b32 s27, s31, s27
	s_add_i32 s30, s29, 1
	s_cmp_ge_u32 s27, s28
	s_cselect_b32 s27, s30, s29
	s_xor_b32 s27, s27, s26
	s_sub_i32 s34, s27, s26
	s_mul_i32 s26, s34, s17
	s_ashr_i32 s35, s34, 31
	s_sub_i32 s46, s3, s26
	s_lshl_b64 s[26:27], s[34:35], 2
	s_waitcnt lgkmcnt(0)
	s_add_u32 s14, s14, s26
	s_addc_u32 s15, s15, s27
	s_add_u32 s24, s24, s26
	s_addc_u32 s25, s25, s27
	s_abs_i32 s3, s18
	v_cvt_f32_u32_e32 v1, s3
	s_load_dwordx2 s[38:39], s[14:15], 0x0
	s_sub_i32 s15, 0, s3
	s_load_dword s52, s[24:25], 0x0
	v_rcp_iflag_f32_e32 v1, v1
	v_mov_b32_e32 v17, 0
	s_waitcnt lgkmcnt(0)
	s_sub_i32 s56, s39, s38
	s_ashr_i32 s14, s56, 31
	v_mul_f32_e32 v1, 0x4f7ffffe, v1
	v_cvt_u32_f32_e32 v1, v1
	s_lshr_b32 s14, s14, 26
	s_add_i32 s14, s56, s14
	s_ashr_i32 s51, s14, 6
	v_readfirstlane_b32 s26, v1
	s_mul_i32 s15, s15, s26
	s_mul_hi_u32 s15, s26, s15
	s_add_i32 s26, s26, s15
	s_mul_hi_u32 s15, s28, s26
	s_mul_i32 s26, s15, s3
	s_ashr_i32 s14, s18, 31
	s_sub_i32 s26, s28, s26
	s_xor_b32 s14, s33, s14
	s_add_i32 s27, s15, 1
	s_sub_i32 s28, s26, s3
	s_cmp_ge_u32 s26, s3
	s_cselect_b32 s15, s27, s15
	s_cselect_b32 s26, s28, s26
	s_add_i32 s27, s15, 1
	s_cmp_ge_u32 s26, s3
	s_cselect_b32 s3, s27, s15
	s_xor_b32 s3, s3, s14
	s_sub_i32 s3, s3, s14
	s_abs_i32 s26, s3
	v_cvt_f32_u32_e32 v1, s26
	s_load_dwordx2 s[14:15], s[0:1], 0x80
	s_xor_b32 s0, s46, s3
	s_sub_i32 s3, 0, s26
	v_rcp_iflag_f32_e32 v1, v1
	s_abs_i32 s1, s46
	s_ashr_i32 s0, s0, 31
	s_mov_b32 s47, s17
	v_mul_f32_e32 v1, 0x4f7ffffe, v1
	v_cvt_u32_f32_e32 v1, v1
	v_and_b32_e32 v63, 15, v0
	s_mul_hi_i32 s53, s46, s16
	s_mul_i32 s54, s46, s16
	v_readfirstlane_b32 s24, v1
	s_mul_i32 s3, s3, s24
	s_mul_hi_u32 s3, s24, s3
	s_add_i32 s24, s24, s3
	s_mul_hi_u32 s3, s1, s24
	s_mul_i32 s24, s3, s26
	s_sub_i32 s1, s1, s24
	s_add_i32 s24, s3, 1
	s_sub_i32 s25, s1, s26
	s_cmp_ge_u32 s1, s26
	s_cselect_b32 s3, s24, s3
	s_cselect_b32 s1, s25, s1
	s_add_i32 s24, s3, 1
	s_cmp_ge_u32 s1, s26
	s_cselect_b32 s1, s24, s3
	s_xor_b32 s1, s1, s0
	s_sub_i32 s55, s1, s0
	v_or_b32_e32 v1, v18, v60
	s_lshl_b32 s2, s2, 5
	v_or_b32_e32 v66, 64, v1
	s_cmp_lt_i32 s56, 64
	v_lshrrev_b32_e32 v65, 3, v61
	v_lshlrev_b32_e32 v64, 3, v0
	s_mul_i32 s48, s34, s21
	s_mul_hi_u32 s49, s34, s20
	s_mul_i32 s50, s35, s20
	s_mul_i32 s20, s34, s20
	v_mov_b32_e32 v16, v17
	v_mov_b32_e32 v15, v17
	v_mov_b32_e32 v14, v17
	v_mov_b32_e32 v13, v17
	v_mov_b32_e32 v12, v17
	v_mov_b32_e32 v11, v17
	v_mov_b32_e32 v10, v17
	v_mov_b32_e32 v9, v17
	v_mov_b32_e32 v8, v17
	v_mov_b32_e32 v7, v17
	v_mov_b32_e32 v6, v17
	v_mov_b32_e32 v5, v17
	v_mov_b32_e32 v4, v17
	v_mov_b32_e32 v3, v17
	v_mov_b32_e32 v2, v17
	s_cbranch_scc1 .LBB390_19
; %bb.1:
	s_ashr_i32 s58, s46, 31
	s_ashr_i32 s1, s38, 31
	s_add_u32 s0, s54, s38
	s_addc_u32 s1, s53, s1
	s_lshl_b64 s[0:1], s[0:1], 8
	v_and_b32_e32 v68, 56, v64
	s_add_u32 s24, s6, s0
	v_lshl_or_b32 v67, v53, 3, v65
	v_lshlrev_b32_e32 v2, 1, v68
	s_addc_u32 s0, s7, s1
	v_lshl_or_b32 v69, v67, 8, v2
	s_and_b32 s25, s0, 0xffff
	s_mov_b32 s27, 0x20000
	s_movk_i32 s26, 0x4000
	s_movk_i32 s0, 0x80
	v_or_b32_e32 v70, 0x2000, v69
	buffer_load_dwordx4 v[4:7], v69, s[24:27], 0 offen
	buffer_load_dwordx4 v[8:11], v69, s[24:27], s0 offen
	;; [unrolled: 1-line block ×4, first 2 shown]
	v_lshlrev_b32_e32 v3, 3, v67
	v_and_or_b32 v17, v0, 7, v3
	v_and_b32_e32 v3, 0x78, v3
	v_lshlrev_b32_e32 v17, 4, v17
	v_xor_b32_e32 v71, v17, v3
	v_mul_lo_u32 v16, v67, s19
	v_or_b32_e32 v72, 0x1000, v71
	v_xor_b32_e32 v3, 8, v71
	s_cmpk_eq_i32 s19, 0x80
	s_mov_b32 s57, s38
	v_xor_b32_e32 v17, 8, v72
	s_cselect_b64 s[0:1], -1, 0
	s_cmpk_lg_i32 s19, 0x80
	s_waitcnt vmcnt(3)
	ds_write_b64 v71, v[4:5] offset:24576
	ds_write_b64 v3, v[6:7] offset:24576
	s_waitcnt vmcnt(2)
	ds_write_b64 v71, v[8:9] offset:32768
	ds_write_b64 v3, v[10:11] offset:32768
	;; [unrolled: 3-line block ×4, first 2 shown]
	v_lshl_add_u32 v3, v16, 1, v68
	s_cbranch_scc0 .LBB390_3
; %bb.2:
	v_lshlrev_b32_e32 v5, 1, v3
	v_add_lshl_u32 v4, v3, s19, 1
	s_lshl_b32 s26, s19, 7
	v_lshl_or_b32 v2, v67, 9, v2
	s_cbranch_execz .LBB390_4
	s_branch .LBB390_5
.LBB390_3:
                                        ; implicit-def: $vgpr4
                                        ; implicit-def: $vgpr5
                                        ; implicit-def: $sgpr26
	v_lshl_or_b32 v2, v67, 9, v2
.LBB390_4:
	v_or_b32_e32 v4, 0x100, v2
	s_movk_i32 s26, 0x4000
	v_mov_b32_e32 v5, v2
.LBB390_5:
	s_mul_i32 s21, s38, s18
	s_ashr_i32 s59, s55, 31
	s_mul_hi_i32 s3, s38, s18
	s_add_u32 s24, s21, s55
	s_addc_u32 s25, s3, s59
	s_lshl_b64 s[24:25], s[24:25], 8
	s_add_u32 s24, s4, s24
	s_addc_u32 s3, s5, s25
	s_and_b32 s25, s3, 0xffff
	s_movk_i32 s60, 0x80
	buffer_load_dwordx4 v[6:9], v5, s[24:27], 0 offen
	buffer_load_dwordx4 v[10:13], v5, s[24:27], s60 offen
	;; [unrolled: 1-line block ×4, first 2 shown]
	v_and_b32_e32 v4, 6, v0
	v_lshlrev_b32_e32 v24, 6, v1
	v_or_b32_e32 v26, 16, v63
	v_xor_b32_e32 v27, v67, v4
	v_and_b32_e32 v5, 1, v0
	v_lshl_or_b32 v30, v63, 3, v24
	v_lshl_or_b32 v24, v26, 3, v24
	v_lshlrev_b32_e32 v27, 2, v27
	v_lshlrev_b32_e32 v19, 2, v63
	s_mul_i32 s3, s46, s23
	s_mul_hi_u32 s21, s46, s22
	v_or_b32_e32 v75, 0xa000, v24
	v_or_b32_e32 v76, 0xb000, v24
	v_xor_b32_e32 v24, 0x440, v27
	v_cmp_eq_u32_e32 vcc, 0, v5
	s_add_i32 s25, s49, s48
	s_mul_i32 s24, s58, s22
	v_xor_b32_e32 v28, v1, v19
	v_xor_b32_e32 v29, v66, v19
	v_cndmask_b32_e32 v5, v24, v27, vcc
	s_add_i32 s3, s21, s3
	s_add_i32 s21, s25, s50
	s_mov_b32 s61, 0x1000504
	v_lshlrev_b32_e32 v25, 8, v63
	v_lshlrev_b32_e32 v26, 8, v26
	v_lshlrev_b32_e32 v28, 1, v28
	v_lshlrev_b32_e32 v29, 1, v29
	v_lshl_or_b32 v4, v4, 10, v5
	s_add_i32 s25, s3, s24
	s_lshl_b64 s[28:29], s[20:21], 2
	s_mov_b32 s62, 0x3020706
	v_or_b32_e32 v73, 0xa000, v30
	v_or_b32_e32 v74, 0xb000, v30
	;; [unrolled: 1-line block ×5, first 2 shown]
	v_xor_b32_e32 v5, 8, v4
	v_xor_b32_e32 v25, 24, v4
	;; [unrolled: 1-line block ×4, first 2 shown]
	s_mul_i32 s24, s46, s22
	s_add_u32 s3, s10, s28
	v_or_b32_e32 v79, v26, v28
	v_xor_b32_e32 v24, 16, v4
	v_xor_b32_e32 v26, 32, v4
	;; [unrolled: 1-line block ×3, first 2 shown]
	v_add_u32_e32 v5, 0x80, v5
	v_add_u32_e32 v25, 0x80, v25
	;; [unrolled: 1-line block ×4, first 2 shown]
	s_addc_u32 s21, s11, s29
	s_lshl_b64 s[24:25], s[24:25], 2
	s_add_u32 s42, s3, s24
	s_movk_i32 s3, 0xf8
	s_addc_u32 s43, s21, s25
	s_lshl_b32 s30, s19, 7
	s_movk_i32 s28, 0x100
	v_mov_b32_e32 v55, 0
	v_lshlrev_b32_e32 v54, 4, v63
	v_cmp_gt_u32_e32 vcc, s28, v0
	s_mov_b32 s63, 0
	s_movk_i32 s21, 0x1000
	s_movk_i32 s26, 0x4000
	v_add_u32_e32 v94, v60, v18
	v_mov_b32_e32 v105, v55
	v_mov_b32_e32 v106, v55
	;; [unrolled: 1-line block ×8, first 2 shown]
	s_waitcnt vmcnt(1)
	v_perm_b32 v30, v6, v14, s61
	s_waitcnt vmcnt(0)
	v_perm_b32 v31, v10, v20, s61
	v_perm_b32 v6, v6, v14, s62
	;; [unrolled: 1-line block ×15, first 2 shown]
	ds_write2st64_b32 v4, v30, v31 offset0:32 offset1:64
	ds_write2st64_b32 v5, v6, v10 offset0:32 offset1:64
	;; [unrolled: 1-line block ×8, first 2 shown]
	v_or_b32_e32 v4, v60, v63
	v_lshlrev_b32_e32 v4, 3, v4
	v_lshrrev_b32_e32 v6, 5, v61
	v_and_or_b32 v6, v4, s3, v6
	v_lshlrev_b32_e32 v6, 4, v6
	v_lshrrev_b32_e32 v5, 2, v61
	v_lshlrev_b32_e32 v11, 11, v53
	v_and_b32_e32 v4, 0x78, v4
	v_or_b32_e32 v10, 32, v6
	v_and_b32_e32 v7, 12, v5
	v_and_b32_e32 v5, 0x1000, v11
	v_xor_b32_e32 v8, v6, v4
	v_lshrrev_b32_e32 v9, 1, v61
	v_xor_b32_e32 v10, v10, v4
	v_or_b32_e32 v8, v8, v5
	v_and_b32_e32 v9, 8, v9
	v_lshlrev_b32_e32 v12, 7, v62
	v_or_b32_e32 v10, v10, v5
	v_xor_b32_e32 v81, v8, v9
	v_or_b32_e32 v8, v12, v19
	v_xor_b32_e32 v83, v10, v9
	v_or_b32_e32 v10, 64, v6
	v_or_b32_e32 v6, 0x60, v6
	s_ashr_i32 s3, s2, 31
	v_lshlrev_b32_e32 v8, 1, v8
	v_xor_b32_e32 v10, v10, v4
	v_xor_b32_e32 v4, v6, v4
	s_lshl_b64 s[24:25], s[2:3], 8
	v_or_b32_e32 v82, 0xa000, v8
	v_or_b32_e32 v84, 0xa080, v8
	;; [unrolled: 1-line block ×6, first 2 shown]
	s_add_u32 s24, s40, s24
	v_lshlrev_b32_e32 v8, 1, v63
	v_lshlrev_b32_e32 v19, 2, v0
	v_lshrrev_b32_e32 v22, 1, v0
	v_xor_b32_e32 v85, v10, v9
	v_xor_b32_e32 v86, v4, v9
	v_lshrrev_b32_e32 v10, 4, v0
	s_addc_u32 s25, s41, s25
	v_or_b32_e32 v9, 1, v8
	v_mov_b32_e32 v20, 0x4000
	v_mov_b32_e32 v21, 0x2000
	v_and_b32_e32 v22, 24, v22
	v_and_or_b32 v12, v19, 60, v12
	v_mov_b32_e32 v19, 0xb000
	v_xor_b32_e32 v15, v10, v8
	v_xor_b32_e32 v16, v9, v10
	v_lshl_add_u64 v[8:9], s[24:25], 0, v[54:55]
	v_lshlrev_b32_e32 v54, 8, v10
	v_cndmask_b32_e32 v20, v20, v21, vcc
	v_lshlrev_b32_e32 v21, 3, v53
	v_lshl_or_b32 v91, v12, 1, v19
	v_or_b32_e32 v12, 32, v22
	v_lshl_or_b32 v89, v15, 3, v54
	v_and_b32_e32 v15, 8, v0
	v_xor_b32_e32 v12, v21, v12
	v_cmp_eq_u32_e32 vcc, 0, v15
	v_or_b32_e32 v19, 0x440, v12
	v_and_b32_e32 v10, 7, v0
	v_cndmask_b32_e32 v12, v19, v12, vcc
	v_lshl_or_b32 v90, v16, 3, v54
	v_lshlrev_b32_e32 v16, 3, v10
	v_or_b32_e32 v12, v12, v11
	v_xor_b32_e32 v19, v12, v16
	v_or_b32_e32 v12, 64, v22
	v_xor_b32_e32 v12, v21, v12
	v_xor_b32_e32 v25, 0x440, v12
	v_cndmask_b32_e32 v12, v25, v12, vcc
	v_or_b32_e32 v12, v12, v11
	v_xor_b32_e32 v25, v12, v16
	v_or_b32_e32 v12, 0x60, v22
	v_xor_b32_e32 v23, v21, v22
	v_xor_b32_e32 v12, v21, v12
	v_or_b32_e32 v24, 0x440, v23
	v_xor_b32_e32 v21, 0x440, v12
	v_cndmask_b32_e32 v15, v24, v23, vcc
	v_cndmask_b32_e32 v12, v21, v12, vcc
	v_or_b32_e32 v15, v15, v11
	v_or_b32_e32 v11, v12, v11
	;; [unrolled: 1-line block ×3, first 2 shown]
	v_xor_b32_e32 v15, v15, v16
	v_xor_b32_e32 v11, v11, v16
	v_lshlrev_b32_e32 v6, 7, v1
	v_ashrrev_i32_e32 v5, 31, v4
	v_lshlrev_b32_e32 v13, 1, v3
	v_add_lshl_u32 v3, v3, s19, 1
	v_or_b32_e32 v14, 0x100, v2
	v_lshlrev_b32_e32 v17, 7, v10
	v_or_b32_e32 v10, v7, v60
	v_add_u32_e32 v23, v20, v15
	v_add_u32_e32 v24, v20, v19
	;; [unrolled: 1-line block ×4, first 2 shown]
	v_or3_b32 v12, v60, v7, 64
	v_add_u32_e32 v7, 0x4000, v15
	v_add_u32_e32 v15, 0x4000, v19
	;; [unrolled: 1-line block ×4, first 2 shown]
	v_cndmask_b32_e64 v92, v13, v2, s[0:1]
	v_cndmask_b32_e64 v93, v3, v14, s[0:1]
	v_lshl_add_u64 v[56:57], v[4:5], 1, s[8:9]
	v_lshl_add_u64 v[58:59], v[8:9], 0, v[54:55]
	s_mov_b32 s3, 0x7060302
	v_lshlrev_b32_e32 v54, 1, v6
	v_lshlrev_b32_e32 v95, 2, v10
	v_add_u32_e32 v96, v23, v17
	v_add_u32_e32 v97, v24, v17
	;; [unrolled: 1-line block ×4, first 2 shown]
	v_lshlrev_b32_e32 v100, 2, v12
	v_add_u32_e32 v101, v7, v17
	v_add_u32_e32 v102, v15, v17
	;; [unrolled: 1-line block ×4, first 2 shown]
	v_mov_b32_e32 v2, v55
	v_mov_b32_e32 v3, v55
	;; [unrolled: 1-line block ×8, first 2 shown]
	s_waitcnt lgkmcnt(0)
	s_barrier
.LBB390_6:                              ; =>This Inner Loop Header: Depth=1
	s_add_i32 s64, s63, 1
	s_cmp_lt_i32 s64, s51
	s_mov_b64 s[28:29], 0
	s_cselect_b64 s[44:45], -1, 0
	s_cmp_ge_i32 s64, s51
	s_mov_b64 s[24:25], 0
	s_cbranch_scc1 .LBB390_8
; %bb.7:                                ;   in Loop: Header=BB390_6 Depth=1
	s_add_i32 s0, s57, 64
	s_ashr_i32 s1, s0, 31
	s_add_u32 s0, s54, s0
	s_addc_u32 s1, s53, s1
	s_lshl_b64 s[0:1], s[0:1], 8
	s_add_u32 s24, s6, s0
	s_addc_u32 s25, s7, s1
.LBB390_8:                              ;   in Loop: Header=BB390_6 Depth=1
	v_cndmask_b32_e64 v10, 0, 1, s[44:45]
	v_cmp_ne_u32_e64 s[0:1], 1, v10
	s_andn2_b64 vcc, exec, s[44:45]
	s_cbranch_vccnz .LBB390_10
; %bb.9:                                ;   in Loop: Header=BB390_6 Depth=1
	s_add_i32 s28, s57, 64
	s_mul_hi_i32 s29, s28, s18
	s_mul_i32 s28, s28, s18
	s_add_u32 s28, s28, s55
	s_addc_u32 s29, s29, s59
	s_lshl_b64 s[28:29], s[28:29], 8
	s_add_u32 s28, s4, s28
	s_addc_u32 s29, s5, s29
.LBB390_10:                             ;   in Loop: Header=BB390_6 Depth=1
	v_perm_b32 v11, v5, v4, s3
	v_perm_b32 v10, v3, v2, s3
	v_perm_b32 v13, v9, v8, s3
	v_perm_b32 v12, v7, v6, s3
	ds_write_b64 v73, v[10:11]
	ds_write_b64 v74, v[12:13]
	;; [unrolled: 1-line block ×4, first 2 shown]
	v_perm_b32 v11, v112, v107, s3
	v_perm_b32 v10, v106, v105, s3
	;; [unrolled: 1-line block ×4, first 2 shown]
	ds_write_b64 v75, v[10:11]
	ds_write_b64 v76, v[12:13]
	ds_write_b64 v79, v[10:11]
	ds_write_b64 v80, v[12:13]
	s_waitcnt lgkmcnt(0)
	s_barrier
	ds_read_b64 v[14:15], v81 offset:24576
	ds_read2_b64 v[10:13], v82 offset1:16
	ds_read_b64 v[18:19], v84 offset:3072
	ds_read_b64 v[20:21], v82 offset:3072
	;; [unrolled: 1-line block ×3, first 2 shown]
	s_waitcnt lgkmcnt(3)
	v_mfma_f32_16x16x16_bf16 a[0:3], v[14:15], v[10:11], 0
	s_add_i32 s65, s57, 63
	s_ashr_i32 s31, s65, 31
	s_mul_i32 s44, s65, s15
	v_mfma_f32_16x16x16_bf16 a[4:7], v[14:15], v[12:13], 0
	ds_read2st64_b64 v[10:13], v82 offset0:2 offset1:4
	s_mul_hi_u32 s45, s65, s14
	s_add_i32 s44, s45, s44
	s_waitcnt lgkmcnt(0)
	v_mfma_f32_16x16x16_bf16 a[0:3], v[22:23], v[10:11], a[0:3]
	ds_read2st64_b64 v[14:17], v84 offset0:2 offset1:4
	ds_read_b64 v[10:11], v85 offset:24576
	s_mul_i32 s31, s31, s14
	s_add_i32 s45, s44, s31
	s_waitcnt lgkmcnt(1)
	v_mfma_f32_16x16x16_bf16 a[4:7], v[22:23], v[14:15], a[4:7]
	ds_read_b64 v[14:15], v86 offset:24576
	s_mul_i32 s44, s65, s14
	s_lshl_b64 s[44:45], s[44:45], 2
	s_waitcnt lgkmcnt(1)
	v_mfma_f32_16x16x16_bf16 a[0:3], v[10:11], v[12:13], a[0:3]
	s_add_u32 s44, s42, s44
	s_addc_u32 s45, s43, s45
	s_and_b64 vcc, exec, s[0:1]
	v_mfma_f32_16x16x16_bf16 a[4:7], v[10:11], v[16:17], a[4:7]
	v_mov_b32_e32 v115, 0
	v_mov_b32_e32 v114, 0
	;; [unrolled: 1-line block ×3, first 2 shown]
	s_waitcnt lgkmcnt(0)
	v_mfma_f32_16x16x16_bf16 a[0:3], v[14:15], v[20:21], a[0:3]
	v_mov_b32_e32 v10, 0
	v_mov_b32_e32 v11, 0
	;; [unrolled: 1-line block ×3, first 2 shown]
	v_mfma_f32_16x16x16_bf16 a[4:7], v[14:15], v[18:19], a[4:7]
	v_mov_b32_e32 v13, 0
	v_mov_b32_e32 v14, 0
	;; [unrolled: 1-line block ×13, first 2 shown]
	s_cbranch_vccnz .LBB390_12
; %bb.11:                               ;   in Loop: Header=BB390_6 Depth=1
	s_and_b32 s25, s25, 0xffff
	buffer_load_dwordx4 v[22:25], v69, s[24:27], 0 offen
	buffer_load_dwordx4 v[18:21], v69, s[24:27], s60 offen
	buffer_load_dwordx4 v[14:17], v70, s[24:27], 0 offen
	buffer_load_dwordx4 v[10:13], v70, s[24:27], s60 offen
	v_mov_b32_e32 v114, v71
	v_mov_b32_e32 v113, v72
.LBB390_12:                             ;   in Loop: Header=BB390_6 Depth=1
	ds_read_b64 v[30:31], v81 offset:32768
	ds_read2_b64 v[26:29], v87 offset1:16
	ds_read_b64 v[34:35], v83 offset:32768
	ds_read_b64 v[36:37], v85 offset:32768
	;; [unrolled: 1-line block ×3, first 2 shown]
	v_add_u32_e32 v42, s57, v94
	s_waitcnt lgkmcnt(3)
	v_mfma_f32_16x16x16_bf16 a[0:3], v[30:31], v[26:27], a[0:3]
	v_mov_b32_e32 v116, 0
	v_mfma_f32_16x16x16_bf16 a[4:7], v[30:31], v[28:29], a[4:7]
	ds_read2st64_b64 v[26:29], v87 offset0:2 offset1:4
	ds_read2st64_b64 v[30:33], v88 offset0:2 offset1:4
	s_waitcnt lgkmcnt(1)
	v_mfma_f32_16x16x16_bf16 a[0:3], v[34:35], v[26:27], a[0:3]
	ds_read_b64 v[26:27], v87 offset:3072
	ds_read_b64 v[40:41], v88 offset:3072
	s_waitcnt lgkmcnt(2)
	v_mfma_f32_16x16x16_bf16 a[4:7], v[34:35], v[30:31], a[4:7]
	v_ashrrev_i32_e32 v30, 31, v42
	v_mul_lo_u32 v31, v42, s15
	v_mul_lo_u32 v30, v30, s14
	v_mfma_f32_16x16x16_bf16 a[0:3], v[36:37], v[28:29], a[0:3]
	v_mad_u64_u32 v[28:29], s[24:25], v42, s14, 0
	v_add3_u32 v29, v29, v31, v30
	v_add_u32_e32 v30, 1, v42
	v_ashrrev_i32_e32 v31, 31, v30
	v_mfma_f32_16x16x16_bf16 a[4:7], v[36:37], v[32:33], a[4:7]
	v_mul_lo_u32 v31, v31, s14
	v_mul_lo_u32 v32, v30, s15
	v_lshl_add_u64 v[28:29], v[28:29], 2, s[42:43]
	s_waitcnt lgkmcnt(1)
	v_mfma_f32_16x16x16_bf16 a[0:3], v[38:39], v[26:27], a[0:3]
	v_mad_u64_u32 v[26:27], s[24:25], v30, s14, 0
	v_add_u32_e32 v30, 2, v42
	v_add3_u32 v27, v27, v32, v31
	v_ashrrev_i32_e32 v31, 31, v30
	v_mul_lo_u32 v32, v31, s14
	v_mul_lo_u32 v33, v30, s15
	v_mad_u64_u32 v[30:31], s[24:25], v30, s14, 0
	v_add3_u32 v31, v31, v33, v32
	v_add_u32_e32 v32, 3, v42
	v_ashrrev_i32_e32 v33, 31, v32
	v_mul_lo_u32 v34, v33, s14
	v_mul_lo_u32 v35, v32, s15
	v_mad_u64_u32 v[32:33], s[24:25], v32, s14, 0
	v_add3_u32 v33, v33, v35, v34
	v_lshl_add_u64 v[32:33], v[32:33], 2, s[42:43]
	s_ashr_i32 s25, s57, 31
	v_lshl_add_u64 v[26:27], v[26:27], 2, s[42:43]
	v_lshl_add_u64 v[30:31], v[30:31], 2, s[42:43]
	global_load_dword v34, v[28:29], off
	global_load_dword v35, v[26:27], off
	;; [unrolled: 1-line block ×3, first 2 shown]
	s_nop 0
	global_load_dword v33, v[32:33], off
	s_add_u32 s24, s54, s57
	s_addc_u32 s25, s53, s25
	s_lshl_b64 s[24:25], s[24:25], 8
	v_lshl_add_u64 v[26:27], v[56:57], 0, s[24:25]
	v_lshl_add_u64 v[26:27], v[26:27], 0, v[54:55]
	global_load_ushort v37, v[26:27], off
	global_load_ushort v42, v[26:27], off offset:256
	global_load_ushort v43, v[26:27], off offset:800
	;; [unrolled: 1-line block ×7, first 2 shown]
	s_load_dword s24, s[44:45], 0x0
	s_waitcnt lgkmcnt(0)
	v_mfma_f32_16x16x16_bf16 a[4:7], v[38:39], v[40:41], a[4:7]
	v_accvgpr_read_b32 v31, a1
	v_accvgpr_read_b32 v27, a3
	;; [unrolled: 1-line block ×4, first 2 shown]
	s_and_b64 vcc, exec, s[0:1]
	s_waitcnt vmcnt(11)
	v_sub_f32_e32 v32, s24, v34
	s_waitcnt vmcnt(10)
	v_sub_f32_e32 v40, s24, v35
	;; [unrolled: 2-line block ×4, first 2 shown]
	v_exp_f32_e32 v32, v32
	v_exp_f32_e32 v33, v40
	;; [unrolled: 1-line block ×4, first 2 shown]
	s_waitcnt vmcnt(6)
	v_lshlrev_b32_e32 v35, 16, v42
	v_lshlrev_b32_e32 v34, 16, v37
	s_waitcnt vmcnt(4)
	v_lshlrev_b32_e32 v37, 16, v44
	s_waitcnt vmcnt(2)
	v_lshlrev_b32_e32 v36, 16, v46
	v_pk_add_f32 v[30:31], v[34:35], v[30:31] neg_lo:[0,1] neg_hi:[0,1]
	v_pk_add_f32 v[26:27], v[36:37], v[26:27] neg_lo:[0,1] neg_hi:[0,1]
	v_pk_mul_f32 v[30:31], v[32:33], v[30:31]
	v_pk_mul_f32 v[26:27], v[40:41], v[26:27]
	s_waitcnt vmcnt(1)
	v_lshlrev_b32_e32 v39, 16, v47
	v_perm_b32 v27, v27, v26, s3
	v_perm_b32 v26, v31, v30, s3
	v_accvgpr_read_b32 v31, a5
	s_waitcnt vmcnt(0)
	v_lshlrev_b32_e32 v38, 16, v48
	v_accvgpr_read_b32 v30, a4
	v_pk_add_f32 v[30:31], v[38:39], v[30:31] neg_lo:[0,1] neg_hi:[0,1]
	v_accvgpr_read_b32 v29, a7
	v_accvgpr_read_b32 v28, a6
	v_pk_mul_f32 v[30:31], v[32:33], v[30:31]
	v_lshlrev_b32_e32 v33, 16, v43
	v_lshlrev_b32_e32 v32, 16, v45
	v_pk_add_f32 v[28:29], v[32:33], v[28:29] neg_lo:[0,1] neg_hi:[0,1]
	v_mov_b32_e32 v32, 0
	v_pk_mul_f32 v[28:29], v[40:41], v[28:29]
	v_mov_b32_e32 v33, 0
	v_perm_b32 v29, v29, v28, s3
	v_perm_b32 v28, v31, v30, s3
	ds_write2_b64 v74, v[26:27], v[28:29] offset1:16
	v_mov_b32_e32 v26, 0
	v_mov_b32_e32 v27, 0
	;; [unrolled: 1-line block ×14, first 2 shown]
	s_cbranch_vccnz .LBB390_14
; %bb.13:                               ;   in Loop: Header=BB390_6 Depth=1
	s_and_b32 s29, s29, 0xffff
	s_mov_b32 s31, s27
	buffer_load_dwordx4 v[38:41], v92, s[28:31], 0 offen
	buffer_load_dwordx4 v[30:33], v92, s[28:31], s60 offen
	;; [unrolled: 1-line block ×4, first 2 shown]
	v_mov_b32_e32 v115, v68
	v_mov_b32_e32 v116, v67
.LBB390_14:                             ;   in Loop: Header=BB390_6 Depth=1
	s_waitcnt lgkmcnt(0)
	s_barrier
	ds_read_b64 v[46:47], v96
	ds_read_b64 v[122:123], v91
	;; [unrolled: 1-line block ×5, first 2 shown]
	ds_read_b64 v[136:137], v88 offset:3072
	ds_read2_b64 v[42:45], v87 offset0:16 offset1:128
	s_waitcnt lgkmcnt(5)
	v_mfma_f32_16x16x16_bf16 a[0:3], v[46:47], v[122:123], 0
	s_add_i32 s25, s52, s63
	s_mul_hi_i32 s29, s25, s47
	s_mul_i32 s25, s25, s47
	s_waitcnt lgkmcnt(0)
	v_mfma_f32_16x16x16_bf16 a[4:7], v[46:47], v[42:43], 0
	ds_read_b64 v[46:47], v101
	ds_read2st64_b64 v[48:51], v88 offset0:2 offset1:4
	s_add_u32 s28, s25, s46
	s_addc_u32 s29, s29, s58
	s_lshl_b64 s[28:29], s[28:29], 15
	s_mul_i32 s31, s65, s47
	s_mul_hi_i32 s25, s65, s47
	s_add_u32 s44, s31, s46
	s_waitcnt lgkmcnt(1)
	v_mfma_f32_16x16x16_bf16 a[8:11], v[46:47], v[122:123], 0
	s_addc_u32 s45, s25, s58
	ds_read2st64_b64 v[118:121], v87 offset0:4 offset1:6
	s_lshl_b64 s[44:45], s[44:45], 9
	v_mfma_f32_16x16x16_bf16 a[0:3], v[124:125], v[44:45], a[0:3]
	s_add_u32 s44, s36, s44
	s_addc_u32 s45, s37, s45
	s_waitcnt lgkmcnt(1)
	v_mfma_f32_16x16x16_bf16 a[4:7], v[124:125], v[48:49], a[4:7]
	ds_read_b64 v[124:125], v102
	ds_read_b64 v[132:133], v103
	;; [unrolled: 1-line block ×3, first 2 shown]
	v_mfma_f32_16x16x16_bf16 a[12:15], v[46:47], v[42:43], 0
	s_waitcnt lgkmcnt(2)
	v_mfma_f32_16x16x16_bf16 a[8:11], v[124:125], v[44:45], a[8:11]
	global_load_dwordx4 v[42:45], v100, s[44:45]
	v_mfma_f32_16x16x16_bf16 a[12:15], v[124:125], v[48:49], a[12:15]
	global_load_dwordx4 v[46:49], v95, s[44:45]
	ds_read2st64_b64 v[122:125], v89 offset1:8
	s_waitcnt lgkmcnt(0)
	v_mov_b32_e32 v130, v122
	v_mfma_f32_16x16x16_bf16 a[0:3], v[126:127], v[118:119], a[0:3]
	v_mov_b32_e32 v131, v123
	v_mfma_f32_16x16x16_bf16 a[4:7], v[126:127], v[50:51], a[4:7]
	ds_read2st64_b64 v[126:129], v90 offset1:8
	v_mfma_f32_16x16x16_bf16 a[8:11], v[132:133], v[118:119], a[8:11]
	v_lshl_add_u64 v[118:119], v[58:59], 0, s[28:29]
	v_mfma_f32_16x16x16_bf16 a[16:19], v[132:133], v[50:51], a[12:15]
	v_add_co_u32_e32 v50, vcc, s21, v118
	s_waitcnt lgkmcnt(0)
	v_mov_b32_e32 v132, v126
	v_mfma_f32_16x16x16_bf16 a[0:3], v[134:135], v[120:121], a[0:3]
	v_mov_b32_e32 v133, v127
	v_mov_b32_e32 v126, v124
	;; [unrolled: 1-line block ×3, first 2 shown]
	v_mfma_f32_16x16x16_bf16 a[4:7], v[134:135], v[136:137], a[4:7]
	v_addc_co_u32_e32 v51, vcc, 0, v119, vcc
	global_store_dwordx4 v[50:51], v[126:129], off
	v_mfma_f32_16x16x16_bf16 a[12:15], v[138:139], v[120:121], a[8:11]
	s_and_b64 vcc, exec, s[0:1]
	global_store_dwordx4 v[118:119], v[130:133], off
	s_waitcnt vmcnt(3)
	v_mov_b32_e32 v52, v45
	v_mfma_f32_16x16x16_bf16 a[8:11], v[138:139], v[136:137], a[16:19]
	v_mov_b32_e32 v51, v44
	v_mov_b32_e32 v50, v43
	s_cbranch_vccnz .LBB390_16
; %bb.15:                               ;   in Loop: Header=BB390_6 Depth=1
	v_lshrrev_b32_e32 v43, 3, v115
	v_and_b32_e32 v43, 6, v43
	v_xor_b32_e32 v44, v43, v116
	v_lshlrev_b32_e32 v44, 2, v44
	v_and_b32_e32 v45, 8, v115
	v_xor_b32_e32 v115, 0x440, v44
	v_cmp_eq_u32_e32 vcc, 0, v45
	v_perm_b32 v45, v30, v26, s61
	s_nop 0
	v_cndmask_b32_e32 v44, v115, v44, vcc
	v_lshl_or_b32 v43, v43, 10, v44
	v_perm_b32 v44, v38, v34, s61
	s_barrier
	ds_write2st64_b32 v43, v44, v45 offset0:32 offset1:64
	v_xor_b32_e32 v44, 8, v43
	v_perm_b32 v34, v38, v34, s62
	v_perm_b32 v26, v30, v26, s62
	v_add_u32_e32 v30, 0x80, v44
	ds_write2st64_b32 v30, v34, v26 offset0:32 offset1:64
	v_xor_b32_e32 v26, 16, v43
	v_perm_b32 v30, v39, v35, s61
	v_perm_b32 v34, v31, v27, s61
	ds_write2st64_b32 v26, v30, v34 offset0:33 offset1:65
	v_xor_b32_e32 v26, 24, v43
	v_perm_b32 v30, v39, v35, s62
	v_perm_b32 v27, v31, v27, s62
	v_add_u32_e32 v26, 0x80, v26
	ds_write2st64_b32 v26, v30, v27 offset0:33 offset1:65
	v_xor_b32_e32 v26, 32, v43
	v_perm_b32 v27, v40, v36, s61
	v_perm_b32 v30, v32, v28, s61
	;; [unrolled: 9-line block ×3, first 2 shown]
	ds_write2st64_b32 v26, v27, v28 offset0:35 offset1:67
	v_xor_b32_e32 v26, 56, v43
	v_perm_b32 v27, v41, v37, s62
	v_perm_b32 v28, v33, v29, s62
	v_add_u32_e32 v26, 0x80, v26
	ds_write2st64_b32 v26, v27, v28 offset0:35 offset1:67
	ds_write_b64 v114, v[22:23] offset:24576
	v_xor_b32_e32 v22, 8, v114
	ds_write_b64 v22, v[24:25] offset:24576
	ds_write_b64 v114, v[18:19] offset:32768
	;; [unrolled: 1-line block ×4, first 2 shown]
	v_xor_b32_e32 v14, 8, v113
	ds_write_b64 v14, v[16:17] offset:24576
	ds_write_b64 v113, v[10:11] offset:32768
	;; [unrolled: 1-line block ×3, first 2 shown]
.LBB390_16:                             ;   in Loop: Header=BB390_6 Depth=1
	v_exp_f32_e32 v26, s24
	s_waitcnt vmcnt(2)
	v_exp_f32_e32 v28, v46
	v_exp_f32_e32 v29, v47
	;; [unrolled: 1-line block ×4, first 2 shown]
	v_accvgpr_read_b32 v21, a3
	v_accvgpr_read_b32 v19, a1
	;; [unrolled: 1-line block ×4, first 2 shown]
	v_pk_mul_f32 v[28:29], v[26:27], v[28:29] op_sel_hi:[0,1]
	v_accvgpr_read_b32 v20, a2
	v_accvgpr_read_b32 v11, a5
	;; [unrolled: 1-line block ×3, first 2 shown]
	v_pk_fma_f32 v[2:3], v[2:3], v[28:29], v[18:19]
	v_pk_mul_f32 v[18:19], v[26:27], v[30:31] op_sel_hi:[0,1]
	v_pk_fma_f32 v[4:5], v[4:5], v[18:19], v[20:21]
	v_fma_f32 v105, v105, v28, v10
	v_fma_f32 v106, v106, v29, v11
	v_exp_f32_e32 v10, v42
	v_exp_f32_e32 v11, v50
	;; [unrolled: 1-line block ×4, first 2 shown]
	v_accvgpr_read_b32 v12, a6
	v_accvgpr_read_b32 v25, a15
	;; [unrolled: 1-line block ×9, first 2 shown]
	v_fma_f32 v107, v107, v18, v12
	v_fmac_f32_e32 v13, v112, v19
	v_pk_mul_f32 v[10:11], v[26:27], v[10:11] op_sel_hi:[0,1]
	v_pk_mul_f32 v[18:19], v[26:27], v[20:21] op_sel_hi:[0,1]
	s_add_i32 s57, s57, 64
	v_pk_fma_f32 v[6:7], v[6:7], v[10:11], v[22:23]
	v_pk_fma_f32 v[8:9], v[8:9], v[18:19], v[24:25]
	v_fma_f32 v108, v108, v10, v14
	v_fma_f32 v109, v109, v11, v15
	;; [unrolled: 1-line block ×3, first 2 shown]
	s_cmp_eq_u32 s51, s64
	v_fmac_f32_e32 v17, v111, v19
	s_cbranch_scc1 .LBB390_18
; %bb.17:                               ;   in Loop: Header=BB390_6 Depth=1
	s_mov_b32 s63, s64
	v_mov_b32_e32 v112, v13
	v_mov_b32_e32 v111, v17
	s_branch .LBB390_6
.LBB390_18:
	v_mov_b32_e32 v16, v110
	v_mov_b32_e32 v15, v109
	;; [unrolled: 1-line block ×6, first 2 shown]
.LBB390_19:
	s_lshl_b32 s3, s51, 6
	s_sub_i32 s56, s56, s3
	s_cmp_gt_i32 s56, 0
	v_or_b32_e32 v34, s2, v63
	s_cbranch_scc1 .LBB390_21
; %bb.20:
	s_ashr_i32 s29, s46, 31
	v_or_b32_e32 v35, s2, v63
	s_cbranch_execz .LBB390_22
	s_branch .LBB390_86
.LBB390_21:
                                        ; implicit-def: $vgpr35
                                        ; implicit-def: $sgpr28_sgpr29
.LBB390_22:
	s_add_i32 s28, s3, s38
	s_ashr_i32 s3, s28, 31
	s_cmpk_lg_i32 s19, 0x80
	s_cselect_b64 s[42:43], -1, 0
	s_and_b64 vcc, exec, s[42:43]
	s_cbranch_vccz .LBB390_24
; %bb.23:
	s_mul_hi_i32 s0, s28, s18
	s_mul_i32 s1, s28, s18
	s_ashr_i32 s18, s55, 31
	s_add_u32 s44, s1, s55
	s_addc_u32 s45, s0, s18
	s_cbranch_execz .LBB390_25
	s_branch .LBB390_26
.LBB390_24:
                                        ; implicit-def: $sgpr44_sgpr45
.LBB390_25:
	s_mul_i32 s1, s55, s16
	s_mul_hi_i32 s0, s55, s16
	s_add_u32 s44, s1, s28
	s_addc_u32 s45, s0, s3
.LBB390_26:
	s_add_i32 s16, s51, s52
	s_ashr_i32 s29, s46, 31
	s_add_u32 s0, s54, s28
	v_lshlrev_b32_e32 v22, 5, v1
	v_lshlrev_b32_e32 v40, 2, v63
	s_addc_u32 s1, s53, s3
	s_mov_b32 s3, 0x7060302
	v_or_b32_e32 v25, v22, v40
	v_xor_b32_e32 v23, v1, v40
	v_perm_b32 v19, v5, v4, s3
	v_perm_b32 v18, v3, v2, s3
	;; [unrolled: 1-line block ×4, first 2 shown]
	v_lshlrev_b32_e32 v25, 1, v25
	v_xor_b32_e32 v24, v66, v40
	ds_write2st64_b64 v25, v[18:19], v[20:21] offset0:80 offset1:88
	v_lshlrev_b32_e32 v23, 1, v23
	v_lshlrev_b32_e32 v25, 8, v63
	s_lshl_b64 s[30:31], s[0:1], 8
	v_or_b32_e32 v26, v23, v25
	v_lshlrev_b32_e32 v24, 1, v24
	s_add_u32 s0, s6, s30
	ds_write_b64 v26, v[18:19]
	v_or_b32_e32 v18, v24, v25
	s_addc_u32 s1, s7, s31
	ds_write_b64 v18, v[20:21]
	v_perm_b32 v19, v13, v12, s3
	v_perm_b32 v18, v11, v10, s3
	;; [unrolled: 1-line block ×4, first 2 shown]
	v_or_b32_e32 v25, 16, v63
	s_mul_hi_i32 s3, s16, s17
	s_mul_i32 s16, s16, s17
	v_lshlrev_b32_e32 v37, 2, v25
	s_add_u32 s6, s16, s46
	v_or_b32_e32 v22, v22, v37
	s_addc_u32 s7, s3, s29
	v_lshlrev_b32_e32 v22, 1, v22
	s_ashr_i32 s3, s2, 31
	s_lshl_b64 s[6:7], s[6:7], 15
	ds_write2st64_b64 v22, v[18:19], v[20:21] offset0:80 offset1:88
	v_lshlrev_b32_e32 v22, 8, v25
	s_add_u32 s6, s40, s6
	v_or_b32_e32 v23, v23, v22
	s_addc_u32 s7, s41, s7
	s_lshl_b64 s[2:3], s[2:3], 8
	ds_write_b64 v23, v[18:19]
	v_or_b32_e32 v18, v24, v22
	s_add_u32 s2, s6, s2
	ds_write_b64 v18, v[20:21]
	v_lshrrev_b32_e32 v18, 4, v0
	s_addc_u32 s3, s7, s3
	v_lshlrev_b32_e32 v19, 1, v63
	v_lshlrev_b32_e32 v26, 4, v63
	v_mov_b32_e32 v27, 0
	v_or_b32_e32 v20, 1, v19
	v_xor_b32_e32 v19, v18, v19
	v_lshl_add_u64 v[28:29], s[2:3], 0, v[26:27]
	v_lshlrev_b32_e32 v26, 8, v18
	v_xor_b32_e32 v22, v20, v18
	v_lshl_or_b32 v18, v19, 3, v26
	s_waitcnt lgkmcnt(0)
	s_barrier
	ds_read2st64_b64 v[18:21], v18 offset1:8
	v_lshl_or_b32 v22, v22, 3, v26
	ds_read2st64_b64 v[22:25], v22 offset1:8
	v_lshl_add_u64 v[30:31], v[28:29], 0, v[26:27]
	s_movk_i32 s2, 0x1000
	s_waitcnt lgkmcnt(1)
	v_mov_b32_e32 v26, v18
	v_add_co_u32_e32 v18, vcc, s2, v30
	s_cmp_lg_u32 s56, 64
	v_mov_b32_e32 v27, v19
	v_addc_co_u32_e32 v19, vcc, 0, v31, vcc
	s_cselect_b64 s[6:7], -1, 0
	v_lshl_or_b32 v35, v53, 3, v65
	s_waitcnt lgkmcnt(0)
	v_mov_b32_e32 v28, v22
	v_mov_b32_e32 v29, v23
	;; [unrolled: 1-line block ×4, first 2 shown]
	s_mov_b32 s24, 0
	v_or_b32_e32 v38, 32, v35
	v_and_b32_e32 v36, 56, v64
	s_and_b64 vcc, exec, s[6:7]
	global_store_dwordx4 v[30:31], v[26:29], off
	global_store_dwordx4 v[18:19], v[22:25], off
	s_cbranch_vccz .LBB390_32
; %bb.27:
	s_mov_b32 s25, s24
	s_mov_b32 s26, s24
	;; [unrolled: 1-line block ×3, first 2 shown]
	v_mov_b64_e32 v[22:23], s[24:25]
	v_mov_b64_e32 v[24:25], s[26:27]
	;; [unrolled: 1-line block ×3, first 2 shown]
	v_cmp_gt_i32_e32 vcc, s56, v35
	v_mov_b64_e32 v[20:21], v[24:25]
	s_and_saveexec_b64 s[2:3], vcc
	s_cbranch_execz .LBB390_29
; %bb.28:
	v_lshlrev_b32_e32 v18, 8, v35
	v_mov_b32_e32 v19, 0
	v_lshl_add_u64 v[20:21], s[0:1], 0, v[18:19]
	v_lshlrev_b32_e32 v18, 1, v36
	v_lshl_add_u64 v[26:27], v[20:21], 0, v[18:19]
	global_load_dwordx4 v[22:25], v[26:27], off
	global_load_dwordx4 v[18:21], v[26:27], off offset:128
.LBB390_29:
	s_or_b64 exec, exec, s[2:3]
	s_mov_b32 s26, s24
	s_mov_b32 s27, s24
	s_mov_b32 s25, s24
	v_mov_b64_e32 v[32:33], s[26:27]
	v_mov_b64_e32 v[30:31], s[24:25]
	;; [unrolled: 1-line block ×3, first 2 shown]
	v_cmp_gt_i32_e32 vcc, s56, v38
	v_lshlrev_b32_e32 v39, 7, v38
	v_mov_b64_e32 v[28:29], v[32:33]
	s_and_saveexec_b64 s[2:3], vcc
	s_cbranch_execz .LBB390_31
; %bb.30:
	v_lshlrev_b32_e32 v26, 1, v39
	v_mov_b32_e32 v27, 0
	v_lshl_add_u64 v[28:29], s[0:1], 0, v[26:27]
	v_lshlrev_b32_e32 v26, 1, v36
	v_lshl_add_u64 v[42:43], v[28:29], 0, v[26:27]
	global_load_dwordx4 v[30:33], v[42:43], off
	global_load_dwordx4 v[26:29], v[42:43], off offset:128
.LBB390_31:
	s_or_b64 exec, exec, s[2:3]
	v_lshrrev_b32_e32 v41, 3, v36
	v_lshlrev_b32_e32 v42, 3, v35
	v_or_b32_e32 v41, v42, v41
	v_lshlrev_b32_e32 v41, 4, v41
	v_and_b32_e32 v42, 0x78, v42
	v_xor_b32_e32 v41, v41, v42
	s_branch .LBB390_34
.LBB390_32:
                                        ; implicit-def: $vgpr41
                                        ; implicit-def: $vgpr39
                                        ; implicit-def: $vgpr22_vgpr23_vgpr24_vgpr25
                                        ; implicit-def: $vgpr18_vgpr19_vgpr20_vgpr21
                                        ; implicit-def: $vgpr30_vgpr31_vgpr32_vgpr33
                                        ; implicit-def: $vgpr26_vgpr27_vgpr28_vgpr29
	s_cbranch_execz .LBB390_34
; %bb.33:
	s_waitcnt vmcnt(0)
	v_lshlrev_b32_e32 v18, 1, v36
	v_lshl_or_b32 v39, v35, 8, v18
	s_and_b32 s1, s1, 0xffff
	s_mov_b32 s3, 0x20000
	s_movk_i32 s2, 0x4000
	v_lshl_or_b32 v41, v38, 8, v18
	s_movk_i32 s16, 0x80
	buffer_load_dwordx4 v[22:25], v39, s[0:3], 0 offen
	buffer_load_dwordx4 v[18:21], v39, s[0:3], s16 offen
	;; [unrolled: 1-line block ×4, first 2 shown]
	v_lshrrev_b32_e32 v39, 3, v36
	v_lshlrev_b32_e32 v41, 3, v35
	v_or_b32_e32 v39, v41, v39
	v_lshlrev_b32_e32 v39, 4, v39
	v_and_b32_e32 v41, 0x78, v41
	v_xor_b32_e32 v41, v39, v41
	v_lshlrev_b32_e32 v39, 7, v38
.LBB390_34:
	s_lshl_b64 s[0:1], s[44:45], 8
	s_add_u32 s4, s4, s0
	s_movk_i32 s0, 0x1000
	v_and_or_b32 v38, v39, s0, v41
	s_waitcnt vmcnt(1)
	ds_write_b64 v41, v[22:23] offset:24576
	v_xor_b32_e32 v22, 8, v41
	ds_write_b64 v22, v[24:25] offset:24576
	s_waitcnt vmcnt(0)
	ds_write_b64 v41, v[18:19] offset:32768
	ds_write_b64 v22, v[20:21] offset:32768
	;; [unrolled: 1-line block ×3, first 2 shown]
	v_xor_b32_e32 v18, 8, v38
	ds_write_b64 v18, v[32:33] offset:24576
	ds_write_b64 v38, v[26:27] offset:32768
	ds_write_b64 v18, v[28:29] offset:32768
	v_or_b32_e32 v18, v60, v63
	v_lshlrev_b32_e32 v18, 3, v18
	v_lshrrev_b32_e32 v19, 5, v61
	s_movk_i32 s18, 0xf8
	v_and_or_b32 v19, v18, s18, v19
	v_lshlrev_b32_e32 v23, 4, v19
	v_lshlrev_b32_e32 v41, 11, v53
	v_and_b32_e32 v24, 0x78, v18
	v_or_b32_e32 v26, 32, v23
	v_and_b32_e32 v22, 0x1000, v41
	v_lshrrev_b32_e32 v19, 1, v61
	v_xor_b32_e32 v26, v26, v24
	v_xor_b32_e32 v18, v23, v24
	v_and_b32_e32 v25, 8, v19
	v_or_b32_e32 v26, v26, v22
	v_or_b32_e32 v18, v18, v22
	v_xor_b32_e32 v45, v26, v25
	v_or_b32_e32 v26, 64, v23
	v_xor_b32_e32 v44, v18, v25
	v_xor_b32_e32 v26, v26, v24
	s_waitcnt lgkmcnt(0)
	s_barrier
	v_or_b32_e32 v28, v26, v22
	ds_read_b64 v[26:27], v44 offset:24576
	v_lshl_or_b32 v38, v62, 7, v40
	v_lshlrev_b32_e32 v42, 1, v38
	v_add_u32_e32 v18, 0xa000, v42
	ds_read2_b64 v[18:21], v18 offset1:16
	v_or_b32_e32 v23, 0x60, v23
	v_xor_b32_e32 v23, v23, v24
	s_waitcnt lgkmcnt(0)
	v_mfma_f32_16x16x16_bf16 a[0:3], v[26:27], v[18:19], 0
	v_or_b32_e32 v18, 64, v38
	v_or_b32_e32 v22, v23, v22
	v_lshlrev_b32_e32 v43, 1, v18
	v_xor_b32_e32 v46, v28, v25
	v_xor_b32_e32 v47, v22, v25
	ds_read_b64 v[28:29], v45 offset:24576
	ds_read_b64 v[30:31], v46 offset:24576
	;; [unrolled: 1-line block ×3, first 2 shown]
	v_mfma_f32_16x16x16_bf16 a[4:7], v[26:27], v[20:21], 0
	ds_read2st64_b64 v[18:21], v43 offset0:82 offset1:84
	ds_read2st64_b64 v[22:25], v42 offset0:82 offset1:84
	s_addc_u32 s5, s5, s1
	s_add_i32 s16, s39, -1
	s_add_i32 s0, s49, s48
	s_add_i32 s21, s0, s50
	s_mul_i32 s0, s46, s23
	s_mul_hi_u32 s1, s46, s22
	s_ashr_i32 s2, s16, 31
	s_mul_i32 s3, s16, s15
	s_mul_hi_u32 s18, s16, s14
	s_add_i32 s0, s1, s0
	s_mul_i32 s1, s29, s22
	s_add_i32 s3, s18, s3
	s_mul_i32 s2, s2, s14
	s_waitcnt lgkmcnt(1)
	v_mfma_f32_16x16x16_bf16 a[4:7], v[28:29], v[18:19], a[4:7]
	s_add_i32 s1, s0, s1
	s_add_i32 s3, s3, s2
	s_lshl_b64 s[20:21], s[20:21], 2
	s_waitcnt lgkmcnt(0)
	v_mfma_f32_16x16x16_bf16 a[0:3], v[28:29], v[22:23], a[0:3]
	s_mul_i32 s0, s46, s22
	s_add_u32 s10, s10, s20
	s_addc_u32 s11, s11, s21
	s_lshl_b64 s[0:1], s[0:1], 2
	s_mul_i32 s2, s16, s14
	s_add_u32 s10, s10, s0
	ds_read_b64 v[18:19], v42 offset:44032
	v_mfma_f32_16x16x16_bf16 a[4:7], v[30:31], v[20:21], a[4:7]
	ds_read_b64 v[20:21], v43 offset:44032
	s_addc_u32 s11, s11, s1
	s_lshl_b64 s[0:1], s[2:3], 2
	v_mfma_f32_16x16x16_bf16 a[0:3], v[30:31], v[24:25], a[0:3]
	s_add_u32 s0, s10, s0
	s_addc_u32 s1, s11, s1
	s_load_dword s18, s[0:1], 0x0
	s_waitcnt lgkmcnt(0)
	v_mfma_f32_16x16x16_bf16 a[0:3], v[32:33], v[18:19], a[0:3]
	s_and_b64 vcc, exec, s[42:43]
	v_mfma_f32_16x16x16_bf16 a[4:7], v[32:33], v[20:21], a[4:7]
	s_cbranch_vccz .LBB390_45
; %bb.35:
	v_lshlrev_b32_e32 v38, 1, v35
	s_and_b64 vcc, exec, s[6:7]
	s_cbranch_vccz .LBB390_46
; %bb.36:
	v_cmp_gt_i32_e32 vcc, s56, v38
	v_mov_b32_e32 v22, 0
	v_mov_b32_e32 v18, 0
	;; [unrolled: 1-line block ×5, first 2 shown]
	s_and_saveexec_b64 s[0:1], vcc
	s_cbranch_execz .LBB390_38
; %bb.37:
	v_mad_i64_i32 v[18:19], s[2:3], s19, v38, 0
	v_lshl_add_u64 v[18:19], v[18:19], 1, s[4:5]
	v_lshlrev_b32_e32 v20, 1, v36
	v_mov_b32_e32 v21, 0
	v_lshl_add_u64 v[18:19], v[18:19], 0, v[20:21]
	global_load_dwordx4 v[18:21], v[18:19], off
.LBB390_38:
	s_or_b64 exec, exec, s[0:1]
	v_or_b32_e32 v39, 1, v38
	v_cmp_gt_i32_e64 s[0:1], s56, v39
	v_mov_b32_e32 v23, 0
	v_mov_b32_e32 v24, 0
	;; [unrolled: 1-line block ×3, first 2 shown]
	s_and_saveexec_b64 s[2:3], s[0:1]
	s_cbranch_execz .LBB390_40
; %bb.39:
	v_mad_i64_i32 v[22:23], s[20:21], s19, v39, 0
	v_lshl_add_u64 v[22:23], v[22:23], 1, s[4:5]
	v_lshlrev_b32_e32 v24, 1, v36
	v_mov_b32_e32 v25, 0
	v_lshl_add_u64 v[22:23], v[22:23], 0, v[24:25]
	global_load_dwordx4 v[22:25], v[22:23], off
.LBB390_40:
	s_or_b64 exec, exec, s[2:3]
	v_mov_b32_e32 v33, 0
	v_mov_b32_e32 v26, 0
	;; [unrolled: 1-line block ×5, first 2 shown]
	s_and_saveexec_b64 s[2:3], vcc
	s_cbranch_execz .LBB390_42
; %bb.41:
	v_mad_i64_i32 v[26:27], s[20:21], s19, v38, 0
	v_lshl_add_u64 v[26:27], v[26:27], 1, s[4:5]
	v_lshlrev_b32_e32 v28, 1, v36
	v_mov_b32_e32 v29, 0
	v_lshl_add_u64 v[26:27], v[26:27], 0, v[28:29]
	global_load_dwordx4 v[26:29], v[26:27], off offset:128
.LBB390_42:
	s_or_b64 exec, exec, s[2:3]
	v_mov_b32_e32 v32, 0
	v_mov_b32_e32 v31, 0
	;; [unrolled: 1-line block ×3, first 2 shown]
	s_and_saveexec_b64 s[2:3], s[0:1]
	s_cbranch_execz .LBB390_44
; %bb.43:
	v_mad_i64_i32 v[30:31], s[0:1], s19, v39, 0
	v_lshl_add_u64 v[30:31], v[30:31], 1, s[4:5]
	v_lshlrev_b32_e32 v32, 1, v36
	v_mov_b32_e32 v33, 0
	v_lshl_add_u64 v[30:31], v[30:31], 0, v[32:33]
	global_load_dwordx4 v[30:33], v[30:31], off offset:128
.LBB390_44:
	s_or_b64 exec, exec, s[2:3]
	s_branch .LBB390_48
.LBB390_45:
                                        ; implicit-def: $vgpr21
                                        ; implicit-def: $vgpr25
                                        ; implicit-def: $vgpr29
                                        ; implicit-def: $vgpr33
	v_lshrrev_b32_e32 v48, 2, v61
	s_branch .LBB390_49
.LBB390_46:
                                        ; implicit-def: $vgpr21
                                        ; implicit-def: $vgpr25
                                        ; implicit-def: $vgpr29
                                        ; implicit-def: $vgpr33
	s_cbranch_execz .LBB390_48
; %bb.47:
	s_waitcnt vmcnt(0)
	v_mad_u64_u32 v[18:19], s[0:1], v38, s19, v[36:37]
	v_lshlrev_b32_e32 v38, 1, v18
	s_lshl_b32 s2, s19, 7
	s_and_b32 s1, s5, 0xffff
	s_mov_b32 s3, 0x20000
	s_mov_b32 s0, s4
	v_add_lshl_u32 v39, v18, s19, 1
	s_movk_i32 s19, 0x80
	buffer_load_dwordx4 v[18:21], v38, s[0:3], 0 offen
	buffer_load_dwordx4 v[26:29], v38, s[0:3], s19 offen
	;; [unrolled: 1-line block ×4, first 2 shown]
.LBB390_48:
	v_lshrrev_b32_e32 v48, 2, v61
	s_cbranch_execnz .LBB390_61
.LBB390_49:
	s_and_b64 vcc, exec, s[6:7]
	s_cbranch_vccz .LBB390_59
; %bb.50:
	s_waitcnt vmcnt(0)
	v_lshlrev_b32_e32 v23, 1, v35
	v_cmp_gt_i32_e32 vcc, s56, v23
	v_mov_b32_e32 v22, 0
	v_lshlrev_b32_e32 v30, 9, v35
	v_mov_b32_e32 v18, 0
	v_mov_b32_e32 v19, 0
	;; [unrolled: 1-line block ×4, first 2 shown]
	s_and_saveexec_b64 s[0:1], vcc
	s_cbranch_execz .LBB390_52
; %bb.51:
	v_mov_b32_e32 v31, 0
	v_lshl_add_u64 v[18:19], s[4:5], 0, v[30:31]
	v_lshlrev_b32_e32 v20, 1, v36
	v_mov_b32_e32 v21, v31
	v_lshl_add_u64 v[18:19], v[18:19], 0, v[20:21]
	global_load_dwordx4 v[18:21], v[18:19], off
.LBB390_52:
	s_or_b64 exec, exec, s[0:1]
	v_or_b32_e32 v23, 1, v23
	v_cmp_gt_i32_e64 s[0:1], s56, v23
	v_lshlrev_b32_e32 v38, 8, v23
	v_mov_b32_e32 v23, 0
	v_mov_b32_e32 v24, 0
	;; [unrolled: 1-line block ×3, first 2 shown]
	s_and_saveexec_b64 s[2:3], s[0:1]
	s_cbranch_execz .LBB390_54
; %bb.53:
	v_mov_b32_e32 v39, 0
	v_lshl_add_u64 v[22:23], s[4:5], 0, v[38:39]
	v_lshlrev_b32_e32 v24, 1, v36
	v_mov_b32_e32 v25, v39
	v_lshl_add_u64 v[22:23], v[22:23], 0, v[24:25]
	global_load_dwordx4 v[22:25], v[22:23], off
.LBB390_54:
	s_or_b64 exec, exec, s[2:3]
	v_mov_b32_e32 v33, 0
	v_mov_b32_e32 v26, 0
	;; [unrolled: 1-line block ×5, first 2 shown]
	s_and_saveexec_b64 s[2:3], vcc
	s_cbranch_execz .LBB390_56
; %bb.55:
	v_mov_b32_e32 v31, 0
	v_lshl_add_u64 v[26:27], s[4:5], 0, v[30:31]
	v_lshlrev_b32_e32 v30, 1, v36
	v_lshl_add_u64 v[26:27], v[26:27], 0, v[30:31]
	global_load_dwordx4 v[26:29], v[26:27], off offset:128
.LBB390_56:
	s_or_b64 exec, exec, s[2:3]
	v_mov_b32_e32 v32, 0
	v_mov_b32_e32 v31, 0
	;; [unrolled: 1-line block ×3, first 2 shown]
	s_and_saveexec_b64 s[2:3], s[0:1]
	s_cbranch_execz .LBB390_58
; %bb.57:
	v_mov_b32_e32 v39, 0
	v_lshl_add_u64 v[30:31], s[4:5], 0, v[38:39]
	v_lshlrev_b32_e32 v38, 1, v36
	v_lshl_add_u64 v[30:31], v[30:31], 0, v[38:39]
	global_load_dwordx4 v[30:33], v[30:31], off offset:128
.LBB390_58:
	s_or_b64 exec, exec, s[2:3]
	s_branch .LBB390_61
.LBB390_59:
                                        ; implicit-def: $vgpr21
                                        ; implicit-def: $vgpr25
                                        ; implicit-def: $vgpr29
                                        ; implicit-def: $vgpr33
	s_cbranch_execz .LBB390_61
; %bb.60:
	s_waitcnt vmcnt(0)
	v_lshlrev_b32_e32 v18, 1, v36
	v_lshl_or_b32 v36, v35, 9, v18
	s_and_b32 s5, s5, 0xffff
	s_mov_b32 s7, 0x20000
	s_movk_i32 s6, 0x4000
	s_movk_i32 s0, 0x80
	buffer_load_dwordx4 v[18:21], v36, s[4:7], 0 offen
	buffer_load_dwordx4 v[22:25], v36, s[4:7], 0 offen offset:256
	buffer_load_dwordx4 v[26:29], v36, s[4:7], s0 offen
	buffer_load_dwordx4 v[30:33], v36, s[4:7], s0 offen offset:256
.LBB390_61:
	ds_read_b64 v[38:39], v44 offset:32768
	v_add_u32_e32 v36, 0xb000, v42
	ds_read2_b64 v[54:57], v36 offset1:16
	ds_read_b64 v[50:51], v45 offset:32768
	ds_read_b64 v[58:59], v46 offset:32768
	;; [unrolled: 1-line block ×3, first 2 shown]
	ds_read2st64_b64 v[44:47], v42 offset0:90 offset1:92
	v_and_b32_e32 v36, 12, v48
	v_and_b32_e32 v48, 6, v0
	v_xor_b32_e32 v35, v35, v48
	v_lshlrev_b32_e32 v35, 2, v35
	s_mov_b32 s0, 0x1000504
	s_waitcnt lgkmcnt(4)
	v_mfma_f32_16x16x16_bf16 a[0:3], v[38:39], v[54:55], a[0:3]
	s_mov_b32 s1, 0x3020706
	v_mfma_f32_16x16x16_bf16 a[4:7], v[38:39], v[56:57], a[4:7]
	ds_read2st64_b64 v[54:57], v43 offset0:90 offset1:92
	s_waitcnt lgkmcnt(1)
	v_mfma_f32_16x16x16_bf16 a[0:3], v[50:51], v[44:45], a[0:3]
	ds_read_b64 v[38:39], v42 offset:48128
	ds_read_b64 v[44:45], v43 offset:48128
	s_waitcnt lgkmcnt(2)
	v_mfma_f32_16x16x16_bf16 a[4:7], v[50:51], v[54:55], a[4:7]
	v_mfma_f32_16x16x16_bf16 a[0:3], v[58:59], v[46:47], a[0:3]
	v_and_b32_e32 v46, 1, v0
	v_xor_b32_e32 v47, 0x440, v35
	v_cmp_eq_u32_e32 vcc, 0, v46
	v_mfma_f32_16x16x16_bf16 a[8:11], v[58:59], v[56:57], a[4:7]
	s_nop 0
	v_cndmask_b32_e32 v35, v47, v35, vcc
	v_lshl_or_b32 v35, v48, 10, v35
	s_waitcnt lgkmcnt(1)
	v_mfma_f32_16x16x16_bf16 a[4:7], v[62:63], v[38:39], a[0:3]
	s_waitcnt vmcnt(0)
	v_perm_b32 v38, v18, v22, s0
	v_perm_b32 v39, v26, v30, s0
	ds_write2st64_b32 v35, v38, v39 offset0:32 offset1:64
	v_xor_b32_e32 v38, 8, v35
	v_perm_b32 v18, v18, v22, s1
	v_perm_b32 v22, v26, v30, s1
	v_add_u32_e32 v26, 0x80, v38
	ds_write2st64_b32 v26, v18, v22 offset0:32 offset1:64
	v_xor_b32_e32 v18, 16, v35
	v_perm_b32 v22, v19, v23, s0
	v_perm_b32 v26, v27, v31, s0
	ds_write2st64_b32 v18, v22, v26 offset0:33 offset1:65
	v_xor_b32_e32 v18, 24, v35
	v_perm_b32 v19, v19, v23, s1
	v_perm_b32 v22, v27, v31, s1
	v_add_u32_e32 v18, 0x80, v18
	ds_write2st64_b32 v18, v19, v22 offset0:33 offset1:65
	v_xor_b32_e32 v18, 32, v35
	v_perm_b32 v19, v20, v24, s0
	v_perm_b32 v22, v28, v32, s0
	ds_write2st64_b32 v18, v19, v22 offset0:34 offset1:66
	v_xor_b32_e32 v18, 40, v35
	s_waitcnt lgkmcnt(5)
	v_mfma_f32_16x16x16_bf16 a[0:3], v[62:63], v[44:45], a[8:11]
	v_perm_b32 v19, v20, v24, s1
	v_perm_b32 v20, v28, v32, s1
	v_add_u32_e32 v18, 0x80, v18
	ds_write2st64_b32 v18, v19, v20 offset0:34 offset1:66
	v_xor_b32_e32 v18, 48, v35
	v_perm_b32 v19, v21, v25, s0
	v_perm_b32 v20, v29, v33, s0
	ds_write2st64_b32 v18, v19, v20 offset0:35 offset1:67
	v_xor_b32_e32 v18, 56, v35
	v_or_b32_e32 v32, v36, v60
	v_perm_b32 v19, v21, v25, s1
	v_perm_b32 v20, v29, v33, s1
	v_add_u32_e32 v18, 0x80, v18
	v_cmp_gt_i32_e32 vcc, s56, v32
	v_mov_b32_e32 v33, 0
	v_mov_b32_e32 v39, 0
	ds_write2st64_b32 v18, v19, v20 offset0:35 offset1:67
	s_and_saveexec_b64 s[0:1], vcc
	s_cbranch_execz .LBB390_63
; %bb.62:
	v_add_u32_e32 v18, s28, v32
	v_ashrrev_i32_e32 v19, 31, v18
	v_mul_lo_u32 v20, v19, s14
	v_mul_lo_u32 v21, v18, s15
	v_mad_u64_u32 v[18:19], s[2:3], v18, s14, 0
	v_add3_u32 v19, v19, v21, v20
	v_lshl_add_u64 v[18:19], v[18:19], 2, s[10:11]
	global_load_dword v18, v[18:19], off
	s_waitcnt vmcnt(0)
	v_sub_f32_e32 v18, s18, v18
	v_exp_f32_e32 v39, v18
.LBB390_63:
	s_or_b64 exec, exec, s[0:1]
	v_or_b32_e32 v24, 1, v32
	v_cmp_gt_i32_e64 s[0:1], s56, v24
	s_and_saveexec_b64 s[2:3], s[0:1]
	s_cbranch_execz .LBB390_65
; %bb.64:
	v_add_u32_e32 v18, s28, v24
	v_ashrrev_i32_e32 v19, 31, v18
	v_mul_lo_u32 v20, v19, s14
	v_mul_lo_u32 v21, v18, s15
	v_mad_u64_u32 v[18:19], s[4:5], v18, s14, 0
	v_add3_u32 v19, v19, v21, v20
	v_lshl_add_u64 v[18:19], v[18:19], 2, s[10:11]
	global_load_dword v18, v[18:19], off
	s_waitcnt vmcnt(0)
	v_sub_f32_e32 v18, s18, v18
	v_exp_f32_e32 v33, v18
.LBB390_65:
	s_or_b64 exec, exec, s[2:3]
	v_or_b32_e32 v25, 2, v32
	v_cmp_gt_i32_e64 s[2:3], s56, v25
	v_mov_b32_e32 v38, 0
	v_mov_b32_e32 v44, 0
	s_and_saveexec_b64 s[4:5], s[2:3]
	s_cbranch_execz .LBB390_67
; %bb.66:
	v_add_u32_e32 v18, s28, v25
	v_ashrrev_i32_e32 v19, 31, v18
	v_mul_lo_u32 v20, v19, s14
	v_mul_lo_u32 v21, v18, s15
	v_mad_u64_u32 v[18:19], s[6:7], v18, s14, 0
	v_add3_u32 v19, v19, v21, v20
	v_lshl_add_u64 v[18:19], v[18:19], 2, s[10:11]
	global_load_dword v18, v[18:19], off
	s_waitcnt vmcnt(0)
	v_sub_f32_e32 v18, s18, v18
	v_exp_f32_e32 v44, v18
.LBB390_67:
	s_or_b64 exec, exec, s[4:5]
	v_or_b32_e32 v45, 3, v32
	v_cmp_gt_i32_e64 s[4:5], s56, v45
	s_and_saveexec_b64 s[6:7], s[4:5]
	s_cbranch_execz .LBB390_69
; %bb.68:
	v_add_u32_e32 v18, s28, v45
	v_ashrrev_i32_e32 v19, 31, v18
	v_mul_lo_u32 v20, v19, s14
	v_mul_lo_u32 v21, v18, s15
	v_mad_u64_u32 v[18:19], s[14:15], v18, s14, 0
	v_add3_u32 v19, v19, v21, v20
	v_lshl_add_u64 v[18:19], v[18:19], 2, s[10:11]
	global_load_dword v18, v[18:19], off
	s_waitcnt vmcnt(0)
	v_sub_f32_e32 v18, s18, v18
	v_exp_f32_e32 v38, v18
.LBB390_69:
	s_or_b64 exec, exec, s[6:7]
	s_add_u32 s6, s8, s30
	v_accvgpr_read_b32 v21, a7
	s_addc_u32 s7, s9, s31
	v_ashrrev_i32_e32 v35, 31, v34
	v_accvgpr_read_b32 v20, a6
	v_accvgpr_read_b32 v19, a5
	;; [unrolled: 1-line block ×3, first 2 shown]
	v_lshl_add_u64 v[22:23], v[34:35], 1, s[6:7]
	v_mov_b32_e32 v29, 0
	v_lshlrev_b32_e32 v26, 8, v32
	v_mov_b32_e32 v27, 0
	s_and_saveexec_b64 s[6:7], vcc
	s_cbranch_execz .LBB390_71
; %bb.70:
	v_mov_b32_e32 v27, 0
	v_lshl_add_u64 v[30:31], v[22:23], 0, v[26:27]
	global_load_ushort v27, v[30:31], off
	s_waitcnt vmcnt(0)
	v_lshlrev_b32_e32 v27, 16, v27
	v_sub_f32_e32 v18, v27, v18
	v_mul_f32_e32 v18, v39, v18
	v_lshrrev_b32_e32 v27, 16, v18
.LBB390_71:
	s_or_b64 exec, exec, s[6:7]
	v_lshlrev_b32_e32 v28, 8, v24
	s_and_saveexec_b64 s[6:7], s[0:1]
	s_cbranch_execz .LBB390_73
; %bb.72:
	v_mov_b32_e32 v29, 0
	v_lshl_add_u64 v[30:31], v[22:23], 0, v[28:29]
	global_load_ushort v18, v[30:31], off
	s_waitcnt vmcnt(0)
	v_lshlrev_b32_e32 v18, 16, v18
	v_sub_f32_e32 v18, v18, v19
	v_mul_f32_e32 v18, v33, v18
	v_lshrrev_b32_e32 v29, 16, v18
.LBB390_73:
	s_or_b64 exec, exec, s[6:7]
	v_mov_b32_e32 v46, 0
	v_lshlrev_b32_e32 v30, 8, v25
	v_mov_b32_e32 v31, 0
	s_and_saveexec_b64 s[6:7], s[2:3]
	s_cbranch_execz .LBB390_75
; %bb.74:
	v_mov_b32_e32 v31, 0
	v_lshl_add_u64 v[18:19], v[22:23], 0, v[30:31]
	global_load_ushort v18, v[18:19], off
	s_waitcnt vmcnt(0)
	v_lshlrev_b32_e32 v18, 16, v18
	v_sub_f32_e32 v18, v18, v20
	v_mul_f32_e32 v18, v44, v18
	v_lshrrev_b32_e32 v31, 16, v18
.LBB390_75:
	s_or_b64 exec, exec, s[6:7]
	v_lshlrev_b32_e32 v24, 8, v45
	s_and_saveexec_b64 s[6:7], s[4:5]
	s_cbranch_execz .LBB390_77
; %bb.76:
	v_mov_b32_e32 v25, 0
	v_lshl_add_u64 v[18:19], v[22:23], 0, v[24:25]
	global_load_ushort v18, v[18:19], off
	s_waitcnt vmcnt(0)
	v_lshlrev_b32_e32 v18, 16, v18
	v_sub_f32_e32 v18, v18, v21
	v_mul_f32_e32 v18, v38, v18
	v_lshrrev_b32_e32 v46, 16, v18
.LBB390_77:
	s_or_b64 exec, exec, s[6:7]
	v_lshlrev_b32_e32 v35, 5, v32
	v_accvgpr_read_b32 v21, a3
	s_mov_b32 s6, 0x5040100
	v_or_b32_e32 v25, v35, v40
	v_accvgpr_read_b32 v20, a2
	v_accvgpr_read_b32 v19, a1
	;; [unrolled: 1-line block ×3, first 2 shown]
	v_perm_b32 v47, v46, v31, s6
	v_perm_b32 v46, v29, v27, s6
	v_lshlrev_b32_e32 v25, 1, v25
	v_mov_b32_e32 v29, 0
	v_mov_b32_e32 v27, 0
	ds_write_b64 v25, v[46:47] offset:45056
	s_and_saveexec_b64 s[6:7], vcc
	s_cbranch_execz .LBB390_79
; %bb.78:
	v_mov_b32_e32 v27, 0
	v_lshl_add_u64 v[26:27], v[22:23], 0, v[26:27]
	global_load_ushort v25, v[26:27], off offset:32
	s_waitcnt vmcnt(0)
	v_lshlrev_b32_e32 v25, 16, v25
	v_sub_f32_e32 v18, v25, v18
	v_mul_f32_e32 v18, v39, v18
	v_lshrrev_b32_e32 v27, 16, v18
.LBB390_79:
	s_or_b64 exec, exec, s[6:7]
	s_and_saveexec_b64 s[6:7], s[0:1]
	s_cbranch_execz .LBB390_81
; %bb.80:
	v_mov_b32_e32 v29, 0
	v_lshl_add_u64 v[28:29], v[22:23], 0, v[28:29]
	global_load_ushort v18, v[28:29], off offset:32
	s_waitcnt vmcnt(0)
	v_lshlrev_b32_e32 v18, 16, v18
	v_sub_f32_e32 v18, v18, v19
	v_mul_f32_e32 v18, v33, v18
	v_lshrrev_b32_e32 v29, 16, v18
.LBB390_81:
	s_or_b64 exec, exec, s[6:7]
	v_mov_b32_e32 v25, 0
	v_mov_b32_e32 v26, 0
	s_and_saveexec_b64 s[0:1], s[2:3]
	s_cbranch_execz .LBB390_83
; %bb.82:
	v_mov_b32_e32 v31, 0
	v_lshl_add_u64 v[18:19], v[22:23], 0, v[30:31]
	global_load_ushort v18, v[18:19], off offset:32
	s_waitcnt vmcnt(0)
	v_lshlrev_b32_e32 v18, 16, v18
	v_sub_f32_e32 v18, v18, v20
	v_mul_f32_e32 v18, v44, v18
	v_lshrrev_b32_e32 v26, 16, v18
.LBB390_83:
	s_or_b64 exec, exec, s[0:1]
	v_or_b32_e32 v19, 0xb000, v42
	v_or_b32_e32 v18, 0xb000, v43
	s_and_saveexec_b64 s[0:1], s[4:5]
	s_cbranch_execz .LBB390_85
; %bb.84:
	v_mov_b32_e32 v25, 0
	v_lshl_add_u64 v[22:23], v[22:23], 0, v[24:25]
	global_load_ushort v20, v[22:23], off offset:32
	s_waitcnt vmcnt(0)
	v_lshlrev_b32_e32 v20, 16, v20
	v_sub_f32_e32 v20, v20, v21
	v_mul_f32_e32 v20, v38, v20
	v_lshrrev_b32_e32 v25, 16, v20
.LBB390_85:
	s_or_b64 exec, exec, s[0:1]
	s_mov_b32 s0, 0x5040100
	v_or_b32_e32 v22, v35, v37
	v_perm_b32 v21, v25, v26, s0
	v_perm_b32 v20, v29, v27, s0
	v_lshlrev_b32_e32 v22, 1, v22
	s_movk_i32 s2, 0x100
	ds_write_b64 v22, v[20:21] offset:45056
	v_and_b32_e32 v20, 7, v0
	v_and_b32_e32 v21, 8, v0
	v_cmp_gt_u32_e32 vcc, s2, v0
	v_lshrrev_b32_e32 v0, 1, v0
	v_lshlrev_b32_e32 v26, 3, v20
	v_lshlrev_b32_e32 v35, 7, v20
	v_mov_b32_e32 v20, 0x4000
	v_mov_b32_e32 v22, 0x2000
	v_lshlrev_b32_e32 v24, 3, v53
	v_and_b32_e32 v0, 24, v0
	v_cndmask_b32_e32 v27, v20, v22, vcc
	v_xor_b32_e32 v20, v24, v0
	v_or_b32_e32 v22, 0x440, v20
	v_cmp_eq_u32_e32 vcc, 0, v21
	v_or_b32_e32 v28, 32, v0
	v_xor_b32_e32 v28, v24, v28
	v_cndmask_b32_e32 v20, v22, v20, vcc
	v_or_b32_e32 v20, v20, v41
	v_xor_b32_e32 v37, v20, v26
	v_or_b32_e32 v29, 0x440, v28
	v_add3_u32 v25, v27, v37, v35
	v_cndmask_b32_e32 v28, v29, v28, vcc
	v_or_b32_e32 v29, 64, v0
	v_or_b32_e32 v0, 0x60, v0
	s_waitcnt lgkmcnt(0)
	s_barrier
	v_xor_b32_e32 v29, v24, v29
	v_xor_b32_e32 v0, v24, v0
	ds_read_b64 v[24:25], v25
	v_xor_b32_e32 v30, 0x440, v29
	ds_read2_b64 v[20:23], v19 offset1:16
	v_cndmask_b32_e32 v29, v30, v29, vcc
	v_xor_b32_e32 v30, 0x440, v0
	v_or_b32_e32 v28, v28, v41
	v_or_b32_e32 v29, v29, v41
	v_cndmask_b32_e32 v0, v30, v0, vcc
	v_xor_b32_e32 v50, v28, v26
	v_xor_b32_e32 v51, v29, v26
	v_or_b32_e32 v0, v0, v41
	v_add3_u32 v28, v27, v50, v35
	v_add3_u32 v29, v27, v51, v35
	v_xor_b32_e32 v52, v0, v26
	s_mul_i32 s0, s16, s17
	v_add3_u32 v0, v27, v52, v35
	ds_read_b64 v[26:27], v28
	ds_read_b64 v[42:43], v29
	;; [unrolled: 1-line block ×3, first 2 shown]
	ds_read2st64_b64 v[28:31], v19 offset0:2 offset1:4
	s_mul_hi_i32 s1, s16, s17
	ds_read2st64_b64 v[38:41], v18 offset0:2 offset1:4
	s_add_u32 s0, s0, s46
	s_waitcnt lgkmcnt(5)
	v_mfma_f32_16x16x16_bf16 a[0:3], v[24:25], v[20:21], 0
	s_addc_u32 s1, s1, s29
	s_lshl_b64 s[0:1], s[0:1], 9
	s_add_u32 s0, s36, s0
	v_mfma_f32_16x16x16_bf16 a[4:7], v[24:25], v[22:23], 0
	s_addc_u32 s1, s37, s1
	v_lshlrev_b32_e32 v0, 2, v32
	s_waitcnt lgkmcnt(1)
	v_mfma_f32_16x16x16_bf16 a[0:3], v[26:27], v[28:29], a[0:3]
	s_waitcnt lgkmcnt(0)
	v_mfma_f32_16x16x16_bf16 a[4:7], v[26:27], v[38:39], a[4:7]
	global_load_dwordx4 v[24:27], v0, s[0:1]
	ds_read_b64 v[32:33], v19 offset:3072
	ds_read_b64 v[48:49], v18 offset:3072
	v_lshlrev_b32_e32 v0, 6, v53
	v_lshlrev_b32_e32 v18, 2, v36
	v_or3_b32 v0, v0, v18, s2
	v_mfma_f32_16x16x16_bf16 a[0:3], v[42:43], v[30:31], a[0:3]
	v_add_u32_e32 v36, v37, v35
	s_waitcnt vmcnt(0)
	v_exp_f32_e32 v18, v24
	v_mfma_f32_16x16x16_bf16 a[4:7], v[42:43], v[40:41], a[4:7]
	global_load_dwordx4 v[42:45], v0, s[0:1]
	v_exp_f32_e32 v19, v25
	ds_read_b64 v[24:25], v36 offset:16384
	s_waitcnt lgkmcnt(2)
	v_mfma_f32_16x16x16_bf16 a[0:3], v[46:47], v[32:33], a[0:3]
	v_exp_f32_e32 v0, s18
	v_add_u32_e32 v36, v50, v35
	v_add_u32_e32 v50, v51, v35
	s_waitcnt lgkmcnt(1)
	v_mfma_f32_16x16x16_bf16 a[4:7], v[46:47], v[48:49], a[4:7]
	v_pk_mul_f32 v[54:55], v[0:1], v[18:19] op_sel_hi:[0,1]
	v_add_u32_e32 v35, v52, v35
	ds_read_b64 v[46:47], v36 offset:16384
	ds_read_b64 v[50:51], v50 offset:16384
	;; [unrolled: 1-line block ×3, first 2 shown]
	v_accvgpr_read_b32 v19, a1
	v_accvgpr_read_b32 v37, a3
	v_accvgpr_read_b32 v36, a2
	v_accvgpr_read_b32 v18, a0
	s_waitcnt lgkmcnt(3)
	v_mfma_f32_16x16x16_bf16 a[0:3], v[24:25], v[22:23], 0
	v_exp_f32_e32 v26, v26
	v_exp_f32_e32 v27, v27
	v_pk_fma_f32 v[18:19], v[2:3], v[54:55], v[18:19]
	v_mfma_f32_16x16x16_bf16 a[8:11], v[24:25], v[20:21], 0
	v_mov_b32_e32 v35, v34
	v_pk_mul_f32 v[2:3], v[0:1], v[26:27] op_sel_hi:[0,1]
	v_pk_fma_f32 v[20:21], v[4:5], v[2:3], v[36:37]
	s_waitcnt lgkmcnt(2)
	v_mfma_f32_16x16x16_bf16 a[0:3], v[46:47], v[38:39], a[0:3]
	v_accvgpr_read_b32 v4, a4
	v_fma_f32 v26, v10, v54, v4
	v_accvgpr_read_b32 v4, a5
	v_mfma_f32_16x16x16_bf16 a[8:11], v[46:47], v[28:29], a[8:11]
	v_fma_f32 v27, v11, v55, v4
	v_accvgpr_read_b32 v4, a6
	v_accvgpr_read_b32 v29, a7
	s_waitcnt lgkmcnt(1)
	v_mfma_f32_16x16x16_bf16 a[0:3], v[50:51], v[40:41], a[0:3]
	v_fma_f32 v28, v12, v2, v4
	v_fmac_f32_e32 v29, v13, v3
	s_waitcnt vmcnt(0)
	v_mov_b32_e32 v2, v43
	v_mfma_f32_16x16x16_bf16 a[8:11], v[50:51], v[30:31], a[8:11]
	v_mov_b32_e32 v3, v44
	v_mov_b32_e32 v4, v45
	v_exp_f32_e32 v10, v42
	v_exp_f32_e32 v11, v2
	;; [unrolled: 1-line block ×4, first 2 shown]
	s_waitcnt lgkmcnt(0)
	v_mfma_f32_16x16x16_bf16 a[0:3], v[52:53], v[48:49], a[0:3]
	v_pk_mul_f32 v[10:11], v[0:1], v[10:11] op_sel_hi:[0,1]
	v_pk_mul_f32 v[2:3], v[0:1], v[2:3] op_sel_hi:[0,1]
	v_mfma_f32_16x16x16_bf16 a[4:7], v[52:53], v[32:33], a[8:11]
	s_nop 3
	v_accvgpr_read_b32 v0, a0
	v_fma_f32 v30, v14, v10, v0
	v_accvgpr_read_b32 v0, a1
	v_fma_f32 v31, v15, v11, v0
	v_accvgpr_read_b32 v13, a5
	v_accvgpr_read_b32 v5, a7
	;; [unrolled: 1-line block ×6, first 2 shown]
	v_pk_fma_f32 v[22:23], v[6:7], v[10:11], v[12:13]
	v_pk_fma_f32 v[24:25], v[8:9], v[2:3], v[4:5]
	v_fma_f32 v32, v16, v2, v0
	v_fmac_f32_e32 v33, v17, v3
	v_mov_b64_e32 v[2:3], v[18:19]
	v_mov_b64_e32 v[4:5], v[20:21]
	;; [unrolled: 1-line block ×8, first 2 shown]
.LBB390_86:
	s_mul_i32 s0, s47, s35
	s_mul_hi_u32 s1, s47, s34
	s_add_i32 s0, s1, s0
	s_mul_i32 s1, s33, s34
	s_add_i32 s1, s0, s1
	s_mul_i32 s0, s47, s34
	s_add_u32 s0, s0, s46
	s_addc_u32 s1, s1, s29
	s_lshl_b64 s[0:1], s[0:1], 16
	s_add_u32 s0, s12, s0
	v_lshlrev_b32_e32 v18, 7, v35
	s_addc_u32 s1, s13, s1
	v_ashrrev_i32_e32 v19, 31, v18
	v_lshl_add_u64 v[20:21], v[18:19], 2, s[0:1]
	v_lshlrev_b32_e32 v0, 2, v1
	v_mov_b32_e32 v1, 0
	v_lshl_add_u64 v[20:21], v[20:21], 0, v[0:1]
	global_store_dwordx4 v[20:21], v[2:5], off
	global_store_dwordx4 v[20:21], v[6:9], off offset:256
	s_nop 0
	v_or_b32_e32 v2, 0x800, v18
	v_ashrrev_i32_e32 v3, 31, v2
	v_lshl_add_u64 v[2:3], v[2:3], 2, s[0:1]
	v_lshl_add_u64 v[0:1], v[2:3], 0, v[0:1]
	global_store_dwordx4 v[0:1], v[10:13], off
	global_store_dwordx4 v[0:1], v[14:17], off offset:256
	s_endpgm
	.section	.rodata,"a",@progbits
	.p2align	6, 0x0
	.amdhsa_kernel _ZN12_GLOBAL__N_139chunk_gated_delta_rule_fwd_h_hip_kernelILi32ELb0ELb1ELb0ELb1ELb1ELb1ELb1ELb0EEEvPK12hip_bfloat16S3_S3_PKfS5_PKvPS1_S8_PvPKiSB_iiiiilll
		.amdhsa_group_segment_fixed_size 49152
		.amdhsa_private_segment_fixed_size 0
		.amdhsa_kernarg_size 136
		.amdhsa_user_sgpr_count 2
		.amdhsa_user_sgpr_dispatch_ptr 0
		.amdhsa_user_sgpr_queue_ptr 0
		.amdhsa_user_sgpr_kernarg_segment_ptr 1
		.amdhsa_user_sgpr_dispatch_id 0
		.amdhsa_user_sgpr_kernarg_preload_length 0
		.amdhsa_user_sgpr_kernarg_preload_offset 0
		.amdhsa_user_sgpr_private_segment_size 0
		.amdhsa_uses_dynamic_stack 0
		.amdhsa_enable_private_segment 0
		.amdhsa_system_sgpr_workgroup_id_x 1
		.amdhsa_system_sgpr_workgroup_id_y 1
		.amdhsa_system_sgpr_workgroup_id_z 0
		.amdhsa_system_sgpr_workgroup_info 0
		.amdhsa_system_vgpr_workitem_id 0
		.amdhsa_next_free_vgpr 160
		.amdhsa_next_free_sgpr 66
		.amdhsa_accum_offset 140
		.amdhsa_reserve_vcc 1
		.amdhsa_float_round_mode_32 0
		.amdhsa_float_round_mode_16_64 0
		.amdhsa_float_denorm_mode_32 3
		.amdhsa_float_denorm_mode_16_64 3
		.amdhsa_dx10_clamp 1
		.amdhsa_ieee_mode 1
		.amdhsa_fp16_overflow 0
		.amdhsa_tg_split 0
		.amdhsa_exception_fp_ieee_invalid_op 0
		.amdhsa_exception_fp_denorm_src 0
		.amdhsa_exception_fp_ieee_div_zero 0
		.amdhsa_exception_fp_ieee_overflow 0
		.amdhsa_exception_fp_ieee_underflow 0
		.amdhsa_exception_fp_ieee_inexact 0
		.amdhsa_exception_int_div_zero 0
	.end_amdhsa_kernel
	.section	.text._ZN12_GLOBAL__N_139chunk_gated_delta_rule_fwd_h_hip_kernelILi32ELb0ELb1ELb0ELb1ELb1ELb1ELb1ELb0EEEvPK12hip_bfloat16S3_S3_PKfS5_PKvPS1_S8_PvPKiSB_iiiiilll,"axG",@progbits,_ZN12_GLOBAL__N_139chunk_gated_delta_rule_fwd_h_hip_kernelILi32ELb0ELb1ELb0ELb1ELb1ELb1ELb1ELb0EEEvPK12hip_bfloat16S3_S3_PKfS5_PKvPS1_S8_PvPKiSB_iiiiilll,comdat
.Lfunc_end390:
	.size	_ZN12_GLOBAL__N_139chunk_gated_delta_rule_fwd_h_hip_kernelILi32ELb0ELb1ELb0ELb1ELb1ELb1ELb1ELb0EEEvPK12hip_bfloat16S3_S3_PKfS5_PKvPS1_S8_PvPKiSB_iiiiilll, .Lfunc_end390-_ZN12_GLOBAL__N_139chunk_gated_delta_rule_fwd_h_hip_kernelILi32ELb0ELb1ELb0ELb1ELb1ELb1ELb1ELb0EEEvPK12hip_bfloat16S3_S3_PKfS5_PKvPS1_S8_PvPKiSB_iiiiilll
                                        ; -- End function
	.section	.AMDGPU.csdata,"",@progbits
; Kernel info:
; codeLenInByte = 9564
; NumSgprs: 72
; NumVgprs: 140
; NumAgprs: 20
; TotalNumVgprs: 160
; ScratchSize: 0
; MemoryBound: 0
; FloatMode: 240
; IeeeMode: 1
; LDSByteSize: 49152 bytes/workgroup (compile time only)
; SGPRBlocks: 8
; VGPRBlocks: 19
; NumSGPRsForWavesPerEU: 72
; NumVGPRsForWavesPerEU: 160
; AccumOffset: 140
; Occupancy: 1
; WaveLimiterHint : 1
; COMPUTE_PGM_RSRC2:SCRATCH_EN: 0
; COMPUTE_PGM_RSRC2:USER_SGPR: 2
; COMPUTE_PGM_RSRC2:TRAP_HANDLER: 0
; COMPUTE_PGM_RSRC2:TGID_X_EN: 1
; COMPUTE_PGM_RSRC2:TGID_Y_EN: 1
; COMPUTE_PGM_RSRC2:TGID_Z_EN: 0
; COMPUTE_PGM_RSRC2:TIDIG_COMP_CNT: 0
; COMPUTE_PGM_RSRC3_GFX90A:ACCUM_OFFSET: 34
; COMPUTE_PGM_RSRC3_GFX90A:TG_SPLIT: 0
	.section	.text._ZN12_GLOBAL__N_139chunk_gated_delta_rule_fwd_h_hip_kernelILi32ELb0ELb0ELb1ELb1ELb1ELb1ELb1ELb0EEEvPK12hip_bfloat16S3_S3_PKfS5_PKvPS1_S8_PvPKiSB_iiiiilll,"axG",@progbits,_ZN12_GLOBAL__N_139chunk_gated_delta_rule_fwd_h_hip_kernelILi32ELb0ELb0ELb1ELb1ELb1ELb1ELb1ELb0EEEvPK12hip_bfloat16S3_S3_PKfS5_PKvPS1_S8_PvPKiSB_iiiiilll,comdat
	.globl	_ZN12_GLOBAL__N_139chunk_gated_delta_rule_fwd_h_hip_kernelILi32ELb0ELb0ELb1ELb1ELb1ELb1ELb1ELb0EEEvPK12hip_bfloat16S3_S3_PKfS5_PKvPS1_S8_PvPKiSB_iiiiilll ; -- Begin function _ZN12_GLOBAL__N_139chunk_gated_delta_rule_fwd_h_hip_kernelILi32ELb0ELb0ELb1ELb1ELb1ELb1ELb1ELb0EEEvPK12hip_bfloat16S3_S3_PKfS5_PKvPS1_S8_PvPKiSB_iiiiilll
	.p2align	8
	.type	_ZN12_GLOBAL__N_139chunk_gated_delta_rule_fwd_h_hip_kernelILi32ELb0ELb0ELb1ELb1ELb1ELb1ELb1ELb0EEEvPK12hip_bfloat16S3_S3_PKfS5_PKvPS1_S8_PvPKiSB_iiiiilll,@function
_ZN12_GLOBAL__N_139chunk_gated_delta_rule_fwd_h_hip_kernelILi32ELb0ELb0ELb1ELb1ELb1ELb1ELb1ELb0EEEvPK12hip_bfloat16S3_S3_PKfS5_PKvPS1_S8_PvPKiSB_iiiiilll: ; @_ZN12_GLOBAL__N_139chunk_gated_delta_rule_fwd_h_hip_kernelILi32ELb0ELb0ELb1ELb1ELb1ELb1ELb1ELb0EEEvPK12hip_bfloat16S3_S3_PKfS5_PKvPS1_S8_PvPKiSB_iiiiilll
; %bb.0:
	s_load_dwordx4 s[16:19], s[0:1], 0x5c
	s_load_dwordx4 s[20:23], s[0:1], 0x70
	s_abs_i32 s25, s3
	s_ashr_i32 s24, s3, 31
	s_load_dwordx4 s[12:15], s[0:1], 0x30
	s_load_dwordx4 s[28:31], s[0:1], 0x48
	s_waitcnt lgkmcnt(0)
	s_abs_i32 s34, s17
	v_cvt_f32_u32_e32 v1, s34
	s_sub_i32 s26, 0, s34
	s_ashr_i32 s35, s17, 31
	s_xor_b32 s24, s24, s35
	v_rcp_iflag_f32_e32 v1, v1
	s_load_dwordx8 s[4:11], s[0:1], 0x0
	v_lshrrev_b32_e32 v63, 6, v0
	v_bfe_u32 v64, v0, 4, 2
	v_mul_f32_e32 v1, 0x4f7ffffe, v1
	v_cvt_u32_f32_e32 v1, v1
	v_lshlrev_b32_e32 v2, 2, v64
	v_and_b32_e32 v62, 63, v0
	v_mov_b32_e32 v5, 0
	v_readfirstlane_b32 s27, v1
	s_mul_i32 s26, s26, s27
	s_mul_hi_u32 s26, s27, s26
	s_add_i32 s27, s27, s26
	s_mul_hi_u32 s26, s25, s27
	s_mul_i32 s27, s26, s34
	s_sub_i32 s25, s25, s27
	s_add_i32 s33, s26, 1
	s_sub_i32 s27, s25, s34
	s_cmp_ge_u32 s25, s34
	s_cselect_b32 s26, s33, s26
	s_cselect_b32 s25, s27, s25
	s_add_i32 s27, s26, 1
	s_cmp_ge_u32 s25, s34
	s_cselect_b32 s25, s27, s26
	s_xor_b32 s25, s25, s24
	s_sub_i32 s24, s25, s24
	s_mul_i32 s25, s24, s17
	s_sub_i32 s33, s3, s25
	s_ashr_i32 s25, s24, 31
	s_lshl_b64 s[26:27], s[24:25], 2
	s_add_u32 s28, s28, s26
	s_addc_u32 s29, s29, s27
	s_add_u32 s26, s30, s26
	s_addc_u32 s27, s31, s27
	s_abs_i32 s3, s18
	v_cvt_f32_u32_e32 v1, s3
	s_load_dwordx2 s[38:39], s[28:29], 0x0
	s_sub_i32 s29, 0, s3
	s_load_dword s48, s[26:27], 0x0
	v_rcp_iflag_f32_e32 v1, v1
	v_and_b32_e32 v45, 15, v0
	s_waitcnt lgkmcnt(0)
	s_sub_i32 s49, s39, s38
	s_ashr_i32 s28, s49, 31
	v_mul_f32_e32 v1, 0x4f7ffffe, v1
	v_cvt_u32_f32_e32 v1, v1
	s_lshr_b32 s28, s28, 26
	s_add_i32 s28, s49, s28
	s_ashr_i32 s47, s28, 6
	v_readfirstlane_b32 s30, v1
	s_mul_i32 s29, s29, s30
	s_mul_hi_u32 s29, s30, s29
	s_add_i32 s30, s30, s29
	s_mul_hi_u32 s29, s34, s30
	s_mul_i32 s30, s29, s3
	s_ashr_i32 s28, s18, 31
	s_sub_i32 s30, s34, s30
	s_xor_b32 s28, s35, s28
	s_add_i32 s31, s29, 1
	s_sub_i32 s34, s30, s3
	s_cmp_ge_u32 s30, s3
	s_cselect_b32 s29, s31, s29
	s_cselect_b32 s30, s34, s30
	s_add_i32 s31, s29, 1
	s_cmp_ge_u32 s30, s3
	s_cselect_b32 s3, s31, s29
	s_xor_b32 s3, s3, s28
	s_sub_i32 s3, s3, s28
	s_abs_i32 s28, s3
	v_cvt_f32_u32_e32 v1, s28
	s_sub_i32 s27, 0, s28
	s_abs_i32 s26, s33
	s_xor_b32 s3, s33, s3
	v_rcp_iflag_f32_e32 v1, v1
	s_ashr_i32 s3, s3, 31
	s_load_dwordx2 s[34:35], s[0:1], 0x80
	s_mul_hi_i32 s50, s33, s16
	v_mul_f32_e32 v1, 0x4f7ffffe, v1
	v_cvt_u32_f32_e32 v1, v1
	s_mul_i32 s51, s33, s16
	v_lshrrev_b32_e32 v66, 3, v62
	v_lshlrev_b32_e32 v65, 3, v0
	v_readfirstlane_b32 s29, v1
	s_mul_i32 s27, s27, s29
	s_mul_hi_u32 s27, s29, s27
	s_add_i32 s29, s29, s27
	s_mul_hi_u32 s27, s26, s29
	s_mul_i32 s29, s27, s28
	s_sub_i32 s26, s26, s29
	s_add_i32 s29, s27, 1
	s_sub_i32 s30, s26, s28
	s_cmp_ge_u32 s26, s28
	s_cselect_b32 s27, s29, s27
	s_cselect_b32 s26, s30, s26
	s_add_i32 s29, s27, 1
	s_cmp_ge_u32 s26, s28
	s_cselect_b32 s26, s29, s27
	s_xor_b32 s26, s26, s3
	v_lshlrev_b32_e32 v1, 4, v63
	s_sub_i32 s52, s26, s3
	v_or_b32_e32 v67, v2, v1
	s_lshl_b32 s36, s2, 5
	v_or_b32_e32 v68, 64, v67
	s_cmp_lt_i32 s49, 64
	s_mul_i32 s44, s24, s21
	s_mul_hi_u32 s45, s24, s20
	s_mul_i32 s46, s25, s20
	s_mul_i32 s20, s24, s20
	v_mov_b32_e32 v86, 0
	v_mov_b32_e32 v84, 0
	;; [unrolled: 1-line block ×15, first 2 shown]
	s_cbranch_scc1 .LBB391_18
; %bb.1:
	s_ashr_i32 s55, s33, 31
	s_ashr_i32 s3, s38, 31
	s_add_u32 s2, s51, s38
	s_addc_u32 s3, s50, s3
	s_lshl_b64 s[2:3], s[2:3], 8
	v_and_b32_e32 v70, 56, v65
	s_add_u32 s24, s6, s2
	v_lshl_or_b32 v69, v63, 3, v66
	v_lshlrev_b32_e32 v3, 1, v70
	s_addc_u32 s2, s7, s3
	v_lshl_or_b32 v71, v69, 8, v3
	s_and_b32 s25, s2, 0xffff
	s_mov_b32 s27, 0x20000
	s_movk_i32 s26, 0x4000
	s_movk_i32 s2, 0x80
	v_or_b32_e32 v72, 0x2000, v71
	buffer_load_dwordx4 v[4:7], v71, s[24:27], 0 offen
	buffer_load_dwordx4 v[8:11], v71, s[24:27], s2 offen
	;; [unrolled: 1-line block ×4, first 2 shown]
	v_lshlrev_b32_e32 v20, 3, v69
	v_and_or_b32 v22, v0, 7, v20
	v_and_b32_e32 v20, 0x78, v20
	v_lshlrev_b32_e32 v22, 4, v22
	v_xor_b32_e32 v73, v22, v20
	v_mul_lo_u32 v21, v69, s19
	v_or_b32_e32 v74, 0x1000, v73
	s_cmpk_eq_i32 s19, 0x80
	s_mov_b32 s53, s17
	s_mov_b32 s54, s38
	v_xor_b32_e32 v20, 8, v73
	v_xor_b32_e32 v22, 8, v74
	s_cselect_b64 s[2:3], -1, 0
	s_cmpk_lg_i32 s19, 0x80
	s_waitcnt vmcnt(3)
	ds_write_b64 v73, v[4:5] offset:24576
	ds_write_b64 v20, v[6:7] offset:24576
	s_waitcnt vmcnt(2)
	ds_write_b64 v73, v[8:9] offset:32768
	ds_write_b64 v20, v[10:11] offset:32768
	;; [unrolled: 3-line block ×4, first 2 shown]
	v_lshl_add_u32 v4, v21, 1, v70
	s_cbranch_scc0 .LBB391_3
; %bb.2:
	v_lshlrev_b32_e32 v6, 1, v4
	v_add_lshl_u32 v5, v4, s19, 1
	s_lshl_b32 s26, s19, 7
	s_load_dwordx2 s[40:41], s[0:1], 0x20
	v_lshl_or_b32 v3, v69, 9, v3
	s_cbranch_execz .LBB391_4
	s_branch .LBB391_5
.LBB391_3:
                                        ; implicit-def: $vgpr5
                                        ; implicit-def: $vgpr6
                                        ; implicit-def: $sgpr26
	s_load_dwordx2 s[40:41], s[0:1], 0x20
	v_lshl_or_b32 v3, v69, 9, v3
.LBB391_4:
	v_or_b32_e32 v5, 0x100, v3
	s_movk_i32 s26, 0x4000
	v_mov_b32_e32 v6, v3
.LBB391_5:
	s_mul_i32 s0, s38, s18
	s_ashr_i32 s56, s52, 31
	s_mul_hi_i32 s1, s38, s18
	s_add_u32 s0, s0, s52
	s_addc_u32 s1, s1, s56
	s_lshl_b64 s[0:1], s[0:1], 8
	s_add_u32 s24, s4, s0
	s_addc_u32 s0, s5, s1
	s_and_b32 s25, s0, 0xffff
	s_movk_i32 s57, 0x80
	buffer_load_dwordx4 v[8:11], v6, s[24:27], 0 offen
	buffer_load_dwordx4 v[12:15], v6, s[24:27], s57 offen
	;; [unrolled: 1-line block ×4, first 2 shown]
	v_and_b32_e32 v5, 6, v0
	v_lshlrev_b32_e32 v24, 6, v67
	v_or_b32_e32 v26, 16, v45
	v_xor_b32_e32 v27, v69, v5
	v_and_b32_e32 v6, 1, v0
	v_lshl_or_b32 v30, v45, 3, v24
	v_lshl_or_b32 v24, v26, 3, v24
	v_lshlrev_b32_e32 v27, 2, v27
	v_lshlrev_b32_e32 v7, 2, v45
	s_mul_i32 s0, s33, s23
	s_mul_hi_u32 s1, s33, s22
	v_or_b32_e32 v77, 0xa000, v24
	v_or_b32_e32 v78, 0xb000, v24
	v_xor_b32_e32 v24, 0x440, v27
	v_cmp_eq_u32_e32 vcc, 0, v6
	s_add_i32 s21, s45, s44
	s_mul_i32 s24, s55, s22
	v_xor_b32_e32 v28, v67, v7
	v_xor_b32_e32 v29, v68, v7
	v_cndmask_b32_e32 v6, v24, v27, vcc
	s_add_i32 s0, s1, s0
	s_add_i32 s21, s21, s46
	s_mov_b32 s58, 0x1000504
	v_lshlrev_b32_e32 v25, 8, v45
	v_lshlrev_b32_e32 v26, 8, v26
	;; [unrolled: 1-line block ×4, first 2 shown]
	v_lshl_or_b32 v5, v5, 10, v6
	s_add_i32 s1, s0, s24
	s_lshl_b64 s[24:25], s[20:21], 2
	s_mov_b32 s59, 0x3020706
	v_or_b32_e32 v75, 0xa000, v30
	v_or_b32_e32 v76, 0xb000, v30
	;; [unrolled: 1-line block ×5, first 2 shown]
	v_xor_b32_e32 v6, 8, v5
	v_xor_b32_e32 v25, 24, v5
	v_xor_b32_e32 v27, 40, v5
	v_xor_b32_e32 v29, 56, v5
	s_mul_i32 s0, s33, s22
	s_add_u32 s21, s10, s24
	v_or_b32_e32 v81, v26, v28
	v_xor_b32_e32 v24, 16, v5
	v_xor_b32_e32 v26, 32, v5
	;; [unrolled: 1-line block ×3, first 2 shown]
	v_add_u32_e32 v6, 0x80, v6
	v_add_u32_e32 v25, 0x80, v25
	;; [unrolled: 1-line block ×4, first 2 shown]
	s_addc_u32 s24, s11, s25
	s_lshl_b64 s[0:1], s[0:1], 2
	s_add_u32 s42, s21, s0
	s_movk_i32 s0, 0xf8
	s_addc_u32 s43, s24, s1
	s_ashr_i32 s37, s36, 31
	s_lshl_b32 s30, s19, 7
	s_movk_i32 s24, 0x100
	v_mov_b32_e32 v51, 0
	v_lshlrev_b32_e32 v50, 4, v45
	v_cmp_gt_u32_e32 vcc, s24, v0
	s_mov_b32 s60, 0
	s_movk_i32 s21, 0x1000
	s_movk_i32 s26, 0x4000
	v_add_u32_e32 v102, v1, v2
	v_mov_b32_e32 v52, v51
	v_mov_b32_e32 v53, v51
	;; [unrolled: 1-line block ×13, first 2 shown]
	s_waitcnt vmcnt(1)
	v_perm_b32 v30, v8, v16, s58
	s_waitcnt vmcnt(0)
	v_perm_b32 v31, v12, v20, s58
	v_perm_b32 v8, v8, v16, s59
	v_perm_b32 v12, v12, v20, s59
	v_perm_b32 v16, v9, v17, s58
	v_perm_b32 v20, v13, v21, s58
	v_perm_b32 v9, v9, v17, s59
	v_perm_b32 v13, v13, v21, s59
	v_perm_b32 v17, v10, v18, s58
	v_perm_b32 v21, v14, v22, s58
	v_perm_b32 v10, v10, v18, s59
	v_perm_b32 v14, v14, v22, s59
	v_perm_b32 v18, v11, v19, s58
	v_perm_b32 v22, v15, v23, s58
	v_perm_b32 v11, v11, v19, s59
	v_perm_b32 v15, v15, v23, s59
	ds_write2st64_b32 v5, v30, v31 offset0:32 offset1:64
	ds_write2st64_b32 v6, v8, v12 offset0:32 offset1:64
	;; [unrolled: 1-line block ×8, first 2 shown]
	v_or_b32_e32 v5, v1, v45
	v_lshlrev_b32_e32 v5, 3, v5
	v_lshrrev_b32_e32 v8, 5, v62
	v_and_or_b32 v8, v5, s0, v8
	v_lshrrev_b32_e32 v6, 2, v62
	v_lshlrev_b32_e32 v11, 11, v63
	v_lshlrev_b32_e32 v8, 4, v8
	v_and_b32_e32 v5, 0x78, v5
	v_and_b32_e32 v9, 12, v6
	;; [unrolled: 1-line block ×3, first 2 shown]
	v_xor_b32_e32 v10, v8, v5
	v_lshrrev_b32_e32 v12, 1, v62
	v_or_b32_e32 v10, v10, v6
	v_and_b32_e32 v12, 8, v12
	v_xor_b32_e32 v83, v10, v12
	v_or_b32_e32 v10, 32, v8
	v_xor_b32_e32 v10, v10, v5
	v_or_b32_e32 v10, v10, v6
	;; [unrolled: 2-line block ×3, first 2 shown]
	v_or_b32_e32 v8, 0x60, v8
	v_xor_b32_e32 v10, v10, v5
	v_xor_b32_e32 v5, v8, v5
	s_lshl_b64 s[0:1], s[36:37], 8
	v_or_b32_e32 v10, v10, v6
	v_or_b32_e32 v5, v5, v6
	v_lshlrev_b32_e32 v14, 1, v4
	v_add_lshl_u32 v15, v4, s19, 1
	s_add_u32 s0, s12, s0
	v_lshlrev_b32_e32 v4, 1, v45
	v_xor_b32_e32 v93, v10, v12
	v_xor_b32_e32 v94, v5, v12
	v_lshrrev_b32_e32 v10, 4, v0
	s_addc_u32 s1, s13, s1
	v_or_b32_e32 v5, 1, v4
	v_mov_b32_e32 v20, 0x4000
	v_mov_b32_e32 v21, 0x2000
	v_lshrrev_b32_e32 v22, 1, v0
	v_xor_b32_e32 v12, v10, v4
	v_xor_b32_e32 v17, v5, v10
	v_lshl_add_u64 v[4:5], s[0:1], 0, v[50:51]
	v_lshlrev_b32_e32 v50, 8, v10
	v_cndmask_b32_e32 v20, v20, v21, vcc
	v_lshlrev_b32_e32 v21, 3, v63
	v_and_b32_e32 v22, 24, v22
	v_lshl_or_b32 v97, v12, 3, v50
	v_and_b32_e32 v12, 8, v0
	v_xor_b32_e32 v23, v21, v22
	v_or_b32_e32 v24, 0x440, v23
	v_cmp_eq_u32_e32 vcc, 0, v12
	v_and_b32_e32 v10, 7, v0
	v_lshlrev_b32_e32 v13, 7, v64
	v_cndmask_b32_e32 v12, v24, v23, vcc
	v_lshl_or_b32 v98, v17, 3, v50
	v_lshlrev_b32_e32 v17, 3, v10
	v_lshlrev_b32_e32 v19, 2, v0
	v_or_b32_e32 v12, v12, v11
	v_or_b32_e32 v7, v13, v7
	v_xor_b32_e32 v23, v12, v17
	v_and_or_b32 v12, v19, 60, v13
	v_mov_b32_e32 v13, 0xb000
	v_lshl_or_b32 v99, v12, 1, v13
	v_or_b32_e32 v12, 32, v22
	v_xor_b32_e32 v12, v21, v12
	v_or_b32_e32 v13, 0x440, v12
	v_cndmask_b32_e32 v12, v13, v12, vcc
	v_or_b32_e32 v12, v12, v11
	v_xor_b32_e32 v13, v12, v17
	v_or_b32_e32 v12, 64, v22
	v_xor_b32_e32 v12, v21, v12
	v_xor_b32_e32 v25, 0x440, v12
	v_cndmask_b32_e32 v12, v25, v12, vcc
	v_or_b32_e32 v12, v12, v11
	v_xor_b32_e32 v25, v12, v17
	v_or_b32_e32 v12, 0x60, v22
	v_xor_b32_e32 v12, v21, v12
	v_xor_b32_e32 v21, 0x440, v12
	v_cndmask_b32_e32 v12, v21, v12, vcc
	v_lshlrev_b32_e32 v7, 1, v7
	v_or_b32_e32 v6, s36, v45
	v_or_b32_e32 v11, v12, v11
	;; [unrolled: 1-line block ×6, first 2 shown]
	v_ashrrev_i32_e32 v7, 31, v6
	v_xor_b32_e32 v11, v11, v17
	v_lshlrev_b32_e32 v8, 7, v67
	v_or_b32_e32 v16, 0x100, v3
	v_lshlrev_b32_e32 v18, 7, v10
	v_or_b32_e32 v10, v9, v1
	v_add_u32_e32 v24, v20, v23
	v_add_u32_e32 v19, v20, v13
	;; [unrolled: 1-line block ×4, first 2 shown]
	v_or3_b32 v12, v1, v9, 64
	v_add_u32_e32 v9, 0x4000, v23
	v_add_u32_e32 v13, 0x4000, v13
	;; [unrolled: 1-line block ×4, first 2 shown]
	v_lshlrev_b64 v[6:7], 1, v[6:7]
	v_cndmask_b32_e64 v100, v14, v3, s[2:3]
	v_cndmask_b32_e64 v101, v15, v16, s[2:3]
	v_lshl_add_u64 v[56:57], s[8:9], 0, v[6:7]
	v_lshl_add_u64 v[58:59], s[14:15], 0, v[6:7]
	;; [unrolled: 1-line block ×3, first 2 shown]
	s_mov_b32 s37, 0x7060302
	v_lshlrev_b32_e32 v50, 1, v8
	v_lshlrev_b32_e32 v103, 2, v10
	v_add_u32_e32 v104, v24, v18
	v_add_u32_e32 v105, v19, v18
	;; [unrolled: 1-line block ×4, first 2 shown]
	v_lshlrev_b32_e32 v108, 2, v12
	v_add_u32_e32 v109, v9, v18
	v_add_u32_e32 v110, v13, v18
	;; [unrolled: 1-line block ×4, first 2 shown]
	v_mov_b32_e32 v84, v51
	v_mov_b32_e32 v86, v51
	;; [unrolled: 1-line block ×3, first 2 shown]
	s_waitcnt lgkmcnt(0)
	s_barrier
.LBB391_6:                              ; =>This Inner Loop Header: Depth=1
	s_add_i32 s61, s60, 1
	s_cmp_lt_i32 s61, s47
	s_mov_b64 s[28:29], 0
	s_cselect_b64 s[2:3], -1, 0
	s_cmp_ge_i32 s61, s47
	s_mov_b64 s[24:25], 0
	s_cbranch_scc1 .LBB391_8
; %bb.7:                                ;   in Loop: Header=BB391_6 Depth=1
	s_add_i32 s0, s54, 64
	s_ashr_i32 s1, s0, 31
	s_add_u32 s0, s51, s0
	s_addc_u32 s1, s50, s1
	s_lshl_b64 s[0:1], s[0:1], 8
	s_add_u32 s24, s6, s0
	s_addc_u32 s25, s7, s1
.LBB391_8:                              ;   in Loop: Header=BB391_6 Depth=1
	v_cndmask_b32_e64 v2, 0, 1, s[2:3]
	v_cmp_ne_u32_e64 s[0:1], 1, v2
	s_andn2_b64 vcc, exec, s[2:3]
	s_cbranch_vccnz .LBB391_10
; %bb.9:                                ;   in Loop: Header=BB391_6 Depth=1
	s_add_i32 s2, s54, 64
	s_mul_hi_i32 s3, s2, s18
	s_mul_i32 s2, s2, s18
	s_add_u32 s2, s2, s52
	s_addc_u32 s3, s3, s56
	s_lshl_b64 s[2:3], s[2:3], 8
	s_add_u32 s28, s4, s2
	s_addc_u32 s29, s5, s3
.LBB391_10:                             ;   in Loop: Header=BB391_6 Depth=1
	v_perm_b32 v3, v55, v54, s37
	v_perm_b32 v2, v53, v52, s37
	;; [unrolled: 1-line block ×4, first 2 shown]
	ds_write_b64 v75, v[2:3]
	ds_write_b64 v76, v[4:5]
	;; [unrolled: 1-line block ×4, first 2 shown]
	v_perm_b32 v3, v114, v90, s37
	v_perm_b32 v2, v88, v89, s37
	;; [unrolled: 1-line block ×4, first 2 shown]
	ds_write_b64 v77, v[2:3]
	ds_write_b64 v78, v[4:5]
	;; [unrolled: 1-line block ×4, first 2 shown]
	s_waitcnt lgkmcnt(0)
	s_barrier
	ds_read_b64 v[6:7], v83 offset:24576
	ds_read2_b64 v[2:5], v87 offset1:16
	ds_read_b64 v[10:11], v92 offset:3072
	ds_read_b64 v[12:13], v87 offset:3072
	;; [unrolled: 1-line block ×3, first 2 shown]
	s_waitcnt lgkmcnt(3)
	v_mfma_f32_16x16x16_bf16 a[0:3], v[6:7], v[2:3], 0
	s_add_i32 s62, s54, 63
	s_ashr_i32 s2, s62, 31
	s_mul_i32 s3, s62, s35
	v_mfma_f32_16x16x16_bf16 a[4:7], v[6:7], v[4:5], 0
	ds_read2st64_b64 v[2:5], v87 offset0:2 offset1:4
	s_mul_hi_u32 s31, s62, s34
	s_add_i32 s3, s31, s3
	s_waitcnt lgkmcnt(0)
	v_mfma_f32_16x16x16_bf16 a[0:3], v[14:15], v[2:3], a[0:3]
	ds_read2st64_b64 v[6:9], v92 offset0:2 offset1:4
	ds_read_b64 v[2:3], v93 offset:24576
	s_mul_i32 s2, s2, s34
	s_add_i32 s3, s3, s2
	s_waitcnt lgkmcnt(1)
	v_mfma_f32_16x16x16_bf16 a[4:7], v[14:15], v[6:7], a[4:7]
	ds_read_b64 v[6:7], v94 offset:24576
	s_mul_i32 s2, s62, s34
	s_lshl_b64 s[2:3], s[2:3], 2
	s_waitcnt lgkmcnt(1)
	v_mfma_f32_16x16x16_bf16 a[0:3], v[2:3], v[4:5], a[0:3]
	s_add_u32 s2, s42, s2
	s_addc_u32 s3, s43, s3
	s_and_b64 vcc, exec, s[0:1]
	v_mfma_f32_16x16x16_bf16 a[8:11], v[2:3], v[8:9], a[4:7]
	v_mov_b32_e32 v117, 0
	v_mov_b32_e32 v116, 0
	;; [unrolled: 1-line block ×3, first 2 shown]
	s_waitcnt lgkmcnt(0)
	v_mfma_f32_16x16x16_bf16 a[4:7], v[6:7], v[12:13], a[0:3]
	v_mov_b32_e32 v2, 0
	v_mov_b32_e32 v3, 0
	;; [unrolled: 1-line block ×3, first 2 shown]
	v_mfma_f32_16x16x16_bf16 a[0:3], v[6:7], v[10:11], a[8:11]
	v_mov_b32_e32 v5, 0
	v_mov_b32_e32 v6, 0
	;; [unrolled: 1-line block ×13, first 2 shown]
	s_cbranch_vccnz .LBB391_12
; %bb.11:                               ;   in Loop: Header=BB391_6 Depth=1
	s_and_b32 s25, s25, 0xffff
	buffer_load_dwordx4 v[14:17], v71, s[24:27], 0 offen
	buffer_load_dwordx4 v[10:13], v71, s[24:27], s57 offen
	;; [unrolled: 1-line block ×4, first 2 shown]
	v_mov_b32_e32 v116, v73
	v_mov_b32_e32 v115, v74
.LBB391_12:                             ;   in Loop: Header=BB391_6 Depth=1
	ds_read_b64 v[26:27], v83 offset:32768
	ds_read2_b64 v[18:21], v95 offset1:16
	ds_read_b64 v[28:29], v91 offset:32768
	ds_read_b64 v[30:31], v93 offset:32768
	;; [unrolled: 1-line block ×3, first 2 shown]
	ds_read2st64_b64 v[22:25], v95 offset0:2 offset1:4
	v_add_u32_e32 v34, s54, v102
	s_waitcnt lgkmcnt(4)
	v_mfma_f32_16x16x16_bf16 a[4:7], v[26:27], v[18:19], a[4:7]
	v_ashrrev_i32_e32 v18, 31, v34
	v_mov_b32_e32 v118, 0
	v_mfma_f32_16x16x16_bf16 a[0:3], v[26:27], v[20:21], a[0:3]
	v_mul_lo_u32 v20, v34, s35
	v_mul_lo_u32 v21, v18, s34
	v_mad_u64_u32 v[18:19], s[24:25], v34, s34, 0
	v_add3_u32 v19, v19, v20, v21
	v_add_u32_e32 v20, 1, v34
	v_ashrrev_i32_e32 v21, 31, v20
	s_waitcnt lgkmcnt(0)
	v_mfma_f32_16x16x16_bf16 a[4:7], v[28:29], v[22:23], a[4:7]
	v_mul_lo_u32 v22, v21, s34
	v_mul_lo_u32 v23, v20, s35
	v_mad_u64_u32 v[20:21], s[24:25], v20, s34, 0
	v_add3_u32 v21, v21, v23, v22
	v_add_u32_e32 v22, 2, v34
	v_ashrrev_i32_e32 v23, 31, v22
	v_mul_lo_u32 v26, v23, s34
	v_mul_lo_u32 v27, v22, s35
	v_mad_u64_u32 v[22:23], s[24:25], v22, s34, 0
	v_add3_u32 v23, v23, v27, v26
	v_add_u32_e32 v26, 3, v34
	v_ashrrev_i32_e32 v27, 31, v26
	v_mul_lo_u32 v34, v27, s34
	v_mul_lo_u32 v35, v26, s35
	v_mad_u64_u32 v[26:27], s[24:25], v26, s34, 0
	s_ashr_i32 s25, s54, 31
	v_add3_u32 v27, v27, v35, v34
	s_add_u32 s24, s51, s54
	v_lshl_add_u64 v[18:19], v[18:19], 2, s[42:43]
	v_lshl_add_u64 v[26:27], v[26:27], 2, s[42:43]
	s_addc_u32 s25, s50, s25
	v_lshl_add_u64 v[20:21], v[20:21], 2, s[42:43]
	v_lshl_add_u64 v[22:23], v[22:23], 2, s[42:43]
	global_load_dword v34, v[18:19], off
	global_load_dword v35, v[20:21], off
	;; [unrolled: 1-line block ×3, first 2 shown]
	s_nop 0
	global_load_dword v27, v[26:27], off
	s_lshl_b64 s[24:25], s[24:25], 8
	v_lshl_add_u64 v[18:19], v[56:57], 0, s[24:25]
	v_lshl_add_u64 v[22:23], v[18:19], 0, v[50:51]
	global_load_ushort v37, v[22:23], off offset:256
	global_load_ushort v38, v[22:23], off
	global_load_ushort v39, v[22:23], off offset:768
	global_load_ushort v40, v[22:23], off offset:512
	ds_read2st64_b64 v[18:21], v96 offset0:2 offset1:4
	global_load_ushort v41, v[22:23], off offset:800
	global_load_ushort v42, v[22:23], off offset:544
	;; [unrolled: 1-line block ×4, first 2 shown]
	s_waitcnt lgkmcnt(0)
	v_mfma_f32_16x16x16_bf16 a[0:3], v[28:29], v[18:19], a[0:3]
	s_and_b64 vcc, exec, s[0:1]
	s_waitcnt vmcnt(7)
	v_lshlrev_b32_e32 v29, 16, v37
	v_mfma_f32_16x16x16_bf16 a[4:7], v[30:31], v[24:25], a[4:7]
	s_waitcnt vmcnt(6)
	v_lshlrev_b32_e32 v28, 16, v38
	v_mfma_f32_16x16x16_bf16 a[0:3], v[30:31], v[20:21], a[0:3]
	ds_read_b64 v[18:19], v95 offset:3072
	ds_read_b64 v[20:21], v96 offset:3072
	s_load_dword s2, s[2:3], 0x0
	s_waitcnt vmcnt(5)
	v_lshlrev_b32_e32 v31, 16, v39
	s_waitcnt lgkmcnt(0)
	v_mfma_f32_16x16x16_bf16 a[4:7], v[32:33], v[18:19], a[4:7]
	v_lshl_add_u64 v[18:19], v[58:59], 0, s[24:25]
	v_sub_f32_e32 v26, s2, v34
	v_sub_f32_e32 v30, s2, v35
	v_mfma_f32_16x16x16_bf16 a[0:3], v[32:33], v[20:21], a[0:3]
	v_sub_f32_e32 v32, s2, v36
	v_sub_f32_e32 v33, s2, v27
	v_exp_f32_e32 v26, v26
	v_exp_f32_e32 v27, v30
	;; [unrolled: 1-line block ×4, first 2 shown]
	v_accvgpr_read_b32 v25, a5
	v_accvgpr_read_b32 v21, a7
	;; [unrolled: 1-line block ×4, first 2 shown]
	s_waitcnt vmcnt(4)
	v_lshlrev_b32_e32 v30, 16, v40
	v_lshl_add_u64 v[18:19], v[18:19], 0, v[50:51]
	v_pk_add_f32 v[24:25], v[28:29], v[24:25] neg_lo:[0,1] neg_hi:[0,1]
	v_pk_add_f32 v[20:21], v[30:31], v[20:21] neg_lo:[0,1] neg_hi:[0,1]
	global_store_short_d16_hi v[18:19], v24, off
	global_store_short_d16_hi v[18:19], v25, off offset:256
	global_store_short_d16_hi v[18:19], v20, off offset:512
	;; [unrolled: 1-line block ×3, first 2 shown]
	v_pk_mul_f32 v[24:25], v[26:27], v[24:25]
	v_pk_mul_f32 v[20:21], v[32:33], v[20:21]
	v_accvgpr_read_b32 v29, a1
	v_perm_b32 v24, v25, v24, s37
	v_perm_b32 v25, v21, v20, s37
	s_waitcnt vmcnt(5)
	v_lshlrev_b32_e32 v21, 16, v43
	s_waitcnt vmcnt(4)
	v_lshlrev_b32_e32 v20, 16, v44
	v_accvgpr_read_b32 v28, a0
	v_accvgpr_read_b32 v23, a3
	;; [unrolled: 1-line block ×3, first 2 shown]
	v_pk_add_f32 v[20:21], v[20:21], v[28:29] neg_lo:[0,1] neg_hi:[0,1]
	v_lshlrev_b32_e32 v29, 16, v41
	v_lshlrev_b32_e32 v28, 16, v42
	v_pk_add_f32 v[22:23], v[28:29], v[22:23] neg_lo:[0,1] neg_hi:[0,1]
	global_store_short_d16_hi v[18:19], v20, off offset:32
	global_store_short_d16_hi v[18:19], v21, off offset:288
	;; [unrolled: 1-line block ×4, first 2 shown]
	v_pk_mul_f32 v[18:19], v[26:27], v[20:21]
	v_pk_mul_f32 v[20:21], v[32:33], v[22:23]
	v_mov_b32_e32 v22, 0
	v_perm_b32 v21, v21, v20, s37
	v_perm_b32 v20, v19, v18, s37
	ds_write2_b64 v76, v[24:25], v[20:21] offset1:16
	v_mov_b32_e32 v18, 0
	v_mov_b32_e32 v19, 0
	;; [unrolled: 1-line block ×15, first 2 shown]
	s_cbranch_vccnz .LBB391_14
; %bb.13:                               ;   in Loop: Header=BB391_6 Depth=1
	s_and_b32 s29, s29, 0xffff
	s_mov_b32 s31, s27
	buffer_load_dwordx4 v[30:33], v100, s[28:31], 0 offen
	buffer_load_dwordx4 v[22:25], v100, s[28:31], s57 offen
	buffer_load_dwordx4 v[26:29], v101, s[28:31], 0 offen
	buffer_load_dwordx4 v[18:21], v101, s[28:31], s57 offen
	v_mov_b32_e32 v117, v70
	v_mov_b32_e32 v118, v69
.LBB391_14:                             ;   in Loop: Header=BB391_6 Depth=1
	s_waitcnt lgkmcnt(0)
	s_barrier
	ds_read_b64 v[38:39], v104
	ds_read_b64 v[124:125], v99
	;; [unrolled: 1-line block ×5, first 2 shown]
	ds_read_b64 v[138:139], v96 offset:3072
	ds_read2_b64 v[34:37], v95 offset0:16 offset1:128
	s_waitcnt lgkmcnt(5)
	v_mfma_f32_16x16x16_bf16 a[0:3], v[38:39], v[124:125], 0
	s_add_i32 s3, s48, s60
	s_mul_hi_i32 s25, s3, s53
	s_mul_i32 s3, s3, s53
	s_waitcnt lgkmcnt(0)
	v_mfma_f32_16x16x16_bf16 a[4:7], v[38:39], v[34:35], 0
	ds_read_b64 v[38:39], v109
	ds_read2st64_b64 v[40:43], v96 offset0:2 offset1:4
	s_add_u32 s24, s3, s33
	s_addc_u32 s25, s25, s55
	s_lshl_b64 s[24:25], s[24:25], 15
	s_mul_i32 s28, s62, s53
	s_mul_hi_i32 s3, s62, s53
	s_add_u32 s28, s28, s33
	s_waitcnt lgkmcnt(1)
	v_mfma_f32_16x16x16_bf16 a[8:11], v[38:39], v[124:125], 0
	s_addc_u32 s29, s3, s55
	ds_read2st64_b64 v[120:123], v95 offset0:4 offset1:6
	s_lshl_b64 s[28:29], s[28:29], 9
	v_mfma_f32_16x16x16_bf16 a[0:3], v[126:127], v[36:37], a[0:3]
	s_add_u32 s28, s40, s28
	s_addc_u32 s29, s41, s29
	s_waitcnt lgkmcnt(1)
	v_mfma_f32_16x16x16_bf16 a[4:7], v[126:127], v[40:41], a[4:7]
	ds_read_b64 v[126:127], v110
	ds_read_b64 v[134:135], v111
	;; [unrolled: 1-line block ×3, first 2 shown]
	v_mfma_f32_16x16x16_bf16 a[12:15], v[38:39], v[34:35], 0
	s_waitcnt lgkmcnt(2)
	v_mfma_f32_16x16x16_bf16 a[8:11], v[126:127], v[36:37], a[8:11]
	global_load_dwordx4 v[34:37], v108, s[28:29]
	v_mfma_f32_16x16x16_bf16 a[12:15], v[126:127], v[40:41], a[12:15]
	global_load_dwordx4 v[38:41], v103, s[28:29]
	ds_read2st64_b64 v[124:127], v97 offset1:8
	s_waitcnt lgkmcnt(0)
	v_mov_b32_e32 v132, v124
	v_mfma_f32_16x16x16_bf16 a[0:3], v[128:129], v[120:121], a[0:3]
	v_mov_b32_e32 v133, v125
	v_mfma_f32_16x16x16_bf16 a[4:7], v[128:129], v[42:43], a[4:7]
	ds_read2st64_b64 v[128:131], v98 offset1:8
	v_mfma_f32_16x16x16_bf16 a[8:11], v[134:135], v[120:121], a[8:11]
	v_lshl_add_u64 v[120:121], v[60:61], 0, s[24:25]
	v_mfma_f32_16x16x16_bf16 a[16:19], v[134:135], v[42:43], a[12:15]
	v_add_co_u32_e32 v42, vcc, s21, v120
	s_waitcnt lgkmcnt(0)
	v_mov_b32_e32 v134, v128
	v_mfma_f32_16x16x16_bf16 a[0:3], v[136:137], v[122:123], a[0:3]
	v_mov_b32_e32 v135, v129
	v_mov_b32_e32 v128, v126
	;; [unrolled: 1-line block ×3, first 2 shown]
	v_mfma_f32_16x16x16_bf16 a[4:7], v[136:137], v[138:139], a[4:7]
	v_addc_co_u32_e32 v43, vcc, 0, v121, vcc
	global_store_dwordx4 v[42:43], v[128:131], off
	v_mfma_f32_16x16x16_bf16 a[12:15], v[140:141], v[122:123], a[8:11]
	s_and_b64 vcc, exec, s[0:1]
	global_store_dwordx4 v[120:121], v[132:135], off
	s_waitcnt vmcnt(3)
	v_mov_b32_e32 v44, v37
	v_mfma_f32_16x16x16_bf16 a[8:11], v[140:141], v[138:139], a[16:19]
	v_mov_b32_e32 v43, v36
	v_mov_b32_e32 v42, v35
	s_cbranch_vccnz .LBB391_16
; %bb.15:                               ;   in Loop: Header=BB391_6 Depth=1
	v_lshrrev_b32_e32 v35, 3, v117
	v_and_b32_e32 v35, 6, v35
	v_xor_b32_e32 v36, v35, v118
	v_lshlrev_b32_e32 v36, 2, v36
	v_and_b32_e32 v37, 8, v117
	v_xor_b32_e32 v117, 0x440, v36
	v_cmp_eq_u32_e32 vcc, 0, v37
	v_perm_b32 v37, v22, v18, s58
	s_nop 0
	v_cndmask_b32_e32 v36, v117, v36, vcc
	v_lshl_or_b32 v35, v35, 10, v36
	v_perm_b32 v36, v30, v26, s58
	s_barrier
	ds_write2st64_b32 v35, v36, v37 offset0:32 offset1:64
	v_xor_b32_e32 v36, 8, v35
	v_perm_b32 v26, v30, v26, s59
	v_perm_b32 v18, v22, v18, s59
	v_add_u32_e32 v22, 0x80, v36
	ds_write2st64_b32 v22, v26, v18 offset0:32 offset1:64
	v_xor_b32_e32 v18, 16, v35
	v_perm_b32 v22, v31, v27, s58
	v_perm_b32 v26, v23, v19, s58
	ds_write2st64_b32 v18, v22, v26 offset0:33 offset1:65
	v_xor_b32_e32 v18, 24, v35
	v_perm_b32 v22, v31, v27, s59
	v_perm_b32 v19, v23, v19, s59
	v_add_u32_e32 v18, 0x80, v18
	ds_write2st64_b32 v18, v22, v19 offset0:33 offset1:65
	v_xor_b32_e32 v18, 32, v35
	v_perm_b32 v19, v32, v28, s58
	v_perm_b32 v22, v24, v20, s58
	ds_write2st64_b32 v18, v19, v22 offset0:34 offset1:66
	v_xor_b32_e32 v18, 40, v35
	v_perm_b32 v19, v32, v28, s59
	v_perm_b32 v20, v24, v20, s59
	v_add_u32_e32 v18, 0x80, v18
	ds_write2st64_b32 v18, v19, v20 offset0:34 offset1:66
	v_xor_b32_e32 v18, 48, v35
	v_perm_b32 v19, v33, v29, s58
	v_perm_b32 v20, v25, v21, s58
	ds_write2st64_b32 v18, v19, v20 offset0:35 offset1:67
	v_xor_b32_e32 v18, 56, v35
	v_perm_b32 v19, v33, v29, s59
	v_perm_b32 v20, v25, v21, s59
	v_add_u32_e32 v18, 0x80, v18
	ds_write2st64_b32 v18, v19, v20 offset0:35 offset1:67
	ds_write_b64 v116, v[14:15] offset:24576
	v_xor_b32_e32 v14, 8, v116
	ds_write_b64 v14, v[16:17] offset:24576
	ds_write_b64 v116, v[10:11] offset:32768
	;; [unrolled: 1-line block ×4, first 2 shown]
	v_xor_b32_e32 v6, 8, v115
	ds_write_b64 v6, v[8:9] offset:24576
	ds_write_b64 v115, v[2:3] offset:32768
	;; [unrolled: 1-line block ×3, first 2 shown]
.LBB391_16:                             ;   in Loop: Header=BB391_6 Depth=1
	v_exp_f32_e32 v18, s2
	s_waitcnt vmcnt(2)
	v_exp_f32_e32 v20, v38
	v_exp_f32_e32 v21, v39
	;; [unrolled: 1-line block ×4, first 2 shown]
	v_accvgpr_read_b32 v13, a3
	v_accvgpr_read_b32 v11, a1
	;; [unrolled: 1-line block ×4, first 2 shown]
	v_pk_mul_f32 v[20:21], v[18:19], v[20:21] op_sel_hi:[0,1]
	v_accvgpr_read_b32 v12, a2
	v_accvgpr_read_b32 v7, a5
	;; [unrolled: 1-line block ×3, first 2 shown]
	v_pk_fma_f32 v[52:53], v[52:53], v[20:21], v[10:11]
	v_pk_mul_f32 v[10:11], v[18:19], v[22:23] op_sel_hi:[0,1]
	v_pk_fma_f32 v[54:55], v[54:55], v[10:11], v[12:13]
	v_fma_f32 v89, v89, v20, v6
	v_fma_f32 v88, v88, v21, v7
	v_exp_f32_e32 v6, v34
	v_exp_f32_e32 v7, v42
	;; [unrolled: 1-line block ×4, first 2 shown]
	v_accvgpr_read_b32 v8, a6
	v_accvgpr_read_b32 v17, a15
	v_accvgpr_read_b32 v2, a8
	v_accvgpr_read_b32 v16, a14
	v_accvgpr_read_b32 v15, a13
	v_accvgpr_read_b32 v14, a12
	v_accvgpr_read_b32 v3, a9
	v_accvgpr_read_b32 v4, a10
	v_accvgpr_read_b32 v5, a11
	v_fma_f32 v90, v90, v10, v8
	v_fmac_f32_e32 v9, v114, v11
	v_pk_mul_f32 v[6:7], v[18:19], v[6:7] op_sel_hi:[0,1]
	v_pk_mul_f32 v[10:11], v[18:19], v[12:13] op_sel_hi:[0,1]
	s_add_i32 s54, s54, 64
	v_pk_fma_f32 v[46:47], v[46:47], v[6:7], v[14:15]
	v_pk_fma_f32 v[48:49], v[48:49], v[10:11], v[16:17]
	v_fma_f32 v85, v85, v6, v2
	v_fma_f32 v84, v84, v7, v3
	;; [unrolled: 1-line block ×3, first 2 shown]
	s_cmp_eq_u32 s47, s61
	v_fmac_f32_e32 v5, v113, v11
	s_cbranch_scc1 .LBB391_18
; %bb.17:                               ;   in Loop: Header=BB391_6 Depth=1
	s_mov_b32 s60, s61
	v_mov_b32_e32 v114, v9
	v_mov_b32_e32 v113, v5
	s_branch .LBB391_6
.LBB391_18:
	s_lshl_b32 s0, s47, 6
	s_sub_i32 s42, s49, s0
	s_cmp_gt_i32 s42, 0
	s_cbranch_scc0 .LBB391_83
; %bb.19:
	s_add_i32 s38, s0, s38
	s_ashr_i32 s2, s38, 31
	s_cmpk_lg_i32 s19, 0x80
	s_cselect_b64 s[30:31], -1, 0
	s_and_b64 vcc, exec, s[30:31]
	s_cbranch_vccz .LBB391_21
; %bb.20:
	s_mul_i32 s1, s38, s18
	s_ashr_i32 s3, s52, 31
	s_mul_hi_i32 s0, s38, s18
	s_add_u32 s40, s1, s52
	s_addc_u32 s41, s0, s3
	s_cbranch_execz .LBB391_22
	s_branch .LBB391_23
.LBB391_21:
                                        ; implicit-def: $sgpr40_sgpr41
.LBB391_22:
	s_mul_i32 s1, s52, s16
	s_mul_hi_i32 s0, s52, s16
	s_add_u32 s40, s1, s38
	s_addc_u32 s41, s0, s2
.LBB391_23:
	s_add_i32 s3, s47, s48
	s_ashr_i32 s16, s33, 31
	s_add_u32 s0, s51, s38
	v_lshlrev_b32_e32 v8, 5, v67
	v_lshlrev_b32_e32 v22, 2, v45
	s_addc_u32 s1, s50, s2
	s_mov_b32 s2, 0x7060302
	v_or_b32_e32 v11, v8, v22
	v_xor_b32_e32 v4, v67, v22
	v_perm_b32 v3, v55, v54, s2
	v_perm_b32 v2, v53, v52, s2
	;; [unrolled: 1-line block ×4, first 2 shown]
	v_lshlrev_b32_e32 v11, 1, v11
	s_lshl_b64 s[28:29], s[0:1], 8
	v_xor_b32_e32 v10, v68, v22
	ds_write2st64_b64 v11, v[2:3], v[6:7] offset0:80 offset1:88
	v_lshlrev_b32_e32 v11, 1, v4
	v_lshlrev_b32_e32 v4, 8, v45
	s_add_u32 s0, s6, s28
	v_or_b32_e32 v12, v11, v4
	v_lshlrev_b32_e32 v10, 1, v10
	s_addc_u32 s1, s7, s29
	ds_write_b64 v12, v[2:3]
	v_or_b32_e32 v2, v10, v4
	s_mul_hi_i32 s6, s3, s17
	s_mul_i32 s3, s3, s17
	ds_write_b64 v2, v[6:7]
	v_perm_b32 v3, v9, v90, s2
	v_perm_b32 v2, v88, v89, s2
	;; [unrolled: 1-line block ×4, first 2 shown]
	v_or_b32_e32 v6, 16, v45
	s_add_u32 s2, s3, s33
	v_lshlrev_b32_e32 v19, 2, v6
	s_addc_u32 s3, s6, s16
	v_or_b32_e32 v7, v8, v19
	s_ashr_i32 s37, s36, 31
	s_lshl_b64 s[2:3], s[2:3], 15
	v_lshlrev_b32_e32 v7, 1, v7
	v_lshlrev_b32_e32 v6, 8, v6
	s_add_u32 s6, s12, s2
	ds_write2st64_b64 v7, v[2:3], v[4:5] offset0:80 offset1:88
	v_or_b32_e32 v7, v11, v6
	s_addc_u32 s7, s13, s3
	s_lshl_b64 s[2:3], s[36:37], 8
	ds_write_b64 v7, v[2:3]
	v_or_b32_e32 v2, v10, v6
	s_add_u32 s2, s6, s2
	ds_write_b64 v2, v[4:5]
	v_lshrrev_b32_e32 v2, 4, v0
	s_addc_u32 s3, s7, s3
	v_lshlrev_b32_e32 v3, 1, v45
	v_lshlrev_b32_e32 v10, 4, v45
	v_mov_b32_e32 v11, 0
	v_or_b32_e32 v4, 1, v3
	v_xor_b32_e32 v3, v2, v3
	v_lshl_add_u64 v[12:13], s[2:3], 0, v[10:11]
	v_lshlrev_b32_e32 v10, 8, v2
	v_xor_b32_e32 v6, v4, v2
	v_lshl_or_b32 v2, v3, 3, v10
	s_waitcnt lgkmcnt(0)
	s_barrier
	ds_read2st64_b64 v[2:5], v2 offset1:8
	v_lshl_or_b32 v6, v6, 3, v10
	ds_read2st64_b64 v[6:9], v6 offset1:8
	v_lshl_add_u64 v[14:15], v[12:13], 0, v[10:11]
	s_movk_i32 s2, 0x1000
	s_waitcnt lgkmcnt(1)
	v_mov_b32_e32 v10, v2
	v_add_co_u32_e32 v2, vcc, s2, v14
	s_cmp_lg_u32 s42, 64
	v_mov_b32_e32 v11, v3
	v_addc_co_u32_e32 v3, vcc, 0, v15, vcc
	s_cselect_b64 s[6:7], -1, 0
	v_lshl_or_b32 v23, v63, 3, v66
	s_waitcnt lgkmcnt(0)
	v_mov_b32_e32 v12, v6
	v_mov_b32_e32 v13, v7
	;; [unrolled: 1-line block ×4, first 2 shown]
	s_mov_b32 s24, 0
	v_or_b32_e32 v20, 32, v23
	v_and_b32_e32 v18, 56, v65
	s_and_b64 vcc, exec, s[6:7]
	global_store_dwordx4 v[14:15], v[10:13], off
	global_store_dwordx4 v[2:3], v[6:9], off
	s_cbranch_vccz .LBB391_29
; %bb.24:
	s_mov_b32 s25, s24
	s_mov_b32 s26, s24
	;; [unrolled: 1-line block ×3, first 2 shown]
	v_mov_b64_e32 v[6:7], s[24:25]
	v_mov_b64_e32 v[8:9], s[26:27]
	;; [unrolled: 1-line block ×3, first 2 shown]
	v_cmp_gt_i32_e32 vcc, s42, v23
	v_mov_b64_e32 v[4:5], v[8:9]
	s_and_saveexec_b64 s[2:3], vcc
	s_cbranch_execz .LBB391_26
; %bb.25:
	v_lshlrev_b32_e32 v2, 8, v23
	v_mov_b32_e32 v3, 0
	v_lshl_add_u64 v[4:5], s[0:1], 0, v[2:3]
	v_lshlrev_b32_e32 v2, 1, v18
	v_lshl_add_u64 v[10:11], v[4:5], 0, v[2:3]
	global_load_dwordx4 v[6:9], v[10:11], off
	global_load_dwordx4 v[2:5], v[10:11], off offset:128
.LBB391_26:
	s_or_b64 exec, exec, s[2:3]
	s_mov_b32 s25, s24
	s_mov_b32 s26, s24
	;; [unrolled: 1-line block ×3, first 2 shown]
	v_mov_b64_e32 v[14:15], s[24:25]
	v_mov_b64_e32 v[16:17], s[26:27]
	;; [unrolled: 1-line block ×3, first 2 shown]
	v_cmp_gt_i32_e32 vcc, s42, v20
	v_lshlrev_b32_e32 v21, 7, v20
	v_mov_b64_e32 v[12:13], v[16:17]
	s_and_saveexec_b64 s[2:3], vcc
	s_cbranch_execz .LBB391_28
; %bb.27:
	v_lshlrev_b32_e32 v10, 1, v21
	v_mov_b32_e32 v11, 0
	v_lshl_add_u64 v[12:13], s[0:1], 0, v[10:11]
	v_lshlrev_b32_e32 v10, 1, v18
	v_lshl_add_u64 v[24:25], v[12:13], 0, v[10:11]
	global_load_dwordx4 v[14:17], v[24:25], off
	global_load_dwordx4 v[10:13], v[24:25], off offset:128
.LBB391_28:
	s_or_b64 exec, exec, s[2:3]
	v_lshrrev_b32_e32 v24, 3, v18
	v_lshlrev_b32_e32 v25, 3, v23
	v_or_b32_e32 v24, v25, v24
	v_lshlrev_b32_e32 v24, 4, v24
	v_and_b32_e32 v25, 0x78, v25
	v_xor_b32_e32 v24, v24, v25
	s_branch .LBB391_31
.LBB391_29:
                                        ; implicit-def: $vgpr24
                                        ; implicit-def: $vgpr21
                                        ; implicit-def: $vgpr6_vgpr7_vgpr8_vgpr9
                                        ; implicit-def: $vgpr2_vgpr3_vgpr4_vgpr5
                                        ; implicit-def: $vgpr14_vgpr15_vgpr16_vgpr17
                                        ; implicit-def: $vgpr10_vgpr11_vgpr12_vgpr13
	s_cbranch_execz .LBB391_31
; %bb.30:
	s_waitcnt vmcnt(0)
	v_lshlrev_b32_e32 v2, 1, v18
	v_lshl_or_b32 v21, v23, 8, v2
	s_and_b32 s1, s1, 0xffff
	s_mov_b32 s3, 0x20000
	s_movk_i32 s2, 0x4000
	v_lshl_or_b32 v24, v20, 8, v2
	s_movk_i32 s12, 0x80
	buffer_load_dwordx4 v[6:9], v21, s[0:3], 0 offen
	buffer_load_dwordx4 v[2:5], v21, s[0:3], s12 offen
	;; [unrolled: 1-line block ×4, first 2 shown]
	v_lshrrev_b32_e32 v21, 3, v18
	v_lshlrev_b32_e32 v24, 3, v23
	v_or_b32_e32 v21, v24, v21
	v_lshlrev_b32_e32 v21, 4, v21
	v_and_b32_e32 v24, 0x78, v24
	v_xor_b32_e32 v24, v21, v24
	v_lshlrev_b32_e32 v21, 7, v20
.LBB391_31:
	s_lshl_b64 s[0:1], s[40:41], 8
	s_add_u32 s4, s4, s0
	s_movk_i32 s0, 0x1000
	v_and_or_b32 v20, v21, s0, v24
	s_waitcnt vmcnt(1)
	ds_write_b64 v24, v[6:7] offset:24576
	v_xor_b32_e32 v6, 8, v24
	ds_write_b64 v6, v[8:9] offset:24576
	s_waitcnt vmcnt(0)
	ds_write_b64 v24, v[2:3] offset:32768
	ds_write_b64 v6, v[4:5] offset:32768
	;; [unrolled: 1-line block ×3, first 2 shown]
	v_xor_b32_e32 v2, 8, v20
	ds_write_b64 v2, v[16:17] offset:24576
	ds_write_b64 v20, v[10:11] offset:32768
	;; [unrolled: 1-line block ×3, first 2 shown]
	v_or_b32_e32 v2, v1, v45
	v_lshlrev_b32_e32 v3, 11, v63
	v_lshlrev_b32_e32 v2, 3, v2
	v_and_b32_e32 v6, 0x1000, v3
	v_lshrrev_b32_e32 v3, 5, v62
	s_movk_i32 s13, 0xf8
	v_and_or_b32 v3, v2, s13, v3
	v_lshlrev_b32_e32 v7, 4, v3
	v_and_b32_e32 v8, 0x78, v2
	v_or_b32_e32 v10, 32, v7
	v_lshrrev_b32_e32 v3, 1, v62
	v_xor_b32_e32 v10, v10, v8
	v_xor_b32_e32 v2, v7, v8
	v_and_b32_e32 v9, 8, v3
	v_or_b32_e32 v10, v10, v6
	v_or_b32_e32 v2, v2, v6
	v_xor_b32_e32 v26, v10, v9
	v_or_b32_e32 v10, 64, v7
	v_xor_b32_e32 v25, v2, v9
	v_xor_b32_e32 v10, v10, v8
	s_waitcnt lgkmcnt(0)
	s_barrier
	v_or_b32_e32 v12, v10, v6
	ds_read_b64 v[10:11], v25 offset:24576
	v_lshl_or_b32 v20, v64, 7, v22
	v_lshlrev_b32_e32 v24, 1, v20
	v_add_u32_e32 v2, 0xa000, v24
	ds_read2_b64 v[2:5], v2 offset1:16
	v_or_b32_e32 v7, 0x60, v7
	v_xor_b32_e32 v7, v7, v8
	s_waitcnt lgkmcnt(0)
	v_mfma_f32_16x16x16_bf16 a[0:3], v[10:11], v[2:3], 0
	v_or_b32_e32 v2, 64, v20
	v_or_b32_e32 v6, v7, v6
	v_lshlrev_b32_e32 v29, 1, v2
	v_xor_b32_e32 v27, v12, v9
	v_xor_b32_e32 v28, v6, v9
	ds_read_b64 v[12:13], v26 offset:24576
	ds_read_b64 v[14:15], v27 offset:24576
	;; [unrolled: 1-line block ×3, first 2 shown]
	v_mfma_f32_16x16x16_bf16 a[4:7], v[10:11], v[4:5], 0
	ds_read2st64_b64 v[2:5], v29 offset0:82 offset1:84
	ds_read2st64_b64 v[6:9], v24 offset0:82 offset1:84
	s_addc_u32 s5, s5, s1
	s_add_i32 s2, s39, -1
	s_add_i32 s0, s45, s44
	s_add_i32 s21, s0, s46
	s_mul_i32 s0, s33, s23
	s_mul_hi_u32 s1, s33, s22
	s_ashr_i32 s3, s2, 31
	s_mul_i32 s12, s2, s35
	s_mul_hi_u32 s13, s2, s34
	s_add_i32 s0, s1, s0
	s_mul_i32 s1, s16, s22
	s_add_i32 s12, s13, s12
	s_mul_i32 s3, s3, s34
	s_waitcnt lgkmcnt(1)
	v_mfma_f32_16x16x16_bf16 a[4:7], v[12:13], v[2:3], a[4:7]
	s_add_i32 s1, s0, s1
	s_add_i32 s3, s12, s3
	s_lshl_b64 s[12:13], s[20:21], 2
	s_waitcnt lgkmcnt(0)
	v_mfma_f32_16x16x16_bf16 a[0:3], v[12:13], v[6:7], a[0:3]
	s_mul_i32 s0, s33, s22
	s_add_u32 s10, s10, s12
	s_addc_u32 s11, s11, s13
	s_lshl_b64 s[0:1], s[0:1], 2
	s_mul_i32 s2, s2, s34
	s_add_u32 s10, s10, s0
	ds_read_b64 v[2:3], v24 offset:44032
	v_mfma_f32_16x16x16_bf16 a[4:7], v[14:15], v[4:5], a[4:7]
	ds_read_b64 v[4:5], v29 offset:44032
	s_addc_u32 s11, s11, s1
	s_lshl_b64 s[0:1], s[2:3], 2
	v_mfma_f32_16x16x16_bf16 a[0:3], v[14:15], v[8:9], a[0:3]
	s_add_u32 s0, s10, s0
	s_addc_u32 s1, s11, s1
	s_load_dword s12, s[0:1], 0x0
	s_waitcnt lgkmcnt(0)
	v_mfma_f32_16x16x16_bf16 a[0:3], v[16:17], v[2:3], a[0:3]
	s_and_b64 vcc, exec, s[30:31]
	v_mfma_f32_16x16x16_bf16 a[4:7], v[16:17], v[4:5], a[4:7]
	s_cbranch_vccz .LBB391_42
; %bb.32:
	v_lshlrev_b32_e32 v20, 1, v23
	s_and_b64 vcc, exec, s[6:7]
	s_cbranch_vccz .LBB391_43
; %bb.33:
	v_cmp_gt_i32_e32 vcc, s42, v20
	v_mov_b32_e32 v6, 0
	v_mov_b32_e32 v2, 0
	v_mov_b32_e32 v3, 0
	v_mov_b32_e32 v4, 0
	v_mov_b32_e32 v5, 0
	s_and_saveexec_b64 s[0:1], vcc
	s_cbranch_execz .LBB391_35
; %bb.34:
	v_mad_i64_i32 v[2:3], s[2:3], s19, v20, 0
	v_lshl_add_u64 v[2:3], v[2:3], 1, s[4:5]
	v_lshlrev_b32_e32 v4, 1, v18
	v_mov_b32_e32 v5, 0
	v_lshl_add_u64 v[2:3], v[2:3], 0, v[4:5]
	global_load_dwordx4 v[2:5], v[2:3], off
.LBB391_35:
	s_or_b64 exec, exec, s[0:1]
	v_or_b32_e32 v21, 1, v20
	v_cmp_gt_i32_e64 s[0:1], s42, v21
	v_mov_b32_e32 v7, 0
	v_mov_b32_e32 v8, 0
	;; [unrolled: 1-line block ×3, first 2 shown]
	s_and_saveexec_b64 s[2:3], s[0:1]
	s_cbranch_execz .LBB391_37
; %bb.36:
	v_mad_i64_i32 v[6:7], s[16:17], s19, v21, 0
	v_lshl_add_u64 v[6:7], v[6:7], 1, s[4:5]
	v_lshlrev_b32_e32 v8, 1, v18
	v_mov_b32_e32 v9, 0
	v_lshl_add_u64 v[6:7], v[6:7], 0, v[8:9]
	global_load_dwordx4 v[6:9], v[6:7], off
.LBB391_37:
	s_or_b64 exec, exec, s[2:3]
	v_mov_b32_e32 v17, 0
	v_mov_b32_e32 v10, 0
	;; [unrolled: 1-line block ×5, first 2 shown]
	s_and_saveexec_b64 s[2:3], vcc
	s_cbranch_execz .LBB391_39
; %bb.38:
	v_mad_i64_i32 v[10:11], s[16:17], s19, v20, 0
	v_lshl_add_u64 v[10:11], v[10:11], 1, s[4:5]
	v_lshlrev_b32_e32 v12, 1, v18
	v_mov_b32_e32 v13, 0
	v_lshl_add_u64 v[10:11], v[10:11], 0, v[12:13]
	global_load_dwordx4 v[10:13], v[10:11], off offset:128
.LBB391_39:
	s_or_b64 exec, exec, s[2:3]
	v_mov_b32_e32 v16, 0
	v_mov_b32_e32 v15, 0
	;; [unrolled: 1-line block ×3, first 2 shown]
	s_and_saveexec_b64 s[2:3], s[0:1]
	s_cbranch_execz .LBB391_41
; %bb.40:
	v_mad_i64_i32 v[14:15], s[0:1], s19, v21, 0
	v_lshl_add_u64 v[14:15], v[14:15], 1, s[4:5]
	v_lshlrev_b32_e32 v16, 1, v18
	v_mov_b32_e32 v17, 0
	v_lshl_add_u64 v[14:15], v[14:15], 0, v[16:17]
	global_load_dwordx4 v[14:17], v[14:15], off offset:128
.LBB391_41:
	s_or_b64 exec, exec, s[2:3]
	s_branch .LBB391_45
.LBB391_42:
                                        ; implicit-def: $vgpr5
                                        ; implicit-def: $vgpr9
                                        ; implicit-def: $vgpr13
                                        ; implicit-def: $vgpr17
	v_lshrrev_b32_e32 v30, 2, v62
	s_branch .LBB391_46
.LBB391_43:
                                        ; implicit-def: $vgpr5
                                        ; implicit-def: $vgpr9
                                        ; implicit-def: $vgpr13
                                        ; implicit-def: $vgpr17
	s_cbranch_execz .LBB391_45
; %bb.44:
	s_waitcnt vmcnt(0)
	v_mad_u64_u32 v[2:3], s[0:1], v20, s19, v[18:19]
	v_lshlrev_b32_e32 v20, 1, v2
	s_lshl_b32 s2, s19, 7
	s_and_b32 s1, s5, 0xffff
	s_mov_b32 s3, 0x20000
	s_mov_b32 s0, s4
	v_add_lshl_u32 v21, v2, s19, 1
	s_movk_i32 s13, 0x80
	buffer_load_dwordx4 v[2:5], v20, s[0:3], 0 offen
	buffer_load_dwordx4 v[10:13], v20, s[0:3], s13 offen
	;; [unrolled: 1-line block ×4, first 2 shown]
.LBB391_45:
	v_lshrrev_b32_e32 v30, 2, v62
	s_cbranch_execnz .LBB391_58
.LBB391_46:
	s_and_b64 vcc, exec, s[6:7]
	s_cbranch_vccz .LBB391_56
; %bb.47:
	s_waitcnt vmcnt(0)
	v_lshlrev_b32_e32 v7, 1, v23
	v_cmp_gt_i32_e32 vcc, s42, v7
	v_mov_b32_e32 v6, 0
	v_lshlrev_b32_e32 v14, 9, v23
	v_mov_b32_e32 v2, 0
	v_mov_b32_e32 v3, 0
	;; [unrolled: 1-line block ×4, first 2 shown]
	s_and_saveexec_b64 s[0:1], vcc
	s_cbranch_execz .LBB391_49
; %bb.48:
	v_mov_b32_e32 v15, 0
	v_lshl_add_u64 v[2:3], s[4:5], 0, v[14:15]
	v_lshlrev_b32_e32 v4, 1, v18
	v_mov_b32_e32 v5, v15
	v_lshl_add_u64 v[2:3], v[2:3], 0, v[4:5]
	global_load_dwordx4 v[2:5], v[2:3], off
.LBB391_49:
	s_or_b64 exec, exec, s[0:1]
	v_or_b32_e32 v7, 1, v7
	v_cmp_gt_i32_e64 s[0:1], s42, v7
	v_lshlrev_b32_e32 v20, 8, v7
	v_mov_b32_e32 v7, 0
	v_mov_b32_e32 v8, 0
	;; [unrolled: 1-line block ×3, first 2 shown]
	s_and_saveexec_b64 s[2:3], s[0:1]
	s_cbranch_execz .LBB391_51
; %bb.50:
	v_mov_b32_e32 v21, 0
	v_lshl_add_u64 v[6:7], s[4:5], 0, v[20:21]
	v_lshlrev_b32_e32 v8, 1, v18
	v_mov_b32_e32 v9, v21
	v_lshl_add_u64 v[6:7], v[6:7], 0, v[8:9]
	global_load_dwordx4 v[6:9], v[6:7], off
.LBB391_51:
	s_or_b64 exec, exec, s[2:3]
	v_mov_b32_e32 v17, 0
	v_mov_b32_e32 v10, 0
	;; [unrolled: 1-line block ×5, first 2 shown]
	s_and_saveexec_b64 s[2:3], vcc
	s_cbranch_execz .LBB391_53
; %bb.52:
	v_mov_b32_e32 v15, 0
	v_lshl_add_u64 v[10:11], s[4:5], 0, v[14:15]
	v_lshlrev_b32_e32 v14, 1, v18
	v_lshl_add_u64 v[10:11], v[10:11], 0, v[14:15]
	global_load_dwordx4 v[10:13], v[10:11], off offset:128
.LBB391_53:
	s_or_b64 exec, exec, s[2:3]
	v_mov_b32_e32 v16, 0
	v_mov_b32_e32 v15, 0
	;; [unrolled: 1-line block ×3, first 2 shown]
	s_and_saveexec_b64 s[2:3], s[0:1]
	s_cbranch_execz .LBB391_55
; %bb.54:
	v_mov_b32_e32 v21, 0
	v_lshl_add_u64 v[14:15], s[4:5], 0, v[20:21]
	v_lshlrev_b32_e32 v20, 1, v18
	v_lshl_add_u64 v[14:15], v[14:15], 0, v[20:21]
	global_load_dwordx4 v[14:17], v[14:15], off offset:128
.LBB391_55:
	s_or_b64 exec, exec, s[2:3]
	s_branch .LBB391_58
.LBB391_56:
                                        ; implicit-def: $vgpr5
                                        ; implicit-def: $vgpr9
                                        ; implicit-def: $vgpr13
                                        ; implicit-def: $vgpr17
	s_cbranch_execz .LBB391_58
; %bb.57:
	s_waitcnt vmcnt(0)
	v_lshlrev_b32_e32 v2, 1, v18
	v_lshl_or_b32 v18, v23, 9, v2
	s_and_b32 s5, s5, 0xffff
	s_mov_b32 s7, 0x20000
	s_movk_i32 s6, 0x4000
	s_movk_i32 s0, 0x80
	buffer_load_dwordx4 v[2:5], v18, s[4:7], 0 offen
	buffer_load_dwordx4 v[6:9], v18, s[4:7], 0 offen offset:256
	buffer_load_dwordx4 v[10:13], v18, s[4:7], s0 offen
	buffer_load_dwordx4 v[14:17], v18, s[4:7], s0 offen offset:256
.LBB391_58:
	ds_read_b64 v[20:21], v25 offset:32768
	v_add_u32_e32 v18, 0xb000, v24
	ds_read2_b64 v[32:35], v18 offset1:16
	ds_read_b64 v[40:41], v26 offset:32768
	ds_read_b64 v[26:27], v27 offset:32768
	;; [unrolled: 1-line block ×3, first 2 shown]
	v_and_b32_e32 v18, 6, v0
	v_xor_b32_e32 v23, v23, v18
	v_lshlrev_b32_e32 v23, 2, v23
	v_and_b32_e32 v0, 1, v0
	v_xor_b32_e32 v28, 0x440, v23
	v_cmp_eq_u32_e32 vcc, 0, v0
	s_waitcnt lgkmcnt(3)
	v_mfma_f32_16x16x16_bf16 a[0:3], v[20:21], v[32:33], a[0:3]
	s_mov_b32 s0, 0x1000504
	v_cndmask_b32_e32 v0, v28, v23, vcc
	v_lshl_or_b32 v0, v18, 10, v0
	v_mfma_f32_16x16x16_bf16 a[4:7], v[20:21], v[34:35], a[4:7]
	ds_read2st64_b64 v[32:35], v24 offset0:90 offset1:92
	ds_read2st64_b64 v[36:39], v29 offset0:90 offset1:92
	ds_read_b64 v[20:21], v24 offset:48128
	ds_read_b64 v[24:25], v29 offset:48128
	s_waitcnt vmcnt(0)
	v_perm_b32 v18, v2, v6, s0
	s_waitcnt lgkmcnt(3)
	v_mfma_f32_16x16x16_bf16 a[0:3], v[40:41], v[32:33], a[0:3]
	s_mov_b32 s1, 0x3020706
	v_perm_b32 v2, v2, v6, s1
	v_perm_b32 v6, v10, v14, s1
	s_waitcnt lgkmcnt(2)
	v_mfma_f32_16x16x16_bf16 a[4:7], v[40:41], v[36:37], a[4:7]
	v_mfma_f32_16x16x16_bf16 a[0:3], v[26:27], v[34:35], a[0:3]
	;; [unrolled: 1-line block ×3, first 2 shown]
	s_waitcnt lgkmcnt(1)
	v_mfma_f32_16x16x16_bf16 a[4:7], v[42:43], v[20:21], a[0:3]
	v_perm_b32 v20, v10, v14, s0
	ds_write2st64_b32 v0, v18, v20 offset0:32 offset1:64
	v_xor_b32_e32 v18, 8, v0
	v_add_u32_e32 v10, 0x80, v18
	ds_write2st64_b32 v10, v2, v6 offset0:32 offset1:64
	v_xor_b32_e32 v2, 16, v0
	v_perm_b32 v6, v3, v7, s0
	v_perm_b32 v10, v11, v15, s0
	ds_write2st64_b32 v2, v6, v10 offset0:33 offset1:65
	v_xor_b32_e32 v2, 24, v0
	v_perm_b32 v3, v3, v7, s1
	v_perm_b32 v6, v11, v15, s1
	v_add_u32_e32 v2, 0x80, v2
	ds_write2st64_b32 v2, v3, v6 offset0:33 offset1:65
	v_xor_b32_e32 v2, 32, v0
	v_perm_b32 v3, v4, v8, s0
	v_perm_b32 v6, v12, v16, s0
	s_waitcnt lgkmcnt(4)
	v_mfma_f32_16x16x16_bf16 a[0:3], v[42:43], v[24:25], a[8:11]
	ds_write2st64_b32 v2, v3, v6 offset0:34 offset1:66
	v_xor_b32_e32 v2, 40, v0
	v_perm_b32 v3, v4, v8, s1
	v_perm_b32 v4, v12, v16, s1
	v_add_u32_e32 v2, 0x80, v2
	ds_write2st64_b32 v2, v3, v4 offset0:34 offset1:66
	v_xor_b32_e32 v2, 48, v0
	v_perm_b32 v3, v5, v9, s0
	v_perm_b32 v4, v13, v17, s0
	v_xor_b32_e32 v0, 56, v0
	v_and_or_b32 v21, v30, 12, v1
	ds_write2st64_b32 v2, v3, v4 offset0:35 offset1:67
	v_perm_b32 v2, v5, v9, s1
	v_perm_b32 v3, v13, v17, s1
	v_add_u32_e32 v0, 0x80, v0
	v_cmp_gt_i32_e32 vcc, s42, v21
	v_mov_b32_e32 v16, 0
	v_mov_b32_e32 v18, 0
	ds_write2st64_b32 v0, v2, v3 offset0:35 offset1:67
	s_and_saveexec_b64 s[0:1], vcc
	s_cbranch_execz .LBB391_60
; %bb.59:
	v_add_u32_e32 v0, s38, v21
	v_ashrrev_i32_e32 v1, 31, v0
	v_mul_lo_u32 v2, v1, s34
	v_mul_lo_u32 v3, v0, s35
	v_mad_u64_u32 v[0:1], s[2:3], v0, s34, 0
	v_add3_u32 v1, v1, v3, v2
	v_lshl_add_u64 v[0:1], v[0:1], 2, s[10:11]
	global_load_dword v0, v[0:1], off
	s_waitcnt vmcnt(0)
	v_sub_f32_e32 v0, s12, v0
	v_exp_f32_e32 v18, v0
.LBB391_60:
	s_or_b64 exec, exec, s[0:1]
	v_or_b32_e32 v10, 1, v21
	v_cmp_gt_i32_e64 s[2:3], s42, v10
	s_and_saveexec_b64 s[0:1], s[2:3]
	s_cbranch_execz .LBB391_62
; %bb.61:
	v_add_u32_e32 v0, s38, v10
	v_ashrrev_i32_e32 v1, 31, v0
	v_mul_lo_u32 v2, v1, s34
	v_mul_lo_u32 v3, v0, s35
	v_mad_u64_u32 v[0:1], s[4:5], v0, s34, 0
	v_add3_u32 v1, v1, v3, v2
	v_lshl_add_u64 v[0:1], v[0:1], 2, s[10:11]
	global_load_dword v0, v[0:1], off
	s_waitcnt vmcnt(0)
	v_sub_f32_e32 v0, s12, v0
	v_exp_f32_e32 v16, v0
.LBB391_62:
	s_or_b64 exec, exec, s[0:1]
	v_or_b32_e32 v12, 2, v21
	v_cmp_gt_i32_e64 s[0:1], s42, v12
	v_mov_b32_e32 v17, 0
	v_mov_b32_e32 v20, 0
	s_and_saveexec_b64 s[4:5], s[0:1]
	s_cbranch_execz .LBB391_64
; %bb.63:
	v_add_u32_e32 v0, s38, v12
	v_ashrrev_i32_e32 v1, 31, v0
	v_mul_lo_u32 v2, v1, s34
	v_mul_lo_u32 v3, v0, s35
	v_mad_u64_u32 v[0:1], s[6:7], v0, s34, 0
	v_add3_u32 v1, v1, v3, v2
	v_lshl_add_u64 v[0:1], v[0:1], 2, s[10:11]
	global_load_dword v0, v[0:1], off
	s_waitcnt vmcnt(0)
	v_sub_f32_e32 v0, s12, v0
	v_exp_f32_e32 v20, v0
.LBB391_64:
	s_or_b64 exec, exec, s[4:5]
	v_or_b32_e32 v14, 3, v21
	v_cmp_gt_i32_e64 s[4:5], s42, v14
	s_and_saveexec_b64 s[6:7], s[4:5]
	s_cbranch_execz .LBB391_66
; %bb.65:
	v_add_u32_e32 v0, s38, v14
	v_ashrrev_i32_e32 v1, 31, v0
	v_mul_lo_u32 v2, v1, s34
	v_mul_lo_u32 v3, v0, s35
	v_mad_u64_u32 v[0:1], s[16:17], v0, s34, 0
	v_add3_u32 v1, v1, v3, v2
	v_lshl_add_u64 v[0:1], v[0:1], 2, s[10:11]
	global_load_dword v0, v[0:1], off
	s_waitcnt vmcnt(0)
	v_sub_f32_e32 v0, s12, v0
	v_exp_f32_e32 v17, v0
.LBB391_66:
	s_or_b64 exec, exec, s[6:7]
	s_add_u32 s6, s8, s28
	v_or_b32_e32 v4, s36, v45
	s_addc_u32 s7, s9, s29
	s_add_u32 s8, s14, s28
	v_ashrrev_i32_e32 v5, 31, v4
	v_accvgpr_read_b32 v0, a4
	s_addc_u32 s9, s15, s29
	v_lshlrev_b64 v[4:5], 1, v[4:5]
	v_accvgpr_read_b32 v1, a5
	v_accvgpr_read_b32 v2, a6
	;; [unrolled: 1-line block ×3, first 2 shown]
	v_lshl_add_u64 v[6:7], s[6:7], 0, v[4:5]
	v_lshl_add_u64 v[4:5], s[8:9], 0, v[4:5]
	v_mov_b32_e32 v11, 0
	v_lshlrev_b32_e32 v8, 8, v21
	v_mov_b32_e32 v9, 0
	s_and_saveexec_b64 s[6:7], vcc
	s_cbranch_execz .LBB391_68
; %bb.67:
	v_mov_b32_e32 v9, 0
	v_lshl_add_u64 v[24:25], v[6:7], 0, v[8:9]
	global_load_ushort v13, v[24:25], off
	v_lshl_add_u64 v[24:25], v[4:5], 0, v[8:9]
	s_waitcnt vmcnt(0)
	v_lshlrev_b32_e32 v9, 16, v13
	v_sub_f32_e32 v0, v9, v0
	global_store_short_d16_hi v[24:25], v0, off
	v_mul_f32_e32 v0, v18, v0
	v_lshrrev_b32_e32 v9, 16, v0
.LBB391_68:
	s_or_b64 exec, exec, s[6:7]
	v_lshlrev_b32_e32 v10, 8, v10
	s_and_saveexec_b64 s[6:7], s[2:3]
	s_cbranch_execz .LBB391_70
; %bb.69:
	v_mov_b32_e32 v11, 0
	v_lshl_add_u64 v[24:25], v[6:7], 0, v[10:11]
	global_load_ushort v0, v[24:25], off
	v_lshl_add_u64 v[24:25], v[4:5], 0, v[10:11]
	s_waitcnt vmcnt(0)
	v_lshlrev_b32_e32 v0, 16, v0
	v_sub_f32_e32 v0, v0, v1
	global_store_short_d16_hi v[24:25], v0, off
	v_mul_f32_e32 v0, v16, v0
	v_lshrrev_b32_e32 v11, 16, v0
.LBB391_70:
	s_or_b64 exec, exec, s[6:7]
	v_mov_b32_e32 v15, 0
	v_lshlrev_b32_e32 v12, 8, v12
	v_mov_b32_e32 v13, 0
	s_and_saveexec_b64 s[6:7], s[0:1]
	s_cbranch_execz .LBB391_72
; %bb.71:
	v_mov_b32_e32 v13, 0
	v_lshl_add_u64 v[0:1], v[6:7], 0, v[12:13]
	global_load_ushort v23, v[0:1], off
	v_lshl_add_u64 v[0:1], v[4:5], 0, v[12:13]
	s_waitcnt vmcnt(0)
	v_lshlrev_b32_e32 v13, 16, v23
	v_sub_f32_e32 v2, v13, v2
	global_store_short_d16_hi v[0:1], v2, off
	v_mul_f32_e32 v0, v20, v2
	v_lshrrev_b32_e32 v13, 16, v0
.LBB391_72:
	s_or_b64 exec, exec, s[6:7]
	v_lshlrev_b32_e32 v14, 8, v14
	s_and_saveexec_b64 s[6:7], s[4:5]
	s_cbranch_execz .LBB391_74
; %bb.73:
	v_mov_b32_e32 v15, 0
	v_lshl_add_u64 v[0:1], v[6:7], 0, v[14:15]
	global_load_ushort v2, v[0:1], off
	v_lshl_add_u64 v[0:1], v[4:5], 0, v[14:15]
	s_waitcnt vmcnt(0)
	v_lshlrev_b32_e32 v2, 16, v2
	v_sub_f32_e32 v2, v2, v3
	global_store_short_d16_hi v[0:1], v2, off
	v_mul_f32_e32 v0, v17, v2
	v_lshrrev_b32_e32 v15, 16, v0
.LBB391_74:
	s_or_b64 exec, exec, s[6:7]
	v_lshlrev_b32_e32 v21, 5, v21
	s_mov_b32 s6, 0x5040100
	v_perm_b32 v24, v11, v9, s6
	v_or_b32_e32 v9, v21, v22
	v_accvgpr_read_b32 v0, a0
	v_perm_b32 v25, v15, v13, s6
	v_lshlrev_b32_e32 v9, 1, v9
	v_accvgpr_read_b32 v1, a1
	v_accvgpr_read_b32 v2, a2
	;; [unrolled: 1-line block ×3, first 2 shown]
	ds_write_b64 v9, v[24:25] offset:45056
	v_mov_b32_e32 v11, 0
	v_mov_b32_e32 v9, 0
	s_and_saveexec_b64 s[6:7], vcc
	s_cbranch_execz .LBB391_76
; %bb.75:
	v_mov_b32_e32 v9, 0
	v_lshl_add_u64 v[22:23], v[6:7], 0, v[8:9]
	global_load_ushort v13, v[22:23], off offset:32
	v_lshl_add_u64 v[8:9], v[4:5], 0, v[8:9]
	s_waitcnt vmcnt(0)
	v_lshlrev_b32_e32 v13, 16, v13
	v_sub_f32_e32 v0, v13, v0
	global_store_short_d16_hi v[8:9], v0, off offset:32
	v_mul_f32_e32 v0, v18, v0
	v_lshrrev_b32_e32 v9, 16, v0
.LBB391_76:
	s_or_b64 exec, exec, s[6:7]
	s_and_saveexec_b64 s[6:7], s[2:3]
	s_cbranch_execz .LBB391_78
; %bb.77:
	v_mov_b32_e32 v11, 0
	v_lshl_add_u64 v[22:23], v[6:7], 0, v[10:11]
	global_load_ushort v0, v[22:23], off offset:32
	v_lshl_add_u64 v[10:11], v[4:5], 0, v[10:11]
	s_waitcnt vmcnt(0)
	v_lshlrev_b32_e32 v0, 16, v0
	v_sub_f32_e32 v0, v0, v1
	global_store_short_d16_hi v[10:11], v0, off offset:32
	v_mul_f32_e32 v0, v16, v0
	v_lshrrev_b32_e32 v11, 16, v0
.LBB391_78:
	s_or_b64 exec, exec, s[6:7]
	v_mov_b32_e32 v0, 0
	v_mov_b32_e32 v1, 0
	s_and_saveexec_b64 s[2:3], s[0:1]
	s_cbranch_execz .LBB391_80
; %bb.79:
	v_mov_b32_e32 v13, 0
	v_lshl_add_u64 v[22:23], v[6:7], 0, v[12:13]
	global_load_ushort v1, v[22:23], off offset:32
	v_lshl_add_u64 v[12:13], v[4:5], 0, v[12:13]
	s_waitcnt vmcnt(0)
	v_lshlrev_b32_e32 v1, 16, v1
	v_sub_f32_e32 v1, v1, v2
	global_store_short_d16_hi v[12:13], v1, off offset:32
	v_mul_f32_e32 v1, v20, v1
	v_lshrrev_b32_e32 v1, 16, v1
.LBB391_80:
	s_or_b64 exec, exec, s[2:3]
	s_and_saveexec_b64 s[0:1], s[4:5]
	s_cbranch_execz .LBB391_82
; %bb.81:
	v_mov_b32_e32 v15, 0
	v_lshl_add_u64 v[6:7], v[6:7], 0, v[14:15]
	global_load_ushort v0, v[6:7], off offset:32
	v_lshl_add_u64 v[4:5], v[4:5], 0, v[14:15]
	s_waitcnt vmcnt(0)
	v_lshlrev_b32_e32 v0, 16, v0
	v_sub_f32_e32 v0, v0, v3
	global_store_short_d16_hi v[4:5], v0, off offset:32
	v_mul_f32_e32 v0, v17, v0
	v_lshrrev_b32_e32 v0, 16, v0
.LBB391_82:
	s_or_b64 exec, exec, s[0:1]
	s_mov_b32 s0, 0x5040100
	v_or_b32_e32 v2, v21, v19
	v_perm_b32 v1, v0, v1, s0
	v_perm_b32 v0, v11, v9, s0
	v_lshlrev_b32_e32 v2, 1, v2
	ds_write_b64 v2, v[0:1] offset:45056
	s_waitcnt lgkmcnt(0)
	s_barrier
.LBB391_83:
	s_endpgm
	.section	.rodata,"a",@progbits
	.p2align	6, 0x0
	.amdhsa_kernel _ZN12_GLOBAL__N_139chunk_gated_delta_rule_fwd_h_hip_kernelILi32ELb0ELb0ELb1ELb1ELb1ELb1ELb1ELb0EEEvPK12hip_bfloat16S3_S3_PKfS5_PKvPS1_S8_PvPKiSB_iiiiilll
		.amdhsa_group_segment_fixed_size 49152
		.amdhsa_private_segment_fixed_size 0
		.amdhsa_kernarg_size 136
		.amdhsa_user_sgpr_count 2
		.amdhsa_user_sgpr_dispatch_ptr 0
		.amdhsa_user_sgpr_queue_ptr 0
		.amdhsa_user_sgpr_kernarg_segment_ptr 1
		.amdhsa_user_sgpr_dispatch_id 0
		.amdhsa_user_sgpr_kernarg_preload_length 0
		.amdhsa_user_sgpr_kernarg_preload_offset 0
		.amdhsa_user_sgpr_private_segment_size 0
		.amdhsa_uses_dynamic_stack 0
		.amdhsa_enable_private_segment 0
		.amdhsa_system_sgpr_workgroup_id_x 1
		.amdhsa_system_sgpr_workgroup_id_y 1
		.amdhsa_system_sgpr_workgroup_id_z 0
		.amdhsa_system_sgpr_workgroup_info 0
		.amdhsa_system_vgpr_workitem_id 0
		.amdhsa_next_free_vgpr 164
		.amdhsa_next_free_sgpr 63
		.amdhsa_accum_offset 144
		.amdhsa_reserve_vcc 1
		.amdhsa_float_round_mode_32 0
		.amdhsa_float_round_mode_16_64 0
		.amdhsa_float_denorm_mode_32 3
		.amdhsa_float_denorm_mode_16_64 3
		.amdhsa_dx10_clamp 1
		.amdhsa_ieee_mode 1
		.amdhsa_fp16_overflow 0
		.amdhsa_tg_split 0
		.amdhsa_exception_fp_ieee_invalid_op 0
		.amdhsa_exception_fp_denorm_src 0
		.amdhsa_exception_fp_ieee_div_zero 0
		.amdhsa_exception_fp_ieee_overflow 0
		.amdhsa_exception_fp_ieee_underflow 0
		.amdhsa_exception_fp_ieee_inexact 0
		.amdhsa_exception_int_div_zero 0
	.end_amdhsa_kernel
	.section	.text._ZN12_GLOBAL__N_139chunk_gated_delta_rule_fwd_h_hip_kernelILi32ELb0ELb0ELb1ELb1ELb1ELb1ELb1ELb0EEEvPK12hip_bfloat16S3_S3_PKfS5_PKvPS1_S8_PvPKiSB_iiiiilll,"axG",@progbits,_ZN12_GLOBAL__N_139chunk_gated_delta_rule_fwd_h_hip_kernelILi32ELb0ELb0ELb1ELb1ELb1ELb1ELb1ELb0EEEvPK12hip_bfloat16S3_S3_PKfS5_PKvPS1_S8_PvPKiSB_iiiiilll,comdat
.Lfunc_end391:
	.size	_ZN12_GLOBAL__N_139chunk_gated_delta_rule_fwd_h_hip_kernelILi32ELb0ELb0ELb1ELb1ELb1ELb1ELb1ELb0EEEvPK12hip_bfloat16S3_S3_PKfS5_PKvPS1_S8_PvPKiSB_iiiiilll, .Lfunc_end391-_ZN12_GLOBAL__N_139chunk_gated_delta_rule_fwd_h_hip_kernelILi32ELb0ELb0ELb1ELb1ELb1ELb1ELb1ELb0EEEvPK12hip_bfloat16S3_S3_PKfS5_PKvPS1_S8_PvPKiSB_iiiiilll
                                        ; -- End function
	.section	.AMDGPU.csdata,"",@progbits
; Kernel info:
; codeLenInByte = 8696
; NumSgprs: 69
; NumVgprs: 142
; NumAgprs: 20
; TotalNumVgprs: 164
; ScratchSize: 0
; MemoryBound: 0
; FloatMode: 240
; IeeeMode: 1
; LDSByteSize: 49152 bytes/workgroup (compile time only)
; SGPRBlocks: 8
; VGPRBlocks: 20
; NumSGPRsForWavesPerEU: 69
; NumVGPRsForWavesPerEU: 164
; AccumOffset: 144
; Occupancy: 1
; WaveLimiterHint : 1
; COMPUTE_PGM_RSRC2:SCRATCH_EN: 0
; COMPUTE_PGM_RSRC2:USER_SGPR: 2
; COMPUTE_PGM_RSRC2:TRAP_HANDLER: 0
; COMPUTE_PGM_RSRC2:TGID_X_EN: 1
; COMPUTE_PGM_RSRC2:TGID_Y_EN: 1
; COMPUTE_PGM_RSRC2:TGID_Z_EN: 0
; COMPUTE_PGM_RSRC2:TIDIG_COMP_CNT: 0
; COMPUTE_PGM_RSRC3_GFX90A:ACCUM_OFFSET: 35
; COMPUTE_PGM_RSRC3_GFX90A:TG_SPLIT: 0
	.section	.text._ZN12_GLOBAL__N_139chunk_gated_delta_rule_fwd_h_hip_kernelILi32ELb0ELb0ELb0ELb1ELb1ELb1ELb1ELb0EEEvPK12hip_bfloat16S3_S3_PKfS5_PKvPS1_S8_PvPKiSB_iiiiilll,"axG",@progbits,_ZN12_GLOBAL__N_139chunk_gated_delta_rule_fwd_h_hip_kernelILi32ELb0ELb0ELb0ELb1ELb1ELb1ELb1ELb0EEEvPK12hip_bfloat16S3_S3_PKfS5_PKvPS1_S8_PvPKiSB_iiiiilll,comdat
	.globl	_ZN12_GLOBAL__N_139chunk_gated_delta_rule_fwd_h_hip_kernelILi32ELb0ELb0ELb0ELb1ELb1ELb1ELb1ELb0EEEvPK12hip_bfloat16S3_S3_PKfS5_PKvPS1_S8_PvPKiSB_iiiiilll ; -- Begin function _ZN12_GLOBAL__N_139chunk_gated_delta_rule_fwd_h_hip_kernelILi32ELb0ELb0ELb0ELb1ELb1ELb1ELb1ELb0EEEvPK12hip_bfloat16S3_S3_PKfS5_PKvPS1_S8_PvPKiSB_iiiiilll
	.p2align	8
	.type	_ZN12_GLOBAL__N_139chunk_gated_delta_rule_fwd_h_hip_kernelILi32ELb0ELb0ELb0ELb1ELb1ELb1ELb1ELb0EEEvPK12hip_bfloat16S3_S3_PKfS5_PKvPS1_S8_PvPKiSB_iiiiilll,@function
_ZN12_GLOBAL__N_139chunk_gated_delta_rule_fwd_h_hip_kernelILi32ELb0ELb0ELb0ELb1ELb1ELb1ELb1ELb0EEEvPK12hip_bfloat16S3_S3_PKfS5_PKvPS1_S8_PvPKiSB_iiiiilll: ; @_ZN12_GLOBAL__N_139chunk_gated_delta_rule_fwd_h_hip_kernelILi32ELb0ELb0ELb0ELb1ELb1ELb1ELb1ELb0EEEvPK12hip_bfloat16S3_S3_PKfS5_PKvPS1_S8_PvPKiSB_iiiiilll
; %bb.0:
	s_load_dwordx4 s[12:15], s[0:1], 0x5c
	s_load_dwordx4 s[16:19], s[0:1], 0x70
	s_abs_i32 s21, s3
	s_ashr_i32 s20, s3, 31
	s_load_dwordx2 s[36:37], s[0:1], 0x30
	s_load_dwordx4 s[24:27], s[0:1], 0x48
	s_waitcnt lgkmcnt(0)
	s_abs_i32 s28, s13
	v_cvt_f32_u32_e32 v1, s28
	s_sub_i32 s22, 0, s28
	s_ashr_i32 s29, s13, 31
	s_xor_b32 s20, s20, s29
	v_rcp_iflag_f32_e32 v1, v1
	s_load_dwordx8 s[4:11], s[0:1], 0x0
	v_lshrrev_b32_e32 v61, 6, v0
	v_bfe_u32 v62, v0, 4, 2
	v_mul_f32_e32 v1, 0x4f7ffffe, v1
	v_cvt_u32_f32_e32 v1, v1
	v_lshlrev_b32_e32 v2, 2, v62
	v_and_b32_e32 v60, 63, v0
	v_mov_b32_e32 v5, 0
	v_readfirstlane_b32 s23, v1
	s_mul_i32 s22, s22, s23
	s_mul_hi_u32 s22, s23, s22
	s_add_i32 s23, s23, s22
	s_mul_hi_u32 s22, s21, s23
	s_mul_i32 s23, s22, s28
	s_sub_i32 s21, s21, s23
	s_add_i32 s30, s22, 1
	s_sub_i32 s23, s21, s28
	s_cmp_ge_u32 s21, s28
	s_cselect_b32 s22, s30, s22
	s_cselect_b32 s21, s23, s21
	s_add_i32 s23, s22, 1
	s_cmp_ge_u32 s21, s28
	s_cselect_b32 s21, s23, s22
	s_xor_b32 s21, s21, s20
	s_sub_i32 s20, s21, s20
	s_mul_i32 s21, s20, s13
	s_sub_i32 s33, s3, s21
	s_ashr_i32 s21, s20, 31
	s_lshl_b64 s[22:23], s[20:21], 2
	s_add_u32 s24, s24, s22
	s_addc_u32 s25, s25, s23
	s_add_u32 s22, s26, s22
	s_addc_u32 s23, s27, s23
	s_abs_i32 s3, s14
	v_cvt_f32_u32_e32 v1, s3
	s_load_dwordx2 s[34:35], s[24:25], 0x0
	s_sub_i32 s25, 0, s3
	s_load_dword s46, s[22:23], 0x0
	v_rcp_iflag_f32_e32 v1, v1
	v_and_b32_e32 v45, 15, v0
	s_waitcnt lgkmcnt(0)
	s_sub_i32 s47, s35, s34
	s_ashr_i32 s24, s47, 31
	v_mul_f32_e32 v1, 0x4f7ffffe, v1
	v_cvt_u32_f32_e32 v1, v1
	s_lshr_b32 s24, s24, 26
	s_add_i32 s24, s47, s24
	s_ashr_i32 s45, s24, 6
	v_readfirstlane_b32 s26, v1
	s_mul_i32 s25, s25, s26
	s_mul_hi_u32 s25, s26, s25
	s_add_i32 s26, s26, s25
	s_mul_hi_u32 s25, s28, s26
	s_mul_i32 s26, s25, s3
	s_ashr_i32 s24, s14, 31
	s_sub_i32 s26, s28, s26
	s_xor_b32 s24, s29, s24
	s_add_i32 s27, s25, 1
	s_sub_i32 s28, s26, s3
	s_cmp_ge_u32 s26, s3
	s_cselect_b32 s25, s27, s25
	s_cselect_b32 s26, s28, s26
	s_add_i32 s27, s25, 1
	s_cmp_ge_u32 s26, s3
	s_cselect_b32 s3, s27, s25
	s_xor_b32 s3, s3, s24
	s_sub_i32 s3, s3, s24
	s_abs_i32 s24, s3
	v_cvt_f32_u32_e32 v1, s24
	s_sub_i32 s23, 0, s24
	s_abs_i32 s22, s33
	s_xor_b32 s3, s33, s3
	v_rcp_iflag_f32_e32 v1, v1
	s_ashr_i32 s3, s3, 31
	s_load_dwordx2 s[28:29], s[0:1], 0x80
	s_mul_hi_i32 s48, s33, s12
	v_mul_f32_e32 v1, 0x4f7ffffe, v1
	v_cvt_u32_f32_e32 v1, v1
	s_mul_i32 s49, s33, s12
	v_lshrrev_b32_e32 v64, 3, v60
	v_lshlrev_b32_e32 v63, 3, v0
	v_readfirstlane_b32 s25, v1
	s_mul_i32 s23, s23, s25
	s_mul_hi_u32 s23, s25, s23
	s_add_i32 s25, s25, s23
	s_mul_hi_u32 s23, s22, s25
	s_mul_i32 s25, s23, s24
	s_sub_i32 s22, s22, s25
	s_add_i32 s25, s23, 1
	s_sub_i32 s26, s22, s24
	s_cmp_ge_u32 s22, s24
	s_cselect_b32 s23, s25, s23
	s_cselect_b32 s22, s26, s22
	s_add_i32 s25, s23, 1
	s_cmp_ge_u32 s22, s24
	s_cselect_b32 s22, s25, s23
	s_xor_b32 s22, s22, s3
	v_lshlrev_b32_e32 v1, 4, v61
	s_sub_i32 s50, s22, s3
	v_or_b32_e32 v65, v2, v1
	s_lshl_b32 s30, s2, 5
	v_or_b32_e32 v66, 64, v65
	s_cmp_lt_i32 s47, 64
	s_mul_i32 s42, s20, s17
	s_mul_hi_u32 s43, s20, s16
	s_mul_i32 s44, s21, s16
	s_mul_i32 s16, s20, s16
	v_mov_b32_e32 v84, 0
	v_mov_b32_e32 v81, 0
	;; [unrolled: 1-line block ×15, first 2 shown]
	s_cbranch_scc1 .LBB392_18
; %bb.1:
	s_ashr_i32 s53, s33, 31
	s_ashr_i32 s3, s34, 31
	s_add_u32 s2, s49, s34
	s_addc_u32 s3, s48, s3
	s_lshl_b64 s[2:3], s[2:3], 8
	v_and_b32_e32 v68, 56, v63
	s_add_u32 s20, s6, s2
	v_lshl_or_b32 v67, v61, 3, v64
	v_lshlrev_b32_e32 v3, 1, v68
	s_addc_u32 s2, s7, s3
	v_lshl_or_b32 v69, v67, 8, v3
	s_and_b32 s21, s2, 0xffff
	s_mov_b32 s23, 0x20000
	s_movk_i32 s22, 0x4000
	s_movk_i32 s2, 0x80
	v_or_b32_e32 v70, 0x2000, v69
	buffer_load_dwordx4 v[4:7], v69, s[20:23], 0 offen
	buffer_load_dwordx4 v[8:11], v69, s[20:23], s2 offen
	;; [unrolled: 1-line block ×4, first 2 shown]
	v_lshlrev_b32_e32 v20, 3, v67
	v_and_or_b32 v22, v0, 7, v20
	v_and_b32_e32 v20, 0x78, v20
	v_lshlrev_b32_e32 v22, 4, v22
	v_xor_b32_e32 v71, v22, v20
	v_mul_lo_u32 v21, v67, s15
	v_or_b32_e32 v72, 0x1000, v71
	s_cmpk_eq_i32 s15, 0x80
	s_mov_b32 s51, s13
	s_mov_b32 s52, s34
	v_xor_b32_e32 v20, 8, v71
	v_xor_b32_e32 v22, 8, v72
	s_cselect_b64 s[2:3], -1, 0
	s_cmpk_lg_i32 s15, 0x80
	s_waitcnt vmcnt(3)
	ds_write_b64 v71, v[4:5] offset:24576
	ds_write_b64 v20, v[6:7] offset:24576
	s_waitcnt vmcnt(2)
	ds_write_b64 v71, v[8:9] offset:32768
	ds_write_b64 v20, v[10:11] offset:32768
	;; [unrolled: 3-line block ×4, first 2 shown]
	v_lshl_add_u32 v4, v21, 1, v68
	s_cbranch_scc0 .LBB392_3
; %bb.2:
	v_lshlrev_b32_e32 v6, 1, v4
	v_add_lshl_u32 v5, v4, s15, 1
	s_lshl_b32 s22, s15, 7
	s_load_dwordx2 s[38:39], s[0:1], 0x20
	v_lshl_or_b32 v3, v67, 9, v3
	s_cbranch_execz .LBB392_4
	s_branch .LBB392_5
.LBB392_3:
                                        ; implicit-def: $vgpr5
                                        ; implicit-def: $vgpr6
                                        ; implicit-def: $sgpr22
	s_load_dwordx2 s[38:39], s[0:1], 0x20
	v_lshl_or_b32 v3, v67, 9, v3
.LBB392_4:
	v_or_b32_e32 v5, 0x100, v3
	s_movk_i32 s22, 0x4000
	v_mov_b32_e32 v6, v3
.LBB392_5:
	s_mul_i32 s0, s34, s14
	s_ashr_i32 s54, s50, 31
	s_mul_hi_i32 s1, s34, s14
	s_add_u32 s0, s0, s50
	s_addc_u32 s1, s1, s54
	s_lshl_b64 s[0:1], s[0:1], 8
	s_add_u32 s20, s4, s0
	s_addc_u32 s0, s5, s1
	s_and_b32 s21, s0, 0xffff
	s_movk_i32 s55, 0x80
	buffer_load_dwordx4 v[8:11], v6, s[20:23], 0 offen
	buffer_load_dwordx4 v[12:15], v6, s[20:23], s55 offen
	;; [unrolled: 1-line block ×4, first 2 shown]
	v_and_b32_e32 v5, 6, v0
	v_lshlrev_b32_e32 v24, 6, v65
	v_or_b32_e32 v26, 16, v45
	v_xor_b32_e32 v27, v67, v5
	v_and_b32_e32 v6, 1, v0
	v_lshl_or_b32 v30, v45, 3, v24
	v_lshl_or_b32 v24, v26, 3, v24
	v_lshlrev_b32_e32 v27, 2, v27
	v_lshlrev_b32_e32 v7, 2, v45
	s_mul_i32 s0, s33, s19
	s_mul_hi_u32 s1, s33, s18
	v_or_b32_e32 v75, 0xa000, v24
	v_or_b32_e32 v76, 0xb000, v24
	v_xor_b32_e32 v24, 0x440, v27
	v_cmp_eq_u32_e32 vcc, 0, v6
	s_add_i32 s17, s43, s42
	s_mul_i32 s20, s53, s18
	v_xor_b32_e32 v28, v65, v7
	v_xor_b32_e32 v29, v66, v7
	v_cndmask_b32_e32 v6, v24, v27, vcc
	s_add_i32 s0, s1, s0
	s_add_i32 s17, s17, s44
	s_mov_b32 s56, 0x1000504
	v_lshlrev_b32_e32 v25, 8, v45
	v_lshlrev_b32_e32 v26, 8, v26
	;; [unrolled: 1-line block ×4, first 2 shown]
	v_lshl_or_b32 v5, v5, 10, v6
	s_add_i32 s1, s0, s20
	s_lshl_b64 s[20:21], s[16:17], 2
	s_mov_b32 s57, 0x3020706
	v_or_b32_e32 v73, 0xa000, v30
	v_or_b32_e32 v74, 0xb000, v30
	;; [unrolled: 1-line block ×5, first 2 shown]
	v_xor_b32_e32 v6, 8, v5
	v_xor_b32_e32 v25, 24, v5
	;; [unrolled: 1-line block ×4, first 2 shown]
	s_mul_i32 s0, s33, s18
	s_add_u32 s17, s10, s20
	v_or_b32_e32 v79, v26, v28
	v_xor_b32_e32 v24, 16, v5
	v_xor_b32_e32 v26, 32, v5
	;; [unrolled: 1-line block ×3, first 2 shown]
	v_add_u32_e32 v6, 0x80, v6
	v_add_u32_e32 v25, 0x80, v25
	;; [unrolled: 1-line block ×4, first 2 shown]
	s_addc_u32 s20, s11, s21
	s_lshl_b64 s[0:1], s[0:1], 2
	s_add_u32 s40, s17, s0
	s_movk_i32 s0, 0xf8
	s_addc_u32 s41, s20, s1
	s_ashr_i32 s31, s30, 31
	s_lshl_b32 s26, s15, 7
	s_movk_i32 s20, 0x100
	v_mov_b32_e32 v53, 0
	v_lshlrev_b32_e32 v52, 4, v45
	v_cmp_gt_u32_e32 vcc, s20, v0
	s_mov_b32 s58, 0
	s_movk_i32 s17, 0x1000
	s_movk_i32 s22, 0x4000
	v_add_u32_e32 v100, v1, v2
	v_mov_b32_e32 v50, v53
	v_mov_b32_e32 v51, v53
	;; [unrolled: 1-line block ×13, first 2 shown]
	s_waitcnt vmcnt(1)
	v_perm_b32 v30, v8, v16, s56
	s_waitcnt vmcnt(0)
	v_perm_b32 v31, v12, v20, s56
	v_perm_b32 v8, v8, v16, s57
	;; [unrolled: 1-line block ×15, first 2 shown]
	ds_write2st64_b32 v5, v30, v31 offset0:32 offset1:64
	ds_write2st64_b32 v6, v8, v12 offset0:32 offset1:64
	;; [unrolled: 1-line block ×8, first 2 shown]
	v_or_b32_e32 v5, v1, v45
	v_lshlrev_b32_e32 v5, 3, v5
	v_lshrrev_b32_e32 v8, 5, v60
	v_and_or_b32 v8, v5, s0, v8
	v_lshrrev_b32_e32 v6, 2, v60
	v_lshlrev_b32_e32 v11, 11, v61
	v_lshlrev_b32_e32 v8, 4, v8
	v_and_b32_e32 v5, 0x78, v5
	v_and_b32_e32 v9, 12, v6
	;; [unrolled: 1-line block ×3, first 2 shown]
	v_xor_b32_e32 v10, v8, v5
	v_lshrrev_b32_e32 v12, 1, v60
	v_or_b32_e32 v10, v10, v6
	v_and_b32_e32 v12, 8, v12
	v_xor_b32_e32 v83, v10, v12
	v_or_b32_e32 v10, 32, v8
	v_xor_b32_e32 v10, v10, v5
	v_or_b32_e32 v10, v10, v6
	;; [unrolled: 2-line block ×3, first 2 shown]
	v_or_b32_e32 v8, 0x60, v8
	v_xor_b32_e32 v10, v10, v5
	v_xor_b32_e32 v5, v8, v5
	s_lshl_b64 s[0:1], s[30:31], 8
	v_or_b32_e32 v10, v10, v6
	v_or_b32_e32 v5, v5, v6
	v_lshlrev_b32_e32 v14, 1, v4
	v_add_lshl_u32 v15, v4, s15, 1
	s_add_u32 s0, s36, s0
	v_lshlrev_b32_e32 v4, 1, v45
	v_xor_b32_e32 v91, v10, v12
	v_xor_b32_e32 v92, v5, v12
	v_lshrrev_b32_e32 v10, 4, v0
	s_addc_u32 s1, s37, s1
	v_or_b32_e32 v5, 1, v4
	v_mov_b32_e32 v20, 0x4000
	v_mov_b32_e32 v21, 0x2000
	v_lshrrev_b32_e32 v22, 1, v0
	v_xor_b32_e32 v12, v10, v4
	v_xor_b32_e32 v17, v5, v10
	v_lshl_add_u64 v[4:5], s[0:1], 0, v[52:53]
	v_lshlrev_b32_e32 v52, 8, v10
	v_cndmask_b32_e32 v20, v20, v21, vcc
	v_lshlrev_b32_e32 v21, 3, v61
	v_and_b32_e32 v22, 24, v22
	v_lshl_or_b32 v95, v12, 3, v52
	v_and_b32_e32 v12, 8, v0
	v_xor_b32_e32 v23, v21, v22
	v_or_b32_e32 v24, 0x440, v23
	v_cmp_eq_u32_e32 vcc, 0, v12
	v_and_b32_e32 v10, 7, v0
	v_lshlrev_b32_e32 v13, 7, v62
	v_cndmask_b32_e32 v12, v24, v23, vcc
	v_lshl_or_b32 v96, v17, 3, v52
	v_lshlrev_b32_e32 v17, 3, v10
	v_lshlrev_b32_e32 v19, 2, v0
	v_or_b32_e32 v12, v12, v11
	v_or_b32_e32 v7, v13, v7
	v_xor_b32_e32 v23, v12, v17
	v_and_or_b32 v12, v19, 60, v13
	v_mov_b32_e32 v13, 0xb000
	v_lshl_or_b32 v97, v12, 1, v13
	v_or_b32_e32 v12, 32, v22
	v_xor_b32_e32 v12, v21, v12
	v_or_b32_e32 v13, 0x440, v12
	v_cndmask_b32_e32 v12, v13, v12, vcc
	v_or_b32_e32 v12, v12, v11
	v_xor_b32_e32 v13, v12, v17
	v_or_b32_e32 v12, 64, v22
	v_xor_b32_e32 v12, v21, v12
	v_xor_b32_e32 v25, 0x440, v12
	v_cndmask_b32_e32 v12, v25, v12, vcc
	v_or_b32_e32 v12, v12, v11
	v_xor_b32_e32 v25, v12, v17
	v_or_b32_e32 v12, 0x60, v22
	v_xor_b32_e32 v12, v21, v12
	v_xor_b32_e32 v21, 0x440, v12
	v_cndmask_b32_e32 v12, v21, v12, vcc
	v_or_b32_e32 v11, v12, v11
	v_lshlrev_b32_e32 v7, 1, v7
	v_or_b32_e32 v6, s30, v45
	v_xor_b32_e32 v11, v11, v17
	v_or_b32_e32 v87, 0xa000, v7
	v_or_b32_e32 v90, 0xa080, v7
	;; [unrolled: 1-line block ×4, first 2 shown]
	v_lshlrev_b32_e32 v8, 7, v65
	v_ashrrev_i32_e32 v7, 31, v6
	v_or_b32_e32 v16, 0x100, v3
	v_lshlrev_b32_e32 v18, 7, v10
	v_or_b32_e32 v10, v9, v1
	v_add_u32_e32 v24, v20, v23
	v_add_u32_e32 v19, v20, v13
	;; [unrolled: 1-line block ×4, first 2 shown]
	v_or3_b32 v12, v1, v9, 64
	v_add_u32_e32 v9, 0x4000, v23
	v_add_u32_e32 v13, 0x4000, v13
	;; [unrolled: 1-line block ×4, first 2 shown]
	v_cndmask_b32_e64 v98, v14, v3, s[2:3]
	v_cndmask_b32_e64 v99, v15, v16, s[2:3]
	v_lshl_add_u64 v[56:57], v[6:7], 1, s[8:9]
	v_lshl_add_u64 v[58:59], v[4:5], 0, v[52:53]
	s_mov_b32 s31, 0x7060302
	v_lshlrev_b32_e32 v52, 1, v8
	v_lshlrev_b32_e32 v101, 2, v10
	v_add_u32_e32 v102, v24, v18
	v_add_u32_e32 v103, v19, v18
	;; [unrolled: 1-line block ×4, first 2 shown]
	v_lshlrev_b32_e32 v106, 2, v12
	v_add_u32_e32 v107, v9, v18
	v_add_u32_e32 v108, v13, v18
	;; [unrolled: 1-line block ×4, first 2 shown]
	v_mov_b32_e32 v81, v53
	v_mov_b32_e32 v84, v53
	;; [unrolled: 1-line block ×3, first 2 shown]
	s_waitcnt lgkmcnt(0)
	s_barrier
.LBB392_6:                              ; =>This Inner Loop Header: Depth=1
	s_add_i32 s59, s58, 1
	s_cmp_lt_i32 s59, s45
	s_mov_b64 s[24:25], 0
	s_cselect_b64 s[2:3], -1, 0
	s_cmp_ge_i32 s59, s45
	s_mov_b64 s[20:21], 0
	s_cbranch_scc1 .LBB392_8
; %bb.7:                                ;   in Loop: Header=BB392_6 Depth=1
	s_add_i32 s0, s52, 64
	s_ashr_i32 s1, s0, 31
	s_add_u32 s0, s49, s0
	s_addc_u32 s1, s48, s1
	s_lshl_b64 s[0:1], s[0:1], 8
	s_add_u32 s20, s6, s0
	s_addc_u32 s21, s7, s1
.LBB392_8:                              ;   in Loop: Header=BB392_6 Depth=1
	v_cndmask_b32_e64 v2, 0, 1, s[2:3]
	v_cmp_ne_u32_e64 s[0:1], 1, v2
	s_andn2_b64 vcc, exec, s[2:3]
	s_cbranch_vccnz .LBB392_10
; %bb.9:                                ;   in Loop: Header=BB392_6 Depth=1
	s_add_i32 s2, s52, 64
	s_mul_hi_i32 s3, s2, s14
	s_mul_i32 s2, s2, s14
	s_add_u32 s2, s2, s50
	s_addc_u32 s3, s3, s54
	s_lshl_b64 s[2:3], s[2:3], 8
	s_add_u32 s24, s4, s2
	s_addc_u32 s25, s5, s3
.LBB392_10:                             ;   in Loop: Header=BB392_6 Depth=1
	v_perm_b32 v3, v55, v54, s31
	v_perm_b32 v2, v51, v50, s31
	;; [unrolled: 1-line block ×4, first 2 shown]
	ds_write_b64 v73, v[2:3]
	ds_write_b64 v74, v[4:5]
	;; [unrolled: 1-line block ×4, first 2 shown]
	v_perm_b32 v3, v112, v88, s31
	v_perm_b32 v2, v85, v86, s31
	v_perm_b32 v5, v111, v84, s31
	v_perm_b32 v4, v81, v82, s31
	ds_write_b64 v75, v[2:3]
	ds_write_b64 v76, v[4:5]
	;; [unrolled: 1-line block ×4, first 2 shown]
	s_waitcnt lgkmcnt(0)
	s_barrier
	ds_read_b64 v[6:7], v83 offset:24576
	ds_read2_b64 v[2:5], v87 offset1:16
	ds_read_b64 v[10:11], v90 offset:3072
	ds_read_b64 v[12:13], v87 offset:3072
	;; [unrolled: 1-line block ×3, first 2 shown]
	s_waitcnt lgkmcnt(3)
	v_mfma_f32_16x16x16_bf16 a[0:3], v[6:7], v[2:3], 0
	s_add_i32 s60, s52, 63
	s_ashr_i32 s2, s60, 31
	s_mul_i32 s3, s60, s29
	v_mfma_f32_16x16x16_bf16 a[4:7], v[6:7], v[4:5], 0
	ds_read2st64_b64 v[2:5], v87 offset0:2 offset1:4
	s_mul_hi_u32 s27, s60, s28
	s_add_i32 s3, s27, s3
	s_waitcnt lgkmcnt(0)
	v_mfma_f32_16x16x16_bf16 a[0:3], v[14:15], v[2:3], a[0:3]
	ds_read2st64_b64 v[6:9], v90 offset0:2 offset1:4
	ds_read_b64 v[2:3], v91 offset:24576
	s_mul_i32 s2, s2, s28
	s_add_i32 s3, s3, s2
	s_waitcnt lgkmcnt(1)
	v_mfma_f32_16x16x16_bf16 a[4:7], v[14:15], v[6:7], a[4:7]
	ds_read_b64 v[6:7], v92 offset:24576
	s_mul_i32 s2, s60, s28
	s_lshl_b64 s[2:3], s[2:3], 2
	s_waitcnt lgkmcnt(1)
	v_mfma_f32_16x16x16_bf16 a[0:3], v[2:3], v[4:5], a[0:3]
	s_add_u32 s2, s40, s2
	s_addc_u32 s3, s41, s3
	s_and_b64 vcc, exec, s[0:1]
	v_mfma_f32_16x16x16_bf16 a[4:7], v[2:3], v[8:9], a[4:7]
	v_mov_b32_e32 v115, 0
	v_mov_b32_e32 v114, 0
	;; [unrolled: 1-line block ×3, first 2 shown]
	s_waitcnt lgkmcnt(0)
	v_mfma_f32_16x16x16_bf16 a[0:3], v[6:7], v[12:13], a[0:3]
	v_mov_b32_e32 v2, 0
	v_mov_b32_e32 v3, 0
	;; [unrolled: 1-line block ×3, first 2 shown]
	v_mfma_f32_16x16x16_bf16 a[4:7], v[6:7], v[10:11], a[4:7]
	v_mov_b32_e32 v5, 0
	v_mov_b32_e32 v6, 0
	;; [unrolled: 1-line block ×13, first 2 shown]
	s_cbranch_vccnz .LBB392_12
; %bb.11:                               ;   in Loop: Header=BB392_6 Depth=1
	s_and_b32 s21, s21, 0xffff
	buffer_load_dwordx4 v[14:17], v69, s[20:23], 0 offen
	buffer_load_dwordx4 v[10:13], v69, s[20:23], s55 offen
	;; [unrolled: 1-line block ×4, first 2 shown]
	v_mov_b32_e32 v114, v71
	v_mov_b32_e32 v113, v72
.LBB392_12:                             ;   in Loop: Header=BB392_6 Depth=1
	ds_read_b64 v[22:23], v83 offset:32768
	ds_read2_b64 v[18:21], v93 offset1:16
	ds_read_b64 v[26:27], v89 offset:32768
	ds_read_b64 v[28:29], v91 offset:32768
	;; [unrolled: 1-line block ×3, first 2 shown]
	v_add_u32_e32 v34, s52, v100
	s_waitcnt lgkmcnt(3)
	v_mfma_f32_16x16x16_bf16 a[0:3], v[22:23], v[18:19], a[0:3]
	v_mov_b32_e32 v116, 0
	v_mfma_f32_16x16x16_bf16 a[4:7], v[22:23], v[20:21], a[4:7]
	ds_read2st64_b64 v[18:21], v93 offset0:2 offset1:4
	ds_read2st64_b64 v[22:25], v94 offset0:2 offset1:4
	s_waitcnt lgkmcnt(1)
	v_mfma_f32_16x16x16_bf16 a[0:3], v[26:27], v[18:19], a[0:3]
	ds_read_b64 v[18:19], v93 offset:3072
	ds_read_b64 v[32:33], v94 offset:3072
	s_waitcnt lgkmcnt(2)
	v_mfma_f32_16x16x16_bf16 a[4:7], v[26:27], v[22:23], a[4:7]
	v_ashrrev_i32_e32 v22, 31, v34
	v_mul_lo_u32 v23, v34, s29
	v_mul_lo_u32 v22, v22, s28
	v_mfma_f32_16x16x16_bf16 a[0:3], v[28:29], v[20:21], a[0:3]
	v_mad_u64_u32 v[20:21], s[20:21], v34, s28, 0
	v_add3_u32 v21, v21, v23, v22
	v_add_u32_e32 v22, 1, v34
	v_ashrrev_i32_e32 v23, 31, v22
	v_mfma_f32_16x16x16_bf16 a[4:7], v[28:29], v[24:25], a[4:7]
	v_mul_lo_u32 v23, v23, s28
	v_mul_lo_u32 v24, v22, s29
	v_lshl_add_u64 v[20:21], v[20:21], 2, s[40:41]
	s_waitcnt lgkmcnt(1)
	v_mfma_f32_16x16x16_bf16 a[0:3], v[30:31], v[18:19], a[0:3]
	v_mad_u64_u32 v[18:19], s[20:21], v22, s28, 0
	v_add_u32_e32 v22, 2, v34
	v_add3_u32 v19, v19, v24, v23
	v_ashrrev_i32_e32 v23, 31, v22
	v_mul_lo_u32 v24, v23, s28
	v_mul_lo_u32 v25, v22, s29
	v_mad_u64_u32 v[22:23], s[20:21], v22, s28, 0
	v_add3_u32 v23, v23, v25, v24
	v_add_u32_e32 v24, 3, v34
	v_ashrrev_i32_e32 v25, 31, v24
	v_mul_lo_u32 v26, v25, s28
	v_mul_lo_u32 v27, v24, s29
	v_mad_u64_u32 v[24:25], s[20:21], v24, s28, 0
	v_add3_u32 v25, v25, v27, v26
	v_lshl_add_u64 v[24:25], v[24:25], 2, s[40:41]
	s_ashr_i32 s21, s52, 31
	v_lshl_add_u64 v[18:19], v[18:19], 2, s[40:41]
	v_lshl_add_u64 v[22:23], v[22:23], 2, s[40:41]
	global_load_dword v26, v[20:21], off
	global_load_dword v27, v[18:19], off
	;; [unrolled: 1-line block ×3, first 2 shown]
	s_nop 0
	global_load_dword v25, v[24:25], off
	s_add_u32 s20, s49, s52
	s_addc_u32 s21, s48, s21
	s_lshl_b64 s[20:21], s[20:21], 8
	v_lshl_add_u64 v[18:19], v[56:57], 0, s[20:21]
	v_lshl_add_u64 v[18:19], v[18:19], 0, v[52:53]
	global_load_ushort v29, v[18:19], off
	global_load_ushort v34, v[18:19], off offset:256
	global_load_ushort v35, v[18:19], off offset:800
	;; [unrolled: 1-line block ×7, first 2 shown]
	s_load_dword s2, s[2:3], 0x0
	s_waitcnt lgkmcnt(0)
	v_mfma_f32_16x16x16_bf16 a[4:7], v[30:31], v[32:33], a[4:7]
	v_accvgpr_read_b32 v23, a1
	v_accvgpr_read_b32 v19, a3
	;; [unrolled: 1-line block ×4, first 2 shown]
	s_and_b64 vcc, exec, s[0:1]
	s_waitcnt vmcnt(11)
	v_sub_f32_e32 v24, s2, v26
	s_waitcnt vmcnt(10)
	v_sub_f32_e32 v32, s2, v27
	s_waitcnt vmcnt(9)
	v_sub_f32_e32 v33, s2, v28
	s_waitcnt vmcnt(8)
	v_sub_f32_e32 v41, s2, v25
	v_exp_f32_e32 v24, v24
	v_exp_f32_e32 v25, v32
	;; [unrolled: 1-line block ×4, first 2 shown]
	s_waitcnt vmcnt(6)
	v_lshlrev_b32_e32 v27, 16, v34
	v_lshlrev_b32_e32 v26, 16, v29
	s_waitcnt vmcnt(4)
	v_lshlrev_b32_e32 v29, 16, v36
	s_waitcnt vmcnt(2)
	v_lshlrev_b32_e32 v28, 16, v38
	v_pk_add_f32 v[22:23], v[26:27], v[22:23] neg_lo:[0,1] neg_hi:[0,1]
	v_pk_add_f32 v[18:19], v[28:29], v[18:19] neg_lo:[0,1] neg_hi:[0,1]
	v_pk_mul_f32 v[22:23], v[24:25], v[22:23]
	v_pk_mul_f32 v[18:19], v[32:33], v[18:19]
	s_waitcnt vmcnt(1)
	v_lshlrev_b32_e32 v31, 16, v39
	v_perm_b32 v19, v19, v18, s31
	v_perm_b32 v18, v23, v22, s31
	v_accvgpr_read_b32 v23, a5
	s_waitcnt vmcnt(0)
	v_lshlrev_b32_e32 v30, 16, v40
	v_accvgpr_read_b32 v22, a4
	v_pk_add_f32 v[22:23], v[30:31], v[22:23] neg_lo:[0,1] neg_hi:[0,1]
	v_accvgpr_read_b32 v21, a7
	v_accvgpr_read_b32 v20, a6
	v_pk_mul_f32 v[22:23], v[24:25], v[22:23]
	v_lshlrev_b32_e32 v25, 16, v35
	v_lshlrev_b32_e32 v24, 16, v37
	v_pk_add_f32 v[20:21], v[24:25], v[20:21] neg_lo:[0,1] neg_hi:[0,1]
	v_mov_b32_e32 v24, 0
	v_pk_mul_f32 v[20:21], v[32:33], v[20:21]
	v_mov_b32_e32 v25, 0
	v_perm_b32 v21, v21, v20, s31
	v_perm_b32 v20, v23, v22, s31
	ds_write2_b64 v74, v[18:19], v[20:21] offset1:16
	v_mov_b32_e32 v18, 0
	v_mov_b32_e32 v19, 0
	;; [unrolled: 1-line block ×14, first 2 shown]
	s_cbranch_vccnz .LBB392_14
; %bb.13:                               ;   in Loop: Header=BB392_6 Depth=1
	s_and_b32 s25, s25, 0xffff
	s_mov_b32 s27, s23
	buffer_load_dwordx4 v[30:33], v98, s[24:27], 0 offen
	buffer_load_dwordx4 v[22:25], v98, s[24:27], s55 offen
	buffer_load_dwordx4 v[26:29], v99, s[24:27], 0 offen
	buffer_load_dwordx4 v[18:21], v99, s[24:27], s55 offen
	v_mov_b32_e32 v115, v68
	v_mov_b32_e32 v116, v67
.LBB392_14:                             ;   in Loop: Header=BB392_6 Depth=1
	s_waitcnt lgkmcnt(0)
	s_barrier
	ds_read_b64 v[38:39], v102
	ds_read_b64 v[122:123], v97
	;; [unrolled: 1-line block ×5, first 2 shown]
	ds_read_b64 v[136:137], v94 offset:3072
	ds_read2_b64 v[34:37], v93 offset0:16 offset1:128
	s_waitcnt lgkmcnt(5)
	v_mfma_f32_16x16x16_bf16 a[0:3], v[38:39], v[122:123], 0
	s_add_i32 s3, s46, s58
	s_mul_hi_i32 s21, s3, s51
	s_mul_i32 s3, s3, s51
	s_waitcnt lgkmcnt(0)
	v_mfma_f32_16x16x16_bf16 a[4:7], v[38:39], v[34:35], 0
	ds_read_b64 v[38:39], v107
	ds_read2st64_b64 v[40:43], v94 offset0:2 offset1:4
	s_add_u32 s20, s3, s33
	s_addc_u32 s21, s21, s53
	s_lshl_b64 s[20:21], s[20:21], 15
	s_mul_i32 s24, s60, s51
	s_mul_hi_i32 s3, s60, s51
	s_add_u32 s24, s24, s33
	s_waitcnt lgkmcnt(1)
	v_mfma_f32_16x16x16_bf16 a[8:11], v[38:39], v[122:123], 0
	s_addc_u32 s25, s3, s53
	ds_read2st64_b64 v[118:121], v93 offset0:4 offset1:6
	s_lshl_b64 s[24:25], s[24:25], 9
	v_mfma_f32_16x16x16_bf16 a[0:3], v[124:125], v[36:37], a[0:3]
	s_add_u32 s24, s38, s24
	s_addc_u32 s25, s39, s25
	s_waitcnt lgkmcnt(1)
	v_mfma_f32_16x16x16_bf16 a[4:7], v[124:125], v[40:41], a[4:7]
	ds_read_b64 v[124:125], v108
	ds_read_b64 v[132:133], v109
	;; [unrolled: 1-line block ×3, first 2 shown]
	v_mfma_f32_16x16x16_bf16 a[12:15], v[38:39], v[34:35], 0
	s_waitcnt lgkmcnt(2)
	v_mfma_f32_16x16x16_bf16 a[8:11], v[124:125], v[36:37], a[8:11]
	global_load_dwordx4 v[34:37], v106, s[24:25]
	v_mfma_f32_16x16x16_bf16 a[12:15], v[124:125], v[40:41], a[12:15]
	global_load_dwordx4 v[38:41], v101, s[24:25]
	ds_read2st64_b64 v[122:125], v95 offset1:8
	s_waitcnt lgkmcnt(0)
	v_mov_b32_e32 v130, v122
	v_mfma_f32_16x16x16_bf16 a[0:3], v[126:127], v[118:119], a[0:3]
	v_mov_b32_e32 v131, v123
	v_mfma_f32_16x16x16_bf16 a[4:7], v[126:127], v[42:43], a[4:7]
	ds_read2st64_b64 v[126:129], v96 offset1:8
	v_mfma_f32_16x16x16_bf16 a[8:11], v[132:133], v[118:119], a[8:11]
	v_lshl_add_u64 v[118:119], v[58:59], 0, s[20:21]
	v_mfma_f32_16x16x16_bf16 a[16:19], v[132:133], v[42:43], a[12:15]
	v_add_co_u32_e32 v42, vcc, s17, v118
	s_waitcnt lgkmcnt(0)
	v_mov_b32_e32 v132, v126
	v_mfma_f32_16x16x16_bf16 a[0:3], v[134:135], v[120:121], a[0:3]
	v_mov_b32_e32 v133, v127
	v_mov_b32_e32 v126, v124
	;; [unrolled: 1-line block ×3, first 2 shown]
	v_mfma_f32_16x16x16_bf16 a[4:7], v[134:135], v[136:137], a[4:7]
	v_addc_co_u32_e32 v43, vcc, 0, v119, vcc
	global_store_dwordx4 v[42:43], v[126:129], off
	v_mfma_f32_16x16x16_bf16 a[12:15], v[138:139], v[120:121], a[8:11]
	s_and_b64 vcc, exec, s[0:1]
	global_store_dwordx4 v[118:119], v[130:133], off
	s_waitcnt vmcnt(3)
	v_mov_b32_e32 v44, v37
	v_mfma_f32_16x16x16_bf16 a[8:11], v[138:139], v[136:137], a[16:19]
	v_mov_b32_e32 v43, v36
	v_mov_b32_e32 v42, v35
	s_cbranch_vccnz .LBB392_16
; %bb.15:                               ;   in Loop: Header=BB392_6 Depth=1
	v_lshrrev_b32_e32 v35, 3, v115
	v_and_b32_e32 v35, 6, v35
	v_xor_b32_e32 v36, v35, v116
	v_lshlrev_b32_e32 v36, 2, v36
	v_and_b32_e32 v37, 8, v115
	v_xor_b32_e32 v115, 0x440, v36
	v_cmp_eq_u32_e32 vcc, 0, v37
	v_perm_b32 v37, v22, v18, s56
	s_nop 0
	v_cndmask_b32_e32 v36, v115, v36, vcc
	v_lshl_or_b32 v35, v35, 10, v36
	v_perm_b32 v36, v30, v26, s56
	s_barrier
	ds_write2st64_b32 v35, v36, v37 offset0:32 offset1:64
	v_xor_b32_e32 v36, 8, v35
	v_perm_b32 v26, v30, v26, s57
	v_perm_b32 v18, v22, v18, s57
	v_add_u32_e32 v22, 0x80, v36
	ds_write2st64_b32 v22, v26, v18 offset0:32 offset1:64
	v_xor_b32_e32 v18, 16, v35
	v_perm_b32 v22, v31, v27, s56
	v_perm_b32 v26, v23, v19, s56
	ds_write2st64_b32 v18, v22, v26 offset0:33 offset1:65
	v_xor_b32_e32 v18, 24, v35
	v_perm_b32 v22, v31, v27, s57
	v_perm_b32 v19, v23, v19, s57
	v_add_u32_e32 v18, 0x80, v18
	ds_write2st64_b32 v18, v22, v19 offset0:33 offset1:65
	v_xor_b32_e32 v18, 32, v35
	v_perm_b32 v19, v32, v28, s56
	v_perm_b32 v22, v24, v20, s56
	;; [unrolled: 9-line block ×3, first 2 shown]
	ds_write2st64_b32 v18, v19, v20 offset0:35 offset1:67
	v_xor_b32_e32 v18, 56, v35
	v_perm_b32 v19, v33, v29, s57
	v_perm_b32 v20, v25, v21, s57
	v_add_u32_e32 v18, 0x80, v18
	ds_write2st64_b32 v18, v19, v20 offset0:35 offset1:67
	ds_write_b64 v114, v[14:15] offset:24576
	v_xor_b32_e32 v14, 8, v114
	ds_write_b64 v14, v[16:17] offset:24576
	ds_write_b64 v114, v[10:11] offset:32768
	;; [unrolled: 1-line block ×4, first 2 shown]
	v_xor_b32_e32 v6, 8, v113
	ds_write_b64 v6, v[8:9] offset:24576
	ds_write_b64 v113, v[2:3] offset:32768
	;; [unrolled: 1-line block ×3, first 2 shown]
.LBB392_16:                             ;   in Loop: Header=BB392_6 Depth=1
	v_exp_f32_e32 v18, s2
	s_waitcnt vmcnt(2)
	v_exp_f32_e32 v20, v38
	v_exp_f32_e32 v21, v39
	;; [unrolled: 1-line block ×4, first 2 shown]
	v_accvgpr_read_b32 v13, a3
	v_accvgpr_read_b32 v11, a1
	;; [unrolled: 1-line block ×4, first 2 shown]
	v_pk_mul_f32 v[20:21], v[18:19], v[20:21] op_sel_hi:[0,1]
	v_accvgpr_read_b32 v12, a2
	v_accvgpr_read_b32 v7, a5
	;; [unrolled: 1-line block ×3, first 2 shown]
	v_pk_fma_f32 v[50:51], v[50:51], v[20:21], v[10:11]
	v_pk_mul_f32 v[10:11], v[18:19], v[22:23] op_sel_hi:[0,1]
	v_pk_fma_f32 v[54:55], v[54:55], v[10:11], v[12:13]
	v_fma_f32 v86, v86, v20, v6
	v_fma_f32 v85, v85, v21, v7
	v_exp_f32_e32 v6, v34
	v_exp_f32_e32 v7, v42
	;; [unrolled: 1-line block ×4, first 2 shown]
	v_accvgpr_read_b32 v8, a6
	v_accvgpr_read_b32 v17, a15
	;; [unrolled: 1-line block ×9, first 2 shown]
	v_fma_f32 v88, v88, v10, v8
	v_fmac_f32_e32 v9, v112, v11
	v_pk_mul_f32 v[6:7], v[18:19], v[6:7] op_sel_hi:[0,1]
	v_pk_mul_f32 v[10:11], v[18:19], v[12:13] op_sel_hi:[0,1]
	s_add_i32 s52, s52, 64
	v_pk_fma_f32 v[46:47], v[46:47], v[6:7], v[14:15]
	v_pk_fma_f32 v[48:49], v[48:49], v[10:11], v[16:17]
	v_fma_f32 v82, v82, v6, v2
	v_fma_f32 v81, v81, v7, v3
	v_fma_f32 v84, v84, v10, v4
	s_cmp_eq_u32 s45, s59
	v_fmac_f32_e32 v5, v111, v11
	s_cbranch_scc1 .LBB392_18
; %bb.17:                               ;   in Loop: Header=BB392_6 Depth=1
	s_mov_b32 s58, s59
	v_mov_b32_e32 v112, v9
	v_mov_b32_e32 v111, v5
	s_branch .LBB392_6
.LBB392_18:
	s_lshl_b32 s0, s45, 6
	s_sub_i32 s40, s47, s0
	s_cmp_gt_i32 s40, 0
	s_cbranch_scc0 .LBB392_83
; %bb.19:
	s_add_i32 s34, s0, s34
	s_ashr_i32 s2, s34, 31
	s_cmpk_lg_i32 s15, 0x80
	s_cselect_b64 s[26:27], -1, 0
	s_and_b64 vcc, exec, s[26:27]
	s_cbranch_vccz .LBB392_21
; %bb.20:
	s_mul_i32 s1, s34, s14
	s_ashr_i32 s3, s50, 31
	s_mul_hi_i32 s0, s34, s14
	s_add_u32 s38, s1, s50
	s_addc_u32 s39, s0, s3
	s_cbranch_execz .LBB392_22
	s_branch .LBB392_23
.LBB392_21:
                                        ; implicit-def: $sgpr38_sgpr39
.LBB392_22:
	s_mul_i32 s1, s50, s12
	s_mul_hi_i32 s0, s50, s12
	s_add_u32 s38, s1, s34
	s_addc_u32 s39, s0, s2
.LBB392_23:
	s_add_i32 s3, s45, s46
	s_ashr_i32 s12, s33, 31
	s_add_u32 s0, s49, s34
	v_lshlrev_b32_e32 v8, 5, v65
	v_lshlrev_b32_e32 v22, 2, v45
	s_addc_u32 s1, s48, s2
	s_mov_b32 s2, 0x7060302
	v_or_b32_e32 v11, v8, v22
	v_xor_b32_e32 v4, v65, v22
	v_perm_b32 v3, v55, v54, s2
	v_perm_b32 v2, v51, v50, s2
	;; [unrolled: 1-line block ×4, first 2 shown]
	v_lshlrev_b32_e32 v11, 1, v11
	s_lshl_b64 s[24:25], s[0:1], 8
	v_xor_b32_e32 v10, v66, v22
	ds_write2st64_b64 v11, v[2:3], v[6:7] offset0:80 offset1:88
	v_lshlrev_b32_e32 v11, 1, v4
	v_lshlrev_b32_e32 v4, 8, v45
	s_add_u32 s0, s6, s24
	v_or_b32_e32 v12, v11, v4
	v_lshlrev_b32_e32 v10, 1, v10
	s_addc_u32 s1, s7, s25
	ds_write_b64 v12, v[2:3]
	v_or_b32_e32 v2, v10, v4
	s_mul_hi_i32 s6, s3, s13
	s_mul_i32 s3, s3, s13
	ds_write_b64 v2, v[6:7]
	v_perm_b32 v3, v9, v88, s2
	v_perm_b32 v2, v85, v86, s2
	;; [unrolled: 1-line block ×4, first 2 shown]
	v_or_b32_e32 v6, 16, v45
	s_add_u32 s2, s3, s33
	v_lshlrev_b32_e32 v19, 2, v6
	s_addc_u32 s3, s6, s12
	v_or_b32_e32 v7, v8, v19
	s_ashr_i32 s31, s30, 31
	s_lshl_b64 s[2:3], s[2:3], 15
	v_lshlrev_b32_e32 v7, 1, v7
	v_lshlrev_b32_e32 v6, 8, v6
	s_add_u32 s6, s36, s2
	ds_write2st64_b64 v7, v[2:3], v[4:5] offset0:80 offset1:88
	v_or_b32_e32 v7, v11, v6
	s_addc_u32 s7, s37, s3
	s_lshl_b64 s[2:3], s[30:31], 8
	ds_write_b64 v7, v[2:3]
	v_or_b32_e32 v2, v10, v6
	s_add_u32 s2, s6, s2
	ds_write_b64 v2, v[4:5]
	v_lshrrev_b32_e32 v2, 4, v0
	s_addc_u32 s3, s7, s3
	v_lshlrev_b32_e32 v3, 1, v45
	v_lshlrev_b32_e32 v10, 4, v45
	v_mov_b32_e32 v11, 0
	v_or_b32_e32 v4, 1, v3
	v_xor_b32_e32 v3, v2, v3
	v_lshl_add_u64 v[12:13], s[2:3], 0, v[10:11]
	v_lshlrev_b32_e32 v10, 8, v2
	v_xor_b32_e32 v6, v4, v2
	v_lshl_or_b32 v2, v3, 3, v10
	s_waitcnt lgkmcnt(0)
	s_barrier
	ds_read2st64_b64 v[2:5], v2 offset1:8
	v_lshl_or_b32 v6, v6, 3, v10
	ds_read2st64_b64 v[6:9], v6 offset1:8
	v_lshl_add_u64 v[14:15], v[12:13], 0, v[10:11]
	s_movk_i32 s2, 0x1000
	s_waitcnt lgkmcnt(1)
	v_mov_b32_e32 v10, v2
	v_add_co_u32_e32 v2, vcc, s2, v14
	s_cmp_lg_u32 s40, 64
	v_mov_b32_e32 v11, v3
	v_addc_co_u32_e32 v3, vcc, 0, v15, vcc
	s_cselect_b64 s[6:7], -1, 0
	v_lshl_or_b32 v23, v61, 3, v64
	s_waitcnt lgkmcnt(0)
	v_mov_b32_e32 v12, v6
	v_mov_b32_e32 v13, v7
	;; [unrolled: 1-line block ×4, first 2 shown]
	s_mov_b32 s20, 0
	v_or_b32_e32 v20, 32, v23
	v_and_b32_e32 v18, 56, v63
	s_and_b64 vcc, exec, s[6:7]
	global_store_dwordx4 v[14:15], v[10:13], off
	global_store_dwordx4 v[2:3], v[6:9], off
	s_cbranch_vccz .LBB392_29
; %bb.24:
	s_mov_b32 s21, s20
	s_mov_b32 s22, s20
	;; [unrolled: 1-line block ×3, first 2 shown]
	v_mov_b64_e32 v[6:7], s[20:21]
	v_mov_b64_e32 v[8:9], s[22:23]
	;; [unrolled: 1-line block ×3, first 2 shown]
	v_cmp_gt_i32_e32 vcc, s40, v23
	v_mov_b64_e32 v[4:5], v[8:9]
	s_and_saveexec_b64 s[2:3], vcc
	s_cbranch_execz .LBB392_26
; %bb.25:
	v_lshlrev_b32_e32 v2, 8, v23
	v_mov_b32_e32 v3, 0
	v_lshl_add_u64 v[4:5], s[0:1], 0, v[2:3]
	v_lshlrev_b32_e32 v2, 1, v18
	v_lshl_add_u64 v[10:11], v[4:5], 0, v[2:3]
	global_load_dwordx4 v[6:9], v[10:11], off
	global_load_dwordx4 v[2:5], v[10:11], off offset:128
.LBB392_26:
	s_or_b64 exec, exec, s[2:3]
	s_mov_b32 s21, s20
	s_mov_b32 s22, s20
	;; [unrolled: 1-line block ×3, first 2 shown]
	v_mov_b64_e32 v[14:15], s[20:21]
	v_mov_b64_e32 v[16:17], s[22:23]
	v_mov_b64_e32 v[10:11], v[14:15]
	v_cmp_gt_i32_e32 vcc, s40, v20
	v_lshlrev_b32_e32 v21, 7, v20
	v_mov_b64_e32 v[12:13], v[16:17]
	s_and_saveexec_b64 s[2:3], vcc
	s_cbranch_execz .LBB392_28
; %bb.27:
	v_lshlrev_b32_e32 v10, 1, v21
	v_mov_b32_e32 v11, 0
	v_lshl_add_u64 v[12:13], s[0:1], 0, v[10:11]
	v_lshlrev_b32_e32 v10, 1, v18
	v_lshl_add_u64 v[24:25], v[12:13], 0, v[10:11]
	global_load_dwordx4 v[14:17], v[24:25], off
	global_load_dwordx4 v[10:13], v[24:25], off offset:128
.LBB392_28:
	s_or_b64 exec, exec, s[2:3]
	v_lshrrev_b32_e32 v24, 3, v18
	v_lshlrev_b32_e32 v25, 3, v23
	v_or_b32_e32 v24, v25, v24
	v_lshlrev_b32_e32 v24, 4, v24
	v_and_b32_e32 v25, 0x78, v25
	v_xor_b32_e32 v24, v24, v25
	s_branch .LBB392_31
.LBB392_29:
                                        ; implicit-def: $vgpr24
                                        ; implicit-def: $vgpr21
                                        ; implicit-def: $vgpr6_vgpr7_vgpr8_vgpr9
                                        ; implicit-def: $vgpr2_vgpr3_vgpr4_vgpr5
                                        ; implicit-def: $vgpr14_vgpr15_vgpr16_vgpr17
                                        ; implicit-def: $vgpr10_vgpr11_vgpr12_vgpr13
	s_cbranch_execz .LBB392_31
; %bb.30:
	s_waitcnt vmcnt(0)
	v_lshlrev_b32_e32 v2, 1, v18
	v_lshl_or_b32 v21, v23, 8, v2
	s_and_b32 s1, s1, 0xffff
	s_mov_b32 s3, 0x20000
	s_movk_i32 s2, 0x4000
	v_lshl_or_b32 v24, v20, 8, v2
	s_movk_i32 s13, 0x80
	buffer_load_dwordx4 v[6:9], v21, s[0:3], 0 offen
	buffer_load_dwordx4 v[2:5], v21, s[0:3], s13 offen
	;; [unrolled: 1-line block ×4, first 2 shown]
	v_lshrrev_b32_e32 v21, 3, v18
	v_lshlrev_b32_e32 v24, 3, v23
	v_or_b32_e32 v21, v24, v21
	v_lshlrev_b32_e32 v21, 4, v21
	v_and_b32_e32 v24, 0x78, v24
	v_xor_b32_e32 v24, v21, v24
	v_lshlrev_b32_e32 v21, 7, v20
.LBB392_31:
	s_lshl_b64 s[0:1], s[38:39], 8
	s_add_u32 s4, s4, s0
	s_movk_i32 s0, 0x1000
	v_and_or_b32 v20, v21, s0, v24
	s_waitcnt vmcnt(1)
	ds_write_b64 v24, v[6:7] offset:24576
	v_xor_b32_e32 v6, 8, v24
	ds_write_b64 v6, v[8:9] offset:24576
	s_waitcnt vmcnt(0)
	ds_write_b64 v24, v[2:3] offset:32768
	ds_write_b64 v6, v[4:5] offset:32768
	;; [unrolled: 1-line block ×3, first 2 shown]
	v_xor_b32_e32 v2, 8, v20
	ds_write_b64 v2, v[16:17] offset:24576
	ds_write_b64 v20, v[10:11] offset:32768
	;; [unrolled: 1-line block ×3, first 2 shown]
	v_or_b32_e32 v2, v1, v45
	v_lshlrev_b32_e32 v3, 11, v61
	v_lshlrev_b32_e32 v2, 3, v2
	v_and_b32_e32 v6, 0x1000, v3
	v_lshrrev_b32_e32 v3, 5, v60
	s_movk_i32 s13, 0xf8
	v_and_or_b32 v3, v2, s13, v3
	v_lshlrev_b32_e32 v7, 4, v3
	v_and_b32_e32 v8, 0x78, v2
	v_or_b32_e32 v10, 32, v7
	v_lshrrev_b32_e32 v3, 1, v60
	v_xor_b32_e32 v10, v10, v8
	v_xor_b32_e32 v2, v7, v8
	v_and_b32_e32 v9, 8, v3
	v_or_b32_e32 v10, v10, v6
	v_or_b32_e32 v2, v2, v6
	v_xor_b32_e32 v26, v10, v9
	v_or_b32_e32 v10, 64, v7
	v_xor_b32_e32 v25, v2, v9
	v_xor_b32_e32 v10, v10, v8
	s_waitcnt lgkmcnt(0)
	s_barrier
	v_or_b32_e32 v12, v10, v6
	ds_read_b64 v[10:11], v25 offset:24576
	v_lshl_or_b32 v20, v62, 7, v22
	v_lshlrev_b32_e32 v24, 1, v20
	v_add_u32_e32 v2, 0xa000, v24
	ds_read2_b64 v[2:5], v2 offset1:16
	v_or_b32_e32 v7, 0x60, v7
	v_xor_b32_e32 v7, v7, v8
	s_waitcnt lgkmcnt(0)
	v_mfma_f32_16x16x16_bf16 a[0:3], v[10:11], v[2:3], 0
	v_or_b32_e32 v2, 64, v20
	v_or_b32_e32 v6, v7, v6
	v_lshlrev_b32_e32 v29, 1, v2
	v_xor_b32_e32 v27, v12, v9
	v_xor_b32_e32 v28, v6, v9
	ds_read_b64 v[12:13], v26 offset:24576
	ds_read_b64 v[14:15], v27 offset:24576
	;; [unrolled: 1-line block ×3, first 2 shown]
	v_mfma_f32_16x16x16_bf16 a[4:7], v[10:11], v[4:5], 0
	ds_read2st64_b64 v[2:5], v29 offset0:82 offset1:84
	ds_read2st64_b64 v[6:9], v24 offset0:82 offset1:84
	s_addc_u32 s5, s5, s1
	s_add_i32 s0, s43, s42
	s_add_i32 s2, s35, -1
	s_add_i32 s17, s0, s44
	s_mul_i32 s0, s33, s19
	s_mul_hi_u32 s1, s33, s18
	s_add_i32 s0, s1, s0
	s_mul_i32 s1, s12, s18
	s_ashr_i32 s3, s2, 31
	s_mul_i32 s12, s2, s29
	s_mul_hi_u32 s13, s2, s28
	s_add_i32 s12, s13, s12
	s_mul_i32 s3, s3, s28
	s_waitcnt lgkmcnt(1)
	v_mfma_f32_16x16x16_bf16 a[4:7], v[12:13], v[2:3], a[4:7]
	s_add_i32 s1, s0, s1
	s_add_i32 s3, s12, s3
	s_lshl_b64 s[12:13], s[16:17], 2
	s_waitcnt lgkmcnt(0)
	v_mfma_f32_16x16x16_bf16 a[0:3], v[12:13], v[6:7], a[0:3]
	s_mul_i32 s0, s33, s18
	s_add_u32 s10, s10, s12
	s_addc_u32 s11, s11, s13
	s_lshl_b64 s[0:1], s[0:1], 2
	s_mul_i32 s2, s2, s28
	s_add_u32 s10, s10, s0
	ds_read_b64 v[2:3], v24 offset:44032
	v_mfma_f32_16x16x16_bf16 a[4:7], v[14:15], v[4:5], a[4:7]
	ds_read_b64 v[4:5], v29 offset:44032
	s_addc_u32 s11, s11, s1
	s_lshl_b64 s[0:1], s[2:3], 2
	v_mfma_f32_16x16x16_bf16 a[0:3], v[14:15], v[8:9], a[0:3]
	s_add_u32 s0, s10, s0
	s_addc_u32 s1, s11, s1
	s_load_dword s12, s[0:1], 0x0
	s_waitcnt lgkmcnt(0)
	v_mfma_f32_16x16x16_bf16 a[0:3], v[16:17], v[2:3], a[0:3]
	s_and_b64 vcc, exec, s[26:27]
	v_mfma_f32_16x16x16_bf16 a[4:7], v[16:17], v[4:5], a[4:7]
	s_cbranch_vccz .LBB392_42
; %bb.32:
	v_lshlrev_b32_e32 v20, 1, v23
	s_and_b64 vcc, exec, s[6:7]
	s_cbranch_vccz .LBB392_43
; %bb.33:
	v_cmp_gt_i32_e32 vcc, s40, v20
	v_mov_b32_e32 v6, 0
	v_mov_b32_e32 v2, 0
	;; [unrolled: 1-line block ×5, first 2 shown]
	s_and_saveexec_b64 s[0:1], vcc
	s_cbranch_execz .LBB392_35
; %bb.34:
	v_mad_i64_i32 v[2:3], s[2:3], s15, v20, 0
	v_lshl_add_u64 v[2:3], v[2:3], 1, s[4:5]
	v_lshlrev_b32_e32 v4, 1, v18
	v_mov_b32_e32 v5, 0
	v_lshl_add_u64 v[2:3], v[2:3], 0, v[4:5]
	global_load_dwordx4 v[2:5], v[2:3], off
.LBB392_35:
	s_or_b64 exec, exec, s[0:1]
	v_or_b32_e32 v21, 1, v20
	v_cmp_gt_i32_e64 s[0:1], s40, v21
	v_mov_b32_e32 v7, 0
	v_mov_b32_e32 v8, 0
	;; [unrolled: 1-line block ×3, first 2 shown]
	s_and_saveexec_b64 s[2:3], s[0:1]
	s_cbranch_execz .LBB392_37
; %bb.36:
	v_mad_i64_i32 v[6:7], s[16:17], s15, v21, 0
	v_lshl_add_u64 v[6:7], v[6:7], 1, s[4:5]
	v_lshlrev_b32_e32 v8, 1, v18
	v_mov_b32_e32 v9, 0
	v_lshl_add_u64 v[6:7], v[6:7], 0, v[8:9]
	global_load_dwordx4 v[6:9], v[6:7], off
.LBB392_37:
	s_or_b64 exec, exec, s[2:3]
	v_mov_b32_e32 v17, 0
	v_mov_b32_e32 v10, 0
	;; [unrolled: 1-line block ×5, first 2 shown]
	s_and_saveexec_b64 s[2:3], vcc
	s_cbranch_execz .LBB392_39
; %bb.38:
	v_mad_i64_i32 v[10:11], s[16:17], s15, v20, 0
	v_lshl_add_u64 v[10:11], v[10:11], 1, s[4:5]
	v_lshlrev_b32_e32 v12, 1, v18
	v_mov_b32_e32 v13, 0
	v_lshl_add_u64 v[10:11], v[10:11], 0, v[12:13]
	global_load_dwordx4 v[10:13], v[10:11], off offset:128
.LBB392_39:
	s_or_b64 exec, exec, s[2:3]
	v_mov_b32_e32 v16, 0
	v_mov_b32_e32 v15, 0
	;; [unrolled: 1-line block ×3, first 2 shown]
	s_and_saveexec_b64 s[2:3], s[0:1]
	s_cbranch_execz .LBB392_41
; %bb.40:
	v_mad_i64_i32 v[14:15], s[0:1], s15, v21, 0
	v_lshl_add_u64 v[14:15], v[14:15], 1, s[4:5]
	v_lshlrev_b32_e32 v16, 1, v18
	v_mov_b32_e32 v17, 0
	v_lshl_add_u64 v[14:15], v[14:15], 0, v[16:17]
	global_load_dwordx4 v[14:17], v[14:15], off offset:128
.LBB392_41:
	s_or_b64 exec, exec, s[2:3]
	s_branch .LBB392_45
.LBB392_42:
                                        ; implicit-def: $vgpr5
                                        ; implicit-def: $vgpr9
                                        ; implicit-def: $vgpr13
                                        ; implicit-def: $vgpr17
	v_lshrrev_b32_e32 v30, 2, v60
	s_branch .LBB392_46
.LBB392_43:
                                        ; implicit-def: $vgpr5
                                        ; implicit-def: $vgpr9
                                        ; implicit-def: $vgpr13
                                        ; implicit-def: $vgpr17
	s_cbranch_execz .LBB392_45
; %bb.44:
	s_waitcnt vmcnt(0)
	v_mad_u64_u32 v[2:3], s[0:1], v20, s15, v[18:19]
	v_lshlrev_b32_e32 v20, 1, v2
	s_lshl_b32 s2, s15, 7
	s_and_b32 s1, s5, 0xffff
	s_mov_b32 s3, 0x20000
	s_mov_b32 s0, s4
	v_add_lshl_u32 v21, v2, s15, 1
	s_movk_i32 s13, 0x80
	buffer_load_dwordx4 v[2:5], v20, s[0:3], 0 offen
	buffer_load_dwordx4 v[10:13], v20, s[0:3], s13 offen
	;; [unrolled: 1-line block ×4, first 2 shown]
.LBB392_45:
	v_lshrrev_b32_e32 v30, 2, v60
	s_cbranch_execnz .LBB392_58
.LBB392_46:
	s_and_b64 vcc, exec, s[6:7]
	s_cbranch_vccz .LBB392_56
; %bb.47:
	s_waitcnt vmcnt(0)
	v_lshlrev_b32_e32 v7, 1, v23
	v_cmp_gt_i32_e32 vcc, s40, v7
	v_mov_b32_e32 v6, 0
	v_lshlrev_b32_e32 v14, 9, v23
	v_mov_b32_e32 v2, 0
	v_mov_b32_e32 v3, 0
	;; [unrolled: 1-line block ×4, first 2 shown]
	s_and_saveexec_b64 s[0:1], vcc
	s_cbranch_execz .LBB392_49
; %bb.48:
	v_mov_b32_e32 v15, 0
	v_lshl_add_u64 v[2:3], s[4:5], 0, v[14:15]
	v_lshlrev_b32_e32 v4, 1, v18
	v_mov_b32_e32 v5, v15
	v_lshl_add_u64 v[2:3], v[2:3], 0, v[4:5]
	global_load_dwordx4 v[2:5], v[2:3], off
.LBB392_49:
	s_or_b64 exec, exec, s[0:1]
	v_or_b32_e32 v7, 1, v7
	v_cmp_gt_i32_e64 s[0:1], s40, v7
	v_lshlrev_b32_e32 v20, 8, v7
	v_mov_b32_e32 v7, 0
	v_mov_b32_e32 v8, 0
	;; [unrolled: 1-line block ×3, first 2 shown]
	s_and_saveexec_b64 s[2:3], s[0:1]
	s_cbranch_execz .LBB392_51
; %bb.50:
	v_mov_b32_e32 v21, 0
	v_lshl_add_u64 v[6:7], s[4:5], 0, v[20:21]
	v_lshlrev_b32_e32 v8, 1, v18
	v_mov_b32_e32 v9, v21
	v_lshl_add_u64 v[6:7], v[6:7], 0, v[8:9]
	global_load_dwordx4 v[6:9], v[6:7], off
.LBB392_51:
	s_or_b64 exec, exec, s[2:3]
	v_mov_b32_e32 v17, 0
	v_mov_b32_e32 v10, 0
	;; [unrolled: 1-line block ×5, first 2 shown]
	s_and_saveexec_b64 s[2:3], vcc
	s_cbranch_execz .LBB392_53
; %bb.52:
	v_mov_b32_e32 v15, 0
	v_lshl_add_u64 v[10:11], s[4:5], 0, v[14:15]
	v_lshlrev_b32_e32 v14, 1, v18
	v_lshl_add_u64 v[10:11], v[10:11], 0, v[14:15]
	global_load_dwordx4 v[10:13], v[10:11], off offset:128
.LBB392_53:
	s_or_b64 exec, exec, s[2:3]
	v_mov_b32_e32 v16, 0
	v_mov_b32_e32 v15, 0
	;; [unrolled: 1-line block ×3, first 2 shown]
	s_and_saveexec_b64 s[2:3], s[0:1]
	s_cbranch_execz .LBB392_55
; %bb.54:
	v_mov_b32_e32 v21, 0
	v_lshl_add_u64 v[14:15], s[4:5], 0, v[20:21]
	v_lshlrev_b32_e32 v20, 1, v18
	v_lshl_add_u64 v[14:15], v[14:15], 0, v[20:21]
	global_load_dwordx4 v[14:17], v[14:15], off offset:128
.LBB392_55:
	s_or_b64 exec, exec, s[2:3]
	s_branch .LBB392_58
.LBB392_56:
                                        ; implicit-def: $vgpr5
                                        ; implicit-def: $vgpr9
                                        ; implicit-def: $vgpr13
                                        ; implicit-def: $vgpr17
	s_cbranch_execz .LBB392_58
; %bb.57:
	s_waitcnt vmcnt(0)
	v_lshlrev_b32_e32 v2, 1, v18
	v_lshl_or_b32 v18, v23, 9, v2
	s_and_b32 s5, s5, 0xffff
	s_mov_b32 s7, 0x20000
	s_movk_i32 s6, 0x4000
	s_movk_i32 s0, 0x80
	buffer_load_dwordx4 v[2:5], v18, s[4:7], 0 offen
	buffer_load_dwordx4 v[6:9], v18, s[4:7], 0 offen offset:256
	buffer_load_dwordx4 v[10:13], v18, s[4:7], s0 offen
	buffer_load_dwordx4 v[14:17], v18, s[4:7], s0 offen offset:256
.LBB392_58:
	ds_read_b64 v[20:21], v25 offset:32768
	v_add_u32_e32 v18, 0xb000, v24
	ds_read2_b64 v[32:35], v18 offset1:16
	ds_read_b64 v[40:41], v26 offset:32768
	ds_read_b64 v[26:27], v27 offset:32768
	;; [unrolled: 1-line block ×3, first 2 shown]
	v_and_b32_e32 v18, 6, v0
	v_xor_b32_e32 v23, v23, v18
	v_lshlrev_b32_e32 v23, 2, v23
	v_and_b32_e32 v0, 1, v0
	v_xor_b32_e32 v28, 0x440, v23
	v_cmp_eq_u32_e32 vcc, 0, v0
	s_waitcnt lgkmcnt(3)
	v_mfma_f32_16x16x16_bf16 a[0:3], v[20:21], v[32:33], a[0:3]
	s_mov_b32 s0, 0x1000504
	v_cndmask_b32_e32 v0, v28, v23, vcc
	v_lshl_or_b32 v0, v18, 10, v0
	v_mfma_f32_16x16x16_bf16 a[4:7], v[20:21], v[34:35], a[4:7]
	ds_read2st64_b64 v[32:35], v24 offset0:90 offset1:92
	ds_read2st64_b64 v[36:39], v29 offset0:90 offset1:92
	ds_read_b64 v[20:21], v24 offset:48128
	ds_read_b64 v[24:25], v29 offset:48128
	s_waitcnt vmcnt(0)
	v_perm_b32 v18, v2, v6, s0
	s_waitcnt lgkmcnt(3)
	v_mfma_f32_16x16x16_bf16 a[0:3], v[40:41], v[32:33], a[0:3]
	s_mov_b32 s1, 0x3020706
	v_perm_b32 v2, v2, v6, s1
	v_perm_b32 v6, v10, v14, s1
	s_waitcnt lgkmcnt(2)
	v_mfma_f32_16x16x16_bf16 a[4:7], v[40:41], v[36:37], a[4:7]
	v_mfma_f32_16x16x16_bf16 a[0:3], v[26:27], v[34:35], a[0:3]
	;; [unrolled: 1-line block ×3, first 2 shown]
	s_waitcnt lgkmcnt(1)
	v_mfma_f32_16x16x16_bf16 a[4:7], v[42:43], v[20:21], a[0:3]
	v_perm_b32 v20, v10, v14, s0
	ds_write2st64_b32 v0, v18, v20 offset0:32 offset1:64
	v_xor_b32_e32 v18, 8, v0
	v_add_u32_e32 v10, 0x80, v18
	ds_write2st64_b32 v10, v2, v6 offset0:32 offset1:64
	v_xor_b32_e32 v2, 16, v0
	v_perm_b32 v6, v3, v7, s0
	v_perm_b32 v10, v11, v15, s0
	ds_write2st64_b32 v2, v6, v10 offset0:33 offset1:65
	v_xor_b32_e32 v2, 24, v0
	v_perm_b32 v3, v3, v7, s1
	v_perm_b32 v6, v11, v15, s1
	v_add_u32_e32 v2, 0x80, v2
	ds_write2st64_b32 v2, v3, v6 offset0:33 offset1:65
	v_xor_b32_e32 v2, 32, v0
	v_perm_b32 v3, v4, v8, s0
	v_perm_b32 v6, v12, v16, s0
	s_waitcnt lgkmcnt(4)
	v_mfma_f32_16x16x16_bf16 a[0:3], v[42:43], v[24:25], a[8:11]
	ds_write2st64_b32 v2, v3, v6 offset0:34 offset1:66
	v_xor_b32_e32 v2, 40, v0
	v_perm_b32 v3, v4, v8, s1
	v_perm_b32 v4, v12, v16, s1
	v_add_u32_e32 v2, 0x80, v2
	ds_write2st64_b32 v2, v3, v4 offset0:34 offset1:66
	v_xor_b32_e32 v2, 48, v0
	v_perm_b32 v3, v5, v9, s0
	v_perm_b32 v4, v13, v17, s0
	v_xor_b32_e32 v0, 56, v0
	v_and_or_b32 v18, v30, 12, v1
	ds_write2st64_b32 v2, v3, v4 offset0:35 offset1:67
	v_perm_b32 v2, v5, v9, s1
	v_perm_b32 v3, v13, v17, s1
	v_add_u32_e32 v0, 0x80, v0
	v_cmp_gt_i32_e32 vcc, s40, v18
	v_mov_b32_e32 v14, 0
	v_mov_b32_e32 v16, 0
	ds_write2st64_b32 v0, v2, v3 offset0:35 offset1:67
	s_and_saveexec_b64 s[0:1], vcc
	s_cbranch_execz .LBB392_60
; %bb.59:
	v_add_u32_e32 v0, s34, v18
	v_ashrrev_i32_e32 v1, 31, v0
	v_mul_lo_u32 v2, v1, s28
	v_mul_lo_u32 v3, v0, s29
	v_mad_u64_u32 v[0:1], s[2:3], v0, s28, 0
	v_add3_u32 v1, v1, v3, v2
	v_lshl_add_u64 v[0:1], v[0:1], 2, s[10:11]
	global_load_dword v0, v[0:1], off
	s_waitcnt vmcnt(0)
	v_sub_f32_e32 v0, s12, v0
	v_exp_f32_e32 v16, v0
.LBB392_60:
	s_or_b64 exec, exec, s[0:1]
	v_or_b32_e32 v8, 1, v18
	v_cmp_gt_i32_e64 s[0:1], s40, v8
	s_and_saveexec_b64 s[2:3], s[0:1]
	s_cbranch_execz .LBB392_62
; %bb.61:
	v_add_u32_e32 v0, s34, v8
	v_ashrrev_i32_e32 v1, 31, v0
	v_mul_lo_u32 v2, v1, s28
	v_mul_lo_u32 v3, v0, s29
	v_mad_u64_u32 v[0:1], s[4:5], v0, s28, 0
	v_add3_u32 v1, v1, v3, v2
	v_lshl_add_u64 v[0:1], v[0:1], 2, s[10:11]
	global_load_dword v0, v[0:1], off
	s_waitcnt vmcnt(0)
	v_sub_f32_e32 v0, s12, v0
	v_exp_f32_e32 v14, v0
.LBB392_62:
	s_or_b64 exec, exec, s[2:3]
	v_or_b32_e32 v10, 2, v18
	v_cmp_gt_i32_e64 s[2:3], s40, v10
	v_mov_b32_e32 v15, 0
	v_mov_b32_e32 v17, 0
	s_and_saveexec_b64 s[4:5], s[2:3]
	s_cbranch_execz .LBB392_64
; %bb.63:
	v_add_u32_e32 v0, s34, v10
	v_ashrrev_i32_e32 v1, 31, v0
	v_mul_lo_u32 v2, v1, s28
	v_mul_lo_u32 v3, v0, s29
	v_mad_u64_u32 v[0:1], s[6:7], v0, s28, 0
	v_add3_u32 v1, v1, v3, v2
	v_lshl_add_u64 v[0:1], v[0:1], 2, s[10:11]
	global_load_dword v0, v[0:1], off
	s_waitcnt vmcnt(0)
	v_sub_f32_e32 v0, s12, v0
	v_exp_f32_e32 v17, v0
.LBB392_64:
	s_or_b64 exec, exec, s[4:5]
	v_or_b32_e32 v12, 3, v18
	v_cmp_gt_i32_e64 s[4:5], s40, v12
	s_and_saveexec_b64 s[6:7], s[4:5]
	s_cbranch_execz .LBB392_66
; %bb.65:
	v_add_u32_e32 v0, s34, v12
	v_ashrrev_i32_e32 v1, 31, v0
	v_mul_lo_u32 v2, v1, s28
	v_mul_lo_u32 v3, v0, s29
	v_mad_u64_u32 v[0:1], s[14:15], v0, s28, 0
	v_add3_u32 v1, v1, v3, v2
	v_lshl_add_u64 v[0:1], v[0:1], 2, s[10:11]
	global_load_dword v0, v[0:1], off
	s_waitcnt vmcnt(0)
	v_sub_f32_e32 v0, s12, v0
	v_exp_f32_e32 v15, v0
.LBB392_66:
	s_or_b64 exec, exec, s[6:7]
	v_or_b32_e32 v4, s30, v45
	s_add_u32 s6, s8, s24
	v_accvgpr_read_b32 v0, a4
	s_addc_u32 s7, s9, s25
	v_ashrrev_i32_e32 v5, 31, v4
	v_accvgpr_read_b32 v1, a5
	v_accvgpr_read_b32 v2, a6
	v_accvgpr_read_b32 v3, a7
	v_lshl_add_u64 v[4:5], v[4:5], 1, s[6:7]
	v_mov_b32_e32 v9, 0
	v_lshlrev_b32_e32 v6, 8, v18
	v_mov_b32_e32 v7, 0
	s_and_saveexec_b64 s[6:7], vcc
	s_cbranch_execz .LBB392_68
; %bb.67:
	v_mov_b32_e32 v7, 0
	v_lshl_add_u64 v[20:21], v[4:5], 0, v[6:7]
	global_load_ushort v7, v[20:21], off
	s_waitcnt vmcnt(0)
	v_lshlrev_b32_e32 v7, 16, v7
	v_sub_f32_e32 v0, v7, v0
	v_mul_f32_e32 v0, v16, v0
	v_lshrrev_b32_e32 v7, 16, v0
.LBB392_68:
	s_or_b64 exec, exec, s[6:7]
	v_lshlrev_b32_e32 v8, 8, v8
	s_and_saveexec_b64 s[6:7], s[0:1]
	s_cbranch_execz .LBB392_70
; %bb.69:
	v_mov_b32_e32 v9, 0
	v_lshl_add_u64 v[20:21], v[4:5], 0, v[8:9]
	global_load_ushort v0, v[20:21], off
	s_waitcnt vmcnt(0)
	v_lshlrev_b32_e32 v0, 16, v0
	v_sub_f32_e32 v0, v0, v1
	v_mul_f32_e32 v0, v14, v0
	v_lshrrev_b32_e32 v9, 16, v0
.LBB392_70:
	s_or_b64 exec, exec, s[6:7]
	v_mov_b32_e32 v13, 0
	v_lshlrev_b32_e32 v10, 8, v10
	v_mov_b32_e32 v11, 0
	s_and_saveexec_b64 s[6:7], s[2:3]
	s_cbranch_execz .LBB392_72
; %bb.71:
	v_mov_b32_e32 v11, 0
	v_lshl_add_u64 v[0:1], v[4:5], 0, v[10:11]
	global_load_ushort v0, v[0:1], off
	s_waitcnt vmcnt(0)
	v_lshlrev_b32_e32 v0, 16, v0
	v_sub_f32_e32 v0, v0, v2
	v_mul_f32_e32 v0, v17, v0
	v_lshrrev_b32_e32 v11, 16, v0
.LBB392_72:
	s_or_b64 exec, exec, s[6:7]
	v_lshlrev_b32_e32 v12, 8, v12
	s_and_saveexec_b64 s[6:7], s[4:5]
	s_cbranch_execz .LBB392_74
; %bb.73:
	v_mov_b32_e32 v13, 0
	v_lshl_add_u64 v[0:1], v[4:5], 0, v[12:13]
	global_load_ushort v0, v[0:1], off
	s_waitcnt vmcnt(0)
	v_lshlrev_b32_e32 v0, 16, v0
	v_sub_f32_e32 v0, v0, v3
	v_mul_f32_e32 v0, v15, v0
	v_lshrrev_b32_e32 v13, 16, v0
.LBB392_74:
	s_or_b64 exec, exec, s[6:7]
	v_lshlrev_b32_e32 v18, 5, v18
	s_mov_b32 s6, 0x5040100
	v_perm_b32 v20, v9, v7, s6
	v_or_b32_e32 v7, v18, v22
	v_accvgpr_read_b32 v0, a0
	v_perm_b32 v21, v13, v11, s6
	v_lshlrev_b32_e32 v7, 1, v7
	v_accvgpr_read_b32 v1, a1
	v_accvgpr_read_b32 v2, a2
	;; [unrolled: 1-line block ×3, first 2 shown]
	ds_write_b64 v7, v[20:21] offset:45056
	v_mov_b32_e32 v9, 0
	v_mov_b32_e32 v7, 0
	s_and_saveexec_b64 s[6:7], vcc
	s_cbranch_execz .LBB392_76
; %bb.75:
	v_mov_b32_e32 v7, 0
	v_lshl_add_u64 v[6:7], v[4:5], 0, v[6:7]
	global_load_ushort v6, v[6:7], off offset:32
	s_waitcnt vmcnt(0)
	v_lshlrev_b32_e32 v6, 16, v6
	v_sub_f32_e32 v0, v6, v0
	v_mul_f32_e32 v0, v16, v0
	v_lshrrev_b32_e32 v7, 16, v0
.LBB392_76:
	s_or_b64 exec, exec, s[6:7]
	s_and_saveexec_b64 s[6:7], s[0:1]
	s_cbranch_execz .LBB392_78
; %bb.77:
	v_mov_b32_e32 v9, 0
	v_lshl_add_u64 v[8:9], v[4:5], 0, v[8:9]
	global_load_ushort v0, v[8:9], off offset:32
	s_waitcnt vmcnt(0)
	v_lshlrev_b32_e32 v0, 16, v0
	v_sub_f32_e32 v0, v0, v1
	v_mul_f32_e32 v0, v14, v0
	v_lshrrev_b32_e32 v9, 16, v0
.LBB392_78:
	s_or_b64 exec, exec, s[6:7]
	v_mov_b32_e32 v0, 0
	v_mov_b32_e32 v1, 0
	s_and_saveexec_b64 s[0:1], s[2:3]
	s_cbranch_execz .LBB392_80
; %bb.79:
	v_mov_b32_e32 v11, 0
	v_lshl_add_u64 v[10:11], v[4:5], 0, v[10:11]
	global_load_ushort v1, v[10:11], off offset:32
	s_waitcnt vmcnt(0)
	v_lshlrev_b32_e32 v1, 16, v1
	v_sub_f32_e32 v1, v1, v2
	v_mul_f32_e32 v1, v17, v1
	v_lshrrev_b32_e32 v1, 16, v1
.LBB392_80:
	s_or_b64 exec, exec, s[0:1]
	s_and_saveexec_b64 s[0:1], s[4:5]
	s_cbranch_execz .LBB392_82
; %bb.81:
	v_mov_b32_e32 v13, 0
	v_lshl_add_u64 v[4:5], v[4:5], 0, v[12:13]
	global_load_ushort v0, v[4:5], off offset:32
	s_waitcnt vmcnt(0)
	v_lshlrev_b32_e32 v0, 16, v0
	v_sub_f32_e32 v0, v0, v3
	v_mul_f32_e32 v0, v15, v0
	v_lshrrev_b32_e32 v0, 16, v0
.LBB392_82:
	s_or_b64 exec, exec, s[0:1]
	s_mov_b32 s0, 0x5040100
	v_or_b32_e32 v2, v18, v19
	v_perm_b32 v1, v0, v1, s0
	v_perm_b32 v0, v9, v7, s0
	v_lshlrev_b32_e32 v2, 1, v2
	ds_write_b64 v2, v[0:1] offset:45056
	s_waitcnt lgkmcnt(0)
	s_barrier
.LBB392_83:
	s_endpgm
	.section	.rodata,"a",@progbits
	.p2align	6, 0x0
	.amdhsa_kernel _ZN12_GLOBAL__N_139chunk_gated_delta_rule_fwd_h_hip_kernelILi32ELb0ELb0ELb0ELb1ELb1ELb1ELb1ELb0EEEvPK12hip_bfloat16S3_S3_PKfS5_PKvPS1_S8_PvPKiSB_iiiiilll
		.amdhsa_group_segment_fixed_size 49152
		.amdhsa_private_segment_fixed_size 0
		.amdhsa_kernarg_size 136
		.amdhsa_user_sgpr_count 2
		.amdhsa_user_sgpr_dispatch_ptr 0
		.amdhsa_user_sgpr_queue_ptr 0
		.amdhsa_user_sgpr_kernarg_segment_ptr 1
		.amdhsa_user_sgpr_dispatch_id 0
		.amdhsa_user_sgpr_kernarg_preload_length 0
		.amdhsa_user_sgpr_kernarg_preload_offset 0
		.amdhsa_user_sgpr_private_segment_size 0
		.amdhsa_uses_dynamic_stack 0
		.amdhsa_enable_private_segment 0
		.amdhsa_system_sgpr_workgroup_id_x 1
		.amdhsa_system_sgpr_workgroup_id_y 1
		.amdhsa_system_sgpr_workgroup_id_z 0
		.amdhsa_system_sgpr_workgroup_info 0
		.amdhsa_system_vgpr_workitem_id 0
		.amdhsa_next_free_vgpr 160
		.amdhsa_next_free_sgpr 61
		.amdhsa_accum_offset 140
		.amdhsa_reserve_vcc 1
		.amdhsa_float_round_mode_32 0
		.amdhsa_float_round_mode_16_64 0
		.amdhsa_float_denorm_mode_32 3
		.amdhsa_float_denorm_mode_16_64 3
		.amdhsa_dx10_clamp 1
		.amdhsa_ieee_mode 1
		.amdhsa_fp16_overflow 0
		.amdhsa_tg_split 0
		.amdhsa_exception_fp_ieee_invalid_op 0
		.amdhsa_exception_fp_denorm_src 0
		.amdhsa_exception_fp_ieee_div_zero 0
		.amdhsa_exception_fp_ieee_overflow 0
		.amdhsa_exception_fp_ieee_underflow 0
		.amdhsa_exception_fp_ieee_inexact 0
		.amdhsa_exception_int_div_zero 0
	.end_amdhsa_kernel
	.section	.text._ZN12_GLOBAL__N_139chunk_gated_delta_rule_fwd_h_hip_kernelILi32ELb0ELb0ELb0ELb1ELb1ELb1ELb1ELb0EEEvPK12hip_bfloat16S3_S3_PKfS5_PKvPS1_S8_PvPKiSB_iiiiilll,"axG",@progbits,_ZN12_GLOBAL__N_139chunk_gated_delta_rule_fwd_h_hip_kernelILi32ELb0ELb0ELb0ELb1ELb1ELb1ELb1ELb0EEEvPK12hip_bfloat16S3_S3_PKfS5_PKvPS1_S8_PvPKiSB_iiiiilll,comdat
.Lfunc_end392:
	.size	_ZN12_GLOBAL__N_139chunk_gated_delta_rule_fwd_h_hip_kernelILi32ELb0ELb0ELb0ELb1ELb1ELb1ELb1ELb0EEEvPK12hip_bfloat16S3_S3_PKfS5_PKvPS1_S8_PvPKiSB_iiiiilll, .Lfunc_end392-_ZN12_GLOBAL__N_139chunk_gated_delta_rule_fwd_h_hip_kernelILi32ELb0ELb0ELb0ELb1ELb1ELb1ELb1ELb0EEEvPK12hip_bfloat16S3_S3_PKfS5_PKvPS1_S8_PvPKiSB_iiiiilll
                                        ; -- End function
	.section	.AMDGPU.csdata,"",@progbits
; Kernel info:
; codeLenInByte = 8464
; NumSgprs: 67
; NumVgprs: 140
; NumAgprs: 20
; TotalNumVgprs: 160
; ScratchSize: 0
; MemoryBound: 0
; FloatMode: 240
; IeeeMode: 1
; LDSByteSize: 49152 bytes/workgroup (compile time only)
; SGPRBlocks: 8
; VGPRBlocks: 19
; NumSGPRsForWavesPerEU: 67
; NumVGPRsForWavesPerEU: 160
; AccumOffset: 140
; Occupancy: 1
; WaveLimiterHint : 1
; COMPUTE_PGM_RSRC2:SCRATCH_EN: 0
; COMPUTE_PGM_RSRC2:USER_SGPR: 2
; COMPUTE_PGM_RSRC2:TRAP_HANDLER: 0
; COMPUTE_PGM_RSRC2:TGID_X_EN: 1
; COMPUTE_PGM_RSRC2:TGID_Y_EN: 1
; COMPUTE_PGM_RSRC2:TGID_Z_EN: 0
; COMPUTE_PGM_RSRC2:TIDIG_COMP_CNT: 0
; COMPUTE_PGM_RSRC3_GFX90A:ACCUM_OFFSET: 34
; COMPUTE_PGM_RSRC3_GFX90A:TG_SPLIT: 0
	.section	.text._ZN12_GLOBAL__N_139chunk_gated_delta_rule_fwd_h_hip_kernelILi32ELb1ELb1ELb1ELb0ELb1ELb1ELb1ELb0EEEvPK12hip_bfloat16S3_S3_PKfS5_PKvPS1_S8_PvPKiSB_iiiiilll,"axG",@progbits,_ZN12_GLOBAL__N_139chunk_gated_delta_rule_fwd_h_hip_kernelILi32ELb1ELb1ELb1ELb0ELb1ELb1ELb1ELb0EEEvPK12hip_bfloat16S3_S3_PKfS5_PKvPS1_S8_PvPKiSB_iiiiilll,comdat
	.globl	_ZN12_GLOBAL__N_139chunk_gated_delta_rule_fwd_h_hip_kernelILi32ELb1ELb1ELb1ELb0ELb1ELb1ELb1ELb0EEEvPK12hip_bfloat16S3_S3_PKfS5_PKvPS1_S8_PvPKiSB_iiiiilll ; -- Begin function _ZN12_GLOBAL__N_139chunk_gated_delta_rule_fwd_h_hip_kernelILi32ELb1ELb1ELb1ELb0ELb1ELb1ELb1ELb0EEEvPK12hip_bfloat16S3_S3_PKfS5_PKvPS1_S8_PvPKiSB_iiiiilll
	.p2align	8
	.type	_ZN12_GLOBAL__N_139chunk_gated_delta_rule_fwd_h_hip_kernelILi32ELb1ELb1ELb1ELb0ELb1ELb1ELb1ELb0EEEvPK12hip_bfloat16S3_S3_PKfS5_PKvPS1_S8_PvPKiSB_iiiiilll,@function
_ZN12_GLOBAL__N_139chunk_gated_delta_rule_fwd_h_hip_kernelILi32ELb1ELb1ELb1ELb0ELb1ELb1ELb1ELb0EEEvPK12hip_bfloat16S3_S3_PKfS5_PKvPS1_S8_PvPKiSB_iiiiilll: ; @_ZN12_GLOBAL__N_139chunk_gated_delta_rule_fwd_h_hip_kernelILi32ELb1ELb1ELb1ELb0ELb1ELb1ELb1ELb0EEEvPK12hip_bfloat16S3_S3_PKfS5_PKvPS1_S8_PvPKiSB_iiiiilll
; %bb.0:
	s_load_dwordx4 s[24:27], s[0:1], 0x5c
	s_abs_i32 s6, s3
	s_ashr_i32 s5, s3, 31
	v_and_b32_e32 v79, 15, v0
	v_bfe_u32 v78, v0, 4, 2
	s_waitcnt lgkmcnt(0)
	s_abs_i32 s4, s25
	v_cvt_f32_u32_e32 v1, s4
	s_sub_i32 s8, 0, s4
	s_ashr_i32 s7, s25, 31
	s_xor_b32 s5, s5, s7
	v_rcp_iflag_f32_e32 v1, v1
	v_mov_b32_e32 v63, 0
	v_lshlrev_b32_e32 v80, 3, v0
	v_mul_f32_e32 v1, 0x4f7ffffe, v1
	v_cvt_u32_f32_e32 v1, v1
	s_nop 0
	v_readfirstlane_b32 s9, v1
	s_mul_i32 s8, s8, s9
	s_mul_hi_u32 s8, s9, s8
	s_add_i32 s9, s9, s8
	s_mul_hi_u32 s8, s6, s9
	s_mul_i32 s9, s8, s4
	s_sub_i32 s6, s6, s9
	s_add_i32 s10, s8, 1
	s_sub_i32 s9, s6, s4
	s_cmp_ge_u32 s6, s4
	s_cselect_b32 s8, s10, s8
	s_cselect_b32 s6, s9, s6
	s_add_i32 s9, s8, 1
	s_cmp_ge_u32 s6, s4
	s_cselect_b32 s6, s9, s8
	s_xor_b32 s6, s6, s5
	s_sub_i32 s58, s6, s5
	s_mul_i32 s6, s58, s25
	s_sub_i32 s33, s3, s6
	s_abs_i32 s3, s26
	v_cvt_f32_u32_e32 v1, s3
	s_add_i32 s8, s24, 63
	s_ashr_i32 s9, s8, 31
	s_lshr_b32 s5, s9, 26
	v_rcp_iflag_f32_e32 v1, v1
	s_ashr_i32 s57, s24, 31
	s_add_i32 s8, s8, s5
	s_lshr_b32 s5, s57, 26
	v_mul_f32_e32 v1, 0x4f7ffffe, v1
	v_cvt_u32_f32_e32 v1, v1
	s_add_i32 s5, s24, s5
	s_ashr_i32 s60, s26, 31
	s_ashr_i32 s28, s8, 6
	;; [unrolled: 1-line block ×3, first 2 shown]
	s_xor_b32 s5, s7, s60
	s_sub_i32 s7, 0, s3
	v_readfirstlane_b32 s8, v1
	s_mul_i32 s7, s7, s8
	s_mul_hi_u32 s7, s8, s7
	s_add_i32 s8, s8, s7
	s_mul_hi_u32 s7, s4, s8
	s_mul_i32 s8, s7, s3
	s_sub_i32 s4, s4, s8
	s_lshl_b32 s2, s2, 5
	s_add_i32 s8, s7, 1
	s_sub_i32 s9, s4, s3
	s_cmp_ge_u32 s4, s3
	s_cselect_b32 s7, s8, s7
	s_cselect_b32 s4, s9, s4
	s_add_i32 s8, s7, 1
	s_cmp_ge_u32 s4, s3
	s_cselect_b32 s3, s8, s7
	s_xor_b32 s3, s3, s5
	s_sub_i32 s3, s3, s5
	s_abs_i32 s4, s3
	v_cvt_f32_u32_e32 v1, s4
	s_sub_i32 s7, 0, s4
	s_abs_i32 s5, s33
	s_xor_b32 s3, s33, s3
	v_rcp_iflag_f32_e32 v2, v1
	s_ashr_i32 s3, s3, 31
	s_load_dwordx8 s[8:15], s[0:1], 0x20
	v_lshrrev_b32_e32 v1, 6, v0
	v_mul_f32_e32 v2, 0x4f7ffffe, v2
	v_cvt_u32_f32_e32 v2, v2
	v_or_b32_e32 v68, s2, v79
	v_lshlrev_b32_e32 v61, 4, v1
	v_lshlrev_b32_e32 v66, 7, v68
	v_readfirstlane_b32 s16, v2
	s_mul_i32 s7, s7, s16
	s_mul_hi_u32 s7, s16, s7
	s_add_i32 s16, s16, s7
	s_mul_hi_u32 s7, s5, s16
	s_mul_i32 s16, s7, s4
	s_sub_i32 s5, s5, s16
	s_add_i32 s16, s7, 1
	s_sub_i32 s17, s5, s4
	s_cmp_ge_u32 s5, s4
	s_cselect_b32 s7, s16, s7
	s_cselect_b32 s5, s17, s5
	s_add_i32 s16, s7, 1
	s_cmp_ge_u32 s5, s4
	s_cselect_b32 s4, s16, s7
	s_xor_b32 s4, s4, s3
	s_sub_i32 s61, s4, s3
	s_ashr_i32 s3, s58, 31
	s_ashr_i32 s50, s33, 31
	s_mul_hi_i32 s4, s58, s25
	s_add_u32 s42, s6, s33
	s_addc_u32 s43, s4, s50
	s_lshl_b64 s[34:35], s[42:43], 16
	s_waitcnt lgkmcnt(0)
	s_add_u32 s4, s10, s34
	v_lshl_or_b32 v82, v78, 2, v61
	s_addc_u32 s5, s11, s35
	v_ashrrev_i32_e32 v67, 31, v66
	v_lshl_add_u64 v[2:3], v[66:67], 2, s[4:5]
	v_lshlrev_b32_e32 v62, 2, v82
	v_or_b32_e32 v64, 0x800, v66
	v_lshl_add_u64 v[10:11], v[2:3], 0, v[62:63]
	v_ashrrev_i32_e32 v65, 31, v64
	global_load_dwordx4 v[2:5], v[10:11], off
	global_load_dwordx4 v[6:9], v[10:11], off offset:256
	v_lshl_add_u64 v[10:11], v[64:65], 2, s[4:5]
	v_lshl_add_u64 v[10:11], v[10:11], 0, v[62:63]
	global_load_dwordx4 v[18:21], v[10:11], off
	global_load_dwordx4 v[22:25], v[10:11], off offset:256
	s_load_dwordx2 s[10:11], s[0:1], 0x40
	s_load_dwordx8 s[16:23], s[0:1], 0x0
	s_load_dwordx2 s[36:37], s[0:1], 0x80
	s_load_dwordx4 s[4:7], s[0:1], 0x70
	v_and_b32_e32 v63, 63, v0
	s_mul_i32 s51, s58, s24
	s_mul_i32 s62, s58, s28
	v_or_b32_e32 v83, 64, v82
	s_cmp_lt_i32 s24, 64
	v_lshrrev_b32_e32 v81, 3, v63
	s_mul_i32 s63, s43, s24
	s_mul_hi_u32 s64, s42, s24
	s_mul_i32 s44, s42, s24
	s_waitcnt lgkmcnt(0)
	s_mul_i32 s43, s58, s5
	s_mul_hi_u32 s53, s58, s4
	s_mul_i32 s54, s3, s4
	s_mul_i32 s38, s58, s4
	;; [unrolled: 1-line block ×3, first 2 shown]
	s_mul_hi_u32 s55, s33, s6
	s_mul_i32 s56, s50, s6
	s_mul_i32 s40, s33, s6
	s_cbranch_scc1 .LBB393_3
; %bb.1:
	s_add_i32 s45, s64, s63
	s_lshl_b64 s[0:1], s[44:45], 8
	v_and_b32_e32 v85, 56, v80
	s_add_u32 s4, s18, s0
	v_lshl_or_b32 v84, v1, 3, v81
	v_lshlrev_b32_e32 v10, 1, v85
	s_addc_u32 s0, s19, s1
	v_lshl_or_b32 v86, v84, 8, v10
	s_and_b32 s5, s0, 0xffff
	s_mov_b32 s7, 0x20000
	s_movk_i32 s6, 0x4000
	s_movk_i32 s0, 0x80
	v_or_b32_e32 v87, 0x2000, v86
	buffer_load_dwordx4 v[12:15], v86, s[4:7], 0 offen
	buffer_load_dwordx4 v[26:29], v86, s[4:7], s0 offen
	;; [unrolled: 1-line block ×4, first 2 shown]
	v_lshlrev_b32_e32 v11, 3, v84
	v_and_or_b32 v17, v0, 7, v11
	v_and_b32_e32 v11, 0x78, v11
	v_lshlrev_b32_e32 v17, 4, v17
	v_xor_b32_e32 v88, v17, v11
	v_mul_lo_u32 v16, v84, s27
	v_or_b32_e32 v89, 0x1000, v88
	v_xor_b32_e32 v11, 8, v88
	s_cmpk_eq_i32 s27, 0x80
	s_mov_b32 s65, s26
	v_xor_b32_e32 v17, 8, v89
	s_cselect_b64 s[0:1], -1, 0
	s_cmpk_lg_i32 s27, 0x80
	s_waitcnt vmcnt(3)
	ds_write_b64 v88, v[12:13] offset:24576
	ds_write_b64 v11, v[14:15] offset:24576
	s_waitcnt vmcnt(2)
	ds_write_b64 v88, v[26:27] offset:32768
	ds_write_b64 v11, v[28:29] offset:32768
	s_waitcnt vmcnt(1)
	ds_write_b64 v88, v[30:31] offset:28672
	ds_write_b64 v17, v[32:33] offset:24576
	s_waitcnt vmcnt(0)
	ds_write_b64 v88, v[34:35] offset:36864
	ds_write_b64 v17, v[36:37] offset:32768
	v_lshl_add_u32 v11, v16, 1, v85
	s_cbranch_scc0 .LBB393_4
; %bb.2:
	v_lshlrev_b32_e32 v13, 1, v11
	v_add_lshl_u32 v12, v11, s27, 1
	s_lshl_b32 s6, s27, 7
	v_lshl_or_b32 v10, v84, 9, v10
	s_cbranch_execz .LBB393_5
	s_branch .LBB393_6
.LBB393_3:
	s_waitcnt vmcnt(0)
	v_mov_b32_e32 v17, v25
	v_mov_b32_e32 v16, v24
	;; [unrolled: 1-line block ×5, first 2 shown]
	s_branch .LBB393_20
.LBB393_4:
                                        ; implicit-def: $vgpr12
                                        ; implicit-def: $vgpr13
                                        ; implicit-def: $sgpr6
	v_lshl_or_b32 v10, v84, 9, v10
.LBB393_5:
	v_or_b32_e32 v12, 0x100, v10
	s_movk_i32 s6, 0x4000
	v_mov_b32_e32 v13, v10
.LBB393_6:
	s_mul_hi_u32 s4, s26, s24
	s_mul_i32 s5, s60, s24
	s_add_i32 s4, s4, s5
	s_mul_i32 s5, s26, s24
	s_mul_i32 s7, s5, s3
	s_mul_hi_u32 s28, s5, s58
	s_add_i32 s7, s28, s7
	s_mul_i32 s4, s4, s58
	s_add_i32 s7, s7, s4
	s_mul_i32 s5, s5, s58
	s_ashr_i32 s66, s61, 31
	s_add_u32 s4, s5, s61
	s_addc_u32 s5, s7, s66
	s_lshl_b64 s[4:5], s[4:5], 8
	s_add_u32 s4, s16, s4
	s_addc_u32 s5, s17, s5
	s_and_b32 s5, s5, 0xffff
	s_mov_b32 s7, 0x20000
	s_movk_i32 s67, 0x80
	buffer_load_dwordx4 v[14:17], v13, s[4:7], 0 offen
	buffer_load_dwordx4 v[26:29], v13, s[4:7], s67 offen
	;; [unrolled: 1-line block ×4, first 2 shown]
	v_and_b32_e32 v12, 6, v0
	v_lshlrev_b32_e32 v39, 6, v82
	v_or_b32_e32 v41, 16, v79
	v_xor_b32_e32 v42, v84, v12
	v_and_b32_e32 v13, 1, v0
	s_mul_i32 s3, s3, s24
	s_mul_hi_u32 s4, s58, s24
	v_lshl_or_b32 v45, v79, 3, v39
	v_lshl_or_b32 v39, v41, 3, v39
	v_lshlrev_b32_e32 v42, 2, v42
	v_lshlrev_b32_e32 v38, 2, v79
	v_or_b32_e32 v92, 0xa000, v39
	v_or_b32_e32 v93, 0xb000, v39
	v_xor_b32_e32 v39, 0x440, v42
	v_cmp_eq_u32_e32 vcc, 0, v13
	s_add_i32 s71, s4, s3
	s_add_i32 s3, s53, s43
	v_xor_b32_e32 v43, v82, v38
	v_xor_b32_e32 v44, v83, v38
	v_cndmask_b32_e32 v13, v39, v42, vcc
	s_add_i32 s39, s3, s54
	s_add_i32 s3, s55, s52
	s_mov_b32 s69, 0x1000504
	v_lshlrev_b32_e32 v40, 8, v79
	v_lshlrev_b32_e32 v43, 1, v43
	;; [unrolled: 1-line block ×3, first 2 shown]
	v_lshl_or_b32 v12, v12, 10, v13
	s_add_i32 s41, s3, s56
	s_lshl_b64 s[4:5], s[38:39], 2
	s_mov_b32 s70, 0x3020706
	v_or_b32_e32 v90, 0xa000, v45
	v_or_b32_e32 v91, 0xb000, v45
	;; [unrolled: 1-line block ×4, first 2 shown]
	v_xor_b32_e32 v13, 8, v12
	v_xor_b32_e32 v40, 24, v12
	;; [unrolled: 1-line block ×4, first 2 shown]
	s_add_u32 s3, s22, s4
	v_xor_b32_e32 v39, 16, v12
	v_xor_b32_e32 v42, 32, v12
	;; [unrolled: 1-line block ×3, first 2 shown]
	v_add_u32_e32 v13, 0x80, v13
	v_add_u32_e32 v40, 0x80, v40
	;; [unrolled: 1-line block ×4, first 2 shown]
	s_addc_u32 s6, s23, s5
	s_lshl_b64 s[4:5], s[40:41], 2
	s_add_u32 s46, s3, s4
	s_movk_i32 s3, 0xf8
	s_addc_u32 s47, s6, s5
	s_lshl_b32 s30, s27, 7
	s_movk_i32 s28, 0x100
	v_mov_b32_e32 v71, 0
	v_lshlrev_b32_e32 v70, 4, v79
	v_cmp_gt_u32_e32 vcc, s28, v0
	v_ashrrev_i32_e32 v69, 31, v68
	v_lshlrev_b32_e32 v41, 8, v41
	s_mov_b32 s68, 0
	v_or_b32_e32 v96, v41, v43
	v_or_b32_e32 v97, v41, v44
	s_movk_i32 s39, 0x1000
	s_movk_i32 s6, 0x4000
	s_mov_b32 s41, 0x7060302
	s_mov_b32 s73, 0
	s_waitcnt vmcnt(1)
	v_perm_b32 v48, v14, v30, s69
	s_waitcnt vmcnt(0)
	v_perm_b32 v49, v26, v34, s69
	v_perm_b32 v14, v14, v30, s70
	;; [unrolled: 1-line block ×15, first 2 shown]
	ds_write2st64_b32 v12, v48, v49 offset0:32 offset1:64
	ds_write2st64_b32 v13, v14, v26 offset0:32 offset1:64
	;; [unrolled: 1-line block ×8, first 2 shown]
	v_or_b32_e32 v12, v61, v79
	v_lshlrev_b32_e32 v12, 3, v12
	v_lshrrev_b32_e32 v15, 5, v63
	v_and_or_b32 v15, v12, s3, v15
	v_lshlrev_b32_e32 v15, 4, v15
	v_lshlrev_b32_e32 v17, 11, v1
	v_and_b32_e32 v12, 0x78, v12
	v_or_b32_e32 v28, 32, v15
	v_and_b32_e32 v14, 0x1000, v17
	v_lshrrev_b32_e32 v26, 1, v63
	v_xor_b32_e32 v28, v28, v12
	v_xor_b32_e32 v16, v15, v12
	v_and_b32_e32 v26, 8, v26
	v_or_b32_e32 v28, v28, v14
	v_or_b32_e32 v16, v16, v14
	v_lshlrev_b32_e32 v27, 7, v78
	v_xor_b32_e32 v100, v28, v26
	v_or_b32_e32 v28, 64, v15
	v_or_b32_e32 v15, 0x60, v15
	s_ashr_i32 s3, s2, 31
	v_xor_b32_e32 v98, v16, v26
	v_or_b32_e32 v16, v27, v38
	v_xor_b32_e32 v28, v28, v12
	v_xor_b32_e32 v12, v15, v12
	s_lshl_b64 s[4:5], s[2:3], 8
	v_lshlrev_b32_e32 v16, 1, v16
	v_or_b32_e32 v28, v28, v14
	v_or_b32_e32 v12, v12, v14
	s_add_u32 s4, s12, s4
	v_lshlrev_b32_e32 v14, 1, v79
	v_or_b32_e32 v99, 0xa000, v16
	v_or_b32_e32 v101, 0xa080, v16
	;; [unrolled: 1-line block ×4, first 2 shown]
	v_lshrrev_b32_e32 v16, 4, v0
	s_addc_u32 s5, s13, s5
	v_or_b32_e32 v15, 1, v14
	v_mov_b32_e32 v33, 0x4000
	v_mov_b32_e32 v34, 0x2000
	v_lshrrev_b32_e32 v35, 1, v0
	v_xor_b32_e32 v102, v28, v26
	v_xor_b32_e32 v103, v12, v26
	;; [unrolled: 1-line block ×4, first 2 shown]
	v_lshl_add_u64 v[14:15], s[4:5], 0, v[70:71]
	v_lshlrev_b32_e32 v70, 8, v16
	v_cndmask_b32_e32 v33, v33, v34, vcc
	v_lshlrev_b32_e32 v34, 3, v1
	v_and_b32_e32 v35, 24, v35
	v_lshl_or_b32 v106, v26, 3, v70
	v_and_b32_e32 v26, 8, v0
	v_xor_b32_e32 v36, v34, v35
	v_or_b32_e32 v37, 0x440, v36
	v_cmp_eq_u32_e32 vcc, 0, v26
	v_and_b32_e32 v16, 7, v0
	v_lshl_or_b32 v107, v30, 3, v70
	v_cndmask_b32_e32 v26, v37, v36, vcc
	v_lshlrev_b32_e32 v30, 3, v16
	v_lshlrev_b32_e32 v32, 2, v0
	v_or_b32_e32 v26, v26, v17
	v_xor_b32_e32 v36, v26, v30
	v_and_or_b32 v26, v32, 60, v27
	v_mov_b32_e32 v27, 0xb000
	v_lshl_or_b32 v108, v26, 1, v27
	v_or_b32_e32 v26, 32, v35
	v_xor_b32_e32 v26, v34, v26
	v_or_b32_e32 v27, 0x440, v26
	v_cndmask_b32_e32 v26, v27, v26, vcc
	v_or_b32_e32 v26, v26, v17
	v_xor_b32_e32 v27, v26, v30
	v_or_b32_e32 v26, 64, v35
	v_xor_b32_e32 v26, v34, v26
	v_xor_b32_e32 v38, 0x440, v26
	v_cndmask_b32_e32 v26, v38, v26, vcc
	v_or_b32_e32 v26, v26, v17
	v_xor_b32_e32 v38, v26, v30
	v_or_b32_e32 v26, 0x60, v35
	v_xor_b32_e32 v26, v34, v26
	v_xor_b32_e32 v34, 0x440, v26
	v_cndmask_b32_e32 v26, v34, v26, vcc
	v_lshrrev_b32_e32 v13, 2, v63
	v_or_b32_e32 v17, v26, v17
	v_and_b32_e32 v13, 12, v13
	v_lshlrev_b32_e32 v28, 1, v11
	v_add_lshl_u32 v11, v11, s27, 1
	v_or_b32_e32 v29, 0x100, v10
	v_xor_b32_e32 v17, v17, v30
	v_lshlrev_b32_e32 v12, 7, v82
	v_lshlrev_b32_e32 v31, 7, v16
	v_or_b32_e32 v16, v13, v61
	v_add_u32_e32 v37, v33, v36
	v_add_u32_e32 v32, v33, v27
	;; [unrolled: 1-line block ×4, first 2 shown]
	v_or3_b32 v26, v61, v13, 64
	v_add_u32_e32 v13, 0x4000, v36
	v_add_u32_e32 v27, 0x4000, v27
	;; [unrolled: 1-line block ×4, first 2 shown]
	v_cndmask_b32_e64 v109, v28, v10, s[0:1]
	v_cndmask_b32_e64 v110, v11, v29, s[0:1]
	v_lshlrev_b64 v[10:11], 1, v[68:69]
	v_lshl_add_u64 v[72:73], s[20:21], 0, v[10:11]
	v_lshl_add_u64 v[74:75], s[14:15], 0, v[10:11]
	v_lshl_add_u64 v[76:77], v[14:15], 0, v[70:71]
	s_add_i32 s3, s51, 63
	v_lshlrev_b32_e32 v70, 1, v12
	v_lshlrev_b32_e32 v69, 2, v16
	v_add_u32_e32 v111, v37, v31
	v_add_u32_e32 v112, v32, v31
	v_add_u32_e32 v113, v39, v31
	v_add_u32_e32 v114, v30, v31
	v_lshlrev_b32_e32 v115, 2, v26
	v_add_u32_e32 v116, v13, v31
	v_add_u32_e32 v117, v27, v31
	;; [unrolled: 1-line block ×4, first 2 shown]
	s_waitcnt lgkmcnt(0)
	s_barrier
.LBB393_7:                              ; =>This Inner Loop Header: Depth=1
	s_add_i32 s72, s73, 1
	s_cmp_lt_i32 s72, s59
	s_mov_b64 s[28:29], 0
	s_cselect_b64 s[48:49], -1, 0
	s_cmp_ge_i32 s72, s59
	s_mov_b64 s[4:5], 0
	s_cbranch_scc1 .LBB393_9
; %bb.8:                                ;   in Loop: Header=BB393_7 Depth=1
	s_add_i32 s0, s68, 64
	s_add_u32 s0, s44, s0
	s_addc_u32 s1, s45, 0
	s_lshl_b64 s[0:1], s[0:1], 8
	s_add_u32 s4, s18, s0
	s_addc_u32 s5, s19, s1
.LBB393_9:                              ;   in Loop: Header=BB393_7 Depth=1
	v_cndmask_b32_e64 v10, 0, 1, s[48:49]
	v_cmp_ne_u32_e64 s[0:1], 1, v10
	s_andn2_b64 vcc, exec, s[48:49]
	s_cbranch_vccnz .LBB393_11
; %bb.10:                               ;   in Loop: Header=BB393_7 Depth=1
	s_add_i32 s28, s68, 64
	s_add_u32 s28, s51, s28
	s_addc_u32 s29, s71, 0
	s_mul_i32 s31, s28, s60
	s_mul_hi_u32 s48, s28, s65
	s_add_i32 s31, s48, s31
	s_mul_i32 s29, s29, s65
	s_add_i32 s31, s31, s29
	s_mul_i32 s28, s28, s65
	s_add_u32 s28, s28, s61
	s_addc_u32 s29, s31, s66
	s_lshl_b64 s[28:29], s[28:29], 8
	s_add_u32 s28, s16, s28
	s_addc_u32 s29, s17, s29
.LBB393_11:                             ;   in Loop: Header=BB393_7 Depth=1
	v_perm_b32 v11, v5, v4, s41
	v_perm_b32 v10, v3, v2, s41
	;; [unrolled: 1-line block ×4, first 2 shown]
	ds_write_b64 v90, v[10:11]
	ds_write_b64 v91, v[12:13]
	ds_write_b64 v94, v[10:11]
	ds_write_b64 v95, v[12:13]
	v_perm_b32 v11, v21, v20, s41
	v_perm_b32 v10, v19, v18, s41
	;; [unrolled: 1-line block ×4, first 2 shown]
	ds_write_b64 v92, v[10:11]
	ds_write_b64 v93, v[12:13]
	ds_write_b64 v96, v[10:11]
	ds_write_b64 v97, v[12:13]
	s_waitcnt lgkmcnt(0)
	s_barrier
	ds_read_b64 v[14:15], v98 offset:24576
	ds_read2_b64 v[10:13], v99 offset1:16
	ds_read_b64 v[26:27], v101 offset:3072
	ds_read_b64 v[28:29], v99 offset:3072
	;; [unrolled: 1-line block ×3, first 2 shown]
	s_waitcnt lgkmcnt(3)
	v_mfma_f32_16x16x16_bf16 a[0:3], v[14:15], v[10:11], 0
	s_add_i32 s31, s68, 63
	s_mul_i32 s48, s31, s37
	s_mul_hi_u32 s49, s31, s36
	v_mfma_f32_16x16x16_bf16 a[4:7], v[14:15], v[12:13], 0
	ds_read2st64_b64 v[10:13], v99 offset0:2 offset1:4
	ds_read2st64_b64 v[14:17], v101 offset0:2 offset1:4
	s_add_i32 s49, s49, s48
	s_waitcnt lgkmcnt(1)
	v_mfma_f32_16x16x16_bf16 a[0:3], v[30:31], v[10:11], a[0:3]
	s_mul_i32 s48, s31, s36
	s_lshl_b64 s[48:49], s[48:49], 2
	s_add_u32 s48, s46, s48
	s_waitcnt lgkmcnt(0)
	v_mfma_f32_16x16x16_bf16 a[4:7], v[30:31], v[14:15], a[4:7]
	ds_read_b64 v[10:11], v102 offset:24576
	ds_read_b64 v[14:15], v103 offset:24576
	s_addc_u32 s49, s47, s49
	s_and_b64 vcc, exec, s[0:1]
	s_waitcnt lgkmcnt(1)
	v_mfma_f32_16x16x16_bf16 a[0:3], v[10:11], v[12:13], a[0:3]
	v_mov_b32_e32 v122, 0
	v_mov_b32_e32 v121, 0
	v_mov_b32_e32 v120, 0
	v_mfma_f32_16x16x16_bf16 a[8:11], v[10:11], v[16:17], a[4:7]
	v_mov_b32_e32 v10, 0
	v_mov_b32_e32 v11, 0
	;; [unrolled: 1-line block ×3, first 2 shown]
	s_waitcnt lgkmcnt(0)
	v_mfma_f32_16x16x16_bf16 a[4:7], v[14:15], v[28:29], a[0:3]
	v_mov_b32_e32 v13, 0
	v_mov_b32_e32 v16, 0
	;; [unrolled: 1-line block ×3, first 2 shown]
	v_mfma_f32_16x16x16_bf16 a[0:3], v[14:15], v[26:27], a[8:11]
	v_mov_b32_e32 v14, 0
	v_mov_b32_e32 v15, 0
	;; [unrolled: 1-line block ×10, first 2 shown]
	s_cbranch_vccnz .LBB393_13
; %bb.12:                               ;   in Loop: Header=BB393_7 Depth=1
	s_and_b32 s5, s5, 0xffff
	buffer_load_dwordx4 v[30:33], v86, s[4:7], 0 offen
	buffer_load_dwordx4 v[26:29], v86, s[4:7], s67 offen
	buffer_load_dwordx4 v[14:17], v87, s[4:7], 0 offen
	buffer_load_dwordx4 v[10:13], v87, s[4:7], s67 offen
	v_mov_b32_e32 v121, v88
	v_mov_b32_e32 v120, v89
.LBB393_13:                             ;   in Loop: Header=BB393_7 Depth=1
	ds_read_b64 v[42:43], v98 offset:32768
	ds_read2_b64 v[34:37], v104 offset1:16
	ds_read_b64 v[44:45], v100 offset:32768
	ds_read_b64 v[46:47], v102 offset:32768
	ds_read_b64 v[48:49], v103 offset:32768
	ds_read2st64_b64 v[38:41], v104 offset0:2 offset1:4
	v_add_u32_e32 v50, s68, v82
	s_waitcnt lgkmcnt(4)
	v_mfma_f32_16x16x16_bf16 a[4:7], v[42:43], v[34:35], a[4:7]
	v_ashrrev_i32_e32 v34, 31, v50
	v_mfma_f32_16x16x16_bf16 a[0:3], v[42:43], v[36:37], a[0:3]
	v_mul_lo_u32 v36, v50, s37
	v_mul_lo_u32 v37, v34, s36
	v_mad_u64_u32 v[34:35], s[4:5], v50, s36, 0
	v_add3_u32 v35, v35, v36, v37
	v_add_u32_e32 v36, 1, v50
	v_ashrrev_i32_e32 v37, 31, v36
	s_waitcnt lgkmcnt(0)
	v_mfma_f32_16x16x16_bf16 a[4:7], v[44:45], v[38:39], a[4:7]
	v_mul_lo_u32 v38, v37, s36
	v_mul_lo_u32 v39, v36, s37
	v_mad_u64_u32 v[36:37], s[4:5], v36, s36, 0
	v_add3_u32 v37, v37, v39, v38
	v_add_u32_e32 v38, 2, v50
	v_ashrrev_i32_e32 v39, 31, v38
	v_mul_lo_u32 v42, v39, s36
	v_mul_lo_u32 v43, v38, s37
	v_mad_u64_u32 v[38:39], s[4:5], v38, s36, 0
	v_add3_u32 v39, v39, v43, v42
	v_add_u32_e32 v42, 3, v50
	v_ashrrev_i32_e32 v43, 31, v42
	v_mul_lo_u32 v50, v43, s36
	v_mul_lo_u32 v51, v42, s37
	v_mad_u64_u32 v[42:43], s[4:5], v42, s36, 0
	s_add_u32 s4, s44, s68
	s_addc_u32 s5, s45, 0
	s_lshl_b64 s[74:75], s[4:5], 8
	v_lshl_add_u64 v[34:35], v[34:35], 2, s[46:47]
	v_add3_u32 v43, v43, v51, v50
	v_lshl_add_u64 v[50:51], v[72:73], 0, s[74:75]
	v_lshl_add_u64 v[36:37], v[36:37], 2, s[46:47]
	;; [unrolled: 1-line block ×3, first 2 shown]
	global_load_dword v52, v[34:35], off
	global_load_ushort v53, v[50:51], off offset:256
	global_load_ushort v54, v[50:51], off
	global_load_ushort v55, v[50:51], off offset:768
	v_lshl_add_u64 v[34:35], v[42:43], 2, s[46:47]
	v_lshl_add_u64 v[38:39], v[38:39], 2, s[46:47]
	global_load_dword v56, v[36:37], off
	global_load_dword v57, v[38:39], off
	;; [unrolled: 1-line block ×3, first 2 shown]
	ds_read2st64_b64 v[34:37], v105 offset0:2 offset1:4
	s_waitcnt lgkmcnt(0)
	v_mfma_f32_16x16x16_bf16 a[0:3], v[44:45], v[34:35], a[0:3]
	global_load_ushort v44, v[50:51], off offset:512
	global_load_ushort v59, v[50:51], off offset:800
	;; [unrolled: 1-line block ×4, first 2 shown]
	s_nop 0
	global_load_ushort v50, v[50:51], off offset:32
	s_and_b64 vcc, exec, s[0:1]
	v_mfma_f32_16x16x16_bf16 a[4:7], v[46:47], v[40:41], a[4:7]
	s_waitcnt vmcnt(10)
	v_lshlrev_b32_e32 v43, 16, v53
	v_mfma_f32_16x16x16_bf16 a[0:3], v[46:47], v[36:37], a[0:3]
	ds_read_b64 v[34:35], v104 offset:3072
	ds_read_b64 v[36:37], v105 offset:3072
	s_load_dword s4, s[48:49], 0x0
	s_waitcnt vmcnt(9)
	v_lshlrev_b32_e32 v42, 16, v54
	s_waitcnt lgkmcnt(0)
	v_mfma_f32_16x16x16_bf16 a[4:7], v[48:49], v[34:35], a[4:7]
	v_lshl_add_u64 v[34:35], v[74:75], 0, s[74:75]
	v_sub_f32_e32 v46, s4, v52
	s_waitcnt vmcnt(7)
	v_sub_f32_e32 v47, s4, v56
	v_mfma_f32_16x16x16_bf16 a[0:3], v[48:49], v[36:37], a[0:3]
	s_waitcnt vmcnt(6)
	v_sub_f32_e32 v48, s4, v57
	s_waitcnt vmcnt(5)
	v_sub_f32_e32 v49, s4, v58
	v_accvgpr_read_b32 v41, a5
	v_accvgpr_read_b32 v40, a4
	v_exp_f32_e32 v46, v46
	v_pk_add_f32 v[40:41], v[42:43], v[40:41] neg_lo:[0,1] neg_hi:[0,1]
	v_exp_f32_e32 v47, v47
	v_exp_f32_e32 v42, v48
	;; [unrolled: 1-line block ×3, first 2 shown]
	v_accvgpr_read_b32 v37, a7
	v_accvgpr_read_b32 v36, a6
	v_lshlrev_b32_e32 v45, 16, v55
	s_waitcnt vmcnt(4)
	v_lshlrev_b32_e32 v44, 16, v44
	v_lshl_add_u64 v[34:35], v[34:35], 0, v[70:71]
	v_pk_add_f32 v[36:37], v[44:45], v[36:37] neg_lo:[0,1] neg_hi:[0,1]
	global_store_short_d16_hi v[34:35], v40, off
	global_store_short_d16_hi v[34:35], v41, off offset:256
	global_store_short_d16_hi v[34:35], v36, off offset:512
	;; [unrolled: 1-line block ×3, first 2 shown]
	v_pk_mul_f32 v[40:41], v[46:47], v[40:41]
	v_pk_mul_f32 v[36:37], v[42:43], v[36:37]
	v_accvgpr_read_b32 v45, a1
	v_perm_b32 v40, v41, v40, s41
	v_perm_b32 v41, v37, v36, s41
	s_waitcnt vmcnt(5)
	v_lshlrev_b32_e32 v37, 16, v123
	s_waitcnt vmcnt(4)
	v_lshlrev_b32_e32 v36, 16, v50
	v_accvgpr_read_b32 v44, a0
	v_accvgpr_read_b32 v39, a3
	;; [unrolled: 1-line block ×3, first 2 shown]
	v_pk_add_f32 v[36:37], v[36:37], v[44:45] neg_lo:[0,1] neg_hi:[0,1]
	v_lshlrev_b32_e32 v45, 16, v59
	v_lshlrev_b32_e32 v44, 16, v60
	v_pk_add_f32 v[38:39], v[44:45], v[38:39] neg_lo:[0,1] neg_hi:[0,1]
	global_store_short_d16_hi v[34:35], v36, off offset:32
	global_store_short_d16_hi v[34:35], v37, off offset:288
	;; [unrolled: 1-line block ×4, first 2 shown]
	v_pk_mul_f32 v[34:35], v[46:47], v[36:37]
	v_pk_mul_f32 v[36:37], v[42:43], v[38:39]
	v_mov_b32_e32 v123, 0
	v_perm_b32 v37, v37, v36, s41
	v_perm_b32 v36, v35, v34, s41
	ds_write2_b64 v91, v[40:41], v[36:37] offset1:16
	v_mov_b32_e32 v34, 0
	v_mov_b32_e32 v35, 0
	;; [unrolled: 1-line block ×16, first 2 shown]
	s_cbranch_vccnz .LBB393_15
; %bb.14:                               ;   in Loop: Header=BB393_7 Depth=1
	s_and_b32 s29, s29, 0xffff
	s_mov_b32 s31, s7
	buffer_load_dwordx4 v[46:49], v109, s[28:31], 0 offen
	buffer_load_dwordx4 v[38:41], v109, s[28:31], s67 offen
	;; [unrolled: 1-line block ×4, first 2 shown]
	v_mov_b32_e32 v122, v85
	v_mov_b32_e32 v123, v84
.LBB393_15:                             ;   in Loop: Header=BB393_7 Depth=1
	s_waitcnt lgkmcnt(0)
	s_barrier
	ds_read_b64 v[54:55], v111
	ds_read_b64 v[128:129], v108
	;; [unrolled: 1-line block ×5, first 2 shown]
	ds_read_b64 v[142:143], v105 offset:3072
	ds_read2_b64 v[50:53], v104 offset0:16 offset1:128
	s_waitcnt lgkmcnt(5)
	v_mfma_f32_16x16x16_bf16 a[0:3], v[54:55], v[128:129], 0
	s_add_i32 s5, s62, s73
	s_mul_hi_i32 s29, s5, s25
	s_mul_i32 s5, s5, s25
	s_waitcnt lgkmcnt(0)
	v_mfma_f32_16x16x16_bf16 a[4:7], v[54:55], v[50:51], 0
	ds_read_b64 v[54:55], v116
	ds_read2st64_b64 v[56:59], v105 offset0:2 offset1:4
	s_add_u32 s28, s5, s33
	s_addc_u32 s29, s29, s50
	s_add_i32 s5, s3, s68
	s_lshl_b64 s[28:29], s[28:29], 15
	s_mul_hi_i32 s31, s5, s25
	s_mul_i32 s5, s5, s25
	s_add_u32 s48, s5, s33
	s_waitcnt lgkmcnt(1)
	v_mfma_f32_16x16x16_bf16 a[8:11], v[54:55], v[128:129], 0
	s_addc_u32 s49, s31, s50
	ds_read2st64_b64 v[124:127], v104 offset0:4 offset1:6
	s_lshl_b64 s[48:49], s[48:49], 9
	v_mfma_f32_16x16x16_bf16 a[0:3], v[130:131], v[52:53], a[0:3]
	s_add_u32 s48, s8, s48
	s_addc_u32 s49, s9, s49
	s_waitcnt lgkmcnt(1)
	v_mfma_f32_16x16x16_bf16 a[4:7], v[130:131], v[56:57], a[4:7]
	ds_read_b64 v[130:131], v117
	ds_read_b64 v[138:139], v118
	;; [unrolled: 1-line block ×3, first 2 shown]
	v_mfma_f32_16x16x16_bf16 a[12:15], v[54:55], v[50:51], 0
	s_waitcnt lgkmcnt(2)
	v_mfma_f32_16x16x16_bf16 a[8:11], v[130:131], v[52:53], a[8:11]
	global_load_dwordx4 v[50:53], v115, s[48:49]
	v_mfma_f32_16x16x16_bf16 a[12:15], v[130:131], v[56:57], a[12:15]
	global_load_dwordx4 v[54:57], v69, s[48:49]
	ds_read2st64_b64 v[128:131], v106 offset1:8
	s_waitcnt lgkmcnt(0)
	v_mov_b32_e32 v136, v128
	v_mfma_f32_16x16x16_bf16 a[0:3], v[132:133], v[124:125], a[0:3]
	v_mov_b32_e32 v137, v129
	v_mfma_f32_16x16x16_bf16 a[4:7], v[132:133], v[58:59], a[4:7]
	ds_read2st64_b64 v[132:135], v107 offset1:8
	v_mfma_f32_16x16x16_bf16 a[8:11], v[138:139], v[124:125], a[8:11]
	v_lshl_add_u64 v[124:125], v[76:77], 0, s[28:29]
	v_mfma_f32_16x16x16_bf16 a[16:19], v[138:139], v[58:59], a[12:15]
	v_add_co_u32_e32 v58, vcc, s39, v124
	s_waitcnt lgkmcnt(0)
	v_mov_b32_e32 v138, v132
	v_mfma_f32_16x16x16_bf16 a[0:3], v[140:141], v[126:127], a[0:3]
	v_mov_b32_e32 v139, v133
	v_mov_b32_e32 v132, v130
	;; [unrolled: 1-line block ×3, first 2 shown]
	v_mfma_f32_16x16x16_bf16 a[4:7], v[140:141], v[142:143], a[4:7]
	v_addc_co_u32_e32 v59, vcc, 0, v125, vcc
	global_store_dwordx4 v[58:59], v[132:135], off
	v_mfma_f32_16x16x16_bf16 a[12:15], v[144:145], v[126:127], a[8:11]
	s_and_b64 vcc, exec, s[0:1]
	global_store_dwordx4 v[124:125], v[136:139], off
	s_waitcnt vmcnt(3)
	v_mov_b32_e32 v60, v53
	v_mfma_f32_16x16x16_bf16 a[8:11], v[144:145], v[142:143], a[16:19]
	v_mov_b32_e32 v59, v52
	v_mov_b32_e32 v58, v51
	s_cbranch_vccnz .LBB393_17
; %bb.16:                               ;   in Loop: Header=BB393_7 Depth=1
	v_lshrrev_b32_e32 v51, 3, v122
	v_and_b32_e32 v51, 6, v51
	v_xor_b32_e32 v52, v51, v123
	v_lshlrev_b32_e32 v52, 2, v52
	v_and_b32_e32 v53, 8, v122
	v_xor_b32_e32 v122, 0x440, v52
	v_cmp_eq_u32_e32 vcc, 0, v53
	v_perm_b32 v53, v38, v34, s69
	s_nop 0
	v_cndmask_b32_e32 v52, v122, v52, vcc
	v_lshl_or_b32 v51, v51, 10, v52
	v_perm_b32 v52, v46, v42, s69
	s_barrier
	ds_write2st64_b32 v51, v52, v53 offset0:32 offset1:64
	v_xor_b32_e32 v52, 8, v51
	v_perm_b32 v42, v46, v42, s70
	v_perm_b32 v34, v38, v34, s70
	v_add_u32_e32 v38, 0x80, v52
	ds_write2st64_b32 v38, v42, v34 offset0:32 offset1:64
	v_xor_b32_e32 v34, 16, v51
	v_perm_b32 v38, v47, v43, s69
	v_perm_b32 v42, v39, v35, s69
	ds_write2st64_b32 v34, v38, v42 offset0:33 offset1:65
	v_xor_b32_e32 v34, 24, v51
	v_perm_b32 v38, v47, v43, s70
	v_perm_b32 v35, v39, v35, s70
	v_add_u32_e32 v34, 0x80, v34
	ds_write2st64_b32 v34, v38, v35 offset0:33 offset1:65
	v_xor_b32_e32 v34, 32, v51
	v_perm_b32 v35, v48, v44, s69
	v_perm_b32 v38, v40, v36, s69
	;; [unrolled: 9-line block ×3, first 2 shown]
	ds_write2st64_b32 v34, v35, v36 offset0:35 offset1:67
	v_xor_b32_e32 v34, 56, v51
	v_perm_b32 v35, v49, v45, s70
	v_perm_b32 v36, v41, v37, s70
	v_add_u32_e32 v34, 0x80, v34
	ds_write2st64_b32 v34, v35, v36 offset0:35 offset1:67
	ds_write_b64 v121, v[30:31] offset:24576
	v_xor_b32_e32 v30, 8, v121
	ds_write_b64 v30, v[32:33] offset:24576
	ds_write_b64 v121, v[26:27] offset:32768
	;; [unrolled: 1-line block ×4, first 2 shown]
	v_xor_b32_e32 v14, 8, v120
	ds_write_b64 v14, v[16:17] offset:24576
	ds_write_b64 v120, v[10:11] offset:32768
	;; [unrolled: 1-line block ×3, first 2 shown]
.LBB393_17:                             ;   in Loop: Header=BB393_7 Depth=1
	v_exp_f32_e32 v34, s4
	s_waitcnt vmcnt(2)
	v_exp_f32_e32 v36, v54
	v_exp_f32_e32 v37, v55
	;; [unrolled: 1-line block ×4, first 2 shown]
	v_accvgpr_read_b32 v29, a3
	v_accvgpr_read_b32 v27, a1
	;; [unrolled: 1-line block ×4, first 2 shown]
	v_pk_mul_f32 v[36:37], v[34:35], v[36:37] op_sel_hi:[0,1]
	v_accvgpr_read_b32 v28, a2
	v_accvgpr_read_b32 v11, a5
	;; [unrolled: 1-line block ×3, first 2 shown]
	v_pk_fma_f32 v[2:3], v[2:3], v[36:37], v[26:27]
	v_pk_mul_f32 v[26:27], v[34:35], v[38:39] op_sel_hi:[0,1]
	v_pk_fma_f32 v[4:5], v[4:5], v[26:27], v[28:29]
	v_fma_f32 v18, v18, v36, v10
	v_fma_f32 v19, v19, v37, v11
	v_exp_f32_e32 v10, v50
	v_exp_f32_e32 v11, v58
	;; [unrolled: 1-line block ×4, first 2 shown]
	v_accvgpr_read_b32 v12, a6
	v_accvgpr_read_b32 v33, a15
	;; [unrolled: 1-line block ×9, first 2 shown]
	v_fma_f32 v20, v20, v26, v12
	v_fmac_f32_e32 v13, v21, v27
	v_pk_mul_f32 v[10:11], v[34:35], v[10:11] op_sel_hi:[0,1]
	v_pk_mul_f32 v[26:27], v[34:35], v[28:29] op_sel_hi:[0,1]
	s_add_i32 s68, s68, 64
	v_pk_fma_f32 v[6:7], v[6:7], v[10:11], v[30:31]
	v_pk_fma_f32 v[8:9], v[8:9], v[26:27], v[32:33]
	v_fma_f32 v22, v22, v10, v14
	v_fma_f32 v23, v23, v11, v15
	;; [unrolled: 1-line block ×3, first 2 shown]
	s_cmp_eq_u32 s59, s72
	v_fmac_f32_e32 v17, v25, v27
	s_cbranch_scc1 .LBB393_19
; %bb.18:                               ;   in Loop: Header=BB393_7 Depth=1
	s_mov_b32 s73, s72
	v_mov_b32_e32 v21, v13
	v_mov_b32_e32 v25, v17
	s_branch .LBB393_7
.LBB393_19:
	v_mov_b32_e32 v16, v24
	v_mov_b32_e32 v15, v23
	;; [unrolled: 1-line block ×3, first 2 shown]
.LBB393_20:
	s_lshl_b32 s45, s59, 6
	s_sub_i32 s48, s24, s45
	v_mov_b32_e32 v12, v20
	v_mov_b32_e32 v11, v19
	;; [unrolled: 1-line block ×3, first 2 shown]
	s_cmp_gt_i32 s48, 0
	s_cbranch_scc0 .LBB393_85
; %bb.21:
	s_ashr_i32 s3, s45, 31
	s_cmpk_lg_i32 s27, 0x80
	s_cselect_b64 s[30:31], -1, 0
	s_and_b64 vcc, exec, s[30:31]
	s_cbranch_vccz .LBB393_23
; %bb.22:
	s_mul_hi_i32 s0, s58, s24
	s_add_u32 s1, s51, s45
	s_addc_u32 s0, s0, s3
	s_mul_i32 s4, s1, s60
	s_mul_hi_u32 s5, s1, s26
	s_add_i32 s4, s5, s4
	s_mul_i32 s0, s0, s26
	s_add_i32 s4, s4, s0
	s_mul_i32 s1, s1, s26
	s_ashr_i32 s0, s61, 31
	s_add_u32 s46, s1, s61
	s_addc_u32 s47, s4, s0
	s_cbranch_execz .LBB393_24
	s_branch .LBB393_25
.LBB393_23:
                                        ; implicit-def: $sgpr46_sgpr47
.LBB393_24:
	s_mul_hi_i32 s0, s58, s26
	s_mul_i32 s58, s58, s26
	s_ashr_i32 s1, s61, 31
	s_add_u32 s4, s58, s61
	s_addc_u32 s0, s0, s1
	s_mul_i32 s1, s4, s57
	s_mul_hi_u32 s5, s4, s24
	s_add_i32 s1, s5, s1
	s_mul_i32 s0, s0, s24
	s_add_i32 s1, s1, s0
	s_mul_i32 s4, s4, s24
	s_add_u32 s46, s4, s45
	s_addc_u32 s47, s1, s3
.LBB393_25:
	s_mul_i32 s0, s42, s57
	s_add_i32 s0, s64, s0
	s_add_i32 s4, s62, s59
	;; [unrolled: 1-line block ×3, first 2 shown]
	s_add_u32 s0, s44, s45
	v_lshlrev_b32_e32 v22, 5, v82
	v_lshlrev_b32_e32 v38, 2, v79
	s_addc_u32 s1, s1, s3
	s_mov_b32 s3, 0x7060302
	v_or_b32_e32 v25, v22, v38
	v_xor_b32_e32 v23, v82, v38
	v_perm_b32 v19, v5, v4, s3
	v_perm_b32 v18, v3, v2, s3
	;; [unrolled: 1-line block ×4, first 2 shown]
	v_lshlrev_b32_e32 v25, 1, v25
	v_xor_b32_e32 v24, v83, v38
	ds_write2st64_b64 v25, v[18:19], v[20:21] offset0:80 offset1:88
	v_lshlrev_b32_e32 v23, 1, v23
	v_lshlrev_b32_e32 v25, 8, v79
	s_lshl_b64 s[28:29], s[0:1], 8
	v_or_b32_e32 v26, v23, v25
	v_lshlrev_b32_e32 v24, 1, v24
	s_add_u32 s0, s18, s28
	ds_write_b64 v26, v[18:19]
	v_or_b32_e32 v18, v24, v25
	s_addc_u32 s1, s19, s29
	ds_write_b64 v18, v[20:21]
	v_perm_b32 v19, v13, v12, s3
	v_perm_b32 v18, v11, v10, s3
	;; [unrolled: 1-line block ×4, first 2 shown]
	v_or_b32_e32 v25, 16, v79
	s_mul_hi_i32 s3, s4, s25
	s_mul_i32 s4, s4, s25
	v_lshlrev_b32_e32 v35, 2, v25
	s_add_u32 s4, s4, s33
	v_or_b32_e32 v22, v22, v35
	s_addc_u32 s5, s3, s50
	v_lshlrev_b32_e32 v22, 1, v22
	s_ashr_i32 s3, s2, 31
	s_lshl_b64 s[4:5], s[4:5], 15
	ds_write2st64_b64 v22, v[18:19], v[20:21] offset0:80 offset1:88
	v_lshlrev_b32_e32 v22, 8, v25
	s_add_u32 s4, s12, s4
	v_or_b32_e32 v23, v23, v22
	s_addc_u32 s5, s13, s5
	s_lshl_b64 s[2:3], s[2:3], 8
	ds_write_b64 v23, v[18:19]
	v_or_b32_e32 v18, v24, v22
	s_add_u32 s2, s4, s2
	ds_write_b64 v18, v[20:21]
	v_lshrrev_b32_e32 v18, 4, v0
	s_addc_u32 s3, s5, s3
	v_lshlrev_b32_e32 v19, 1, v79
	v_lshlrev_b32_e32 v26, 4, v79
	v_mov_b32_e32 v27, 0
	v_or_b32_e32 v20, 1, v19
	v_xor_b32_e32 v19, v18, v19
	v_lshl_add_u64 v[28:29], s[2:3], 0, v[26:27]
	v_lshlrev_b32_e32 v26, 8, v18
	v_xor_b32_e32 v22, v20, v18
	v_lshl_or_b32 v18, v19, 3, v26
	s_waitcnt lgkmcnt(0)
	s_barrier
	ds_read2st64_b64 v[18:21], v18 offset1:8
	v_lshl_or_b32 v22, v22, 3, v26
	ds_read2st64_b64 v[22:25], v22 offset1:8
	v_lshl_add_u64 v[30:31], v[28:29], 0, v[26:27]
	s_movk_i32 s2, 0x1000
	s_waitcnt lgkmcnt(1)
	v_mov_b32_e32 v26, v18
	v_add_co_u32_e32 v18, vcc, s2, v30
	s_cmp_lg_u32 s48, 64
	v_mov_b32_e32 v27, v19
	v_addc_co_u32_e32 v19, vcc, 0, v31, vcc
	s_cselect_b64 s[18:19], -1, 0
	v_lshl_or_b32 v42, v1, 3, v81
	s_waitcnt lgkmcnt(0)
	v_mov_b32_e32 v28, v22
	v_mov_b32_e32 v29, v23
	;; [unrolled: 1-line block ×4, first 2 shown]
	s_mov_b32 s4, 0
	v_or_b32_e32 v36, 32, v42
	v_and_b32_e32 v34, 56, v80
	s_and_b64 vcc, exec, s[18:19]
	global_store_dwordx4 v[30:31], v[26:29], off
	global_store_dwordx4 v[18:19], v[22:25], off
	s_cbranch_vccz .LBB393_31
; %bb.26:
	s_mov_b32 s6, s4
	s_mov_b32 s7, s4
	;; [unrolled: 1-line block ×3, first 2 shown]
	v_mov_b64_e32 v[24:25], s[6:7]
	v_mov_b64_e32 v[22:23], s[4:5]
	;; [unrolled: 1-line block ×3, first 2 shown]
	v_cmp_gt_i32_e32 vcc, s48, v42
	v_mov_b64_e32 v[20:21], v[24:25]
	s_and_saveexec_b64 s[2:3], vcc
	s_cbranch_execz .LBB393_28
; %bb.27:
	v_lshlrev_b32_e32 v18, 8, v42
	v_mov_b32_e32 v19, 0
	v_lshl_add_u64 v[20:21], s[0:1], 0, v[18:19]
	v_lshlrev_b32_e32 v18, 1, v34
	v_lshl_add_u64 v[26:27], v[20:21], 0, v[18:19]
	global_load_dwordx4 v[22:25], v[26:27], off
	global_load_dwordx4 v[18:21], v[26:27], off offset:128
.LBB393_28:
	s_or_b64 exec, exec, s[2:3]
	s_mov_b32 s6, s4
	s_mov_b32 s7, s4
	;; [unrolled: 1-line block ×3, first 2 shown]
	v_mov_b64_e32 v[32:33], s[6:7]
	v_mov_b64_e32 v[30:31], s[4:5]
	;; [unrolled: 1-line block ×3, first 2 shown]
	v_cmp_gt_i32_e32 vcc, s48, v36
	v_lshlrev_b32_e32 v37, 7, v36
	v_mov_b64_e32 v[28:29], v[32:33]
	s_and_saveexec_b64 s[2:3], vcc
	s_cbranch_execz .LBB393_30
; %bb.29:
	v_lshlrev_b32_e32 v26, 1, v37
	v_mov_b32_e32 v27, 0
	v_lshl_add_u64 v[28:29], s[0:1], 0, v[26:27]
	v_lshlrev_b32_e32 v26, 1, v34
	v_lshl_add_u64 v[40:41], v[28:29], 0, v[26:27]
	global_load_dwordx4 v[30:33], v[40:41], off
	global_load_dwordx4 v[26:29], v[40:41], off offset:128
.LBB393_30:
	s_or_b64 exec, exec, s[2:3]
	v_lshrrev_b32_e32 v39, 3, v34
	v_lshlrev_b32_e32 v40, 3, v42
	v_or_b32_e32 v39, v40, v39
	v_lshlrev_b32_e32 v39, 4, v39
	v_and_b32_e32 v40, 0x78, v40
	v_xor_b32_e32 v39, v39, v40
	s_branch .LBB393_33
.LBB393_31:
                                        ; implicit-def: $vgpr39
                                        ; implicit-def: $vgpr37
                                        ; implicit-def: $vgpr22_vgpr23_vgpr24_vgpr25
                                        ; implicit-def: $vgpr18_vgpr19_vgpr20_vgpr21
                                        ; implicit-def: $vgpr30_vgpr31_vgpr32_vgpr33
                                        ; implicit-def: $vgpr26_vgpr27_vgpr28_vgpr29
	s_cbranch_execz .LBB393_33
; %bb.32:
	s_waitcnt vmcnt(0)
	v_lshlrev_b32_e32 v18, 1, v34
	v_lshl_or_b32 v37, v42, 8, v18
	s_and_b32 s1, s1, 0xffff
	s_mov_b32 s3, 0x20000
	s_movk_i32 s2, 0x4000
	v_lshl_or_b32 v39, v36, 8, v18
	s_movk_i32 s4, 0x80
	buffer_load_dwordx4 v[22:25], v37, s[0:3], 0 offen
	buffer_load_dwordx4 v[18:21], v37, s[0:3], s4 offen
	;; [unrolled: 1-line block ×4, first 2 shown]
	v_lshrrev_b32_e32 v37, 3, v34
	v_lshlrev_b32_e32 v39, 3, v42
	v_or_b32_e32 v37, v39, v37
	v_lshlrev_b32_e32 v37, 4, v37
	v_and_b32_e32 v39, 0x78, v39
	v_xor_b32_e32 v39, v37, v39
	v_lshlrev_b32_e32 v37, 7, v36
.LBB393_33:
	s_lshl_b64 s[0:1], s[46:47], 8
	s_add_u32 s4, s16, s0
	s_movk_i32 s0, 0x1000
	v_and_or_b32 v36, v37, s0, v39
	s_waitcnt vmcnt(1)
	ds_write_b64 v39, v[22:23] offset:24576
	v_xor_b32_e32 v22, 8, v39
	ds_write_b64 v22, v[24:25] offset:24576
	s_waitcnt vmcnt(0)
	ds_write_b64 v39, v[18:19] offset:32768
	ds_write_b64 v22, v[20:21] offset:32768
	;; [unrolled: 1-line block ×3, first 2 shown]
	v_xor_b32_e32 v18, 8, v36
	ds_write_b64 v18, v[32:33] offset:24576
	ds_write_b64 v36, v[26:27] offset:32768
	ds_write_b64 v18, v[28:29] offset:32768
	v_or_b32_e32 v18, v61, v79
	v_lshlrev_b32_e32 v18, 3, v18
	v_lshrrev_b32_e32 v19, 5, v63
	s_movk_i32 s2, 0xf8
	v_and_or_b32 v19, v18, s2, v19
	v_lshlrev_b32_e32 v23, 4, v19
	v_lshlrev_b32_e32 v39, 11, v1
	v_and_b32_e32 v24, 0x78, v18
	v_or_b32_e32 v26, 32, v23
	v_and_b32_e32 v22, 0x1000, v39
	v_lshrrev_b32_e32 v19, 1, v63
	v_xor_b32_e32 v26, v26, v24
	v_xor_b32_e32 v18, v23, v24
	v_and_b32_e32 v25, 8, v19
	v_or_b32_e32 v26, v26, v22
	v_or_b32_e32 v18, v18, v22
	v_xor_b32_e32 v44, v26, v25
	v_or_b32_e32 v26, 64, v23
	v_xor_b32_e32 v43, v18, v25
	v_xor_b32_e32 v26, v26, v24
	s_waitcnt lgkmcnt(0)
	s_barrier
	v_or_b32_e32 v28, v26, v22
	ds_read_b64 v[26:27], v43 offset:24576
	v_lshl_or_b32 v36, v78, 7, v38
	v_lshlrev_b32_e32 v40, 1, v36
	v_add_u32_e32 v18, 0xa000, v40
	ds_read2_b64 v[18:21], v18 offset1:16
	v_or_b32_e32 v23, 0x60, v23
	v_xor_b32_e32 v23, v23, v24
	s_waitcnt lgkmcnt(0)
	v_mfma_f32_16x16x16_bf16 a[0:3], v[26:27], v[18:19], 0
	v_or_b32_e32 v18, 64, v36
	v_or_b32_e32 v22, v23, v22
	v_lshlrev_b32_e32 v41, 1, v18
	v_xor_b32_e32 v45, v28, v25
	v_xor_b32_e32 v46, v22, v25
	ds_read_b64 v[28:29], v44 offset:24576
	ds_read_b64 v[30:31], v45 offset:24576
	;; [unrolled: 1-line block ×3, first 2 shown]
	v_mfma_f32_16x16x16_bf16 a[4:7], v[26:27], v[20:21], 0
	ds_read2st64_b64 v[18:21], v41 offset0:82 offset1:84
	ds_read2st64_b64 v[22:25], v40 offset0:82 offset1:84
	s_addc_u32 s5, s17, s1
	s_add_i32 s0, s53, s43
	s_add_i32 s16, s24, -1
	s_add_i32 s39, s0, s54
	s_add_i32 s0, s55, s52
	;; [unrolled: 1-line block ×3, first 2 shown]
	s_ashr_i32 s0, s16, 31
	s_mul_i32 s1, s16, s37
	s_mul_hi_u32 s2, s16, s36
	s_add_i32 s1, s2, s1
	s_mul_i32 s0, s0, s36
	s_waitcnt lgkmcnt(1)
	v_mfma_f32_16x16x16_bf16 a[4:7], v[28:29], v[18:19], a[4:7]
	s_add_i32 s1, s1, s0
	s_lshl_b64 s[2:3], s[38:39], 2
	s_add_u32 s6, s22, s2
	s_waitcnt lgkmcnt(0)
	v_mfma_f32_16x16x16_bf16 a[0:3], v[28:29], v[22:23], a[0:3]
	s_addc_u32 s7, s23, s3
	s_lshl_b64 s[2:3], s[40:41], 2
	s_mul_i32 s0, s16, s36
	s_add_u32 s12, s6, s2
	ds_read_b64 v[18:19], v40 offset:44032
	v_mfma_f32_16x16x16_bf16 a[4:7], v[30:31], v[20:21], a[4:7]
	ds_read_b64 v[20:21], v41 offset:44032
	s_addc_u32 s13, s7, s3
	s_lshl_b64 s[0:1], s[0:1], 2
	v_mfma_f32_16x16x16_bf16 a[0:3], v[30:31], v[24:25], a[0:3]
	s_add_u32 s0, s12, s0
	s_addc_u32 s1, s13, s1
	s_load_dword s17, s[0:1], 0x0
	s_waitcnt lgkmcnt(0)
	v_mfma_f32_16x16x16_bf16 a[0:3], v[32:33], v[18:19], a[0:3]
	s_and_b64 vcc, exec, s[30:31]
	v_mfma_f32_16x16x16_bf16 a[4:7], v[32:33], v[20:21], a[4:7]
	s_cbranch_vccz .LBB393_44
; %bb.34:
	v_lshlrev_b32_e32 v36, 1, v42
	s_and_b64 vcc, exec, s[18:19]
	s_cbranch_vccz .LBB393_45
; %bb.35:
	v_cmp_gt_i32_e32 vcc, s48, v36
	v_mov_b32_e32 v22, 0
	v_mov_b32_e32 v18, 0
	;; [unrolled: 1-line block ×5, first 2 shown]
	s_and_saveexec_b64 s[0:1], vcc
	s_cbranch_execz .LBB393_37
; %bb.36:
	v_mad_i64_i32 v[18:19], s[2:3], s27, v36, 0
	v_lshl_add_u64 v[18:19], v[18:19], 1, s[4:5]
	v_lshlrev_b32_e32 v20, 1, v34
	v_mov_b32_e32 v21, 0
	v_lshl_add_u64 v[18:19], v[18:19], 0, v[20:21]
	global_load_dwordx4 v[18:21], v[18:19], off
.LBB393_37:
	s_or_b64 exec, exec, s[0:1]
	v_or_b32_e32 v37, 1, v36
	v_cmp_gt_i32_e64 s[0:1], s48, v37
	v_mov_b32_e32 v23, 0
	v_mov_b32_e32 v24, 0
	;; [unrolled: 1-line block ×3, first 2 shown]
	s_and_saveexec_b64 s[2:3], s[0:1]
	s_cbranch_execz .LBB393_39
; %bb.38:
	v_mad_i64_i32 v[22:23], s[6:7], s27, v37, 0
	v_lshl_add_u64 v[22:23], v[22:23], 1, s[4:5]
	v_lshlrev_b32_e32 v24, 1, v34
	v_mov_b32_e32 v25, 0
	v_lshl_add_u64 v[22:23], v[22:23], 0, v[24:25]
	global_load_dwordx4 v[22:25], v[22:23], off
.LBB393_39:
	s_or_b64 exec, exec, s[2:3]
	v_mov_b32_e32 v33, 0
	v_mov_b32_e32 v26, 0
	;; [unrolled: 1-line block ×5, first 2 shown]
	s_and_saveexec_b64 s[2:3], vcc
	s_cbranch_execz .LBB393_41
; %bb.40:
	v_mad_i64_i32 v[26:27], s[6:7], s27, v36, 0
	v_lshl_add_u64 v[26:27], v[26:27], 1, s[4:5]
	v_lshlrev_b32_e32 v28, 1, v34
	v_mov_b32_e32 v29, 0
	v_lshl_add_u64 v[26:27], v[26:27], 0, v[28:29]
	global_load_dwordx4 v[26:29], v[26:27], off offset:128
.LBB393_41:
	s_or_b64 exec, exec, s[2:3]
	v_mov_b32_e32 v32, 0
	v_mov_b32_e32 v31, 0
	;; [unrolled: 1-line block ×3, first 2 shown]
	s_and_saveexec_b64 s[2:3], s[0:1]
	s_cbranch_execz .LBB393_43
; %bb.42:
	v_mad_i64_i32 v[30:31], s[0:1], s27, v37, 0
	v_lshl_add_u64 v[30:31], v[30:31], 1, s[4:5]
	v_lshlrev_b32_e32 v32, 1, v34
	v_mov_b32_e32 v33, 0
	v_lshl_add_u64 v[30:31], v[30:31], 0, v[32:33]
	global_load_dwordx4 v[30:33], v[30:31], off offset:128
.LBB393_43:
	s_or_b64 exec, exec, s[2:3]
	s_branch .LBB393_47
.LBB393_44:
                                        ; implicit-def: $vgpr21
                                        ; implicit-def: $vgpr25
                                        ; implicit-def: $vgpr29
                                        ; implicit-def: $vgpr33
	v_lshrrev_b32_e32 v47, 2, v63
	s_branch .LBB393_48
.LBB393_45:
                                        ; implicit-def: $vgpr21
                                        ; implicit-def: $vgpr25
                                        ; implicit-def: $vgpr29
                                        ; implicit-def: $vgpr33
	s_cbranch_execz .LBB393_47
; %bb.46:
	s_waitcnt vmcnt(0)
	v_mad_u64_u32 v[18:19], s[0:1], v36, s27, v[34:35]
	v_lshlrev_b32_e32 v36, 1, v18
	s_lshl_b32 s2, s27, 7
	s_and_b32 s1, s5, 0xffff
	s_mov_b32 s3, 0x20000
	s_mov_b32 s0, s4
	v_add_lshl_u32 v37, v18, s27, 1
	s_movk_i32 s6, 0x80
	buffer_load_dwordx4 v[18:21], v36, s[0:3], 0 offen
	buffer_load_dwordx4 v[26:29], v36, s[0:3], s6 offen
	;; [unrolled: 1-line block ×4, first 2 shown]
.LBB393_47:
	v_lshrrev_b32_e32 v47, 2, v63
	s_cbranch_execnz .LBB393_60
.LBB393_48:
	s_and_b64 vcc, exec, s[18:19]
	s_cbranch_vccz .LBB393_58
; %bb.49:
	s_waitcnt vmcnt(0)
	v_lshlrev_b32_e32 v23, 1, v42
	v_cmp_gt_i32_e32 vcc, s48, v23
	v_mov_b32_e32 v22, 0
	v_lshlrev_b32_e32 v30, 9, v42
	v_mov_b32_e32 v18, 0
	v_mov_b32_e32 v19, 0
	;; [unrolled: 1-line block ×4, first 2 shown]
	s_and_saveexec_b64 s[0:1], vcc
	s_cbranch_execz .LBB393_51
; %bb.50:
	v_mov_b32_e32 v31, 0
	v_lshl_add_u64 v[18:19], s[4:5], 0, v[30:31]
	v_lshlrev_b32_e32 v20, 1, v34
	v_mov_b32_e32 v21, v31
	v_lshl_add_u64 v[18:19], v[18:19], 0, v[20:21]
	global_load_dwordx4 v[18:21], v[18:19], off
.LBB393_51:
	s_or_b64 exec, exec, s[0:1]
	v_or_b32_e32 v23, 1, v23
	v_cmp_gt_i32_e64 s[0:1], s48, v23
	v_lshlrev_b32_e32 v36, 8, v23
	v_mov_b32_e32 v23, 0
	v_mov_b32_e32 v24, 0
	;; [unrolled: 1-line block ×3, first 2 shown]
	s_and_saveexec_b64 s[2:3], s[0:1]
	s_cbranch_execz .LBB393_53
; %bb.52:
	v_mov_b32_e32 v37, 0
	v_lshl_add_u64 v[22:23], s[4:5], 0, v[36:37]
	v_lshlrev_b32_e32 v24, 1, v34
	v_mov_b32_e32 v25, v37
	v_lshl_add_u64 v[22:23], v[22:23], 0, v[24:25]
	global_load_dwordx4 v[22:25], v[22:23], off
.LBB393_53:
	s_or_b64 exec, exec, s[2:3]
	v_mov_b32_e32 v33, 0
	v_mov_b32_e32 v26, 0
	;; [unrolled: 1-line block ×5, first 2 shown]
	s_and_saveexec_b64 s[2:3], vcc
	s_cbranch_execz .LBB393_55
; %bb.54:
	v_mov_b32_e32 v31, 0
	v_lshl_add_u64 v[26:27], s[4:5], 0, v[30:31]
	v_lshlrev_b32_e32 v30, 1, v34
	v_lshl_add_u64 v[26:27], v[26:27], 0, v[30:31]
	global_load_dwordx4 v[26:29], v[26:27], off offset:128
.LBB393_55:
	s_or_b64 exec, exec, s[2:3]
	v_mov_b32_e32 v32, 0
	v_mov_b32_e32 v31, 0
	;; [unrolled: 1-line block ×3, first 2 shown]
	s_and_saveexec_b64 s[2:3], s[0:1]
	s_cbranch_execz .LBB393_57
; %bb.56:
	v_mov_b32_e32 v37, 0
	v_lshl_add_u64 v[30:31], s[4:5], 0, v[36:37]
	v_lshlrev_b32_e32 v36, 1, v34
	v_lshl_add_u64 v[30:31], v[30:31], 0, v[36:37]
	global_load_dwordx4 v[30:33], v[30:31], off offset:128
.LBB393_57:
	s_or_b64 exec, exec, s[2:3]
	s_branch .LBB393_60
.LBB393_58:
                                        ; implicit-def: $vgpr21
                                        ; implicit-def: $vgpr25
                                        ; implicit-def: $vgpr29
                                        ; implicit-def: $vgpr33
	s_cbranch_execz .LBB393_60
; %bb.59:
	s_waitcnt vmcnt(0)
	v_lshlrev_b32_e32 v18, 1, v34
	v_lshl_or_b32 v34, v42, 9, v18
	s_and_b32 s5, s5, 0xffff
	s_mov_b32 s7, 0x20000
	s_movk_i32 s6, 0x4000
	s_movk_i32 s0, 0x80
	buffer_load_dwordx4 v[18:21], v34, s[4:7], 0 offen
	buffer_load_dwordx4 v[22:25], v34, s[4:7], 0 offen offset:256
	buffer_load_dwordx4 v[26:29], v34, s[4:7], s0 offen
	buffer_load_dwordx4 v[30:33], v34, s[4:7], s0 offen offset:256
.LBB393_60:
	ds_read_b64 v[36:37], v43 offset:32768
	v_add_u32_e32 v34, 0xb000, v40
	ds_read2_b64 v[48:51], v34 offset1:16
	ds_read_b64 v[56:57], v44 offset:32768
	ds_read_b64 v[44:45], v45 offset:32768
	;; [unrolled: 1-line block ×3, first 2 shown]
	ds_read2st64_b64 v[52:55], v41 offset0:90 offset1:92
	v_and_b32_e32 v43, 6, v0
	v_and_b32_e32 v34, 12, v47
	v_xor_b32_e32 v42, v42, v43
	v_lshlrev_b32_e32 v42, 2, v42
	s_mov_b32 s0, 0x1000504
	s_waitcnt lgkmcnt(4)
	v_mfma_f32_16x16x16_bf16 a[0:3], v[36:37], v[48:49], a[0:3]
	s_mov_b32 s1, 0x3020706
	v_mfma_f32_16x16x16_bf16 a[4:7], v[36:37], v[50:51], a[4:7]
	ds_read2st64_b64 v[48:51], v40 offset0:90 offset1:92
	ds_read_b64 v[36:37], v40 offset:48128
	ds_read_b64 v[46:47], v41 offset:48128
	s_waitcnt lgkmcnt(2)
	v_mfma_f32_16x16x16_bf16 a[0:3], v[56:57], v[48:49], a[0:3]
	v_and_b32_e32 v48, 1, v0
	v_xor_b32_e32 v49, 0x440, v42
	v_cmp_eq_u32_e32 vcc, 0, v48
	v_mfma_f32_16x16x16_bf16 a[4:7], v[56:57], v[52:53], a[4:7]
	s_nop 0
	v_cndmask_b32_e32 v42, v49, v42, vcc
	v_lshl_or_b32 v42, v43, 10, v42
	v_mfma_f32_16x16x16_bf16 a[0:3], v[44:45], v[50:51], a[0:3]
	v_mov_b32_e32 v43, 0
	v_mfma_f32_16x16x16_bf16 a[8:11], v[44:45], v[54:55], a[4:7]
	s_waitcnt lgkmcnt(1)
	v_mfma_f32_16x16x16_bf16 a[4:7], v[58:59], v[36:37], a[0:3]
	s_waitcnt vmcnt(0)
	v_perm_b32 v36, v18, v22, s0
	v_perm_b32 v37, v26, v30, s0
	ds_write2st64_b32 v42, v36, v37 offset0:32 offset1:64
	v_xor_b32_e32 v36, 8, v42
	v_perm_b32 v18, v18, v22, s1
	v_perm_b32 v22, v26, v30, s1
	v_add_u32_e32 v26, 0x80, v36
	ds_write2st64_b32 v26, v18, v22 offset0:32 offset1:64
	v_xor_b32_e32 v18, 16, v42
	v_perm_b32 v22, v19, v23, s0
	v_perm_b32 v26, v27, v31, s0
	ds_write2st64_b32 v18, v22, v26 offset0:33 offset1:65
	v_xor_b32_e32 v18, 24, v42
	v_perm_b32 v19, v19, v23, s1
	v_perm_b32 v22, v27, v31, s1
	v_add_u32_e32 v18, 0x80, v18
	ds_write2st64_b32 v18, v19, v22 offset0:33 offset1:65
	v_xor_b32_e32 v18, 32, v42
	v_perm_b32 v19, v20, v24, s0
	v_perm_b32 v22, v28, v32, s0
	ds_write2st64_b32 v18, v19, v22 offset0:34 offset1:66
	v_xor_b32_e32 v18, 40, v42
	s_waitcnt lgkmcnt(5)
	v_mfma_f32_16x16x16_bf16 a[0:3], v[58:59], v[46:47], a[8:11]
	v_perm_b32 v19, v20, v24, s1
	v_perm_b32 v20, v28, v32, s1
	v_add_u32_e32 v18, 0x80, v18
	ds_write2st64_b32 v18, v19, v20 offset0:34 offset1:66
	v_xor_b32_e32 v18, 48, v42
	v_perm_b32 v19, v21, v25, s0
	v_perm_b32 v20, v29, v33, s0
	ds_write2st64_b32 v18, v19, v20 offset0:35 offset1:67
	v_xor_b32_e32 v18, 56, v42
	v_or_b32_e32 v36, v34, v61
	v_perm_b32 v19, v21, v25, s1
	v_perm_b32 v20, v29, v33, s1
	v_add_u32_e32 v18, 0x80, v18
	v_cmp_gt_i32_e64 s[0:1], s48, v36
	v_mov_b32_e32 v42, 0
	ds_write2st64_b32 v18, v19, v20 offset0:35 offset1:67
	s_and_saveexec_b64 s[2:3], s[0:1]
	s_cbranch_execz .LBB393_62
; %bb.61:
	v_add_u32_e32 v18, s45, v36
	v_ashrrev_i32_e32 v19, 31, v18
	v_mul_lo_u32 v20, v19, s36
	v_mul_lo_u32 v21, v18, s37
	v_mad_u64_u32 v[18:19], s[4:5], v18, s36, 0
	v_add3_u32 v19, v19, v21, v20
	v_lshl_add_u64 v[18:19], v[18:19], 2, s[12:13]
	global_load_dword v18, v[18:19], off
	s_waitcnt vmcnt(0)
	v_sub_f32_e32 v18, s17, v18
	v_exp_f32_e32 v43, v18
.LBB393_62:
	s_or_b64 exec, exec, s[2:3]
	v_or_b32_e32 v30, 1, v36
	v_cmp_gt_i32_e64 s[4:5], s48, v30
	s_and_saveexec_b64 s[2:3], s[4:5]
	s_cbranch_execz .LBB393_64
; %bb.63:
	v_add_u32_e32 v18, s45, v30
	v_ashrrev_i32_e32 v19, 31, v18
	v_mul_lo_u32 v20, v19, s36
	v_mul_lo_u32 v21, v18, s37
	v_mad_u64_u32 v[18:19], s[6:7], v18, s36, 0
	v_add3_u32 v19, v19, v21, v20
	v_lshl_add_u64 v[18:19], v[18:19], 2, s[12:13]
	global_load_dword v18, v[18:19], off
	s_waitcnt vmcnt(0)
	v_sub_f32_e32 v18, s17, v18
	v_exp_f32_e32 v42, v18
.LBB393_64:
	s_or_b64 exec, exec, s[2:3]
	v_or_b32_e32 v28, 2, v36
	v_cmp_gt_i32_e64 s[2:3], s48, v28
	v_mov_b32_e32 v37, 0
	v_mov_b32_e32 v44, 0
	s_and_saveexec_b64 s[6:7], s[2:3]
	s_cbranch_execz .LBB393_66
; %bb.65:
	v_add_u32_e32 v18, s45, v28
	v_ashrrev_i32_e32 v19, 31, v18
	v_mul_lo_u32 v20, v19, s36
	v_mul_lo_u32 v21, v18, s37
	v_mad_u64_u32 v[18:19], s[18:19], v18, s36, 0
	v_add3_u32 v19, v19, v21, v20
	v_lshl_add_u64 v[18:19], v[18:19], 2, s[12:13]
	global_load_dword v18, v[18:19], off
	s_waitcnt vmcnt(0)
	v_sub_f32_e32 v18, s17, v18
	v_exp_f32_e32 v44, v18
.LBB393_66:
	s_or_b64 exec, exec, s[6:7]
	v_or_b32_e32 v29, 3, v36
	v_cmp_gt_i32_e32 vcc, s48, v29
	s_and_saveexec_b64 s[6:7], vcc
	s_cbranch_execz .LBB393_68
; %bb.67:
	v_add_u32_e32 v18, s45, v29
	v_ashrrev_i32_e32 v19, 31, v18
	v_mul_lo_u32 v20, v19, s36
	v_mul_lo_u32 v21, v18, s37
	v_mad_u64_u32 v[18:19], s[18:19], v18, s36, 0
	v_add3_u32 v19, v19, v21, v20
	v_lshl_add_u64 v[18:19], v[18:19], 2, s[12:13]
	global_load_dword v18, v[18:19], off
	s_waitcnt vmcnt(0)
	v_sub_f32_e32 v18, s17, v18
	v_exp_f32_e32 v37, v18
.LBB393_68:
	s_or_b64 exec, exec, s[6:7]
	s_add_u32 s6, s20, s28
	s_addc_u32 s7, s21, s29
	s_add_u32 s12, s14, s28
	v_ashrrev_i32_e32 v69, 31, v68
	v_accvgpr_read_b32 v21, a7
	s_addc_u32 s13, s15, s29
	v_lshlrev_b64 v[22:23], 1, v[68:69]
	v_accvgpr_read_b32 v20, a6
	v_accvgpr_read_b32 v19, a5
	;; [unrolled: 1-line block ×3, first 2 shown]
	v_lshl_add_u64 v[24:25], s[6:7], 0, v[22:23]
	v_lshl_add_u64 v[22:23], s[12:13], 0, v[22:23]
	v_mov_b32_e32 v31, 0
	v_lshlrev_b32_e32 v26, 8, v36
	v_mov_b32_e32 v27, 0
	s_and_saveexec_b64 s[6:7], s[0:1]
	s_cbranch_execz .LBB393_70
; %bb.69:
	v_mov_b32_e32 v27, 0
	v_lshl_add_u64 v[32:33], v[24:25], 0, v[26:27]
	global_load_ushort v45, v[32:33], off
	v_lshl_add_u64 v[32:33], v[22:23], 0, v[26:27]
	s_waitcnt vmcnt(0)
	v_lshlrev_b32_e32 v27, 16, v45
	v_sub_f32_e32 v18, v27, v18
	global_store_short_d16_hi v[32:33], v18, off
	v_mul_f32_e32 v18, v43, v18
	v_lshrrev_b32_e32 v27, 16, v18
.LBB393_70:
	s_or_b64 exec, exec, s[6:7]
	v_lshlrev_b32_e32 v30, 8, v30
	s_and_saveexec_b64 s[6:7], s[4:5]
	s_cbranch_execz .LBB393_72
; %bb.71:
	v_mov_b32_e32 v31, 0
	v_lshl_add_u64 v[32:33], v[24:25], 0, v[30:31]
	global_load_ushort v18, v[32:33], off
	v_lshl_add_u64 v[32:33], v[22:23], 0, v[30:31]
	s_waitcnt vmcnt(0)
	v_lshlrev_b32_e32 v18, 16, v18
	v_sub_f32_e32 v18, v18, v19
	global_store_short_d16_hi v[32:33], v18, off
	v_mul_f32_e32 v18, v42, v18
	v_lshrrev_b32_e32 v31, 16, v18
.LBB393_72:
	s_or_b64 exec, exec, s[6:7]
	v_mov_b32_e32 v46, 0
	v_lshlrev_b32_e32 v32, 8, v28
	v_mov_b32_e32 v33, 0
	s_and_saveexec_b64 s[6:7], s[2:3]
	s_cbranch_execz .LBB393_74
; %bb.73:
	v_mov_b32_e32 v33, 0
	v_lshl_add_u64 v[18:19], v[24:25], 0, v[32:33]
	global_load_ushort v28, v[18:19], off
	v_lshl_add_u64 v[18:19], v[22:23], 0, v[32:33]
	s_waitcnt vmcnt(0)
	v_lshlrev_b32_e32 v28, 16, v28
	v_sub_f32_e32 v20, v28, v20
	global_store_short_d16_hi v[18:19], v20, off
	v_mul_f32_e32 v18, v44, v20
	v_lshrrev_b32_e32 v33, 16, v18
.LBB393_74:
	s_or_b64 exec, exec, s[6:7]
	v_lshlrev_b32_e32 v28, 8, v29
	s_and_saveexec_b64 s[6:7], vcc
	s_cbranch_execz .LBB393_76
; %bb.75:
	v_mov_b32_e32 v29, 0
	v_lshl_add_u64 v[18:19], v[24:25], 0, v[28:29]
	global_load_ushort v20, v[18:19], off
	v_lshl_add_u64 v[18:19], v[22:23], 0, v[28:29]
	s_waitcnt vmcnt(0)
	v_lshlrev_b32_e32 v20, 16, v20
	v_sub_f32_e32 v20, v20, v21
	global_store_short_d16_hi v[18:19], v20, off
	v_mul_f32_e32 v18, v37, v20
	v_lshrrev_b32_e32 v46, 16, v18
.LBB393_76:
	s_or_b64 exec, exec, s[6:7]
	v_lshlrev_b32_e32 v45, 5, v36
	s_mov_b32 s6, 0x5040100
	v_perm_b32 v47, v46, v33, s6
	v_perm_b32 v46, v31, v27, s6
	v_or_b32_e32 v27, v45, v38
	v_accvgpr_read_b32 v21, a3
	v_lshlrev_b32_e32 v27, 1, v27
	v_accvgpr_read_b32 v20, a2
	v_accvgpr_read_b32 v19, a1
	;; [unrolled: 1-line block ×3, first 2 shown]
	ds_write_b64 v27, v[46:47] offset:45056
	v_mov_b32_e32 v31, 0
	v_mov_b32_e32 v27, 0
	s_and_saveexec_b64 s[6:7], s[0:1]
	s_cbranch_execz .LBB393_78
; %bb.77:
	v_mov_b32_e32 v27, 0
	v_lshl_add_u64 v[46:47], v[24:25], 0, v[26:27]
	global_load_ushort v29, v[46:47], off offset:32
	v_lshl_add_u64 v[26:27], v[22:23], 0, v[26:27]
	s_waitcnt vmcnt(0)
	v_lshlrev_b32_e32 v29, 16, v29
	v_sub_f32_e32 v18, v29, v18
	global_store_short_d16_hi v[26:27], v18, off offset:32
	v_mul_f32_e32 v18, v43, v18
	v_lshrrev_b32_e32 v27, 16, v18
.LBB393_78:
	s_or_b64 exec, exec, s[6:7]
	s_and_saveexec_b64 s[0:1], s[4:5]
	s_cbranch_execz .LBB393_80
; %bb.79:
	v_mov_b32_e32 v31, 0
	v_lshl_add_u64 v[46:47], v[24:25], 0, v[30:31]
	global_load_ushort v18, v[46:47], off offset:32
	v_lshl_add_u64 v[30:31], v[22:23], 0, v[30:31]
	s_waitcnt vmcnt(0)
	v_lshlrev_b32_e32 v18, 16, v18
	v_sub_f32_e32 v18, v18, v19
	global_store_short_d16_hi v[30:31], v18, off offset:32
	v_mul_f32_e32 v18, v42, v18
	v_lshrrev_b32_e32 v31, 16, v18
.LBB393_80:
	s_or_b64 exec, exec, s[0:1]
	v_mov_b32_e32 v26, 0
	v_mov_b32_e32 v30, 0
	s_and_saveexec_b64 s[0:1], s[2:3]
	s_cbranch_execz .LBB393_82
; %bb.81:
	v_mov_b32_e32 v33, 0
	v_lshl_add_u64 v[18:19], v[24:25], 0, v[32:33]
	global_load_ushort v29, v[18:19], off offset:32
	v_lshl_add_u64 v[18:19], v[22:23], 0, v[32:33]
	s_waitcnt vmcnt(0)
	v_lshlrev_b32_e32 v29, 16, v29
	v_sub_f32_e32 v20, v29, v20
	global_store_short_d16_hi v[18:19], v20, off offset:32
	v_mul_f32_e32 v18, v44, v20
	v_lshrrev_b32_e32 v30, 16, v18
.LBB393_82:
	s_or_b64 exec, exec, s[0:1]
	v_or_b32_e32 v19, 0xb000, v40
	v_or_b32_e32 v18, 0xb000, v41
	s_and_saveexec_b64 s[0:1], vcc
	s_cbranch_execz .LBB393_84
; %bb.83:
	v_mov_b32_e32 v29, 0
	v_lshl_add_u64 v[24:25], v[24:25], 0, v[28:29]
	global_load_ushort v20, v[24:25], off offset:32
	v_lshl_add_u64 v[22:23], v[22:23], 0, v[28:29]
	s_waitcnt vmcnt(0)
	v_lshlrev_b32_e32 v20, 16, v20
	v_sub_f32_e32 v20, v20, v21
	global_store_short_d16_hi v[22:23], v20, off offset:32
	v_mul_f32_e32 v20, v37, v20
	v_lshrrev_b32_e32 v26, 16, v20
.LBB393_84:
	s_or_b64 exec, exec, s[0:1]
	s_mov_b32 s0, 0x5040100
	v_or_b32_e32 v22, v45, v35
	v_perm_b32 v21, v26, v30, s0
	v_perm_b32 v20, v31, v27, s0
	v_lshlrev_b32_e32 v22, 1, v22
	s_movk_i32 s2, 0x100
	ds_write_b64 v22, v[20:21] offset:45056
	v_and_b32_e32 v20, 7, v0
	v_and_b32_e32 v21, 8, v0
	v_cmp_gt_u32_e32 vcc, s2, v0
	v_lshrrev_b32_e32 v0, 1, v0
	v_lshlrev_b32_e32 v26, 3, v20
	v_lshlrev_b32_e32 v47, 7, v20
	v_mov_b32_e32 v20, 0x4000
	v_mov_b32_e32 v22, 0x2000
	v_lshlrev_b32_e32 v24, 3, v1
	v_and_b32_e32 v0, 24, v0
	v_cndmask_b32_e32 v27, v20, v22, vcc
	v_xor_b32_e32 v20, v24, v0
	v_or_b32_e32 v22, 0x440, v20
	v_cmp_eq_u32_e32 vcc, 0, v21
	v_or_b32_e32 v28, 32, v0
	v_xor_b32_e32 v28, v24, v28
	v_cndmask_b32_e32 v20, v22, v20, vcc
	v_or_b32_e32 v20, v20, v39
	v_xor_b32_e32 v48, v20, v26
	v_or_b32_e32 v29, 0x440, v28
	v_add3_u32 v25, v27, v48, v47
	v_cndmask_b32_e32 v28, v29, v28, vcc
	v_or_b32_e32 v29, 64, v0
	v_or_b32_e32 v0, 0x60, v0
	s_waitcnt lgkmcnt(0)
	s_barrier
	v_xor_b32_e32 v29, v24, v29
	v_xor_b32_e32 v0, v24, v0
	ds_read_b64 v[24:25], v25
	v_xor_b32_e32 v30, 0x440, v29
	v_cndmask_b32_e32 v29, v30, v29, vcc
	v_xor_b32_e32 v30, 0x440, v0
	ds_read2_b64 v[20:23], v19 offset1:16
	v_cndmask_b32_e32 v0, v30, v0, vcc
	v_or_b32_e32 v28, v28, v39
	v_or_b32_e32 v29, v29, v39
	;; [unrolled: 1-line block ×3, first 2 shown]
	v_xor_b32_e32 v49, v28, v26
	v_xor_b32_e32 v50, v29, v26
	;; [unrolled: 1-line block ×3, first 2 shown]
	s_add_i32 s0, s16, s51
	v_add3_u32 v28, v27, v49, v47
	v_add3_u32 v29, v27, v50, v47
	;; [unrolled: 1-line block ×3, first 2 shown]
	s_mul_hi_i32 s1, s0, s25
	s_mul_i32 s0, s0, s25
	ds_read_b64 v[26:27], v28
	ds_read_b64 v[32:33], v29
	;; [unrolled: 1-line block ×3, first 2 shown]
	ds_read2st64_b64 v[28:31], v19 offset0:2 offset1:4
	ds_read2st64_b64 v[38:41], v18 offset0:2 offset1:4
	s_add_u32 s0, s0, s33
	s_waitcnt lgkmcnt(5)
	v_mfma_f32_16x16x16_bf16 a[0:3], v[24:25], v[20:21], 0
	s_addc_u32 s1, s1, s50
	s_lshl_b64 s[0:1], s[0:1], 9
	s_add_u32 s0, s8, s0
	v_mfma_f32_16x16x16_bf16 a[4:7], v[24:25], v[22:23], 0
	s_addc_u32 s1, s9, s1
	v_lshlrev_b32_e32 v24, 2, v36
	v_lshlrev_b32_e32 v1, 6, v1
	s_waitcnt lgkmcnt(1)
	v_mfma_f32_16x16x16_bf16 a[0:3], v[26:27], v[28:29], a[0:3]
	v_add_u32_e32 v48, v48, v47
	v_exp_f32_e32 v46, s17
	v_add_u32_e32 v0, v0, v47
	s_waitcnt lgkmcnt(0)
	v_mfma_f32_16x16x16_bf16 a[4:7], v[26:27], v[38:39], a[4:7]
	global_load_dwordx4 v[24:27], v24, s[0:1]
	ds_read_b64 v[36:37], v19 offset:3072
	ds_read_b64 v[44:45], v18 offset:3072
	v_lshlrev_b32_e32 v18, 2, v34
	v_or3_b32 v1, v1, v18, s2
	v_mfma_f32_16x16x16_bf16 a[0:3], v[32:33], v[30:31], a[0:3]
	s_waitcnt vmcnt(0)
	v_exp_f32_e32 v18, v24
	v_mfma_f32_16x16x16_bf16 a[4:7], v[32:33], v[40:41], a[4:7]
	global_load_dwordx4 v[32:35], v1, s[0:1]
	v_exp_f32_e32 v19, v25
	ds_read_b64 v[24:25], v48 offset:16384
	s_waitcnt lgkmcnt(2)
	v_mfma_f32_16x16x16_bf16 a[0:3], v[42:43], v[36:37], a[0:3]
	v_add_u32_e32 v48, v50, v47
	v_pk_mul_f32 v[52:53], v[46:47], v[18:19] op_sel_hi:[0,1]
	v_exp_f32_e32 v26, v26
	s_waitcnt lgkmcnt(1)
	v_mfma_f32_16x16x16_bf16 a[4:7], v[42:43], v[44:45], a[4:7]
	v_add_u32_e32 v42, v49, v47
	ds_read_b64 v[42:43], v42 offset:16384
	ds_read_b64 v[48:49], v48 offset:16384
	;; [unrolled: 1-line block ×3, first 2 shown]
	v_accvgpr_read_b32 v19, a1
	s_waitcnt lgkmcnt(3)
	v_mfma_f32_16x16x16_bf16 a[8:11], v[24:25], v[20:21], 0
	v_accvgpr_read_b32 v1, a3
	v_accvgpr_read_b32 v0, a2
	;; [unrolled: 1-line block ×3, first 2 shown]
	v_mfma_f32_16x16x16_bf16 a[0:3], v[24:25], v[22:23], 0
	v_exp_f32_e32 v27, v27
	v_pk_fma_f32 v[18:19], v[2:3], v[52:53], v[18:19]
	v_pk_mul_f32 v[2:3], v[46:47], v[26:27] op_sel_hi:[0,1]
	s_waitcnt lgkmcnt(2)
	v_mfma_f32_16x16x16_bf16 a[8:11], v[42:43], v[28:29], a[8:11]
	v_pk_fma_f32 v[20:21], v[4:5], v[2:3], v[0:1]
	v_accvgpr_read_b32 v0, a4
	v_fma_f32 v26, v10, v52, v0
	v_mfma_f32_16x16x16_bf16 a[0:3], v[42:43], v[38:39], a[0:3]
	v_accvgpr_read_b32 v0, a5
	v_fma_f32 v27, v11, v53, v0
	v_accvgpr_read_b32 v0, a6
	s_waitcnt lgkmcnt(1)
	v_mfma_f32_16x16x16_bf16 a[8:11], v[48:49], v[30:31], a[8:11]
	v_fma_f32 v28, v12, v2, v0
	v_accvgpr_read_b32 v29, a7
	v_fmac_f32_e32 v29, v13, v3
	v_mfma_f32_16x16x16_bf16 a[0:3], v[48:49], v[40:41], a[0:3]
	s_waitcnt vmcnt(0)
	v_mov_b32_e32 v0, v33
	v_mov_b32_e32 v1, v34
	;; [unrolled: 1-line block ×3, first 2 shown]
	v_exp_f32_e32 v5, v0
	v_exp_f32_e32 v0, v1
	s_waitcnt lgkmcnt(0)
	v_mfma_f32_16x16x16_bf16 a[4:7], v[50:51], v[36:37], a[8:11]
	v_exp_f32_e32 v1, v2
	v_exp_f32_e32 v4, v32
	v_pk_mul_f32 v[0:1], v[46:47], v[0:1] op_sel_hi:[0,1]
	v_mfma_f32_16x16x16_bf16 a[0:3], v[50:51], v[44:45], a[0:3]
	v_pk_mul_f32 v[4:5], v[46:47], v[4:5] op_sel_hi:[0,1]
	s_nop 1
	v_accvgpr_read_b32 v3, a7
	v_accvgpr_read_b32 v2, a6
	v_pk_fma_f32 v[24:25], v[8:9], v[0:1], v[2:3]
	v_accvgpr_read_b32 v11, a5
	v_accvgpr_read_b32 v10, a4
	v_pk_fma_f32 v[22:23], v[6:7], v[4:5], v[10:11]
	v_accvgpr_read_b32 v2, a0
	v_fma_f32 v30, v14, v4, v2
	v_accvgpr_read_b32 v2, a1
	v_fma_f32 v31, v15, v5, v2
	v_accvgpr_read_b32 v2, a2
	v_accvgpr_read_b32 v33, a3
	v_fma_f32 v32, v16, v0, v2
	v_fmac_f32_e32 v33, v17, v1
	v_mov_b64_e32 v[2:3], v[18:19]
	v_mov_b64_e32 v[4:5], v[20:21]
	;; [unrolled: 1-line block ×8, first 2 shown]
.LBB393_85:
	s_add_u32 s0, s10, s34
	s_addc_u32 s1, s11, s35
	v_lshl_add_u64 v[0:1], v[66:67], 2, s[0:1]
	v_mov_b32_e32 v63, 0
	v_lshl_add_u64 v[0:1], v[0:1], 0, v[62:63]
	global_store_dwordx4 v[0:1], v[2:5], off
	global_store_dwordx4 v[0:1], v[6:9], off offset:256
	v_lshl_add_u64 v[0:1], v[64:65], 2, s[0:1]
	v_lshl_add_u64 v[0:1], v[0:1], 0, v[62:63]
	global_store_dwordx4 v[0:1], v[10:13], off
	global_store_dwordx4 v[0:1], v[14:17], off offset:256
	s_endpgm
	.section	.rodata,"a",@progbits
	.p2align	6, 0x0
	.amdhsa_kernel _ZN12_GLOBAL__N_139chunk_gated_delta_rule_fwd_h_hip_kernelILi32ELb1ELb1ELb1ELb0ELb1ELb1ELb1ELb0EEEvPK12hip_bfloat16S3_S3_PKfS5_PKvPS1_S8_PvPKiSB_iiiiilll
		.amdhsa_group_segment_fixed_size 49152
		.amdhsa_private_segment_fixed_size 0
		.amdhsa_kernarg_size 136
		.amdhsa_user_sgpr_count 2
		.amdhsa_user_sgpr_dispatch_ptr 0
		.amdhsa_user_sgpr_queue_ptr 0
		.amdhsa_user_sgpr_kernarg_segment_ptr 1
		.amdhsa_user_sgpr_dispatch_id 0
		.amdhsa_user_sgpr_kernarg_preload_length 0
		.amdhsa_user_sgpr_kernarg_preload_offset 0
		.amdhsa_user_sgpr_private_segment_size 0
		.amdhsa_uses_dynamic_stack 0
		.amdhsa_enable_private_segment 0
		.amdhsa_system_sgpr_workgroup_id_x 1
		.amdhsa_system_sgpr_workgroup_id_y 1
		.amdhsa_system_sgpr_workgroup_id_z 0
		.amdhsa_system_sgpr_workgroup_info 0
		.amdhsa_system_vgpr_workitem_id 0
		.amdhsa_next_free_vgpr 168
		.amdhsa_next_free_sgpr 76
		.amdhsa_accum_offset 148
		.amdhsa_reserve_vcc 1
		.amdhsa_float_round_mode_32 0
		.amdhsa_float_round_mode_16_64 0
		.amdhsa_float_denorm_mode_32 3
		.amdhsa_float_denorm_mode_16_64 3
		.amdhsa_dx10_clamp 1
		.amdhsa_ieee_mode 1
		.amdhsa_fp16_overflow 0
		.amdhsa_tg_split 0
		.amdhsa_exception_fp_ieee_invalid_op 0
		.amdhsa_exception_fp_denorm_src 0
		.amdhsa_exception_fp_ieee_div_zero 0
		.amdhsa_exception_fp_ieee_overflow 0
		.amdhsa_exception_fp_ieee_underflow 0
		.amdhsa_exception_fp_ieee_inexact 0
		.amdhsa_exception_int_div_zero 0
	.end_amdhsa_kernel
	.section	.text._ZN12_GLOBAL__N_139chunk_gated_delta_rule_fwd_h_hip_kernelILi32ELb1ELb1ELb1ELb0ELb1ELb1ELb1ELb0EEEvPK12hip_bfloat16S3_S3_PKfS5_PKvPS1_S8_PvPKiSB_iiiiilll,"axG",@progbits,_ZN12_GLOBAL__N_139chunk_gated_delta_rule_fwd_h_hip_kernelILi32ELb1ELb1ELb1ELb0ELb1ELb1ELb1ELb0EEEvPK12hip_bfloat16S3_S3_PKfS5_PKvPS1_S8_PvPKiSB_iiiiilll,comdat
.Lfunc_end393:
	.size	_ZN12_GLOBAL__N_139chunk_gated_delta_rule_fwd_h_hip_kernelILi32ELb1ELb1ELb1ELb0ELb1ELb1ELb1ELb0EEEvPK12hip_bfloat16S3_S3_PKfS5_PKvPS1_S8_PvPKiSB_iiiiilll, .Lfunc_end393-_ZN12_GLOBAL__N_139chunk_gated_delta_rule_fwd_h_hip_kernelILi32ELb1ELb1ELb1ELb0ELb1ELb1ELb1ELb0EEEvPK12hip_bfloat16S3_S3_PKfS5_PKvPS1_S8_PvPKiSB_iiiiilll
                                        ; -- End function
	.section	.AMDGPU.csdata,"",@progbits
; Kernel info:
; codeLenInByte = 9816
; NumSgprs: 82
; NumVgprs: 146
; NumAgprs: 20
; TotalNumVgprs: 168
; ScratchSize: 0
; MemoryBound: 0
; FloatMode: 240
; IeeeMode: 1
; LDSByteSize: 49152 bytes/workgroup (compile time only)
; SGPRBlocks: 10
; VGPRBlocks: 20
; NumSGPRsForWavesPerEU: 82
; NumVGPRsForWavesPerEU: 168
; AccumOffset: 148
; Occupancy: 1
; WaveLimiterHint : 1
; COMPUTE_PGM_RSRC2:SCRATCH_EN: 0
; COMPUTE_PGM_RSRC2:USER_SGPR: 2
; COMPUTE_PGM_RSRC2:TRAP_HANDLER: 0
; COMPUTE_PGM_RSRC2:TGID_X_EN: 1
; COMPUTE_PGM_RSRC2:TGID_Y_EN: 1
; COMPUTE_PGM_RSRC2:TGID_Z_EN: 0
; COMPUTE_PGM_RSRC2:TIDIG_COMP_CNT: 0
; COMPUTE_PGM_RSRC3_GFX90A:ACCUM_OFFSET: 36
; COMPUTE_PGM_RSRC3_GFX90A:TG_SPLIT: 0
	.section	.text._ZN12_GLOBAL__N_139chunk_gated_delta_rule_fwd_h_hip_kernelILi32ELb1ELb1ELb0ELb0ELb1ELb1ELb1ELb0EEEvPK12hip_bfloat16S3_S3_PKfS5_PKvPS1_S8_PvPKiSB_iiiiilll,"axG",@progbits,_ZN12_GLOBAL__N_139chunk_gated_delta_rule_fwd_h_hip_kernelILi32ELb1ELb1ELb0ELb0ELb1ELb1ELb1ELb0EEEvPK12hip_bfloat16S3_S3_PKfS5_PKvPS1_S8_PvPKiSB_iiiiilll,comdat
	.globl	_ZN12_GLOBAL__N_139chunk_gated_delta_rule_fwd_h_hip_kernelILi32ELb1ELb1ELb0ELb0ELb1ELb1ELb1ELb0EEEvPK12hip_bfloat16S3_S3_PKfS5_PKvPS1_S8_PvPKiSB_iiiiilll ; -- Begin function _ZN12_GLOBAL__N_139chunk_gated_delta_rule_fwd_h_hip_kernelILi32ELb1ELb1ELb0ELb0ELb1ELb1ELb1ELb0EEEvPK12hip_bfloat16S3_S3_PKfS5_PKvPS1_S8_PvPKiSB_iiiiilll
	.p2align	8
	.type	_ZN12_GLOBAL__N_139chunk_gated_delta_rule_fwd_h_hip_kernelILi32ELb1ELb1ELb0ELb0ELb1ELb1ELb1ELb0EEEvPK12hip_bfloat16S3_S3_PKfS5_PKvPS1_S8_PvPKiSB_iiiiilll,@function
_ZN12_GLOBAL__N_139chunk_gated_delta_rule_fwd_h_hip_kernelILi32ELb1ELb1ELb0ELb0ELb1ELb1ELb1ELb0EEEvPK12hip_bfloat16S3_S3_PKfS5_PKvPS1_S8_PvPKiSB_iiiiilll: ; @_ZN12_GLOBAL__N_139chunk_gated_delta_rule_fwd_h_hip_kernelILi32ELb1ELb1ELb0ELb0ELb1ELb1ELb1ELb0EEEvPK12hip_bfloat16S3_S3_PKfS5_PKvPS1_S8_PvPKiSB_iiiiilll
; %bb.0:
	s_load_dwordx4 s[12:15], s[0:1], 0x5c
	s_abs_i32 s6, s3
	s_ashr_i32 s5, s3, 31
	s_load_dwordx4 s[16:19], s[0:1], 0x20
	s_load_dwordx2 s[38:39], s[0:1], 0x30
	v_and_b32_e32 v77, 15, v0
	s_waitcnt lgkmcnt(0)
	s_abs_i32 s4, s13
	v_cvt_f32_u32_e32 v1, s4
	s_sub_i32 s8, 0, s4
	s_ashr_i32 s7, s13, 31
	s_xor_b32 s5, s5, s7
	v_rcp_iflag_f32_e32 v1, v1
	v_bfe_u32 v76, v0, 4, 2
	v_mov_b32_e32 v63, 0
	v_lshlrev_b32_e32 v78, 3, v0
	v_mul_f32_e32 v1, 0x4f7ffffe, v1
	v_cvt_u32_f32_e32 v1, v1
	s_nop 0
	v_readfirstlane_b32 s9, v1
	s_mul_i32 s8, s8, s9
	s_mul_hi_u32 s8, s9, s8
	s_add_i32 s9, s9, s8
	s_mul_hi_u32 s8, s6, s9
	s_mul_i32 s9, s8, s4
	s_sub_i32 s6, s6, s9
	s_add_i32 s10, s8, 1
	s_sub_i32 s9, s6, s4
	s_cmp_ge_u32 s6, s4
	s_cselect_b32 s8, s10, s8
	s_cselect_b32 s6, s9, s6
	s_add_i32 s9, s8, 1
	s_cmp_ge_u32 s6, s4
	s_cselect_b32 s6, s9, s8
	s_xor_b32 s6, s6, s5
	s_sub_i32 s56, s6, s5
	s_mul_i32 s6, s56, s13
	s_sub_i32 s33, s3, s6
	s_abs_i32 s3, s14
	v_cvt_f32_u32_e32 v1, s3
	s_add_i32 s8, s12, 63
	s_ashr_i32 s9, s8, 31
	s_lshr_b32 s5, s9, 26
	v_rcp_iflag_f32_e32 v1, v1
	s_ashr_i32 s55, s12, 31
	s_add_i32 s8, s8, s5
	s_lshr_b32 s5, s55, 26
	v_mul_f32_e32 v1, 0x4f7ffffe, v1
	v_cvt_u32_f32_e32 v1, v1
	s_add_i32 s5, s12, s5
	s_ashr_i32 s58, s14, 31
	s_ashr_i32 s24, s8, 6
	;; [unrolled: 1-line block ×3, first 2 shown]
	s_xor_b32 s5, s7, s58
	s_sub_i32 s7, 0, s3
	v_readfirstlane_b32 s8, v1
	s_mul_i32 s7, s7, s8
	s_mul_hi_u32 s7, s8, s7
	s_add_i32 s8, s8, s7
	s_mul_hi_u32 s7, s4, s8
	s_mul_i32 s8, s7, s3
	s_sub_i32 s4, s4, s8
	s_lshl_b32 s2, s2, 5
	s_add_i32 s8, s7, 1
	s_sub_i32 s9, s4, s3
	s_cmp_ge_u32 s4, s3
	s_cselect_b32 s7, s8, s7
	s_cselect_b32 s4, s9, s4
	s_add_i32 s8, s7, 1
	s_cmp_ge_u32 s4, s3
	s_cselect_b32 s3, s8, s7
	s_xor_b32 s3, s3, s5
	s_sub_i32 s3, s3, s5
	s_abs_i32 s4, s3
	v_cvt_f32_u32_e32 v1, s4
	s_sub_i32 s7, 0, s4
	s_abs_i32 s5, s33
	s_xor_b32 s3, s33, s3
	v_rcp_iflag_f32_e32 v2, v1
	s_ashr_i32 s3, s3, 31
	v_lshrrev_b32_e32 v1, 6, v0
	v_or_b32_e32 v68, s2, v77
	v_mul_f32_e32 v2, 0x4f7ffffe, v2
	v_cvt_u32_f32_e32 v2, v2
	v_lshlrev_b32_e32 v61, 4, v1
	v_lshlrev_b32_e32 v66, 7, v68
	v_lshl_or_b32 v80, v76, 2, v61
	v_readfirstlane_b32 s8, v2
	s_mul_i32 s7, s7, s8
	s_mul_hi_u32 s7, s8, s7
	s_add_i32 s8, s8, s7
	s_mul_hi_u32 s7, s5, s8
	s_mul_i32 s8, s7, s4
	s_sub_i32 s5, s5, s8
	s_add_i32 s8, s7, 1
	s_sub_i32 s9, s5, s4
	s_cmp_ge_u32 s5, s4
	s_cselect_b32 s7, s8, s7
	s_cselect_b32 s5, s9, s5
	s_add_i32 s8, s7, 1
	s_cmp_ge_u32 s5, s4
	s_cselect_b32 s4, s8, s7
	s_xor_b32 s4, s4, s3
	s_sub_i32 s59, s4, s3
	s_ashr_i32 s3, s56, 31
	s_ashr_i32 s48, s33, 31
	s_mul_hi_i32 s4, s56, s13
	s_add_u32 s40, s6, s33
	s_addc_u32 s41, s4, s48
	s_lshl_b64 s[28:29], s[40:41], 16
	s_add_u32 s4, s18, s28
	s_addc_u32 s5, s19, s29
	v_ashrrev_i32_e32 v67, 31, v66
	v_lshl_add_u64 v[2:3], v[66:67], 2, s[4:5]
	v_lshlrev_b32_e32 v62, 2, v80
	v_or_b32_e32 v64, 0x800, v66
	v_lshl_add_u64 v[10:11], v[2:3], 0, v[62:63]
	v_ashrrev_i32_e32 v65, 31, v64
	global_load_dwordx4 v[2:5], v[10:11], off
	global_load_dwordx4 v[6:9], v[10:11], off offset:256
	v_lshl_add_u64 v[10:11], v[64:65], 2, s[4:5]
	v_lshl_add_u64 v[10:11], v[10:11], 0, v[62:63]
	global_load_dwordx4 v[18:21], v[10:11], off
	global_load_dwordx4 v[22:25], v[10:11], off offset:256
	s_load_dwordx2 s[18:19], s[0:1], 0x40
	s_load_dwordx8 s[4:11], s[0:1], 0x0
	s_load_dwordx2 s[30:31], s[0:1], 0x80
	s_load_dwordx4 s[20:23], s[0:1], 0x70
	v_and_b32_e32 v63, 63, v0
	s_mul_i32 s49, s56, s12
	s_mul_i32 s60, s56, s24
	v_or_b32_e32 v81, 64, v80
	s_cmp_lt_i32 s12, 64
	v_lshrrev_b32_e32 v79, 3, v63
	s_mul_i32 s61, s41, s12
	s_mul_hi_u32 s62, s40, s12
	s_mul_i32 s42, s40, s12
	s_waitcnt lgkmcnt(0)
	s_mul_i32 s41, s56, s21
	s_mul_hi_u32 s51, s56, s20
	s_mul_i32 s52, s3, s20
	s_mul_i32 s34, s56, s20
	;; [unrolled: 1-line block ×3, first 2 shown]
	s_mul_hi_u32 s53, s33, s22
	s_mul_i32 s54, s48, s22
	s_mul_i32 s36, s33, s22
	s_cbranch_scc1 .LBB394_3
; %bb.1:
	s_add_i32 s43, s62, s61
	s_lshl_b64 s[0:1], s[42:43], 8
	v_and_b32_e32 v83, 56, v78
	s_add_u32 s20, s6, s0
	v_lshl_or_b32 v82, v1, 3, v79
	v_lshlrev_b32_e32 v10, 1, v83
	s_addc_u32 s0, s7, s1
	v_lshl_or_b32 v84, v82, 8, v10
	s_and_b32 s21, s0, 0xffff
	s_mov_b32 s23, 0x20000
	s_movk_i32 s22, 0x4000
	s_movk_i32 s0, 0x80
	v_or_b32_e32 v85, 0x2000, v84
	buffer_load_dwordx4 v[12:15], v84, s[20:23], 0 offen
	buffer_load_dwordx4 v[26:29], v84, s[20:23], s0 offen
	;; [unrolled: 1-line block ×4, first 2 shown]
	v_lshlrev_b32_e32 v11, 3, v82
	v_and_or_b32 v17, v0, 7, v11
	v_and_b32_e32 v11, 0x78, v11
	v_lshlrev_b32_e32 v17, 4, v17
	v_xor_b32_e32 v86, v17, v11
	v_mul_lo_u32 v16, v82, s15
	v_or_b32_e32 v87, 0x1000, v86
	v_xor_b32_e32 v11, 8, v86
	s_cmpk_eq_i32 s15, 0x80
	s_mov_b32 s63, s14
	v_xor_b32_e32 v17, 8, v87
	s_cselect_b64 s[0:1], -1, 0
	s_cmpk_lg_i32 s15, 0x80
	s_waitcnt vmcnt(3)
	ds_write_b64 v86, v[12:13] offset:24576
	ds_write_b64 v11, v[14:15] offset:24576
	s_waitcnt vmcnt(2)
	ds_write_b64 v86, v[26:27] offset:32768
	ds_write_b64 v11, v[28:29] offset:32768
	;; [unrolled: 3-line block ×4, first 2 shown]
	v_lshl_add_u32 v11, v16, 1, v83
	s_cbranch_scc0 .LBB394_4
; %bb.2:
	v_lshlrev_b32_e32 v13, 1, v11
	v_add_lshl_u32 v12, v11, s15, 1
	s_lshl_b32 s22, s15, 7
	v_lshl_or_b32 v10, v82, 9, v10
	s_cbranch_execz .LBB394_5
	s_branch .LBB394_6
.LBB394_3:
	s_waitcnt vmcnt(0)
	v_mov_b32_e32 v17, v25
	v_mov_b32_e32 v16, v24
	;; [unrolled: 1-line block ×5, first 2 shown]
	s_branch .LBB394_20
.LBB394_4:
                                        ; implicit-def: $vgpr12
                                        ; implicit-def: $vgpr13
                                        ; implicit-def: $sgpr22
	v_lshl_or_b32 v10, v82, 9, v10
.LBB394_5:
	v_or_b32_e32 v12, 0x100, v10
	s_movk_i32 s22, 0x4000
	v_mov_b32_e32 v13, v10
.LBB394_6:
	s_mul_hi_u32 s20, s14, s12
	s_mul_i32 s21, s58, s12
	s_add_i32 s20, s20, s21
	s_mul_i32 s21, s14, s12
	s_mul_i32 s23, s21, s3
	s_mul_hi_u32 s24, s21, s56
	s_add_i32 s23, s24, s23
	s_mul_i32 s20, s20, s56
	s_add_i32 s23, s23, s20
	s_mul_i32 s21, s21, s56
	s_ashr_i32 s64, s59, 31
	s_add_u32 s20, s21, s59
	s_addc_u32 s21, s23, s64
	s_lshl_b64 s[20:21], s[20:21], 8
	s_add_u32 s20, s4, s20
	s_addc_u32 s21, s5, s21
	s_and_b32 s21, s21, 0xffff
	s_mov_b32 s23, 0x20000
	s_movk_i32 s65, 0x80
	buffer_load_dwordx4 v[14:17], v13, s[20:23], 0 offen
	buffer_load_dwordx4 v[26:29], v13, s[20:23], s65 offen
	;; [unrolled: 1-line block ×4, first 2 shown]
	v_and_b32_e32 v12, 6, v0
	v_lshlrev_b32_e32 v39, 6, v80
	v_or_b32_e32 v41, 16, v77
	v_xor_b32_e32 v42, v82, v12
	v_and_b32_e32 v13, 1, v0
	s_mul_i32 s3, s3, s12
	s_mul_hi_u32 s20, s56, s12
	v_lshl_or_b32 v45, v77, 3, v39
	v_lshl_or_b32 v39, v41, 3, v39
	v_lshlrev_b32_e32 v42, 2, v42
	v_lshlrev_b32_e32 v38, 2, v77
	v_or_b32_e32 v90, 0xa000, v39
	v_or_b32_e32 v91, 0xb000, v39
	v_xor_b32_e32 v39, 0x440, v42
	v_cmp_eq_u32_e32 vcc, 0, v13
	s_add_i32 s69, s20, s3
	s_add_i32 s3, s51, s41
	v_xor_b32_e32 v43, v80, v38
	v_xor_b32_e32 v44, v81, v38
	v_cndmask_b32_e32 v13, v39, v42, vcc
	s_add_i32 s35, s3, s52
	s_add_i32 s3, s53, s50
	s_mov_b32 s67, 0x1000504
	v_lshlrev_b32_e32 v40, 8, v77
	v_lshlrev_b32_e32 v43, 1, v43
	;; [unrolled: 1-line block ×3, first 2 shown]
	v_lshl_or_b32 v12, v12, 10, v13
	s_add_i32 s37, s3, s54
	s_lshl_b64 s[20:21], s[34:35], 2
	s_mov_b32 s68, 0x3020706
	v_or_b32_e32 v88, 0xa000, v45
	v_or_b32_e32 v89, 0xb000, v45
	;; [unrolled: 1-line block ×4, first 2 shown]
	v_xor_b32_e32 v13, 8, v12
	v_xor_b32_e32 v40, 24, v12
	;; [unrolled: 1-line block ×4, first 2 shown]
	s_add_u32 s3, s10, s20
	v_xor_b32_e32 v39, 16, v12
	v_xor_b32_e32 v42, 32, v12
	;; [unrolled: 1-line block ×3, first 2 shown]
	v_add_u32_e32 v13, 0x80, v13
	v_add_u32_e32 v40, 0x80, v40
	;; [unrolled: 1-line block ×4, first 2 shown]
	s_addc_u32 s22, s11, s21
	s_lshl_b64 s[20:21], s[36:37], 2
	s_add_u32 s44, s3, s20
	s_movk_i32 s3, 0xf8
	s_addc_u32 s45, s22, s21
	s_lshl_b32 s26, s15, 7
	s_movk_i32 s24, 0x100
	v_mov_b32_e32 v71, 0
	v_lshlrev_b32_e32 v70, 4, v77
	v_cmp_gt_u32_e32 vcc, s24, v0
	v_lshlrev_b32_e32 v41, 8, v41
	v_ashrrev_i32_e32 v69, 31, v68
	s_mov_b32 s66, 0
	v_or_b32_e32 v94, v41, v43
	v_or_b32_e32 v95, v41, v44
	s_movk_i32 s35, 0x1000
	s_movk_i32 s22, 0x4000
	v_lshl_add_u64 v[72:73], v[68:69], 1, s[8:9]
	s_mov_b32 s37, 0x7060302
	s_mov_b32 s71, 0
	s_waitcnt vmcnt(1)
	v_perm_b32 v48, v14, v30, s67
	s_waitcnt vmcnt(0)
	v_perm_b32 v49, v26, v34, s67
	v_perm_b32 v14, v14, v30, s68
	;; [unrolled: 1-line block ×15, first 2 shown]
	ds_write2st64_b32 v12, v48, v49 offset0:32 offset1:64
	ds_write2st64_b32 v13, v14, v26 offset0:32 offset1:64
	;; [unrolled: 1-line block ×8, first 2 shown]
	v_or_b32_e32 v12, v61, v77
	v_lshlrev_b32_e32 v12, 3, v12
	v_lshrrev_b32_e32 v15, 5, v63
	v_and_or_b32 v15, v12, s3, v15
	v_lshlrev_b32_e32 v15, 4, v15
	v_lshlrev_b32_e32 v17, 11, v1
	v_and_b32_e32 v12, 0x78, v12
	v_or_b32_e32 v28, 32, v15
	v_and_b32_e32 v14, 0x1000, v17
	v_lshrrev_b32_e32 v26, 1, v63
	v_xor_b32_e32 v28, v28, v12
	v_xor_b32_e32 v16, v15, v12
	v_and_b32_e32 v26, 8, v26
	v_or_b32_e32 v28, v28, v14
	v_or_b32_e32 v16, v16, v14
	v_lshlrev_b32_e32 v27, 7, v76
	v_xor_b32_e32 v98, v28, v26
	v_or_b32_e32 v28, 64, v15
	v_or_b32_e32 v15, 0x60, v15
	s_ashr_i32 s3, s2, 31
	v_xor_b32_e32 v96, v16, v26
	v_or_b32_e32 v16, v27, v38
	v_xor_b32_e32 v28, v28, v12
	v_xor_b32_e32 v12, v15, v12
	s_lshl_b64 s[20:21], s[2:3], 8
	v_lshlrev_b32_e32 v16, 1, v16
	v_or_b32_e32 v28, v28, v14
	v_or_b32_e32 v12, v12, v14
	s_add_u32 s20, s38, s20
	v_lshlrev_b32_e32 v14, 1, v77
	v_or_b32_e32 v97, 0xa000, v16
	v_or_b32_e32 v99, 0xa080, v16
	;; [unrolled: 1-line block ×4, first 2 shown]
	v_lshrrev_b32_e32 v16, 4, v0
	s_addc_u32 s21, s39, s21
	v_or_b32_e32 v15, 1, v14
	v_mov_b32_e32 v33, 0x4000
	v_mov_b32_e32 v34, 0x2000
	v_lshrrev_b32_e32 v35, 1, v0
	v_xor_b32_e32 v100, v28, v26
	v_xor_b32_e32 v101, v12, v26
	;; [unrolled: 1-line block ×4, first 2 shown]
	v_lshl_add_u64 v[14:15], s[20:21], 0, v[70:71]
	v_lshlrev_b32_e32 v70, 8, v16
	v_cndmask_b32_e32 v33, v33, v34, vcc
	v_lshlrev_b32_e32 v34, 3, v1
	v_and_b32_e32 v35, 24, v35
	v_lshl_or_b32 v104, v26, 3, v70
	v_and_b32_e32 v26, 8, v0
	v_xor_b32_e32 v36, v34, v35
	v_or_b32_e32 v37, 0x440, v36
	v_cmp_eq_u32_e32 vcc, 0, v26
	v_and_b32_e32 v16, 7, v0
	v_lshl_or_b32 v105, v30, 3, v70
	v_cndmask_b32_e32 v26, v37, v36, vcc
	v_lshlrev_b32_e32 v30, 3, v16
	v_lshlrev_b32_e32 v32, 2, v0
	v_or_b32_e32 v26, v26, v17
	v_xor_b32_e32 v36, v26, v30
	v_and_or_b32 v26, v32, 60, v27
	v_mov_b32_e32 v27, 0xb000
	v_lshl_or_b32 v106, v26, 1, v27
	v_or_b32_e32 v26, 32, v35
	v_xor_b32_e32 v26, v34, v26
	v_or_b32_e32 v27, 0x440, v26
	v_cndmask_b32_e32 v26, v27, v26, vcc
	v_or_b32_e32 v26, v26, v17
	v_xor_b32_e32 v27, v26, v30
	v_or_b32_e32 v26, 64, v35
	v_xor_b32_e32 v26, v34, v26
	v_xor_b32_e32 v38, 0x440, v26
	v_cndmask_b32_e32 v26, v38, v26, vcc
	v_or_b32_e32 v26, v26, v17
	v_xor_b32_e32 v38, v26, v30
	v_or_b32_e32 v26, 0x60, v35
	v_xor_b32_e32 v26, v34, v26
	v_xor_b32_e32 v34, 0x440, v26
	v_cndmask_b32_e32 v26, v34, v26, vcc
	v_lshrrev_b32_e32 v13, 2, v63
	v_or_b32_e32 v17, v26, v17
	v_and_b32_e32 v13, 12, v13
	v_xor_b32_e32 v17, v17, v30
	v_lshlrev_b32_e32 v12, 7, v80
	v_lshlrev_b32_e32 v28, 1, v11
	v_add_lshl_u32 v11, v11, s15, 1
	v_or_b32_e32 v29, 0x100, v10
	v_lshlrev_b32_e32 v31, 7, v16
	v_or_b32_e32 v16, v13, v61
	v_add_u32_e32 v37, v33, v36
	v_add_u32_e32 v32, v33, v27
	;; [unrolled: 1-line block ×4, first 2 shown]
	v_or3_b32 v26, v61, v13, 64
	v_add_u32_e32 v13, 0x4000, v36
	v_add_u32_e32 v27, 0x4000, v27
	;; [unrolled: 1-line block ×4, first 2 shown]
	v_cndmask_b32_e64 v107, v28, v10, s[0:1]
	v_cndmask_b32_e64 v108, v11, v29, s[0:1]
	v_lshl_add_u64 v[74:75], v[14:15], 0, v[70:71]
	s_add_i32 s3, s49, 63
	v_lshlrev_b32_e32 v70, 1, v12
	v_lshlrev_b32_e32 v69, 2, v16
	v_add_u32_e32 v109, v37, v31
	v_add_u32_e32 v110, v32, v31
	;; [unrolled: 1-line block ×4, first 2 shown]
	v_lshlrev_b32_e32 v113, 2, v26
	v_add_u32_e32 v114, v13, v31
	v_add_u32_e32 v115, v27, v31
	;; [unrolled: 1-line block ×4, first 2 shown]
	s_waitcnt lgkmcnt(0)
	s_barrier
.LBB394_7:                              ; =>This Inner Loop Header: Depth=1
	s_add_i32 s70, s71, 1
	s_cmp_lt_i32 s70, s57
	s_mov_b64 s[24:25], 0
	s_cselect_b64 s[46:47], -1, 0
	s_cmp_ge_i32 s70, s57
	s_mov_b64 s[20:21], 0
	s_cbranch_scc1 .LBB394_9
; %bb.8:                                ;   in Loop: Header=BB394_7 Depth=1
	s_add_i32 s0, s66, 64
	s_add_u32 s0, s42, s0
	s_addc_u32 s1, s43, 0
	s_lshl_b64 s[0:1], s[0:1], 8
	s_add_u32 s20, s6, s0
	s_addc_u32 s21, s7, s1
.LBB394_9:                              ;   in Loop: Header=BB394_7 Depth=1
	v_cndmask_b32_e64 v10, 0, 1, s[46:47]
	v_cmp_ne_u32_e64 s[0:1], 1, v10
	s_andn2_b64 vcc, exec, s[46:47]
	s_cbranch_vccnz .LBB394_11
; %bb.10:                               ;   in Loop: Header=BB394_7 Depth=1
	s_add_i32 s24, s66, 64
	s_add_u32 s24, s49, s24
	s_addc_u32 s25, s69, 0
	s_mul_i32 s27, s24, s58
	s_mul_hi_u32 s46, s24, s63
	s_add_i32 s27, s46, s27
	s_mul_i32 s25, s25, s63
	s_add_i32 s27, s27, s25
	s_mul_i32 s24, s24, s63
	s_add_u32 s24, s24, s59
	s_addc_u32 s25, s27, s64
	s_lshl_b64 s[24:25], s[24:25], 8
	s_add_u32 s24, s4, s24
	s_addc_u32 s25, s5, s25
.LBB394_11:                             ;   in Loop: Header=BB394_7 Depth=1
	v_perm_b32 v11, v5, v4, s37
	v_perm_b32 v10, v3, v2, s37
	;; [unrolled: 1-line block ×4, first 2 shown]
	ds_write_b64 v88, v[10:11]
	ds_write_b64 v89, v[12:13]
	;; [unrolled: 1-line block ×4, first 2 shown]
	v_perm_b32 v11, v21, v20, s37
	v_perm_b32 v10, v19, v18, s37
	;; [unrolled: 1-line block ×4, first 2 shown]
	ds_write_b64 v90, v[10:11]
	ds_write_b64 v91, v[12:13]
	;; [unrolled: 1-line block ×4, first 2 shown]
	s_waitcnt lgkmcnt(0)
	s_barrier
	ds_read_b64 v[14:15], v96 offset:24576
	ds_read2_b64 v[10:13], v97 offset1:16
	ds_read_b64 v[26:27], v99 offset:3072
	ds_read_b64 v[28:29], v97 offset:3072
	;; [unrolled: 1-line block ×3, first 2 shown]
	s_waitcnt lgkmcnt(3)
	v_mfma_f32_16x16x16_bf16 a[0:3], v[14:15], v[10:11], 0
	s_add_i32 s27, s66, 63
	s_mul_i32 s46, s27, s31
	s_mul_hi_u32 s47, s27, s30
	v_mfma_f32_16x16x16_bf16 a[4:7], v[14:15], v[12:13], 0
	ds_read2st64_b64 v[10:13], v97 offset0:2 offset1:4
	ds_read2st64_b64 v[14:17], v99 offset0:2 offset1:4
	s_add_i32 s47, s47, s46
	s_waitcnt lgkmcnt(1)
	v_mfma_f32_16x16x16_bf16 a[0:3], v[30:31], v[10:11], a[0:3]
	s_mul_i32 s46, s27, s30
	s_lshl_b64 s[46:47], s[46:47], 2
	s_add_u32 s46, s44, s46
	s_waitcnt lgkmcnt(0)
	v_mfma_f32_16x16x16_bf16 a[4:7], v[30:31], v[14:15], a[4:7]
	ds_read_b64 v[10:11], v100 offset:24576
	ds_read_b64 v[14:15], v101 offset:24576
	s_addc_u32 s47, s45, s47
	s_and_b64 vcc, exec, s[0:1]
	s_waitcnt lgkmcnt(1)
	v_mfma_f32_16x16x16_bf16 a[0:3], v[10:11], v[12:13], a[0:3]
	v_mov_b32_e32 v120, 0
	v_mov_b32_e32 v119, 0
	;; [unrolled: 1-line block ×3, first 2 shown]
	v_mfma_f32_16x16x16_bf16 a[4:7], v[10:11], v[16:17], a[4:7]
	v_mov_b32_e32 v10, 0
	v_mov_b32_e32 v11, 0
	;; [unrolled: 1-line block ×3, first 2 shown]
	s_waitcnt lgkmcnt(0)
	v_mfma_f32_16x16x16_bf16 a[0:3], v[14:15], v[28:29], a[0:3]
	v_mov_b32_e32 v13, 0
	v_mov_b32_e32 v16, 0
	;; [unrolled: 1-line block ×3, first 2 shown]
	v_mfma_f32_16x16x16_bf16 a[4:7], v[14:15], v[26:27], a[4:7]
	v_mov_b32_e32 v14, 0
	v_mov_b32_e32 v15, 0
	;; [unrolled: 1-line block ×10, first 2 shown]
	s_cbranch_vccnz .LBB394_13
; %bb.12:                               ;   in Loop: Header=BB394_7 Depth=1
	s_and_b32 s21, s21, 0xffff
	buffer_load_dwordx4 v[30:33], v84, s[20:23], 0 offen
	buffer_load_dwordx4 v[26:29], v84, s[20:23], s65 offen
	;; [unrolled: 1-line block ×4, first 2 shown]
	v_mov_b32_e32 v119, v86
	v_mov_b32_e32 v118, v87
.LBB394_13:                             ;   in Loop: Header=BB394_7 Depth=1
	ds_read_b64 v[38:39], v96 offset:32768
	ds_read2_b64 v[34:37], v102 offset1:16
	ds_read_b64 v[42:43], v98 offset:32768
	ds_read_b64 v[44:45], v100 offset:32768
	;; [unrolled: 1-line block ×3, first 2 shown]
	v_add_u32_e32 v50, s66, v80
	s_waitcnt lgkmcnt(3)
	v_mfma_f32_16x16x16_bf16 a[0:3], v[38:39], v[34:35], a[0:3]
	v_mov_b32_e32 v121, 0
	v_mfma_f32_16x16x16_bf16 a[4:7], v[38:39], v[36:37], a[4:7]
	ds_read2st64_b64 v[34:37], v102 offset0:2 offset1:4
	ds_read2st64_b64 v[38:41], v103 offset0:2 offset1:4
	s_waitcnt lgkmcnt(1)
	v_mfma_f32_16x16x16_bf16 a[0:3], v[42:43], v[34:35], a[0:3]
	ds_read_b64 v[34:35], v102 offset:3072
	ds_read_b64 v[48:49], v103 offset:3072
	s_waitcnt lgkmcnt(2)
	v_mfma_f32_16x16x16_bf16 a[4:7], v[42:43], v[38:39], a[4:7]
	v_ashrrev_i32_e32 v38, 31, v50
	v_mul_lo_u32 v39, v50, s31
	v_mul_lo_u32 v38, v38, s30
	v_mfma_f32_16x16x16_bf16 a[0:3], v[44:45], v[36:37], a[0:3]
	v_mad_u64_u32 v[36:37], s[20:21], v50, s30, 0
	v_add3_u32 v37, v37, v39, v38
	v_lshl_add_u64 v[36:37], v[36:37], 2, s[44:45]
	global_load_dword v42, v[36:37], off
	v_add_u32_e32 v36, 1, v50
	v_ashrrev_i32_e32 v37, 31, v36
	s_waitcnt lgkmcnt(1)
	v_mfma_f32_16x16x16_bf16 a[0:3], v[46:47], v[34:35], a[0:3]
	v_mul_lo_u32 v37, v37, s30
	v_mul_lo_u32 v38, v36, s31
	v_mad_u64_u32 v[34:35], s[20:21], v36, s30, 0
	v_add_u32_e32 v36, 2, v50
	v_add3_u32 v35, v35, v38, v37
	v_ashrrev_i32_e32 v37, 31, v36
	v_mul_lo_u32 v38, v37, s30
	v_mul_lo_u32 v39, v36, s31
	v_mad_u64_u32 v[36:37], s[20:21], v36, s30, 0
	v_add3_u32 v37, v37, v39, v38
	v_add_u32_e32 v38, 3, v50
	v_ashrrev_i32_e32 v39, 31, v38
	v_mfma_f32_16x16x16_bf16 a[4:7], v[44:45], v[40:41], a[4:7]
	v_mul_lo_u32 v40, v39, s30
	v_mul_lo_u32 v41, v38, s31
	v_mad_u64_u32 v[38:39], s[20:21], v38, s30, 0
	s_add_u32 s20, s42, s66
	s_addc_u32 s21, s43, 0
	s_lshl_b64 s[20:21], s[20:21], 8
	v_add3_u32 v39, v39, v41, v40
	v_lshl_add_u64 v[40:41], v[72:73], 0, s[20:21]
	v_lshl_add_u64 v[34:35], v[34:35], 2, s[44:45]
	v_lshl_add_u64 v[40:41], v[40:41], 0, v[70:71]
	v_lshl_add_u64 v[36:37], v[36:37], 2, s[44:45]
	global_load_ushort v44, v[40:41], off
	global_load_ushort v43, v[40:41], off offset:256
	global_load_ushort v52, v[40:41], off offset:800
	;; [unrolled: 1-line block ×7, first 2 shown]
	v_lshl_add_u64 v[38:39], v[38:39], 2, s[44:45]
	global_load_dword v55, v[34:35], off
	global_load_dword v56, v[36:37], off
	;; [unrolled: 1-line block ×3, first 2 shown]
	s_load_dword s20, s[46:47], 0x0
	s_waitcnt lgkmcnt(0)
	v_mfma_f32_16x16x16_bf16 a[4:7], v[46:47], v[48:49], a[4:7]
	v_accvgpr_read_b32 v39, a1
	v_accvgpr_read_b32 v35, a3
	;; [unrolled: 1-line block ×4, first 2 shown]
	s_and_b64 vcc, exec, s[0:1]
	s_waitcnt vmcnt(11)
	v_sub_f32_e32 v48, s20, v42
	v_exp_f32_e32 v48, v48
	v_accvgpr_read_b32 v41, a5
	v_accvgpr_read_b32 v40, a4
	;; [unrolled: 1-line block ×4, first 2 shown]
	s_waitcnt vmcnt(10)
	v_lshlrev_b32_e32 v42, 16, v44
	s_waitcnt vmcnt(9)
	v_lshlrev_b32_e32 v43, 16, v43
	v_pk_add_f32 v[38:39], v[42:43], v[38:39] neg_lo:[0,1] neg_hi:[0,1]
	s_waitcnt vmcnt(7)
	v_lshlrev_b32_e32 v45, 16, v45
	v_mov_b32_e32 v42, 0
	s_waitcnt vmcnt(5)
	v_lshlrev_b32_e32 v44, 16, v50
	s_waitcnt vmcnt(4)
	v_lshlrev_b32_e32 v47, 16, v51
	s_waitcnt vmcnt(2)
	v_sub_f32_e32 v49, s20, v55
	s_waitcnt vmcnt(1)
	v_sub_f32_e32 v50, s20, v56
	;; [unrolled: 2-line block ×3, first 2 shown]
	v_exp_f32_e32 v49, v49
	v_exp_f32_e32 v50, v50
	;; [unrolled: 1-line block ×3, first 2 shown]
	v_pk_add_f32 v[34:35], v[44:45], v[34:35] neg_lo:[0,1] neg_hi:[0,1]
	v_lshlrev_b32_e32 v46, 16, v54
	v_pk_mul_f32 v[38:39], v[48:49], v[38:39]
	v_pk_mul_f32 v[34:35], v[50:51], v[34:35]
	v_mov_b32_e32 v43, 0
	v_perm_b32 v35, v35, v34, s37
	v_perm_b32 v34, v39, v38, s37
	v_pk_add_f32 v[38:39], v[46:47], v[40:41] neg_lo:[0,1] neg_hi:[0,1]
	v_lshlrev_b32_e32 v41, 16, v52
	v_lshlrev_b32_e32 v40, 16, v53
	v_pk_add_f32 v[36:37], v[40:41], v[36:37] neg_lo:[0,1] neg_hi:[0,1]
	v_pk_mul_f32 v[38:39], v[48:49], v[38:39]
	v_pk_mul_f32 v[36:37], v[50:51], v[36:37]
	v_mov_b32_e32 v40, 0
	v_perm_b32 v37, v37, v36, s37
	v_perm_b32 v36, v39, v38, s37
	ds_write2_b64 v89, v[34:35], v[36:37] offset1:16
	v_mov_b32_e32 v34, 0
	v_mov_b32_e32 v35, 0
	v_mov_b32_e32 v36, 0
	v_mov_b32_e32 v37, 0
	v_mov_b32_e32 v38, 0
	v_mov_b32_e32 v39, 0
	v_mov_b32_e32 v41, 0
	v_mov_b32_e32 v44, 0
	v_mov_b32_e32 v45, 0
	v_mov_b32_e32 v46, 0
	v_mov_b32_e32 v47, 0
	v_mov_b32_e32 v48, 0
	v_mov_b32_e32 v49, 0
	s_cbranch_vccnz .LBB394_15
; %bb.14:                               ;   in Loop: Header=BB394_7 Depth=1
	s_and_b32 s25, s25, 0xffff
	s_mov_b32 s27, s23
	buffer_load_dwordx4 v[46:49], v107, s[24:27], 0 offen
	buffer_load_dwordx4 v[38:41], v107, s[24:27], s65 offen
	;; [unrolled: 1-line block ×4, first 2 shown]
	v_mov_b32_e32 v120, v83
	v_mov_b32_e32 v121, v82
.LBB394_15:                             ;   in Loop: Header=BB394_7 Depth=1
	s_waitcnt lgkmcnt(0)
	s_barrier
	ds_read_b64 v[54:55], v109
	ds_read_b64 v[126:127], v106
	;; [unrolled: 1-line block ×5, first 2 shown]
	ds_read_b64 v[140:141], v103 offset:3072
	ds_read2_b64 v[50:53], v102 offset0:16 offset1:128
	s_waitcnt lgkmcnt(5)
	v_mfma_f32_16x16x16_bf16 a[0:3], v[54:55], v[126:127], 0
	s_add_i32 s21, s60, s71
	s_mul_hi_i32 s25, s21, s13
	s_mul_i32 s21, s21, s13
	s_waitcnt lgkmcnt(0)
	v_mfma_f32_16x16x16_bf16 a[4:7], v[54:55], v[50:51], 0
	ds_read_b64 v[54:55], v114
	ds_read2st64_b64 v[56:59], v103 offset0:2 offset1:4
	s_add_u32 s24, s21, s33
	s_addc_u32 s25, s25, s48
	s_add_i32 s21, s3, s66
	s_lshl_b64 s[24:25], s[24:25], 15
	s_mul_hi_i32 s27, s21, s13
	s_mul_i32 s21, s21, s13
	s_add_u32 s46, s21, s33
	s_waitcnt lgkmcnt(1)
	v_mfma_f32_16x16x16_bf16 a[8:11], v[54:55], v[126:127], 0
	s_addc_u32 s47, s27, s48
	ds_read2st64_b64 v[122:125], v102 offset0:4 offset1:6
	s_lshl_b64 s[46:47], s[46:47], 9
	v_mfma_f32_16x16x16_bf16 a[0:3], v[128:129], v[52:53], a[0:3]
	s_add_u32 s46, s16, s46
	s_addc_u32 s47, s17, s47
	s_waitcnt lgkmcnt(1)
	v_mfma_f32_16x16x16_bf16 a[4:7], v[128:129], v[56:57], a[4:7]
	ds_read_b64 v[128:129], v115
	ds_read_b64 v[136:137], v116
	;; [unrolled: 1-line block ×3, first 2 shown]
	v_mfma_f32_16x16x16_bf16 a[12:15], v[54:55], v[50:51], 0
	s_waitcnt lgkmcnt(2)
	v_mfma_f32_16x16x16_bf16 a[8:11], v[128:129], v[52:53], a[8:11]
	global_load_dwordx4 v[50:53], v113, s[46:47]
	v_mfma_f32_16x16x16_bf16 a[12:15], v[128:129], v[56:57], a[12:15]
	global_load_dwordx4 v[54:57], v69, s[46:47]
	ds_read2st64_b64 v[126:129], v104 offset1:8
	s_waitcnt lgkmcnt(0)
	v_mov_b32_e32 v134, v126
	v_mfma_f32_16x16x16_bf16 a[0:3], v[130:131], v[122:123], a[0:3]
	v_mov_b32_e32 v135, v127
	v_mfma_f32_16x16x16_bf16 a[4:7], v[130:131], v[58:59], a[4:7]
	ds_read2st64_b64 v[130:133], v105 offset1:8
	v_mfma_f32_16x16x16_bf16 a[8:11], v[136:137], v[122:123], a[8:11]
	v_lshl_add_u64 v[122:123], v[74:75], 0, s[24:25]
	v_mfma_f32_16x16x16_bf16 a[16:19], v[136:137], v[58:59], a[12:15]
	v_add_co_u32_e32 v58, vcc, s35, v122
	s_waitcnt lgkmcnt(0)
	v_mov_b32_e32 v136, v130
	v_mfma_f32_16x16x16_bf16 a[0:3], v[138:139], v[124:125], a[0:3]
	v_mov_b32_e32 v137, v131
	v_mov_b32_e32 v130, v128
	;; [unrolled: 1-line block ×3, first 2 shown]
	v_mfma_f32_16x16x16_bf16 a[4:7], v[138:139], v[140:141], a[4:7]
	v_addc_co_u32_e32 v59, vcc, 0, v123, vcc
	global_store_dwordx4 v[58:59], v[130:133], off
	v_mfma_f32_16x16x16_bf16 a[12:15], v[142:143], v[124:125], a[8:11]
	s_and_b64 vcc, exec, s[0:1]
	global_store_dwordx4 v[122:123], v[134:137], off
	s_waitcnt vmcnt(3)
	v_mov_b32_e32 v60, v53
	v_mfma_f32_16x16x16_bf16 a[8:11], v[142:143], v[140:141], a[16:19]
	v_mov_b32_e32 v59, v52
	v_mov_b32_e32 v58, v51
	s_cbranch_vccnz .LBB394_17
; %bb.16:                               ;   in Loop: Header=BB394_7 Depth=1
	v_lshrrev_b32_e32 v51, 3, v120
	v_and_b32_e32 v51, 6, v51
	v_xor_b32_e32 v52, v51, v121
	v_lshlrev_b32_e32 v52, 2, v52
	v_and_b32_e32 v53, 8, v120
	v_xor_b32_e32 v120, 0x440, v52
	v_cmp_eq_u32_e32 vcc, 0, v53
	v_perm_b32 v53, v38, v34, s67
	s_nop 0
	v_cndmask_b32_e32 v52, v120, v52, vcc
	v_lshl_or_b32 v51, v51, 10, v52
	v_perm_b32 v52, v46, v42, s67
	s_barrier
	ds_write2st64_b32 v51, v52, v53 offset0:32 offset1:64
	v_xor_b32_e32 v52, 8, v51
	v_perm_b32 v42, v46, v42, s68
	v_perm_b32 v34, v38, v34, s68
	v_add_u32_e32 v38, 0x80, v52
	ds_write2st64_b32 v38, v42, v34 offset0:32 offset1:64
	v_xor_b32_e32 v34, 16, v51
	v_perm_b32 v38, v47, v43, s67
	v_perm_b32 v42, v39, v35, s67
	ds_write2st64_b32 v34, v38, v42 offset0:33 offset1:65
	v_xor_b32_e32 v34, 24, v51
	v_perm_b32 v38, v47, v43, s68
	v_perm_b32 v35, v39, v35, s68
	v_add_u32_e32 v34, 0x80, v34
	ds_write2st64_b32 v34, v38, v35 offset0:33 offset1:65
	v_xor_b32_e32 v34, 32, v51
	v_perm_b32 v35, v48, v44, s67
	v_perm_b32 v38, v40, v36, s67
	;; [unrolled: 9-line block ×3, first 2 shown]
	ds_write2st64_b32 v34, v35, v36 offset0:35 offset1:67
	v_xor_b32_e32 v34, 56, v51
	v_perm_b32 v35, v49, v45, s68
	v_perm_b32 v36, v41, v37, s68
	v_add_u32_e32 v34, 0x80, v34
	ds_write2st64_b32 v34, v35, v36 offset0:35 offset1:67
	ds_write_b64 v119, v[30:31] offset:24576
	v_xor_b32_e32 v30, 8, v119
	ds_write_b64 v30, v[32:33] offset:24576
	ds_write_b64 v119, v[26:27] offset:32768
	;; [unrolled: 1-line block ×4, first 2 shown]
	v_xor_b32_e32 v14, 8, v118
	ds_write_b64 v14, v[16:17] offset:24576
	ds_write_b64 v118, v[10:11] offset:32768
	ds_write_b64 v14, v[12:13] offset:32768
.LBB394_17:                             ;   in Loop: Header=BB394_7 Depth=1
	v_exp_f32_e32 v34, s20
	s_waitcnt vmcnt(2)
	v_exp_f32_e32 v36, v54
	v_exp_f32_e32 v37, v55
	;; [unrolled: 1-line block ×4, first 2 shown]
	v_accvgpr_read_b32 v29, a3
	v_accvgpr_read_b32 v27, a1
	;; [unrolled: 1-line block ×4, first 2 shown]
	v_pk_mul_f32 v[36:37], v[34:35], v[36:37] op_sel_hi:[0,1]
	v_accvgpr_read_b32 v28, a2
	v_accvgpr_read_b32 v11, a5
	;; [unrolled: 1-line block ×3, first 2 shown]
	v_pk_fma_f32 v[2:3], v[2:3], v[36:37], v[26:27]
	v_pk_mul_f32 v[26:27], v[34:35], v[38:39] op_sel_hi:[0,1]
	v_pk_fma_f32 v[4:5], v[4:5], v[26:27], v[28:29]
	v_fma_f32 v18, v18, v36, v10
	v_fma_f32 v19, v19, v37, v11
	v_exp_f32_e32 v10, v50
	v_exp_f32_e32 v11, v58
	;; [unrolled: 1-line block ×4, first 2 shown]
	v_accvgpr_read_b32 v12, a6
	v_accvgpr_read_b32 v33, a15
	;; [unrolled: 1-line block ×9, first 2 shown]
	v_fma_f32 v20, v20, v26, v12
	v_fmac_f32_e32 v13, v21, v27
	v_pk_mul_f32 v[10:11], v[34:35], v[10:11] op_sel_hi:[0,1]
	v_pk_mul_f32 v[26:27], v[34:35], v[28:29] op_sel_hi:[0,1]
	s_add_i32 s66, s66, 64
	v_pk_fma_f32 v[6:7], v[6:7], v[10:11], v[30:31]
	v_pk_fma_f32 v[8:9], v[8:9], v[26:27], v[32:33]
	v_fma_f32 v22, v22, v10, v14
	v_fma_f32 v23, v23, v11, v15
	;; [unrolled: 1-line block ×3, first 2 shown]
	s_cmp_eq_u32 s57, s70
	v_fmac_f32_e32 v17, v25, v27
	s_cbranch_scc1 .LBB394_19
; %bb.18:                               ;   in Loop: Header=BB394_7 Depth=1
	s_mov_b32 s71, s70
	v_mov_b32_e32 v21, v13
	v_mov_b32_e32 v25, v17
	s_branch .LBB394_7
.LBB394_19:
	v_mov_b32_e32 v16, v24
	v_mov_b32_e32 v15, v23
	;; [unrolled: 1-line block ×3, first 2 shown]
.LBB394_20:
	s_lshl_b32 s43, s57, 6
	s_sub_i32 s46, s12, s43
	v_mov_b32_e32 v12, v20
	v_mov_b32_e32 v11, v19
	;; [unrolled: 1-line block ×3, first 2 shown]
	s_cmp_gt_i32 s46, 0
	s_cbranch_scc0 .LBB394_85
; %bb.21:
	s_ashr_i32 s3, s43, 31
	s_cmpk_lg_i32 s15, 0x80
	s_cselect_b64 s[26:27], -1, 0
	s_and_b64 vcc, exec, s[26:27]
	s_cbranch_vccz .LBB394_23
; %bb.22:
	s_mul_hi_i32 s0, s56, s12
	s_add_u32 s1, s49, s43
	s_addc_u32 s0, s0, s3
	s_mul_i32 s20, s1, s58
	s_mul_hi_u32 s21, s1, s14
	s_add_i32 s20, s21, s20
	s_mul_i32 s0, s0, s14
	s_add_i32 s20, s20, s0
	s_mul_i32 s1, s1, s14
	s_ashr_i32 s0, s59, 31
	s_add_u32 s44, s1, s59
	s_addc_u32 s45, s20, s0
	s_cbranch_execz .LBB394_24
	s_branch .LBB394_25
.LBB394_23:
                                        ; implicit-def: $sgpr44_sgpr45
.LBB394_24:
	s_mul_hi_i32 s0, s56, s14
	s_mul_i32 s56, s56, s14
	s_ashr_i32 s1, s59, 31
	s_add_u32 s14, s56, s59
	s_addc_u32 s0, s0, s1
	s_mul_i32 s1, s14, s55
	s_mul_hi_u32 s20, s14, s12
	s_add_i32 s1, s20, s1
	s_mul_i32 s0, s0, s12
	s_add_i32 s1, s1, s0
	s_mul_i32 s14, s14, s12
	s_add_u32 s44, s14, s43
	s_addc_u32 s45, s1, s3
.LBB394_25:
	s_mul_i32 s0, s40, s55
	s_add_i32 s0, s62, s0
	s_add_i32 s14, s60, s57
	;; [unrolled: 1-line block ×3, first 2 shown]
	s_add_u32 s0, s42, s43
	v_lshlrev_b32_e32 v22, 5, v80
	v_lshlrev_b32_e32 v38, 2, v77
	s_addc_u32 s1, s1, s3
	s_mov_b32 s3, 0x7060302
	v_or_b32_e32 v25, v22, v38
	v_xor_b32_e32 v23, v80, v38
	v_perm_b32 v19, v5, v4, s3
	v_perm_b32 v18, v3, v2, s3
	;; [unrolled: 1-line block ×4, first 2 shown]
	v_lshlrev_b32_e32 v25, 1, v25
	v_xor_b32_e32 v24, v81, v38
	ds_write2st64_b64 v25, v[18:19], v[20:21] offset0:80 offset1:88
	v_lshlrev_b32_e32 v23, 1, v23
	v_lshlrev_b32_e32 v25, 8, v77
	s_lshl_b64 s[24:25], s[0:1], 8
	v_or_b32_e32 v26, v23, v25
	v_lshlrev_b32_e32 v24, 1, v24
	s_add_u32 s0, s6, s24
	ds_write_b64 v26, v[18:19]
	v_or_b32_e32 v18, v24, v25
	s_addc_u32 s1, s7, s25
	ds_write_b64 v18, v[20:21]
	v_perm_b32 v19, v13, v12, s3
	v_perm_b32 v18, v11, v10, s3
	;; [unrolled: 1-line block ×4, first 2 shown]
	v_or_b32_e32 v25, 16, v77
	s_mul_hi_i32 s3, s14, s13
	s_mul_i32 s14, s14, s13
	v_lshlrev_b32_e32 v35, 2, v25
	s_add_u32 s6, s14, s33
	v_or_b32_e32 v22, v22, v35
	s_addc_u32 s7, s3, s48
	v_lshlrev_b32_e32 v22, 1, v22
	s_ashr_i32 s3, s2, 31
	s_lshl_b64 s[6:7], s[6:7], 15
	ds_write2st64_b64 v22, v[18:19], v[20:21] offset0:80 offset1:88
	v_lshlrev_b32_e32 v22, 8, v25
	s_add_u32 s6, s38, s6
	v_or_b32_e32 v23, v23, v22
	s_addc_u32 s7, s39, s7
	s_lshl_b64 s[2:3], s[2:3], 8
	ds_write_b64 v23, v[18:19]
	v_or_b32_e32 v18, v24, v22
	s_add_u32 s2, s6, s2
	ds_write_b64 v18, v[20:21]
	v_lshrrev_b32_e32 v18, 4, v0
	s_addc_u32 s3, s7, s3
	v_lshlrev_b32_e32 v19, 1, v77
	v_lshlrev_b32_e32 v26, 4, v77
	v_mov_b32_e32 v27, 0
	v_or_b32_e32 v20, 1, v19
	v_xor_b32_e32 v19, v18, v19
	v_lshl_add_u64 v[28:29], s[2:3], 0, v[26:27]
	v_lshlrev_b32_e32 v26, 8, v18
	v_xor_b32_e32 v22, v20, v18
	v_lshl_or_b32 v18, v19, 3, v26
	s_waitcnt lgkmcnt(0)
	s_barrier
	ds_read2st64_b64 v[18:21], v18 offset1:8
	v_lshl_or_b32 v22, v22, 3, v26
	ds_read2st64_b64 v[22:25], v22 offset1:8
	v_lshl_add_u64 v[30:31], v[28:29], 0, v[26:27]
	s_movk_i32 s2, 0x1000
	s_waitcnt lgkmcnt(1)
	v_mov_b32_e32 v26, v18
	v_add_co_u32_e32 v18, vcc, s2, v30
	s_cmp_lg_u32 s46, 64
	v_mov_b32_e32 v27, v19
	v_addc_co_u32_e32 v19, vcc, 0, v31, vcc
	s_cselect_b64 s[6:7], -1, 0
	v_lshl_or_b32 v42, v1, 3, v79
	s_waitcnt lgkmcnt(0)
	v_mov_b32_e32 v28, v22
	v_mov_b32_e32 v29, v23
	;; [unrolled: 1-line block ×4, first 2 shown]
	s_mov_b32 s20, 0
	v_or_b32_e32 v36, 32, v42
	v_and_b32_e32 v34, 56, v78
	s_and_b64 vcc, exec, s[6:7]
	global_store_dwordx4 v[30:31], v[26:29], off
	global_store_dwordx4 v[18:19], v[22:25], off
	s_cbranch_vccz .LBB394_31
; %bb.26:
	s_mov_b32 s22, s20
	s_mov_b32 s23, s20
	;; [unrolled: 1-line block ×3, first 2 shown]
	v_mov_b64_e32 v[24:25], s[22:23]
	v_mov_b64_e32 v[22:23], s[20:21]
	;; [unrolled: 1-line block ×3, first 2 shown]
	v_cmp_gt_i32_e32 vcc, s46, v42
	v_mov_b64_e32 v[20:21], v[24:25]
	s_and_saveexec_b64 s[2:3], vcc
	s_cbranch_execz .LBB394_28
; %bb.27:
	v_lshlrev_b32_e32 v18, 8, v42
	v_mov_b32_e32 v19, 0
	v_lshl_add_u64 v[20:21], s[0:1], 0, v[18:19]
	v_lshlrev_b32_e32 v18, 1, v34
	v_lshl_add_u64 v[26:27], v[20:21], 0, v[18:19]
	global_load_dwordx4 v[22:25], v[26:27], off
	global_load_dwordx4 v[18:21], v[26:27], off offset:128
.LBB394_28:
	s_or_b64 exec, exec, s[2:3]
	s_mov_b32 s22, s20
	s_mov_b32 s23, s20
	;; [unrolled: 1-line block ×3, first 2 shown]
	v_mov_b64_e32 v[32:33], s[22:23]
	v_mov_b64_e32 v[30:31], s[20:21]
	;; [unrolled: 1-line block ×3, first 2 shown]
	v_cmp_gt_i32_e32 vcc, s46, v36
	v_lshlrev_b32_e32 v37, 7, v36
	v_mov_b64_e32 v[28:29], v[32:33]
	s_and_saveexec_b64 s[2:3], vcc
	s_cbranch_execz .LBB394_30
; %bb.29:
	v_lshlrev_b32_e32 v26, 1, v37
	v_mov_b32_e32 v27, 0
	v_lshl_add_u64 v[28:29], s[0:1], 0, v[26:27]
	v_lshlrev_b32_e32 v26, 1, v34
	v_lshl_add_u64 v[40:41], v[28:29], 0, v[26:27]
	global_load_dwordx4 v[30:33], v[40:41], off
	global_load_dwordx4 v[26:29], v[40:41], off offset:128
.LBB394_30:
	s_or_b64 exec, exec, s[2:3]
	v_lshrrev_b32_e32 v39, 3, v34
	v_lshlrev_b32_e32 v40, 3, v42
	v_or_b32_e32 v39, v40, v39
	v_lshlrev_b32_e32 v39, 4, v39
	v_and_b32_e32 v40, 0x78, v40
	v_xor_b32_e32 v39, v39, v40
	s_branch .LBB394_33
.LBB394_31:
                                        ; implicit-def: $vgpr39
                                        ; implicit-def: $vgpr37
                                        ; implicit-def: $vgpr22_vgpr23_vgpr24_vgpr25
                                        ; implicit-def: $vgpr18_vgpr19_vgpr20_vgpr21
                                        ; implicit-def: $vgpr30_vgpr31_vgpr32_vgpr33
                                        ; implicit-def: $vgpr26_vgpr27_vgpr28_vgpr29
	s_cbranch_execz .LBB394_33
; %bb.32:
	s_waitcnt vmcnt(0)
	v_lshlrev_b32_e32 v18, 1, v34
	v_lshl_or_b32 v37, v42, 8, v18
	s_and_b32 s1, s1, 0xffff
	s_mov_b32 s3, 0x20000
	s_movk_i32 s2, 0x4000
	v_lshl_or_b32 v39, v36, 8, v18
	s_movk_i32 s14, 0x80
	buffer_load_dwordx4 v[22:25], v37, s[0:3], 0 offen
	buffer_load_dwordx4 v[18:21], v37, s[0:3], s14 offen
	;; [unrolled: 1-line block ×4, first 2 shown]
	v_lshrrev_b32_e32 v37, 3, v34
	v_lshlrev_b32_e32 v39, 3, v42
	v_or_b32_e32 v37, v39, v37
	v_lshlrev_b32_e32 v37, 4, v37
	v_and_b32_e32 v39, 0x78, v39
	v_xor_b32_e32 v39, v37, v39
	v_lshlrev_b32_e32 v37, 7, v36
.LBB394_33:
	s_lshl_b64 s[0:1], s[44:45], 8
	s_add_u32 s4, s4, s0
	s_movk_i32 s0, 0x1000
	v_and_or_b32 v36, v37, s0, v39
	s_waitcnt vmcnt(1)
	ds_write_b64 v39, v[22:23] offset:24576
	v_xor_b32_e32 v22, 8, v39
	ds_write_b64 v22, v[24:25] offset:24576
	s_waitcnt vmcnt(0)
	ds_write_b64 v39, v[18:19] offset:32768
	ds_write_b64 v22, v[20:21] offset:32768
	ds_write_b64 v36, v[30:31] offset:24576
	v_xor_b32_e32 v18, 8, v36
	ds_write_b64 v18, v[32:33] offset:24576
	ds_write_b64 v36, v[26:27] offset:32768
	;; [unrolled: 1-line block ×3, first 2 shown]
	v_or_b32_e32 v18, v61, v77
	v_lshlrev_b32_e32 v18, 3, v18
	v_lshrrev_b32_e32 v19, 5, v63
	s_movk_i32 s2, 0xf8
	v_and_or_b32 v19, v18, s2, v19
	v_lshlrev_b32_e32 v23, 4, v19
	v_lshlrev_b32_e32 v39, 11, v1
	v_and_b32_e32 v24, 0x78, v18
	v_or_b32_e32 v26, 32, v23
	v_and_b32_e32 v22, 0x1000, v39
	v_lshrrev_b32_e32 v19, 1, v63
	v_xor_b32_e32 v26, v26, v24
	v_xor_b32_e32 v18, v23, v24
	v_and_b32_e32 v25, 8, v19
	v_or_b32_e32 v26, v26, v22
	v_or_b32_e32 v18, v18, v22
	v_xor_b32_e32 v44, v26, v25
	v_or_b32_e32 v26, 64, v23
	v_xor_b32_e32 v43, v18, v25
	v_xor_b32_e32 v26, v26, v24
	s_waitcnt lgkmcnt(0)
	s_barrier
	v_or_b32_e32 v28, v26, v22
	ds_read_b64 v[26:27], v43 offset:24576
	v_lshl_or_b32 v36, v76, 7, v38
	v_lshlrev_b32_e32 v40, 1, v36
	v_add_u32_e32 v18, 0xa000, v40
	ds_read2_b64 v[18:21], v18 offset1:16
	v_or_b32_e32 v23, 0x60, v23
	v_xor_b32_e32 v23, v23, v24
	s_waitcnt lgkmcnt(0)
	v_mfma_f32_16x16x16_bf16 a[0:3], v[26:27], v[18:19], 0
	v_or_b32_e32 v18, 64, v36
	v_or_b32_e32 v22, v23, v22
	v_lshlrev_b32_e32 v41, 1, v18
	v_xor_b32_e32 v45, v28, v25
	v_xor_b32_e32 v46, v22, v25
	ds_read_b64 v[28:29], v44 offset:24576
	ds_read_b64 v[30:31], v45 offset:24576
	;; [unrolled: 1-line block ×3, first 2 shown]
	v_mfma_f32_16x16x16_bf16 a[4:7], v[26:27], v[20:21], 0
	ds_read2st64_b64 v[18:21], v41 offset0:82 offset1:84
	ds_read2st64_b64 v[22:25], v40 offset0:82 offset1:84
	s_addc_u32 s5, s5, s1
	s_add_i32 s0, s51, s41
	s_add_i32 s12, s12, -1
	s_add_i32 s35, s0, s52
	s_add_i32 s0, s53, s50
	;; [unrolled: 1-line block ×3, first 2 shown]
	s_ashr_i32 s0, s12, 31
	s_mul_i32 s1, s12, s31
	s_mul_hi_u32 s2, s12, s30
	s_add_i32 s1, s2, s1
	s_mul_i32 s0, s0, s30
	s_waitcnt lgkmcnt(1)
	v_mfma_f32_16x16x16_bf16 a[4:7], v[28:29], v[18:19], a[4:7]
	s_add_i32 s1, s1, s0
	s_lshl_b64 s[2:3], s[34:35], 2
	s_add_u32 s10, s10, s2
	s_waitcnt lgkmcnt(0)
	v_mfma_f32_16x16x16_bf16 a[0:3], v[28:29], v[22:23], a[0:3]
	s_addc_u32 s11, s11, s3
	s_lshl_b64 s[2:3], s[36:37], 2
	s_mul_i32 s0, s12, s30
	s_add_u32 s10, s10, s2
	ds_read_b64 v[18:19], v40 offset:44032
	v_mfma_f32_16x16x16_bf16 a[4:7], v[30:31], v[20:21], a[4:7]
	ds_read_b64 v[20:21], v41 offset:44032
	s_addc_u32 s11, s11, s3
	s_lshl_b64 s[0:1], s[0:1], 2
	v_mfma_f32_16x16x16_bf16 a[0:3], v[30:31], v[24:25], a[0:3]
	s_add_u32 s0, s10, s0
	s_addc_u32 s1, s11, s1
	s_load_dword s14, s[0:1], 0x0
	s_waitcnt lgkmcnt(0)
	v_mfma_f32_16x16x16_bf16 a[0:3], v[32:33], v[18:19], a[0:3]
	s_and_b64 vcc, exec, s[26:27]
	v_mfma_f32_16x16x16_bf16 a[4:7], v[32:33], v[20:21], a[4:7]
	s_cbranch_vccz .LBB394_44
; %bb.34:
	v_lshlrev_b32_e32 v36, 1, v42
	s_and_b64 vcc, exec, s[6:7]
	s_cbranch_vccz .LBB394_45
; %bb.35:
	v_cmp_gt_i32_e32 vcc, s46, v36
	v_mov_b32_e32 v22, 0
	v_mov_b32_e32 v18, 0
	;; [unrolled: 1-line block ×5, first 2 shown]
	s_and_saveexec_b64 s[0:1], vcc
	s_cbranch_execz .LBB394_37
; %bb.36:
	v_mad_i64_i32 v[18:19], s[2:3], s15, v36, 0
	v_lshl_add_u64 v[18:19], v[18:19], 1, s[4:5]
	v_lshlrev_b32_e32 v20, 1, v34
	v_mov_b32_e32 v21, 0
	v_lshl_add_u64 v[18:19], v[18:19], 0, v[20:21]
	global_load_dwordx4 v[18:21], v[18:19], off
.LBB394_37:
	s_or_b64 exec, exec, s[0:1]
	v_or_b32_e32 v37, 1, v36
	v_cmp_gt_i32_e64 s[0:1], s46, v37
	v_mov_b32_e32 v23, 0
	v_mov_b32_e32 v24, 0
	v_mov_b32_e32 v25, 0
	s_and_saveexec_b64 s[2:3], s[0:1]
	s_cbranch_execz .LBB394_39
; %bb.38:
	v_mad_i64_i32 v[22:23], s[20:21], s15, v37, 0
	v_lshl_add_u64 v[22:23], v[22:23], 1, s[4:5]
	v_lshlrev_b32_e32 v24, 1, v34
	v_mov_b32_e32 v25, 0
	v_lshl_add_u64 v[22:23], v[22:23], 0, v[24:25]
	global_load_dwordx4 v[22:25], v[22:23], off
.LBB394_39:
	s_or_b64 exec, exec, s[2:3]
	v_mov_b32_e32 v33, 0
	v_mov_b32_e32 v26, 0
	;; [unrolled: 1-line block ×5, first 2 shown]
	s_and_saveexec_b64 s[2:3], vcc
	s_cbranch_execz .LBB394_41
; %bb.40:
	v_mad_i64_i32 v[26:27], s[20:21], s15, v36, 0
	v_lshl_add_u64 v[26:27], v[26:27], 1, s[4:5]
	v_lshlrev_b32_e32 v28, 1, v34
	v_mov_b32_e32 v29, 0
	v_lshl_add_u64 v[26:27], v[26:27], 0, v[28:29]
	global_load_dwordx4 v[26:29], v[26:27], off offset:128
.LBB394_41:
	s_or_b64 exec, exec, s[2:3]
	v_mov_b32_e32 v32, 0
	v_mov_b32_e32 v31, 0
	;; [unrolled: 1-line block ×3, first 2 shown]
	s_and_saveexec_b64 s[2:3], s[0:1]
	s_cbranch_execz .LBB394_43
; %bb.42:
	v_mad_i64_i32 v[30:31], s[0:1], s15, v37, 0
	v_lshl_add_u64 v[30:31], v[30:31], 1, s[4:5]
	v_lshlrev_b32_e32 v32, 1, v34
	v_mov_b32_e32 v33, 0
	v_lshl_add_u64 v[30:31], v[30:31], 0, v[32:33]
	global_load_dwordx4 v[30:33], v[30:31], off offset:128
.LBB394_43:
	s_or_b64 exec, exec, s[2:3]
	s_branch .LBB394_47
.LBB394_44:
                                        ; implicit-def: $vgpr21
                                        ; implicit-def: $vgpr25
                                        ; implicit-def: $vgpr29
                                        ; implicit-def: $vgpr33
	v_lshrrev_b32_e32 v47, 2, v63
	s_branch .LBB394_48
.LBB394_45:
                                        ; implicit-def: $vgpr21
                                        ; implicit-def: $vgpr25
                                        ; implicit-def: $vgpr29
                                        ; implicit-def: $vgpr33
	s_cbranch_execz .LBB394_47
; %bb.46:
	s_waitcnt vmcnt(0)
	v_mad_u64_u32 v[18:19], s[0:1], v36, s15, v[34:35]
	v_lshlrev_b32_e32 v36, 1, v18
	s_lshl_b32 s2, s15, 7
	s_and_b32 s1, s5, 0xffff
	s_mov_b32 s3, 0x20000
	s_mov_b32 s0, s4
	v_add_lshl_u32 v37, v18, s15, 1
	s_movk_i32 s15, 0x80
	buffer_load_dwordx4 v[18:21], v36, s[0:3], 0 offen
	buffer_load_dwordx4 v[26:29], v36, s[0:3], s15 offen
	;; [unrolled: 1-line block ×4, first 2 shown]
.LBB394_47:
	v_lshrrev_b32_e32 v47, 2, v63
	s_cbranch_execnz .LBB394_60
.LBB394_48:
	s_and_b64 vcc, exec, s[6:7]
	s_cbranch_vccz .LBB394_58
; %bb.49:
	s_waitcnt vmcnt(0)
	v_lshlrev_b32_e32 v23, 1, v42
	v_cmp_gt_i32_e32 vcc, s46, v23
	v_mov_b32_e32 v22, 0
	v_lshlrev_b32_e32 v30, 9, v42
	v_mov_b32_e32 v18, 0
	v_mov_b32_e32 v19, 0
	;; [unrolled: 1-line block ×4, first 2 shown]
	s_and_saveexec_b64 s[0:1], vcc
	s_cbranch_execz .LBB394_51
; %bb.50:
	v_mov_b32_e32 v31, 0
	v_lshl_add_u64 v[18:19], s[4:5], 0, v[30:31]
	v_lshlrev_b32_e32 v20, 1, v34
	v_mov_b32_e32 v21, v31
	v_lshl_add_u64 v[18:19], v[18:19], 0, v[20:21]
	global_load_dwordx4 v[18:21], v[18:19], off
.LBB394_51:
	s_or_b64 exec, exec, s[0:1]
	v_or_b32_e32 v23, 1, v23
	v_cmp_gt_i32_e64 s[0:1], s46, v23
	v_lshlrev_b32_e32 v36, 8, v23
	v_mov_b32_e32 v23, 0
	v_mov_b32_e32 v24, 0
	;; [unrolled: 1-line block ×3, first 2 shown]
	s_and_saveexec_b64 s[2:3], s[0:1]
	s_cbranch_execz .LBB394_53
; %bb.52:
	v_mov_b32_e32 v37, 0
	v_lshl_add_u64 v[22:23], s[4:5], 0, v[36:37]
	v_lshlrev_b32_e32 v24, 1, v34
	v_mov_b32_e32 v25, v37
	v_lshl_add_u64 v[22:23], v[22:23], 0, v[24:25]
	global_load_dwordx4 v[22:25], v[22:23], off
.LBB394_53:
	s_or_b64 exec, exec, s[2:3]
	v_mov_b32_e32 v33, 0
	v_mov_b32_e32 v26, 0
	;; [unrolled: 1-line block ×5, first 2 shown]
	s_and_saveexec_b64 s[2:3], vcc
	s_cbranch_execz .LBB394_55
; %bb.54:
	v_mov_b32_e32 v31, 0
	v_lshl_add_u64 v[26:27], s[4:5], 0, v[30:31]
	v_lshlrev_b32_e32 v30, 1, v34
	v_lshl_add_u64 v[26:27], v[26:27], 0, v[30:31]
	global_load_dwordx4 v[26:29], v[26:27], off offset:128
.LBB394_55:
	s_or_b64 exec, exec, s[2:3]
	v_mov_b32_e32 v32, 0
	v_mov_b32_e32 v31, 0
	;; [unrolled: 1-line block ×3, first 2 shown]
	s_and_saveexec_b64 s[2:3], s[0:1]
	s_cbranch_execz .LBB394_57
; %bb.56:
	v_mov_b32_e32 v37, 0
	v_lshl_add_u64 v[30:31], s[4:5], 0, v[36:37]
	v_lshlrev_b32_e32 v36, 1, v34
	v_lshl_add_u64 v[30:31], v[30:31], 0, v[36:37]
	global_load_dwordx4 v[30:33], v[30:31], off offset:128
.LBB394_57:
	s_or_b64 exec, exec, s[2:3]
	s_branch .LBB394_60
.LBB394_58:
                                        ; implicit-def: $vgpr21
                                        ; implicit-def: $vgpr25
                                        ; implicit-def: $vgpr29
                                        ; implicit-def: $vgpr33
	s_cbranch_execz .LBB394_60
; %bb.59:
	s_waitcnt vmcnt(0)
	v_lshlrev_b32_e32 v18, 1, v34
	v_lshl_or_b32 v34, v42, 9, v18
	s_and_b32 s5, s5, 0xffff
	s_mov_b32 s7, 0x20000
	s_movk_i32 s6, 0x4000
	s_movk_i32 s0, 0x80
	buffer_load_dwordx4 v[18:21], v34, s[4:7], 0 offen
	buffer_load_dwordx4 v[22:25], v34, s[4:7], 0 offen offset:256
	buffer_load_dwordx4 v[26:29], v34, s[4:7], s0 offen
	buffer_load_dwordx4 v[30:33], v34, s[4:7], s0 offen offset:256
.LBB394_60:
	ds_read_b64 v[36:37], v43 offset:32768
	v_add_u32_e32 v34, 0xb000, v40
	ds_read2_b64 v[48:51], v34 offset1:16
	ds_read_b64 v[56:57], v44 offset:32768
	ds_read_b64 v[44:45], v45 offset:32768
	;; [unrolled: 1-line block ×3, first 2 shown]
	ds_read2st64_b64 v[52:55], v41 offset0:90 offset1:92
	v_and_b32_e32 v43, 6, v0
	v_and_b32_e32 v34, 12, v47
	v_xor_b32_e32 v42, v42, v43
	v_lshlrev_b32_e32 v42, 2, v42
	s_mov_b32 s0, 0x1000504
	s_waitcnt lgkmcnt(4)
	v_mfma_f32_16x16x16_bf16 a[0:3], v[36:37], v[48:49], a[0:3]
	s_mov_b32 s1, 0x3020706
	v_mfma_f32_16x16x16_bf16 a[4:7], v[36:37], v[50:51], a[4:7]
	ds_read2st64_b64 v[48:51], v40 offset0:90 offset1:92
	ds_read_b64 v[36:37], v40 offset:48128
	ds_read_b64 v[46:47], v41 offset:48128
	s_waitcnt lgkmcnt(2)
	v_mfma_f32_16x16x16_bf16 a[0:3], v[56:57], v[48:49], a[0:3]
	v_and_b32_e32 v48, 1, v0
	v_xor_b32_e32 v49, 0x440, v42
	v_cmp_eq_u32_e32 vcc, 0, v48
	v_mfma_f32_16x16x16_bf16 a[4:7], v[56:57], v[52:53], a[4:7]
	s_nop 0
	v_cndmask_b32_e32 v42, v49, v42, vcc
	v_lshl_or_b32 v42, v43, 10, v42
	v_mfma_f32_16x16x16_bf16 a[0:3], v[44:45], v[50:51], a[0:3]
	v_mfma_f32_16x16x16_bf16 a[8:11], v[44:45], v[54:55], a[4:7]
	s_waitcnt lgkmcnt(1)
	v_mfma_f32_16x16x16_bf16 a[4:7], v[58:59], v[36:37], a[0:3]
	s_waitcnt vmcnt(0)
	v_perm_b32 v36, v18, v22, s0
	v_perm_b32 v37, v26, v30, s0
	ds_write2st64_b32 v42, v36, v37 offset0:32 offset1:64
	v_xor_b32_e32 v36, 8, v42
	v_perm_b32 v18, v18, v22, s1
	v_perm_b32 v22, v26, v30, s1
	v_add_u32_e32 v26, 0x80, v36
	ds_write2st64_b32 v26, v18, v22 offset0:32 offset1:64
	v_xor_b32_e32 v18, 16, v42
	v_perm_b32 v22, v19, v23, s0
	v_perm_b32 v26, v27, v31, s0
	ds_write2st64_b32 v18, v22, v26 offset0:33 offset1:65
	v_xor_b32_e32 v18, 24, v42
	v_perm_b32 v19, v19, v23, s1
	v_perm_b32 v22, v27, v31, s1
	v_add_u32_e32 v18, 0x80, v18
	ds_write2st64_b32 v18, v19, v22 offset0:33 offset1:65
	v_xor_b32_e32 v18, 32, v42
	v_perm_b32 v19, v20, v24, s0
	v_perm_b32 v22, v28, v32, s0
	ds_write2st64_b32 v18, v19, v22 offset0:34 offset1:66
	v_xor_b32_e32 v18, 40, v42
	s_waitcnt lgkmcnt(5)
	v_mfma_f32_16x16x16_bf16 a[0:3], v[58:59], v[46:47], a[8:11]
	v_perm_b32 v19, v20, v24, s1
	v_perm_b32 v20, v28, v32, s1
	v_add_u32_e32 v18, 0x80, v18
	ds_write2st64_b32 v18, v19, v20 offset0:34 offset1:66
	v_xor_b32_e32 v18, 48, v42
	v_perm_b32 v19, v21, v25, s0
	v_perm_b32 v20, v29, v33, s0
	ds_write2st64_b32 v18, v19, v20 offset0:35 offset1:67
	v_xor_b32_e32 v18, 56, v42
	v_or_b32_e32 v32, v34, v61
	v_perm_b32 v19, v21, v25, s1
	v_perm_b32 v20, v29, v33, s1
	v_add_u32_e32 v18, 0x80, v18
	v_cmp_gt_i32_e32 vcc, s46, v32
	v_mov_b32_e32 v33, 0
	v_mov_b32_e32 v37, 0
	ds_write2st64_b32 v18, v19, v20 offset0:35 offset1:67
	s_and_saveexec_b64 s[0:1], vcc
	s_cbranch_execz .LBB394_62
; %bb.61:
	v_add_u32_e32 v18, s43, v32
	v_ashrrev_i32_e32 v19, 31, v18
	v_mul_lo_u32 v20, v19, s30
	v_mul_lo_u32 v21, v18, s31
	v_mad_u64_u32 v[18:19], s[2:3], v18, s30, 0
	v_add3_u32 v19, v19, v21, v20
	v_lshl_add_u64 v[18:19], v[18:19], 2, s[10:11]
	global_load_dword v18, v[18:19], off
	s_waitcnt vmcnt(0)
	v_sub_f32_e32 v18, s14, v18
	v_exp_f32_e32 v37, v18
.LBB394_62:
	s_or_b64 exec, exec, s[0:1]
	v_or_b32_e32 v26, 1, v32
	v_cmp_gt_i32_e64 s[0:1], s46, v26
	s_and_saveexec_b64 s[2:3], s[0:1]
	s_cbranch_execz .LBB394_64
; %bb.63:
	v_add_u32_e32 v18, s43, v26
	v_ashrrev_i32_e32 v19, 31, v18
	v_mul_lo_u32 v20, v19, s30
	v_mul_lo_u32 v21, v18, s31
	v_mad_u64_u32 v[18:19], s[4:5], v18, s30, 0
	v_add3_u32 v19, v19, v21, v20
	v_lshl_add_u64 v[18:19], v[18:19], 2, s[10:11]
	global_load_dword v18, v[18:19], off
	s_waitcnt vmcnt(0)
	v_sub_f32_e32 v18, s14, v18
	v_exp_f32_e32 v33, v18
.LBB394_64:
	s_or_b64 exec, exec, s[2:3]
	v_or_b32_e32 v27, 2, v32
	v_cmp_gt_i32_e64 s[2:3], s46, v27
	v_mov_b32_e32 v36, 0
	v_mov_b32_e32 v42, 0
	s_and_saveexec_b64 s[4:5], s[2:3]
	s_cbranch_execz .LBB394_66
; %bb.65:
	v_add_u32_e32 v18, s43, v27
	v_ashrrev_i32_e32 v19, 31, v18
	v_mul_lo_u32 v20, v19, s30
	v_mul_lo_u32 v21, v18, s31
	v_mad_u64_u32 v[18:19], s[6:7], v18, s30, 0
	v_add3_u32 v19, v19, v21, v20
	v_lshl_add_u64 v[18:19], v[18:19], 2, s[10:11]
	global_load_dword v18, v[18:19], off
	s_waitcnt vmcnt(0)
	v_sub_f32_e32 v18, s14, v18
	v_exp_f32_e32 v42, v18
.LBB394_66:
	s_or_b64 exec, exec, s[4:5]
	v_or_b32_e32 v43, 3, v32
	v_cmp_gt_i32_e64 s[4:5], s46, v43
	s_and_saveexec_b64 s[6:7], s[4:5]
	s_cbranch_execz .LBB394_68
; %bb.67:
	v_add_u32_e32 v18, s43, v43
	v_ashrrev_i32_e32 v19, 31, v18
	v_mul_lo_u32 v20, v19, s30
	v_mul_lo_u32 v21, v18, s31
	v_mad_u64_u32 v[18:19], s[20:21], v18, s30, 0
	v_add3_u32 v19, v19, v21, v20
	v_lshl_add_u64 v[18:19], v[18:19], 2, s[10:11]
	global_load_dword v18, v[18:19], off
	s_waitcnt vmcnt(0)
	v_sub_f32_e32 v18, s14, v18
	v_exp_f32_e32 v36, v18
.LBB394_68:
	s_or_b64 exec, exec, s[6:7]
	s_add_u32 s6, s8, s24
	v_accvgpr_read_b32 v21, a7
	s_addc_u32 s7, s9, s25
	v_ashrrev_i32_e32 v69, 31, v68
	v_accvgpr_read_b32 v20, a6
	v_accvgpr_read_b32 v19, a5
	;; [unrolled: 1-line block ×3, first 2 shown]
	v_lshl_add_u64 v[22:23], v[68:69], 1, s[6:7]
	v_mov_b32_e32 v29, 0
	v_lshlrev_b32_e32 v24, 8, v32
	v_mov_b32_e32 v25, 0
	s_and_saveexec_b64 s[6:7], vcc
	s_cbranch_execz .LBB394_70
; %bb.69:
	v_mov_b32_e32 v25, 0
	v_lshl_add_u64 v[30:31], v[22:23], 0, v[24:25]
	global_load_ushort v25, v[30:31], off
	s_waitcnt vmcnt(0)
	v_lshlrev_b32_e32 v25, 16, v25
	v_sub_f32_e32 v18, v25, v18
	v_mul_f32_e32 v18, v37, v18
	v_lshrrev_b32_e32 v25, 16, v18
.LBB394_70:
	s_or_b64 exec, exec, s[6:7]
	v_lshlrev_b32_e32 v28, 8, v26
	s_and_saveexec_b64 s[6:7], s[0:1]
	s_cbranch_execz .LBB394_72
; %bb.71:
	v_mov_b32_e32 v29, 0
	v_lshl_add_u64 v[30:31], v[22:23], 0, v[28:29]
	global_load_ushort v18, v[30:31], off
	s_waitcnt vmcnt(0)
	v_lshlrev_b32_e32 v18, 16, v18
	v_sub_f32_e32 v18, v18, v19
	v_mul_f32_e32 v18, v33, v18
	v_lshrrev_b32_e32 v29, 16, v18
.LBB394_72:
	s_or_b64 exec, exec, s[6:7]
	v_mov_b32_e32 v44, 0
	v_lshlrev_b32_e32 v30, 8, v27
	v_mov_b32_e32 v31, 0
	s_and_saveexec_b64 s[6:7], s[2:3]
	s_cbranch_execz .LBB394_74
; %bb.73:
	v_mov_b32_e32 v31, 0
	v_lshl_add_u64 v[18:19], v[22:23], 0, v[30:31]
	global_load_ushort v18, v[18:19], off
	s_waitcnt vmcnt(0)
	v_lshlrev_b32_e32 v18, 16, v18
	v_sub_f32_e32 v18, v18, v20
	v_mul_f32_e32 v18, v42, v18
	v_lshrrev_b32_e32 v31, 16, v18
.LBB394_74:
	s_or_b64 exec, exec, s[6:7]
	v_lshlrev_b32_e32 v26, 8, v43
	s_and_saveexec_b64 s[6:7], s[4:5]
	s_cbranch_execz .LBB394_76
; %bb.75:
	v_mov_b32_e32 v27, 0
	v_lshl_add_u64 v[18:19], v[22:23], 0, v[26:27]
	global_load_ushort v18, v[18:19], off
	s_waitcnt vmcnt(0)
	v_lshlrev_b32_e32 v18, 16, v18
	v_sub_f32_e32 v18, v18, v21
	v_mul_f32_e32 v18, v36, v18
	v_lshrrev_b32_e32 v44, 16, v18
.LBB394_76:
	s_or_b64 exec, exec, s[6:7]
	v_lshlrev_b32_e32 v43, 5, v32
	s_mov_b32 s6, 0x5040100
	v_perm_b32 v45, v44, v31, s6
	v_perm_b32 v44, v29, v25, s6
	v_or_b32_e32 v25, v43, v38
	v_accvgpr_read_b32 v21, a3
	v_lshlrev_b32_e32 v25, 1, v25
	v_accvgpr_read_b32 v20, a2
	v_accvgpr_read_b32 v19, a1
	;; [unrolled: 1-line block ×3, first 2 shown]
	ds_write_b64 v25, v[44:45] offset:45056
	v_mov_b32_e32 v29, 0
	v_mov_b32_e32 v25, 0
	s_and_saveexec_b64 s[6:7], vcc
	s_cbranch_execz .LBB394_78
; %bb.77:
	v_mov_b32_e32 v25, 0
	v_lshl_add_u64 v[24:25], v[22:23], 0, v[24:25]
	global_load_ushort v24, v[24:25], off offset:32
	s_waitcnt vmcnt(0)
	v_lshlrev_b32_e32 v24, 16, v24
	v_sub_f32_e32 v18, v24, v18
	v_mul_f32_e32 v18, v37, v18
	v_lshrrev_b32_e32 v25, 16, v18
.LBB394_78:
	s_or_b64 exec, exec, s[6:7]
	s_and_saveexec_b64 s[6:7], s[0:1]
	s_cbranch_execz .LBB394_80
; %bb.79:
	v_mov_b32_e32 v29, 0
	v_lshl_add_u64 v[28:29], v[22:23], 0, v[28:29]
	global_load_ushort v18, v[28:29], off offset:32
	s_waitcnt vmcnt(0)
	v_lshlrev_b32_e32 v18, 16, v18
	v_sub_f32_e32 v18, v18, v19
	v_mul_f32_e32 v18, v33, v18
	v_lshrrev_b32_e32 v29, 16, v18
.LBB394_80:
	s_or_b64 exec, exec, s[6:7]
	v_mov_b32_e32 v24, 0
	v_mov_b32_e32 v28, 0
	s_and_saveexec_b64 s[0:1], s[2:3]
	s_cbranch_execz .LBB394_82
; %bb.81:
	v_mov_b32_e32 v31, 0
	v_lshl_add_u64 v[18:19], v[22:23], 0, v[30:31]
	global_load_ushort v18, v[18:19], off offset:32
	s_waitcnt vmcnt(0)
	v_lshlrev_b32_e32 v18, 16, v18
	v_sub_f32_e32 v18, v18, v20
	v_mul_f32_e32 v18, v42, v18
	v_lshrrev_b32_e32 v28, 16, v18
.LBB394_82:
	s_or_b64 exec, exec, s[0:1]
	v_or_b32_e32 v19, 0xb000, v40
	v_or_b32_e32 v18, 0xb000, v41
	s_and_saveexec_b64 s[0:1], s[4:5]
	s_cbranch_execz .LBB394_84
; %bb.83:
	v_mov_b32_e32 v27, 0
	v_lshl_add_u64 v[22:23], v[22:23], 0, v[26:27]
	global_load_ushort v20, v[22:23], off offset:32
	s_waitcnt vmcnt(0)
	v_lshlrev_b32_e32 v20, 16, v20
	v_sub_f32_e32 v20, v20, v21
	v_mul_f32_e32 v20, v36, v20
	v_lshrrev_b32_e32 v24, 16, v20
.LBB394_84:
	s_or_b64 exec, exec, s[0:1]
	s_mov_b32 s0, 0x5040100
	v_or_b32_e32 v22, v43, v35
	v_perm_b32 v21, v24, v28, s0
	v_perm_b32 v20, v29, v25, s0
	v_lshlrev_b32_e32 v22, 1, v22
	s_movk_i32 s2, 0x100
	ds_write_b64 v22, v[20:21] offset:45056
	v_and_b32_e32 v20, 7, v0
	v_and_b32_e32 v21, 8, v0
	v_cmp_gt_u32_e32 vcc, s2, v0
	v_lshrrev_b32_e32 v0, 1, v0
	v_lshlrev_b32_e32 v26, 3, v20
	v_lshlrev_b32_e32 v47, 7, v20
	v_mov_b32_e32 v20, 0x4000
	v_mov_b32_e32 v22, 0x2000
	v_lshlrev_b32_e32 v24, 3, v1
	v_and_b32_e32 v0, 24, v0
	v_cndmask_b32_e32 v27, v20, v22, vcc
	v_xor_b32_e32 v20, v24, v0
	v_or_b32_e32 v22, 0x440, v20
	v_cmp_eq_u32_e32 vcc, 0, v21
	v_or_b32_e32 v28, 32, v0
	v_xor_b32_e32 v28, v24, v28
	v_cndmask_b32_e32 v20, v22, v20, vcc
	v_or_b32_e32 v20, v20, v39
	v_xor_b32_e32 v48, v20, v26
	v_or_b32_e32 v29, 0x440, v28
	v_add3_u32 v25, v27, v48, v47
	v_cndmask_b32_e32 v28, v29, v28, vcc
	v_or_b32_e32 v29, 64, v0
	v_or_b32_e32 v0, 0x60, v0
	s_waitcnt lgkmcnt(0)
	s_barrier
	v_xor_b32_e32 v29, v24, v29
	v_xor_b32_e32 v0, v24, v0
	ds_read_b64 v[24:25], v25
	v_xor_b32_e32 v30, 0x440, v29
	v_cndmask_b32_e32 v29, v30, v29, vcc
	v_xor_b32_e32 v30, 0x440, v0
	ds_read2_b64 v[20:23], v19 offset1:16
	v_cndmask_b32_e32 v0, v30, v0, vcc
	v_or_b32_e32 v28, v28, v39
	v_or_b32_e32 v29, v29, v39
	;; [unrolled: 1-line block ×3, first 2 shown]
	v_xor_b32_e32 v49, v28, v26
	v_xor_b32_e32 v50, v29, v26
	v_xor_b32_e32 v0, v0, v26
	s_add_i32 s0, s12, s49
	v_add3_u32 v28, v27, v49, v47
	v_add3_u32 v29, v27, v50, v47
	;; [unrolled: 1-line block ×3, first 2 shown]
	s_mul_hi_i32 s1, s0, s13
	s_mul_i32 s0, s0, s13
	ds_read_b64 v[26:27], v28
	ds_read_b64 v[40:41], v29
	;; [unrolled: 1-line block ×3, first 2 shown]
	ds_read2st64_b64 v[28:31], v19 offset0:2 offset1:4
	ds_read2st64_b64 v[36:39], v18 offset0:2 offset1:4
	s_add_u32 s0, s0, s33
	s_waitcnt lgkmcnt(5)
	v_mfma_f32_16x16x16_bf16 a[0:3], v[24:25], v[20:21], 0
	s_addc_u32 s1, s1, s48
	s_lshl_b64 s[0:1], s[0:1], 9
	s_add_u32 s0, s16, s0
	v_mfma_f32_16x16x16_bf16 a[4:7], v[24:25], v[22:23], 0
	s_addc_u32 s1, s17, s1
	v_lshlrev_b32_e32 v24, 2, v32
	v_lshlrev_b32_e32 v1, 6, v1
	s_waitcnt lgkmcnt(1)
	v_mfma_f32_16x16x16_bf16 a[0:3], v[26:27], v[28:29], a[0:3]
	v_add_u32_e32 v48, v48, v47
	v_exp_f32_e32 v46, s14
	v_add_u32_e32 v0, v0, v47
	s_waitcnt lgkmcnt(0)
	v_mfma_f32_16x16x16_bf16 a[4:7], v[26:27], v[36:37], a[4:7]
	global_load_dwordx4 v[24:27], v24, s[0:1]
	s_waitcnt vmcnt(0)
	v_exp_f32_e32 v26, v26
	v_mfma_f32_16x16x16_bf16 a[0:3], v[40:41], v[30:31], a[0:3]
	v_exp_f32_e32 v27, v27
	v_mfma_f32_16x16x16_bf16 a[4:7], v[40:41], v[38:39], a[4:7]
	ds_read_b64 v[40:41], v19 offset:3072
	ds_read_b64 v[44:45], v18 offset:3072
	v_lshlrev_b32_e32 v18, 2, v34
	v_or3_b32 v1, v1, v18, s2
	global_load_dwordx4 v[32:35], v1, s[0:1]
	v_exp_f32_e32 v18, v24
	v_exp_f32_e32 v19, v25
	ds_read_b64 v[24:25], v48 offset:16384
	s_waitcnt lgkmcnt(2)
	v_mfma_f32_16x16x16_bf16 a[0:3], v[42:43], v[40:41], a[0:3]
	v_add_u32_e32 v48, v50, v47
	v_pk_mul_f32 v[52:53], v[46:47], v[18:19] op_sel_hi:[0,1]
	s_waitcnt lgkmcnt(1)
	v_mfma_f32_16x16x16_bf16 a[4:7], v[42:43], v[44:45], a[4:7]
	v_add_u32_e32 v42, v49, v47
	ds_read_b64 v[42:43], v42 offset:16384
	ds_read_b64 v[48:49], v48 offset:16384
	ds_read_b64 v[50:51], v0 offset:16384
	v_accvgpr_read_b32 v19, a1
	s_waitcnt lgkmcnt(3)
	v_mfma_f32_16x16x16_bf16 a[8:11], v[24:25], v[20:21], 0
	v_accvgpr_read_b32 v1, a3
	v_accvgpr_read_b32 v0, a2
	v_accvgpr_read_b32 v18, a0
	v_mfma_f32_16x16x16_bf16 a[0:3], v[24:25], v[22:23], 0
	v_pk_fma_f32 v[18:19], v[2:3], v[52:53], v[18:19]
	v_pk_mul_f32 v[2:3], v[46:47], v[26:27] op_sel_hi:[0,1]
	v_pk_fma_f32 v[20:21], v[4:5], v[2:3], v[0:1]
	s_waitcnt lgkmcnt(2)
	v_mfma_f32_16x16x16_bf16 a[8:11], v[42:43], v[28:29], a[8:11]
	v_accvgpr_read_b32 v0, a4
	v_fma_f32 v26, v10, v52, v0
	v_accvgpr_read_b32 v0, a5
	v_mfma_f32_16x16x16_bf16 a[0:3], v[42:43], v[36:37], a[0:3]
	v_fma_f32 v27, v11, v53, v0
	v_accvgpr_read_b32 v0, a6
	v_fma_f32 v28, v12, v2, v0
	s_waitcnt lgkmcnt(1)
	v_mfma_f32_16x16x16_bf16 a[8:11], v[48:49], v[30:31], a[8:11]
	v_accvgpr_read_b32 v29, a7
	v_fmac_f32_e32 v29, v13, v3
	s_waitcnt vmcnt(0)
	v_mov_b32_e32 v0, v33
	v_mfma_f32_16x16x16_bf16 a[0:3], v[48:49], v[38:39], a[0:3]
	v_mov_b32_e32 v1, v34
	v_mov_b32_e32 v2, v35
	v_exp_f32_e32 v5, v0
	v_exp_f32_e32 v0, v1
	s_waitcnt lgkmcnt(0)
	v_mfma_f32_16x16x16_bf16 a[4:7], v[50:51], v[40:41], a[8:11]
	v_exp_f32_e32 v1, v2
	v_exp_f32_e32 v4, v32
	v_pk_mul_f32 v[0:1], v[46:47], v[0:1] op_sel_hi:[0,1]
	v_mfma_f32_16x16x16_bf16 a[0:3], v[50:51], v[44:45], a[0:3]
	v_pk_mul_f32 v[4:5], v[46:47], v[4:5] op_sel_hi:[0,1]
	s_nop 1
	v_accvgpr_read_b32 v3, a7
	v_accvgpr_read_b32 v2, a6
	v_pk_fma_f32 v[24:25], v[8:9], v[0:1], v[2:3]
	v_accvgpr_read_b32 v11, a5
	v_accvgpr_read_b32 v10, a4
	v_pk_fma_f32 v[22:23], v[6:7], v[4:5], v[10:11]
	v_accvgpr_read_b32 v2, a0
	v_fma_f32 v30, v14, v4, v2
	v_accvgpr_read_b32 v2, a1
	v_fma_f32 v31, v15, v5, v2
	v_accvgpr_read_b32 v2, a2
	v_accvgpr_read_b32 v33, a3
	v_fma_f32 v32, v16, v0, v2
	v_fmac_f32_e32 v33, v17, v1
	v_mov_b64_e32 v[2:3], v[18:19]
	v_mov_b64_e32 v[4:5], v[20:21]
	;; [unrolled: 1-line block ×8, first 2 shown]
.LBB394_85:
	s_add_u32 s0, s18, s28
	s_addc_u32 s1, s19, s29
	v_lshl_add_u64 v[0:1], v[66:67], 2, s[0:1]
	v_mov_b32_e32 v63, 0
	v_lshl_add_u64 v[0:1], v[0:1], 0, v[62:63]
	global_store_dwordx4 v[0:1], v[2:5], off
	global_store_dwordx4 v[0:1], v[6:9], off offset:256
	v_lshl_add_u64 v[0:1], v[64:65], 2, s[0:1]
	v_lshl_add_u64 v[0:1], v[0:1], 0, v[62:63]
	global_store_dwordx4 v[0:1], v[10:13], off
	global_store_dwordx4 v[0:1], v[14:17], off offset:256
	s_endpgm
	.section	.rodata,"a",@progbits
	.p2align	6, 0x0
	.amdhsa_kernel _ZN12_GLOBAL__N_139chunk_gated_delta_rule_fwd_h_hip_kernelILi32ELb1ELb1ELb0ELb0ELb1ELb1ELb1ELb0EEEvPK12hip_bfloat16S3_S3_PKfS5_PKvPS1_S8_PvPKiSB_iiiiilll
		.amdhsa_group_segment_fixed_size 49152
		.amdhsa_private_segment_fixed_size 0
		.amdhsa_kernarg_size 136
		.amdhsa_user_sgpr_count 2
		.amdhsa_user_sgpr_dispatch_ptr 0
		.amdhsa_user_sgpr_queue_ptr 0
		.amdhsa_user_sgpr_kernarg_segment_ptr 1
		.amdhsa_user_sgpr_dispatch_id 0
		.amdhsa_user_sgpr_kernarg_preload_length 0
		.amdhsa_user_sgpr_kernarg_preload_offset 0
		.amdhsa_user_sgpr_private_segment_size 0
		.amdhsa_uses_dynamic_stack 0
		.amdhsa_enable_private_segment 0
		.amdhsa_system_sgpr_workgroup_id_x 1
		.amdhsa_system_sgpr_workgroup_id_y 1
		.amdhsa_system_sgpr_workgroup_id_z 0
		.amdhsa_system_sgpr_workgroup_info 0
		.amdhsa_system_vgpr_workitem_id 0
		.amdhsa_next_free_vgpr 164
		.amdhsa_next_free_sgpr 72
		.amdhsa_accum_offset 144
		.amdhsa_reserve_vcc 1
		.amdhsa_float_round_mode_32 0
		.amdhsa_float_round_mode_16_64 0
		.amdhsa_float_denorm_mode_32 3
		.amdhsa_float_denorm_mode_16_64 3
		.amdhsa_dx10_clamp 1
		.amdhsa_ieee_mode 1
		.amdhsa_fp16_overflow 0
		.amdhsa_tg_split 0
		.amdhsa_exception_fp_ieee_invalid_op 0
		.amdhsa_exception_fp_denorm_src 0
		.amdhsa_exception_fp_ieee_div_zero 0
		.amdhsa_exception_fp_ieee_overflow 0
		.amdhsa_exception_fp_ieee_underflow 0
		.amdhsa_exception_fp_ieee_inexact 0
		.amdhsa_exception_int_div_zero 0
	.end_amdhsa_kernel
	.section	.text._ZN12_GLOBAL__N_139chunk_gated_delta_rule_fwd_h_hip_kernelILi32ELb1ELb1ELb0ELb0ELb1ELb1ELb1ELb0EEEvPK12hip_bfloat16S3_S3_PKfS5_PKvPS1_S8_PvPKiSB_iiiiilll,"axG",@progbits,_ZN12_GLOBAL__N_139chunk_gated_delta_rule_fwd_h_hip_kernelILi32ELb1ELb1ELb0ELb0ELb1ELb1ELb1ELb0EEEvPK12hip_bfloat16S3_S3_PKfS5_PKvPS1_S8_PvPKiSB_iiiiilll,comdat
.Lfunc_end394:
	.size	_ZN12_GLOBAL__N_139chunk_gated_delta_rule_fwd_h_hip_kernelILi32ELb1ELb1ELb0ELb0ELb1ELb1ELb1ELb0EEEvPK12hip_bfloat16S3_S3_PKfS5_PKvPS1_S8_PvPKiSB_iiiiilll, .Lfunc_end394-_ZN12_GLOBAL__N_139chunk_gated_delta_rule_fwd_h_hip_kernelILi32ELb1ELb1ELb0ELb0ELb1ELb1ELb1ELb0EEEvPK12hip_bfloat16S3_S3_PKfS5_PKvPS1_S8_PvPKiSB_iiiiilll
                                        ; -- End function
	.section	.AMDGPU.csdata,"",@progbits
; Kernel info:
; codeLenInByte = 9576
; NumSgprs: 78
; NumVgprs: 144
; NumAgprs: 20
; TotalNumVgprs: 164
; ScratchSize: 0
; MemoryBound: 0
; FloatMode: 240
; IeeeMode: 1
; LDSByteSize: 49152 bytes/workgroup (compile time only)
; SGPRBlocks: 9
; VGPRBlocks: 20
; NumSGPRsForWavesPerEU: 78
; NumVGPRsForWavesPerEU: 164
; AccumOffset: 144
; Occupancy: 1
; WaveLimiterHint : 1
; COMPUTE_PGM_RSRC2:SCRATCH_EN: 0
; COMPUTE_PGM_RSRC2:USER_SGPR: 2
; COMPUTE_PGM_RSRC2:TRAP_HANDLER: 0
; COMPUTE_PGM_RSRC2:TGID_X_EN: 1
; COMPUTE_PGM_RSRC2:TGID_Y_EN: 1
; COMPUTE_PGM_RSRC2:TGID_Z_EN: 0
; COMPUTE_PGM_RSRC2:TIDIG_COMP_CNT: 0
; COMPUTE_PGM_RSRC3_GFX90A:ACCUM_OFFSET: 35
; COMPUTE_PGM_RSRC3_GFX90A:TG_SPLIT: 0
	.section	.text._ZN12_GLOBAL__N_139chunk_gated_delta_rule_fwd_h_hip_kernelILi32ELb1ELb0ELb1ELb0ELb1ELb1ELb1ELb0EEEvPK12hip_bfloat16S3_S3_PKfS5_PKvPS1_S8_PvPKiSB_iiiiilll,"axG",@progbits,_ZN12_GLOBAL__N_139chunk_gated_delta_rule_fwd_h_hip_kernelILi32ELb1ELb0ELb1ELb0ELb1ELb1ELb1ELb0EEEvPK12hip_bfloat16S3_S3_PKfS5_PKvPS1_S8_PvPKiSB_iiiiilll,comdat
	.globl	_ZN12_GLOBAL__N_139chunk_gated_delta_rule_fwd_h_hip_kernelILi32ELb1ELb0ELb1ELb0ELb1ELb1ELb1ELb0EEEvPK12hip_bfloat16S3_S3_PKfS5_PKvPS1_S8_PvPKiSB_iiiiilll ; -- Begin function _ZN12_GLOBAL__N_139chunk_gated_delta_rule_fwd_h_hip_kernelILi32ELb1ELb0ELb1ELb0ELb1ELb1ELb1ELb0EEEvPK12hip_bfloat16S3_S3_PKfS5_PKvPS1_S8_PvPKiSB_iiiiilll
	.p2align	8
	.type	_ZN12_GLOBAL__N_139chunk_gated_delta_rule_fwd_h_hip_kernelILi32ELb1ELb0ELb1ELb0ELb1ELb1ELb1ELb0EEEvPK12hip_bfloat16S3_S3_PKfS5_PKvPS1_S8_PvPKiSB_iiiiilll,@function
_ZN12_GLOBAL__N_139chunk_gated_delta_rule_fwd_h_hip_kernelILi32ELb1ELb0ELb1ELb0ELb1ELb1ELb1ELb0EEEvPK12hip_bfloat16S3_S3_PKfS5_PKvPS1_S8_PvPKiSB_iiiiilll: ; @_ZN12_GLOBAL__N_139chunk_gated_delta_rule_fwd_h_hip_kernelILi32ELb1ELb0ELb1ELb0ELb1ELb1ELb1ELb0EEEvPK12hip_bfloat16S3_S3_PKfS5_PKvPS1_S8_PvPKiSB_iiiiilll
; %bb.0:
	s_load_dwordx4 s[12:15], s[0:1], 0x5c
	s_load_dwordx4 s[20:23], s[0:1], 0x70
	s_abs_i32 s6, s3
	s_ashr_i32 s5, s3, 31
	s_load_dwordx4 s[16:19], s[0:1], 0x28
	s_load_dwordx2 s[28:29], s[0:1], 0x38
	s_waitcnt lgkmcnt(0)
	s_abs_i32 s4, s13
	v_cvt_f32_u32_e32 v1, s4
	s_sub_i32 s8, 0, s4
	s_ashr_i32 s7, s13, 31
	s_xor_b32 s5, s5, s7
	v_rcp_iflag_f32_e32 v1, v1
	v_and_b32_e32 v74, 15, v0
	v_lshrrev_b32_e32 v72, 6, v0
	v_bfe_u32 v73, v0, 4, 2
	v_mul_f32_e32 v1, 0x4f7ffffe, v1
	v_cvt_u32_f32_e32 v1, v1
	v_mov_b32_e32 v7, 0
	v_and_b32_e32 v61, 63, v0
	v_lshrrev_b32_e32 v76, 3, v61
	v_readfirstlane_b32 s9, v1
	s_mul_i32 s8, s8, s9
	s_mul_hi_u32 s8, s9, s8
	s_add_i32 s9, s9, s8
	s_mul_hi_u32 s8, s6, s9
	s_mul_i32 s9, s8, s4
	s_sub_i32 s6, s6, s9
	s_add_i32 s10, s8, 1
	s_sub_i32 s9, s6, s4
	s_cmp_ge_u32 s6, s4
	s_cselect_b32 s8, s10, s8
	s_cselect_b32 s6, s9, s6
	s_add_i32 s9, s8, 1
	s_cmp_ge_u32 s6, s4
	s_cselect_b32 s6, s9, s8
	s_xor_b32 s6, s6, s5
	s_add_i32 s8, s12, 63
	s_sub_i32 s52, s6, s5
	s_ashr_i32 s9, s8, 31
	s_mul_i32 s5, s52, s13
	s_sub_i32 s50, s3, s5
	s_lshr_b32 s3, s9, 26
	s_add_i32 s8, s8, s3
	s_abs_i32 s3, s14
	v_cvt_f32_u32_e32 v1, s3
	s_ashr_i32 s51, s12, 31
	s_lshr_b32 s6, s51, 26
	s_add_i32 s6, s12, s6
	v_rcp_iflag_f32_e32 v1, v1
	s_ashr_i32 s55, s14, 31
	s_ashr_i32 s53, s6, 6
	s_lshl_b32 s38, s2, 5
	v_mul_f32_e32 v1, 0x4f7ffffe, v1
	v_cvt_u32_f32_e32 v1, v1
	s_xor_b32 s2, s7, s55
	s_sub_i32 s6, 0, s3
	s_ashr_i32 s25, s8, 6
	v_readfirstlane_b32 s7, v1
	s_mul_i32 s6, s6, s7
	s_mul_hi_u32 s6, s7, s6
	s_add_i32 s7, s7, s6
	s_mul_hi_u32 s6, s4, s7
	s_mul_i32 s7, s6, s3
	s_sub_i32 s4, s4, s7
	s_add_i32 s7, s6, 1
	s_sub_i32 s8, s4, s3
	s_cmp_ge_u32 s4, s3
	s_cselect_b32 s6, s7, s6
	s_cselect_b32 s4, s8, s4
	s_add_i32 s7, s6, 1
	s_cmp_ge_u32 s4, s3
	s_cselect_b32 s3, s7, s6
	s_xor_b32 s3, s3, s2
	s_sub_i32 s2, s3, s2
	s_abs_i32 s3, s2
	v_cvt_f32_u32_e32 v1, s3
	s_sub_i32 s6, 0, s3
	s_abs_i32 s4, s50
	s_xor_b32 s2, s50, s2
	v_rcp_iflag_f32_e32 v1, v1
	s_ashr_i32 s2, s2, 31
	v_or_b32_e32 v62, s38, v74
	v_lshlrev_b32_e32 v2, 7, v62
	v_mul_f32_e32 v1, 0x4f7ffffe, v1
	v_cvt_u32_f32_e32 v1, v1
	v_ashrrev_i32_e32 v3, 31, v2
	s_mul_i32 s57, s52, s25
	v_lshlrev_b32_e32 v75, 3, v0
	v_readfirstlane_b32 s7, v1
	s_mul_i32 s6, s6, s7
	s_mul_hi_u32 s6, s7, s6
	s_add_i32 s7, s7, s6
	s_mul_hi_u32 s6, s4, s7
	s_mul_i32 s7, s6, s3
	s_sub_i32 s4, s4, s7
	s_add_i32 s7, s6, 1
	s_sub_i32 s8, s4, s3
	s_cmp_ge_u32 s4, s3
	s_cselect_b32 s6, s7, s6
	s_cselect_b32 s4, s8, s4
	s_add_i32 s7, s6, 1
	s_cmp_ge_u32 s4, s3
	s_cselect_b32 s3, s7, s6
	s_xor_b32 s3, s3, s2
	s_sub_i32 s56, s3, s2
	s_ashr_i32 s24, s52, 31
	s_ashr_i32 s54, s50, 31
	s_mul_hi_i32 s2, s52, s13
	s_add_u32 s40, s5, s50
	s_addc_u32 s41, s2, s54
	s_lshl_b64 s[2:3], s[40:41], 16
	s_add_u32 s2, s16, s2
	s_addc_u32 s3, s17, s3
	v_lshlrev_b32_e32 v1, 4, v72
	v_lshl_add_u64 v[4:5], v[2:3], 2, s[2:3]
	v_or_b32_e32 v2, 0x800, v2
	v_lshl_or_b32 v77, v73, 2, v1
	v_ashrrev_i32_e32 v3, 31, v2
	v_lshlrev_b32_e32 v6, 2, v77
	v_lshl_add_u64 v[2:3], v[2:3], 2, s[2:3]
	v_lshl_add_u64 v[4:5], v[4:5], 0, v[6:7]
	v_lshl_add_u64 v[18:19], v[2:3], 0, v[6:7]
	global_load_dwordx4 v[14:17], v[4:5], off
	global_load_dwordx4 v[10:13], v[4:5], off offset:256
	global_load_dwordx4 v[6:9], v[18:19], off
	s_nop 0
	global_load_dwordx4 v[2:5], v[18:19], off offset:256
	s_load_dwordx8 s[4:11], s[0:1], 0x0
	s_load_dwordx2 s[30:31], s[0:1], 0x80
	v_or_b32_e32 v78, 64, v77
	s_cmp_lt_i32 s12, 64
	s_mul_i32 s58, s41, s12
	s_mul_hi_u32 s59, s40, s12
	s_mul_i32 s16, s40, s12
	s_mul_i32 s33, s52, s21
	s_mul_hi_u32 s46, s52, s20
	s_mul_i32 s47, s24, s20
	s_mul_i32 s34, s52, s20
	;; [unrolled: 1-line block ×3, first 2 shown]
	s_mul_hi_u32 s48, s50, s22
	s_mul_i32 s49, s54, s22
	s_mul_i32 s36, s50, s22
	s_cbranch_scc1 .LBB395_3
; %bb.1:
	s_add_i32 s17, s59, s58
	s_lshl_b64 s[2:3], s[16:17], 8
	v_and_b32_e32 v80, 56, v75
	s_waitcnt lgkmcnt(0)
	s_add_u32 s20, s6, s2
	v_lshl_or_b32 v79, v72, 3, v76
	v_lshlrev_b32_e32 v18, 1, v80
	s_addc_u32 s2, s7, s3
	v_lshl_or_b32 v81, v79, 8, v18
	s_and_b32 s21, s2, 0xffff
	s_mov_b32 s23, 0x20000
	s_movk_i32 s22, 0x4000
	s_movk_i32 s2, 0x80
	v_or_b32_e32 v82, 0x2000, v81
	buffer_load_dwordx4 v[20:23], v81, s[20:23], 0 offen
	buffer_load_dwordx4 v[24:27], v81, s[20:23], s2 offen
	;; [unrolled: 1-line block ×4, first 2 shown]
	v_lshlrev_b32_e32 v19, 3, v79
	v_and_or_b32 v37, v0, 7, v19
	v_and_b32_e32 v19, 0x78, v19
	v_lshlrev_b32_e32 v37, 4, v37
	v_xor_b32_e32 v83, v37, v19
	v_mul_lo_u32 v36, v79, s15
	v_or_b32_e32 v84, 0x1000, v83
	v_xor_b32_e32 v19, 8, v83
	s_cmpk_eq_i32 s15, 0x80
	s_mov_b32 s60, s14
	v_xor_b32_e32 v37, 8, v84
	s_cselect_b64 s[2:3], -1, 0
	s_cmpk_lg_i32 s15, 0x80
	s_waitcnt vmcnt(3)
	ds_write_b64 v83, v[20:21] offset:24576
	ds_write_b64 v19, v[22:23] offset:24576
	s_waitcnt vmcnt(2)
	ds_write_b64 v83, v[24:25] offset:32768
	ds_write_b64 v19, v[26:27] offset:32768
	s_waitcnt vmcnt(1)
	ds_write_b64 v83, v[28:29] offset:28672
	ds_write_b64 v37, v[30:31] offset:24576
	s_waitcnt vmcnt(0)
	ds_write_b64 v83, v[32:33] offset:36864
	ds_write_b64 v37, v[34:35] offset:32768
	v_lshl_add_u32 v19, v36, 1, v80
	s_cbranch_scc0 .LBB395_29
; %bb.2:
	v_lshlrev_b32_e32 v21, 1, v19
	v_add_lshl_u32 v20, v19, s15, 1
	s_lshl_b32 s22, s15, 7
	s_load_dwordx2 s[42:43], s[0:1], 0x20
	v_lshl_or_b32 v18, v79, 9, v18
	s_cbranch_execz .LBB395_30
	s_branch .LBB395_31
.LBB395_3:
	s_waitcnt vmcnt(0)
	v_mov_b32_e32 v21, v5
	v_mov_b32_e32 v25, v9
.LBB395_4:
	s_lshl_b32 s26, s53, 6
	s_sub_i32 s27, s12, s26
	s_cmp_gt_i32 s27, 0
	s_cbranch_scc0 .LBB395_84
; %bb.5:
	s_ashr_i32 s2, s26, 31
	s_cmpk_lg_i32 s15, 0x80
	s_cselect_b64 s[22:23], -1, 0
	s_and_b64 vcc, exec, s[22:23]
	s_cbranch_vccz .LBB395_7
; %bb.6:
	s_mul_i32 s1, s52, s12
	s_mul_hi_i32 s0, s52, s12
	s_add_u32 s1, s1, s26
	s_addc_u32 s0, s0, s2
	s_mul_i32 s3, s1, s55
	s_mul_hi_u32 s17, s1, s14
	s_add_i32 s3, s17, s3
	s_mul_i32 s0, s0, s14
	s_add_i32 s3, s3, s0
	s_mul_i32 s1, s1, s14
	s_ashr_i32 s0, s56, 31
	s_add_u32 s24, s1, s56
	s_addc_u32 s25, s3, s0
	s_cbranch_execz .LBB395_8
	s_branch .LBB395_9
.LBB395_7:
                                        ; implicit-def: $sgpr24_sgpr25
.LBB395_8:
	s_mul_hi_i32 s0, s52, s14
	s_mul_i32 s52, s52, s14
	s_ashr_i32 s1, s56, 31
	s_add_u32 s3, s52, s56
	s_addc_u32 s0, s0, s1
	s_mul_i32 s1, s3, s51
	s_mul_hi_u32 s14, s3, s12
	s_add_i32 s1, s14, s1
	s_mul_i32 s0, s0, s12
	s_add_i32 s1, s1, s0
	s_mul_i32 s3, s3, s12
	s_add_u32 s24, s3, s26
	s_addc_u32 s25, s1, s2
.LBB395_9:
	s_mul_i32 s0, s40, s51
	s_add_i32 s0, s59, s0
	s_add_i32 s3, s57, s53
	;; [unrolled: 1-line block ×3, first 2 shown]
	s_add_u32 s0, s16, s26
	s_addc_u32 s1, s1, s2
	v_lshlrev_b32_e32 v18, 5, v77
	v_lshlrev_b32_e32 v22, 2, v74
	s_mov_b32 s2, 0x7060302
	v_perm_b32 v13, v13, v12, s2
	v_perm_b32 v12, v11, v10, s2
	v_or_b32_e32 v10, v18, v22
	v_xor_b32_e32 v5, v77, v22
	v_perm_b32 v17, v17, v16, s2
	v_perm_b32 v16, v15, v14, s2
	v_lshlrev_b32_e32 v10, 1, v10
	ds_write2st64_b64 v10, v[16:17], v[12:13] offset0:80 offset1:88
	v_lshlrev_b32_e32 v10, 1, v5
	v_lshlrev_b32_e32 v5, 8, v74
	s_lshl_b64 s[20:21], s[0:1], 8
	v_xor_b32_e32 v9, v78, v22
	v_or_b32_e32 v11, v10, v5
	s_waitcnt lgkmcnt(0)
	s_add_u32 s0, s6, s20
	ds_write_b64 v11, v[16:17]
	v_lshlrev_b32_e32 v11, 1, v9
	s_addc_u32 s1, s7, s21
	v_or_b32_e32 v5, v11, v5
	s_mul_hi_i32 s6, s3, s13
	s_mul_i32 s3, s3, s13
	ds_write_b64 v5, v[12:13]
	v_perm_b32 v9, v25, v8, s2
	v_perm_b32 v8, v7, v6, s2
	;; [unrolled: 1-line block ×4, first 2 shown]
	s_add_u32 s2, s3, s50
	v_or_b32_e32 v2, 16, v74
	s_addc_u32 s3, s6, s54
	v_lshlrev_b32_e32 v19, 2, v2
	s_ashr_i32 s39, s38, 31
	s_lshl_b64 s[2:3], s[2:3], 15
	v_or_b32_e32 v3, v18, v19
	s_add_u32 s6, s18, s2
	v_lshlrev_b32_e32 v3, 1, v3
	v_lshlrev_b32_e32 v2, 8, v2
	s_addc_u32 s7, s19, s3
	s_lshl_b64 s[2:3], s[38:39], 8
	ds_write2st64_b64 v3, v[8:9], v[4:5] offset0:80 offset1:88
	v_or_b32_e32 v3, v10, v2
	v_or_b32_e32 v2, v11, v2
	s_add_u32 s2, s6, s2
	ds_write_b64 v3, v[8:9]
	ds_write_b64 v2, v[4:5]
	v_lshrrev_b32_e32 v2, 4, v0
	s_addc_u32 s3, s7, s3
	v_lshlrev_b32_e32 v3, 1, v74
	v_lshlrev_b32_e32 v10, 4, v74
	v_mov_b32_e32 v11, 0
	v_or_b32_e32 v4, 1, v3
	v_xor_b32_e32 v3, v2, v3
	v_lshl_add_u64 v[12:13], s[2:3], 0, v[10:11]
	v_lshlrev_b32_e32 v10, 8, v2
	v_xor_b32_e32 v6, v4, v2
	v_lshl_or_b32 v2, v3, 3, v10
	s_waitcnt lgkmcnt(0)
	s_barrier
	ds_read2st64_b64 v[2:5], v2 offset1:8
	v_lshl_or_b32 v6, v6, 3, v10
	ds_read2st64_b64 v[6:9], v6 offset1:8
	v_lshl_add_u64 v[14:15], v[12:13], 0, v[10:11]
	s_movk_i32 s2, 0x1000
	s_waitcnt lgkmcnt(1)
	v_mov_b32_e32 v10, v2
	v_add_co_u32_e32 v2, vcc, s2, v14
	s_cmp_lg_u32 s27, 64
	v_mov_b32_e32 v11, v3
	v_addc_co_u32_e32 v3, vcc, 0, v15, vcc
	s_cselect_b64 s[6:7], -1, 0
	v_lshl_or_b32 v23, v72, 3, v76
	s_waitcnt lgkmcnt(0)
	v_mov_b32_e32 v12, v6
	v_mov_b32_e32 v13, v7
	v_mov_b32_e32 v6, v4
	v_mov_b32_e32 v7, v5
	s_mov_b32 s16, 0
	v_or_b32_e32 v20, 32, v23
	v_and_b32_e32 v18, 56, v75
	s_and_b64 vcc, exec, s[6:7]
	global_store_dwordx4 v[14:15], v[10:13], off
	global_store_dwordx4 v[2:3], v[6:9], off
	s_cbranch_vccz .LBB395_15
; %bb.10:
	s_mov_b32 s17, s16
	s_mov_b32 s18, s16
	;; [unrolled: 1-line block ×3, first 2 shown]
	v_mov_b64_e32 v[6:7], s[16:17]
	v_mov_b64_e32 v[8:9], s[18:19]
	;; [unrolled: 1-line block ×3, first 2 shown]
	v_cmp_gt_i32_e32 vcc, s27, v23
	v_mov_b64_e32 v[4:5], v[8:9]
	s_and_saveexec_b64 s[2:3], vcc
	s_cbranch_execz .LBB395_12
; %bb.11:
	v_lshlrev_b32_e32 v2, 8, v23
	v_mov_b32_e32 v3, 0
	v_lshl_add_u64 v[4:5], s[0:1], 0, v[2:3]
	v_lshlrev_b32_e32 v2, 1, v18
	v_lshl_add_u64 v[10:11], v[4:5], 0, v[2:3]
	global_load_dwordx4 v[6:9], v[10:11], off
	global_load_dwordx4 v[2:5], v[10:11], off offset:128
.LBB395_12:
	s_or_b64 exec, exec, s[2:3]
	s_mov_b32 s17, s16
	s_mov_b32 s18, s16
	;; [unrolled: 1-line block ×3, first 2 shown]
	v_mov_b64_e32 v[14:15], s[16:17]
	v_mov_b64_e32 v[16:17], s[18:19]
	;; [unrolled: 1-line block ×3, first 2 shown]
	v_cmp_gt_i32_e32 vcc, s27, v20
	v_lshlrev_b32_e32 v21, 7, v20
	v_mov_b64_e32 v[12:13], v[16:17]
	s_and_saveexec_b64 s[2:3], vcc
	s_cbranch_execz .LBB395_14
; %bb.13:
	v_lshlrev_b32_e32 v10, 1, v21
	v_mov_b32_e32 v11, 0
	v_lshl_add_u64 v[12:13], s[0:1], 0, v[10:11]
	v_lshlrev_b32_e32 v10, 1, v18
	v_lshl_add_u64 v[24:25], v[12:13], 0, v[10:11]
	global_load_dwordx4 v[14:17], v[24:25], off
	global_load_dwordx4 v[10:13], v[24:25], off offset:128
.LBB395_14:
	s_or_b64 exec, exec, s[2:3]
	v_lshrrev_b32_e32 v24, 3, v18
	v_lshlrev_b32_e32 v25, 3, v23
	v_or_b32_e32 v24, v25, v24
	v_lshlrev_b32_e32 v24, 4, v24
	v_and_b32_e32 v25, 0x78, v25
	v_xor_b32_e32 v24, v24, v25
	s_branch .LBB395_17
.LBB395_15:
                                        ; implicit-def: $vgpr24
                                        ; implicit-def: $vgpr21
                                        ; implicit-def: $vgpr6_vgpr7_vgpr8_vgpr9
                                        ; implicit-def: $vgpr2_vgpr3_vgpr4_vgpr5
                                        ; implicit-def: $vgpr14_vgpr15_vgpr16_vgpr17
                                        ; implicit-def: $vgpr10_vgpr11_vgpr12_vgpr13
	s_cbranch_execz .LBB395_17
; %bb.16:
	s_waitcnt vmcnt(0)
	v_lshlrev_b32_e32 v2, 1, v18
	v_lshl_or_b32 v21, v23, 8, v2
	s_and_b32 s1, s1, 0xffff
	s_mov_b32 s3, 0x20000
	s_movk_i32 s2, 0x4000
	v_lshl_or_b32 v24, v20, 8, v2
	s_movk_i32 s13, 0x80
	buffer_load_dwordx4 v[6:9], v21, s[0:3], 0 offen
	buffer_load_dwordx4 v[2:5], v21, s[0:3], s13 offen
	;; [unrolled: 1-line block ×4, first 2 shown]
	v_lshrrev_b32_e32 v21, 3, v18
	v_lshlrev_b32_e32 v24, 3, v23
	v_or_b32_e32 v21, v24, v21
	v_lshlrev_b32_e32 v21, 4, v21
	v_and_b32_e32 v24, 0x78, v24
	v_xor_b32_e32 v24, v21, v24
	v_lshlrev_b32_e32 v21, 7, v20
.LBB395_17:
	s_lshl_b64 s[0:1], s[24:25], 8
	s_add_u32 s4, s4, s0
	s_movk_i32 s0, 0x1000
	v_and_or_b32 v20, v21, s0, v24
	s_waitcnt vmcnt(1)
	ds_write_b64 v24, v[6:7] offset:24576
	v_xor_b32_e32 v6, 8, v24
	ds_write_b64 v6, v[8:9] offset:24576
	s_waitcnt vmcnt(0)
	ds_write_b64 v24, v[2:3] offset:32768
	ds_write_b64 v6, v[4:5] offset:32768
	;; [unrolled: 1-line block ×3, first 2 shown]
	v_xor_b32_e32 v2, 8, v20
	ds_write_b64 v2, v[16:17] offset:24576
	ds_write_b64 v20, v[10:11] offset:32768
	;; [unrolled: 1-line block ×3, first 2 shown]
	v_or_b32_e32 v2, v1, v74
	v_lshlrev_b32_e32 v3, 11, v72
	v_lshlrev_b32_e32 v2, 3, v2
	v_and_b32_e32 v6, 0x1000, v3
	v_lshrrev_b32_e32 v3, 5, v61
	s_movk_i32 s3, 0xf8
	v_and_or_b32 v3, v2, s3, v3
	v_lshlrev_b32_e32 v7, 4, v3
	v_and_b32_e32 v8, 0x78, v2
	v_or_b32_e32 v10, 32, v7
	v_lshrrev_b32_e32 v3, 1, v61
	v_xor_b32_e32 v10, v10, v8
	v_xor_b32_e32 v2, v7, v8
	v_and_b32_e32 v9, 8, v3
	v_or_b32_e32 v10, v10, v6
	v_or_b32_e32 v2, v2, v6
	v_xor_b32_e32 v26, v10, v9
	v_or_b32_e32 v10, 64, v7
	v_xor_b32_e32 v25, v2, v9
	v_xor_b32_e32 v10, v10, v8
	s_waitcnt lgkmcnt(0)
	s_barrier
	v_or_b32_e32 v12, v10, v6
	ds_read_b64 v[10:11], v25 offset:24576
	v_lshl_or_b32 v20, v73, 7, v22
	v_lshlrev_b32_e32 v24, 1, v20
	v_add_u32_e32 v2, 0xa000, v24
	ds_read2_b64 v[2:5], v2 offset1:16
	v_or_b32_e32 v7, 0x60, v7
	v_xor_b32_e32 v7, v7, v8
	s_waitcnt lgkmcnt(0)
	v_mfma_f32_16x16x16_bf16 a[0:3], v[10:11], v[2:3], 0
	v_or_b32_e32 v2, 64, v20
	v_or_b32_e32 v6, v7, v6
	v_lshlrev_b32_e32 v29, 1, v2
	v_xor_b32_e32 v27, v12, v9
	v_xor_b32_e32 v28, v6, v9
	ds_read_b64 v[12:13], v26 offset:24576
	ds_read_b64 v[14:15], v27 offset:24576
	;; [unrolled: 1-line block ×3, first 2 shown]
	v_mfma_f32_16x16x16_bf16 a[4:7], v[10:11], v[4:5], 0
	ds_read2st64_b64 v[2:5], v29 offset0:82 offset1:84
	ds_read2st64_b64 v[6:9], v24 offset0:82 offset1:84
	s_addc_u32 s5, s5, s1
	s_add_i32 s1, s46, s33
	s_add_i32 s0, s12, -1
	s_add_i32 s35, s1, s47
	s_add_i32 s1, s48, s41
	;; [unrolled: 1-line block ×3, first 2 shown]
	s_ashr_i32 s1, s0, 31
	s_mul_i32 s2, s0, s31
	s_mul_hi_u32 s3, s0, s30
	s_add_i32 s2, s3, s2
	s_mul_i32 s1, s1, s30
	s_waitcnt lgkmcnt(1)
	v_mfma_f32_16x16x16_bf16 a[4:7], v[12:13], v[2:3], a[4:7]
	s_add_i32 s1, s2, s1
	s_lshl_b64 s[2:3], s[34:35], 2
	s_add_u32 s10, s10, s2
	s_waitcnt lgkmcnt(0)
	v_mfma_f32_16x16x16_bf16 a[0:3], v[12:13], v[6:7], a[0:3]
	s_addc_u32 s11, s11, s3
	s_lshl_b64 s[2:3], s[36:37], 2
	s_mul_i32 s0, s0, s30
	s_add_u32 s10, s10, s2
	ds_read_b64 v[2:3], v24 offset:44032
	v_mfma_f32_16x16x16_bf16 a[4:7], v[14:15], v[4:5], a[4:7]
	ds_read_b64 v[4:5], v29 offset:44032
	s_addc_u32 s11, s11, s3
	s_lshl_b64 s[0:1], s[0:1], 2
	v_mfma_f32_16x16x16_bf16 a[0:3], v[14:15], v[8:9], a[0:3]
	s_add_u32 s0, s10, s0
	s_addc_u32 s1, s11, s1
	s_load_dword s12, s[0:1], 0x0
	s_waitcnt lgkmcnt(0)
	v_mfma_f32_16x16x16_bf16 a[0:3], v[16:17], v[2:3], a[0:3]
	s_and_b64 vcc, exec, s[22:23]
	v_mfma_f32_16x16x16_bf16 a[4:7], v[16:17], v[4:5], a[4:7]
	s_cbranch_vccz .LBB395_28
; %bb.18:
	v_lshlrev_b32_e32 v20, 1, v23
	s_and_b64 vcc, exec, s[6:7]
	s_cbranch_vccz .LBB395_44
; %bb.19:
	v_cmp_gt_i32_e32 vcc, s27, v20
	v_mov_b32_e32 v6, 0
	v_mov_b32_e32 v2, 0
	;; [unrolled: 1-line block ×5, first 2 shown]
	s_and_saveexec_b64 s[0:1], vcc
	s_cbranch_execz .LBB395_21
; %bb.20:
	v_mad_i64_i32 v[2:3], s[2:3], s15, v20, 0
	v_lshl_add_u64 v[2:3], v[2:3], 1, s[4:5]
	v_lshlrev_b32_e32 v4, 1, v18
	v_mov_b32_e32 v5, 0
	v_lshl_add_u64 v[2:3], v[2:3], 0, v[4:5]
	global_load_dwordx4 v[2:5], v[2:3], off
.LBB395_21:
	s_or_b64 exec, exec, s[0:1]
	v_or_b32_e32 v21, 1, v20
	v_cmp_gt_i32_e64 s[0:1], s27, v21
	v_mov_b32_e32 v7, 0
	v_mov_b32_e32 v8, 0
	;; [unrolled: 1-line block ×3, first 2 shown]
	s_and_saveexec_b64 s[2:3], s[0:1]
	s_cbranch_execz .LBB395_23
; %bb.22:
	v_mad_i64_i32 v[6:7], s[16:17], s15, v21, 0
	v_lshl_add_u64 v[6:7], v[6:7], 1, s[4:5]
	v_lshlrev_b32_e32 v8, 1, v18
	v_mov_b32_e32 v9, 0
	v_lshl_add_u64 v[6:7], v[6:7], 0, v[8:9]
	global_load_dwordx4 v[6:9], v[6:7], off
.LBB395_23:
	s_or_b64 exec, exec, s[2:3]
	v_mov_b32_e32 v17, 0
	v_mov_b32_e32 v10, 0
	;; [unrolled: 1-line block ×5, first 2 shown]
	s_and_saveexec_b64 s[2:3], vcc
	s_cbranch_execz .LBB395_25
; %bb.24:
	v_mad_i64_i32 v[10:11], s[16:17], s15, v20, 0
	v_lshl_add_u64 v[10:11], v[10:11], 1, s[4:5]
	v_lshlrev_b32_e32 v12, 1, v18
	v_mov_b32_e32 v13, 0
	v_lshl_add_u64 v[10:11], v[10:11], 0, v[12:13]
	global_load_dwordx4 v[10:13], v[10:11], off offset:128
.LBB395_25:
	s_or_b64 exec, exec, s[2:3]
	v_mov_b32_e32 v16, 0
	v_mov_b32_e32 v15, 0
	;; [unrolled: 1-line block ×3, first 2 shown]
	s_and_saveexec_b64 s[2:3], s[0:1]
	s_cbranch_execz .LBB395_27
; %bb.26:
	v_mad_i64_i32 v[14:15], s[0:1], s15, v21, 0
	v_lshl_add_u64 v[14:15], v[14:15], 1, s[4:5]
	v_lshlrev_b32_e32 v16, 1, v18
	v_mov_b32_e32 v17, 0
	v_lshl_add_u64 v[14:15], v[14:15], 0, v[16:17]
	global_load_dwordx4 v[14:17], v[14:15], off offset:128
.LBB395_27:
	s_or_b64 exec, exec, s[2:3]
	s_branch .LBB395_46
.LBB395_28:
                                        ; implicit-def: $vgpr5
                                        ; implicit-def: $vgpr9
                                        ; implicit-def: $vgpr13
                                        ; implicit-def: $vgpr17
	v_lshrrev_b32_e32 v30, 2, v61
	s_branch .LBB395_47
.LBB395_29:
                                        ; implicit-def: $vgpr20
                                        ; implicit-def: $vgpr21
                                        ; implicit-def: $sgpr22
	s_load_dwordx2 s[42:43], s[0:1], 0x20
	v_lshl_or_b32 v18, v79, 9, v18
.LBB395_30:
	v_or_b32_e32 v20, 0x100, v18
	s_movk_i32 s22, 0x4000
	v_mov_b32_e32 v21, v18
.LBB395_31:
	s_mul_hi_u32 s0, s14, s12
	s_mul_i32 s1, s55, s12
	s_add_i32 s0, s0, s1
	s_mul_i32 s1, s14, s12
	s_mul_i32 s20, s1, s24
	s_mul_hi_u32 s21, s1, s52
	s_add_i32 s20, s21, s20
	s_mul_i32 s0, s0, s52
	s_add_i32 s20, s20, s0
	s_mul_i32 s1, s1, s52
	s_ashr_i32 s61, s56, 31
	s_add_u32 s0, s1, s56
	s_addc_u32 s1, s20, s61
	s_lshl_b64 s[0:1], s[0:1], 8
	s_add_u32 s20, s4, s0
	s_addc_u32 s0, s5, s1
	s_and_b32 s21, s0, 0xffff
	s_movk_i32 s62, 0x80
	buffer_load_dwordx4 v[22:25], v21, s[20:23], 0 offen
	buffer_load_dwordx4 v[26:29], v21, s[20:23], s62 offen
	;; [unrolled: 1-line block ×4, first 2 shown]
	v_and_b32_e32 v20, 6, v0
	v_lshlrev_b32_e32 v39, 6, v77
	v_or_b32_e32 v41, 16, v74
	v_xor_b32_e32 v42, v79, v20
	v_and_b32_e32 v21, 1, v0
	v_lshl_or_b32 v45, v74, 3, v39
	v_lshl_or_b32 v39, v41, 3, v39
	v_lshlrev_b32_e32 v42, 2, v42
	s_mul_i32 s24, s24, s12
	s_mul_hi_u32 s0, s52, s12
	v_lshlrev_b32_e32 v38, 2, v74
	v_or_b32_e32 v87, 0xa000, v39
	v_or_b32_e32 v88, 0xb000, v39
	v_xor_b32_e32 v39, 0x440, v42
	v_cmp_eq_u32_e32 vcc, 0, v21
	v_xor_b32_e32 v43, v77, v38
	v_xor_b32_e32 v44, v78, v38
	v_cndmask_b32_e32 v21, v39, v42, vcc
	s_add_i32 s67, s0, s24
	s_add_i32 s0, s46, s33
	s_mov_b32 s65, 0x1000504
	v_lshlrev_b32_e32 v40, 8, v74
	v_lshlrev_b32_e32 v43, 1, v43
	;; [unrolled: 1-line block ×3, first 2 shown]
	v_lshl_or_b32 v20, v20, 10, v21
	s_add_i32 s35, s0, s47
	s_add_i32 s0, s48, s41
	s_mov_b32 s66, 0x3020706
	v_or_b32_e32 v85, 0xa000, v45
	v_or_b32_e32 v86, 0xb000, v45
	;; [unrolled: 1-line block ×4, first 2 shown]
	v_xor_b32_e32 v21, 8, v20
	v_xor_b32_e32 v40, 24, v20
	;; [unrolled: 1-line block ×4, first 2 shown]
	s_add_i32 s37, s0, s49
	s_lshl_b64 s[0:1], s[34:35], 2
	v_xor_b32_e32 v39, 16, v20
	v_xor_b32_e32 v42, 32, v20
	;; [unrolled: 1-line block ×3, first 2 shown]
	v_add_u32_e32 v21, 0x80, v21
	v_add_u32_e32 v40, 0x80, v40
	;; [unrolled: 1-line block ×4, first 2 shown]
	s_add_u32 s20, s10, s0
	s_addc_u32 s21, s11, s1
	s_lshl_b64 s[0:1], s[36:37], 2
	s_add_u32 s44, s20, s0
	s_movk_i32 s0, 0xf8
	s_addc_u32 s45, s21, s1
	s_ashr_i32 s39, s38, 31
	s_lshl_b32 s26, s15, 7
	s_movk_i32 s20, 0x100
	v_mov_b32_e32 v65, 0
	v_lshlrev_b32_e32 v64, 4, v74
	v_cmp_gt_u32_e32 vcc, s20, v0
	v_ashrrev_i32_e32 v63, 31, v62
	s_mul_i32 s63, s52, s12
	s_mov_b32 s64, 0
	s_movk_i32 s35, 0x1000
	s_movk_i32 s22, 0x4000
	s_mov_b32 s69, 0
	s_waitcnt vmcnt(1)
	v_perm_b32 v48, v22, v30, s65
	s_waitcnt vmcnt(0)
	v_perm_b32 v49, v26, v34, s65
	v_perm_b32 v22, v22, v30, s66
	;; [unrolled: 1-line block ×15, first 2 shown]
	ds_write2st64_b32 v20, v48, v49 offset0:32 offset1:64
	ds_write2st64_b32 v21, v22, v26 offset0:32 offset1:64
	;; [unrolled: 1-line block ×8, first 2 shown]
	v_lshlrev_b32_e32 v20, 8, v41
	v_or_b32_e32 v91, v20, v43
	v_or_b32_e32 v92, v20, v44
	;; [unrolled: 1-line block ×3, first 2 shown]
	v_lshlrev_b32_e32 v20, 3, v20
	v_lshrrev_b32_e32 v23, 5, v61
	v_and_or_b32 v23, v20, s0, v23
	v_lshlrev_b32_e32 v23, 4, v23
	v_lshlrev_b32_e32 v25, 11, v72
	v_and_b32_e32 v20, 0x78, v20
	v_or_b32_e32 v28, 32, v23
	v_and_b32_e32 v22, 0x1000, v25
	v_lshrrev_b32_e32 v26, 1, v61
	v_xor_b32_e32 v28, v28, v20
	v_xor_b32_e32 v24, v23, v20
	v_and_b32_e32 v26, 8, v26
	v_or_b32_e32 v28, v28, v22
	v_or_b32_e32 v24, v24, v22
	v_lshlrev_b32_e32 v27, 7, v73
	v_xor_b32_e32 v95, v28, v26
	v_or_b32_e32 v28, 64, v23
	v_or_b32_e32 v23, 0x60, v23
	v_xor_b32_e32 v93, v24, v26
	v_or_b32_e32 v24, v27, v38
	v_xor_b32_e32 v28, v28, v20
	v_xor_b32_e32 v20, v23, v20
	s_lshl_b64 s[0:1], s[38:39], 8
	v_lshlrev_b32_e32 v24, 1, v24
	v_or_b32_e32 v28, v28, v22
	v_or_b32_e32 v20, v20, v22
	s_add_u32 s0, s18, s0
	v_lshlrev_b32_e32 v22, 1, v74
	v_or_b32_e32 v94, 0xa000, v24
	v_or_b32_e32 v96, 0xa080, v24
	;; [unrolled: 1-line block ×4, first 2 shown]
	v_lshrrev_b32_e32 v24, 4, v0
	s_addc_u32 s1, s19, s1
	v_or_b32_e32 v23, 1, v22
	v_mov_b32_e32 v33, 0x4000
	v_mov_b32_e32 v34, 0x2000
	v_lshrrev_b32_e32 v35, 1, v0
	v_xor_b32_e32 v97, v28, v26
	v_xor_b32_e32 v98, v20, v26
	;; [unrolled: 1-line block ×4, first 2 shown]
	v_lshl_add_u64 v[22:23], s[0:1], 0, v[64:65]
	v_lshlrev_b32_e32 v64, 8, v24
	v_cndmask_b32_e32 v33, v33, v34, vcc
	v_lshlrev_b32_e32 v34, 3, v72
	v_and_b32_e32 v35, 24, v35
	v_lshl_or_b32 v101, v26, 3, v64
	v_and_b32_e32 v26, 8, v0
	v_xor_b32_e32 v36, v34, v35
	v_or_b32_e32 v37, 0x440, v36
	v_cmp_eq_u32_e32 vcc, 0, v26
	v_and_b32_e32 v24, 7, v0
	v_lshl_or_b32 v102, v30, 3, v64
	v_cndmask_b32_e32 v26, v37, v36, vcc
	v_lshlrev_b32_e32 v30, 3, v24
	v_lshlrev_b32_e32 v32, 2, v0
	v_or_b32_e32 v26, v26, v25
	v_xor_b32_e32 v36, v26, v30
	v_and_or_b32 v26, v32, 60, v27
	v_mov_b32_e32 v27, 0xb000
	v_lshl_or_b32 v103, v26, 1, v27
	v_or_b32_e32 v26, 32, v35
	v_xor_b32_e32 v26, v34, v26
	v_or_b32_e32 v27, 0x440, v26
	v_cndmask_b32_e32 v26, v27, v26, vcc
	v_or_b32_e32 v26, v26, v25
	v_xor_b32_e32 v27, v26, v30
	v_or_b32_e32 v26, 64, v35
	v_xor_b32_e32 v26, v34, v26
	v_xor_b32_e32 v38, 0x440, v26
	v_cndmask_b32_e32 v26, v38, v26, vcc
	v_or_b32_e32 v26, v26, v25
	v_xor_b32_e32 v38, v26, v30
	v_or_b32_e32 v26, 0x60, v35
	v_xor_b32_e32 v26, v34, v26
	v_xor_b32_e32 v34, 0x440, v26
	v_cndmask_b32_e32 v26, v34, v26, vcc
	v_lshrrev_b32_e32 v21, 2, v61
	v_or_b32_e32 v25, v26, v25
	v_and_b32_e32 v21, 12, v21
	v_lshlrev_b32_e32 v28, 1, v19
	v_add_lshl_u32 v19, v19, s15, 1
	v_or_b32_e32 v29, 0x100, v18
	v_xor_b32_e32 v25, v25, v30
	v_lshlrev_b32_e32 v20, 7, v77
	v_lshlrev_b32_e32 v31, 7, v24
	v_or_b32_e32 v24, v21, v1
	v_add_u32_e32 v37, v33, v36
	v_add_u32_e32 v32, v33, v27
	;; [unrolled: 1-line block ×4, first 2 shown]
	v_or3_b32 v26, v1, v21, 64
	v_add_u32_e32 v21, 0x4000, v36
	v_add_u32_e32 v27, 0x4000, v27
	v_add_u32_e32 v33, 0x4000, v38
	v_add_u32_e32 v25, 0x4000, v25
	v_cndmask_b32_e64 v104, v28, v18, s[2:3]
	v_cndmask_b32_e64 v105, v19, v29, s[2:3]
	v_lshlrev_b64 v[18:19], 1, v[62:63]
	v_lshl_add_u64 v[66:67], s[8:9], 0, v[18:19]
	v_lshl_add_u64 v[68:69], s[28:29], 0, v[18:19]
	;; [unrolled: 1-line block ×3, first 2 shown]
	s_add_i32 s37, s63, 63
	s_mov_b32 s39, 0x7060302
	v_lshlrev_b32_e32 v64, 1, v20
	v_lshlrev_b32_e32 v63, 2, v24
	v_add_u32_e32 v106, v37, v31
	v_add_u32_e32 v107, v32, v31
	;; [unrolled: 1-line block ×4, first 2 shown]
	v_lshlrev_b32_e32 v110, 2, v26
	v_add_u32_e32 v111, v21, v31
	v_add_u32_e32 v112, v27, v31
	;; [unrolled: 1-line block ×4, first 2 shown]
	s_waitcnt lgkmcnt(0)
	s_barrier
.LBB395_32:                             ; =>This Inner Loop Header: Depth=1
	s_add_i32 s68, s69, 1
	s_cmp_lt_i32 s68, s53
	s_mov_b64 s[24:25], 0
	s_cselect_b64 s[2:3], -1, 0
	s_cmp_ge_i32 s68, s53
	s_mov_b64 s[20:21], 0
	s_cbranch_scc1 .LBB395_34
; %bb.33:                               ;   in Loop: Header=BB395_32 Depth=1
	s_add_i32 s0, s64, 64
	s_add_u32 s0, s16, s0
	s_addc_u32 s1, s17, 0
	s_lshl_b64 s[0:1], s[0:1], 8
	s_add_u32 s20, s6, s0
	s_addc_u32 s21, s7, s1
.LBB395_34:                             ;   in Loop: Header=BB395_32 Depth=1
	v_cndmask_b32_e64 v18, 0, 1, s[2:3]
	v_cmp_ne_u32_e64 s[0:1], 1, v18
	s_andn2_b64 vcc, exec, s[2:3]
	s_cbranch_vccnz .LBB395_36
; %bb.35:                               ;   in Loop: Header=BB395_32 Depth=1
	s_add_i32 s2, s64, 64
	s_add_u32 s2, s63, s2
	s_addc_u32 s3, s67, 0
	s_mul_i32 s24, s2, s55
	s_mul_hi_u32 s25, s2, s60
	s_add_i32 s24, s25, s24
	s_mul_i32 s3, s3, s60
	s_add_i32 s24, s24, s3
	s_mul_i32 s2, s2, s60
	s_add_u32 s2, s2, s56
	s_addc_u32 s3, s24, s61
	s_lshl_b64 s[2:3], s[2:3], 8
	s_add_u32 s24, s4, s2
	s_addc_u32 s25, s5, s3
.LBB395_36:                             ;   in Loop: Header=BB395_32 Depth=1
	v_perm_b32 v19, v17, v16, s39
	v_perm_b32 v18, v15, v14, s39
	;; [unrolled: 1-line block ×4, first 2 shown]
	ds_write_b64 v85, v[18:19]
	ds_write_b64 v86, v[20:21]
	;; [unrolled: 1-line block ×4, first 2 shown]
	v_perm_b32 v19, v9, v8, s39
	v_perm_b32 v18, v7, v6, s39
	;; [unrolled: 1-line block ×4, first 2 shown]
	ds_write_b64 v87, v[18:19]
	ds_write_b64 v88, v[20:21]
	ds_write_b64 v91, v[18:19]
	ds_write_b64 v92, v[20:21]
	s_waitcnt lgkmcnt(0)
	s_barrier
	ds_read_b64 v[22:23], v93 offset:24576
	ds_read2_b64 v[18:21], v94 offset1:16
	ds_read_b64 v[26:27], v96 offset:3072
	ds_read_b64 v[28:29], v94 offset:3072
	;; [unrolled: 1-line block ×3, first 2 shown]
	s_waitcnt lgkmcnt(3)
	v_mfma_f32_16x16x16_bf16 a[0:3], v[22:23], v[18:19], 0
	s_add_i32 s2, s64, 63
	s_mul_i32 s3, s2, s31
	s_mul_hi_u32 s27, s2, s30
	v_mfma_f32_16x16x16_bf16 a[4:7], v[22:23], v[20:21], 0
	ds_read2st64_b64 v[18:21], v94 offset0:2 offset1:4
	ds_read2st64_b64 v[22:25], v96 offset0:2 offset1:4
	s_add_i32 s3, s27, s3
	s_waitcnt lgkmcnt(1)
	v_mfma_f32_16x16x16_bf16 a[0:3], v[30:31], v[18:19], a[0:3]
	s_mul_i32 s2, s2, s30
	s_lshl_b64 s[2:3], s[2:3], 2
	s_add_u32 s2, s44, s2
	s_waitcnt lgkmcnt(0)
	v_mfma_f32_16x16x16_bf16 a[4:7], v[30:31], v[22:23], a[4:7]
	ds_read_b64 v[18:19], v97 offset:24576
	ds_read_b64 v[22:23], v98 offset:24576
	s_addc_u32 s3, s45, s3
	s_and_b64 vcc, exec, s[0:1]
	s_waitcnt lgkmcnt(1)
	v_mfma_f32_16x16x16_bf16 a[0:3], v[18:19], v[20:21], a[0:3]
	v_mov_b32_e32 v117, 0
	v_mov_b32_e32 v116, 0
	v_mov_b32_e32 v115, 0
	v_mfma_f32_16x16x16_bf16 a[8:11], v[18:19], v[24:25], a[4:7]
	v_mov_b32_e32 v18, 0
	v_mov_b32_e32 v19, 0
	;; [unrolled: 1-line block ×3, first 2 shown]
	s_waitcnt lgkmcnt(0)
	v_mfma_f32_16x16x16_bf16 a[4:7], v[22:23], v[28:29], a[0:3]
	v_mov_b32_e32 v21, 0
	v_mov_b32_e32 v24, 0
	;; [unrolled: 1-line block ×3, first 2 shown]
	v_mfma_f32_16x16x16_bf16 a[0:3], v[22:23], v[26:27], a[8:11]
	v_mov_b32_e32 v22, 0
	v_mov_b32_e32 v23, 0
	;; [unrolled: 1-line block ×10, first 2 shown]
	s_cbranch_vccnz .LBB395_38
; %bb.37:                               ;   in Loop: Header=BB395_32 Depth=1
	s_and_b32 s21, s21, 0xffff
	buffer_load_dwordx4 v[30:33], v81, s[20:23], 0 offen
	buffer_load_dwordx4 v[26:29], v81, s[20:23], s62 offen
	;; [unrolled: 1-line block ×4, first 2 shown]
	v_mov_b32_e32 v116, v83
	v_mov_b32_e32 v115, v84
.LBB395_38:                             ;   in Loop: Header=BB395_32 Depth=1
	ds_read_b64 v[42:43], v93 offset:32768
	ds_read2_b64 v[34:37], v99 offset1:16
	ds_read_b64 v[44:45], v95 offset:32768
	ds_read_b64 v[46:47], v97 offset:32768
	;; [unrolled: 1-line block ×3, first 2 shown]
	ds_read2st64_b64 v[38:41], v99 offset0:2 offset1:4
	v_add_u32_e32 v50, s64, v77
	s_waitcnt lgkmcnt(4)
	v_mfma_f32_16x16x16_bf16 a[4:7], v[42:43], v[34:35], a[4:7]
	v_ashrrev_i32_e32 v34, 31, v50
	v_mfma_f32_16x16x16_bf16 a[0:3], v[42:43], v[36:37], a[0:3]
	v_mul_lo_u32 v36, v50, s31
	v_mul_lo_u32 v37, v34, s30
	v_mad_u64_u32 v[34:35], s[20:21], v50, s30, 0
	v_add3_u32 v35, v35, v36, v37
	v_add_u32_e32 v36, 1, v50
	v_ashrrev_i32_e32 v37, 31, v36
	s_waitcnt lgkmcnt(0)
	v_mfma_f32_16x16x16_bf16 a[4:7], v[44:45], v[38:39], a[4:7]
	v_mul_lo_u32 v38, v37, s30
	v_mul_lo_u32 v39, v36, s31
	v_mad_u64_u32 v[36:37], s[20:21], v36, s30, 0
	v_add3_u32 v37, v37, v39, v38
	v_add_u32_e32 v38, 2, v50
	v_ashrrev_i32_e32 v39, 31, v38
	v_mul_lo_u32 v42, v39, s30
	v_mul_lo_u32 v43, v38, s31
	v_mad_u64_u32 v[38:39], s[20:21], v38, s30, 0
	v_add3_u32 v39, v39, v43, v42
	v_add_u32_e32 v42, 3, v50
	v_ashrrev_i32_e32 v43, 31, v42
	v_mul_lo_u32 v50, v43, s30
	v_mul_lo_u32 v51, v42, s31
	v_mad_u64_u32 v[42:43], s[20:21], v42, s30, 0
	s_add_u32 s20, s16, s64
	s_addc_u32 s21, s17, 0
	s_lshl_b64 s[20:21], s[20:21], 8
	v_lshl_add_u64 v[34:35], v[34:35], 2, s[44:45]
	v_add3_u32 v43, v43, v51, v50
	v_lshl_add_u64 v[50:51], v[66:67], 0, s[20:21]
	v_lshl_add_u64 v[36:37], v[36:37], 2, s[44:45]
	;; [unrolled: 1-line block ×3, first 2 shown]
	global_load_dword v52, v[34:35], off
	global_load_ushort v53, v[50:51], off offset:256
	global_load_ushort v54, v[50:51], off
	global_load_ushort v55, v[50:51], off offset:768
	v_lshl_add_u64 v[34:35], v[42:43], 2, s[44:45]
	v_lshl_add_u64 v[38:39], v[38:39], 2, s[44:45]
	global_load_dword v56, v[36:37], off
	global_load_dword v57, v[38:39], off
	;; [unrolled: 1-line block ×3, first 2 shown]
	ds_read2st64_b64 v[34:37], v100 offset0:2 offset1:4
	s_waitcnt lgkmcnt(0)
	v_mfma_f32_16x16x16_bf16 a[0:3], v[44:45], v[34:35], a[0:3]
	global_load_ushort v44, v[50:51], off offset:512
	global_load_ushort v59, v[50:51], off offset:800
	;; [unrolled: 1-line block ×4, first 2 shown]
	s_nop 0
	global_load_ushort v50, v[50:51], off offset:32
	s_and_b64 vcc, exec, s[0:1]
	v_mfma_f32_16x16x16_bf16 a[4:7], v[46:47], v[40:41], a[4:7]
	s_waitcnt vmcnt(10)
	v_lshlrev_b32_e32 v43, 16, v53
	v_mfma_f32_16x16x16_bf16 a[0:3], v[46:47], v[36:37], a[0:3]
	ds_read_b64 v[34:35], v99 offset:3072
	ds_read_b64 v[36:37], v100 offset:3072
	s_load_dword s2, s[2:3], 0x0
	s_waitcnt vmcnt(9)
	v_lshlrev_b32_e32 v42, 16, v54
	s_waitcnt lgkmcnt(0)
	v_mfma_f32_16x16x16_bf16 a[4:7], v[48:49], v[34:35], a[4:7]
	v_lshl_add_u64 v[34:35], v[68:69], 0, s[20:21]
	v_sub_f32_e32 v46, s2, v52
	s_waitcnt vmcnt(7)
	v_sub_f32_e32 v47, s2, v56
	v_mfma_f32_16x16x16_bf16 a[0:3], v[48:49], v[36:37], a[0:3]
	s_waitcnt vmcnt(6)
	v_sub_f32_e32 v48, s2, v57
	s_waitcnt vmcnt(5)
	v_sub_f32_e32 v49, s2, v58
	v_accvgpr_read_b32 v41, a5
	v_accvgpr_read_b32 v40, a4
	v_exp_f32_e32 v46, v46
	v_pk_add_f32 v[40:41], v[42:43], v[40:41] neg_lo:[0,1] neg_hi:[0,1]
	v_exp_f32_e32 v47, v47
	v_exp_f32_e32 v42, v48
	;; [unrolled: 1-line block ×3, first 2 shown]
	v_accvgpr_read_b32 v37, a7
	v_accvgpr_read_b32 v36, a6
	v_lshlrev_b32_e32 v45, 16, v55
	s_waitcnt vmcnt(4)
	v_lshlrev_b32_e32 v44, 16, v44
	v_lshl_add_u64 v[34:35], v[34:35], 0, v[64:65]
	v_pk_add_f32 v[36:37], v[44:45], v[36:37] neg_lo:[0,1] neg_hi:[0,1]
	global_store_short_d16_hi v[34:35], v40, off
	global_store_short_d16_hi v[34:35], v41, off offset:256
	global_store_short_d16_hi v[34:35], v36, off offset:512
	;; [unrolled: 1-line block ×3, first 2 shown]
	v_pk_mul_f32 v[40:41], v[46:47], v[40:41]
	v_pk_mul_f32 v[36:37], v[42:43], v[36:37]
	v_accvgpr_read_b32 v45, a1
	v_perm_b32 v40, v41, v40, s39
	v_perm_b32 v41, v37, v36, s39
	s_waitcnt vmcnt(5)
	v_lshlrev_b32_e32 v37, 16, v118
	s_waitcnt vmcnt(4)
	v_lshlrev_b32_e32 v36, 16, v50
	v_accvgpr_read_b32 v44, a0
	v_accvgpr_read_b32 v39, a3
	;; [unrolled: 1-line block ×3, first 2 shown]
	v_pk_add_f32 v[36:37], v[36:37], v[44:45] neg_lo:[0,1] neg_hi:[0,1]
	v_lshlrev_b32_e32 v45, 16, v59
	v_lshlrev_b32_e32 v44, 16, v60
	v_pk_add_f32 v[38:39], v[44:45], v[38:39] neg_lo:[0,1] neg_hi:[0,1]
	global_store_short_d16_hi v[34:35], v36, off offset:32
	global_store_short_d16_hi v[34:35], v37, off offset:288
	;; [unrolled: 1-line block ×4, first 2 shown]
	v_pk_mul_f32 v[34:35], v[46:47], v[36:37]
	v_pk_mul_f32 v[36:37], v[42:43], v[38:39]
	v_mov_b32_e32 v118, 0
	v_perm_b32 v37, v37, v36, s39
	v_perm_b32 v36, v35, v34, s39
	ds_write2_b64 v86, v[40:41], v[36:37] offset1:16
	v_mov_b32_e32 v34, 0
	v_mov_b32_e32 v35, 0
	;; [unrolled: 1-line block ×16, first 2 shown]
	s_cbranch_vccnz .LBB395_40
; %bb.39:                               ;   in Loop: Header=BB395_32 Depth=1
	s_and_b32 s25, s25, 0xffff
	s_mov_b32 s27, s23
	buffer_load_dwordx4 v[46:49], v104, s[24:27], 0 offen
	buffer_load_dwordx4 v[38:41], v104, s[24:27], s62 offen
	;; [unrolled: 1-line block ×4, first 2 shown]
	v_mov_b32_e32 v117, v80
	v_mov_b32_e32 v118, v79
.LBB395_40:                             ;   in Loop: Header=BB395_32 Depth=1
	s_waitcnt lgkmcnt(0)
	s_barrier
	ds_read_b64 v[54:55], v106
	ds_read_b64 v[124:125], v103
	;; [unrolled: 1-line block ×5, first 2 shown]
	ds_read_b64 v[138:139], v100 offset:3072
	ds_read2_b64 v[50:53], v99 offset0:16 offset1:128
	s_waitcnt lgkmcnt(5)
	v_mfma_f32_16x16x16_bf16 a[0:3], v[54:55], v[124:125], 0
	s_add_i32 s3, s57, s69
	s_mul_hi_i32 s21, s3, s13
	s_mul_i32 s3, s3, s13
	s_waitcnt lgkmcnt(0)
	v_mfma_f32_16x16x16_bf16 a[4:7], v[54:55], v[50:51], 0
	ds_read_b64 v[54:55], v111
	ds_read2st64_b64 v[56:59], v100 offset0:2 offset1:4
	s_add_u32 s20, s3, s50
	s_addc_u32 s21, s21, s54
	s_add_i32 s3, s37, s64
	s_lshl_b64 s[20:21], s[20:21], 15
	s_mul_hi_i32 s25, s3, s13
	s_mul_i32 s3, s3, s13
	s_add_u32 s24, s3, s50
	s_waitcnt lgkmcnt(1)
	v_mfma_f32_16x16x16_bf16 a[8:11], v[54:55], v[124:125], 0
	s_addc_u32 s25, s25, s54
	ds_read2st64_b64 v[120:123], v99 offset0:4 offset1:6
	s_lshl_b64 s[24:25], s[24:25], 9
	v_mfma_f32_16x16x16_bf16 a[0:3], v[126:127], v[52:53], a[0:3]
	s_add_u32 s24, s42, s24
	s_addc_u32 s25, s43, s25
	s_waitcnt lgkmcnt(1)
	v_mfma_f32_16x16x16_bf16 a[4:7], v[126:127], v[56:57], a[4:7]
	ds_read_b64 v[126:127], v112
	ds_read_b64 v[134:135], v113
	;; [unrolled: 1-line block ×3, first 2 shown]
	v_mfma_f32_16x16x16_bf16 a[12:15], v[54:55], v[50:51], 0
	s_waitcnt lgkmcnt(2)
	v_mfma_f32_16x16x16_bf16 a[8:11], v[126:127], v[52:53], a[8:11]
	global_load_dwordx4 v[50:53], v110, s[24:25]
	v_mfma_f32_16x16x16_bf16 a[12:15], v[126:127], v[56:57], a[12:15]
	global_load_dwordx4 v[54:57], v63, s[24:25]
	ds_read2st64_b64 v[124:127], v101 offset1:8
	s_waitcnt lgkmcnt(0)
	v_mov_b32_e32 v132, v124
	v_mfma_f32_16x16x16_bf16 a[0:3], v[128:129], v[120:121], a[0:3]
	v_mov_b32_e32 v133, v125
	v_mfma_f32_16x16x16_bf16 a[4:7], v[128:129], v[58:59], a[4:7]
	ds_read2st64_b64 v[128:131], v102 offset1:8
	v_mfma_f32_16x16x16_bf16 a[8:11], v[134:135], v[120:121], a[8:11]
	v_lshl_add_u64 v[120:121], v[70:71], 0, s[20:21]
	v_mfma_f32_16x16x16_bf16 a[16:19], v[134:135], v[58:59], a[12:15]
	v_add_co_u32_e32 v58, vcc, s35, v120
	s_waitcnt lgkmcnt(0)
	v_mov_b32_e32 v134, v128
	v_mfma_f32_16x16x16_bf16 a[0:3], v[136:137], v[122:123], a[0:3]
	v_mov_b32_e32 v135, v129
	v_mov_b32_e32 v128, v126
	;; [unrolled: 1-line block ×3, first 2 shown]
	v_mfma_f32_16x16x16_bf16 a[4:7], v[136:137], v[138:139], a[4:7]
	v_addc_co_u32_e32 v59, vcc, 0, v121, vcc
	global_store_dwordx4 v[58:59], v[128:131], off
	v_mfma_f32_16x16x16_bf16 a[12:15], v[140:141], v[122:123], a[8:11]
	s_and_b64 vcc, exec, s[0:1]
	global_store_dwordx4 v[120:121], v[132:135], off
	s_waitcnt vmcnt(3)
	v_mov_b32_e32 v60, v53
	v_mfma_f32_16x16x16_bf16 a[8:11], v[140:141], v[138:139], a[16:19]
	v_mov_b32_e32 v59, v52
	v_mov_b32_e32 v58, v51
	s_cbranch_vccnz .LBB395_42
; %bb.41:                               ;   in Loop: Header=BB395_32 Depth=1
	v_lshrrev_b32_e32 v51, 3, v117
	v_and_b32_e32 v51, 6, v51
	v_xor_b32_e32 v52, v51, v118
	v_lshlrev_b32_e32 v52, 2, v52
	v_and_b32_e32 v53, 8, v117
	v_xor_b32_e32 v117, 0x440, v52
	v_cmp_eq_u32_e32 vcc, 0, v53
	v_perm_b32 v53, v38, v34, s65
	s_nop 0
	v_cndmask_b32_e32 v52, v117, v52, vcc
	v_lshl_or_b32 v51, v51, 10, v52
	v_perm_b32 v52, v46, v42, s65
	s_barrier
	ds_write2st64_b32 v51, v52, v53 offset0:32 offset1:64
	v_xor_b32_e32 v52, 8, v51
	v_perm_b32 v42, v46, v42, s66
	v_perm_b32 v34, v38, v34, s66
	v_add_u32_e32 v38, 0x80, v52
	ds_write2st64_b32 v38, v42, v34 offset0:32 offset1:64
	v_xor_b32_e32 v34, 16, v51
	v_perm_b32 v38, v47, v43, s65
	v_perm_b32 v42, v39, v35, s65
	ds_write2st64_b32 v34, v38, v42 offset0:33 offset1:65
	v_xor_b32_e32 v34, 24, v51
	v_perm_b32 v38, v47, v43, s66
	v_perm_b32 v35, v39, v35, s66
	v_add_u32_e32 v34, 0x80, v34
	ds_write2st64_b32 v34, v38, v35 offset0:33 offset1:65
	v_xor_b32_e32 v34, 32, v51
	v_perm_b32 v35, v48, v44, s65
	v_perm_b32 v38, v40, v36, s65
	;; [unrolled: 9-line block ×3, first 2 shown]
	ds_write2st64_b32 v34, v35, v36 offset0:35 offset1:67
	v_xor_b32_e32 v34, 56, v51
	v_perm_b32 v35, v49, v45, s66
	v_perm_b32 v36, v41, v37, s66
	v_add_u32_e32 v34, 0x80, v34
	ds_write2st64_b32 v34, v35, v36 offset0:35 offset1:67
	ds_write_b64 v116, v[30:31] offset:24576
	v_xor_b32_e32 v30, 8, v116
	ds_write_b64 v30, v[32:33] offset:24576
	ds_write_b64 v116, v[26:27] offset:32768
	ds_write_b64 v30, v[28:29] offset:32768
	ds_write_b64 v115, v[22:23] offset:24576
	v_xor_b32_e32 v22, 8, v115
	ds_write_b64 v22, v[24:25] offset:24576
	ds_write_b64 v115, v[18:19] offset:32768
	;; [unrolled: 1-line block ×3, first 2 shown]
.LBB395_42:                             ;   in Loop: Header=BB395_32 Depth=1
	v_exp_f32_e32 v34, s2
	s_waitcnt vmcnt(2)
	v_exp_f32_e32 v36, v54
	v_exp_f32_e32 v37, v55
	;; [unrolled: 1-line block ×4, first 2 shown]
	v_accvgpr_read_b32 v29, a3
	v_accvgpr_read_b32 v27, a1
	;; [unrolled: 1-line block ×4, first 2 shown]
	v_pk_mul_f32 v[36:37], v[34:35], v[36:37] op_sel_hi:[0,1]
	v_accvgpr_read_b32 v28, a2
	v_accvgpr_read_b32 v23, a5
	;; [unrolled: 1-line block ×3, first 2 shown]
	v_pk_fma_f32 v[14:15], v[14:15], v[36:37], v[26:27]
	v_pk_mul_f32 v[26:27], v[34:35], v[38:39] op_sel_hi:[0,1]
	v_pk_fma_f32 v[16:17], v[16:17], v[26:27], v[28:29]
	v_fma_f32 v6, v6, v36, v22
	v_fma_f32 v7, v7, v37, v23
	v_exp_f32_e32 v22, v50
	v_exp_f32_e32 v23, v58
	;; [unrolled: 1-line block ×4, first 2 shown]
	v_accvgpr_read_b32 v24, a6
	v_accvgpr_read_b32 v33, a15
	v_accvgpr_read_b32 v21, a11
	v_accvgpr_read_b32 v32, a14
	v_accvgpr_read_b32 v31, a13
	v_accvgpr_read_b32 v30, a12
	v_accvgpr_read_b32 v20, a10
	v_accvgpr_read_b32 v19, a9
	v_accvgpr_read_b32 v18, a8
	v_fma_f32 v8, v8, v26, v24
	v_fmac_f32_e32 v25, v9, v27
	v_pk_mul_f32 v[22:23], v[34:35], v[22:23] op_sel_hi:[0,1]
	v_pk_mul_f32 v[26:27], v[34:35], v[28:29] op_sel_hi:[0,1]
	s_add_i32 s64, s64, 64
	v_pk_fma_f32 v[10:11], v[10:11], v[22:23], v[30:31]
	v_pk_fma_f32 v[12:13], v[12:13], v[26:27], v[32:33]
	v_fma_f32 v2, v2, v22, v18
	v_fma_f32 v3, v3, v23, v19
	;; [unrolled: 1-line block ×3, first 2 shown]
	s_cmp_eq_u32 s53, s68
	v_fmac_f32_e32 v21, v5, v27
	s_cbranch_scc1 .LBB395_4
; %bb.43:                               ;   in Loop: Header=BB395_32 Depth=1
	s_mov_b32 s69, s68
	v_mov_b32_e32 v9, v25
	v_mov_b32_e32 v5, v21
	s_branch .LBB395_32
.LBB395_44:
                                        ; implicit-def: $vgpr5
                                        ; implicit-def: $vgpr9
                                        ; implicit-def: $vgpr13
                                        ; implicit-def: $vgpr17
	s_cbranch_execz .LBB395_46
; %bb.45:
	s_waitcnt vmcnt(0)
	v_mad_u64_u32 v[2:3], s[0:1], v20, s15, v[18:19]
	v_lshlrev_b32_e32 v20, 1, v2
	s_lshl_b32 s2, s15, 7
	s_and_b32 s1, s5, 0xffff
	s_mov_b32 s3, 0x20000
	s_mov_b32 s0, s4
	v_add_lshl_u32 v21, v2, s15, 1
	s_movk_i32 s13, 0x80
	buffer_load_dwordx4 v[2:5], v20, s[0:3], 0 offen
	buffer_load_dwordx4 v[10:13], v20, s[0:3], s13 offen
	;; [unrolled: 1-line block ×4, first 2 shown]
.LBB395_46:
	v_lshrrev_b32_e32 v30, 2, v61
	s_cbranch_execnz .LBB395_59
.LBB395_47:
	s_and_b64 vcc, exec, s[6:7]
	s_cbranch_vccz .LBB395_57
; %bb.48:
	s_waitcnt vmcnt(0)
	v_lshlrev_b32_e32 v7, 1, v23
	v_cmp_gt_i32_e32 vcc, s27, v7
	v_mov_b32_e32 v6, 0
	v_lshlrev_b32_e32 v14, 9, v23
	v_mov_b32_e32 v2, 0
	v_mov_b32_e32 v3, 0
	;; [unrolled: 1-line block ×4, first 2 shown]
	s_and_saveexec_b64 s[0:1], vcc
	s_cbranch_execz .LBB395_50
; %bb.49:
	v_mov_b32_e32 v15, 0
	v_lshl_add_u64 v[2:3], s[4:5], 0, v[14:15]
	v_lshlrev_b32_e32 v4, 1, v18
	v_mov_b32_e32 v5, v15
	v_lshl_add_u64 v[2:3], v[2:3], 0, v[4:5]
	global_load_dwordx4 v[2:5], v[2:3], off
.LBB395_50:
	s_or_b64 exec, exec, s[0:1]
	v_or_b32_e32 v7, 1, v7
	v_cmp_gt_i32_e64 s[0:1], s27, v7
	v_lshlrev_b32_e32 v20, 8, v7
	v_mov_b32_e32 v7, 0
	v_mov_b32_e32 v8, 0
	;; [unrolled: 1-line block ×3, first 2 shown]
	s_and_saveexec_b64 s[2:3], s[0:1]
	s_cbranch_execz .LBB395_52
; %bb.51:
	v_mov_b32_e32 v21, 0
	v_lshl_add_u64 v[6:7], s[4:5], 0, v[20:21]
	v_lshlrev_b32_e32 v8, 1, v18
	v_mov_b32_e32 v9, v21
	v_lshl_add_u64 v[6:7], v[6:7], 0, v[8:9]
	global_load_dwordx4 v[6:9], v[6:7], off
.LBB395_52:
	s_or_b64 exec, exec, s[2:3]
	v_mov_b32_e32 v17, 0
	v_mov_b32_e32 v10, 0
	;; [unrolled: 1-line block ×5, first 2 shown]
	s_and_saveexec_b64 s[2:3], vcc
	s_cbranch_execz .LBB395_54
; %bb.53:
	v_mov_b32_e32 v15, 0
	v_lshl_add_u64 v[10:11], s[4:5], 0, v[14:15]
	v_lshlrev_b32_e32 v14, 1, v18
	v_lshl_add_u64 v[10:11], v[10:11], 0, v[14:15]
	global_load_dwordx4 v[10:13], v[10:11], off offset:128
.LBB395_54:
	s_or_b64 exec, exec, s[2:3]
	v_mov_b32_e32 v16, 0
	v_mov_b32_e32 v15, 0
	;; [unrolled: 1-line block ×3, first 2 shown]
	s_and_saveexec_b64 s[2:3], s[0:1]
	s_cbranch_execz .LBB395_56
; %bb.55:
	v_mov_b32_e32 v21, 0
	v_lshl_add_u64 v[14:15], s[4:5], 0, v[20:21]
	v_lshlrev_b32_e32 v20, 1, v18
	v_lshl_add_u64 v[14:15], v[14:15], 0, v[20:21]
	global_load_dwordx4 v[14:17], v[14:15], off offset:128
.LBB395_56:
	s_or_b64 exec, exec, s[2:3]
	s_branch .LBB395_59
.LBB395_57:
                                        ; implicit-def: $vgpr5
                                        ; implicit-def: $vgpr9
                                        ; implicit-def: $vgpr13
                                        ; implicit-def: $vgpr17
	s_cbranch_execz .LBB395_59
; %bb.58:
	s_waitcnt vmcnt(0)
	v_lshlrev_b32_e32 v2, 1, v18
	v_lshl_or_b32 v18, v23, 9, v2
	s_and_b32 s5, s5, 0xffff
	s_mov_b32 s7, 0x20000
	s_movk_i32 s6, 0x4000
	s_movk_i32 s0, 0x80
	buffer_load_dwordx4 v[2:5], v18, s[4:7], 0 offen
	buffer_load_dwordx4 v[6:9], v18, s[4:7], 0 offen offset:256
	buffer_load_dwordx4 v[10:13], v18, s[4:7], s0 offen
	buffer_load_dwordx4 v[14:17], v18, s[4:7], s0 offen offset:256
.LBB395_59:
	ds_read_b64 v[20:21], v25 offset:32768
	v_add_u32_e32 v18, 0xb000, v24
	ds_read2_b64 v[32:35], v18 offset1:16
	ds_read_b64 v[40:41], v26 offset:32768
	ds_read_b64 v[26:27], v27 offset:32768
	;; [unrolled: 1-line block ×3, first 2 shown]
	v_and_b32_e32 v18, 6, v0
	v_xor_b32_e32 v23, v23, v18
	v_lshlrev_b32_e32 v23, 2, v23
	v_and_b32_e32 v0, 1, v0
	v_xor_b32_e32 v28, 0x440, v23
	v_cmp_eq_u32_e32 vcc, 0, v0
	s_waitcnt lgkmcnt(3)
	v_mfma_f32_16x16x16_bf16 a[0:3], v[20:21], v[32:33], a[0:3]
	s_mov_b32 s0, 0x1000504
	v_cndmask_b32_e32 v0, v28, v23, vcc
	v_lshl_or_b32 v0, v18, 10, v0
	v_mfma_f32_16x16x16_bf16 a[4:7], v[20:21], v[34:35], a[4:7]
	ds_read2st64_b64 v[32:35], v24 offset0:90 offset1:92
	ds_read2st64_b64 v[36:39], v29 offset0:90 offset1:92
	ds_read_b64 v[20:21], v24 offset:48128
	ds_read_b64 v[24:25], v29 offset:48128
	s_waitcnt vmcnt(0)
	v_perm_b32 v18, v2, v6, s0
	s_waitcnt lgkmcnt(3)
	v_mfma_f32_16x16x16_bf16 a[0:3], v[40:41], v[32:33], a[0:3]
	s_mov_b32 s1, 0x3020706
	v_perm_b32 v2, v2, v6, s1
	v_perm_b32 v6, v10, v14, s1
	s_waitcnt lgkmcnt(2)
	v_mfma_f32_16x16x16_bf16 a[4:7], v[40:41], v[36:37], a[4:7]
	v_mfma_f32_16x16x16_bf16 a[0:3], v[26:27], v[34:35], a[0:3]
	;; [unrolled: 1-line block ×3, first 2 shown]
	s_waitcnt lgkmcnt(1)
	v_mfma_f32_16x16x16_bf16 a[4:7], v[42:43], v[20:21], a[0:3]
	v_perm_b32 v20, v10, v14, s0
	ds_write2st64_b32 v0, v18, v20 offset0:32 offset1:64
	v_xor_b32_e32 v18, 8, v0
	v_add_u32_e32 v10, 0x80, v18
	ds_write2st64_b32 v10, v2, v6 offset0:32 offset1:64
	v_xor_b32_e32 v2, 16, v0
	v_perm_b32 v6, v3, v7, s0
	v_perm_b32 v10, v11, v15, s0
	ds_write2st64_b32 v2, v6, v10 offset0:33 offset1:65
	v_xor_b32_e32 v2, 24, v0
	v_perm_b32 v3, v3, v7, s1
	v_perm_b32 v6, v11, v15, s1
	v_add_u32_e32 v2, 0x80, v2
	ds_write2st64_b32 v2, v3, v6 offset0:33 offset1:65
	v_xor_b32_e32 v2, 32, v0
	v_perm_b32 v3, v4, v8, s0
	v_perm_b32 v6, v12, v16, s0
	s_waitcnt lgkmcnt(4)
	v_mfma_f32_16x16x16_bf16 a[0:3], v[42:43], v[24:25], a[8:11]
	ds_write2st64_b32 v2, v3, v6 offset0:34 offset1:66
	v_xor_b32_e32 v2, 40, v0
	v_perm_b32 v3, v4, v8, s1
	v_perm_b32 v4, v12, v16, s1
	v_add_u32_e32 v2, 0x80, v2
	ds_write2st64_b32 v2, v3, v4 offset0:34 offset1:66
	v_xor_b32_e32 v2, 48, v0
	v_perm_b32 v3, v5, v9, s0
	v_perm_b32 v4, v13, v17, s0
	v_xor_b32_e32 v0, 56, v0
	v_and_or_b32 v21, v30, 12, v1
	ds_write2st64_b32 v2, v3, v4 offset0:35 offset1:67
	v_perm_b32 v2, v5, v9, s1
	v_perm_b32 v3, v13, v17, s1
	v_add_u32_e32 v0, 0x80, v0
	v_cmp_gt_i32_e32 vcc, s27, v21
	v_mov_b32_e32 v16, 0
	v_mov_b32_e32 v18, 0
	ds_write2st64_b32 v0, v2, v3 offset0:35 offset1:67
	s_and_saveexec_b64 s[0:1], vcc
	s_cbranch_execz .LBB395_61
; %bb.60:
	v_add_u32_e32 v0, s26, v21
	v_ashrrev_i32_e32 v1, 31, v0
	v_mul_lo_u32 v2, v1, s30
	v_mul_lo_u32 v3, v0, s31
	v_mad_u64_u32 v[0:1], s[2:3], v0, s30, 0
	v_add3_u32 v1, v1, v3, v2
	v_lshl_add_u64 v[0:1], v[0:1], 2, s[10:11]
	global_load_dword v0, v[0:1], off
	s_waitcnt vmcnt(0)
	v_sub_f32_e32 v0, s12, v0
	v_exp_f32_e32 v18, v0
.LBB395_61:
	s_or_b64 exec, exec, s[0:1]
	v_or_b32_e32 v10, 1, v21
	v_cmp_gt_i32_e64 s[2:3], s27, v10
	s_and_saveexec_b64 s[0:1], s[2:3]
	s_cbranch_execz .LBB395_63
; %bb.62:
	v_add_u32_e32 v0, s26, v10
	v_ashrrev_i32_e32 v1, 31, v0
	v_mul_lo_u32 v2, v1, s30
	v_mul_lo_u32 v3, v0, s31
	v_mad_u64_u32 v[0:1], s[4:5], v0, s30, 0
	v_add3_u32 v1, v1, v3, v2
	v_lshl_add_u64 v[0:1], v[0:1], 2, s[10:11]
	global_load_dword v0, v[0:1], off
	s_waitcnt vmcnt(0)
	v_sub_f32_e32 v0, s12, v0
	v_exp_f32_e32 v16, v0
.LBB395_63:
	s_or_b64 exec, exec, s[0:1]
	v_or_b32_e32 v12, 2, v21
	v_cmp_gt_i32_e64 s[0:1], s27, v12
	v_mov_b32_e32 v17, 0
	v_mov_b32_e32 v20, 0
	s_and_saveexec_b64 s[4:5], s[0:1]
	s_cbranch_execz .LBB395_65
; %bb.64:
	v_add_u32_e32 v0, s26, v12
	v_ashrrev_i32_e32 v1, 31, v0
	v_mul_lo_u32 v2, v1, s30
	v_mul_lo_u32 v3, v0, s31
	v_mad_u64_u32 v[0:1], s[6:7], v0, s30, 0
	v_add3_u32 v1, v1, v3, v2
	v_lshl_add_u64 v[0:1], v[0:1], 2, s[10:11]
	global_load_dword v0, v[0:1], off
	s_waitcnt vmcnt(0)
	v_sub_f32_e32 v0, s12, v0
	v_exp_f32_e32 v20, v0
.LBB395_65:
	s_or_b64 exec, exec, s[4:5]
	v_or_b32_e32 v14, 3, v21
	v_cmp_gt_i32_e64 s[4:5], s27, v14
	s_and_saveexec_b64 s[6:7], s[4:5]
	s_cbranch_execz .LBB395_67
; %bb.66:
	v_add_u32_e32 v0, s26, v14
	v_ashrrev_i32_e32 v1, 31, v0
	v_mul_lo_u32 v2, v1, s30
	v_mul_lo_u32 v3, v0, s31
	v_mad_u64_u32 v[0:1], s[14:15], v0, s30, 0
	v_add3_u32 v1, v1, v3, v2
	v_lshl_add_u64 v[0:1], v[0:1], 2, s[10:11]
	global_load_dword v0, v[0:1], off
	s_waitcnt vmcnt(0)
	v_sub_f32_e32 v0, s12, v0
	v_exp_f32_e32 v17, v0
.LBB395_67:
	s_or_b64 exec, exec, s[6:7]
	s_add_u32 s6, s8, s20
	s_addc_u32 s7, s9, s21
	s_add_u32 s8, s28, s20
	v_ashrrev_i32_e32 v63, 31, v62
	v_accvgpr_read_b32 v0, a4
	s_addc_u32 s9, s29, s21
	v_lshlrev_b64 v[4:5], 1, v[62:63]
	v_accvgpr_read_b32 v1, a5
	v_accvgpr_read_b32 v2, a6
	;; [unrolled: 1-line block ×3, first 2 shown]
	v_lshl_add_u64 v[6:7], s[6:7], 0, v[4:5]
	v_lshl_add_u64 v[4:5], s[8:9], 0, v[4:5]
	v_mov_b32_e32 v11, 0
	v_lshlrev_b32_e32 v8, 8, v21
	v_mov_b32_e32 v9, 0
	s_and_saveexec_b64 s[6:7], vcc
	s_cbranch_execz .LBB395_69
; %bb.68:
	v_mov_b32_e32 v9, 0
	v_lshl_add_u64 v[24:25], v[6:7], 0, v[8:9]
	global_load_ushort v13, v[24:25], off
	v_lshl_add_u64 v[24:25], v[4:5], 0, v[8:9]
	s_waitcnt vmcnt(0)
	v_lshlrev_b32_e32 v9, 16, v13
	v_sub_f32_e32 v0, v9, v0
	global_store_short_d16_hi v[24:25], v0, off
	v_mul_f32_e32 v0, v18, v0
	v_lshrrev_b32_e32 v9, 16, v0
.LBB395_69:
	s_or_b64 exec, exec, s[6:7]
	v_lshlrev_b32_e32 v10, 8, v10
	s_and_saveexec_b64 s[6:7], s[2:3]
	s_cbranch_execz .LBB395_71
; %bb.70:
	v_mov_b32_e32 v11, 0
	v_lshl_add_u64 v[24:25], v[6:7], 0, v[10:11]
	global_load_ushort v0, v[24:25], off
	v_lshl_add_u64 v[24:25], v[4:5], 0, v[10:11]
	s_waitcnt vmcnt(0)
	v_lshlrev_b32_e32 v0, 16, v0
	v_sub_f32_e32 v0, v0, v1
	global_store_short_d16_hi v[24:25], v0, off
	v_mul_f32_e32 v0, v16, v0
	v_lshrrev_b32_e32 v11, 16, v0
.LBB395_71:
	s_or_b64 exec, exec, s[6:7]
	v_mov_b32_e32 v15, 0
	v_lshlrev_b32_e32 v12, 8, v12
	v_mov_b32_e32 v13, 0
	s_and_saveexec_b64 s[6:7], s[0:1]
	s_cbranch_execz .LBB395_73
; %bb.72:
	v_mov_b32_e32 v13, 0
	v_lshl_add_u64 v[0:1], v[6:7], 0, v[12:13]
	global_load_ushort v23, v[0:1], off
	v_lshl_add_u64 v[0:1], v[4:5], 0, v[12:13]
	s_waitcnt vmcnt(0)
	v_lshlrev_b32_e32 v13, 16, v23
	v_sub_f32_e32 v2, v13, v2
	global_store_short_d16_hi v[0:1], v2, off
	v_mul_f32_e32 v0, v20, v2
	v_lshrrev_b32_e32 v13, 16, v0
.LBB395_73:
	s_or_b64 exec, exec, s[6:7]
	v_lshlrev_b32_e32 v14, 8, v14
	s_and_saveexec_b64 s[6:7], s[4:5]
	s_cbranch_execz .LBB395_75
; %bb.74:
	v_mov_b32_e32 v15, 0
	v_lshl_add_u64 v[0:1], v[6:7], 0, v[14:15]
	global_load_ushort v2, v[0:1], off
	v_lshl_add_u64 v[0:1], v[4:5], 0, v[14:15]
	s_waitcnt vmcnt(0)
	v_lshlrev_b32_e32 v2, 16, v2
	v_sub_f32_e32 v2, v2, v3
	global_store_short_d16_hi v[0:1], v2, off
	v_mul_f32_e32 v0, v17, v2
	v_lshrrev_b32_e32 v15, 16, v0
.LBB395_75:
	s_or_b64 exec, exec, s[6:7]
	v_lshlrev_b32_e32 v21, 5, v21
	s_mov_b32 s6, 0x5040100
	v_perm_b32 v24, v11, v9, s6
	v_or_b32_e32 v9, v21, v22
	v_accvgpr_read_b32 v0, a0
	v_perm_b32 v25, v15, v13, s6
	v_lshlrev_b32_e32 v9, 1, v9
	v_accvgpr_read_b32 v1, a1
	v_accvgpr_read_b32 v2, a2
	;; [unrolled: 1-line block ×3, first 2 shown]
	ds_write_b64 v9, v[24:25] offset:45056
	v_mov_b32_e32 v11, 0
	v_mov_b32_e32 v9, 0
	s_and_saveexec_b64 s[6:7], vcc
	s_cbranch_execz .LBB395_77
; %bb.76:
	v_mov_b32_e32 v9, 0
	v_lshl_add_u64 v[22:23], v[6:7], 0, v[8:9]
	global_load_ushort v13, v[22:23], off offset:32
	v_lshl_add_u64 v[8:9], v[4:5], 0, v[8:9]
	s_waitcnt vmcnt(0)
	v_lshlrev_b32_e32 v13, 16, v13
	v_sub_f32_e32 v0, v13, v0
	global_store_short_d16_hi v[8:9], v0, off offset:32
	v_mul_f32_e32 v0, v18, v0
	v_lshrrev_b32_e32 v9, 16, v0
.LBB395_77:
	s_or_b64 exec, exec, s[6:7]
	s_and_saveexec_b64 s[6:7], s[2:3]
	s_cbranch_execz .LBB395_79
; %bb.78:
	v_mov_b32_e32 v11, 0
	v_lshl_add_u64 v[22:23], v[6:7], 0, v[10:11]
	global_load_ushort v0, v[22:23], off offset:32
	v_lshl_add_u64 v[10:11], v[4:5], 0, v[10:11]
	s_waitcnt vmcnt(0)
	v_lshlrev_b32_e32 v0, 16, v0
	v_sub_f32_e32 v0, v0, v1
	global_store_short_d16_hi v[10:11], v0, off offset:32
	v_mul_f32_e32 v0, v16, v0
	v_lshrrev_b32_e32 v11, 16, v0
.LBB395_79:
	s_or_b64 exec, exec, s[6:7]
	v_mov_b32_e32 v0, 0
	v_mov_b32_e32 v1, 0
	s_and_saveexec_b64 s[2:3], s[0:1]
	s_cbranch_execz .LBB395_81
; %bb.80:
	v_mov_b32_e32 v13, 0
	v_lshl_add_u64 v[22:23], v[6:7], 0, v[12:13]
	global_load_ushort v1, v[22:23], off offset:32
	v_lshl_add_u64 v[12:13], v[4:5], 0, v[12:13]
	s_waitcnt vmcnt(0)
	v_lshlrev_b32_e32 v1, 16, v1
	v_sub_f32_e32 v1, v1, v2
	global_store_short_d16_hi v[12:13], v1, off offset:32
	v_mul_f32_e32 v1, v20, v1
	v_lshrrev_b32_e32 v1, 16, v1
.LBB395_81:
	s_or_b64 exec, exec, s[2:3]
	s_and_saveexec_b64 s[0:1], s[4:5]
	s_cbranch_execz .LBB395_83
; %bb.82:
	v_mov_b32_e32 v15, 0
	v_lshl_add_u64 v[6:7], v[6:7], 0, v[14:15]
	global_load_ushort v0, v[6:7], off offset:32
	v_lshl_add_u64 v[4:5], v[4:5], 0, v[14:15]
	s_waitcnt vmcnt(0)
	v_lshlrev_b32_e32 v0, 16, v0
	v_sub_f32_e32 v0, v0, v3
	global_store_short_d16_hi v[4:5], v0, off offset:32
	v_mul_f32_e32 v0, v17, v0
	v_lshrrev_b32_e32 v0, 16, v0
.LBB395_83:
	s_or_b64 exec, exec, s[0:1]
	s_mov_b32 s0, 0x5040100
	v_or_b32_e32 v2, v21, v19
	v_perm_b32 v1, v0, v1, s0
	v_perm_b32 v0, v11, v9, s0
	v_lshlrev_b32_e32 v2, 1, v2
	ds_write_b64 v2, v[0:1] offset:45056
	s_waitcnt lgkmcnt(0)
	s_barrier
.LBB395_84:
	s_endpgm
	.section	.rodata,"a",@progbits
	.p2align	6, 0x0
	.amdhsa_kernel _ZN12_GLOBAL__N_139chunk_gated_delta_rule_fwd_h_hip_kernelILi32ELb1ELb0ELb1ELb0ELb1ELb1ELb1ELb0EEEvPK12hip_bfloat16S3_S3_PKfS5_PKvPS1_S8_PvPKiSB_iiiiilll
		.amdhsa_group_segment_fixed_size 49152
		.amdhsa_private_segment_fixed_size 0
		.amdhsa_kernarg_size 136
		.amdhsa_user_sgpr_count 2
		.amdhsa_user_sgpr_dispatch_ptr 0
		.amdhsa_user_sgpr_queue_ptr 0
		.amdhsa_user_sgpr_kernarg_segment_ptr 1
		.amdhsa_user_sgpr_dispatch_id 0
		.amdhsa_user_sgpr_kernarg_preload_length 0
		.amdhsa_user_sgpr_kernarg_preload_offset 0
		.amdhsa_user_sgpr_private_segment_size 0
		.amdhsa_uses_dynamic_stack 0
		.amdhsa_enable_private_segment 0
		.amdhsa_system_sgpr_workgroup_id_x 1
		.amdhsa_system_sgpr_workgroup_id_y 1
		.amdhsa_system_sgpr_workgroup_id_z 0
		.amdhsa_system_sgpr_workgroup_info 0
		.amdhsa_system_vgpr_workitem_id 0
		.amdhsa_next_free_vgpr 164
		.amdhsa_next_free_sgpr 70
		.amdhsa_accum_offset 144
		.amdhsa_reserve_vcc 1
		.amdhsa_float_round_mode_32 0
		.amdhsa_float_round_mode_16_64 0
		.amdhsa_float_denorm_mode_32 3
		.amdhsa_float_denorm_mode_16_64 3
		.amdhsa_dx10_clamp 1
		.amdhsa_ieee_mode 1
		.amdhsa_fp16_overflow 0
		.amdhsa_tg_split 0
		.amdhsa_exception_fp_ieee_invalid_op 0
		.amdhsa_exception_fp_denorm_src 0
		.amdhsa_exception_fp_ieee_div_zero 0
		.amdhsa_exception_fp_ieee_overflow 0
		.amdhsa_exception_fp_ieee_underflow 0
		.amdhsa_exception_fp_ieee_inexact 0
		.amdhsa_exception_int_div_zero 0
	.end_amdhsa_kernel
	.section	.text._ZN12_GLOBAL__N_139chunk_gated_delta_rule_fwd_h_hip_kernelILi32ELb1ELb0ELb1ELb0ELb1ELb1ELb1ELb0EEEvPK12hip_bfloat16S3_S3_PKfS5_PKvPS1_S8_PvPKiSB_iiiiilll,"axG",@progbits,_ZN12_GLOBAL__N_139chunk_gated_delta_rule_fwd_h_hip_kernelILi32ELb1ELb0ELb1ELb0ELb1ELb1ELb1ELb0EEEvPK12hip_bfloat16S3_S3_PKfS5_PKvPS1_S8_PvPKiSB_iiiiilll,comdat
.Lfunc_end395:
	.size	_ZN12_GLOBAL__N_139chunk_gated_delta_rule_fwd_h_hip_kernelILi32ELb1ELb0ELb1ELb0ELb1ELb1ELb1ELb0EEEvPK12hip_bfloat16S3_S3_PKfS5_PKvPS1_S8_PvPKiSB_iiiiilll, .Lfunc_end395-_ZN12_GLOBAL__N_139chunk_gated_delta_rule_fwd_h_hip_kernelILi32ELb1ELb0ELb1ELb0ELb1ELb1ELb1ELb0EEEvPK12hip_bfloat16S3_S3_PKfS5_PKvPS1_S8_PvPKiSB_iiiiilll
                                        ; -- End function
	.section	.AMDGPU.csdata,"",@progbits
; Kernel info:
; codeLenInByte = 8800
; NumSgprs: 76
; NumVgprs: 142
; NumAgprs: 20
; TotalNumVgprs: 164
; ScratchSize: 0
; MemoryBound: 0
; FloatMode: 240
; IeeeMode: 1
; LDSByteSize: 49152 bytes/workgroup (compile time only)
; SGPRBlocks: 9
; VGPRBlocks: 20
; NumSGPRsForWavesPerEU: 76
; NumVGPRsForWavesPerEU: 164
; AccumOffset: 144
; Occupancy: 1
; WaveLimiterHint : 1
; COMPUTE_PGM_RSRC2:SCRATCH_EN: 0
; COMPUTE_PGM_RSRC2:USER_SGPR: 2
; COMPUTE_PGM_RSRC2:TRAP_HANDLER: 0
; COMPUTE_PGM_RSRC2:TGID_X_EN: 1
; COMPUTE_PGM_RSRC2:TGID_Y_EN: 1
; COMPUTE_PGM_RSRC2:TGID_Z_EN: 0
; COMPUTE_PGM_RSRC2:TIDIG_COMP_CNT: 0
; COMPUTE_PGM_RSRC3_GFX90A:ACCUM_OFFSET: 35
; COMPUTE_PGM_RSRC3_GFX90A:TG_SPLIT: 0
	.section	.text._ZN12_GLOBAL__N_139chunk_gated_delta_rule_fwd_h_hip_kernelILi32ELb1ELb0ELb0ELb0ELb1ELb1ELb1ELb0EEEvPK12hip_bfloat16S3_S3_PKfS5_PKvPS1_S8_PvPKiSB_iiiiilll,"axG",@progbits,_ZN12_GLOBAL__N_139chunk_gated_delta_rule_fwd_h_hip_kernelILi32ELb1ELb0ELb0ELb0ELb1ELb1ELb1ELb0EEEvPK12hip_bfloat16S3_S3_PKfS5_PKvPS1_S8_PvPKiSB_iiiiilll,comdat
	.globl	_ZN12_GLOBAL__N_139chunk_gated_delta_rule_fwd_h_hip_kernelILi32ELb1ELb0ELb0ELb0ELb1ELb1ELb1ELb0EEEvPK12hip_bfloat16S3_S3_PKfS5_PKvPS1_S8_PvPKiSB_iiiiilll ; -- Begin function _ZN12_GLOBAL__N_139chunk_gated_delta_rule_fwd_h_hip_kernelILi32ELb1ELb0ELb0ELb0ELb1ELb1ELb1ELb0EEEvPK12hip_bfloat16S3_S3_PKfS5_PKvPS1_S8_PvPKiSB_iiiiilll
	.p2align	8
	.type	_ZN12_GLOBAL__N_139chunk_gated_delta_rule_fwd_h_hip_kernelILi32ELb1ELb0ELb0ELb0ELb1ELb1ELb1ELb0EEEvPK12hip_bfloat16S3_S3_PKfS5_PKvPS1_S8_PvPKiSB_iiiiilll,@function
_ZN12_GLOBAL__N_139chunk_gated_delta_rule_fwd_h_hip_kernelILi32ELb1ELb0ELb0ELb0ELb1ELb1ELb1ELb0EEEvPK12hip_bfloat16S3_S3_PKfS5_PKvPS1_S8_PvPKiSB_iiiiilll: ; @_ZN12_GLOBAL__N_139chunk_gated_delta_rule_fwd_h_hip_kernelILi32ELb1ELb0ELb0ELb0ELb1ELb1ELb1ELb0EEEvPK12hip_bfloat16S3_S3_PKfS5_PKvPS1_S8_PvPKiSB_iiiiilll
; %bb.0:
	s_load_dwordx4 s[12:15], s[0:1], 0x5c
	s_load_dwordx4 s[16:19], s[0:1], 0x28
	s_abs_i32 s6, s3
	s_ashr_i32 s5, s3, 31
	v_and_b32_e32 v72, 15, v0
	s_waitcnt lgkmcnt(0)
	s_abs_i32 s4, s13
	v_cvt_f32_u32_e32 v1, s4
	s_sub_i32 s8, 0, s4
	s_ashr_i32 s7, s13, 31
	s_xor_b32 s5, s5, s7
	v_rcp_iflag_f32_e32 v1, v1
	v_lshrrev_b32_e32 v70, 6, v0
	v_bfe_u32 v71, v0, 4, 2
	v_mov_b32_e32 v7, 0
	v_mul_f32_e32 v1, 0x4f7ffffe, v1
	v_cvt_u32_f32_e32 v1, v1
	v_and_b32_e32 v61, 63, v0
	v_lshrrev_b32_e32 v74, 3, v61
	v_lshlrev_b32_e32 v73, 3, v0
	v_readfirstlane_b32 s9, v1
	s_mul_i32 s8, s8, s9
	s_mul_hi_u32 s8, s9, s8
	s_add_i32 s9, s9, s8
	s_mul_hi_u32 s8, s6, s9
	s_mul_i32 s9, s8, s4
	s_sub_i32 s6, s6, s9
	s_add_i32 s10, s8, 1
	s_sub_i32 s9, s6, s4
	s_cmp_ge_u32 s6, s4
	s_cselect_b32 s8, s10, s8
	s_cselect_b32 s6, s9, s6
	s_add_i32 s9, s8, 1
	s_cmp_ge_u32 s6, s4
	s_cselect_b32 s6, s9, s8
	s_xor_b32 s6, s6, s5
	s_sub_i32 s50, s6, s5
	s_mul_i32 s6, s50, s13
	s_sub_i32 s48, s3, s6
	s_abs_i32 s3, s14
	v_cvt_f32_u32_e32 v1, s3
	s_add_i32 s8, s12, 63
	s_ashr_i32 s9, s8, 31
	s_lshr_b32 s5, s9, 26
	v_rcp_iflag_f32_e32 v1, v1
	s_ashr_i32 s49, s12, 31
	s_add_i32 s8, s8, s5
	s_lshr_b32 s5, s49, 26
	v_mul_f32_e32 v1, 0x4f7ffffe, v1
	v_cvt_u32_f32_e32 v1, v1
	s_add_i32 s5, s12, s5
	s_ashr_i32 s53, s14, 31
	s_ashr_i32 s51, s5, 6
	s_lshl_b32 s36, s2, 5
	s_xor_b32 s2, s7, s53
	s_sub_i32 s5, 0, s3
	v_readfirstlane_b32 s7, v1
	s_mul_i32 s5, s5, s7
	s_mul_hi_u32 s5, s7, s5
	s_add_i32 s7, s7, s5
	s_mul_hi_u32 s5, s4, s7
	s_mul_i32 s7, s5, s3
	s_sub_i32 s4, s4, s7
	s_ashr_i32 s25, s8, 6
	s_add_i32 s7, s5, 1
	s_sub_i32 s8, s4, s3
	s_cmp_ge_u32 s4, s3
	s_cselect_b32 s5, s7, s5
	s_cselect_b32 s4, s8, s4
	s_add_i32 s7, s5, 1
	s_cmp_ge_u32 s4, s3
	s_cselect_b32 s3, s7, s5
	s_xor_b32 s3, s3, s2
	s_sub_i32 s2, s3, s2
	s_abs_i32 s3, s2
	v_cvt_f32_u32_e32 v1, s3
	s_sub_i32 s5, 0, s3
	s_abs_i32 s4, s48
	s_xor_b32 s2, s48, s2
	v_rcp_iflag_f32_e32 v1, v1
	s_ashr_i32 s2, s2, 31
	v_or_b32_e32 v62, s36, v72
	v_lshlrev_b32_e32 v2, 7, v62
	v_mul_f32_e32 v1, 0x4f7ffffe, v1
	v_cvt_u32_f32_e32 v1, v1
	v_ashrrev_i32_e32 v3, 31, v2
	s_mul_i32 s55, s50, s25
	v_readfirstlane_b32 s7, v1
	s_mul_i32 s5, s5, s7
	s_mul_hi_u32 s5, s7, s5
	s_add_i32 s7, s7, s5
	s_mul_hi_u32 s5, s4, s7
	s_mul_i32 s7, s5, s3
	s_sub_i32 s4, s4, s7
	s_add_i32 s7, s5, 1
	s_sub_i32 s8, s4, s3
	s_cmp_ge_u32 s4, s3
	s_cselect_b32 s5, s7, s5
	s_cselect_b32 s4, s8, s4
	s_add_i32 s7, s5, 1
	s_cmp_ge_u32 s4, s3
	s_cselect_b32 s3, s7, s5
	s_xor_b32 s3, s3, s2
	s_sub_i32 s54, s3, s2
	s_ashr_i32 s24, s50, 31
	s_ashr_i32 s52, s48, 31
	s_mul_hi_i32 s2, s50, s13
	s_add_u32 s38, s6, s48
	s_addc_u32 s39, s2, s52
	s_lshl_b64 s[2:3], s[38:39], 16
	s_add_u32 s2, s16, s2
	s_addc_u32 s3, s17, s3
	v_lshlrev_b32_e32 v1, 4, v70
	v_lshl_add_u64 v[4:5], v[2:3], 2, s[2:3]
	v_or_b32_e32 v2, 0x800, v2
	v_lshl_or_b32 v75, v71, 2, v1
	v_ashrrev_i32_e32 v3, 31, v2
	v_lshlrev_b32_e32 v6, 2, v75
	v_lshl_add_u64 v[2:3], v[2:3], 2, s[2:3]
	v_lshl_add_u64 v[4:5], v[4:5], 0, v[6:7]
	;; [unrolled: 1-line block ×3, first 2 shown]
	global_load_dwordx4 v[14:17], v[4:5], off
	global_load_dwordx4 v[10:13], v[4:5], off offset:256
	global_load_dwordx4 v[6:9], v[18:19], off
	s_nop 0
	global_load_dwordx4 v[2:5], v[18:19], off offset:256
	s_load_dwordx8 s[4:11], s[0:1], 0x0
	s_load_dwordx2 s[28:29], s[0:1], 0x80
	s_load_dwordx4 s[20:23], s[0:1], 0x70
	v_or_b32_e32 v76, 64, v75
	s_cmp_lt_i32 s12, 64
	s_mul_i32 s56, s39, s12
	s_mul_hi_u32 s57, s38, s12
	s_mul_i32 s16, s38, s12
	s_waitcnt lgkmcnt(0)
	s_mul_i32 s33, s50, s21
	s_mul_hi_u32 s44, s50, s20
	s_mul_i32 s45, s24, s20
	s_mul_i32 s30, s50, s20
	;; [unrolled: 1-line block ×3, first 2 shown]
	s_mul_hi_u32 s46, s48, s22
	s_mul_i32 s47, s52, s22
	s_mul_i32 s34, s48, s22
	s_cbranch_scc1 .LBB396_3
; %bb.1:
	s_add_i32 s17, s57, s56
	s_lshl_b64 s[2:3], s[16:17], 8
	v_and_b32_e32 v78, 56, v73
	s_add_u32 s20, s6, s2
	v_lshl_or_b32 v77, v70, 3, v74
	v_lshlrev_b32_e32 v18, 1, v78
	s_addc_u32 s2, s7, s3
	v_lshl_or_b32 v79, v77, 8, v18
	s_and_b32 s21, s2, 0xffff
	s_mov_b32 s23, 0x20000
	s_movk_i32 s22, 0x4000
	s_movk_i32 s2, 0x80
	v_or_b32_e32 v80, 0x2000, v79
	buffer_load_dwordx4 v[20:23], v79, s[20:23], 0 offen
	buffer_load_dwordx4 v[24:27], v79, s[20:23], s2 offen
	;; [unrolled: 1-line block ×4, first 2 shown]
	v_lshlrev_b32_e32 v19, 3, v77
	v_and_or_b32 v37, v0, 7, v19
	v_and_b32_e32 v19, 0x78, v19
	v_lshlrev_b32_e32 v37, 4, v37
	v_xor_b32_e32 v81, v37, v19
	v_mul_lo_u32 v36, v77, s15
	v_or_b32_e32 v82, 0x1000, v81
	v_xor_b32_e32 v19, 8, v81
	s_cmpk_eq_i32 s15, 0x80
	s_mov_b32 s58, s14
	v_xor_b32_e32 v37, 8, v82
	s_cselect_b64 s[2:3], -1, 0
	s_cmpk_lg_i32 s15, 0x80
	s_waitcnt vmcnt(3)
	ds_write_b64 v81, v[20:21] offset:24576
	ds_write_b64 v19, v[22:23] offset:24576
	s_waitcnt vmcnt(2)
	ds_write_b64 v81, v[24:25] offset:32768
	ds_write_b64 v19, v[26:27] offset:32768
	;; [unrolled: 3-line block ×4, first 2 shown]
	v_lshl_add_u32 v19, v36, 1, v78
	s_cbranch_scc0 .LBB396_29
; %bb.2:
	v_lshlrev_b32_e32 v21, 1, v19
	v_add_lshl_u32 v20, v19, s15, 1
	s_lshl_b32 s22, s15, 7
	s_load_dwordx2 s[40:41], s[0:1], 0x20
	v_lshl_or_b32 v18, v77, 9, v18
	s_cbranch_execz .LBB396_30
	s_branch .LBB396_31
.LBB396_3:
	s_waitcnt vmcnt(0)
	v_mov_b32_e32 v21, v5
	v_mov_b32_e32 v25, v9
.LBB396_4:
	s_lshl_b32 s26, s51, 6
	s_sub_i32 s27, s12, s26
	s_cmp_gt_i32 s27, 0
	s_cbranch_scc0 .LBB396_84
; %bb.5:
	s_ashr_i32 s2, s26, 31
	s_cmpk_lg_i32 s15, 0x80
	s_cselect_b64 s[22:23], -1, 0
	s_and_b64 vcc, exec, s[22:23]
	s_cbranch_vccz .LBB396_7
; %bb.6:
	s_mul_i32 s1, s50, s12
	s_mul_hi_i32 s0, s50, s12
	s_add_u32 s1, s1, s26
	s_addc_u32 s0, s0, s2
	s_mul_i32 s3, s1, s53
	s_mul_hi_u32 s17, s1, s14
	s_add_i32 s3, s17, s3
	s_mul_i32 s0, s0, s14
	s_add_i32 s3, s3, s0
	s_mul_i32 s1, s1, s14
	s_ashr_i32 s0, s54, 31
	s_add_u32 s24, s1, s54
	s_addc_u32 s25, s3, s0
	s_cbranch_execz .LBB396_8
	s_branch .LBB396_9
.LBB396_7:
                                        ; implicit-def: $sgpr24_sgpr25
.LBB396_8:
	s_mul_hi_i32 s0, s50, s14
	s_mul_i32 s50, s50, s14
	s_ashr_i32 s1, s54, 31
	s_add_u32 s3, s50, s54
	s_addc_u32 s0, s0, s1
	s_mul_i32 s1, s3, s49
	s_mul_hi_u32 s14, s3, s12
	s_add_i32 s1, s14, s1
	s_mul_i32 s0, s0, s12
	s_add_i32 s1, s1, s0
	s_mul_i32 s3, s3, s12
	s_add_u32 s24, s3, s26
	s_addc_u32 s25, s1, s2
.LBB396_9:
	s_mul_i32 s0, s38, s49
	s_add_i32 s0, s57, s0
	s_add_i32 s3, s55, s51
	;; [unrolled: 1-line block ×3, first 2 shown]
	s_add_u32 s0, s16, s26
	s_addc_u32 s1, s1, s2
	v_lshlrev_b32_e32 v18, 5, v75
	v_lshlrev_b32_e32 v22, 2, v72
	s_mov_b32 s2, 0x7060302
	v_perm_b32 v13, v13, v12, s2
	v_perm_b32 v12, v11, v10, s2
	v_or_b32_e32 v10, v18, v22
	v_xor_b32_e32 v5, v75, v22
	v_perm_b32 v17, v17, v16, s2
	v_perm_b32 v16, v15, v14, s2
	v_lshlrev_b32_e32 v10, 1, v10
	ds_write2st64_b64 v10, v[16:17], v[12:13] offset0:80 offset1:88
	v_lshlrev_b32_e32 v10, 1, v5
	v_lshlrev_b32_e32 v5, 8, v72
	s_lshl_b64 s[20:21], s[0:1], 8
	v_xor_b32_e32 v9, v76, v22
	v_or_b32_e32 v11, v10, v5
	s_add_u32 s0, s6, s20
	ds_write_b64 v11, v[16:17]
	v_lshlrev_b32_e32 v11, 1, v9
	s_addc_u32 s1, s7, s21
	v_or_b32_e32 v5, v11, v5
	s_mul_hi_i32 s6, s3, s13
	s_mul_i32 s3, s3, s13
	ds_write_b64 v5, v[12:13]
	v_perm_b32 v9, v25, v8, s2
	v_perm_b32 v8, v7, v6, s2
	v_perm_b32 v5, v21, v4, s2
	v_perm_b32 v4, v3, v2, s2
	s_add_u32 s2, s3, s48
	v_or_b32_e32 v2, 16, v72
	s_addc_u32 s3, s6, s52
	v_lshlrev_b32_e32 v19, 2, v2
	s_ashr_i32 s37, s36, 31
	s_lshl_b64 s[2:3], s[2:3], 15
	v_or_b32_e32 v3, v18, v19
	s_add_u32 s6, s18, s2
	v_lshlrev_b32_e32 v3, 1, v3
	v_lshlrev_b32_e32 v2, 8, v2
	s_addc_u32 s7, s19, s3
	s_lshl_b64 s[2:3], s[36:37], 8
	ds_write2st64_b64 v3, v[8:9], v[4:5] offset0:80 offset1:88
	v_or_b32_e32 v3, v10, v2
	v_or_b32_e32 v2, v11, v2
	s_add_u32 s2, s6, s2
	ds_write_b64 v3, v[8:9]
	ds_write_b64 v2, v[4:5]
	v_lshrrev_b32_e32 v2, 4, v0
	s_addc_u32 s3, s7, s3
	v_lshlrev_b32_e32 v3, 1, v72
	v_lshlrev_b32_e32 v10, 4, v72
	v_mov_b32_e32 v11, 0
	v_or_b32_e32 v4, 1, v3
	v_xor_b32_e32 v3, v2, v3
	v_lshl_add_u64 v[12:13], s[2:3], 0, v[10:11]
	v_lshlrev_b32_e32 v10, 8, v2
	v_xor_b32_e32 v6, v4, v2
	v_lshl_or_b32 v2, v3, 3, v10
	s_waitcnt lgkmcnt(0)
	s_barrier
	ds_read2st64_b64 v[2:5], v2 offset1:8
	v_lshl_or_b32 v6, v6, 3, v10
	ds_read2st64_b64 v[6:9], v6 offset1:8
	v_lshl_add_u64 v[14:15], v[12:13], 0, v[10:11]
	s_movk_i32 s2, 0x1000
	s_waitcnt lgkmcnt(1)
	v_mov_b32_e32 v10, v2
	v_add_co_u32_e32 v2, vcc, s2, v14
	s_cmp_lg_u32 s27, 64
	v_mov_b32_e32 v11, v3
	v_addc_co_u32_e32 v3, vcc, 0, v15, vcc
	s_cselect_b64 s[6:7], -1, 0
	v_lshl_or_b32 v23, v70, 3, v74
	s_waitcnt lgkmcnt(0)
	v_mov_b32_e32 v12, v6
	v_mov_b32_e32 v13, v7
	;; [unrolled: 1-line block ×4, first 2 shown]
	s_mov_b32 s16, 0
	v_or_b32_e32 v20, 32, v23
	v_and_b32_e32 v18, 56, v73
	s_and_b64 vcc, exec, s[6:7]
	global_store_dwordx4 v[14:15], v[10:13], off
	global_store_dwordx4 v[2:3], v[6:9], off
	s_cbranch_vccz .LBB396_15
; %bb.10:
	s_mov_b32 s17, s16
	s_mov_b32 s18, s16
	;; [unrolled: 1-line block ×3, first 2 shown]
	v_mov_b64_e32 v[6:7], s[16:17]
	v_mov_b64_e32 v[8:9], s[18:19]
	;; [unrolled: 1-line block ×3, first 2 shown]
	v_cmp_gt_i32_e32 vcc, s27, v23
	v_mov_b64_e32 v[4:5], v[8:9]
	s_and_saveexec_b64 s[2:3], vcc
	s_cbranch_execz .LBB396_12
; %bb.11:
	v_lshlrev_b32_e32 v2, 8, v23
	v_mov_b32_e32 v3, 0
	v_lshl_add_u64 v[4:5], s[0:1], 0, v[2:3]
	v_lshlrev_b32_e32 v2, 1, v18
	v_lshl_add_u64 v[10:11], v[4:5], 0, v[2:3]
	global_load_dwordx4 v[6:9], v[10:11], off
	global_load_dwordx4 v[2:5], v[10:11], off offset:128
.LBB396_12:
	s_or_b64 exec, exec, s[2:3]
	s_mov_b32 s17, s16
	s_mov_b32 s18, s16
	;; [unrolled: 1-line block ×3, first 2 shown]
	v_mov_b64_e32 v[14:15], s[16:17]
	v_mov_b64_e32 v[16:17], s[18:19]
	;; [unrolled: 1-line block ×3, first 2 shown]
	v_cmp_gt_i32_e32 vcc, s27, v20
	v_lshlrev_b32_e32 v21, 7, v20
	v_mov_b64_e32 v[12:13], v[16:17]
	s_and_saveexec_b64 s[2:3], vcc
	s_cbranch_execz .LBB396_14
; %bb.13:
	v_lshlrev_b32_e32 v10, 1, v21
	v_mov_b32_e32 v11, 0
	v_lshl_add_u64 v[12:13], s[0:1], 0, v[10:11]
	v_lshlrev_b32_e32 v10, 1, v18
	v_lshl_add_u64 v[24:25], v[12:13], 0, v[10:11]
	global_load_dwordx4 v[14:17], v[24:25], off
	global_load_dwordx4 v[10:13], v[24:25], off offset:128
.LBB396_14:
	s_or_b64 exec, exec, s[2:3]
	v_lshrrev_b32_e32 v24, 3, v18
	v_lshlrev_b32_e32 v25, 3, v23
	v_or_b32_e32 v24, v25, v24
	v_lshlrev_b32_e32 v24, 4, v24
	v_and_b32_e32 v25, 0x78, v25
	v_xor_b32_e32 v24, v24, v25
	s_branch .LBB396_17
.LBB396_15:
                                        ; implicit-def: $vgpr24
                                        ; implicit-def: $vgpr21
                                        ; implicit-def: $vgpr6_vgpr7_vgpr8_vgpr9
                                        ; implicit-def: $vgpr2_vgpr3_vgpr4_vgpr5
                                        ; implicit-def: $vgpr14_vgpr15_vgpr16_vgpr17
                                        ; implicit-def: $vgpr10_vgpr11_vgpr12_vgpr13
	s_cbranch_execz .LBB396_17
; %bb.16:
	s_waitcnt vmcnt(0)
	v_lshlrev_b32_e32 v2, 1, v18
	v_lshl_or_b32 v21, v23, 8, v2
	s_and_b32 s1, s1, 0xffff
	s_mov_b32 s3, 0x20000
	s_movk_i32 s2, 0x4000
	v_lshl_or_b32 v24, v20, 8, v2
	s_movk_i32 s13, 0x80
	buffer_load_dwordx4 v[6:9], v21, s[0:3], 0 offen
	buffer_load_dwordx4 v[2:5], v21, s[0:3], s13 offen
	;; [unrolled: 1-line block ×4, first 2 shown]
	v_lshrrev_b32_e32 v21, 3, v18
	v_lshlrev_b32_e32 v24, 3, v23
	v_or_b32_e32 v21, v24, v21
	v_lshlrev_b32_e32 v21, 4, v21
	v_and_b32_e32 v24, 0x78, v24
	v_xor_b32_e32 v24, v21, v24
	v_lshlrev_b32_e32 v21, 7, v20
.LBB396_17:
	s_lshl_b64 s[0:1], s[24:25], 8
	s_add_u32 s4, s4, s0
	s_movk_i32 s0, 0x1000
	v_and_or_b32 v20, v21, s0, v24
	s_waitcnt vmcnt(1)
	ds_write_b64 v24, v[6:7] offset:24576
	v_xor_b32_e32 v6, 8, v24
	ds_write_b64 v6, v[8:9] offset:24576
	s_waitcnt vmcnt(0)
	ds_write_b64 v24, v[2:3] offset:32768
	ds_write_b64 v6, v[4:5] offset:32768
	;; [unrolled: 1-line block ×3, first 2 shown]
	v_xor_b32_e32 v2, 8, v20
	ds_write_b64 v2, v[16:17] offset:24576
	ds_write_b64 v20, v[10:11] offset:32768
	;; [unrolled: 1-line block ×3, first 2 shown]
	v_or_b32_e32 v2, v1, v72
	v_lshlrev_b32_e32 v3, 11, v70
	v_lshlrev_b32_e32 v2, 3, v2
	v_and_b32_e32 v6, 0x1000, v3
	v_lshrrev_b32_e32 v3, 5, v61
	s_movk_i32 s3, 0xf8
	v_and_or_b32 v3, v2, s3, v3
	v_lshlrev_b32_e32 v7, 4, v3
	v_and_b32_e32 v8, 0x78, v2
	v_or_b32_e32 v10, 32, v7
	v_lshrrev_b32_e32 v3, 1, v61
	v_xor_b32_e32 v10, v10, v8
	v_xor_b32_e32 v2, v7, v8
	v_and_b32_e32 v9, 8, v3
	v_or_b32_e32 v10, v10, v6
	v_or_b32_e32 v2, v2, v6
	v_xor_b32_e32 v26, v10, v9
	v_or_b32_e32 v10, 64, v7
	v_xor_b32_e32 v25, v2, v9
	v_xor_b32_e32 v10, v10, v8
	s_waitcnt lgkmcnt(0)
	s_barrier
	v_or_b32_e32 v12, v10, v6
	ds_read_b64 v[10:11], v25 offset:24576
	v_lshl_or_b32 v20, v71, 7, v22
	v_lshlrev_b32_e32 v24, 1, v20
	v_add_u32_e32 v2, 0xa000, v24
	ds_read2_b64 v[2:5], v2 offset1:16
	v_or_b32_e32 v7, 0x60, v7
	v_xor_b32_e32 v7, v7, v8
	s_waitcnt lgkmcnt(0)
	v_mfma_f32_16x16x16_bf16 a[0:3], v[10:11], v[2:3], 0
	v_or_b32_e32 v2, 64, v20
	v_or_b32_e32 v6, v7, v6
	v_lshlrev_b32_e32 v29, 1, v2
	v_xor_b32_e32 v27, v12, v9
	v_xor_b32_e32 v28, v6, v9
	ds_read_b64 v[12:13], v26 offset:24576
	ds_read_b64 v[14:15], v27 offset:24576
	ds_read_b64 v[16:17], v28 offset:24576
	v_mfma_f32_16x16x16_bf16 a[4:7], v[10:11], v[4:5], 0
	ds_read2st64_b64 v[2:5], v29 offset0:82 offset1:84
	ds_read2st64_b64 v[6:9], v24 offset0:82 offset1:84
	s_addc_u32 s5, s5, s1
	s_add_i32 s1, s44, s33
	s_add_i32 s0, s12, -1
	s_add_i32 s31, s1, s45
	s_add_i32 s1, s46, s39
	;; [unrolled: 1-line block ×3, first 2 shown]
	s_ashr_i32 s1, s0, 31
	s_mul_i32 s2, s0, s29
	s_mul_hi_u32 s3, s0, s28
	s_add_i32 s2, s3, s2
	s_mul_i32 s1, s1, s28
	s_waitcnt lgkmcnt(1)
	v_mfma_f32_16x16x16_bf16 a[4:7], v[12:13], v[2:3], a[4:7]
	s_add_i32 s1, s2, s1
	s_lshl_b64 s[2:3], s[30:31], 2
	s_add_u32 s10, s10, s2
	s_waitcnt lgkmcnt(0)
	v_mfma_f32_16x16x16_bf16 a[0:3], v[12:13], v[6:7], a[0:3]
	s_addc_u32 s11, s11, s3
	s_lshl_b64 s[2:3], s[34:35], 2
	s_mul_i32 s0, s0, s28
	s_add_u32 s10, s10, s2
	ds_read_b64 v[2:3], v24 offset:44032
	v_mfma_f32_16x16x16_bf16 a[4:7], v[14:15], v[4:5], a[4:7]
	ds_read_b64 v[4:5], v29 offset:44032
	s_addc_u32 s11, s11, s3
	s_lshl_b64 s[0:1], s[0:1], 2
	v_mfma_f32_16x16x16_bf16 a[0:3], v[14:15], v[8:9], a[0:3]
	s_add_u32 s0, s10, s0
	s_addc_u32 s1, s11, s1
	s_load_dword s12, s[0:1], 0x0
	s_waitcnt lgkmcnt(0)
	v_mfma_f32_16x16x16_bf16 a[0:3], v[16:17], v[2:3], a[0:3]
	s_and_b64 vcc, exec, s[22:23]
	v_mfma_f32_16x16x16_bf16 a[4:7], v[16:17], v[4:5], a[4:7]
	s_cbranch_vccz .LBB396_28
; %bb.18:
	v_lshlrev_b32_e32 v20, 1, v23
	s_and_b64 vcc, exec, s[6:7]
	s_cbranch_vccz .LBB396_44
; %bb.19:
	v_cmp_gt_i32_e32 vcc, s27, v20
	v_mov_b32_e32 v6, 0
	v_mov_b32_e32 v2, 0
	;; [unrolled: 1-line block ×5, first 2 shown]
	s_and_saveexec_b64 s[0:1], vcc
	s_cbranch_execz .LBB396_21
; %bb.20:
	v_mad_i64_i32 v[2:3], s[2:3], s15, v20, 0
	v_lshl_add_u64 v[2:3], v[2:3], 1, s[4:5]
	v_lshlrev_b32_e32 v4, 1, v18
	v_mov_b32_e32 v5, 0
	v_lshl_add_u64 v[2:3], v[2:3], 0, v[4:5]
	global_load_dwordx4 v[2:5], v[2:3], off
.LBB396_21:
	s_or_b64 exec, exec, s[0:1]
	v_or_b32_e32 v21, 1, v20
	v_cmp_gt_i32_e64 s[0:1], s27, v21
	v_mov_b32_e32 v7, 0
	v_mov_b32_e32 v8, 0
	;; [unrolled: 1-line block ×3, first 2 shown]
	s_and_saveexec_b64 s[2:3], s[0:1]
	s_cbranch_execz .LBB396_23
; %bb.22:
	v_mad_i64_i32 v[6:7], s[16:17], s15, v21, 0
	v_lshl_add_u64 v[6:7], v[6:7], 1, s[4:5]
	v_lshlrev_b32_e32 v8, 1, v18
	v_mov_b32_e32 v9, 0
	v_lshl_add_u64 v[6:7], v[6:7], 0, v[8:9]
	global_load_dwordx4 v[6:9], v[6:7], off
.LBB396_23:
	s_or_b64 exec, exec, s[2:3]
	v_mov_b32_e32 v17, 0
	v_mov_b32_e32 v10, 0
	;; [unrolled: 1-line block ×5, first 2 shown]
	s_and_saveexec_b64 s[2:3], vcc
	s_cbranch_execz .LBB396_25
; %bb.24:
	v_mad_i64_i32 v[10:11], s[16:17], s15, v20, 0
	v_lshl_add_u64 v[10:11], v[10:11], 1, s[4:5]
	v_lshlrev_b32_e32 v12, 1, v18
	v_mov_b32_e32 v13, 0
	v_lshl_add_u64 v[10:11], v[10:11], 0, v[12:13]
	global_load_dwordx4 v[10:13], v[10:11], off offset:128
.LBB396_25:
	s_or_b64 exec, exec, s[2:3]
	v_mov_b32_e32 v16, 0
	v_mov_b32_e32 v15, 0
	;; [unrolled: 1-line block ×3, first 2 shown]
	s_and_saveexec_b64 s[2:3], s[0:1]
	s_cbranch_execz .LBB396_27
; %bb.26:
	v_mad_i64_i32 v[14:15], s[0:1], s15, v21, 0
	v_lshl_add_u64 v[14:15], v[14:15], 1, s[4:5]
	v_lshlrev_b32_e32 v16, 1, v18
	v_mov_b32_e32 v17, 0
	v_lshl_add_u64 v[14:15], v[14:15], 0, v[16:17]
	global_load_dwordx4 v[14:17], v[14:15], off offset:128
.LBB396_27:
	s_or_b64 exec, exec, s[2:3]
	s_branch .LBB396_46
.LBB396_28:
                                        ; implicit-def: $vgpr5
                                        ; implicit-def: $vgpr9
                                        ; implicit-def: $vgpr13
                                        ; implicit-def: $vgpr17
	v_lshrrev_b32_e32 v30, 2, v61
	s_branch .LBB396_47
.LBB396_29:
                                        ; implicit-def: $vgpr20
                                        ; implicit-def: $vgpr21
                                        ; implicit-def: $sgpr22
	s_load_dwordx2 s[40:41], s[0:1], 0x20
	v_lshl_or_b32 v18, v77, 9, v18
.LBB396_30:
	v_or_b32_e32 v20, 0x100, v18
	s_movk_i32 s22, 0x4000
	v_mov_b32_e32 v21, v18
.LBB396_31:
	s_mul_hi_u32 s0, s14, s12
	s_mul_i32 s1, s53, s12
	s_add_i32 s0, s0, s1
	s_mul_i32 s1, s14, s12
	s_mul_i32 s20, s1, s24
	s_mul_hi_u32 s21, s1, s50
	s_add_i32 s20, s21, s20
	s_mul_i32 s0, s0, s50
	s_add_i32 s20, s20, s0
	s_mul_i32 s1, s1, s50
	s_ashr_i32 s59, s54, 31
	s_add_u32 s0, s1, s54
	s_addc_u32 s1, s20, s59
	s_lshl_b64 s[0:1], s[0:1], 8
	s_add_u32 s20, s4, s0
	s_addc_u32 s0, s5, s1
	s_and_b32 s21, s0, 0xffff
	s_movk_i32 s60, 0x80
	buffer_load_dwordx4 v[22:25], v21, s[20:23], 0 offen
	buffer_load_dwordx4 v[26:29], v21, s[20:23], s60 offen
	;; [unrolled: 1-line block ×4, first 2 shown]
	v_and_b32_e32 v20, 6, v0
	v_lshlrev_b32_e32 v39, 6, v75
	v_or_b32_e32 v41, 16, v72
	v_xor_b32_e32 v42, v77, v20
	v_and_b32_e32 v21, 1, v0
	v_lshl_or_b32 v45, v72, 3, v39
	v_lshl_or_b32 v39, v41, 3, v39
	v_lshlrev_b32_e32 v42, 2, v42
	s_mul_i32 s24, s24, s12
	s_mul_hi_u32 s0, s50, s12
	v_lshlrev_b32_e32 v38, 2, v72
	v_or_b32_e32 v85, 0xa000, v39
	v_or_b32_e32 v86, 0xb000, v39
	v_xor_b32_e32 v39, 0x440, v42
	v_cmp_eq_u32_e32 vcc, 0, v21
	v_xor_b32_e32 v43, v75, v38
	v_xor_b32_e32 v44, v76, v38
	v_cndmask_b32_e32 v21, v39, v42, vcc
	s_add_i32 s65, s0, s24
	s_add_i32 s0, s44, s33
	s_mov_b32 s63, 0x1000504
	v_lshlrev_b32_e32 v40, 8, v72
	v_lshlrev_b32_e32 v43, 1, v43
	;; [unrolled: 1-line block ×3, first 2 shown]
	v_lshl_or_b32 v20, v20, 10, v21
	s_add_i32 s31, s0, s45
	s_add_i32 s0, s46, s39
	s_mov_b32 s64, 0x3020706
	v_or_b32_e32 v83, 0xa000, v45
	v_or_b32_e32 v84, 0xb000, v45
	;; [unrolled: 1-line block ×4, first 2 shown]
	v_xor_b32_e32 v21, 8, v20
	v_xor_b32_e32 v40, 24, v20
	;; [unrolled: 1-line block ×4, first 2 shown]
	s_add_i32 s35, s0, s47
	s_lshl_b64 s[0:1], s[30:31], 2
	v_xor_b32_e32 v39, 16, v20
	v_xor_b32_e32 v42, 32, v20
	;; [unrolled: 1-line block ×3, first 2 shown]
	v_add_u32_e32 v21, 0x80, v21
	v_add_u32_e32 v40, 0x80, v40
	;; [unrolled: 1-line block ×4, first 2 shown]
	s_add_u32 s20, s10, s0
	s_addc_u32 s21, s11, s1
	s_lshl_b64 s[0:1], s[34:35], 2
	s_add_u32 s42, s20, s0
	s_movk_i32 s0, 0xf8
	s_addc_u32 s43, s21, s1
	s_ashr_i32 s37, s36, 31
	s_lshl_b32 s26, s15, 7
	s_movk_i32 s20, 0x100
	v_mov_b32_e32 v65, 0
	v_lshlrev_b32_e32 v64, 4, v72
	v_cmp_gt_u32_e32 vcc, s20, v0
	s_mul_i32 s61, s50, s12
	v_ashrrev_i32_e32 v63, 31, v62
	s_mov_b32 s62, 0
	s_movk_i32 s31, 0x1000
	s_movk_i32 s22, 0x4000
	v_lshl_add_u64 v[66:67], v[62:63], 1, s[8:9]
	s_mov_b32 s67, 0
	s_waitcnt vmcnt(1)
	v_perm_b32 v48, v22, v30, s63
	s_waitcnt vmcnt(0)
	v_perm_b32 v49, v26, v34, s63
	v_perm_b32 v22, v22, v30, s64
	;; [unrolled: 1-line block ×15, first 2 shown]
	ds_write2st64_b32 v20, v48, v49 offset0:32 offset1:64
	ds_write2st64_b32 v21, v22, v26 offset0:32 offset1:64
	;; [unrolled: 1-line block ×8, first 2 shown]
	v_lshlrev_b32_e32 v20, 8, v41
	v_or_b32_e32 v89, v20, v43
	v_or_b32_e32 v90, v20, v44
	;; [unrolled: 1-line block ×3, first 2 shown]
	v_lshlrev_b32_e32 v20, 3, v20
	v_lshrrev_b32_e32 v23, 5, v61
	v_and_or_b32 v23, v20, s0, v23
	v_lshlrev_b32_e32 v23, 4, v23
	v_lshlrev_b32_e32 v25, 11, v70
	v_and_b32_e32 v20, 0x78, v20
	v_or_b32_e32 v28, 32, v23
	v_and_b32_e32 v22, 0x1000, v25
	v_lshrrev_b32_e32 v26, 1, v61
	v_xor_b32_e32 v28, v28, v20
	v_xor_b32_e32 v24, v23, v20
	v_and_b32_e32 v26, 8, v26
	v_or_b32_e32 v28, v28, v22
	v_or_b32_e32 v24, v24, v22
	v_lshlrev_b32_e32 v27, 7, v71
	v_xor_b32_e32 v93, v28, v26
	v_or_b32_e32 v28, 64, v23
	v_or_b32_e32 v23, 0x60, v23
	v_xor_b32_e32 v91, v24, v26
	v_or_b32_e32 v24, v27, v38
	v_xor_b32_e32 v28, v28, v20
	v_xor_b32_e32 v20, v23, v20
	s_lshl_b64 s[0:1], s[36:37], 8
	v_lshlrev_b32_e32 v24, 1, v24
	v_or_b32_e32 v28, v28, v22
	v_or_b32_e32 v20, v20, v22
	s_add_u32 s0, s18, s0
	v_lshlrev_b32_e32 v22, 1, v72
	v_or_b32_e32 v92, 0xa000, v24
	v_or_b32_e32 v94, 0xa080, v24
	;; [unrolled: 1-line block ×4, first 2 shown]
	v_lshrrev_b32_e32 v24, 4, v0
	s_addc_u32 s1, s19, s1
	v_or_b32_e32 v23, 1, v22
	v_mov_b32_e32 v33, 0x4000
	v_mov_b32_e32 v34, 0x2000
	v_lshrrev_b32_e32 v35, 1, v0
	v_xor_b32_e32 v95, v28, v26
	v_xor_b32_e32 v96, v20, v26
	;; [unrolled: 1-line block ×4, first 2 shown]
	v_lshl_add_u64 v[22:23], s[0:1], 0, v[64:65]
	v_lshlrev_b32_e32 v64, 8, v24
	v_cndmask_b32_e32 v33, v33, v34, vcc
	v_lshlrev_b32_e32 v34, 3, v70
	v_and_b32_e32 v35, 24, v35
	v_lshl_or_b32 v99, v26, 3, v64
	v_and_b32_e32 v26, 8, v0
	v_xor_b32_e32 v36, v34, v35
	v_or_b32_e32 v37, 0x440, v36
	v_cmp_eq_u32_e32 vcc, 0, v26
	v_and_b32_e32 v24, 7, v0
	v_lshl_or_b32 v100, v30, 3, v64
	v_cndmask_b32_e32 v26, v37, v36, vcc
	v_lshlrev_b32_e32 v30, 3, v24
	v_lshlrev_b32_e32 v32, 2, v0
	v_or_b32_e32 v26, v26, v25
	v_xor_b32_e32 v36, v26, v30
	v_and_or_b32 v26, v32, 60, v27
	v_mov_b32_e32 v27, 0xb000
	v_lshl_or_b32 v101, v26, 1, v27
	v_or_b32_e32 v26, 32, v35
	v_xor_b32_e32 v26, v34, v26
	v_or_b32_e32 v27, 0x440, v26
	v_cndmask_b32_e32 v26, v27, v26, vcc
	v_or_b32_e32 v26, v26, v25
	v_xor_b32_e32 v27, v26, v30
	v_or_b32_e32 v26, 64, v35
	v_xor_b32_e32 v26, v34, v26
	v_xor_b32_e32 v38, 0x440, v26
	v_cndmask_b32_e32 v26, v38, v26, vcc
	v_or_b32_e32 v26, v26, v25
	v_xor_b32_e32 v38, v26, v30
	v_or_b32_e32 v26, 0x60, v35
	v_xor_b32_e32 v26, v34, v26
	v_xor_b32_e32 v34, 0x440, v26
	v_cndmask_b32_e32 v26, v34, v26, vcc
	v_lshrrev_b32_e32 v21, 2, v61
	v_or_b32_e32 v25, v26, v25
	v_and_b32_e32 v21, 12, v21
	v_xor_b32_e32 v25, v25, v30
	v_lshlrev_b32_e32 v20, 7, v75
	v_lshlrev_b32_e32 v28, 1, v19
	v_add_lshl_u32 v19, v19, s15, 1
	v_or_b32_e32 v29, 0x100, v18
	v_lshlrev_b32_e32 v31, 7, v24
	v_or_b32_e32 v24, v21, v1
	v_add_u32_e32 v37, v33, v36
	v_add_u32_e32 v32, v33, v27
	;; [unrolled: 1-line block ×4, first 2 shown]
	v_or3_b32 v26, v1, v21, 64
	v_add_u32_e32 v21, 0x4000, v36
	v_add_u32_e32 v27, 0x4000, v27
	;; [unrolled: 1-line block ×4, first 2 shown]
	v_cndmask_b32_e64 v102, v28, v18, s[2:3]
	v_cndmask_b32_e64 v103, v19, v29, s[2:3]
	v_lshl_add_u64 v[68:69], v[22:23], 0, v[64:65]
	s_add_i32 s35, s61, 63
	s_mov_b32 s37, 0x7060302
	v_lshlrev_b32_e32 v64, 1, v20
	v_lshlrev_b32_e32 v63, 2, v24
	v_add_u32_e32 v104, v37, v31
	v_add_u32_e32 v105, v32, v31
	v_add_u32_e32 v106, v39, v31
	v_add_u32_e32 v107, v30, v31
	v_lshlrev_b32_e32 v108, 2, v26
	v_add_u32_e32 v109, v21, v31
	v_add_u32_e32 v110, v27, v31
	;; [unrolled: 1-line block ×4, first 2 shown]
	s_waitcnt lgkmcnt(0)
	s_barrier
.LBB396_32:                             ; =>This Inner Loop Header: Depth=1
	s_add_i32 s66, s67, 1
	s_cmp_lt_i32 s66, s51
	s_mov_b64 s[24:25], 0
	s_cselect_b64 s[2:3], -1, 0
	s_cmp_ge_i32 s66, s51
	s_mov_b64 s[20:21], 0
	s_cbranch_scc1 .LBB396_34
; %bb.33:                               ;   in Loop: Header=BB396_32 Depth=1
	s_add_i32 s0, s62, 64
	s_add_u32 s0, s16, s0
	s_addc_u32 s1, s17, 0
	s_lshl_b64 s[0:1], s[0:1], 8
	s_add_u32 s20, s6, s0
	s_addc_u32 s21, s7, s1
.LBB396_34:                             ;   in Loop: Header=BB396_32 Depth=1
	v_cndmask_b32_e64 v18, 0, 1, s[2:3]
	v_cmp_ne_u32_e64 s[0:1], 1, v18
	s_andn2_b64 vcc, exec, s[2:3]
	s_cbranch_vccnz .LBB396_36
; %bb.35:                               ;   in Loop: Header=BB396_32 Depth=1
	s_add_i32 s2, s62, 64
	s_add_u32 s2, s61, s2
	s_addc_u32 s3, s65, 0
	s_mul_i32 s24, s2, s53
	s_mul_hi_u32 s25, s2, s58
	s_add_i32 s24, s25, s24
	s_mul_i32 s3, s3, s58
	s_add_i32 s24, s24, s3
	s_mul_i32 s2, s2, s58
	s_add_u32 s2, s2, s54
	s_addc_u32 s3, s24, s59
	s_lshl_b64 s[2:3], s[2:3], 8
	s_add_u32 s24, s4, s2
	s_addc_u32 s25, s5, s3
.LBB396_36:                             ;   in Loop: Header=BB396_32 Depth=1
	v_perm_b32 v19, v17, v16, s37
	v_perm_b32 v18, v15, v14, s37
	;; [unrolled: 1-line block ×4, first 2 shown]
	ds_write_b64 v83, v[18:19]
	ds_write_b64 v84, v[20:21]
	;; [unrolled: 1-line block ×4, first 2 shown]
	v_perm_b32 v19, v9, v8, s37
	v_perm_b32 v18, v7, v6, s37
	;; [unrolled: 1-line block ×4, first 2 shown]
	ds_write_b64 v85, v[18:19]
	ds_write_b64 v86, v[20:21]
	;; [unrolled: 1-line block ×4, first 2 shown]
	s_waitcnt lgkmcnt(0)
	s_barrier
	ds_read_b64 v[22:23], v91 offset:24576
	ds_read2_b64 v[18:21], v92 offset1:16
	ds_read_b64 v[26:27], v94 offset:3072
	ds_read_b64 v[28:29], v92 offset:3072
	;; [unrolled: 1-line block ×3, first 2 shown]
	s_waitcnt lgkmcnt(3)
	v_mfma_f32_16x16x16_bf16 a[0:3], v[22:23], v[18:19], 0
	s_add_i32 s2, s62, 63
	s_mul_i32 s3, s2, s29
	s_mul_hi_u32 s27, s2, s28
	v_mfma_f32_16x16x16_bf16 a[4:7], v[22:23], v[20:21], 0
	ds_read2st64_b64 v[18:21], v92 offset0:2 offset1:4
	ds_read2st64_b64 v[22:25], v94 offset0:2 offset1:4
	s_add_i32 s3, s27, s3
	s_waitcnt lgkmcnt(1)
	v_mfma_f32_16x16x16_bf16 a[0:3], v[30:31], v[18:19], a[0:3]
	s_mul_i32 s2, s2, s28
	s_lshl_b64 s[2:3], s[2:3], 2
	s_add_u32 s2, s42, s2
	s_waitcnt lgkmcnt(0)
	v_mfma_f32_16x16x16_bf16 a[4:7], v[30:31], v[22:23], a[4:7]
	ds_read_b64 v[18:19], v95 offset:24576
	ds_read_b64 v[22:23], v96 offset:24576
	s_addc_u32 s3, s43, s3
	s_and_b64 vcc, exec, s[0:1]
	s_waitcnt lgkmcnt(1)
	v_mfma_f32_16x16x16_bf16 a[0:3], v[18:19], v[20:21], a[0:3]
	v_mov_b32_e32 v115, 0
	v_mov_b32_e32 v114, 0
	;; [unrolled: 1-line block ×3, first 2 shown]
	v_mfma_f32_16x16x16_bf16 a[4:7], v[18:19], v[24:25], a[4:7]
	v_mov_b32_e32 v18, 0
	v_mov_b32_e32 v19, 0
	;; [unrolled: 1-line block ×3, first 2 shown]
	s_waitcnt lgkmcnt(0)
	v_mfma_f32_16x16x16_bf16 a[0:3], v[22:23], v[28:29], a[0:3]
	v_mov_b32_e32 v21, 0
	v_mov_b32_e32 v24, 0
	;; [unrolled: 1-line block ×3, first 2 shown]
	v_mfma_f32_16x16x16_bf16 a[4:7], v[22:23], v[26:27], a[4:7]
	v_mov_b32_e32 v22, 0
	v_mov_b32_e32 v23, 0
	;; [unrolled: 1-line block ×10, first 2 shown]
	s_cbranch_vccnz .LBB396_38
; %bb.37:                               ;   in Loop: Header=BB396_32 Depth=1
	s_and_b32 s21, s21, 0xffff
	buffer_load_dwordx4 v[30:33], v79, s[20:23], 0 offen
	buffer_load_dwordx4 v[26:29], v79, s[20:23], s60 offen
	;; [unrolled: 1-line block ×4, first 2 shown]
	v_mov_b32_e32 v114, v81
	v_mov_b32_e32 v113, v82
.LBB396_38:                             ;   in Loop: Header=BB396_32 Depth=1
	ds_read_b64 v[38:39], v91 offset:32768
	ds_read2_b64 v[34:37], v97 offset1:16
	ds_read_b64 v[42:43], v93 offset:32768
	ds_read_b64 v[44:45], v95 offset:32768
	;; [unrolled: 1-line block ×3, first 2 shown]
	v_add_u32_e32 v50, s62, v75
	s_waitcnt lgkmcnt(3)
	v_mfma_f32_16x16x16_bf16 a[0:3], v[38:39], v[34:35], a[0:3]
	v_mov_b32_e32 v116, 0
	v_mfma_f32_16x16x16_bf16 a[4:7], v[38:39], v[36:37], a[4:7]
	ds_read2st64_b64 v[34:37], v97 offset0:2 offset1:4
	ds_read2st64_b64 v[38:41], v98 offset0:2 offset1:4
	s_waitcnt lgkmcnt(1)
	v_mfma_f32_16x16x16_bf16 a[0:3], v[42:43], v[34:35], a[0:3]
	ds_read_b64 v[34:35], v97 offset:3072
	ds_read_b64 v[48:49], v98 offset:3072
	s_waitcnt lgkmcnt(2)
	v_mfma_f32_16x16x16_bf16 a[4:7], v[42:43], v[38:39], a[4:7]
	v_ashrrev_i32_e32 v38, 31, v50
	v_mul_lo_u32 v39, v50, s29
	v_mul_lo_u32 v38, v38, s28
	v_mfma_f32_16x16x16_bf16 a[0:3], v[44:45], v[36:37], a[0:3]
	v_mad_u64_u32 v[36:37], s[20:21], v50, s28, 0
	v_add3_u32 v37, v37, v39, v38
	v_lshl_add_u64 v[36:37], v[36:37], 2, s[42:43]
	global_load_dword v42, v[36:37], off
	v_add_u32_e32 v36, 1, v50
	v_ashrrev_i32_e32 v37, 31, v36
	s_waitcnt lgkmcnt(1)
	v_mfma_f32_16x16x16_bf16 a[0:3], v[46:47], v[34:35], a[0:3]
	v_mul_lo_u32 v37, v37, s28
	v_mul_lo_u32 v38, v36, s29
	v_mad_u64_u32 v[34:35], s[20:21], v36, s28, 0
	v_add_u32_e32 v36, 2, v50
	v_add3_u32 v35, v35, v38, v37
	v_ashrrev_i32_e32 v37, 31, v36
	v_mul_lo_u32 v38, v37, s28
	v_mul_lo_u32 v39, v36, s29
	v_mad_u64_u32 v[36:37], s[20:21], v36, s28, 0
	v_add3_u32 v37, v37, v39, v38
	v_add_u32_e32 v38, 3, v50
	v_ashrrev_i32_e32 v39, 31, v38
	v_mfma_f32_16x16x16_bf16 a[4:7], v[44:45], v[40:41], a[4:7]
	v_mul_lo_u32 v40, v39, s28
	v_mul_lo_u32 v41, v38, s29
	v_mad_u64_u32 v[38:39], s[20:21], v38, s28, 0
	s_add_u32 s20, s16, s62
	s_addc_u32 s21, s17, 0
	s_lshl_b64 s[20:21], s[20:21], 8
	v_add3_u32 v39, v39, v41, v40
	v_lshl_add_u64 v[40:41], v[66:67], 0, s[20:21]
	v_lshl_add_u64 v[34:35], v[34:35], 2, s[42:43]
	;; [unrolled: 1-line block ×4, first 2 shown]
	global_load_ushort v44, v[40:41], off
	global_load_ushort v43, v[40:41], off offset:256
	global_load_ushort v52, v[40:41], off offset:800
	;; [unrolled: 1-line block ×7, first 2 shown]
	v_lshl_add_u64 v[38:39], v[38:39], 2, s[42:43]
	global_load_dword v55, v[34:35], off
	global_load_dword v56, v[36:37], off
	;; [unrolled: 1-line block ×3, first 2 shown]
	s_load_dword s2, s[2:3], 0x0
	s_waitcnt lgkmcnt(0)
	v_mfma_f32_16x16x16_bf16 a[4:7], v[46:47], v[48:49], a[4:7]
	v_accvgpr_read_b32 v39, a1
	v_accvgpr_read_b32 v35, a3
	v_accvgpr_read_b32 v34, a2
	v_accvgpr_read_b32 v38, a0
	s_and_b64 vcc, exec, s[0:1]
	s_waitcnt vmcnt(11)
	v_sub_f32_e32 v48, s2, v42
	v_exp_f32_e32 v48, v48
	v_accvgpr_read_b32 v41, a5
	v_accvgpr_read_b32 v40, a4
	;; [unrolled: 1-line block ×4, first 2 shown]
	s_waitcnt vmcnt(10)
	v_lshlrev_b32_e32 v42, 16, v44
	s_waitcnt vmcnt(9)
	v_lshlrev_b32_e32 v43, 16, v43
	v_pk_add_f32 v[38:39], v[42:43], v[38:39] neg_lo:[0,1] neg_hi:[0,1]
	s_waitcnt vmcnt(7)
	v_lshlrev_b32_e32 v45, 16, v45
	v_mov_b32_e32 v42, 0
	s_waitcnt vmcnt(5)
	v_lshlrev_b32_e32 v44, 16, v50
	s_waitcnt vmcnt(4)
	v_lshlrev_b32_e32 v47, 16, v51
	s_waitcnt vmcnt(2)
	v_sub_f32_e32 v49, s2, v55
	s_waitcnt vmcnt(1)
	v_sub_f32_e32 v50, s2, v56
	;; [unrolled: 2-line block ×3, first 2 shown]
	v_exp_f32_e32 v49, v49
	v_exp_f32_e32 v50, v50
	;; [unrolled: 1-line block ×3, first 2 shown]
	v_pk_add_f32 v[34:35], v[44:45], v[34:35] neg_lo:[0,1] neg_hi:[0,1]
	v_lshlrev_b32_e32 v46, 16, v54
	v_pk_mul_f32 v[38:39], v[48:49], v[38:39]
	v_pk_mul_f32 v[34:35], v[50:51], v[34:35]
	v_mov_b32_e32 v43, 0
	v_perm_b32 v35, v35, v34, s37
	v_perm_b32 v34, v39, v38, s37
	v_pk_add_f32 v[38:39], v[46:47], v[40:41] neg_lo:[0,1] neg_hi:[0,1]
	v_lshlrev_b32_e32 v41, 16, v52
	v_lshlrev_b32_e32 v40, 16, v53
	v_pk_add_f32 v[36:37], v[40:41], v[36:37] neg_lo:[0,1] neg_hi:[0,1]
	v_pk_mul_f32 v[38:39], v[48:49], v[38:39]
	v_pk_mul_f32 v[36:37], v[50:51], v[36:37]
	v_mov_b32_e32 v40, 0
	v_perm_b32 v37, v37, v36, s37
	v_perm_b32 v36, v39, v38, s37
	ds_write2_b64 v84, v[34:35], v[36:37] offset1:16
	v_mov_b32_e32 v34, 0
	v_mov_b32_e32 v35, 0
	;; [unrolled: 1-line block ×13, first 2 shown]
	s_cbranch_vccnz .LBB396_40
; %bb.39:                               ;   in Loop: Header=BB396_32 Depth=1
	s_and_b32 s25, s25, 0xffff
	s_mov_b32 s27, s23
	buffer_load_dwordx4 v[46:49], v102, s[24:27], 0 offen
	buffer_load_dwordx4 v[38:41], v102, s[24:27], s60 offen
	;; [unrolled: 1-line block ×4, first 2 shown]
	v_mov_b32_e32 v115, v78
	v_mov_b32_e32 v116, v77
.LBB396_40:                             ;   in Loop: Header=BB396_32 Depth=1
	s_waitcnt lgkmcnt(0)
	s_barrier
	ds_read_b64 v[54:55], v104
	ds_read_b64 v[122:123], v101
	ds_read_b64 v[124:125], v105
	ds_read_b64 v[126:127], v106
	ds_read_b64 v[134:135], v107
	ds_read_b64 v[136:137], v98 offset:3072
	ds_read2_b64 v[50:53], v97 offset0:16 offset1:128
	s_waitcnt lgkmcnt(5)
	v_mfma_f32_16x16x16_bf16 a[0:3], v[54:55], v[122:123], 0
	s_add_i32 s3, s55, s67
	s_mul_hi_i32 s21, s3, s13
	s_mul_i32 s3, s3, s13
	s_waitcnt lgkmcnt(0)
	v_mfma_f32_16x16x16_bf16 a[4:7], v[54:55], v[50:51], 0
	ds_read_b64 v[54:55], v109
	ds_read2st64_b64 v[56:59], v98 offset0:2 offset1:4
	s_add_u32 s20, s3, s48
	s_addc_u32 s21, s21, s52
	s_add_i32 s3, s35, s62
	s_lshl_b64 s[20:21], s[20:21], 15
	s_mul_hi_i32 s25, s3, s13
	s_mul_i32 s3, s3, s13
	s_add_u32 s24, s3, s48
	s_waitcnt lgkmcnt(1)
	v_mfma_f32_16x16x16_bf16 a[8:11], v[54:55], v[122:123], 0
	s_addc_u32 s25, s25, s52
	ds_read2st64_b64 v[118:121], v97 offset0:4 offset1:6
	s_lshl_b64 s[24:25], s[24:25], 9
	v_mfma_f32_16x16x16_bf16 a[0:3], v[124:125], v[52:53], a[0:3]
	s_add_u32 s24, s40, s24
	s_addc_u32 s25, s41, s25
	s_waitcnt lgkmcnt(1)
	v_mfma_f32_16x16x16_bf16 a[4:7], v[124:125], v[56:57], a[4:7]
	ds_read_b64 v[124:125], v110
	ds_read_b64 v[132:133], v111
	;; [unrolled: 1-line block ×3, first 2 shown]
	v_mfma_f32_16x16x16_bf16 a[12:15], v[54:55], v[50:51], 0
	s_waitcnt lgkmcnt(2)
	v_mfma_f32_16x16x16_bf16 a[8:11], v[124:125], v[52:53], a[8:11]
	global_load_dwordx4 v[50:53], v108, s[24:25]
	v_mfma_f32_16x16x16_bf16 a[12:15], v[124:125], v[56:57], a[12:15]
	global_load_dwordx4 v[54:57], v63, s[24:25]
	ds_read2st64_b64 v[122:125], v99 offset1:8
	s_waitcnt lgkmcnt(0)
	v_mov_b32_e32 v130, v122
	v_mfma_f32_16x16x16_bf16 a[0:3], v[126:127], v[118:119], a[0:3]
	v_mov_b32_e32 v131, v123
	v_mfma_f32_16x16x16_bf16 a[4:7], v[126:127], v[58:59], a[4:7]
	ds_read2st64_b64 v[126:129], v100 offset1:8
	v_mfma_f32_16x16x16_bf16 a[8:11], v[132:133], v[118:119], a[8:11]
	v_lshl_add_u64 v[118:119], v[68:69], 0, s[20:21]
	v_mfma_f32_16x16x16_bf16 a[16:19], v[132:133], v[58:59], a[12:15]
	v_add_co_u32_e32 v58, vcc, s31, v118
	s_waitcnt lgkmcnt(0)
	v_mov_b32_e32 v132, v126
	v_mfma_f32_16x16x16_bf16 a[0:3], v[134:135], v[120:121], a[0:3]
	v_mov_b32_e32 v133, v127
	v_mov_b32_e32 v126, v124
	;; [unrolled: 1-line block ×3, first 2 shown]
	v_mfma_f32_16x16x16_bf16 a[4:7], v[134:135], v[136:137], a[4:7]
	v_addc_co_u32_e32 v59, vcc, 0, v119, vcc
	global_store_dwordx4 v[58:59], v[126:129], off
	v_mfma_f32_16x16x16_bf16 a[12:15], v[138:139], v[120:121], a[8:11]
	s_and_b64 vcc, exec, s[0:1]
	global_store_dwordx4 v[118:119], v[130:133], off
	s_waitcnt vmcnt(3)
	v_mov_b32_e32 v60, v53
	v_mfma_f32_16x16x16_bf16 a[8:11], v[138:139], v[136:137], a[16:19]
	v_mov_b32_e32 v59, v52
	v_mov_b32_e32 v58, v51
	s_cbranch_vccnz .LBB396_42
; %bb.41:                               ;   in Loop: Header=BB396_32 Depth=1
	v_lshrrev_b32_e32 v51, 3, v115
	v_and_b32_e32 v51, 6, v51
	v_xor_b32_e32 v52, v51, v116
	v_lshlrev_b32_e32 v52, 2, v52
	v_and_b32_e32 v53, 8, v115
	v_xor_b32_e32 v115, 0x440, v52
	v_cmp_eq_u32_e32 vcc, 0, v53
	v_perm_b32 v53, v38, v34, s63
	s_nop 0
	v_cndmask_b32_e32 v52, v115, v52, vcc
	v_lshl_or_b32 v51, v51, 10, v52
	v_perm_b32 v52, v46, v42, s63
	s_barrier
	ds_write2st64_b32 v51, v52, v53 offset0:32 offset1:64
	v_xor_b32_e32 v52, 8, v51
	v_perm_b32 v42, v46, v42, s64
	v_perm_b32 v34, v38, v34, s64
	v_add_u32_e32 v38, 0x80, v52
	ds_write2st64_b32 v38, v42, v34 offset0:32 offset1:64
	v_xor_b32_e32 v34, 16, v51
	v_perm_b32 v38, v47, v43, s63
	v_perm_b32 v42, v39, v35, s63
	ds_write2st64_b32 v34, v38, v42 offset0:33 offset1:65
	v_xor_b32_e32 v34, 24, v51
	v_perm_b32 v38, v47, v43, s64
	v_perm_b32 v35, v39, v35, s64
	v_add_u32_e32 v34, 0x80, v34
	ds_write2st64_b32 v34, v38, v35 offset0:33 offset1:65
	v_xor_b32_e32 v34, 32, v51
	v_perm_b32 v35, v48, v44, s63
	v_perm_b32 v38, v40, v36, s63
	;; [unrolled: 9-line block ×3, first 2 shown]
	ds_write2st64_b32 v34, v35, v36 offset0:35 offset1:67
	v_xor_b32_e32 v34, 56, v51
	v_perm_b32 v35, v49, v45, s64
	v_perm_b32 v36, v41, v37, s64
	v_add_u32_e32 v34, 0x80, v34
	ds_write2st64_b32 v34, v35, v36 offset0:35 offset1:67
	ds_write_b64 v114, v[30:31] offset:24576
	v_xor_b32_e32 v30, 8, v114
	ds_write_b64 v30, v[32:33] offset:24576
	ds_write_b64 v114, v[26:27] offset:32768
	;; [unrolled: 1-line block ×4, first 2 shown]
	v_xor_b32_e32 v22, 8, v113
	ds_write_b64 v22, v[24:25] offset:24576
	ds_write_b64 v113, v[18:19] offset:32768
	ds_write_b64 v22, v[20:21] offset:32768
.LBB396_42:                             ;   in Loop: Header=BB396_32 Depth=1
	v_exp_f32_e32 v34, s2
	s_waitcnt vmcnt(2)
	v_exp_f32_e32 v36, v54
	v_exp_f32_e32 v37, v55
	;; [unrolled: 1-line block ×4, first 2 shown]
	v_accvgpr_read_b32 v29, a3
	v_accvgpr_read_b32 v27, a1
	;; [unrolled: 1-line block ×4, first 2 shown]
	v_pk_mul_f32 v[36:37], v[34:35], v[36:37] op_sel_hi:[0,1]
	v_accvgpr_read_b32 v28, a2
	v_accvgpr_read_b32 v23, a5
	;; [unrolled: 1-line block ×3, first 2 shown]
	v_pk_fma_f32 v[14:15], v[14:15], v[36:37], v[26:27]
	v_pk_mul_f32 v[26:27], v[34:35], v[38:39] op_sel_hi:[0,1]
	v_pk_fma_f32 v[16:17], v[16:17], v[26:27], v[28:29]
	v_fma_f32 v6, v6, v36, v22
	v_fma_f32 v7, v7, v37, v23
	v_exp_f32_e32 v22, v50
	v_exp_f32_e32 v23, v58
	;; [unrolled: 1-line block ×4, first 2 shown]
	v_accvgpr_read_b32 v24, a6
	v_accvgpr_read_b32 v33, a15
	;; [unrolled: 1-line block ×9, first 2 shown]
	v_fma_f32 v8, v8, v26, v24
	v_fmac_f32_e32 v25, v9, v27
	v_pk_mul_f32 v[22:23], v[34:35], v[22:23] op_sel_hi:[0,1]
	v_pk_mul_f32 v[26:27], v[34:35], v[28:29] op_sel_hi:[0,1]
	s_add_i32 s62, s62, 64
	v_pk_fma_f32 v[10:11], v[10:11], v[22:23], v[30:31]
	v_pk_fma_f32 v[12:13], v[12:13], v[26:27], v[32:33]
	v_fma_f32 v2, v2, v22, v18
	v_fma_f32 v3, v3, v23, v19
	;; [unrolled: 1-line block ×3, first 2 shown]
	s_cmp_eq_u32 s51, s66
	v_fmac_f32_e32 v21, v5, v27
	s_cbranch_scc1 .LBB396_4
; %bb.43:                               ;   in Loop: Header=BB396_32 Depth=1
	s_mov_b32 s67, s66
	v_mov_b32_e32 v9, v25
	v_mov_b32_e32 v5, v21
	s_branch .LBB396_32
.LBB396_44:
                                        ; implicit-def: $vgpr5
                                        ; implicit-def: $vgpr9
                                        ; implicit-def: $vgpr13
                                        ; implicit-def: $vgpr17
	s_cbranch_execz .LBB396_46
; %bb.45:
	s_waitcnt vmcnt(0)
	v_mad_u64_u32 v[2:3], s[0:1], v20, s15, v[18:19]
	v_lshlrev_b32_e32 v20, 1, v2
	s_lshl_b32 s2, s15, 7
	s_and_b32 s1, s5, 0xffff
	s_mov_b32 s3, 0x20000
	s_mov_b32 s0, s4
	v_add_lshl_u32 v21, v2, s15, 1
	s_movk_i32 s13, 0x80
	buffer_load_dwordx4 v[2:5], v20, s[0:3], 0 offen
	buffer_load_dwordx4 v[10:13], v20, s[0:3], s13 offen
	;; [unrolled: 1-line block ×4, first 2 shown]
.LBB396_46:
	v_lshrrev_b32_e32 v30, 2, v61
	s_cbranch_execnz .LBB396_59
.LBB396_47:
	s_and_b64 vcc, exec, s[6:7]
	s_cbranch_vccz .LBB396_57
; %bb.48:
	s_waitcnt vmcnt(0)
	v_lshlrev_b32_e32 v7, 1, v23
	v_cmp_gt_i32_e32 vcc, s27, v7
	v_mov_b32_e32 v6, 0
	v_lshlrev_b32_e32 v14, 9, v23
	v_mov_b32_e32 v2, 0
	v_mov_b32_e32 v3, 0
	;; [unrolled: 1-line block ×4, first 2 shown]
	s_and_saveexec_b64 s[0:1], vcc
	s_cbranch_execz .LBB396_50
; %bb.49:
	v_mov_b32_e32 v15, 0
	v_lshl_add_u64 v[2:3], s[4:5], 0, v[14:15]
	v_lshlrev_b32_e32 v4, 1, v18
	v_mov_b32_e32 v5, v15
	v_lshl_add_u64 v[2:3], v[2:3], 0, v[4:5]
	global_load_dwordx4 v[2:5], v[2:3], off
.LBB396_50:
	s_or_b64 exec, exec, s[0:1]
	v_or_b32_e32 v7, 1, v7
	v_cmp_gt_i32_e64 s[0:1], s27, v7
	v_lshlrev_b32_e32 v20, 8, v7
	v_mov_b32_e32 v7, 0
	v_mov_b32_e32 v8, 0
	;; [unrolled: 1-line block ×3, first 2 shown]
	s_and_saveexec_b64 s[2:3], s[0:1]
	s_cbranch_execz .LBB396_52
; %bb.51:
	v_mov_b32_e32 v21, 0
	v_lshl_add_u64 v[6:7], s[4:5], 0, v[20:21]
	v_lshlrev_b32_e32 v8, 1, v18
	v_mov_b32_e32 v9, v21
	v_lshl_add_u64 v[6:7], v[6:7], 0, v[8:9]
	global_load_dwordx4 v[6:9], v[6:7], off
.LBB396_52:
	s_or_b64 exec, exec, s[2:3]
	v_mov_b32_e32 v17, 0
	v_mov_b32_e32 v10, 0
	;; [unrolled: 1-line block ×5, first 2 shown]
	s_and_saveexec_b64 s[2:3], vcc
	s_cbranch_execz .LBB396_54
; %bb.53:
	v_mov_b32_e32 v15, 0
	v_lshl_add_u64 v[10:11], s[4:5], 0, v[14:15]
	v_lshlrev_b32_e32 v14, 1, v18
	v_lshl_add_u64 v[10:11], v[10:11], 0, v[14:15]
	global_load_dwordx4 v[10:13], v[10:11], off offset:128
.LBB396_54:
	s_or_b64 exec, exec, s[2:3]
	v_mov_b32_e32 v16, 0
	v_mov_b32_e32 v15, 0
	;; [unrolled: 1-line block ×3, first 2 shown]
	s_and_saveexec_b64 s[2:3], s[0:1]
	s_cbranch_execz .LBB396_56
; %bb.55:
	v_mov_b32_e32 v21, 0
	v_lshl_add_u64 v[14:15], s[4:5], 0, v[20:21]
	v_lshlrev_b32_e32 v20, 1, v18
	v_lshl_add_u64 v[14:15], v[14:15], 0, v[20:21]
	global_load_dwordx4 v[14:17], v[14:15], off offset:128
.LBB396_56:
	s_or_b64 exec, exec, s[2:3]
	s_branch .LBB396_59
.LBB396_57:
                                        ; implicit-def: $vgpr5
                                        ; implicit-def: $vgpr9
                                        ; implicit-def: $vgpr13
                                        ; implicit-def: $vgpr17
	s_cbranch_execz .LBB396_59
; %bb.58:
	s_waitcnt vmcnt(0)
	v_lshlrev_b32_e32 v2, 1, v18
	v_lshl_or_b32 v18, v23, 9, v2
	s_and_b32 s5, s5, 0xffff
	s_mov_b32 s7, 0x20000
	s_movk_i32 s6, 0x4000
	s_movk_i32 s0, 0x80
	buffer_load_dwordx4 v[2:5], v18, s[4:7], 0 offen
	buffer_load_dwordx4 v[6:9], v18, s[4:7], 0 offen offset:256
	buffer_load_dwordx4 v[10:13], v18, s[4:7], s0 offen
	buffer_load_dwordx4 v[14:17], v18, s[4:7], s0 offen offset:256
.LBB396_59:
	ds_read_b64 v[20:21], v25 offset:32768
	v_add_u32_e32 v18, 0xb000, v24
	ds_read2_b64 v[32:35], v18 offset1:16
	ds_read_b64 v[40:41], v26 offset:32768
	ds_read_b64 v[26:27], v27 offset:32768
	;; [unrolled: 1-line block ×3, first 2 shown]
	v_and_b32_e32 v18, 6, v0
	v_xor_b32_e32 v23, v23, v18
	v_lshlrev_b32_e32 v23, 2, v23
	v_and_b32_e32 v0, 1, v0
	v_xor_b32_e32 v28, 0x440, v23
	v_cmp_eq_u32_e32 vcc, 0, v0
	s_waitcnt lgkmcnt(3)
	v_mfma_f32_16x16x16_bf16 a[0:3], v[20:21], v[32:33], a[0:3]
	s_mov_b32 s0, 0x1000504
	v_cndmask_b32_e32 v0, v28, v23, vcc
	v_lshl_or_b32 v0, v18, 10, v0
	v_mfma_f32_16x16x16_bf16 a[4:7], v[20:21], v[34:35], a[4:7]
	ds_read2st64_b64 v[32:35], v24 offset0:90 offset1:92
	ds_read2st64_b64 v[36:39], v29 offset0:90 offset1:92
	ds_read_b64 v[20:21], v24 offset:48128
	ds_read_b64 v[24:25], v29 offset:48128
	s_waitcnt vmcnt(0)
	v_perm_b32 v18, v2, v6, s0
	s_waitcnt lgkmcnt(3)
	v_mfma_f32_16x16x16_bf16 a[0:3], v[40:41], v[32:33], a[0:3]
	s_mov_b32 s1, 0x3020706
	v_perm_b32 v2, v2, v6, s1
	v_perm_b32 v6, v10, v14, s1
	s_waitcnt lgkmcnt(2)
	v_mfma_f32_16x16x16_bf16 a[4:7], v[40:41], v[36:37], a[4:7]
	v_mfma_f32_16x16x16_bf16 a[0:3], v[26:27], v[34:35], a[0:3]
	;; [unrolled: 1-line block ×3, first 2 shown]
	s_waitcnt lgkmcnt(1)
	v_mfma_f32_16x16x16_bf16 a[4:7], v[42:43], v[20:21], a[0:3]
	v_perm_b32 v20, v10, v14, s0
	ds_write2st64_b32 v0, v18, v20 offset0:32 offset1:64
	v_xor_b32_e32 v18, 8, v0
	v_add_u32_e32 v10, 0x80, v18
	ds_write2st64_b32 v10, v2, v6 offset0:32 offset1:64
	v_xor_b32_e32 v2, 16, v0
	v_perm_b32 v6, v3, v7, s0
	v_perm_b32 v10, v11, v15, s0
	ds_write2st64_b32 v2, v6, v10 offset0:33 offset1:65
	v_xor_b32_e32 v2, 24, v0
	v_perm_b32 v3, v3, v7, s1
	v_perm_b32 v6, v11, v15, s1
	v_add_u32_e32 v2, 0x80, v2
	ds_write2st64_b32 v2, v3, v6 offset0:33 offset1:65
	v_xor_b32_e32 v2, 32, v0
	v_perm_b32 v3, v4, v8, s0
	v_perm_b32 v6, v12, v16, s0
	s_waitcnt lgkmcnt(4)
	v_mfma_f32_16x16x16_bf16 a[0:3], v[42:43], v[24:25], a[8:11]
	ds_write2st64_b32 v2, v3, v6 offset0:34 offset1:66
	v_xor_b32_e32 v2, 40, v0
	v_perm_b32 v3, v4, v8, s1
	v_perm_b32 v4, v12, v16, s1
	v_add_u32_e32 v2, 0x80, v2
	ds_write2st64_b32 v2, v3, v4 offset0:34 offset1:66
	v_xor_b32_e32 v2, 48, v0
	v_perm_b32 v3, v5, v9, s0
	v_perm_b32 v4, v13, v17, s0
	v_xor_b32_e32 v0, 56, v0
	v_and_or_b32 v18, v30, 12, v1
	ds_write2st64_b32 v2, v3, v4 offset0:35 offset1:67
	v_perm_b32 v2, v5, v9, s1
	v_perm_b32 v3, v13, v17, s1
	v_add_u32_e32 v0, 0x80, v0
	v_cmp_gt_i32_e32 vcc, s27, v18
	v_mov_b32_e32 v14, 0
	v_mov_b32_e32 v16, 0
	ds_write2st64_b32 v0, v2, v3 offset0:35 offset1:67
	s_and_saveexec_b64 s[0:1], vcc
	s_cbranch_execz .LBB396_61
; %bb.60:
	v_add_u32_e32 v0, s26, v18
	v_ashrrev_i32_e32 v1, 31, v0
	v_mul_lo_u32 v2, v1, s28
	v_mul_lo_u32 v3, v0, s29
	v_mad_u64_u32 v[0:1], s[2:3], v0, s28, 0
	v_add3_u32 v1, v1, v3, v2
	v_lshl_add_u64 v[0:1], v[0:1], 2, s[10:11]
	global_load_dword v0, v[0:1], off
	s_waitcnt vmcnt(0)
	v_sub_f32_e32 v0, s12, v0
	v_exp_f32_e32 v16, v0
.LBB396_61:
	s_or_b64 exec, exec, s[0:1]
	v_or_b32_e32 v8, 1, v18
	v_cmp_gt_i32_e64 s[0:1], s27, v8
	s_and_saveexec_b64 s[2:3], s[0:1]
	s_cbranch_execz .LBB396_63
; %bb.62:
	v_add_u32_e32 v0, s26, v8
	v_ashrrev_i32_e32 v1, 31, v0
	v_mul_lo_u32 v2, v1, s28
	v_mul_lo_u32 v3, v0, s29
	v_mad_u64_u32 v[0:1], s[4:5], v0, s28, 0
	v_add3_u32 v1, v1, v3, v2
	v_lshl_add_u64 v[0:1], v[0:1], 2, s[10:11]
	global_load_dword v0, v[0:1], off
	s_waitcnt vmcnt(0)
	v_sub_f32_e32 v0, s12, v0
	v_exp_f32_e32 v14, v0
.LBB396_63:
	s_or_b64 exec, exec, s[2:3]
	v_or_b32_e32 v10, 2, v18
	v_cmp_gt_i32_e64 s[2:3], s27, v10
	v_mov_b32_e32 v15, 0
	v_mov_b32_e32 v17, 0
	s_and_saveexec_b64 s[4:5], s[2:3]
	s_cbranch_execz .LBB396_65
; %bb.64:
	v_add_u32_e32 v0, s26, v10
	v_ashrrev_i32_e32 v1, 31, v0
	v_mul_lo_u32 v2, v1, s28
	v_mul_lo_u32 v3, v0, s29
	v_mad_u64_u32 v[0:1], s[6:7], v0, s28, 0
	v_add3_u32 v1, v1, v3, v2
	v_lshl_add_u64 v[0:1], v[0:1], 2, s[10:11]
	global_load_dword v0, v[0:1], off
	s_waitcnt vmcnt(0)
	v_sub_f32_e32 v0, s12, v0
	v_exp_f32_e32 v17, v0
.LBB396_65:
	s_or_b64 exec, exec, s[4:5]
	v_or_b32_e32 v12, 3, v18
	v_cmp_gt_i32_e64 s[4:5], s27, v12
	s_and_saveexec_b64 s[6:7], s[4:5]
	s_cbranch_execz .LBB396_67
; %bb.66:
	v_add_u32_e32 v0, s26, v12
	v_ashrrev_i32_e32 v1, 31, v0
	v_mul_lo_u32 v2, v1, s28
	v_mul_lo_u32 v3, v0, s29
	v_mad_u64_u32 v[0:1], s[14:15], v0, s28, 0
	v_add3_u32 v1, v1, v3, v2
	v_lshl_add_u64 v[0:1], v[0:1], 2, s[10:11]
	global_load_dword v0, v[0:1], off
	s_waitcnt vmcnt(0)
	v_sub_f32_e32 v0, s12, v0
	v_exp_f32_e32 v15, v0
.LBB396_67:
	s_or_b64 exec, exec, s[6:7]
	s_add_u32 s6, s8, s20
	v_accvgpr_read_b32 v0, a4
	s_addc_u32 s7, s9, s21
	v_ashrrev_i32_e32 v63, 31, v62
	v_accvgpr_read_b32 v1, a5
	v_accvgpr_read_b32 v2, a6
	;; [unrolled: 1-line block ×3, first 2 shown]
	v_lshl_add_u64 v[4:5], v[62:63], 1, s[6:7]
	v_mov_b32_e32 v9, 0
	v_lshlrev_b32_e32 v6, 8, v18
	v_mov_b32_e32 v7, 0
	s_and_saveexec_b64 s[6:7], vcc
	s_cbranch_execz .LBB396_69
; %bb.68:
	v_mov_b32_e32 v7, 0
	v_lshl_add_u64 v[20:21], v[4:5], 0, v[6:7]
	global_load_ushort v7, v[20:21], off
	s_waitcnt vmcnt(0)
	v_lshlrev_b32_e32 v7, 16, v7
	v_sub_f32_e32 v0, v7, v0
	v_mul_f32_e32 v0, v16, v0
	v_lshrrev_b32_e32 v7, 16, v0
.LBB396_69:
	s_or_b64 exec, exec, s[6:7]
	v_lshlrev_b32_e32 v8, 8, v8
	s_and_saveexec_b64 s[6:7], s[0:1]
	s_cbranch_execz .LBB396_71
; %bb.70:
	v_mov_b32_e32 v9, 0
	v_lshl_add_u64 v[20:21], v[4:5], 0, v[8:9]
	global_load_ushort v0, v[20:21], off
	s_waitcnt vmcnt(0)
	v_lshlrev_b32_e32 v0, 16, v0
	v_sub_f32_e32 v0, v0, v1
	v_mul_f32_e32 v0, v14, v0
	v_lshrrev_b32_e32 v9, 16, v0
.LBB396_71:
	s_or_b64 exec, exec, s[6:7]
	v_mov_b32_e32 v13, 0
	v_lshlrev_b32_e32 v10, 8, v10
	v_mov_b32_e32 v11, 0
	s_and_saveexec_b64 s[6:7], s[2:3]
	s_cbranch_execz .LBB396_73
; %bb.72:
	v_mov_b32_e32 v11, 0
	v_lshl_add_u64 v[0:1], v[4:5], 0, v[10:11]
	global_load_ushort v0, v[0:1], off
	s_waitcnt vmcnt(0)
	v_lshlrev_b32_e32 v0, 16, v0
	v_sub_f32_e32 v0, v0, v2
	v_mul_f32_e32 v0, v17, v0
	v_lshrrev_b32_e32 v11, 16, v0
.LBB396_73:
	s_or_b64 exec, exec, s[6:7]
	v_lshlrev_b32_e32 v12, 8, v12
	s_and_saveexec_b64 s[6:7], s[4:5]
	s_cbranch_execz .LBB396_75
; %bb.74:
	v_mov_b32_e32 v13, 0
	v_lshl_add_u64 v[0:1], v[4:5], 0, v[12:13]
	global_load_ushort v0, v[0:1], off
	s_waitcnt vmcnt(0)
	v_lshlrev_b32_e32 v0, 16, v0
	v_sub_f32_e32 v0, v0, v3
	v_mul_f32_e32 v0, v15, v0
	v_lshrrev_b32_e32 v13, 16, v0
.LBB396_75:
	s_or_b64 exec, exec, s[6:7]
	v_lshlrev_b32_e32 v18, 5, v18
	s_mov_b32 s6, 0x5040100
	v_perm_b32 v20, v9, v7, s6
	v_or_b32_e32 v7, v18, v22
	v_accvgpr_read_b32 v0, a0
	v_perm_b32 v21, v13, v11, s6
	v_lshlrev_b32_e32 v7, 1, v7
	v_accvgpr_read_b32 v1, a1
	v_accvgpr_read_b32 v2, a2
	;; [unrolled: 1-line block ×3, first 2 shown]
	ds_write_b64 v7, v[20:21] offset:45056
	v_mov_b32_e32 v9, 0
	v_mov_b32_e32 v7, 0
	s_and_saveexec_b64 s[6:7], vcc
	s_cbranch_execz .LBB396_77
; %bb.76:
	v_mov_b32_e32 v7, 0
	v_lshl_add_u64 v[6:7], v[4:5], 0, v[6:7]
	global_load_ushort v6, v[6:7], off offset:32
	s_waitcnt vmcnt(0)
	v_lshlrev_b32_e32 v6, 16, v6
	v_sub_f32_e32 v0, v6, v0
	v_mul_f32_e32 v0, v16, v0
	v_lshrrev_b32_e32 v7, 16, v0
.LBB396_77:
	s_or_b64 exec, exec, s[6:7]
	s_and_saveexec_b64 s[6:7], s[0:1]
	s_cbranch_execz .LBB396_79
; %bb.78:
	v_mov_b32_e32 v9, 0
	v_lshl_add_u64 v[8:9], v[4:5], 0, v[8:9]
	global_load_ushort v0, v[8:9], off offset:32
	s_waitcnt vmcnt(0)
	v_lshlrev_b32_e32 v0, 16, v0
	v_sub_f32_e32 v0, v0, v1
	v_mul_f32_e32 v0, v14, v0
	v_lshrrev_b32_e32 v9, 16, v0
.LBB396_79:
	s_or_b64 exec, exec, s[6:7]
	v_mov_b32_e32 v0, 0
	v_mov_b32_e32 v1, 0
	s_and_saveexec_b64 s[0:1], s[2:3]
	s_cbranch_execz .LBB396_81
; %bb.80:
	v_mov_b32_e32 v11, 0
	v_lshl_add_u64 v[10:11], v[4:5], 0, v[10:11]
	global_load_ushort v1, v[10:11], off offset:32
	s_waitcnt vmcnt(0)
	v_lshlrev_b32_e32 v1, 16, v1
	v_sub_f32_e32 v1, v1, v2
	v_mul_f32_e32 v1, v17, v1
	v_lshrrev_b32_e32 v1, 16, v1
.LBB396_81:
	s_or_b64 exec, exec, s[0:1]
	s_and_saveexec_b64 s[0:1], s[4:5]
	s_cbranch_execz .LBB396_83
; %bb.82:
	v_mov_b32_e32 v13, 0
	v_lshl_add_u64 v[4:5], v[4:5], 0, v[12:13]
	global_load_ushort v0, v[4:5], off offset:32
	s_waitcnt vmcnt(0)
	v_lshlrev_b32_e32 v0, 16, v0
	v_sub_f32_e32 v0, v0, v3
	v_mul_f32_e32 v0, v15, v0
	v_lshrrev_b32_e32 v0, 16, v0
.LBB396_83:
	s_or_b64 exec, exec, s[0:1]
	s_mov_b32 s0, 0x5040100
	v_or_b32_e32 v2, v18, v19
	v_perm_b32 v1, v0, v1, s0
	v_perm_b32 v0, v9, v7, s0
	v_lshlrev_b32_e32 v2, 1, v2
	ds_write_b64 v2, v[0:1] offset:45056
	s_waitcnt lgkmcnt(0)
	s_barrier
.LBB396_84:
	s_endpgm
	.section	.rodata,"a",@progbits
	.p2align	6, 0x0
	.amdhsa_kernel _ZN12_GLOBAL__N_139chunk_gated_delta_rule_fwd_h_hip_kernelILi32ELb1ELb0ELb0ELb0ELb1ELb1ELb1ELb0EEEvPK12hip_bfloat16S3_S3_PKfS5_PKvPS1_S8_PvPKiSB_iiiiilll
		.amdhsa_group_segment_fixed_size 49152
		.amdhsa_private_segment_fixed_size 0
		.amdhsa_kernarg_size 136
		.amdhsa_user_sgpr_count 2
		.amdhsa_user_sgpr_dispatch_ptr 0
		.amdhsa_user_sgpr_queue_ptr 0
		.amdhsa_user_sgpr_kernarg_segment_ptr 1
		.amdhsa_user_sgpr_dispatch_id 0
		.amdhsa_user_sgpr_kernarg_preload_length 0
		.amdhsa_user_sgpr_kernarg_preload_offset 0
		.amdhsa_user_sgpr_private_segment_size 0
		.amdhsa_uses_dynamic_stack 0
		.amdhsa_enable_private_segment 0
		.amdhsa_system_sgpr_workgroup_id_x 1
		.amdhsa_system_sgpr_workgroup_id_y 1
		.amdhsa_system_sgpr_workgroup_id_z 0
		.amdhsa_system_sgpr_workgroup_info 0
		.amdhsa_system_vgpr_workitem_id 0
		.amdhsa_next_free_vgpr 160
		.amdhsa_next_free_sgpr 68
		.amdhsa_accum_offset 140
		.amdhsa_reserve_vcc 1
		.amdhsa_float_round_mode_32 0
		.amdhsa_float_round_mode_16_64 0
		.amdhsa_float_denorm_mode_32 3
		.amdhsa_float_denorm_mode_16_64 3
		.amdhsa_dx10_clamp 1
		.amdhsa_ieee_mode 1
		.amdhsa_fp16_overflow 0
		.amdhsa_tg_split 0
		.amdhsa_exception_fp_ieee_invalid_op 0
		.amdhsa_exception_fp_denorm_src 0
		.amdhsa_exception_fp_ieee_div_zero 0
		.amdhsa_exception_fp_ieee_overflow 0
		.amdhsa_exception_fp_ieee_underflow 0
		.amdhsa_exception_fp_ieee_inexact 0
		.amdhsa_exception_int_div_zero 0
	.end_amdhsa_kernel
	.section	.text._ZN12_GLOBAL__N_139chunk_gated_delta_rule_fwd_h_hip_kernelILi32ELb1ELb0ELb0ELb0ELb1ELb1ELb1ELb0EEEvPK12hip_bfloat16S3_S3_PKfS5_PKvPS1_S8_PvPKiSB_iiiiilll,"axG",@progbits,_ZN12_GLOBAL__N_139chunk_gated_delta_rule_fwd_h_hip_kernelILi32ELb1ELb0ELb0ELb0ELb1ELb1ELb1ELb0EEEvPK12hip_bfloat16S3_S3_PKfS5_PKvPS1_S8_PvPKiSB_iiiiilll,comdat
.Lfunc_end396:
	.size	_ZN12_GLOBAL__N_139chunk_gated_delta_rule_fwd_h_hip_kernelILi32ELb1ELb0ELb0ELb0ELb1ELb1ELb1ELb0EEEvPK12hip_bfloat16S3_S3_PKfS5_PKvPS1_S8_PvPKiSB_iiiiilll, .Lfunc_end396-_ZN12_GLOBAL__N_139chunk_gated_delta_rule_fwd_h_hip_kernelILi32ELb1ELb0ELb0ELb0ELb1ELb1ELb1ELb0EEEvPK12hip_bfloat16S3_S3_PKfS5_PKvPS1_S8_PvPKiSB_iiiiilll
                                        ; -- End function
	.section	.AMDGPU.csdata,"",@progbits
; Kernel info:
; codeLenInByte = 8544
; NumSgprs: 74
; NumVgprs: 140
; NumAgprs: 20
; TotalNumVgprs: 160
; ScratchSize: 0
; MemoryBound: 0
; FloatMode: 240
; IeeeMode: 1
; LDSByteSize: 49152 bytes/workgroup (compile time only)
; SGPRBlocks: 9
; VGPRBlocks: 19
; NumSGPRsForWavesPerEU: 74
; NumVGPRsForWavesPerEU: 160
; AccumOffset: 140
; Occupancy: 1
; WaveLimiterHint : 1
; COMPUTE_PGM_RSRC2:SCRATCH_EN: 0
; COMPUTE_PGM_RSRC2:USER_SGPR: 2
; COMPUTE_PGM_RSRC2:TRAP_HANDLER: 0
; COMPUTE_PGM_RSRC2:TGID_X_EN: 1
; COMPUTE_PGM_RSRC2:TGID_Y_EN: 1
; COMPUTE_PGM_RSRC2:TGID_Z_EN: 0
; COMPUTE_PGM_RSRC2:TIDIG_COMP_CNT: 0
; COMPUTE_PGM_RSRC3_GFX90A:ACCUM_OFFSET: 34
; COMPUTE_PGM_RSRC3_GFX90A:TG_SPLIT: 0
	.section	.text._ZN12_GLOBAL__N_139chunk_gated_delta_rule_fwd_h_hip_kernelILi32ELb0ELb1ELb1ELb0ELb1ELb1ELb1ELb0EEEvPK12hip_bfloat16S3_S3_PKfS5_PKvPS1_S8_PvPKiSB_iiiiilll,"axG",@progbits,_ZN12_GLOBAL__N_139chunk_gated_delta_rule_fwd_h_hip_kernelILi32ELb0ELb1ELb1ELb0ELb1ELb1ELb1ELb0EEEvPK12hip_bfloat16S3_S3_PKfS5_PKvPS1_S8_PvPKiSB_iiiiilll,comdat
	.globl	_ZN12_GLOBAL__N_139chunk_gated_delta_rule_fwd_h_hip_kernelILi32ELb0ELb1ELb1ELb0ELb1ELb1ELb1ELb0EEEvPK12hip_bfloat16S3_S3_PKfS5_PKvPS1_S8_PvPKiSB_iiiiilll ; -- Begin function _ZN12_GLOBAL__N_139chunk_gated_delta_rule_fwd_h_hip_kernelILi32ELb0ELb1ELb1ELb0ELb1ELb1ELb1ELb0EEEvPK12hip_bfloat16S3_S3_PKfS5_PKvPS1_S8_PvPKiSB_iiiiilll
	.p2align	8
	.type	_ZN12_GLOBAL__N_139chunk_gated_delta_rule_fwd_h_hip_kernelILi32ELb0ELb1ELb1ELb0ELb1ELb1ELb1ELb0EEEvPK12hip_bfloat16S3_S3_PKfS5_PKvPS1_S8_PvPKiSB_iiiiilll,@function
_ZN12_GLOBAL__N_139chunk_gated_delta_rule_fwd_h_hip_kernelILi32ELb0ELb1ELb1ELb0ELb1ELb1ELb1ELb0EEEvPK12hip_bfloat16S3_S3_PKfS5_PKvPS1_S8_PvPKiSB_iiiiilll: ; @_ZN12_GLOBAL__N_139chunk_gated_delta_rule_fwd_h_hip_kernelILi32ELb0ELb1ELb1ELb0ELb1ELb1ELb1ELb0EEEvPK12hip_bfloat16S3_S3_PKfS5_PKvPS1_S8_PvPKiSB_iiiiilll
; %bb.0:
	s_load_dwordx4 s[12:15], s[0:1], 0x5c
	s_load_dwordx2 s[34:35], s[0:1], 0x40
	s_abs_i32 s22, s3
	s_ashr_i32 s21, s3, 31
	s_load_dwordx8 s[4:11], s[0:1], 0x0
	s_load_dwordx2 s[36:37], s[0:1], 0x20
	s_load_dwordx4 s[16:19], s[0:1], 0x30
	s_waitcnt lgkmcnt(0)
	s_abs_i32 s20, s13
	v_cvt_f32_u32_e32 v1, s20
	s_sub_i32 s24, 0, s20
	s_ashr_i32 s23, s13, 31
	s_xor_b32 s21, s21, s23
	v_rcp_iflag_f32_e32 v1, v1
	v_lshrrev_b32_e32 v53, 6, v0
	v_bfe_u32 v64, v0, 4, 2
	v_lshlrev_b32_e32 v62, 4, v53
	v_mul_f32_e32 v1, 0x4f7ffffe, v1
	v_cvt_u32_f32_e32 v1, v1
	v_lshlrev_b32_e32 v18, 2, v64
	v_and_b32_e32 v63, 63, v0
	v_mov_b32_e32 v17, 0
	v_readfirstlane_b32 s25, v1
	s_mul_i32 s24, s24, s25
	s_mul_hi_u32 s24, s25, s24
	s_add_i32 s25, s25, s24
	s_mul_hi_u32 s24, s22, s25
	s_mul_i32 s25, s24, s20
	s_sub_i32 s22, s22, s25
	s_add_i32 s25, s24, 1
	s_sub_i32 s26, s22, s20
	s_cmp_ge_u32 s22, s20
	s_cselect_b32 s24, s25, s24
	s_cselect_b32 s22, s26, s22
	s_add_i32 s25, s24, 1
	s_cmp_ge_u32 s22, s20
	s_cselect_b32 s22, s25, s24
	s_xor_b32 s22, s22, s21
	s_sub_i32 s52, s22, s21
	s_abs_i32 s21, s14
	v_cvt_f32_u32_e32 v1, s21
	s_ashr_i32 s51, s12, 31
	s_lshr_b32 s22, s51, 26
	s_add_i32 s22, s12, s22
	v_rcp_iflag_f32_e32 v1, v1
	s_ashr_i32 s54, s14, 31
	s_ashr_i32 s53, s22, 6
	s_xor_b32 s22, s23, s54
	v_mul_f32_e32 v1, 0x4f7ffffe, v1
	v_cvt_u32_f32_e32 v1, v1
	s_sub_i32 s23, 0, s21
	s_mul_i32 s50, s52, s13
	s_sub_i32 s33, s3, s50
	v_readfirstlane_b32 s24, v1
	s_mul_i32 s23, s23, s24
	s_mul_hi_u32 s23, s24, s23
	s_add_i32 s24, s24, s23
	s_mul_hi_u32 s23, s20, s24
	s_mul_i32 s24, s23, s21
	s_sub_i32 s20, s20, s24
	s_add_i32 s3, s12, 63
	s_add_i32 s24, s23, 1
	s_sub_i32 s25, s20, s21
	s_cmp_ge_u32 s20, s21
	s_cselect_b32 s23, s24, s23
	s_cselect_b32 s20, s25, s20
	s_add_i32 s24, s23, 1
	s_cmp_ge_u32 s20, s21
	s_cselect_b32 s20, s24, s23
	s_xor_b32 s20, s20, s22
	s_sub_i32 s24, s20, s22
	s_abs_i32 s25, s24
	v_cvt_f32_u32_e32 v1, s25
	s_load_dwordx2 s[38:39], s[0:1], 0x80
	s_load_dwordx4 s[20:23], s[0:1], 0x70
	s_xor_b32 s0, s33, s24
	s_sub_i32 s24, 0, s25
	v_rcp_iflag_f32_e32 v1, v1
	s_abs_i32 s1, s33
	s_ashr_i32 s0, s0, 31
	s_mul_i32 s48, s52, s12
	v_mul_f32_e32 v1, 0x4f7ffffe, v1
	v_cvt_u32_f32_e32 v1, v1
	v_and_b32_e32 v65, 15, v0
	s_mul_hi_i32 s56, s52, s13
	v_lshrrev_b32_e32 v67, 3, v63
	v_readfirstlane_b32 s26, v1
	s_mul_i32 s24, s24, s26
	s_mul_hi_u32 s24, s26, s24
	s_add_i32 s26, s26, s24
	s_mul_hi_u32 s24, s1, s26
	s_mul_i32 s26, s24, s25
	s_sub_i32 s1, s1, s26
	s_add_i32 s26, s24, 1
	s_sub_i32 s27, s1, s25
	s_cmp_ge_u32 s1, s25
	s_cselect_b32 s24, s26, s24
	s_cselect_b32 s1, s27, s1
	s_add_i32 s26, s24, 1
	s_cmp_ge_u32 s1, s25
	s_cselect_b32 s1, s26, s24
	s_xor_b32 s1, s1, s0
	s_sub_i32 s57, s1, s0
	s_ashr_i32 s0, s3, 31
	s_lshr_b32 s0, s0, 26
	s_add_i32 s3, s3, s0
	v_or_b32_e32 v1, v18, v62
	s_ashr_i32 s0, s3, 6
	s_lshl_b32 s2, s2, 5
	s_mul_i32 s55, s52, s0
	v_or_b32_e32 v68, 64, v1
	s_cmp_lt_i32 s12, 64
	v_lshlrev_b32_e32 v66, 3, v0
	s_waitcnt lgkmcnt(0)
	s_mul_i32 s21, s52, s21
	s_mul_hi_u32 s49, s52, s20
	s_mul_i32 s40, s52, s20
	v_mov_b32_e32 v16, v17
	v_mov_b32_e32 v15, v17
	;; [unrolled: 1-line block ×15, first 2 shown]
	s_cbranch_scc1 .LBB397_19
; %bb.1:
	s_ashr_i32 s3, s52, 31
	s_ashr_i32 s59, s33, 31
	s_add_u32 s0, s50, s33
	s_addc_u32 s1, s56, s59
	s_mul_i32 s1, s12, s1
	s_mul_hi_u32 s24, s12, s0
	s_add_i32 s43, s24, s1
	s_mul_i32 s42, s12, s0
	s_lshl_b64 s[0:1], s[42:43], 8
	v_and_b32_e32 v70, 56, v66
	s_add_u32 s24, s6, s0
	v_lshl_or_b32 v69, v53, 3, v67
	v_lshlrev_b32_e32 v2, 1, v70
	s_addc_u32 s0, s7, s1
	v_lshl_or_b32 v71, v69, 8, v2
	s_and_b32 s25, s0, 0xffff
	s_mov_b32 s27, 0x20000
	s_movk_i32 s26, 0x4000
	s_movk_i32 s0, 0x80
	v_or_b32_e32 v72, 0x2000, v71
	buffer_load_dwordx4 v[4:7], v71, s[24:27], 0 offen
	buffer_load_dwordx4 v[8:11], v71, s[24:27], s0 offen
	;; [unrolled: 1-line block ×4, first 2 shown]
	v_lshlrev_b32_e32 v3, 3, v69
	v_and_or_b32 v17, v0, 7, v3
	v_and_b32_e32 v3, 0x78, v3
	v_lshlrev_b32_e32 v17, 4, v17
	v_xor_b32_e32 v73, v17, v3
	v_mul_lo_u32 v16, v69, s15
	v_or_b32_e32 v74, 0x1000, v73
	v_xor_b32_e32 v3, 8, v73
	s_cmpk_eq_i32 s15, 0x80
	s_mov_b32 s58, s14
	v_xor_b32_e32 v17, 8, v74
	s_cselect_b64 s[0:1], -1, 0
	s_cmpk_lg_i32 s15, 0x80
	s_waitcnt vmcnt(3)
	ds_write_b64 v73, v[4:5] offset:24576
	ds_write_b64 v3, v[6:7] offset:24576
	s_waitcnt vmcnt(2)
	ds_write_b64 v73, v[8:9] offset:32768
	ds_write_b64 v3, v[10:11] offset:32768
	;; [unrolled: 3-line block ×4, first 2 shown]
	v_lshl_add_u32 v3, v16, 1, v70
	s_cbranch_scc0 .LBB397_3
; %bb.2:
	v_lshlrev_b32_e32 v5, 1, v3
	v_add_lshl_u32 v4, v3, s15, 1
	s_lshl_b32 s26, s15, 7
	v_lshl_or_b32 v2, v69, 9, v2
	s_cbranch_execz .LBB397_4
	s_branch .LBB397_5
.LBB397_3:
                                        ; implicit-def: $vgpr4
                                        ; implicit-def: $vgpr5
                                        ; implicit-def: $sgpr26
	v_lshl_or_b32 v2, v69, 9, v2
.LBB397_4:
	v_or_b32_e32 v4, 0x100, v2
	s_movk_i32 s26, 0x4000
	v_mov_b32_e32 v5, v2
.LBB397_5:
	s_mul_hi_u32 s24, s14, s12
	s_mul_i32 s25, s54, s12
	s_add_i32 s24, s24, s25
	s_mul_i32 s25, s14, s12
	s_mul_i32 s27, s25, s3
	s_mul_hi_u32 s28, s25, s52
	s_add_i32 s27, s28, s27
	s_mul_i32 s24, s24, s52
	s_add_i32 s27, s27, s24
	s_mul_i32 s25, s25, s52
	s_ashr_i32 s60, s57, 31
	s_add_u32 s24, s25, s57
	s_addc_u32 s25, s27, s60
	s_lshl_b64 s[24:25], s[24:25], 8
	s_add_u32 s24, s4, s24
	s_addc_u32 s25, s5, s25
	s_and_b32 s25, s25, 0xffff
	s_mov_b32 s27, 0x20000
	s_movk_i32 s61, 0x80
	buffer_load_dwordx4 v[6:9], v5, s[24:27], 0 offen
	buffer_load_dwordx4 v[10:13], v5, s[24:27], s61 offen
	;; [unrolled: 1-line block ×4, first 2 shown]
	v_and_b32_e32 v4, 6, v0
	s_mul_i32 s24, s3, s12
	s_mul_hi_u32 s25, s52, s12
	v_lshlrev_b32_e32 v24, 6, v1
	v_or_b32_e32 v26, 16, v65
	v_xor_b32_e32 v27, v69, v4
	v_and_b32_e32 v5, 1, v0
	v_lshl_or_b32 v30, v65, 3, v24
	v_lshl_or_b32 v24, v26, 3, v24
	v_lshlrev_b32_e32 v27, 2, v27
	s_add_i32 s65, s25, s24
	s_add_i32 s24, s49, s21
	s_mul_i32 s3, s3, s20
	v_lshlrev_b32_e32 v19, 2, v65
	v_or_b32_e32 v77, 0xa000, v24
	v_or_b32_e32 v78, 0xb000, v24
	v_xor_b32_e32 v24, 0x440, v27
	v_cmp_eq_u32_e32 vcc, 0, v5
	s_add_i32 s41, s24, s3
	s_mul_i32 s3, s33, s23
	s_mul_hi_u32 s24, s33, s22
	v_xor_b32_e32 v28, v1, v19
	v_xor_b32_e32 v29, v68, v19
	v_cndmask_b32_e32 v5, v24, v27, vcc
	s_add_i32 s3, s24, s3
	s_mul_i32 s24, s59, s22
	s_mov_b32 s63, 0x1000504
	v_lshlrev_b32_e32 v25, 8, v65
	v_lshlrev_b32_e32 v28, 1, v28
	;; [unrolled: 1-line block ×3, first 2 shown]
	v_lshl_or_b32 v4, v4, 10, v5
	s_add_i32 s25, s3, s24
	s_lshl_b64 s[28:29], s[40:41], 2
	s_mov_b32 s64, 0x3020706
	v_or_b32_e32 v75, 0xa000, v30
	v_or_b32_e32 v76, 0xb000, v30
	;; [unrolled: 1-line block ×4, first 2 shown]
	v_xor_b32_e32 v5, 8, v4
	v_xor_b32_e32 v25, 24, v4
	;; [unrolled: 1-line block ×4, first 2 shown]
	s_mul_i32 s24, s33, s22
	s_add_u32 s3, s10, s28
	v_xor_b32_e32 v24, 16, v4
	v_xor_b32_e32 v27, 32, v4
	;; [unrolled: 1-line block ×3, first 2 shown]
	v_add_u32_e32 v5, 0x80, v5
	v_add_u32_e32 v25, 0x80, v25
	;; [unrolled: 1-line block ×4, first 2 shown]
	s_addc_u32 s26, s11, s29
	s_lshl_b64 s[24:25], s[24:25], 2
	s_add_u32 s44, s3, s24
	s_movk_i32 s3, 0xf8
	s_addc_u32 s45, s26, s25
	s_lshl_b32 s30, s15, 7
	s_movk_i32 s28, 0x100
	v_mov_b32_e32 v55, 0
	v_lshlrev_b32_e32 v54, 4, v65
	v_cmp_gt_u32_e32 vcc, s28, v0
	v_lshlrev_b32_e32 v26, 8, v26
	v_or_b32_e32 v81, v26, v28
	v_or_b32_e32 v82, v26, v29
	s_mov_b32 s62, 0
	s_movk_i32 s41, 0x1000
	s_movk_i32 s26, 0x4000
	v_add_u32_e32 v96, v62, v18
	s_mov_b32 s66, 0x7060302
	s_mov_b32 s68, 0
	v_mov_b32_e32 v107, v55
	v_mov_b32_e32 v108, v55
	;; [unrolled: 1-line block ×8, first 2 shown]
	s_waitcnt vmcnt(1)
	v_perm_b32 v33, v6, v14, s63
	s_waitcnt vmcnt(0)
	v_perm_b32 v34, v10, v20, s63
	v_perm_b32 v6, v6, v14, s64
	v_perm_b32 v10, v10, v20, s64
	v_perm_b32 v14, v7, v15, s63
	v_perm_b32 v20, v11, v21, s63
	v_perm_b32 v7, v7, v15, s64
	v_perm_b32 v11, v11, v21, s64
	v_perm_b32 v15, v8, v16, s63
	v_perm_b32 v21, v12, v22, s63
	v_perm_b32 v8, v8, v16, s64
	v_perm_b32 v12, v12, v22, s64
	v_perm_b32 v16, v9, v17, s63
	v_perm_b32 v22, v13, v23, s63
	v_perm_b32 v9, v9, v17, s64
	v_perm_b32 v13, v13, v23, s64
	ds_write2st64_b32 v4, v33, v34 offset0:32 offset1:64
	ds_write2st64_b32 v5, v6, v10 offset0:32 offset1:64
	;; [unrolled: 1-line block ×8, first 2 shown]
	v_or_b32_e32 v4, v62, v65
	v_lshlrev_b32_e32 v4, 3, v4
	v_lshrrev_b32_e32 v6, 5, v63
	v_and_or_b32 v6, v4, s3, v6
	v_lshlrev_b32_e32 v6, 4, v6
	v_lshrrev_b32_e32 v5, 2, v63
	v_lshlrev_b32_e32 v11, 11, v53
	v_and_b32_e32 v4, 0x78, v4
	v_or_b32_e32 v10, 32, v6
	v_and_b32_e32 v7, 12, v5
	v_and_b32_e32 v5, 0x1000, v11
	v_xor_b32_e32 v8, v6, v4
	v_lshrrev_b32_e32 v9, 1, v63
	v_xor_b32_e32 v10, v10, v4
	v_or_b32_e32 v8, v8, v5
	v_and_b32_e32 v9, 8, v9
	v_lshlrev_b32_e32 v12, 7, v64
	v_or_b32_e32 v10, v10, v5
	v_xor_b32_e32 v83, v8, v9
	v_or_b32_e32 v8, v12, v19
	v_xor_b32_e32 v85, v10, v9
	v_or_b32_e32 v10, 64, v6
	v_or_b32_e32 v6, 0x60, v6
	s_ashr_i32 s3, s2, 31
	v_lshlrev_b32_e32 v8, 1, v8
	v_xor_b32_e32 v10, v10, v4
	v_xor_b32_e32 v4, v6, v4
	s_lshl_b64 s[24:25], s[2:3], 8
	v_or_b32_e32 v84, 0xa000, v8
	v_or_b32_e32 v86, 0xa080, v8
	;; [unrolled: 1-line block ×6, first 2 shown]
	s_add_u32 s24, s16, s24
	v_lshlrev_b32_e32 v8, 1, v65
	v_lshlrev_b32_e32 v19, 2, v0
	v_lshrrev_b32_e32 v22, 1, v0
	v_xor_b32_e32 v87, v10, v9
	v_xor_b32_e32 v88, v4, v9
	v_lshrrev_b32_e32 v10, 4, v0
	s_addc_u32 s25, s17, s25
	v_or_b32_e32 v9, 1, v8
	v_mov_b32_e32 v20, 0x4000
	v_mov_b32_e32 v21, 0x2000
	v_and_b32_e32 v22, 24, v22
	v_and_or_b32 v12, v19, 60, v12
	v_mov_b32_e32 v19, 0xb000
	v_xor_b32_e32 v15, v10, v8
	v_xor_b32_e32 v16, v9, v10
	v_lshl_add_u64 v[8:9], s[24:25], 0, v[54:55]
	v_lshlrev_b32_e32 v54, 8, v10
	v_cndmask_b32_e32 v20, v20, v21, vcc
	v_lshlrev_b32_e32 v21, 3, v53
	v_lshl_or_b32 v93, v12, 1, v19
	v_or_b32_e32 v12, 32, v22
	v_lshl_or_b32 v91, v15, 3, v54
	v_and_b32_e32 v15, 8, v0
	v_xor_b32_e32 v12, v21, v12
	v_cmp_eq_u32_e32 vcc, 0, v15
	v_or_b32_e32 v19, 0x440, v12
	v_and_b32_e32 v10, 7, v0
	v_cndmask_b32_e32 v12, v19, v12, vcc
	v_lshl_or_b32 v92, v16, 3, v54
	v_lshlrev_b32_e32 v16, 3, v10
	v_or_b32_e32 v12, v12, v11
	v_xor_b32_e32 v19, v12, v16
	v_or_b32_e32 v12, 64, v22
	v_xor_b32_e32 v12, v21, v12
	v_xor_b32_e32 v25, 0x440, v12
	v_cndmask_b32_e32 v12, v25, v12, vcc
	v_or_b32_e32 v12, v12, v11
	v_xor_b32_e32 v25, v12, v16
	v_or_b32_e32 v12, 0x60, v22
	v_xor_b32_e32 v23, v21, v22
	v_xor_b32_e32 v12, v21, v12
	v_or_b32_e32 v24, 0x440, v23
	v_xor_b32_e32 v21, 0x440, v12
	v_cndmask_b32_e32 v15, v24, v23, vcc
	v_cndmask_b32_e32 v12, v21, v12, vcc
	v_or_b32_e32 v4, s2, v65
	v_or_b32_e32 v15, v15, v11
	;; [unrolled: 1-line block ×3, first 2 shown]
	v_ashrrev_i32_e32 v5, 31, v4
	v_lshlrev_b32_e32 v13, 1, v3
	v_add_lshl_u32 v3, v3, s15, 1
	v_or_b32_e32 v14, 0x100, v2
	v_xor_b32_e32 v15, v15, v16
	v_xor_b32_e32 v11, v11, v16
	v_lshlrev_b32_e32 v6, 7, v1
	v_lshlrev_b32_e32 v17, 7, v10
	v_or_b32_e32 v10, v7, v62
	v_add_u32_e32 v23, v20, v15
	v_add_u32_e32 v24, v20, v19
	;; [unrolled: 1-line block ×4, first 2 shown]
	v_or3_b32 v12, v62, v7, 64
	v_add_u32_e32 v7, 0x4000, v15
	v_add_u32_e32 v15, 0x4000, v19
	;; [unrolled: 1-line block ×4, first 2 shown]
	v_cndmask_b32_e64 v94, v13, v2, s[0:1]
	v_cndmask_b32_e64 v95, v3, v14, s[0:1]
	v_lshlrev_b64 v[2:3], 1, v[4:5]
	v_lshl_add_u64 v[56:57], s[8:9], 0, v[2:3]
	v_lshl_add_u64 v[58:59], s[18:19], 0, v[2:3]
	;; [unrolled: 1-line block ×3, first 2 shown]
	s_add_i32 s3, s48, 63
	v_lshlrev_b32_e32 v54, 1, v6
	v_lshlrev_b32_e32 v97, 2, v10
	v_add_u32_e32 v98, v23, v17
	v_add_u32_e32 v99, v24, v17
	;; [unrolled: 1-line block ×4, first 2 shown]
	v_lshlrev_b32_e32 v102, 2, v12
	v_add_u32_e32 v103, v7, v17
	v_add_u32_e32 v104, v15, v17
	;; [unrolled: 1-line block ×4, first 2 shown]
	v_mov_b32_e32 v2, v55
	v_mov_b32_e32 v3, v55
	;; [unrolled: 1-line block ×8, first 2 shown]
	s_waitcnt lgkmcnt(0)
	s_barrier
.LBB397_6:                              ; =>This Inner Loop Header: Depth=1
	s_add_i32 s67, s68, 1
	s_cmp_lt_i32 s67, s53
	s_mov_b64 s[28:29], 0
	s_cselect_b64 s[46:47], -1, 0
	s_cmp_ge_i32 s67, s53
	s_mov_b64 s[24:25], 0
	s_cbranch_scc1 .LBB397_8
; %bb.7:                                ;   in Loop: Header=BB397_6 Depth=1
	s_add_i32 s0, s62, 64
	s_add_u32 s0, s42, s0
	s_addc_u32 s1, s43, 0
	s_lshl_b64 s[0:1], s[0:1], 8
	s_add_u32 s24, s6, s0
	s_addc_u32 s25, s7, s1
.LBB397_8:                              ;   in Loop: Header=BB397_6 Depth=1
	v_cndmask_b32_e64 v10, 0, 1, s[46:47]
	v_cmp_ne_u32_e64 s[0:1], 1, v10
	s_andn2_b64 vcc, exec, s[46:47]
	s_cbranch_vccnz .LBB397_10
; %bb.9:                                ;   in Loop: Header=BB397_6 Depth=1
	s_add_i32 s28, s62, 64
	s_add_u32 s28, s48, s28
	s_addc_u32 s29, s65, 0
	s_mul_i32 s31, s28, s54
	s_mul_hi_u32 s46, s28, s58
	s_add_i32 s31, s46, s31
	s_mul_i32 s29, s29, s58
	s_add_i32 s31, s31, s29
	s_mul_i32 s28, s28, s58
	s_add_u32 s28, s28, s57
	s_addc_u32 s29, s31, s60
	s_lshl_b64 s[28:29], s[28:29], 8
	s_add_u32 s28, s4, s28
	s_addc_u32 s29, s5, s29
.LBB397_10:                             ;   in Loop: Header=BB397_6 Depth=1
	v_perm_b32 v11, v5, v4, s66
	v_perm_b32 v10, v3, v2, s66
	;; [unrolled: 1-line block ×4, first 2 shown]
	ds_write_b64 v75, v[10:11]
	ds_write_b64 v76, v[12:13]
	;; [unrolled: 1-line block ×4, first 2 shown]
	v_perm_b32 v11, v114, v109, s66
	v_perm_b32 v10, v108, v107, s66
	;; [unrolled: 1-line block ×4, first 2 shown]
	ds_write_b64 v77, v[10:11]
	ds_write_b64 v78, v[12:13]
	ds_write_b64 v81, v[10:11]
	ds_write_b64 v82, v[12:13]
	s_waitcnt lgkmcnt(0)
	s_barrier
	ds_read_b64 v[14:15], v83 offset:24576
	ds_read2_b64 v[10:13], v84 offset1:16
	ds_read_b64 v[18:19], v86 offset:3072
	ds_read_b64 v[20:21], v84 offset:3072
	;; [unrolled: 1-line block ×3, first 2 shown]
	s_waitcnt lgkmcnt(3)
	v_mfma_f32_16x16x16_bf16 a[0:3], v[14:15], v[10:11], 0
	s_add_i32 s31, s62, 63
	s_mul_i32 s46, s31, s39
	s_mul_hi_u32 s47, s31, s38
	v_mfma_f32_16x16x16_bf16 a[4:7], v[14:15], v[12:13], 0
	ds_read2st64_b64 v[10:13], v84 offset0:2 offset1:4
	ds_read2st64_b64 v[14:17], v86 offset0:2 offset1:4
	s_add_i32 s47, s47, s46
	s_waitcnt lgkmcnt(1)
	v_mfma_f32_16x16x16_bf16 a[0:3], v[22:23], v[10:11], a[0:3]
	s_mul_i32 s46, s31, s38
	s_lshl_b64 s[46:47], s[46:47], 2
	s_add_u32 s46, s44, s46
	s_waitcnt lgkmcnt(0)
	v_mfma_f32_16x16x16_bf16 a[4:7], v[22:23], v[14:15], a[4:7]
	ds_read_b64 v[10:11], v87 offset:24576
	ds_read_b64 v[14:15], v88 offset:24576
	s_addc_u32 s47, s45, s47
	s_and_b64 vcc, exec, s[0:1]
	s_waitcnt lgkmcnt(1)
	v_mfma_f32_16x16x16_bf16 a[0:3], v[10:11], v[12:13], a[0:3]
	v_mov_b32_e32 v117, 0
	v_mov_b32_e32 v116, 0
	;; [unrolled: 1-line block ×3, first 2 shown]
	v_mfma_f32_16x16x16_bf16 a[8:11], v[10:11], v[16:17], a[4:7]
	v_mov_b32_e32 v10, 0
	v_mov_b32_e32 v11, 0
	;; [unrolled: 1-line block ×3, first 2 shown]
	s_waitcnt lgkmcnt(0)
	v_mfma_f32_16x16x16_bf16 a[4:7], v[14:15], v[20:21], a[0:3]
	v_mov_b32_e32 v13, 0
	v_mov_b32_e32 v16, 0
	;; [unrolled: 1-line block ×3, first 2 shown]
	v_mfma_f32_16x16x16_bf16 a[0:3], v[14:15], v[18:19], a[8:11]
	v_mov_b32_e32 v14, 0
	v_mov_b32_e32 v15, 0
	;; [unrolled: 1-line block ×10, first 2 shown]
	s_cbranch_vccnz .LBB397_12
; %bb.11:                               ;   in Loop: Header=BB397_6 Depth=1
	s_and_b32 s25, s25, 0xffff
	buffer_load_dwordx4 v[22:25], v71, s[24:27], 0 offen
	buffer_load_dwordx4 v[18:21], v71, s[24:27], s61 offen
	;; [unrolled: 1-line block ×4, first 2 shown]
	v_mov_b32_e32 v116, v73
	v_mov_b32_e32 v115, v74
.LBB397_12:                             ;   in Loop: Header=BB397_6 Depth=1
	ds_read_b64 v[34:35], v83 offset:32768
	ds_read2_b64 v[26:29], v89 offset1:16
	ds_read_b64 v[36:37], v85 offset:32768
	ds_read_b64 v[38:39], v87 offset:32768
	;; [unrolled: 1-line block ×3, first 2 shown]
	ds_read2st64_b64 v[30:33], v89 offset0:2 offset1:4
	v_add_u32_e32 v42, s62, v96
	s_waitcnt lgkmcnt(4)
	v_mfma_f32_16x16x16_bf16 a[4:7], v[34:35], v[26:27], a[4:7]
	v_ashrrev_i32_e32 v26, 31, v42
	v_mfma_f32_16x16x16_bf16 a[0:3], v[34:35], v[28:29], a[0:3]
	v_mul_lo_u32 v28, v42, s39
	v_mul_lo_u32 v29, v26, s38
	v_mad_u64_u32 v[26:27], s[24:25], v42, s38, 0
	v_add3_u32 v27, v27, v28, v29
	v_add_u32_e32 v28, 1, v42
	v_ashrrev_i32_e32 v29, 31, v28
	s_waitcnt lgkmcnt(0)
	v_mfma_f32_16x16x16_bf16 a[4:7], v[36:37], v[30:31], a[4:7]
	v_mul_lo_u32 v30, v29, s38
	v_mul_lo_u32 v31, v28, s39
	v_mad_u64_u32 v[28:29], s[24:25], v28, s38, 0
	v_add3_u32 v29, v29, v31, v30
	v_add_u32_e32 v30, 2, v42
	v_ashrrev_i32_e32 v31, 31, v30
	v_mul_lo_u32 v34, v31, s38
	v_mul_lo_u32 v35, v30, s39
	v_mad_u64_u32 v[30:31], s[24:25], v30, s38, 0
	v_add3_u32 v31, v31, v35, v34
	v_add_u32_e32 v34, 3, v42
	v_ashrrev_i32_e32 v35, 31, v34
	v_mul_lo_u32 v42, v35, s38
	v_mul_lo_u32 v43, v34, s39
	v_mad_u64_u32 v[34:35], s[24:25], v34, s38, 0
	s_add_u32 s24, s42, s62
	s_addc_u32 s25, s43, 0
	s_lshl_b64 s[70:71], s[24:25], 8
	v_lshl_add_u64 v[26:27], v[26:27], 2, s[44:45]
	v_add3_u32 v35, v35, v43, v42
	v_lshl_add_u64 v[42:43], v[56:57], 0, s[70:71]
	v_lshl_add_u64 v[28:29], v[28:29], 2, s[44:45]
	;; [unrolled: 1-line block ×3, first 2 shown]
	global_load_dword v44, v[26:27], off
	global_load_ushort v45, v[42:43], off offset:256
	global_load_ushort v46, v[42:43], off
	global_load_ushort v47, v[42:43], off offset:768
	v_lshl_add_u64 v[26:27], v[34:35], 2, s[44:45]
	v_lshl_add_u64 v[30:31], v[30:31], 2, s[44:45]
	global_load_dword v48, v[28:29], off
	global_load_dword v49, v[30:31], off
	;; [unrolled: 1-line block ×3, first 2 shown]
	ds_read2st64_b64 v[26:29], v90 offset0:2 offset1:4
	s_waitcnt lgkmcnt(0)
	v_mfma_f32_16x16x16_bf16 a[0:3], v[36:37], v[26:27], a[0:3]
	global_load_ushort v36, v[42:43], off offset:512
	global_load_ushort v51, v[42:43], off offset:800
	;; [unrolled: 1-line block ×4, first 2 shown]
	s_nop 0
	global_load_ushort v42, v[42:43], off offset:32
	s_and_b64 vcc, exec, s[0:1]
	v_mfma_f32_16x16x16_bf16 a[4:7], v[38:39], v[32:33], a[4:7]
	s_waitcnt vmcnt(10)
	v_lshlrev_b32_e32 v35, 16, v45
	v_mfma_f32_16x16x16_bf16 a[0:3], v[38:39], v[28:29], a[0:3]
	ds_read_b64 v[26:27], v89 offset:3072
	ds_read_b64 v[28:29], v90 offset:3072
	s_load_dword s24, s[46:47], 0x0
	s_waitcnt vmcnt(9)
	v_lshlrev_b32_e32 v34, 16, v46
	s_waitcnt lgkmcnt(0)
	v_mfma_f32_16x16x16_bf16 a[4:7], v[40:41], v[26:27], a[4:7]
	v_lshl_add_u64 v[26:27], v[58:59], 0, s[70:71]
	v_sub_f32_e32 v38, s24, v44
	s_waitcnt vmcnt(7)
	v_sub_f32_e32 v39, s24, v48
	v_mfma_f32_16x16x16_bf16 a[0:3], v[40:41], v[28:29], a[0:3]
	s_waitcnt vmcnt(6)
	v_sub_f32_e32 v40, s24, v49
	s_waitcnt vmcnt(5)
	v_sub_f32_e32 v41, s24, v50
	v_accvgpr_read_b32 v33, a5
	v_accvgpr_read_b32 v32, a4
	v_exp_f32_e32 v38, v38
	v_pk_add_f32 v[32:33], v[34:35], v[32:33] neg_lo:[0,1] neg_hi:[0,1]
	v_exp_f32_e32 v39, v39
	v_exp_f32_e32 v34, v40
	;; [unrolled: 1-line block ×3, first 2 shown]
	v_accvgpr_read_b32 v29, a7
	v_accvgpr_read_b32 v28, a6
	v_lshlrev_b32_e32 v37, 16, v47
	s_waitcnt vmcnt(4)
	v_lshlrev_b32_e32 v36, 16, v36
	v_lshl_add_u64 v[26:27], v[26:27], 0, v[54:55]
	v_pk_add_f32 v[28:29], v[36:37], v[28:29] neg_lo:[0,1] neg_hi:[0,1]
	global_store_short_d16_hi v[26:27], v32, off
	global_store_short_d16_hi v[26:27], v33, off offset:256
	global_store_short_d16_hi v[26:27], v28, off offset:512
	global_store_short_d16_hi v[26:27], v29, off offset:768
	v_pk_mul_f32 v[32:33], v[38:39], v[32:33]
	v_pk_mul_f32 v[28:29], v[34:35], v[28:29]
	v_accvgpr_read_b32 v37, a1
	v_perm_b32 v32, v33, v32, s66
	v_perm_b32 v33, v29, v28, s66
	s_waitcnt vmcnt(5)
	v_lshlrev_b32_e32 v29, 16, v118
	s_waitcnt vmcnt(4)
	v_lshlrev_b32_e32 v28, 16, v42
	v_accvgpr_read_b32 v36, a0
	v_accvgpr_read_b32 v31, a3
	;; [unrolled: 1-line block ×3, first 2 shown]
	v_pk_add_f32 v[28:29], v[28:29], v[36:37] neg_lo:[0,1] neg_hi:[0,1]
	v_lshlrev_b32_e32 v37, 16, v51
	v_lshlrev_b32_e32 v36, 16, v52
	v_pk_add_f32 v[30:31], v[36:37], v[30:31] neg_lo:[0,1] neg_hi:[0,1]
	global_store_short_d16_hi v[26:27], v28, off offset:32
	global_store_short_d16_hi v[26:27], v29, off offset:288
	;; [unrolled: 1-line block ×4, first 2 shown]
	v_pk_mul_f32 v[26:27], v[38:39], v[28:29]
	v_pk_mul_f32 v[28:29], v[34:35], v[30:31]
	v_mov_b32_e32 v118, 0
	v_perm_b32 v29, v29, v28, s66
	v_perm_b32 v28, v27, v26, s66
	ds_write2_b64 v76, v[32:33], v[28:29] offset1:16
	v_mov_b32_e32 v26, 0
	v_mov_b32_e32 v27, 0
	;; [unrolled: 1-line block ×16, first 2 shown]
	s_cbranch_vccnz .LBB397_14
; %bb.13:                               ;   in Loop: Header=BB397_6 Depth=1
	s_and_b32 s29, s29, 0xffff
	s_mov_b32 s31, s27
	buffer_load_dwordx4 v[38:41], v94, s[28:31], 0 offen
	buffer_load_dwordx4 v[30:33], v94, s[28:31], s61 offen
	;; [unrolled: 1-line block ×4, first 2 shown]
	v_mov_b32_e32 v117, v70
	v_mov_b32_e32 v118, v69
.LBB397_14:                             ;   in Loop: Header=BB397_6 Depth=1
	s_waitcnt lgkmcnt(0)
	s_barrier
	ds_read_b64 v[46:47], v98
	ds_read_b64 v[124:125], v93
	;; [unrolled: 1-line block ×5, first 2 shown]
	ds_read_b64 v[138:139], v90 offset:3072
	ds_read2_b64 v[42:45], v89 offset0:16 offset1:128
	s_waitcnt lgkmcnt(5)
	v_mfma_f32_16x16x16_bf16 a[0:3], v[46:47], v[124:125], 0
	s_add_i32 s25, s55, s68
	s_mul_hi_i32 s29, s25, s13
	s_mul_i32 s25, s25, s13
	s_waitcnt lgkmcnt(0)
	v_mfma_f32_16x16x16_bf16 a[4:7], v[46:47], v[42:43], 0
	ds_read_b64 v[46:47], v103
	ds_read2st64_b64 v[48:51], v90 offset0:2 offset1:4
	s_add_u32 s28, s25, s33
	s_addc_u32 s29, s29, s59
	s_add_i32 s25, s3, s62
	s_lshl_b64 s[28:29], s[28:29], 15
	s_mul_hi_i32 s31, s25, s13
	s_mul_i32 s25, s25, s13
	s_add_u32 s46, s25, s33
	s_waitcnt lgkmcnt(1)
	v_mfma_f32_16x16x16_bf16 a[8:11], v[46:47], v[124:125], 0
	s_addc_u32 s47, s31, s59
	ds_read2st64_b64 v[120:123], v89 offset0:4 offset1:6
	s_lshl_b64 s[46:47], s[46:47], 9
	v_mfma_f32_16x16x16_bf16 a[0:3], v[126:127], v[44:45], a[0:3]
	s_add_u32 s46, s36, s46
	s_addc_u32 s47, s37, s47
	s_waitcnt lgkmcnt(1)
	v_mfma_f32_16x16x16_bf16 a[4:7], v[126:127], v[48:49], a[4:7]
	ds_read_b64 v[126:127], v104
	ds_read_b64 v[134:135], v105
	;; [unrolled: 1-line block ×3, first 2 shown]
	v_mfma_f32_16x16x16_bf16 a[12:15], v[46:47], v[42:43], 0
	s_waitcnt lgkmcnt(2)
	v_mfma_f32_16x16x16_bf16 a[8:11], v[126:127], v[44:45], a[8:11]
	global_load_dwordx4 v[42:45], v102, s[46:47]
	v_mfma_f32_16x16x16_bf16 a[12:15], v[126:127], v[48:49], a[12:15]
	global_load_dwordx4 v[46:49], v97, s[46:47]
	ds_read2st64_b64 v[124:127], v91 offset1:8
	s_waitcnt lgkmcnt(0)
	v_mov_b32_e32 v132, v124
	v_mfma_f32_16x16x16_bf16 a[0:3], v[128:129], v[120:121], a[0:3]
	v_mov_b32_e32 v133, v125
	v_mfma_f32_16x16x16_bf16 a[4:7], v[128:129], v[50:51], a[4:7]
	ds_read2st64_b64 v[128:131], v92 offset1:8
	v_mfma_f32_16x16x16_bf16 a[8:11], v[134:135], v[120:121], a[8:11]
	v_lshl_add_u64 v[120:121], v[60:61], 0, s[28:29]
	v_mfma_f32_16x16x16_bf16 a[16:19], v[134:135], v[50:51], a[12:15]
	v_add_co_u32_e32 v50, vcc, s41, v120
	s_waitcnt lgkmcnt(0)
	v_mov_b32_e32 v134, v128
	v_mfma_f32_16x16x16_bf16 a[0:3], v[136:137], v[122:123], a[0:3]
	v_mov_b32_e32 v135, v129
	v_mov_b32_e32 v128, v126
	;; [unrolled: 1-line block ×3, first 2 shown]
	v_mfma_f32_16x16x16_bf16 a[4:7], v[136:137], v[138:139], a[4:7]
	v_addc_co_u32_e32 v51, vcc, 0, v121, vcc
	global_store_dwordx4 v[50:51], v[128:131], off
	v_mfma_f32_16x16x16_bf16 a[12:15], v[140:141], v[122:123], a[8:11]
	s_and_b64 vcc, exec, s[0:1]
	global_store_dwordx4 v[120:121], v[132:135], off
	s_waitcnt vmcnt(3)
	v_mov_b32_e32 v52, v45
	v_mfma_f32_16x16x16_bf16 a[8:11], v[140:141], v[138:139], a[16:19]
	v_mov_b32_e32 v51, v44
	v_mov_b32_e32 v50, v43
	s_cbranch_vccnz .LBB397_16
; %bb.15:                               ;   in Loop: Header=BB397_6 Depth=1
	v_lshrrev_b32_e32 v43, 3, v117
	v_and_b32_e32 v43, 6, v43
	v_xor_b32_e32 v44, v43, v118
	v_lshlrev_b32_e32 v44, 2, v44
	v_and_b32_e32 v45, 8, v117
	v_xor_b32_e32 v117, 0x440, v44
	v_cmp_eq_u32_e32 vcc, 0, v45
	v_perm_b32 v45, v30, v26, s63
	s_nop 0
	v_cndmask_b32_e32 v44, v117, v44, vcc
	v_lshl_or_b32 v43, v43, 10, v44
	v_perm_b32 v44, v38, v34, s63
	s_barrier
	ds_write2st64_b32 v43, v44, v45 offset0:32 offset1:64
	v_xor_b32_e32 v44, 8, v43
	v_perm_b32 v34, v38, v34, s64
	v_perm_b32 v26, v30, v26, s64
	v_add_u32_e32 v30, 0x80, v44
	ds_write2st64_b32 v30, v34, v26 offset0:32 offset1:64
	v_xor_b32_e32 v26, 16, v43
	v_perm_b32 v30, v39, v35, s63
	v_perm_b32 v34, v31, v27, s63
	ds_write2st64_b32 v26, v30, v34 offset0:33 offset1:65
	v_xor_b32_e32 v26, 24, v43
	v_perm_b32 v30, v39, v35, s64
	v_perm_b32 v27, v31, v27, s64
	v_add_u32_e32 v26, 0x80, v26
	ds_write2st64_b32 v26, v30, v27 offset0:33 offset1:65
	v_xor_b32_e32 v26, 32, v43
	v_perm_b32 v27, v40, v36, s63
	v_perm_b32 v30, v32, v28, s63
	;; [unrolled: 9-line block ×3, first 2 shown]
	ds_write2st64_b32 v26, v27, v28 offset0:35 offset1:67
	v_xor_b32_e32 v26, 56, v43
	v_perm_b32 v27, v41, v37, s64
	v_perm_b32 v28, v33, v29, s64
	v_add_u32_e32 v26, 0x80, v26
	ds_write2st64_b32 v26, v27, v28 offset0:35 offset1:67
	ds_write_b64 v116, v[22:23] offset:24576
	v_xor_b32_e32 v22, 8, v116
	ds_write_b64 v22, v[24:25] offset:24576
	ds_write_b64 v116, v[18:19] offset:32768
	;; [unrolled: 1-line block ×4, first 2 shown]
	v_xor_b32_e32 v14, 8, v115
	ds_write_b64 v14, v[16:17] offset:24576
	ds_write_b64 v115, v[10:11] offset:32768
	;; [unrolled: 1-line block ×3, first 2 shown]
.LBB397_16:                             ;   in Loop: Header=BB397_6 Depth=1
	v_exp_f32_e32 v26, s24
	s_waitcnt vmcnt(2)
	v_exp_f32_e32 v28, v46
	v_exp_f32_e32 v29, v47
	;; [unrolled: 1-line block ×4, first 2 shown]
	v_accvgpr_read_b32 v21, a3
	v_accvgpr_read_b32 v19, a1
	;; [unrolled: 1-line block ×4, first 2 shown]
	v_pk_mul_f32 v[28:29], v[26:27], v[28:29] op_sel_hi:[0,1]
	v_accvgpr_read_b32 v20, a2
	v_accvgpr_read_b32 v11, a5
	v_accvgpr_read_b32 v10, a4
	v_pk_fma_f32 v[2:3], v[2:3], v[28:29], v[18:19]
	v_pk_mul_f32 v[18:19], v[26:27], v[30:31] op_sel_hi:[0,1]
	v_pk_fma_f32 v[4:5], v[4:5], v[18:19], v[20:21]
	v_fma_f32 v107, v107, v28, v10
	v_fma_f32 v108, v108, v29, v11
	v_exp_f32_e32 v10, v42
	v_exp_f32_e32 v11, v50
	;; [unrolled: 1-line block ×4, first 2 shown]
	v_accvgpr_read_b32 v12, a6
	v_accvgpr_read_b32 v25, a15
	v_accvgpr_read_b32 v17, a11
	v_accvgpr_read_b32 v24, a14
	v_accvgpr_read_b32 v23, a13
	v_accvgpr_read_b32 v22, a12
	v_accvgpr_read_b32 v16, a10
	v_accvgpr_read_b32 v15, a9
	v_accvgpr_read_b32 v14, a8
	v_fma_f32 v109, v109, v18, v12
	v_fmac_f32_e32 v13, v114, v19
	v_pk_mul_f32 v[10:11], v[26:27], v[10:11] op_sel_hi:[0,1]
	v_pk_mul_f32 v[18:19], v[26:27], v[20:21] op_sel_hi:[0,1]
	s_add_i32 s62, s62, 64
	v_pk_fma_f32 v[6:7], v[6:7], v[10:11], v[22:23]
	v_pk_fma_f32 v[8:9], v[8:9], v[18:19], v[24:25]
	v_fma_f32 v110, v110, v10, v14
	v_fma_f32 v111, v111, v11, v15
	;; [unrolled: 1-line block ×3, first 2 shown]
	s_cmp_eq_u32 s53, s67
	v_fmac_f32_e32 v17, v113, v19
	s_cbranch_scc1 .LBB397_18
; %bb.17:                               ;   in Loop: Header=BB397_6 Depth=1
	s_mov_b32 s68, s67
	v_mov_b32_e32 v114, v13
	v_mov_b32_e32 v113, v17
	s_branch .LBB397_6
.LBB397_18:
	v_mov_b32_e32 v16, v112
	v_mov_b32_e32 v15, v111
	;; [unrolled: 1-line block ×6, first 2 shown]
.LBB397_19:
	s_lshl_b32 s46, s53, 6
	s_sub_i32 s47, s12, s46
	s_cmp_gt_i32 s47, 0
	v_or_b32_e32 v34, s2, v65
	s_cbranch_scc1 .LBB397_21
; %bb.20:
	s_ashr_i32 s0, s33, 31
	s_add_u32 s28, s50, s33
	s_addc_u32 s29, s56, s0
	v_or_b32_e32 v35, s2, v65
	s_cbranch_execz .LBB397_22
	s_branch .LBB397_86
.LBB397_21:
                                        ; implicit-def: $sgpr28_sgpr29
                                        ; implicit-def: $vgpr35
.LBB397_22:
	s_ashr_i32 s41, s52, 31
	s_ashr_i32 s3, s46, 31
	s_cmpk_lg_i32 s15, 0x80
	s_cselect_b64 s[42:43], -1, 0
	s_and_b64 vcc, exec, s[42:43]
	s_cbranch_vccz .LBB397_24
; %bb.23:
	s_mul_hi_i32 s0, s52, s12
	s_add_u32 s1, s48, s46
	s_addc_u32 s0, s0, s3
	s_mul_i32 s24, s1, s54
	s_mul_hi_u32 s25, s1, s14
	s_add_i32 s24, s25, s24
	s_mul_i32 s0, s0, s14
	s_add_i32 s24, s24, s0
	s_mul_i32 s1, s1, s14
	s_ashr_i32 s0, s57, 31
	s_add_u32 s44, s1, s57
	s_addc_u32 s45, s24, s0
	s_cbranch_execz .LBB397_25
	s_branch .LBB397_26
.LBB397_24:
                                        ; implicit-def: $sgpr44_sgpr45
.LBB397_25:
	s_mul_hi_i32 s0, s52, s14
	s_mul_i32 s52, s52, s14
	s_ashr_i32 s1, s57, 31
	s_add_u32 s14, s52, s57
	s_addc_u32 s0, s0, s1
	s_mul_i32 s1, s14, s51
	s_mul_hi_u32 s24, s14, s12
	s_add_i32 s1, s24, s1
	s_mul_i32 s0, s0, s12
	s_add_i32 s1, s1, s0
	s_mul_i32 s14, s14, s12
	s_add_u32 s44, s14, s46
	s_addc_u32 s45, s1, s3
.LBB397_26:
	s_add_i32 s24, s55, s53
	s_ashr_i32 s14, s33, 31
	s_add_u32 s28, s50, s33
	s_addc_u32 s29, s56, s14
	s_mul_i32 s0, s28, s51
	s_mul_hi_u32 s1, s28, s12
	s_add_i32 s0, s1, s0
	s_mul_i32 s1, s29, s12
	s_add_i32 s1, s0, s1
	s_mul_i32 s0, s28, s12
	s_add_u32 s0, s0, s46
	v_lshlrev_b32_e32 v22, 5, v1
	v_lshlrev_b32_e32 v40, 2, v65
	s_addc_u32 s1, s1, s3
	s_mov_b32 s3, 0x7060302
	v_or_b32_e32 v25, v22, v40
	v_xor_b32_e32 v23, v1, v40
	v_perm_b32 v19, v5, v4, s3
	v_perm_b32 v18, v3, v2, s3
	;; [unrolled: 1-line block ×4, first 2 shown]
	v_lshlrev_b32_e32 v25, 1, v25
	v_xor_b32_e32 v24, v68, v40
	ds_write2st64_b64 v25, v[18:19], v[20:21] offset0:80 offset1:88
	v_lshlrev_b32_e32 v23, 1, v23
	v_lshlrev_b32_e32 v25, 8, v65
	s_lshl_b64 s[30:31], s[0:1], 8
	v_or_b32_e32 v26, v23, v25
	v_lshlrev_b32_e32 v24, 1, v24
	s_add_u32 s0, s6, s30
	ds_write_b64 v26, v[18:19]
	v_or_b32_e32 v18, v24, v25
	s_addc_u32 s1, s7, s31
	ds_write_b64 v18, v[20:21]
	v_perm_b32 v19, v13, v12, s3
	v_perm_b32 v18, v11, v10, s3
	;; [unrolled: 1-line block ×4, first 2 shown]
	v_or_b32_e32 v25, 16, v65
	s_mul_hi_i32 s3, s24, s13
	s_mul_i32 s24, s24, s13
	v_lshlrev_b32_e32 v37, 2, v25
	s_add_u32 s6, s24, s33
	v_or_b32_e32 v22, v22, v37
	s_addc_u32 s7, s3, s14
	v_lshlrev_b32_e32 v22, 1, v22
	s_ashr_i32 s3, s2, 31
	s_lshl_b64 s[6:7], s[6:7], 15
	ds_write2st64_b64 v22, v[18:19], v[20:21] offset0:80 offset1:88
	v_lshlrev_b32_e32 v22, 8, v25
	s_add_u32 s6, s16, s6
	v_or_b32_e32 v23, v23, v22
	s_addc_u32 s7, s17, s7
	s_lshl_b64 s[2:3], s[2:3], 8
	ds_write_b64 v23, v[18:19]
	v_or_b32_e32 v18, v24, v22
	s_add_u32 s2, s6, s2
	ds_write_b64 v18, v[20:21]
	v_lshrrev_b32_e32 v18, 4, v0
	s_addc_u32 s3, s7, s3
	v_lshlrev_b32_e32 v19, 1, v65
	v_lshlrev_b32_e32 v26, 4, v65
	v_mov_b32_e32 v27, 0
	v_or_b32_e32 v20, 1, v19
	v_xor_b32_e32 v19, v18, v19
	v_lshl_add_u64 v[28:29], s[2:3], 0, v[26:27]
	v_lshlrev_b32_e32 v26, 8, v18
	v_xor_b32_e32 v22, v20, v18
	v_lshl_or_b32 v18, v19, 3, v26
	s_waitcnt lgkmcnt(0)
	s_barrier
	ds_read2st64_b64 v[18:21], v18 offset1:8
	v_lshl_or_b32 v22, v22, 3, v26
	ds_read2st64_b64 v[22:25], v22 offset1:8
	v_lshl_add_u64 v[30:31], v[28:29], 0, v[26:27]
	s_movk_i32 s2, 0x1000
	s_waitcnt lgkmcnt(1)
	v_mov_b32_e32 v26, v18
	v_add_co_u32_e32 v18, vcc, s2, v30
	s_cmp_lg_u32 s47, 64
	v_mov_b32_e32 v27, v19
	v_addc_co_u32_e32 v19, vcc, 0, v31, vcc
	s_cselect_b64 s[6:7], -1, 0
	v_lshl_or_b32 v35, v53, 3, v67
	s_waitcnt lgkmcnt(0)
	v_mov_b32_e32 v28, v22
	v_mov_b32_e32 v29, v23
	;; [unrolled: 1-line block ×4, first 2 shown]
	s_mov_b32 s24, 0
	v_or_b32_e32 v38, 32, v35
	v_and_b32_e32 v36, 56, v66
	s_and_b64 vcc, exec, s[6:7]
	global_store_dwordx4 v[30:31], v[26:29], off
	global_store_dwordx4 v[18:19], v[22:25], off
	s_cbranch_vccz .LBB397_32
; %bb.27:
	s_mov_b32 s25, s24
	s_mov_b32 s26, s24
	;; [unrolled: 1-line block ×3, first 2 shown]
	v_mov_b64_e32 v[22:23], s[24:25]
	v_mov_b64_e32 v[24:25], s[26:27]
	;; [unrolled: 1-line block ×3, first 2 shown]
	v_cmp_gt_i32_e32 vcc, s47, v35
	v_mov_b64_e32 v[20:21], v[24:25]
	s_and_saveexec_b64 s[2:3], vcc
	s_cbranch_execz .LBB397_29
; %bb.28:
	v_lshlrev_b32_e32 v18, 8, v35
	v_mov_b32_e32 v19, 0
	v_lshl_add_u64 v[20:21], s[0:1], 0, v[18:19]
	v_lshlrev_b32_e32 v18, 1, v36
	v_lshl_add_u64 v[26:27], v[20:21], 0, v[18:19]
	global_load_dwordx4 v[22:25], v[26:27], off
	global_load_dwordx4 v[18:21], v[26:27], off offset:128
.LBB397_29:
	s_or_b64 exec, exec, s[2:3]
	s_mov_b32 s26, s24
	s_mov_b32 s27, s24
	;; [unrolled: 1-line block ×3, first 2 shown]
	v_mov_b64_e32 v[32:33], s[26:27]
	v_mov_b64_e32 v[30:31], s[24:25]
	;; [unrolled: 1-line block ×3, first 2 shown]
	v_cmp_gt_i32_e32 vcc, s47, v38
	v_lshlrev_b32_e32 v39, 7, v38
	v_mov_b64_e32 v[28:29], v[32:33]
	s_and_saveexec_b64 s[2:3], vcc
	s_cbranch_execz .LBB397_31
; %bb.30:
	v_lshlrev_b32_e32 v26, 1, v39
	v_mov_b32_e32 v27, 0
	v_lshl_add_u64 v[28:29], s[0:1], 0, v[26:27]
	v_lshlrev_b32_e32 v26, 1, v36
	v_lshl_add_u64 v[42:43], v[28:29], 0, v[26:27]
	global_load_dwordx4 v[30:33], v[42:43], off
	global_load_dwordx4 v[26:29], v[42:43], off offset:128
.LBB397_31:
	s_or_b64 exec, exec, s[2:3]
	v_lshrrev_b32_e32 v41, 3, v36
	v_lshlrev_b32_e32 v42, 3, v35
	v_or_b32_e32 v41, v42, v41
	v_lshlrev_b32_e32 v41, 4, v41
	v_and_b32_e32 v42, 0x78, v42
	v_xor_b32_e32 v41, v41, v42
	s_branch .LBB397_34
.LBB397_32:
                                        ; implicit-def: $vgpr41
                                        ; implicit-def: $vgpr39
                                        ; implicit-def: $vgpr22_vgpr23_vgpr24_vgpr25
                                        ; implicit-def: $vgpr18_vgpr19_vgpr20_vgpr21
                                        ; implicit-def: $vgpr30_vgpr31_vgpr32_vgpr33
                                        ; implicit-def: $vgpr26_vgpr27_vgpr28_vgpr29
	s_cbranch_execz .LBB397_34
; %bb.33:
	s_waitcnt vmcnt(0)
	v_lshlrev_b32_e32 v18, 1, v36
	v_lshl_or_b32 v39, v35, 8, v18
	s_and_b32 s1, s1, 0xffff
	s_mov_b32 s3, 0x20000
	s_movk_i32 s2, 0x4000
	v_lshl_or_b32 v41, v38, 8, v18
	s_movk_i32 s16, 0x80
	buffer_load_dwordx4 v[22:25], v39, s[0:3], 0 offen
	buffer_load_dwordx4 v[18:21], v39, s[0:3], s16 offen
	buffer_load_dwordx4 v[30:33], v41, s[0:3], 0 offen
	buffer_load_dwordx4 v[26:29], v41, s[0:3], s16 offen
	v_lshrrev_b32_e32 v39, 3, v36
	v_lshlrev_b32_e32 v41, 3, v35
	v_or_b32_e32 v39, v41, v39
	v_lshlrev_b32_e32 v39, 4, v39
	v_and_b32_e32 v41, 0x78, v41
	v_xor_b32_e32 v41, v39, v41
	v_lshlrev_b32_e32 v39, 7, v38
.LBB397_34:
	s_lshl_b64 s[0:1], s[44:45], 8
	s_add_u32 s4, s4, s0
	s_movk_i32 s0, 0x1000
	v_and_or_b32 v38, v39, s0, v41
	s_waitcnt vmcnt(1)
	ds_write_b64 v41, v[22:23] offset:24576
	v_xor_b32_e32 v22, 8, v41
	ds_write_b64 v22, v[24:25] offset:24576
	s_waitcnt vmcnt(0)
	ds_write_b64 v41, v[18:19] offset:32768
	ds_write_b64 v22, v[20:21] offset:32768
	ds_write_b64 v38, v[30:31] offset:24576
	v_xor_b32_e32 v18, 8, v38
	ds_write_b64 v18, v[32:33] offset:24576
	ds_write_b64 v38, v[26:27] offset:32768
	;; [unrolled: 1-line block ×3, first 2 shown]
	v_or_b32_e32 v18, v62, v65
	v_lshlrev_b32_e32 v18, 3, v18
	v_lshrrev_b32_e32 v19, 5, v63
	s_movk_i32 s16, 0xf8
	v_and_or_b32 v19, v18, s16, v19
	v_lshlrev_b32_e32 v23, 4, v19
	v_lshlrev_b32_e32 v41, 11, v53
	v_and_b32_e32 v24, 0x78, v18
	v_or_b32_e32 v26, 32, v23
	v_and_b32_e32 v22, 0x1000, v41
	v_lshrrev_b32_e32 v19, 1, v63
	v_xor_b32_e32 v26, v26, v24
	v_xor_b32_e32 v18, v23, v24
	v_and_b32_e32 v25, 8, v19
	v_or_b32_e32 v26, v26, v22
	v_or_b32_e32 v18, v18, v22
	v_xor_b32_e32 v45, v26, v25
	v_or_b32_e32 v26, 64, v23
	v_xor_b32_e32 v44, v18, v25
	v_xor_b32_e32 v26, v26, v24
	s_waitcnt lgkmcnt(0)
	s_barrier
	v_or_b32_e32 v28, v26, v22
	ds_read_b64 v[26:27], v44 offset:24576
	v_lshl_or_b32 v38, v64, 7, v40
	v_lshlrev_b32_e32 v42, 1, v38
	v_add_u32_e32 v18, 0xa000, v42
	ds_read2_b64 v[18:21], v18 offset1:16
	v_or_b32_e32 v23, 0x60, v23
	v_xor_b32_e32 v23, v23, v24
	s_waitcnt lgkmcnt(0)
	v_mfma_f32_16x16x16_bf16 a[0:3], v[26:27], v[18:19], 0
	v_or_b32_e32 v18, 64, v38
	v_or_b32_e32 v22, v23, v22
	v_lshlrev_b32_e32 v43, 1, v18
	v_xor_b32_e32 v46, v28, v25
	v_xor_b32_e32 v47, v22, v25
	ds_read_b64 v[28:29], v45 offset:24576
	ds_read_b64 v[30:31], v46 offset:24576
	;; [unrolled: 1-line block ×3, first 2 shown]
	v_mfma_f32_16x16x16_bf16 a[4:7], v[26:27], v[20:21], 0
	ds_read2st64_b64 v[18:21], v43 offset0:82 offset1:84
	ds_read2st64_b64 v[22:25], v42 offset0:82 offset1:84
	s_addc_u32 s5, s5, s1
	s_add_i32 s12, s12, -1
	s_add_i32 s0, s49, s21
	s_mul_i32 s41, s41, s20
	s_add_i32 s41, s0, s41
	s_mul_i32 s0, s33, s23
	s_mul_hi_u32 s1, s33, s22
	s_ashr_i32 s2, s12, 31
	s_mul_i32 s3, s12, s39
	s_mul_hi_u32 s16, s12, s38
	s_add_i32 s0, s1, s0
	s_mul_i32 s1, s14, s22
	s_add_i32 s3, s16, s3
	s_mul_i32 s2, s2, s38
	s_waitcnt lgkmcnt(1)
	v_mfma_f32_16x16x16_bf16 a[4:7], v[28:29], v[18:19], a[4:7]
	s_add_i32 s1, s0, s1
	s_add_i32 s3, s3, s2
	s_lshl_b64 s[16:17], s[40:41], 2
	s_waitcnt lgkmcnt(0)
	v_mfma_f32_16x16x16_bf16 a[0:3], v[28:29], v[22:23], a[0:3]
	s_mul_i32 s0, s33, s22
	s_add_u32 s10, s10, s16
	s_addc_u32 s11, s11, s17
	s_lshl_b64 s[0:1], s[0:1], 2
	s_mul_i32 s2, s12, s38
	s_add_u32 s10, s10, s0
	ds_read_b64 v[18:19], v42 offset:44032
	v_mfma_f32_16x16x16_bf16 a[4:7], v[30:31], v[20:21], a[4:7]
	ds_read_b64 v[20:21], v43 offset:44032
	s_addc_u32 s11, s11, s1
	s_lshl_b64 s[0:1], s[2:3], 2
	v_mfma_f32_16x16x16_bf16 a[0:3], v[30:31], v[24:25], a[0:3]
	s_add_u32 s0, s10, s0
	s_addc_u32 s1, s11, s1
	s_load_dword s16, s[0:1], 0x0
	s_waitcnt lgkmcnt(0)
	v_mfma_f32_16x16x16_bf16 a[0:3], v[32:33], v[18:19], a[0:3]
	s_and_b64 vcc, exec, s[42:43]
	v_mfma_f32_16x16x16_bf16 a[4:7], v[32:33], v[20:21], a[4:7]
	s_cbranch_vccz .LBB397_45
; %bb.35:
	v_lshlrev_b32_e32 v38, 1, v35
	s_and_b64 vcc, exec, s[6:7]
	s_cbranch_vccz .LBB397_46
; %bb.36:
	v_cmp_gt_i32_e32 vcc, s47, v38
	v_mov_b32_e32 v22, 0
	v_mov_b32_e32 v18, 0
	;; [unrolled: 1-line block ×5, first 2 shown]
	s_and_saveexec_b64 s[0:1], vcc
	s_cbranch_execz .LBB397_38
; %bb.37:
	v_mad_i64_i32 v[18:19], s[2:3], s15, v38, 0
	v_lshl_add_u64 v[18:19], v[18:19], 1, s[4:5]
	v_lshlrev_b32_e32 v20, 1, v36
	v_mov_b32_e32 v21, 0
	v_lshl_add_u64 v[18:19], v[18:19], 0, v[20:21]
	global_load_dwordx4 v[18:21], v[18:19], off
.LBB397_38:
	s_or_b64 exec, exec, s[0:1]
	v_or_b32_e32 v39, 1, v38
	v_cmp_gt_i32_e64 s[0:1], s47, v39
	v_mov_b32_e32 v23, 0
	v_mov_b32_e32 v24, 0
	;; [unrolled: 1-line block ×3, first 2 shown]
	s_and_saveexec_b64 s[2:3], s[0:1]
	s_cbranch_execz .LBB397_40
; %bb.39:
	v_mad_i64_i32 v[22:23], s[20:21], s15, v39, 0
	v_lshl_add_u64 v[22:23], v[22:23], 1, s[4:5]
	v_lshlrev_b32_e32 v24, 1, v36
	v_mov_b32_e32 v25, 0
	v_lshl_add_u64 v[22:23], v[22:23], 0, v[24:25]
	global_load_dwordx4 v[22:25], v[22:23], off
.LBB397_40:
	s_or_b64 exec, exec, s[2:3]
	v_mov_b32_e32 v33, 0
	v_mov_b32_e32 v26, 0
	;; [unrolled: 1-line block ×5, first 2 shown]
	s_and_saveexec_b64 s[2:3], vcc
	s_cbranch_execz .LBB397_42
; %bb.41:
	v_mad_i64_i32 v[26:27], s[20:21], s15, v38, 0
	v_lshl_add_u64 v[26:27], v[26:27], 1, s[4:5]
	v_lshlrev_b32_e32 v28, 1, v36
	v_mov_b32_e32 v29, 0
	v_lshl_add_u64 v[26:27], v[26:27], 0, v[28:29]
	global_load_dwordx4 v[26:29], v[26:27], off offset:128
.LBB397_42:
	s_or_b64 exec, exec, s[2:3]
	v_mov_b32_e32 v32, 0
	v_mov_b32_e32 v31, 0
	;; [unrolled: 1-line block ×3, first 2 shown]
	s_and_saveexec_b64 s[2:3], s[0:1]
	s_cbranch_execz .LBB397_44
; %bb.43:
	v_mad_i64_i32 v[30:31], s[0:1], s15, v39, 0
	v_lshl_add_u64 v[30:31], v[30:31], 1, s[4:5]
	v_lshlrev_b32_e32 v32, 1, v36
	v_mov_b32_e32 v33, 0
	v_lshl_add_u64 v[30:31], v[30:31], 0, v[32:33]
	global_load_dwordx4 v[30:33], v[30:31], off offset:128
.LBB397_44:
	s_or_b64 exec, exec, s[2:3]
	s_branch .LBB397_48
.LBB397_45:
                                        ; implicit-def: $vgpr21
                                        ; implicit-def: $vgpr25
                                        ; implicit-def: $vgpr29
                                        ; implicit-def: $vgpr33
	v_lshrrev_b32_e32 v48, 2, v63
	s_branch .LBB397_49
.LBB397_46:
                                        ; implicit-def: $vgpr21
                                        ; implicit-def: $vgpr25
                                        ; implicit-def: $vgpr29
                                        ; implicit-def: $vgpr33
	s_cbranch_execz .LBB397_48
; %bb.47:
	s_waitcnt vmcnt(0)
	v_mad_u64_u32 v[18:19], s[0:1], v38, s15, v[36:37]
	v_lshlrev_b32_e32 v38, 1, v18
	s_lshl_b32 s2, s15, 7
	s_and_b32 s1, s5, 0xffff
	s_mov_b32 s3, 0x20000
	s_mov_b32 s0, s4
	v_add_lshl_u32 v39, v18, s15, 1
	s_movk_i32 s15, 0x80
	buffer_load_dwordx4 v[18:21], v38, s[0:3], 0 offen
	buffer_load_dwordx4 v[26:29], v38, s[0:3], s15 offen
	;; [unrolled: 1-line block ×4, first 2 shown]
.LBB397_48:
	v_lshrrev_b32_e32 v48, 2, v63
	s_cbranch_execnz .LBB397_61
.LBB397_49:
	s_and_b64 vcc, exec, s[6:7]
	s_cbranch_vccz .LBB397_59
; %bb.50:
	s_waitcnt vmcnt(0)
	v_lshlrev_b32_e32 v23, 1, v35
	v_cmp_gt_i32_e32 vcc, s47, v23
	v_mov_b32_e32 v22, 0
	v_lshlrev_b32_e32 v30, 9, v35
	v_mov_b32_e32 v18, 0
	v_mov_b32_e32 v19, 0
	;; [unrolled: 1-line block ×4, first 2 shown]
	s_and_saveexec_b64 s[0:1], vcc
	s_cbranch_execz .LBB397_52
; %bb.51:
	v_mov_b32_e32 v31, 0
	v_lshl_add_u64 v[18:19], s[4:5], 0, v[30:31]
	v_lshlrev_b32_e32 v20, 1, v36
	v_mov_b32_e32 v21, v31
	v_lshl_add_u64 v[18:19], v[18:19], 0, v[20:21]
	global_load_dwordx4 v[18:21], v[18:19], off
.LBB397_52:
	s_or_b64 exec, exec, s[0:1]
	v_or_b32_e32 v23, 1, v23
	v_cmp_gt_i32_e64 s[0:1], s47, v23
	v_lshlrev_b32_e32 v38, 8, v23
	v_mov_b32_e32 v23, 0
	v_mov_b32_e32 v24, 0
	;; [unrolled: 1-line block ×3, first 2 shown]
	s_and_saveexec_b64 s[2:3], s[0:1]
	s_cbranch_execz .LBB397_54
; %bb.53:
	v_mov_b32_e32 v39, 0
	v_lshl_add_u64 v[22:23], s[4:5], 0, v[38:39]
	v_lshlrev_b32_e32 v24, 1, v36
	v_mov_b32_e32 v25, v39
	v_lshl_add_u64 v[22:23], v[22:23], 0, v[24:25]
	global_load_dwordx4 v[22:25], v[22:23], off
.LBB397_54:
	s_or_b64 exec, exec, s[2:3]
	v_mov_b32_e32 v33, 0
	v_mov_b32_e32 v26, 0
	;; [unrolled: 1-line block ×5, first 2 shown]
	s_and_saveexec_b64 s[2:3], vcc
	s_cbranch_execz .LBB397_56
; %bb.55:
	v_mov_b32_e32 v31, 0
	v_lshl_add_u64 v[26:27], s[4:5], 0, v[30:31]
	v_lshlrev_b32_e32 v30, 1, v36
	v_lshl_add_u64 v[26:27], v[26:27], 0, v[30:31]
	global_load_dwordx4 v[26:29], v[26:27], off offset:128
.LBB397_56:
	s_or_b64 exec, exec, s[2:3]
	v_mov_b32_e32 v32, 0
	v_mov_b32_e32 v31, 0
	;; [unrolled: 1-line block ×3, first 2 shown]
	s_and_saveexec_b64 s[2:3], s[0:1]
	s_cbranch_execz .LBB397_58
; %bb.57:
	v_mov_b32_e32 v39, 0
	v_lshl_add_u64 v[30:31], s[4:5], 0, v[38:39]
	v_lshlrev_b32_e32 v38, 1, v36
	v_lshl_add_u64 v[30:31], v[30:31], 0, v[38:39]
	global_load_dwordx4 v[30:33], v[30:31], off offset:128
.LBB397_58:
	s_or_b64 exec, exec, s[2:3]
	s_branch .LBB397_61
.LBB397_59:
                                        ; implicit-def: $vgpr21
                                        ; implicit-def: $vgpr25
                                        ; implicit-def: $vgpr29
                                        ; implicit-def: $vgpr33
	s_cbranch_execz .LBB397_61
; %bb.60:
	s_waitcnt vmcnt(0)
	v_lshlrev_b32_e32 v18, 1, v36
	v_lshl_or_b32 v36, v35, 9, v18
	s_and_b32 s5, s5, 0xffff
	s_mov_b32 s7, 0x20000
	s_movk_i32 s6, 0x4000
	s_movk_i32 s0, 0x80
	buffer_load_dwordx4 v[18:21], v36, s[4:7], 0 offen
	buffer_load_dwordx4 v[22:25], v36, s[4:7], 0 offen offset:256
	buffer_load_dwordx4 v[26:29], v36, s[4:7], s0 offen
	buffer_load_dwordx4 v[30:33], v36, s[4:7], s0 offen offset:256
.LBB397_61:
	ds_read_b64 v[38:39], v44 offset:32768
	v_add_u32_e32 v36, 0xb000, v42
	ds_read2_b64 v[54:57], v36 offset1:16
	ds_read_b64 v[50:51], v45 offset:32768
	ds_read_b64 v[58:59], v46 offset:32768
	;; [unrolled: 1-line block ×3, first 2 shown]
	ds_read2st64_b64 v[44:47], v42 offset0:90 offset1:92
	v_and_b32_e32 v36, 12, v48
	v_and_b32_e32 v48, 6, v0
	v_xor_b32_e32 v35, v35, v48
	v_lshlrev_b32_e32 v35, 2, v35
	s_mov_b32 s0, 0x1000504
	s_waitcnt lgkmcnt(4)
	v_mfma_f32_16x16x16_bf16 a[0:3], v[38:39], v[54:55], a[0:3]
	s_mov_b32 s1, 0x3020706
	v_mfma_f32_16x16x16_bf16 a[4:7], v[38:39], v[56:57], a[4:7]
	ds_read2st64_b64 v[54:57], v43 offset0:90 offset1:92
	s_waitcnt lgkmcnt(1)
	v_mfma_f32_16x16x16_bf16 a[0:3], v[50:51], v[44:45], a[0:3]
	ds_read_b64 v[38:39], v42 offset:48128
	ds_read_b64 v[44:45], v43 offset:48128
	s_waitcnt lgkmcnt(2)
	v_mfma_f32_16x16x16_bf16 a[4:7], v[50:51], v[54:55], a[4:7]
	v_mfma_f32_16x16x16_bf16 a[0:3], v[58:59], v[46:47], a[0:3]
	v_and_b32_e32 v46, 1, v0
	v_xor_b32_e32 v47, 0x440, v35
	v_cmp_eq_u32_e32 vcc, 0, v46
	v_mfma_f32_16x16x16_bf16 a[8:11], v[58:59], v[56:57], a[4:7]
	s_nop 0
	v_cndmask_b32_e32 v35, v47, v35, vcc
	v_lshl_or_b32 v35, v48, 10, v35
	s_waitcnt lgkmcnt(1)
	v_mfma_f32_16x16x16_bf16 a[4:7], v[60:61], v[38:39], a[0:3]
	s_waitcnt vmcnt(0)
	v_perm_b32 v38, v18, v22, s0
	v_perm_b32 v39, v26, v30, s0
	ds_write2st64_b32 v35, v38, v39 offset0:32 offset1:64
	v_xor_b32_e32 v38, 8, v35
	v_perm_b32 v18, v18, v22, s1
	v_perm_b32 v22, v26, v30, s1
	v_add_u32_e32 v26, 0x80, v38
	ds_write2st64_b32 v26, v18, v22 offset0:32 offset1:64
	v_xor_b32_e32 v18, 16, v35
	v_perm_b32 v22, v19, v23, s0
	v_perm_b32 v26, v27, v31, s0
	ds_write2st64_b32 v18, v22, v26 offset0:33 offset1:65
	v_xor_b32_e32 v18, 24, v35
	v_perm_b32 v19, v19, v23, s1
	v_perm_b32 v22, v27, v31, s1
	v_add_u32_e32 v18, 0x80, v18
	ds_write2st64_b32 v18, v19, v22 offset0:33 offset1:65
	v_xor_b32_e32 v18, 32, v35
	v_perm_b32 v19, v20, v24, s0
	v_perm_b32 v22, v28, v32, s0
	ds_write2st64_b32 v18, v19, v22 offset0:34 offset1:66
	v_xor_b32_e32 v18, 40, v35
	s_waitcnt lgkmcnt(5)
	v_mfma_f32_16x16x16_bf16 a[0:3], v[60:61], v[44:45], a[8:11]
	v_perm_b32 v19, v20, v24, s1
	v_perm_b32 v20, v28, v32, s1
	v_add_u32_e32 v18, 0x80, v18
	ds_write2st64_b32 v18, v19, v20 offset0:34 offset1:66
	v_xor_b32_e32 v18, 48, v35
	v_perm_b32 v19, v21, v25, s0
	v_perm_b32 v20, v29, v33, s0
	ds_write2st64_b32 v18, v19, v20 offset0:35 offset1:67
	v_xor_b32_e32 v18, 56, v35
	v_or_b32_e32 v38, v36, v62
	v_perm_b32 v19, v21, v25, s1
	v_perm_b32 v20, v29, v33, s1
	v_add_u32_e32 v18, 0x80, v18
	v_cmp_gt_i32_e64 s[0:1], s47, v38
	v_mov_b32_e32 v44, 0
	v_mov_b32_e32 v45, 0
	ds_write2st64_b32 v18, v19, v20 offset0:35 offset1:67
	s_and_saveexec_b64 s[2:3], s[0:1]
	s_cbranch_execz .LBB397_63
; %bb.62:
	v_add_u32_e32 v18, s46, v38
	v_ashrrev_i32_e32 v19, 31, v18
	v_mul_lo_u32 v20, v19, s38
	v_mul_lo_u32 v21, v18, s39
	v_mad_u64_u32 v[18:19], s[4:5], v18, s38, 0
	v_add3_u32 v19, v19, v21, v20
	v_lshl_add_u64 v[18:19], v[18:19], 2, s[10:11]
	global_load_dword v18, v[18:19], off
	s_waitcnt vmcnt(0)
	v_sub_f32_e32 v18, s16, v18
	v_exp_f32_e32 v45, v18
.LBB397_63:
	s_or_b64 exec, exec, s[2:3]
	v_or_b32_e32 v30, 1, v38
	v_cmp_gt_i32_e64 s[4:5], s47, v30
	s_and_saveexec_b64 s[2:3], s[4:5]
	s_cbranch_execz .LBB397_65
; %bb.64:
	v_add_u32_e32 v18, s46, v30
	v_ashrrev_i32_e32 v19, 31, v18
	v_mul_lo_u32 v20, v19, s38
	v_mul_lo_u32 v21, v18, s39
	v_mad_u64_u32 v[18:19], s[6:7], v18, s38, 0
	v_add3_u32 v19, v19, v21, v20
	v_lshl_add_u64 v[18:19], v[18:19], 2, s[10:11]
	global_load_dword v18, v[18:19], off
	s_waitcnt vmcnt(0)
	v_sub_f32_e32 v18, s16, v18
	v_exp_f32_e32 v44, v18
.LBB397_65:
	s_or_b64 exec, exec, s[2:3]
	v_or_b32_e32 v28, 2, v38
	v_cmp_gt_i32_e64 s[2:3], s47, v28
	v_mov_b32_e32 v39, 0
	v_mov_b32_e32 v46, 0
	s_and_saveexec_b64 s[6:7], s[2:3]
	s_cbranch_execz .LBB397_67
; %bb.66:
	v_add_u32_e32 v18, s46, v28
	v_ashrrev_i32_e32 v19, 31, v18
	v_mul_lo_u32 v20, v19, s38
	v_mul_lo_u32 v21, v18, s39
	v_mad_u64_u32 v[18:19], s[20:21], v18, s38, 0
	v_add3_u32 v19, v19, v21, v20
	v_lshl_add_u64 v[18:19], v[18:19], 2, s[10:11]
	global_load_dword v18, v[18:19], off
	s_waitcnt vmcnt(0)
	v_sub_f32_e32 v18, s16, v18
	v_exp_f32_e32 v46, v18
.LBB397_67:
	s_or_b64 exec, exec, s[6:7]
	v_or_b32_e32 v29, 3, v38
	v_cmp_gt_i32_e32 vcc, s47, v29
	s_and_saveexec_b64 s[6:7], vcc
	s_cbranch_execz .LBB397_69
; %bb.68:
	v_add_u32_e32 v18, s46, v29
	v_ashrrev_i32_e32 v19, 31, v18
	v_mul_lo_u32 v20, v19, s38
	v_mul_lo_u32 v21, v18, s39
	v_mad_u64_u32 v[18:19], s[20:21], v18, s38, 0
	v_add3_u32 v19, v19, v21, v20
	v_lshl_add_u64 v[18:19], v[18:19], 2, s[10:11]
	global_load_dword v18, v[18:19], off
	s_waitcnt vmcnt(0)
	v_sub_f32_e32 v18, s16, v18
	v_exp_f32_e32 v39, v18
.LBB397_69:
	s_or_b64 exec, exec, s[6:7]
	s_add_u32 s6, s8, s30
	s_addc_u32 s7, s9, s31
	s_add_u32 s8, s18, s30
	v_ashrrev_i32_e32 v35, 31, v34
	v_accvgpr_read_b32 v21, a7
	s_addc_u32 s9, s19, s31
	v_lshlrev_b64 v[22:23], 1, v[34:35]
	v_accvgpr_read_b32 v20, a6
	v_accvgpr_read_b32 v19, a5
	;; [unrolled: 1-line block ×3, first 2 shown]
	v_lshl_add_u64 v[24:25], s[6:7], 0, v[22:23]
	v_lshl_add_u64 v[22:23], s[8:9], 0, v[22:23]
	v_mov_b32_e32 v31, 0
	v_lshlrev_b32_e32 v26, 8, v38
	v_mov_b32_e32 v27, 0
	s_and_saveexec_b64 s[6:7], s[0:1]
	s_cbranch_execz .LBB397_71
; %bb.70:
	v_mov_b32_e32 v27, 0
	v_lshl_add_u64 v[32:33], v[24:25], 0, v[26:27]
	global_load_ushort v35, v[32:33], off
	v_lshl_add_u64 v[32:33], v[22:23], 0, v[26:27]
	s_waitcnt vmcnt(0)
	v_lshlrev_b32_e32 v27, 16, v35
	v_sub_f32_e32 v18, v27, v18
	global_store_short_d16_hi v[32:33], v18, off
	v_mul_f32_e32 v18, v45, v18
	v_lshrrev_b32_e32 v27, 16, v18
.LBB397_71:
	s_or_b64 exec, exec, s[6:7]
	v_lshlrev_b32_e32 v30, 8, v30
	s_and_saveexec_b64 s[6:7], s[4:5]
	s_cbranch_execz .LBB397_73
; %bb.72:
	v_mov_b32_e32 v31, 0
	v_lshl_add_u64 v[32:33], v[24:25], 0, v[30:31]
	global_load_ushort v18, v[32:33], off
	v_lshl_add_u64 v[32:33], v[22:23], 0, v[30:31]
	s_waitcnt vmcnt(0)
	v_lshlrev_b32_e32 v18, 16, v18
	v_sub_f32_e32 v18, v18, v19
	global_store_short_d16_hi v[32:33], v18, off
	v_mul_f32_e32 v18, v44, v18
	v_lshrrev_b32_e32 v31, 16, v18
.LBB397_73:
	s_or_b64 exec, exec, s[6:7]
	v_mov_b32_e32 v47, 0
	v_lshlrev_b32_e32 v32, 8, v28
	v_mov_b32_e32 v33, 0
	s_and_saveexec_b64 s[6:7], s[2:3]
	s_cbranch_execz .LBB397_75
; %bb.74:
	v_mov_b32_e32 v33, 0
	v_lshl_add_u64 v[18:19], v[24:25], 0, v[32:33]
	global_load_ushort v28, v[18:19], off
	v_lshl_add_u64 v[18:19], v[22:23], 0, v[32:33]
	s_waitcnt vmcnt(0)
	v_lshlrev_b32_e32 v28, 16, v28
	v_sub_f32_e32 v20, v28, v20
	global_store_short_d16_hi v[18:19], v20, off
	v_mul_f32_e32 v18, v46, v20
	v_lshrrev_b32_e32 v33, 16, v18
.LBB397_75:
	s_or_b64 exec, exec, s[6:7]
	v_lshlrev_b32_e32 v28, 8, v29
	s_and_saveexec_b64 s[6:7], vcc
	s_cbranch_execz .LBB397_77
; %bb.76:
	v_mov_b32_e32 v29, 0
	v_lshl_add_u64 v[18:19], v[24:25], 0, v[28:29]
	global_load_ushort v20, v[18:19], off
	v_lshl_add_u64 v[18:19], v[22:23], 0, v[28:29]
	s_waitcnt vmcnt(0)
	v_lshlrev_b32_e32 v20, 16, v20
	v_sub_f32_e32 v20, v20, v21
	global_store_short_d16_hi v[18:19], v20, off
	v_mul_f32_e32 v18, v39, v20
	v_lshrrev_b32_e32 v47, 16, v18
.LBB397_77:
	s_or_b64 exec, exec, s[6:7]
	v_lshlrev_b32_e32 v35, 5, v38
	s_mov_b32 s6, 0x5040100
	v_perm_b32 v48, v31, v27, s6
	v_or_b32_e32 v27, v35, v40
	v_accvgpr_read_b32 v21, a3
	v_perm_b32 v49, v47, v33, s6
	v_lshlrev_b32_e32 v27, 1, v27
	v_accvgpr_read_b32 v20, a2
	v_accvgpr_read_b32 v19, a1
	v_accvgpr_read_b32 v18, a0
	ds_write_b64 v27, v[48:49] offset:45056
	v_mov_b32_e32 v31, 0
	v_mov_b32_e32 v27, 0
	s_and_saveexec_b64 s[6:7], s[0:1]
	s_cbranch_execz .LBB397_79
; %bb.78:
	v_mov_b32_e32 v27, 0
	v_lshl_add_u64 v[48:49], v[24:25], 0, v[26:27]
	global_load_ushort v29, v[48:49], off offset:32
	v_lshl_add_u64 v[26:27], v[22:23], 0, v[26:27]
	s_waitcnt vmcnt(0)
	v_lshlrev_b32_e32 v29, 16, v29
	v_sub_f32_e32 v18, v29, v18
	global_store_short_d16_hi v[26:27], v18, off offset:32
	v_mul_f32_e32 v18, v45, v18
	v_lshrrev_b32_e32 v27, 16, v18
.LBB397_79:
	s_or_b64 exec, exec, s[6:7]
	s_and_saveexec_b64 s[0:1], s[4:5]
	s_cbranch_execz .LBB397_81
; %bb.80:
	v_mov_b32_e32 v31, 0
	v_lshl_add_u64 v[48:49], v[24:25], 0, v[30:31]
	global_load_ushort v18, v[48:49], off offset:32
	v_lshl_add_u64 v[30:31], v[22:23], 0, v[30:31]
	s_waitcnt vmcnt(0)
	v_lshlrev_b32_e32 v18, 16, v18
	v_sub_f32_e32 v18, v18, v19
	global_store_short_d16_hi v[30:31], v18, off offset:32
	v_mul_f32_e32 v18, v44, v18
	v_lshrrev_b32_e32 v31, 16, v18
.LBB397_81:
	s_or_b64 exec, exec, s[0:1]
	v_mov_b32_e32 v26, 0
	v_mov_b32_e32 v30, 0
	s_and_saveexec_b64 s[0:1], s[2:3]
	s_cbranch_execz .LBB397_83
; %bb.82:
	v_mov_b32_e32 v33, 0
	v_lshl_add_u64 v[18:19], v[24:25], 0, v[32:33]
	global_load_ushort v29, v[18:19], off offset:32
	v_lshl_add_u64 v[18:19], v[22:23], 0, v[32:33]
	s_waitcnt vmcnt(0)
	v_lshlrev_b32_e32 v29, 16, v29
	v_sub_f32_e32 v20, v29, v20
	global_store_short_d16_hi v[18:19], v20, off offset:32
	v_mul_f32_e32 v18, v46, v20
	v_lshrrev_b32_e32 v30, 16, v18
.LBB397_83:
	s_or_b64 exec, exec, s[0:1]
	v_or_b32_e32 v19, 0xb000, v42
	v_or_b32_e32 v18, 0xb000, v43
	s_and_saveexec_b64 s[0:1], vcc
	s_cbranch_execz .LBB397_85
; %bb.84:
	v_mov_b32_e32 v29, 0
	v_lshl_add_u64 v[24:25], v[24:25], 0, v[28:29]
	global_load_ushort v20, v[24:25], off offset:32
	v_lshl_add_u64 v[22:23], v[22:23], 0, v[28:29]
	s_waitcnt vmcnt(0)
	v_lshlrev_b32_e32 v20, 16, v20
	v_sub_f32_e32 v20, v20, v21
	global_store_short_d16_hi v[22:23], v20, off offset:32
	v_mul_f32_e32 v20, v39, v20
	v_lshrrev_b32_e32 v26, 16, v20
.LBB397_85:
	s_or_b64 exec, exec, s[0:1]
	s_mov_b32 s0, 0x5040100
	v_or_b32_e32 v22, v35, v37
	v_perm_b32 v21, v26, v30, s0
	v_perm_b32 v20, v31, v27, s0
	v_lshlrev_b32_e32 v22, 1, v22
	s_movk_i32 s2, 0x100
	ds_write_b64 v22, v[20:21] offset:45056
	v_and_b32_e32 v20, 7, v0
	v_and_b32_e32 v21, 8, v0
	v_cmp_gt_u32_e32 vcc, s2, v0
	v_lshrrev_b32_e32 v0, 1, v0
	v_lshlrev_b32_e32 v26, 3, v20
	v_lshlrev_b32_e32 v35, 7, v20
	v_mov_b32_e32 v20, 0x4000
	v_mov_b32_e32 v22, 0x2000
	v_lshlrev_b32_e32 v24, 3, v53
	v_and_b32_e32 v0, 24, v0
	v_cndmask_b32_e32 v27, v20, v22, vcc
	v_xor_b32_e32 v20, v24, v0
	v_or_b32_e32 v22, 0x440, v20
	v_cmp_eq_u32_e32 vcc, 0, v21
	v_or_b32_e32 v28, 32, v0
	v_xor_b32_e32 v28, v24, v28
	v_cndmask_b32_e32 v20, v22, v20, vcc
	v_or_b32_e32 v20, v20, v41
	v_xor_b32_e32 v48, v20, v26
	v_or_b32_e32 v29, 0x440, v28
	v_add3_u32 v25, v27, v48, v35
	v_cndmask_b32_e32 v28, v29, v28, vcc
	v_or_b32_e32 v29, 64, v0
	v_or_b32_e32 v0, 0x60, v0
	s_waitcnt lgkmcnt(0)
	s_barrier
	v_xor_b32_e32 v29, v24, v29
	v_xor_b32_e32 v0, v24, v0
	ds_read_b64 v[24:25], v25
	v_xor_b32_e32 v30, 0x440, v29
	ds_read2_b64 v[20:23], v19 offset1:16
	v_cndmask_b32_e32 v29, v30, v29, vcc
	v_xor_b32_e32 v30, 0x440, v0
	v_or_b32_e32 v28, v28, v41
	v_or_b32_e32 v29, v29, v41
	v_cndmask_b32_e32 v0, v30, v0, vcc
	v_xor_b32_e32 v49, v28, v26
	v_xor_b32_e32 v50, v29, v26
	v_or_b32_e32 v0, v0, v41
	s_add_i32 s0, s12, s48
	v_add3_u32 v28, v27, v49, v35
	v_add3_u32 v29, v27, v50, v35
	v_xor_b32_e32 v51, v0, v26
	s_mul_hi_i32 s1, s0, s13
	s_mul_i32 s0, s0, s13
	v_add3_u32 v0, v27, v51, v35
	ds_read_b64 v[26:27], v28
	ds_read_b64 v[32:33], v29
	;; [unrolled: 1-line block ×3, first 2 shown]
	ds_read2st64_b64 v[28:31], v19 offset0:2 offset1:4
	ds_read2st64_b64 v[40:43], v18 offset0:2 offset1:4
	s_add_u32 s0, s0, s33
	s_waitcnt lgkmcnt(5)
	v_mfma_f32_16x16x16_bf16 a[0:3], v[24:25], v[20:21], 0
	s_addc_u32 s1, s1, s14
	s_lshl_b64 s[0:1], s[0:1], 9
	s_add_u32 s0, s36, s0
	v_mfma_f32_16x16x16_bf16 a[4:7], v[24:25], v[22:23], 0
	s_addc_u32 s1, s37, s1
	v_lshlrev_b32_e32 v0, 2, v38
	v_add_u32_e32 v48, v48, v35
	s_waitcnt lgkmcnt(1)
	v_mfma_f32_16x16x16_bf16 a[0:3], v[26:27], v[28:29], a[0:3]
	v_add_u32_e32 v50, v50, v35
	s_waitcnt lgkmcnt(0)
	v_mfma_f32_16x16x16_bf16 a[4:7], v[26:27], v[40:41], a[4:7]
	global_load_dwordx4 v[24:27], v0, s[0:1]
	v_lshlrev_b32_e32 v0, 6, v53
	s_waitcnt vmcnt(0)
	v_exp_f32_e32 v26, v26
	v_mfma_f32_16x16x16_bf16 a[0:3], v[32:33], v[30:31], a[0:3]
	v_exp_f32_e32 v27, v27
	v_mfma_f32_16x16x16_bf16 a[4:7], v[32:33], v[42:43], a[4:7]
	ds_read_b64 v[32:33], v19 offset:3072
	ds_read_b64 v[46:47], v18 offset:3072
	v_lshlrev_b32_e32 v18, 2, v36
	v_or3_b32 v0, v0, v18, s2
	global_load_dwordx4 v[36:39], v0, s[0:1]
	v_exp_f32_e32 v18, v24
	v_exp_f32_e32 v19, v25
	ds_read_b64 v[24:25], v48 offset:16384
	s_waitcnt lgkmcnt(2)
	v_mfma_f32_16x16x16_bf16 a[0:3], v[44:45], v[32:33], a[0:3]
	v_exp_f32_e32 v0, s16
	s_nop 0
	v_pk_mul_f32 v[54:55], v[0:1], v[18:19] op_sel_hi:[0,1]
	s_waitcnt lgkmcnt(1)
	v_mfma_f32_16x16x16_bf16 a[4:7], v[44:45], v[46:47], a[4:7]
	v_add_u32_e32 v44, v49, v35
	s_nop 0
	v_accvgpr_read_b32 v19, a1
	v_accvgpr_read_b32 v45, a3
	v_add_u32_e32 v35, v51, v35
	ds_read_b64 v[48:49], v44 offset:16384
	ds_read_b64 v[50:51], v50 offset:16384
	;; [unrolled: 1-line block ×3, first 2 shown]
	v_accvgpr_read_b32 v44, a2
	v_accvgpr_read_b32 v18, a0
	s_waitcnt lgkmcnt(3)
	v_mfma_f32_16x16x16_bf16 a[0:3], v[24:25], v[22:23], 0
	v_pk_fma_f32 v[18:19], v[2:3], v[54:55], v[18:19]
	v_pk_mul_f32 v[2:3], v[0:1], v[26:27] op_sel_hi:[0,1]
	v_mov_b32_e32 v35, v34
	v_mfma_f32_16x16x16_bf16 a[8:11], v[24:25], v[20:21], 0
	v_pk_fma_f32 v[20:21], v[4:5], v[2:3], v[44:45]
	v_accvgpr_read_b32 v4, a4
	v_fma_f32 v26, v10, v54, v4
	s_waitcnt lgkmcnt(2)
	v_mfma_f32_16x16x16_bf16 a[0:3], v[48:49], v[40:41], a[0:3]
	v_accvgpr_read_b32 v4, a5
	v_fma_f32 v27, v11, v55, v4
	v_accvgpr_read_b32 v4, a6
	v_mfma_f32_16x16x16_bf16 a[8:11], v[48:49], v[28:29], a[8:11]
	v_accvgpr_read_b32 v29, a7
	v_fma_f32 v28, v12, v2, v4
	v_fmac_f32_e32 v29, v13, v3
	s_waitcnt lgkmcnt(1)
	v_mfma_f32_16x16x16_bf16 a[0:3], v[50:51], v[42:43], a[0:3]
	s_waitcnt vmcnt(0)
	v_mov_b32_e32 v2, v37
	v_mfma_f32_16x16x16_bf16 a[8:11], v[50:51], v[30:31], a[8:11]
	v_mov_b32_e32 v3, v38
	v_mov_b32_e32 v4, v39
	v_exp_f32_e32 v10, v36
	v_exp_f32_e32 v11, v2
	;; [unrolled: 1-line block ×4, first 2 shown]
	s_waitcnt lgkmcnt(0)
	v_mfma_f32_16x16x16_bf16 a[0:3], v[52:53], v[46:47], a[0:3]
	v_pk_mul_f32 v[10:11], v[0:1], v[10:11] op_sel_hi:[0,1]
	v_pk_mul_f32 v[2:3], v[0:1], v[2:3] op_sel_hi:[0,1]
	v_mfma_f32_16x16x16_bf16 a[4:7], v[52:53], v[32:33], a[8:11]
	s_nop 3
	v_accvgpr_read_b32 v0, a0
	v_fma_f32 v30, v14, v10, v0
	v_accvgpr_read_b32 v0, a1
	v_fma_f32 v31, v15, v11, v0
	v_accvgpr_read_b32 v13, a5
	v_accvgpr_read_b32 v5, a7
	;; [unrolled: 1-line block ×6, first 2 shown]
	v_pk_fma_f32 v[22:23], v[6:7], v[10:11], v[12:13]
	v_pk_fma_f32 v[24:25], v[8:9], v[2:3], v[4:5]
	v_fma_f32 v32, v16, v2, v0
	v_fmac_f32_e32 v33, v17, v3
	v_mov_b64_e32 v[2:3], v[18:19]
	v_mov_b64_e32 v[4:5], v[20:21]
	;; [unrolled: 1-line block ×8, first 2 shown]
.LBB397_86:
	s_lshl_b64 s[0:1], s[28:29], 16
	s_add_u32 s0, s34, s0
	v_lshlrev_b32_e32 v18, 7, v35
	s_addc_u32 s1, s35, s1
	v_ashrrev_i32_e32 v19, 31, v18
	v_lshl_add_u64 v[20:21], v[18:19], 2, s[0:1]
	v_lshlrev_b32_e32 v0, 2, v1
	v_mov_b32_e32 v1, 0
	v_lshl_add_u64 v[20:21], v[20:21], 0, v[0:1]
	global_store_dwordx4 v[20:21], v[2:5], off
	global_store_dwordx4 v[20:21], v[6:9], off offset:256
	s_nop 0
	v_or_b32_e32 v2, 0x800, v18
	v_ashrrev_i32_e32 v3, 31, v2
	v_lshl_add_u64 v[2:3], v[2:3], 2, s[0:1]
	v_lshl_add_u64 v[0:1], v[2:3], 0, v[0:1]
	global_store_dwordx4 v[0:1], v[10:13], off
	global_store_dwordx4 v[0:1], v[14:17], off offset:256
	s_endpgm
	.section	.rodata,"a",@progbits
	.p2align	6, 0x0
	.amdhsa_kernel _ZN12_GLOBAL__N_139chunk_gated_delta_rule_fwd_h_hip_kernelILi32ELb0ELb1ELb1ELb0ELb1ELb1ELb1ELb0EEEvPK12hip_bfloat16S3_S3_PKfS5_PKvPS1_S8_PvPKiSB_iiiiilll
		.amdhsa_group_segment_fixed_size 49152
		.amdhsa_private_segment_fixed_size 0
		.amdhsa_kernarg_size 136
		.amdhsa_user_sgpr_count 2
		.amdhsa_user_sgpr_dispatch_ptr 0
		.amdhsa_user_sgpr_queue_ptr 0
		.amdhsa_user_sgpr_kernarg_segment_ptr 1
		.amdhsa_user_sgpr_dispatch_id 0
		.amdhsa_user_sgpr_kernarg_preload_length 0
		.amdhsa_user_sgpr_kernarg_preload_offset 0
		.amdhsa_user_sgpr_private_segment_size 0
		.amdhsa_uses_dynamic_stack 0
		.amdhsa_enable_private_segment 0
		.amdhsa_system_sgpr_workgroup_id_x 1
		.amdhsa_system_sgpr_workgroup_id_y 1
		.amdhsa_system_sgpr_workgroup_id_z 0
		.amdhsa_system_sgpr_workgroup_info 0
		.amdhsa_system_vgpr_workitem_id 0
		.amdhsa_next_free_vgpr 164
		.amdhsa_next_free_sgpr 72
		.amdhsa_accum_offset 144
		.amdhsa_reserve_vcc 1
		.amdhsa_float_round_mode_32 0
		.amdhsa_float_round_mode_16_64 0
		.amdhsa_float_denorm_mode_32 3
		.amdhsa_float_denorm_mode_16_64 3
		.amdhsa_dx10_clamp 1
		.amdhsa_ieee_mode 1
		.amdhsa_fp16_overflow 0
		.amdhsa_tg_split 0
		.amdhsa_exception_fp_ieee_invalid_op 0
		.amdhsa_exception_fp_denorm_src 0
		.amdhsa_exception_fp_ieee_div_zero 0
		.amdhsa_exception_fp_ieee_overflow 0
		.amdhsa_exception_fp_ieee_underflow 0
		.amdhsa_exception_fp_ieee_inexact 0
		.amdhsa_exception_int_div_zero 0
	.end_amdhsa_kernel
	.section	.text._ZN12_GLOBAL__N_139chunk_gated_delta_rule_fwd_h_hip_kernelILi32ELb0ELb1ELb1ELb0ELb1ELb1ELb1ELb0EEEvPK12hip_bfloat16S3_S3_PKfS5_PKvPS1_S8_PvPKiSB_iiiiilll,"axG",@progbits,_ZN12_GLOBAL__N_139chunk_gated_delta_rule_fwd_h_hip_kernelILi32ELb0ELb1ELb1ELb0ELb1ELb1ELb1ELb0EEEvPK12hip_bfloat16S3_S3_PKfS5_PKvPS1_S8_PvPKiSB_iiiiilll,comdat
.Lfunc_end397:
	.size	_ZN12_GLOBAL__N_139chunk_gated_delta_rule_fwd_h_hip_kernelILi32ELb0ELb1ELb1ELb0ELb1ELb1ELb1ELb0EEEvPK12hip_bfloat16S3_S3_PKfS5_PKvPS1_S8_PvPKiSB_iiiiilll, .Lfunc_end397-_ZN12_GLOBAL__N_139chunk_gated_delta_rule_fwd_h_hip_kernelILi32ELb0ELb1ELb1ELb0ELb1ELb1ELb1ELb0EEEvPK12hip_bfloat16S3_S3_PKfS5_PKvPS1_S8_PvPKiSB_iiiiilll
                                        ; -- End function
	.section	.AMDGPU.csdata,"",@progbits
; Kernel info:
; codeLenInByte = 9940
; NumSgprs: 78
; NumVgprs: 142
; NumAgprs: 20
; TotalNumVgprs: 164
; ScratchSize: 0
; MemoryBound: 0
; FloatMode: 240
; IeeeMode: 1
; LDSByteSize: 49152 bytes/workgroup (compile time only)
; SGPRBlocks: 9
; VGPRBlocks: 20
; NumSGPRsForWavesPerEU: 78
; NumVGPRsForWavesPerEU: 164
; AccumOffset: 144
; Occupancy: 1
; WaveLimiterHint : 1
; COMPUTE_PGM_RSRC2:SCRATCH_EN: 0
; COMPUTE_PGM_RSRC2:USER_SGPR: 2
; COMPUTE_PGM_RSRC2:TRAP_HANDLER: 0
; COMPUTE_PGM_RSRC2:TGID_X_EN: 1
; COMPUTE_PGM_RSRC2:TGID_Y_EN: 1
; COMPUTE_PGM_RSRC2:TGID_Z_EN: 0
; COMPUTE_PGM_RSRC2:TIDIG_COMP_CNT: 0
; COMPUTE_PGM_RSRC3_GFX90A:ACCUM_OFFSET: 35
; COMPUTE_PGM_RSRC3_GFX90A:TG_SPLIT: 0
	.section	.text._ZN12_GLOBAL__N_139chunk_gated_delta_rule_fwd_h_hip_kernelILi32ELb0ELb1ELb0ELb0ELb1ELb1ELb1ELb0EEEvPK12hip_bfloat16S3_S3_PKfS5_PKvPS1_S8_PvPKiSB_iiiiilll,"axG",@progbits,_ZN12_GLOBAL__N_139chunk_gated_delta_rule_fwd_h_hip_kernelILi32ELb0ELb1ELb0ELb0ELb1ELb1ELb1ELb0EEEvPK12hip_bfloat16S3_S3_PKfS5_PKvPS1_S8_PvPKiSB_iiiiilll,comdat
	.globl	_ZN12_GLOBAL__N_139chunk_gated_delta_rule_fwd_h_hip_kernelILi32ELb0ELb1ELb0ELb0ELb1ELb1ELb1ELb0EEEvPK12hip_bfloat16S3_S3_PKfS5_PKvPS1_S8_PvPKiSB_iiiiilll ; -- Begin function _ZN12_GLOBAL__N_139chunk_gated_delta_rule_fwd_h_hip_kernelILi32ELb0ELb1ELb0ELb0ELb1ELb1ELb1ELb0EEEvPK12hip_bfloat16S3_S3_PKfS5_PKvPS1_S8_PvPKiSB_iiiiilll
	.p2align	8
	.type	_ZN12_GLOBAL__N_139chunk_gated_delta_rule_fwd_h_hip_kernelILi32ELb0ELb1ELb0ELb0ELb1ELb1ELb1ELb0EEEvPK12hip_bfloat16S3_S3_PKfS5_PKvPS1_S8_PvPKiSB_iiiiilll,@function
_ZN12_GLOBAL__N_139chunk_gated_delta_rule_fwd_h_hip_kernelILi32ELb0ELb1ELb0ELb0ELb1ELb1ELb1ELb0EEEvPK12hip_bfloat16S3_S3_PKfS5_PKvPS1_S8_PvPKiSB_iiiiilll: ; @_ZN12_GLOBAL__N_139chunk_gated_delta_rule_fwd_h_hip_kernelILi32ELb0ELb1ELb0ELb0ELb1ELb1ELb1ELb0EEEvPK12hip_bfloat16S3_S3_PKfS5_PKvPS1_S8_PvPKiSB_iiiiilll
; %bb.0:
	s_load_dwordx4 s[12:15], s[0:1], 0x5c
	s_load_dwordx4 s[16:19], s[0:1], 0x70
	s_abs_i32 s22, s3
	s_ashr_i32 s21, s3, 31
	s_load_dwordx8 s[4:11], s[0:1], 0x0
	s_load_dwordx2 s[30:31], s[0:1], 0x20
	s_waitcnt lgkmcnt(0)
	s_abs_i32 s20, s13
	v_cvt_f32_u32_e32 v1, s20
	s_sub_i32 s24, 0, s20
	s_ashr_i32 s23, s13, 31
	s_xor_b32 s21, s21, s23
	v_rcp_iflag_f32_e32 v1, v1
	s_load_dwordx2 s[28:29], s[0:1], 0x40
	s_load_dwordx2 s[38:39], s[0:1], 0x30
	s_load_dwordx2 s[34:35], s[0:1], 0x80
	v_lshrrev_b32_e32 v53, 6, v0
	v_mul_f32_e32 v1, 0x4f7ffffe, v1
	v_cvt_u32_f32_e32 v1, v1
	v_bfe_u32 v62, v0, 4, 2
	v_lshlrev_b32_e32 v60, 4, v53
	v_lshlrev_b32_e32 v18, 2, v62
	v_readfirstlane_b32 s25, v1
	s_mul_i32 s24, s24, s25
	s_mul_hi_u32 s24, s25, s24
	s_add_i32 s25, s25, s24
	s_mul_hi_u32 s24, s22, s25
	s_mul_i32 s25, s24, s20
	s_sub_i32 s22, s22, s25
	s_add_i32 s25, s24, 1
	s_sub_i32 s26, s22, s20
	s_cmp_ge_u32 s22, s20
	s_cselect_b32 s24, s25, s24
	s_cselect_b32 s22, s26, s22
	s_add_i32 s25, s24, 1
	s_cmp_ge_u32 s22, s20
	s_cselect_b32 s22, s25, s24
	s_xor_b32 s22, s22, s21
	s_sub_i32 s50, s22, s21
	s_abs_i32 s21, s14
	v_cvt_f32_u32_e32 v1, s21
	s_ashr_i32 s49, s12, 31
	s_lshr_b32 s22, s49, 26
	s_add_i32 s22, s12, s22
	v_rcp_iflag_f32_e32 v1, v1
	s_ashr_i32 s52, s14, 31
	s_ashr_i32 s51, s22, 6
	s_xor_b32 s22, s23, s52
	v_mul_f32_e32 v1, 0x4f7ffffe, v1
	v_cvt_u32_f32_e32 v1, v1
	s_sub_i32 s23, 0, s21
	s_mul_i32 s48, s50, s13
	s_sub_i32 s33, s3, s48
	v_readfirstlane_b32 s24, v1
	s_mul_i32 s23, s23, s24
	s_mul_hi_u32 s23, s24, s23
	s_add_i32 s24, s24, s23
	s_mul_hi_u32 s23, s20, s24
	s_mul_i32 s24, s23, s21
	s_sub_i32 s20, s20, s24
	s_add_i32 s3, s12, 63
	s_add_i32 s24, s23, 1
	s_sub_i32 s25, s20, s21
	s_cmp_ge_u32 s20, s21
	s_cselect_b32 s23, s24, s23
	s_cselect_b32 s20, s25, s20
	s_add_i32 s24, s23, 1
	s_cmp_ge_u32 s20, s21
	s_cselect_b32 s20, s24, s23
	s_xor_b32 s20, s20, s22
	s_sub_i32 s20, s20, s22
	s_abs_i32 s21, s20
	v_cvt_f32_u32_e32 v1, s21
	s_xor_b32 s0, s33, s20
	s_sub_i32 s20, 0, s21
	s_abs_i32 s1, s33
	v_rcp_iflag_f32_e32 v1, v1
	s_ashr_i32 s0, s0, 31
	v_and_b32_e32 v61, 63, v0
	v_mov_b32_e32 v17, 0
	v_mul_f32_e32 v1, 0x4f7ffffe, v1
	v_cvt_u32_f32_e32 v1, v1
	s_mul_i32 s46, s50, s12
	v_and_b32_e32 v63, 15, v0
	s_mul_hi_i32 s54, s50, s13
	v_readfirstlane_b32 s22, v1
	s_mul_i32 s20, s20, s22
	s_mul_hi_u32 s20, s22, s20
	s_add_i32 s22, s22, s20
	s_mul_hi_u32 s20, s1, s22
	s_mul_i32 s22, s20, s21
	s_sub_i32 s1, s1, s22
	s_add_i32 s22, s20, 1
	s_sub_i32 s23, s1, s21
	s_cmp_ge_u32 s1, s21
	s_cselect_b32 s20, s22, s20
	s_cselect_b32 s1, s23, s1
	s_add_i32 s22, s20, 1
	s_cmp_ge_u32 s1, s21
	s_cselect_b32 s1, s22, s20
	s_xor_b32 s1, s1, s0
	s_sub_i32 s55, s1, s0
	s_ashr_i32 s0, s3, 31
	s_lshr_b32 s0, s0, 26
	s_add_i32 s3, s3, s0
	v_or_b32_e32 v1, v18, v60
	s_ashr_i32 s0, s3, 6
	s_lshl_b32 s2, s2, 5
	s_mul_i32 s53, s50, s0
	v_or_b32_e32 v66, 64, v1
	s_cmp_lt_i32 s12, 64
	v_lshrrev_b32_e32 v65, 3, v61
	v_lshlrev_b32_e32 v64, 3, v0
	s_mul_i32 s17, s50, s17
	s_mul_hi_u32 s47, s50, s16
	s_mul_i32 s36, s50, s16
	v_mov_b32_e32 v16, v17
	v_mov_b32_e32 v15, v17
	;; [unrolled: 1-line block ×15, first 2 shown]
	s_cbranch_scc1 .LBB398_19
; %bb.1:
	s_ashr_i32 s3, s50, 31
	s_ashr_i32 s57, s33, 31
	s_add_u32 s0, s48, s33
	s_addc_u32 s1, s54, s57
	s_mul_i32 s1, s12, s1
	s_mul_hi_u32 s20, s12, s0
	s_add_i32 s41, s20, s1
	s_mul_i32 s40, s12, s0
	s_lshl_b64 s[0:1], s[40:41], 8
	v_and_b32_e32 v68, 56, v64
	s_add_u32 s20, s6, s0
	v_lshl_or_b32 v67, v53, 3, v65
	v_lshlrev_b32_e32 v2, 1, v68
	s_addc_u32 s0, s7, s1
	v_lshl_or_b32 v69, v67, 8, v2
	s_and_b32 s21, s0, 0xffff
	s_mov_b32 s23, 0x20000
	s_movk_i32 s22, 0x4000
	s_movk_i32 s0, 0x80
	v_or_b32_e32 v70, 0x2000, v69
	buffer_load_dwordx4 v[4:7], v69, s[20:23], 0 offen
	buffer_load_dwordx4 v[8:11], v69, s[20:23], s0 offen
	;; [unrolled: 1-line block ×4, first 2 shown]
	v_lshlrev_b32_e32 v3, 3, v67
	v_and_or_b32 v17, v0, 7, v3
	v_and_b32_e32 v3, 0x78, v3
	v_lshlrev_b32_e32 v17, 4, v17
	v_xor_b32_e32 v71, v17, v3
	v_mul_lo_u32 v16, v67, s15
	v_or_b32_e32 v72, 0x1000, v71
	v_xor_b32_e32 v3, 8, v71
	s_cmpk_eq_i32 s15, 0x80
	s_mov_b32 s56, s14
	v_xor_b32_e32 v17, 8, v72
	s_cselect_b64 s[0:1], -1, 0
	s_cmpk_lg_i32 s15, 0x80
	s_waitcnt vmcnt(3)
	ds_write_b64 v71, v[4:5] offset:24576
	ds_write_b64 v3, v[6:7] offset:24576
	s_waitcnt vmcnt(2)
	ds_write_b64 v71, v[8:9] offset:32768
	ds_write_b64 v3, v[10:11] offset:32768
	;; [unrolled: 3-line block ×4, first 2 shown]
	v_lshl_add_u32 v3, v16, 1, v68
	s_cbranch_scc0 .LBB398_3
; %bb.2:
	v_lshlrev_b32_e32 v5, 1, v3
	v_add_lshl_u32 v4, v3, s15, 1
	s_lshl_b32 s22, s15, 7
	v_lshl_or_b32 v2, v67, 9, v2
	s_cbranch_execz .LBB398_4
	s_branch .LBB398_5
.LBB398_3:
                                        ; implicit-def: $vgpr4
                                        ; implicit-def: $vgpr5
                                        ; implicit-def: $sgpr22
	v_lshl_or_b32 v2, v67, 9, v2
.LBB398_4:
	v_or_b32_e32 v4, 0x100, v2
	s_movk_i32 s22, 0x4000
	v_mov_b32_e32 v5, v2
.LBB398_5:
	s_mul_hi_u32 s20, s14, s12
	s_mul_i32 s21, s52, s12
	s_add_i32 s20, s20, s21
	s_mul_i32 s21, s14, s12
	s_mul_i32 s23, s21, s3
	s_mul_hi_u32 s24, s21, s50
	s_add_i32 s23, s24, s23
	s_mul_i32 s20, s20, s50
	s_add_i32 s23, s23, s20
	s_mul_i32 s21, s21, s50
	s_ashr_i32 s58, s55, 31
	s_add_u32 s20, s21, s55
	s_addc_u32 s21, s23, s58
	s_lshl_b64 s[20:21], s[20:21], 8
	s_add_u32 s20, s4, s20
	s_addc_u32 s21, s5, s21
	s_and_b32 s21, s21, 0xffff
	s_mov_b32 s23, 0x20000
	s_movk_i32 s59, 0x80
	buffer_load_dwordx4 v[6:9], v5, s[20:23], 0 offen
	buffer_load_dwordx4 v[10:13], v5, s[20:23], s59 offen
	;; [unrolled: 1-line block ×4, first 2 shown]
	v_and_b32_e32 v4, 6, v0
	s_mul_i32 s20, s3, s12
	s_mul_hi_u32 s21, s50, s12
	v_lshlrev_b32_e32 v24, 6, v1
	v_or_b32_e32 v26, 16, v63
	v_xor_b32_e32 v27, v67, v4
	v_and_b32_e32 v5, 1, v0
	v_lshl_or_b32 v30, v63, 3, v24
	v_lshl_or_b32 v24, v26, 3, v24
	v_lshlrev_b32_e32 v27, 2, v27
	s_add_i32 s63, s21, s20
	s_add_i32 s20, s47, s17
	s_mul_i32 s3, s3, s16
	v_lshlrev_b32_e32 v19, 2, v63
	v_or_b32_e32 v75, 0xa000, v24
	v_or_b32_e32 v76, 0xb000, v24
	v_xor_b32_e32 v24, 0x440, v27
	v_cmp_eq_u32_e32 vcc, 0, v5
	s_add_i32 s37, s20, s3
	s_mul_i32 s3, s33, s19
	s_mul_hi_u32 s20, s33, s18
	v_xor_b32_e32 v28, v1, v19
	v_xor_b32_e32 v29, v66, v19
	v_cndmask_b32_e32 v5, v24, v27, vcc
	s_add_i32 s3, s20, s3
	s_mul_i32 s20, s57, s18
	s_mov_b32 s61, 0x1000504
	v_lshlrev_b32_e32 v25, 8, v63
	v_lshlrev_b32_e32 v28, 1, v28
	;; [unrolled: 1-line block ×3, first 2 shown]
	v_lshl_or_b32 v4, v4, 10, v5
	s_add_i32 s21, s3, s20
	s_lshl_b64 s[24:25], s[36:37], 2
	s_mov_b32 s62, 0x3020706
	v_or_b32_e32 v73, 0xa000, v30
	v_or_b32_e32 v74, 0xb000, v30
	v_or_b32_e32 v77, v25, v28
	v_or_b32_e32 v78, v25, v29
	v_xor_b32_e32 v5, 8, v4
	v_xor_b32_e32 v25, 24, v4
	;; [unrolled: 1-line block ×4, first 2 shown]
	s_mul_i32 s20, s33, s18
	s_add_u32 s3, s10, s24
	v_xor_b32_e32 v24, 16, v4
	v_xor_b32_e32 v27, 32, v4
	;; [unrolled: 1-line block ×3, first 2 shown]
	v_add_u32_e32 v5, 0x80, v5
	v_add_u32_e32 v25, 0x80, v25
	;; [unrolled: 1-line block ×4, first 2 shown]
	s_addc_u32 s22, s11, s25
	s_lshl_b64 s[20:21], s[20:21], 2
	s_add_u32 s42, s3, s20
	s_movk_i32 s3, 0xf8
	s_addc_u32 s43, s22, s21
	s_lshl_b32 s26, s15, 7
	s_movk_i32 s24, 0x100
	v_mov_b32_e32 v55, 0
	v_lshlrev_b32_e32 v54, 4, v63
	v_cmp_gt_u32_e32 vcc, s24, v0
	v_lshlrev_b32_e32 v26, 8, v26
	v_or_b32_e32 v79, v26, v28
	v_or_b32_e32 v80, v26, v29
	s_mov_b32 s60, 0
	s_movk_i32 s37, 0x1000
	s_movk_i32 s22, 0x4000
	v_add_u32_e32 v94, v60, v18
	s_mov_b32 s64, 0x7060302
	s_mov_b32 s66, 0
	v_mov_b32_e32 v105, v55
	v_mov_b32_e32 v106, v55
	;; [unrolled: 1-line block ×8, first 2 shown]
	s_waitcnt vmcnt(1)
	v_perm_b32 v33, v6, v14, s61
	s_waitcnt vmcnt(0)
	v_perm_b32 v34, v10, v20, s61
	v_perm_b32 v6, v6, v14, s62
	;; [unrolled: 1-line block ×15, first 2 shown]
	ds_write2st64_b32 v4, v33, v34 offset0:32 offset1:64
	ds_write2st64_b32 v5, v6, v10 offset0:32 offset1:64
	;; [unrolled: 1-line block ×8, first 2 shown]
	v_or_b32_e32 v4, v60, v63
	v_lshlrev_b32_e32 v4, 3, v4
	v_lshrrev_b32_e32 v6, 5, v61
	v_and_or_b32 v6, v4, s3, v6
	v_lshlrev_b32_e32 v6, 4, v6
	v_lshrrev_b32_e32 v5, 2, v61
	v_lshlrev_b32_e32 v11, 11, v53
	v_and_b32_e32 v4, 0x78, v4
	v_or_b32_e32 v10, 32, v6
	v_and_b32_e32 v7, 12, v5
	v_and_b32_e32 v5, 0x1000, v11
	v_xor_b32_e32 v8, v6, v4
	v_lshrrev_b32_e32 v9, 1, v61
	v_xor_b32_e32 v10, v10, v4
	v_or_b32_e32 v8, v8, v5
	v_and_b32_e32 v9, 8, v9
	v_lshlrev_b32_e32 v12, 7, v62
	v_or_b32_e32 v10, v10, v5
	v_xor_b32_e32 v81, v8, v9
	v_or_b32_e32 v8, v12, v19
	v_xor_b32_e32 v83, v10, v9
	v_or_b32_e32 v10, 64, v6
	v_or_b32_e32 v6, 0x60, v6
	s_ashr_i32 s3, s2, 31
	v_lshlrev_b32_e32 v8, 1, v8
	v_xor_b32_e32 v10, v10, v4
	v_xor_b32_e32 v4, v6, v4
	s_lshl_b64 s[20:21], s[2:3], 8
	v_or_b32_e32 v82, 0xa000, v8
	v_or_b32_e32 v84, 0xa080, v8
	;; [unrolled: 1-line block ×6, first 2 shown]
	s_waitcnt lgkmcnt(0)
	s_add_u32 s20, s38, s20
	v_lshlrev_b32_e32 v8, 1, v63
	v_lshlrev_b32_e32 v19, 2, v0
	v_lshrrev_b32_e32 v22, 1, v0
	v_xor_b32_e32 v85, v10, v9
	v_xor_b32_e32 v86, v4, v9
	v_lshrrev_b32_e32 v10, 4, v0
	s_addc_u32 s21, s39, s21
	v_or_b32_e32 v9, 1, v8
	v_mov_b32_e32 v20, 0x4000
	v_mov_b32_e32 v21, 0x2000
	v_and_b32_e32 v22, 24, v22
	v_and_or_b32 v12, v19, 60, v12
	v_mov_b32_e32 v19, 0xb000
	v_xor_b32_e32 v15, v10, v8
	v_xor_b32_e32 v16, v9, v10
	v_lshl_add_u64 v[8:9], s[20:21], 0, v[54:55]
	v_lshlrev_b32_e32 v54, 8, v10
	v_cndmask_b32_e32 v20, v20, v21, vcc
	v_lshlrev_b32_e32 v21, 3, v53
	v_lshl_or_b32 v91, v12, 1, v19
	v_or_b32_e32 v12, 32, v22
	v_lshl_or_b32 v89, v15, 3, v54
	v_and_b32_e32 v15, 8, v0
	v_xor_b32_e32 v12, v21, v12
	v_cmp_eq_u32_e32 vcc, 0, v15
	v_or_b32_e32 v19, 0x440, v12
	v_and_b32_e32 v10, 7, v0
	v_cndmask_b32_e32 v12, v19, v12, vcc
	v_lshl_or_b32 v90, v16, 3, v54
	v_lshlrev_b32_e32 v16, 3, v10
	v_or_b32_e32 v12, v12, v11
	v_xor_b32_e32 v19, v12, v16
	v_or_b32_e32 v12, 64, v22
	v_xor_b32_e32 v12, v21, v12
	v_xor_b32_e32 v25, 0x440, v12
	v_cndmask_b32_e32 v12, v25, v12, vcc
	v_or_b32_e32 v12, v12, v11
	v_xor_b32_e32 v25, v12, v16
	v_or_b32_e32 v12, 0x60, v22
	v_xor_b32_e32 v23, v21, v22
	v_xor_b32_e32 v12, v21, v12
	v_or_b32_e32 v24, 0x440, v23
	v_xor_b32_e32 v21, 0x440, v12
	v_cndmask_b32_e32 v15, v24, v23, vcc
	v_cndmask_b32_e32 v12, v21, v12, vcc
	v_or_b32_e32 v15, v15, v11
	v_or_b32_e32 v11, v12, v11
	;; [unrolled: 1-line block ×3, first 2 shown]
	v_xor_b32_e32 v15, v15, v16
	v_xor_b32_e32 v11, v11, v16
	v_lshlrev_b32_e32 v6, 7, v1
	v_ashrrev_i32_e32 v5, 31, v4
	v_lshlrev_b32_e32 v13, 1, v3
	v_add_lshl_u32 v3, v3, s15, 1
	v_or_b32_e32 v14, 0x100, v2
	v_lshlrev_b32_e32 v17, 7, v10
	v_or_b32_e32 v10, v7, v60
	v_add_u32_e32 v23, v20, v15
	v_add_u32_e32 v24, v20, v19
	;; [unrolled: 1-line block ×4, first 2 shown]
	v_or3_b32 v12, v60, v7, 64
	v_add_u32_e32 v7, 0x4000, v15
	v_add_u32_e32 v15, 0x4000, v19
	;; [unrolled: 1-line block ×4, first 2 shown]
	v_cndmask_b32_e64 v92, v13, v2, s[0:1]
	v_cndmask_b32_e64 v93, v3, v14, s[0:1]
	v_lshl_add_u64 v[56:57], v[4:5], 1, s[8:9]
	v_lshl_add_u64 v[58:59], v[8:9], 0, v[54:55]
	s_add_i32 s3, s46, 63
	v_lshlrev_b32_e32 v54, 1, v6
	v_lshlrev_b32_e32 v95, 2, v10
	v_add_u32_e32 v96, v23, v17
	v_add_u32_e32 v97, v24, v17
	;; [unrolled: 1-line block ×4, first 2 shown]
	v_lshlrev_b32_e32 v100, 2, v12
	v_add_u32_e32 v101, v7, v17
	v_add_u32_e32 v102, v15, v17
	;; [unrolled: 1-line block ×4, first 2 shown]
	v_mov_b32_e32 v2, v55
	v_mov_b32_e32 v3, v55
	v_mov_b32_e32 v4, v55
	v_mov_b32_e32 v5, v55
	v_mov_b32_e32 v6, v55
	v_mov_b32_e32 v7, v55
	v_mov_b32_e32 v8, v55
	v_mov_b32_e32 v9, v55
	s_barrier
.LBB398_6:                              ; =>This Inner Loop Header: Depth=1
	s_add_i32 s65, s66, 1
	s_cmp_lt_i32 s65, s51
	s_mov_b64 s[24:25], 0
	s_cselect_b64 s[44:45], -1, 0
	s_cmp_ge_i32 s65, s51
	s_mov_b64 s[20:21], 0
	s_cbranch_scc1 .LBB398_8
; %bb.7:                                ;   in Loop: Header=BB398_6 Depth=1
	s_add_i32 s0, s60, 64
	s_add_u32 s0, s40, s0
	s_addc_u32 s1, s41, 0
	s_lshl_b64 s[0:1], s[0:1], 8
	s_add_u32 s20, s6, s0
	s_addc_u32 s21, s7, s1
.LBB398_8:                              ;   in Loop: Header=BB398_6 Depth=1
	v_cndmask_b32_e64 v10, 0, 1, s[44:45]
	v_cmp_ne_u32_e64 s[0:1], 1, v10
	s_andn2_b64 vcc, exec, s[44:45]
	s_cbranch_vccnz .LBB398_10
; %bb.9:                                ;   in Loop: Header=BB398_6 Depth=1
	s_add_i32 s24, s60, 64
	s_add_u32 s24, s46, s24
	s_addc_u32 s25, s63, 0
	s_mul_i32 s27, s24, s52
	s_mul_hi_u32 s44, s24, s56
	s_add_i32 s27, s44, s27
	s_mul_i32 s25, s25, s56
	s_add_i32 s27, s27, s25
	s_mul_i32 s24, s24, s56
	s_add_u32 s24, s24, s55
	s_addc_u32 s25, s27, s58
	s_lshl_b64 s[24:25], s[24:25], 8
	s_add_u32 s24, s4, s24
	s_addc_u32 s25, s5, s25
.LBB398_10:                             ;   in Loop: Header=BB398_6 Depth=1
	v_perm_b32 v11, v5, v4, s64
	v_perm_b32 v10, v3, v2, s64
	;; [unrolled: 1-line block ×4, first 2 shown]
	ds_write_b64 v73, v[10:11]
	ds_write_b64 v74, v[12:13]
	;; [unrolled: 1-line block ×4, first 2 shown]
	v_perm_b32 v11, v112, v107, s64
	v_perm_b32 v10, v106, v105, s64
	;; [unrolled: 1-line block ×4, first 2 shown]
	ds_write_b64 v75, v[10:11]
	ds_write_b64 v76, v[12:13]
	;; [unrolled: 1-line block ×4, first 2 shown]
	s_waitcnt lgkmcnt(0)
	s_barrier
	ds_read_b64 v[14:15], v81 offset:24576
	ds_read2_b64 v[10:13], v82 offset1:16
	ds_read_b64 v[18:19], v84 offset:3072
	ds_read_b64 v[20:21], v82 offset:3072
	;; [unrolled: 1-line block ×3, first 2 shown]
	s_waitcnt lgkmcnt(3)
	v_mfma_f32_16x16x16_bf16 a[0:3], v[14:15], v[10:11], 0
	s_add_i32 s27, s60, 63
	s_mul_i32 s44, s27, s35
	s_mul_hi_u32 s45, s27, s34
	v_mfma_f32_16x16x16_bf16 a[4:7], v[14:15], v[12:13], 0
	ds_read2st64_b64 v[10:13], v82 offset0:2 offset1:4
	ds_read2st64_b64 v[14:17], v84 offset0:2 offset1:4
	s_add_i32 s45, s45, s44
	s_waitcnt lgkmcnt(1)
	v_mfma_f32_16x16x16_bf16 a[0:3], v[22:23], v[10:11], a[0:3]
	s_mul_i32 s44, s27, s34
	s_lshl_b64 s[44:45], s[44:45], 2
	s_add_u32 s44, s42, s44
	s_waitcnt lgkmcnt(0)
	v_mfma_f32_16x16x16_bf16 a[4:7], v[22:23], v[14:15], a[4:7]
	ds_read_b64 v[10:11], v85 offset:24576
	ds_read_b64 v[14:15], v86 offset:24576
	s_addc_u32 s45, s43, s45
	s_and_b64 vcc, exec, s[0:1]
	s_waitcnt lgkmcnt(1)
	v_mfma_f32_16x16x16_bf16 a[0:3], v[10:11], v[12:13], a[0:3]
	v_mov_b32_e32 v115, 0
	v_mov_b32_e32 v114, 0
	;; [unrolled: 1-line block ×3, first 2 shown]
	v_mfma_f32_16x16x16_bf16 a[4:7], v[10:11], v[16:17], a[4:7]
	v_mov_b32_e32 v10, 0
	v_mov_b32_e32 v11, 0
	;; [unrolled: 1-line block ×3, first 2 shown]
	s_waitcnt lgkmcnt(0)
	v_mfma_f32_16x16x16_bf16 a[0:3], v[14:15], v[20:21], a[0:3]
	v_mov_b32_e32 v13, 0
	v_mov_b32_e32 v16, 0
	;; [unrolled: 1-line block ×3, first 2 shown]
	v_mfma_f32_16x16x16_bf16 a[4:7], v[14:15], v[18:19], a[4:7]
	v_mov_b32_e32 v14, 0
	v_mov_b32_e32 v15, 0
	;; [unrolled: 1-line block ×10, first 2 shown]
	s_cbranch_vccnz .LBB398_12
; %bb.11:                               ;   in Loop: Header=BB398_6 Depth=1
	s_and_b32 s21, s21, 0xffff
	buffer_load_dwordx4 v[22:25], v69, s[20:23], 0 offen
	buffer_load_dwordx4 v[18:21], v69, s[20:23], s59 offen
	;; [unrolled: 1-line block ×4, first 2 shown]
	v_mov_b32_e32 v114, v71
	v_mov_b32_e32 v113, v72
.LBB398_12:                             ;   in Loop: Header=BB398_6 Depth=1
	ds_read_b64 v[30:31], v81 offset:32768
	ds_read2_b64 v[26:29], v87 offset1:16
	ds_read_b64 v[34:35], v83 offset:32768
	ds_read_b64 v[36:37], v85 offset:32768
	;; [unrolled: 1-line block ×3, first 2 shown]
	v_add_u32_e32 v42, s60, v94
	s_waitcnt lgkmcnt(3)
	v_mfma_f32_16x16x16_bf16 a[0:3], v[30:31], v[26:27], a[0:3]
	v_mov_b32_e32 v116, 0
	v_mfma_f32_16x16x16_bf16 a[4:7], v[30:31], v[28:29], a[4:7]
	ds_read2st64_b64 v[26:29], v87 offset0:2 offset1:4
	ds_read2st64_b64 v[30:33], v88 offset0:2 offset1:4
	s_waitcnt lgkmcnt(1)
	v_mfma_f32_16x16x16_bf16 a[0:3], v[34:35], v[26:27], a[0:3]
	ds_read_b64 v[26:27], v87 offset:3072
	ds_read_b64 v[40:41], v88 offset:3072
	s_waitcnt lgkmcnt(2)
	v_mfma_f32_16x16x16_bf16 a[4:7], v[34:35], v[30:31], a[4:7]
	v_ashrrev_i32_e32 v30, 31, v42
	v_mul_lo_u32 v31, v42, s35
	v_mul_lo_u32 v30, v30, s34
	v_mfma_f32_16x16x16_bf16 a[0:3], v[36:37], v[28:29], a[0:3]
	v_mad_u64_u32 v[28:29], s[20:21], v42, s34, 0
	v_add3_u32 v29, v29, v31, v30
	v_lshl_add_u64 v[28:29], v[28:29], 2, s[42:43]
	global_load_dword v34, v[28:29], off
	v_add_u32_e32 v28, 1, v42
	v_ashrrev_i32_e32 v29, 31, v28
	s_waitcnt lgkmcnt(1)
	v_mfma_f32_16x16x16_bf16 a[0:3], v[38:39], v[26:27], a[0:3]
	v_mul_lo_u32 v29, v29, s34
	v_mul_lo_u32 v30, v28, s35
	v_mad_u64_u32 v[26:27], s[20:21], v28, s34, 0
	v_add_u32_e32 v28, 2, v42
	v_add3_u32 v27, v27, v30, v29
	v_ashrrev_i32_e32 v29, 31, v28
	v_mul_lo_u32 v30, v29, s34
	v_mul_lo_u32 v31, v28, s35
	v_mad_u64_u32 v[28:29], s[20:21], v28, s34, 0
	v_add3_u32 v29, v29, v31, v30
	v_add_u32_e32 v30, 3, v42
	v_ashrrev_i32_e32 v31, 31, v30
	v_mfma_f32_16x16x16_bf16 a[4:7], v[36:37], v[32:33], a[4:7]
	v_mul_lo_u32 v32, v31, s34
	v_mul_lo_u32 v33, v30, s35
	v_mad_u64_u32 v[30:31], s[20:21], v30, s34, 0
	s_add_u32 s20, s40, s60
	s_addc_u32 s21, s41, 0
	s_lshl_b64 s[20:21], s[20:21], 8
	v_add3_u32 v31, v31, v33, v32
	v_lshl_add_u64 v[32:33], v[56:57], 0, s[20:21]
	v_lshl_add_u64 v[26:27], v[26:27], 2, s[42:43]
	;; [unrolled: 1-line block ×4, first 2 shown]
	global_load_ushort v36, v[32:33], off
	global_load_ushort v35, v[32:33], off offset:256
	global_load_ushort v44, v[32:33], off offset:800
	;; [unrolled: 1-line block ×7, first 2 shown]
	v_lshl_add_u64 v[30:31], v[30:31], 2, s[42:43]
	global_load_dword v47, v[26:27], off
	global_load_dword v48, v[28:29], off
	;; [unrolled: 1-line block ×3, first 2 shown]
	s_load_dword s20, s[44:45], 0x0
	s_waitcnt lgkmcnt(0)
	v_mfma_f32_16x16x16_bf16 a[4:7], v[38:39], v[40:41], a[4:7]
	v_accvgpr_read_b32 v31, a1
	v_accvgpr_read_b32 v27, a3
	;; [unrolled: 1-line block ×4, first 2 shown]
	s_and_b64 vcc, exec, s[0:1]
	s_waitcnt vmcnt(11)
	v_sub_f32_e32 v40, s20, v34
	v_exp_f32_e32 v40, v40
	v_accvgpr_read_b32 v33, a5
	v_accvgpr_read_b32 v32, a4
	;; [unrolled: 1-line block ×4, first 2 shown]
	s_waitcnt vmcnt(10)
	v_lshlrev_b32_e32 v34, 16, v36
	s_waitcnt vmcnt(9)
	v_lshlrev_b32_e32 v35, 16, v35
	v_pk_add_f32 v[30:31], v[34:35], v[30:31] neg_lo:[0,1] neg_hi:[0,1]
	s_waitcnt vmcnt(7)
	v_lshlrev_b32_e32 v37, 16, v37
	v_mov_b32_e32 v34, 0
	s_waitcnt vmcnt(5)
	v_lshlrev_b32_e32 v36, 16, v42
	s_waitcnt vmcnt(4)
	v_lshlrev_b32_e32 v39, 16, v43
	s_waitcnt vmcnt(2)
	v_sub_f32_e32 v41, s20, v47
	s_waitcnt vmcnt(1)
	v_sub_f32_e32 v42, s20, v48
	s_waitcnt vmcnt(0)
	v_sub_f32_e32 v43, s20, v49
	v_exp_f32_e32 v41, v41
	v_exp_f32_e32 v42, v42
	;; [unrolled: 1-line block ×3, first 2 shown]
	v_pk_add_f32 v[26:27], v[36:37], v[26:27] neg_lo:[0,1] neg_hi:[0,1]
	v_lshlrev_b32_e32 v38, 16, v46
	v_pk_mul_f32 v[30:31], v[40:41], v[30:31]
	v_pk_mul_f32 v[26:27], v[42:43], v[26:27]
	v_mov_b32_e32 v35, 0
	v_perm_b32 v27, v27, v26, s64
	v_perm_b32 v26, v31, v30, s64
	v_pk_add_f32 v[30:31], v[38:39], v[32:33] neg_lo:[0,1] neg_hi:[0,1]
	v_lshlrev_b32_e32 v33, 16, v44
	v_lshlrev_b32_e32 v32, 16, v45
	v_pk_add_f32 v[28:29], v[32:33], v[28:29] neg_lo:[0,1] neg_hi:[0,1]
	v_pk_mul_f32 v[30:31], v[40:41], v[30:31]
	v_pk_mul_f32 v[28:29], v[42:43], v[28:29]
	v_mov_b32_e32 v32, 0
	v_perm_b32 v29, v29, v28, s64
	v_perm_b32 v28, v31, v30, s64
	ds_write2_b64 v74, v[26:27], v[28:29] offset1:16
	v_mov_b32_e32 v26, 0
	v_mov_b32_e32 v27, 0
	;; [unrolled: 1-line block ×13, first 2 shown]
	s_cbranch_vccnz .LBB398_14
; %bb.13:                               ;   in Loop: Header=BB398_6 Depth=1
	s_and_b32 s25, s25, 0xffff
	s_mov_b32 s27, s23
	buffer_load_dwordx4 v[38:41], v92, s[24:27], 0 offen
	buffer_load_dwordx4 v[30:33], v92, s[24:27], s59 offen
	;; [unrolled: 1-line block ×4, first 2 shown]
	v_mov_b32_e32 v115, v68
	v_mov_b32_e32 v116, v67
.LBB398_14:                             ;   in Loop: Header=BB398_6 Depth=1
	s_waitcnt lgkmcnt(0)
	s_barrier
	ds_read_b64 v[46:47], v96
	ds_read_b64 v[122:123], v91
	;; [unrolled: 1-line block ×5, first 2 shown]
	ds_read_b64 v[136:137], v88 offset:3072
	ds_read2_b64 v[42:45], v87 offset0:16 offset1:128
	s_waitcnt lgkmcnt(5)
	v_mfma_f32_16x16x16_bf16 a[0:3], v[46:47], v[122:123], 0
	s_add_i32 s21, s53, s66
	s_mul_hi_i32 s25, s21, s13
	s_mul_i32 s21, s21, s13
	s_waitcnt lgkmcnt(0)
	v_mfma_f32_16x16x16_bf16 a[4:7], v[46:47], v[42:43], 0
	ds_read_b64 v[46:47], v101
	ds_read2st64_b64 v[48:51], v88 offset0:2 offset1:4
	s_add_u32 s24, s21, s33
	s_addc_u32 s25, s25, s57
	s_add_i32 s21, s3, s60
	s_lshl_b64 s[24:25], s[24:25], 15
	s_mul_hi_i32 s27, s21, s13
	s_mul_i32 s21, s21, s13
	s_add_u32 s44, s21, s33
	s_waitcnt lgkmcnt(1)
	v_mfma_f32_16x16x16_bf16 a[8:11], v[46:47], v[122:123], 0
	s_addc_u32 s45, s27, s57
	ds_read2st64_b64 v[118:121], v87 offset0:4 offset1:6
	s_lshl_b64 s[44:45], s[44:45], 9
	v_mfma_f32_16x16x16_bf16 a[0:3], v[124:125], v[44:45], a[0:3]
	s_add_u32 s44, s30, s44
	s_addc_u32 s45, s31, s45
	s_waitcnt lgkmcnt(1)
	v_mfma_f32_16x16x16_bf16 a[4:7], v[124:125], v[48:49], a[4:7]
	ds_read_b64 v[124:125], v102
	ds_read_b64 v[132:133], v103
	ds_read_b64 v[138:139], v104
	v_mfma_f32_16x16x16_bf16 a[12:15], v[46:47], v[42:43], 0
	s_waitcnt lgkmcnt(2)
	v_mfma_f32_16x16x16_bf16 a[8:11], v[124:125], v[44:45], a[8:11]
	global_load_dwordx4 v[42:45], v100, s[44:45]
	v_mfma_f32_16x16x16_bf16 a[12:15], v[124:125], v[48:49], a[12:15]
	global_load_dwordx4 v[46:49], v95, s[44:45]
	ds_read2st64_b64 v[122:125], v89 offset1:8
	s_waitcnt lgkmcnt(0)
	v_mov_b32_e32 v130, v122
	v_mfma_f32_16x16x16_bf16 a[0:3], v[126:127], v[118:119], a[0:3]
	v_mov_b32_e32 v131, v123
	v_mfma_f32_16x16x16_bf16 a[4:7], v[126:127], v[50:51], a[4:7]
	ds_read2st64_b64 v[126:129], v90 offset1:8
	v_mfma_f32_16x16x16_bf16 a[8:11], v[132:133], v[118:119], a[8:11]
	v_lshl_add_u64 v[118:119], v[58:59], 0, s[24:25]
	v_mfma_f32_16x16x16_bf16 a[16:19], v[132:133], v[50:51], a[12:15]
	v_add_co_u32_e32 v50, vcc, s37, v118
	s_waitcnt lgkmcnt(0)
	v_mov_b32_e32 v132, v126
	v_mfma_f32_16x16x16_bf16 a[0:3], v[134:135], v[120:121], a[0:3]
	v_mov_b32_e32 v133, v127
	v_mov_b32_e32 v126, v124
	;; [unrolled: 1-line block ×3, first 2 shown]
	v_mfma_f32_16x16x16_bf16 a[4:7], v[134:135], v[136:137], a[4:7]
	v_addc_co_u32_e32 v51, vcc, 0, v119, vcc
	global_store_dwordx4 v[50:51], v[126:129], off
	v_mfma_f32_16x16x16_bf16 a[12:15], v[138:139], v[120:121], a[8:11]
	s_and_b64 vcc, exec, s[0:1]
	global_store_dwordx4 v[118:119], v[130:133], off
	s_waitcnt vmcnt(3)
	v_mov_b32_e32 v52, v45
	v_mfma_f32_16x16x16_bf16 a[8:11], v[138:139], v[136:137], a[16:19]
	v_mov_b32_e32 v51, v44
	v_mov_b32_e32 v50, v43
	s_cbranch_vccnz .LBB398_16
; %bb.15:                               ;   in Loop: Header=BB398_6 Depth=1
	v_lshrrev_b32_e32 v43, 3, v115
	v_and_b32_e32 v43, 6, v43
	v_xor_b32_e32 v44, v43, v116
	v_lshlrev_b32_e32 v44, 2, v44
	v_and_b32_e32 v45, 8, v115
	v_xor_b32_e32 v115, 0x440, v44
	v_cmp_eq_u32_e32 vcc, 0, v45
	v_perm_b32 v45, v30, v26, s61
	s_nop 0
	v_cndmask_b32_e32 v44, v115, v44, vcc
	v_lshl_or_b32 v43, v43, 10, v44
	v_perm_b32 v44, v38, v34, s61
	s_barrier
	ds_write2st64_b32 v43, v44, v45 offset0:32 offset1:64
	v_xor_b32_e32 v44, 8, v43
	v_perm_b32 v34, v38, v34, s62
	v_perm_b32 v26, v30, v26, s62
	v_add_u32_e32 v30, 0x80, v44
	ds_write2st64_b32 v30, v34, v26 offset0:32 offset1:64
	v_xor_b32_e32 v26, 16, v43
	v_perm_b32 v30, v39, v35, s61
	v_perm_b32 v34, v31, v27, s61
	ds_write2st64_b32 v26, v30, v34 offset0:33 offset1:65
	v_xor_b32_e32 v26, 24, v43
	v_perm_b32 v30, v39, v35, s62
	v_perm_b32 v27, v31, v27, s62
	v_add_u32_e32 v26, 0x80, v26
	ds_write2st64_b32 v26, v30, v27 offset0:33 offset1:65
	v_xor_b32_e32 v26, 32, v43
	v_perm_b32 v27, v40, v36, s61
	v_perm_b32 v30, v32, v28, s61
	;; [unrolled: 9-line block ×3, first 2 shown]
	ds_write2st64_b32 v26, v27, v28 offset0:35 offset1:67
	v_xor_b32_e32 v26, 56, v43
	v_perm_b32 v27, v41, v37, s62
	v_perm_b32 v28, v33, v29, s62
	v_add_u32_e32 v26, 0x80, v26
	ds_write2st64_b32 v26, v27, v28 offset0:35 offset1:67
	ds_write_b64 v114, v[22:23] offset:24576
	v_xor_b32_e32 v22, 8, v114
	ds_write_b64 v22, v[24:25] offset:24576
	ds_write_b64 v114, v[18:19] offset:32768
	;; [unrolled: 1-line block ×4, first 2 shown]
	v_xor_b32_e32 v14, 8, v113
	ds_write_b64 v14, v[16:17] offset:24576
	ds_write_b64 v113, v[10:11] offset:32768
	;; [unrolled: 1-line block ×3, first 2 shown]
.LBB398_16:                             ;   in Loop: Header=BB398_6 Depth=1
	v_exp_f32_e32 v26, s20
	s_waitcnt vmcnt(2)
	v_exp_f32_e32 v28, v46
	v_exp_f32_e32 v29, v47
	;; [unrolled: 1-line block ×4, first 2 shown]
	v_accvgpr_read_b32 v21, a3
	v_accvgpr_read_b32 v19, a1
	;; [unrolled: 1-line block ×4, first 2 shown]
	v_pk_mul_f32 v[28:29], v[26:27], v[28:29] op_sel_hi:[0,1]
	v_accvgpr_read_b32 v20, a2
	v_accvgpr_read_b32 v11, a5
	;; [unrolled: 1-line block ×3, first 2 shown]
	v_pk_fma_f32 v[2:3], v[2:3], v[28:29], v[18:19]
	v_pk_mul_f32 v[18:19], v[26:27], v[30:31] op_sel_hi:[0,1]
	v_pk_fma_f32 v[4:5], v[4:5], v[18:19], v[20:21]
	v_fma_f32 v105, v105, v28, v10
	v_fma_f32 v106, v106, v29, v11
	v_exp_f32_e32 v10, v42
	v_exp_f32_e32 v11, v50
	;; [unrolled: 1-line block ×4, first 2 shown]
	v_accvgpr_read_b32 v12, a6
	v_accvgpr_read_b32 v25, a15
	;; [unrolled: 1-line block ×9, first 2 shown]
	v_fma_f32 v107, v107, v18, v12
	v_fmac_f32_e32 v13, v112, v19
	v_pk_mul_f32 v[10:11], v[26:27], v[10:11] op_sel_hi:[0,1]
	v_pk_mul_f32 v[18:19], v[26:27], v[20:21] op_sel_hi:[0,1]
	s_add_i32 s60, s60, 64
	v_pk_fma_f32 v[6:7], v[6:7], v[10:11], v[22:23]
	v_pk_fma_f32 v[8:9], v[8:9], v[18:19], v[24:25]
	v_fma_f32 v108, v108, v10, v14
	v_fma_f32 v109, v109, v11, v15
	;; [unrolled: 1-line block ×3, first 2 shown]
	s_cmp_eq_u32 s51, s65
	v_fmac_f32_e32 v17, v111, v19
	s_cbranch_scc1 .LBB398_18
; %bb.17:                               ;   in Loop: Header=BB398_6 Depth=1
	s_mov_b32 s66, s65
	v_mov_b32_e32 v112, v13
	v_mov_b32_e32 v111, v17
	s_branch .LBB398_6
.LBB398_18:
	v_mov_b32_e32 v16, v110
	v_mov_b32_e32 v15, v109
	v_mov_b32_e32 v14, v108
	v_mov_b32_e32 v12, v107
	v_mov_b32_e32 v11, v106
	v_mov_b32_e32 v10, v105
.LBB398_19:
	s_lshl_b32 s44, s51, 6
	s_sub_i32 s45, s12, s44
	s_cmp_gt_i32 s45, 0
	v_or_b32_e32 v34, s2, v63
	s_cbranch_scc1 .LBB398_21
; %bb.20:
	s_ashr_i32 s0, s33, 31
	s_add_u32 s24, s48, s33
	s_addc_u32 s25, s54, s0
	v_or_b32_e32 v35, s2, v63
	s_cbranch_execz .LBB398_22
	s_branch .LBB398_86
.LBB398_21:
                                        ; implicit-def: $sgpr24_sgpr25
                                        ; implicit-def: $vgpr35
.LBB398_22:
	s_ashr_i32 s37, s50, 31
	s_ashr_i32 s3, s44, 31
	s_cmpk_lg_i32 s15, 0x80
	s_cselect_b64 s[40:41], -1, 0
	s_and_b64 vcc, exec, s[40:41]
	s_cbranch_vccz .LBB398_24
; %bb.23:
	s_mul_hi_i32 s0, s50, s12
	s_add_u32 s1, s46, s44
	s_addc_u32 s0, s0, s3
	s_mul_i32 s20, s1, s52
	s_mul_hi_u32 s21, s1, s14
	s_add_i32 s20, s21, s20
	s_mul_i32 s0, s0, s14
	s_add_i32 s20, s20, s0
	s_mul_i32 s1, s1, s14
	s_ashr_i32 s0, s55, 31
	s_add_u32 s42, s1, s55
	s_addc_u32 s43, s20, s0
	s_cbranch_execz .LBB398_25
	s_branch .LBB398_26
.LBB398_24:
                                        ; implicit-def: $sgpr42_sgpr43
.LBB398_25:
	s_mul_hi_i32 s0, s50, s14
	s_mul_i32 s50, s50, s14
	s_ashr_i32 s1, s55, 31
	s_add_u32 s14, s50, s55
	s_addc_u32 s0, s0, s1
	s_mul_i32 s1, s14, s49
	s_mul_hi_u32 s20, s14, s12
	s_add_i32 s1, s20, s1
	s_mul_i32 s0, s0, s12
	s_add_i32 s1, s1, s0
	s_mul_i32 s14, s14, s12
	s_add_u32 s42, s14, s44
	s_addc_u32 s43, s1, s3
.LBB398_26:
	s_add_i32 s20, s53, s51
	s_ashr_i32 s14, s33, 31
	s_add_u32 s24, s48, s33
	s_addc_u32 s25, s54, s14
	s_mul_i32 s0, s24, s49
	s_mul_hi_u32 s1, s24, s12
	s_add_i32 s0, s1, s0
	s_mul_i32 s1, s25, s12
	s_add_i32 s1, s0, s1
	s_mul_i32 s0, s24, s12
	s_add_u32 s0, s0, s44
	v_lshlrev_b32_e32 v22, 5, v1
	v_lshlrev_b32_e32 v40, 2, v63
	s_addc_u32 s1, s1, s3
	s_mov_b32 s3, 0x7060302
	v_or_b32_e32 v25, v22, v40
	v_xor_b32_e32 v23, v1, v40
	v_perm_b32 v19, v5, v4, s3
	v_perm_b32 v18, v3, v2, s3
	;; [unrolled: 1-line block ×4, first 2 shown]
	v_lshlrev_b32_e32 v25, 1, v25
	v_xor_b32_e32 v24, v66, v40
	ds_write2st64_b64 v25, v[18:19], v[20:21] offset0:80 offset1:88
	v_lshlrev_b32_e32 v23, 1, v23
	v_lshlrev_b32_e32 v25, 8, v63
	s_lshl_b64 s[26:27], s[0:1], 8
	v_or_b32_e32 v26, v23, v25
	v_lshlrev_b32_e32 v24, 1, v24
	s_add_u32 s0, s6, s26
	ds_write_b64 v26, v[18:19]
	v_or_b32_e32 v18, v24, v25
	s_addc_u32 s1, s7, s27
	ds_write_b64 v18, v[20:21]
	v_perm_b32 v19, v13, v12, s3
	v_perm_b32 v18, v11, v10, s3
	;; [unrolled: 1-line block ×4, first 2 shown]
	v_or_b32_e32 v25, 16, v63
	s_mul_hi_i32 s3, s20, s13
	s_mul_i32 s20, s20, s13
	v_lshlrev_b32_e32 v37, 2, v25
	s_add_u32 s6, s20, s33
	v_or_b32_e32 v22, v22, v37
	s_addc_u32 s7, s3, s14
	v_lshlrev_b32_e32 v22, 1, v22
	s_ashr_i32 s3, s2, 31
	s_lshl_b64 s[6:7], s[6:7], 15
	ds_write2st64_b64 v22, v[18:19], v[20:21] offset0:80 offset1:88
	v_lshlrev_b32_e32 v22, 8, v25
	s_waitcnt lgkmcnt(0)
	s_add_u32 s6, s38, s6
	v_or_b32_e32 v23, v23, v22
	s_addc_u32 s7, s39, s7
	s_lshl_b64 s[2:3], s[2:3], 8
	ds_write_b64 v23, v[18:19]
	v_or_b32_e32 v18, v24, v22
	s_add_u32 s2, s6, s2
	ds_write_b64 v18, v[20:21]
	v_lshrrev_b32_e32 v18, 4, v0
	s_addc_u32 s3, s7, s3
	v_lshlrev_b32_e32 v19, 1, v63
	v_lshlrev_b32_e32 v26, 4, v63
	v_mov_b32_e32 v27, 0
	v_or_b32_e32 v20, 1, v19
	v_xor_b32_e32 v19, v18, v19
	v_lshl_add_u64 v[28:29], s[2:3], 0, v[26:27]
	v_lshlrev_b32_e32 v26, 8, v18
	v_xor_b32_e32 v22, v20, v18
	v_lshl_or_b32 v18, v19, 3, v26
	s_waitcnt lgkmcnt(0)
	s_barrier
	ds_read2st64_b64 v[18:21], v18 offset1:8
	v_lshl_or_b32 v22, v22, 3, v26
	ds_read2st64_b64 v[22:25], v22 offset1:8
	v_lshl_add_u64 v[30:31], v[28:29], 0, v[26:27]
	s_movk_i32 s2, 0x1000
	s_waitcnt lgkmcnt(1)
	v_mov_b32_e32 v26, v18
	v_add_co_u32_e32 v18, vcc, s2, v30
	s_cmp_lg_u32 s45, 64
	v_mov_b32_e32 v27, v19
	v_addc_co_u32_e32 v19, vcc, 0, v31, vcc
	s_cselect_b64 s[6:7], -1, 0
	v_lshl_or_b32 v35, v53, 3, v65
	s_waitcnt lgkmcnt(0)
	v_mov_b32_e32 v28, v22
	v_mov_b32_e32 v29, v23
	;; [unrolled: 1-line block ×4, first 2 shown]
	s_mov_b32 s20, 0
	v_or_b32_e32 v38, 32, v35
	v_and_b32_e32 v36, 56, v64
	s_and_b64 vcc, exec, s[6:7]
	global_store_dwordx4 v[30:31], v[26:29], off
	global_store_dwordx4 v[18:19], v[22:25], off
	s_cbranch_vccz .LBB398_32
; %bb.27:
	s_mov_b32 s22, s20
	s_mov_b32 s23, s20
	s_mov_b32 s21, s20
	v_mov_b64_e32 v[24:25], s[22:23]
	v_mov_b64_e32 v[22:23], s[20:21]
	;; [unrolled: 1-line block ×3, first 2 shown]
	v_cmp_gt_i32_e32 vcc, s45, v35
	v_mov_b64_e32 v[20:21], v[24:25]
	s_and_saveexec_b64 s[2:3], vcc
	s_cbranch_execz .LBB398_29
; %bb.28:
	v_lshlrev_b32_e32 v18, 8, v35
	v_mov_b32_e32 v19, 0
	v_lshl_add_u64 v[20:21], s[0:1], 0, v[18:19]
	v_lshlrev_b32_e32 v18, 1, v36
	v_lshl_add_u64 v[26:27], v[20:21], 0, v[18:19]
	global_load_dwordx4 v[22:25], v[26:27], off
	global_load_dwordx4 v[18:21], v[26:27], off offset:128
.LBB398_29:
	s_or_b64 exec, exec, s[2:3]
	s_mov_b32 s22, s20
	s_mov_b32 s23, s20
	;; [unrolled: 1-line block ×3, first 2 shown]
	v_mov_b64_e32 v[32:33], s[22:23]
	v_mov_b64_e32 v[30:31], s[20:21]
	;; [unrolled: 1-line block ×3, first 2 shown]
	v_cmp_gt_i32_e32 vcc, s45, v38
	v_lshlrev_b32_e32 v39, 7, v38
	v_mov_b64_e32 v[28:29], v[32:33]
	s_and_saveexec_b64 s[2:3], vcc
	s_cbranch_execz .LBB398_31
; %bb.30:
	v_lshlrev_b32_e32 v26, 1, v39
	v_mov_b32_e32 v27, 0
	v_lshl_add_u64 v[28:29], s[0:1], 0, v[26:27]
	v_lshlrev_b32_e32 v26, 1, v36
	v_lshl_add_u64 v[42:43], v[28:29], 0, v[26:27]
	global_load_dwordx4 v[30:33], v[42:43], off
	global_load_dwordx4 v[26:29], v[42:43], off offset:128
.LBB398_31:
	s_or_b64 exec, exec, s[2:3]
	v_lshrrev_b32_e32 v41, 3, v36
	v_lshlrev_b32_e32 v42, 3, v35
	v_or_b32_e32 v41, v42, v41
	v_lshlrev_b32_e32 v41, 4, v41
	v_and_b32_e32 v42, 0x78, v42
	v_xor_b32_e32 v41, v41, v42
	s_branch .LBB398_34
.LBB398_32:
                                        ; implicit-def: $vgpr41
                                        ; implicit-def: $vgpr39
                                        ; implicit-def: $vgpr22_vgpr23_vgpr24_vgpr25
                                        ; implicit-def: $vgpr18_vgpr19_vgpr20_vgpr21
                                        ; implicit-def: $vgpr30_vgpr31_vgpr32_vgpr33
                                        ; implicit-def: $vgpr26_vgpr27_vgpr28_vgpr29
	s_cbranch_execz .LBB398_34
; %bb.33:
	s_waitcnt vmcnt(0)
	v_lshlrev_b32_e32 v18, 1, v36
	v_lshl_or_b32 v39, v35, 8, v18
	s_and_b32 s1, s1, 0xffff
	s_mov_b32 s3, 0x20000
	s_movk_i32 s2, 0x4000
	v_lshl_or_b32 v41, v38, 8, v18
	s_movk_i32 s20, 0x80
	buffer_load_dwordx4 v[22:25], v39, s[0:3], 0 offen
	buffer_load_dwordx4 v[18:21], v39, s[0:3], s20 offen
	;; [unrolled: 1-line block ×4, first 2 shown]
	v_lshrrev_b32_e32 v39, 3, v36
	v_lshlrev_b32_e32 v41, 3, v35
	v_or_b32_e32 v39, v41, v39
	v_lshlrev_b32_e32 v39, 4, v39
	v_and_b32_e32 v41, 0x78, v41
	v_xor_b32_e32 v41, v39, v41
	v_lshlrev_b32_e32 v39, 7, v38
.LBB398_34:
	s_lshl_b64 s[0:1], s[42:43], 8
	s_add_u32 s4, s4, s0
	s_movk_i32 s0, 0x1000
	v_and_or_b32 v38, v39, s0, v41
	s_waitcnt vmcnt(1)
	ds_write_b64 v41, v[22:23] offset:24576
	v_xor_b32_e32 v22, 8, v41
	ds_write_b64 v22, v[24:25] offset:24576
	s_waitcnt vmcnt(0)
	ds_write_b64 v41, v[18:19] offset:32768
	ds_write_b64 v22, v[20:21] offset:32768
	;; [unrolled: 1-line block ×3, first 2 shown]
	v_xor_b32_e32 v18, 8, v38
	ds_write_b64 v18, v[32:33] offset:24576
	ds_write_b64 v38, v[26:27] offset:32768
	;; [unrolled: 1-line block ×3, first 2 shown]
	v_or_b32_e32 v18, v60, v63
	s_mul_i32 s37, s37, s16
	v_lshlrev_b32_e32 v18, 3, v18
	v_lshrrev_b32_e32 v19, 5, v61
	s_movk_i32 s16, 0xf8
	v_and_or_b32 v19, v18, s16, v19
	v_lshlrev_b32_e32 v23, 4, v19
	v_lshlrev_b32_e32 v41, 11, v53
	v_and_b32_e32 v24, 0x78, v18
	v_or_b32_e32 v26, 32, v23
	v_and_b32_e32 v22, 0x1000, v41
	v_lshrrev_b32_e32 v19, 1, v61
	v_xor_b32_e32 v26, v26, v24
	v_xor_b32_e32 v18, v23, v24
	v_and_b32_e32 v25, 8, v19
	v_or_b32_e32 v26, v26, v22
	v_or_b32_e32 v18, v18, v22
	v_xor_b32_e32 v45, v26, v25
	v_or_b32_e32 v26, 64, v23
	v_xor_b32_e32 v44, v18, v25
	v_xor_b32_e32 v26, v26, v24
	s_waitcnt lgkmcnt(0)
	s_barrier
	v_or_b32_e32 v28, v26, v22
	ds_read_b64 v[26:27], v44 offset:24576
	v_lshl_or_b32 v38, v62, 7, v40
	v_lshlrev_b32_e32 v42, 1, v38
	v_add_u32_e32 v18, 0xa000, v42
	ds_read2_b64 v[18:21], v18 offset1:16
	v_or_b32_e32 v23, 0x60, v23
	v_xor_b32_e32 v23, v23, v24
	s_waitcnt lgkmcnt(0)
	v_mfma_f32_16x16x16_bf16 a[0:3], v[26:27], v[18:19], 0
	v_or_b32_e32 v18, 64, v38
	v_or_b32_e32 v22, v23, v22
	v_lshlrev_b32_e32 v43, 1, v18
	v_xor_b32_e32 v46, v28, v25
	v_xor_b32_e32 v47, v22, v25
	ds_read_b64 v[28:29], v45 offset:24576
	ds_read_b64 v[30:31], v46 offset:24576
	;; [unrolled: 1-line block ×3, first 2 shown]
	v_mfma_f32_16x16x16_bf16 a[4:7], v[26:27], v[20:21], 0
	ds_read2st64_b64 v[18:21], v43 offset0:82 offset1:84
	ds_read2st64_b64 v[22:25], v42 offset0:82 offset1:84
	s_addc_u32 s5, s5, s1
	s_add_i32 s12, s12, -1
	s_add_i32 s0, s47, s17
	s_add_i32 s37, s0, s37
	s_mul_i32 s0, s33, s19
	s_mul_hi_u32 s1, s33, s18
	s_ashr_i32 s2, s12, 31
	s_mul_i32 s3, s12, s35
	s_mul_hi_u32 s16, s12, s34
	s_add_i32 s0, s1, s0
	s_mul_i32 s1, s14, s18
	s_add_i32 s3, s16, s3
	s_mul_i32 s2, s2, s34
	s_waitcnt lgkmcnt(1)
	v_mfma_f32_16x16x16_bf16 a[4:7], v[28:29], v[18:19], a[4:7]
	s_add_i32 s1, s0, s1
	s_add_i32 s3, s3, s2
	s_lshl_b64 s[16:17], s[36:37], 2
	s_waitcnt lgkmcnt(0)
	v_mfma_f32_16x16x16_bf16 a[0:3], v[28:29], v[22:23], a[0:3]
	s_mul_i32 s0, s33, s18
	s_add_u32 s10, s10, s16
	s_addc_u32 s11, s11, s17
	s_lshl_b64 s[0:1], s[0:1], 2
	s_mul_i32 s2, s12, s34
	s_add_u32 s10, s10, s0
	ds_read_b64 v[18:19], v42 offset:44032
	v_mfma_f32_16x16x16_bf16 a[4:7], v[30:31], v[20:21], a[4:7]
	ds_read_b64 v[20:21], v43 offset:44032
	s_addc_u32 s11, s11, s1
	s_lshl_b64 s[0:1], s[2:3], 2
	v_mfma_f32_16x16x16_bf16 a[0:3], v[30:31], v[24:25], a[0:3]
	s_add_u32 s0, s10, s0
	s_addc_u32 s1, s11, s1
	s_load_dword s16, s[0:1], 0x0
	s_waitcnt lgkmcnt(0)
	v_mfma_f32_16x16x16_bf16 a[0:3], v[32:33], v[18:19], a[0:3]
	s_and_b64 vcc, exec, s[40:41]
	v_mfma_f32_16x16x16_bf16 a[4:7], v[32:33], v[20:21], a[4:7]
	s_cbranch_vccz .LBB398_45
; %bb.35:
	v_lshlrev_b32_e32 v38, 1, v35
	s_and_b64 vcc, exec, s[6:7]
	s_cbranch_vccz .LBB398_46
; %bb.36:
	v_cmp_gt_i32_e32 vcc, s45, v38
	v_mov_b32_e32 v22, 0
	v_mov_b32_e32 v18, 0
	;; [unrolled: 1-line block ×5, first 2 shown]
	s_and_saveexec_b64 s[0:1], vcc
	s_cbranch_execz .LBB398_38
; %bb.37:
	v_mad_i64_i32 v[18:19], s[2:3], s15, v38, 0
	v_lshl_add_u64 v[18:19], v[18:19], 1, s[4:5]
	v_lshlrev_b32_e32 v20, 1, v36
	v_mov_b32_e32 v21, 0
	v_lshl_add_u64 v[18:19], v[18:19], 0, v[20:21]
	global_load_dwordx4 v[18:21], v[18:19], off
.LBB398_38:
	s_or_b64 exec, exec, s[0:1]
	v_or_b32_e32 v39, 1, v38
	v_cmp_gt_i32_e64 s[0:1], s45, v39
	v_mov_b32_e32 v23, 0
	v_mov_b32_e32 v24, 0
	;; [unrolled: 1-line block ×3, first 2 shown]
	s_and_saveexec_b64 s[2:3], s[0:1]
	s_cbranch_execz .LBB398_40
; %bb.39:
	v_mad_i64_i32 v[22:23], s[18:19], s15, v39, 0
	v_lshl_add_u64 v[22:23], v[22:23], 1, s[4:5]
	v_lshlrev_b32_e32 v24, 1, v36
	v_mov_b32_e32 v25, 0
	v_lshl_add_u64 v[22:23], v[22:23], 0, v[24:25]
	global_load_dwordx4 v[22:25], v[22:23], off
.LBB398_40:
	s_or_b64 exec, exec, s[2:3]
	v_mov_b32_e32 v33, 0
	v_mov_b32_e32 v26, 0
	;; [unrolled: 1-line block ×5, first 2 shown]
	s_and_saveexec_b64 s[2:3], vcc
	s_cbranch_execz .LBB398_42
; %bb.41:
	v_mad_i64_i32 v[26:27], s[18:19], s15, v38, 0
	v_lshl_add_u64 v[26:27], v[26:27], 1, s[4:5]
	v_lshlrev_b32_e32 v28, 1, v36
	v_mov_b32_e32 v29, 0
	v_lshl_add_u64 v[26:27], v[26:27], 0, v[28:29]
	global_load_dwordx4 v[26:29], v[26:27], off offset:128
.LBB398_42:
	s_or_b64 exec, exec, s[2:3]
	v_mov_b32_e32 v32, 0
	v_mov_b32_e32 v31, 0
	;; [unrolled: 1-line block ×3, first 2 shown]
	s_and_saveexec_b64 s[2:3], s[0:1]
	s_cbranch_execz .LBB398_44
; %bb.43:
	v_mad_i64_i32 v[30:31], s[0:1], s15, v39, 0
	v_lshl_add_u64 v[30:31], v[30:31], 1, s[4:5]
	v_lshlrev_b32_e32 v32, 1, v36
	v_mov_b32_e32 v33, 0
	v_lshl_add_u64 v[30:31], v[30:31], 0, v[32:33]
	global_load_dwordx4 v[30:33], v[30:31], off offset:128
.LBB398_44:
	s_or_b64 exec, exec, s[2:3]
	s_branch .LBB398_48
.LBB398_45:
                                        ; implicit-def: $vgpr21
                                        ; implicit-def: $vgpr25
                                        ; implicit-def: $vgpr29
                                        ; implicit-def: $vgpr33
	v_lshrrev_b32_e32 v48, 2, v61
	s_branch .LBB398_49
.LBB398_46:
                                        ; implicit-def: $vgpr21
                                        ; implicit-def: $vgpr25
                                        ; implicit-def: $vgpr29
                                        ; implicit-def: $vgpr33
	s_cbranch_execz .LBB398_48
; %bb.47:
	s_waitcnt vmcnt(0)
	v_mad_u64_u32 v[18:19], s[0:1], v38, s15, v[36:37]
	v_lshlrev_b32_e32 v38, 1, v18
	s_lshl_b32 s2, s15, 7
	s_and_b32 s1, s5, 0xffff
	s_mov_b32 s3, 0x20000
	s_mov_b32 s0, s4
	v_add_lshl_u32 v39, v18, s15, 1
	s_movk_i32 s15, 0x80
	buffer_load_dwordx4 v[18:21], v38, s[0:3], 0 offen
	buffer_load_dwordx4 v[26:29], v38, s[0:3], s15 offen
	;; [unrolled: 1-line block ×4, first 2 shown]
.LBB398_48:
	v_lshrrev_b32_e32 v48, 2, v61
	s_cbranch_execnz .LBB398_61
.LBB398_49:
	s_and_b64 vcc, exec, s[6:7]
	s_cbranch_vccz .LBB398_59
; %bb.50:
	s_waitcnt vmcnt(0)
	v_lshlrev_b32_e32 v23, 1, v35
	v_cmp_gt_i32_e32 vcc, s45, v23
	v_mov_b32_e32 v22, 0
	v_lshlrev_b32_e32 v30, 9, v35
	v_mov_b32_e32 v18, 0
	v_mov_b32_e32 v19, 0
	;; [unrolled: 1-line block ×4, first 2 shown]
	s_and_saveexec_b64 s[0:1], vcc
	s_cbranch_execz .LBB398_52
; %bb.51:
	v_mov_b32_e32 v31, 0
	v_lshl_add_u64 v[18:19], s[4:5], 0, v[30:31]
	v_lshlrev_b32_e32 v20, 1, v36
	v_mov_b32_e32 v21, v31
	v_lshl_add_u64 v[18:19], v[18:19], 0, v[20:21]
	global_load_dwordx4 v[18:21], v[18:19], off
.LBB398_52:
	s_or_b64 exec, exec, s[0:1]
	v_or_b32_e32 v23, 1, v23
	v_cmp_gt_i32_e64 s[0:1], s45, v23
	v_lshlrev_b32_e32 v38, 8, v23
	v_mov_b32_e32 v23, 0
	v_mov_b32_e32 v24, 0
	;; [unrolled: 1-line block ×3, first 2 shown]
	s_and_saveexec_b64 s[2:3], s[0:1]
	s_cbranch_execz .LBB398_54
; %bb.53:
	v_mov_b32_e32 v39, 0
	v_lshl_add_u64 v[22:23], s[4:5], 0, v[38:39]
	v_lshlrev_b32_e32 v24, 1, v36
	v_mov_b32_e32 v25, v39
	v_lshl_add_u64 v[22:23], v[22:23], 0, v[24:25]
	global_load_dwordx4 v[22:25], v[22:23], off
.LBB398_54:
	s_or_b64 exec, exec, s[2:3]
	v_mov_b32_e32 v33, 0
	v_mov_b32_e32 v26, 0
	;; [unrolled: 1-line block ×5, first 2 shown]
	s_and_saveexec_b64 s[2:3], vcc
	s_cbranch_execz .LBB398_56
; %bb.55:
	v_mov_b32_e32 v31, 0
	v_lshl_add_u64 v[26:27], s[4:5], 0, v[30:31]
	v_lshlrev_b32_e32 v30, 1, v36
	v_lshl_add_u64 v[26:27], v[26:27], 0, v[30:31]
	global_load_dwordx4 v[26:29], v[26:27], off offset:128
.LBB398_56:
	s_or_b64 exec, exec, s[2:3]
	v_mov_b32_e32 v32, 0
	v_mov_b32_e32 v31, 0
	;; [unrolled: 1-line block ×3, first 2 shown]
	s_and_saveexec_b64 s[2:3], s[0:1]
	s_cbranch_execz .LBB398_58
; %bb.57:
	v_mov_b32_e32 v39, 0
	v_lshl_add_u64 v[30:31], s[4:5], 0, v[38:39]
	v_lshlrev_b32_e32 v38, 1, v36
	v_lshl_add_u64 v[30:31], v[30:31], 0, v[38:39]
	global_load_dwordx4 v[30:33], v[30:31], off offset:128
.LBB398_58:
	s_or_b64 exec, exec, s[2:3]
	s_branch .LBB398_61
.LBB398_59:
                                        ; implicit-def: $vgpr21
                                        ; implicit-def: $vgpr25
                                        ; implicit-def: $vgpr29
                                        ; implicit-def: $vgpr33
	s_cbranch_execz .LBB398_61
; %bb.60:
	s_waitcnt vmcnt(0)
	v_lshlrev_b32_e32 v18, 1, v36
	v_lshl_or_b32 v36, v35, 9, v18
	s_and_b32 s5, s5, 0xffff
	s_mov_b32 s7, 0x20000
	s_movk_i32 s6, 0x4000
	s_movk_i32 s0, 0x80
	buffer_load_dwordx4 v[18:21], v36, s[4:7], 0 offen
	buffer_load_dwordx4 v[22:25], v36, s[4:7], 0 offen offset:256
	buffer_load_dwordx4 v[26:29], v36, s[4:7], s0 offen
	buffer_load_dwordx4 v[30:33], v36, s[4:7], s0 offen offset:256
.LBB398_61:
	ds_read_b64 v[38:39], v44 offset:32768
	v_add_u32_e32 v36, 0xb000, v42
	ds_read2_b64 v[54:57], v36 offset1:16
	ds_read_b64 v[50:51], v45 offset:32768
	ds_read_b64 v[58:59], v46 offset:32768
	;; [unrolled: 1-line block ×3, first 2 shown]
	ds_read2st64_b64 v[44:47], v42 offset0:90 offset1:92
	v_and_b32_e32 v36, 12, v48
	v_and_b32_e32 v48, 6, v0
	v_xor_b32_e32 v35, v35, v48
	v_lshlrev_b32_e32 v35, 2, v35
	s_mov_b32 s0, 0x1000504
	s_waitcnt lgkmcnt(4)
	v_mfma_f32_16x16x16_bf16 a[0:3], v[38:39], v[54:55], a[0:3]
	s_mov_b32 s1, 0x3020706
	v_mfma_f32_16x16x16_bf16 a[4:7], v[38:39], v[56:57], a[4:7]
	ds_read2st64_b64 v[54:57], v43 offset0:90 offset1:92
	s_waitcnt lgkmcnt(1)
	v_mfma_f32_16x16x16_bf16 a[0:3], v[50:51], v[44:45], a[0:3]
	ds_read_b64 v[38:39], v42 offset:48128
	ds_read_b64 v[44:45], v43 offset:48128
	s_waitcnt lgkmcnt(2)
	v_mfma_f32_16x16x16_bf16 a[4:7], v[50:51], v[54:55], a[4:7]
	v_mfma_f32_16x16x16_bf16 a[0:3], v[58:59], v[46:47], a[0:3]
	v_and_b32_e32 v46, 1, v0
	v_xor_b32_e32 v47, 0x440, v35
	v_cmp_eq_u32_e32 vcc, 0, v46
	v_mfma_f32_16x16x16_bf16 a[8:11], v[58:59], v[56:57], a[4:7]
	s_nop 0
	v_cndmask_b32_e32 v35, v47, v35, vcc
	v_lshl_or_b32 v35, v48, 10, v35
	s_waitcnt lgkmcnt(1)
	v_mfma_f32_16x16x16_bf16 a[4:7], v[62:63], v[38:39], a[0:3]
	s_waitcnt vmcnt(0)
	v_perm_b32 v38, v18, v22, s0
	v_perm_b32 v39, v26, v30, s0
	ds_write2st64_b32 v35, v38, v39 offset0:32 offset1:64
	v_xor_b32_e32 v38, 8, v35
	v_perm_b32 v18, v18, v22, s1
	v_perm_b32 v22, v26, v30, s1
	v_add_u32_e32 v26, 0x80, v38
	ds_write2st64_b32 v26, v18, v22 offset0:32 offset1:64
	v_xor_b32_e32 v18, 16, v35
	v_perm_b32 v22, v19, v23, s0
	v_perm_b32 v26, v27, v31, s0
	ds_write2st64_b32 v18, v22, v26 offset0:33 offset1:65
	v_xor_b32_e32 v18, 24, v35
	v_perm_b32 v19, v19, v23, s1
	v_perm_b32 v22, v27, v31, s1
	v_add_u32_e32 v18, 0x80, v18
	ds_write2st64_b32 v18, v19, v22 offset0:33 offset1:65
	v_xor_b32_e32 v18, 32, v35
	v_perm_b32 v19, v20, v24, s0
	v_perm_b32 v22, v28, v32, s0
	ds_write2st64_b32 v18, v19, v22 offset0:34 offset1:66
	v_xor_b32_e32 v18, 40, v35
	s_waitcnt lgkmcnt(5)
	v_mfma_f32_16x16x16_bf16 a[0:3], v[62:63], v[44:45], a[8:11]
	v_perm_b32 v19, v20, v24, s1
	v_perm_b32 v20, v28, v32, s1
	v_add_u32_e32 v18, 0x80, v18
	ds_write2st64_b32 v18, v19, v20 offset0:34 offset1:66
	v_xor_b32_e32 v18, 48, v35
	v_perm_b32 v19, v21, v25, s0
	v_perm_b32 v20, v29, v33, s0
	ds_write2st64_b32 v18, v19, v20 offset0:35 offset1:67
	v_xor_b32_e32 v18, 56, v35
	v_or_b32_e32 v32, v36, v60
	v_perm_b32 v19, v21, v25, s1
	v_perm_b32 v20, v29, v33, s1
	v_add_u32_e32 v18, 0x80, v18
	v_cmp_gt_i32_e32 vcc, s45, v32
	v_mov_b32_e32 v33, 0
	v_mov_b32_e32 v39, 0
	ds_write2st64_b32 v18, v19, v20 offset0:35 offset1:67
	s_and_saveexec_b64 s[0:1], vcc
	s_cbranch_execz .LBB398_63
; %bb.62:
	v_add_u32_e32 v18, s44, v32
	v_ashrrev_i32_e32 v19, 31, v18
	v_mul_lo_u32 v20, v19, s34
	v_mul_lo_u32 v21, v18, s35
	v_mad_u64_u32 v[18:19], s[2:3], v18, s34, 0
	v_add3_u32 v19, v19, v21, v20
	v_lshl_add_u64 v[18:19], v[18:19], 2, s[10:11]
	global_load_dword v18, v[18:19], off
	s_waitcnt vmcnt(0)
	v_sub_f32_e32 v18, s16, v18
	v_exp_f32_e32 v39, v18
.LBB398_63:
	s_or_b64 exec, exec, s[0:1]
	v_or_b32_e32 v26, 1, v32
	v_cmp_gt_i32_e64 s[0:1], s45, v26
	s_and_saveexec_b64 s[2:3], s[0:1]
	s_cbranch_execz .LBB398_65
; %bb.64:
	v_add_u32_e32 v18, s44, v26
	v_ashrrev_i32_e32 v19, 31, v18
	v_mul_lo_u32 v20, v19, s34
	v_mul_lo_u32 v21, v18, s35
	v_mad_u64_u32 v[18:19], s[4:5], v18, s34, 0
	v_add3_u32 v19, v19, v21, v20
	v_lshl_add_u64 v[18:19], v[18:19], 2, s[10:11]
	global_load_dword v18, v[18:19], off
	s_waitcnt vmcnt(0)
	v_sub_f32_e32 v18, s16, v18
	v_exp_f32_e32 v33, v18
.LBB398_65:
	s_or_b64 exec, exec, s[2:3]
	v_or_b32_e32 v27, 2, v32
	v_cmp_gt_i32_e64 s[2:3], s45, v27
	v_mov_b32_e32 v38, 0
	v_mov_b32_e32 v44, 0
	s_and_saveexec_b64 s[4:5], s[2:3]
	s_cbranch_execz .LBB398_67
; %bb.66:
	v_add_u32_e32 v18, s44, v27
	v_ashrrev_i32_e32 v19, 31, v18
	v_mul_lo_u32 v20, v19, s34
	v_mul_lo_u32 v21, v18, s35
	v_mad_u64_u32 v[18:19], s[6:7], v18, s34, 0
	v_add3_u32 v19, v19, v21, v20
	v_lshl_add_u64 v[18:19], v[18:19], 2, s[10:11]
	global_load_dword v18, v[18:19], off
	s_waitcnt vmcnt(0)
	v_sub_f32_e32 v18, s16, v18
	v_exp_f32_e32 v44, v18
.LBB398_67:
	s_or_b64 exec, exec, s[4:5]
	v_or_b32_e32 v45, 3, v32
	v_cmp_gt_i32_e64 s[4:5], s45, v45
	s_and_saveexec_b64 s[6:7], s[4:5]
	s_cbranch_execz .LBB398_69
; %bb.68:
	v_add_u32_e32 v18, s44, v45
	v_ashrrev_i32_e32 v19, 31, v18
	v_mul_lo_u32 v20, v19, s34
	v_mul_lo_u32 v21, v18, s35
	v_mad_u64_u32 v[18:19], s[18:19], v18, s34, 0
	v_add3_u32 v19, v19, v21, v20
	v_lshl_add_u64 v[18:19], v[18:19], 2, s[10:11]
	global_load_dword v18, v[18:19], off
	s_waitcnt vmcnt(0)
	v_sub_f32_e32 v18, s16, v18
	v_exp_f32_e32 v38, v18
.LBB398_69:
	s_or_b64 exec, exec, s[6:7]
	s_add_u32 s6, s8, s26
	v_accvgpr_read_b32 v21, a7
	s_addc_u32 s7, s9, s27
	v_ashrrev_i32_e32 v35, 31, v34
	v_accvgpr_read_b32 v20, a6
	v_accvgpr_read_b32 v19, a5
	;; [unrolled: 1-line block ×3, first 2 shown]
	v_lshl_add_u64 v[22:23], v[34:35], 1, s[6:7]
	v_mov_b32_e32 v29, 0
	v_lshlrev_b32_e32 v24, 8, v32
	v_mov_b32_e32 v25, 0
	s_and_saveexec_b64 s[6:7], vcc
	s_cbranch_execz .LBB398_71
; %bb.70:
	v_mov_b32_e32 v25, 0
	v_lshl_add_u64 v[30:31], v[22:23], 0, v[24:25]
	global_load_ushort v25, v[30:31], off
	s_waitcnt vmcnt(0)
	v_lshlrev_b32_e32 v25, 16, v25
	v_sub_f32_e32 v18, v25, v18
	v_mul_f32_e32 v18, v39, v18
	v_lshrrev_b32_e32 v25, 16, v18
.LBB398_71:
	s_or_b64 exec, exec, s[6:7]
	v_lshlrev_b32_e32 v28, 8, v26
	s_and_saveexec_b64 s[6:7], s[0:1]
	s_cbranch_execz .LBB398_73
; %bb.72:
	v_mov_b32_e32 v29, 0
	v_lshl_add_u64 v[30:31], v[22:23], 0, v[28:29]
	global_load_ushort v18, v[30:31], off
	s_waitcnt vmcnt(0)
	v_lshlrev_b32_e32 v18, 16, v18
	v_sub_f32_e32 v18, v18, v19
	v_mul_f32_e32 v18, v33, v18
	v_lshrrev_b32_e32 v29, 16, v18
.LBB398_73:
	s_or_b64 exec, exec, s[6:7]
	v_mov_b32_e32 v46, 0
	v_lshlrev_b32_e32 v30, 8, v27
	v_mov_b32_e32 v31, 0
	s_and_saveexec_b64 s[6:7], s[2:3]
	s_cbranch_execz .LBB398_75
; %bb.74:
	v_mov_b32_e32 v31, 0
	v_lshl_add_u64 v[18:19], v[22:23], 0, v[30:31]
	global_load_ushort v18, v[18:19], off
	s_waitcnt vmcnt(0)
	v_lshlrev_b32_e32 v18, 16, v18
	v_sub_f32_e32 v18, v18, v20
	v_mul_f32_e32 v18, v44, v18
	v_lshrrev_b32_e32 v31, 16, v18
.LBB398_75:
	s_or_b64 exec, exec, s[6:7]
	v_lshlrev_b32_e32 v26, 8, v45
	s_and_saveexec_b64 s[6:7], s[4:5]
	s_cbranch_execz .LBB398_77
; %bb.76:
	v_mov_b32_e32 v27, 0
	v_lshl_add_u64 v[18:19], v[22:23], 0, v[26:27]
	global_load_ushort v18, v[18:19], off
	s_waitcnt vmcnt(0)
	v_lshlrev_b32_e32 v18, 16, v18
	v_sub_f32_e32 v18, v18, v21
	v_mul_f32_e32 v18, v38, v18
	v_lshrrev_b32_e32 v46, 16, v18
.LBB398_77:
	s_or_b64 exec, exec, s[6:7]
	v_lshlrev_b32_e32 v35, 5, v32
	s_mov_b32 s6, 0x5040100
	v_perm_b32 v47, v46, v31, s6
	v_perm_b32 v46, v29, v25, s6
	v_or_b32_e32 v25, v35, v40
	v_accvgpr_read_b32 v21, a3
	v_lshlrev_b32_e32 v25, 1, v25
	v_accvgpr_read_b32 v20, a2
	v_accvgpr_read_b32 v19, a1
	;; [unrolled: 1-line block ×3, first 2 shown]
	ds_write_b64 v25, v[46:47] offset:45056
	v_mov_b32_e32 v29, 0
	v_mov_b32_e32 v25, 0
	s_and_saveexec_b64 s[6:7], vcc
	s_cbranch_execz .LBB398_79
; %bb.78:
	v_mov_b32_e32 v25, 0
	v_lshl_add_u64 v[24:25], v[22:23], 0, v[24:25]
	global_load_ushort v24, v[24:25], off offset:32
	s_waitcnt vmcnt(0)
	v_lshlrev_b32_e32 v24, 16, v24
	v_sub_f32_e32 v18, v24, v18
	v_mul_f32_e32 v18, v39, v18
	v_lshrrev_b32_e32 v25, 16, v18
.LBB398_79:
	s_or_b64 exec, exec, s[6:7]
	s_and_saveexec_b64 s[6:7], s[0:1]
	s_cbranch_execz .LBB398_81
; %bb.80:
	v_mov_b32_e32 v29, 0
	v_lshl_add_u64 v[28:29], v[22:23], 0, v[28:29]
	global_load_ushort v18, v[28:29], off offset:32
	s_waitcnt vmcnt(0)
	v_lshlrev_b32_e32 v18, 16, v18
	v_sub_f32_e32 v18, v18, v19
	v_mul_f32_e32 v18, v33, v18
	v_lshrrev_b32_e32 v29, 16, v18
.LBB398_81:
	s_or_b64 exec, exec, s[6:7]
	v_mov_b32_e32 v24, 0
	v_mov_b32_e32 v28, 0
	s_and_saveexec_b64 s[0:1], s[2:3]
	s_cbranch_execz .LBB398_83
; %bb.82:
	v_mov_b32_e32 v31, 0
	v_lshl_add_u64 v[18:19], v[22:23], 0, v[30:31]
	global_load_ushort v18, v[18:19], off offset:32
	s_waitcnt vmcnt(0)
	v_lshlrev_b32_e32 v18, 16, v18
	v_sub_f32_e32 v18, v18, v20
	v_mul_f32_e32 v18, v44, v18
	v_lshrrev_b32_e32 v28, 16, v18
.LBB398_83:
	s_or_b64 exec, exec, s[0:1]
	v_or_b32_e32 v19, 0xb000, v42
	v_or_b32_e32 v18, 0xb000, v43
	s_and_saveexec_b64 s[0:1], s[4:5]
	s_cbranch_execz .LBB398_85
; %bb.84:
	v_mov_b32_e32 v27, 0
	v_lshl_add_u64 v[22:23], v[22:23], 0, v[26:27]
	global_load_ushort v20, v[22:23], off offset:32
	s_waitcnt vmcnt(0)
	v_lshlrev_b32_e32 v20, 16, v20
	v_sub_f32_e32 v20, v20, v21
	v_mul_f32_e32 v20, v38, v20
	v_lshrrev_b32_e32 v24, 16, v20
.LBB398_85:
	s_or_b64 exec, exec, s[0:1]
	s_mov_b32 s0, 0x5040100
	v_or_b32_e32 v22, v35, v37
	v_perm_b32 v21, v24, v28, s0
	v_perm_b32 v20, v29, v25, s0
	v_lshlrev_b32_e32 v22, 1, v22
	s_movk_i32 s2, 0x100
	ds_write_b64 v22, v[20:21] offset:45056
	v_and_b32_e32 v20, 7, v0
	v_and_b32_e32 v21, 8, v0
	v_cmp_gt_u32_e32 vcc, s2, v0
	v_lshrrev_b32_e32 v0, 1, v0
	v_lshlrev_b32_e32 v26, 3, v20
	v_lshlrev_b32_e32 v35, 7, v20
	v_mov_b32_e32 v20, 0x4000
	v_mov_b32_e32 v22, 0x2000
	v_lshlrev_b32_e32 v24, 3, v53
	v_and_b32_e32 v0, 24, v0
	v_cndmask_b32_e32 v27, v20, v22, vcc
	v_xor_b32_e32 v20, v24, v0
	v_or_b32_e32 v22, 0x440, v20
	v_cmp_eq_u32_e32 vcc, 0, v21
	v_or_b32_e32 v28, 32, v0
	v_xor_b32_e32 v28, v24, v28
	v_cndmask_b32_e32 v20, v22, v20, vcc
	v_or_b32_e32 v20, v20, v41
	v_xor_b32_e32 v37, v20, v26
	v_or_b32_e32 v29, 0x440, v28
	v_add3_u32 v25, v27, v37, v35
	v_cndmask_b32_e32 v28, v29, v28, vcc
	v_or_b32_e32 v29, 64, v0
	v_or_b32_e32 v0, 0x60, v0
	s_waitcnt lgkmcnt(0)
	s_barrier
	v_xor_b32_e32 v29, v24, v29
	v_xor_b32_e32 v0, v24, v0
	ds_read_b64 v[24:25], v25
	v_xor_b32_e32 v30, 0x440, v29
	ds_read2_b64 v[20:23], v19 offset1:16
	v_cndmask_b32_e32 v29, v30, v29, vcc
	v_xor_b32_e32 v30, 0x440, v0
	v_or_b32_e32 v28, v28, v41
	v_or_b32_e32 v29, v29, v41
	v_cndmask_b32_e32 v0, v30, v0, vcc
	v_xor_b32_e32 v50, v28, v26
	v_xor_b32_e32 v51, v29, v26
	v_or_b32_e32 v0, v0, v41
	s_add_i32 s0, s12, s46
	v_add3_u32 v28, v27, v50, v35
	v_add3_u32 v29, v27, v51, v35
	v_xor_b32_e32 v52, v0, v26
	s_mul_hi_i32 s1, s0, s13
	s_mul_i32 s0, s0, s13
	v_add3_u32 v0, v27, v52, v35
	ds_read_b64 v[26:27], v28
	ds_read_b64 v[42:43], v29
	;; [unrolled: 1-line block ×3, first 2 shown]
	ds_read2st64_b64 v[28:31], v19 offset0:2 offset1:4
	ds_read2st64_b64 v[38:41], v18 offset0:2 offset1:4
	s_add_u32 s0, s0, s33
	s_waitcnt lgkmcnt(5)
	v_mfma_f32_16x16x16_bf16 a[0:3], v[24:25], v[20:21], 0
	s_addc_u32 s1, s1, s14
	s_lshl_b64 s[0:1], s[0:1], 9
	s_add_u32 s0, s30, s0
	v_mfma_f32_16x16x16_bf16 a[4:7], v[24:25], v[22:23], 0
	s_addc_u32 s1, s31, s1
	v_lshlrev_b32_e32 v0, 2, v32
	s_waitcnt lgkmcnt(1)
	v_mfma_f32_16x16x16_bf16 a[0:3], v[26:27], v[28:29], a[0:3]
	s_waitcnt lgkmcnt(0)
	v_mfma_f32_16x16x16_bf16 a[4:7], v[26:27], v[38:39], a[4:7]
	global_load_dwordx4 v[24:27], v0, s[0:1]
	ds_read_b64 v[32:33], v19 offset:3072
	ds_read_b64 v[48:49], v18 offset:3072
	v_lshlrev_b32_e32 v0, 6, v53
	v_lshlrev_b32_e32 v18, 2, v36
	v_or3_b32 v0, v0, v18, s2
	v_mfma_f32_16x16x16_bf16 a[0:3], v[42:43], v[30:31], a[0:3]
	v_add_u32_e32 v36, v37, v35
	s_waitcnt vmcnt(0)
	v_exp_f32_e32 v18, v24
	v_mfma_f32_16x16x16_bf16 a[4:7], v[42:43], v[40:41], a[4:7]
	global_load_dwordx4 v[42:45], v0, s[0:1]
	v_exp_f32_e32 v19, v25
	ds_read_b64 v[24:25], v36 offset:16384
	s_waitcnt lgkmcnt(2)
	v_mfma_f32_16x16x16_bf16 a[0:3], v[46:47], v[32:33], a[0:3]
	v_exp_f32_e32 v0, s16
	v_add_u32_e32 v36, v50, v35
	v_add_u32_e32 v50, v51, v35
	s_waitcnt lgkmcnt(1)
	v_mfma_f32_16x16x16_bf16 a[4:7], v[46:47], v[48:49], a[4:7]
	v_pk_mul_f32 v[54:55], v[0:1], v[18:19] op_sel_hi:[0,1]
	v_add_u32_e32 v35, v52, v35
	ds_read_b64 v[46:47], v36 offset:16384
	ds_read_b64 v[50:51], v50 offset:16384
	;; [unrolled: 1-line block ×3, first 2 shown]
	v_accvgpr_read_b32 v19, a1
	v_accvgpr_read_b32 v37, a3
	;; [unrolled: 1-line block ×4, first 2 shown]
	s_waitcnt lgkmcnt(3)
	v_mfma_f32_16x16x16_bf16 a[0:3], v[24:25], v[22:23], 0
	v_exp_f32_e32 v26, v26
	v_exp_f32_e32 v27, v27
	v_pk_fma_f32 v[18:19], v[2:3], v[54:55], v[18:19]
	v_mfma_f32_16x16x16_bf16 a[8:11], v[24:25], v[20:21], 0
	v_mov_b32_e32 v35, v34
	v_pk_mul_f32 v[2:3], v[0:1], v[26:27] op_sel_hi:[0,1]
	v_pk_fma_f32 v[20:21], v[4:5], v[2:3], v[36:37]
	s_waitcnt lgkmcnt(2)
	v_mfma_f32_16x16x16_bf16 a[0:3], v[46:47], v[38:39], a[0:3]
	v_accvgpr_read_b32 v4, a4
	v_fma_f32 v26, v10, v54, v4
	v_accvgpr_read_b32 v4, a5
	v_mfma_f32_16x16x16_bf16 a[8:11], v[46:47], v[28:29], a[8:11]
	v_fma_f32 v27, v11, v55, v4
	v_accvgpr_read_b32 v4, a6
	v_accvgpr_read_b32 v29, a7
	s_waitcnt lgkmcnt(1)
	v_mfma_f32_16x16x16_bf16 a[0:3], v[50:51], v[40:41], a[0:3]
	v_fma_f32 v28, v12, v2, v4
	v_fmac_f32_e32 v29, v13, v3
	s_waitcnt vmcnt(0)
	v_mov_b32_e32 v2, v43
	v_mfma_f32_16x16x16_bf16 a[8:11], v[50:51], v[30:31], a[8:11]
	v_mov_b32_e32 v3, v44
	v_mov_b32_e32 v4, v45
	v_exp_f32_e32 v10, v42
	v_exp_f32_e32 v11, v2
	;; [unrolled: 1-line block ×4, first 2 shown]
	s_waitcnt lgkmcnt(0)
	v_mfma_f32_16x16x16_bf16 a[0:3], v[52:53], v[48:49], a[0:3]
	v_pk_mul_f32 v[10:11], v[0:1], v[10:11] op_sel_hi:[0,1]
	v_pk_mul_f32 v[2:3], v[0:1], v[2:3] op_sel_hi:[0,1]
	v_mfma_f32_16x16x16_bf16 a[4:7], v[52:53], v[32:33], a[8:11]
	s_nop 3
	v_accvgpr_read_b32 v0, a0
	v_fma_f32 v30, v14, v10, v0
	v_accvgpr_read_b32 v0, a1
	v_fma_f32 v31, v15, v11, v0
	v_accvgpr_read_b32 v13, a5
	v_accvgpr_read_b32 v5, a7
	;; [unrolled: 1-line block ×6, first 2 shown]
	v_pk_fma_f32 v[22:23], v[6:7], v[10:11], v[12:13]
	v_pk_fma_f32 v[24:25], v[8:9], v[2:3], v[4:5]
	v_fma_f32 v32, v16, v2, v0
	v_fmac_f32_e32 v33, v17, v3
	v_mov_b64_e32 v[2:3], v[18:19]
	v_mov_b64_e32 v[4:5], v[20:21]
	;; [unrolled: 1-line block ×8, first 2 shown]
.LBB398_86:
	s_lshl_b64 s[0:1], s[24:25], 16
	s_waitcnt lgkmcnt(0)
	s_add_u32 s0, s28, s0
	v_lshlrev_b32_e32 v18, 7, v35
	s_addc_u32 s1, s29, s1
	v_ashrrev_i32_e32 v19, 31, v18
	v_lshl_add_u64 v[20:21], v[18:19], 2, s[0:1]
	v_lshlrev_b32_e32 v0, 2, v1
	v_mov_b32_e32 v1, 0
	v_lshl_add_u64 v[20:21], v[20:21], 0, v[0:1]
	global_store_dwordx4 v[20:21], v[2:5], off
	global_store_dwordx4 v[20:21], v[6:9], off offset:256
	s_nop 0
	v_or_b32_e32 v2, 0x800, v18
	v_ashrrev_i32_e32 v3, 31, v2
	v_lshl_add_u64 v[2:3], v[2:3], 2, s[0:1]
	v_lshl_add_u64 v[0:1], v[2:3], 0, v[0:1]
	global_store_dwordx4 v[0:1], v[10:13], off
	global_store_dwordx4 v[0:1], v[14:17], off offset:256
	s_endpgm
	.section	.rodata,"a",@progbits
	.p2align	6, 0x0
	.amdhsa_kernel _ZN12_GLOBAL__N_139chunk_gated_delta_rule_fwd_h_hip_kernelILi32ELb0ELb1ELb0ELb0ELb1ELb1ELb1ELb0EEEvPK12hip_bfloat16S3_S3_PKfS5_PKvPS1_S8_PvPKiSB_iiiiilll
		.amdhsa_group_segment_fixed_size 49152
		.amdhsa_private_segment_fixed_size 0
		.amdhsa_kernarg_size 136
		.amdhsa_user_sgpr_count 2
		.amdhsa_user_sgpr_dispatch_ptr 0
		.amdhsa_user_sgpr_queue_ptr 0
		.amdhsa_user_sgpr_kernarg_segment_ptr 1
		.amdhsa_user_sgpr_dispatch_id 0
		.amdhsa_user_sgpr_kernarg_preload_length 0
		.amdhsa_user_sgpr_kernarg_preload_offset 0
		.amdhsa_user_sgpr_private_segment_size 0
		.amdhsa_uses_dynamic_stack 0
		.amdhsa_enable_private_segment 0
		.amdhsa_system_sgpr_workgroup_id_x 1
		.amdhsa_system_sgpr_workgroup_id_y 1
		.amdhsa_system_sgpr_workgroup_id_z 0
		.amdhsa_system_sgpr_workgroup_info 0
		.amdhsa_system_vgpr_workitem_id 0
		.amdhsa_next_free_vgpr 160
		.amdhsa_next_free_sgpr 67
		.amdhsa_accum_offset 140
		.amdhsa_reserve_vcc 1
		.amdhsa_float_round_mode_32 0
		.amdhsa_float_round_mode_16_64 0
		.amdhsa_float_denorm_mode_32 3
		.amdhsa_float_denorm_mode_16_64 3
		.amdhsa_dx10_clamp 1
		.amdhsa_ieee_mode 1
		.amdhsa_fp16_overflow 0
		.amdhsa_tg_split 0
		.amdhsa_exception_fp_ieee_invalid_op 0
		.amdhsa_exception_fp_denorm_src 0
		.amdhsa_exception_fp_ieee_div_zero 0
		.amdhsa_exception_fp_ieee_overflow 0
		.amdhsa_exception_fp_ieee_underflow 0
		.amdhsa_exception_fp_ieee_inexact 0
		.amdhsa_exception_int_div_zero 0
	.end_amdhsa_kernel
	.section	.text._ZN12_GLOBAL__N_139chunk_gated_delta_rule_fwd_h_hip_kernelILi32ELb0ELb1ELb0ELb0ELb1ELb1ELb1ELb0EEEvPK12hip_bfloat16S3_S3_PKfS5_PKvPS1_S8_PvPKiSB_iiiiilll,"axG",@progbits,_ZN12_GLOBAL__N_139chunk_gated_delta_rule_fwd_h_hip_kernelILi32ELb0ELb1ELb0ELb0ELb1ELb1ELb1ELb0EEEvPK12hip_bfloat16S3_S3_PKfS5_PKvPS1_S8_PvPKiSB_iiiiilll,comdat
.Lfunc_end398:
	.size	_ZN12_GLOBAL__N_139chunk_gated_delta_rule_fwd_h_hip_kernelILi32ELb0ELb1ELb0ELb0ELb1ELb1ELb1ELb0EEEvPK12hip_bfloat16S3_S3_PKfS5_PKvPS1_S8_PvPKiSB_iiiiilll, .Lfunc_end398-_ZN12_GLOBAL__N_139chunk_gated_delta_rule_fwd_h_hip_kernelILi32ELb0ELb1ELb0ELb0ELb1ELb1ELb1ELb0EEEvPK12hip_bfloat16S3_S3_PKfS5_PKvPS1_S8_PvPKiSB_iiiiilll
                                        ; -- End function
	.section	.AMDGPU.csdata,"",@progbits
; Kernel info:
; codeLenInByte = 9692
; NumSgprs: 73
; NumVgprs: 140
; NumAgprs: 20
; TotalNumVgprs: 160
; ScratchSize: 0
; MemoryBound: 0
; FloatMode: 240
; IeeeMode: 1
; LDSByteSize: 49152 bytes/workgroup (compile time only)
; SGPRBlocks: 9
; VGPRBlocks: 19
; NumSGPRsForWavesPerEU: 73
; NumVGPRsForWavesPerEU: 160
; AccumOffset: 140
; Occupancy: 1
; WaveLimiterHint : 1
; COMPUTE_PGM_RSRC2:SCRATCH_EN: 0
; COMPUTE_PGM_RSRC2:USER_SGPR: 2
; COMPUTE_PGM_RSRC2:TRAP_HANDLER: 0
; COMPUTE_PGM_RSRC2:TGID_X_EN: 1
; COMPUTE_PGM_RSRC2:TGID_Y_EN: 1
; COMPUTE_PGM_RSRC2:TGID_Z_EN: 0
; COMPUTE_PGM_RSRC2:TIDIG_COMP_CNT: 0
; COMPUTE_PGM_RSRC3_GFX90A:ACCUM_OFFSET: 34
; COMPUTE_PGM_RSRC3_GFX90A:TG_SPLIT: 0
	.section	.text._ZN12_GLOBAL__N_139chunk_gated_delta_rule_fwd_h_hip_kernelILi32ELb0ELb0ELb1ELb0ELb1ELb1ELb1ELb0EEEvPK12hip_bfloat16S3_S3_PKfS5_PKvPS1_S8_PvPKiSB_iiiiilll,"axG",@progbits,_ZN12_GLOBAL__N_139chunk_gated_delta_rule_fwd_h_hip_kernelILi32ELb0ELb0ELb1ELb0ELb1ELb1ELb1ELb0EEEvPK12hip_bfloat16S3_S3_PKfS5_PKvPS1_S8_PvPKiSB_iiiiilll,comdat
	.globl	_ZN12_GLOBAL__N_139chunk_gated_delta_rule_fwd_h_hip_kernelILi32ELb0ELb0ELb1ELb0ELb1ELb1ELb1ELb0EEEvPK12hip_bfloat16S3_S3_PKfS5_PKvPS1_S8_PvPKiSB_iiiiilll ; -- Begin function _ZN12_GLOBAL__N_139chunk_gated_delta_rule_fwd_h_hip_kernelILi32ELb0ELb0ELb1ELb0ELb1ELb1ELb1ELb0EEEvPK12hip_bfloat16S3_S3_PKfS5_PKvPS1_S8_PvPKiSB_iiiiilll
	.p2align	8
	.type	_ZN12_GLOBAL__N_139chunk_gated_delta_rule_fwd_h_hip_kernelILi32ELb0ELb0ELb1ELb0ELb1ELb1ELb1ELb0EEEvPK12hip_bfloat16S3_S3_PKfS5_PKvPS1_S8_PvPKiSB_iiiiilll,@function
_ZN12_GLOBAL__N_139chunk_gated_delta_rule_fwd_h_hip_kernelILi32ELb0ELb0ELb1ELb0ELb1ELb1ELb1ELb0EEEvPK12hip_bfloat16S3_S3_PKfS5_PKvPS1_S8_PvPKiSB_iiiiilll: ; @_ZN12_GLOBAL__N_139chunk_gated_delta_rule_fwd_h_hip_kernelILi32ELb0ELb0ELb1ELb0ELb1ELb1ELb1ELb0EEEvPK12hip_bfloat16S3_S3_PKfS5_PKvPS1_S8_PvPKiSB_iiiiilll
; %bb.0:
	s_load_dwordx4 s[16:19], s[0:1], 0x5c
	s_load_dwordx4 s[12:15], s[0:1], 0x30
	s_abs_i32 s22, s3
	s_ashr_i32 s21, s3, 31
	s_load_dwordx8 s[4:11], s[0:1], 0x0
	s_waitcnt lgkmcnt(0)
	s_abs_i32 s20, s17
	v_cvt_f32_u32_e32 v1, s20
	s_sub_i32 s24, 0, s20
	s_ashr_i32 s23, s17, 31
	s_xor_b32 s21, s21, s23
	v_rcp_iflag_f32_e32 v1, v1
	v_lshrrev_b32_e32 v63, 6, v0
	v_bfe_u32 v64, v0, 4, 2
	v_lshlrev_b32_e32 v2, 2, v64
	v_mul_f32_e32 v1, 0x4f7ffffe, v1
	v_cvt_u32_f32_e32 v1, v1
	v_and_b32_e32 v62, 63, v0
	v_mov_b32_e32 v5, 0
	v_and_b32_e32 v45, 15, v0
	v_readfirstlane_b32 s25, v1
	s_mul_i32 s24, s24, s25
	s_mul_hi_u32 s24, s25, s24
	s_add_i32 s25, s25, s24
	s_mul_hi_u32 s24, s22, s25
	s_mul_i32 s25, s24, s20
	s_sub_i32 s22, s22, s25
	s_add_i32 s26, s24, 1
	s_sub_i32 s25, s22, s20
	s_cmp_ge_u32 s22, s20
	s_cselect_b32 s24, s26, s24
	s_cselect_b32 s22, s25, s22
	s_add_i32 s25, s24, 1
	s_cmp_ge_u32 s22, s20
	s_cselect_b32 s22, s25, s24
	s_abs_i32 s24, s18
	v_cvt_f32_u32_e32 v1, s24
	s_xor_b32 s22, s22, s21
	s_ashr_i32 s48, s16, 31
	s_sub_i32 s50, s22, s21
	v_rcp_iflag_f32_e32 v1, v1
	s_lshr_b32 s21, s48, 26
	s_add_i32 s21, s16, s21
	s_ashr_i32 s51, s18, 31
	v_mul_f32_e32 v1, 0x4f7ffffe, v1
	v_cvt_u32_f32_e32 v1, v1
	s_ashr_i32 s49, s21, 6
	s_xor_b32 s21, s23, s51
	s_sub_i32 s22, 0, s24
	v_readfirstlane_b32 s23, v1
	s_mul_i32 s22, s22, s23
	s_mul_hi_u32 s22, s23, s22
	s_add_i32 s23, s23, s22
	s_mul_hi_u32 s22, s20, s23
	s_mul_i32 s23, s22, s24
	s_mul_i32 s47, s50, s17
	s_sub_i32 s20, s20, s23
	s_sub_i32 s33, s3, s47
	s_add_i32 s3, s16, 63
	s_add_i32 s23, s22, 1
	s_sub_i32 s25, s20, s24
	s_cmp_ge_u32 s20, s24
	s_cselect_b32 s22, s23, s22
	s_cselect_b32 s20, s25, s20
	s_add_i32 s23, s22, 1
	s_cmp_ge_u32 s20, s24
	s_cselect_b32 s20, s23, s22
	s_xor_b32 s20, s20, s21
	s_sub_i32 s24, s20, s21
	s_abs_i32 s25, s24
	v_cvt_f32_u32_e32 v1, s25
	s_sub_i32 s27, 0, s25
	s_abs_i32 s26, s33
	s_xor_b32 s24, s33, s24
	v_rcp_iflag_f32_e32 v1, v1
	s_ashr_i32 s24, s24, 31
	s_load_dwordx2 s[34:35], s[0:1], 0x80
	s_load_dwordx4 s[20:23], s[0:1], 0x70
	s_mul_hi_i32 s53, s50, s17
	v_mul_f32_e32 v1, 0x4f7ffffe, v1
	v_cvt_u32_f32_e32 v1, v1
	v_lshrrev_b32_e32 v66, 3, v62
	v_lshlrev_b32_e32 v65, 3, v0
	s_waitcnt lgkmcnt(0)
	s_mul_i32 s21, s50, s21
	v_readfirstlane_b32 s28, v1
	s_mul_i32 s27, s27, s28
	s_mul_hi_u32 s27, s28, s27
	s_add_i32 s28, s28, s27
	s_mul_hi_u32 s27, s26, s28
	s_mul_i32 s28, s27, s25
	s_sub_i32 s26, s26, s28
	s_add_i32 s28, s27, 1
	s_sub_i32 s29, s26, s25
	s_cmp_ge_u32 s26, s25
	s_cselect_b32 s27, s28, s27
	s_cselect_b32 s26, s29, s26
	s_add_i32 s28, s27, 1
	s_cmp_ge_u32 s26, s25
	s_cselect_b32 s25, s28, s27
	s_xor_b32 s25, s25, s24
	s_sub_i32 s54, s25, s24
	s_ashr_i32 s24, s3, 31
	s_lshr_b32 s24, s24, 26
	v_lshlrev_b32_e32 v1, 4, v63
	s_add_i32 s3, s3, s24
	v_or_b32_e32 v67, v2, v1
	s_ashr_i32 s3, s3, 6
	s_lshl_b32 s36, s2, 5
	s_mul_i32 s52, s50, s3
	v_or_b32_e32 v68, 64, v67
	s_cmp_lt_i32 s16, 64
	s_mul_hi_u32 s46, s50, s20
	s_mul_i32 s38, s50, s20
	v_mov_b32_e32 v85, 0
	v_mov_b32_e32 v83, 0
	;; [unrolled: 1-line block ×15, first 2 shown]
	s_cbranch_scc1 .LBB399_18
; %bb.1:
	s_ashr_i32 s28, s50, 31
	s_ashr_i32 s56, s33, 31
	s_add_u32 s2, s47, s33
	s_addc_u32 s3, s53, s56
	s_mul_i32 s3, s16, s3
	s_mul_hi_u32 s24, s16, s2
	s_add_i32 s41, s24, s3
	s_mul_i32 s40, s16, s2
	s_lshl_b64 s[2:3], s[40:41], 8
	v_and_b32_e32 v70, 56, v65
	s_add_u32 s24, s6, s2
	v_lshl_or_b32 v69, v63, 3, v66
	v_lshlrev_b32_e32 v3, 1, v70
	s_addc_u32 s2, s7, s3
	v_lshl_or_b32 v71, v69, 8, v3
	s_and_b32 s25, s2, 0xffff
	s_mov_b32 s27, 0x20000
	s_movk_i32 s26, 0x4000
	s_movk_i32 s2, 0x80
	v_or_b32_e32 v72, 0x2000, v71
	buffer_load_dwordx4 v[4:7], v71, s[24:27], 0 offen
	buffer_load_dwordx4 v[8:11], v71, s[24:27], s2 offen
	;; [unrolled: 1-line block ×4, first 2 shown]
	v_lshlrev_b32_e32 v20, 3, v69
	v_and_or_b32 v22, v0, 7, v20
	v_and_b32_e32 v20, 0x78, v20
	v_lshlrev_b32_e32 v22, 4, v22
	v_xor_b32_e32 v73, v22, v20
	v_mul_lo_u32 v21, v69, s19
	v_or_b32_e32 v74, 0x1000, v73
	s_cmpk_eq_i32 s19, 0x80
	s_mov_b32 s55, s18
	v_xor_b32_e32 v20, 8, v73
	v_xor_b32_e32 v22, 8, v74
	s_cselect_b64 s[2:3], -1, 0
	s_cmpk_lg_i32 s19, 0x80
	s_waitcnt vmcnt(3)
	ds_write_b64 v73, v[4:5] offset:24576
	ds_write_b64 v20, v[6:7] offset:24576
	s_waitcnt vmcnt(2)
	ds_write_b64 v73, v[8:9] offset:32768
	ds_write_b64 v20, v[10:11] offset:32768
	s_waitcnt vmcnt(1)
	ds_write_b64 v73, v[12:13] offset:28672
	ds_write_b64 v22, v[14:15] offset:24576
	s_waitcnt vmcnt(0)
	ds_write_b64 v73, v[16:17] offset:36864
	ds_write_b64 v22, v[18:19] offset:32768
	v_lshl_add_u32 v4, v21, 1, v70
	s_cbranch_scc0 .LBB399_3
; %bb.2:
	v_lshlrev_b32_e32 v6, 1, v4
	v_add_lshl_u32 v5, v4, s19, 1
	s_lshl_b32 s26, s19, 7
	s_load_dwordx2 s[42:43], s[0:1], 0x20
	v_lshl_or_b32 v3, v69, 9, v3
	s_cbranch_execz .LBB399_4
	s_branch .LBB399_5
.LBB399_3:
                                        ; implicit-def: $vgpr5
                                        ; implicit-def: $vgpr6
                                        ; implicit-def: $sgpr26
	s_load_dwordx2 s[42:43], s[0:1], 0x20
	v_lshl_or_b32 v3, v69, 9, v3
.LBB399_4:
	v_or_b32_e32 v5, 0x100, v3
	s_movk_i32 s26, 0x4000
	v_mov_b32_e32 v6, v3
.LBB399_5:
	s_mul_hi_u32 s0, s18, s16
	s_mul_i32 s1, s51, s16
	s_add_i32 s0, s0, s1
	s_mul_i32 s1, s18, s16
	s_mul_i32 s24, s1, s28
	s_mul_hi_u32 s25, s1, s50
	s_add_i32 s24, s25, s24
	s_mul_i32 s0, s0, s50
	s_add_i32 s24, s24, s0
	s_mul_i32 s1, s1, s50
	s_ashr_i32 s57, s54, 31
	s_add_u32 s0, s1, s54
	s_addc_u32 s1, s24, s57
	s_lshl_b64 s[0:1], s[0:1], 8
	s_add_u32 s24, s4, s0
	s_addc_u32 s0, s5, s1
	s_and_b32 s25, s0, 0xffff
	s_movk_i32 s58, 0x80
	buffer_load_dwordx4 v[8:11], v6, s[24:27], 0 offen
	buffer_load_dwordx4 v[12:15], v6, s[24:27], s58 offen
	;; [unrolled: 1-line block ×4, first 2 shown]
	v_and_b32_e32 v5, 6, v0
	v_lshlrev_b32_e32 v24, 6, v67
	v_or_b32_e32 v26, 16, v45
	v_xor_b32_e32 v27, v69, v5
	v_and_b32_e32 v6, 1, v0
	s_mul_i32 s0, s28, s16
	s_mul_hi_u32 s1, s50, s16
	v_lshl_or_b32 v30, v45, 3, v24
	v_lshl_or_b32 v24, v26, 3, v24
	v_lshlrev_b32_e32 v27, 2, v27
	v_lshlrev_b32_e32 v7, 2, v45
	v_or_b32_e32 v77, 0xa000, v24
	v_or_b32_e32 v78, 0xb000, v24
	v_xor_b32_e32 v24, 0x440, v27
	v_cmp_eq_u32_e32 vcc, 0, v6
	s_add_i32 s63, s1, s0
	s_add_i32 s0, s46, s21
	s_mul_i32 s28, s28, s20
	v_xor_b32_e32 v28, v67, v7
	v_xor_b32_e32 v29, v68, v7
	v_cndmask_b32_e32 v6, v24, v27, vcc
	s_add_i32 s39, s0, s28
	s_mul_i32 s0, s33, s23
	s_mul_hi_u32 s1, s33, s22
	s_mov_b32 s61, 0x1000504
	v_lshlrev_b32_e32 v25, 8, v45
	v_lshlrev_b32_e32 v28, 1, v28
	v_lshlrev_b32_e32 v29, 1, v29
	v_lshl_or_b32 v5, v5, 10, v6
	s_add_i32 s0, s1, s0
	s_mul_i32 s1, s56, s22
	s_mov_b32 s62, 0x3020706
	v_or_b32_e32 v75, 0xa000, v30
	v_or_b32_e32 v76, 0xb000, v30
	;; [unrolled: 1-line block ×4, first 2 shown]
	v_xor_b32_e32 v6, 8, v5
	v_xor_b32_e32 v25, 24, v5
	;; [unrolled: 1-line block ×4, first 2 shown]
	s_add_i32 s1, s0, s1
	s_lshl_b64 s[24:25], s[38:39], 2
	v_xor_b32_e32 v24, 16, v5
	v_xor_b32_e32 v27, 32, v5
	;; [unrolled: 1-line block ×3, first 2 shown]
	v_add_u32_e32 v6, 0x80, v6
	v_add_u32_e32 v25, 0x80, v25
	;; [unrolled: 1-line block ×4, first 2 shown]
	s_mul_i32 s0, s33, s22
	s_add_u32 s24, s10, s24
	s_addc_u32 s25, s11, s25
	s_lshl_b64 s[0:1], s[0:1], 2
	s_add_u32 s44, s24, s0
	s_movk_i32 s0, 0xf8
	s_addc_u32 s45, s25, s1
	s_ashr_i32 s37, s36, 31
	s_lshl_b32 s30, s19, 7
	s_movk_i32 s24, 0x100
	v_mov_b32_e32 v55, 0
	v_lshlrev_b32_e32 v54, 4, v45
	v_cmp_gt_u32_e32 vcc, s24, v0
	s_mul_i32 s59, s50, s16
	s_mov_b32 s60, 0
	s_movk_i32 s39, 0x1000
	s_movk_i32 s26, 0x4000
	v_add_u32_e32 v102, v1, v2
	s_mov_b32 s64, 0x7060302
	s_mov_b32 s66, 0
	v_mov_b32_e32 v50, v55
	v_mov_b32_e32 v51, v55
	;; [unrolled: 1-line block ×9, first 2 shown]
	s_waitcnt vmcnt(1)
	v_perm_b32 v33, v8, v16, s61
	s_waitcnt vmcnt(0)
	v_perm_b32 v34, v12, v20, s61
	v_perm_b32 v8, v8, v16, s62
	v_perm_b32 v12, v12, v20, s62
	v_perm_b32 v16, v9, v17, s61
	v_perm_b32 v20, v13, v21, s61
	v_perm_b32 v9, v9, v17, s62
	v_perm_b32 v13, v13, v21, s62
	v_perm_b32 v17, v10, v18, s61
	v_perm_b32 v21, v14, v22, s61
	v_perm_b32 v10, v10, v18, s62
	v_perm_b32 v14, v14, v22, s62
	v_perm_b32 v18, v11, v19, s61
	v_perm_b32 v22, v15, v23, s61
	v_perm_b32 v11, v11, v19, s62
	v_perm_b32 v15, v15, v23, s62
	ds_write2st64_b32 v5, v33, v34 offset0:32 offset1:64
	ds_write2st64_b32 v6, v8, v12 offset0:32 offset1:64
	;; [unrolled: 1-line block ×8, first 2 shown]
	v_lshlrev_b32_e32 v5, 8, v26
	v_or_b32_e32 v81, v5, v28
	v_or_b32_e32 v82, v5, v29
	;; [unrolled: 1-line block ×3, first 2 shown]
	v_lshlrev_b32_e32 v5, 3, v5
	v_lshrrev_b32_e32 v8, 5, v62
	v_and_or_b32 v8, v5, s0, v8
	v_lshrrev_b32_e32 v6, 2, v62
	v_lshlrev_b32_e32 v11, 11, v63
	v_lshlrev_b32_e32 v8, 4, v8
	v_and_b32_e32 v5, 0x78, v5
	v_and_b32_e32 v9, 12, v6
	;; [unrolled: 1-line block ×3, first 2 shown]
	v_xor_b32_e32 v10, v8, v5
	v_lshrrev_b32_e32 v12, 1, v62
	v_or_b32_e32 v10, v10, v6
	v_and_b32_e32 v12, 8, v12
	v_xor_b32_e32 v89, v10, v12
	v_or_b32_e32 v10, 32, v8
	v_xor_b32_e32 v10, v10, v5
	v_or_b32_e32 v10, v10, v6
	;; [unrolled: 2-line block ×3, first 2 shown]
	v_or_b32_e32 v8, 0x60, v8
	v_xor_b32_e32 v10, v10, v5
	v_xor_b32_e32 v5, v8, v5
	s_lshl_b64 s[0:1], s[36:37], 8
	v_or_b32_e32 v10, v10, v6
	v_or_b32_e32 v5, v5, v6
	v_lshlrev_b32_e32 v14, 1, v4
	v_add_lshl_u32 v15, v4, s19, 1
	s_add_u32 s0, s12, s0
	v_lshlrev_b32_e32 v4, 1, v45
	v_xor_b32_e32 v93, v10, v12
	v_xor_b32_e32 v94, v5, v12
	v_lshrrev_b32_e32 v10, 4, v0
	s_addc_u32 s1, s13, s1
	v_or_b32_e32 v5, 1, v4
	v_mov_b32_e32 v20, 0x4000
	v_mov_b32_e32 v21, 0x2000
	v_lshrrev_b32_e32 v22, 1, v0
	v_xor_b32_e32 v12, v10, v4
	v_xor_b32_e32 v17, v5, v10
	v_lshl_add_u64 v[4:5], s[0:1], 0, v[54:55]
	v_lshlrev_b32_e32 v54, 8, v10
	v_cndmask_b32_e32 v20, v20, v21, vcc
	v_lshlrev_b32_e32 v21, 3, v63
	v_and_b32_e32 v22, 24, v22
	v_lshl_or_b32 v97, v12, 3, v54
	v_and_b32_e32 v12, 8, v0
	v_xor_b32_e32 v23, v21, v22
	v_or_b32_e32 v24, 0x440, v23
	v_cmp_eq_u32_e32 vcc, 0, v12
	v_and_b32_e32 v10, 7, v0
	v_lshlrev_b32_e32 v13, 7, v64
	v_cndmask_b32_e32 v12, v24, v23, vcc
	v_lshl_or_b32 v98, v17, 3, v54
	v_lshlrev_b32_e32 v17, 3, v10
	v_lshlrev_b32_e32 v19, 2, v0
	v_or_b32_e32 v12, v12, v11
	v_or_b32_e32 v7, v13, v7
	v_xor_b32_e32 v23, v12, v17
	v_and_or_b32 v12, v19, 60, v13
	v_mov_b32_e32 v13, 0xb000
	v_lshl_or_b32 v99, v12, 1, v13
	v_or_b32_e32 v12, 32, v22
	v_xor_b32_e32 v12, v21, v12
	v_or_b32_e32 v13, 0x440, v12
	v_cndmask_b32_e32 v12, v13, v12, vcc
	v_or_b32_e32 v12, v12, v11
	v_xor_b32_e32 v13, v12, v17
	v_or_b32_e32 v12, 64, v22
	v_xor_b32_e32 v12, v21, v12
	v_xor_b32_e32 v25, 0x440, v12
	v_cndmask_b32_e32 v12, v25, v12, vcc
	v_or_b32_e32 v12, v12, v11
	v_xor_b32_e32 v25, v12, v17
	v_or_b32_e32 v12, 0x60, v22
	v_xor_b32_e32 v12, v21, v12
	v_xor_b32_e32 v21, 0x440, v12
	v_cndmask_b32_e32 v12, v21, v12, vcc
	v_lshlrev_b32_e32 v7, 1, v7
	v_or_b32_e32 v6, s36, v45
	v_or_b32_e32 v11, v12, v11
	;; [unrolled: 1-line block ×6, first 2 shown]
	v_ashrrev_i32_e32 v7, 31, v6
	v_xor_b32_e32 v11, v11, v17
	v_lshlrev_b32_e32 v8, 7, v67
	v_or_b32_e32 v16, 0x100, v3
	v_lshlrev_b32_e32 v18, 7, v10
	v_or_b32_e32 v10, v9, v1
	v_add_u32_e32 v24, v20, v23
	v_add_u32_e32 v19, v20, v13
	;; [unrolled: 1-line block ×4, first 2 shown]
	v_or3_b32 v12, v1, v9, 64
	v_add_u32_e32 v9, 0x4000, v23
	v_add_u32_e32 v13, 0x4000, v13
	;; [unrolled: 1-line block ×4, first 2 shown]
	v_lshlrev_b64 v[6:7], 1, v[6:7]
	v_cndmask_b32_e64 v100, v14, v3, s[2:3]
	v_cndmask_b32_e64 v101, v15, v16, s[2:3]
	v_lshl_add_u64 v[56:57], s[8:9], 0, v[6:7]
	v_lshl_add_u64 v[58:59], s[14:15], 0, v[6:7]
	;; [unrolled: 1-line block ×3, first 2 shown]
	s_add_i32 s37, s59, 63
	v_lshlrev_b32_e32 v54, 1, v8
	v_lshlrev_b32_e32 v103, 2, v10
	v_add_u32_e32 v104, v24, v18
	v_add_u32_e32 v105, v19, v18
	;; [unrolled: 1-line block ×4, first 2 shown]
	v_lshlrev_b32_e32 v108, 2, v12
	v_add_u32_e32 v109, v9, v18
	v_add_u32_e32 v110, v13, v18
	;; [unrolled: 1-line block ×4, first 2 shown]
	v_mov_b32_e32 v86, v55
	v_mov_b32_e32 v88, v55
	;; [unrolled: 1-line block ×7, first 2 shown]
	s_waitcnt lgkmcnt(0)
	s_barrier
.LBB399_6:                              ; =>This Inner Loop Header: Depth=1
	s_add_i32 s65, s66, 1
	s_cmp_lt_i32 s65, s49
	s_mov_b64 s[28:29], 0
	s_cselect_b64 s[2:3], -1, 0
	s_cmp_ge_i32 s65, s49
	s_mov_b64 s[24:25], 0
	s_cbranch_scc1 .LBB399_8
; %bb.7:                                ;   in Loop: Header=BB399_6 Depth=1
	s_add_i32 s0, s60, 64
	s_add_u32 s0, s40, s0
	s_addc_u32 s1, s41, 0
	s_lshl_b64 s[0:1], s[0:1], 8
	s_add_u32 s24, s6, s0
	s_addc_u32 s25, s7, s1
.LBB399_8:                              ;   in Loop: Header=BB399_6 Depth=1
	v_cndmask_b32_e64 v2, 0, 1, s[2:3]
	v_cmp_ne_u32_e64 s[0:1], 1, v2
	s_andn2_b64 vcc, exec, s[2:3]
	s_cbranch_vccnz .LBB399_10
; %bb.9:                                ;   in Loop: Header=BB399_6 Depth=1
	s_add_i32 s2, s60, 64
	s_add_u32 s2, s59, s2
	s_addc_u32 s3, s63, 0
	s_mul_i32 s28, s2, s51
	s_mul_hi_u32 s29, s2, s55
	s_add_i32 s28, s29, s28
	s_mul_i32 s3, s3, s55
	s_add_i32 s28, s28, s3
	s_mul_i32 s2, s2, s55
	s_add_u32 s2, s2, s54
	s_addc_u32 s3, s28, s57
	s_lshl_b64 s[2:3], s[2:3], 8
	s_add_u32 s28, s4, s2
	s_addc_u32 s29, s5, s3
.LBB399_10:                             ;   in Loop: Header=BB399_6 Depth=1
	v_perm_b32 v3, v53, v52, s64
	v_perm_b32 v2, v51, v50, s64
	;; [unrolled: 1-line block ×4, first 2 shown]
	ds_write_b64 v75, v[2:3]
	ds_write_b64 v76, v[4:5]
	;; [unrolled: 1-line block ×4, first 2 shown]
	v_perm_b32 v3, v114, v88, s64
	v_perm_b32 v2, v86, v87, s64
	;; [unrolled: 1-line block ×4, first 2 shown]
	ds_write_b64 v77, v[2:3]
	ds_write_b64 v78, v[4:5]
	;; [unrolled: 1-line block ×4, first 2 shown]
	s_waitcnt lgkmcnt(0)
	s_barrier
	ds_read_b64 v[6:7], v89 offset:24576
	ds_read2_b64 v[2:5], v90 offset1:16
	ds_read_b64 v[10:11], v92 offset:3072
	ds_read_b64 v[12:13], v90 offset:3072
	;; [unrolled: 1-line block ×3, first 2 shown]
	s_waitcnt lgkmcnt(3)
	v_mfma_f32_16x16x16_bf16 a[0:3], v[6:7], v[2:3], 0
	s_add_i32 s2, s60, 63
	s_mul_i32 s3, s2, s35
	s_mul_hi_u32 s31, s2, s34
	v_mfma_f32_16x16x16_bf16 a[4:7], v[6:7], v[4:5], 0
	ds_read2st64_b64 v[2:5], v90 offset0:2 offset1:4
	ds_read2st64_b64 v[6:9], v92 offset0:2 offset1:4
	s_add_i32 s3, s31, s3
	s_waitcnt lgkmcnt(1)
	v_mfma_f32_16x16x16_bf16 a[0:3], v[14:15], v[2:3], a[0:3]
	s_mul_i32 s2, s2, s34
	s_lshl_b64 s[2:3], s[2:3], 2
	s_add_u32 s2, s44, s2
	s_waitcnt lgkmcnt(0)
	v_mfma_f32_16x16x16_bf16 a[4:7], v[14:15], v[6:7], a[4:7]
	ds_read_b64 v[2:3], v93 offset:24576
	ds_read_b64 v[6:7], v94 offset:24576
	s_addc_u32 s3, s45, s3
	s_and_b64 vcc, exec, s[0:1]
	s_waitcnt lgkmcnt(1)
	v_mfma_f32_16x16x16_bf16 a[0:3], v[2:3], v[4:5], a[0:3]
	v_mov_b32_e32 v117, 0
	v_mov_b32_e32 v116, 0
	;; [unrolled: 1-line block ×3, first 2 shown]
	v_mfma_f32_16x16x16_bf16 a[8:11], v[2:3], v[8:9], a[4:7]
	v_mov_b32_e32 v2, 0
	v_mov_b32_e32 v3, 0
	;; [unrolled: 1-line block ×3, first 2 shown]
	s_waitcnt lgkmcnt(0)
	v_mfma_f32_16x16x16_bf16 a[4:7], v[6:7], v[12:13], a[0:3]
	v_mov_b32_e32 v5, 0
	v_mov_b32_e32 v8, 0
	;; [unrolled: 1-line block ×3, first 2 shown]
	v_mfma_f32_16x16x16_bf16 a[0:3], v[6:7], v[10:11], a[8:11]
	v_mov_b32_e32 v6, 0
	v_mov_b32_e32 v7, 0
	;; [unrolled: 1-line block ×10, first 2 shown]
	s_cbranch_vccnz .LBB399_12
; %bb.11:                               ;   in Loop: Header=BB399_6 Depth=1
	s_and_b32 s25, s25, 0xffff
	buffer_load_dwordx4 v[14:17], v71, s[24:27], 0 offen
	buffer_load_dwordx4 v[10:13], v71, s[24:27], s58 offen
	;; [unrolled: 1-line block ×4, first 2 shown]
	v_mov_b32_e32 v116, v73
	v_mov_b32_e32 v115, v74
.LBB399_12:                             ;   in Loop: Header=BB399_6 Depth=1
	ds_read_b64 v[26:27], v89 offset:32768
	ds_read2_b64 v[18:21], v95 offset1:16
	ds_read_b64 v[28:29], v91 offset:32768
	ds_read_b64 v[30:31], v93 offset:32768
	;; [unrolled: 1-line block ×3, first 2 shown]
	ds_read2st64_b64 v[22:25], v95 offset0:2 offset1:4
	v_add_u32_e32 v34, s60, v102
	s_waitcnt lgkmcnt(4)
	v_mfma_f32_16x16x16_bf16 a[4:7], v[26:27], v[18:19], a[4:7]
	v_ashrrev_i32_e32 v18, 31, v34
	v_mfma_f32_16x16x16_bf16 a[0:3], v[26:27], v[20:21], a[0:3]
	v_mul_lo_u32 v20, v34, s35
	v_mul_lo_u32 v21, v18, s34
	v_mad_u64_u32 v[18:19], s[24:25], v34, s34, 0
	v_add3_u32 v19, v19, v20, v21
	v_add_u32_e32 v20, 1, v34
	v_ashrrev_i32_e32 v21, 31, v20
	s_waitcnt lgkmcnt(0)
	v_mfma_f32_16x16x16_bf16 a[4:7], v[28:29], v[22:23], a[4:7]
	v_mul_lo_u32 v22, v21, s34
	v_mul_lo_u32 v23, v20, s35
	v_mad_u64_u32 v[20:21], s[24:25], v20, s34, 0
	v_add3_u32 v21, v21, v23, v22
	v_add_u32_e32 v22, 2, v34
	v_ashrrev_i32_e32 v23, 31, v22
	v_mul_lo_u32 v26, v23, s34
	v_mul_lo_u32 v27, v22, s35
	v_mad_u64_u32 v[22:23], s[24:25], v22, s34, 0
	v_add3_u32 v23, v23, v27, v26
	v_add_u32_e32 v26, 3, v34
	v_ashrrev_i32_e32 v27, 31, v26
	v_mul_lo_u32 v34, v27, s34
	v_mul_lo_u32 v35, v26, s35
	v_mad_u64_u32 v[26:27], s[24:25], v26, s34, 0
	s_add_u32 s24, s40, s60
	s_addc_u32 s25, s41, 0
	s_lshl_b64 s[24:25], s[24:25], 8
	v_lshl_add_u64 v[18:19], v[18:19], 2, s[44:45]
	v_add3_u32 v27, v27, v35, v34
	v_lshl_add_u64 v[34:35], v[56:57], 0, s[24:25]
	v_lshl_add_u64 v[20:21], v[20:21], 2, s[44:45]
	;; [unrolled: 1-line block ×3, first 2 shown]
	global_load_dword v36, v[18:19], off
	global_load_ushort v37, v[34:35], off offset:256
	global_load_ushort v38, v[34:35], off
	global_load_ushort v39, v[34:35], off offset:768
	v_lshl_add_u64 v[18:19], v[26:27], 2, s[44:45]
	v_lshl_add_u64 v[22:23], v[22:23], 2, s[44:45]
	global_load_dword v40, v[20:21], off
	global_load_dword v41, v[22:23], off
	;; [unrolled: 1-line block ×3, first 2 shown]
	ds_read2st64_b64 v[18:21], v96 offset0:2 offset1:4
	s_waitcnt lgkmcnt(0)
	v_mfma_f32_16x16x16_bf16 a[0:3], v[28:29], v[18:19], a[0:3]
	global_load_ushort v28, v[34:35], off offset:512
	global_load_ushort v43, v[34:35], off offset:800
	;; [unrolled: 1-line block ×4, first 2 shown]
	s_nop 0
	global_load_ushort v34, v[34:35], off offset:32
	s_and_b64 vcc, exec, s[0:1]
	v_mfma_f32_16x16x16_bf16 a[4:7], v[30:31], v[24:25], a[4:7]
	s_waitcnt vmcnt(10)
	v_lshlrev_b32_e32 v27, 16, v37
	v_mfma_f32_16x16x16_bf16 a[0:3], v[30:31], v[20:21], a[0:3]
	ds_read_b64 v[18:19], v95 offset:3072
	ds_read_b64 v[20:21], v96 offset:3072
	s_load_dword s2, s[2:3], 0x0
	s_waitcnt vmcnt(9)
	v_lshlrev_b32_e32 v26, 16, v38
	s_waitcnt lgkmcnt(0)
	v_mfma_f32_16x16x16_bf16 a[4:7], v[32:33], v[18:19], a[4:7]
	v_lshl_add_u64 v[18:19], v[58:59], 0, s[24:25]
	v_sub_f32_e32 v30, s2, v36
	s_waitcnt vmcnt(7)
	v_sub_f32_e32 v31, s2, v40
	v_mfma_f32_16x16x16_bf16 a[0:3], v[32:33], v[20:21], a[0:3]
	s_waitcnt vmcnt(6)
	v_sub_f32_e32 v32, s2, v41
	s_waitcnt vmcnt(5)
	v_sub_f32_e32 v33, s2, v42
	v_accvgpr_read_b32 v25, a5
	v_accvgpr_read_b32 v24, a4
	v_exp_f32_e32 v30, v30
	v_pk_add_f32 v[24:25], v[26:27], v[24:25] neg_lo:[0,1] neg_hi:[0,1]
	v_exp_f32_e32 v31, v31
	v_exp_f32_e32 v26, v32
	;; [unrolled: 1-line block ×3, first 2 shown]
	v_accvgpr_read_b32 v21, a7
	v_accvgpr_read_b32 v20, a6
	v_lshlrev_b32_e32 v29, 16, v39
	s_waitcnt vmcnt(4)
	v_lshlrev_b32_e32 v28, 16, v28
	v_lshl_add_u64 v[18:19], v[18:19], 0, v[54:55]
	v_pk_add_f32 v[20:21], v[28:29], v[20:21] neg_lo:[0,1] neg_hi:[0,1]
	global_store_short_d16_hi v[18:19], v24, off
	global_store_short_d16_hi v[18:19], v25, off offset:256
	global_store_short_d16_hi v[18:19], v20, off offset:512
	;; [unrolled: 1-line block ×3, first 2 shown]
	v_pk_mul_f32 v[24:25], v[30:31], v[24:25]
	v_pk_mul_f32 v[20:21], v[26:27], v[20:21]
	v_accvgpr_read_b32 v29, a1
	v_perm_b32 v24, v25, v24, s64
	v_perm_b32 v25, v21, v20, s64
	s_waitcnt vmcnt(5)
	v_lshlrev_b32_e32 v21, 16, v118
	s_waitcnt vmcnt(4)
	v_lshlrev_b32_e32 v20, 16, v34
	v_accvgpr_read_b32 v28, a0
	v_accvgpr_read_b32 v23, a3
	;; [unrolled: 1-line block ×3, first 2 shown]
	v_pk_add_f32 v[20:21], v[20:21], v[28:29] neg_lo:[0,1] neg_hi:[0,1]
	v_lshlrev_b32_e32 v29, 16, v43
	v_lshlrev_b32_e32 v28, 16, v44
	v_pk_add_f32 v[22:23], v[28:29], v[22:23] neg_lo:[0,1] neg_hi:[0,1]
	global_store_short_d16_hi v[18:19], v20, off offset:32
	global_store_short_d16_hi v[18:19], v21, off offset:288
	;; [unrolled: 1-line block ×4, first 2 shown]
	v_pk_mul_f32 v[18:19], v[30:31], v[20:21]
	v_pk_mul_f32 v[20:21], v[26:27], v[22:23]
	v_mov_b32_e32 v118, 0
	v_perm_b32 v21, v21, v20, s64
	v_perm_b32 v20, v19, v18, s64
	ds_write2_b64 v76, v[24:25], v[20:21] offset1:16
	v_mov_b32_e32 v18, 0
	v_mov_b32_e32 v19, 0
	;; [unrolled: 1-line block ×16, first 2 shown]
	s_cbranch_vccnz .LBB399_14
; %bb.13:                               ;   in Loop: Header=BB399_6 Depth=1
	s_and_b32 s29, s29, 0xffff
	s_mov_b32 s31, s27
	buffer_load_dwordx4 v[30:33], v100, s[28:31], 0 offen
	buffer_load_dwordx4 v[22:25], v100, s[28:31], s58 offen
	;; [unrolled: 1-line block ×4, first 2 shown]
	v_mov_b32_e32 v117, v70
	v_mov_b32_e32 v118, v69
.LBB399_14:                             ;   in Loop: Header=BB399_6 Depth=1
	s_waitcnt lgkmcnt(0)
	s_barrier
	ds_read_b64 v[38:39], v104
	ds_read_b64 v[124:125], v99
	;; [unrolled: 1-line block ×5, first 2 shown]
	ds_read_b64 v[138:139], v96 offset:3072
	ds_read2_b64 v[34:37], v95 offset0:16 offset1:128
	s_waitcnt lgkmcnt(5)
	v_mfma_f32_16x16x16_bf16 a[0:3], v[38:39], v[124:125], 0
	s_add_i32 s3, s52, s66
	s_mul_hi_i32 s25, s3, s17
	s_mul_i32 s3, s3, s17
	s_waitcnt lgkmcnt(0)
	v_mfma_f32_16x16x16_bf16 a[4:7], v[38:39], v[34:35], 0
	ds_read_b64 v[38:39], v109
	ds_read2st64_b64 v[40:43], v96 offset0:2 offset1:4
	s_add_u32 s24, s3, s33
	s_addc_u32 s25, s25, s56
	s_add_i32 s3, s37, s60
	s_lshl_b64 s[24:25], s[24:25], 15
	s_mul_hi_i32 s29, s3, s17
	s_mul_i32 s3, s3, s17
	s_add_u32 s28, s3, s33
	s_waitcnt lgkmcnt(1)
	v_mfma_f32_16x16x16_bf16 a[8:11], v[38:39], v[124:125], 0
	s_addc_u32 s29, s29, s56
	ds_read2st64_b64 v[120:123], v95 offset0:4 offset1:6
	s_lshl_b64 s[28:29], s[28:29], 9
	v_mfma_f32_16x16x16_bf16 a[0:3], v[126:127], v[36:37], a[0:3]
	s_add_u32 s28, s42, s28
	s_addc_u32 s29, s43, s29
	s_waitcnt lgkmcnt(1)
	v_mfma_f32_16x16x16_bf16 a[4:7], v[126:127], v[40:41], a[4:7]
	ds_read_b64 v[126:127], v110
	ds_read_b64 v[134:135], v111
	;; [unrolled: 1-line block ×3, first 2 shown]
	v_mfma_f32_16x16x16_bf16 a[12:15], v[38:39], v[34:35], 0
	s_waitcnt lgkmcnt(2)
	v_mfma_f32_16x16x16_bf16 a[8:11], v[126:127], v[36:37], a[8:11]
	global_load_dwordx4 v[34:37], v108, s[28:29]
	v_mfma_f32_16x16x16_bf16 a[12:15], v[126:127], v[40:41], a[12:15]
	global_load_dwordx4 v[38:41], v103, s[28:29]
	ds_read2st64_b64 v[124:127], v97 offset1:8
	s_waitcnt lgkmcnt(0)
	v_mov_b32_e32 v132, v124
	v_mfma_f32_16x16x16_bf16 a[0:3], v[128:129], v[120:121], a[0:3]
	v_mov_b32_e32 v133, v125
	v_mfma_f32_16x16x16_bf16 a[4:7], v[128:129], v[42:43], a[4:7]
	ds_read2st64_b64 v[128:131], v98 offset1:8
	v_mfma_f32_16x16x16_bf16 a[8:11], v[134:135], v[120:121], a[8:11]
	v_lshl_add_u64 v[120:121], v[60:61], 0, s[24:25]
	v_mfma_f32_16x16x16_bf16 a[16:19], v[134:135], v[42:43], a[12:15]
	v_add_co_u32_e32 v42, vcc, s39, v120
	s_waitcnt lgkmcnt(0)
	v_mov_b32_e32 v134, v128
	v_mfma_f32_16x16x16_bf16 a[0:3], v[136:137], v[122:123], a[0:3]
	v_mov_b32_e32 v135, v129
	v_mov_b32_e32 v128, v126
	;; [unrolled: 1-line block ×3, first 2 shown]
	v_mfma_f32_16x16x16_bf16 a[4:7], v[136:137], v[138:139], a[4:7]
	v_addc_co_u32_e32 v43, vcc, 0, v121, vcc
	global_store_dwordx4 v[42:43], v[128:131], off
	v_mfma_f32_16x16x16_bf16 a[12:15], v[140:141], v[122:123], a[8:11]
	s_and_b64 vcc, exec, s[0:1]
	global_store_dwordx4 v[120:121], v[132:135], off
	s_waitcnt vmcnt(3)
	v_mov_b32_e32 v44, v37
	v_mfma_f32_16x16x16_bf16 a[8:11], v[140:141], v[138:139], a[16:19]
	v_mov_b32_e32 v43, v36
	v_mov_b32_e32 v42, v35
	s_cbranch_vccnz .LBB399_16
; %bb.15:                               ;   in Loop: Header=BB399_6 Depth=1
	v_lshrrev_b32_e32 v35, 3, v117
	v_and_b32_e32 v35, 6, v35
	v_xor_b32_e32 v36, v35, v118
	v_lshlrev_b32_e32 v36, 2, v36
	v_and_b32_e32 v37, 8, v117
	v_xor_b32_e32 v117, 0x440, v36
	v_cmp_eq_u32_e32 vcc, 0, v37
	v_perm_b32 v37, v22, v18, s61
	s_nop 0
	v_cndmask_b32_e32 v36, v117, v36, vcc
	v_lshl_or_b32 v35, v35, 10, v36
	v_perm_b32 v36, v30, v26, s61
	s_barrier
	ds_write2st64_b32 v35, v36, v37 offset0:32 offset1:64
	v_xor_b32_e32 v36, 8, v35
	v_perm_b32 v26, v30, v26, s62
	v_perm_b32 v18, v22, v18, s62
	v_add_u32_e32 v22, 0x80, v36
	ds_write2st64_b32 v22, v26, v18 offset0:32 offset1:64
	v_xor_b32_e32 v18, 16, v35
	v_perm_b32 v22, v31, v27, s61
	v_perm_b32 v26, v23, v19, s61
	ds_write2st64_b32 v18, v22, v26 offset0:33 offset1:65
	v_xor_b32_e32 v18, 24, v35
	v_perm_b32 v22, v31, v27, s62
	v_perm_b32 v19, v23, v19, s62
	v_add_u32_e32 v18, 0x80, v18
	ds_write2st64_b32 v18, v22, v19 offset0:33 offset1:65
	v_xor_b32_e32 v18, 32, v35
	v_perm_b32 v19, v32, v28, s61
	v_perm_b32 v22, v24, v20, s61
	;; [unrolled: 9-line block ×3, first 2 shown]
	ds_write2st64_b32 v18, v19, v20 offset0:35 offset1:67
	v_xor_b32_e32 v18, 56, v35
	v_perm_b32 v19, v33, v29, s62
	v_perm_b32 v20, v25, v21, s62
	v_add_u32_e32 v18, 0x80, v18
	ds_write2st64_b32 v18, v19, v20 offset0:35 offset1:67
	ds_write_b64 v116, v[14:15] offset:24576
	v_xor_b32_e32 v14, 8, v116
	ds_write_b64 v14, v[16:17] offset:24576
	ds_write_b64 v116, v[10:11] offset:32768
	;; [unrolled: 1-line block ×4, first 2 shown]
	v_xor_b32_e32 v6, 8, v115
	ds_write_b64 v6, v[8:9] offset:24576
	ds_write_b64 v115, v[2:3] offset:32768
	;; [unrolled: 1-line block ×3, first 2 shown]
.LBB399_16:                             ;   in Loop: Header=BB399_6 Depth=1
	v_exp_f32_e32 v18, s2
	s_waitcnt vmcnt(2)
	v_exp_f32_e32 v20, v38
	v_exp_f32_e32 v21, v39
	;; [unrolled: 1-line block ×4, first 2 shown]
	v_accvgpr_read_b32 v13, a3
	v_accvgpr_read_b32 v11, a1
	;; [unrolled: 1-line block ×4, first 2 shown]
	v_pk_mul_f32 v[20:21], v[18:19], v[20:21] op_sel_hi:[0,1]
	v_accvgpr_read_b32 v12, a2
	v_accvgpr_read_b32 v7, a5
	;; [unrolled: 1-line block ×3, first 2 shown]
	v_pk_fma_f32 v[50:51], v[50:51], v[20:21], v[10:11]
	v_pk_mul_f32 v[10:11], v[18:19], v[22:23] op_sel_hi:[0,1]
	v_pk_fma_f32 v[52:53], v[52:53], v[10:11], v[12:13]
	v_fma_f32 v87, v87, v20, v6
	v_fma_f32 v86, v86, v21, v7
	v_exp_f32_e32 v6, v34
	v_exp_f32_e32 v7, v42
	;; [unrolled: 1-line block ×4, first 2 shown]
	v_accvgpr_read_b32 v8, a6
	v_accvgpr_read_b32 v17, a15
	;; [unrolled: 1-line block ×9, first 2 shown]
	v_fma_f32 v88, v88, v10, v8
	v_fmac_f32_e32 v9, v114, v11
	v_pk_mul_f32 v[6:7], v[18:19], v[6:7] op_sel_hi:[0,1]
	v_pk_mul_f32 v[10:11], v[18:19], v[12:13] op_sel_hi:[0,1]
	s_add_i32 s60, s60, 64
	v_pk_fma_f32 v[46:47], v[46:47], v[6:7], v[14:15]
	v_pk_fma_f32 v[48:49], v[48:49], v[10:11], v[16:17]
	v_fma_f32 v84, v84, v6, v2
	v_fma_f32 v83, v83, v7, v3
	;; [unrolled: 1-line block ×3, first 2 shown]
	s_cmp_eq_u32 s49, s65
	v_fmac_f32_e32 v5, v113, v11
	s_cbranch_scc1 .LBB399_18
; %bb.17:                               ;   in Loop: Header=BB399_6 Depth=1
	s_mov_b32 s66, s65
	v_mov_b32_e32 v114, v9
	v_mov_b32_e32 v113, v5
	s_branch .LBB399_6
.LBB399_18:
	s_lshl_b32 s42, s49, 6
	s_sub_i32 s43, s16, s42
	s_cmp_gt_i32 s43, 0
	s_cbranch_scc0 .LBB399_83
; %bb.19:
	s_ashr_i32 s39, s50, 31
	s_ashr_i32 s2, s42, 31
	s_cmpk_lg_i32 s19, 0x80
	s_cselect_b64 s[30:31], -1, 0
	s_and_b64 vcc, exec, s[30:31]
	s_cbranch_vccz .LBB399_21
; %bb.20:
	s_mul_i32 s1, s50, s16
	s_mul_hi_i32 s0, s50, s16
	s_add_u32 s1, s1, s42
	s_addc_u32 s0, s0, s2
	s_mul_i32 s3, s1, s51
	s_mul_hi_u32 s24, s1, s18
	s_add_i32 s3, s24, s3
	s_mul_i32 s0, s0, s18
	s_add_i32 s3, s3, s0
	s_mul_i32 s1, s1, s18
	s_ashr_i32 s0, s54, 31
	s_add_u32 s40, s1, s54
	s_addc_u32 s41, s3, s0
	s_cbranch_execz .LBB399_22
	s_branch .LBB399_23
.LBB399_21:
                                        ; implicit-def: $sgpr40_sgpr41
.LBB399_22:
	s_mul_hi_i32 s0, s50, s18
	s_mul_i32 s50, s50, s18
	s_ashr_i32 s1, s54, 31
	s_add_u32 s3, s50, s54
	s_addc_u32 s0, s0, s1
	s_mul_i32 s1, s3, s48
	s_mul_hi_u32 s18, s3, s16
	s_add_i32 s1, s18, s1
	s_mul_i32 s0, s0, s16
	s_add_i32 s1, s1, s0
	s_mul_i32 s3, s3, s16
	s_add_u32 s40, s3, s42
	s_addc_u32 s41, s1, s2
.LBB399_23:
	s_add_i32 s3, s52, s49
	s_ashr_i32 s18, s33, 31
	s_add_u32 s0, s47, s33
	s_addc_u32 s1, s53, s18
	s_mul_i32 s24, s0, s48
	s_mul_hi_u32 s25, s0, s16
	s_add_i32 s24, s25, s24
	s_mul_i32 s1, s1, s16
	s_add_i32 s24, s24, s1
	s_mul_i32 s0, s0, s16
	s_add_u32 s0, s0, s42
	v_lshlrev_b32_e32 v8, 5, v67
	v_lshlrev_b32_e32 v22, 2, v45
	s_addc_u32 s1, s24, s2
	s_mov_b32 s2, 0x7060302
	v_or_b32_e32 v11, v8, v22
	v_xor_b32_e32 v4, v67, v22
	v_perm_b32 v3, v53, v52, s2
	v_perm_b32 v2, v51, v50, s2
	;; [unrolled: 1-line block ×4, first 2 shown]
	v_lshlrev_b32_e32 v11, 1, v11
	s_lshl_b64 s[28:29], s[0:1], 8
	v_xor_b32_e32 v10, v68, v22
	ds_write2st64_b64 v11, v[2:3], v[6:7] offset0:80 offset1:88
	v_lshlrev_b32_e32 v11, 1, v4
	v_lshlrev_b32_e32 v4, 8, v45
	s_add_u32 s0, s6, s28
	v_or_b32_e32 v12, v11, v4
	v_lshlrev_b32_e32 v10, 1, v10
	s_addc_u32 s1, s7, s29
	ds_write_b64 v12, v[2:3]
	v_or_b32_e32 v2, v10, v4
	s_mul_hi_i32 s6, s3, s17
	s_mul_i32 s3, s3, s17
	ds_write_b64 v2, v[6:7]
	v_perm_b32 v3, v9, v88, s2
	v_perm_b32 v2, v86, v87, s2
	;; [unrolled: 1-line block ×4, first 2 shown]
	v_or_b32_e32 v6, 16, v45
	s_add_u32 s2, s3, s33
	v_lshlrev_b32_e32 v19, 2, v6
	s_addc_u32 s3, s6, s18
	v_or_b32_e32 v7, v8, v19
	s_ashr_i32 s37, s36, 31
	s_lshl_b64 s[2:3], s[2:3], 15
	v_lshlrev_b32_e32 v7, 1, v7
	v_lshlrev_b32_e32 v6, 8, v6
	s_add_u32 s6, s12, s2
	ds_write2st64_b64 v7, v[2:3], v[4:5] offset0:80 offset1:88
	v_or_b32_e32 v7, v11, v6
	s_addc_u32 s7, s13, s3
	s_lshl_b64 s[2:3], s[36:37], 8
	ds_write_b64 v7, v[2:3]
	v_or_b32_e32 v2, v10, v6
	s_add_u32 s2, s6, s2
	ds_write_b64 v2, v[4:5]
	v_lshrrev_b32_e32 v2, 4, v0
	s_addc_u32 s3, s7, s3
	v_lshlrev_b32_e32 v3, 1, v45
	v_lshlrev_b32_e32 v10, 4, v45
	v_mov_b32_e32 v11, 0
	v_or_b32_e32 v4, 1, v3
	v_xor_b32_e32 v3, v2, v3
	v_lshl_add_u64 v[12:13], s[2:3], 0, v[10:11]
	v_lshlrev_b32_e32 v10, 8, v2
	v_xor_b32_e32 v6, v4, v2
	v_lshl_or_b32 v2, v3, 3, v10
	s_waitcnt lgkmcnt(0)
	s_barrier
	ds_read2st64_b64 v[2:5], v2 offset1:8
	v_lshl_or_b32 v6, v6, 3, v10
	ds_read2st64_b64 v[6:9], v6 offset1:8
	v_lshl_add_u64 v[14:15], v[12:13], 0, v[10:11]
	s_movk_i32 s2, 0x1000
	s_waitcnt lgkmcnt(1)
	v_mov_b32_e32 v10, v2
	v_add_co_u32_e32 v2, vcc, s2, v14
	s_cmp_lg_u32 s43, 64
	v_mov_b32_e32 v11, v3
	v_addc_co_u32_e32 v3, vcc, 0, v15, vcc
	s_cselect_b64 s[6:7], -1, 0
	v_lshl_or_b32 v23, v63, 3, v66
	s_waitcnt lgkmcnt(0)
	v_mov_b32_e32 v12, v6
	v_mov_b32_e32 v13, v7
	;; [unrolled: 1-line block ×4, first 2 shown]
	s_mov_b32 s24, 0
	v_or_b32_e32 v20, 32, v23
	v_and_b32_e32 v18, 56, v65
	s_and_b64 vcc, exec, s[6:7]
	global_store_dwordx4 v[14:15], v[10:13], off
	global_store_dwordx4 v[2:3], v[6:9], off
	s_cbranch_vccz .LBB399_29
; %bb.24:
	s_mov_b32 s25, s24
	s_mov_b32 s26, s24
	;; [unrolled: 1-line block ×3, first 2 shown]
	v_mov_b64_e32 v[6:7], s[24:25]
	v_mov_b64_e32 v[8:9], s[26:27]
	;; [unrolled: 1-line block ×3, first 2 shown]
	v_cmp_gt_i32_e32 vcc, s43, v23
	v_mov_b64_e32 v[4:5], v[8:9]
	s_and_saveexec_b64 s[2:3], vcc
	s_cbranch_execz .LBB399_26
; %bb.25:
	v_lshlrev_b32_e32 v2, 8, v23
	v_mov_b32_e32 v3, 0
	v_lshl_add_u64 v[4:5], s[0:1], 0, v[2:3]
	v_lshlrev_b32_e32 v2, 1, v18
	v_lshl_add_u64 v[10:11], v[4:5], 0, v[2:3]
	global_load_dwordx4 v[6:9], v[10:11], off
	global_load_dwordx4 v[2:5], v[10:11], off offset:128
.LBB399_26:
	s_or_b64 exec, exec, s[2:3]
	s_mov_b32 s25, s24
	s_mov_b32 s26, s24
	;; [unrolled: 1-line block ×3, first 2 shown]
	v_mov_b64_e32 v[14:15], s[24:25]
	v_mov_b64_e32 v[16:17], s[26:27]
	;; [unrolled: 1-line block ×3, first 2 shown]
	v_cmp_gt_i32_e32 vcc, s43, v20
	v_lshlrev_b32_e32 v21, 7, v20
	v_mov_b64_e32 v[12:13], v[16:17]
	s_and_saveexec_b64 s[2:3], vcc
	s_cbranch_execz .LBB399_28
; %bb.27:
	v_lshlrev_b32_e32 v10, 1, v21
	v_mov_b32_e32 v11, 0
	v_lshl_add_u64 v[12:13], s[0:1], 0, v[10:11]
	v_lshlrev_b32_e32 v10, 1, v18
	v_lshl_add_u64 v[24:25], v[12:13], 0, v[10:11]
	global_load_dwordx4 v[14:17], v[24:25], off
	global_load_dwordx4 v[10:13], v[24:25], off offset:128
.LBB399_28:
	s_or_b64 exec, exec, s[2:3]
	v_lshrrev_b32_e32 v24, 3, v18
	v_lshlrev_b32_e32 v25, 3, v23
	v_or_b32_e32 v24, v25, v24
	v_lshlrev_b32_e32 v24, 4, v24
	v_and_b32_e32 v25, 0x78, v25
	v_xor_b32_e32 v24, v24, v25
	s_branch .LBB399_31
.LBB399_29:
                                        ; implicit-def: $vgpr24
                                        ; implicit-def: $vgpr21
                                        ; implicit-def: $vgpr6_vgpr7_vgpr8_vgpr9
                                        ; implicit-def: $vgpr2_vgpr3_vgpr4_vgpr5
                                        ; implicit-def: $vgpr14_vgpr15_vgpr16_vgpr17
                                        ; implicit-def: $vgpr10_vgpr11_vgpr12_vgpr13
	s_cbranch_execz .LBB399_31
; %bb.30:
	s_waitcnt vmcnt(0)
	v_lshlrev_b32_e32 v2, 1, v18
	v_lshl_or_b32 v21, v23, 8, v2
	s_and_b32 s1, s1, 0xffff
	s_mov_b32 s3, 0x20000
	s_movk_i32 s2, 0x4000
	v_lshl_or_b32 v24, v20, 8, v2
	s_movk_i32 s12, 0x80
	buffer_load_dwordx4 v[6:9], v21, s[0:3], 0 offen
	buffer_load_dwordx4 v[2:5], v21, s[0:3], s12 offen
	;; [unrolled: 1-line block ×4, first 2 shown]
	v_lshrrev_b32_e32 v21, 3, v18
	v_lshlrev_b32_e32 v24, 3, v23
	v_or_b32_e32 v21, v24, v21
	v_lshlrev_b32_e32 v21, 4, v21
	v_and_b32_e32 v24, 0x78, v24
	v_xor_b32_e32 v24, v21, v24
	v_lshlrev_b32_e32 v21, 7, v20
.LBB399_31:
	s_lshl_b64 s[0:1], s[40:41], 8
	s_add_u32 s4, s4, s0
	s_movk_i32 s0, 0x1000
	v_and_or_b32 v20, v21, s0, v24
	s_waitcnt vmcnt(1)
	ds_write_b64 v24, v[6:7] offset:24576
	v_xor_b32_e32 v6, 8, v24
	ds_write_b64 v6, v[8:9] offset:24576
	s_waitcnt vmcnt(0)
	ds_write_b64 v24, v[2:3] offset:32768
	ds_write_b64 v6, v[4:5] offset:32768
	;; [unrolled: 1-line block ×3, first 2 shown]
	v_xor_b32_e32 v2, 8, v20
	ds_write_b64 v2, v[16:17] offset:24576
	ds_write_b64 v20, v[10:11] offset:32768
	;; [unrolled: 1-line block ×3, first 2 shown]
	v_or_b32_e32 v2, v1, v45
	v_lshlrev_b32_e32 v3, 11, v63
	v_lshlrev_b32_e32 v2, 3, v2
	v_and_b32_e32 v6, 0x1000, v3
	v_lshrrev_b32_e32 v3, 5, v62
	s_movk_i32 s13, 0xf8
	v_and_or_b32 v3, v2, s13, v3
	v_lshlrev_b32_e32 v7, 4, v3
	v_and_b32_e32 v8, 0x78, v2
	v_or_b32_e32 v10, 32, v7
	v_lshrrev_b32_e32 v3, 1, v62
	v_xor_b32_e32 v10, v10, v8
	v_xor_b32_e32 v2, v7, v8
	v_and_b32_e32 v9, 8, v3
	v_or_b32_e32 v10, v10, v6
	v_or_b32_e32 v2, v2, v6
	v_xor_b32_e32 v26, v10, v9
	v_or_b32_e32 v10, 64, v7
	v_xor_b32_e32 v25, v2, v9
	v_xor_b32_e32 v10, v10, v8
	s_waitcnt lgkmcnt(0)
	s_barrier
	v_or_b32_e32 v12, v10, v6
	ds_read_b64 v[10:11], v25 offset:24576
	v_lshl_or_b32 v20, v64, 7, v22
	v_lshlrev_b32_e32 v24, 1, v20
	v_add_u32_e32 v2, 0xa000, v24
	ds_read2_b64 v[2:5], v2 offset1:16
	v_or_b32_e32 v7, 0x60, v7
	v_xor_b32_e32 v7, v7, v8
	s_waitcnt lgkmcnt(0)
	v_mfma_f32_16x16x16_bf16 a[0:3], v[10:11], v[2:3], 0
	v_or_b32_e32 v2, 64, v20
	v_or_b32_e32 v6, v7, v6
	v_lshlrev_b32_e32 v29, 1, v2
	v_xor_b32_e32 v27, v12, v9
	v_xor_b32_e32 v28, v6, v9
	ds_read_b64 v[12:13], v26 offset:24576
	ds_read_b64 v[14:15], v27 offset:24576
	;; [unrolled: 1-line block ×3, first 2 shown]
	v_mfma_f32_16x16x16_bf16 a[4:7], v[10:11], v[4:5], 0
	ds_read2st64_b64 v[2:5], v29 offset0:82 offset1:84
	ds_read2st64_b64 v[6:9], v24 offset0:82 offset1:84
	s_addc_u32 s5, s5, s1
	s_add_i32 s2, s16, -1
	s_add_i32 s0, s46, s21
	s_mul_i32 s39, s39, s20
	s_add_i32 s39, s0, s39
	s_mul_i32 s0, s33, s23
	s_mul_hi_u32 s1, s33, s22
	s_ashr_i32 s3, s2, 31
	s_mul_i32 s12, s2, s35
	s_mul_hi_u32 s13, s2, s34
	s_add_i32 s0, s1, s0
	s_mul_i32 s1, s18, s22
	s_add_i32 s12, s13, s12
	s_mul_i32 s3, s3, s34
	s_waitcnt lgkmcnt(1)
	v_mfma_f32_16x16x16_bf16 a[4:7], v[12:13], v[2:3], a[4:7]
	s_add_i32 s1, s0, s1
	s_add_i32 s3, s12, s3
	s_lshl_b64 s[12:13], s[38:39], 2
	s_waitcnt lgkmcnt(0)
	v_mfma_f32_16x16x16_bf16 a[0:3], v[12:13], v[6:7], a[0:3]
	s_mul_i32 s0, s33, s22
	s_add_u32 s10, s10, s12
	s_addc_u32 s11, s11, s13
	s_lshl_b64 s[0:1], s[0:1], 2
	s_mul_i32 s2, s2, s34
	s_add_u32 s10, s10, s0
	ds_read_b64 v[2:3], v24 offset:44032
	v_mfma_f32_16x16x16_bf16 a[4:7], v[14:15], v[4:5], a[4:7]
	ds_read_b64 v[4:5], v29 offset:44032
	s_addc_u32 s11, s11, s1
	s_lshl_b64 s[0:1], s[2:3], 2
	v_mfma_f32_16x16x16_bf16 a[0:3], v[14:15], v[8:9], a[0:3]
	s_add_u32 s0, s10, s0
	s_addc_u32 s1, s11, s1
	s_load_dword s12, s[0:1], 0x0
	s_waitcnt lgkmcnt(0)
	v_mfma_f32_16x16x16_bf16 a[0:3], v[16:17], v[2:3], a[0:3]
	s_and_b64 vcc, exec, s[30:31]
	v_mfma_f32_16x16x16_bf16 a[4:7], v[16:17], v[4:5], a[4:7]
	s_cbranch_vccz .LBB399_42
; %bb.32:
	v_lshlrev_b32_e32 v20, 1, v23
	s_and_b64 vcc, exec, s[6:7]
	s_cbranch_vccz .LBB399_43
; %bb.33:
	v_cmp_gt_i32_e32 vcc, s43, v20
	v_mov_b32_e32 v6, 0
	v_mov_b32_e32 v2, 0
	;; [unrolled: 1-line block ×5, first 2 shown]
	s_and_saveexec_b64 s[0:1], vcc
	s_cbranch_execz .LBB399_35
; %bb.34:
	v_mad_i64_i32 v[2:3], s[2:3], s19, v20, 0
	v_lshl_add_u64 v[2:3], v[2:3], 1, s[4:5]
	v_lshlrev_b32_e32 v4, 1, v18
	v_mov_b32_e32 v5, 0
	v_lshl_add_u64 v[2:3], v[2:3], 0, v[4:5]
	global_load_dwordx4 v[2:5], v[2:3], off
.LBB399_35:
	s_or_b64 exec, exec, s[0:1]
	v_or_b32_e32 v21, 1, v20
	v_cmp_gt_i32_e64 s[0:1], s43, v21
	v_mov_b32_e32 v7, 0
	v_mov_b32_e32 v8, 0
	v_mov_b32_e32 v9, 0
	s_and_saveexec_b64 s[2:3], s[0:1]
	s_cbranch_execz .LBB399_37
; %bb.36:
	v_mad_i64_i32 v[6:7], s[16:17], s19, v21, 0
	v_lshl_add_u64 v[6:7], v[6:7], 1, s[4:5]
	v_lshlrev_b32_e32 v8, 1, v18
	v_mov_b32_e32 v9, 0
	v_lshl_add_u64 v[6:7], v[6:7], 0, v[8:9]
	global_load_dwordx4 v[6:9], v[6:7], off
.LBB399_37:
	s_or_b64 exec, exec, s[2:3]
	v_mov_b32_e32 v17, 0
	v_mov_b32_e32 v10, 0
	;; [unrolled: 1-line block ×5, first 2 shown]
	s_and_saveexec_b64 s[2:3], vcc
	s_cbranch_execz .LBB399_39
; %bb.38:
	v_mad_i64_i32 v[10:11], s[16:17], s19, v20, 0
	v_lshl_add_u64 v[10:11], v[10:11], 1, s[4:5]
	v_lshlrev_b32_e32 v12, 1, v18
	v_mov_b32_e32 v13, 0
	v_lshl_add_u64 v[10:11], v[10:11], 0, v[12:13]
	global_load_dwordx4 v[10:13], v[10:11], off offset:128
.LBB399_39:
	s_or_b64 exec, exec, s[2:3]
	v_mov_b32_e32 v16, 0
	v_mov_b32_e32 v15, 0
	v_mov_b32_e32 v14, 0
	s_and_saveexec_b64 s[2:3], s[0:1]
	s_cbranch_execz .LBB399_41
; %bb.40:
	v_mad_i64_i32 v[14:15], s[0:1], s19, v21, 0
	v_lshl_add_u64 v[14:15], v[14:15], 1, s[4:5]
	v_lshlrev_b32_e32 v16, 1, v18
	v_mov_b32_e32 v17, 0
	v_lshl_add_u64 v[14:15], v[14:15], 0, v[16:17]
	global_load_dwordx4 v[14:17], v[14:15], off offset:128
.LBB399_41:
	s_or_b64 exec, exec, s[2:3]
	s_branch .LBB399_45
.LBB399_42:
                                        ; implicit-def: $vgpr5
                                        ; implicit-def: $vgpr9
                                        ; implicit-def: $vgpr13
                                        ; implicit-def: $vgpr17
	v_lshrrev_b32_e32 v30, 2, v62
	s_branch .LBB399_46
.LBB399_43:
                                        ; implicit-def: $vgpr5
                                        ; implicit-def: $vgpr9
                                        ; implicit-def: $vgpr13
                                        ; implicit-def: $vgpr17
	s_cbranch_execz .LBB399_45
; %bb.44:
	s_waitcnt vmcnt(0)
	v_mad_u64_u32 v[2:3], s[0:1], v20, s19, v[18:19]
	v_lshlrev_b32_e32 v20, 1, v2
	s_lshl_b32 s2, s19, 7
	s_and_b32 s1, s5, 0xffff
	s_mov_b32 s3, 0x20000
	s_mov_b32 s0, s4
	v_add_lshl_u32 v21, v2, s19, 1
	s_movk_i32 s13, 0x80
	buffer_load_dwordx4 v[2:5], v20, s[0:3], 0 offen
	buffer_load_dwordx4 v[10:13], v20, s[0:3], s13 offen
	;; [unrolled: 1-line block ×4, first 2 shown]
.LBB399_45:
	v_lshrrev_b32_e32 v30, 2, v62
	s_cbranch_execnz .LBB399_58
.LBB399_46:
	s_and_b64 vcc, exec, s[6:7]
	s_cbranch_vccz .LBB399_56
; %bb.47:
	s_waitcnt vmcnt(0)
	v_lshlrev_b32_e32 v7, 1, v23
	v_cmp_gt_i32_e32 vcc, s43, v7
	v_mov_b32_e32 v6, 0
	v_lshlrev_b32_e32 v14, 9, v23
	v_mov_b32_e32 v2, 0
	v_mov_b32_e32 v3, 0
	;; [unrolled: 1-line block ×4, first 2 shown]
	s_and_saveexec_b64 s[0:1], vcc
	s_cbranch_execz .LBB399_49
; %bb.48:
	v_mov_b32_e32 v15, 0
	v_lshl_add_u64 v[2:3], s[4:5], 0, v[14:15]
	v_lshlrev_b32_e32 v4, 1, v18
	v_mov_b32_e32 v5, v15
	v_lshl_add_u64 v[2:3], v[2:3], 0, v[4:5]
	global_load_dwordx4 v[2:5], v[2:3], off
.LBB399_49:
	s_or_b64 exec, exec, s[0:1]
	v_or_b32_e32 v7, 1, v7
	v_cmp_gt_i32_e64 s[0:1], s43, v7
	v_lshlrev_b32_e32 v20, 8, v7
	v_mov_b32_e32 v7, 0
	v_mov_b32_e32 v8, 0
	;; [unrolled: 1-line block ×3, first 2 shown]
	s_and_saveexec_b64 s[2:3], s[0:1]
	s_cbranch_execz .LBB399_51
; %bb.50:
	v_mov_b32_e32 v21, 0
	v_lshl_add_u64 v[6:7], s[4:5], 0, v[20:21]
	v_lshlrev_b32_e32 v8, 1, v18
	v_mov_b32_e32 v9, v21
	v_lshl_add_u64 v[6:7], v[6:7], 0, v[8:9]
	global_load_dwordx4 v[6:9], v[6:7], off
.LBB399_51:
	s_or_b64 exec, exec, s[2:3]
	v_mov_b32_e32 v17, 0
	v_mov_b32_e32 v10, 0
	;; [unrolled: 1-line block ×5, first 2 shown]
	s_and_saveexec_b64 s[2:3], vcc
	s_cbranch_execz .LBB399_53
; %bb.52:
	v_mov_b32_e32 v15, 0
	v_lshl_add_u64 v[10:11], s[4:5], 0, v[14:15]
	v_lshlrev_b32_e32 v14, 1, v18
	v_lshl_add_u64 v[10:11], v[10:11], 0, v[14:15]
	global_load_dwordx4 v[10:13], v[10:11], off offset:128
.LBB399_53:
	s_or_b64 exec, exec, s[2:3]
	v_mov_b32_e32 v16, 0
	v_mov_b32_e32 v15, 0
	;; [unrolled: 1-line block ×3, first 2 shown]
	s_and_saveexec_b64 s[2:3], s[0:1]
	s_cbranch_execz .LBB399_55
; %bb.54:
	v_mov_b32_e32 v21, 0
	v_lshl_add_u64 v[14:15], s[4:5], 0, v[20:21]
	v_lshlrev_b32_e32 v20, 1, v18
	v_lshl_add_u64 v[14:15], v[14:15], 0, v[20:21]
	global_load_dwordx4 v[14:17], v[14:15], off offset:128
.LBB399_55:
	s_or_b64 exec, exec, s[2:3]
	s_branch .LBB399_58
.LBB399_56:
                                        ; implicit-def: $vgpr5
                                        ; implicit-def: $vgpr9
                                        ; implicit-def: $vgpr13
                                        ; implicit-def: $vgpr17
	s_cbranch_execz .LBB399_58
; %bb.57:
	s_waitcnt vmcnt(0)
	v_lshlrev_b32_e32 v2, 1, v18
	v_lshl_or_b32 v18, v23, 9, v2
	s_and_b32 s5, s5, 0xffff
	s_mov_b32 s7, 0x20000
	s_movk_i32 s6, 0x4000
	s_movk_i32 s0, 0x80
	buffer_load_dwordx4 v[2:5], v18, s[4:7], 0 offen
	buffer_load_dwordx4 v[6:9], v18, s[4:7], 0 offen offset:256
	buffer_load_dwordx4 v[10:13], v18, s[4:7], s0 offen
	buffer_load_dwordx4 v[14:17], v18, s[4:7], s0 offen offset:256
.LBB399_58:
	ds_read_b64 v[20:21], v25 offset:32768
	v_add_u32_e32 v18, 0xb000, v24
	ds_read2_b64 v[32:35], v18 offset1:16
	ds_read_b64 v[40:41], v26 offset:32768
	ds_read_b64 v[26:27], v27 offset:32768
	;; [unrolled: 1-line block ×3, first 2 shown]
	v_and_b32_e32 v18, 6, v0
	v_xor_b32_e32 v23, v23, v18
	v_lshlrev_b32_e32 v23, 2, v23
	v_and_b32_e32 v0, 1, v0
	v_xor_b32_e32 v28, 0x440, v23
	v_cmp_eq_u32_e32 vcc, 0, v0
	s_waitcnt lgkmcnt(3)
	v_mfma_f32_16x16x16_bf16 a[0:3], v[20:21], v[32:33], a[0:3]
	s_mov_b32 s0, 0x1000504
	v_cndmask_b32_e32 v0, v28, v23, vcc
	v_lshl_or_b32 v0, v18, 10, v0
	v_mfma_f32_16x16x16_bf16 a[4:7], v[20:21], v[34:35], a[4:7]
	ds_read2st64_b64 v[32:35], v24 offset0:90 offset1:92
	ds_read2st64_b64 v[36:39], v29 offset0:90 offset1:92
	ds_read_b64 v[20:21], v24 offset:48128
	ds_read_b64 v[24:25], v29 offset:48128
	s_waitcnt vmcnt(0)
	v_perm_b32 v18, v2, v6, s0
	s_waitcnt lgkmcnt(3)
	v_mfma_f32_16x16x16_bf16 a[0:3], v[40:41], v[32:33], a[0:3]
	s_mov_b32 s1, 0x3020706
	v_perm_b32 v2, v2, v6, s1
	v_perm_b32 v6, v10, v14, s1
	s_waitcnt lgkmcnt(2)
	v_mfma_f32_16x16x16_bf16 a[4:7], v[40:41], v[36:37], a[4:7]
	v_mfma_f32_16x16x16_bf16 a[0:3], v[26:27], v[34:35], a[0:3]
	;; [unrolled: 1-line block ×3, first 2 shown]
	s_waitcnt lgkmcnt(1)
	v_mfma_f32_16x16x16_bf16 a[4:7], v[42:43], v[20:21], a[0:3]
	v_perm_b32 v20, v10, v14, s0
	ds_write2st64_b32 v0, v18, v20 offset0:32 offset1:64
	v_xor_b32_e32 v18, 8, v0
	v_add_u32_e32 v10, 0x80, v18
	ds_write2st64_b32 v10, v2, v6 offset0:32 offset1:64
	v_xor_b32_e32 v2, 16, v0
	v_perm_b32 v6, v3, v7, s0
	v_perm_b32 v10, v11, v15, s0
	ds_write2st64_b32 v2, v6, v10 offset0:33 offset1:65
	v_xor_b32_e32 v2, 24, v0
	v_perm_b32 v3, v3, v7, s1
	v_perm_b32 v6, v11, v15, s1
	v_add_u32_e32 v2, 0x80, v2
	ds_write2st64_b32 v2, v3, v6 offset0:33 offset1:65
	v_xor_b32_e32 v2, 32, v0
	v_perm_b32 v3, v4, v8, s0
	v_perm_b32 v6, v12, v16, s0
	s_waitcnt lgkmcnt(4)
	v_mfma_f32_16x16x16_bf16 a[0:3], v[42:43], v[24:25], a[8:11]
	ds_write2st64_b32 v2, v3, v6 offset0:34 offset1:66
	v_xor_b32_e32 v2, 40, v0
	v_perm_b32 v3, v4, v8, s1
	v_perm_b32 v4, v12, v16, s1
	v_add_u32_e32 v2, 0x80, v2
	ds_write2st64_b32 v2, v3, v4 offset0:34 offset1:66
	v_xor_b32_e32 v2, 48, v0
	v_perm_b32 v3, v5, v9, s0
	v_perm_b32 v4, v13, v17, s0
	v_xor_b32_e32 v0, 56, v0
	v_and_or_b32 v21, v30, 12, v1
	ds_write2st64_b32 v2, v3, v4 offset0:35 offset1:67
	v_perm_b32 v2, v5, v9, s1
	v_perm_b32 v3, v13, v17, s1
	v_add_u32_e32 v0, 0x80, v0
	v_cmp_gt_i32_e32 vcc, s43, v21
	v_mov_b32_e32 v16, 0
	v_mov_b32_e32 v18, 0
	ds_write2st64_b32 v0, v2, v3 offset0:35 offset1:67
	s_and_saveexec_b64 s[0:1], vcc
	s_cbranch_execz .LBB399_60
; %bb.59:
	v_add_u32_e32 v0, s42, v21
	v_ashrrev_i32_e32 v1, 31, v0
	v_mul_lo_u32 v2, v1, s34
	v_mul_lo_u32 v3, v0, s35
	v_mad_u64_u32 v[0:1], s[2:3], v0, s34, 0
	v_add3_u32 v1, v1, v3, v2
	v_lshl_add_u64 v[0:1], v[0:1], 2, s[10:11]
	global_load_dword v0, v[0:1], off
	s_waitcnt vmcnt(0)
	v_sub_f32_e32 v0, s12, v0
	v_exp_f32_e32 v18, v0
.LBB399_60:
	s_or_b64 exec, exec, s[0:1]
	v_or_b32_e32 v10, 1, v21
	v_cmp_gt_i32_e64 s[2:3], s43, v10
	s_and_saveexec_b64 s[0:1], s[2:3]
	s_cbranch_execz .LBB399_62
; %bb.61:
	v_add_u32_e32 v0, s42, v10
	v_ashrrev_i32_e32 v1, 31, v0
	v_mul_lo_u32 v2, v1, s34
	v_mul_lo_u32 v3, v0, s35
	v_mad_u64_u32 v[0:1], s[4:5], v0, s34, 0
	v_add3_u32 v1, v1, v3, v2
	v_lshl_add_u64 v[0:1], v[0:1], 2, s[10:11]
	global_load_dword v0, v[0:1], off
	s_waitcnt vmcnt(0)
	v_sub_f32_e32 v0, s12, v0
	v_exp_f32_e32 v16, v0
.LBB399_62:
	s_or_b64 exec, exec, s[0:1]
	v_or_b32_e32 v12, 2, v21
	v_cmp_gt_i32_e64 s[0:1], s43, v12
	v_mov_b32_e32 v17, 0
	v_mov_b32_e32 v20, 0
	s_and_saveexec_b64 s[4:5], s[0:1]
	s_cbranch_execz .LBB399_64
; %bb.63:
	v_add_u32_e32 v0, s42, v12
	v_ashrrev_i32_e32 v1, 31, v0
	v_mul_lo_u32 v2, v1, s34
	v_mul_lo_u32 v3, v0, s35
	v_mad_u64_u32 v[0:1], s[6:7], v0, s34, 0
	v_add3_u32 v1, v1, v3, v2
	v_lshl_add_u64 v[0:1], v[0:1], 2, s[10:11]
	global_load_dword v0, v[0:1], off
	s_waitcnt vmcnt(0)
	v_sub_f32_e32 v0, s12, v0
	v_exp_f32_e32 v20, v0
.LBB399_64:
	s_or_b64 exec, exec, s[4:5]
	v_or_b32_e32 v14, 3, v21
	v_cmp_gt_i32_e64 s[4:5], s43, v14
	s_and_saveexec_b64 s[6:7], s[4:5]
	s_cbranch_execz .LBB399_66
; %bb.65:
	v_add_u32_e32 v0, s42, v14
	v_ashrrev_i32_e32 v1, 31, v0
	v_mul_lo_u32 v2, v1, s34
	v_mul_lo_u32 v3, v0, s35
	v_mad_u64_u32 v[0:1], s[16:17], v0, s34, 0
	v_add3_u32 v1, v1, v3, v2
	v_lshl_add_u64 v[0:1], v[0:1], 2, s[10:11]
	global_load_dword v0, v[0:1], off
	s_waitcnt vmcnt(0)
	v_sub_f32_e32 v0, s12, v0
	v_exp_f32_e32 v17, v0
.LBB399_66:
	s_or_b64 exec, exec, s[6:7]
	s_add_u32 s6, s8, s28
	v_or_b32_e32 v4, s36, v45
	s_addc_u32 s7, s9, s29
	s_add_u32 s8, s14, s28
	v_ashrrev_i32_e32 v5, 31, v4
	v_accvgpr_read_b32 v0, a4
	s_addc_u32 s9, s15, s29
	v_lshlrev_b64 v[4:5], 1, v[4:5]
	v_accvgpr_read_b32 v1, a5
	v_accvgpr_read_b32 v2, a6
	;; [unrolled: 1-line block ×3, first 2 shown]
	v_lshl_add_u64 v[6:7], s[6:7], 0, v[4:5]
	v_lshl_add_u64 v[4:5], s[8:9], 0, v[4:5]
	v_mov_b32_e32 v11, 0
	v_lshlrev_b32_e32 v8, 8, v21
	v_mov_b32_e32 v9, 0
	s_and_saveexec_b64 s[6:7], vcc
	s_cbranch_execz .LBB399_68
; %bb.67:
	v_mov_b32_e32 v9, 0
	v_lshl_add_u64 v[24:25], v[6:7], 0, v[8:9]
	global_load_ushort v13, v[24:25], off
	v_lshl_add_u64 v[24:25], v[4:5], 0, v[8:9]
	s_waitcnt vmcnt(0)
	v_lshlrev_b32_e32 v9, 16, v13
	v_sub_f32_e32 v0, v9, v0
	global_store_short_d16_hi v[24:25], v0, off
	v_mul_f32_e32 v0, v18, v0
	v_lshrrev_b32_e32 v9, 16, v0
.LBB399_68:
	s_or_b64 exec, exec, s[6:7]
	v_lshlrev_b32_e32 v10, 8, v10
	s_and_saveexec_b64 s[6:7], s[2:3]
	s_cbranch_execz .LBB399_70
; %bb.69:
	v_mov_b32_e32 v11, 0
	v_lshl_add_u64 v[24:25], v[6:7], 0, v[10:11]
	global_load_ushort v0, v[24:25], off
	v_lshl_add_u64 v[24:25], v[4:5], 0, v[10:11]
	s_waitcnt vmcnt(0)
	v_lshlrev_b32_e32 v0, 16, v0
	v_sub_f32_e32 v0, v0, v1
	global_store_short_d16_hi v[24:25], v0, off
	v_mul_f32_e32 v0, v16, v0
	v_lshrrev_b32_e32 v11, 16, v0
.LBB399_70:
	s_or_b64 exec, exec, s[6:7]
	v_mov_b32_e32 v15, 0
	v_lshlrev_b32_e32 v12, 8, v12
	v_mov_b32_e32 v13, 0
	s_and_saveexec_b64 s[6:7], s[0:1]
	s_cbranch_execz .LBB399_72
; %bb.71:
	v_mov_b32_e32 v13, 0
	v_lshl_add_u64 v[0:1], v[6:7], 0, v[12:13]
	global_load_ushort v23, v[0:1], off
	v_lshl_add_u64 v[0:1], v[4:5], 0, v[12:13]
	s_waitcnt vmcnt(0)
	v_lshlrev_b32_e32 v13, 16, v23
	v_sub_f32_e32 v2, v13, v2
	global_store_short_d16_hi v[0:1], v2, off
	v_mul_f32_e32 v0, v20, v2
	v_lshrrev_b32_e32 v13, 16, v0
.LBB399_72:
	s_or_b64 exec, exec, s[6:7]
	v_lshlrev_b32_e32 v14, 8, v14
	s_and_saveexec_b64 s[6:7], s[4:5]
	s_cbranch_execz .LBB399_74
; %bb.73:
	v_mov_b32_e32 v15, 0
	v_lshl_add_u64 v[0:1], v[6:7], 0, v[14:15]
	global_load_ushort v2, v[0:1], off
	v_lshl_add_u64 v[0:1], v[4:5], 0, v[14:15]
	s_waitcnt vmcnt(0)
	v_lshlrev_b32_e32 v2, 16, v2
	v_sub_f32_e32 v2, v2, v3
	global_store_short_d16_hi v[0:1], v2, off
	v_mul_f32_e32 v0, v17, v2
	v_lshrrev_b32_e32 v15, 16, v0
.LBB399_74:
	s_or_b64 exec, exec, s[6:7]
	v_lshlrev_b32_e32 v21, 5, v21
	s_mov_b32 s6, 0x5040100
	v_perm_b32 v24, v11, v9, s6
	v_or_b32_e32 v9, v21, v22
	v_accvgpr_read_b32 v0, a0
	v_perm_b32 v25, v15, v13, s6
	v_lshlrev_b32_e32 v9, 1, v9
	v_accvgpr_read_b32 v1, a1
	v_accvgpr_read_b32 v2, a2
	;; [unrolled: 1-line block ×3, first 2 shown]
	ds_write_b64 v9, v[24:25] offset:45056
	v_mov_b32_e32 v11, 0
	v_mov_b32_e32 v9, 0
	s_and_saveexec_b64 s[6:7], vcc
	s_cbranch_execz .LBB399_76
; %bb.75:
	v_mov_b32_e32 v9, 0
	v_lshl_add_u64 v[22:23], v[6:7], 0, v[8:9]
	global_load_ushort v13, v[22:23], off offset:32
	v_lshl_add_u64 v[8:9], v[4:5], 0, v[8:9]
	s_waitcnt vmcnt(0)
	v_lshlrev_b32_e32 v13, 16, v13
	v_sub_f32_e32 v0, v13, v0
	global_store_short_d16_hi v[8:9], v0, off offset:32
	v_mul_f32_e32 v0, v18, v0
	v_lshrrev_b32_e32 v9, 16, v0
.LBB399_76:
	s_or_b64 exec, exec, s[6:7]
	s_and_saveexec_b64 s[6:7], s[2:3]
	s_cbranch_execz .LBB399_78
; %bb.77:
	v_mov_b32_e32 v11, 0
	v_lshl_add_u64 v[22:23], v[6:7], 0, v[10:11]
	global_load_ushort v0, v[22:23], off offset:32
	v_lshl_add_u64 v[10:11], v[4:5], 0, v[10:11]
	s_waitcnt vmcnt(0)
	v_lshlrev_b32_e32 v0, 16, v0
	v_sub_f32_e32 v0, v0, v1
	global_store_short_d16_hi v[10:11], v0, off offset:32
	v_mul_f32_e32 v0, v16, v0
	v_lshrrev_b32_e32 v11, 16, v0
.LBB399_78:
	s_or_b64 exec, exec, s[6:7]
	v_mov_b32_e32 v0, 0
	v_mov_b32_e32 v1, 0
	s_and_saveexec_b64 s[2:3], s[0:1]
	s_cbranch_execz .LBB399_80
; %bb.79:
	v_mov_b32_e32 v13, 0
	v_lshl_add_u64 v[22:23], v[6:7], 0, v[12:13]
	global_load_ushort v1, v[22:23], off offset:32
	v_lshl_add_u64 v[12:13], v[4:5], 0, v[12:13]
	s_waitcnt vmcnt(0)
	v_lshlrev_b32_e32 v1, 16, v1
	v_sub_f32_e32 v1, v1, v2
	global_store_short_d16_hi v[12:13], v1, off offset:32
	v_mul_f32_e32 v1, v20, v1
	v_lshrrev_b32_e32 v1, 16, v1
.LBB399_80:
	s_or_b64 exec, exec, s[2:3]
	s_and_saveexec_b64 s[0:1], s[4:5]
	s_cbranch_execz .LBB399_82
; %bb.81:
	v_mov_b32_e32 v15, 0
	v_lshl_add_u64 v[6:7], v[6:7], 0, v[14:15]
	global_load_ushort v0, v[6:7], off offset:32
	v_lshl_add_u64 v[4:5], v[4:5], 0, v[14:15]
	s_waitcnt vmcnt(0)
	v_lshlrev_b32_e32 v0, 16, v0
	v_sub_f32_e32 v0, v0, v3
	global_store_short_d16_hi v[4:5], v0, off offset:32
	v_mul_f32_e32 v0, v17, v0
	v_lshrrev_b32_e32 v0, 16, v0
.LBB399_82:
	s_or_b64 exec, exec, s[0:1]
	s_mov_b32 s0, 0x5040100
	v_or_b32_e32 v2, v21, v19
	v_perm_b32 v1, v0, v1, s0
	v_perm_b32 v0, v11, v9, s0
	v_lshlrev_b32_e32 v2, 1, v2
	ds_write_b64 v2, v[0:1] offset:45056
	s_waitcnt lgkmcnt(0)
	s_barrier
.LBB399_83:
	s_endpgm
	.section	.rodata,"a",@progbits
	.p2align	6, 0x0
	.amdhsa_kernel _ZN12_GLOBAL__N_139chunk_gated_delta_rule_fwd_h_hip_kernelILi32ELb0ELb0ELb1ELb0ELb1ELb1ELb1ELb0EEEvPK12hip_bfloat16S3_S3_PKfS5_PKvPS1_S8_PvPKiSB_iiiiilll
		.amdhsa_group_segment_fixed_size 49152
		.amdhsa_private_segment_fixed_size 0
		.amdhsa_kernarg_size 136
		.amdhsa_user_sgpr_count 2
		.amdhsa_user_sgpr_dispatch_ptr 0
		.amdhsa_user_sgpr_queue_ptr 0
		.amdhsa_user_sgpr_kernarg_segment_ptr 1
		.amdhsa_user_sgpr_dispatch_id 0
		.amdhsa_user_sgpr_kernarg_preload_length 0
		.amdhsa_user_sgpr_kernarg_preload_offset 0
		.amdhsa_user_sgpr_private_segment_size 0
		.amdhsa_uses_dynamic_stack 0
		.amdhsa_enable_private_segment 0
		.amdhsa_system_sgpr_workgroup_id_x 1
		.amdhsa_system_sgpr_workgroup_id_y 1
		.amdhsa_system_sgpr_workgroup_id_z 0
		.amdhsa_system_sgpr_workgroup_info 0
		.amdhsa_system_vgpr_workitem_id 0
		.amdhsa_next_free_vgpr 164
		.amdhsa_next_free_sgpr 67
		.amdhsa_accum_offset 144
		.amdhsa_reserve_vcc 1
		.amdhsa_float_round_mode_32 0
		.amdhsa_float_round_mode_16_64 0
		.amdhsa_float_denorm_mode_32 3
		.amdhsa_float_denorm_mode_16_64 3
		.amdhsa_dx10_clamp 1
		.amdhsa_ieee_mode 1
		.amdhsa_fp16_overflow 0
		.amdhsa_tg_split 0
		.amdhsa_exception_fp_ieee_invalid_op 0
		.amdhsa_exception_fp_denorm_src 0
		.amdhsa_exception_fp_ieee_div_zero 0
		.amdhsa_exception_fp_ieee_overflow 0
		.amdhsa_exception_fp_ieee_underflow 0
		.amdhsa_exception_fp_ieee_inexact 0
		.amdhsa_exception_int_div_zero 0
	.end_amdhsa_kernel
	.section	.text._ZN12_GLOBAL__N_139chunk_gated_delta_rule_fwd_h_hip_kernelILi32ELb0ELb0ELb1ELb0ELb1ELb1ELb1ELb0EEEvPK12hip_bfloat16S3_S3_PKfS5_PKvPS1_S8_PvPKiSB_iiiiilll,"axG",@progbits,_ZN12_GLOBAL__N_139chunk_gated_delta_rule_fwd_h_hip_kernelILi32ELb0ELb0ELb1ELb0ELb1ELb1ELb1ELb0EEEvPK12hip_bfloat16S3_S3_PKfS5_PKvPS1_S8_PvPKiSB_iiiiilll,comdat
.Lfunc_end399:
	.size	_ZN12_GLOBAL__N_139chunk_gated_delta_rule_fwd_h_hip_kernelILi32ELb0ELb0ELb1ELb0ELb1ELb1ELb1ELb0EEEvPK12hip_bfloat16S3_S3_PKfS5_PKvPS1_S8_PvPKiSB_iiiiilll, .Lfunc_end399-_ZN12_GLOBAL__N_139chunk_gated_delta_rule_fwd_h_hip_kernelILi32ELb0ELb0ELb1ELb0ELb1ELb1ELb1ELb0EEEvPK12hip_bfloat16S3_S3_PKfS5_PKvPS1_S8_PvPKiSB_iiiiilll
                                        ; -- End function
	.section	.AMDGPU.csdata,"",@progbits
; Kernel info:
; codeLenInByte = 8852
; NumSgprs: 73
; NumVgprs: 142
; NumAgprs: 20
; TotalNumVgprs: 164
; ScratchSize: 0
; MemoryBound: 0
; FloatMode: 240
; IeeeMode: 1
; LDSByteSize: 49152 bytes/workgroup (compile time only)
; SGPRBlocks: 9
; VGPRBlocks: 20
; NumSGPRsForWavesPerEU: 73
; NumVGPRsForWavesPerEU: 164
; AccumOffset: 144
; Occupancy: 1
; WaveLimiterHint : 1
; COMPUTE_PGM_RSRC2:SCRATCH_EN: 0
; COMPUTE_PGM_RSRC2:USER_SGPR: 2
; COMPUTE_PGM_RSRC2:TRAP_HANDLER: 0
; COMPUTE_PGM_RSRC2:TGID_X_EN: 1
; COMPUTE_PGM_RSRC2:TGID_Y_EN: 1
; COMPUTE_PGM_RSRC2:TGID_Z_EN: 0
; COMPUTE_PGM_RSRC2:TIDIG_COMP_CNT: 0
; COMPUTE_PGM_RSRC3_GFX90A:ACCUM_OFFSET: 35
; COMPUTE_PGM_RSRC3_GFX90A:TG_SPLIT: 0
	.section	.text._ZN12_GLOBAL__N_139chunk_gated_delta_rule_fwd_h_hip_kernelILi32ELb0ELb0ELb0ELb0ELb1ELb1ELb1ELb0EEEvPK12hip_bfloat16S3_S3_PKfS5_PKvPS1_S8_PvPKiSB_iiiiilll,"axG",@progbits,_ZN12_GLOBAL__N_139chunk_gated_delta_rule_fwd_h_hip_kernelILi32ELb0ELb0ELb0ELb0ELb1ELb1ELb1ELb0EEEvPK12hip_bfloat16S3_S3_PKfS5_PKvPS1_S8_PvPKiSB_iiiiilll,comdat
	.globl	_ZN12_GLOBAL__N_139chunk_gated_delta_rule_fwd_h_hip_kernelILi32ELb0ELb0ELb0ELb0ELb1ELb1ELb1ELb0EEEvPK12hip_bfloat16S3_S3_PKfS5_PKvPS1_S8_PvPKiSB_iiiiilll ; -- Begin function _ZN12_GLOBAL__N_139chunk_gated_delta_rule_fwd_h_hip_kernelILi32ELb0ELb0ELb0ELb0ELb1ELb1ELb1ELb0EEEvPK12hip_bfloat16S3_S3_PKfS5_PKvPS1_S8_PvPKiSB_iiiiilll
	.p2align	8
	.type	_ZN12_GLOBAL__N_139chunk_gated_delta_rule_fwd_h_hip_kernelILi32ELb0ELb0ELb0ELb0ELb1ELb1ELb1ELb0EEEvPK12hip_bfloat16S3_S3_PKfS5_PKvPS1_S8_PvPKiSB_iiiiilll,@function
_ZN12_GLOBAL__N_139chunk_gated_delta_rule_fwd_h_hip_kernelILi32ELb0ELb0ELb0ELb0ELb1ELb1ELb1ELb0EEEvPK12hip_bfloat16S3_S3_PKfS5_PKvPS1_S8_PvPKiSB_iiiiilll: ; @_ZN12_GLOBAL__N_139chunk_gated_delta_rule_fwd_h_hip_kernelILi32ELb0ELb0ELb0ELb0ELb1ELb1ELb1ELb0EEEvPK12hip_bfloat16S3_S3_PKfS5_PKvPS1_S8_PvPKiSB_iiiiilll
; %bb.0:
	s_load_dwordx4 s[12:15], s[0:1], 0x5c
	s_load_dwordx2 s[36:37], s[0:1], 0x30
	s_abs_i32 s18, s3
	s_ashr_i32 s17, s3, 31
	s_load_dwordx8 s[4:11], s[0:1], 0x0
	s_waitcnt lgkmcnt(0)
	s_abs_i32 s16, s13
	v_cvt_f32_u32_e32 v1, s16
	s_sub_i32 s20, 0, s16
	s_ashr_i32 s19, s13, 31
	s_xor_b32 s17, s17, s19
	v_rcp_iflag_f32_e32 v1, v1
	v_lshrrev_b32_e32 v61, 6, v0
	v_bfe_u32 v62, v0, 4, 2
	v_lshlrev_b32_e32 v2, 2, v62
	v_mul_f32_e32 v1, 0x4f7ffffe, v1
	v_cvt_u32_f32_e32 v1, v1
	v_and_b32_e32 v60, 63, v0
	v_mov_b32_e32 v5, 0
	v_and_b32_e32 v45, 15, v0
	v_readfirstlane_b32 s21, v1
	s_mul_i32 s20, s20, s21
	s_mul_hi_u32 s20, s21, s20
	s_add_i32 s21, s21, s20
	s_mul_hi_u32 s20, s18, s21
	s_mul_i32 s21, s20, s16
	s_sub_i32 s18, s18, s21
	s_add_i32 s22, s20, 1
	s_sub_i32 s21, s18, s16
	s_cmp_ge_u32 s18, s16
	s_cselect_b32 s20, s22, s20
	s_cselect_b32 s18, s21, s18
	s_add_i32 s21, s20, 1
	s_cmp_ge_u32 s18, s16
	s_cselect_b32 s18, s21, s20
	s_abs_i32 s20, s14
	v_cvt_f32_u32_e32 v1, s20
	s_xor_b32 s18, s18, s17
	s_ashr_i32 s46, s12, 31
	s_sub_i32 s48, s18, s17
	v_rcp_iflag_f32_e32 v1, v1
	s_lshr_b32 s17, s46, 26
	s_add_i32 s17, s12, s17
	s_ashr_i32 s49, s14, 31
	v_mul_f32_e32 v1, 0x4f7ffffe, v1
	v_cvt_u32_f32_e32 v1, v1
	s_ashr_i32 s47, s17, 6
	s_xor_b32 s17, s19, s49
	s_sub_i32 s18, 0, s20
	v_readfirstlane_b32 s19, v1
	s_mul_i32 s18, s18, s19
	s_mul_hi_u32 s18, s19, s18
	s_add_i32 s19, s19, s18
	s_mul_hi_u32 s18, s16, s19
	s_mul_i32 s19, s18, s20
	s_mul_i32 s45, s48, s13
	s_sub_i32 s16, s16, s19
	s_sub_i32 s33, s3, s45
	s_add_i32 s3, s12, 63
	s_add_i32 s19, s18, 1
	s_sub_i32 s21, s16, s20
	s_cmp_ge_u32 s16, s20
	s_cselect_b32 s18, s19, s18
	s_cselect_b32 s16, s21, s16
	s_add_i32 s19, s18, 1
	s_cmp_ge_u32 s16, s20
	s_cselect_b32 s16, s19, s18
	s_xor_b32 s16, s16, s17
	s_sub_i32 s20, s16, s17
	s_abs_i32 s21, s20
	v_cvt_f32_u32_e32 v1, s21
	s_sub_i32 s23, 0, s21
	s_abs_i32 s22, s33
	s_xor_b32 s20, s33, s20
	v_rcp_iflag_f32_e32 v1, v1
	s_ashr_i32 s20, s20, 31
	s_load_dwordx2 s[28:29], s[0:1], 0x80
	s_load_dwordx4 s[16:19], s[0:1], 0x70
	s_mul_hi_i32 s51, s48, s13
	v_mul_f32_e32 v1, 0x4f7ffffe, v1
	v_cvt_u32_f32_e32 v1, v1
	v_lshrrev_b32_e32 v64, 3, v60
	v_lshlrev_b32_e32 v63, 3, v0
	s_waitcnt lgkmcnt(0)
	s_mul_i32 s17, s48, s17
	v_readfirstlane_b32 s24, v1
	s_mul_i32 s23, s23, s24
	s_mul_hi_u32 s23, s24, s23
	s_add_i32 s24, s24, s23
	s_mul_hi_u32 s23, s22, s24
	s_mul_i32 s24, s23, s21
	s_sub_i32 s22, s22, s24
	s_add_i32 s24, s23, 1
	s_sub_i32 s25, s22, s21
	s_cmp_ge_u32 s22, s21
	s_cselect_b32 s23, s24, s23
	s_cselect_b32 s22, s25, s22
	s_add_i32 s24, s23, 1
	s_cmp_ge_u32 s22, s21
	s_cselect_b32 s21, s24, s23
	s_xor_b32 s21, s21, s20
	s_sub_i32 s52, s21, s20
	s_ashr_i32 s20, s3, 31
	s_lshr_b32 s20, s20, 26
	v_lshlrev_b32_e32 v1, 4, v61
	s_add_i32 s3, s3, s20
	v_or_b32_e32 v65, v2, v1
	s_ashr_i32 s3, s3, 6
	s_lshl_b32 s30, s2, 5
	s_mul_i32 s50, s48, s3
	v_or_b32_e32 v66, 64, v65
	s_cmp_lt_i32 s12, 64
	s_mul_hi_u32 s44, s48, s16
	s_mul_i32 s34, s48, s16
	v_mov_b32_e32 v83, 0
	v_mov_b32_e32 v81, 0
	;; [unrolled: 1-line block ×15, first 2 shown]
	s_cbranch_scc1 .LBB400_18
; %bb.1:
	s_ashr_i32 s24, s48, 31
	s_ashr_i32 s54, s33, 31
	s_add_u32 s2, s45, s33
	s_addc_u32 s3, s51, s54
	s_mul_i32 s3, s12, s3
	s_mul_hi_u32 s20, s12, s2
	s_add_i32 s39, s20, s3
	s_mul_i32 s38, s12, s2
	s_lshl_b64 s[2:3], s[38:39], 8
	v_and_b32_e32 v68, 56, v63
	s_add_u32 s20, s6, s2
	v_lshl_or_b32 v67, v61, 3, v64
	v_lshlrev_b32_e32 v3, 1, v68
	s_addc_u32 s2, s7, s3
	v_lshl_or_b32 v69, v67, 8, v3
	s_and_b32 s21, s2, 0xffff
	s_mov_b32 s23, 0x20000
	s_movk_i32 s22, 0x4000
	s_movk_i32 s2, 0x80
	v_or_b32_e32 v70, 0x2000, v69
	buffer_load_dwordx4 v[4:7], v69, s[20:23], 0 offen
	buffer_load_dwordx4 v[8:11], v69, s[20:23], s2 offen
	;; [unrolled: 1-line block ×4, first 2 shown]
	v_lshlrev_b32_e32 v20, 3, v67
	v_and_or_b32 v22, v0, 7, v20
	v_and_b32_e32 v20, 0x78, v20
	v_lshlrev_b32_e32 v22, 4, v22
	v_xor_b32_e32 v71, v22, v20
	v_mul_lo_u32 v21, v67, s15
	v_or_b32_e32 v72, 0x1000, v71
	s_cmpk_eq_i32 s15, 0x80
	s_mov_b32 s53, s14
	v_xor_b32_e32 v20, 8, v71
	v_xor_b32_e32 v22, 8, v72
	s_cselect_b64 s[2:3], -1, 0
	s_cmpk_lg_i32 s15, 0x80
	s_waitcnt vmcnt(3)
	ds_write_b64 v71, v[4:5] offset:24576
	ds_write_b64 v20, v[6:7] offset:24576
	s_waitcnt vmcnt(2)
	ds_write_b64 v71, v[8:9] offset:32768
	ds_write_b64 v20, v[10:11] offset:32768
	;; [unrolled: 3-line block ×4, first 2 shown]
	v_lshl_add_u32 v4, v21, 1, v68
	s_cbranch_scc0 .LBB400_3
; %bb.2:
	v_lshlrev_b32_e32 v6, 1, v4
	v_add_lshl_u32 v5, v4, s15, 1
	s_lshl_b32 s22, s15, 7
	s_load_dwordx2 s[40:41], s[0:1], 0x20
	v_lshl_or_b32 v3, v67, 9, v3
	s_cbranch_execz .LBB400_4
	s_branch .LBB400_5
.LBB400_3:
                                        ; implicit-def: $vgpr5
                                        ; implicit-def: $vgpr6
                                        ; implicit-def: $sgpr22
	s_load_dwordx2 s[40:41], s[0:1], 0x20
	v_lshl_or_b32 v3, v67, 9, v3
.LBB400_4:
	v_or_b32_e32 v5, 0x100, v3
	s_movk_i32 s22, 0x4000
	v_mov_b32_e32 v6, v3
.LBB400_5:
	s_mul_hi_u32 s0, s14, s12
	s_mul_i32 s1, s49, s12
	s_add_i32 s0, s0, s1
	s_mul_i32 s1, s14, s12
	s_mul_i32 s20, s1, s24
	s_mul_hi_u32 s21, s1, s48
	s_add_i32 s20, s21, s20
	s_mul_i32 s0, s0, s48
	s_add_i32 s20, s20, s0
	s_mul_i32 s1, s1, s48
	s_ashr_i32 s55, s52, 31
	s_add_u32 s0, s1, s52
	s_addc_u32 s1, s20, s55
	s_lshl_b64 s[0:1], s[0:1], 8
	s_add_u32 s20, s4, s0
	s_addc_u32 s0, s5, s1
	s_and_b32 s21, s0, 0xffff
	s_movk_i32 s56, 0x80
	buffer_load_dwordx4 v[8:11], v6, s[20:23], 0 offen
	buffer_load_dwordx4 v[12:15], v6, s[20:23], s56 offen
	;; [unrolled: 1-line block ×4, first 2 shown]
	v_and_b32_e32 v5, 6, v0
	v_lshlrev_b32_e32 v24, 6, v65
	v_or_b32_e32 v26, 16, v45
	v_xor_b32_e32 v27, v67, v5
	v_and_b32_e32 v6, 1, v0
	s_mul_i32 s0, s24, s12
	s_mul_hi_u32 s1, s48, s12
	v_lshl_or_b32 v30, v45, 3, v24
	v_lshl_or_b32 v24, v26, 3, v24
	v_lshlrev_b32_e32 v27, 2, v27
	v_lshlrev_b32_e32 v7, 2, v45
	v_or_b32_e32 v75, 0xa000, v24
	v_or_b32_e32 v76, 0xb000, v24
	v_xor_b32_e32 v24, 0x440, v27
	v_cmp_eq_u32_e32 vcc, 0, v6
	s_add_i32 s61, s1, s0
	s_add_i32 s0, s44, s17
	s_mul_i32 s24, s24, s16
	v_xor_b32_e32 v28, v65, v7
	v_xor_b32_e32 v29, v66, v7
	v_cndmask_b32_e32 v6, v24, v27, vcc
	s_add_i32 s35, s0, s24
	s_mul_i32 s0, s33, s19
	s_mul_hi_u32 s1, s33, s18
	s_mov_b32 s59, 0x1000504
	v_lshlrev_b32_e32 v25, 8, v45
	v_lshlrev_b32_e32 v28, 1, v28
	v_lshlrev_b32_e32 v29, 1, v29
	v_lshl_or_b32 v5, v5, 10, v6
	s_add_i32 s0, s1, s0
	s_mul_i32 s1, s54, s18
	s_mov_b32 s60, 0x3020706
	v_or_b32_e32 v73, 0xa000, v30
	v_or_b32_e32 v74, 0xb000, v30
	;; [unrolled: 1-line block ×4, first 2 shown]
	v_xor_b32_e32 v6, 8, v5
	v_xor_b32_e32 v25, 24, v5
	;; [unrolled: 1-line block ×4, first 2 shown]
	s_add_i32 s1, s0, s1
	s_lshl_b64 s[20:21], s[34:35], 2
	v_xor_b32_e32 v24, 16, v5
	v_xor_b32_e32 v27, 32, v5
	;; [unrolled: 1-line block ×3, first 2 shown]
	v_add_u32_e32 v6, 0x80, v6
	v_add_u32_e32 v25, 0x80, v25
	;; [unrolled: 1-line block ×4, first 2 shown]
	s_mul_i32 s0, s33, s18
	s_add_u32 s20, s10, s20
	s_addc_u32 s21, s11, s21
	s_lshl_b64 s[0:1], s[0:1], 2
	s_add_u32 s42, s20, s0
	s_movk_i32 s0, 0xf8
	s_addc_u32 s43, s21, s1
	s_ashr_i32 s31, s30, 31
	s_lshl_b32 s26, s15, 7
	s_movk_i32 s20, 0x100
	v_mov_b32_e32 v55, 0
	v_lshlrev_b32_e32 v54, 4, v45
	v_cmp_gt_u32_e32 vcc, s20, v0
	s_mul_i32 s57, s48, s12
	s_mov_b32 s58, 0
	s_movk_i32 s35, 0x1000
	s_movk_i32 s22, 0x4000
	v_add_u32_e32 v100, v1, v2
	s_mov_b32 s62, 0x7060302
	s_mov_b32 s64, 0
	v_mov_b32_e32 v50, v55
	v_mov_b32_e32 v51, v55
	;; [unrolled: 1-line block ×9, first 2 shown]
	s_waitcnt vmcnt(1)
	v_perm_b32 v33, v8, v16, s59
	s_waitcnt vmcnt(0)
	v_perm_b32 v34, v12, v20, s59
	v_perm_b32 v8, v8, v16, s60
	;; [unrolled: 1-line block ×15, first 2 shown]
	ds_write2st64_b32 v5, v33, v34 offset0:32 offset1:64
	ds_write2st64_b32 v6, v8, v12 offset0:32 offset1:64
	;; [unrolled: 1-line block ×8, first 2 shown]
	v_lshlrev_b32_e32 v5, 8, v26
	v_or_b32_e32 v79, v5, v28
	v_or_b32_e32 v80, v5, v29
	;; [unrolled: 1-line block ×3, first 2 shown]
	v_lshlrev_b32_e32 v5, 3, v5
	v_lshrrev_b32_e32 v8, 5, v60
	v_and_or_b32 v8, v5, s0, v8
	v_lshrrev_b32_e32 v6, 2, v60
	v_lshlrev_b32_e32 v11, 11, v61
	v_lshlrev_b32_e32 v8, 4, v8
	v_and_b32_e32 v5, 0x78, v5
	v_and_b32_e32 v9, 12, v6
	;; [unrolled: 1-line block ×3, first 2 shown]
	v_xor_b32_e32 v10, v8, v5
	v_lshrrev_b32_e32 v12, 1, v60
	v_or_b32_e32 v10, v10, v6
	v_and_b32_e32 v12, 8, v12
	v_xor_b32_e32 v87, v10, v12
	v_or_b32_e32 v10, 32, v8
	v_xor_b32_e32 v10, v10, v5
	v_or_b32_e32 v10, v10, v6
	;; [unrolled: 2-line block ×3, first 2 shown]
	v_or_b32_e32 v8, 0x60, v8
	v_xor_b32_e32 v10, v10, v5
	v_xor_b32_e32 v5, v8, v5
	s_lshl_b64 s[0:1], s[30:31], 8
	v_or_b32_e32 v10, v10, v6
	v_or_b32_e32 v5, v5, v6
	v_lshlrev_b32_e32 v14, 1, v4
	v_add_lshl_u32 v15, v4, s15, 1
	s_add_u32 s0, s36, s0
	v_lshlrev_b32_e32 v4, 1, v45
	v_xor_b32_e32 v91, v10, v12
	v_xor_b32_e32 v92, v5, v12
	v_lshrrev_b32_e32 v10, 4, v0
	s_addc_u32 s1, s37, s1
	v_or_b32_e32 v5, 1, v4
	v_mov_b32_e32 v20, 0x4000
	v_mov_b32_e32 v21, 0x2000
	v_lshrrev_b32_e32 v22, 1, v0
	v_xor_b32_e32 v12, v10, v4
	v_xor_b32_e32 v17, v5, v10
	v_lshl_add_u64 v[4:5], s[0:1], 0, v[54:55]
	v_lshlrev_b32_e32 v54, 8, v10
	v_cndmask_b32_e32 v20, v20, v21, vcc
	v_lshlrev_b32_e32 v21, 3, v61
	v_and_b32_e32 v22, 24, v22
	v_lshl_or_b32 v95, v12, 3, v54
	v_and_b32_e32 v12, 8, v0
	v_xor_b32_e32 v23, v21, v22
	v_or_b32_e32 v24, 0x440, v23
	v_cmp_eq_u32_e32 vcc, 0, v12
	v_and_b32_e32 v10, 7, v0
	v_lshlrev_b32_e32 v13, 7, v62
	v_cndmask_b32_e32 v12, v24, v23, vcc
	v_lshl_or_b32 v96, v17, 3, v54
	v_lshlrev_b32_e32 v17, 3, v10
	v_lshlrev_b32_e32 v19, 2, v0
	v_or_b32_e32 v12, v12, v11
	v_or_b32_e32 v7, v13, v7
	v_xor_b32_e32 v23, v12, v17
	v_and_or_b32 v12, v19, 60, v13
	v_mov_b32_e32 v13, 0xb000
	v_lshl_or_b32 v97, v12, 1, v13
	v_or_b32_e32 v12, 32, v22
	v_xor_b32_e32 v12, v21, v12
	v_or_b32_e32 v13, 0x440, v12
	v_cndmask_b32_e32 v12, v13, v12, vcc
	v_or_b32_e32 v12, v12, v11
	v_xor_b32_e32 v13, v12, v17
	v_or_b32_e32 v12, 64, v22
	v_xor_b32_e32 v12, v21, v12
	v_xor_b32_e32 v25, 0x440, v12
	v_cndmask_b32_e32 v12, v25, v12, vcc
	v_or_b32_e32 v12, v12, v11
	v_xor_b32_e32 v25, v12, v17
	v_or_b32_e32 v12, 0x60, v22
	v_xor_b32_e32 v12, v21, v12
	v_xor_b32_e32 v21, 0x440, v12
	v_cndmask_b32_e32 v12, v21, v12, vcc
	v_or_b32_e32 v11, v12, v11
	v_lshlrev_b32_e32 v7, 1, v7
	v_or_b32_e32 v6, s30, v45
	v_xor_b32_e32 v11, v11, v17
	v_or_b32_e32 v88, 0xa000, v7
	v_or_b32_e32 v90, 0xa080, v7
	;; [unrolled: 1-line block ×4, first 2 shown]
	v_lshlrev_b32_e32 v8, 7, v65
	v_ashrrev_i32_e32 v7, 31, v6
	v_or_b32_e32 v16, 0x100, v3
	v_lshlrev_b32_e32 v18, 7, v10
	v_or_b32_e32 v10, v9, v1
	v_add_u32_e32 v24, v20, v23
	v_add_u32_e32 v19, v20, v13
	;; [unrolled: 1-line block ×4, first 2 shown]
	v_or3_b32 v12, v1, v9, 64
	v_add_u32_e32 v9, 0x4000, v23
	v_add_u32_e32 v13, 0x4000, v13
	;; [unrolled: 1-line block ×4, first 2 shown]
	v_cndmask_b32_e64 v98, v14, v3, s[2:3]
	v_cndmask_b32_e64 v99, v15, v16, s[2:3]
	v_lshl_add_u64 v[56:57], v[6:7], 1, s[8:9]
	v_lshl_add_u64 v[58:59], v[4:5], 0, v[54:55]
	s_add_i32 s31, s57, 63
	v_lshlrev_b32_e32 v54, 1, v8
	v_lshlrev_b32_e32 v101, 2, v10
	v_add_u32_e32 v102, v24, v18
	v_add_u32_e32 v103, v19, v18
	;; [unrolled: 1-line block ×4, first 2 shown]
	v_lshlrev_b32_e32 v106, 2, v12
	v_add_u32_e32 v107, v9, v18
	v_add_u32_e32 v108, v13, v18
	;; [unrolled: 1-line block ×4, first 2 shown]
	v_mov_b32_e32 v84, v55
	v_mov_b32_e32 v86, v55
	;; [unrolled: 1-line block ×7, first 2 shown]
	s_waitcnt lgkmcnt(0)
	s_barrier
.LBB400_6:                              ; =>This Inner Loop Header: Depth=1
	s_add_i32 s63, s64, 1
	s_cmp_lt_i32 s63, s47
	s_mov_b64 s[24:25], 0
	s_cselect_b64 s[2:3], -1, 0
	s_cmp_ge_i32 s63, s47
	s_mov_b64 s[20:21], 0
	s_cbranch_scc1 .LBB400_8
; %bb.7:                                ;   in Loop: Header=BB400_6 Depth=1
	s_add_i32 s0, s58, 64
	s_add_u32 s0, s38, s0
	s_addc_u32 s1, s39, 0
	s_lshl_b64 s[0:1], s[0:1], 8
	s_add_u32 s20, s6, s0
	s_addc_u32 s21, s7, s1
.LBB400_8:                              ;   in Loop: Header=BB400_6 Depth=1
	v_cndmask_b32_e64 v2, 0, 1, s[2:3]
	v_cmp_ne_u32_e64 s[0:1], 1, v2
	s_andn2_b64 vcc, exec, s[2:3]
	s_cbranch_vccnz .LBB400_10
; %bb.9:                                ;   in Loop: Header=BB400_6 Depth=1
	s_add_i32 s2, s58, 64
	s_add_u32 s2, s57, s2
	s_addc_u32 s3, s61, 0
	s_mul_i32 s24, s2, s49
	s_mul_hi_u32 s25, s2, s53
	s_add_i32 s24, s25, s24
	s_mul_i32 s3, s3, s53
	s_add_i32 s24, s24, s3
	s_mul_i32 s2, s2, s53
	s_add_u32 s2, s2, s52
	s_addc_u32 s3, s24, s55
	s_lshl_b64 s[2:3], s[2:3], 8
	s_add_u32 s24, s4, s2
	s_addc_u32 s25, s5, s3
.LBB400_10:                             ;   in Loop: Header=BB400_6 Depth=1
	v_perm_b32 v3, v53, v52, s62
	v_perm_b32 v2, v51, v50, s62
	;; [unrolled: 1-line block ×4, first 2 shown]
	ds_write_b64 v73, v[2:3]
	ds_write_b64 v74, v[4:5]
	;; [unrolled: 1-line block ×4, first 2 shown]
	v_perm_b32 v3, v112, v86, s62
	v_perm_b32 v2, v84, v85, s62
	v_perm_b32 v5, v111, v83, s62
	v_perm_b32 v4, v81, v82, s62
	ds_write_b64 v75, v[2:3]
	ds_write_b64 v76, v[4:5]
	ds_write_b64 v79, v[2:3]
	ds_write_b64 v80, v[4:5]
	s_waitcnt lgkmcnt(0)
	s_barrier
	ds_read_b64 v[6:7], v87 offset:24576
	ds_read2_b64 v[2:5], v88 offset1:16
	ds_read_b64 v[10:11], v90 offset:3072
	ds_read_b64 v[12:13], v88 offset:3072
	;; [unrolled: 1-line block ×3, first 2 shown]
	s_waitcnt lgkmcnt(3)
	v_mfma_f32_16x16x16_bf16 a[0:3], v[6:7], v[2:3], 0
	s_add_i32 s2, s58, 63
	s_mul_i32 s3, s2, s29
	s_mul_hi_u32 s27, s2, s28
	v_mfma_f32_16x16x16_bf16 a[4:7], v[6:7], v[4:5], 0
	ds_read2st64_b64 v[2:5], v88 offset0:2 offset1:4
	ds_read2st64_b64 v[6:9], v90 offset0:2 offset1:4
	s_add_i32 s3, s27, s3
	s_waitcnt lgkmcnt(1)
	v_mfma_f32_16x16x16_bf16 a[0:3], v[14:15], v[2:3], a[0:3]
	s_mul_i32 s2, s2, s28
	s_lshl_b64 s[2:3], s[2:3], 2
	s_add_u32 s2, s42, s2
	s_waitcnt lgkmcnt(0)
	v_mfma_f32_16x16x16_bf16 a[4:7], v[14:15], v[6:7], a[4:7]
	ds_read_b64 v[2:3], v91 offset:24576
	ds_read_b64 v[6:7], v92 offset:24576
	s_addc_u32 s3, s43, s3
	s_and_b64 vcc, exec, s[0:1]
	s_waitcnt lgkmcnt(1)
	v_mfma_f32_16x16x16_bf16 a[0:3], v[2:3], v[4:5], a[0:3]
	v_mov_b32_e32 v115, 0
	v_mov_b32_e32 v114, 0
	;; [unrolled: 1-line block ×3, first 2 shown]
	v_mfma_f32_16x16x16_bf16 a[4:7], v[2:3], v[8:9], a[4:7]
	v_mov_b32_e32 v2, 0
	v_mov_b32_e32 v3, 0
	;; [unrolled: 1-line block ×3, first 2 shown]
	s_waitcnt lgkmcnt(0)
	v_mfma_f32_16x16x16_bf16 a[0:3], v[6:7], v[12:13], a[0:3]
	v_mov_b32_e32 v5, 0
	v_mov_b32_e32 v8, 0
	;; [unrolled: 1-line block ×3, first 2 shown]
	v_mfma_f32_16x16x16_bf16 a[4:7], v[6:7], v[10:11], a[4:7]
	v_mov_b32_e32 v6, 0
	v_mov_b32_e32 v7, 0
	;; [unrolled: 1-line block ×10, first 2 shown]
	s_cbranch_vccnz .LBB400_12
; %bb.11:                               ;   in Loop: Header=BB400_6 Depth=1
	s_and_b32 s21, s21, 0xffff
	buffer_load_dwordx4 v[14:17], v69, s[20:23], 0 offen
	buffer_load_dwordx4 v[10:13], v69, s[20:23], s56 offen
	;; [unrolled: 1-line block ×4, first 2 shown]
	v_mov_b32_e32 v114, v71
	v_mov_b32_e32 v113, v72
.LBB400_12:                             ;   in Loop: Header=BB400_6 Depth=1
	ds_read_b64 v[22:23], v87 offset:32768
	ds_read2_b64 v[18:21], v93 offset1:16
	ds_read_b64 v[26:27], v89 offset:32768
	ds_read_b64 v[28:29], v91 offset:32768
	;; [unrolled: 1-line block ×3, first 2 shown]
	v_add_u32_e32 v34, s58, v100
	s_waitcnt lgkmcnt(3)
	v_mfma_f32_16x16x16_bf16 a[0:3], v[22:23], v[18:19], a[0:3]
	v_mov_b32_e32 v116, 0
	v_mfma_f32_16x16x16_bf16 a[4:7], v[22:23], v[20:21], a[4:7]
	ds_read2st64_b64 v[18:21], v93 offset0:2 offset1:4
	ds_read2st64_b64 v[22:25], v94 offset0:2 offset1:4
	s_waitcnt lgkmcnt(1)
	v_mfma_f32_16x16x16_bf16 a[0:3], v[26:27], v[18:19], a[0:3]
	ds_read_b64 v[18:19], v93 offset:3072
	ds_read_b64 v[32:33], v94 offset:3072
	s_waitcnt lgkmcnt(2)
	v_mfma_f32_16x16x16_bf16 a[4:7], v[26:27], v[22:23], a[4:7]
	v_ashrrev_i32_e32 v22, 31, v34
	v_mul_lo_u32 v23, v34, s29
	v_mul_lo_u32 v22, v22, s28
	v_mfma_f32_16x16x16_bf16 a[0:3], v[28:29], v[20:21], a[0:3]
	v_mad_u64_u32 v[20:21], s[20:21], v34, s28, 0
	v_add3_u32 v21, v21, v23, v22
	v_lshl_add_u64 v[20:21], v[20:21], 2, s[42:43]
	global_load_dword v26, v[20:21], off
	v_add_u32_e32 v20, 1, v34
	v_ashrrev_i32_e32 v21, 31, v20
	s_waitcnt lgkmcnt(1)
	v_mfma_f32_16x16x16_bf16 a[0:3], v[30:31], v[18:19], a[0:3]
	v_mul_lo_u32 v21, v21, s28
	v_mul_lo_u32 v22, v20, s29
	v_mad_u64_u32 v[18:19], s[20:21], v20, s28, 0
	v_add_u32_e32 v20, 2, v34
	v_add3_u32 v19, v19, v22, v21
	v_ashrrev_i32_e32 v21, 31, v20
	v_mul_lo_u32 v22, v21, s28
	v_mul_lo_u32 v23, v20, s29
	v_mad_u64_u32 v[20:21], s[20:21], v20, s28, 0
	v_add3_u32 v21, v21, v23, v22
	v_add_u32_e32 v22, 3, v34
	v_ashrrev_i32_e32 v23, 31, v22
	v_mfma_f32_16x16x16_bf16 a[4:7], v[28:29], v[24:25], a[4:7]
	v_mul_lo_u32 v24, v23, s28
	v_mul_lo_u32 v25, v22, s29
	v_mad_u64_u32 v[22:23], s[20:21], v22, s28, 0
	s_add_u32 s20, s38, s58
	s_addc_u32 s21, s39, 0
	s_lshl_b64 s[20:21], s[20:21], 8
	v_add3_u32 v23, v23, v25, v24
	v_lshl_add_u64 v[24:25], v[56:57], 0, s[20:21]
	v_lshl_add_u64 v[18:19], v[18:19], 2, s[42:43]
	;; [unrolled: 1-line block ×4, first 2 shown]
	global_load_ushort v28, v[24:25], off
	global_load_ushort v27, v[24:25], off offset:256
	global_load_ushort v36, v[24:25], off offset:800
	global_load_ushort v29, v[24:25], off offset:768
	global_load_ushort v37, v[24:25], off offset:544
	global_load_ushort v34, v[24:25], off offset:512
	global_load_ushort v35, v[24:25], off offset:288
	global_load_ushort v38, v[24:25], off offset:32
	v_lshl_add_u64 v[22:23], v[22:23], 2, s[42:43]
	global_load_dword v39, v[18:19], off
	global_load_dword v40, v[20:21], off
	;; [unrolled: 1-line block ×3, first 2 shown]
	s_load_dword s2, s[2:3], 0x0
	s_waitcnt lgkmcnt(0)
	v_mfma_f32_16x16x16_bf16 a[4:7], v[30:31], v[32:33], a[4:7]
	v_accvgpr_read_b32 v23, a1
	v_accvgpr_read_b32 v19, a3
	;; [unrolled: 1-line block ×4, first 2 shown]
	s_and_b64 vcc, exec, s[0:1]
	s_waitcnt vmcnt(11)
	v_sub_f32_e32 v32, s2, v26
	v_exp_f32_e32 v32, v32
	v_accvgpr_read_b32 v25, a5
	v_accvgpr_read_b32 v24, a4
	;; [unrolled: 1-line block ×4, first 2 shown]
	s_waitcnt vmcnt(10)
	v_lshlrev_b32_e32 v26, 16, v28
	s_waitcnt vmcnt(9)
	v_lshlrev_b32_e32 v27, 16, v27
	v_pk_add_f32 v[22:23], v[26:27], v[22:23] neg_lo:[0,1] neg_hi:[0,1]
	s_waitcnt vmcnt(7)
	v_lshlrev_b32_e32 v29, 16, v29
	v_mov_b32_e32 v26, 0
	s_waitcnt vmcnt(5)
	v_lshlrev_b32_e32 v28, 16, v34
	s_waitcnt vmcnt(4)
	v_lshlrev_b32_e32 v31, 16, v35
	s_waitcnt vmcnt(2)
	v_sub_f32_e32 v33, s2, v39
	s_waitcnt vmcnt(1)
	v_sub_f32_e32 v34, s2, v40
	;; [unrolled: 2-line block ×3, first 2 shown]
	v_exp_f32_e32 v33, v33
	v_exp_f32_e32 v34, v34
	;; [unrolled: 1-line block ×3, first 2 shown]
	v_pk_add_f32 v[18:19], v[28:29], v[18:19] neg_lo:[0,1] neg_hi:[0,1]
	v_lshlrev_b32_e32 v30, 16, v38
	v_pk_mul_f32 v[22:23], v[32:33], v[22:23]
	v_pk_mul_f32 v[18:19], v[34:35], v[18:19]
	v_mov_b32_e32 v27, 0
	v_perm_b32 v19, v19, v18, s62
	v_perm_b32 v18, v23, v22, s62
	v_pk_add_f32 v[22:23], v[30:31], v[24:25] neg_lo:[0,1] neg_hi:[0,1]
	v_lshlrev_b32_e32 v25, 16, v36
	v_lshlrev_b32_e32 v24, 16, v37
	v_pk_add_f32 v[20:21], v[24:25], v[20:21] neg_lo:[0,1] neg_hi:[0,1]
	v_pk_mul_f32 v[22:23], v[32:33], v[22:23]
	v_pk_mul_f32 v[20:21], v[34:35], v[20:21]
	v_mov_b32_e32 v24, 0
	v_perm_b32 v21, v21, v20, s62
	v_perm_b32 v20, v23, v22, s62
	ds_write2_b64 v74, v[18:19], v[20:21] offset1:16
	v_mov_b32_e32 v18, 0
	v_mov_b32_e32 v19, 0
	;; [unrolled: 1-line block ×13, first 2 shown]
	s_cbranch_vccnz .LBB400_14
; %bb.13:                               ;   in Loop: Header=BB400_6 Depth=1
	s_and_b32 s25, s25, 0xffff
	s_mov_b32 s27, s23
	buffer_load_dwordx4 v[30:33], v98, s[24:27], 0 offen
	buffer_load_dwordx4 v[22:25], v98, s[24:27], s56 offen
	;; [unrolled: 1-line block ×4, first 2 shown]
	v_mov_b32_e32 v115, v68
	v_mov_b32_e32 v116, v67
.LBB400_14:                             ;   in Loop: Header=BB400_6 Depth=1
	s_waitcnt lgkmcnt(0)
	s_barrier
	ds_read_b64 v[38:39], v102
	ds_read_b64 v[122:123], v97
	;; [unrolled: 1-line block ×5, first 2 shown]
	ds_read_b64 v[136:137], v94 offset:3072
	ds_read2_b64 v[34:37], v93 offset0:16 offset1:128
	s_waitcnt lgkmcnt(5)
	v_mfma_f32_16x16x16_bf16 a[0:3], v[38:39], v[122:123], 0
	s_add_i32 s3, s50, s64
	s_mul_hi_i32 s21, s3, s13
	s_mul_i32 s3, s3, s13
	s_waitcnt lgkmcnt(0)
	v_mfma_f32_16x16x16_bf16 a[4:7], v[38:39], v[34:35], 0
	ds_read_b64 v[38:39], v107
	ds_read2st64_b64 v[40:43], v94 offset0:2 offset1:4
	s_add_u32 s20, s3, s33
	s_addc_u32 s21, s21, s54
	s_add_i32 s3, s31, s58
	s_lshl_b64 s[20:21], s[20:21], 15
	s_mul_hi_i32 s25, s3, s13
	s_mul_i32 s3, s3, s13
	s_add_u32 s24, s3, s33
	s_waitcnt lgkmcnt(1)
	v_mfma_f32_16x16x16_bf16 a[8:11], v[38:39], v[122:123], 0
	s_addc_u32 s25, s25, s54
	ds_read2st64_b64 v[118:121], v93 offset0:4 offset1:6
	s_lshl_b64 s[24:25], s[24:25], 9
	v_mfma_f32_16x16x16_bf16 a[0:3], v[124:125], v[36:37], a[0:3]
	s_add_u32 s24, s40, s24
	s_addc_u32 s25, s41, s25
	s_waitcnt lgkmcnt(1)
	v_mfma_f32_16x16x16_bf16 a[4:7], v[124:125], v[40:41], a[4:7]
	ds_read_b64 v[124:125], v108
	ds_read_b64 v[132:133], v109
	;; [unrolled: 1-line block ×3, first 2 shown]
	v_mfma_f32_16x16x16_bf16 a[12:15], v[38:39], v[34:35], 0
	s_waitcnt lgkmcnt(2)
	v_mfma_f32_16x16x16_bf16 a[8:11], v[124:125], v[36:37], a[8:11]
	global_load_dwordx4 v[34:37], v106, s[24:25]
	v_mfma_f32_16x16x16_bf16 a[12:15], v[124:125], v[40:41], a[12:15]
	global_load_dwordx4 v[38:41], v101, s[24:25]
	ds_read2st64_b64 v[122:125], v95 offset1:8
	s_waitcnt lgkmcnt(0)
	v_mov_b32_e32 v130, v122
	v_mfma_f32_16x16x16_bf16 a[0:3], v[126:127], v[118:119], a[0:3]
	v_mov_b32_e32 v131, v123
	v_mfma_f32_16x16x16_bf16 a[4:7], v[126:127], v[42:43], a[4:7]
	ds_read2st64_b64 v[126:129], v96 offset1:8
	v_mfma_f32_16x16x16_bf16 a[8:11], v[132:133], v[118:119], a[8:11]
	v_lshl_add_u64 v[118:119], v[58:59], 0, s[20:21]
	v_mfma_f32_16x16x16_bf16 a[16:19], v[132:133], v[42:43], a[12:15]
	v_add_co_u32_e32 v42, vcc, s35, v118
	s_waitcnt lgkmcnt(0)
	v_mov_b32_e32 v132, v126
	v_mfma_f32_16x16x16_bf16 a[0:3], v[134:135], v[120:121], a[0:3]
	v_mov_b32_e32 v133, v127
	v_mov_b32_e32 v126, v124
	;; [unrolled: 1-line block ×3, first 2 shown]
	v_mfma_f32_16x16x16_bf16 a[4:7], v[134:135], v[136:137], a[4:7]
	v_addc_co_u32_e32 v43, vcc, 0, v119, vcc
	global_store_dwordx4 v[42:43], v[126:129], off
	v_mfma_f32_16x16x16_bf16 a[12:15], v[138:139], v[120:121], a[8:11]
	s_and_b64 vcc, exec, s[0:1]
	global_store_dwordx4 v[118:119], v[130:133], off
	s_waitcnt vmcnt(3)
	v_mov_b32_e32 v44, v37
	v_mfma_f32_16x16x16_bf16 a[8:11], v[138:139], v[136:137], a[16:19]
	v_mov_b32_e32 v43, v36
	v_mov_b32_e32 v42, v35
	s_cbranch_vccnz .LBB400_16
; %bb.15:                               ;   in Loop: Header=BB400_6 Depth=1
	v_lshrrev_b32_e32 v35, 3, v115
	v_and_b32_e32 v35, 6, v35
	v_xor_b32_e32 v36, v35, v116
	v_lshlrev_b32_e32 v36, 2, v36
	v_and_b32_e32 v37, 8, v115
	v_xor_b32_e32 v115, 0x440, v36
	v_cmp_eq_u32_e32 vcc, 0, v37
	v_perm_b32 v37, v22, v18, s59
	s_nop 0
	v_cndmask_b32_e32 v36, v115, v36, vcc
	v_lshl_or_b32 v35, v35, 10, v36
	v_perm_b32 v36, v30, v26, s59
	s_barrier
	ds_write2st64_b32 v35, v36, v37 offset0:32 offset1:64
	v_xor_b32_e32 v36, 8, v35
	v_perm_b32 v26, v30, v26, s60
	v_perm_b32 v18, v22, v18, s60
	v_add_u32_e32 v22, 0x80, v36
	ds_write2st64_b32 v22, v26, v18 offset0:32 offset1:64
	v_xor_b32_e32 v18, 16, v35
	v_perm_b32 v22, v31, v27, s59
	v_perm_b32 v26, v23, v19, s59
	ds_write2st64_b32 v18, v22, v26 offset0:33 offset1:65
	v_xor_b32_e32 v18, 24, v35
	v_perm_b32 v22, v31, v27, s60
	v_perm_b32 v19, v23, v19, s60
	v_add_u32_e32 v18, 0x80, v18
	ds_write2st64_b32 v18, v22, v19 offset0:33 offset1:65
	v_xor_b32_e32 v18, 32, v35
	v_perm_b32 v19, v32, v28, s59
	v_perm_b32 v22, v24, v20, s59
	;; [unrolled: 9-line block ×3, first 2 shown]
	ds_write2st64_b32 v18, v19, v20 offset0:35 offset1:67
	v_xor_b32_e32 v18, 56, v35
	v_perm_b32 v19, v33, v29, s60
	v_perm_b32 v20, v25, v21, s60
	v_add_u32_e32 v18, 0x80, v18
	ds_write2st64_b32 v18, v19, v20 offset0:35 offset1:67
	ds_write_b64 v114, v[14:15] offset:24576
	v_xor_b32_e32 v14, 8, v114
	ds_write_b64 v14, v[16:17] offset:24576
	ds_write_b64 v114, v[10:11] offset:32768
	;; [unrolled: 1-line block ×4, first 2 shown]
	v_xor_b32_e32 v6, 8, v113
	ds_write_b64 v6, v[8:9] offset:24576
	ds_write_b64 v113, v[2:3] offset:32768
	;; [unrolled: 1-line block ×3, first 2 shown]
.LBB400_16:                             ;   in Loop: Header=BB400_6 Depth=1
	v_exp_f32_e32 v18, s2
	s_waitcnt vmcnt(2)
	v_exp_f32_e32 v20, v38
	v_exp_f32_e32 v21, v39
	;; [unrolled: 1-line block ×4, first 2 shown]
	v_accvgpr_read_b32 v13, a3
	v_accvgpr_read_b32 v11, a1
	;; [unrolled: 1-line block ×4, first 2 shown]
	v_pk_mul_f32 v[20:21], v[18:19], v[20:21] op_sel_hi:[0,1]
	v_accvgpr_read_b32 v12, a2
	v_accvgpr_read_b32 v7, a5
	;; [unrolled: 1-line block ×3, first 2 shown]
	v_pk_fma_f32 v[50:51], v[50:51], v[20:21], v[10:11]
	v_pk_mul_f32 v[10:11], v[18:19], v[22:23] op_sel_hi:[0,1]
	v_pk_fma_f32 v[52:53], v[52:53], v[10:11], v[12:13]
	v_fma_f32 v85, v85, v20, v6
	v_fma_f32 v84, v84, v21, v7
	v_exp_f32_e32 v6, v34
	v_exp_f32_e32 v7, v42
	;; [unrolled: 1-line block ×4, first 2 shown]
	v_accvgpr_read_b32 v8, a6
	v_accvgpr_read_b32 v17, a15
	;; [unrolled: 1-line block ×9, first 2 shown]
	v_fma_f32 v86, v86, v10, v8
	v_fmac_f32_e32 v9, v112, v11
	v_pk_mul_f32 v[6:7], v[18:19], v[6:7] op_sel_hi:[0,1]
	v_pk_mul_f32 v[10:11], v[18:19], v[12:13] op_sel_hi:[0,1]
	s_add_i32 s58, s58, 64
	v_pk_fma_f32 v[46:47], v[46:47], v[6:7], v[14:15]
	v_pk_fma_f32 v[48:49], v[48:49], v[10:11], v[16:17]
	v_fma_f32 v82, v82, v6, v2
	v_fma_f32 v81, v81, v7, v3
	;; [unrolled: 1-line block ×3, first 2 shown]
	s_cmp_eq_u32 s47, s63
	v_fmac_f32_e32 v5, v111, v11
	s_cbranch_scc1 .LBB400_18
; %bb.17:                               ;   in Loop: Header=BB400_6 Depth=1
	s_mov_b32 s64, s63
	v_mov_b32_e32 v112, v9
	v_mov_b32_e32 v111, v5
	s_branch .LBB400_6
.LBB400_18:
	s_lshl_b32 s40, s47, 6
	s_sub_i32 s41, s12, s40
	s_cmp_gt_i32 s41, 0
	s_cbranch_scc0 .LBB400_83
; %bb.19:
	s_ashr_i32 s35, s48, 31
	s_ashr_i32 s2, s40, 31
	s_cmpk_lg_i32 s15, 0x80
	s_cselect_b64 s[26:27], -1, 0
	s_and_b64 vcc, exec, s[26:27]
	s_cbranch_vccz .LBB400_21
; %bb.20:
	s_mul_i32 s1, s48, s12
	s_mul_hi_i32 s0, s48, s12
	s_add_u32 s1, s1, s40
	s_addc_u32 s0, s0, s2
	s_mul_i32 s3, s1, s49
	s_mul_hi_u32 s20, s1, s14
	s_add_i32 s3, s20, s3
	s_mul_i32 s0, s0, s14
	s_add_i32 s3, s3, s0
	s_mul_i32 s1, s1, s14
	s_ashr_i32 s0, s52, 31
	s_add_u32 s38, s1, s52
	s_addc_u32 s39, s3, s0
	s_cbranch_execz .LBB400_22
	s_branch .LBB400_23
.LBB400_21:
                                        ; implicit-def: $sgpr38_sgpr39
.LBB400_22:
	s_mul_hi_i32 s0, s48, s14
	s_mul_i32 s48, s48, s14
	s_ashr_i32 s1, s52, 31
	s_add_u32 s3, s48, s52
	s_addc_u32 s0, s0, s1
	s_mul_i32 s1, s3, s46
	s_mul_hi_u32 s14, s3, s12
	s_add_i32 s1, s14, s1
	s_mul_i32 s0, s0, s12
	s_add_i32 s1, s1, s0
	s_mul_i32 s3, s3, s12
	s_add_u32 s38, s3, s40
	s_addc_u32 s39, s1, s2
.LBB400_23:
	s_add_i32 s3, s50, s47
	s_ashr_i32 s14, s33, 31
	s_add_u32 s0, s45, s33
	s_addc_u32 s1, s51, s14
	s_mul_i32 s20, s0, s46
	s_mul_hi_u32 s21, s0, s12
	s_add_i32 s20, s21, s20
	s_mul_i32 s1, s1, s12
	s_add_i32 s20, s20, s1
	s_mul_i32 s0, s0, s12
	s_add_u32 s0, s0, s40
	v_lshlrev_b32_e32 v8, 5, v65
	v_lshlrev_b32_e32 v22, 2, v45
	s_addc_u32 s1, s20, s2
	s_mov_b32 s2, 0x7060302
	v_or_b32_e32 v11, v8, v22
	v_xor_b32_e32 v4, v65, v22
	v_perm_b32 v3, v53, v52, s2
	v_perm_b32 v2, v51, v50, s2
	;; [unrolled: 1-line block ×4, first 2 shown]
	v_lshlrev_b32_e32 v11, 1, v11
	s_lshl_b64 s[24:25], s[0:1], 8
	v_xor_b32_e32 v10, v66, v22
	ds_write2st64_b64 v11, v[2:3], v[6:7] offset0:80 offset1:88
	v_lshlrev_b32_e32 v11, 1, v4
	v_lshlrev_b32_e32 v4, 8, v45
	s_add_u32 s0, s6, s24
	v_or_b32_e32 v12, v11, v4
	v_lshlrev_b32_e32 v10, 1, v10
	s_addc_u32 s1, s7, s25
	ds_write_b64 v12, v[2:3]
	v_or_b32_e32 v2, v10, v4
	s_mul_hi_i32 s6, s3, s13
	s_mul_i32 s3, s3, s13
	ds_write_b64 v2, v[6:7]
	v_perm_b32 v3, v9, v86, s2
	v_perm_b32 v2, v84, v85, s2
	v_perm_b32 v5, v5, v83, s2
	v_perm_b32 v4, v81, v82, s2
	v_or_b32_e32 v6, 16, v45
	s_add_u32 s2, s3, s33
	v_lshlrev_b32_e32 v19, 2, v6
	s_addc_u32 s3, s6, s14
	v_or_b32_e32 v7, v8, v19
	s_ashr_i32 s31, s30, 31
	s_lshl_b64 s[2:3], s[2:3], 15
	v_lshlrev_b32_e32 v7, 1, v7
	v_lshlrev_b32_e32 v6, 8, v6
	s_add_u32 s6, s36, s2
	ds_write2st64_b64 v7, v[2:3], v[4:5] offset0:80 offset1:88
	v_or_b32_e32 v7, v11, v6
	s_addc_u32 s7, s37, s3
	s_lshl_b64 s[2:3], s[30:31], 8
	ds_write_b64 v7, v[2:3]
	v_or_b32_e32 v2, v10, v6
	s_add_u32 s2, s6, s2
	ds_write_b64 v2, v[4:5]
	v_lshrrev_b32_e32 v2, 4, v0
	s_addc_u32 s3, s7, s3
	v_lshlrev_b32_e32 v3, 1, v45
	v_lshlrev_b32_e32 v10, 4, v45
	v_mov_b32_e32 v11, 0
	v_or_b32_e32 v4, 1, v3
	v_xor_b32_e32 v3, v2, v3
	v_lshl_add_u64 v[12:13], s[2:3], 0, v[10:11]
	v_lshlrev_b32_e32 v10, 8, v2
	v_xor_b32_e32 v6, v4, v2
	v_lshl_or_b32 v2, v3, 3, v10
	s_waitcnt lgkmcnt(0)
	s_barrier
	ds_read2st64_b64 v[2:5], v2 offset1:8
	v_lshl_or_b32 v6, v6, 3, v10
	ds_read2st64_b64 v[6:9], v6 offset1:8
	v_lshl_add_u64 v[14:15], v[12:13], 0, v[10:11]
	s_movk_i32 s2, 0x1000
	s_waitcnt lgkmcnt(1)
	v_mov_b32_e32 v10, v2
	v_add_co_u32_e32 v2, vcc, s2, v14
	s_cmp_lg_u32 s41, 64
	v_mov_b32_e32 v11, v3
	v_addc_co_u32_e32 v3, vcc, 0, v15, vcc
	s_cselect_b64 s[6:7], -1, 0
	v_lshl_or_b32 v23, v61, 3, v64
	s_waitcnt lgkmcnt(0)
	v_mov_b32_e32 v12, v6
	v_mov_b32_e32 v13, v7
	;; [unrolled: 1-line block ×4, first 2 shown]
	s_mov_b32 s20, 0
	v_or_b32_e32 v20, 32, v23
	v_and_b32_e32 v18, 56, v63
	s_and_b64 vcc, exec, s[6:7]
	global_store_dwordx4 v[14:15], v[10:13], off
	global_store_dwordx4 v[2:3], v[6:9], off
	s_cbranch_vccz .LBB400_29
; %bb.24:
	s_mov_b32 s21, s20
	s_mov_b32 s22, s20
	;; [unrolled: 1-line block ×3, first 2 shown]
	v_mov_b64_e32 v[6:7], s[20:21]
	v_mov_b64_e32 v[8:9], s[22:23]
	;; [unrolled: 1-line block ×3, first 2 shown]
	v_cmp_gt_i32_e32 vcc, s41, v23
	v_mov_b64_e32 v[4:5], v[8:9]
	s_and_saveexec_b64 s[2:3], vcc
	s_cbranch_execz .LBB400_26
; %bb.25:
	v_lshlrev_b32_e32 v2, 8, v23
	v_mov_b32_e32 v3, 0
	v_lshl_add_u64 v[4:5], s[0:1], 0, v[2:3]
	v_lshlrev_b32_e32 v2, 1, v18
	v_lshl_add_u64 v[10:11], v[4:5], 0, v[2:3]
	global_load_dwordx4 v[6:9], v[10:11], off
	global_load_dwordx4 v[2:5], v[10:11], off offset:128
.LBB400_26:
	s_or_b64 exec, exec, s[2:3]
	s_mov_b32 s21, s20
	s_mov_b32 s22, s20
	;; [unrolled: 1-line block ×3, first 2 shown]
	v_mov_b64_e32 v[14:15], s[20:21]
	v_mov_b64_e32 v[16:17], s[22:23]
	;; [unrolled: 1-line block ×3, first 2 shown]
	v_cmp_gt_i32_e32 vcc, s41, v20
	v_lshlrev_b32_e32 v21, 7, v20
	v_mov_b64_e32 v[12:13], v[16:17]
	s_and_saveexec_b64 s[2:3], vcc
	s_cbranch_execz .LBB400_28
; %bb.27:
	v_lshlrev_b32_e32 v10, 1, v21
	v_mov_b32_e32 v11, 0
	v_lshl_add_u64 v[12:13], s[0:1], 0, v[10:11]
	v_lshlrev_b32_e32 v10, 1, v18
	v_lshl_add_u64 v[24:25], v[12:13], 0, v[10:11]
	global_load_dwordx4 v[14:17], v[24:25], off
	global_load_dwordx4 v[10:13], v[24:25], off offset:128
.LBB400_28:
	s_or_b64 exec, exec, s[2:3]
	v_lshrrev_b32_e32 v24, 3, v18
	v_lshlrev_b32_e32 v25, 3, v23
	v_or_b32_e32 v24, v25, v24
	v_lshlrev_b32_e32 v24, 4, v24
	v_and_b32_e32 v25, 0x78, v25
	v_xor_b32_e32 v24, v24, v25
	s_branch .LBB400_31
.LBB400_29:
                                        ; implicit-def: $vgpr24
                                        ; implicit-def: $vgpr21
                                        ; implicit-def: $vgpr6_vgpr7_vgpr8_vgpr9
                                        ; implicit-def: $vgpr2_vgpr3_vgpr4_vgpr5
                                        ; implicit-def: $vgpr14_vgpr15_vgpr16_vgpr17
                                        ; implicit-def: $vgpr10_vgpr11_vgpr12_vgpr13
	s_cbranch_execz .LBB400_31
; %bb.30:
	s_waitcnt vmcnt(0)
	v_lshlrev_b32_e32 v2, 1, v18
	v_lshl_or_b32 v21, v23, 8, v2
	s_and_b32 s1, s1, 0xffff
	s_mov_b32 s3, 0x20000
	s_movk_i32 s2, 0x4000
	v_lshl_or_b32 v24, v20, 8, v2
	s_movk_i32 s13, 0x80
	buffer_load_dwordx4 v[6:9], v21, s[0:3], 0 offen
	buffer_load_dwordx4 v[2:5], v21, s[0:3], s13 offen
	;; [unrolled: 1-line block ×4, first 2 shown]
	v_lshrrev_b32_e32 v21, 3, v18
	v_lshlrev_b32_e32 v24, 3, v23
	v_or_b32_e32 v21, v24, v21
	v_lshlrev_b32_e32 v21, 4, v21
	v_and_b32_e32 v24, 0x78, v24
	v_xor_b32_e32 v24, v21, v24
	v_lshlrev_b32_e32 v21, 7, v20
.LBB400_31:
	s_lshl_b64 s[0:1], s[38:39], 8
	s_add_u32 s4, s4, s0
	s_movk_i32 s0, 0x1000
	v_and_or_b32 v20, v21, s0, v24
	s_waitcnt vmcnt(1)
	ds_write_b64 v24, v[6:7] offset:24576
	v_xor_b32_e32 v6, 8, v24
	ds_write_b64 v6, v[8:9] offset:24576
	s_waitcnt vmcnt(0)
	ds_write_b64 v24, v[2:3] offset:32768
	ds_write_b64 v6, v[4:5] offset:32768
	;; [unrolled: 1-line block ×3, first 2 shown]
	v_xor_b32_e32 v2, 8, v20
	ds_write_b64 v2, v[16:17] offset:24576
	ds_write_b64 v20, v[10:11] offset:32768
	;; [unrolled: 1-line block ×3, first 2 shown]
	v_or_b32_e32 v2, v1, v45
	v_lshlrev_b32_e32 v3, 11, v61
	v_lshlrev_b32_e32 v2, 3, v2
	v_and_b32_e32 v6, 0x1000, v3
	v_lshrrev_b32_e32 v3, 5, v60
	s_movk_i32 s13, 0xf8
	v_and_or_b32 v3, v2, s13, v3
	v_lshlrev_b32_e32 v7, 4, v3
	v_and_b32_e32 v8, 0x78, v2
	v_or_b32_e32 v10, 32, v7
	v_lshrrev_b32_e32 v3, 1, v60
	v_xor_b32_e32 v10, v10, v8
	v_xor_b32_e32 v2, v7, v8
	v_and_b32_e32 v9, 8, v3
	v_or_b32_e32 v10, v10, v6
	v_or_b32_e32 v2, v2, v6
	v_xor_b32_e32 v26, v10, v9
	v_or_b32_e32 v10, 64, v7
	v_xor_b32_e32 v25, v2, v9
	v_xor_b32_e32 v10, v10, v8
	s_waitcnt lgkmcnt(0)
	s_barrier
	v_or_b32_e32 v12, v10, v6
	ds_read_b64 v[10:11], v25 offset:24576
	v_lshl_or_b32 v20, v62, 7, v22
	v_lshlrev_b32_e32 v24, 1, v20
	v_add_u32_e32 v2, 0xa000, v24
	ds_read2_b64 v[2:5], v2 offset1:16
	v_or_b32_e32 v7, 0x60, v7
	v_xor_b32_e32 v7, v7, v8
	s_waitcnt lgkmcnt(0)
	v_mfma_f32_16x16x16_bf16 a[0:3], v[10:11], v[2:3], 0
	v_or_b32_e32 v2, 64, v20
	v_or_b32_e32 v6, v7, v6
	v_lshlrev_b32_e32 v29, 1, v2
	v_xor_b32_e32 v27, v12, v9
	v_xor_b32_e32 v28, v6, v9
	ds_read_b64 v[12:13], v26 offset:24576
	ds_read_b64 v[14:15], v27 offset:24576
	;; [unrolled: 1-line block ×3, first 2 shown]
	v_mfma_f32_16x16x16_bf16 a[4:7], v[10:11], v[4:5], 0
	ds_read2st64_b64 v[2:5], v29 offset0:82 offset1:84
	ds_read2st64_b64 v[6:9], v24 offset0:82 offset1:84
	s_addc_u32 s5, s5, s1
	s_add_i32 s2, s12, -1
	s_add_i32 s0, s44, s17
	s_mul_i32 s35, s35, s16
	s_add_i32 s35, s0, s35
	s_mul_i32 s0, s33, s19
	s_mul_hi_u32 s1, s33, s18
	s_ashr_i32 s3, s2, 31
	s_mul_i32 s12, s2, s29
	s_mul_hi_u32 s13, s2, s28
	s_add_i32 s0, s1, s0
	s_mul_i32 s1, s14, s18
	s_add_i32 s12, s13, s12
	s_mul_i32 s3, s3, s28
	s_waitcnt lgkmcnt(1)
	v_mfma_f32_16x16x16_bf16 a[4:7], v[12:13], v[2:3], a[4:7]
	s_add_i32 s1, s0, s1
	s_add_i32 s3, s12, s3
	s_lshl_b64 s[12:13], s[34:35], 2
	s_waitcnt lgkmcnt(0)
	v_mfma_f32_16x16x16_bf16 a[0:3], v[12:13], v[6:7], a[0:3]
	s_mul_i32 s0, s33, s18
	s_add_u32 s10, s10, s12
	s_addc_u32 s11, s11, s13
	s_lshl_b64 s[0:1], s[0:1], 2
	s_mul_i32 s2, s2, s28
	s_add_u32 s10, s10, s0
	ds_read_b64 v[2:3], v24 offset:44032
	v_mfma_f32_16x16x16_bf16 a[4:7], v[14:15], v[4:5], a[4:7]
	ds_read_b64 v[4:5], v29 offset:44032
	s_addc_u32 s11, s11, s1
	s_lshl_b64 s[0:1], s[2:3], 2
	v_mfma_f32_16x16x16_bf16 a[0:3], v[14:15], v[8:9], a[0:3]
	s_add_u32 s0, s10, s0
	s_addc_u32 s1, s11, s1
	s_load_dword s12, s[0:1], 0x0
	s_waitcnt lgkmcnt(0)
	v_mfma_f32_16x16x16_bf16 a[0:3], v[16:17], v[2:3], a[0:3]
	s_and_b64 vcc, exec, s[26:27]
	v_mfma_f32_16x16x16_bf16 a[4:7], v[16:17], v[4:5], a[4:7]
	s_cbranch_vccz .LBB400_42
; %bb.32:
	v_lshlrev_b32_e32 v20, 1, v23
	s_and_b64 vcc, exec, s[6:7]
	s_cbranch_vccz .LBB400_43
; %bb.33:
	v_cmp_gt_i32_e32 vcc, s41, v20
	v_mov_b32_e32 v6, 0
	v_mov_b32_e32 v2, 0
	;; [unrolled: 1-line block ×5, first 2 shown]
	s_and_saveexec_b64 s[0:1], vcc
	s_cbranch_execz .LBB400_35
; %bb.34:
	v_mad_i64_i32 v[2:3], s[2:3], s15, v20, 0
	v_lshl_add_u64 v[2:3], v[2:3], 1, s[4:5]
	v_lshlrev_b32_e32 v4, 1, v18
	v_mov_b32_e32 v5, 0
	v_lshl_add_u64 v[2:3], v[2:3], 0, v[4:5]
	global_load_dwordx4 v[2:5], v[2:3], off
.LBB400_35:
	s_or_b64 exec, exec, s[0:1]
	v_or_b32_e32 v21, 1, v20
	v_cmp_gt_i32_e64 s[0:1], s41, v21
	v_mov_b32_e32 v7, 0
	v_mov_b32_e32 v8, 0
	;; [unrolled: 1-line block ×3, first 2 shown]
	s_and_saveexec_b64 s[2:3], s[0:1]
	s_cbranch_execz .LBB400_37
; %bb.36:
	v_mad_i64_i32 v[6:7], s[16:17], s15, v21, 0
	v_lshl_add_u64 v[6:7], v[6:7], 1, s[4:5]
	v_lshlrev_b32_e32 v8, 1, v18
	v_mov_b32_e32 v9, 0
	v_lshl_add_u64 v[6:7], v[6:7], 0, v[8:9]
	global_load_dwordx4 v[6:9], v[6:7], off
.LBB400_37:
	s_or_b64 exec, exec, s[2:3]
	v_mov_b32_e32 v17, 0
	v_mov_b32_e32 v10, 0
	;; [unrolled: 1-line block ×5, first 2 shown]
	s_and_saveexec_b64 s[2:3], vcc
	s_cbranch_execz .LBB400_39
; %bb.38:
	v_mad_i64_i32 v[10:11], s[16:17], s15, v20, 0
	v_lshl_add_u64 v[10:11], v[10:11], 1, s[4:5]
	v_lshlrev_b32_e32 v12, 1, v18
	v_mov_b32_e32 v13, 0
	v_lshl_add_u64 v[10:11], v[10:11], 0, v[12:13]
	global_load_dwordx4 v[10:13], v[10:11], off offset:128
.LBB400_39:
	s_or_b64 exec, exec, s[2:3]
	v_mov_b32_e32 v16, 0
	v_mov_b32_e32 v15, 0
	;; [unrolled: 1-line block ×3, first 2 shown]
	s_and_saveexec_b64 s[2:3], s[0:1]
	s_cbranch_execz .LBB400_41
; %bb.40:
	v_mad_i64_i32 v[14:15], s[0:1], s15, v21, 0
	v_lshl_add_u64 v[14:15], v[14:15], 1, s[4:5]
	v_lshlrev_b32_e32 v16, 1, v18
	v_mov_b32_e32 v17, 0
	v_lshl_add_u64 v[14:15], v[14:15], 0, v[16:17]
	global_load_dwordx4 v[14:17], v[14:15], off offset:128
.LBB400_41:
	s_or_b64 exec, exec, s[2:3]
	s_branch .LBB400_45
.LBB400_42:
                                        ; implicit-def: $vgpr5
                                        ; implicit-def: $vgpr9
                                        ; implicit-def: $vgpr13
                                        ; implicit-def: $vgpr17
	v_lshrrev_b32_e32 v30, 2, v60
	s_branch .LBB400_46
.LBB400_43:
                                        ; implicit-def: $vgpr5
                                        ; implicit-def: $vgpr9
                                        ; implicit-def: $vgpr13
                                        ; implicit-def: $vgpr17
	s_cbranch_execz .LBB400_45
; %bb.44:
	s_waitcnt vmcnt(0)
	v_mad_u64_u32 v[2:3], s[0:1], v20, s15, v[18:19]
	v_lshlrev_b32_e32 v20, 1, v2
	s_lshl_b32 s2, s15, 7
	s_and_b32 s1, s5, 0xffff
	s_mov_b32 s3, 0x20000
	s_mov_b32 s0, s4
	v_add_lshl_u32 v21, v2, s15, 1
	s_movk_i32 s13, 0x80
	buffer_load_dwordx4 v[2:5], v20, s[0:3], 0 offen
	buffer_load_dwordx4 v[10:13], v20, s[0:3], s13 offen
	;; [unrolled: 1-line block ×4, first 2 shown]
.LBB400_45:
	v_lshrrev_b32_e32 v30, 2, v60
	s_cbranch_execnz .LBB400_58
.LBB400_46:
	s_and_b64 vcc, exec, s[6:7]
	s_cbranch_vccz .LBB400_56
; %bb.47:
	s_waitcnt vmcnt(0)
	v_lshlrev_b32_e32 v7, 1, v23
	v_cmp_gt_i32_e32 vcc, s41, v7
	v_mov_b32_e32 v6, 0
	v_lshlrev_b32_e32 v14, 9, v23
	v_mov_b32_e32 v2, 0
	v_mov_b32_e32 v3, 0
	;; [unrolled: 1-line block ×4, first 2 shown]
	s_and_saveexec_b64 s[0:1], vcc
	s_cbranch_execz .LBB400_49
; %bb.48:
	v_mov_b32_e32 v15, 0
	v_lshl_add_u64 v[2:3], s[4:5], 0, v[14:15]
	v_lshlrev_b32_e32 v4, 1, v18
	v_mov_b32_e32 v5, v15
	v_lshl_add_u64 v[2:3], v[2:3], 0, v[4:5]
	global_load_dwordx4 v[2:5], v[2:3], off
.LBB400_49:
	s_or_b64 exec, exec, s[0:1]
	v_or_b32_e32 v7, 1, v7
	v_cmp_gt_i32_e64 s[0:1], s41, v7
	v_lshlrev_b32_e32 v20, 8, v7
	v_mov_b32_e32 v7, 0
	v_mov_b32_e32 v8, 0
	;; [unrolled: 1-line block ×3, first 2 shown]
	s_and_saveexec_b64 s[2:3], s[0:1]
	s_cbranch_execz .LBB400_51
; %bb.50:
	v_mov_b32_e32 v21, 0
	v_lshl_add_u64 v[6:7], s[4:5], 0, v[20:21]
	v_lshlrev_b32_e32 v8, 1, v18
	v_mov_b32_e32 v9, v21
	v_lshl_add_u64 v[6:7], v[6:7], 0, v[8:9]
	global_load_dwordx4 v[6:9], v[6:7], off
.LBB400_51:
	s_or_b64 exec, exec, s[2:3]
	v_mov_b32_e32 v17, 0
	v_mov_b32_e32 v10, 0
	;; [unrolled: 1-line block ×5, first 2 shown]
	s_and_saveexec_b64 s[2:3], vcc
	s_cbranch_execz .LBB400_53
; %bb.52:
	v_mov_b32_e32 v15, 0
	v_lshl_add_u64 v[10:11], s[4:5], 0, v[14:15]
	v_lshlrev_b32_e32 v14, 1, v18
	v_lshl_add_u64 v[10:11], v[10:11], 0, v[14:15]
	global_load_dwordx4 v[10:13], v[10:11], off offset:128
.LBB400_53:
	s_or_b64 exec, exec, s[2:3]
	v_mov_b32_e32 v16, 0
	v_mov_b32_e32 v15, 0
	;; [unrolled: 1-line block ×3, first 2 shown]
	s_and_saveexec_b64 s[2:3], s[0:1]
	s_cbranch_execz .LBB400_55
; %bb.54:
	v_mov_b32_e32 v21, 0
	v_lshl_add_u64 v[14:15], s[4:5], 0, v[20:21]
	v_lshlrev_b32_e32 v20, 1, v18
	v_lshl_add_u64 v[14:15], v[14:15], 0, v[20:21]
	global_load_dwordx4 v[14:17], v[14:15], off offset:128
.LBB400_55:
	s_or_b64 exec, exec, s[2:3]
	s_branch .LBB400_58
.LBB400_56:
                                        ; implicit-def: $vgpr5
                                        ; implicit-def: $vgpr9
                                        ; implicit-def: $vgpr13
                                        ; implicit-def: $vgpr17
	s_cbranch_execz .LBB400_58
; %bb.57:
	s_waitcnt vmcnt(0)
	v_lshlrev_b32_e32 v2, 1, v18
	v_lshl_or_b32 v18, v23, 9, v2
	s_and_b32 s5, s5, 0xffff
	s_mov_b32 s7, 0x20000
	s_movk_i32 s6, 0x4000
	s_movk_i32 s0, 0x80
	buffer_load_dwordx4 v[2:5], v18, s[4:7], 0 offen
	buffer_load_dwordx4 v[6:9], v18, s[4:7], 0 offen offset:256
	buffer_load_dwordx4 v[10:13], v18, s[4:7], s0 offen
	buffer_load_dwordx4 v[14:17], v18, s[4:7], s0 offen offset:256
.LBB400_58:
	ds_read_b64 v[20:21], v25 offset:32768
	v_add_u32_e32 v18, 0xb000, v24
	ds_read2_b64 v[32:35], v18 offset1:16
	ds_read_b64 v[40:41], v26 offset:32768
	ds_read_b64 v[26:27], v27 offset:32768
	;; [unrolled: 1-line block ×3, first 2 shown]
	v_and_b32_e32 v18, 6, v0
	v_xor_b32_e32 v23, v23, v18
	v_lshlrev_b32_e32 v23, 2, v23
	v_and_b32_e32 v0, 1, v0
	v_xor_b32_e32 v28, 0x440, v23
	v_cmp_eq_u32_e32 vcc, 0, v0
	s_waitcnt lgkmcnt(3)
	v_mfma_f32_16x16x16_bf16 a[0:3], v[20:21], v[32:33], a[0:3]
	s_mov_b32 s0, 0x1000504
	v_cndmask_b32_e32 v0, v28, v23, vcc
	v_lshl_or_b32 v0, v18, 10, v0
	v_mfma_f32_16x16x16_bf16 a[4:7], v[20:21], v[34:35], a[4:7]
	ds_read2st64_b64 v[32:35], v24 offset0:90 offset1:92
	ds_read2st64_b64 v[36:39], v29 offset0:90 offset1:92
	ds_read_b64 v[20:21], v24 offset:48128
	ds_read_b64 v[24:25], v29 offset:48128
	s_waitcnt vmcnt(0)
	v_perm_b32 v18, v2, v6, s0
	s_waitcnt lgkmcnt(3)
	v_mfma_f32_16x16x16_bf16 a[0:3], v[40:41], v[32:33], a[0:3]
	s_mov_b32 s1, 0x3020706
	v_perm_b32 v2, v2, v6, s1
	v_perm_b32 v6, v10, v14, s1
	s_waitcnt lgkmcnt(2)
	v_mfma_f32_16x16x16_bf16 a[4:7], v[40:41], v[36:37], a[4:7]
	v_mfma_f32_16x16x16_bf16 a[0:3], v[26:27], v[34:35], a[0:3]
	;; [unrolled: 1-line block ×3, first 2 shown]
	s_waitcnt lgkmcnt(1)
	v_mfma_f32_16x16x16_bf16 a[4:7], v[42:43], v[20:21], a[0:3]
	v_perm_b32 v20, v10, v14, s0
	ds_write2st64_b32 v0, v18, v20 offset0:32 offset1:64
	v_xor_b32_e32 v18, 8, v0
	v_add_u32_e32 v10, 0x80, v18
	ds_write2st64_b32 v10, v2, v6 offset0:32 offset1:64
	v_xor_b32_e32 v2, 16, v0
	v_perm_b32 v6, v3, v7, s0
	v_perm_b32 v10, v11, v15, s0
	ds_write2st64_b32 v2, v6, v10 offset0:33 offset1:65
	v_xor_b32_e32 v2, 24, v0
	v_perm_b32 v3, v3, v7, s1
	v_perm_b32 v6, v11, v15, s1
	v_add_u32_e32 v2, 0x80, v2
	ds_write2st64_b32 v2, v3, v6 offset0:33 offset1:65
	v_xor_b32_e32 v2, 32, v0
	v_perm_b32 v3, v4, v8, s0
	v_perm_b32 v6, v12, v16, s0
	s_waitcnt lgkmcnt(4)
	v_mfma_f32_16x16x16_bf16 a[0:3], v[42:43], v[24:25], a[8:11]
	ds_write2st64_b32 v2, v3, v6 offset0:34 offset1:66
	v_xor_b32_e32 v2, 40, v0
	v_perm_b32 v3, v4, v8, s1
	v_perm_b32 v4, v12, v16, s1
	v_add_u32_e32 v2, 0x80, v2
	ds_write2st64_b32 v2, v3, v4 offset0:34 offset1:66
	v_xor_b32_e32 v2, 48, v0
	v_perm_b32 v3, v5, v9, s0
	v_perm_b32 v4, v13, v17, s0
	v_xor_b32_e32 v0, 56, v0
	v_and_or_b32 v18, v30, 12, v1
	ds_write2st64_b32 v2, v3, v4 offset0:35 offset1:67
	v_perm_b32 v2, v5, v9, s1
	v_perm_b32 v3, v13, v17, s1
	v_add_u32_e32 v0, 0x80, v0
	v_cmp_gt_i32_e32 vcc, s41, v18
	v_mov_b32_e32 v14, 0
	v_mov_b32_e32 v16, 0
	ds_write2st64_b32 v0, v2, v3 offset0:35 offset1:67
	s_and_saveexec_b64 s[0:1], vcc
	s_cbranch_execz .LBB400_60
; %bb.59:
	v_add_u32_e32 v0, s40, v18
	v_ashrrev_i32_e32 v1, 31, v0
	v_mul_lo_u32 v2, v1, s28
	v_mul_lo_u32 v3, v0, s29
	v_mad_u64_u32 v[0:1], s[2:3], v0, s28, 0
	v_add3_u32 v1, v1, v3, v2
	v_lshl_add_u64 v[0:1], v[0:1], 2, s[10:11]
	global_load_dword v0, v[0:1], off
	s_waitcnt vmcnt(0)
	v_sub_f32_e32 v0, s12, v0
	v_exp_f32_e32 v16, v0
.LBB400_60:
	s_or_b64 exec, exec, s[0:1]
	v_or_b32_e32 v8, 1, v18
	v_cmp_gt_i32_e64 s[0:1], s41, v8
	s_and_saveexec_b64 s[2:3], s[0:1]
	s_cbranch_execz .LBB400_62
; %bb.61:
	v_add_u32_e32 v0, s40, v8
	v_ashrrev_i32_e32 v1, 31, v0
	v_mul_lo_u32 v2, v1, s28
	v_mul_lo_u32 v3, v0, s29
	v_mad_u64_u32 v[0:1], s[4:5], v0, s28, 0
	v_add3_u32 v1, v1, v3, v2
	v_lshl_add_u64 v[0:1], v[0:1], 2, s[10:11]
	global_load_dword v0, v[0:1], off
	s_waitcnt vmcnt(0)
	v_sub_f32_e32 v0, s12, v0
	v_exp_f32_e32 v14, v0
.LBB400_62:
	s_or_b64 exec, exec, s[2:3]
	v_or_b32_e32 v10, 2, v18
	v_cmp_gt_i32_e64 s[2:3], s41, v10
	v_mov_b32_e32 v15, 0
	v_mov_b32_e32 v17, 0
	s_and_saveexec_b64 s[4:5], s[2:3]
	s_cbranch_execz .LBB400_64
; %bb.63:
	v_add_u32_e32 v0, s40, v10
	v_ashrrev_i32_e32 v1, 31, v0
	v_mul_lo_u32 v2, v1, s28
	v_mul_lo_u32 v3, v0, s29
	v_mad_u64_u32 v[0:1], s[6:7], v0, s28, 0
	v_add3_u32 v1, v1, v3, v2
	v_lshl_add_u64 v[0:1], v[0:1], 2, s[10:11]
	global_load_dword v0, v[0:1], off
	s_waitcnt vmcnt(0)
	v_sub_f32_e32 v0, s12, v0
	v_exp_f32_e32 v17, v0
.LBB400_64:
	s_or_b64 exec, exec, s[4:5]
	v_or_b32_e32 v12, 3, v18
	v_cmp_gt_i32_e64 s[4:5], s41, v12
	s_and_saveexec_b64 s[6:7], s[4:5]
	s_cbranch_execz .LBB400_66
; %bb.65:
	v_add_u32_e32 v0, s40, v12
	v_ashrrev_i32_e32 v1, 31, v0
	v_mul_lo_u32 v2, v1, s28
	v_mul_lo_u32 v3, v0, s29
	v_mad_u64_u32 v[0:1], s[14:15], v0, s28, 0
	v_add3_u32 v1, v1, v3, v2
	v_lshl_add_u64 v[0:1], v[0:1], 2, s[10:11]
	global_load_dword v0, v[0:1], off
	s_waitcnt vmcnt(0)
	v_sub_f32_e32 v0, s12, v0
	v_exp_f32_e32 v15, v0
.LBB400_66:
	s_or_b64 exec, exec, s[6:7]
	v_or_b32_e32 v4, s30, v45
	s_add_u32 s6, s8, s24
	v_accvgpr_read_b32 v0, a4
	s_addc_u32 s7, s9, s25
	v_ashrrev_i32_e32 v5, 31, v4
	v_accvgpr_read_b32 v1, a5
	v_accvgpr_read_b32 v2, a6
	;; [unrolled: 1-line block ×3, first 2 shown]
	v_lshl_add_u64 v[4:5], v[4:5], 1, s[6:7]
	v_mov_b32_e32 v9, 0
	v_lshlrev_b32_e32 v6, 8, v18
	v_mov_b32_e32 v7, 0
	s_and_saveexec_b64 s[6:7], vcc
	s_cbranch_execz .LBB400_68
; %bb.67:
	v_mov_b32_e32 v7, 0
	v_lshl_add_u64 v[20:21], v[4:5], 0, v[6:7]
	global_load_ushort v7, v[20:21], off
	s_waitcnt vmcnt(0)
	v_lshlrev_b32_e32 v7, 16, v7
	v_sub_f32_e32 v0, v7, v0
	v_mul_f32_e32 v0, v16, v0
	v_lshrrev_b32_e32 v7, 16, v0
.LBB400_68:
	s_or_b64 exec, exec, s[6:7]
	v_lshlrev_b32_e32 v8, 8, v8
	s_and_saveexec_b64 s[6:7], s[0:1]
	s_cbranch_execz .LBB400_70
; %bb.69:
	v_mov_b32_e32 v9, 0
	v_lshl_add_u64 v[20:21], v[4:5], 0, v[8:9]
	global_load_ushort v0, v[20:21], off
	s_waitcnt vmcnt(0)
	v_lshlrev_b32_e32 v0, 16, v0
	v_sub_f32_e32 v0, v0, v1
	v_mul_f32_e32 v0, v14, v0
	v_lshrrev_b32_e32 v9, 16, v0
.LBB400_70:
	s_or_b64 exec, exec, s[6:7]
	v_mov_b32_e32 v13, 0
	v_lshlrev_b32_e32 v10, 8, v10
	v_mov_b32_e32 v11, 0
	s_and_saveexec_b64 s[6:7], s[2:3]
	s_cbranch_execz .LBB400_72
; %bb.71:
	v_mov_b32_e32 v11, 0
	v_lshl_add_u64 v[0:1], v[4:5], 0, v[10:11]
	global_load_ushort v0, v[0:1], off
	s_waitcnt vmcnt(0)
	v_lshlrev_b32_e32 v0, 16, v0
	v_sub_f32_e32 v0, v0, v2
	v_mul_f32_e32 v0, v17, v0
	v_lshrrev_b32_e32 v11, 16, v0
.LBB400_72:
	s_or_b64 exec, exec, s[6:7]
	v_lshlrev_b32_e32 v12, 8, v12
	s_and_saveexec_b64 s[6:7], s[4:5]
	s_cbranch_execz .LBB400_74
; %bb.73:
	v_mov_b32_e32 v13, 0
	v_lshl_add_u64 v[0:1], v[4:5], 0, v[12:13]
	global_load_ushort v0, v[0:1], off
	s_waitcnt vmcnt(0)
	v_lshlrev_b32_e32 v0, 16, v0
	v_sub_f32_e32 v0, v0, v3
	v_mul_f32_e32 v0, v15, v0
	v_lshrrev_b32_e32 v13, 16, v0
.LBB400_74:
	s_or_b64 exec, exec, s[6:7]
	v_lshlrev_b32_e32 v18, 5, v18
	s_mov_b32 s6, 0x5040100
	v_perm_b32 v20, v9, v7, s6
	v_or_b32_e32 v7, v18, v22
	v_accvgpr_read_b32 v0, a0
	v_perm_b32 v21, v13, v11, s6
	v_lshlrev_b32_e32 v7, 1, v7
	v_accvgpr_read_b32 v1, a1
	v_accvgpr_read_b32 v2, a2
	;; [unrolled: 1-line block ×3, first 2 shown]
	ds_write_b64 v7, v[20:21] offset:45056
	v_mov_b32_e32 v9, 0
	v_mov_b32_e32 v7, 0
	s_and_saveexec_b64 s[6:7], vcc
	s_cbranch_execz .LBB400_76
; %bb.75:
	v_mov_b32_e32 v7, 0
	v_lshl_add_u64 v[6:7], v[4:5], 0, v[6:7]
	global_load_ushort v6, v[6:7], off offset:32
	s_waitcnt vmcnt(0)
	v_lshlrev_b32_e32 v6, 16, v6
	v_sub_f32_e32 v0, v6, v0
	v_mul_f32_e32 v0, v16, v0
	v_lshrrev_b32_e32 v7, 16, v0
.LBB400_76:
	s_or_b64 exec, exec, s[6:7]
	s_and_saveexec_b64 s[6:7], s[0:1]
	s_cbranch_execz .LBB400_78
; %bb.77:
	v_mov_b32_e32 v9, 0
	v_lshl_add_u64 v[8:9], v[4:5], 0, v[8:9]
	global_load_ushort v0, v[8:9], off offset:32
	s_waitcnt vmcnt(0)
	v_lshlrev_b32_e32 v0, 16, v0
	v_sub_f32_e32 v0, v0, v1
	v_mul_f32_e32 v0, v14, v0
	v_lshrrev_b32_e32 v9, 16, v0
.LBB400_78:
	s_or_b64 exec, exec, s[6:7]
	v_mov_b32_e32 v0, 0
	v_mov_b32_e32 v1, 0
	s_and_saveexec_b64 s[0:1], s[2:3]
	s_cbranch_execz .LBB400_80
; %bb.79:
	v_mov_b32_e32 v11, 0
	v_lshl_add_u64 v[10:11], v[4:5], 0, v[10:11]
	global_load_ushort v1, v[10:11], off offset:32
	s_waitcnt vmcnt(0)
	v_lshlrev_b32_e32 v1, 16, v1
	v_sub_f32_e32 v1, v1, v2
	v_mul_f32_e32 v1, v17, v1
	v_lshrrev_b32_e32 v1, 16, v1
.LBB400_80:
	s_or_b64 exec, exec, s[0:1]
	s_and_saveexec_b64 s[0:1], s[4:5]
	s_cbranch_execz .LBB400_82
; %bb.81:
	v_mov_b32_e32 v13, 0
	v_lshl_add_u64 v[4:5], v[4:5], 0, v[12:13]
	global_load_ushort v0, v[4:5], off offset:32
	s_waitcnt vmcnt(0)
	v_lshlrev_b32_e32 v0, 16, v0
	v_sub_f32_e32 v0, v0, v3
	v_mul_f32_e32 v0, v15, v0
	v_lshrrev_b32_e32 v0, 16, v0
.LBB400_82:
	s_or_b64 exec, exec, s[0:1]
	s_mov_b32 s0, 0x5040100
	v_or_b32_e32 v2, v18, v19
	v_perm_b32 v1, v0, v1, s0
	v_perm_b32 v0, v9, v7, s0
	v_lshlrev_b32_e32 v2, 1, v2
	ds_write_b64 v2, v[0:1] offset:45056
	s_waitcnt lgkmcnt(0)
	s_barrier
.LBB400_83:
	s_endpgm
	.section	.rodata,"a",@progbits
	.p2align	6, 0x0
	.amdhsa_kernel _ZN12_GLOBAL__N_139chunk_gated_delta_rule_fwd_h_hip_kernelILi32ELb0ELb0ELb0ELb0ELb1ELb1ELb1ELb0EEEvPK12hip_bfloat16S3_S3_PKfS5_PKvPS1_S8_PvPKiSB_iiiiilll
		.amdhsa_group_segment_fixed_size 49152
		.amdhsa_private_segment_fixed_size 0
		.amdhsa_kernarg_size 136
		.amdhsa_user_sgpr_count 2
		.amdhsa_user_sgpr_dispatch_ptr 0
		.amdhsa_user_sgpr_queue_ptr 0
		.amdhsa_user_sgpr_kernarg_segment_ptr 1
		.amdhsa_user_sgpr_dispatch_id 0
		.amdhsa_user_sgpr_kernarg_preload_length 0
		.amdhsa_user_sgpr_kernarg_preload_offset 0
		.amdhsa_user_sgpr_private_segment_size 0
		.amdhsa_uses_dynamic_stack 0
		.amdhsa_enable_private_segment 0
		.amdhsa_system_sgpr_workgroup_id_x 1
		.amdhsa_system_sgpr_workgroup_id_y 1
		.amdhsa_system_sgpr_workgroup_id_z 0
		.amdhsa_system_sgpr_workgroup_info 0
		.amdhsa_system_vgpr_workitem_id 0
		.amdhsa_next_free_vgpr 160
		.amdhsa_next_free_sgpr 65
		.amdhsa_accum_offset 140
		.amdhsa_reserve_vcc 1
		.amdhsa_float_round_mode_32 0
		.amdhsa_float_round_mode_16_64 0
		.amdhsa_float_denorm_mode_32 3
		.amdhsa_float_denorm_mode_16_64 3
		.amdhsa_dx10_clamp 1
		.amdhsa_ieee_mode 1
		.amdhsa_fp16_overflow 0
		.amdhsa_tg_split 0
		.amdhsa_exception_fp_ieee_invalid_op 0
		.amdhsa_exception_fp_denorm_src 0
		.amdhsa_exception_fp_ieee_div_zero 0
		.amdhsa_exception_fp_ieee_overflow 0
		.amdhsa_exception_fp_ieee_underflow 0
		.amdhsa_exception_fp_ieee_inexact 0
		.amdhsa_exception_int_div_zero 0
	.end_amdhsa_kernel
	.section	.text._ZN12_GLOBAL__N_139chunk_gated_delta_rule_fwd_h_hip_kernelILi32ELb0ELb0ELb0ELb0ELb1ELb1ELb1ELb0EEEvPK12hip_bfloat16S3_S3_PKfS5_PKvPS1_S8_PvPKiSB_iiiiilll,"axG",@progbits,_ZN12_GLOBAL__N_139chunk_gated_delta_rule_fwd_h_hip_kernelILi32ELb0ELb0ELb0ELb0ELb1ELb1ELb1ELb0EEEvPK12hip_bfloat16S3_S3_PKfS5_PKvPS1_S8_PvPKiSB_iiiiilll,comdat
.Lfunc_end400:
	.size	_ZN12_GLOBAL__N_139chunk_gated_delta_rule_fwd_h_hip_kernelILi32ELb0ELb0ELb0ELb0ELb1ELb1ELb1ELb0EEEvPK12hip_bfloat16S3_S3_PKfS5_PKvPS1_S8_PvPKiSB_iiiiilll, .Lfunc_end400-_ZN12_GLOBAL__N_139chunk_gated_delta_rule_fwd_h_hip_kernelILi32ELb0ELb0ELb0ELb0ELb1ELb1ELb1ELb0EEEvPK12hip_bfloat16S3_S3_PKfS5_PKvPS1_S8_PvPKiSB_iiiiilll
                                        ; -- End function
	.section	.AMDGPU.csdata,"",@progbits
; Kernel info:
; codeLenInByte = 8608
; NumSgprs: 71
; NumVgprs: 140
; NumAgprs: 20
; TotalNumVgprs: 160
; ScratchSize: 0
; MemoryBound: 0
; FloatMode: 240
; IeeeMode: 1
; LDSByteSize: 49152 bytes/workgroup (compile time only)
; SGPRBlocks: 8
; VGPRBlocks: 19
; NumSGPRsForWavesPerEU: 71
; NumVGPRsForWavesPerEU: 160
; AccumOffset: 140
; Occupancy: 1
; WaveLimiterHint : 1
; COMPUTE_PGM_RSRC2:SCRATCH_EN: 0
; COMPUTE_PGM_RSRC2:USER_SGPR: 2
; COMPUTE_PGM_RSRC2:TRAP_HANDLER: 0
; COMPUTE_PGM_RSRC2:TGID_X_EN: 1
; COMPUTE_PGM_RSRC2:TGID_Y_EN: 1
; COMPUTE_PGM_RSRC2:TGID_Z_EN: 0
; COMPUTE_PGM_RSRC2:TIDIG_COMP_CNT: 0
; COMPUTE_PGM_RSRC3_GFX90A:ACCUM_OFFSET: 34
; COMPUTE_PGM_RSRC3_GFX90A:TG_SPLIT: 0
	.section	.text._ZN12_GLOBAL__N_139chunk_gated_delta_rule_fwd_h_hip_kernelILi32ELb1ELb1ELb1ELb1ELb1ELb1ELb0ELb0EEEvPK12hip_bfloat16S3_S3_PKfS5_PKvPS1_S8_PvPKiSB_iiiiilll,"axG",@progbits,_ZN12_GLOBAL__N_139chunk_gated_delta_rule_fwd_h_hip_kernelILi32ELb1ELb1ELb1ELb1ELb1ELb1ELb0ELb0EEEvPK12hip_bfloat16S3_S3_PKfS5_PKvPS1_S8_PvPKiSB_iiiiilll,comdat
	.globl	_ZN12_GLOBAL__N_139chunk_gated_delta_rule_fwd_h_hip_kernelILi32ELb1ELb1ELb1ELb1ELb1ELb1ELb0ELb0EEEvPK12hip_bfloat16S3_S3_PKfS5_PKvPS1_S8_PvPKiSB_iiiiilll ; -- Begin function _ZN12_GLOBAL__N_139chunk_gated_delta_rule_fwd_h_hip_kernelILi32ELb1ELb1ELb1ELb1ELb1ELb1ELb0ELb0EEEvPK12hip_bfloat16S3_S3_PKfS5_PKvPS1_S8_PvPKiSB_iiiiilll
	.p2align	8
	.type	_ZN12_GLOBAL__N_139chunk_gated_delta_rule_fwd_h_hip_kernelILi32ELb1ELb1ELb1ELb1ELb1ELb1ELb0ELb0EEEvPK12hip_bfloat16S3_S3_PKfS5_PKvPS1_S8_PvPKiSB_iiiiilll,@function
_ZN12_GLOBAL__N_139chunk_gated_delta_rule_fwd_h_hip_kernelILi32ELb1ELb1ELb1ELb1ELb1ELb1ELb0ELb0EEEvPK12hip_bfloat16S3_S3_PKfS5_PKvPS1_S8_PvPKiSB_iiiiilll: ; @_ZN12_GLOBAL__N_139chunk_gated_delta_rule_fwd_h_hip_kernelILi32ELb1ELb1ELb1ELb1ELb1ELb1ELb0ELb0EEEvPK12hip_bfloat16S3_S3_PKfS5_PKvPS1_S8_PvPKiSB_iiiiilll
; %bb.0:
	s_load_dwordx4 s[28:31], s[0:1], 0x5c
	s_load_dwordx4 s[4:7], s[0:1], 0x70
	s_abs_i32 s11, s3
	s_ashr_i32 s10, s3, 31
	s_load_dwordx4 s[24:27], s[0:1], 0x40
	s_load_dwordx2 s[8:9], s[0:1], 0x50
	s_waitcnt lgkmcnt(0)
	s_abs_i32 s14, s29
	v_cvt_f32_u32_e32 v1, s14
	s_sub_i32 s12, 0, s14
	s_ashr_i32 s15, s29, 31
	s_xor_b32 s10, s10, s15
	v_rcp_iflag_f32_e32 v1, v1
	v_and_b32_e32 v79, 15, v0
	v_bfe_u32 v78, v0, 4, 2
	v_mov_b32_e32 v63, 0
	v_mul_f32_e32 v1, 0x4f7ffffe, v1
	v_cvt_u32_f32_e32 v1, v1
	v_lshlrev_b32_e32 v80, 3, v0
	v_readfirstlane_b32 s13, v1
	s_mul_i32 s12, s12, s13
	s_mul_hi_u32 s12, s13, s12
	s_add_i32 s13, s13, s12
	s_mul_hi_u32 s12, s11, s13
	s_mul_i32 s13, s12, s14
	s_sub_i32 s11, s11, s13
	s_add_i32 s16, s12, 1
	s_sub_i32 s13, s11, s14
	s_cmp_ge_u32 s11, s14
	s_cselect_b32 s12, s16, s12
	s_cselect_b32 s11, s13, s11
	s_add_i32 s13, s12, 1
	s_cmp_ge_u32 s11, s14
	s_cselect_b32 s11, s13, s12
	s_xor_b32 s11, s11, s10
	s_sub_i32 s36, s11, s10
	s_mul_i32 s16, s36, s29
	s_ashr_i32 s37, s36, 31
	s_sub_i32 s33, s3, s16
	s_lshl_b64 s[10:11], s[36:37], 2
	s_add_u32 s12, s26, s10
	s_addc_u32 s13, s27, s11
	s_add_u32 s38, s8, s10
	s_addc_u32 s39, s9, s11
	s_abs_i32 s3, s30
	v_cvt_f32_u32_e32 v1, s3
	s_load_dwordx2 s[34:35], s[12:13], 0x0
	s_sub_i32 s9, 0, s3
	s_lshl_b32 s2, s2, 5
	v_rcp_iflag_f32_e32 v1, v1
	v_or_b32_e32 v68, s2, v79
	s_waitcnt lgkmcnt(0)
	s_sub_i32 s56, s35, s34
	s_ashr_i32 s8, s56, 31
	v_mul_f32_e32 v1, 0x4f7ffffe, v1
	v_cvt_u32_f32_e32 v1, v1
	s_lshr_b32 s8, s8, 26
	s_add_i32 s8, s56, s8
	s_ashr_i32 s55, s8, 6
	v_readfirstlane_b32 s10, v1
	s_mul_i32 s9, s9, s10
	s_mul_hi_u32 s9, s10, s9
	s_add_i32 s10, s10, s9
	s_mul_hi_u32 s9, s14, s10
	s_mul_i32 s10, s9, s3
	s_ashr_i32 s8, s30, 31
	s_sub_i32 s10, s14, s10
	s_xor_b32 s8, s15, s8
	s_add_i32 s11, s9, 1
	s_sub_i32 s12, s10, s3
	s_cmp_ge_u32 s10, s3
	s_cselect_b32 s9, s11, s9
	s_cselect_b32 s10, s12, s10
	s_add_i32 s11, s9, 1
	s_cmp_ge_u32 s10, s3
	s_cselect_b32 s3, s11, s9
	s_xor_b32 s3, s3, s8
	s_sub_i32 s3, s3, s8
	s_abs_i32 s17, s3
	v_cvt_f32_u32_e32 v1, s17
	s_sub_i32 s19, 0, s17
	s_abs_i32 s18, s33
	s_xor_b32 s3, s33, s3
	v_rcp_iflag_f32_e32 v2, v1
	s_ashr_i32 s3, s3, 31
	s_load_dwordx8 s[8:15], s[0:1], 0x20
	v_lshrrev_b32_e32 v1, 6, v0
	v_mul_f32_e32 v2, 0x4f7ffffe, v2
	v_cvt_u32_f32_e32 v2, v2
	v_lshlrev_b32_e32 v61, 4, v1
	v_lshlrev_b32_e32 v66, 7, v68
	v_lshl_or_b32 v82, v78, 2, v61
	v_readfirstlane_b32 s20, v2
	s_mul_i32 s19, s19, s20
	s_mul_hi_u32 s19, s20, s19
	s_add_i32 s20, s20, s19
	s_mul_hi_u32 s19, s18, s20
	s_mul_i32 s20, s19, s17
	s_sub_i32 s18, s18, s20
	s_add_i32 s20, s19, 1
	s_sub_i32 s21, s18, s17
	s_cmp_ge_u32 s18, s17
	s_cselect_b32 s19, s20, s19
	s_cselect_b32 s18, s21, s18
	s_add_i32 s20, s19, 1
	s_cmp_ge_u32 s18, s17
	s_cselect_b32 s17, s20, s19
	s_xor_b32 s17, s17, s3
	s_sub_i32 s57, s17, s3
	s_ashr_i32 s48, s33, 31
	s_mul_hi_i32 s3, s36, s29
	s_add_u32 s16, s16, s33
	s_addc_u32 s17, s3, s48
	s_lshl_b64 s[26:27], s[16:17], 16
	s_waitcnt lgkmcnt(0)
	s_add_u32 s10, s10, s26
	s_addc_u32 s11, s11, s27
	v_ashrrev_i32_e32 v67, 31, v66
	v_lshl_add_u64 v[2:3], v[66:67], 2, s[10:11]
	v_lshlrev_b32_e32 v62, 2, v82
	v_or_b32_e32 v64, 0x800, v66
	v_lshl_add_u64 v[10:11], v[2:3], 0, v[62:63]
	v_ashrrev_i32_e32 v65, 31, v64
	global_load_dwordx4 v[2:5], v[10:11], off
	global_load_dwordx4 v[6:9], v[10:11], off offset:256
	v_lshl_add_u64 v[10:11], v[64:65], 2, s[10:11]
	v_lshl_add_u64 v[10:11], v[10:11], 0, v[62:63]
	global_load_dwordx4 v[18:21], v[10:11], off
	global_load_dwordx4 v[22:25], v[10:11], off offset:256
	s_load_dwordx8 s[16:23], s[0:1], 0x0
	s_load_dwordx2 s[10:11], s[0:1], 0x80
	s_load_dword s58, s[38:39], 0x0
	v_and_b32_e32 v63, 63, v0
	v_or_b32_e32 v83, 64, v82
	s_cmp_lt_i32 s56, 64
	s_mul_hi_i32 s59, s33, s28
	s_mul_i32 s60, s33, s28
	v_lshrrev_b32_e32 v81, 3, v63
	s_mul_i32 s49, s36, s5
	s_mul_hi_u32 s51, s36, s4
	s_mul_i32 s52, s37, s4
	s_mul_i32 s40, s36, s4
	;; [unrolled: 1-line block ×3, first 2 shown]
	s_mul_hi_u32 s53, s33, s6
	s_mul_i32 s54, s48, s6
	s_mul_i32 s42, s33, s6
	s_cbranch_scc1 .LBB401_3
; %bb.1:
	s_ashr_i32 s1, s34, 31
	s_add_u32 s0, s60, s34
	s_addc_u32 s1, s59, s1
	s_lshl_b64 s[0:1], s[0:1], 8
	v_and_b32_e32 v85, 56, v80
	s_waitcnt lgkmcnt(0)
	s_add_u32 s4, s18, s0
	v_lshl_or_b32 v84, v1, 3, v81
	v_lshlrev_b32_e32 v10, 1, v85
	s_addc_u32 s0, s19, s1
	v_lshl_or_b32 v86, v84, 8, v10
	s_and_b32 s5, s0, 0xffff
	s_mov_b32 s7, 0x20000
	s_movk_i32 s6, 0x4000
	s_movk_i32 s0, 0x80
	v_or_b32_e32 v87, 0x2000, v86
	buffer_load_dwordx4 v[12:15], v86, s[4:7], 0 offen
	buffer_load_dwordx4 v[26:29], v86, s[4:7], s0 offen
	;; [unrolled: 1-line block ×4, first 2 shown]
	v_lshlrev_b32_e32 v11, 3, v84
	v_and_or_b32 v17, v0, 7, v11
	v_and_b32_e32 v11, 0x78, v11
	v_lshlrev_b32_e32 v17, 4, v17
	v_xor_b32_e32 v88, v17, v11
	v_mul_lo_u32 v16, v84, s31
	v_or_b32_e32 v89, 0x1000, v88
	v_xor_b32_e32 v11, 8, v88
	s_cmpk_eq_i32 s31, 0x80
	s_mov_b32 s61, s34
	v_xor_b32_e32 v17, 8, v89
	s_cselect_b64 s[0:1], -1, 0
	s_cmpk_lg_i32 s31, 0x80
	s_waitcnt vmcnt(3)
	ds_write_b64 v88, v[12:13] offset:24576
	ds_write_b64 v11, v[14:15] offset:24576
	s_waitcnt vmcnt(2)
	ds_write_b64 v88, v[26:27] offset:32768
	ds_write_b64 v11, v[28:29] offset:32768
	;; [unrolled: 3-line block ×4, first 2 shown]
	v_lshl_add_u32 v11, v16, 1, v85
	s_cbranch_scc0 .LBB401_4
; %bb.2:
	v_lshlrev_b32_e32 v13, 1, v11
	v_add_lshl_u32 v12, v11, s31, 1
	s_lshl_b32 s6, s31, 7
	v_lshl_or_b32 v10, v84, 9, v10
	s_cbranch_execz .LBB401_5
	s_branch .LBB401_6
.LBB401_3:
	s_waitcnt vmcnt(0)
	v_mov_b32_e32 v17, v25
	v_mov_b32_e32 v16, v24
	;; [unrolled: 1-line block ×5, first 2 shown]
	s_branch .LBB401_20
.LBB401_4:
                                        ; implicit-def: $vgpr12
                                        ; implicit-def: $vgpr13
                                        ; implicit-def: $sgpr6
	v_lshl_or_b32 v10, v84, 9, v10
.LBB401_5:
	v_or_b32_e32 v12, 0x100, v10
	s_movk_i32 s6, 0x4000
	v_mov_b32_e32 v13, v10
.LBB401_6:
	s_mul_i32 s4, s34, s30
	s_ashr_i32 s62, s57, 31
	s_mul_hi_i32 s3, s34, s30
	s_add_u32 s4, s4, s57
	s_addc_u32 s5, s3, s62
	s_lshl_b64 s[4:5], s[4:5], 8
	s_add_u32 s4, s16, s4
	s_addc_u32 s3, s17, s5
	s_and_b32 s5, s3, 0xffff
	s_movk_i32 s63, 0x80
	buffer_load_dwordx4 v[14:17], v13, s[4:7], 0 offen
	buffer_load_dwordx4 v[26:29], v13, s[4:7], s63 offen
	;; [unrolled: 1-line block ×4, first 2 shown]
	v_and_b32_e32 v12, 6, v0
	v_lshlrev_b32_e32 v39, 6, v82
	v_or_b32_e32 v41, 16, v79
	v_xor_b32_e32 v42, v84, v12
	v_and_b32_e32 v13, 1, v0
	v_lshl_or_b32 v45, v79, 3, v39
	v_lshl_or_b32 v39, v41, 3, v39
	v_lshlrev_b32_e32 v42, 2, v42
	v_lshlrev_b32_e32 v38, 2, v79
	v_or_b32_e32 v92, 0xa000, v39
	v_or_b32_e32 v93, 0xb000, v39
	v_xor_b32_e32 v39, 0x440, v42
	v_cmp_eq_u32_e32 vcc, 0, v13
	s_add_i32 s3, s51, s49
	v_xor_b32_e32 v43, v82, v38
	v_xor_b32_e32 v44, v83, v38
	v_cndmask_b32_e32 v13, v39, v42, vcc
	s_add_i32 s4, s53, s50
	s_add_i32 s41, s3, s52
	s_mov_b32 s64, 0x1000504
	v_lshlrev_b32_e32 v40, 8, v79
	v_lshlrev_b32_e32 v41, 8, v41
	;; [unrolled: 1-line block ×4, first 2 shown]
	v_lshl_or_b32 v12, v12, 10, v13
	s_add_i32 s43, s4, s54
	s_lshl_b64 s[4:5], s[40:41], 2
	s_mov_b32 s65, 0x3020706
	v_or_b32_e32 v90, 0xa000, v45
	v_or_b32_e32 v91, 0xb000, v45
	;; [unrolled: 1-line block ×5, first 2 shown]
	v_xor_b32_e32 v13, 8, v12
	v_xor_b32_e32 v40, 24, v12
	;; [unrolled: 1-line block ×4, first 2 shown]
	s_add_u32 s3, s22, s4
	v_or_b32_e32 v96, v41, v43
	v_xor_b32_e32 v39, 16, v12
	v_xor_b32_e32 v41, 32, v12
	;; [unrolled: 1-line block ×3, first 2 shown]
	v_add_u32_e32 v13, 0x80, v13
	v_add_u32_e32 v40, 0x80, v40
	;; [unrolled: 1-line block ×4, first 2 shown]
	s_addc_u32 s6, s23, s5
	s_lshl_b64 s[4:5], s[42:43], 2
	s_add_u32 s44, s3, s4
	s_movk_i32 s3, 0xf8
	s_addc_u32 s45, s6, s5
	s_lshl_b32 s38, s31, 7
	s_movk_i32 s36, 0x100
	v_mov_b32_e32 v71, 0
	v_lshlrev_b32_e32 v70, 4, v79
	v_cmp_gt_u32_e32 vcc, s36, v0
	v_ashrrev_i32_e32 v69, 31, v68
	s_mov_b32 s66, 0
	s_movk_i32 s41, 0x1000
	s_movk_i32 s6, 0x4000
	s_waitcnt vmcnt(1)
	v_perm_b32 v45, v14, v30, s64
	s_waitcnt vmcnt(0)
	v_perm_b32 v46, v26, v34, s64
	v_perm_b32 v14, v14, v30, s65
	;; [unrolled: 1-line block ×15, first 2 shown]
	ds_write2st64_b32 v12, v45, v46 offset0:32 offset1:64
	ds_write2st64_b32 v13, v14, v26 offset0:32 offset1:64
	;; [unrolled: 1-line block ×8, first 2 shown]
	v_or_b32_e32 v12, v61, v79
	v_lshlrev_b32_e32 v12, 3, v12
	v_lshrrev_b32_e32 v15, 5, v63
	v_and_or_b32 v15, v12, s3, v15
	v_lshlrev_b32_e32 v15, 4, v15
	v_lshlrev_b32_e32 v17, 11, v1
	v_and_b32_e32 v12, 0x78, v12
	v_or_b32_e32 v28, 32, v15
	v_and_b32_e32 v14, 0x1000, v17
	v_lshrrev_b32_e32 v26, 1, v63
	v_xor_b32_e32 v28, v28, v12
	v_xor_b32_e32 v16, v15, v12
	v_and_b32_e32 v26, 8, v26
	v_or_b32_e32 v28, v28, v14
	v_or_b32_e32 v16, v16, v14
	v_lshlrev_b32_e32 v27, 7, v78
	v_xor_b32_e32 v100, v28, v26
	v_or_b32_e32 v28, 64, v15
	v_or_b32_e32 v15, 0x60, v15
	s_ashr_i32 s3, s2, 31
	v_xor_b32_e32 v98, v16, v26
	v_or_b32_e32 v16, v27, v38
	v_xor_b32_e32 v28, v28, v12
	v_xor_b32_e32 v12, v15, v12
	s_lshl_b64 s[4:5], s[2:3], 8
	v_lshlrev_b32_e32 v16, 1, v16
	v_or_b32_e32 v28, v28, v14
	v_or_b32_e32 v12, v12, v14
	s_add_u32 s4, s12, s4
	v_lshlrev_b32_e32 v14, 1, v79
	v_or_b32_e32 v99, 0xa000, v16
	v_or_b32_e32 v101, 0xa080, v16
	;; [unrolled: 1-line block ×4, first 2 shown]
	v_lshrrev_b32_e32 v16, 4, v0
	s_addc_u32 s5, s13, s5
	v_or_b32_e32 v15, 1, v14
	v_mov_b32_e32 v33, 0x4000
	v_mov_b32_e32 v34, 0x2000
	v_lshrrev_b32_e32 v35, 1, v0
	v_xor_b32_e32 v102, v28, v26
	v_xor_b32_e32 v103, v12, v26
	;; [unrolled: 1-line block ×4, first 2 shown]
	v_lshl_add_u64 v[14:15], s[4:5], 0, v[70:71]
	v_lshlrev_b32_e32 v70, 8, v16
	v_cndmask_b32_e32 v33, v33, v34, vcc
	v_lshlrev_b32_e32 v34, 3, v1
	v_and_b32_e32 v35, 24, v35
	v_lshl_or_b32 v106, v26, 3, v70
	v_and_b32_e32 v26, 8, v0
	v_xor_b32_e32 v36, v34, v35
	v_or_b32_e32 v37, 0x440, v36
	v_cmp_eq_u32_e32 vcc, 0, v26
	v_and_b32_e32 v16, 7, v0
	v_lshl_or_b32 v107, v30, 3, v70
	v_cndmask_b32_e32 v26, v37, v36, vcc
	v_lshlrev_b32_e32 v30, 3, v16
	v_lshlrev_b32_e32 v32, 2, v0
	v_or_b32_e32 v26, v26, v17
	v_xor_b32_e32 v36, v26, v30
	v_and_or_b32 v26, v32, 60, v27
	v_mov_b32_e32 v27, 0xb000
	v_lshl_or_b32 v108, v26, 1, v27
	v_or_b32_e32 v26, 32, v35
	v_xor_b32_e32 v26, v34, v26
	v_or_b32_e32 v27, 0x440, v26
	v_cndmask_b32_e32 v26, v27, v26, vcc
	v_or_b32_e32 v26, v26, v17
	v_xor_b32_e32 v27, v26, v30
	v_or_b32_e32 v26, 64, v35
	v_xor_b32_e32 v26, v34, v26
	v_xor_b32_e32 v38, 0x440, v26
	v_cndmask_b32_e32 v26, v38, v26, vcc
	v_or_b32_e32 v26, v26, v17
	v_xor_b32_e32 v38, v26, v30
	v_or_b32_e32 v26, 0x60, v35
	v_xor_b32_e32 v26, v34, v26
	v_xor_b32_e32 v34, 0x440, v26
	v_cndmask_b32_e32 v26, v34, v26, vcc
	v_lshrrev_b32_e32 v13, 2, v63
	v_or_b32_e32 v17, v26, v17
	v_and_b32_e32 v13, 12, v13
	v_lshlrev_b32_e32 v28, 1, v11
	v_add_lshl_u32 v11, v11, s31, 1
	v_or_b32_e32 v29, 0x100, v10
	v_xor_b32_e32 v17, v17, v30
	v_lshlrev_b32_e32 v12, 7, v82
	v_lshlrev_b32_e32 v31, 7, v16
	v_or_b32_e32 v16, v13, v61
	v_add_u32_e32 v37, v33, v36
	v_add_u32_e32 v32, v33, v27
	;; [unrolled: 1-line block ×4, first 2 shown]
	v_or3_b32 v26, v61, v13, 64
	v_add_u32_e32 v13, 0x4000, v36
	v_add_u32_e32 v27, 0x4000, v27
	;; [unrolled: 1-line block ×4, first 2 shown]
	v_cndmask_b32_e64 v109, v28, v10, s[0:1]
	v_cndmask_b32_e64 v110, v11, v29, s[0:1]
	v_lshlrev_b64 v[10:11], 1, v[68:69]
	v_lshl_add_u64 v[72:73], s[20:21], 0, v[10:11]
	v_lshl_add_u64 v[74:75], s[14:15], 0, v[10:11]
	;; [unrolled: 1-line block ×3, first 2 shown]
	s_mov_b32 s3, 0x7060302
	v_lshlrev_b32_e32 v70, 1, v12
	v_lshlrev_b32_e32 v69, 2, v16
	v_add_u32_e32 v111, v37, v31
	v_add_u32_e32 v112, v32, v31
	;; [unrolled: 1-line block ×4, first 2 shown]
	v_lshlrev_b32_e32 v115, 2, v26
	v_add_u32_e32 v116, v13, v31
	v_add_u32_e32 v117, v27, v31
	v_add_u32_e32 v118, v33, v31
	v_add_u32_e32 v119, v17, v31
	s_waitcnt lgkmcnt(0)
	s_barrier
.LBB401_7:                              ; =>This Inner Loop Header: Depth=1
	s_add_i32 s43, s66, 1
	s_cmp_lt_i32 s43, s55
	s_mov_b64 s[36:37], 0
	s_cselect_b64 s[46:47], -1, 0
	s_cmp_ge_i32 s43, s55
	s_mov_b64 s[4:5], 0
	s_cbranch_scc1 .LBB401_9
; %bb.8:                                ;   in Loop: Header=BB401_7 Depth=1
	s_add_i32 s0, s61, 64
	s_ashr_i32 s1, s0, 31
	s_add_u32 s0, s60, s0
	s_addc_u32 s1, s59, s1
	s_lshl_b64 s[0:1], s[0:1], 8
	s_add_u32 s4, s18, s0
	s_addc_u32 s5, s19, s1
.LBB401_9:                              ;   in Loop: Header=BB401_7 Depth=1
	v_cndmask_b32_e64 v10, 0, 1, s[46:47]
	v_cmp_ne_u32_e64 s[0:1], 1, v10
	s_andn2_b64 vcc, exec, s[46:47]
	s_cbranch_vccnz .LBB401_11
; %bb.10:                               ;   in Loop: Header=BB401_7 Depth=1
	s_add_i32 s36, s61, 64
	s_mul_hi_i32 s37, s36, s30
	s_mul_i32 s36, s36, s30
	s_add_u32 s36, s36, s57
	s_addc_u32 s37, s37, s62
	s_lshl_b64 s[36:37], s[36:37], 8
	s_add_u32 s36, s16, s36
	s_addc_u32 s37, s17, s37
.LBB401_11:                             ;   in Loop: Header=BB401_7 Depth=1
	v_perm_b32 v11, v5, v4, s3
	v_perm_b32 v10, v3, v2, s3
	;; [unrolled: 1-line block ×4, first 2 shown]
	ds_write_b64 v90, v[10:11]
	ds_write_b64 v91, v[12:13]
	;; [unrolled: 1-line block ×4, first 2 shown]
	v_perm_b32 v11, v21, v20, s3
	v_perm_b32 v10, v19, v18, s3
	;; [unrolled: 1-line block ×4, first 2 shown]
	ds_write_b64 v92, v[10:11]
	ds_write_b64 v93, v[12:13]
	;; [unrolled: 1-line block ×4, first 2 shown]
	s_waitcnt lgkmcnt(0)
	s_barrier
	ds_read_b64 v[14:15], v98 offset:24576
	ds_read2_b64 v[10:13], v99 offset1:16
	ds_read_b64 v[26:27], v101 offset:3072
	ds_read_b64 v[28:29], v99 offset:3072
	;; [unrolled: 1-line block ×3, first 2 shown]
	s_waitcnt lgkmcnt(3)
	v_mfma_f32_16x16x16_bf16 a[0:3], v[14:15], v[10:11], 0
	s_add_i32 s67, s61, 63
	s_ashr_i32 s39, s67, 31
	s_mul_i32 s46, s67, s11
	v_mfma_f32_16x16x16_bf16 a[4:7], v[14:15], v[12:13], 0
	ds_read2st64_b64 v[10:13], v99 offset0:2 offset1:4
	s_mul_hi_u32 s47, s67, s10
	s_add_i32 s46, s47, s46
	s_waitcnt lgkmcnt(0)
	v_mfma_f32_16x16x16_bf16 a[0:3], v[30:31], v[10:11], a[0:3]
	ds_read2st64_b64 v[14:17], v101 offset0:2 offset1:4
	ds_read_b64 v[10:11], v102 offset:24576
	s_mul_i32 s39, s39, s10
	s_add_i32 s47, s46, s39
	s_waitcnt lgkmcnt(1)
	v_mfma_f32_16x16x16_bf16 a[4:7], v[30:31], v[14:15], a[4:7]
	ds_read_b64 v[14:15], v103 offset:24576
	s_mul_i32 s46, s67, s10
	s_lshl_b64 s[46:47], s[46:47], 2
	s_waitcnt lgkmcnt(1)
	v_mfma_f32_16x16x16_bf16 a[0:3], v[10:11], v[12:13], a[0:3]
	s_add_u32 s46, s44, s46
	s_addc_u32 s47, s45, s47
	s_and_b64 vcc, exec, s[0:1]
	v_mfma_f32_16x16x16_bf16 a[8:11], v[10:11], v[16:17], a[4:7]
	v_mov_b32_e32 v122, 0
	v_mov_b32_e32 v121, 0
	;; [unrolled: 1-line block ×3, first 2 shown]
	s_waitcnt lgkmcnt(0)
	v_mfma_f32_16x16x16_bf16 a[4:7], v[14:15], v[28:29], a[0:3]
	v_mov_b32_e32 v10, 0
	v_mov_b32_e32 v11, 0
	;; [unrolled: 1-line block ×3, first 2 shown]
	v_mfma_f32_16x16x16_bf16 a[0:3], v[14:15], v[26:27], a[8:11]
	v_mov_b32_e32 v13, 0
	v_mov_b32_e32 v14, 0
	;; [unrolled: 1-line block ×13, first 2 shown]
	s_cbranch_vccnz .LBB401_13
; %bb.12:                               ;   in Loop: Header=BB401_7 Depth=1
	s_and_b32 s5, s5, 0xffff
	buffer_load_dwordx4 v[30:33], v86, s[4:7], 0 offen
	buffer_load_dwordx4 v[26:29], v86, s[4:7], s63 offen
	;; [unrolled: 1-line block ×4, first 2 shown]
	v_mov_b32_e32 v121, v88
	v_mov_b32_e32 v120, v89
.LBB401_13:                             ;   in Loop: Header=BB401_7 Depth=1
	ds_read_b64 v[42:43], v98 offset:32768
	ds_read2_b64 v[34:37], v104 offset1:16
	ds_read_b64 v[44:45], v100 offset:32768
	ds_read_b64 v[46:47], v102 offset:32768
	;; [unrolled: 1-line block ×3, first 2 shown]
	ds_read2st64_b64 v[38:41], v104 offset0:2 offset1:4
	v_add_u32_e32 v50, s61, v82
	s_waitcnt lgkmcnt(4)
	v_mfma_f32_16x16x16_bf16 a[4:7], v[42:43], v[34:35], a[4:7]
	v_ashrrev_i32_e32 v34, 31, v50
	v_mov_b32_e32 v123, 0
	v_mfma_f32_16x16x16_bf16 a[0:3], v[42:43], v[36:37], a[0:3]
	v_mul_lo_u32 v36, v50, s11
	v_mul_lo_u32 v37, v34, s10
	v_mad_u64_u32 v[34:35], s[4:5], v50, s10, 0
	v_add3_u32 v35, v35, v36, v37
	v_add_u32_e32 v36, 1, v50
	v_ashrrev_i32_e32 v37, 31, v36
	s_waitcnt lgkmcnt(0)
	v_mfma_f32_16x16x16_bf16 a[4:7], v[44:45], v[38:39], a[4:7]
	v_mul_lo_u32 v38, v37, s10
	v_mul_lo_u32 v39, v36, s11
	v_mad_u64_u32 v[36:37], s[4:5], v36, s10, 0
	v_add3_u32 v37, v37, v39, v38
	v_add_u32_e32 v38, 2, v50
	v_ashrrev_i32_e32 v39, 31, v38
	v_mul_lo_u32 v42, v39, s10
	v_mul_lo_u32 v43, v38, s11
	v_mad_u64_u32 v[38:39], s[4:5], v38, s10, 0
	v_add3_u32 v39, v39, v43, v42
	v_add_u32_e32 v42, 3, v50
	v_ashrrev_i32_e32 v43, 31, v42
	v_mul_lo_u32 v50, v43, s10
	v_mul_lo_u32 v51, v42, s11
	v_mad_u64_u32 v[42:43], s[4:5], v42, s10, 0
	s_ashr_i32 s5, s61, 31
	v_add3_u32 v43, v43, v51, v50
	s_add_u32 s4, s60, s61
	v_lshl_add_u64 v[34:35], v[34:35], 2, s[44:45]
	v_lshl_add_u64 v[42:43], v[42:43], 2, s[44:45]
	s_addc_u32 s5, s59, s5
	v_lshl_add_u64 v[36:37], v[36:37], 2, s[44:45]
	v_lshl_add_u64 v[38:39], v[38:39], 2, s[44:45]
	global_load_dword v50, v[34:35], off
	global_load_dword v51, v[36:37], off
	;; [unrolled: 1-line block ×3, first 2 shown]
	s_nop 0
	global_load_dword v43, v[42:43], off
	s_lshl_b64 s[68:69], s[4:5], 8
	v_lshl_add_u64 v[34:35], v[72:73], 0, s[68:69]
	v_lshl_add_u64 v[38:39], v[34:35], 0, v[70:71]
	global_load_ushort v53, v[38:39], off offset:256
	global_load_ushort v54, v[38:39], off
	global_load_ushort v55, v[38:39], off offset:768
	global_load_ushort v56, v[38:39], off offset:512
	ds_read2st64_b64 v[34:37], v105 offset0:2 offset1:4
	global_load_ushort v57, v[38:39], off offset:800
	global_load_ushort v58, v[38:39], off offset:544
	;; [unrolled: 1-line block ×4, first 2 shown]
	s_waitcnt lgkmcnt(0)
	v_mfma_f32_16x16x16_bf16 a[0:3], v[44:45], v[34:35], a[0:3]
	s_and_b64 vcc, exec, s[0:1]
	s_waitcnt vmcnt(7)
	v_lshlrev_b32_e32 v45, 16, v53
	v_mfma_f32_16x16x16_bf16 a[4:7], v[46:47], v[40:41], a[4:7]
	s_waitcnt vmcnt(6)
	v_lshlrev_b32_e32 v44, 16, v54
	v_mfma_f32_16x16x16_bf16 a[0:3], v[46:47], v[36:37], a[0:3]
	ds_read_b64 v[34:35], v104 offset:3072
	ds_read_b64 v[36:37], v105 offset:3072
	s_load_dword s4, s[46:47], 0x0
	s_waitcnt vmcnt(5)
	v_lshlrev_b32_e32 v47, 16, v55
	s_waitcnt lgkmcnt(0)
	v_mfma_f32_16x16x16_bf16 a[4:7], v[48:49], v[34:35], a[4:7]
	v_lshl_add_u64 v[34:35], v[74:75], 0, s[68:69]
	v_sub_f32_e32 v42, s4, v50
	v_sub_f32_e32 v46, s4, v51
	v_mfma_f32_16x16x16_bf16 a[0:3], v[48:49], v[36:37], a[0:3]
	v_sub_f32_e32 v48, s4, v52
	v_sub_f32_e32 v49, s4, v43
	v_exp_f32_e32 v42, v42
	v_exp_f32_e32 v43, v46
	;; [unrolled: 1-line block ×4, first 2 shown]
	v_accvgpr_read_b32 v41, a5
	v_accvgpr_read_b32 v37, a7
	;; [unrolled: 1-line block ×4, first 2 shown]
	s_waitcnt vmcnt(4)
	v_lshlrev_b32_e32 v46, 16, v56
	v_lshl_add_u64 v[34:35], v[34:35], 0, v[70:71]
	v_pk_add_f32 v[40:41], v[44:45], v[40:41] neg_lo:[0,1] neg_hi:[0,1]
	v_pk_add_f32 v[36:37], v[46:47], v[36:37] neg_lo:[0,1] neg_hi:[0,1]
	global_store_short_d16_hi v[34:35], v40, off
	global_store_short_d16_hi v[34:35], v41, off offset:256
	global_store_short_d16_hi v[34:35], v36, off offset:512
	global_store_short_d16_hi v[34:35], v37, off offset:768
	v_pk_mul_f32 v[40:41], v[42:43], v[40:41]
	v_pk_mul_f32 v[36:37], v[48:49], v[36:37]
	v_accvgpr_read_b32 v45, a1
	v_perm_b32 v40, v41, v40, s3
	v_perm_b32 v41, v37, v36, s3
	s_waitcnt vmcnt(5)
	v_lshlrev_b32_e32 v37, 16, v59
	s_waitcnt vmcnt(4)
	v_lshlrev_b32_e32 v36, 16, v60
	v_accvgpr_read_b32 v44, a0
	v_accvgpr_read_b32 v39, a3
	;; [unrolled: 1-line block ×3, first 2 shown]
	v_pk_add_f32 v[36:37], v[36:37], v[44:45] neg_lo:[0,1] neg_hi:[0,1]
	v_lshlrev_b32_e32 v45, 16, v57
	v_lshlrev_b32_e32 v44, 16, v58
	v_pk_add_f32 v[38:39], v[44:45], v[38:39] neg_lo:[0,1] neg_hi:[0,1]
	global_store_short_d16_hi v[34:35], v36, off offset:32
	global_store_short_d16_hi v[34:35], v37, off offset:288
	;; [unrolled: 1-line block ×4, first 2 shown]
	v_pk_mul_f32 v[34:35], v[42:43], v[36:37]
	v_pk_mul_f32 v[36:37], v[48:49], v[38:39]
	v_mov_b32_e32 v38, 0
	v_perm_b32 v37, v37, v36, s3
	v_perm_b32 v36, v35, v34, s3
	ds_write2_b64 v91, v[40:41], v[36:37] offset1:16
	v_mov_b32_e32 v34, 0
	v_mov_b32_e32 v35, 0
	;; [unrolled: 1-line block ×15, first 2 shown]
	s_cbranch_vccnz .LBB401_15
; %bb.14:                               ;   in Loop: Header=BB401_7 Depth=1
	s_and_b32 s37, s37, 0xffff
	s_mov_b32 s39, s7
	buffer_load_dwordx4 v[46:49], v109, s[36:39], 0 offen
	buffer_load_dwordx4 v[38:41], v109, s[36:39], s63 offen
	;; [unrolled: 1-line block ×4, first 2 shown]
	v_mov_b32_e32 v122, v85
	v_mov_b32_e32 v123, v84
.LBB401_15:                             ;   in Loop: Header=BB401_7 Depth=1
	s_waitcnt lgkmcnt(0)
	s_barrier
	ds_read_b64 v[54:55], v111
	ds_read_b64 v[128:129], v108
	;; [unrolled: 1-line block ×5, first 2 shown]
	ds_read_b64 v[142:143], v105 offset:3072
	ds_read2_b64 v[50:53], v104 offset0:16 offset1:128
	s_waitcnt lgkmcnt(5)
	v_mfma_f32_16x16x16_bf16 a[0:3], v[54:55], v[128:129], 0
	s_add_i32 s5, s58, s66
	s_mul_hi_i32 s37, s5, s29
	s_mul_i32 s5, s5, s29
	s_waitcnt lgkmcnt(0)
	v_mfma_f32_16x16x16_bf16 a[4:7], v[54:55], v[50:51], 0
	ds_read_b64 v[54:55], v116
	ds_read2st64_b64 v[56:59], v105 offset0:2 offset1:4
	s_add_u32 s36, s5, s33
	s_addc_u32 s37, s37, s48
	s_lshl_b64 s[36:37], s[36:37], 15
	s_mul_i32 s39, s67, s29
	s_mul_hi_i32 s5, s67, s29
	s_add_u32 s46, s39, s33
	s_waitcnt lgkmcnt(1)
	v_mfma_f32_16x16x16_bf16 a[8:11], v[54:55], v[128:129], 0
	s_addc_u32 s47, s5, s48
	ds_read2st64_b64 v[124:127], v104 offset0:4 offset1:6
	s_lshl_b64 s[46:47], s[46:47], 9
	v_mfma_f32_16x16x16_bf16 a[0:3], v[130:131], v[52:53], a[0:3]
	s_add_u32 s46, s8, s46
	s_addc_u32 s47, s9, s47
	s_waitcnt lgkmcnt(1)
	v_mfma_f32_16x16x16_bf16 a[4:7], v[130:131], v[56:57], a[4:7]
	ds_read_b64 v[130:131], v117
	ds_read_b64 v[138:139], v118
	ds_read_b64 v[144:145], v119
	v_mfma_f32_16x16x16_bf16 a[12:15], v[54:55], v[50:51], 0
	s_waitcnt lgkmcnt(2)
	v_mfma_f32_16x16x16_bf16 a[8:11], v[130:131], v[52:53], a[8:11]
	global_load_dwordx4 v[50:53], v115, s[46:47]
	v_mfma_f32_16x16x16_bf16 a[12:15], v[130:131], v[56:57], a[12:15]
	global_load_dwordx4 v[54:57], v69, s[46:47]
	ds_read2st64_b64 v[128:131], v106 offset1:8
	s_waitcnt lgkmcnt(0)
	v_mov_b32_e32 v136, v128
	v_mfma_f32_16x16x16_bf16 a[0:3], v[132:133], v[124:125], a[0:3]
	v_mov_b32_e32 v137, v129
	v_mfma_f32_16x16x16_bf16 a[4:7], v[132:133], v[58:59], a[4:7]
	ds_read2st64_b64 v[132:135], v107 offset1:8
	v_mfma_f32_16x16x16_bf16 a[8:11], v[138:139], v[124:125], a[8:11]
	v_lshl_add_u64 v[124:125], v[76:77], 0, s[36:37]
	v_mfma_f32_16x16x16_bf16 a[16:19], v[138:139], v[58:59], a[12:15]
	v_add_co_u32_e32 v58, vcc, s41, v124
	s_waitcnt lgkmcnt(0)
	v_mov_b32_e32 v138, v132
	v_mfma_f32_16x16x16_bf16 a[0:3], v[140:141], v[126:127], a[0:3]
	v_mov_b32_e32 v139, v133
	v_mov_b32_e32 v132, v130
	;; [unrolled: 1-line block ×3, first 2 shown]
	v_mfma_f32_16x16x16_bf16 a[4:7], v[140:141], v[142:143], a[4:7]
	v_addc_co_u32_e32 v59, vcc, 0, v125, vcc
	global_store_dwordx4 v[58:59], v[132:135], off
	v_mfma_f32_16x16x16_bf16 a[12:15], v[144:145], v[126:127], a[8:11]
	s_and_b64 vcc, exec, s[0:1]
	global_store_dwordx4 v[124:125], v[136:139], off
	s_waitcnt vmcnt(3)
	v_mov_b32_e32 v60, v53
	v_mfma_f32_16x16x16_bf16 a[8:11], v[144:145], v[142:143], a[16:19]
	v_mov_b32_e32 v59, v52
	v_mov_b32_e32 v58, v51
	s_cbranch_vccnz .LBB401_17
; %bb.16:                               ;   in Loop: Header=BB401_7 Depth=1
	v_lshrrev_b32_e32 v51, 3, v122
	v_and_b32_e32 v51, 6, v51
	v_xor_b32_e32 v52, v51, v123
	v_lshlrev_b32_e32 v52, 2, v52
	v_and_b32_e32 v53, 8, v122
	v_xor_b32_e32 v122, 0x440, v52
	v_cmp_eq_u32_e32 vcc, 0, v53
	v_perm_b32 v53, v38, v34, s64
	s_nop 0
	v_cndmask_b32_e32 v52, v122, v52, vcc
	v_lshl_or_b32 v51, v51, 10, v52
	v_perm_b32 v52, v46, v42, s64
	s_barrier
	ds_write2st64_b32 v51, v52, v53 offset0:32 offset1:64
	v_xor_b32_e32 v52, 8, v51
	v_perm_b32 v42, v46, v42, s65
	v_perm_b32 v34, v38, v34, s65
	v_add_u32_e32 v38, 0x80, v52
	ds_write2st64_b32 v38, v42, v34 offset0:32 offset1:64
	v_xor_b32_e32 v34, 16, v51
	v_perm_b32 v38, v47, v43, s64
	v_perm_b32 v42, v39, v35, s64
	ds_write2st64_b32 v34, v38, v42 offset0:33 offset1:65
	v_xor_b32_e32 v34, 24, v51
	v_perm_b32 v38, v47, v43, s65
	v_perm_b32 v35, v39, v35, s65
	v_add_u32_e32 v34, 0x80, v34
	ds_write2st64_b32 v34, v38, v35 offset0:33 offset1:65
	v_xor_b32_e32 v34, 32, v51
	v_perm_b32 v35, v48, v44, s64
	v_perm_b32 v38, v40, v36, s64
	;; [unrolled: 9-line block ×3, first 2 shown]
	ds_write2st64_b32 v34, v35, v36 offset0:35 offset1:67
	v_xor_b32_e32 v34, 56, v51
	v_perm_b32 v35, v49, v45, s65
	v_perm_b32 v36, v41, v37, s65
	v_add_u32_e32 v34, 0x80, v34
	ds_write2st64_b32 v34, v35, v36 offset0:35 offset1:67
	ds_write_b64 v121, v[30:31] offset:24576
	v_xor_b32_e32 v30, 8, v121
	ds_write_b64 v30, v[32:33] offset:24576
	ds_write_b64 v121, v[26:27] offset:32768
	;; [unrolled: 1-line block ×4, first 2 shown]
	v_xor_b32_e32 v14, 8, v120
	ds_write_b64 v14, v[16:17] offset:24576
	ds_write_b64 v120, v[10:11] offset:32768
	;; [unrolled: 1-line block ×3, first 2 shown]
.LBB401_17:                             ;   in Loop: Header=BB401_7 Depth=1
	v_exp_f32_e32 v34, s4
	s_waitcnt vmcnt(2)
	v_exp_f32_e32 v36, v54
	v_exp_f32_e32 v37, v55
	;; [unrolled: 1-line block ×4, first 2 shown]
	v_accvgpr_read_b32 v29, a3
	v_accvgpr_read_b32 v27, a1
	;; [unrolled: 1-line block ×4, first 2 shown]
	v_pk_mul_f32 v[36:37], v[34:35], v[36:37] op_sel_hi:[0,1]
	v_accvgpr_read_b32 v28, a2
	v_accvgpr_read_b32 v11, a5
	;; [unrolled: 1-line block ×3, first 2 shown]
	v_pk_fma_f32 v[2:3], v[2:3], v[36:37], v[26:27]
	v_pk_mul_f32 v[26:27], v[34:35], v[38:39] op_sel_hi:[0,1]
	v_pk_fma_f32 v[4:5], v[4:5], v[26:27], v[28:29]
	v_fma_f32 v18, v18, v36, v10
	v_fma_f32 v19, v19, v37, v11
	v_exp_f32_e32 v10, v50
	v_exp_f32_e32 v11, v58
	;; [unrolled: 1-line block ×4, first 2 shown]
	v_accvgpr_read_b32 v12, a6
	v_accvgpr_read_b32 v33, a15
	;; [unrolled: 1-line block ×9, first 2 shown]
	v_fma_f32 v20, v20, v26, v12
	v_fmac_f32_e32 v13, v21, v27
	v_pk_mul_f32 v[10:11], v[34:35], v[10:11] op_sel_hi:[0,1]
	v_pk_mul_f32 v[26:27], v[34:35], v[28:29] op_sel_hi:[0,1]
	s_add_i32 s61, s61, 64
	v_pk_fma_f32 v[6:7], v[6:7], v[10:11], v[30:31]
	v_pk_fma_f32 v[8:9], v[8:9], v[26:27], v[32:33]
	v_fma_f32 v22, v22, v10, v14
	v_fma_f32 v23, v23, v11, v15
	;; [unrolled: 1-line block ×3, first 2 shown]
	s_cmp_eq_u32 s55, s43
	v_fmac_f32_e32 v17, v25, v27
	s_cbranch_scc1 .LBB401_19
; %bb.18:                               ;   in Loop: Header=BB401_7 Depth=1
	s_mov_b32 s66, s43
	v_mov_b32_e32 v21, v13
	v_mov_b32_e32 v25, v17
	s_branch .LBB401_7
.LBB401_19:
	v_mov_b32_e32 v16, v24
	v_mov_b32_e32 v15, v23
	;; [unrolled: 1-line block ×3, first 2 shown]
.LBB401_20:
	s_lshl_b32 s0, s55, 6
	s_sub_i32 s46, s56, s0
	v_mov_b32_e32 v12, v20
	v_mov_b32_e32 v11, v19
	;; [unrolled: 1-line block ×3, first 2 shown]
	s_cmp_gt_i32 s46, 0
	s_cbranch_scc0 .LBB401_85
; %bb.21:
	s_add_i32 s34, s0, s34
	s_ashr_i32 s3, s34, 31
	s_cmpk_lg_i32 s31, 0x80
	s_cselect_b64 s[38:39], -1, 0
	s_and_b64 vcc, exec, s[38:39]
	s_cbranch_vccz .LBB401_23
; %bb.22:
	s_mul_i32 s1, s34, s30
	s_ashr_i32 s4, s57, 31
	s_mul_hi_i32 s0, s34, s30
	s_add_u32 s44, s1, s57
	s_addc_u32 s45, s0, s4
	s_cbranch_execz .LBB401_24
	s_branch .LBB401_25
.LBB401_23:
                                        ; implicit-def: $sgpr44_sgpr45
.LBB401_24:
	s_mul_i32 s1, s57, s28
	s_mul_hi_i32 s0, s57, s28
	s_add_u32 s44, s1, s34
	s_addc_u32 s45, s0, s3
.LBB401_25:
	s_waitcnt lgkmcnt(0)
	s_add_i32 s4, s55, s58
	s_add_u32 s0, s60, s34
	v_lshlrev_b32_e32 v22, 5, v82
	v_lshlrev_b32_e32 v38, 2, v79
	s_addc_u32 s1, s59, s3
	s_mov_b32 s3, 0x7060302
	v_or_b32_e32 v25, v22, v38
	v_xor_b32_e32 v23, v82, v38
	v_perm_b32 v19, v5, v4, s3
	v_perm_b32 v18, v3, v2, s3
	;; [unrolled: 1-line block ×4, first 2 shown]
	v_lshlrev_b32_e32 v25, 1, v25
	v_xor_b32_e32 v24, v83, v38
	ds_write2st64_b64 v25, v[18:19], v[20:21] offset0:80 offset1:88
	v_lshlrev_b32_e32 v23, 1, v23
	v_lshlrev_b32_e32 v25, 8, v79
	s_lshl_b64 s[36:37], s[0:1], 8
	v_or_b32_e32 v26, v23, v25
	v_lshlrev_b32_e32 v24, 1, v24
	s_add_u32 s0, s18, s36
	ds_write_b64 v26, v[18:19]
	v_or_b32_e32 v18, v24, v25
	s_addc_u32 s1, s19, s37
	ds_write_b64 v18, v[20:21]
	v_perm_b32 v19, v13, v12, s3
	v_perm_b32 v18, v11, v10, s3
	;; [unrolled: 1-line block ×4, first 2 shown]
	v_or_b32_e32 v25, 16, v79
	s_mul_hi_i32 s3, s4, s29
	s_mul_i32 s4, s4, s29
	v_lshlrev_b32_e32 v35, 2, v25
	s_add_u32 s4, s4, s33
	v_or_b32_e32 v22, v22, v35
	s_addc_u32 s5, s3, s48
	v_lshlrev_b32_e32 v22, 1, v22
	s_ashr_i32 s3, s2, 31
	s_lshl_b64 s[4:5], s[4:5], 15
	ds_write2st64_b64 v22, v[18:19], v[20:21] offset0:80 offset1:88
	v_lshlrev_b32_e32 v22, 8, v25
	s_add_u32 s4, s12, s4
	v_or_b32_e32 v23, v23, v22
	s_addc_u32 s5, s13, s5
	s_lshl_b64 s[2:3], s[2:3], 8
	ds_write_b64 v23, v[18:19]
	v_or_b32_e32 v18, v24, v22
	s_add_u32 s2, s4, s2
	ds_write_b64 v18, v[20:21]
	v_lshrrev_b32_e32 v18, 4, v0
	s_addc_u32 s3, s5, s3
	v_lshlrev_b32_e32 v19, 1, v79
	v_lshlrev_b32_e32 v26, 4, v79
	v_mov_b32_e32 v27, 0
	v_or_b32_e32 v20, 1, v19
	v_xor_b32_e32 v19, v18, v19
	v_lshl_add_u64 v[28:29], s[2:3], 0, v[26:27]
	v_lshlrev_b32_e32 v26, 8, v18
	v_xor_b32_e32 v22, v20, v18
	v_lshl_or_b32 v18, v19, 3, v26
	s_waitcnt lgkmcnt(0)
	s_barrier
	ds_read2st64_b64 v[18:21], v18 offset1:8
	v_lshl_or_b32 v22, v22, 3, v26
	ds_read2st64_b64 v[22:25], v22 offset1:8
	v_lshl_add_u64 v[30:31], v[28:29], 0, v[26:27]
	s_movk_i32 s2, 0x1000
	s_waitcnt lgkmcnt(1)
	v_mov_b32_e32 v26, v18
	v_add_co_u32_e32 v18, vcc, s2, v30
	s_cmp_lg_u32 s46, 64
	v_mov_b32_e32 v27, v19
	v_addc_co_u32_e32 v19, vcc, 0, v31, vcc
	s_cselect_b64 s[18:19], -1, 0
	v_lshl_or_b32 v42, v1, 3, v81
	s_waitcnt lgkmcnt(0)
	v_mov_b32_e32 v28, v22
	v_mov_b32_e32 v29, v23
	;; [unrolled: 1-line block ×4, first 2 shown]
	s_mov_b32 s4, 0
	v_or_b32_e32 v36, 32, v42
	v_and_b32_e32 v34, 56, v80
	s_and_b64 vcc, exec, s[18:19]
	global_store_dwordx4 v[30:31], v[26:29], off
	global_store_dwordx4 v[18:19], v[22:25], off
	s_cbranch_vccz .LBB401_31
; %bb.26:
	s_mov_b32 s6, s4
	s_mov_b32 s7, s4
	;; [unrolled: 1-line block ×3, first 2 shown]
	v_mov_b64_e32 v[24:25], s[6:7]
	v_mov_b64_e32 v[22:23], s[4:5]
	;; [unrolled: 1-line block ×3, first 2 shown]
	v_cmp_gt_i32_e32 vcc, s46, v42
	v_mov_b64_e32 v[20:21], v[24:25]
	s_and_saveexec_b64 s[2:3], vcc
	s_cbranch_execz .LBB401_28
; %bb.27:
	v_lshlrev_b32_e32 v18, 8, v42
	v_mov_b32_e32 v19, 0
	v_lshl_add_u64 v[20:21], s[0:1], 0, v[18:19]
	v_lshlrev_b32_e32 v18, 1, v34
	v_lshl_add_u64 v[26:27], v[20:21], 0, v[18:19]
	global_load_dwordx4 v[22:25], v[26:27], off
	global_load_dwordx4 v[18:21], v[26:27], off offset:128
.LBB401_28:
	s_or_b64 exec, exec, s[2:3]
	s_mov_b32 s6, s4
	s_mov_b32 s7, s4
	;; [unrolled: 1-line block ×3, first 2 shown]
	v_mov_b64_e32 v[32:33], s[6:7]
	v_mov_b64_e32 v[30:31], s[4:5]
	;; [unrolled: 1-line block ×3, first 2 shown]
	v_cmp_gt_i32_e32 vcc, s46, v36
	v_lshlrev_b32_e32 v37, 7, v36
	v_mov_b64_e32 v[28:29], v[32:33]
	s_and_saveexec_b64 s[2:3], vcc
	s_cbranch_execz .LBB401_30
; %bb.29:
	v_lshlrev_b32_e32 v26, 1, v37
	v_mov_b32_e32 v27, 0
	v_lshl_add_u64 v[28:29], s[0:1], 0, v[26:27]
	v_lshlrev_b32_e32 v26, 1, v34
	v_lshl_add_u64 v[40:41], v[28:29], 0, v[26:27]
	global_load_dwordx4 v[30:33], v[40:41], off
	global_load_dwordx4 v[26:29], v[40:41], off offset:128
.LBB401_30:
	s_or_b64 exec, exec, s[2:3]
	v_lshrrev_b32_e32 v39, 3, v34
	v_lshlrev_b32_e32 v40, 3, v42
	v_or_b32_e32 v39, v40, v39
	v_lshlrev_b32_e32 v39, 4, v39
	v_and_b32_e32 v40, 0x78, v40
	v_xor_b32_e32 v39, v39, v40
	s_branch .LBB401_33
.LBB401_31:
                                        ; implicit-def: $vgpr39
                                        ; implicit-def: $vgpr37
                                        ; implicit-def: $vgpr22_vgpr23_vgpr24_vgpr25
                                        ; implicit-def: $vgpr18_vgpr19_vgpr20_vgpr21
                                        ; implicit-def: $vgpr30_vgpr31_vgpr32_vgpr33
                                        ; implicit-def: $vgpr26_vgpr27_vgpr28_vgpr29
	s_cbranch_execz .LBB401_33
; %bb.32:
	s_waitcnt vmcnt(0)
	v_lshlrev_b32_e32 v18, 1, v34
	v_lshl_or_b32 v37, v42, 8, v18
	s_and_b32 s1, s1, 0xffff
	s_mov_b32 s3, 0x20000
	s_movk_i32 s2, 0x4000
	v_lshl_or_b32 v39, v36, 8, v18
	s_movk_i32 s4, 0x80
	buffer_load_dwordx4 v[22:25], v37, s[0:3], 0 offen
	buffer_load_dwordx4 v[18:21], v37, s[0:3], s4 offen
	;; [unrolled: 1-line block ×4, first 2 shown]
	v_lshrrev_b32_e32 v37, 3, v34
	v_lshlrev_b32_e32 v39, 3, v42
	v_or_b32_e32 v37, v39, v37
	v_lshlrev_b32_e32 v37, 4, v37
	v_and_b32_e32 v39, 0x78, v39
	v_xor_b32_e32 v39, v37, v39
	v_lshlrev_b32_e32 v37, 7, v36
.LBB401_33:
	s_lshl_b64 s[0:1], s[44:45], 8
	s_add_u32 s4, s16, s0
	s_movk_i32 s0, 0x1000
	v_and_or_b32 v36, v37, s0, v39
	s_waitcnt vmcnt(1)
	ds_write_b64 v39, v[22:23] offset:24576
	v_xor_b32_e32 v22, 8, v39
	ds_write_b64 v22, v[24:25] offset:24576
	s_waitcnt vmcnt(0)
	ds_write_b64 v39, v[18:19] offset:32768
	ds_write_b64 v22, v[20:21] offset:32768
	;; [unrolled: 1-line block ×3, first 2 shown]
	v_xor_b32_e32 v18, 8, v36
	ds_write_b64 v18, v[32:33] offset:24576
	ds_write_b64 v36, v[26:27] offset:32768
	;; [unrolled: 1-line block ×3, first 2 shown]
	v_or_b32_e32 v18, v61, v79
	v_lshlrev_b32_e32 v18, 3, v18
	v_lshrrev_b32_e32 v19, 5, v63
	s_movk_i32 s2, 0xf8
	v_and_or_b32 v19, v18, s2, v19
	v_lshlrev_b32_e32 v23, 4, v19
	v_lshlrev_b32_e32 v39, 11, v1
	v_and_b32_e32 v24, 0x78, v18
	v_or_b32_e32 v26, 32, v23
	v_and_b32_e32 v22, 0x1000, v39
	v_lshrrev_b32_e32 v19, 1, v63
	v_xor_b32_e32 v26, v26, v24
	v_xor_b32_e32 v18, v23, v24
	v_and_b32_e32 v25, 8, v19
	v_or_b32_e32 v26, v26, v22
	v_or_b32_e32 v18, v18, v22
	v_xor_b32_e32 v44, v26, v25
	v_or_b32_e32 v26, 64, v23
	v_xor_b32_e32 v43, v18, v25
	v_xor_b32_e32 v26, v26, v24
	s_waitcnt lgkmcnt(0)
	s_barrier
	v_or_b32_e32 v28, v26, v22
	ds_read_b64 v[26:27], v43 offset:24576
	v_lshl_or_b32 v36, v78, 7, v38
	v_lshlrev_b32_e32 v40, 1, v36
	v_add_u32_e32 v18, 0xa000, v40
	ds_read2_b64 v[18:21], v18 offset1:16
	v_or_b32_e32 v23, 0x60, v23
	v_xor_b32_e32 v23, v23, v24
	s_waitcnt lgkmcnt(0)
	v_mfma_f32_16x16x16_bf16 a[0:3], v[26:27], v[18:19], 0
	v_or_b32_e32 v18, 64, v36
	v_or_b32_e32 v22, v23, v22
	v_lshlrev_b32_e32 v41, 1, v18
	v_xor_b32_e32 v45, v28, v25
	v_xor_b32_e32 v46, v22, v25
	ds_read_b64 v[28:29], v44 offset:24576
	ds_read_b64 v[30:31], v45 offset:24576
	;; [unrolled: 1-line block ×3, first 2 shown]
	v_mfma_f32_16x16x16_bf16 a[4:7], v[26:27], v[20:21], 0
	ds_read2st64_b64 v[18:21], v41 offset0:82 offset1:84
	ds_read2st64_b64 v[22:25], v40 offset0:82 offset1:84
	s_addc_u32 s5, s17, s1
	s_add_i32 s0, s51, s49
	s_add_i32 s16, s35, -1
	s_add_i32 s41, s0, s52
	s_add_i32 s0, s53, s50
	s_add_i32 s43, s0, s54
	s_ashr_i32 s0, s16, 31
	s_mul_i32 s1, s16, s11
	s_mul_hi_u32 s2, s16, s10
	s_add_i32 s1, s2, s1
	s_mul_i32 s0, s0, s10
	s_waitcnt lgkmcnt(1)
	v_mfma_f32_16x16x16_bf16 a[4:7], v[28:29], v[18:19], a[4:7]
	s_add_i32 s1, s1, s0
	s_lshl_b64 s[2:3], s[40:41], 2
	s_add_u32 s6, s22, s2
	s_waitcnt lgkmcnt(0)
	v_mfma_f32_16x16x16_bf16 a[0:3], v[28:29], v[22:23], a[0:3]
	s_addc_u32 s7, s23, s3
	s_lshl_b64 s[2:3], s[42:43], 2
	s_mul_i32 s0, s16, s10
	s_add_u32 s12, s6, s2
	ds_read_b64 v[18:19], v40 offset:44032
	v_mfma_f32_16x16x16_bf16 a[4:7], v[30:31], v[20:21], a[4:7]
	ds_read_b64 v[20:21], v41 offset:44032
	s_addc_u32 s13, s7, s3
	s_lshl_b64 s[0:1], s[0:1], 2
	v_mfma_f32_16x16x16_bf16 a[0:3], v[30:31], v[24:25], a[0:3]
	s_add_u32 s0, s12, s0
	s_addc_u32 s1, s13, s1
	s_load_dword s17, s[0:1], 0x0
	s_waitcnt lgkmcnt(0)
	v_mfma_f32_16x16x16_bf16 a[0:3], v[32:33], v[18:19], a[0:3]
	s_and_b64 vcc, exec, s[38:39]
	v_mfma_f32_16x16x16_bf16 a[4:7], v[32:33], v[20:21], a[4:7]
	s_cbranch_vccz .LBB401_44
; %bb.34:
	v_lshlrev_b32_e32 v36, 1, v42
	s_and_b64 vcc, exec, s[18:19]
	s_cbranch_vccz .LBB401_45
; %bb.35:
	v_cmp_gt_i32_e32 vcc, s46, v36
	v_mov_b32_e32 v22, 0
	v_mov_b32_e32 v18, 0
	;; [unrolled: 1-line block ×5, first 2 shown]
	s_and_saveexec_b64 s[0:1], vcc
	s_cbranch_execz .LBB401_37
; %bb.36:
	v_mad_i64_i32 v[18:19], s[2:3], s31, v36, 0
	v_lshl_add_u64 v[18:19], v[18:19], 1, s[4:5]
	v_lshlrev_b32_e32 v20, 1, v34
	v_mov_b32_e32 v21, 0
	v_lshl_add_u64 v[18:19], v[18:19], 0, v[20:21]
	global_load_dwordx4 v[18:21], v[18:19], off
.LBB401_37:
	s_or_b64 exec, exec, s[0:1]
	v_or_b32_e32 v37, 1, v36
	v_cmp_gt_i32_e64 s[0:1], s46, v37
	v_mov_b32_e32 v23, 0
	v_mov_b32_e32 v24, 0
	;; [unrolled: 1-line block ×3, first 2 shown]
	s_and_saveexec_b64 s[2:3], s[0:1]
	s_cbranch_execz .LBB401_39
; %bb.38:
	v_mad_i64_i32 v[22:23], s[6:7], s31, v37, 0
	v_lshl_add_u64 v[22:23], v[22:23], 1, s[4:5]
	v_lshlrev_b32_e32 v24, 1, v34
	v_mov_b32_e32 v25, 0
	v_lshl_add_u64 v[22:23], v[22:23], 0, v[24:25]
	global_load_dwordx4 v[22:25], v[22:23], off
.LBB401_39:
	s_or_b64 exec, exec, s[2:3]
	v_mov_b32_e32 v33, 0
	v_mov_b32_e32 v26, 0
	v_mov_b32_e32 v27, 0
	v_mov_b32_e32 v28, 0
	v_mov_b32_e32 v29, 0
	s_and_saveexec_b64 s[2:3], vcc
	s_cbranch_execz .LBB401_41
; %bb.40:
	v_mad_i64_i32 v[26:27], s[6:7], s31, v36, 0
	v_lshl_add_u64 v[26:27], v[26:27], 1, s[4:5]
	v_lshlrev_b32_e32 v28, 1, v34
	v_mov_b32_e32 v29, 0
	v_lshl_add_u64 v[26:27], v[26:27], 0, v[28:29]
	global_load_dwordx4 v[26:29], v[26:27], off offset:128
.LBB401_41:
	s_or_b64 exec, exec, s[2:3]
	v_mov_b32_e32 v32, 0
	v_mov_b32_e32 v31, 0
	v_mov_b32_e32 v30, 0
	s_and_saveexec_b64 s[2:3], s[0:1]
	s_cbranch_execz .LBB401_43
; %bb.42:
	v_mad_i64_i32 v[30:31], s[0:1], s31, v37, 0
	v_lshl_add_u64 v[30:31], v[30:31], 1, s[4:5]
	v_lshlrev_b32_e32 v32, 1, v34
	v_mov_b32_e32 v33, 0
	v_lshl_add_u64 v[30:31], v[30:31], 0, v[32:33]
	global_load_dwordx4 v[30:33], v[30:31], off offset:128
.LBB401_43:
	s_or_b64 exec, exec, s[2:3]
	s_branch .LBB401_47
.LBB401_44:
                                        ; implicit-def: $vgpr21
                                        ; implicit-def: $vgpr25
                                        ; implicit-def: $vgpr29
                                        ; implicit-def: $vgpr33
	v_lshrrev_b32_e32 v47, 2, v63
	s_branch .LBB401_48
.LBB401_45:
                                        ; implicit-def: $vgpr21
                                        ; implicit-def: $vgpr25
                                        ; implicit-def: $vgpr29
                                        ; implicit-def: $vgpr33
	s_cbranch_execz .LBB401_47
; %bb.46:
	s_waitcnt vmcnt(0)
	v_mad_u64_u32 v[18:19], s[0:1], v36, s31, v[34:35]
	v_lshlrev_b32_e32 v36, 1, v18
	s_lshl_b32 s2, s31, 7
	s_and_b32 s1, s5, 0xffff
	s_mov_b32 s3, 0x20000
	s_mov_b32 s0, s4
	v_add_lshl_u32 v37, v18, s31, 1
	s_movk_i32 s6, 0x80
	buffer_load_dwordx4 v[18:21], v36, s[0:3], 0 offen
	buffer_load_dwordx4 v[26:29], v36, s[0:3], s6 offen
	buffer_load_dwordx4 v[22:25], v37, s[0:3], 0 offen
	buffer_load_dwordx4 v[30:33], v37, s[0:3], s6 offen
.LBB401_47:
	v_lshrrev_b32_e32 v47, 2, v63
	s_cbranch_execnz .LBB401_60
.LBB401_48:
	s_and_b64 vcc, exec, s[18:19]
	s_cbranch_vccz .LBB401_58
; %bb.49:
	s_waitcnt vmcnt(0)
	v_lshlrev_b32_e32 v23, 1, v42
	v_cmp_gt_i32_e32 vcc, s46, v23
	v_mov_b32_e32 v22, 0
	v_lshlrev_b32_e32 v30, 9, v42
	v_mov_b32_e32 v18, 0
	v_mov_b32_e32 v19, 0
	;; [unrolled: 1-line block ×4, first 2 shown]
	s_and_saveexec_b64 s[0:1], vcc
	s_cbranch_execz .LBB401_51
; %bb.50:
	v_mov_b32_e32 v31, 0
	v_lshl_add_u64 v[18:19], s[4:5], 0, v[30:31]
	v_lshlrev_b32_e32 v20, 1, v34
	v_mov_b32_e32 v21, v31
	v_lshl_add_u64 v[18:19], v[18:19], 0, v[20:21]
	global_load_dwordx4 v[18:21], v[18:19], off
.LBB401_51:
	s_or_b64 exec, exec, s[0:1]
	v_or_b32_e32 v23, 1, v23
	v_cmp_gt_i32_e64 s[0:1], s46, v23
	v_lshlrev_b32_e32 v36, 8, v23
	v_mov_b32_e32 v23, 0
	v_mov_b32_e32 v24, 0
	;; [unrolled: 1-line block ×3, first 2 shown]
	s_and_saveexec_b64 s[2:3], s[0:1]
	s_cbranch_execz .LBB401_53
; %bb.52:
	v_mov_b32_e32 v37, 0
	v_lshl_add_u64 v[22:23], s[4:5], 0, v[36:37]
	v_lshlrev_b32_e32 v24, 1, v34
	v_mov_b32_e32 v25, v37
	v_lshl_add_u64 v[22:23], v[22:23], 0, v[24:25]
	global_load_dwordx4 v[22:25], v[22:23], off
.LBB401_53:
	s_or_b64 exec, exec, s[2:3]
	v_mov_b32_e32 v33, 0
	v_mov_b32_e32 v26, 0
	;; [unrolled: 1-line block ×5, first 2 shown]
	s_and_saveexec_b64 s[2:3], vcc
	s_cbranch_execz .LBB401_55
; %bb.54:
	v_mov_b32_e32 v31, 0
	v_lshl_add_u64 v[26:27], s[4:5], 0, v[30:31]
	v_lshlrev_b32_e32 v30, 1, v34
	v_lshl_add_u64 v[26:27], v[26:27], 0, v[30:31]
	global_load_dwordx4 v[26:29], v[26:27], off offset:128
.LBB401_55:
	s_or_b64 exec, exec, s[2:3]
	v_mov_b32_e32 v32, 0
	v_mov_b32_e32 v31, 0
	;; [unrolled: 1-line block ×3, first 2 shown]
	s_and_saveexec_b64 s[2:3], s[0:1]
	s_cbranch_execz .LBB401_57
; %bb.56:
	v_mov_b32_e32 v37, 0
	v_lshl_add_u64 v[30:31], s[4:5], 0, v[36:37]
	v_lshlrev_b32_e32 v36, 1, v34
	v_lshl_add_u64 v[30:31], v[30:31], 0, v[36:37]
	global_load_dwordx4 v[30:33], v[30:31], off offset:128
.LBB401_57:
	s_or_b64 exec, exec, s[2:3]
	s_branch .LBB401_60
.LBB401_58:
                                        ; implicit-def: $vgpr21
                                        ; implicit-def: $vgpr25
                                        ; implicit-def: $vgpr29
                                        ; implicit-def: $vgpr33
	s_cbranch_execz .LBB401_60
; %bb.59:
	s_waitcnt vmcnt(0)
	v_lshlrev_b32_e32 v18, 1, v34
	v_lshl_or_b32 v34, v42, 9, v18
	s_and_b32 s5, s5, 0xffff
	s_mov_b32 s7, 0x20000
	s_movk_i32 s6, 0x4000
	s_movk_i32 s0, 0x80
	buffer_load_dwordx4 v[18:21], v34, s[4:7], 0 offen
	buffer_load_dwordx4 v[22:25], v34, s[4:7], 0 offen offset:256
	buffer_load_dwordx4 v[26:29], v34, s[4:7], s0 offen
	buffer_load_dwordx4 v[30:33], v34, s[4:7], s0 offen offset:256
.LBB401_60:
	ds_read_b64 v[36:37], v43 offset:32768
	v_add_u32_e32 v34, 0xb000, v40
	ds_read2_b64 v[48:51], v34 offset1:16
	ds_read_b64 v[56:57], v44 offset:32768
	ds_read_b64 v[44:45], v45 offset:32768
	;; [unrolled: 1-line block ×3, first 2 shown]
	ds_read2st64_b64 v[52:55], v41 offset0:90 offset1:92
	v_and_b32_e32 v43, 6, v0
	v_and_b32_e32 v34, 12, v47
	v_xor_b32_e32 v42, v42, v43
	v_lshlrev_b32_e32 v42, 2, v42
	s_mov_b32 s0, 0x1000504
	s_waitcnt lgkmcnt(4)
	v_mfma_f32_16x16x16_bf16 a[0:3], v[36:37], v[48:49], a[0:3]
	s_mov_b32 s1, 0x3020706
	v_mfma_f32_16x16x16_bf16 a[4:7], v[36:37], v[50:51], a[4:7]
	ds_read2st64_b64 v[48:51], v40 offset0:90 offset1:92
	ds_read_b64 v[36:37], v40 offset:48128
	ds_read_b64 v[46:47], v41 offset:48128
	s_waitcnt lgkmcnt(2)
	v_mfma_f32_16x16x16_bf16 a[0:3], v[56:57], v[48:49], a[0:3]
	v_and_b32_e32 v48, 1, v0
	v_xor_b32_e32 v49, 0x440, v42
	v_cmp_eq_u32_e32 vcc, 0, v48
	v_mfma_f32_16x16x16_bf16 a[4:7], v[56:57], v[52:53], a[4:7]
	s_nop 0
	v_cndmask_b32_e32 v42, v49, v42, vcc
	v_lshl_or_b32 v42, v43, 10, v42
	v_mfma_f32_16x16x16_bf16 a[0:3], v[44:45], v[50:51], a[0:3]
	v_mov_b32_e32 v43, 0
	v_mfma_f32_16x16x16_bf16 a[8:11], v[44:45], v[54:55], a[4:7]
	s_waitcnt lgkmcnt(1)
	v_mfma_f32_16x16x16_bf16 a[4:7], v[58:59], v[36:37], a[0:3]
	s_waitcnt vmcnt(0)
	v_perm_b32 v36, v18, v22, s0
	v_perm_b32 v37, v26, v30, s0
	ds_write2st64_b32 v42, v36, v37 offset0:32 offset1:64
	v_xor_b32_e32 v36, 8, v42
	v_perm_b32 v18, v18, v22, s1
	v_perm_b32 v22, v26, v30, s1
	v_add_u32_e32 v26, 0x80, v36
	ds_write2st64_b32 v26, v18, v22 offset0:32 offset1:64
	v_xor_b32_e32 v18, 16, v42
	v_perm_b32 v22, v19, v23, s0
	v_perm_b32 v26, v27, v31, s0
	ds_write2st64_b32 v18, v22, v26 offset0:33 offset1:65
	v_xor_b32_e32 v18, 24, v42
	v_perm_b32 v19, v19, v23, s1
	v_perm_b32 v22, v27, v31, s1
	v_add_u32_e32 v18, 0x80, v18
	ds_write2st64_b32 v18, v19, v22 offset0:33 offset1:65
	v_xor_b32_e32 v18, 32, v42
	v_perm_b32 v19, v20, v24, s0
	v_perm_b32 v22, v28, v32, s0
	ds_write2st64_b32 v18, v19, v22 offset0:34 offset1:66
	v_xor_b32_e32 v18, 40, v42
	s_waitcnt lgkmcnt(5)
	v_mfma_f32_16x16x16_bf16 a[0:3], v[58:59], v[46:47], a[8:11]
	v_perm_b32 v19, v20, v24, s1
	v_perm_b32 v20, v28, v32, s1
	v_add_u32_e32 v18, 0x80, v18
	ds_write2st64_b32 v18, v19, v20 offset0:34 offset1:66
	v_xor_b32_e32 v18, 48, v42
	v_perm_b32 v19, v21, v25, s0
	v_perm_b32 v20, v29, v33, s0
	ds_write2st64_b32 v18, v19, v20 offset0:35 offset1:67
	v_xor_b32_e32 v18, 56, v42
	v_or_b32_e32 v36, v34, v61
	v_perm_b32 v19, v21, v25, s1
	v_perm_b32 v20, v29, v33, s1
	v_add_u32_e32 v18, 0x80, v18
	v_cmp_gt_i32_e64 s[0:1], s46, v36
	v_mov_b32_e32 v42, 0
	ds_write2st64_b32 v18, v19, v20 offset0:35 offset1:67
	s_and_saveexec_b64 s[2:3], s[0:1]
	s_cbranch_execz .LBB401_62
; %bb.61:
	v_add_u32_e32 v18, s34, v36
	v_ashrrev_i32_e32 v19, 31, v18
	v_mul_lo_u32 v20, v19, s10
	v_mul_lo_u32 v21, v18, s11
	v_mad_u64_u32 v[18:19], s[4:5], v18, s10, 0
	v_add3_u32 v19, v19, v21, v20
	v_lshl_add_u64 v[18:19], v[18:19], 2, s[12:13]
	global_load_dword v18, v[18:19], off
	s_waitcnt vmcnt(0)
	v_sub_f32_e32 v18, s17, v18
	v_exp_f32_e32 v43, v18
.LBB401_62:
	s_or_b64 exec, exec, s[2:3]
	v_or_b32_e32 v30, 1, v36
	v_cmp_gt_i32_e64 s[4:5], s46, v30
	s_and_saveexec_b64 s[2:3], s[4:5]
	s_cbranch_execz .LBB401_64
; %bb.63:
	v_add_u32_e32 v18, s34, v30
	v_ashrrev_i32_e32 v19, 31, v18
	v_mul_lo_u32 v20, v19, s10
	v_mul_lo_u32 v21, v18, s11
	v_mad_u64_u32 v[18:19], s[6:7], v18, s10, 0
	v_add3_u32 v19, v19, v21, v20
	v_lshl_add_u64 v[18:19], v[18:19], 2, s[12:13]
	global_load_dword v18, v[18:19], off
	s_waitcnt vmcnt(0)
	v_sub_f32_e32 v18, s17, v18
	v_exp_f32_e32 v42, v18
.LBB401_64:
	s_or_b64 exec, exec, s[2:3]
	v_or_b32_e32 v28, 2, v36
	v_cmp_gt_i32_e64 s[2:3], s46, v28
	v_mov_b32_e32 v37, 0
	v_mov_b32_e32 v44, 0
	s_and_saveexec_b64 s[6:7], s[2:3]
	s_cbranch_execz .LBB401_66
; %bb.65:
	v_add_u32_e32 v18, s34, v28
	v_ashrrev_i32_e32 v19, 31, v18
	v_mul_lo_u32 v20, v19, s10
	v_mul_lo_u32 v21, v18, s11
	v_mad_u64_u32 v[18:19], s[18:19], v18, s10, 0
	v_add3_u32 v19, v19, v21, v20
	v_lshl_add_u64 v[18:19], v[18:19], 2, s[12:13]
	global_load_dword v18, v[18:19], off
	s_waitcnt vmcnt(0)
	v_sub_f32_e32 v18, s17, v18
	v_exp_f32_e32 v44, v18
.LBB401_66:
	s_or_b64 exec, exec, s[6:7]
	v_or_b32_e32 v29, 3, v36
	v_cmp_gt_i32_e32 vcc, s46, v29
	s_and_saveexec_b64 s[6:7], vcc
	s_cbranch_execz .LBB401_68
; %bb.67:
	v_add_u32_e32 v18, s34, v29
	v_ashrrev_i32_e32 v19, 31, v18
	v_mul_lo_u32 v20, v19, s10
	v_mul_lo_u32 v21, v18, s11
	v_mad_u64_u32 v[18:19], s[10:11], v18, s10, 0
	v_add3_u32 v19, v19, v21, v20
	v_lshl_add_u64 v[18:19], v[18:19], 2, s[12:13]
	global_load_dword v18, v[18:19], off
	s_waitcnt vmcnt(0)
	v_sub_f32_e32 v18, s17, v18
	v_exp_f32_e32 v37, v18
.LBB401_68:
	s_or_b64 exec, exec, s[6:7]
	s_add_u32 s6, s20, s36
	s_addc_u32 s7, s21, s37
	s_add_u32 s10, s14, s36
	v_ashrrev_i32_e32 v69, 31, v68
	v_accvgpr_read_b32 v21, a7
	s_addc_u32 s11, s15, s37
	v_lshlrev_b64 v[22:23], 1, v[68:69]
	v_accvgpr_read_b32 v20, a6
	v_accvgpr_read_b32 v19, a5
	;; [unrolled: 1-line block ×3, first 2 shown]
	v_lshl_add_u64 v[24:25], s[6:7], 0, v[22:23]
	v_lshl_add_u64 v[22:23], s[10:11], 0, v[22:23]
	v_mov_b32_e32 v31, 0
	v_lshlrev_b32_e32 v26, 8, v36
	v_mov_b32_e32 v27, 0
	s_and_saveexec_b64 s[6:7], s[0:1]
	s_cbranch_execz .LBB401_70
; %bb.69:
	v_mov_b32_e32 v27, 0
	v_lshl_add_u64 v[32:33], v[24:25], 0, v[26:27]
	global_load_ushort v45, v[32:33], off
	v_lshl_add_u64 v[32:33], v[22:23], 0, v[26:27]
	s_waitcnt vmcnt(0)
	v_lshlrev_b32_e32 v27, 16, v45
	v_sub_f32_e32 v18, v27, v18
	global_store_short_d16_hi v[32:33], v18, off
	v_mul_f32_e32 v18, v43, v18
	v_lshrrev_b32_e32 v27, 16, v18
.LBB401_70:
	s_or_b64 exec, exec, s[6:7]
	v_lshlrev_b32_e32 v30, 8, v30
	s_and_saveexec_b64 s[6:7], s[4:5]
	s_cbranch_execz .LBB401_72
; %bb.71:
	v_mov_b32_e32 v31, 0
	v_lshl_add_u64 v[32:33], v[24:25], 0, v[30:31]
	global_load_ushort v18, v[32:33], off
	v_lshl_add_u64 v[32:33], v[22:23], 0, v[30:31]
	s_waitcnt vmcnt(0)
	v_lshlrev_b32_e32 v18, 16, v18
	v_sub_f32_e32 v18, v18, v19
	global_store_short_d16_hi v[32:33], v18, off
	v_mul_f32_e32 v18, v42, v18
	v_lshrrev_b32_e32 v31, 16, v18
.LBB401_72:
	s_or_b64 exec, exec, s[6:7]
	v_mov_b32_e32 v46, 0
	v_lshlrev_b32_e32 v32, 8, v28
	v_mov_b32_e32 v33, 0
	s_and_saveexec_b64 s[6:7], s[2:3]
	s_cbranch_execz .LBB401_74
; %bb.73:
	v_mov_b32_e32 v33, 0
	v_lshl_add_u64 v[18:19], v[24:25], 0, v[32:33]
	global_load_ushort v28, v[18:19], off
	v_lshl_add_u64 v[18:19], v[22:23], 0, v[32:33]
	s_waitcnt vmcnt(0)
	v_lshlrev_b32_e32 v28, 16, v28
	v_sub_f32_e32 v20, v28, v20
	global_store_short_d16_hi v[18:19], v20, off
	v_mul_f32_e32 v18, v44, v20
	v_lshrrev_b32_e32 v33, 16, v18
.LBB401_74:
	s_or_b64 exec, exec, s[6:7]
	v_lshlrev_b32_e32 v28, 8, v29
	s_and_saveexec_b64 s[6:7], vcc
	s_cbranch_execz .LBB401_76
; %bb.75:
	v_mov_b32_e32 v29, 0
	v_lshl_add_u64 v[18:19], v[24:25], 0, v[28:29]
	global_load_ushort v20, v[18:19], off
	v_lshl_add_u64 v[18:19], v[22:23], 0, v[28:29]
	s_waitcnt vmcnt(0)
	v_lshlrev_b32_e32 v20, 16, v20
	v_sub_f32_e32 v20, v20, v21
	global_store_short_d16_hi v[18:19], v20, off
	v_mul_f32_e32 v18, v37, v20
	v_lshrrev_b32_e32 v46, 16, v18
.LBB401_76:
	s_or_b64 exec, exec, s[6:7]
	v_lshlrev_b32_e32 v45, 5, v36
	s_mov_b32 s6, 0x5040100
	v_perm_b32 v47, v46, v33, s6
	v_perm_b32 v46, v31, v27, s6
	v_or_b32_e32 v27, v45, v38
	v_accvgpr_read_b32 v21, a3
	v_lshlrev_b32_e32 v27, 1, v27
	v_accvgpr_read_b32 v20, a2
	v_accvgpr_read_b32 v19, a1
	;; [unrolled: 1-line block ×3, first 2 shown]
	ds_write_b64 v27, v[46:47] offset:45056
	v_mov_b32_e32 v31, 0
	v_mov_b32_e32 v27, 0
	s_and_saveexec_b64 s[6:7], s[0:1]
	s_cbranch_execz .LBB401_78
; %bb.77:
	v_mov_b32_e32 v27, 0
	v_lshl_add_u64 v[46:47], v[24:25], 0, v[26:27]
	global_load_ushort v29, v[46:47], off offset:32
	v_lshl_add_u64 v[26:27], v[22:23], 0, v[26:27]
	s_waitcnt vmcnt(0)
	v_lshlrev_b32_e32 v29, 16, v29
	v_sub_f32_e32 v18, v29, v18
	global_store_short_d16_hi v[26:27], v18, off offset:32
	v_mul_f32_e32 v18, v43, v18
	v_lshrrev_b32_e32 v27, 16, v18
.LBB401_78:
	s_or_b64 exec, exec, s[6:7]
	s_and_saveexec_b64 s[0:1], s[4:5]
	s_cbranch_execz .LBB401_80
; %bb.79:
	v_mov_b32_e32 v31, 0
	v_lshl_add_u64 v[46:47], v[24:25], 0, v[30:31]
	global_load_ushort v18, v[46:47], off offset:32
	v_lshl_add_u64 v[30:31], v[22:23], 0, v[30:31]
	s_waitcnt vmcnt(0)
	v_lshlrev_b32_e32 v18, 16, v18
	v_sub_f32_e32 v18, v18, v19
	global_store_short_d16_hi v[30:31], v18, off offset:32
	v_mul_f32_e32 v18, v42, v18
	v_lshrrev_b32_e32 v31, 16, v18
.LBB401_80:
	s_or_b64 exec, exec, s[0:1]
	v_mov_b32_e32 v26, 0
	v_mov_b32_e32 v30, 0
	s_and_saveexec_b64 s[0:1], s[2:3]
	s_cbranch_execz .LBB401_82
; %bb.81:
	v_mov_b32_e32 v33, 0
	v_lshl_add_u64 v[18:19], v[24:25], 0, v[32:33]
	global_load_ushort v29, v[18:19], off offset:32
	v_lshl_add_u64 v[18:19], v[22:23], 0, v[32:33]
	s_waitcnt vmcnt(0)
	v_lshlrev_b32_e32 v29, 16, v29
	v_sub_f32_e32 v20, v29, v20
	global_store_short_d16_hi v[18:19], v20, off offset:32
	v_mul_f32_e32 v18, v44, v20
	v_lshrrev_b32_e32 v30, 16, v18
.LBB401_82:
	s_or_b64 exec, exec, s[0:1]
	v_or_b32_e32 v19, 0xb000, v40
	v_or_b32_e32 v18, 0xb000, v41
	s_and_saveexec_b64 s[0:1], vcc
	s_cbranch_execz .LBB401_84
; %bb.83:
	v_mov_b32_e32 v29, 0
	v_lshl_add_u64 v[24:25], v[24:25], 0, v[28:29]
	global_load_ushort v20, v[24:25], off offset:32
	v_lshl_add_u64 v[22:23], v[22:23], 0, v[28:29]
	s_waitcnt vmcnt(0)
	v_lshlrev_b32_e32 v20, 16, v20
	v_sub_f32_e32 v20, v20, v21
	global_store_short_d16_hi v[22:23], v20, off offset:32
	v_mul_f32_e32 v20, v37, v20
	v_lshrrev_b32_e32 v26, 16, v20
.LBB401_84:
	s_or_b64 exec, exec, s[0:1]
	s_mov_b32 s0, 0x5040100
	v_or_b32_e32 v22, v45, v35
	v_perm_b32 v21, v26, v30, s0
	v_perm_b32 v20, v31, v27, s0
	v_lshlrev_b32_e32 v22, 1, v22
	s_movk_i32 s2, 0x100
	ds_write_b64 v22, v[20:21] offset:45056
	v_and_b32_e32 v20, 7, v0
	v_and_b32_e32 v21, 8, v0
	v_cmp_gt_u32_e32 vcc, s2, v0
	v_lshrrev_b32_e32 v0, 1, v0
	v_lshlrev_b32_e32 v26, 3, v20
	v_lshlrev_b32_e32 v47, 7, v20
	v_mov_b32_e32 v20, 0x4000
	v_mov_b32_e32 v22, 0x2000
	v_lshlrev_b32_e32 v24, 3, v1
	v_and_b32_e32 v0, 24, v0
	v_cndmask_b32_e32 v27, v20, v22, vcc
	v_xor_b32_e32 v20, v24, v0
	v_or_b32_e32 v22, 0x440, v20
	v_cmp_eq_u32_e32 vcc, 0, v21
	v_or_b32_e32 v28, 32, v0
	v_xor_b32_e32 v28, v24, v28
	v_cndmask_b32_e32 v20, v22, v20, vcc
	v_or_b32_e32 v20, v20, v39
	v_xor_b32_e32 v48, v20, v26
	v_or_b32_e32 v29, 0x440, v28
	v_add3_u32 v25, v27, v48, v47
	v_cndmask_b32_e32 v28, v29, v28, vcc
	v_or_b32_e32 v29, 64, v0
	v_or_b32_e32 v0, 0x60, v0
	s_waitcnt lgkmcnt(0)
	s_barrier
	v_xor_b32_e32 v29, v24, v29
	v_xor_b32_e32 v0, v24, v0
	ds_read_b64 v[24:25], v25
	v_xor_b32_e32 v30, 0x440, v29
	v_cndmask_b32_e32 v29, v30, v29, vcc
	v_xor_b32_e32 v30, 0x440, v0
	ds_read2_b64 v[20:23], v19 offset1:16
	v_cndmask_b32_e32 v0, v30, v0, vcc
	v_or_b32_e32 v28, v28, v39
	v_or_b32_e32 v29, v29, v39
	;; [unrolled: 1-line block ×3, first 2 shown]
	v_xor_b32_e32 v49, v28, v26
	v_xor_b32_e32 v50, v29, v26
	;; [unrolled: 1-line block ×3, first 2 shown]
	v_add3_u32 v28, v27, v49, v47
	v_add3_u32 v29, v27, v50, v47
	v_add3_u32 v30, v27, v0, v47
	s_mul_i32 s0, s16, s29
	ds_read_b64 v[26:27], v28
	ds_read_b64 v[32:33], v29
	ds_read_b64 v[42:43], v30
	ds_read2st64_b64 v[28:31], v19 offset0:2 offset1:4
	s_mul_hi_i32 s1, s16, s29
	ds_read2st64_b64 v[38:41], v18 offset0:2 offset1:4
	s_add_u32 s0, s0, s33
	s_waitcnt lgkmcnt(5)
	v_mfma_f32_16x16x16_bf16 a[0:3], v[24:25], v[20:21], 0
	s_addc_u32 s1, s1, s48
	s_lshl_b64 s[0:1], s[0:1], 9
	s_add_u32 s0, s8, s0
	v_mfma_f32_16x16x16_bf16 a[4:7], v[24:25], v[22:23], 0
	s_addc_u32 s1, s9, s1
	v_lshlrev_b32_e32 v24, 2, v36
	v_lshlrev_b32_e32 v1, 6, v1
	s_waitcnt lgkmcnt(1)
	v_mfma_f32_16x16x16_bf16 a[0:3], v[26:27], v[28:29], a[0:3]
	v_add_u32_e32 v48, v48, v47
	v_exp_f32_e32 v46, s17
	v_add_u32_e32 v0, v0, v47
	s_waitcnt lgkmcnt(0)
	v_mfma_f32_16x16x16_bf16 a[4:7], v[26:27], v[38:39], a[4:7]
	global_load_dwordx4 v[24:27], v24, s[0:1]
	ds_read_b64 v[36:37], v19 offset:3072
	ds_read_b64 v[44:45], v18 offset:3072
	v_lshlrev_b32_e32 v18, 2, v34
	v_or3_b32 v1, v1, v18, s2
	v_mfma_f32_16x16x16_bf16 a[0:3], v[32:33], v[30:31], a[0:3]
	s_waitcnt vmcnt(0)
	v_exp_f32_e32 v18, v24
	v_mfma_f32_16x16x16_bf16 a[4:7], v[32:33], v[40:41], a[4:7]
	global_load_dwordx4 v[32:35], v1, s[0:1]
	v_exp_f32_e32 v19, v25
	ds_read_b64 v[24:25], v48 offset:16384
	s_waitcnt lgkmcnt(2)
	v_mfma_f32_16x16x16_bf16 a[0:3], v[42:43], v[36:37], a[0:3]
	v_add_u32_e32 v48, v50, v47
	v_pk_mul_f32 v[52:53], v[46:47], v[18:19] op_sel_hi:[0,1]
	v_exp_f32_e32 v26, v26
	s_waitcnt lgkmcnt(1)
	v_mfma_f32_16x16x16_bf16 a[4:7], v[42:43], v[44:45], a[4:7]
	v_add_u32_e32 v42, v49, v47
	ds_read_b64 v[42:43], v42 offset:16384
	ds_read_b64 v[48:49], v48 offset:16384
	;; [unrolled: 1-line block ×3, first 2 shown]
	v_accvgpr_read_b32 v19, a1
	s_waitcnt lgkmcnt(3)
	v_mfma_f32_16x16x16_bf16 a[8:11], v[24:25], v[20:21], 0
	v_accvgpr_read_b32 v1, a3
	v_accvgpr_read_b32 v0, a2
	;; [unrolled: 1-line block ×3, first 2 shown]
	v_mfma_f32_16x16x16_bf16 a[0:3], v[24:25], v[22:23], 0
	v_exp_f32_e32 v27, v27
	v_pk_fma_f32 v[18:19], v[2:3], v[52:53], v[18:19]
	v_pk_mul_f32 v[2:3], v[46:47], v[26:27] op_sel_hi:[0,1]
	s_waitcnt lgkmcnt(2)
	v_mfma_f32_16x16x16_bf16 a[8:11], v[42:43], v[28:29], a[8:11]
	v_pk_fma_f32 v[20:21], v[4:5], v[2:3], v[0:1]
	v_accvgpr_read_b32 v0, a4
	v_fma_f32 v26, v10, v52, v0
	v_mfma_f32_16x16x16_bf16 a[0:3], v[42:43], v[38:39], a[0:3]
	v_accvgpr_read_b32 v0, a5
	v_fma_f32 v27, v11, v53, v0
	v_accvgpr_read_b32 v0, a6
	s_waitcnt lgkmcnt(1)
	v_mfma_f32_16x16x16_bf16 a[8:11], v[48:49], v[30:31], a[8:11]
	v_fma_f32 v28, v12, v2, v0
	v_accvgpr_read_b32 v29, a7
	v_fmac_f32_e32 v29, v13, v3
	v_mfma_f32_16x16x16_bf16 a[0:3], v[48:49], v[40:41], a[0:3]
	s_waitcnt vmcnt(0)
	v_mov_b32_e32 v0, v33
	v_mov_b32_e32 v1, v34
	;; [unrolled: 1-line block ×3, first 2 shown]
	v_exp_f32_e32 v5, v0
	v_exp_f32_e32 v0, v1
	s_waitcnt lgkmcnt(0)
	v_mfma_f32_16x16x16_bf16 a[4:7], v[50:51], v[36:37], a[8:11]
	v_exp_f32_e32 v1, v2
	v_exp_f32_e32 v4, v32
	v_pk_mul_f32 v[0:1], v[46:47], v[0:1] op_sel_hi:[0,1]
	v_mfma_f32_16x16x16_bf16 a[0:3], v[50:51], v[44:45], a[0:3]
	v_pk_mul_f32 v[4:5], v[46:47], v[4:5] op_sel_hi:[0,1]
	s_nop 1
	v_accvgpr_read_b32 v3, a7
	v_accvgpr_read_b32 v2, a6
	v_pk_fma_f32 v[24:25], v[8:9], v[0:1], v[2:3]
	v_accvgpr_read_b32 v11, a5
	v_accvgpr_read_b32 v10, a4
	v_pk_fma_f32 v[22:23], v[6:7], v[4:5], v[10:11]
	v_accvgpr_read_b32 v2, a0
	v_fma_f32 v30, v14, v4, v2
	v_accvgpr_read_b32 v2, a1
	v_fma_f32 v31, v15, v5, v2
	v_accvgpr_read_b32 v2, a2
	v_accvgpr_read_b32 v33, a3
	v_fma_f32 v32, v16, v0, v2
	v_fmac_f32_e32 v33, v17, v1
	v_mov_b64_e32 v[2:3], v[18:19]
	v_mov_b64_e32 v[4:5], v[20:21]
	;; [unrolled: 1-line block ×8, first 2 shown]
.LBB401_85:
	s_add_u32 s0, s24, s26
	s_addc_u32 s1, s25, s27
	v_lshl_add_u64 v[0:1], v[66:67], 2, s[0:1]
	v_mov_b32_e32 v63, 0
	v_lshl_add_u64 v[0:1], v[0:1], 0, v[62:63]
	global_store_dwordx4 v[0:1], v[2:5], off
	global_store_dwordx4 v[0:1], v[6:9], off offset:256
	v_lshl_add_u64 v[0:1], v[64:65], 2, s[0:1]
	v_lshl_add_u64 v[0:1], v[0:1], 0, v[62:63]
	global_store_dwordx4 v[0:1], v[10:13], off
	global_store_dwordx4 v[0:1], v[14:17], off offset:256
	s_endpgm
	.section	.rodata,"a",@progbits
	.p2align	6, 0x0
	.amdhsa_kernel _ZN12_GLOBAL__N_139chunk_gated_delta_rule_fwd_h_hip_kernelILi32ELb1ELb1ELb1ELb1ELb1ELb1ELb0ELb0EEEvPK12hip_bfloat16S3_S3_PKfS5_PKvPS1_S8_PvPKiSB_iiiiilll
		.amdhsa_group_segment_fixed_size 49152
		.amdhsa_private_segment_fixed_size 0
		.amdhsa_kernarg_size 136
		.amdhsa_user_sgpr_count 2
		.amdhsa_user_sgpr_dispatch_ptr 0
		.amdhsa_user_sgpr_queue_ptr 0
		.amdhsa_user_sgpr_kernarg_segment_ptr 1
		.amdhsa_user_sgpr_dispatch_id 0
		.amdhsa_user_sgpr_kernarg_preload_length 0
		.amdhsa_user_sgpr_kernarg_preload_offset 0
		.amdhsa_user_sgpr_private_segment_size 0
		.amdhsa_uses_dynamic_stack 0
		.amdhsa_enable_private_segment 0
		.amdhsa_system_sgpr_workgroup_id_x 1
		.amdhsa_system_sgpr_workgroup_id_y 1
		.amdhsa_system_sgpr_workgroup_id_z 0
		.amdhsa_system_sgpr_workgroup_info 0
		.amdhsa_system_vgpr_workitem_id 0
		.amdhsa_next_free_vgpr 168
		.amdhsa_next_free_sgpr 70
		.amdhsa_accum_offset 148
		.amdhsa_reserve_vcc 1
		.amdhsa_float_round_mode_32 0
		.amdhsa_float_round_mode_16_64 0
		.amdhsa_float_denorm_mode_32 3
		.amdhsa_float_denorm_mode_16_64 3
		.amdhsa_dx10_clamp 1
		.amdhsa_ieee_mode 1
		.amdhsa_fp16_overflow 0
		.amdhsa_tg_split 0
		.amdhsa_exception_fp_ieee_invalid_op 0
		.amdhsa_exception_fp_denorm_src 0
		.amdhsa_exception_fp_ieee_div_zero 0
		.amdhsa_exception_fp_ieee_overflow 0
		.amdhsa_exception_fp_ieee_underflow 0
		.amdhsa_exception_fp_ieee_inexact 0
		.amdhsa_exception_int_div_zero 0
	.end_amdhsa_kernel
	.section	.text._ZN12_GLOBAL__N_139chunk_gated_delta_rule_fwd_h_hip_kernelILi32ELb1ELb1ELb1ELb1ELb1ELb1ELb0ELb0EEEvPK12hip_bfloat16S3_S3_PKfS5_PKvPS1_S8_PvPKiSB_iiiiilll,"axG",@progbits,_ZN12_GLOBAL__N_139chunk_gated_delta_rule_fwd_h_hip_kernelILi32ELb1ELb1ELb1ELb1ELb1ELb1ELb0ELb0EEEvPK12hip_bfloat16S3_S3_PKfS5_PKvPS1_S8_PvPKiSB_iiiiilll,comdat
.Lfunc_end401:
	.size	_ZN12_GLOBAL__N_139chunk_gated_delta_rule_fwd_h_hip_kernelILi32ELb1ELb1ELb1ELb1ELb1ELb1ELb0ELb0EEEvPK12hip_bfloat16S3_S3_PKfS5_PKvPS1_S8_PvPKiSB_iiiiilll, .Lfunc_end401-_ZN12_GLOBAL__N_139chunk_gated_delta_rule_fwd_h_hip_kernelILi32ELb1ELb1ELb1ELb1ELb1ELb1ELb0ELb0EEEvPK12hip_bfloat16S3_S3_PKfS5_PKvPS1_S8_PvPKiSB_iiiiilll
                                        ; -- End function
	.section	.AMDGPU.csdata,"",@progbits
; Kernel info:
; codeLenInByte = 9692
; NumSgprs: 76
; NumVgprs: 146
; NumAgprs: 20
; TotalNumVgprs: 168
; ScratchSize: 0
; MemoryBound: 0
; FloatMode: 240
; IeeeMode: 1
; LDSByteSize: 49152 bytes/workgroup (compile time only)
; SGPRBlocks: 9
; VGPRBlocks: 20
; NumSGPRsForWavesPerEU: 76
; NumVGPRsForWavesPerEU: 168
; AccumOffset: 148
; Occupancy: 1
; WaveLimiterHint : 1
; COMPUTE_PGM_RSRC2:SCRATCH_EN: 0
; COMPUTE_PGM_RSRC2:USER_SGPR: 2
; COMPUTE_PGM_RSRC2:TRAP_HANDLER: 0
; COMPUTE_PGM_RSRC2:TGID_X_EN: 1
; COMPUTE_PGM_RSRC2:TGID_Y_EN: 1
; COMPUTE_PGM_RSRC2:TGID_Z_EN: 0
; COMPUTE_PGM_RSRC2:TIDIG_COMP_CNT: 0
; COMPUTE_PGM_RSRC3_GFX90A:ACCUM_OFFSET: 36
; COMPUTE_PGM_RSRC3_GFX90A:TG_SPLIT: 0
	.section	.text._ZN12_GLOBAL__N_139chunk_gated_delta_rule_fwd_h_hip_kernelILi32ELb1ELb1ELb0ELb1ELb1ELb1ELb0ELb0EEEvPK12hip_bfloat16S3_S3_PKfS5_PKvPS1_S8_PvPKiSB_iiiiilll,"axG",@progbits,_ZN12_GLOBAL__N_139chunk_gated_delta_rule_fwd_h_hip_kernelILi32ELb1ELb1ELb0ELb1ELb1ELb1ELb0ELb0EEEvPK12hip_bfloat16S3_S3_PKfS5_PKvPS1_S8_PvPKiSB_iiiiilll,comdat
	.globl	_ZN12_GLOBAL__N_139chunk_gated_delta_rule_fwd_h_hip_kernelILi32ELb1ELb1ELb0ELb1ELb1ELb1ELb0ELb0EEEvPK12hip_bfloat16S3_S3_PKfS5_PKvPS1_S8_PvPKiSB_iiiiilll ; -- Begin function _ZN12_GLOBAL__N_139chunk_gated_delta_rule_fwd_h_hip_kernelILi32ELb1ELb1ELb0ELb1ELb1ELb1ELb0ELb0EEEvPK12hip_bfloat16S3_S3_PKfS5_PKvPS1_S8_PvPKiSB_iiiiilll
	.p2align	8
	.type	_ZN12_GLOBAL__N_139chunk_gated_delta_rule_fwd_h_hip_kernelILi32ELb1ELb1ELb0ELb1ELb1ELb1ELb0ELb0EEEvPK12hip_bfloat16S3_S3_PKfS5_PKvPS1_S8_PvPKiSB_iiiiilll,@function
_ZN12_GLOBAL__N_139chunk_gated_delta_rule_fwd_h_hip_kernelILi32ELb1ELb1ELb0ELb1ELb1ELb1ELb0ELb0EEEvPK12hip_bfloat16S3_S3_PKfS5_PKvPS1_S8_PvPKiSB_iiiiilll: ; @_ZN12_GLOBAL__N_139chunk_gated_delta_rule_fwd_h_hip_kernelILi32ELb1ELb1ELb0ELb1ELb1ELb1ELb0ELb0EEEvPK12hip_bfloat16S3_S3_PKfS5_PKvPS1_S8_PvPKiSB_iiiiilll
; %bb.0:
	s_load_dwordx4 s[16:19], s[0:1], 0x5c
	s_load_dwordx4 s[24:27], s[0:1], 0x70
	s_abs_i32 s7, s3
	s_ashr_i32 s6, s3, 31
	s_load_dwordx4 s[12:15], s[0:1], 0x40
	s_load_dwordx2 s[4:5], s[0:1], 0x50
	s_waitcnt lgkmcnt(0)
	s_abs_i32 s10, s17
	v_cvt_f32_u32_e32 v1, s10
	s_sub_i32 s8, 0, s10
	s_ashr_i32 s11, s17, 31
	s_xor_b32 s6, s6, s11
	v_rcp_iflag_f32_e32 v1, v1
	v_and_b32_e32 v77, 15, v0
	v_bfe_u32 v76, v0, 4, 2
	v_mov_b32_e32 v63, 0
	v_mul_f32_e32 v1, 0x4f7ffffe, v1
	v_cvt_u32_f32_e32 v1, v1
	v_lshlrev_b32_e32 v78, 3, v0
	v_readfirstlane_b32 s9, v1
	s_mul_i32 s8, s8, s9
	s_mul_hi_u32 s8, s9, s8
	s_add_i32 s9, s9, s8
	s_mul_hi_u32 s8, s7, s9
	s_mul_i32 s9, s8, s10
	s_sub_i32 s7, s7, s9
	s_add_i32 s20, s8, 1
	s_sub_i32 s9, s7, s10
	s_cmp_ge_u32 s7, s10
	s_cselect_b32 s8, s20, s8
	s_cselect_b32 s7, s9, s7
	s_add_i32 s9, s8, 1
	s_cmp_ge_u32 s7, s10
	s_cselect_b32 s7, s9, s8
	s_xor_b32 s7, s7, s6
	s_sub_i32 s28, s7, s6
	s_mul_i32 s36, s28, s17
	s_ashr_i32 s29, s28, 31
	s_sub_i32 s33, s3, s36
	s_lshl_b64 s[6:7], s[28:29], 2
	s_add_u32 s8, s14, s6
	s_addc_u32 s9, s15, s7
	s_add_u32 s30, s4, s6
	s_addc_u32 s31, s5, s7
	s_abs_i32 s3, s18
	v_cvt_f32_u32_e32 v1, s3
	s_load_dwordx2 s[34:35], s[8:9], 0x0
	s_sub_i32 s5, 0, s3
	s_lshl_b32 s2, s2, 5
	v_rcp_iflag_f32_e32 v1, v1
	s_load_dwordx4 s[20:23], s[0:1], 0x20
	s_load_dwordx2 s[40:41], s[0:1], 0x30
	s_waitcnt lgkmcnt(0)
	s_sub_i32 s54, s35, s34
	s_ashr_i32 s4, s54, 31
	v_mul_f32_e32 v1, 0x4f7ffffe, v1
	v_cvt_u32_f32_e32 v1, v1
	s_lshr_b32 s4, s4, 26
	s_add_i32 s4, s54, s4
	s_ashr_i32 s53, s4, 6
	v_readfirstlane_b32 s6, v1
	s_mul_i32 s5, s5, s6
	s_mul_hi_u32 s5, s6, s5
	s_add_i32 s6, s6, s5
	s_mul_hi_u32 s5, s10, s6
	s_mul_i32 s6, s5, s3
	s_ashr_i32 s4, s18, 31
	s_sub_i32 s6, s10, s6
	s_xor_b32 s4, s11, s4
	s_add_i32 s7, s5, 1
	s_sub_i32 s8, s6, s3
	s_cmp_ge_u32 s6, s3
	s_cselect_b32 s5, s7, s5
	s_cselect_b32 s6, s8, s6
	s_add_i32 s7, s5, 1
	s_cmp_ge_u32 s6, s3
	s_cselect_b32 s3, s7, s5
	s_xor_b32 s3, s3, s4
	s_sub_i32 s3, s3, s4
	s_abs_i32 s4, s3
	v_cvt_f32_u32_e32 v1, s4
	s_sub_i32 s6, 0, s4
	s_abs_i32 s5, s33
	s_xor_b32 s3, s33, s3
	v_rcp_iflag_f32_e32 v2, v1
	s_ashr_i32 s3, s3, 31
	v_lshrrev_b32_e32 v1, 6, v0
	v_or_b32_e32 v68, s2, v77
	v_mul_f32_e32 v2, 0x4f7ffffe, v2
	v_cvt_u32_f32_e32 v2, v2
	v_lshlrev_b32_e32 v61, 4, v1
	v_lshlrev_b32_e32 v66, 7, v68
	v_lshl_or_b32 v80, v76, 2, v61
	v_readfirstlane_b32 s7, v2
	s_mul_i32 s6, s6, s7
	s_mul_hi_u32 s6, s7, s6
	s_add_i32 s7, s7, s6
	s_mul_hi_u32 s6, s5, s7
	s_mul_i32 s7, s6, s4
	s_sub_i32 s5, s5, s7
	s_add_i32 s7, s6, 1
	s_sub_i32 s8, s5, s4
	s_cmp_ge_u32 s5, s4
	s_cselect_b32 s6, s7, s6
	s_cselect_b32 s5, s8, s5
	s_add_i32 s7, s6, 1
	s_cmp_ge_u32 s5, s4
	s_cselect_b32 s4, s7, s6
	s_xor_b32 s4, s4, s3
	s_sub_i32 s55, s4, s3
	s_ashr_i32 s46, s33, 31
	s_mul_hi_i32 s3, s28, s17
	s_add_u32 s4, s36, s33
	s_addc_u32 s5, s3, s46
	s_lshl_b64 s[14:15], s[4:5], 16
	s_add_u32 s4, s22, s14
	s_addc_u32 s5, s23, s15
	v_ashrrev_i32_e32 v67, 31, v66
	v_lshl_add_u64 v[2:3], v[66:67], 2, s[4:5]
	v_lshlrev_b32_e32 v62, 2, v80
	v_or_b32_e32 v64, 0x800, v66
	v_lshl_add_u64 v[10:11], v[2:3], 0, v[62:63]
	v_ashrrev_i32_e32 v65, 31, v64
	global_load_dwordx4 v[2:5], v[10:11], off
	global_load_dwordx4 v[6:9], v[10:11], off offset:256
	v_lshl_add_u64 v[10:11], v[64:65], 2, s[4:5]
	v_lshl_add_u64 v[10:11], v[10:11], 0, v[62:63]
	global_load_dwordx4 v[18:21], v[10:11], off
	global_load_dwordx4 v[22:25], v[10:11], off offset:256
	s_load_dwordx8 s[4:11], s[0:1], 0x0
	s_load_dwordx2 s[22:23], s[0:1], 0x80
	s_load_dword s56, s[30:31], 0x0
	v_and_b32_e32 v63, 63, v0
	v_or_b32_e32 v81, 64, v80
	s_cmp_lt_i32 s54, 64
	s_mul_hi_i32 s57, s33, s16
	s_mul_i32 s58, s33, s16
	v_lshrrev_b32_e32 v79, 3, v63
	s_mul_i32 s47, s28, s25
	s_mul_hi_u32 s49, s28, s24
	s_mul_i32 s50, s29, s24
	s_mul_i32 s36, s28, s24
	;; [unrolled: 1-line block ×3, first 2 shown]
	s_mul_hi_u32 s51, s33, s26
	s_mul_i32 s52, s46, s26
	s_mul_i32 s38, s33, s26
	s_cbranch_scc1 .LBB402_3
; %bb.1:
	s_ashr_i32 s1, s34, 31
	s_add_u32 s0, s58, s34
	s_addc_u32 s1, s57, s1
	s_lshl_b64 s[0:1], s[0:1], 8
	v_and_b32_e32 v83, 56, v78
	s_waitcnt lgkmcnt(0)
	s_add_u32 s24, s6, s0
	v_lshl_or_b32 v82, v1, 3, v79
	v_lshlrev_b32_e32 v10, 1, v83
	s_addc_u32 s0, s7, s1
	v_lshl_or_b32 v84, v82, 8, v10
	s_and_b32 s25, s0, 0xffff
	s_mov_b32 s27, 0x20000
	s_movk_i32 s26, 0x4000
	s_movk_i32 s0, 0x80
	v_or_b32_e32 v85, 0x2000, v84
	buffer_load_dwordx4 v[12:15], v84, s[24:27], 0 offen
	buffer_load_dwordx4 v[26:29], v84, s[24:27], s0 offen
	;; [unrolled: 1-line block ×4, first 2 shown]
	v_lshlrev_b32_e32 v11, 3, v82
	v_and_or_b32 v17, v0, 7, v11
	v_and_b32_e32 v11, 0x78, v11
	v_lshlrev_b32_e32 v17, 4, v17
	v_xor_b32_e32 v86, v17, v11
	v_mul_lo_u32 v16, v82, s19
	v_or_b32_e32 v87, 0x1000, v86
	v_xor_b32_e32 v11, 8, v86
	s_cmpk_eq_i32 s19, 0x80
	s_mov_b32 s59, s34
	v_xor_b32_e32 v17, 8, v87
	s_cselect_b64 s[0:1], -1, 0
	s_cmpk_lg_i32 s19, 0x80
	s_waitcnt vmcnt(3)
	ds_write_b64 v86, v[12:13] offset:24576
	ds_write_b64 v11, v[14:15] offset:24576
	s_waitcnt vmcnt(2)
	ds_write_b64 v86, v[26:27] offset:32768
	ds_write_b64 v11, v[28:29] offset:32768
	;; [unrolled: 3-line block ×4, first 2 shown]
	v_lshl_add_u32 v11, v16, 1, v83
	s_cbranch_scc0 .LBB402_4
; %bb.2:
	v_lshlrev_b32_e32 v13, 1, v11
	v_add_lshl_u32 v12, v11, s19, 1
	s_lshl_b32 s26, s19, 7
	v_lshl_or_b32 v10, v82, 9, v10
	s_cbranch_execz .LBB402_5
	s_branch .LBB402_6
.LBB402_3:
	s_waitcnt vmcnt(0)
	v_mov_b32_e32 v17, v25
	v_mov_b32_e32 v16, v24
	;; [unrolled: 1-line block ×5, first 2 shown]
	s_branch .LBB402_20
.LBB402_4:
                                        ; implicit-def: $vgpr12
                                        ; implicit-def: $vgpr13
                                        ; implicit-def: $sgpr26
	v_lshl_or_b32 v10, v82, 9, v10
.LBB402_5:
	v_or_b32_e32 v12, 0x100, v10
	s_movk_i32 s26, 0x4000
	v_mov_b32_e32 v13, v10
.LBB402_6:
	s_mul_i32 s24, s34, s18
	s_ashr_i32 s60, s55, 31
	s_mul_hi_i32 s3, s34, s18
	s_add_u32 s24, s24, s55
	s_addc_u32 s25, s3, s60
	s_lshl_b64 s[24:25], s[24:25], 8
	s_add_u32 s24, s4, s24
	s_addc_u32 s3, s5, s25
	s_and_b32 s25, s3, 0xffff
	s_movk_i32 s61, 0x80
	buffer_load_dwordx4 v[14:17], v13, s[24:27], 0 offen
	buffer_load_dwordx4 v[26:29], v13, s[24:27], s61 offen
	;; [unrolled: 1-line block ×4, first 2 shown]
	v_and_b32_e32 v12, 6, v0
	v_lshlrev_b32_e32 v39, 6, v80
	v_or_b32_e32 v41, 16, v77
	v_xor_b32_e32 v42, v82, v12
	v_and_b32_e32 v13, 1, v0
	v_lshl_or_b32 v45, v77, 3, v39
	v_lshl_or_b32 v39, v41, 3, v39
	v_lshlrev_b32_e32 v42, 2, v42
	v_lshlrev_b32_e32 v38, 2, v77
	v_or_b32_e32 v90, 0xa000, v39
	v_or_b32_e32 v91, 0xb000, v39
	v_xor_b32_e32 v39, 0x440, v42
	v_cmp_eq_u32_e32 vcc, 0, v13
	s_add_i32 s3, s49, s47
	v_xor_b32_e32 v43, v80, v38
	v_xor_b32_e32 v44, v81, v38
	v_cndmask_b32_e32 v13, v39, v42, vcc
	s_add_i32 s24, s51, s48
	s_add_i32 s37, s3, s50
	s_mov_b32 s62, 0x1000504
	v_lshlrev_b32_e32 v40, 8, v77
	v_lshlrev_b32_e32 v41, 8, v41
	;; [unrolled: 1-line block ×4, first 2 shown]
	v_lshl_or_b32 v12, v12, 10, v13
	s_add_i32 s39, s24, s52
	s_lshl_b64 s[24:25], s[36:37], 2
	s_mov_b32 s63, 0x3020706
	v_or_b32_e32 v88, 0xa000, v45
	v_or_b32_e32 v89, 0xb000, v45
	;; [unrolled: 1-line block ×5, first 2 shown]
	v_xor_b32_e32 v13, 8, v12
	v_xor_b32_e32 v40, 24, v12
	;; [unrolled: 1-line block ×4, first 2 shown]
	s_add_u32 s3, s10, s24
	v_or_b32_e32 v94, v41, v43
	v_xor_b32_e32 v39, 16, v12
	v_xor_b32_e32 v41, 32, v12
	;; [unrolled: 1-line block ×3, first 2 shown]
	v_add_u32_e32 v13, 0x80, v13
	v_add_u32_e32 v40, 0x80, v40
	;; [unrolled: 1-line block ×4, first 2 shown]
	s_addc_u32 s26, s11, s25
	s_lshl_b64 s[24:25], s[38:39], 2
	s_add_u32 s42, s3, s24
	s_movk_i32 s3, 0xf8
	s_addc_u32 s43, s26, s25
	s_lshl_b32 s30, s19, 7
	s_movk_i32 s28, 0x100
	v_mov_b32_e32 v71, 0
	v_lshlrev_b32_e32 v70, 4, v77
	v_cmp_gt_u32_e32 vcc, s28, v0
	v_ashrrev_i32_e32 v69, 31, v68
	s_mov_b32 s64, 0
	s_movk_i32 s37, 0x1000
	s_movk_i32 s26, 0x4000
	v_lshl_add_u64 v[72:73], v[68:69], 1, s[8:9]
	s_waitcnt vmcnt(1)
	v_perm_b32 v45, v14, v30, s62
	s_waitcnt vmcnt(0)
	v_perm_b32 v46, v26, v34, s62
	v_perm_b32 v14, v14, v30, s63
	;; [unrolled: 1-line block ×15, first 2 shown]
	ds_write2st64_b32 v12, v45, v46 offset0:32 offset1:64
	ds_write2st64_b32 v13, v14, v26 offset0:32 offset1:64
	;; [unrolled: 1-line block ×8, first 2 shown]
	v_or_b32_e32 v12, v61, v77
	v_lshlrev_b32_e32 v12, 3, v12
	v_lshrrev_b32_e32 v15, 5, v63
	v_and_or_b32 v15, v12, s3, v15
	v_lshlrev_b32_e32 v15, 4, v15
	v_lshlrev_b32_e32 v17, 11, v1
	v_and_b32_e32 v12, 0x78, v12
	v_or_b32_e32 v28, 32, v15
	v_and_b32_e32 v14, 0x1000, v17
	v_lshrrev_b32_e32 v26, 1, v63
	v_xor_b32_e32 v28, v28, v12
	v_xor_b32_e32 v16, v15, v12
	v_and_b32_e32 v26, 8, v26
	v_or_b32_e32 v28, v28, v14
	v_or_b32_e32 v16, v16, v14
	v_lshlrev_b32_e32 v27, 7, v76
	v_xor_b32_e32 v98, v28, v26
	v_or_b32_e32 v28, 64, v15
	v_or_b32_e32 v15, 0x60, v15
	s_ashr_i32 s3, s2, 31
	v_xor_b32_e32 v96, v16, v26
	v_or_b32_e32 v16, v27, v38
	v_xor_b32_e32 v28, v28, v12
	v_xor_b32_e32 v12, v15, v12
	s_lshl_b64 s[24:25], s[2:3], 8
	v_lshlrev_b32_e32 v16, 1, v16
	v_or_b32_e32 v28, v28, v14
	v_or_b32_e32 v12, v12, v14
	s_add_u32 s24, s40, s24
	v_lshlrev_b32_e32 v14, 1, v77
	v_or_b32_e32 v97, 0xa000, v16
	v_or_b32_e32 v99, 0xa080, v16
	;; [unrolled: 1-line block ×4, first 2 shown]
	v_lshrrev_b32_e32 v16, 4, v0
	s_addc_u32 s25, s41, s25
	v_or_b32_e32 v15, 1, v14
	v_mov_b32_e32 v33, 0x4000
	v_mov_b32_e32 v34, 0x2000
	v_lshrrev_b32_e32 v35, 1, v0
	v_xor_b32_e32 v100, v28, v26
	v_xor_b32_e32 v101, v12, v26
	;; [unrolled: 1-line block ×4, first 2 shown]
	v_lshl_add_u64 v[14:15], s[24:25], 0, v[70:71]
	v_lshlrev_b32_e32 v70, 8, v16
	v_cndmask_b32_e32 v33, v33, v34, vcc
	v_lshlrev_b32_e32 v34, 3, v1
	v_and_b32_e32 v35, 24, v35
	v_lshl_or_b32 v104, v26, 3, v70
	v_and_b32_e32 v26, 8, v0
	v_xor_b32_e32 v36, v34, v35
	v_or_b32_e32 v37, 0x440, v36
	v_cmp_eq_u32_e32 vcc, 0, v26
	v_and_b32_e32 v16, 7, v0
	v_lshl_or_b32 v105, v30, 3, v70
	v_cndmask_b32_e32 v26, v37, v36, vcc
	v_lshlrev_b32_e32 v30, 3, v16
	v_lshlrev_b32_e32 v32, 2, v0
	v_or_b32_e32 v26, v26, v17
	v_xor_b32_e32 v36, v26, v30
	v_and_or_b32 v26, v32, 60, v27
	v_mov_b32_e32 v27, 0xb000
	v_lshl_or_b32 v106, v26, 1, v27
	v_or_b32_e32 v26, 32, v35
	v_xor_b32_e32 v26, v34, v26
	v_or_b32_e32 v27, 0x440, v26
	v_cndmask_b32_e32 v26, v27, v26, vcc
	v_or_b32_e32 v26, v26, v17
	v_xor_b32_e32 v27, v26, v30
	v_or_b32_e32 v26, 64, v35
	v_xor_b32_e32 v26, v34, v26
	v_xor_b32_e32 v38, 0x440, v26
	v_cndmask_b32_e32 v26, v38, v26, vcc
	v_or_b32_e32 v26, v26, v17
	v_xor_b32_e32 v38, v26, v30
	v_or_b32_e32 v26, 0x60, v35
	v_xor_b32_e32 v26, v34, v26
	v_xor_b32_e32 v34, 0x440, v26
	v_cndmask_b32_e32 v26, v34, v26, vcc
	v_lshrrev_b32_e32 v13, 2, v63
	v_or_b32_e32 v17, v26, v17
	v_and_b32_e32 v13, 12, v13
	v_xor_b32_e32 v17, v17, v30
	v_lshlrev_b32_e32 v12, 7, v80
	v_lshlrev_b32_e32 v28, 1, v11
	v_add_lshl_u32 v11, v11, s19, 1
	v_or_b32_e32 v29, 0x100, v10
	v_lshlrev_b32_e32 v31, 7, v16
	v_or_b32_e32 v16, v13, v61
	v_add_u32_e32 v37, v33, v36
	v_add_u32_e32 v32, v33, v27
	;; [unrolled: 1-line block ×4, first 2 shown]
	v_or3_b32 v26, v61, v13, 64
	v_add_u32_e32 v13, 0x4000, v36
	v_add_u32_e32 v27, 0x4000, v27
	;; [unrolled: 1-line block ×4, first 2 shown]
	v_cndmask_b32_e64 v107, v28, v10, s[0:1]
	v_cndmask_b32_e64 v108, v11, v29, s[0:1]
	v_lshl_add_u64 v[74:75], v[14:15], 0, v[70:71]
	s_mov_b32 s3, 0x7060302
	v_lshlrev_b32_e32 v70, 1, v12
	v_lshlrev_b32_e32 v69, 2, v16
	v_add_u32_e32 v109, v37, v31
	v_add_u32_e32 v110, v32, v31
	;; [unrolled: 1-line block ×4, first 2 shown]
	v_lshlrev_b32_e32 v113, 2, v26
	v_add_u32_e32 v114, v13, v31
	v_add_u32_e32 v115, v27, v31
	;; [unrolled: 1-line block ×4, first 2 shown]
	s_waitcnt lgkmcnt(0)
	s_barrier
.LBB402_7:                              ; =>This Inner Loop Header: Depth=1
	s_add_i32 s39, s64, 1
	s_cmp_lt_i32 s39, s53
	s_mov_b64 s[28:29], 0
	s_cselect_b64 s[44:45], -1, 0
	s_cmp_ge_i32 s39, s53
	s_mov_b64 s[24:25], 0
	s_cbranch_scc1 .LBB402_9
; %bb.8:                                ;   in Loop: Header=BB402_7 Depth=1
	s_add_i32 s0, s59, 64
	s_ashr_i32 s1, s0, 31
	s_add_u32 s0, s58, s0
	s_addc_u32 s1, s57, s1
	s_lshl_b64 s[0:1], s[0:1], 8
	s_add_u32 s24, s6, s0
	s_addc_u32 s25, s7, s1
.LBB402_9:                              ;   in Loop: Header=BB402_7 Depth=1
	v_cndmask_b32_e64 v10, 0, 1, s[44:45]
	v_cmp_ne_u32_e64 s[0:1], 1, v10
	s_andn2_b64 vcc, exec, s[44:45]
	s_cbranch_vccnz .LBB402_11
; %bb.10:                               ;   in Loop: Header=BB402_7 Depth=1
	s_add_i32 s28, s59, 64
	s_mul_hi_i32 s29, s28, s18
	s_mul_i32 s28, s28, s18
	s_add_u32 s28, s28, s55
	s_addc_u32 s29, s29, s60
	s_lshl_b64 s[28:29], s[28:29], 8
	s_add_u32 s28, s4, s28
	s_addc_u32 s29, s5, s29
.LBB402_11:                             ;   in Loop: Header=BB402_7 Depth=1
	v_perm_b32 v11, v5, v4, s3
	v_perm_b32 v10, v3, v2, s3
	;; [unrolled: 1-line block ×4, first 2 shown]
	ds_write_b64 v88, v[10:11]
	ds_write_b64 v89, v[12:13]
	;; [unrolled: 1-line block ×4, first 2 shown]
	v_perm_b32 v11, v21, v20, s3
	v_perm_b32 v10, v19, v18, s3
	;; [unrolled: 1-line block ×4, first 2 shown]
	ds_write_b64 v90, v[10:11]
	ds_write_b64 v91, v[12:13]
	;; [unrolled: 1-line block ×4, first 2 shown]
	s_waitcnt lgkmcnt(0)
	s_barrier
	ds_read_b64 v[14:15], v96 offset:24576
	ds_read2_b64 v[10:13], v97 offset1:16
	ds_read_b64 v[26:27], v99 offset:3072
	ds_read_b64 v[28:29], v97 offset:3072
	;; [unrolled: 1-line block ×3, first 2 shown]
	s_waitcnt lgkmcnt(3)
	v_mfma_f32_16x16x16_bf16 a[0:3], v[14:15], v[10:11], 0
	s_add_i32 s65, s59, 63
	s_ashr_i32 s31, s65, 31
	s_mul_i32 s44, s65, s23
	v_mfma_f32_16x16x16_bf16 a[4:7], v[14:15], v[12:13], 0
	ds_read2st64_b64 v[10:13], v97 offset0:2 offset1:4
	s_mul_hi_u32 s45, s65, s22
	s_add_i32 s44, s45, s44
	s_waitcnt lgkmcnt(0)
	v_mfma_f32_16x16x16_bf16 a[0:3], v[30:31], v[10:11], a[0:3]
	ds_read2st64_b64 v[14:17], v99 offset0:2 offset1:4
	ds_read_b64 v[10:11], v100 offset:24576
	s_mul_i32 s31, s31, s22
	s_add_i32 s45, s44, s31
	s_waitcnt lgkmcnt(1)
	v_mfma_f32_16x16x16_bf16 a[4:7], v[30:31], v[14:15], a[4:7]
	ds_read_b64 v[14:15], v101 offset:24576
	s_mul_i32 s44, s65, s22
	s_lshl_b64 s[44:45], s[44:45], 2
	s_waitcnt lgkmcnt(1)
	v_mfma_f32_16x16x16_bf16 a[0:3], v[10:11], v[12:13], a[0:3]
	s_add_u32 s44, s42, s44
	s_addc_u32 s45, s43, s45
	s_and_b64 vcc, exec, s[0:1]
	v_mfma_f32_16x16x16_bf16 a[4:7], v[10:11], v[16:17], a[4:7]
	v_mov_b32_e32 v120, 0
	v_mov_b32_e32 v119, 0
	;; [unrolled: 1-line block ×3, first 2 shown]
	s_waitcnt lgkmcnt(0)
	v_mfma_f32_16x16x16_bf16 a[0:3], v[14:15], v[28:29], a[0:3]
	v_mov_b32_e32 v10, 0
	v_mov_b32_e32 v11, 0
	;; [unrolled: 1-line block ×3, first 2 shown]
	v_mfma_f32_16x16x16_bf16 a[4:7], v[14:15], v[26:27], a[4:7]
	v_mov_b32_e32 v13, 0
	v_mov_b32_e32 v14, 0
	v_mov_b32_e32 v15, 0
	v_mov_b32_e32 v16, 0
	v_mov_b32_e32 v17, 0
	v_mov_b32_e32 v26, 0
	v_mov_b32_e32 v27, 0
	v_mov_b32_e32 v28, 0
	v_mov_b32_e32 v29, 0
	v_mov_b32_e32 v30, 0
	v_mov_b32_e32 v31, 0
	v_mov_b32_e32 v32, 0
	v_mov_b32_e32 v33, 0
	s_cbranch_vccnz .LBB402_13
; %bb.12:                               ;   in Loop: Header=BB402_7 Depth=1
	s_and_b32 s25, s25, 0xffff
	buffer_load_dwordx4 v[30:33], v84, s[24:27], 0 offen
	buffer_load_dwordx4 v[26:29], v84, s[24:27], s61 offen
	;; [unrolled: 1-line block ×4, first 2 shown]
	v_mov_b32_e32 v119, v86
	v_mov_b32_e32 v118, v87
.LBB402_13:                             ;   in Loop: Header=BB402_7 Depth=1
	ds_read_b64 v[38:39], v96 offset:32768
	ds_read2_b64 v[34:37], v102 offset1:16
	ds_read_b64 v[42:43], v98 offset:32768
	ds_read_b64 v[44:45], v100 offset:32768
	;; [unrolled: 1-line block ×3, first 2 shown]
	v_add_u32_e32 v50, s59, v80
	s_waitcnt lgkmcnt(3)
	v_mfma_f32_16x16x16_bf16 a[0:3], v[38:39], v[34:35], a[0:3]
	v_mov_b32_e32 v121, 0
	v_mfma_f32_16x16x16_bf16 a[4:7], v[38:39], v[36:37], a[4:7]
	ds_read2st64_b64 v[34:37], v102 offset0:2 offset1:4
	ds_read2st64_b64 v[38:41], v103 offset0:2 offset1:4
	s_waitcnt lgkmcnt(1)
	v_mfma_f32_16x16x16_bf16 a[0:3], v[42:43], v[34:35], a[0:3]
	ds_read_b64 v[34:35], v102 offset:3072
	ds_read_b64 v[48:49], v103 offset:3072
	s_waitcnt lgkmcnt(2)
	v_mfma_f32_16x16x16_bf16 a[4:7], v[42:43], v[38:39], a[4:7]
	v_ashrrev_i32_e32 v38, 31, v50
	v_mul_lo_u32 v39, v50, s23
	v_mul_lo_u32 v38, v38, s22
	v_mfma_f32_16x16x16_bf16 a[0:3], v[44:45], v[36:37], a[0:3]
	v_mad_u64_u32 v[36:37], s[24:25], v50, s22, 0
	v_add3_u32 v37, v37, v39, v38
	v_add_u32_e32 v38, 1, v50
	v_ashrrev_i32_e32 v39, 31, v38
	v_mfma_f32_16x16x16_bf16 a[4:7], v[44:45], v[40:41], a[4:7]
	v_mul_lo_u32 v39, v39, s22
	v_mul_lo_u32 v40, v38, s23
	v_lshl_add_u64 v[36:37], v[36:37], 2, s[42:43]
	s_waitcnt lgkmcnt(1)
	v_mfma_f32_16x16x16_bf16 a[0:3], v[46:47], v[34:35], a[0:3]
	v_mad_u64_u32 v[34:35], s[24:25], v38, s22, 0
	v_add_u32_e32 v38, 2, v50
	v_add3_u32 v35, v35, v40, v39
	v_ashrrev_i32_e32 v39, 31, v38
	v_mul_lo_u32 v40, v39, s22
	v_mul_lo_u32 v41, v38, s23
	v_mad_u64_u32 v[38:39], s[24:25], v38, s22, 0
	v_add3_u32 v39, v39, v41, v40
	v_add_u32_e32 v40, 3, v50
	v_ashrrev_i32_e32 v41, 31, v40
	v_mul_lo_u32 v42, v41, s22
	v_mul_lo_u32 v43, v40, s23
	v_mad_u64_u32 v[40:41], s[24:25], v40, s22, 0
	v_add3_u32 v41, v41, v43, v42
	v_lshl_add_u64 v[40:41], v[40:41], 2, s[42:43]
	s_ashr_i32 s25, s59, 31
	v_lshl_add_u64 v[34:35], v[34:35], 2, s[42:43]
	v_lshl_add_u64 v[38:39], v[38:39], 2, s[42:43]
	global_load_dword v42, v[36:37], off
	global_load_dword v43, v[34:35], off
	;; [unrolled: 1-line block ×3, first 2 shown]
	s_nop 0
	global_load_dword v41, v[40:41], off
	s_add_u32 s24, s58, s59
	s_addc_u32 s25, s57, s25
	s_lshl_b64 s[24:25], s[24:25], 8
	v_lshl_add_u64 v[34:35], v[72:73], 0, s[24:25]
	v_lshl_add_u64 v[34:35], v[34:35], 0, v[70:71]
	global_load_ushort v45, v[34:35], off
	global_load_ushort v50, v[34:35], off offset:256
	global_load_ushort v51, v[34:35], off offset:800
	global_load_ushort v52, v[34:35], off offset:768
	global_load_ushort v53, v[34:35], off offset:544
	global_load_ushort v54, v[34:35], off offset:512
	global_load_ushort v55, v[34:35], off offset:288
	global_load_ushort v56, v[34:35], off offset:32
	s_load_dword s24, s[44:45], 0x0
	s_waitcnt lgkmcnt(0)
	v_mfma_f32_16x16x16_bf16 a[4:7], v[46:47], v[48:49], a[4:7]
	v_accvgpr_read_b32 v39, a1
	v_accvgpr_read_b32 v35, a3
	;; [unrolled: 1-line block ×4, first 2 shown]
	s_and_b64 vcc, exec, s[0:1]
	s_waitcnt vmcnt(11)
	v_sub_f32_e32 v40, s24, v42
	s_waitcnt vmcnt(10)
	v_sub_f32_e32 v48, s24, v43
	;; [unrolled: 2-line block ×4, first 2 shown]
	v_exp_f32_e32 v40, v40
	v_exp_f32_e32 v41, v48
	;; [unrolled: 1-line block ×4, first 2 shown]
	s_waitcnt vmcnt(6)
	v_lshlrev_b32_e32 v43, 16, v50
	v_lshlrev_b32_e32 v42, 16, v45
	s_waitcnt vmcnt(4)
	v_lshlrev_b32_e32 v45, 16, v52
	s_waitcnt vmcnt(2)
	v_lshlrev_b32_e32 v44, 16, v54
	v_pk_add_f32 v[38:39], v[42:43], v[38:39] neg_lo:[0,1] neg_hi:[0,1]
	v_pk_add_f32 v[34:35], v[44:45], v[34:35] neg_lo:[0,1] neg_hi:[0,1]
	v_pk_mul_f32 v[38:39], v[40:41], v[38:39]
	v_pk_mul_f32 v[34:35], v[48:49], v[34:35]
	s_waitcnt vmcnt(1)
	v_lshlrev_b32_e32 v47, 16, v55
	v_perm_b32 v35, v35, v34, s3
	v_perm_b32 v34, v39, v38, s3
	v_accvgpr_read_b32 v39, a5
	s_waitcnt vmcnt(0)
	v_lshlrev_b32_e32 v46, 16, v56
	v_accvgpr_read_b32 v38, a4
	v_pk_add_f32 v[38:39], v[46:47], v[38:39] neg_lo:[0,1] neg_hi:[0,1]
	v_accvgpr_read_b32 v37, a7
	v_accvgpr_read_b32 v36, a6
	v_pk_mul_f32 v[38:39], v[40:41], v[38:39]
	v_lshlrev_b32_e32 v41, 16, v51
	v_lshlrev_b32_e32 v40, 16, v53
	v_pk_add_f32 v[36:37], v[40:41], v[36:37] neg_lo:[0,1] neg_hi:[0,1]
	v_mov_b32_e32 v40, 0
	v_pk_mul_f32 v[36:37], v[48:49], v[36:37]
	v_mov_b32_e32 v41, 0
	v_perm_b32 v37, v37, v36, s3
	v_perm_b32 v36, v39, v38, s3
	ds_write2_b64 v89, v[34:35], v[36:37] offset1:16
	v_mov_b32_e32 v34, 0
	v_mov_b32_e32 v35, 0
	;; [unrolled: 1-line block ×14, first 2 shown]
	s_cbranch_vccnz .LBB402_15
; %bb.14:                               ;   in Loop: Header=BB402_7 Depth=1
	s_and_b32 s29, s29, 0xffff
	s_mov_b32 s31, s27
	buffer_load_dwordx4 v[46:49], v107, s[28:31], 0 offen
	buffer_load_dwordx4 v[38:41], v107, s[28:31], s61 offen
	;; [unrolled: 1-line block ×4, first 2 shown]
	v_mov_b32_e32 v120, v83
	v_mov_b32_e32 v121, v82
.LBB402_15:                             ;   in Loop: Header=BB402_7 Depth=1
	s_waitcnt lgkmcnt(0)
	s_barrier
	ds_read_b64 v[54:55], v109
	ds_read_b64 v[126:127], v106
	;; [unrolled: 1-line block ×5, first 2 shown]
	ds_read_b64 v[140:141], v103 offset:3072
	ds_read2_b64 v[50:53], v102 offset0:16 offset1:128
	s_waitcnt lgkmcnt(5)
	v_mfma_f32_16x16x16_bf16 a[0:3], v[54:55], v[126:127], 0
	s_add_i32 s25, s56, s64
	s_mul_hi_i32 s29, s25, s17
	s_mul_i32 s25, s25, s17
	s_waitcnt lgkmcnt(0)
	v_mfma_f32_16x16x16_bf16 a[4:7], v[54:55], v[50:51], 0
	ds_read_b64 v[54:55], v114
	ds_read2st64_b64 v[56:59], v103 offset0:2 offset1:4
	s_add_u32 s28, s25, s33
	s_addc_u32 s29, s29, s46
	s_lshl_b64 s[28:29], s[28:29], 15
	s_mul_i32 s31, s65, s17
	s_mul_hi_i32 s25, s65, s17
	s_add_u32 s44, s31, s33
	s_waitcnt lgkmcnt(1)
	v_mfma_f32_16x16x16_bf16 a[8:11], v[54:55], v[126:127], 0
	s_addc_u32 s45, s25, s46
	ds_read2st64_b64 v[122:125], v102 offset0:4 offset1:6
	s_lshl_b64 s[44:45], s[44:45], 9
	v_mfma_f32_16x16x16_bf16 a[0:3], v[128:129], v[52:53], a[0:3]
	s_add_u32 s44, s20, s44
	s_addc_u32 s45, s21, s45
	s_waitcnt lgkmcnt(1)
	v_mfma_f32_16x16x16_bf16 a[4:7], v[128:129], v[56:57], a[4:7]
	ds_read_b64 v[128:129], v115
	ds_read_b64 v[136:137], v116
	;; [unrolled: 1-line block ×3, first 2 shown]
	v_mfma_f32_16x16x16_bf16 a[12:15], v[54:55], v[50:51], 0
	s_waitcnt lgkmcnt(2)
	v_mfma_f32_16x16x16_bf16 a[8:11], v[128:129], v[52:53], a[8:11]
	global_load_dwordx4 v[50:53], v113, s[44:45]
	v_mfma_f32_16x16x16_bf16 a[12:15], v[128:129], v[56:57], a[12:15]
	global_load_dwordx4 v[54:57], v69, s[44:45]
	ds_read2st64_b64 v[126:129], v104 offset1:8
	s_waitcnt lgkmcnt(0)
	v_mov_b32_e32 v134, v126
	v_mfma_f32_16x16x16_bf16 a[0:3], v[130:131], v[122:123], a[0:3]
	v_mov_b32_e32 v135, v127
	v_mfma_f32_16x16x16_bf16 a[4:7], v[130:131], v[58:59], a[4:7]
	ds_read2st64_b64 v[130:133], v105 offset1:8
	v_mfma_f32_16x16x16_bf16 a[8:11], v[136:137], v[122:123], a[8:11]
	v_lshl_add_u64 v[122:123], v[74:75], 0, s[28:29]
	v_mfma_f32_16x16x16_bf16 a[16:19], v[136:137], v[58:59], a[12:15]
	v_add_co_u32_e32 v58, vcc, s37, v122
	s_waitcnt lgkmcnt(0)
	v_mov_b32_e32 v136, v130
	v_mfma_f32_16x16x16_bf16 a[0:3], v[138:139], v[124:125], a[0:3]
	v_mov_b32_e32 v137, v131
	v_mov_b32_e32 v130, v128
	;; [unrolled: 1-line block ×3, first 2 shown]
	v_mfma_f32_16x16x16_bf16 a[4:7], v[138:139], v[140:141], a[4:7]
	v_addc_co_u32_e32 v59, vcc, 0, v123, vcc
	global_store_dwordx4 v[58:59], v[130:133], off
	v_mfma_f32_16x16x16_bf16 a[12:15], v[142:143], v[124:125], a[8:11]
	s_and_b64 vcc, exec, s[0:1]
	global_store_dwordx4 v[122:123], v[134:137], off
	s_waitcnt vmcnt(3)
	v_mov_b32_e32 v60, v53
	v_mfma_f32_16x16x16_bf16 a[8:11], v[142:143], v[140:141], a[16:19]
	v_mov_b32_e32 v59, v52
	v_mov_b32_e32 v58, v51
	s_cbranch_vccnz .LBB402_17
; %bb.16:                               ;   in Loop: Header=BB402_7 Depth=1
	v_lshrrev_b32_e32 v51, 3, v120
	v_and_b32_e32 v51, 6, v51
	v_xor_b32_e32 v52, v51, v121
	v_lshlrev_b32_e32 v52, 2, v52
	v_and_b32_e32 v53, 8, v120
	v_xor_b32_e32 v120, 0x440, v52
	v_cmp_eq_u32_e32 vcc, 0, v53
	v_perm_b32 v53, v38, v34, s62
	s_nop 0
	v_cndmask_b32_e32 v52, v120, v52, vcc
	v_lshl_or_b32 v51, v51, 10, v52
	v_perm_b32 v52, v46, v42, s62
	s_barrier
	ds_write2st64_b32 v51, v52, v53 offset0:32 offset1:64
	v_xor_b32_e32 v52, 8, v51
	v_perm_b32 v42, v46, v42, s63
	v_perm_b32 v34, v38, v34, s63
	v_add_u32_e32 v38, 0x80, v52
	ds_write2st64_b32 v38, v42, v34 offset0:32 offset1:64
	v_xor_b32_e32 v34, 16, v51
	v_perm_b32 v38, v47, v43, s62
	v_perm_b32 v42, v39, v35, s62
	ds_write2st64_b32 v34, v38, v42 offset0:33 offset1:65
	v_xor_b32_e32 v34, 24, v51
	v_perm_b32 v38, v47, v43, s63
	v_perm_b32 v35, v39, v35, s63
	v_add_u32_e32 v34, 0x80, v34
	ds_write2st64_b32 v34, v38, v35 offset0:33 offset1:65
	v_xor_b32_e32 v34, 32, v51
	v_perm_b32 v35, v48, v44, s62
	v_perm_b32 v38, v40, v36, s62
	;; [unrolled: 9-line block ×3, first 2 shown]
	ds_write2st64_b32 v34, v35, v36 offset0:35 offset1:67
	v_xor_b32_e32 v34, 56, v51
	v_perm_b32 v35, v49, v45, s63
	v_perm_b32 v36, v41, v37, s63
	v_add_u32_e32 v34, 0x80, v34
	ds_write2st64_b32 v34, v35, v36 offset0:35 offset1:67
	ds_write_b64 v119, v[30:31] offset:24576
	v_xor_b32_e32 v30, 8, v119
	ds_write_b64 v30, v[32:33] offset:24576
	ds_write_b64 v119, v[26:27] offset:32768
	ds_write_b64 v30, v[28:29] offset:32768
	ds_write_b64 v118, v[14:15] offset:24576
	v_xor_b32_e32 v14, 8, v118
	ds_write_b64 v14, v[16:17] offset:24576
	ds_write_b64 v118, v[10:11] offset:32768
	;; [unrolled: 1-line block ×3, first 2 shown]
.LBB402_17:                             ;   in Loop: Header=BB402_7 Depth=1
	v_exp_f32_e32 v34, s24
	s_waitcnt vmcnt(2)
	v_exp_f32_e32 v36, v54
	v_exp_f32_e32 v37, v55
	;; [unrolled: 1-line block ×4, first 2 shown]
	v_accvgpr_read_b32 v29, a3
	v_accvgpr_read_b32 v27, a1
	v_accvgpr_read_b32 v26, a0
	v_accvgpr_read_b32 v13, a7
	v_pk_mul_f32 v[36:37], v[34:35], v[36:37] op_sel_hi:[0,1]
	v_accvgpr_read_b32 v28, a2
	v_accvgpr_read_b32 v11, a5
	;; [unrolled: 1-line block ×3, first 2 shown]
	v_pk_fma_f32 v[2:3], v[2:3], v[36:37], v[26:27]
	v_pk_mul_f32 v[26:27], v[34:35], v[38:39] op_sel_hi:[0,1]
	v_pk_fma_f32 v[4:5], v[4:5], v[26:27], v[28:29]
	v_fma_f32 v18, v18, v36, v10
	v_fma_f32 v19, v19, v37, v11
	v_exp_f32_e32 v10, v50
	v_exp_f32_e32 v11, v58
	;; [unrolled: 1-line block ×4, first 2 shown]
	v_accvgpr_read_b32 v12, a6
	v_accvgpr_read_b32 v33, a15
	;; [unrolled: 1-line block ×9, first 2 shown]
	v_fma_f32 v20, v20, v26, v12
	v_fmac_f32_e32 v13, v21, v27
	v_pk_mul_f32 v[10:11], v[34:35], v[10:11] op_sel_hi:[0,1]
	v_pk_mul_f32 v[26:27], v[34:35], v[28:29] op_sel_hi:[0,1]
	s_add_i32 s59, s59, 64
	v_pk_fma_f32 v[6:7], v[6:7], v[10:11], v[30:31]
	v_pk_fma_f32 v[8:9], v[8:9], v[26:27], v[32:33]
	v_fma_f32 v22, v22, v10, v14
	v_fma_f32 v23, v23, v11, v15
	;; [unrolled: 1-line block ×3, first 2 shown]
	s_cmp_eq_u32 s53, s39
	v_fmac_f32_e32 v17, v25, v27
	s_cbranch_scc1 .LBB402_19
; %bb.18:                               ;   in Loop: Header=BB402_7 Depth=1
	s_mov_b32 s64, s39
	v_mov_b32_e32 v21, v13
	v_mov_b32_e32 v25, v17
	s_branch .LBB402_7
.LBB402_19:
	v_mov_b32_e32 v16, v24
	v_mov_b32_e32 v15, v23
	v_mov_b32_e32 v14, v22
.LBB402_20:
	s_lshl_b32 s0, s53, 6
	s_sub_i32 s44, s54, s0
	v_mov_b32_e32 v12, v20
	v_mov_b32_e32 v11, v19
	;; [unrolled: 1-line block ×3, first 2 shown]
	s_cmp_gt_i32 s44, 0
	s_cbranch_scc0 .LBB402_85
; %bb.21:
	s_add_i32 s34, s0, s34
	s_ashr_i32 s3, s34, 31
	s_cmpk_lg_i32 s19, 0x80
	s_cselect_b64 s[30:31], -1, 0
	s_and_b64 vcc, exec, s[30:31]
	s_cbranch_vccz .LBB402_23
; %bb.22:
	s_mul_hi_i32 s0, s34, s18
	s_mul_i32 s1, s34, s18
	s_ashr_i32 s18, s55, 31
	s_add_u32 s42, s1, s55
	s_addc_u32 s43, s0, s18
	s_cbranch_execz .LBB402_24
	s_branch .LBB402_25
.LBB402_23:
                                        ; implicit-def: $sgpr42_sgpr43
.LBB402_24:
	s_mul_i32 s1, s55, s16
	s_mul_hi_i32 s0, s55, s16
	s_add_u32 s42, s1, s34
	s_addc_u32 s43, s0, s3
.LBB402_25:
	s_waitcnt lgkmcnt(0)
	s_add_i32 s16, s53, s56
	s_add_u32 s0, s58, s34
	v_lshlrev_b32_e32 v22, 5, v80
	v_lshlrev_b32_e32 v38, 2, v77
	s_addc_u32 s1, s57, s3
	s_mov_b32 s3, 0x7060302
	v_or_b32_e32 v25, v22, v38
	v_xor_b32_e32 v23, v80, v38
	v_perm_b32 v19, v5, v4, s3
	v_perm_b32 v18, v3, v2, s3
	v_perm_b32 v21, v9, v8, s3
	v_perm_b32 v20, v7, v6, s3
	v_lshlrev_b32_e32 v25, 1, v25
	v_xor_b32_e32 v24, v81, v38
	ds_write2st64_b64 v25, v[18:19], v[20:21] offset0:80 offset1:88
	v_lshlrev_b32_e32 v23, 1, v23
	v_lshlrev_b32_e32 v25, 8, v77
	s_lshl_b64 s[28:29], s[0:1], 8
	v_or_b32_e32 v26, v23, v25
	v_lshlrev_b32_e32 v24, 1, v24
	s_add_u32 s0, s6, s28
	ds_write_b64 v26, v[18:19]
	v_or_b32_e32 v18, v24, v25
	s_addc_u32 s1, s7, s29
	ds_write_b64 v18, v[20:21]
	v_perm_b32 v19, v13, v12, s3
	v_perm_b32 v18, v11, v10, s3
	;; [unrolled: 1-line block ×4, first 2 shown]
	v_or_b32_e32 v25, 16, v77
	s_mul_hi_i32 s3, s16, s17
	s_mul_i32 s16, s16, s17
	v_lshlrev_b32_e32 v35, 2, v25
	s_add_u32 s6, s16, s33
	v_or_b32_e32 v22, v22, v35
	s_addc_u32 s7, s3, s46
	v_lshlrev_b32_e32 v22, 1, v22
	s_ashr_i32 s3, s2, 31
	s_lshl_b64 s[6:7], s[6:7], 15
	ds_write2st64_b64 v22, v[18:19], v[20:21] offset0:80 offset1:88
	v_lshlrev_b32_e32 v22, 8, v25
	s_add_u32 s6, s40, s6
	v_or_b32_e32 v23, v23, v22
	s_addc_u32 s7, s41, s7
	s_lshl_b64 s[2:3], s[2:3], 8
	ds_write_b64 v23, v[18:19]
	v_or_b32_e32 v18, v24, v22
	s_add_u32 s2, s6, s2
	ds_write_b64 v18, v[20:21]
	v_lshrrev_b32_e32 v18, 4, v0
	s_addc_u32 s3, s7, s3
	v_lshlrev_b32_e32 v19, 1, v77
	v_lshlrev_b32_e32 v26, 4, v77
	v_mov_b32_e32 v27, 0
	v_or_b32_e32 v20, 1, v19
	v_xor_b32_e32 v19, v18, v19
	v_lshl_add_u64 v[28:29], s[2:3], 0, v[26:27]
	v_lshlrev_b32_e32 v26, 8, v18
	v_xor_b32_e32 v22, v20, v18
	v_lshl_or_b32 v18, v19, 3, v26
	s_waitcnt lgkmcnt(0)
	s_barrier
	ds_read2st64_b64 v[18:21], v18 offset1:8
	v_lshl_or_b32 v22, v22, 3, v26
	ds_read2st64_b64 v[22:25], v22 offset1:8
	v_lshl_add_u64 v[30:31], v[28:29], 0, v[26:27]
	s_movk_i32 s2, 0x1000
	s_waitcnt lgkmcnt(1)
	v_mov_b32_e32 v26, v18
	v_add_co_u32_e32 v18, vcc, s2, v30
	s_cmp_lg_u32 s44, 64
	v_mov_b32_e32 v27, v19
	v_addc_co_u32_e32 v19, vcc, 0, v31, vcc
	s_cselect_b64 s[6:7], -1, 0
	v_lshl_or_b32 v42, v1, 3, v79
	s_waitcnt lgkmcnt(0)
	v_mov_b32_e32 v28, v22
	v_mov_b32_e32 v29, v23
	v_mov_b32_e32 v22, v20
	v_mov_b32_e32 v23, v21
	s_mov_b32 s24, 0
	v_or_b32_e32 v36, 32, v42
	v_and_b32_e32 v34, 56, v78
	s_and_b64 vcc, exec, s[6:7]
	global_store_dwordx4 v[30:31], v[26:29], off
	global_store_dwordx4 v[18:19], v[22:25], off
	s_cbranch_vccz .LBB402_31
; %bb.26:
	s_mov_b32 s25, s24
	s_mov_b32 s26, s24
	;; [unrolled: 1-line block ×3, first 2 shown]
	v_mov_b64_e32 v[22:23], s[24:25]
	v_mov_b64_e32 v[24:25], s[26:27]
	;; [unrolled: 1-line block ×3, first 2 shown]
	v_cmp_gt_i32_e32 vcc, s44, v42
	v_mov_b64_e32 v[20:21], v[24:25]
	s_and_saveexec_b64 s[2:3], vcc
	s_cbranch_execz .LBB402_28
; %bb.27:
	v_lshlrev_b32_e32 v18, 8, v42
	v_mov_b32_e32 v19, 0
	v_lshl_add_u64 v[20:21], s[0:1], 0, v[18:19]
	v_lshlrev_b32_e32 v18, 1, v34
	v_lshl_add_u64 v[26:27], v[20:21], 0, v[18:19]
	global_load_dwordx4 v[22:25], v[26:27], off
	global_load_dwordx4 v[18:21], v[26:27], off offset:128
.LBB402_28:
	s_or_b64 exec, exec, s[2:3]
	s_mov_b32 s26, s24
	s_mov_b32 s27, s24
	;; [unrolled: 1-line block ×3, first 2 shown]
	v_mov_b64_e32 v[32:33], s[26:27]
	v_mov_b64_e32 v[30:31], s[24:25]
	;; [unrolled: 1-line block ×3, first 2 shown]
	v_cmp_gt_i32_e32 vcc, s44, v36
	v_lshlrev_b32_e32 v37, 7, v36
	v_mov_b64_e32 v[28:29], v[32:33]
	s_and_saveexec_b64 s[2:3], vcc
	s_cbranch_execz .LBB402_30
; %bb.29:
	v_lshlrev_b32_e32 v26, 1, v37
	v_mov_b32_e32 v27, 0
	v_lshl_add_u64 v[28:29], s[0:1], 0, v[26:27]
	v_lshlrev_b32_e32 v26, 1, v34
	v_lshl_add_u64 v[40:41], v[28:29], 0, v[26:27]
	global_load_dwordx4 v[30:33], v[40:41], off
	global_load_dwordx4 v[26:29], v[40:41], off offset:128
.LBB402_30:
	s_or_b64 exec, exec, s[2:3]
	v_lshrrev_b32_e32 v39, 3, v34
	v_lshlrev_b32_e32 v40, 3, v42
	v_or_b32_e32 v39, v40, v39
	v_lshlrev_b32_e32 v39, 4, v39
	v_and_b32_e32 v40, 0x78, v40
	v_xor_b32_e32 v39, v39, v40
	s_branch .LBB402_33
.LBB402_31:
                                        ; implicit-def: $vgpr39
                                        ; implicit-def: $vgpr37
                                        ; implicit-def: $vgpr22_vgpr23_vgpr24_vgpr25
                                        ; implicit-def: $vgpr18_vgpr19_vgpr20_vgpr21
                                        ; implicit-def: $vgpr30_vgpr31_vgpr32_vgpr33
                                        ; implicit-def: $vgpr26_vgpr27_vgpr28_vgpr29
	s_cbranch_execz .LBB402_33
; %bb.32:
	s_waitcnt vmcnt(0)
	v_lshlrev_b32_e32 v18, 1, v34
	v_lshl_or_b32 v37, v42, 8, v18
	s_and_b32 s1, s1, 0xffff
	s_mov_b32 s3, 0x20000
	s_movk_i32 s2, 0x4000
	v_lshl_or_b32 v39, v36, 8, v18
	s_movk_i32 s16, 0x80
	buffer_load_dwordx4 v[22:25], v37, s[0:3], 0 offen
	buffer_load_dwordx4 v[18:21], v37, s[0:3], s16 offen
	;; [unrolled: 1-line block ×4, first 2 shown]
	v_lshrrev_b32_e32 v37, 3, v34
	v_lshlrev_b32_e32 v39, 3, v42
	v_or_b32_e32 v37, v39, v37
	v_lshlrev_b32_e32 v37, 4, v37
	v_and_b32_e32 v39, 0x78, v39
	v_xor_b32_e32 v39, v37, v39
	v_lshlrev_b32_e32 v37, 7, v36
.LBB402_33:
	s_lshl_b64 s[0:1], s[42:43], 8
	s_add_u32 s4, s4, s0
	s_movk_i32 s0, 0x1000
	v_and_or_b32 v36, v37, s0, v39
	s_waitcnt vmcnt(1)
	ds_write_b64 v39, v[22:23] offset:24576
	v_xor_b32_e32 v22, 8, v39
	ds_write_b64 v22, v[24:25] offset:24576
	s_waitcnt vmcnt(0)
	ds_write_b64 v39, v[18:19] offset:32768
	ds_write_b64 v22, v[20:21] offset:32768
	;; [unrolled: 1-line block ×3, first 2 shown]
	v_xor_b32_e32 v18, 8, v36
	ds_write_b64 v18, v[32:33] offset:24576
	ds_write_b64 v36, v[26:27] offset:32768
	ds_write_b64 v18, v[28:29] offset:32768
	v_or_b32_e32 v18, v61, v77
	v_lshlrev_b32_e32 v18, 3, v18
	v_lshrrev_b32_e32 v19, 5, v63
	s_movk_i32 s2, 0xf8
	v_and_or_b32 v19, v18, s2, v19
	v_lshlrev_b32_e32 v23, 4, v19
	v_lshlrev_b32_e32 v39, 11, v1
	v_and_b32_e32 v24, 0x78, v18
	v_or_b32_e32 v26, 32, v23
	v_and_b32_e32 v22, 0x1000, v39
	v_lshrrev_b32_e32 v19, 1, v63
	v_xor_b32_e32 v26, v26, v24
	v_xor_b32_e32 v18, v23, v24
	v_and_b32_e32 v25, 8, v19
	v_or_b32_e32 v26, v26, v22
	v_or_b32_e32 v18, v18, v22
	v_xor_b32_e32 v44, v26, v25
	v_or_b32_e32 v26, 64, v23
	v_xor_b32_e32 v43, v18, v25
	v_xor_b32_e32 v26, v26, v24
	s_waitcnt lgkmcnt(0)
	s_barrier
	v_or_b32_e32 v28, v26, v22
	ds_read_b64 v[26:27], v43 offset:24576
	v_lshl_or_b32 v36, v76, 7, v38
	v_lshlrev_b32_e32 v40, 1, v36
	v_add_u32_e32 v18, 0xa000, v40
	ds_read2_b64 v[18:21], v18 offset1:16
	v_or_b32_e32 v23, 0x60, v23
	v_xor_b32_e32 v23, v23, v24
	s_waitcnt lgkmcnt(0)
	v_mfma_f32_16x16x16_bf16 a[0:3], v[26:27], v[18:19], 0
	v_or_b32_e32 v18, 64, v36
	v_or_b32_e32 v22, v23, v22
	v_lshlrev_b32_e32 v41, 1, v18
	v_xor_b32_e32 v45, v28, v25
	v_xor_b32_e32 v46, v22, v25
	ds_read_b64 v[28:29], v44 offset:24576
	ds_read_b64 v[30:31], v45 offset:24576
	;; [unrolled: 1-line block ×3, first 2 shown]
	v_mfma_f32_16x16x16_bf16 a[4:7], v[26:27], v[20:21], 0
	ds_read2st64_b64 v[18:21], v41 offset0:82 offset1:84
	ds_read2st64_b64 v[22:25], v40 offset0:82 offset1:84
	s_addc_u32 s5, s5, s1
	s_add_i32 s0, s49, s47
	s_add_i32 s16, s35, -1
	s_add_i32 s37, s0, s50
	s_add_i32 s0, s51, s48
	;; [unrolled: 1-line block ×3, first 2 shown]
	s_ashr_i32 s0, s16, 31
	s_mul_i32 s1, s16, s23
	s_mul_hi_u32 s2, s16, s22
	s_add_i32 s1, s2, s1
	s_mul_i32 s0, s0, s22
	s_waitcnt lgkmcnt(1)
	v_mfma_f32_16x16x16_bf16 a[4:7], v[28:29], v[18:19], a[4:7]
	s_add_i32 s1, s1, s0
	s_lshl_b64 s[2:3], s[36:37], 2
	s_add_u32 s10, s10, s2
	s_waitcnt lgkmcnt(0)
	v_mfma_f32_16x16x16_bf16 a[0:3], v[28:29], v[22:23], a[0:3]
	s_addc_u32 s11, s11, s3
	s_lshl_b64 s[2:3], s[38:39], 2
	s_mul_i32 s0, s16, s22
	s_add_u32 s10, s10, s2
	ds_read_b64 v[18:19], v40 offset:44032
	v_mfma_f32_16x16x16_bf16 a[4:7], v[30:31], v[20:21], a[4:7]
	ds_read_b64 v[20:21], v41 offset:44032
	s_addc_u32 s11, s11, s3
	s_lshl_b64 s[0:1], s[0:1], 2
	v_mfma_f32_16x16x16_bf16 a[0:3], v[30:31], v[24:25], a[0:3]
	s_add_u32 s0, s10, s0
	s_addc_u32 s1, s11, s1
	s_load_dword s18, s[0:1], 0x0
	s_waitcnt lgkmcnt(0)
	v_mfma_f32_16x16x16_bf16 a[0:3], v[32:33], v[18:19], a[0:3]
	s_and_b64 vcc, exec, s[30:31]
	v_mfma_f32_16x16x16_bf16 a[4:7], v[32:33], v[20:21], a[4:7]
	s_cbranch_vccz .LBB402_44
; %bb.34:
	v_lshlrev_b32_e32 v36, 1, v42
	s_and_b64 vcc, exec, s[6:7]
	s_cbranch_vccz .LBB402_45
; %bb.35:
	v_cmp_gt_i32_e32 vcc, s44, v36
	v_mov_b32_e32 v22, 0
	v_mov_b32_e32 v18, 0
	;; [unrolled: 1-line block ×5, first 2 shown]
	s_and_saveexec_b64 s[0:1], vcc
	s_cbranch_execz .LBB402_37
; %bb.36:
	v_mad_i64_i32 v[18:19], s[2:3], s19, v36, 0
	v_lshl_add_u64 v[18:19], v[18:19], 1, s[4:5]
	v_lshlrev_b32_e32 v20, 1, v34
	v_mov_b32_e32 v21, 0
	v_lshl_add_u64 v[18:19], v[18:19], 0, v[20:21]
	global_load_dwordx4 v[18:21], v[18:19], off
.LBB402_37:
	s_or_b64 exec, exec, s[0:1]
	v_or_b32_e32 v37, 1, v36
	v_cmp_gt_i32_e64 s[0:1], s44, v37
	v_mov_b32_e32 v23, 0
	v_mov_b32_e32 v24, 0
	;; [unrolled: 1-line block ×3, first 2 shown]
	s_and_saveexec_b64 s[2:3], s[0:1]
	s_cbranch_execz .LBB402_39
; %bb.38:
	v_mad_i64_i32 v[22:23], s[24:25], s19, v37, 0
	v_lshl_add_u64 v[22:23], v[22:23], 1, s[4:5]
	v_lshlrev_b32_e32 v24, 1, v34
	v_mov_b32_e32 v25, 0
	v_lshl_add_u64 v[22:23], v[22:23], 0, v[24:25]
	global_load_dwordx4 v[22:25], v[22:23], off
.LBB402_39:
	s_or_b64 exec, exec, s[2:3]
	v_mov_b32_e32 v33, 0
	v_mov_b32_e32 v26, 0
	;; [unrolled: 1-line block ×5, first 2 shown]
	s_and_saveexec_b64 s[2:3], vcc
	s_cbranch_execz .LBB402_41
; %bb.40:
	v_mad_i64_i32 v[26:27], s[24:25], s19, v36, 0
	v_lshl_add_u64 v[26:27], v[26:27], 1, s[4:5]
	v_lshlrev_b32_e32 v28, 1, v34
	v_mov_b32_e32 v29, 0
	v_lshl_add_u64 v[26:27], v[26:27], 0, v[28:29]
	global_load_dwordx4 v[26:29], v[26:27], off offset:128
.LBB402_41:
	s_or_b64 exec, exec, s[2:3]
	v_mov_b32_e32 v32, 0
	v_mov_b32_e32 v31, 0
	;; [unrolled: 1-line block ×3, first 2 shown]
	s_and_saveexec_b64 s[2:3], s[0:1]
	s_cbranch_execz .LBB402_43
; %bb.42:
	v_mad_i64_i32 v[30:31], s[0:1], s19, v37, 0
	v_lshl_add_u64 v[30:31], v[30:31], 1, s[4:5]
	v_lshlrev_b32_e32 v32, 1, v34
	v_mov_b32_e32 v33, 0
	v_lshl_add_u64 v[30:31], v[30:31], 0, v[32:33]
	global_load_dwordx4 v[30:33], v[30:31], off offset:128
.LBB402_43:
	s_or_b64 exec, exec, s[2:3]
	s_branch .LBB402_47
.LBB402_44:
                                        ; implicit-def: $vgpr21
                                        ; implicit-def: $vgpr25
                                        ; implicit-def: $vgpr29
                                        ; implicit-def: $vgpr33
	v_lshrrev_b32_e32 v47, 2, v63
	s_branch .LBB402_48
.LBB402_45:
                                        ; implicit-def: $vgpr21
                                        ; implicit-def: $vgpr25
                                        ; implicit-def: $vgpr29
                                        ; implicit-def: $vgpr33
	s_cbranch_execz .LBB402_47
; %bb.46:
	s_waitcnt vmcnt(0)
	v_mad_u64_u32 v[18:19], s[0:1], v36, s19, v[34:35]
	v_lshlrev_b32_e32 v36, 1, v18
	s_lshl_b32 s2, s19, 7
	s_and_b32 s1, s5, 0xffff
	s_mov_b32 s3, 0x20000
	s_mov_b32 s0, s4
	v_add_lshl_u32 v37, v18, s19, 1
	s_movk_i32 s19, 0x80
	buffer_load_dwordx4 v[18:21], v36, s[0:3], 0 offen
	buffer_load_dwordx4 v[26:29], v36, s[0:3], s19 offen
	;; [unrolled: 1-line block ×4, first 2 shown]
.LBB402_47:
	v_lshrrev_b32_e32 v47, 2, v63
	s_cbranch_execnz .LBB402_60
.LBB402_48:
	s_and_b64 vcc, exec, s[6:7]
	s_cbranch_vccz .LBB402_58
; %bb.49:
	s_waitcnt vmcnt(0)
	v_lshlrev_b32_e32 v23, 1, v42
	v_cmp_gt_i32_e32 vcc, s44, v23
	v_mov_b32_e32 v22, 0
	v_lshlrev_b32_e32 v30, 9, v42
	v_mov_b32_e32 v18, 0
	v_mov_b32_e32 v19, 0
	v_mov_b32_e32 v20, 0
	v_mov_b32_e32 v21, 0
	s_and_saveexec_b64 s[0:1], vcc
	s_cbranch_execz .LBB402_51
; %bb.50:
	v_mov_b32_e32 v31, 0
	v_lshl_add_u64 v[18:19], s[4:5], 0, v[30:31]
	v_lshlrev_b32_e32 v20, 1, v34
	v_mov_b32_e32 v21, v31
	v_lshl_add_u64 v[18:19], v[18:19], 0, v[20:21]
	global_load_dwordx4 v[18:21], v[18:19], off
.LBB402_51:
	s_or_b64 exec, exec, s[0:1]
	v_or_b32_e32 v23, 1, v23
	v_cmp_gt_i32_e64 s[0:1], s44, v23
	v_lshlrev_b32_e32 v36, 8, v23
	v_mov_b32_e32 v23, 0
	v_mov_b32_e32 v24, 0
	;; [unrolled: 1-line block ×3, first 2 shown]
	s_and_saveexec_b64 s[2:3], s[0:1]
	s_cbranch_execz .LBB402_53
; %bb.52:
	v_mov_b32_e32 v37, 0
	v_lshl_add_u64 v[22:23], s[4:5], 0, v[36:37]
	v_lshlrev_b32_e32 v24, 1, v34
	v_mov_b32_e32 v25, v37
	v_lshl_add_u64 v[22:23], v[22:23], 0, v[24:25]
	global_load_dwordx4 v[22:25], v[22:23], off
.LBB402_53:
	s_or_b64 exec, exec, s[2:3]
	v_mov_b32_e32 v33, 0
	v_mov_b32_e32 v26, 0
	;; [unrolled: 1-line block ×5, first 2 shown]
	s_and_saveexec_b64 s[2:3], vcc
	s_cbranch_execz .LBB402_55
; %bb.54:
	v_mov_b32_e32 v31, 0
	v_lshl_add_u64 v[26:27], s[4:5], 0, v[30:31]
	v_lshlrev_b32_e32 v30, 1, v34
	v_lshl_add_u64 v[26:27], v[26:27], 0, v[30:31]
	global_load_dwordx4 v[26:29], v[26:27], off offset:128
.LBB402_55:
	s_or_b64 exec, exec, s[2:3]
	v_mov_b32_e32 v32, 0
	v_mov_b32_e32 v31, 0
	;; [unrolled: 1-line block ×3, first 2 shown]
	s_and_saveexec_b64 s[2:3], s[0:1]
	s_cbranch_execz .LBB402_57
; %bb.56:
	v_mov_b32_e32 v37, 0
	v_lshl_add_u64 v[30:31], s[4:5], 0, v[36:37]
	v_lshlrev_b32_e32 v36, 1, v34
	v_lshl_add_u64 v[30:31], v[30:31], 0, v[36:37]
	global_load_dwordx4 v[30:33], v[30:31], off offset:128
.LBB402_57:
	s_or_b64 exec, exec, s[2:3]
	s_branch .LBB402_60
.LBB402_58:
                                        ; implicit-def: $vgpr21
                                        ; implicit-def: $vgpr25
                                        ; implicit-def: $vgpr29
                                        ; implicit-def: $vgpr33
	s_cbranch_execz .LBB402_60
; %bb.59:
	s_waitcnt vmcnt(0)
	v_lshlrev_b32_e32 v18, 1, v34
	v_lshl_or_b32 v34, v42, 9, v18
	s_and_b32 s5, s5, 0xffff
	s_mov_b32 s7, 0x20000
	s_movk_i32 s6, 0x4000
	s_movk_i32 s0, 0x80
	buffer_load_dwordx4 v[18:21], v34, s[4:7], 0 offen
	buffer_load_dwordx4 v[22:25], v34, s[4:7], 0 offen offset:256
	buffer_load_dwordx4 v[26:29], v34, s[4:7], s0 offen
	buffer_load_dwordx4 v[30:33], v34, s[4:7], s0 offen offset:256
.LBB402_60:
	ds_read_b64 v[36:37], v43 offset:32768
	v_add_u32_e32 v34, 0xb000, v40
	ds_read2_b64 v[48:51], v34 offset1:16
	ds_read_b64 v[56:57], v44 offset:32768
	ds_read_b64 v[44:45], v45 offset:32768
	;; [unrolled: 1-line block ×3, first 2 shown]
	ds_read2st64_b64 v[52:55], v41 offset0:90 offset1:92
	v_and_b32_e32 v43, 6, v0
	v_and_b32_e32 v34, 12, v47
	v_xor_b32_e32 v42, v42, v43
	v_lshlrev_b32_e32 v42, 2, v42
	s_mov_b32 s0, 0x1000504
	s_waitcnt lgkmcnt(4)
	v_mfma_f32_16x16x16_bf16 a[0:3], v[36:37], v[48:49], a[0:3]
	s_mov_b32 s1, 0x3020706
	v_mfma_f32_16x16x16_bf16 a[4:7], v[36:37], v[50:51], a[4:7]
	ds_read2st64_b64 v[48:51], v40 offset0:90 offset1:92
	ds_read_b64 v[36:37], v40 offset:48128
	ds_read_b64 v[46:47], v41 offset:48128
	s_waitcnt lgkmcnt(2)
	v_mfma_f32_16x16x16_bf16 a[0:3], v[56:57], v[48:49], a[0:3]
	v_and_b32_e32 v48, 1, v0
	v_xor_b32_e32 v49, 0x440, v42
	v_cmp_eq_u32_e32 vcc, 0, v48
	v_mfma_f32_16x16x16_bf16 a[4:7], v[56:57], v[52:53], a[4:7]
	s_nop 0
	v_cndmask_b32_e32 v42, v49, v42, vcc
	v_lshl_or_b32 v42, v43, 10, v42
	v_mfma_f32_16x16x16_bf16 a[0:3], v[44:45], v[50:51], a[0:3]
	v_mfma_f32_16x16x16_bf16 a[8:11], v[44:45], v[54:55], a[4:7]
	s_waitcnt lgkmcnt(1)
	v_mfma_f32_16x16x16_bf16 a[4:7], v[58:59], v[36:37], a[0:3]
	s_waitcnt vmcnt(0)
	v_perm_b32 v36, v18, v22, s0
	v_perm_b32 v37, v26, v30, s0
	ds_write2st64_b32 v42, v36, v37 offset0:32 offset1:64
	v_xor_b32_e32 v36, 8, v42
	v_perm_b32 v18, v18, v22, s1
	v_perm_b32 v22, v26, v30, s1
	v_add_u32_e32 v26, 0x80, v36
	ds_write2st64_b32 v26, v18, v22 offset0:32 offset1:64
	v_xor_b32_e32 v18, 16, v42
	v_perm_b32 v22, v19, v23, s0
	v_perm_b32 v26, v27, v31, s0
	ds_write2st64_b32 v18, v22, v26 offset0:33 offset1:65
	v_xor_b32_e32 v18, 24, v42
	v_perm_b32 v19, v19, v23, s1
	v_perm_b32 v22, v27, v31, s1
	v_add_u32_e32 v18, 0x80, v18
	ds_write2st64_b32 v18, v19, v22 offset0:33 offset1:65
	v_xor_b32_e32 v18, 32, v42
	v_perm_b32 v19, v20, v24, s0
	v_perm_b32 v22, v28, v32, s0
	ds_write2st64_b32 v18, v19, v22 offset0:34 offset1:66
	v_xor_b32_e32 v18, 40, v42
	s_waitcnt lgkmcnt(5)
	v_mfma_f32_16x16x16_bf16 a[0:3], v[58:59], v[46:47], a[8:11]
	v_perm_b32 v19, v20, v24, s1
	v_perm_b32 v20, v28, v32, s1
	v_add_u32_e32 v18, 0x80, v18
	ds_write2st64_b32 v18, v19, v20 offset0:34 offset1:66
	v_xor_b32_e32 v18, 48, v42
	v_perm_b32 v19, v21, v25, s0
	v_perm_b32 v20, v29, v33, s0
	ds_write2st64_b32 v18, v19, v20 offset0:35 offset1:67
	v_xor_b32_e32 v18, 56, v42
	v_or_b32_e32 v32, v34, v61
	v_perm_b32 v19, v21, v25, s1
	v_perm_b32 v20, v29, v33, s1
	v_add_u32_e32 v18, 0x80, v18
	v_cmp_gt_i32_e32 vcc, s44, v32
	v_mov_b32_e32 v33, 0
	v_mov_b32_e32 v37, 0
	ds_write2st64_b32 v18, v19, v20 offset0:35 offset1:67
	s_and_saveexec_b64 s[0:1], vcc
	s_cbranch_execz .LBB402_62
; %bb.61:
	v_add_u32_e32 v18, s34, v32
	v_ashrrev_i32_e32 v19, 31, v18
	v_mul_lo_u32 v20, v19, s22
	v_mul_lo_u32 v21, v18, s23
	v_mad_u64_u32 v[18:19], s[2:3], v18, s22, 0
	v_add3_u32 v19, v19, v21, v20
	v_lshl_add_u64 v[18:19], v[18:19], 2, s[10:11]
	global_load_dword v18, v[18:19], off
	s_waitcnt vmcnt(0)
	v_sub_f32_e32 v18, s18, v18
	v_exp_f32_e32 v37, v18
.LBB402_62:
	s_or_b64 exec, exec, s[0:1]
	v_or_b32_e32 v26, 1, v32
	v_cmp_gt_i32_e64 s[0:1], s44, v26
	s_and_saveexec_b64 s[2:3], s[0:1]
	s_cbranch_execz .LBB402_64
; %bb.63:
	v_add_u32_e32 v18, s34, v26
	v_ashrrev_i32_e32 v19, 31, v18
	v_mul_lo_u32 v20, v19, s22
	v_mul_lo_u32 v21, v18, s23
	v_mad_u64_u32 v[18:19], s[4:5], v18, s22, 0
	v_add3_u32 v19, v19, v21, v20
	v_lshl_add_u64 v[18:19], v[18:19], 2, s[10:11]
	global_load_dword v18, v[18:19], off
	s_waitcnt vmcnt(0)
	v_sub_f32_e32 v18, s18, v18
	v_exp_f32_e32 v33, v18
.LBB402_64:
	s_or_b64 exec, exec, s[2:3]
	v_or_b32_e32 v27, 2, v32
	v_cmp_gt_i32_e64 s[2:3], s44, v27
	v_mov_b32_e32 v36, 0
	v_mov_b32_e32 v42, 0
	s_and_saveexec_b64 s[4:5], s[2:3]
	s_cbranch_execz .LBB402_66
; %bb.65:
	v_add_u32_e32 v18, s34, v27
	v_ashrrev_i32_e32 v19, 31, v18
	v_mul_lo_u32 v20, v19, s22
	v_mul_lo_u32 v21, v18, s23
	v_mad_u64_u32 v[18:19], s[6:7], v18, s22, 0
	v_add3_u32 v19, v19, v21, v20
	v_lshl_add_u64 v[18:19], v[18:19], 2, s[10:11]
	global_load_dword v18, v[18:19], off
	s_waitcnt vmcnt(0)
	v_sub_f32_e32 v18, s18, v18
	v_exp_f32_e32 v42, v18
.LBB402_66:
	s_or_b64 exec, exec, s[4:5]
	v_or_b32_e32 v43, 3, v32
	v_cmp_gt_i32_e64 s[4:5], s44, v43
	s_and_saveexec_b64 s[6:7], s[4:5]
	s_cbranch_execz .LBB402_68
; %bb.67:
	v_add_u32_e32 v18, s34, v43
	v_ashrrev_i32_e32 v19, 31, v18
	v_mul_lo_u32 v20, v19, s22
	v_mul_lo_u32 v21, v18, s23
	v_mad_u64_u32 v[18:19], s[22:23], v18, s22, 0
	v_add3_u32 v19, v19, v21, v20
	v_lshl_add_u64 v[18:19], v[18:19], 2, s[10:11]
	global_load_dword v18, v[18:19], off
	s_waitcnt vmcnt(0)
	v_sub_f32_e32 v18, s18, v18
	v_exp_f32_e32 v36, v18
.LBB402_68:
	s_or_b64 exec, exec, s[6:7]
	s_add_u32 s6, s8, s28
	v_accvgpr_read_b32 v21, a7
	s_addc_u32 s7, s9, s29
	v_ashrrev_i32_e32 v69, 31, v68
	v_accvgpr_read_b32 v20, a6
	v_accvgpr_read_b32 v19, a5
	;; [unrolled: 1-line block ×3, first 2 shown]
	v_lshl_add_u64 v[22:23], v[68:69], 1, s[6:7]
	v_mov_b32_e32 v29, 0
	v_lshlrev_b32_e32 v24, 8, v32
	v_mov_b32_e32 v25, 0
	s_and_saveexec_b64 s[6:7], vcc
	s_cbranch_execz .LBB402_70
; %bb.69:
	v_mov_b32_e32 v25, 0
	v_lshl_add_u64 v[30:31], v[22:23], 0, v[24:25]
	global_load_ushort v25, v[30:31], off
	s_waitcnt vmcnt(0)
	v_lshlrev_b32_e32 v25, 16, v25
	v_sub_f32_e32 v18, v25, v18
	v_mul_f32_e32 v18, v37, v18
	v_lshrrev_b32_e32 v25, 16, v18
.LBB402_70:
	s_or_b64 exec, exec, s[6:7]
	v_lshlrev_b32_e32 v28, 8, v26
	s_and_saveexec_b64 s[6:7], s[0:1]
	s_cbranch_execz .LBB402_72
; %bb.71:
	v_mov_b32_e32 v29, 0
	v_lshl_add_u64 v[30:31], v[22:23], 0, v[28:29]
	global_load_ushort v18, v[30:31], off
	s_waitcnt vmcnt(0)
	v_lshlrev_b32_e32 v18, 16, v18
	v_sub_f32_e32 v18, v18, v19
	v_mul_f32_e32 v18, v33, v18
	v_lshrrev_b32_e32 v29, 16, v18
.LBB402_72:
	s_or_b64 exec, exec, s[6:7]
	v_mov_b32_e32 v44, 0
	v_lshlrev_b32_e32 v30, 8, v27
	v_mov_b32_e32 v31, 0
	s_and_saveexec_b64 s[6:7], s[2:3]
	s_cbranch_execz .LBB402_74
; %bb.73:
	v_mov_b32_e32 v31, 0
	v_lshl_add_u64 v[18:19], v[22:23], 0, v[30:31]
	global_load_ushort v18, v[18:19], off
	s_waitcnt vmcnt(0)
	v_lshlrev_b32_e32 v18, 16, v18
	v_sub_f32_e32 v18, v18, v20
	v_mul_f32_e32 v18, v42, v18
	v_lshrrev_b32_e32 v31, 16, v18
.LBB402_74:
	s_or_b64 exec, exec, s[6:7]
	v_lshlrev_b32_e32 v26, 8, v43
	s_and_saveexec_b64 s[6:7], s[4:5]
	s_cbranch_execz .LBB402_76
; %bb.75:
	v_mov_b32_e32 v27, 0
	v_lshl_add_u64 v[18:19], v[22:23], 0, v[26:27]
	global_load_ushort v18, v[18:19], off
	s_waitcnt vmcnt(0)
	v_lshlrev_b32_e32 v18, 16, v18
	v_sub_f32_e32 v18, v18, v21
	v_mul_f32_e32 v18, v36, v18
	v_lshrrev_b32_e32 v44, 16, v18
.LBB402_76:
	s_or_b64 exec, exec, s[6:7]
	v_lshlrev_b32_e32 v43, 5, v32
	s_mov_b32 s6, 0x5040100
	v_perm_b32 v45, v44, v31, s6
	v_perm_b32 v44, v29, v25, s6
	v_or_b32_e32 v25, v43, v38
	v_accvgpr_read_b32 v21, a3
	v_lshlrev_b32_e32 v25, 1, v25
	v_accvgpr_read_b32 v20, a2
	v_accvgpr_read_b32 v19, a1
	;; [unrolled: 1-line block ×3, first 2 shown]
	ds_write_b64 v25, v[44:45] offset:45056
	v_mov_b32_e32 v29, 0
	v_mov_b32_e32 v25, 0
	s_and_saveexec_b64 s[6:7], vcc
	s_cbranch_execz .LBB402_78
; %bb.77:
	v_mov_b32_e32 v25, 0
	v_lshl_add_u64 v[24:25], v[22:23], 0, v[24:25]
	global_load_ushort v24, v[24:25], off offset:32
	s_waitcnt vmcnt(0)
	v_lshlrev_b32_e32 v24, 16, v24
	v_sub_f32_e32 v18, v24, v18
	v_mul_f32_e32 v18, v37, v18
	v_lshrrev_b32_e32 v25, 16, v18
.LBB402_78:
	s_or_b64 exec, exec, s[6:7]
	s_and_saveexec_b64 s[6:7], s[0:1]
	s_cbranch_execz .LBB402_80
; %bb.79:
	v_mov_b32_e32 v29, 0
	v_lshl_add_u64 v[28:29], v[22:23], 0, v[28:29]
	global_load_ushort v18, v[28:29], off offset:32
	s_waitcnt vmcnt(0)
	v_lshlrev_b32_e32 v18, 16, v18
	v_sub_f32_e32 v18, v18, v19
	v_mul_f32_e32 v18, v33, v18
	v_lshrrev_b32_e32 v29, 16, v18
.LBB402_80:
	s_or_b64 exec, exec, s[6:7]
	v_mov_b32_e32 v24, 0
	v_mov_b32_e32 v28, 0
	s_and_saveexec_b64 s[0:1], s[2:3]
	s_cbranch_execz .LBB402_82
; %bb.81:
	v_mov_b32_e32 v31, 0
	v_lshl_add_u64 v[18:19], v[22:23], 0, v[30:31]
	global_load_ushort v18, v[18:19], off offset:32
	s_waitcnt vmcnt(0)
	v_lshlrev_b32_e32 v18, 16, v18
	v_sub_f32_e32 v18, v18, v20
	v_mul_f32_e32 v18, v42, v18
	v_lshrrev_b32_e32 v28, 16, v18
.LBB402_82:
	s_or_b64 exec, exec, s[0:1]
	v_or_b32_e32 v19, 0xb000, v40
	v_or_b32_e32 v18, 0xb000, v41
	s_and_saveexec_b64 s[0:1], s[4:5]
	s_cbranch_execz .LBB402_84
; %bb.83:
	v_mov_b32_e32 v27, 0
	v_lshl_add_u64 v[22:23], v[22:23], 0, v[26:27]
	global_load_ushort v20, v[22:23], off offset:32
	s_waitcnt vmcnt(0)
	v_lshlrev_b32_e32 v20, 16, v20
	v_sub_f32_e32 v20, v20, v21
	v_mul_f32_e32 v20, v36, v20
	v_lshrrev_b32_e32 v24, 16, v20
.LBB402_84:
	s_or_b64 exec, exec, s[0:1]
	s_mov_b32 s0, 0x5040100
	v_or_b32_e32 v22, v43, v35
	v_perm_b32 v21, v24, v28, s0
	v_perm_b32 v20, v29, v25, s0
	v_lshlrev_b32_e32 v22, 1, v22
	s_movk_i32 s2, 0x100
	ds_write_b64 v22, v[20:21] offset:45056
	v_and_b32_e32 v20, 7, v0
	v_and_b32_e32 v21, 8, v0
	v_cmp_gt_u32_e32 vcc, s2, v0
	v_lshrrev_b32_e32 v0, 1, v0
	v_lshlrev_b32_e32 v26, 3, v20
	v_lshlrev_b32_e32 v47, 7, v20
	v_mov_b32_e32 v20, 0x4000
	v_mov_b32_e32 v22, 0x2000
	v_lshlrev_b32_e32 v24, 3, v1
	v_and_b32_e32 v0, 24, v0
	v_cndmask_b32_e32 v27, v20, v22, vcc
	v_xor_b32_e32 v20, v24, v0
	v_or_b32_e32 v22, 0x440, v20
	v_cmp_eq_u32_e32 vcc, 0, v21
	v_or_b32_e32 v28, 32, v0
	v_xor_b32_e32 v28, v24, v28
	v_cndmask_b32_e32 v20, v22, v20, vcc
	v_or_b32_e32 v20, v20, v39
	v_xor_b32_e32 v48, v20, v26
	v_or_b32_e32 v29, 0x440, v28
	v_add3_u32 v25, v27, v48, v47
	v_cndmask_b32_e32 v28, v29, v28, vcc
	v_or_b32_e32 v29, 64, v0
	v_or_b32_e32 v0, 0x60, v0
	s_waitcnt lgkmcnt(0)
	s_barrier
	v_xor_b32_e32 v29, v24, v29
	v_xor_b32_e32 v0, v24, v0
	ds_read_b64 v[24:25], v25
	v_xor_b32_e32 v30, 0x440, v29
	v_cndmask_b32_e32 v29, v30, v29, vcc
	v_xor_b32_e32 v30, 0x440, v0
	ds_read2_b64 v[20:23], v19 offset1:16
	v_cndmask_b32_e32 v0, v30, v0, vcc
	v_or_b32_e32 v28, v28, v39
	v_or_b32_e32 v29, v29, v39
	;; [unrolled: 1-line block ×3, first 2 shown]
	v_xor_b32_e32 v49, v28, v26
	v_xor_b32_e32 v50, v29, v26
	;; [unrolled: 1-line block ×3, first 2 shown]
	v_add3_u32 v28, v27, v49, v47
	v_add3_u32 v29, v27, v50, v47
	;; [unrolled: 1-line block ×3, first 2 shown]
	s_mul_i32 s0, s16, s17
	ds_read_b64 v[26:27], v28
	ds_read_b64 v[40:41], v29
	ds_read_b64 v[42:43], v30
	ds_read2st64_b64 v[28:31], v19 offset0:2 offset1:4
	s_mul_hi_i32 s1, s16, s17
	ds_read2st64_b64 v[36:39], v18 offset0:2 offset1:4
	s_add_u32 s0, s0, s33
	s_waitcnt lgkmcnt(5)
	v_mfma_f32_16x16x16_bf16 a[0:3], v[24:25], v[20:21], 0
	s_addc_u32 s1, s1, s46
	s_lshl_b64 s[0:1], s[0:1], 9
	s_add_u32 s0, s20, s0
	v_mfma_f32_16x16x16_bf16 a[4:7], v[24:25], v[22:23], 0
	s_addc_u32 s1, s21, s1
	v_lshlrev_b32_e32 v24, 2, v32
	v_lshlrev_b32_e32 v1, 6, v1
	s_waitcnt lgkmcnt(1)
	v_mfma_f32_16x16x16_bf16 a[0:3], v[26:27], v[28:29], a[0:3]
	v_add_u32_e32 v48, v48, v47
	v_exp_f32_e32 v46, s18
	v_add_u32_e32 v0, v0, v47
	s_waitcnt lgkmcnt(0)
	v_mfma_f32_16x16x16_bf16 a[4:7], v[26:27], v[36:37], a[4:7]
	global_load_dwordx4 v[24:27], v24, s[0:1]
	s_waitcnt vmcnt(0)
	v_exp_f32_e32 v26, v26
	v_mfma_f32_16x16x16_bf16 a[0:3], v[40:41], v[30:31], a[0:3]
	v_exp_f32_e32 v27, v27
	v_mfma_f32_16x16x16_bf16 a[4:7], v[40:41], v[38:39], a[4:7]
	ds_read_b64 v[40:41], v19 offset:3072
	ds_read_b64 v[44:45], v18 offset:3072
	v_lshlrev_b32_e32 v18, 2, v34
	v_or3_b32 v1, v1, v18, s2
	global_load_dwordx4 v[32:35], v1, s[0:1]
	v_exp_f32_e32 v18, v24
	v_exp_f32_e32 v19, v25
	ds_read_b64 v[24:25], v48 offset:16384
	s_waitcnt lgkmcnt(2)
	v_mfma_f32_16x16x16_bf16 a[0:3], v[42:43], v[40:41], a[0:3]
	v_add_u32_e32 v48, v50, v47
	v_pk_mul_f32 v[52:53], v[46:47], v[18:19] op_sel_hi:[0,1]
	s_waitcnt lgkmcnt(1)
	v_mfma_f32_16x16x16_bf16 a[4:7], v[42:43], v[44:45], a[4:7]
	v_add_u32_e32 v42, v49, v47
	ds_read_b64 v[42:43], v42 offset:16384
	ds_read_b64 v[48:49], v48 offset:16384
	;; [unrolled: 1-line block ×3, first 2 shown]
	v_accvgpr_read_b32 v19, a1
	s_waitcnt lgkmcnt(3)
	v_mfma_f32_16x16x16_bf16 a[8:11], v[24:25], v[20:21], 0
	v_accvgpr_read_b32 v1, a3
	v_accvgpr_read_b32 v0, a2
	;; [unrolled: 1-line block ×3, first 2 shown]
	v_mfma_f32_16x16x16_bf16 a[0:3], v[24:25], v[22:23], 0
	v_pk_fma_f32 v[18:19], v[2:3], v[52:53], v[18:19]
	v_pk_mul_f32 v[2:3], v[46:47], v[26:27] op_sel_hi:[0,1]
	v_pk_fma_f32 v[20:21], v[4:5], v[2:3], v[0:1]
	s_waitcnt lgkmcnt(2)
	v_mfma_f32_16x16x16_bf16 a[8:11], v[42:43], v[28:29], a[8:11]
	v_accvgpr_read_b32 v0, a4
	v_fma_f32 v26, v10, v52, v0
	v_accvgpr_read_b32 v0, a5
	v_mfma_f32_16x16x16_bf16 a[0:3], v[42:43], v[36:37], a[0:3]
	v_fma_f32 v27, v11, v53, v0
	v_accvgpr_read_b32 v0, a6
	v_fma_f32 v28, v12, v2, v0
	s_waitcnt lgkmcnt(1)
	v_mfma_f32_16x16x16_bf16 a[8:11], v[48:49], v[30:31], a[8:11]
	v_accvgpr_read_b32 v29, a7
	v_fmac_f32_e32 v29, v13, v3
	s_waitcnt vmcnt(0)
	v_mov_b32_e32 v0, v33
	v_mfma_f32_16x16x16_bf16 a[0:3], v[48:49], v[38:39], a[0:3]
	v_mov_b32_e32 v1, v34
	v_mov_b32_e32 v2, v35
	v_exp_f32_e32 v5, v0
	v_exp_f32_e32 v0, v1
	s_waitcnt lgkmcnt(0)
	v_mfma_f32_16x16x16_bf16 a[4:7], v[50:51], v[40:41], a[8:11]
	v_exp_f32_e32 v1, v2
	v_exp_f32_e32 v4, v32
	v_pk_mul_f32 v[0:1], v[46:47], v[0:1] op_sel_hi:[0,1]
	v_mfma_f32_16x16x16_bf16 a[0:3], v[50:51], v[44:45], a[0:3]
	v_pk_mul_f32 v[4:5], v[46:47], v[4:5] op_sel_hi:[0,1]
	s_nop 1
	v_accvgpr_read_b32 v3, a7
	v_accvgpr_read_b32 v2, a6
	v_pk_fma_f32 v[24:25], v[8:9], v[0:1], v[2:3]
	v_accvgpr_read_b32 v11, a5
	v_accvgpr_read_b32 v10, a4
	v_pk_fma_f32 v[22:23], v[6:7], v[4:5], v[10:11]
	v_accvgpr_read_b32 v2, a0
	v_fma_f32 v30, v14, v4, v2
	v_accvgpr_read_b32 v2, a1
	v_fma_f32 v31, v15, v5, v2
	v_accvgpr_read_b32 v2, a2
	v_accvgpr_read_b32 v33, a3
	v_fma_f32 v32, v16, v0, v2
	v_fmac_f32_e32 v33, v17, v1
	v_mov_b64_e32 v[2:3], v[18:19]
	v_mov_b64_e32 v[4:5], v[20:21]
	;; [unrolled: 1-line block ×8, first 2 shown]
.LBB402_85:
	s_add_u32 s0, s12, s14
	s_addc_u32 s1, s13, s15
	v_lshl_add_u64 v[0:1], v[66:67], 2, s[0:1]
	v_mov_b32_e32 v63, 0
	v_lshl_add_u64 v[0:1], v[0:1], 0, v[62:63]
	global_store_dwordx4 v[0:1], v[2:5], off
	global_store_dwordx4 v[0:1], v[6:9], off offset:256
	v_lshl_add_u64 v[0:1], v[64:65], 2, s[0:1]
	v_lshl_add_u64 v[0:1], v[0:1], 0, v[62:63]
	global_store_dwordx4 v[0:1], v[10:13], off
	global_store_dwordx4 v[0:1], v[14:17], off offset:256
	s_endpgm
	.section	.rodata,"a",@progbits
	.p2align	6, 0x0
	.amdhsa_kernel _ZN12_GLOBAL__N_139chunk_gated_delta_rule_fwd_h_hip_kernelILi32ELb1ELb1ELb0ELb1ELb1ELb1ELb0ELb0EEEvPK12hip_bfloat16S3_S3_PKfS5_PKvPS1_S8_PvPKiSB_iiiiilll
		.amdhsa_group_segment_fixed_size 49152
		.amdhsa_private_segment_fixed_size 0
		.amdhsa_kernarg_size 136
		.amdhsa_user_sgpr_count 2
		.amdhsa_user_sgpr_dispatch_ptr 0
		.amdhsa_user_sgpr_queue_ptr 0
		.amdhsa_user_sgpr_kernarg_segment_ptr 1
		.amdhsa_user_sgpr_dispatch_id 0
		.amdhsa_user_sgpr_kernarg_preload_length 0
		.amdhsa_user_sgpr_kernarg_preload_offset 0
		.amdhsa_user_sgpr_private_segment_size 0
		.amdhsa_uses_dynamic_stack 0
		.amdhsa_enable_private_segment 0
		.amdhsa_system_sgpr_workgroup_id_x 1
		.amdhsa_system_sgpr_workgroup_id_y 1
		.amdhsa_system_sgpr_workgroup_id_z 0
		.amdhsa_system_sgpr_workgroup_info 0
		.amdhsa_system_vgpr_workitem_id 0
		.amdhsa_next_free_vgpr 164
		.amdhsa_next_free_sgpr 66
		.amdhsa_accum_offset 144
		.amdhsa_reserve_vcc 1
		.amdhsa_float_round_mode_32 0
		.amdhsa_float_round_mode_16_64 0
		.amdhsa_float_denorm_mode_32 3
		.amdhsa_float_denorm_mode_16_64 3
		.amdhsa_dx10_clamp 1
		.amdhsa_ieee_mode 1
		.amdhsa_fp16_overflow 0
		.amdhsa_tg_split 0
		.amdhsa_exception_fp_ieee_invalid_op 0
		.amdhsa_exception_fp_denorm_src 0
		.amdhsa_exception_fp_ieee_div_zero 0
		.amdhsa_exception_fp_ieee_overflow 0
		.amdhsa_exception_fp_ieee_underflow 0
		.amdhsa_exception_fp_ieee_inexact 0
		.amdhsa_exception_int_div_zero 0
	.end_amdhsa_kernel
	.section	.text._ZN12_GLOBAL__N_139chunk_gated_delta_rule_fwd_h_hip_kernelILi32ELb1ELb1ELb0ELb1ELb1ELb1ELb0ELb0EEEvPK12hip_bfloat16S3_S3_PKfS5_PKvPS1_S8_PvPKiSB_iiiiilll,"axG",@progbits,_ZN12_GLOBAL__N_139chunk_gated_delta_rule_fwd_h_hip_kernelILi32ELb1ELb1ELb0ELb1ELb1ELb1ELb0ELb0EEEvPK12hip_bfloat16S3_S3_PKfS5_PKvPS1_S8_PvPKiSB_iiiiilll,comdat
.Lfunc_end402:
	.size	_ZN12_GLOBAL__N_139chunk_gated_delta_rule_fwd_h_hip_kernelILi32ELb1ELb1ELb0ELb1ELb1ELb1ELb0ELb0EEEvPK12hip_bfloat16S3_S3_PKfS5_PKvPS1_S8_PvPKiSB_iiiiilll, .Lfunc_end402-_ZN12_GLOBAL__N_139chunk_gated_delta_rule_fwd_h_hip_kernelILi32ELb1ELb1ELb0ELb1ELb1ELb1ELb0ELb0EEEvPK12hip_bfloat16S3_S3_PKfS5_PKvPS1_S8_PvPKiSB_iiiiilll
                                        ; -- End function
	.section	.AMDGPU.csdata,"",@progbits
; Kernel info:
; codeLenInByte = 9464
; NumSgprs: 72
; NumVgprs: 144
; NumAgprs: 20
; TotalNumVgprs: 164
; ScratchSize: 0
; MemoryBound: 0
; FloatMode: 240
; IeeeMode: 1
; LDSByteSize: 49152 bytes/workgroup (compile time only)
; SGPRBlocks: 8
; VGPRBlocks: 20
; NumSGPRsForWavesPerEU: 72
; NumVGPRsForWavesPerEU: 164
; AccumOffset: 144
; Occupancy: 1
; WaveLimiterHint : 1
; COMPUTE_PGM_RSRC2:SCRATCH_EN: 0
; COMPUTE_PGM_RSRC2:USER_SGPR: 2
; COMPUTE_PGM_RSRC2:TRAP_HANDLER: 0
; COMPUTE_PGM_RSRC2:TGID_X_EN: 1
; COMPUTE_PGM_RSRC2:TGID_Y_EN: 1
; COMPUTE_PGM_RSRC2:TGID_Z_EN: 0
; COMPUTE_PGM_RSRC2:TIDIG_COMP_CNT: 0
; COMPUTE_PGM_RSRC3_GFX90A:ACCUM_OFFSET: 35
; COMPUTE_PGM_RSRC3_GFX90A:TG_SPLIT: 0
	.section	.text._ZN12_GLOBAL__N_139chunk_gated_delta_rule_fwd_h_hip_kernelILi32ELb1ELb0ELb1ELb1ELb1ELb1ELb0ELb0EEEvPK12hip_bfloat16S3_S3_PKfS5_PKvPS1_S8_PvPKiSB_iiiiilll,"axG",@progbits,_ZN12_GLOBAL__N_139chunk_gated_delta_rule_fwd_h_hip_kernelILi32ELb1ELb0ELb1ELb1ELb1ELb1ELb0ELb0EEEvPK12hip_bfloat16S3_S3_PKfS5_PKvPS1_S8_PvPKiSB_iiiiilll,comdat
	.globl	_ZN12_GLOBAL__N_139chunk_gated_delta_rule_fwd_h_hip_kernelILi32ELb1ELb0ELb1ELb1ELb1ELb1ELb0ELb0EEEvPK12hip_bfloat16S3_S3_PKfS5_PKvPS1_S8_PvPKiSB_iiiiilll ; -- Begin function _ZN12_GLOBAL__N_139chunk_gated_delta_rule_fwd_h_hip_kernelILi32ELb1ELb0ELb1ELb1ELb1ELb1ELb0ELb0EEEvPK12hip_bfloat16S3_S3_PKfS5_PKvPS1_S8_PvPKiSB_iiiiilll
	.p2align	8
	.type	_ZN12_GLOBAL__N_139chunk_gated_delta_rule_fwd_h_hip_kernelILi32ELb1ELb0ELb1ELb1ELb1ELb1ELb0ELb0EEEvPK12hip_bfloat16S3_S3_PKfS5_PKvPS1_S8_PvPKiSB_iiiiilll,@function
_ZN12_GLOBAL__N_139chunk_gated_delta_rule_fwd_h_hip_kernelILi32ELb1ELb0ELb1ELb1ELb1ELb1ELb0ELb0EEEvPK12hip_bfloat16S3_S3_PKfS5_PKvPS1_S8_PvPKiSB_iiiiilll: ; @_ZN12_GLOBAL__N_139chunk_gated_delta_rule_fwd_h_hip_kernelILi32ELb1ELb0ELb1ELb1ELb1ELb1ELb0ELb0EEEvPK12hip_bfloat16S3_S3_PKfS5_PKvPS1_S8_PvPKiSB_iiiiilll
; %bb.0:
	s_load_dwordx4 s[12:15], s[0:1], 0x5c
	s_load_dwordx4 s[4:7], s[0:1], 0x48
	s_abs_i32 s9, s3
	s_ashr_i32 s8, s3, 31
	v_and_b32_e32 v74, 15, v0
	s_waitcnt lgkmcnt(0)
	s_abs_i32 s10, s13
	v_cvt_f32_u32_e32 v1, s10
	s_sub_i32 s16, 0, s10
	s_ashr_i32 s11, s13, 31
	s_xor_b32 s8, s8, s11
	v_rcp_iflag_f32_e32 v1, v1
	v_lshrrev_b32_e32 v72, 6, v0
	v_bfe_u32 v73, v0, 4, 2
	v_mov_b32_e32 v7, 0
	v_mul_f32_e32 v1, 0x4f7ffffe, v1
	v_cvt_u32_f32_e32 v1, v1
	v_and_b32_e32 v61, 63, v0
	v_lshrrev_b32_e32 v76, 3, v61
	v_lshlrev_b32_e32 v75, 3, v0
	v_readfirstlane_b32 s17, v1
	s_mul_i32 s16, s16, s17
	s_mul_hi_u32 s16, s17, s16
	s_add_i32 s17, s17, s16
	s_mul_hi_u32 s16, s9, s17
	s_mul_i32 s17, s16, s10
	s_sub_i32 s9, s9, s17
	s_add_i32 s18, s16, 1
	s_sub_i32 s17, s9, s10
	s_cmp_ge_u32 s9, s10
	s_cselect_b32 s16, s18, s16
	s_cselect_b32 s9, s17, s9
	s_add_i32 s17, s16, 1
	s_cmp_ge_u32 s9, s10
	s_cselect_b32 s9, s17, s16
	s_xor_b32 s9, s9, s8
	s_sub_i32 s20, s9, s8
	s_mul_i32 s24, s20, s13
	s_ashr_i32 s21, s20, 31
	s_sub_i32 s49, s3, s24
	s_lshl_b64 s[8:9], s[20:21], 2
	s_add_u32 s4, s4, s8
	s_addc_u32 s5, s5, s9
	s_add_u32 s22, s6, s8
	s_addc_u32 s23, s7, s9
	s_abs_i32 s3, s14
	v_cvt_f32_u32_e32 v1, s3
	s_load_dwordx2 s[34:35], s[4:5], 0x0
	s_lshl_b32 s40, s2, 5
	s_ashr_i32 s2, s14, 31
	v_rcp_iflag_f32_e32 v1, v1
	s_xor_b32 s2, s11, s2
	s_waitcnt lgkmcnt(0)
	s_sub_i32 s52, s35, s34
	s_ashr_i32 s4, s52, 31
	v_mul_f32_e32 v1, 0x4f7ffffe, v1
	v_cvt_u32_f32_e32 v1, v1
	s_lshr_b32 s4, s4, 26
	s_add_i32 s4, s52, s4
	s_ashr_i32 s50, s4, 6
	s_sub_i32 s4, 0, s3
	v_readfirstlane_b32 s5, v1
	s_mul_i32 s4, s4, s5
	s_mul_hi_u32 s4, s5, s4
	s_add_i32 s5, s5, s4
	s_mul_hi_u32 s4, s10, s5
	s_mul_i32 s5, s4, s3
	s_sub_i32 s5, s10, s5
	s_add_i32 s6, s4, 1
	s_sub_i32 s7, s5, s3
	s_cmp_ge_u32 s5, s3
	s_cselect_b32 s4, s6, s4
	s_cselect_b32 s5, s7, s5
	s_add_i32 s6, s4, 1
	s_cmp_ge_u32 s5, s3
	s_cselect_b32 s3, s6, s4
	s_xor_b32 s3, s3, s2
	s_sub_i32 s2, s3, s2
	s_abs_i32 s3, s2
	v_cvt_f32_u32_e32 v1, s3
	s_sub_i32 s5, 0, s3
	s_abs_i32 s4, s49
	s_xor_b32 s2, s49, s2
	v_rcp_iflag_f32_e32 v1, v1
	s_ashr_i32 s2, s2, 31
	s_load_dwordx4 s[16:19], s[0:1], 0x28
	s_load_dwordx2 s[28:29], s[0:1], 0x38
	v_or_b32_e32 v62, s40, v74
	v_mul_f32_e32 v1, 0x4f7ffffe, v1
	v_cvt_u32_f32_e32 v1, v1
	v_lshlrev_b32_e32 v2, 7, v62
	v_ashrrev_i32_e32 v3, 31, v2
	s_mul_hi_i32 s55, s49, s12
	v_readfirstlane_b32 s6, v1
	s_mul_i32 s5, s5, s6
	s_mul_hi_u32 s5, s6, s5
	s_add_i32 s6, s6, s5
	s_mul_hi_u32 s5, s4, s6
	s_mul_i32 s6, s5, s3
	s_sub_i32 s4, s4, s6
	s_add_i32 s6, s5, 1
	s_sub_i32 s7, s4, s3
	s_cmp_ge_u32 s4, s3
	s_cselect_b32 s5, s6, s5
	s_cselect_b32 s4, s7, s4
	s_add_i32 s6, s5, 1
	s_cmp_ge_u32 s4, s3
	s_cselect_b32 s3, s6, s5
	s_xor_b32 s3, s3, s2
	s_sub_i32 s53, s3, s2
	s_ashr_i32 s51, s49, 31
	s_mul_hi_i32 s3, s20, s13
	s_add_u32 s2, s24, s49
	s_addc_u32 s3, s3, s51
	s_lshl_b64 s[2:3], s[2:3], 16
	s_waitcnt lgkmcnt(0)
	s_add_u32 s2, s16, s2
	s_addc_u32 s3, s17, s3
	v_lshlrev_b32_e32 v1, 4, v72
	v_lshl_add_u64 v[4:5], v[2:3], 2, s[2:3]
	v_or_b32_e32 v2, 0x800, v2
	v_lshl_or_b32 v77, v73, 2, v1
	v_ashrrev_i32_e32 v3, 31, v2
	v_lshlrev_b32_e32 v6, 2, v77
	v_lshl_add_u64 v[2:3], v[2:3], 2, s[2:3]
	v_lshl_add_u64 v[4:5], v[4:5], 0, v[6:7]
	;; [unrolled: 1-line block ×3, first 2 shown]
	global_load_dwordx4 v[14:17], v[4:5], off
	global_load_dwordx4 v[10:13], v[4:5], off offset:256
	global_load_dwordx4 v[6:9], v[18:19], off
	s_nop 0
	global_load_dwordx4 v[2:5], v[18:19], off offset:256
	s_load_dwordx8 s[4:11], s[0:1], 0x0
	s_load_dwordx2 s[30:31], s[0:1], 0x80
	s_load_dwordx4 s[24:27], s[0:1], 0x70
	s_load_dword s54, s[22:23], 0x0
	v_or_b32_e32 v78, 64, v77
	s_cmp_lt_i32 s52, 64
	s_mul_i32 s56, s49, s12
	s_waitcnt lgkmcnt(0)
	s_mul_i32 s33, s20, s25
	s_mul_hi_u32 s45, s20, s24
	s_mul_i32 s46, s21, s24
	s_mul_i32 s36, s20, s24
	;; [unrolled: 1-line block ×3, first 2 shown]
	s_mul_hi_u32 s47, s49, s26
	s_mul_i32 s48, s51, s26
	s_mul_i32 s38, s49, s26
	s_cbranch_scc1 .LBB403_3
; %bb.1:
	s_ashr_i32 s3, s34, 31
	s_add_u32 s2, s56, s34
	s_addc_u32 s3, s55, s3
	s_lshl_b64 s[2:3], s[2:3], 8
	v_and_b32_e32 v80, 56, v75
	s_add_u32 s20, s6, s2
	v_lshl_or_b32 v79, v72, 3, v76
	v_lshlrev_b32_e32 v18, 1, v80
	s_addc_u32 s2, s7, s3
	v_lshl_or_b32 v81, v79, 8, v18
	s_and_b32 s21, s2, 0xffff
	s_mov_b32 s23, 0x20000
	s_movk_i32 s22, 0x4000
	s_movk_i32 s2, 0x80
	v_or_b32_e32 v82, 0x2000, v81
	buffer_load_dwordx4 v[20:23], v81, s[20:23], 0 offen
	buffer_load_dwordx4 v[24:27], v81, s[20:23], s2 offen
	;; [unrolled: 1-line block ×4, first 2 shown]
	v_lshlrev_b32_e32 v19, 3, v79
	v_and_or_b32 v37, v0, 7, v19
	v_and_b32_e32 v19, 0x78, v19
	v_lshlrev_b32_e32 v37, 4, v37
	v_xor_b32_e32 v83, v37, v19
	v_mul_lo_u32 v36, v79, s15
	v_or_b32_e32 v84, 0x1000, v83
	v_xor_b32_e32 v19, 8, v83
	s_cmpk_eq_i32 s15, 0x80
	s_mov_b32 s57, s34
	v_xor_b32_e32 v37, 8, v84
	s_cselect_b64 s[2:3], -1, 0
	s_cmpk_lg_i32 s15, 0x80
	s_waitcnt vmcnt(3)
	ds_write_b64 v83, v[20:21] offset:24576
	ds_write_b64 v19, v[22:23] offset:24576
	s_waitcnt vmcnt(2)
	ds_write_b64 v83, v[24:25] offset:32768
	ds_write_b64 v19, v[26:27] offset:32768
	;; [unrolled: 3-line block ×4, first 2 shown]
	v_lshl_add_u32 v19, v36, 1, v80
	s_cbranch_scc0 .LBB403_29
; %bb.2:
	v_lshlrev_b32_e32 v21, 1, v19
	v_add_lshl_u32 v20, v19, s15, 1
	s_lshl_b32 s22, s15, 7
	s_load_dwordx2 s[16:17], s[0:1], 0x20
	v_lshl_or_b32 v18, v79, 9, v18
	s_cbranch_execz .LBB403_30
	s_branch .LBB403_31
.LBB403_3:
	s_waitcnt vmcnt(0)
	v_mov_b32_e32 v21, v5
	v_mov_b32_e32 v25, v9
.LBB403_4:
	s_lshl_b32 s26, s50, 6
	s_sub_i32 s27, s52, s26
	s_cmp_gt_i32 s27, 0
	s_cbranch_scc0 .LBB403_84
; %bb.5:
	s_add_i32 s26, s26, s34
	s_ashr_i32 s2, s26, 31
	s_cmpk_lg_i32 s15, 0x80
	s_cselect_b64 s[22:23], -1, 0
	s_and_b64 vcc, exec, s[22:23]
	s_cbranch_vccz .LBB403_7
; %bb.6:
	s_mul_i32 s1, s26, s14
	s_ashr_i32 s3, s53, 31
	s_mul_hi_i32 s0, s26, s14
	s_add_u32 s24, s1, s53
	s_addc_u32 s25, s0, s3
	s_cbranch_execz .LBB403_8
	s_branch .LBB403_9
.LBB403_7:
                                        ; implicit-def: $sgpr24_sgpr25
.LBB403_8:
	s_mul_i32 s1, s53, s12
	s_mul_hi_i32 s0, s53, s12
	s_add_u32 s24, s1, s26
	s_addc_u32 s25, s0, s2
.LBB403_9:
	s_add_i32 s3, s50, s54
	s_add_u32 s0, s56, s26
	s_addc_u32 s1, s55, s2
	v_lshlrev_b32_e32 v18, 5, v77
	v_lshlrev_b32_e32 v22, 2, v74
	s_mov_b32 s2, 0x7060302
	v_perm_b32 v13, v13, v12, s2
	v_perm_b32 v12, v11, v10, s2
	v_or_b32_e32 v10, v18, v22
	v_xor_b32_e32 v5, v77, v22
	v_perm_b32 v17, v17, v16, s2
	v_perm_b32 v16, v15, v14, s2
	v_lshlrev_b32_e32 v10, 1, v10
	ds_write2st64_b64 v10, v[16:17], v[12:13] offset0:80 offset1:88
	v_lshlrev_b32_e32 v10, 1, v5
	v_lshlrev_b32_e32 v5, 8, v74
	s_lshl_b64 s[20:21], s[0:1], 8
	v_xor_b32_e32 v9, v78, v22
	v_or_b32_e32 v11, v10, v5
	s_add_u32 s0, s6, s20
	ds_write_b64 v11, v[16:17]
	v_lshlrev_b32_e32 v11, 1, v9
	s_addc_u32 s1, s7, s21
	v_or_b32_e32 v5, v11, v5
	s_mul_hi_i32 s6, s3, s13
	s_mul_i32 s3, s3, s13
	ds_write_b64 v5, v[12:13]
	v_perm_b32 v9, v25, v8, s2
	v_perm_b32 v8, v7, v6, s2
	;; [unrolled: 1-line block ×4, first 2 shown]
	s_add_u32 s2, s3, s49
	v_or_b32_e32 v2, 16, v74
	s_addc_u32 s3, s6, s51
	v_lshlrev_b32_e32 v19, 2, v2
	s_ashr_i32 s41, s40, 31
	s_lshl_b64 s[2:3], s[2:3], 15
	v_or_b32_e32 v3, v18, v19
	s_add_u32 s6, s18, s2
	v_lshlrev_b32_e32 v3, 1, v3
	v_lshlrev_b32_e32 v2, 8, v2
	s_addc_u32 s7, s19, s3
	s_lshl_b64 s[2:3], s[40:41], 8
	ds_write2st64_b64 v3, v[8:9], v[4:5] offset0:80 offset1:88
	v_or_b32_e32 v3, v10, v2
	v_or_b32_e32 v2, v11, v2
	s_add_u32 s2, s6, s2
	ds_write_b64 v3, v[8:9]
	ds_write_b64 v2, v[4:5]
	v_lshrrev_b32_e32 v2, 4, v0
	s_addc_u32 s3, s7, s3
	v_lshlrev_b32_e32 v3, 1, v74
	v_lshlrev_b32_e32 v10, 4, v74
	v_mov_b32_e32 v11, 0
	v_or_b32_e32 v4, 1, v3
	v_xor_b32_e32 v3, v2, v3
	v_lshl_add_u64 v[12:13], s[2:3], 0, v[10:11]
	v_lshlrev_b32_e32 v10, 8, v2
	v_xor_b32_e32 v6, v4, v2
	v_lshl_or_b32 v2, v3, 3, v10
	s_waitcnt lgkmcnt(0)
	s_barrier
	ds_read2st64_b64 v[2:5], v2 offset1:8
	v_lshl_or_b32 v6, v6, 3, v10
	ds_read2st64_b64 v[6:9], v6 offset1:8
	v_lshl_add_u64 v[14:15], v[12:13], 0, v[10:11]
	s_movk_i32 s2, 0x1000
	s_waitcnt lgkmcnt(1)
	v_mov_b32_e32 v10, v2
	v_add_co_u32_e32 v2, vcc, s2, v14
	s_cmp_lg_u32 s27, 64
	v_mov_b32_e32 v11, v3
	v_addc_co_u32_e32 v3, vcc, 0, v15, vcc
	s_cselect_b64 s[6:7], -1, 0
	v_lshl_or_b32 v23, v72, 3, v76
	s_waitcnt lgkmcnt(0)
	v_mov_b32_e32 v12, v6
	v_mov_b32_e32 v13, v7
	;; [unrolled: 1-line block ×4, first 2 shown]
	s_mov_b32 s16, 0
	v_or_b32_e32 v20, 32, v23
	v_and_b32_e32 v18, 56, v75
	s_and_b64 vcc, exec, s[6:7]
	global_store_dwordx4 v[14:15], v[10:13], off
	global_store_dwordx4 v[2:3], v[6:9], off
	s_cbranch_vccz .LBB403_15
; %bb.10:
	s_mov_b32 s17, s16
	s_mov_b32 s18, s16
	;; [unrolled: 1-line block ×3, first 2 shown]
	v_mov_b64_e32 v[6:7], s[16:17]
	v_mov_b64_e32 v[8:9], s[18:19]
	;; [unrolled: 1-line block ×3, first 2 shown]
	v_cmp_gt_i32_e32 vcc, s27, v23
	v_mov_b64_e32 v[4:5], v[8:9]
	s_and_saveexec_b64 s[2:3], vcc
	s_cbranch_execz .LBB403_12
; %bb.11:
	v_lshlrev_b32_e32 v2, 8, v23
	v_mov_b32_e32 v3, 0
	v_lshl_add_u64 v[4:5], s[0:1], 0, v[2:3]
	v_lshlrev_b32_e32 v2, 1, v18
	v_lshl_add_u64 v[10:11], v[4:5], 0, v[2:3]
	global_load_dwordx4 v[6:9], v[10:11], off
	global_load_dwordx4 v[2:5], v[10:11], off offset:128
.LBB403_12:
	s_or_b64 exec, exec, s[2:3]
	s_mov_b32 s17, s16
	s_mov_b32 s18, s16
	;; [unrolled: 1-line block ×3, first 2 shown]
	v_mov_b64_e32 v[14:15], s[16:17]
	v_mov_b64_e32 v[16:17], s[18:19]
	;; [unrolled: 1-line block ×3, first 2 shown]
	v_cmp_gt_i32_e32 vcc, s27, v20
	v_lshlrev_b32_e32 v21, 7, v20
	v_mov_b64_e32 v[12:13], v[16:17]
	s_and_saveexec_b64 s[2:3], vcc
	s_cbranch_execz .LBB403_14
; %bb.13:
	v_lshlrev_b32_e32 v10, 1, v21
	v_mov_b32_e32 v11, 0
	v_lshl_add_u64 v[12:13], s[0:1], 0, v[10:11]
	v_lshlrev_b32_e32 v10, 1, v18
	v_lshl_add_u64 v[24:25], v[12:13], 0, v[10:11]
	global_load_dwordx4 v[14:17], v[24:25], off
	global_load_dwordx4 v[10:13], v[24:25], off offset:128
.LBB403_14:
	s_or_b64 exec, exec, s[2:3]
	v_lshrrev_b32_e32 v24, 3, v18
	v_lshlrev_b32_e32 v25, 3, v23
	v_or_b32_e32 v24, v25, v24
	v_lshlrev_b32_e32 v24, 4, v24
	v_and_b32_e32 v25, 0x78, v25
	v_xor_b32_e32 v24, v24, v25
	s_branch .LBB403_17
.LBB403_15:
                                        ; implicit-def: $vgpr24
                                        ; implicit-def: $vgpr21
                                        ; implicit-def: $vgpr6_vgpr7_vgpr8_vgpr9
                                        ; implicit-def: $vgpr2_vgpr3_vgpr4_vgpr5
                                        ; implicit-def: $vgpr14_vgpr15_vgpr16_vgpr17
                                        ; implicit-def: $vgpr10_vgpr11_vgpr12_vgpr13
	s_cbranch_execz .LBB403_17
; %bb.16:
	s_waitcnt vmcnt(0)
	v_lshlrev_b32_e32 v2, 1, v18
	v_lshl_or_b32 v21, v23, 8, v2
	s_and_b32 s1, s1, 0xffff
	s_mov_b32 s3, 0x20000
	s_movk_i32 s2, 0x4000
	v_lshl_or_b32 v24, v20, 8, v2
	s_movk_i32 s12, 0x80
	buffer_load_dwordx4 v[6:9], v21, s[0:3], 0 offen
	buffer_load_dwordx4 v[2:5], v21, s[0:3], s12 offen
	;; [unrolled: 1-line block ×4, first 2 shown]
	v_lshrrev_b32_e32 v21, 3, v18
	v_lshlrev_b32_e32 v24, 3, v23
	v_or_b32_e32 v21, v24, v21
	v_lshlrev_b32_e32 v21, 4, v21
	v_and_b32_e32 v24, 0x78, v24
	v_xor_b32_e32 v24, v21, v24
	v_lshlrev_b32_e32 v21, 7, v20
.LBB403_17:
	s_lshl_b64 s[0:1], s[24:25], 8
	s_add_u32 s4, s4, s0
	s_movk_i32 s0, 0x1000
	v_and_or_b32 v20, v21, s0, v24
	s_waitcnt vmcnt(1)
	ds_write_b64 v24, v[6:7] offset:24576
	v_xor_b32_e32 v6, 8, v24
	ds_write_b64 v6, v[8:9] offset:24576
	s_waitcnt vmcnt(0)
	ds_write_b64 v24, v[2:3] offset:32768
	ds_write_b64 v6, v[4:5] offset:32768
	;; [unrolled: 1-line block ×3, first 2 shown]
	v_xor_b32_e32 v2, 8, v20
	ds_write_b64 v2, v[16:17] offset:24576
	ds_write_b64 v20, v[10:11] offset:32768
	;; [unrolled: 1-line block ×3, first 2 shown]
	v_or_b32_e32 v2, v1, v74
	v_lshlrev_b32_e32 v3, 11, v72
	v_lshlrev_b32_e32 v2, 3, v2
	v_and_b32_e32 v6, 0x1000, v3
	v_lshrrev_b32_e32 v3, 5, v61
	s_movk_i32 s3, 0xf8
	v_and_or_b32 v3, v2, s3, v3
	v_lshlrev_b32_e32 v7, 4, v3
	v_and_b32_e32 v8, 0x78, v2
	v_or_b32_e32 v10, 32, v7
	v_lshrrev_b32_e32 v3, 1, v61
	v_xor_b32_e32 v10, v10, v8
	v_xor_b32_e32 v2, v7, v8
	v_and_b32_e32 v9, 8, v3
	v_or_b32_e32 v10, v10, v6
	v_or_b32_e32 v2, v2, v6
	v_xor_b32_e32 v26, v10, v9
	v_or_b32_e32 v10, 64, v7
	v_xor_b32_e32 v25, v2, v9
	v_xor_b32_e32 v10, v10, v8
	s_waitcnt lgkmcnt(0)
	s_barrier
	v_or_b32_e32 v12, v10, v6
	ds_read_b64 v[10:11], v25 offset:24576
	v_lshl_or_b32 v20, v73, 7, v22
	v_lshlrev_b32_e32 v24, 1, v20
	v_add_u32_e32 v2, 0xa000, v24
	ds_read2_b64 v[2:5], v2 offset1:16
	v_or_b32_e32 v7, 0x60, v7
	v_xor_b32_e32 v7, v7, v8
	s_waitcnt lgkmcnt(0)
	v_mfma_f32_16x16x16_bf16 a[0:3], v[10:11], v[2:3], 0
	v_or_b32_e32 v2, 64, v20
	v_or_b32_e32 v6, v7, v6
	v_lshlrev_b32_e32 v29, 1, v2
	v_xor_b32_e32 v27, v12, v9
	v_xor_b32_e32 v28, v6, v9
	ds_read_b64 v[12:13], v26 offset:24576
	ds_read_b64 v[14:15], v27 offset:24576
	;; [unrolled: 1-line block ×3, first 2 shown]
	v_mfma_f32_16x16x16_bf16 a[4:7], v[10:11], v[4:5], 0
	ds_read2st64_b64 v[2:5], v29 offset0:82 offset1:84
	ds_read2st64_b64 v[6:9], v24 offset0:82 offset1:84
	s_addc_u32 s5, s5, s1
	s_add_i32 s1, s45, s33
	s_add_i32 s0, s35, -1
	s_add_i32 s37, s1, s46
	s_add_i32 s1, s47, s44
	;; [unrolled: 1-line block ×3, first 2 shown]
	s_ashr_i32 s1, s0, 31
	s_mul_i32 s2, s0, s31
	s_mul_hi_u32 s3, s0, s30
	s_add_i32 s2, s3, s2
	s_mul_i32 s1, s1, s30
	s_waitcnt lgkmcnt(1)
	v_mfma_f32_16x16x16_bf16 a[4:7], v[12:13], v[2:3], a[4:7]
	s_add_i32 s1, s2, s1
	s_lshl_b64 s[2:3], s[36:37], 2
	s_add_u32 s10, s10, s2
	s_waitcnt lgkmcnt(0)
	v_mfma_f32_16x16x16_bf16 a[0:3], v[12:13], v[6:7], a[0:3]
	s_addc_u32 s11, s11, s3
	s_lshl_b64 s[2:3], s[38:39], 2
	s_mul_i32 s0, s0, s30
	s_add_u32 s10, s10, s2
	ds_read_b64 v[2:3], v24 offset:44032
	v_mfma_f32_16x16x16_bf16 a[4:7], v[14:15], v[4:5], a[4:7]
	ds_read_b64 v[4:5], v29 offset:44032
	s_addc_u32 s11, s11, s3
	s_lshl_b64 s[0:1], s[0:1], 2
	v_mfma_f32_16x16x16_bf16 a[0:3], v[14:15], v[8:9], a[0:3]
	s_add_u32 s0, s10, s0
	s_addc_u32 s1, s11, s1
	s_load_dword s12, s[0:1], 0x0
	s_waitcnt lgkmcnt(0)
	v_mfma_f32_16x16x16_bf16 a[0:3], v[16:17], v[2:3], a[0:3]
	s_and_b64 vcc, exec, s[22:23]
	v_mfma_f32_16x16x16_bf16 a[4:7], v[16:17], v[4:5], a[4:7]
	s_cbranch_vccz .LBB403_28
; %bb.18:
	v_lshlrev_b32_e32 v20, 1, v23
	s_and_b64 vcc, exec, s[6:7]
	s_cbranch_vccz .LBB403_44
; %bb.19:
	v_cmp_gt_i32_e32 vcc, s27, v20
	v_mov_b32_e32 v6, 0
	v_mov_b32_e32 v2, 0
	;; [unrolled: 1-line block ×5, first 2 shown]
	s_and_saveexec_b64 s[0:1], vcc
	s_cbranch_execz .LBB403_21
; %bb.20:
	v_mad_i64_i32 v[2:3], s[2:3], s15, v20, 0
	v_lshl_add_u64 v[2:3], v[2:3], 1, s[4:5]
	v_lshlrev_b32_e32 v4, 1, v18
	v_mov_b32_e32 v5, 0
	v_lshl_add_u64 v[2:3], v[2:3], 0, v[4:5]
	global_load_dwordx4 v[2:5], v[2:3], off
.LBB403_21:
	s_or_b64 exec, exec, s[0:1]
	v_or_b32_e32 v21, 1, v20
	v_cmp_gt_i32_e64 s[0:1], s27, v21
	v_mov_b32_e32 v7, 0
	v_mov_b32_e32 v8, 0
	;; [unrolled: 1-line block ×3, first 2 shown]
	s_and_saveexec_b64 s[2:3], s[0:1]
	s_cbranch_execz .LBB403_23
; %bb.22:
	v_mad_i64_i32 v[6:7], s[16:17], s15, v21, 0
	v_lshl_add_u64 v[6:7], v[6:7], 1, s[4:5]
	v_lshlrev_b32_e32 v8, 1, v18
	v_mov_b32_e32 v9, 0
	v_lshl_add_u64 v[6:7], v[6:7], 0, v[8:9]
	global_load_dwordx4 v[6:9], v[6:7], off
.LBB403_23:
	s_or_b64 exec, exec, s[2:3]
	v_mov_b32_e32 v17, 0
	v_mov_b32_e32 v10, 0
	v_mov_b32_e32 v11, 0
	v_mov_b32_e32 v12, 0
	v_mov_b32_e32 v13, 0
	s_and_saveexec_b64 s[2:3], vcc
	s_cbranch_execz .LBB403_25
; %bb.24:
	v_mad_i64_i32 v[10:11], s[16:17], s15, v20, 0
	v_lshl_add_u64 v[10:11], v[10:11], 1, s[4:5]
	v_lshlrev_b32_e32 v12, 1, v18
	v_mov_b32_e32 v13, 0
	v_lshl_add_u64 v[10:11], v[10:11], 0, v[12:13]
	global_load_dwordx4 v[10:13], v[10:11], off offset:128
.LBB403_25:
	s_or_b64 exec, exec, s[2:3]
	v_mov_b32_e32 v16, 0
	v_mov_b32_e32 v15, 0
	v_mov_b32_e32 v14, 0
	s_and_saveexec_b64 s[2:3], s[0:1]
	s_cbranch_execz .LBB403_27
; %bb.26:
	v_mad_i64_i32 v[14:15], s[0:1], s15, v21, 0
	v_lshl_add_u64 v[14:15], v[14:15], 1, s[4:5]
	v_lshlrev_b32_e32 v16, 1, v18
	v_mov_b32_e32 v17, 0
	v_lshl_add_u64 v[14:15], v[14:15], 0, v[16:17]
	global_load_dwordx4 v[14:17], v[14:15], off offset:128
.LBB403_27:
	s_or_b64 exec, exec, s[2:3]
	s_branch .LBB403_46
.LBB403_28:
                                        ; implicit-def: $vgpr5
                                        ; implicit-def: $vgpr9
                                        ; implicit-def: $vgpr13
                                        ; implicit-def: $vgpr17
	v_lshrrev_b32_e32 v30, 2, v61
	s_branch .LBB403_47
.LBB403_29:
                                        ; implicit-def: $vgpr20
                                        ; implicit-def: $vgpr21
                                        ; implicit-def: $sgpr22
	s_load_dwordx2 s[16:17], s[0:1], 0x20
	v_lshl_or_b32 v18, v79, 9, v18
.LBB403_30:
	v_or_b32_e32 v20, 0x100, v18
	s_movk_i32 s22, 0x4000
	v_mov_b32_e32 v21, v18
.LBB403_31:
	s_mul_i32 s0, s34, s14
	s_ashr_i32 s58, s53, 31
	s_mul_hi_i32 s1, s34, s14
	s_add_u32 s0, s0, s53
	s_addc_u32 s1, s1, s58
	s_lshl_b64 s[0:1], s[0:1], 8
	s_add_u32 s20, s4, s0
	s_addc_u32 s0, s5, s1
	s_and_b32 s21, s0, 0xffff
	s_movk_i32 s59, 0x80
	buffer_load_dwordx4 v[22:25], v21, s[20:23], 0 offen
	buffer_load_dwordx4 v[26:29], v21, s[20:23], s59 offen
	;; [unrolled: 1-line block ×4, first 2 shown]
	v_and_b32_e32 v20, 6, v0
	v_lshlrev_b32_e32 v39, 6, v77
	v_or_b32_e32 v41, 16, v74
	v_xor_b32_e32 v42, v79, v20
	v_and_b32_e32 v21, 1, v0
	v_lshl_or_b32 v45, v74, 3, v39
	v_lshl_or_b32 v39, v41, 3, v39
	v_lshlrev_b32_e32 v42, 2, v42
	v_lshlrev_b32_e32 v38, 2, v74
	v_or_b32_e32 v87, 0xa000, v39
	v_or_b32_e32 v88, 0xb000, v39
	v_xor_b32_e32 v39, 0x440, v42
	v_cmp_eq_u32_e32 vcc, 0, v21
	s_add_i32 s0, s45, s33
	v_xor_b32_e32 v43, v77, v38
	v_xor_b32_e32 v44, v78, v38
	v_cndmask_b32_e32 v21, v39, v42, vcc
	s_add_i32 s1, s47, s44
	s_add_i32 s37, s0, s46
	s_mov_b32 s60, 0x1000504
	v_lshlrev_b32_e32 v40, 8, v74
	v_lshlrev_b32_e32 v41, 8, v41
	;; [unrolled: 1-line block ×4, first 2 shown]
	v_lshl_or_b32 v20, v20, 10, v21
	s_add_i32 s39, s1, s48
	s_lshl_b64 s[0:1], s[36:37], 2
	s_mov_b32 s61, 0x3020706
	v_or_b32_e32 v85, 0xa000, v45
	v_or_b32_e32 v86, 0xb000, v45
	;; [unrolled: 1-line block ×5, first 2 shown]
	v_xor_b32_e32 v21, 8, v20
	v_xor_b32_e32 v40, 24, v20
	;; [unrolled: 1-line block ×4, first 2 shown]
	s_add_u32 s20, s10, s0
	v_or_b32_e32 v91, v41, v43
	v_xor_b32_e32 v39, 16, v20
	v_xor_b32_e32 v41, 32, v20
	;; [unrolled: 1-line block ×3, first 2 shown]
	v_add_u32_e32 v21, 0x80, v21
	v_add_u32_e32 v40, 0x80, v40
	v_add_u32_e32 v42, 0x80, v42
	v_add_u32_e32 v44, 0x80, v44
	s_addc_u32 s21, s11, s1
	s_lshl_b64 s[0:1], s[38:39], 2
	s_add_u32 s42, s20, s0
	s_movk_i32 s0, 0xf8
	s_addc_u32 s43, s21, s1
	s_ashr_i32 s41, s40, 31
	s_lshl_b32 s26, s15, 7
	s_movk_i32 s20, 0x100
	v_mov_b32_e32 v65, 0
	v_lshlrev_b32_e32 v64, 4, v74
	v_cmp_gt_u32_e32 vcc, s20, v0
	v_ashrrev_i32_e32 v63, 31, v62
	s_mov_b32 s62, 0
	s_movk_i32 s37, 0x1000
	s_movk_i32 s22, 0x4000
	s_mov_b32 s39, 0x7060302
	s_waitcnt vmcnt(1)
	v_perm_b32 v45, v22, v30, s60
	s_waitcnt vmcnt(0)
	v_perm_b32 v46, v26, v34, s60
	v_perm_b32 v22, v22, v30, s61
	;; [unrolled: 1-line block ×15, first 2 shown]
	ds_write2st64_b32 v20, v45, v46 offset0:32 offset1:64
	ds_write2st64_b32 v21, v22, v26 offset0:32 offset1:64
	;; [unrolled: 1-line block ×8, first 2 shown]
	v_or_b32_e32 v20, v1, v74
	v_lshlrev_b32_e32 v20, 3, v20
	v_lshrrev_b32_e32 v23, 5, v61
	v_and_or_b32 v23, v20, s0, v23
	v_lshlrev_b32_e32 v23, 4, v23
	v_lshlrev_b32_e32 v25, 11, v72
	v_and_b32_e32 v20, 0x78, v20
	v_or_b32_e32 v28, 32, v23
	v_and_b32_e32 v22, 0x1000, v25
	v_lshrrev_b32_e32 v26, 1, v61
	v_xor_b32_e32 v28, v28, v20
	v_xor_b32_e32 v24, v23, v20
	v_and_b32_e32 v26, 8, v26
	v_or_b32_e32 v28, v28, v22
	v_or_b32_e32 v24, v24, v22
	v_lshlrev_b32_e32 v27, 7, v73
	v_xor_b32_e32 v95, v28, v26
	v_or_b32_e32 v28, 64, v23
	v_or_b32_e32 v23, 0x60, v23
	v_xor_b32_e32 v93, v24, v26
	v_or_b32_e32 v24, v27, v38
	v_xor_b32_e32 v28, v28, v20
	v_xor_b32_e32 v20, v23, v20
	s_lshl_b64 s[0:1], s[40:41], 8
	v_lshlrev_b32_e32 v24, 1, v24
	v_or_b32_e32 v28, v28, v22
	v_or_b32_e32 v20, v20, v22
	s_add_u32 s0, s18, s0
	v_lshlrev_b32_e32 v22, 1, v74
	v_or_b32_e32 v94, 0xa000, v24
	v_or_b32_e32 v96, 0xa080, v24
	;; [unrolled: 1-line block ×4, first 2 shown]
	v_lshrrev_b32_e32 v24, 4, v0
	s_addc_u32 s1, s19, s1
	v_or_b32_e32 v23, 1, v22
	v_mov_b32_e32 v33, 0x4000
	v_mov_b32_e32 v34, 0x2000
	v_lshrrev_b32_e32 v35, 1, v0
	v_xor_b32_e32 v97, v28, v26
	v_xor_b32_e32 v98, v20, v26
	;; [unrolled: 1-line block ×4, first 2 shown]
	v_lshl_add_u64 v[22:23], s[0:1], 0, v[64:65]
	v_lshlrev_b32_e32 v64, 8, v24
	v_cndmask_b32_e32 v33, v33, v34, vcc
	v_lshlrev_b32_e32 v34, 3, v72
	v_and_b32_e32 v35, 24, v35
	v_lshl_or_b32 v101, v26, 3, v64
	v_and_b32_e32 v26, 8, v0
	v_xor_b32_e32 v36, v34, v35
	v_or_b32_e32 v37, 0x440, v36
	v_cmp_eq_u32_e32 vcc, 0, v26
	v_and_b32_e32 v24, 7, v0
	v_lshl_or_b32 v102, v30, 3, v64
	v_cndmask_b32_e32 v26, v37, v36, vcc
	v_lshlrev_b32_e32 v30, 3, v24
	v_lshlrev_b32_e32 v32, 2, v0
	v_or_b32_e32 v26, v26, v25
	v_xor_b32_e32 v36, v26, v30
	v_and_or_b32 v26, v32, 60, v27
	v_mov_b32_e32 v27, 0xb000
	v_lshl_or_b32 v103, v26, 1, v27
	v_or_b32_e32 v26, 32, v35
	v_xor_b32_e32 v26, v34, v26
	v_or_b32_e32 v27, 0x440, v26
	v_cndmask_b32_e32 v26, v27, v26, vcc
	v_or_b32_e32 v26, v26, v25
	v_xor_b32_e32 v27, v26, v30
	v_or_b32_e32 v26, 64, v35
	v_xor_b32_e32 v26, v34, v26
	v_xor_b32_e32 v38, 0x440, v26
	v_cndmask_b32_e32 v26, v38, v26, vcc
	v_or_b32_e32 v26, v26, v25
	v_xor_b32_e32 v38, v26, v30
	v_or_b32_e32 v26, 0x60, v35
	v_xor_b32_e32 v26, v34, v26
	v_xor_b32_e32 v34, 0x440, v26
	v_cndmask_b32_e32 v26, v34, v26, vcc
	v_lshrrev_b32_e32 v21, 2, v61
	v_or_b32_e32 v25, v26, v25
	v_and_b32_e32 v21, 12, v21
	v_lshlrev_b32_e32 v28, 1, v19
	v_add_lshl_u32 v19, v19, s15, 1
	v_or_b32_e32 v29, 0x100, v18
	v_xor_b32_e32 v25, v25, v30
	v_lshlrev_b32_e32 v20, 7, v77
	v_lshlrev_b32_e32 v31, 7, v24
	v_or_b32_e32 v24, v21, v1
	v_add_u32_e32 v37, v33, v36
	v_add_u32_e32 v32, v33, v27
	;; [unrolled: 1-line block ×4, first 2 shown]
	v_or3_b32 v26, v1, v21, 64
	v_add_u32_e32 v21, 0x4000, v36
	v_add_u32_e32 v27, 0x4000, v27
	;; [unrolled: 1-line block ×4, first 2 shown]
	v_cndmask_b32_e64 v104, v28, v18, s[2:3]
	v_cndmask_b32_e64 v105, v19, v29, s[2:3]
	v_lshlrev_b64 v[18:19], 1, v[62:63]
	v_lshl_add_u64 v[66:67], s[8:9], 0, v[18:19]
	v_lshl_add_u64 v[68:69], s[28:29], 0, v[18:19]
	v_lshl_add_u64 v[70:71], v[22:23], 0, v[64:65]
	v_lshlrev_b32_e32 v64, 1, v20
	v_lshlrev_b32_e32 v63, 2, v24
	v_add_u32_e32 v106, v37, v31
	v_add_u32_e32 v107, v32, v31
	;; [unrolled: 1-line block ×4, first 2 shown]
	v_lshlrev_b32_e32 v110, 2, v26
	v_add_u32_e32 v111, v21, v31
	v_add_u32_e32 v112, v27, v31
	;; [unrolled: 1-line block ×4, first 2 shown]
	s_waitcnt lgkmcnt(0)
	s_barrier
.LBB403_32:                             ; =>This Inner Loop Header: Depth=1
	s_add_i32 s41, s62, 1
	s_cmp_lt_i32 s41, s50
	s_mov_b64 s[24:25], 0
	s_cselect_b64 s[2:3], -1, 0
	s_cmp_ge_i32 s41, s50
	s_mov_b64 s[20:21], 0
	s_cbranch_scc1 .LBB403_34
; %bb.33:                               ;   in Loop: Header=BB403_32 Depth=1
	s_add_i32 s0, s57, 64
	s_ashr_i32 s1, s0, 31
	s_add_u32 s0, s56, s0
	s_addc_u32 s1, s55, s1
	s_lshl_b64 s[0:1], s[0:1], 8
	s_add_u32 s20, s6, s0
	s_addc_u32 s21, s7, s1
.LBB403_34:                             ;   in Loop: Header=BB403_32 Depth=1
	v_cndmask_b32_e64 v18, 0, 1, s[2:3]
	v_cmp_ne_u32_e64 s[0:1], 1, v18
	s_andn2_b64 vcc, exec, s[2:3]
	s_cbranch_vccnz .LBB403_36
; %bb.35:                               ;   in Loop: Header=BB403_32 Depth=1
	s_add_i32 s2, s57, 64
	s_mul_hi_i32 s3, s2, s14
	s_mul_i32 s2, s2, s14
	s_add_u32 s2, s2, s53
	s_addc_u32 s3, s3, s58
	s_lshl_b64 s[2:3], s[2:3], 8
	s_add_u32 s24, s4, s2
	s_addc_u32 s25, s5, s3
.LBB403_36:                             ;   in Loop: Header=BB403_32 Depth=1
	v_perm_b32 v19, v17, v16, s39
	v_perm_b32 v18, v15, v14, s39
	;; [unrolled: 1-line block ×4, first 2 shown]
	ds_write_b64 v85, v[18:19]
	ds_write_b64 v86, v[20:21]
	;; [unrolled: 1-line block ×4, first 2 shown]
	v_perm_b32 v19, v9, v8, s39
	v_perm_b32 v18, v7, v6, s39
	;; [unrolled: 1-line block ×4, first 2 shown]
	ds_write_b64 v87, v[18:19]
	ds_write_b64 v88, v[20:21]
	;; [unrolled: 1-line block ×4, first 2 shown]
	s_waitcnt lgkmcnt(0)
	s_barrier
	ds_read_b64 v[22:23], v93 offset:24576
	ds_read2_b64 v[18:21], v94 offset1:16
	ds_read_b64 v[26:27], v96 offset:3072
	ds_read_b64 v[28:29], v94 offset:3072
	;; [unrolled: 1-line block ×3, first 2 shown]
	s_waitcnt lgkmcnt(3)
	v_mfma_f32_16x16x16_bf16 a[0:3], v[22:23], v[18:19], 0
	s_add_i32 s63, s57, 63
	s_ashr_i32 s2, s63, 31
	s_mul_i32 s3, s63, s31
	v_mfma_f32_16x16x16_bf16 a[4:7], v[22:23], v[20:21], 0
	ds_read2st64_b64 v[18:21], v94 offset0:2 offset1:4
	s_mul_hi_u32 s27, s63, s30
	s_add_i32 s3, s27, s3
	s_waitcnt lgkmcnt(0)
	v_mfma_f32_16x16x16_bf16 a[0:3], v[30:31], v[18:19], a[0:3]
	ds_read2st64_b64 v[22:25], v96 offset0:2 offset1:4
	ds_read_b64 v[18:19], v97 offset:24576
	s_mul_i32 s2, s2, s30
	s_add_i32 s3, s3, s2
	s_waitcnt lgkmcnt(1)
	v_mfma_f32_16x16x16_bf16 a[4:7], v[30:31], v[22:23], a[4:7]
	ds_read_b64 v[22:23], v98 offset:24576
	s_mul_i32 s2, s63, s30
	s_lshl_b64 s[2:3], s[2:3], 2
	s_waitcnt lgkmcnt(1)
	v_mfma_f32_16x16x16_bf16 a[0:3], v[18:19], v[20:21], a[0:3]
	s_add_u32 s2, s42, s2
	s_addc_u32 s3, s43, s3
	s_and_b64 vcc, exec, s[0:1]
	v_mfma_f32_16x16x16_bf16 a[8:11], v[18:19], v[24:25], a[4:7]
	v_mov_b32_e32 v117, 0
	v_mov_b32_e32 v116, 0
	;; [unrolled: 1-line block ×3, first 2 shown]
	s_waitcnt lgkmcnt(0)
	v_mfma_f32_16x16x16_bf16 a[4:7], v[22:23], v[28:29], a[0:3]
	v_mov_b32_e32 v18, 0
	v_mov_b32_e32 v19, 0
	;; [unrolled: 1-line block ×3, first 2 shown]
	v_mfma_f32_16x16x16_bf16 a[0:3], v[22:23], v[26:27], a[8:11]
	v_mov_b32_e32 v21, 0
	v_mov_b32_e32 v22, 0
	;; [unrolled: 1-line block ×13, first 2 shown]
	s_cbranch_vccnz .LBB403_38
; %bb.37:                               ;   in Loop: Header=BB403_32 Depth=1
	s_and_b32 s21, s21, 0xffff
	buffer_load_dwordx4 v[30:33], v81, s[20:23], 0 offen
	buffer_load_dwordx4 v[26:29], v81, s[20:23], s59 offen
	;; [unrolled: 1-line block ×4, first 2 shown]
	v_mov_b32_e32 v116, v83
	v_mov_b32_e32 v115, v84
.LBB403_38:                             ;   in Loop: Header=BB403_32 Depth=1
	ds_read_b64 v[42:43], v93 offset:32768
	ds_read2_b64 v[34:37], v99 offset1:16
	ds_read_b64 v[44:45], v95 offset:32768
	ds_read_b64 v[46:47], v97 offset:32768
	;; [unrolled: 1-line block ×3, first 2 shown]
	ds_read2st64_b64 v[38:41], v99 offset0:2 offset1:4
	v_add_u32_e32 v50, s57, v77
	s_waitcnt lgkmcnt(4)
	v_mfma_f32_16x16x16_bf16 a[4:7], v[42:43], v[34:35], a[4:7]
	v_ashrrev_i32_e32 v34, 31, v50
	v_mov_b32_e32 v118, 0
	v_mfma_f32_16x16x16_bf16 a[0:3], v[42:43], v[36:37], a[0:3]
	v_mul_lo_u32 v36, v50, s31
	v_mul_lo_u32 v37, v34, s30
	v_mad_u64_u32 v[34:35], s[20:21], v50, s30, 0
	v_add3_u32 v35, v35, v36, v37
	v_add_u32_e32 v36, 1, v50
	v_ashrrev_i32_e32 v37, 31, v36
	s_waitcnt lgkmcnt(0)
	v_mfma_f32_16x16x16_bf16 a[4:7], v[44:45], v[38:39], a[4:7]
	v_mul_lo_u32 v38, v37, s30
	v_mul_lo_u32 v39, v36, s31
	v_mad_u64_u32 v[36:37], s[20:21], v36, s30, 0
	v_add3_u32 v37, v37, v39, v38
	v_add_u32_e32 v38, 2, v50
	v_ashrrev_i32_e32 v39, 31, v38
	v_mul_lo_u32 v42, v39, s30
	v_mul_lo_u32 v43, v38, s31
	v_mad_u64_u32 v[38:39], s[20:21], v38, s30, 0
	v_add3_u32 v39, v39, v43, v42
	v_add_u32_e32 v42, 3, v50
	v_ashrrev_i32_e32 v43, 31, v42
	v_mul_lo_u32 v50, v43, s30
	v_mul_lo_u32 v51, v42, s31
	v_mad_u64_u32 v[42:43], s[20:21], v42, s30, 0
	s_ashr_i32 s21, s57, 31
	v_add3_u32 v43, v43, v51, v50
	s_add_u32 s20, s56, s57
	v_lshl_add_u64 v[34:35], v[34:35], 2, s[42:43]
	v_lshl_add_u64 v[42:43], v[42:43], 2, s[42:43]
	s_addc_u32 s21, s55, s21
	v_lshl_add_u64 v[36:37], v[36:37], 2, s[42:43]
	v_lshl_add_u64 v[38:39], v[38:39], 2, s[42:43]
	global_load_dword v50, v[34:35], off
	global_load_dword v51, v[36:37], off
	;; [unrolled: 1-line block ×3, first 2 shown]
	s_nop 0
	global_load_dword v43, v[42:43], off
	s_lshl_b64 s[20:21], s[20:21], 8
	v_lshl_add_u64 v[34:35], v[66:67], 0, s[20:21]
	v_lshl_add_u64 v[38:39], v[34:35], 0, v[64:65]
	global_load_ushort v53, v[38:39], off offset:256
	global_load_ushort v54, v[38:39], off
	global_load_ushort v55, v[38:39], off offset:768
	global_load_ushort v56, v[38:39], off offset:512
	ds_read2st64_b64 v[34:37], v100 offset0:2 offset1:4
	global_load_ushort v57, v[38:39], off offset:800
	global_load_ushort v58, v[38:39], off offset:544
	;; [unrolled: 1-line block ×4, first 2 shown]
	s_waitcnt lgkmcnt(0)
	v_mfma_f32_16x16x16_bf16 a[0:3], v[44:45], v[34:35], a[0:3]
	s_and_b64 vcc, exec, s[0:1]
	s_waitcnt vmcnt(7)
	v_lshlrev_b32_e32 v45, 16, v53
	v_mfma_f32_16x16x16_bf16 a[4:7], v[46:47], v[40:41], a[4:7]
	s_waitcnt vmcnt(6)
	v_lshlrev_b32_e32 v44, 16, v54
	v_mfma_f32_16x16x16_bf16 a[0:3], v[46:47], v[36:37], a[0:3]
	ds_read_b64 v[34:35], v99 offset:3072
	ds_read_b64 v[36:37], v100 offset:3072
	s_load_dword s2, s[2:3], 0x0
	s_waitcnt vmcnt(5)
	v_lshlrev_b32_e32 v47, 16, v55
	s_waitcnt lgkmcnt(0)
	v_mfma_f32_16x16x16_bf16 a[4:7], v[48:49], v[34:35], a[4:7]
	v_lshl_add_u64 v[34:35], v[68:69], 0, s[20:21]
	v_sub_f32_e32 v42, s2, v50
	v_sub_f32_e32 v46, s2, v51
	v_mfma_f32_16x16x16_bf16 a[0:3], v[48:49], v[36:37], a[0:3]
	v_sub_f32_e32 v48, s2, v52
	v_sub_f32_e32 v49, s2, v43
	v_exp_f32_e32 v42, v42
	v_exp_f32_e32 v43, v46
	;; [unrolled: 1-line block ×4, first 2 shown]
	v_accvgpr_read_b32 v41, a5
	v_accvgpr_read_b32 v37, a7
	;; [unrolled: 1-line block ×4, first 2 shown]
	s_waitcnt vmcnt(4)
	v_lshlrev_b32_e32 v46, 16, v56
	v_lshl_add_u64 v[34:35], v[34:35], 0, v[64:65]
	v_pk_add_f32 v[40:41], v[44:45], v[40:41] neg_lo:[0,1] neg_hi:[0,1]
	v_pk_add_f32 v[36:37], v[46:47], v[36:37] neg_lo:[0,1] neg_hi:[0,1]
	global_store_short_d16_hi v[34:35], v40, off
	global_store_short_d16_hi v[34:35], v41, off offset:256
	global_store_short_d16_hi v[34:35], v36, off offset:512
	;; [unrolled: 1-line block ×3, first 2 shown]
	v_pk_mul_f32 v[40:41], v[42:43], v[40:41]
	v_pk_mul_f32 v[36:37], v[48:49], v[36:37]
	v_accvgpr_read_b32 v45, a1
	v_perm_b32 v40, v41, v40, s39
	v_perm_b32 v41, v37, v36, s39
	s_waitcnt vmcnt(5)
	v_lshlrev_b32_e32 v37, 16, v59
	s_waitcnt vmcnt(4)
	v_lshlrev_b32_e32 v36, 16, v60
	v_accvgpr_read_b32 v44, a0
	v_accvgpr_read_b32 v39, a3
	;; [unrolled: 1-line block ×3, first 2 shown]
	v_pk_add_f32 v[36:37], v[36:37], v[44:45] neg_lo:[0,1] neg_hi:[0,1]
	v_lshlrev_b32_e32 v45, 16, v57
	v_lshlrev_b32_e32 v44, 16, v58
	v_pk_add_f32 v[38:39], v[44:45], v[38:39] neg_lo:[0,1] neg_hi:[0,1]
	global_store_short_d16_hi v[34:35], v36, off offset:32
	global_store_short_d16_hi v[34:35], v37, off offset:288
	;; [unrolled: 1-line block ×4, first 2 shown]
	v_pk_mul_f32 v[34:35], v[42:43], v[36:37]
	v_pk_mul_f32 v[36:37], v[48:49], v[38:39]
	v_mov_b32_e32 v38, 0
	v_perm_b32 v37, v37, v36, s39
	v_perm_b32 v36, v35, v34, s39
	ds_write2_b64 v86, v[40:41], v[36:37] offset1:16
	v_mov_b32_e32 v34, 0
	v_mov_b32_e32 v35, 0
	;; [unrolled: 1-line block ×15, first 2 shown]
	s_cbranch_vccnz .LBB403_40
; %bb.39:                               ;   in Loop: Header=BB403_32 Depth=1
	s_and_b32 s25, s25, 0xffff
	s_mov_b32 s27, s23
	buffer_load_dwordx4 v[46:49], v104, s[24:27], 0 offen
	buffer_load_dwordx4 v[38:41], v104, s[24:27], s59 offen
	;; [unrolled: 1-line block ×4, first 2 shown]
	v_mov_b32_e32 v117, v80
	v_mov_b32_e32 v118, v79
.LBB403_40:                             ;   in Loop: Header=BB403_32 Depth=1
	s_waitcnt lgkmcnt(0)
	s_barrier
	ds_read_b64 v[54:55], v106
	ds_read_b64 v[124:125], v103
	;; [unrolled: 1-line block ×5, first 2 shown]
	ds_read_b64 v[138:139], v100 offset:3072
	ds_read2_b64 v[50:53], v99 offset0:16 offset1:128
	s_waitcnt lgkmcnt(5)
	v_mfma_f32_16x16x16_bf16 a[0:3], v[54:55], v[124:125], 0
	s_add_i32 s3, s54, s62
	s_mul_hi_i32 s21, s3, s13
	s_mul_i32 s3, s3, s13
	s_waitcnt lgkmcnt(0)
	v_mfma_f32_16x16x16_bf16 a[4:7], v[54:55], v[50:51], 0
	ds_read_b64 v[54:55], v111
	ds_read2st64_b64 v[56:59], v100 offset0:2 offset1:4
	s_add_u32 s20, s3, s49
	s_addc_u32 s21, s21, s51
	s_lshl_b64 s[20:21], s[20:21], 15
	s_mul_i32 s24, s63, s13
	s_mul_hi_i32 s3, s63, s13
	s_add_u32 s24, s24, s49
	s_waitcnt lgkmcnt(1)
	v_mfma_f32_16x16x16_bf16 a[8:11], v[54:55], v[124:125], 0
	s_addc_u32 s25, s3, s51
	ds_read2st64_b64 v[120:123], v99 offset0:4 offset1:6
	s_lshl_b64 s[24:25], s[24:25], 9
	v_mfma_f32_16x16x16_bf16 a[0:3], v[126:127], v[52:53], a[0:3]
	s_add_u32 s24, s16, s24
	s_addc_u32 s25, s17, s25
	s_waitcnt lgkmcnt(1)
	v_mfma_f32_16x16x16_bf16 a[4:7], v[126:127], v[56:57], a[4:7]
	ds_read_b64 v[126:127], v112
	ds_read_b64 v[134:135], v113
	;; [unrolled: 1-line block ×3, first 2 shown]
	v_mfma_f32_16x16x16_bf16 a[12:15], v[54:55], v[50:51], 0
	s_waitcnt lgkmcnt(2)
	v_mfma_f32_16x16x16_bf16 a[8:11], v[126:127], v[52:53], a[8:11]
	global_load_dwordx4 v[50:53], v110, s[24:25]
	v_mfma_f32_16x16x16_bf16 a[12:15], v[126:127], v[56:57], a[12:15]
	global_load_dwordx4 v[54:57], v63, s[24:25]
	ds_read2st64_b64 v[124:127], v101 offset1:8
	s_waitcnt lgkmcnt(0)
	v_mov_b32_e32 v132, v124
	v_mfma_f32_16x16x16_bf16 a[0:3], v[128:129], v[120:121], a[0:3]
	v_mov_b32_e32 v133, v125
	v_mfma_f32_16x16x16_bf16 a[4:7], v[128:129], v[58:59], a[4:7]
	ds_read2st64_b64 v[128:131], v102 offset1:8
	v_mfma_f32_16x16x16_bf16 a[8:11], v[134:135], v[120:121], a[8:11]
	v_lshl_add_u64 v[120:121], v[70:71], 0, s[20:21]
	v_mfma_f32_16x16x16_bf16 a[16:19], v[134:135], v[58:59], a[12:15]
	v_add_co_u32_e32 v58, vcc, s37, v120
	s_waitcnt lgkmcnt(0)
	v_mov_b32_e32 v134, v128
	v_mfma_f32_16x16x16_bf16 a[0:3], v[136:137], v[122:123], a[0:3]
	v_mov_b32_e32 v135, v129
	v_mov_b32_e32 v128, v126
	;; [unrolled: 1-line block ×3, first 2 shown]
	v_mfma_f32_16x16x16_bf16 a[4:7], v[136:137], v[138:139], a[4:7]
	v_addc_co_u32_e32 v59, vcc, 0, v121, vcc
	global_store_dwordx4 v[58:59], v[128:131], off
	v_mfma_f32_16x16x16_bf16 a[12:15], v[140:141], v[122:123], a[8:11]
	s_and_b64 vcc, exec, s[0:1]
	global_store_dwordx4 v[120:121], v[132:135], off
	s_waitcnt vmcnt(3)
	v_mov_b32_e32 v60, v53
	v_mfma_f32_16x16x16_bf16 a[8:11], v[140:141], v[138:139], a[16:19]
	v_mov_b32_e32 v59, v52
	v_mov_b32_e32 v58, v51
	s_cbranch_vccnz .LBB403_42
; %bb.41:                               ;   in Loop: Header=BB403_32 Depth=1
	v_lshrrev_b32_e32 v51, 3, v117
	v_and_b32_e32 v51, 6, v51
	v_xor_b32_e32 v52, v51, v118
	v_lshlrev_b32_e32 v52, 2, v52
	v_and_b32_e32 v53, 8, v117
	v_xor_b32_e32 v117, 0x440, v52
	v_cmp_eq_u32_e32 vcc, 0, v53
	v_perm_b32 v53, v38, v34, s60
	s_nop 0
	v_cndmask_b32_e32 v52, v117, v52, vcc
	v_lshl_or_b32 v51, v51, 10, v52
	v_perm_b32 v52, v46, v42, s60
	s_barrier
	ds_write2st64_b32 v51, v52, v53 offset0:32 offset1:64
	v_xor_b32_e32 v52, 8, v51
	v_perm_b32 v42, v46, v42, s61
	v_perm_b32 v34, v38, v34, s61
	v_add_u32_e32 v38, 0x80, v52
	ds_write2st64_b32 v38, v42, v34 offset0:32 offset1:64
	v_xor_b32_e32 v34, 16, v51
	v_perm_b32 v38, v47, v43, s60
	v_perm_b32 v42, v39, v35, s60
	ds_write2st64_b32 v34, v38, v42 offset0:33 offset1:65
	v_xor_b32_e32 v34, 24, v51
	v_perm_b32 v38, v47, v43, s61
	v_perm_b32 v35, v39, v35, s61
	v_add_u32_e32 v34, 0x80, v34
	ds_write2st64_b32 v34, v38, v35 offset0:33 offset1:65
	v_xor_b32_e32 v34, 32, v51
	v_perm_b32 v35, v48, v44, s60
	v_perm_b32 v38, v40, v36, s60
	;; [unrolled: 9-line block ×3, first 2 shown]
	ds_write2st64_b32 v34, v35, v36 offset0:35 offset1:67
	v_xor_b32_e32 v34, 56, v51
	v_perm_b32 v35, v49, v45, s61
	v_perm_b32 v36, v41, v37, s61
	v_add_u32_e32 v34, 0x80, v34
	ds_write2st64_b32 v34, v35, v36 offset0:35 offset1:67
	ds_write_b64 v116, v[30:31] offset:24576
	v_xor_b32_e32 v30, 8, v116
	ds_write_b64 v30, v[32:33] offset:24576
	ds_write_b64 v116, v[26:27] offset:32768
	;; [unrolled: 1-line block ×4, first 2 shown]
	v_xor_b32_e32 v22, 8, v115
	ds_write_b64 v22, v[24:25] offset:24576
	ds_write_b64 v115, v[18:19] offset:32768
	ds_write_b64 v22, v[20:21] offset:32768
.LBB403_42:                             ;   in Loop: Header=BB403_32 Depth=1
	v_exp_f32_e32 v34, s2
	s_waitcnt vmcnt(2)
	v_exp_f32_e32 v36, v54
	v_exp_f32_e32 v37, v55
	;; [unrolled: 1-line block ×4, first 2 shown]
	v_accvgpr_read_b32 v29, a3
	v_accvgpr_read_b32 v27, a1
	;; [unrolled: 1-line block ×4, first 2 shown]
	v_pk_mul_f32 v[36:37], v[34:35], v[36:37] op_sel_hi:[0,1]
	v_accvgpr_read_b32 v28, a2
	v_accvgpr_read_b32 v23, a5
	;; [unrolled: 1-line block ×3, first 2 shown]
	v_pk_fma_f32 v[14:15], v[14:15], v[36:37], v[26:27]
	v_pk_mul_f32 v[26:27], v[34:35], v[38:39] op_sel_hi:[0,1]
	v_pk_fma_f32 v[16:17], v[16:17], v[26:27], v[28:29]
	v_fma_f32 v6, v6, v36, v22
	v_fma_f32 v7, v7, v37, v23
	v_exp_f32_e32 v22, v50
	v_exp_f32_e32 v23, v58
	;; [unrolled: 1-line block ×4, first 2 shown]
	v_accvgpr_read_b32 v24, a6
	v_accvgpr_read_b32 v33, a15
	;; [unrolled: 1-line block ×9, first 2 shown]
	v_fma_f32 v8, v8, v26, v24
	v_fmac_f32_e32 v25, v9, v27
	v_pk_mul_f32 v[22:23], v[34:35], v[22:23] op_sel_hi:[0,1]
	v_pk_mul_f32 v[26:27], v[34:35], v[28:29] op_sel_hi:[0,1]
	s_add_i32 s57, s57, 64
	v_pk_fma_f32 v[10:11], v[10:11], v[22:23], v[30:31]
	v_pk_fma_f32 v[12:13], v[12:13], v[26:27], v[32:33]
	v_fma_f32 v2, v2, v22, v18
	v_fma_f32 v3, v3, v23, v19
	;; [unrolled: 1-line block ×3, first 2 shown]
	s_cmp_eq_u32 s50, s41
	v_fmac_f32_e32 v21, v5, v27
	s_cbranch_scc1 .LBB403_4
; %bb.43:                               ;   in Loop: Header=BB403_32 Depth=1
	s_mov_b32 s62, s41
	v_mov_b32_e32 v9, v25
	v_mov_b32_e32 v5, v21
	s_branch .LBB403_32
.LBB403_44:
                                        ; implicit-def: $vgpr5
                                        ; implicit-def: $vgpr9
                                        ; implicit-def: $vgpr13
                                        ; implicit-def: $vgpr17
	s_cbranch_execz .LBB403_46
; %bb.45:
	s_waitcnt vmcnt(0)
	v_mad_u64_u32 v[2:3], s[0:1], v20, s15, v[18:19]
	v_lshlrev_b32_e32 v20, 1, v2
	s_lshl_b32 s2, s15, 7
	s_and_b32 s1, s5, 0xffff
	s_mov_b32 s3, 0x20000
	s_mov_b32 s0, s4
	v_add_lshl_u32 v21, v2, s15, 1
	s_movk_i32 s13, 0x80
	buffer_load_dwordx4 v[2:5], v20, s[0:3], 0 offen
	buffer_load_dwordx4 v[10:13], v20, s[0:3], s13 offen
	;; [unrolled: 1-line block ×4, first 2 shown]
.LBB403_46:
	v_lshrrev_b32_e32 v30, 2, v61
	s_cbranch_execnz .LBB403_59
.LBB403_47:
	s_and_b64 vcc, exec, s[6:7]
	s_cbranch_vccz .LBB403_57
; %bb.48:
	s_waitcnt vmcnt(0)
	v_lshlrev_b32_e32 v7, 1, v23
	v_cmp_gt_i32_e32 vcc, s27, v7
	v_mov_b32_e32 v6, 0
	v_lshlrev_b32_e32 v14, 9, v23
	v_mov_b32_e32 v2, 0
	v_mov_b32_e32 v3, 0
	v_mov_b32_e32 v4, 0
	v_mov_b32_e32 v5, 0
	s_and_saveexec_b64 s[0:1], vcc
	s_cbranch_execz .LBB403_50
; %bb.49:
	v_mov_b32_e32 v15, 0
	v_lshl_add_u64 v[2:3], s[4:5], 0, v[14:15]
	v_lshlrev_b32_e32 v4, 1, v18
	v_mov_b32_e32 v5, v15
	v_lshl_add_u64 v[2:3], v[2:3], 0, v[4:5]
	global_load_dwordx4 v[2:5], v[2:3], off
.LBB403_50:
	s_or_b64 exec, exec, s[0:1]
	v_or_b32_e32 v7, 1, v7
	v_cmp_gt_i32_e64 s[0:1], s27, v7
	v_lshlrev_b32_e32 v20, 8, v7
	v_mov_b32_e32 v7, 0
	v_mov_b32_e32 v8, 0
	;; [unrolled: 1-line block ×3, first 2 shown]
	s_and_saveexec_b64 s[2:3], s[0:1]
	s_cbranch_execz .LBB403_52
; %bb.51:
	v_mov_b32_e32 v21, 0
	v_lshl_add_u64 v[6:7], s[4:5], 0, v[20:21]
	v_lshlrev_b32_e32 v8, 1, v18
	v_mov_b32_e32 v9, v21
	v_lshl_add_u64 v[6:7], v[6:7], 0, v[8:9]
	global_load_dwordx4 v[6:9], v[6:7], off
.LBB403_52:
	s_or_b64 exec, exec, s[2:3]
	v_mov_b32_e32 v17, 0
	v_mov_b32_e32 v10, 0
	;; [unrolled: 1-line block ×5, first 2 shown]
	s_and_saveexec_b64 s[2:3], vcc
	s_cbranch_execz .LBB403_54
; %bb.53:
	v_mov_b32_e32 v15, 0
	v_lshl_add_u64 v[10:11], s[4:5], 0, v[14:15]
	v_lshlrev_b32_e32 v14, 1, v18
	v_lshl_add_u64 v[10:11], v[10:11], 0, v[14:15]
	global_load_dwordx4 v[10:13], v[10:11], off offset:128
.LBB403_54:
	s_or_b64 exec, exec, s[2:3]
	v_mov_b32_e32 v16, 0
	v_mov_b32_e32 v15, 0
	;; [unrolled: 1-line block ×3, first 2 shown]
	s_and_saveexec_b64 s[2:3], s[0:1]
	s_cbranch_execz .LBB403_56
; %bb.55:
	v_mov_b32_e32 v21, 0
	v_lshl_add_u64 v[14:15], s[4:5], 0, v[20:21]
	v_lshlrev_b32_e32 v20, 1, v18
	v_lshl_add_u64 v[14:15], v[14:15], 0, v[20:21]
	global_load_dwordx4 v[14:17], v[14:15], off offset:128
.LBB403_56:
	s_or_b64 exec, exec, s[2:3]
	s_branch .LBB403_59
.LBB403_57:
                                        ; implicit-def: $vgpr5
                                        ; implicit-def: $vgpr9
                                        ; implicit-def: $vgpr13
                                        ; implicit-def: $vgpr17
	s_cbranch_execz .LBB403_59
; %bb.58:
	s_waitcnt vmcnt(0)
	v_lshlrev_b32_e32 v2, 1, v18
	v_lshl_or_b32 v18, v23, 9, v2
	s_and_b32 s5, s5, 0xffff
	s_mov_b32 s7, 0x20000
	s_movk_i32 s6, 0x4000
	s_movk_i32 s0, 0x80
	buffer_load_dwordx4 v[2:5], v18, s[4:7], 0 offen
	buffer_load_dwordx4 v[6:9], v18, s[4:7], 0 offen offset:256
	buffer_load_dwordx4 v[10:13], v18, s[4:7], s0 offen
	buffer_load_dwordx4 v[14:17], v18, s[4:7], s0 offen offset:256
.LBB403_59:
	ds_read_b64 v[20:21], v25 offset:32768
	v_add_u32_e32 v18, 0xb000, v24
	ds_read2_b64 v[32:35], v18 offset1:16
	ds_read_b64 v[40:41], v26 offset:32768
	ds_read_b64 v[26:27], v27 offset:32768
	ds_read_b64 v[42:43], v28 offset:32768
	v_and_b32_e32 v18, 6, v0
	v_xor_b32_e32 v23, v23, v18
	v_lshlrev_b32_e32 v23, 2, v23
	v_and_b32_e32 v0, 1, v0
	v_xor_b32_e32 v28, 0x440, v23
	v_cmp_eq_u32_e32 vcc, 0, v0
	s_waitcnt lgkmcnt(3)
	v_mfma_f32_16x16x16_bf16 a[0:3], v[20:21], v[32:33], a[0:3]
	s_mov_b32 s0, 0x1000504
	v_cndmask_b32_e32 v0, v28, v23, vcc
	v_lshl_or_b32 v0, v18, 10, v0
	v_mfma_f32_16x16x16_bf16 a[4:7], v[20:21], v[34:35], a[4:7]
	ds_read2st64_b64 v[32:35], v24 offset0:90 offset1:92
	ds_read2st64_b64 v[36:39], v29 offset0:90 offset1:92
	ds_read_b64 v[20:21], v24 offset:48128
	ds_read_b64 v[24:25], v29 offset:48128
	s_waitcnt vmcnt(0)
	v_perm_b32 v18, v2, v6, s0
	s_waitcnt lgkmcnt(3)
	v_mfma_f32_16x16x16_bf16 a[0:3], v[40:41], v[32:33], a[0:3]
	s_mov_b32 s1, 0x3020706
	v_perm_b32 v2, v2, v6, s1
	v_perm_b32 v6, v10, v14, s1
	s_waitcnt lgkmcnt(2)
	v_mfma_f32_16x16x16_bf16 a[4:7], v[40:41], v[36:37], a[4:7]
	v_mfma_f32_16x16x16_bf16 a[0:3], v[26:27], v[34:35], a[0:3]
	;; [unrolled: 1-line block ×3, first 2 shown]
	s_waitcnt lgkmcnt(1)
	v_mfma_f32_16x16x16_bf16 a[4:7], v[42:43], v[20:21], a[0:3]
	v_perm_b32 v20, v10, v14, s0
	ds_write2st64_b32 v0, v18, v20 offset0:32 offset1:64
	v_xor_b32_e32 v18, 8, v0
	v_add_u32_e32 v10, 0x80, v18
	ds_write2st64_b32 v10, v2, v6 offset0:32 offset1:64
	v_xor_b32_e32 v2, 16, v0
	v_perm_b32 v6, v3, v7, s0
	v_perm_b32 v10, v11, v15, s0
	ds_write2st64_b32 v2, v6, v10 offset0:33 offset1:65
	v_xor_b32_e32 v2, 24, v0
	v_perm_b32 v3, v3, v7, s1
	v_perm_b32 v6, v11, v15, s1
	v_add_u32_e32 v2, 0x80, v2
	ds_write2st64_b32 v2, v3, v6 offset0:33 offset1:65
	v_xor_b32_e32 v2, 32, v0
	v_perm_b32 v3, v4, v8, s0
	v_perm_b32 v6, v12, v16, s0
	s_waitcnt lgkmcnt(4)
	v_mfma_f32_16x16x16_bf16 a[0:3], v[42:43], v[24:25], a[8:11]
	ds_write2st64_b32 v2, v3, v6 offset0:34 offset1:66
	v_xor_b32_e32 v2, 40, v0
	v_perm_b32 v3, v4, v8, s1
	v_perm_b32 v4, v12, v16, s1
	v_add_u32_e32 v2, 0x80, v2
	ds_write2st64_b32 v2, v3, v4 offset0:34 offset1:66
	v_xor_b32_e32 v2, 48, v0
	v_perm_b32 v3, v5, v9, s0
	v_perm_b32 v4, v13, v17, s0
	v_xor_b32_e32 v0, 56, v0
	v_and_or_b32 v21, v30, 12, v1
	ds_write2st64_b32 v2, v3, v4 offset0:35 offset1:67
	v_perm_b32 v2, v5, v9, s1
	v_perm_b32 v3, v13, v17, s1
	v_add_u32_e32 v0, 0x80, v0
	v_cmp_gt_i32_e32 vcc, s27, v21
	v_mov_b32_e32 v16, 0
	v_mov_b32_e32 v18, 0
	ds_write2st64_b32 v0, v2, v3 offset0:35 offset1:67
	s_and_saveexec_b64 s[0:1], vcc
	s_cbranch_execz .LBB403_61
; %bb.60:
	v_add_u32_e32 v0, s26, v21
	v_ashrrev_i32_e32 v1, 31, v0
	v_mul_lo_u32 v2, v1, s30
	v_mul_lo_u32 v3, v0, s31
	v_mad_u64_u32 v[0:1], s[2:3], v0, s30, 0
	v_add3_u32 v1, v1, v3, v2
	v_lshl_add_u64 v[0:1], v[0:1], 2, s[10:11]
	global_load_dword v0, v[0:1], off
	s_waitcnt vmcnt(0)
	v_sub_f32_e32 v0, s12, v0
	v_exp_f32_e32 v18, v0
.LBB403_61:
	s_or_b64 exec, exec, s[0:1]
	v_or_b32_e32 v10, 1, v21
	v_cmp_gt_i32_e64 s[2:3], s27, v10
	s_and_saveexec_b64 s[0:1], s[2:3]
	s_cbranch_execz .LBB403_63
; %bb.62:
	v_add_u32_e32 v0, s26, v10
	v_ashrrev_i32_e32 v1, 31, v0
	v_mul_lo_u32 v2, v1, s30
	v_mul_lo_u32 v3, v0, s31
	v_mad_u64_u32 v[0:1], s[4:5], v0, s30, 0
	v_add3_u32 v1, v1, v3, v2
	v_lshl_add_u64 v[0:1], v[0:1], 2, s[10:11]
	global_load_dword v0, v[0:1], off
	s_waitcnt vmcnt(0)
	v_sub_f32_e32 v0, s12, v0
	v_exp_f32_e32 v16, v0
.LBB403_63:
	s_or_b64 exec, exec, s[0:1]
	v_or_b32_e32 v12, 2, v21
	v_cmp_gt_i32_e64 s[0:1], s27, v12
	v_mov_b32_e32 v17, 0
	v_mov_b32_e32 v20, 0
	s_and_saveexec_b64 s[4:5], s[0:1]
	s_cbranch_execz .LBB403_65
; %bb.64:
	v_add_u32_e32 v0, s26, v12
	v_ashrrev_i32_e32 v1, 31, v0
	v_mul_lo_u32 v2, v1, s30
	v_mul_lo_u32 v3, v0, s31
	v_mad_u64_u32 v[0:1], s[6:7], v0, s30, 0
	v_add3_u32 v1, v1, v3, v2
	v_lshl_add_u64 v[0:1], v[0:1], 2, s[10:11]
	global_load_dword v0, v[0:1], off
	s_waitcnt vmcnt(0)
	v_sub_f32_e32 v0, s12, v0
	v_exp_f32_e32 v20, v0
.LBB403_65:
	s_or_b64 exec, exec, s[4:5]
	v_or_b32_e32 v14, 3, v21
	v_cmp_gt_i32_e64 s[4:5], s27, v14
	s_and_saveexec_b64 s[6:7], s[4:5]
	s_cbranch_execz .LBB403_67
; %bb.66:
	v_add_u32_e32 v0, s26, v14
	v_ashrrev_i32_e32 v1, 31, v0
	v_mul_lo_u32 v2, v1, s30
	v_mul_lo_u32 v3, v0, s31
	v_mad_u64_u32 v[0:1], s[14:15], v0, s30, 0
	v_add3_u32 v1, v1, v3, v2
	v_lshl_add_u64 v[0:1], v[0:1], 2, s[10:11]
	global_load_dword v0, v[0:1], off
	s_waitcnt vmcnt(0)
	v_sub_f32_e32 v0, s12, v0
	v_exp_f32_e32 v17, v0
.LBB403_67:
	s_or_b64 exec, exec, s[6:7]
	s_add_u32 s6, s8, s20
	s_addc_u32 s7, s9, s21
	s_add_u32 s8, s28, s20
	v_ashrrev_i32_e32 v63, 31, v62
	v_accvgpr_read_b32 v0, a4
	s_addc_u32 s9, s29, s21
	v_lshlrev_b64 v[4:5], 1, v[62:63]
	v_accvgpr_read_b32 v1, a5
	v_accvgpr_read_b32 v2, a6
	;; [unrolled: 1-line block ×3, first 2 shown]
	v_lshl_add_u64 v[6:7], s[6:7], 0, v[4:5]
	v_lshl_add_u64 v[4:5], s[8:9], 0, v[4:5]
	v_mov_b32_e32 v11, 0
	v_lshlrev_b32_e32 v8, 8, v21
	v_mov_b32_e32 v9, 0
	s_and_saveexec_b64 s[6:7], vcc
	s_cbranch_execz .LBB403_69
; %bb.68:
	v_mov_b32_e32 v9, 0
	v_lshl_add_u64 v[24:25], v[6:7], 0, v[8:9]
	global_load_ushort v13, v[24:25], off
	v_lshl_add_u64 v[24:25], v[4:5], 0, v[8:9]
	s_waitcnt vmcnt(0)
	v_lshlrev_b32_e32 v9, 16, v13
	v_sub_f32_e32 v0, v9, v0
	global_store_short_d16_hi v[24:25], v0, off
	v_mul_f32_e32 v0, v18, v0
	v_lshrrev_b32_e32 v9, 16, v0
.LBB403_69:
	s_or_b64 exec, exec, s[6:7]
	v_lshlrev_b32_e32 v10, 8, v10
	s_and_saveexec_b64 s[6:7], s[2:3]
	s_cbranch_execz .LBB403_71
; %bb.70:
	v_mov_b32_e32 v11, 0
	v_lshl_add_u64 v[24:25], v[6:7], 0, v[10:11]
	global_load_ushort v0, v[24:25], off
	v_lshl_add_u64 v[24:25], v[4:5], 0, v[10:11]
	s_waitcnt vmcnt(0)
	v_lshlrev_b32_e32 v0, 16, v0
	v_sub_f32_e32 v0, v0, v1
	global_store_short_d16_hi v[24:25], v0, off
	v_mul_f32_e32 v0, v16, v0
	v_lshrrev_b32_e32 v11, 16, v0
.LBB403_71:
	s_or_b64 exec, exec, s[6:7]
	v_mov_b32_e32 v15, 0
	v_lshlrev_b32_e32 v12, 8, v12
	v_mov_b32_e32 v13, 0
	s_and_saveexec_b64 s[6:7], s[0:1]
	s_cbranch_execz .LBB403_73
; %bb.72:
	v_mov_b32_e32 v13, 0
	v_lshl_add_u64 v[0:1], v[6:7], 0, v[12:13]
	global_load_ushort v23, v[0:1], off
	v_lshl_add_u64 v[0:1], v[4:5], 0, v[12:13]
	s_waitcnt vmcnt(0)
	v_lshlrev_b32_e32 v13, 16, v23
	v_sub_f32_e32 v2, v13, v2
	global_store_short_d16_hi v[0:1], v2, off
	v_mul_f32_e32 v0, v20, v2
	v_lshrrev_b32_e32 v13, 16, v0
.LBB403_73:
	s_or_b64 exec, exec, s[6:7]
	v_lshlrev_b32_e32 v14, 8, v14
	s_and_saveexec_b64 s[6:7], s[4:5]
	s_cbranch_execz .LBB403_75
; %bb.74:
	v_mov_b32_e32 v15, 0
	v_lshl_add_u64 v[0:1], v[6:7], 0, v[14:15]
	global_load_ushort v2, v[0:1], off
	v_lshl_add_u64 v[0:1], v[4:5], 0, v[14:15]
	s_waitcnt vmcnt(0)
	v_lshlrev_b32_e32 v2, 16, v2
	v_sub_f32_e32 v2, v2, v3
	global_store_short_d16_hi v[0:1], v2, off
	v_mul_f32_e32 v0, v17, v2
	v_lshrrev_b32_e32 v15, 16, v0
.LBB403_75:
	s_or_b64 exec, exec, s[6:7]
	v_lshlrev_b32_e32 v21, 5, v21
	s_mov_b32 s6, 0x5040100
	v_perm_b32 v24, v11, v9, s6
	v_or_b32_e32 v9, v21, v22
	v_accvgpr_read_b32 v0, a0
	v_perm_b32 v25, v15, v13, s6
	v_lshlrev_b32_e32 v9, 1, v9
	v_accvgpr_read_b32 v1, a1
	v_accvgpr_read_b32 v2, a2
	v_accvgpr_read_b32 v3, a3
	ds_write_b64 v9, v[24:25] offset:45056
	v_mov_b32_e32 v11, 0
	v_mov_b32_e32 v9, 0
	s_and_saveexec_b64 s[6:7], vcc
	s_cbranch_execz .LBB403_77
; %bb.76:
	v_mov_b32_e32 v9, 0
	v_lshl_add_u64 v[22:23], v[6:7], 0, v[8:9]
	global_load_ushort v13, v[22:23], off offset:32
	v_lshl_add_u64 v[8:9], v[4:5], 0, v[8:9]
	s_waitcnt vmcnt(0)
	v_lshlrev_b32_e32 v13, 16, v13
	v_sub_f32_e32 v0, v13, v0
	global_store_short_d16_hi v[8:9], v0, off offset:32
	v_mul_f32_e32 v0, v18, v0
	v_lshrrev_b32_e32 v9, 16, v0
.LBB403_77:
	s_or_b64 exec, exec, s[6:7]
	s_and_saveexec_b64 s[6:7], s[2:3]
	s_cbranch_execz .LBB403_79
; %bb.78:
	v_mov_b32_e32 v11, 0
	v_lshl_add_u64 v[22:23], v[6:7], 0, v[10:11]
	global_load_ushort v0, v[22:23], off offset:32
	v_lshl_add_u64 v[10:11], v[4:5], 0, v[10:11]
	s_waitcnt vmcnt(0)
	v_lshlrev_b32_e32 v0, 16, v0
	v_sub_f32_e32 v0, v0, v1
	global_store_short_d16_hi v[10:11], v0, off offset:32
	v_mul_f32_e32 v0, v16, v0
	v_lshrrev_b32_e32 v11, 16, v0
.LBB403_79:
	s_or_b64 exec, exec, s[6:7]
	v_mov_b32_e32 v0, 0
	v_mov_b32_e32 v1, 0
	s_and_saveexec_b64 s[2:3], s[0:1]
	s_cbranch_execz .LBB403_81
; %bb.80:
	v_mov_b32_e32 v13, 0
	v_lshl_add_u64 v[22:23], v[6:7], 0, v[12:13]
	global_load_ushort v1, v[22:23], off offset:32
	v_lshl_add_u64 v[12:13], v[4:5], 0, v[12:13]
	s_waitcnt vmcnt(0)
	v_lshlrev_b32_e32 v1, 16, v1
	v_sub_f32_e32 v1, v1, v2
	global_store_short_d16_hi v[12:13], v1, off offset:32
	v_mul_f32_e32 v1, v20, v1
	v_lshrrev_b32_e32 v1, 16, v1
.LBB403_81:
	s_or_b64 exec, exec, s[2:3]
	s_and_saveexec_b64 s[0:1], s[4:5]
	s_cbranch_execz .LBB403_83
; %bb.82:
	v_mov_b32_e32 v15, 0
	v_lshl_add_u64 v[6:7], v[6:7], 0, v[14:15]
	global_load_ushort v0, v[6:7], off offset:32
	v_lshl_add_u64 v[4:5], v[4:5], 0, v[14:15]
	s_waitcnt vmcnt(0)
	v_lshlrev_b32_e32 v0, 16, v0
	v_sub_f32_e32 v0, v0, v3
	global_store_short_d16_hi v[4:5], v0, off offset:32
	v_mul_f32_e32 v0, v17, v0
	v_lshrrev_b32_e32 v0, 16, v0
.LBB403_83:
	s_or_b64 exec, exec, s[0:1]
	s_mov_b32 s0, 0x5040100
	v_or_b32_e32 v2, v21, v19
	v_perm_b32 v1, v0, v1, s0
	v_perm_b32 v0, v11, v9, s0
	v_lshlrev_b32_e32 v2, 1, v2
	ds_write_b64 v2, v[0:1] offset:45056
	s_waitcnt lgkmcnt(0)
	s_barrier
.LBB403_84:
	s_endpgm
	.section	.rodata,"a",@progbits
	.p2align	6, 0x0
	.amdhsa_kernel _ZN12_GLOBAL__N_139chunk_gated_delta_rule_fwd_h_hip_kernelILi32ELb1ELb0ELb1ELb1ELb1ELb1ELb0ELb0EEEvPK12hip_bfloat16S3_S3_PKfS5_PKvPS1_S8_PvPKiSB_iiiiilll
		.amdhsa_group_segment_fixed_size 49152
		.amdhsa_private_segment_fixed_size 0
		.amdhsa_kernarg_size 136
		.amdhsa_user_sgpr_count 2
		.amdhsa_user_sgpr_dispatch_ptr 0
		.amdhsa_user_sgpr_queue_ptr 0
		.amdhsa_user_sgpr_kernarg_segment_ptr 1
		.amdhsa_user_sgpr_dispatch_id 0
		.amdhsa_user_sgpr_kernarg_preload_length 0
		.amdhsa_user_sgpr_kernarg_preload_offset 0
		.amdhsa_user_sgpr_private_segment_size 0
		.amdhsa_uses_dynamic_stack 0
		.amdhsa_enable_private_segment 0
		.amdhsa_system_sgpr_workgroup_id_x 1
		.amdhsa_system_sgpr_workgroup_id_y 1
		.amdhsa_system_sgpr_workgroup_id_z 0
		.amdhsa_system_sgpr_workgroup_info 0
		.amdhsa_system_vgpr_workitem_id 0
		.amdhsa_next_free_vgpr 164
		.amdhsa_next_free_sgpr 64
		.amdhsa_accum_offset 144
		.amdhsa_reserve_vcc 1
		.amdhsa_float_round_mode_32 0
		.amdhsa_float_round_mode_16_64 0
		.amdhsa_float_denorm_mode_32 3
		.amdhsa_float_denorm_mode_16_64 3
		.amdhsa_dx10_clamp 1
		.amdhsa_ieee_mode 1
		.amdhsa_fp16_overflow 0
		.amdhsa_tg_split 0
		.amdhsa_exception_fp_ieee_invalid_op 0
		.amdhsa_exception_fp_denorm_src 0
		.amdhsa_exception_fp_ieee_div_zero 0
		.amdhsa_exception_fp_ieee_overflow 0
		.amdhsa_exception_fp_ieee_underflow 0
		.amdhsa_exception_fp_ieee_inexact 0
		.amdhsa_exception_int_div_zero 0
	.end_amdhsa_kernel
	.section	.text._ZN12_GLOBAL__N_139chunk_gated_delta_rule_fwd_h_hip_kernelILi32ELb1ELb0ELb1ELb1ELb1ELb1ELb0ELb0EEEvPK12hip_bfloat16S3_S3_PKfS5_PKvPS1_S8_PvPKiSB_iiiiilll,"axG",@progbits,_ZN12_GLOBAL__N_139chunk_gated_delta_rule_fwd_h_hip_kernelILi32ELb1ELb0ELb1ELb1ELb1ELb1ELb0ELb0EEEvPK12hip_bfloat16S3_S3_PKfS5_PKvPS1_S8_PvPKiSB_iiiiilll,comdat
.Lfunc_end403:
	.size	_ZN12_GLOBAL__N_139chunk_gated_delta_rule_fwd_h_hip_kernelILi32ELb1ELb0ELb1ELb1ELb1ELb1ELb0ELb0EEEvPK12hip_bfloat16S3_S3_PKfS5_PKvPS1_S8_PvPKiSB_iiiiilll, .Lfunc_end403-_ZN12_GLOBAL__N_139chunk_gated_delta_rule_fwd_h_hip_kernelILi32ELb1ELb0ELb1ELb1ELb1ELb1ELb0ELb0EEEvPK12hip_bfloat16S3_S3_PKfS5_PKvPS1_S8_PvPKiSB_iiiiilll
                                        ; -- End function
	.section	.AMDGPU.csdata,"",@progbits
; Kernel info:
; codeLenInByte = 8684
; NumSgprs: 70
; NumVgprs: 142
; NumAgprs: 20
; TotalNumVgprs: 164
; ScratchSize: 0
; MemoryBound: 0
; FloatMode: 240
; IeeeMode: 1
; LDSByteSize: 49152 bytes/workgroup (compile time only)
; SGPRBlocks: 8
; VGPRBlocks: 20
; NumSGPRsForWavesPerEU: 70
; NumVGPRsForWavesPerEU: 164
; AccumOffset: 144
; Occupancy: 1
; WaveLimiterHint : 1
; COMPUTE_PGM_RSRC2:SCRATCH_EN: 0
; COMPUTE_PGM_RSRC2:USER_SGPR: 2
; COMPUTE_PGM_RSRC2:TRAP_HANDLER: 0
; COMPUTE_PGM_RSRC2:TGID_X_EN: 1
; COMPUTE_PGM_RSRC2:TGID_Y_EN: 1
; COMPUTE_PGM_RSRC2:TGID_Z_EN: 0
; COMPUTE_PGM_RSRC2:TIDIG_COMP_CNT: 0
; COMPUTE_PGM_RSRC3_GFX90A:ACCUM_OFFSET: 35
; COMPUTE_PGM_RSRC3_GFX90A:TG_SPLIT: 0
	.section	.text._ZN12_GLOBAL__N_139chunk_gated_delta_rule_fwd_h_hip_kernelILi32ELb1ELb0ELb0ELb1ELb1ELb1ELb0ELb0EEEvPK12hip_bfloat16S3_S3_PKfS5_PKvPS1_S8_PvPKiSB_iiiiilll,"axG",@progbits,_ZN12_GLOBAL__N_139chunk_gated_delta_rule_fwd_h_hip_kernelILi32ELb1ELb0ELb0ELb1ELb1ELb1ELb0ELb0EEEvPK12hip_bfloat16S3_S3_PKfS5_PKvPS1_S8_PvPKiSB_iiiiilll,comdat
	.globl	_ZN12_GLOBAL__N_139chunk_gated_delta_rule_fwd_h_hip_kernelILi32ELb1ELb0ELb0ELb1ELb1ELb1ELb0ELb0EEEvPK12hip_bfloat16S3_S3_PKfS5_PKvPS1_S8_PvPKiSB_iiiiilll ; -- Begin function _ZN12_GLOBAL__N_139chunk_gated_delta_rule_fwd_h_hip_kernelILi32ELb1ELb0ELb0ELb1ELb1ELb1ELb0ELb0EEEvPK12hip_bfloat16S3_S3_PKfS5_PKvPS1_S8_PvPKiSB_iiiiilll
	.p2align	8
	.type	_ZN12_GLOBAL__N_139chunk_gated_delta_rule_fwd_h_hip_kernelILi32ELb1ELb0ELb0ELb1ELb1ELb1ELb0ELb0EEEvPK12hip_bfloat16S3_S3_PKfS5_PKvPS1_S8_PvPKiSB_iiiiilll,@function
_ZN12_GLOBAL__N_139chunk_gated_delta_rule_fwd_h_hip_kernelILi32ELb1ELb0ELb0ELb1ELb1ELb1ELb0ELb0EEEvPK12hip_bfloat16S3_S3_PKfS5_PKvPS1_S8_PvPKiSB_iiiiilll: ; @_ZN12_GLOBAL__N_139chunk_gated_delta_rule_fwd_h_hip_kernelILi32ELb1ELb0ELb0ELb1ELb1ELb1ELb0ELb0EEEvPK12hip_bfloat16S3_S3_PKfS5_PKvPS1_S8_PvPKiSB_iiiiilll
; %bb.0:
	s_load_dwordx4 s[12:15], s[0:1], 0x5c
	s_load_dwordx4 s[20:23], s[0:1], 0x70
	s_abs_i32 s9, s3
	s_ashr_i32 s8, s3, 31
	s_load_dwordx4 s[4:7], s[0:1], 0x48
	s_waitcnt lgkmcnt(0)
	s_abs_i32 s10, s13
	v_cvt_f32_u32_e32 v1, s10
	s_sub_i32 s16, 0, s10
	s_ashr_i32 s11, s13, 31
	s_xor_b32 s8, s8, s11
	v_rcp_iflag_f32_e32 v1, v1
	v_and_b32_e32 v72, 15, v0
	v_lshrrev_b32_e32 v70, 6, v0
	v_bfe_u32 v71, v0, 4, 2
	v_mul_f32_e32 v1, 0x4f7ffffe, v1
	v_cvt_u32_f32_e32 v1, v1
	v_mov_b32_e32 v7, 0
	v_and_b32_e32 v61, 63, v0
	v_lshrrev_b32_e32 v74, 3, v61
	v_readfirstlane_b32 s17, v1
	s_mul_i32 s16, s16, s17
	s_mul_hi_u32 s16, s17, s16
	s_add_i32 s17, s17, s16
	s_mul_hi_u32 s16, s9, s17
	s_mul_i32 s17, s16, s10
	s_sub_i32 s9, s9, s17
	s_add_i32 s18, s16, 1
	s_sub_i32 s17, s9, s10
	s_cmp_ge_u32 s9, s10
	s_cselect_b32 s16, s18, s16
	s_cselect_b32 s9, s17, s9
	s_add_i32 s17, s16, 1
	s_cmp_ge_u32 s9, s10
	s_cselect_b32 s9, s17, s16
	s_load_dwordx4 s[16:19], s[0:1], 0x28
	s_xor_b32 s9, s9, s8
	s_sub_i32 s24, s9, s8
	s_mul_i32 s28, s24, s13
	s_ashr_i32 s25, s24, 31
	s_sub_i32 s47, s3, s28
	s_lshl_b64 s[8:9], s[24:25], 2
	s_add_u32 s4, s4, s8
	s_addc_u32 s5, s5, s9
	s_add_u32 s26, s6, s8
	s_addc_u32 s27, s7, s9
	s_abs_i32 s3, s14
	v_cvt_f32_u32_e32 v1, s3
	s_load_dwordx2 s[30:31], s[4:5], 0x0
	s_lshl_b32 s38, s2, 5
	s_ashr_i32 s2, s14, 31
	v_rcp_iflag_f32_e32 v1, v1
	s_xor_b32 s2, s11, s2
	s_waitcnt lgkmcnt(0)
	s_sub_i32 s50, s31, s30
	s_ashr_i32 s4, s50, 31
	v_mul_f32_e32 v1, 0x4f7ffffe, v1
	v_cvt_u32_f32_e32 v1, v1
	s_lshr_b32 s4, s4, 26
	s_add_i32 s4, s50, s4
	s_ashr_i32 s48, s4, 6
	s_sub_i32 s4, 0, s3
	v_readfirstlane_b32 s5, v1
	s_mul_i32 s4, s4, s5
	s_mul_hi_u32 s4, s5, s4
	s_add_i32 s5, s5, s4
	s_mul_hi_u32 s4, s10, s5
	s_mul_i32 s5, s4, s3
	s_sub_i32 s5, s10, s5
	s_add_i32 s6, s4, 1
	s_sub_i32 s7, s5, s3
	s_cmp_ge_u32 s5, s3
	s_cselect_b32 s4, s6, s4
	s_cselect_b32 s5, s7, s5
	s_add_i32 s6, s4, 1
	s_cmp_ge_u32 s5, s3
	s_cselect_b32 s3, s6, s4
	s_xor_b32 s3, s3, s2
	s_sub_i32 s2, s3, s2
	s_abs_i32 s3, s2
	v_cvt_f32_u32_e32 v1, s3
	s_sub_i32 s5, 0, s3
	s_abs_i32 s4, s47
	s_xor_b32 s2, s47, s2
	v_rcp_iflag_f32_e32 v1, v1
	s_ashr_i32 s2, s2, 31
	v_or_b32_e32 v62, s38, v72
	v_lshlrev_b32_e32 v2, 7, v62
	v_mul_f32_e32 v1, 0x4f7ffffe, v1
	v_cvt_u32_f32_e32 v1, v1
	v_ashrrev_i32_e32 v3, 31, v2
	s_mul_hi_i32 s53, s47, s12
	s_mul_i32 s54, s47, s12
	v_readfirstlane_b32 s6, v1
	s_mul_i32 s5, s5, s6
	s_mul_hi_u32 s5, s6, s5
	s_add_i32 s6, s6, s5
	s_mul_hi_u32 s5, s4, s6
	s_mul_i32 s6, s5, s3
	s_sub_i32 s4, s4, s6
	s_add_i32 s6, s5, 1
	s_sub_i32 s7, s4, s3
	s_cmp_ge_u32 s4, s3
	s_cselect_b32 s5, s6, s5
	s_cselect_b32 s4, s7, s4
	s_add_i32 s6, s5, 1
	s_cmp_ge_u32 s4, s3
	s_cselect_b32 s3, s6, s5
	s_xor_b32 s3, s3, s2
	s_sub_i32 s51, s3, s2
	s_ashr_i32 s49, s47, 31
	s_mul_hi_i32 s3, s24, s13
	s_add_u32 s2, s28, s47
	s_addc_u32 s3, s3, s49
	s_lshl_b64 s[2:3], s[2:3], 16
	s_add_u32 s2, s16, s2
	s_addc_u32 s3, s17, s3
	v_lshlrev_b32_e32 v1, 4, v70
	v_lshl_add_u64 v[4:5], v[2:3], 2, s[2:3]
	v_or_b32_e32 v2, 0x800, v2
	v_lshl_or_b32 v75, v71, 2, v1
	v_ashrrev_i32_e32 v3, 31, v2
	v_lshlrev_b32_e32 v6, 2, v75
	v_lshl_add_u64 v[2:3], v[2:3], 2, s[2:3]
	v_lshl_add_u64 v[4:5], v[4:5], 0, v[6:7]
	;; [unrolled: 1-line block ×3, first 2 shown]
	global_load_dwordx4 v[14:17], v[4:5], off
	global_load_dwordx4 v[10:13], v[4:5], off offset:256
	global_load_dwordx4 v[6:9], v[18:19], off
	s_nop 0
	global_load_dwordx4 v[2:5], v[18:19], off offset:256
	s_load_dwordx8 s[4:11], s[0:1], 0x0
	s_load_dwordx2 s[28:29], s[0:1], 0x80
	s_load_dword s52, s[26:27], 0x0
	v_or_b32_e32 v76, 64, v75
	s_cmp_lt_i32 s50, 64
	v_lshlrev_b32_e32 v73, 3, v0
	s_mul_i32 s33, s24, s21
	s_mul_hi_u32 s43, s24, s20
	s_mul_i32 s44, s25, s20
	s_mul_i32 s34, s24, s20
	;; [unrolled: 1-line block ×3, first 2 shown]
	s_mul_hi_u32 s45, s47, s22
	s_mul_i32 s46, s49, s22
	s_mul_i32 s36, s47, s22
	s_cbranch_scc1 .LBB404_3
; %bb.1:
	s_ashr_i32 s3, s30, 31
	s_add_u32 s2, s54, s30
	s_addc_u32 s3, s53, s3
	s_lshl_b64 s[2:3], s[2:3], 8
	v_and_b32_e32 v78, 56, v73
	s_waitcnt lgkmcnt(0)
	s_add_u32 s20, s6, s2
	v_lshl_or_b32 v77, v70, 3, v74
	v_lshlrev_b32_e32 v18, 1, v78
	s_addc_u32 s2, s7, s3
	v_lshl_or_b32 v79, v77, 8, v18
	s_and_b32 s21, s2, 0xffff
	s_mov_b32 s23, 0x20000
	s_movk_i32 s22, 0x4000
	s_movk_i32 s2, 0x80
	v_or_b32_e32 v80, 0x2000, v79
	buffer_load_dwordx4 v[20:23], v79, s[20:23], 0 offen
	buffer_load_dwordx4 v[24:27], v79, s[20:23], s2 offen
	;; [unrolled: 1-line block ×4, first 2 shown]
	v_lshlrev_b32_e32 v19, 3, v77
	v_and_or_b32 v37, v0, 7, v19
	v_and_b32_e32 v19, 0x78, v19
	v_lshlrev_b32_e32 v37, 4, v37
	v_xor_b32_e32 v81, v37, v19
	v_mul_lo_u32 v36, v77, s15
	v_or_b32_e32 v82, 0x1000, v81
	v_xor_b32_e32 v19, 8, v81
	s_cmpk_eq_i32 s15, 0x80
	s_mov_b32 s55, s30
	v_xor_b32_e32 v37, 8, v82
	s_cselect_b64 s[2:3], -1, 0
	s_cmpk_lg_i32 s15, 0x80
	s_waitcnt vmcnt(3)
	ds_write_b64 v81, v[20:21] offset:24576
	ds_write_b64 v19, v[22:23] offset:24576
	s_waitcnt vmcnt(2)
	ds_write_b64 v81, v[24:25] offset:32768
	ds_write_b64 v19, v[26:27] offset:32768
	;; [unrolled: 3-line block ×4, first 2 shown]
	v_lshl_add_u32 v19, v36, 1, v78
	s_cbranch_scc0 .LBB404_29
; %bb.2:
	v_lshlrev_b32_e32 v21, 1, v19
	v_add_lshl_u32 v20, v19, s15, 1
	s_lshl_b32 s22, s15, 7
	s_load_dwordx2 s[16:17], s[0:1], 0x20
	v_lshl_or_b32 v18, v77, 9, v18
	s_cbranch_execz .LBB404_30
	s_branch .LBB404_31
.LBB404_3:
	s_waitcnt vmcnt(0)
	v_mov_b32_e32 v21, v5
	v_mov_b32_e32 v25, v9
.LBB404_4:
	s_lshl_b32 s26, s48, 6
	s_sub_i32 s27, s50, s26
	s_cmp_gt_i32 s27, 0
	s_cbranch_scc0 .LBB404_84
; %bb.5:
	s_add_i32 s26, s26, s30
	s_ashr_i32 s2, s26, 31
	s_cmpk_lg_i32 s15, 0x80
	s_cselect_b64 s[22:23], -1, 0
	s_and_b64 vcc, exec, s[22:23]
	s_cbranch_vccz .LBB404_7
; %bb.6:
	s_mul_i32 s1, s26, s14
	s_ashr_i32 s3, s51, 31
	s_mul_hi_i32 s0, s26, s14
	s_add_u32 s24, s1, s51
	s_addc_u32 s25, s0, s3
	s_cbranch_execz .LBB404_8
	s_branch .LBB404_9
.LBB404_7:
                                        ; implicit-def: $sgpr24_sgpr25
.LBB404_8:
	s_mul_i32 s1, s51, s12
	s_mul_hi_i32 s0, s51, s12
	s_add_u32 s24, s1, s26
	s_addc_u32 s25, s0, s2
.LBB404_9:
	s_waitcnt lgkmcnt(0)
	s_add_i32 s3, s48, s52
	s_add_u32 s0, s54, s26
	s_addc_u32 s1, s53, s2
	v_lshlrev_b32_e32 v18, 5, v75
	v_lshlrev_b32_e32 v22, 2, v72
	s_mov_b32 s2, 0x7060302
	v_perm_b32 v13, v13, v12, s2
	v_perm_b32 v12, v11, v10, s2
	v_or_b32_e32 v10, v18, v22
	v_xor_b32_e32 v5, v75, v22
	v_perm_b32 v17, v17, v16, s2
	v_perm_b32 v16, v15, v14, s2
	v_lshlrev_b32_e32 v10, 1, v10
	ds_write2st64_b64 v10, v[16:17], v[12:13] offset0:80 offset1:88
	v_lshlrev_b32_e32 v10, 1, v5
	v_lshlrev_b32_e32 v5, 8, v72
	s_lshl_b64 s[20:21], s[0:1], 8
	v_xor_b32_e32 v9, v76, v22
	v_or_b32_e32 v11, v10, v5
	s_add_u32 s0, s6, s20
	ds_write_b64 v11, v[16:17]
	v_lshlrev_b32_e32 v11, 1, v9
	s_addc_u32 s1, s7, s21
	v_or_b32_e32 v5, v11, v5
	s_mul_hi_i32 s6, s3, s13
	s_mul_i32 s3, s3, s13
	ds_write_b64 v5, v[12:13]
	v_perm_b32 v9, v25, v8, s2
	v_perm_b32 v8, v7, v6, s2
	;; [unrolled: 1-line block ×4, first 2 shown]
	s_add_u32 s2, s3, s47
	v_or_b32_e32 v2, 16, v72
	s_addc_u32 s3, s6, s49
	v_lshlrev_b32_e32 v19, 2, v2
	s_ashr_i32 s39, s38, 31
	s_lshl_b64 s[2:3], s[2:3], 15
	v_or_b32_e32 v3, v18, v19
	s_add_u32 s6, s18, s2
	v_lshlrev_b32_e32 v3, 1, v3
	v_lshlrev_b32_e32 v2, 8, v2
	s_addc_u32 s7, s19, s3
	s_lshl_b64 s[2:3], s[38:39], 8
	ds_write2st64_b64 v3, v[8:9], v[4:5] offset0:80 offset1:88
	v_or_b32_e32 v3, v10, v2
	v_or_b32_e32 v2, v11, v2
	s_add_u32 s2, s6, s2
	ds_write_b64 v3, v[8:9]
	ds_write_b64 v2, v[4:5]
	v_lshrrev_b32_e32 v2, 4, v0
	s_addc_u32 s3, s7, s3
	v_lshlrev_b32_e32 v3, 1, v72
	v_lshlrev_b32_e32 v10, 4, v72
	v_mov_b32_e32 v11, 0
	v_or_b32_e32 v4, 1, v3
	v_xor_b32_e32 v3, v2, v3
	v_lshl_add_u64 v[12:13], s[2:3], 0, v[10:11]
	v_lshlrev_b32_e32 v10, 8, v2
	v_xor_b32_e32 v6, v4, v2
	v_lshl_or_b32 v2, v3, 3, v10
	s_waitcnt lgkmcnt(0)
	s_barrier
	ds_read2st64_b64 v[2:5], v2 offset1:8
	v_lshl_or_b32 v6, v6, 3, v10
	ds_read2st64_b64 v[6:9], v6 offset1:8
	v_lshl_add_u64 v[14:15], v[12:13], 0, v[10:11]
	s_movk_i32 s2, 0x1000
	s_waitcnt lgkmcnt(1)
	v_mov_b32_e32 v10, v2
	v_add_co_u32_e32 v2, vcc, s2, v14
	s_cmp_lg_u32 s27, 64
	v_mov_b32_e32 v11, v3
	v_addc_co_u32_e32 v3, vcc, 0, v15, vcc
	s_cselect_b64 s[6:7], -1, 0
	v_lshl_or_b32 v23, v70, 3, v74
	s_waitcnt lgkmcnt(0)
	v_mov_b32_e32 v12, v6
	v_mov_b32_e32 v13, v7
	v_mov_b32_e32 v6, v4
	v_mov_b32_e32 v7, v5
	s_mov_b32 s16, 0
	v_or_b32_e32 v20, 32, v23
	v_and_b32_e32 v18, 56, v73
	s_and_b64 vcc, exec, s[6:7]
	global_store_dwordx4 v[14:15], v[10:13], off
	global_store_dwordx4 v[2:3], v[6:9], off
	s_cbranch_vccz .LBB404_15
; %bb.10:
	s_mov_b32 s17, s16
	s_mov_b32 s18, s16
	;; [unrolled: 1-line block ×3, first 2 shown]
	v_mov_b64_e32 v[6:7], s[16:17]
	v_mov_b64_e32 v[8:9], s[18:19]
	;; [unrolled: 1-line block ×3, first 2 shown]
	v_cmp_gt_i32_e32 vcc, s27, v23
	v_mov_b64_e32 v[4:5], v[8:9]
	s_and_saveexec_b64 s[2:3], vcc
	s_cbranch_execz .LBB404_12
; %bb.11:
	v_lshlrev_b32_e32 v2, 8, v23
	v_mov_b32_e32 v3, 0
	v_lshl_add_u64 v[4:5], s[0:1], 0, v[2:3]
	v_lshlrev_b32_e32 v2, 1, v18
	v_lshl_add_u64 v[10:11], v[4:5], 0, v[2:3]
	global_load_dwordx4 v[6:9], v[10:11], off
	global_load_dwordx4 v[2:5], v[10:11], off offset:128
.LBB404_12:
	s_or_b64 exec, exec, s[2:3]
	s_mov_b32 s17, s16
	s_mov_b32 s18, s16
	;; [unrolled: 1-line block ×3, first 2 shown]
	v_mov_b64_e32 v[14:15], s[16:17]
	v_mov_b64_e32 v[16:17], s[18:19]
	;; [unrolled: 1-line block ×3, first 2 shown]
	v_cmp_gt_i32_e32 vcc, s27, v20
	v_lshlrev_b32_e32 v21, 7, v20
	v_mov_b64_e32 v[12:13], v[16:17]
	s_and_saveexec_b64 s[2:3], vcc
	s_cbranch_execz .LBB404_14
; %bb.13:
	v_lshlrev_b32_e32 v10, 1, v21
	v_mov_b32_e32 v11, 0
	v_lshl_add_u64 v[12:13], s[0:1], 0, v[10:11]
	v_lshlrev_b32_e32 v10, 1, v18
	v_lshl_add_u64 v[24:25], v[12:13], 0, v[10:11]
	global_load_dwordx4 v[14:17], v[24:25], off
	global_load_dwordx4 v[10:13], v[24:25], off offset:128
.LBB404_14:
	s_or_b64 exec, exec, s[2:3]
	v_lshrrev_b32_e32 v24, 3, v18
	v_lshlrev_b32_e32 v25, 3, v23
	v_or_b32_e32 v24, v25, v24
	v_lshlrev_b32_e32 v24, 4, v24
	v_and_b32_e32 v25, 0x78, v25
	v_xor_b32_e32 v24, v24, v25
	s_branch .LBB404_17
.LBB404_15:
                                        ; implicit-def: $vgpr24
                                        ; implicit-def: $vgpr21
                                        ; implicit-def: $vgpr6_vgpr7_vgpr8_vgpr9
                                        ; implicit-def: $vgpr2_vgpr3_vgpr4_vgpr5
                                        ; implicit-def: $vgpr14_vgpr15_vgpr16_vgpr17
                                        ; implicit-def: $vgpr10_vgpr11_vgpr12_vgpr13
	s_cbranch_execz .LBB404_17
; %bb.16:
	s_waitcnt vmcnt(0)
	v_lshlrev_b32_e32 v2, 1, v18
	v_lshl_or_b32 v21, v23, 8, v2
	s_and_b32 s1, s1, 0xffff
	s_mov_b32 s3, 0x20000
	s_movk_i32 s2, 0x4000
	v_lshl_or_b32 v24, v20, 8, v2
	s_movk_i32 s12, 0x80
	buffer_load_dwordx4 v[6:9], v21, s[0:3], 0 offen
	buffer_load_dwordx4 v[2:5], v21, s[0:3], s12 offen
	;; [unrolled: 1-line block ×4, first 2 shown]
	v_lshrrev_b32_e32 v21, 3, v18
	v_lshlrev_b32_e32 v24, 3, v23
	v_or_b32_e32 v21, v24, v21
	v_lshlrev_b32_e32 v21, 4, v21
	v_and_b32_e32 v24, 0x78, v24
	v_xor_b32_e32 v24, v21, v24
	v_lshlrev_b32_e32 v21, 7, v20
.LBB404_17:
	s_lshl_b64 s[0:1], s[24:25], 8
	s_add_u32 s4, s4, s0
	s_movk_i32 s0, 0x1000
	v_and_or_b32 v20, v21, s0, v24
	s_waitcnt vmcnt(1)
	ds_write_b64 v24, v[6:7] offset:24576
	v_xor_b32_e32 v6, 8, v24
	ds_write_b64 v6, v[8:9] offset:24576
	s_waitcnt vmcnt(0)
	ds_write_b64 v24, v[2:3] offset:32768
	ds_write_b64 v6, v[4:5] offset:32768
	;; [unrolled: 1-line block ×3, first 2 shown]
	v_xor_b32_e32 v2, 8, v20
	ds_write_b64 v2, v[16:17] offset:24576
	ds_write_b64 v20, v[10:11] offset:32768
	ds_write_b64 v2, v[12:13] offset:32768
	v_or_b32_e32 v2, v1, v72
	v_lshlrev_b32_e32 v3, 11, v70
	v_lshlrev_b32_e32 v2, 3, v2
	v_and_b32_e32 v6, 0x1000, v3
	v_lshrrev_b32_e32 v3, 5, v61
	s_movk_i32 s3, 0xf8
	v_and_or_b32 v3, v2, s3, v3
	v_lshlrev_b32_e32 v7, 4, v3
	v_and_b32_e32 v8, 0x78, v2
	v_or_b32_e32 v10, 32, v7
	v_lshrrev_b32_e32 v3, 1, v61
	v_xor_b32_e32 v10, v10, v8
	v_xor_b32_e32 v2, v7, v8
	v_and_b32_e32 v9, 8, v3
	v_or_b32_e32 v10, v10, v6
	v_or_b32_e32 v2, v2, v6
	v_xor_b32_e32 v26, v10, v9
	v_or_b32_e32 v10, 64, v7
	v_xor_b32_e32 v25, v2, v9
	v_xor_b32_e32 v10, v10, v8
	s_waitcnt lgkmcnt(0)
	s_barrier
	v_or_b32_e32 v12, v10, v6
	ds_read_b64 v[10:11], v25 offset:24576
	v_lshl_or_b32 v20, v71, 7, v22
	v_lshlrev_b32_e32 v24, 1, v20
	v_add_u32_e32 v2, 0xa000, v24
	ds_read2_b64 v[2:5], v2 offset1:16
	v_or_b32_e32 v7, 0x60, v7
	v_xor_b32_e32 v7, v7, v8
	s_waitcnt lgkmcnt(0)
	v_mfma_f32_16x16x16_bf16 a[0:3], v[10:11], v[2:3], 0
	v_or_b32_e32 v2, 64, v20
	v_or_b32_e32 v6, v7, v6
	v_lshlrev_b32_e32 v29, 1, v2
	v_xor_b32_e32 v27, v12, v9
	v_xor_b32_e32 v28, v6, v9
	ds_read_b64 v[12:13], v26 offset:24576
	ds_read_b64 v[14:15], v27 offset:24576
	;; [unrolled: 1-line block ×3, first 2 shown]
	v_mfma_f32_16x16x16_bf16 a[4:7], v[10:11], v[4:5], 0
	ds_read2st64_b64 v[2:5], v29 offset0:82 offset1:84
	ds_read2st64_b64 v[6:9], v24 offset0:82 offset1:84
	s_addc_u32 s5, s5, s1
	s_add_i32 s1, s43, s33
	s_add_i32 s0, s31, -1
	s_add_i32 s35, s1, s44
	s_add_i32 s1, s45, s42
	;; [unrolled: 1-line block ×3, first 2 shown]
	s_ashr_i32 s1, s0, 31
	s_mul_i32 s2, s0, s29
	s_mul_hi_u32 s3, s0, s28
	s_add_i32 s2, s3, s2
	s_mul_i32 s1, s1, s28
	s_waitcnt lgkmcnt(1)
	v_mfma_f32_16x16x16_bf16 a[4:7], v[12:13], v[2:3], a[4:7]
	s_add_i32 s1, s2, s1
	s_lshl_b64 s[2:3], s[34:35], 2
	s_add_u32 s10, s10, s2
	s_waitcnt lgkmcnt(0)
	v_mfma_f32_16x16x16_bf16 a[0:3], v[12:13], v[6:7], a[0:3]
	s_addc_u32 s11, s11, s3
	s_lshl_b64 s[2:3], s[36:37], 2
	s_mul_i32 s0, s0, s28
	s_add_u32 s10, s10, s2
	ds_read_b64 v[2:3], v24 offset:44032
	v_mfma_f32_16x16x16_bf16 a[4:7], v[14:15], v[4:5], a[4:7]
	ds_read_b64 v[4:5], v29 offset:44032
	s_addc_u32 s11, s11, s3
	s_lshl_b64 s[0:1], s[0:1], 2
	v_mfma_f32_16x16x16_bf16 a[0:3], v[14:15], v[8:9], a[0:3]
	s_add_u32 s0, s10, s0
	s_addc_u32 s1, s11, s1
	s_load_dword s12, s[0:1], 0x0
	s_waitcnt lgkmcnt(0)
	v_mfma_f32_16x16x16_bf16 a[0:3], v[16:17], v[2:3], a[0:3]
	s_and_b64 vcc, exec, s[22:23]
	v_mfma_f32_16x16x16_bf16 a[4:7], v[16:17], v[4:5], a[4:7]
	s_cbranch_vccz .LBB404_28
; %bb.18:
	v_lshlrev_b32_e32 v20, 1, v23
	s_and_b64 vcc, exec, s[6:7]
	s_cbranch_vccz .LBB404_44
; %bb.19:
	v_cmp_gt_i32_e32 vcc, s27, v20
	v_mov_b32_e32 v6, 0
	v_mov_b32_e32 v2, 0
	;; [unrolled: 1-line block ×5, first 2 shown]
	s_and_saveexec_b64 s[0:1], vcc
	s_cbranch_execz .LBB404_21
; %bb.20:
	v_mad_i64_i32 v[2:3], s[2:3], s15, v20, 0
	v_lshl_add_u64 v[2:3], v[2:3], 1, s[4:5]
	v_lshlrev_b32_e32 v4, 1, v18
	v_mov_b32_e32 v5, 0
	v_lshl_add_u64 v[2:3], v[2:3], 0, v[4:5]
	global_load_dwordx4 v[2:5], v[2:3], off
.LBB404_21:
	s_or_b64 exec, exec, s[0:1]
	v_or_b32_e32 v21, 1, v20
	v_cmp_gt_i32_e64 s[0:1], s27, v21
	v_mov_b32_e32 v7, 0
	v_mov_b32_e32 v8, 0
	;; [unrolled: 1-line block ×3, first 2 shown]
	s_and_saveexec_b64 s[2:3], s[0:1]
	s_cbranch_execz .LBB404_23
; %bb.22:
	v_mad_i64_i32 v[6:7], s[16:17], s15, v21, 0
	v_lshl_add_u64 v[6:7], v[6:7], 1, s[4:5]
	v_lshlrev_b32_e32 v8, 1, v18
	v_mov_b32_e32 v9, 0
	v_lshl_add_u64 v[6:7], v[6:7], 0, v[8:9]
	global_load_dwordx4 v[6:9], v[6:7], off
.LBB404_23:
	s_or_b64 exec, exec, s[2:3]
	v_mov_b32_e32 v17, 0
	v_mov_b32_e32 v10, 0
	;; [unrolled: 1-line block ×5, first 2 shown]
	s_and_saveexec_b64 s[2:3], vcc
	s_cbranch_execz .LBB404_25
; %bb.24:
	v_mad_i64_i32 v[10:11], s[16:17], s15, v20, 0
	v_lshl_add_u64 v[10:11], v[10:11], 1, s[4:5]
	v_lshlrev_b32_e32 v12, 1, v18
	v_mov_b32_e32 v13, 0
	v_lshl_add_u64 v[10:11], v[10:11], 0, v[12:13]
	global_load_dwordx4 v[10:13], v[10:11], off offset:128
.LBB404_25:
	s_or_b64 exec, exec, s[2:3]
	v_mov_b32_e32 v16, 0
	v_mov_b32_e32 v15, 0
	;; [unrolled: 1-line block ×3, first 2 shown]
	s_and_saveexec_b64 s[2:3], s[0:1]
	s_cbranch_execz .LBB404_27
; %bb.26:
	v_mad_i64_i32 v[14:15], s[0:1], s15, v21, 0
	v_lshl_add_u64 v[14:15], v[14:15], 1, s[4:5]
	v_lshlrev_b32_e32 v16, 1, v18
	v_mov_b32_e32 v17, 0
	v_lshl_add_u64 v[14:15], v[14:15], 0, v[16:17]
	global_load_dwordx4 v[14:17], v[14:15], off offset:128
.LBB404_27:
	s_or_b64 exec, exec, s[2:3]
	s_branch .LBB404_46
.LBB404_28:
                                        ; implicit-def: $vgpr5
                                        ; implicit-def: $vgpr9
                                        ; implicit-def: $vgpr13
                                        ; implicit-def: $vgpr17
	v_lshrrev_b32_e32 v30, 2, v61
	s_branch .LBB404_47
.LBB404_29:
                                        ; implicit-def: $vgpr20
                                        ; implicit-def: $vgpr21
                                        ; implicit-def: $sgpr22
	s_load_dwordx2 s[16:17], s[0:1], 0x20
	v_lshl_or_b32 v18, v77, 9, v18
.LBB404_30:
	v_or_b32_e32 v20, 0x100, v18
	s_movk_i32 s22, 0x4000
	v_mov_b32_e32 v21, v18
.LBB404_31:
	s_mul_i32 s0, s30, s14
	s_ashr_i32 s56, s51, 31
	s_mul_hi_i32 s1, s30, s14
	s_add_u32 s0, s0, s51
	s_addc_u32 s1, s1, s56
	s_lshl_b64 s[0:1], s[0:1], 8
	s_add_u32 s20, s4, s0
	s_addc_u32 s0, s5, s1
	s_and_b32 s21, s0, 0xffff
	s_movk_i32 s57, 0x80
	buffer_load_dwordx4 v[22:25], v21, s[20:23], 0 offen
	buffer_load_dwordx4 v[26:29], v21, s[20:23], s57 offen
	;; [unrolled: 1-line block ×4, first 2 shown]
	v_and_b32_e32 v20, 6, v0
	v_lshlrev_b32_e32 v39, 6, v75
	v_or_b32_e32 v41, 16, v72
	v_xor_b32_e32 v42, v77, v20
	v_and_b32_e32 v21, 1, v0
	v_lshl_or_b32 v45, v72, 3, v39
	v_lshl_or_b32 v39, v41, 3, v39
	v_lshlrev_b32_e32 v42, 2, v42
	v_lshlrev_b32_e32 v38, 2, v72
	v_or_b32_e32 v85, 0xa000, v39
	v_or_b32_e32 v86, 0xb000, v39
	v_xor_b32_e32 v39, 0x440, v42
	v_cmp_eq_u32_e32 vcc, 0, v21
	s_add_i32 s0, s43, s33
	v_xor_b32_e32 v43, v75, v38
	v_xor_b32_e32 v44, v76, v38
	v_cndmask_b32_e32 v21, v39, v42, vcc
	s_add_i32 s1, s45, s42
	s_add_i32 s35, s0, s44
	s_mov_b32 s58, 0x1000504
	v_lshlrev_b32_e32 v40, 8, v72
	v_lshlrev_b32_e32 v41, 8, v41
	;; [unrolled: 1-line block ×4, first 2 shown]
	v_lshl_or_b32 v20, v20, 10, v21
	s_add_i32 s37, s1, s46
	s_lshl_b64 s[0:1], s[34:35], 2
	s_mov_b32 s59, 0x3020706
	v_or_b32_e32 v83, 0xa000, v45
	v_or_b32_e32 v84, 0xb000, v45
	;; [unrolled: 1-line block ×5, first 2 shown]
	v_xor_b32_e32 v21, 8, v20
	v_xor_b32_e32 v40, 24, v20
	;; [unrolled: 1-line block ×4, first 2 shown]
	s_add_u32 s20, s10, s0
	v_or_b32_e32 v89, v41, v43
	v_xor_b32_e32 v39, 16, v20
	v_xor_b32_e32 v41, 32, v20
	;; [unrolled: 1-line block ×3, first 2 shown]
	v_add_u32_e32 v21, 0x80, v21
	v_add_u32_e32 v40, 0x80, v40
	;; [unrolled: 1-line block ×4, first 2 shown]
	s_addc_u32 s21, s11, s1
	s_lshl_b64 s[0:1], s[36:37], 2
	s_add_u32 s40, s20, s0
	s_movk_i32 s0, 0xf8
	s_addc_u32 s41, s21, s1
	s_ashr_i32 s39, s38, 31
	s_lshl_b32 s26, s15, 7
	s_movk_i32 s20, 0x100
	v_mov_b32_e32 v65, 0
	v_lshlrev_b32_e32 v64, 4, v72
	v_cmp_gt_u32_e32 vcc, s20, v0
	v_ashrrev_i32_e32 v63, 31, v62
	s_mov_b32 s60, 0
	s_movk_i32 s35, 0x1000
	s_movk_i32 s22, 0x4000
	v_lshl_add_u64 v[66:67], v[62:63], 1, s[8:9]
	s_mov_b32 s37, 0x7060302
	s_waitcnt vmcnt(1)
	v_perm_b32 v45, v22, v30, s58
	s_waitcnt vmcnt(0)
	v_perm_b32 v46, v26, v34, s58
	v_perm_b32 v22, v22, v30, s59
	;; [unrolled: 1-line block ×15, first 2 shown]
	ds_write2st64_b32 v20, v45, v46 offset0:32 offset1:64
	ds_write2st64_b32 v21, v22, v26 offset0:32 offset1:64
	;; [unrolled: 1-line block ×8, first 2 shown]
	v_or_b32_e32 v20, v1, v72
	v_lshlrev_b32_e32 v20, 3, v20
	v_lshrrev_b32_e32 v23, 5, v61
	v_and_or_b32 v23, v20, s0, v23
	v_lshlrev_b32_e32 v23, 4, v23
	v_lshlrev_b32_e32 v25, 11, v70
	v_and_b32_e32 v20, 0x78, v20
	v_or_b32_e32 v28, 32, v23
	v_and_b32_e32 v22, 0x1000, v25
	v_lshrrev_b32_e32 v26, 1, v61
	v_xor_b32_e32 v28, v28, v20
	v_xor_b32_e32 v24, v23, v20
	v_and_b32_e32 v26, 8, v26
	v_or_b32_e32 v28, v28, v22
	v_or_b32_e32 v24, v24, v22
	v_lshlrev_b32_e32 v27, 7, v71
	v_xor_b32_e32 v93, v28, v26
	v_or_b32_e32 v28, 64, v23
	v_or_b32_e32 v23, 0x60, v23
	v_xor_b32_e32 v91, v24, v26
	v_or_b32_e32 v24, v27, v38
	v_xor_b32_e32 v28, v28, v20
	v_xor_b32_e32 v20, v23, v20
	s_lshl_b64 s[0:1], s[38:39], 8
	v_lshlrev_b32_e32 v24, 1, v24
	v_or_b32_e32 v28, v28, v22
	v_or_b32_e32 v20, v20, v22
	s_add_u32 s0, s18, s0
	v_lshlrev_b32_e32 v22, 1, v72
	v_or_b32_e32 v92, 0xa000, v24
	v_or_b32_e32 v94, 0xa080, v24
	v_or_b32_e32 v97, 0xb000, v24
	v_or_b32_e32 v98, 0xb080, v24
	v_lshrrev_b32_e32 v24, 4, v0
	s_addc_u32 s1, s19, s1
	v_or_b32_e32 v23, 1, v22
	v_mov_b32_e32 v33, 0x4000
	v_mov_b32_e32 v34, 0x2000
	v_lshrrev_b32_e32 v35, 1, v0
	v_xor_b32_e32 v95, v28, v26
	v_xor_b32_e32 v96, v20, v26
	;; [unrolled: 1-line block ×4, first 2 shown]
	v_lshl_add_u64 v[22:23], s[0:1], 0, v[64:65]
	v_lshlrev_b32_e32 v64, 8, v24
	v_cndmask_b32_e32 v33, v33, v34, vcc
	v_lshlrev_b32_e32 v34, 3, v70
	v_and_b32_e32 v35, 24, v35
	v_lshl_or_b32 v99, v26, 3, v64
	v_and_b32_e32 v26, 8, v0
	v_xor_b32_e32 v36, v34, v35
	v_or_b32_e32 v37, 0x440, v36
	v_cmp_eq_u32_e32 vcc, 0, v26
	v_and_b32_e32 v24, 7, v0
	v_lshl_or_b32 v100, v30, 3, v64
	v_cndmask_b32_e32 v26, v37, v36, vcc
	v_lshlrev_b32_e32 v30, 3, v24
	v_lshlrev_b32_e32 v32, 2, v0
	v_or_b32_e32 v26, v26, v25
	v_xor_b32_e32 v36, v26, v30
	v_and_or_b32 v26, v32, 60, v27
	v_mov_b32_e32 v27, 0xb000
	v_lshl_or_b32 v101, v26, 1, v27
	v_or_b32_e32 v26, 32, v35
	v_xor_b32_e32 v26, v34, v26
	v_or_b32_e32 v27, 0x440, v26
	v_cndmask_b32_e32 v26, v27, v26, vcc
	v_or_b32_e32 v26, v26, v25
	v_xor_b32_e32 v27, v26, v30
	v_or_b32_e32 v26, 64, v35
	v_xor_b32_e32 v26, v34, v26
	v_xor_b32_e32 v38, 0x440, v26
	v_cndmask_b32_e32 v26, v38, v26, vcc
	v_or_b32_e32 v26, v26, v25
	v_xor_b32_e32 v38, v26, v30
	v_or_b32_e32 v26, 0x60, v35
	v_xor_b32_e32 v26, v34, v26
	v_xor_b32_e32 v34, 0x440, v26
	v_cndmask_b32_e32 v26, v34, v26, vcc
	v_lshrrev_b32_e32 v21, 2, v61
	v_or_b32_e32 v25, v26, v25
	v_and_b32_e32 v21, 12, v21
	v_xor_b32_e32 v25, v25, v30
	v_lshlrev_b32_e32 v20, 7, v75
	v_lshlrev_b32_e32 v28, 1, v19
	v_add_lshl_u32 v19, v19, s15, 1
	v_or_b32_e32 v29, 0x100, v18
	v_lshlrev_b32_e32 v31, 7, v24
	v_or_b32_e32 v24, v21, v1
	v_add_u32_e32 v37, v33, v36
	v_add_u32_e32 v32, v33, v27
	;; [unrolled: 1-line block ×4, first 2 shown]
	v_or3_b32 v26, v1, v21, 64
	v_add_u32_e32 v21, 0x4000, v36
	v_add_u32_e32 v27, 0x4000, v27
	;; [unrolled: 1-line block ×4, first 2 shown]
	v_cndmask_b32_e64 v102, v28, v18, s[2:3]
	v_cndmask_b32_e64 v103, v19, v29, s[2:3]
	v_lshl_add_u64 v[68:69], v[22:23], 0, v[64:65]
	v_lshlrev_b32_e32 v64, 1, v20
	v_lshlrev_b32_e32 v63, 2, v24
	v_add_u32_e32 v104, v37, v31
	v_add_u32_e32 v105, v32, v31
	;; [unrolled: 1-line block ×4, first 2 shown]
	v_lshlrev_b32_e32 v108, 2, v26
	v_add_u32_e32 v109, v21, v31
	v_add_u32_e32 v110, v27, v31
	;; [unrolled: 1-line block ×4, first 2 shown]
	s_waitcnt lgkmcnt(0)
	s_barrier
.LBB404_32:                             ; =>This Inner Loop Header: Depth=1
	s_add_i32 s39, s60, 1
	s_cmp_lt_i32 s39, s48
	s_mov_b64 s[24:25], 0
	s_cselect_b64 s[2:3], -1, 0
	s_cmp_ge_i32 s39, s48
	s_mov_b64 s[20:21], 0
	s_cbranch_scc1 .LBB404_34
; %bb.33:                               ;   in Loop: Header=BB404_32 Depth=1
	s_add_i32 s0, s55, 64
	s_ashr_i32 s1, s0, 31
	s_add_u32 s0, s54, s0
	s_addc_u32 s1, s53, s1
	s_lshl_b64 s[0:1], s[0:1], 8
	s_add_u32 s20, s6, s0
	s_addc_u32 s21, s7, s1
.LBB404_34:                             ;   in Loop: Header=BB404_32 Depth=1
	v_cndmask_b32_e64 v18, 0, 1, s[2:3]
	v_cmp_ne_u32_e64 s[0:1], 1, v18
	s_andn2_b64 vcc, exec, s[2:3]
	s_cbranch_vccnz .LBB404_36
; %bb.35:                               ;   in Loop: Header=BB404_32 Depth=1
	s_add_i32 s2, s55, 64
	s_mul_hi_i32 s3, s2, s14
	s_mul_i32 s2, s2, s14
	s_add_u32 s2, s2, s51
	s_addc_u32 s3, s3, s56
	s_lshl_b64 s[2:3], s[2:3], 8
	s_add_u32 s24, s4, s2
	s_addc_u32 s25, s5, s3
.LBB404_36:                             ;   in Loop: Header=BB404_32 Depth=1
	v_perm_b32 v19, v17, v16, s37
	v_perm_b32 v18, v15, v14, s37
	;; [unrolled: 1-line block ×4, first 2 shown]
	ds_write_b64 v83, v[18:19]
	ds_write_b64 v84, v[20:21]
	;; [unrolled: 1-line block ×4, first 2 shown]
	v_perm_b32 v19, v9, v8, s37
	v_perm_b32 v18, v7, v6, s37
	v_perm_b32 v21, v5, v4, s37
	v_perm_b32 v20, v3, v2, s37
	ds_write_b64 v85, v[18:19]
	ds_write_b64 v86, v[20:21]
	;; [unrolled: 1-line block ×4, first 2 shown]
	s_waitcnt lgkmcnt(0)
	s_barrier
	ds_read_b64 v[22:23], v91 offset:24576
	ds_read2_b64 v[18:21], v92 offset1:16
	ds_read_b64 v[26:27], v94 offset:3072
	ds_read_b64 v[28:29], v92 offset:3072
	;; [unrolled: 1-line block ×3, first 2 shown]
	s_waitcnt lgkmcnt(3)
	v_mfma_f32_16x16x16_bf16 a[0:3], v[22:23], v[18:19], 0
	s_add_i32 s61, s55, 63
	s_ashr_i32 s2, s61, 31
	s_mul_i32 s3, s61, s29
	v_mfma_f32_16x16x16_bf16 a[4:7], v[22:23], v[20:21], 0
	ds_read2st64_b64 v[18:21], v92 offset0:2 offset1:4
	s_mul_hi_u32 s27, s61, s28
	s_add_i32 s3, s27, s3
	s_waitcnt lgkmcnt(0)
	v_mfma_f32_16x16x16_bf16 a[0:3], v[30:31], v[18:19], a[0:3]
	ds_read2st64_b64 v[22:25], v94 offset0:2 offset1:4
	ds_read_b64 v[18:19], v95 offset:24576
	s_mul_i32 s2, s2, s28
	s_add_i32 s3, s3, s2
	s_waitcnt lgkmcnt(1)
	v_mfma_f32_16x16x16_bf16 a[4:7], v[30:31], v[22:23], a[4:7]
	ds_read_b64 v[22:23], v96 offset:24576
	s_mul_i32 s2, s61, s28
	s_lshl_b64 s[2:3], s[2:3], 2
	s_waitcnt lgkmcnt(1)
	v_mfma_f32_16x16x16_bf16 a[0:3], v[18:19], v[20:21], a[0:3]
	s_add_u32 s2, s40, s2
	s_addc_u32 s3, s41, s3
	s_and_b64 vcc, exec, s[0:1]
	v_mfma_f32_16x16x16_bf16 a[4:7], v[18:19], v[24:25], a[4:7]
	v_mov_b32_e32 v115, 0
	v_mov_b32_e32 v114, 0
	v_mov_b32_e32 v113, 0
	s_waitcnt lgkmcnt(0)
	v_mfma_f32_16x16x16_bf16 a[0:3], v[22:23], v[28:29], a[0:3]
	v_mov_b32_e32 v18, 0
	v_mov_b32_e32 v19, 0
	;; [unrolled: 1-line block ×3, first 2 shown]
	v_mfma_f32_16x16x16_bf16 a[4:7], v[22:23], v[26:27], a[4:7]
	v_mov_b32_e32 v21, 0
	v_mov_b32_e32 v22, 0
	;; [unrolled: 1-line block ×13, first 2 shown]
	s_cbranch_vccnz .LBB404_38
; %bb.37:                               ;   in Loop: Header=BB404_32 Depth=1
	s_and_b32 s21, s21, 0xffff
	buffer_load_dwordx4 v[30:33], v79, s[20:23], 0 offen
	buffer_load_dwordx4 v[26:29], v79, s[20:23], s57 offen
	buffer_load_dwordx4 v[22:25], v80, s[20:23], 0 offen
	buffer_load_dwordx4 v[18:21], v80, s[20:23], s57 offen
	v_mov_b32_e32 v114, v81
	v_mov_b32_e32 v113, v82
.LBB404_38:                             ;   in Loop: Header=BB404_32 Depth=1
	ds_read_b64 v[38:39], v91 offset:32768
	ds_read2_b64 v[34:37], v97 offset1:16
	ds_read_b64 v[42:43], v93 offset:32768
	ds_read_b64 v[44:45], v95 offset:32768
	;; [unrolled: 1-line block ×3, first 2 shown]
	v_add_u32_e32 v50, s55, v75
	s_waitcnt lgkmcnt(3)
	v_mfma_f32_16x16x16_bf16 a[0:3], v[38:39], v[34:35], a[0:3]
	v_mov_b32_e32 v116, 0
	v_mfma_f32_16x16x16_bf16 a[4:7], v[38:39], v[36:37], a[4:7]
	ds_read2st64_b64 v[34:37], v97 offset0:2 offset1:4
	ds_read2st64_b64 v[38:41], v98 offset0:2 offset1:4
	s_waitcnt lgkmcnt(1)
	v_mfma_f32_16x16x16_bf16 a[0:3], v[42:43], v[34:35], a[0:3]
	ds_read_b64 v[34:35], v97 offset:3072
	ds_read_b64 v[48:49], v98 offset:3072
	s_waitcnt lgkmcnt(2)
	v_mfma_f32_16x16x16_bf16 a[4:7], v[42:43], v[38:39], a[4:7]
	v_ashrrev_i32_e32 v38, 31, v50
	v_mul_lo_u32 v39, v50, s29
	v_mul_lo_u32 v38, v38, s28
	v_mfma_f32_16x16x16_bf16 a[0:3], v[44:45], v[36:37], a[0:3]
	v_mad_u64_u32 v[36:37], s[20:21], v50, s28, 0
	v_add3_u32 v37, v37, v39, v38
	v_add_u32_e32 v38, 1, v50
	v_ashrrev_i32_e32 v39, 31, v38
	v_mfma_f32_16x16x16_bf16 a[4:7], v[44:45], v[40:41], a[4:7]
	v_mul_lo_u32 v39, v39, s28
	v_mul_lo_u32 v40, v38, s29
	v_lshl_add_u64 v[36:37], v[36:37], 2, s[40:41]
	s_waitcnt lgkmcnt(1)
	v_mfma_f32_16x16x16_bf16 a[0:3], v[46:47], v[34:35], a[0:3]
	v_mad_u64_u32 v[34:35], s[20:21], v38, s28, 0
	v_add_u32_e32 v38, 2, v50
	v_add3_u32 v35, v35, v40, v39
	v_ashrrev_i32_e32 v39, 31, v38
	v_mul_lo_u32 v40, v39, s28
	v_mul_lo_u32 v41, v38, s29
	v_mad_u64_u32 v[38:39], s[20:21], v38, s28, 0
	v_add3_u32 v39, v39, v41, v40
	v_add_u32_e32 v40, 3, v50
	v_ashrrev_i32_e32 v41, 31, v40
	v_mul_lo_u32 v42, v41, s28
	v_mul_lo_u32 v43, v40, s29
	v_mad_u64_u32 v[40:41], s[20:21], v40, s28, 0
	v_add3_u32 v41, v41, v43, v42
	v_lshl_add_u64 v[40:41], v[40:41], 2, s[40:41]
	s_ashr_i32 s21, s55, 31
	v_lshl_add_u64 v[34:35], v[34:35], 2, s[40:41]
	v_lshl_add_u64 v[38:39], v[38:39], 2, s[40:41]
	global_load_dword v42, v[36:37], off
	global_load_dword v43, v[34:35], off
	;; [unrolled: 1-line block ×3, first 2 shown]
	s_nop 0
	global_load_dword v41, v[40:41], off
	s_add_u32 s20, s54, s55
	s_addc_u32 s21, s53, s21
	s_lshl_b64 s[20:21], s[20:21], 8
	v_lshl_add_u64 v[34:35], v[66:67], 0, s[20:21]
	v_lshl_add_u64 v[34:35], v[34:35], 0, v[64:65]
	global_load_ushort v45, v[34:35], off
	global_load_ushort v50, v[34:35], off offset:256
	global_load_ushort v51, v[34:35], off offset:800
	;; [unrolled: 1-line block ×7, first 2 shown]
	s_load_dword s2, s[2:3], 0x0
	s_waitcnt lgkmcnt(0)
	v_mfma_f32_16x16x16_bf16 a[4:7], v[46:47], v[48:49], a[4:7]
	v_accvgpr_read_b32 v39, a1
	v_accvgpr_read_b32 v35, a3
	;; [unrolled: 1-line block ×4, first 2 shown]
	s_and_b64 vcc, exec, s[0:1]
	s_waitcnt vmcnt(11)
	v_sub_f32_e32 v40, s2, v42
	s_waitcnt vmcnt(10)
	v_sub_f32_e32 v48, s2, v43
	;; [unrolled: 2-line block ×4, first 2 shown]
	v_exp_f32_e32 v40, v40
	v_exp_f32_e32 v41, v48
	;; [unrolled: 1-line block ×4, first 2 shown]
	s_waitcnt vmcnt(6)
	v_lshlrev_b32_e32 v43, 16, v50
	v_lshlrev_b32_e32 v42, 16, v45
	s_waitcnt vmcnt(4)
	v_lshlrev_b32_e32 v45, 16, v52
	s_waitcnt vmcnt(2)
	v_lshlrev_b32_e32 v44, 16, v54
	v_pk_add_f32 v[38:39], v[42:43], v[38:39] neg_lo:[0,1] neg_hi:[0,1]
	v_pk_add_f32 v[34:35], v[44:45], v[34:35] neg_lo:[0,1] neg_hi:[0,1]
	v_pk_mul_f32 v[38:39], v[40:41], v[38:39]
	v_pk_mul_f32 v[34:35], v[48:49], v[34:35]
	s_waitcnt vmcnt(1)
	v_lshlrev_b32_e32 v47, 16, v55
	v_perm_b32 v35, v35, v34, s37
	v_perm_b32 v34, v39, v38, s37
	v_accvgpr_read_b32 v39, a5
	s_waitcnt vmcnt(0)
	v_lshlrev_b32_e32 v46, 16, v56
	v_accvgpr_read_b32 v38, a4
	v_pk_add_f32 v[38:39], v[46:47], v[38:39] neg_lo:[0,1] neg_hi:[0,1]
	v_accvgpr_read_b32 v37, a7
	v_accvgpr_read_b32 v36, a6
	v_pk_mul_f32 v[38:39], v[40:41], v[38:39]
	v_lshlrev_b32_e32 v41, 16, v51
	v_lshlrev_b32_e32 v40, 16, v53
	v_pk_add_f32 v[36:37], v[40:41], v[36:37] neg_lo:[0,1] neg_hi:[0,1]
	v_mov_b32_e32 v40, 0
	v_pk_mul_f32 v[36:37], v[48:49], v[36:37]
	v_mov_b32_e32 v41, 0
	v_perm_b32 v37, v37, v36, s37
	v_perm_b32 v36, v39, v38, s37
	ds_write2_b64 v84, v[34:35], v[36:37] offset1:16
	v_mov_b32_e32 v34, 0
	v_mov_b32_e32 v35, 0
	;; [unrolled: 1-line block ×14, first 2 shown]
	s_cbranch_vccnz .LBB404_40
; %bb.39:                               ;   in Loop: Header=BB404_32 Depth=1
	s_and_b32 s25, s25, 0xffff
	s_mov_b32 s27, s23
	buffer_load_dwordx4 v[46:49], v102, s[24:27], 0 offen
	buffer_load_dwordx4 v[38:41], v102, s[24:27], s57 offen
	;; [unrolled: 1-line block ×4, first 2 shown]
	v_mov_b32_e32 v115, v78
	v_mov_b32_e32 v116, v77
.LBB404_40:                             ;   in Loop: Header=BB404_32 Depth=1
	s_waitcnt lgkmcnt(0)
	s_barrier
	ds_read_b64 v[54:55], v104
	ds_read_b64 v[122:123], v101
	ds_read_b64 v[124:125], v105
	ds_read_b64 v[126:127], v106
	ds_read_b64 v[134:135], v107
	ds_read_b64 v[136:137], v98 offset:3072
	ds_read2_b64 v[50:53], v97 offset0:16 offset1:128
	s_waitcnt lgkmcnt(5)
	v_mfma_f32_16x16x16_bf16 a[0:3], v[54:55], v[122:123], 0
	s_add_i32 s3, s52, s60
	s_mul_hi_i32 s21, s3, s13
	s_mul_i32 s3, s3, s13
	s_waitcnt lgkmcnt(0)
	v_mfma_f32_16x16x16_bf16 a[4:7], v[54:55], v[50:51], 0
	ds_read_b64 v[54:55], v109
	ds_read2st64_b64 v[56:59], v98 offset0:2 offset1:4
	s_add_u32 s20, s3, s47
	s_addc_u32 s21, s21, s49
	s_lshl_b64 s[20:21], s[20:21], 15
	s_mul_i32 s24, s61, s13
	s_mul_hi_i32 s3, s61, s13
	s_add_u32 s24, s24, s47
	s_waitcnt lgkmcnt(1)
	v_mfma_f32_16x16x16_bf16 a[8:11], v[54:55], v[122:123], 0
	s_addc_u32 s25, s3, s49
	ds_read2st64_b64 v[118:121], v97 offset0:4 offset1:6
	s_lshl_b64 s[24:25], s[24:25], 9
	v_mfma_f32_16x16x16_bf16 a[0:3], v[124:125], v[52:53], a[0:3]
	s_add_u32 s24, s16, s24
	s_addc_u32 s25, s17, s25
	s_waitcnt lgkmcnt(1)
	v_mfma_f32_16x16x16_bf16 a[4:7], v[124:125], v[56:57], a[4:7]
	ds_read_b64 v[124:125], v110
	ds_read_b64 v[132:133], v111
	;; [unrolled: 1-line block ×3, first 2 shown]
	v_mfma_f32_16x16x16_bf16 a[12:15], v[54:55], v[50:51], 0
	s_waitcnt lgkmcnt(2)
	v_mfma_f32_16x16x16_bf16 a[8:11], v[124:125], v[52:53], a[8:11]
	global_load_dwordx4 v[50:53], v108, s[24:25]
	v_mfma_f32_16x16x16_bf16 a[12:15], v[124:125], v[56:57], a[12:15]
	global_load_dwordx4 v[54:57], v63, s[24:25]
	ds_read2st64_b64 v[122:125], v99 offset1:8
	s_waitcnt lgkmcnt(0)
	v_mov_b32_e32 v130, v122
	v_mfma_f32_16x16x16_bf16 a[0:3], v[126:127], v[118:119], a[0:3]
	v_mov_b32_e32 v131, v123
	v_mfma_f32_16x16x16_bf16 a[4:7], v[126:127], v[58:59], a[4:7]
	ds_read2st64_b64 v[126:129], v100 offset1:8
	v_mfma_f32_16x16x16_bf16 a[8:11], v[132:133], v[118:119], a[8:11]
	v_lshl_add_u64 v[118:119], v[68:69], 0, s[20:21]
	v_mfma_f32_16x16x16_bf16 a[16:19], v[132:133], v[58:59], a[12:15]
	v_add_co_u32_e32 v58, vcc, s35, v118
	s_waitcnt lgkmcnt(0)
	v_mov_b32_e32 v132, v126
	v_mfma_f32_16x16x16_bf16 a[0:3], v[134:135], v[120:121], a[0:3]
	v_mov_b32_e32 v133, v127
	v_mov_b32_e32 v126, v124
	;; [unrolled: 1-line block ×3, first 2 shown]
	v_mfma_f32_16x16x16_bf16 a[4:7], v[134:135], v[136:137], a[4:7]
	v_addc_co_u32_e32 v59, vcc, 0, v119, vcc
	global_store_dwordx4 v[58:59], v[126:129], off
	v_mfma_f32_16x16x16_bf16 a[12:15], v[138:139], v[120:121], a[8:11]
	s_and_b64 vcc, exec, s[0:1]
	global_store_dwordx4 v[118:119], v[130:133], off
	s_waitcnt vmcnt(3)
	v_mov_b32_e32 v60, v53
	v_mfma_f32_16x16x16_bf16 a[8:11], v[138:139], v[136:137], a[16:19]
	v_mov_b32_e32 v59, v52
	v_mov_b32_e32 v58, v51
	s_cbranch_vccnz .LBB404_42
; %bb.41:                               ;   in Loop: Header=BB404_32 Depth=1
	v_lshrrev_b32_e32 v51, 3, v115
	v_and_b32_e32 v51, 6, v51
	v_xor_b32_e32 v52, v51, v116
	v_lshlrev_b32_e32 v52, 2, v52
	v_and_b32_e32 v53, 8, v115
	v_xor_b32_e32 v115, 0x440, v52
	v_cmp_eq_u32_e32 vcc, 0, v53
	v_perm_b32 v53, v38, v34, s58
	s_nop 0
	v_cndmask_b32_e32 v52, v115, v52, vcc
	v_lshl_or_b32 v51, v51, 10, v52
	v_perm_b32 v52, v46, v42, s58
	s_barrier
	ds_write2st64_b32 v51, v52, v53 offset0:32 offset1:64
	v_xor_b32_e32 v52, 8, v51
	v_perm_b32 v42, v46, v42, s59
	v_perm_b32 v34, v38, v34, s59
	v_add_u32_e32 v38, 0x80, v52
	ds_write2st64_b32 v38, v42, v34 offset0:32 offset1:64
	v_xor_b32_e32 v34, 16, v51
	v_perm_b32 v38, v47, v43, s58
	v_perm_b32 v42, v39, v35, s58
	ds_write2st64_b32 v34, v38, v42 offset0:33 offset1:65
	v_xor_b32_e32 v34, 24, v51
	v_perm_b32 v38, v47, v43, s59
	v_perm_b32 v35, v39, v35, s59
	v_add_u32_e32 v34, 0x80, v34
	ds_write2st64_b32 v34, v38, v35 offset0:33 offset1:65
	v_xor_b32_e32 v34, 32, v51
	v_perm_b32 v35, v48, v44, s58
	v_perm_b32 v38, v40, v36, s58
	;; [unrolled: 9-line block ×3, first 2 shown]
	ds_write2st64_b32 v34, v35, v36 offset0:35 offset1:67
	v_xor_b32_e32 v34, 56, v51
	v_perm_b32 v35, v49, v45, s59
	v_perm_b32 v36, v41, v37, s59
	v_add_u32_e32 v34, 0x80, v34
	ds_write2st64_b32 v34, v35, v36 offset0:35 offset1:67
	ds_write_b64 v114, v[30:31] offset:24576
	v_xor_b32_e32 v30, 8, v114
	ds_write_b64 v30, v[32:33] offset:24576
	ds_write_b64 v114, v[26:27] offset:32768
	;; [unrolled: 1-line block ×4, first 2 shown]
	v_xor_b32_e32 v22, 8, v113
	ds_write_b64 v22, v[24:25] offset:24576
	ds_write_b64 v113, v[18:19] offset:32768
	;; [unrolled: 1-line block ×3, first 2 shown]
.LBB404_42:                             ;   in Loop: Header=BB404_32 Depth=1
	v_exp_f32_e32 v34, s2
	s_waitcnt vmcnt(2)
	v_exp_f32_e32 v36, v54
	v_exp_f32_e32 v37, v55
	;; [unrolled: 1-line block ×4, first 2 shown]
	v_accvgpr_read_b32 v29, a3
	v_accvgpr_read_b32 v27, a1
	;; [unrolled: 1-line block ×4, first 2 shown]
	v_pk_mul_f32 v[36:37], v[34:35], v[36:37] op_sel_hi:[0,1]
	v_accvgpr_read_b32 v28, a2
	v_accvgpr_read_b32 v23, a5
	;; [unrolled: 1-line block ×3, first 2 shown]
	v_pk_fma_f32 v[14:15], v[14:15], v[36:37], v[26:27]
	v_pk_mul_f32 v[26:27], v[34:35], v[38:39] op_sel_hi:[0,1]
	v_pk_fma_f32 v[16:17], v[16:17], v[26:27], v[28:29]
	v_fma_f32 v6, v6, v36, v22
	v_fma_f32 v7, v7, v37, v23
	v_exp_f32_e32 v22, v50
	v_exp_f32_e32 v23, v58
	;; [unrolled: 1-line block ×4, first 2 shown]
	v_accvgpr_read_b32 v24, a6
	v_accvgpr_read_b32 v33, a15
	;; [unrolled: 1-line block ×9, first 2 shown]
	v_fma_f32 v8, v8, v26, v24
	v_fmac_f32_e32 v25, v9, v27
	v_pk_mul_f32 v[22:23], v[34:35], v[22:23] op_sel_hi:[0,1]
	v_pk_mul_f32 v[26:27], v[34:35], v[28:29] op_sel_hi:[0,1]
	s_add_i32 s55, s55, 64
	v_pk_fma_f32 v[10:11], v[10:11], v[22:23], v[30:31]
	v_pk_fma_f32 v[12:13], v[12:13], v[26:27], v[32:33]
	v_fma_f32 v2, v2, v22, v18
	v_fma_f32 v3, v3, v23, v19
	;; [unrolled: 1-line block ×3, first 2 shown]
	s_cmp_eq_u32 s48, s39
	v_fmac_f32_e32 v21, v5, v27
	s_cbranch_scc1 .LBB404_4
; %bb.43:                               ;   in Loop: Header=BB404_32 Depth=1
	s_mov_b32 s60, s39
	v_mov_b32_e32 v9, v25
	v_mov_b32_e32 v5, v21
	s_branch .LBB404_32
.LBB404_44:
                                        ; implicit-def: $vgpr5
                                        ; implicit-def: $vgpr9
                                        ; implicit-def: $vgpr13
                                        ; implicit-def: $vgpr17
	s_cbranch_execz .LBB404_46
; %bb.45:
	s_waitcnt vmcnt(0)
	v_mad_u64_u32 v[2:3], s[0:1], v20, s15, v[18:19]
	v_lshlrev_b32_e32 v20, 1, v2
	s_lshl_b32 s2, s15, 7
	s_and_b32 s1, s5, 0xffff
	s_mov_b32 s3, 0x20000
	s_mov_b32 s0, s4
	v_add_lshl_u32 v21, v2, s15, 1
	s_movk_i32 s13, 0x80
	buffer_load_dwordx4 v[2:5], v20, s[0:3], 0 offen
	buffer_load_dwordx4 v[10:13], v20, s[0:3], s13 offen
	;; [unrolled: 1-line block ×4, first 2 shown]
.LBB404_46:
	v_lshrrev_b32_e32 v30, 2, v61
	s_cbranch_execnz .LBB404_59
.LBB404_47:
	s_and_b64 vcc, exec, s[6:7]
	s_cbranch_vccz .LBB404_57
; %bb.48:
	s_waitcnt vmcnt(0)
	v_lshlrev_b32_e32 v7, 1, v23
	v_cmp_gt_i32_e32 vcc, s27, v7
	v_mov_b32_e32 v6, 0
	v_lshlrev_b32_e32 v14, 9, v23
	v_mov_b32_e32 v2, 0
	v_mov_b32_e32 v3, 0
	;; [unrolled: 1-line block ×4, first 2 shown]
	s_and_saveexec_b64 s[0:1], vcc
	s_cbranch_execz .LBB404_50
; %bb.49:
	v_mov_b32_e32 v15, 0
	v_lshl_add_u64 v[2:3], s[4:5], 0, v[14:15]
	v_lshlrev_b32_e32 v4, 1, v18
	v_mov_b32_e32 v5, v15
	v_lshl_add_u64 v[2:3], v[2:3], 0, v[4:5]
	global_load_dwordx4 v[2:5], v[2:3], off
.LBB404_50:
	s_or_b64 exec, exec, s[0:1]
	v_or_b32_e32 v7, 1, v7
	v_cmp_gt_i32_e64 s[0:1], s27, v7
	v_lshlrev_b32_e32 v20, 8, v7
	v_mov_b32_e32 v7, 0
	v_mov_b32_e32 v8, 0
	;; [unrolled: 1-line block ×3, first 2 shown]
	s_and_saveexec_b64 s[2:3], s[0:1]
	s_cbranch_execz .LBB404_52
; %bb.51:
	v_mov_b32_e32 v21, 0
	v_lshl_add_u64 v[6:7], s[4:5], 0, v[20:21]
	v_lshlrev_b32_e32 v8, 1, v18
	v_mov_b32_e32 v9, v21
	v_lshl_add_u64 v[6:7], v[6:7], 0, v[8:9]
	global_load_dwordx4 v[6:9], v[6:7], off
.LBB404_52:
	s_or_b64 exec, exec, s[2:3]
	v_mov_b32_e32 v17, 0
	v_mov_b32_e32 v10, 0
	;; [unrolled: 1-line block ×5, first 2 shown]
	s_and_saveexec_b64 s[2:3], vcc
	s_cbranch_execz .LBB404_54
; %bb.53:
	v_mov_b32_e32 v15, 0
	v_lshl_add_u64 v[10:11], s[4:5], 0, v[14:15]
	v_lshlrev_b32_e32 v14, 1, v18
	v_lshl_add_u64 v[10:11], v[10:11], 0, v[14:15]
	global_load_dwordx4 v[10:13], v[10:11], off offset:128
.LBB404_54:
	s_or_b64 exec, exec, s[2:3]
	v_mov_b32_e32 v16, 0
	v_mov_b32_e32 v15, 0
	;; [unrolled: 1-line block ×3, first 2 shown]
	s_and_saveexec_b64 s[2:3], s[0:1]
	s_cbranch_execz .LBB404_56
; %bb.55:
	v_mov_b32_e32 v21, 0
	v_lshl_add_u64 v[14:15], s[4:5], 0, v[20:21]
	v_lshlrev_b32_e32 v20, 1, v18
	v_lshl_add_u64 v[14:15], v[14:15], 0, v[20:21]
	global_load_dwordx4 v[14:17], v[14:15], off offset:128
.LBB404_56:
	s_or_b64 exec, exec, s[2:3]
	s_branch .LBB404_59
.LBB404_57:
                                        ; implicit-def: $vgpr5
                                        ; implicit-def: $vgpr9
                                        ; implicit-def: $vgpr13
                                        ; implicit-def: $vgpr17
	s_cbranch_execz .LBB404_59
; %bb.58:
	s_waitcnt vmcnt(0)
	v_lshlrev_b32_e32 v2, 1, v18
	v_lshl_or_b32 v18, v23, 9, v2
	s_and_b32 s5, s5, 0xffff
	s_mov_b32 s7, 0x20000
	s_movk_i32 s6, 0x4000
	s_movk_i32 s0, 0x80
	buffer_load_dwordx4 v[2:5], v18, s[4:7], 0 offen
	buffer_load_dwordx4 v[6:9], v18, s[4:7], 0 offen offset:256
	buffer_load_dwordx4 v[10:13], v18, s[4:7], s0 offen
	buffer_load_dwordx4 v[14:17], v18, s[4:7], s0 offen offset:256
.LBB404_59:
	ds_read_b64 v[20:21], v25 offset:32768
	v_add_u32_e32 v18, 0xb000, v24
	ds_read2_b64 v[32:35], v18 offset1:16
	ds_read_b64 v[40:41], v26 offset:32768
	ds_read_b64 v[26:27], v27 offset:32768
	;; [unrolled: 1-line block ×3, first 2 shown]
	v_and_b32_e32 v18, 6, v0
	v_xor_b32_e32 v23, v23, v18
	v_lshlrev_b32_e32 v23, 2, v23
	v_and_b32_e32 v0, 1, v0
	v_xor_b32_e32 v28, 0x440, v23
	v_cmp_eq_u32_e32 vcc, 0, v0
	s_waitcnt lgkmcnt(3)
	v_mfma_f32_16x16x16_bf16 a[0:3], v[20:21], v[32:33], a[0:3]
	s_mov_b32 s0, 0x1000504
	v_cndmask_b32_e32 v0, v28, v23, vcc
	v_lshl_or_b32 v0, v18, 10, v0
	v_mfma_f32_16x16x16_bf16 a[4:7], v[20:21], v[34:35], a[4:7]
	ds_read2st64_b64 v[32:35], v24 offset0:90 offset1:92
	ds_read2st64_b64 v[36:39], v29 offset0:90 offset1:92
	ds_read_b64 v[20:21], v24 offset:48128
	ds_read_b64 v[24:25], v29 offset:48128
	s_waitcnt vmcnt(0)
	v_perm_b32 v18, v2, v6, s0
	s_waitcnt lgkmcnt(3)
	v_mfma_f32_16x16x16_bf16 a[0:3], v[40:41], v[32:33], a[0:3]
	s_mov_b32 s1, 0x3020706
	v_perm_b32 v2, v2, v6, s1
	v_perm_b32 v6, v10, v14, s1
	s_waitcnt lgkmcnt(2)
	v_mfma_f32_16x16x16_bf16 a[4:7], v[40:41], v[36:37], a[4:7]
	v_mfma_f32_16x16x16_bf16 a[0:3], v[26:27], v[34:35], a[0:3]
	;; [unrolled: 1-line block ×3, first 2 shown]
	s_waitcnt lgkmcnt(1)
	v_mfma_f32_16x16x16_bf16 a[4:7], v[42:43], v[20:21], a[0:3]
	v_perm_b32 v20, v10, v14, s0
	ds_write2st64_b32 v0, v18, v20 offset0:32 offset1:64
	v_xor_b32_e32 v18, 8, v0
	v_add_u32_e32 v10, 0x80, v18
	ds_write2st64_b32 v10, v2, v6 offset0:32 offset1:64
	v_xor_b32_e32 v2, 16, v0
	v_perm_b32 v6, v3, v7, s0
	v_perm_b32 v10, v11, v15, s0
	ds_write2st64_b32 v2, v6, v10 offset0:33 offset1:65
	v_xor_b32_e32 v2, 24, v0
	v_perm_b32 v3, v3, v7, s1
	v_perm_b32 v6, v11, v15, s1
	v_add_u32_e32 v2, 0x80, v2
	ds_write2st64_b32 v2, v3, v6 offset0:33 offset1:65
	v_xor_b32_e32 v2, 32, v0
	v_perm_b32 v3, v4, v8, s0
	v_perm_b32 v6, v12, v16, s0
	s_waitcnt lgkmcnt(4)
	v_mfma_f32_16x16x16_bf16 a[0:3], v[42:43], v[24:25], a[8:11]
	ds_write2st64_b32 v2, v3, v6 offset0:34 offset1:66
	v_xor_b32_e32 v2, 40, v0
	v_perm_b32 v3, v4, v8, s1
	v_perm_b32 v4, v12, v16, s1
	v_add_u32_e32 v2, 0x80, v2
	ds_write2st64_b32 v2, v3, v4 offset0:34 offset1:66
	v_xor_b32_e32 v2, 48, v0
	v_perm_b32 v3, v5, v9, s0
	v_perm_b32 v4, v13, v17, s0
	v_xor_b32_e32 v0, 56, v0
	v_and_or_b32 v18, v30, 12, v1
	ds_write2st64_b32 v2, v3, v4 offset0:35 offset1:67
	v_perm_b32 v2, v5, v9, s1
	v_perm_b32 v3, v13, v17, s1
	v_add_u32_e32 v0, 0x80, v0
	v_cmp_gt_i32_e32 vcc, s27, v18
	v_mov_b32_e32 v14, 0
	v_mov_b32_e32 v16, 0
	ds_write2st64_b32 v0, v2, v3 offset0:35 offset1:67
	s_and_saveexec_b64 s[0:1], vcc
	s_cbranch_execz .LBB404_61
; %bb.60:
	v_add_u32_e32 v0, s26, v18
	v_ashrrev_i32_e32 v1, 31, v0
	v_mul_lo_u32 v2, v1, s28
	v_mul_lo_u32 v3, v0, s29
	v_mad_u64_u32 v[0:1], s[2:3], v0, s28, 0
	v_add3_u32 v1, v1, v3, v2
	v_lshl_add_u64 v[0:1], v[0:1], 2, s[10:11]
	global_load_dword v0, v[0:1], off
	s_waitcnt vmcnt(0)
	v_sub_f32_e32 v0, s12, v0
	v_exp_f32_e32 v16, v0
.LBB404_61:
	s_or_b64 exec, exec, s[0:1]
	v_or_b32_e32 v8, 1, v18
	v_cmp_gt_i32_e64 s[0:1], s27, v8
	s_and_saveexec_b64 s[2:3], s[0:1]
	s_cbranch_execz .LBB404_63
; %bb.62:
	v_add_u32_e32 v0, s26, v8
	v_ashrrev_i32_e32 v1, 31, v0
	v_mul_lo_u32 v2, v1, s28
	v_mul_lo_u32 v3, v0, s29
	v_mad_u64_u32 v[0:1], s[4:5], v0, s28, 0
	v_add3_u32 v1, v1, v3, v2
	v_lshl_add_u64 v[0:1], v[0:1], 2, s[10:11]
	global_load_dword v0, v[0:1], off
	s_waitcnt vmcnt(0)
	v_sub_f32_e32 v0, s12, v0
	v_exp_f32_e32 v14, v0
.LBB404_63:
	s_or_b64 exec, exec, s[2:3]
	v_or_b32_e32 v10, 2, v18
	v_cmp_gt_i32_e64 s[2:3], s27, v10
	v_mov_b32_e32 v15, 0
	v_mov_b32_e32 v17, 0
	s_and_saveexec_b64 s[4:5], s[2:3]
	s_cbranch_execz .LBB404_65
; %bb.64:
	v_add_u32_e32 v0, s26, v10
	v_ashrrev_i32_e32 v1, 31, v0
	v_mul_lo_u32 v2, v1, s28
	v_mul_lo_u32 v3, v0, s29
	v_mad_u64_u32 v[0:1], s[6:7], v0, s28, 0
	v_add3_u32 v1, v1, v3, v2
	v_lshl_add_u64 v[0:1], v[0:1], 2, s[10:11]
	global_load_dword v0, v[0:1], off
	s_waitcnt vmcnt(0)
	v_sub_f32_e32 v0, s12, v0
	v_exp_f32_e32 v17, v0
.LBB404_65:
	s_or_b64 exec, exec, s[4:5]
	v_or_b32_e32 v12, 3, v18
	v_cmp_gt_i32_e64 s[4:5], s27, v12
	s_and_saveexec_b64 s[6:7], s[4:5]
	s_cbranch_execz .LBB404_67
; %bb.66:
	v_add_u32_e32 v0, s26, v12
	v_ashrrev_i32_e32 v1, 31, v0
	v_mul_lo_u32 v2, v1, s28
	v_mul_lo_u32 v3, v0, s29
	v_mad_u64_u32 v[0:1], s[14:15], v0, s28, 0
	v_add3_u32 v1, v1, v3, v2
	v_lshl_add_u64 v[0:1], v[0:1], 2, s[10:11]
	global_load_dword v0, v[0:1], off
	s_waitcnt vmcnt(0)
	v_sub_f32_e32 v0, s12, v0
	v_exp_f32_e32 v15, v0
.LBB404_67:
	s_or_b64 exec, exec, s[6:7]
	s_add_u32 s6, s8, s20
	v_accvgpr_read_b32 v0, a4
	s_addc_u32 s7, s9, s21
	v_ashrrev_i32_e32 v63, 31, v62
	v_accvgpr_read_b32 v1, a5
	v_accvgpr_read_b32 v2, a6
	;; [unrolled: 1-line block ×3, first 2 shown]
	v_lshl_add_u64 v[4:5], v[62:63], 1, s[6:7]
	v_mov_b32_e32 v9, 0
	v_lshlrev_b32_e32 v6, 8, v18
	v_mov_b32_e32 v7, 0
	s_and_saveexec_b64 s[6:7], vcc
	s_cbranch_execz .LBB404_69
; %bb.68:
	v_mov_b32_e32 v7, 0
	v_lshl_add_u64 v[20:21], v[4:5], 0, v[6:7]
	global_load_ushort v7, v[20:21], off
	s_waitcnt vmcnt(0)
	v_lshlrev_b32_e32 v7, 16, v7
	v_sub_f32_e32 v0, v7, v0
	v_mul_f32_e32 v0, v16, v0
	v_lshrrev_b32_e32 v7, 16, v0
.LBB404_69:
	s_or_b64 exec, exec, s[6:7]
	v_lshlrev_b32_e32 v8, 8, v8
	s_and_saveexec_b64 s[6:7], s[0:1]
	s_cbranch_execz .LBB404_71
; %bb.70:
	v_mov_b32_e32 v9, 0
	v_lshl_add_u64 v[20:21], v[4:5], 0, v[8:9]
	global_load_ushort v0, v[20:21], off
	s_waitcnt vmcnt(0)
	v_lshlrev_b32_e32 v0, 16, v0
	v_sub_f32_e32 v0, v0, v1
	v_mul_f32_e32 v0, v14, v0
	v_lshrrev_b32_e32 v9, 16, v0
.LBB404_71:
	s_or_b64 exec, exec, s[6:7]
	v_mov_b32_e32 v13, 0
	v_lshlrev_b32_e32 v10, 8, v10
	v_mov_b32_e32 v11, 0
	s_and_saveexec_b64 s[6:7], s[2:3]
	s_cbranch_execz .LBB404_73
; %bb.72:
	v_mov_b32_e32 v11, 0
	v_lshl_add_u64 v[0:1], v[4:5], 0, v[10:11]
	global_load_ushort v0, v[0:1], off
	s_waitcnt vmcnt(0)
	v_lshlrev_b32_e32 v0, 16, v0
	v_sub_f32_e32 v0, v0, v2
	v_mul_f32_e32 v0, v17, v0
	v_lshrrev_b32_e32 v11, 16, v0
.LBB404_73:
	s_or_b64 exec, exec, s[6:7]
	v_lshlrev_b32_e32 v12, 8, v12
	s_and_saveexec_b64 s[6:7], s[4:5]
	s_cbranch_execz .LBB404_75
; %bb.74:
	v_mov_b32_e32 v13, 0
	v_lshl_add_u64 v[0:1], v[4:5], 0, v[12:13]
	global_load_ushort v0, v[0:1], off
	s_waitcnt vmcnt(0)
	v_lshlrev_b32_e32 v0, 16, v0
	v_sub_f32_e32 v0, v0, v3
	v_mul_f32_e32 v0, v15, v0
	v_lshrrev_b32_e32 v13, 16, v0
.LBB404_75:
	s_or_b64 exec, exec, s[6:7]
	v_lshlrev_b32_e32 v18, 5, v18
	s_mov_b32 s6, 0x5040100
	v_perm_b32 v20, v9, v7, s6
	v_or_b32_e32 v7, v18, v22
	v_accvgpr_read_b32 v0, a0
	v_perm_b32 v21, v13, v11, s6
	v_lshlrev_b32_e32 v7, 1, v7
	v_accvgpr_read_b32 v1, a1
	v_accvgpr_read_b32 v2, a2
	;; [unrolled: 1-line block ×3, first 2 shown]
	ds_write_b64 v7, v[20:21] offset:45056
	v_mov_b32_e32 v9, 0
	v_mov_b32_e32 v7, 0
	s_and_saveexec_b64 s[6:7], vcc
	s_cbranch_execz .LBB404_77
; %bb.76:
	v_mov_b32_e32 v7, 0
	v_lshl_add_u64 v[6:7], v[4:5], 0, v[6:7]
	global_load_ushort v6, v[6:7], off offset:32
	s_waitcnt vmcnt(0)
	v_lshlrev_b32_e32 v6, 16, v6
	v_sub_f32_e32 v0, v6, v0
	v_mul_f32_e32 v0, v16, v0
	v_lshrrev_b32_e32 v7, 16, v0
.LBB404_77:
	s_or_b64 exec, exec, s[6:7]
	s_and_saveexec_b64 s[6:7], s[0:1]
	s_cbranch_execz .LBB404_79
; %bb.78:
	v_mov_b32_e32 v9, 0
	v_lshl_add_u64 v[8:9], v[4:5], 0, v[8:9]
	global_load_ushort v0, v[8:9], off offset:32
	s_waitcnt vmcnt(0)
	v_lshlrev_b32_e32 v0, 16, v0
	v_sub_f32_e32 v0, v0, v1
	v_mul_f32_e32 v0, v14, v0
	v_lshrrev_b32_e32 v9, 16, v0
.LBB404_79:
	s_or_b64 exec, exec, s[6:7]
	v_mov_b32_e32 v0, 0
	v_mov_b32_e32 v1, 0
	s_and_saveexec_b64 s[0:1], s[2:3]
	s_cbranch_execz .LBB404_81
; %bb.80:
	v_mov_b32_e32 v11, 0
	v_lshl_add_u64 v[10:11], v[4:5], 0, v[10:11]
	global_load_ushort v1, v[10:11], off offset:32
	s_waitcnt vmcnt(0)
	v_lshlrev_b32_e32 v1, 16, v1
	v_sub_f32_e32 v1, v1, v2
	v_mul_f32_e32 v1, v17, v1
	v_lshrrev_b32_e32 v1, 16, v1
.LBB404_81:
	s_or_b64 exec, exec, s[0:1]
	s_and_saveexec_b64 s[0:1], s[4:5]
	s_cbranch_execz .LBB404_83
; %bb.82:
	v_mov_b32_e32 v13, 0
	v_lshl_add_u64 v[4:5], v[4:5], 0, v[12:13]
	global_load_ushort v0, v[4:5], off offset:32
	s_waitcnt vmcnt(0)
	v_lshlrev_b32_e32 v0, 16, v0
	v_sub_f32_e32 v0, v0, v3
	v_mul_f32_e32 v0, v15, v0
	v_lshrrev_b32_e32 v0, 16, v0
.LBB404_83:
	s_or_b64 exec, exec, s[0:1]
	s_mov_b32 s0, 0x5040100
	v_or_b32_e32 v2, v18, v19
	v_perm_b32 v1, v0, v1, s0
	v_perm_b32 v0, v9, v7, s0
	v_lshlrev_b32_e32 v2, 1, v2
	ds_write_b64 v2, v[0:1] offset:45056
	s_waitcnt lgkmcnt(0)
	s_barrier
.LBB404_84:
	s_endpgm
	.section	.rodata,"a",@progbits
	.p2align	6, 0x0
	.amdhsa_kernel _ZN12_GLOBAL__N_139chunk_gated_delta_rule_fwd_h_hip_kernelILi32ELb1ELb0ELb0ELb1ELb1ELb1ELb0ELb0EEEvPK12hip_bfloat16S3_S3_PKfS5_PKvPS1_S8_PvPKiSB_iiiiilll
		.amdhsa_group_segment_fixed_size 49152
		.amdhsa_private_segment_fixed_size 0
		.amdhsa_kernarg_size 136
		.amdhsa_user_sgpr_count 2
		.amdhsa_user_sgpr_dispatch_ptr 0
		.amdhsa_user_sgpr_queue_ptr 0
		.amdhsa_user_sgpr_kernarg_segment_ptr 1
		.amdhsa_user_sgpr_dispatch_id 0
		.amdhsa_user_sgpr_kernarg_preload_length 0
		.amdhsa_user_sgpr_kernarg_preload_offset 0
		.amdhsa_user_sgpr_private_segment_size 0
		.amdhsa_uses_dynamic_stack 0
		.amdhsa_enable_private_segment 0
		.amdhsa_system_sgpr_workgroup_id_x 1
		.amdhsa_system_sgpr_workgroup_id_y 1
		.amdhsa_system_sgpr_workgroup_id_z 0
		.amdhsa_system_sgpr_workgroup_info 0
		.amdhsa_system_vgpr_workitem_id 0
		.amdhsa_next_free_vgpr 160
		.amdhsa_next_free_sgpr 62
		.amdhsa_accum_offset 140
		.amdhsa_reserve_vcc 1
		.amdhsa_float_round_mode_32 0
		.amdhsa_float_round_mode_16_64 0
		.amdhsa_float_denorm_mode_32 3
		.amdhsa_float_denorm_mode_16_64 3
		.amdhsa_dx10_clamp 1
		.amdhsa_ieee_mode 1
		.amdhsa_fp16_overflow 0
		.amdhsa_tg_split 0
		.amdhsa_exception_fp_ieee_invalid_op 0
		.amdhsa_exception_fp_denorm_src 0
		.amdhsa_exception_fp_ieee_div_zero 0
		.amdhsa_exception_fp_ieee_overflow 0
		.amdhsa_exception_fp_ieee_underflow 0
		.amdhsa_exception_fp_ieee_inexact 0
		.amdhsa_exception_int_div_zero 0
	.end_amdhsa_kernel
	.section	.text._ZN12_GLOBAL__N_139chunk_gated_delta_rule_fwd_h_hip_kernelILi32ELb1ELb0ELb0ELb1ELb1ELb1ELb0ELb0EEEvPK12hip_bfloat16S3_S3_PKfS5_PKvPS1_S8_PvPKiSB_iiiiilll,"axG",@progbits,_ZN12_GLOBAL__N_139chunk_gated_delta_rule_fwd_h_hip_kernelILi32ELb1ELb0ELb0ELb1ELb1ELb1ELb0ELb0EEEvPK12hip_bfloat16S3_S3_PKfS5_PKvPS1_S8_PvPKiSB_iiiiilll,comdat
.Lfunc_end404:
	.size	_ZN12_GLOBAL__N_139chunk_gated_delta_rule_fwd_h_hip_kernelILi32ELb1ELb0ELb0ELb1ELb1ELb1ELb0ELb0EEEvPK12hip_bfloat16S3_S3_PKfS5_PKvPS1_S8_PvPKiSB_iiiiilll, .Lfunc_end404-_ZN12_GLOBAL__N_139chunk_gated_delta_rule_fwd_h_hip_kernelILi32ELb1ELb0ELb0ELb1ELb1ELb1ELb0ELb0EEEvPK12hip_bfloat16S3_S3_PKfS5_PKvPS1_S8_PvPKiSB_iiiiilll
                                        ; -- End function
	.section	.AMDGPU.csdata,"",@progbits
; Kernel info:
; codeLenInByte = 8444
; NumSgprs: 68
; NumVgprs: 140
; NumAgprs: 20
; TotalNumVgprs: 160
; ScratchSize: 0
; MemoryBound: 0
; FloatMode: 240
; IeeeMode: 1
; LDSByteSize: 49152 bytes/workgroup (compile time only)
; SGPRBlocks: 8
; VGPRBlocks: 19
; NumSGPRsForWavesPerEU: 68
; NumVGPRsForWavesPerEU: 160
; AccumOffset: 140
; Occupancy: 1
; WaveLimiterHint : 1
; COMPUTE_PGM_RSRC2:SCRATCH_EN: 0
; COMPUTE_PGM_RSRC2:USER_SGPR: 2
; COMPUTE_PGM_RSRC2:TRAP_HANDLER: 0
; COMPUTE_PGM_RSRC2:TGID_X_EN: 1
; COMPUTE_PGM_RSRC2:TGID_Y_EN: 1
; COMPUTE_PGM_RSRC2:TGID_Z_EN: 0
; COMPUTE_PGM_RSRC2:TIDIG_COMP_CNT: 0
; COMPUTE_PGM_RSRC3_GFX90A:ACCUM_OFFSET: 34
; COMPUTE_PGM_RSRC3_GFX90A:TG_SPLIT: 0
	.section	.text._ZN12_GLOBAL__N_139chunk_gated_delta_rule_fwd_h_hip_kernelILi32ELb0ELb1ELb1ELb1ELb1ELb1ELb0ELb0EEEvPK12hip_bfloat16S3_S3_PKfS5_PKvPS1_S8_PvPKiSB_iiiiilll,"axG",@progbits,_ZN12_GLOBAL__N_139chunk_gated_delta_rule_fwd_h_hip_kernelILi32ELb0ELb1ELb1ELb1ELb1ELb1ELb0ELb0EEEvPK12hip_bfloat16S3_S3_PKfS5_PKvPS1_S8_PvPKiSB_iiiiilll,comdat
	.globl	_ZN12_GLOBAL__N_139chunk_gated_delta_rule_fwd_h_hip_kernelILi32ELb0ELb1ELb1ELb1ELb1ELb1ELb0ELb0EEEvPK12hip_bfloat16S3_S3_PKfS5_PKvPS1_S8_PvPKiSB_iiiiilll ; -- Begin function _ZN12_GLOBAL__N_139chunk_gated_delta_rule_fwd_h_hip_kernelILi32ELb0ELb1ELb1ELb1ELb1ELb1ELb0ELb0EEEvPK12hip_bfloat16S3_S3_PKfS5_PKvPS1_S8_PvPKiSB_iiiiilll
	.p2align	8
	.type	_ZN12_GLOBAL__N_139chunk_gated_delta_rule_fwd_h_hip_kernelILi32ELb0ELb1ELb1ELb1ELb1ELb1ELb0ELb0EEEvPK12hip_bfloat16S3_S3_PKfS5_PKvPS1_S8_PvPKiSB_iiiiilll,@function
_ZN12_GLOBAL__N_139chunk_gated_delta_rule_fwd_h_hip_kernelILi32ELb0ELb1ELb1ELb1ELb1ELb1ELb0ELb0EEEvPK12hip_bfloat16S3_S3_PKfS5_PKvPS1_S8_PvPKiSB_iiiiilll: ; @_ZN12_GLOBAL__N_139chunk_gated_delta_rule_fwd_h_hip_kernelILi32ELb0ELb1ELb1ELb1ELb1ELb1ELb0ELb0EEEvPK12hip_bfloat16S3_S3_PKfS5_PKvPS1_S8_PvPKiSB_iiiiilll
; %bb.0:
	s_load_dwordx4 s[20:23], s[0:1], 0x5c
	s_load_dwordx2 s[40:41], s[0:1], 0x20
	s_abs_i32 s27, s3
	s_ashr_i32 s26, s3, 31
	s_load_dwordx2 s[24:25], s[0:1], 0x50
	s_load_dwordx8 s[4:11], s[0:1], 0x30
	s_load_dwordx8 s[12:19], s[0:1], 0x0
	s_waitcnt lgkmcnt(0)
	s_abs_i32 s30, s21
	v_cvt_f32_u32_e32 v1, s30
	s_sub_i32 s28, 0, s30
	s_ashr_i32 s33, s21, 31
	s_xor_b32 s26, s26, s33
	v_rcp_iflag_f32_e32 v1, v1
	v_lshrrev_b32_e32 v53, 6, v0
	v_bfe_u32 v64, v0, 4, 2
	v_lshlrev_b32_e32 v62, 4, v53
	v_mul_f32_e32 v1, 0x4f7ffffe, v1
	v_cvt_u32_f32_e32 v1, v1
	v_lshlrev_b32_e32 v18, 2, v64
	v_and_b32_e32 v63, 63, v0
	v_mov_b32_e32 v17, 0
	v_readfirstlane_b32 s29, v1
	s_mul_i32 s28, s28, s29
	s_mul_hi_u32 s28, s29, s28
	s_add_i32 s29, s29, s28
	s_mul_hi_u32 s28, s27, s29
	s_mul_i32 s29, s28, s30
	s_sub_i32 s27, s27, s29
	s_add_i32 s31, s28, 1
	s_sub_i32 s29, s27, s30
	s_cmp_ge_u32 s27, s30
	s_cselect_b32 s28, s31, s28
	s_cselect_b32 s27, s29, s27
	s_add_i32 s29, s28, 1
	s_cmp_ge_u32 s27, s30
	s_cselect_b32 s27, s29, s28
	s_xor_b32 s27, s27, s26
	s_sub_i32 s34, s27, s26
	s_mul_i32 s26, s34, s21
	s_ashr_i32 s35, s34, 31
	s_sub_i32 s48, s3, s26
	s_lshl_b64 s[26:27], s[34:35], 2
	s_add_u32 s10, s10, s26
	s_addc_u32 s11, s11, s27
	s_add_u32 s28, s24, s26
	s_addc_u32 s29, s25, s27
	s_abs_i32 s3, s22
	v_cvt_f32_u32_e32 v1, s3
	s_load_dwordx2 s[42:43], s[10:11], 0x0
	s_sub_i32 s11, 0, s3
	s_mov_b32 s49, s21
	v_rcp_iflag_f32_e32 v1, v1
	v_and_b32_e32 v65, 15, v0
	s_waitcnt lgkmcnt(0)
	s_sub_i32 s58, s43, s42
	s_ashr_i32 s10, s58, 31
	v_mul_f32_e32 v1, 0x4f7ffffe, v1
	v_cvt_u32_f32_e32 v1, v1
	s_lshr_b32 s10, s10, 26
	s_add_i32 s10, s58, s10
	s_ashr_i32 s53, s10, 6
	v_readfirstlane_b32 s24, v1
	s_mul_i32 s11, s11, s24
	s_mul_hi_u32 s11, s24, s11
	s_add_i32 s24, s24, s11
	s_mul_hi_u32 s11, s30, s24
	s_mul_i32 s24, s11, s3
	s_ashr_i32 s10, s22, 31
	s_sub_i32 s24, s30, s24
	s_xor_b32 s10, s33, s10
	s_add_i32 s25, s11, 1
	s_sub_i32 s26, s24, s3
	s_cmp_ge_u32 s24, s3
	s_cselect_b32 s11, s25, s11
	s_cselect_b32 s24, s26, s24
	s_add_i32 s25, s11, 1
	s_cmp_ge_u32 s24, s3
	s_cselect_b32 s3, s25, s11
	s_xor_b32 s3, s3, s10
	s_sub_i32 s3, s3, s10
	s_abs_i32 s30, s3
	v_cvt_f32_u32_e32 v1, s30
	s_load_dwordx2 s[10:11], s[0:1], 0x80
	s_load_dwordx4 s[24:27], s[0:1], 0x70
	s_load_dword s54, s[28:29], 0x0
	s_xor_b32 s0, s48, s3
	v_rcp_iflag_f32_e32 v1, v1
	s_sub_i32 s3, 0, s30
	s_abs_i32 s1, s48
	s_ashr_i32 s0, s0, 31
	v_mul_f32_e32 v1, 0x4f7ffffe, v1
	v_cvt_u32_f32_e32 v1, v1
	s_mul_hi_i32 s55, s48, s20
	s_mul_i32 s56, s48, s20
	v_lshrrev_b32_e32 v67, 3, v63
	v_readfirstlane_b32 s28, v1
	s_mul_i32 s3, s3, s28
	s_mul_hi_u32 s3, s28, s3
	s_add_i32 s28, s28, s3
	s_mul_hi_u32 s3, s1, s28
	s_mul_i32 s28, s3, s30
	s_sub_i32 s1, s1, s28
	s_add_i32 s28, s3, 1
	s_sub_i32 s29, s1, s30
	s_cmp_ge_u32 s1, s30
	s_cselect_b32 s3, s28, s3
	s_cselect_b32 s1, s29, s1
	s_add_i32 s28, s3, 1
	s_cmp_ge_u32 s1, s30
	s_cselect_b32 s1, s28, s3
	s_xor_b32 s1, s1, s0
	s_sub_i32 s57, s1, s0
	v_or_b32_e32 v1, v18, v62
	s_lshl_b32 s2, s2, 5
	v_or_b32_e32 v68, 64, v1
	s_cmp_lt_i32 s58, 64
	v_lshlrev_b32_e32 v66, 3, v0
	s_waitcnt lgkmcnt(0)
	s_mul_i32 s50, s34, s25
	s_mul_hi_u32 s51, s34, s24
	s_mul_i32 s52, s35, s24
	s_mul_i32 s24, s34, s24
	v_mov_b32_e32 v16, v17
	v_mov_b32_e32 v15, v17
	;; [unrolled: 1-line block ×15, first 2 shown]
	s_cbranch_scc1 .LBB405_19
; %bb.1:
	s_ashr_i32 s60, s48, 31
	s_ashr_i32 s1, s42, 31
	s_add_u32 s0, s56, s42
	s_addc_u32 s1, s55, s1
	s_lshl_b64 s[0:1], s[0:1], 8
	v_and_b32_e32 v70, 56, v66
	s_add_u32 s28, s14, s0
	v_lshl_or_b32 v69, v53, 3, v67
	v_lshlrev_b32_e32 v2, 1, v70
	s_addc_u32 s0, s15, s1
	v_lshl_or_b32 v71, v69, 8, v2
	s_and_b32 s29, s0, 0xffff
	s_mov_b32 s31, 0x20000
	s_movk_i32 s30, 0x4000
	s_movk_i32 s0, 0x80
	v_or_b32_e32 v72, 0x2000, v71
	buffer_load_dwordx4 v[4:7], v71, s[28:31], 0 offen
	buffer_load_dwordx4 v[8:11], v71, s[28:31], s0 offen
	;; [unrolled: 1-line block ×4, first 2 shown]
	v_lshlrev_b32_e32 v3, 3, v69
	v_and_or_b32 v17, v0, 7, v3
	v_and_b32_e32 v3, 0x78, v3
	v_lshlrev_b32_e32 v17, 4, v17
	v_xor_b32_e32 v73, v17, v3
	v_mul_lo_u32 v16, v69, s23
	v_or_b32_e32 v74, 0x1000, v73
	v_xor_b32_e32 v3, 8, v73
	s_cmpk_eq_i32 s23, 0x80
	s_mov_b32 s59, s42
	v_xor_b32_e32 v17, 8, v74
	s_cselect_b64 s[0:1], -1, 0
	s_cmpk_lg_i32 s23, 0x80
	s_waitcnt vmcnt(3)
	ds_write_b64 v73, v[4:5] offset:24576
	ds_write_b64 v3, v[6:7] offset:24576
	s_waitcnt vmcnt(2)
	ds_write_b64 v73, v[8:9] offset:32768
	ds_write_b64 v3, v[10:11] offset:32768
	;; [unrolled: 3-line block ×4, first 2 shown]
	v_lshl_add_u32 v3, v16, 1, v70
	s_cbranch_scc0 .LBB405_3
; %bb.2:
	v_lshlrev_b32_e32 v5, 1, v3
	v_add_lshl_u32 v4, v3, s23, 1
	s_lshl_b32 s30, s23, 7
	v_lshl_or_b32 v2, v69, 9, v2
	s_cbranch_execz .LBB405_4
	s_branch .LBB405_5
.LBB405_3:
                                        ; implicit-def: $vgpr4
                                        ; implicit-def: $vgpr5
                                        ; implicit-def: $sgpr30
	v_lshl_or_b32 v2, v69, 9, v2
.LBB405_4:
	v_or_b32_e32 v4, 0x100, v2
	s_movk_i32 s30, 0x4000
	v_mov_b32_e32 v5, v2
.LBB405_5:
	s_mul_i32 s25, s42, s22
	s_ashr_i32 s61, s57, 31
	s_mul_hi_i32 s3, s42, s22
	s_add_u32 s28, s25, s57
	s_addc_u32 s29, s3, s61
	s_lshl_b64 s[28:29], s[28:29], 8
	s_add_u32 s28, s12, s28
	s_addc_u32 s3, s13, s29
	s_and_b32 s29, s3, 0xffff
	s_movk_i32 s62, 0x80
	buffer_load_dwordx4 v[6:9], v5, s[28:31], 0 offen
	buffer_load_dwordx4 v[10:13], v5, s[28:31], s62 offen
	;; [unrolled: 1-line block ×4, first 2 shown]
	v_and_b32_e32 v4, 6, v0
	v_lshlrev_b32_e32 v24, 6, v1
	v_or_b32_e32 v26, 16, v65
	v_xor_b32_e32 v27, v69, v4
	v_and_b32_e32 v5, 1, v0
	v_lshl_or_b32 v30, v65, 3, v24
	v_lshl_or_b32 v24, v26, 3, v24
	v_lshlrev_b32_e32 v27, 2, v27
	v_lshlrev_b32_e32 v19, 2, v65
	s_mul_i32 s3, s48, s27
	s_mul_hi_u32 s25, s48, s26
	v_or_b32_e32 v77, 0xa000, v24
	v_or_b32_e32 v78, 0xb000, v24
	v_xor_b32_e32 v24, 0x440, v27
	v_cmp_eq_u32_e32 vcc, 0, v5
	s_add_i32 s29, s51, s50
	s_mul_i32 s28, s60, s26
	v_xor_b32_e32 v28, v1, v19
	v_xor_b32_e32 v29, v68, v19
	v_cndmask_b32_e32 v5, v24, v27, vcc
	s_add_i32 s3, s25, s3
	s_add_i32 s25, s29, s52
	s_mov_b32 s63, 0x1000504
	v_lshlrev_b32_e32 v25, 8, v65
	v_lshlrev_b32_e32 v26, 8, v26
	;; [unrolled: 1-line block ×4, first 2 shown]
	v_lshl_or_b32 v4, v4, 10, v5
	s_add_i32 s29, s3, s28
	s_lshl_b64 s[36:37], s[24:25], 2
	s_mov_b32 s64, 0x3020706
	v_or_b32_e32 v75, 0xa000, v30
	v_or_b32_e32 v76, 0xb000, v30
	v_or_b32_e32 v79, v25, v28
	v_or_b32_e32 v80, v25, v29
	v_or_b32_e32 v82, v26, v29
	v_xor_b32_e32 v5, 8, v4
	v_xor_b32_e32 v25, 24, v4
	;; [unrolled: 1-line block ×4, first 2 shown]
	s_mul_i32 s28, s48, s26
	s_add_u32 s3, s18, s36
	v_or_b32_e32 v81, v26, v28
	v_xor_b32_e32 v24, 16, v4
	v_xor_b32_e32 v26, 32, v4
	;; [unrolled: 1-line block ×3, first 2 shown]
	v_add_u32_e32 v5, 0x80, v5
	v_add_u32_e32 v25, 0x80, v25
	v_add_u32_e32 v27, 0x80, v27
	v_add_u32_e32 v29, 0x80, v29
	s_addc_u32 s25, s19, s37
	s_lshl_b64 s[28:29], s[28:29], 2
	s_add_u32 s44, s3, s28
	s_movk_i32 s3, 0xf8
	s_addc_u32 s45, s25, s29
	s_lshl_b32 s38, s23, 7
	s_movk_i32 s36, 0x100
	v_mov_b32_e32 v55, 0
	v_lshlrev_b32_e32 v54, 4, v65
	v_cmp_gt_u32_e32 vcc, s36, v0
	s_mov_b32 s65, 0
	s_movk_i32 s25, 0x1000
	s_movk_i32 s30, 0x4000
	v_add_u32_e32 v96, v62, v18
	v_mov_b32_e32 v107, v55
	v_mov_b32_e32 v108, v55
	;; [unrolled: 1-line block ×8, first 2 shown]
	s_waitcnt vmcnt(1)
	v_perm_b32 v30, v6, v14, s63
	s_waitcnt vmcnt(0)
	v_perm_b32 v31, v10, v20, s63
	v_perm_b32 v6, v6, v14, s64
	;; [unrolled: 1-line block ×15, first 2 shown]
	ds_write2st64_b32 v4, v30, v31 offset0:32 offset1:64
	ds_write2st64_b32 v5, v6, v10 offset0:32 offset1:64
	;; [unrolled: 1-line block ×8, first 2 shown]
	v_or_b32_e32 v4, v62, v65
	v_lshlrev_b32_e32 v4, 3, v4
	v_lshrrev_b32_e32 v6, 5, v63
	v_and_or_b32 v6, v4, s3, v6
	v_lshlrev_b32_e32 v6, 4, v6
	v_lshrrev_b32_e32 v5, 2, v63
	v_lshlrev_b32_e32 v11, 11, v53
	v_and_b32_e32 v4, 0x78, v4
	v_or_b32_e32 v10, 32, v6
	v_and_b32_e32 v7, 12, v5
	v_and_b32_e32 v5, 0x1000, v11
	v_xor_b32_e32 v8, v6, v4
	v_lshrrev_b32_e32 v9, 1, v63
	v_xor_b32_e32 v10, v10, v4
	v_or_b32_e32 v8, v8, v5
	v_and_b32_e32 v9, 8, v9
	v_lshlrev_b32_e32 v12, 7, v64
	v_or_b32_e32 v10, v10, v5
	v_xor_b32_e32 v83, v8, v9
	v_or_b32_e32 v8, v12, v19
	v_xor_b32_e32 v85, v10, v9
	v_or_b32_e32 v10, 64, v6
	v_or_b32_e32 v6, 0x60, v6
	s_ashr_i32 s3, s2, 31
	v_lshlrev_b32_e32 v8, 1, v8
	v_xor_b32_e32 v10, v10, v4
	v_xor_b32_e32 v4, v6, v4
	s_lshl_b64 s[28:29], s[2:3], 8
	v_or_b32_e32 v84, 0xa000, v8
	v_or_b32_e32 v86, 0xa080, v8
	;; [unrolled: 1-line block ×6, first 2 shown]
	s_add_u32 s28, s4, s28
	v_lshlrev_b32_e32 v8, 1, v65
	v_lshlrev_b32_e32 v19, 2, v0
	v_lshrrev_b32_e32 v22, 1, v0
	v_xor_b32_e32 v87, v10, v9
	v_xor_b32_e32 v88, v4, v9
	v_lshrrev_b32_e32 v10, 4, v0
	s_addc_u32 s29, s5, s29
	v_or_b32_e32 v9, 1, v8
	v_mov_b32_e32 v20, 0x4000
	v_mov_b32_e32 v21, 0x2000
	v_and_b32_e32 v22, 24, v22
	v_and_or_b32 v12, v19, 60, v12
	v_mov_b32_e32 v19, 0xb000
	v_xor_b32_e32 v15, v10, v8
	v_xor_b32_e32 v16, v9, v10
	v_lshl_add_u64 v[8:9], s[28:29], 0, v[54:55]
	v_lshlrev_b32_e32 v54, 8, v10
	v_cndmask_b32_e32 v20, v20, v21, vcc
	v_lshlrev_b32_e32 v21, 3, v53
	v_lshl_or_b32 v93, v12, 1, v19
	v_or_b32_e32 v12, 32, v22
	v_lshl_or_b32 v91, v15, 3, v54
	v_and_b32_e32 v15, 8, v0
	v_xor_b32_e32 v12, v21, v12
	v_cmp_eq_u32_e32 vcc, 0, v15
	v_or_b32_e32 v19, 0x440, v12
	v_and_b32_e32 v10, 7, v0
	v_cndmask_b32_e32 v12, v19, v12, vcc
	v_lshl_or_b32 v92, v16, 3, v54
	v_lshlrev_b32_e32 v16, 3, v10
	v_or_b32_e32 v12, v12, v11
	v_xor_b32_e32 v19, v12, v16
	v_or_b32_e32 v12, 64, v22
	v_xor_b32_e32 v12, v21, v12
	v_xor_b32_e32 v25, 0x440, v12
	v_cndmask_b32_e32 v12, v25, v12, vcc
	v_or_b32_e32 v12, v12, v11
	v_xor_b32_e32 v25, v12, v16
	v_or_b32_e32 v12, 0x60, v22
	v_xor_b32_e32 v23, v21, v22
	v_xor_b32_e32 v12, v21, v12
	v_or_b32_e32 v24, 0x440, v23
	v_xor_b32_e32 v21, 0x440, v12
	v_cndmask_b32_e32 v15, v24, v23, vcc
	v_cndmask_b32_e32 v12, v21, v12, vcc
	v_or_b32_e32 v4, s2, v65
	v_or_b32_e32 v15, v15, v11
	;; [unrolled: 1-line block ×3, first 2 shown]
	v_ashrrev_i32_e32 v5, 31, v4
	v_lshlrev_b32_e32 v13, 1, v3
	v_add_lshl_u32 v3, v3, s23, 1
	v_or_b32_e32 v14, 0x100, v2
	v_xor_b32_e32 v15, v15, v16
	v_xor_b32_e32 v11, v11, v16
	v_lshlrev_b32_e32 v6, 7, v1
	v_lshlrev_b32_e32 v17, 7, v10
	v_or_b32_e32 v10, v7, v62
	v_add_u32_e32 v23, v20, v15
	v_add_u32_e32 v24, v20, v19
	;; [unrolled: 1-line block ×4, first 2 shown]
	v_or3_b32 v12, v62, v7, 64
	v_add_u32_e32 v7, 0x4000, v15
	v_add_u32_e32 v15, 0x4000, v19
	;; [unrolled: 1-line block ×4, first 2 shown]
	v_cndmask_b32_e64 v94, v13, v2, s[0:1]
	v_cndmask_b32_e64 v95, v3, v14, s[0:1]
	v_lshlrev_b64 v[2:3], 1, v[4:5]
	v_lshl_add_u64 v[56:57], s[16:17], 0, v[2:3]
	v_lshl_add_u64 v[58:59], s[6:7], 0, v[2:3]
	;; [unrolled: 1-line block ×3, first 2 shown]
	s_mov_b32 s3, 0x7060302
	v_lshlrev_b32_e32 v54, 1, v6
	v_lshlrev_b32_e32 v97, 2, v10
	v_add_u32_e32 v98, v23, v17
	v_add_u32_e32 v99, v24, v17
	v_add_u32_e32 v100, v26, v17
	v_add_u32_e32 v101, v16, v17
	v_lshlrev_b32_e32 v102, 2, v12
	v_add_u32_e32 v103, v7, v17
	v_add_u32_e32 v104, v15, v17
	;; [unrolled: 1-line block ×4, first 2 shown]
	v_mov_b32_e32 v2, v55
	v_mov_b32_e32 v3, v55
	;; [unrolled: 1-line block ×8, first 2 shown]
	s_waitcnt lgkmcnt(0)
	s_barrier
.LBB405_6:                              ; =>This Inner Loop Header: Depth=1
	s_add_i32 s66, s65, 1
	s_cmp_lt_i32 s66, s53
	s_mov_b64 s[36:37], 0
	s_cselect_b64 s[46:47], -1, 0
	s_cmp_ge_i32 s66, s53
	s_mov_b64 s[28:29], 0
	s_cbranch_scc1 .LBB405_8
; %bb.7:                                ;   in Loop: Header=BB405_6 Depth=1
	s_add_i32 s0, s59, 64
	s_ashr_i32 s1, s0, 31
	s_add_u32 s0, s56, s0
	s_addc_u32 s1, s55, s1
	s_lshl_b64 s[0:1], s[0:1], 8
	s_add_u32 s28, s14, s0
	s_addc_u32 s29, s15, s1
.LBB405_8:                              ;   in Loop: Header=BB405_6 Depth=1
	v_cndmask_b32_e64 v10, 0, 1, s[46:47]
	v_cmp_ne_u32_e64 s[0:1], 1, v10
	s_andn2_b64 vcc, exec, s[46:47]
	s_cbranch_vccnz .LBB405_10
; %bb.9:                                ;   in Loop: Header=BB405_6 Depth=1
	s_add_i32 s36, s59, 64
	s_mul_hi_i32 s37, s36, s22
	s_mul_i32 s36, s36, s22
	s_add_u32 s36, s36, s57
	s_addc_u32 s37, s37, s61
	s_lshl_b64 s[36:37], s[36:37], 8
	s_add_u32 s36, s12, s36
	s_addc_u32 s37, s13, s37
.LBB405_10:                             ;   in Loop: Header=BB405_6 Depth=1
	v_perm_b32 v11, v5, v4, s3
	v_perm_b32 v10, v3, v2, s3
	;; [unrolled: 1-line block ×4, first 2 shown]
	ds_write_b64 v75, v[10:11]
	ds_write_b64 v76, v[12:13]
	;; [unrolled: 1-line block ×4, first 2 shown]
	v_perm_b32 v11, v114, v109, s3
	v_perm_b32 v10, v108, v107, s3
	;; [unrolled: 1-line block ×4, first 2 shown]
	ds_write_b64 v77, v[10:11]
	ds_write_b64 v78, v[12:13]
	;; [unrolled: 1-line block ×4, first 2 shown]
	s_waitcnt lgkmcnt(0)
	s_barrier
	ds_read_b64 v[14:15], v83 offset:24576
	ds_read2_b64 v[10:13], v84 offset1:16
	ds_read_b64 v[18:19], v86 offset:3072
	ds_read_b64 v[20:21], v84 offset:3072
	;; [unrolled: 1-line block ×3, first 2 shown]
	s_waitcnt lgkmcnt(3)
	v_mfma_f32_16x16x16_bf16 a[0:3], v[14:15], v[10:11], 0
	s_add_i32 s67, s59, 63
	s_ashr_i32 s39, s67, 31
	s_mul_i32 s46, s67, s11
	v_mfma_f32_16x16x16_bf16 a[4:7], v[14:15], v[12:13], 0
	ds_read2st64_b64 v[10:13], v84 offset0:2 offset1:4
	s_mul_hi_u32 s47, s67, s10
	s_add_i32 s46, s47, s46
	s_waitcnt lgkmcnt(0)
	v_mfma_f32_16x16x16_bf16 a[0:3], v[22:23], v[10:11], a[0:3]
	ds_read2st64_b64 v[14:17], v86 offset0:2 offset1:4
	ds_read_b64 v[10:11], v87 offset:24576
	s_mul_i32 s39, s39, s10
	s_add_i32 s47, s46, s39
	s_waitcnt lgkmcnt(1)
	v_mfma_f32_16x16x16_bf16 a[4:7], v[22:23], v[14:15], a[4:7]
	ds_read_b64 v[14:15], v88 offset:24576
	s_mul_i32 s46, s67, s10
	s_lshl_b64 s[46:47], s[46:47], 2
	s_waitcnt lgkmcnt(1)
	v_mfma_f32_16x16x16_bf16 a[0:3], v[10:11], v[12:13], a[0:3]
	s_add_u32 s46, s44, s46
	s_addc_u32 s47, s45, s47
	s_and_b64 vcc, exec, s[0:1]
	v_mfma_f32_16x16x16_bf16 a[8:11], v[10:11], v[16:17], a[4:7]
	v_mov_b32_e32 v117, 0
	v_mov_b32_e32 v116, 0
	;; [unrolled: 1-line block ×3, first 2 shown]
	s_waitcnt lgkmcnt(0)
	v_mfma_f32_16x16x16_bf16 a[4:7], v[14:15], v[20:21], a[0:3]
	v_mov_b32_e32 v10, 0
	v_mov_b32_e32 v11, 0
	;; [unrolled: 1-line block ×3, first 2 shown]
	v_mfma_f32_16x16x16_bf16 a[0:3], v[14:15], v[18:19], a[8:11]
	v_mov_b32_e32 v13, 0
	v_mov_b32_e32 v14, 0
	;; [unrolled: 1-line block ×13, first 2 shown]
	s_cbranch_vccnz .LBB405_12
; %bb.11:                               ;   in Loop: Header=BB405_6 Depth=1
	s_and_b32 s29, s29, 0xffff
	buffer_load_dwordx4 v[22:25], v71, s[28:31], 0 offen
	buffer_load_dwordx4 v[18:21], v71, s[28:31], s62 offen
	;; [unrolled: 1-line block ×4, first 2 shown]
	v_mov_b32_e32 v116, v73
	v_mov_b32_e32 v115, v74
.LBB405_12:                             ;   in Loop: Header=BB405_6 Depth=1
	ds_read_b64 v[34:35], v83 offset:32768
	ds_read2_b64 v[26:29], v89 offset1:16
	ds_read_b64 v[36:37], v85 offset:32768
	ds_read_b64 v[38:39], v87 offset:32768
	;; [unrolled: 1-line block ×3, first 2 shown]
	ds_read2st64_b64 v[30:33], v89 offset0:2 offset1:4
	v_add_u32_e32 v42, s59, v96
	s_waitcnt lgkmcnt(4)
	v_mfma_f32_16x16x16_bf16 a[4:7], v[34:35], v[26:27], a[4:7]
	v_ashrrev_i32_e32 v26, 31, v42
	v_mov_b32_e32 v118, 0
	v_mfma_f32_16x16x16_bf16 a[0:3], v[34:35], v[28:29], a[0:3]
	v_mul_lo_u32 v28, v42, s11
	v_mul_lo_u32 v29, v26, s10
	v_mad_u64_u32 v[26:27], s[28:29], v42, s10, 0
	v_add3_u32 v27, v27, v28, v29
	v_add_u32_e32 v28, 1, v42
	v_ashrrev_i32_e32 v29, 31, v28
	s_waitcnt lgkmcnt(0)
	v_mfma_f32_16x16x16_bf16 a[4:7], v[36:37], v[30:31], a[4:7]
	v_mul_lo_u32 v30, v29, s10
	v_mul_lo_u32 v31, v28, s11
	v_mad_u64_u32 v[28:29], s[28:29], v28, s10, 0
	v_add3_u32 v29, v29, v31, v30
	v_add_u32_e32 v30, 2, v42
	v_ashrrev_i32_e32 v31, 31, v30
	v_mul_lo_u32 v34, v31, s10
	v_mul_lo_u32 v35, v30, s11
	v_mad_u64_u32 v[30:31], s[28:29], v30, s10, 0
	v_add3_u32 v31, v31, v35, v34
	v_add_u32_e32 v34, 3, v42
	v_ashrrev_i32_e32 v35, 31, v34
	v_mul_lo_u32 v42, v35, s10
	v_mul_lo_u32 v43, v34, s11
	v_mad_u64_u32 v[34:35], s[28:29], v34, s10, 0
	s_ashr_i32 s29, s59, 31
	v_add3_u32 v35, v35, v43, v42
	s_add_u32 s28, s56, s59
	v_lshl_add_u64 v[26:27], v[26:27], 2, s[44:45]
	v_lshl_add_u64 v[34:35], v[34:35], 2, s[44:45]
	s_addc_u32 s29, s55, s29
	v_lshl_add_u64 v[28:29], v[28:29], 2, s[44:45]
	v_lshl_add_u64 v[30:31], v[30:31], 2, s[44:45]
	global_load_dword v42, v[26:27], off
	global_load_dword v43, v[28:29], off
	;; [unrolled: 1-line block ×3, first 2 shown]
	s_nop 0
	global_load_dword v35, v[34:35], off
	s_lshl_b64 s[68:69], s[28:29], 8
	v_lshl_add_u64 v[26:27], v[56:57], 0, s[68:69]
	v_lshl_add_u64 v[30:31], v[26:27], 0, v[54:55]
	global_load_ushort v45, v[30:31], off offset:256
	global_load_ushort v46, v[30:31], off
	global_load_ushort v47, v[30:31], off offset:768
	global_load_ushort v48, v[30:31], off offset:512
	ds_read2st64_b64 v[26:29], v90 offset0:2 offset1:4
	global_load_ushort v49, v[30:31], off offset:800
	global_load_ushort v50, v[30:31], off offset:544
	;; [unrolled: 1-line block ×4, first 2 shown]
	s_waitcnt lgkmcnt(0)
	v_mfma_f32_16x16x16_bf16 a[0:3], v[36:37], v[26:27], a[0:3]
	s_and_b64 vcc, exec, s[0:1]
	s_waitcnt vmcnt(7)
	v_lshlrev_b32_e32 v37, 16, v45
	v_mfma_f32_16x16x16_bf16 a[4:7], v[38:39], v[32:33], a[4:7]
	s_waitcnt vmcnt(6)
	v_lshlrev_b32_e32 v36, 16, v46
	v_mfma_f32_16x16x16_bf16 a[0:3], v[38:39], v[28:29], a[0:3]
	ds_read_b64 v[26:27], v89 offset:3072
	ds_read_b64 v[28:29], v90 offset:3072
	s_load_dword s28, s[46:47], 0x0
	s_waitcnt vmcnt(5)
	v_lshlrev_b32_e32 v39, 16, v47
	s_waitcnt lgkmcnt(0)
	v_mfma_f32_16x16x16_bf16 a[4:7], v[40:41], v[26:27], a[4:7]
	v_lshl_add_u64 v[26:27], v[58:59], 0, s[68:69]
	v_sub_f32_e32 v34, s28, v42
	v_sub_f32_e32 v38, s28, v43
	v_mfma_f32_16x16x16_bf16 a[0:3], v[40:41], v[28:29], a[0:3]
	v_sub_f32_e32 v40, s28, v44
	v_sub_f32_e32 v41, s28, v35
	v_exp_f32_e32 v34, v34
	v_exp_f32_e32 v35, v38
	;; [unrolled: 1-line block ×4, first 2 shown]
	v_accvgpr_read_b32 v33, a5
	v_accvgpr_read_b32 v29, a7
	;; [unrolled: 1-line block ×4, first 2 shown]
	s_waitcnt vmcnt(4)
	v_lshlrev_b32_e32 v38, 16, v48
	v_lshl_add_u64 v[26:27], v[26:27], 0, v[54:55]
	v_pk_add_f32 v[32:33], v[36:37], v[32:33] neg_lo:[0,1] neg_hi:[0,1]
	v_pk_add_f32 v[28:29], v[38:39], v[28:29] neg_lo:[0,1] neg_hi:[0,1]
	global_store_short_d16_hi v[26:27], v32, off
	global_store_short_d16_hi v[26:27], v33, off offset:256
	global_store_short_d16_hi v[26:27], v28, off offset:512
	;; [unrolled: 1-line block ×3, first 2 shown]
	v_pk_mul_f32 v[32:33], v[34:35], v[32:33]
	v_pk_mul_f32 v[28:29], v[40:41], v[28:29]
	v_accvgpr_read_b32 v37, a1
	v_perm_b32 v32, v33, v32, s3
	v_perm_b32 v33, v29, v28, s3
	s_waitcnt vmcnt(5)
	v_lshlrev_b32_e32 v29, 16, v51
	s_waitcnt vmcnt(4)
	v_lshlrev_b32_e32 v28, 16, v52
	v_accvgpr_read_b32 v36, a0
	v_accvgpr_read_b32 v31, a3
	;; [unrolled: 1-line block ×3, first 2 shown]
	v_pk_add_f32 v[28:29], v[28:29], v[36:37] neg_lo:[0,1] neg_hi:[0,1]
	v_lshlrev_b32_e32 v37, 16, v49
	v_lshlrev_b32_e32 v36, 16, v50
	v_pk_add_f32 v[30:31], v[36:37], v[30:31] neg_lo:[0,1] neg_hi:[0,1]
	global_store_short_d16_hi v[26:27], v28, off offset:32
	global_store_short_d16_hi v[26:27], v29, off offset:288
	;; [unrolled: 1-line block ×4, first 2 shown]
	v_pk_mul_f32 v[26:27], v[34:35], v[28:29]
	v_pk_mul_f32 v[28:29], v[40:41], v[30:31]
	v_mov_b32_e32 v30, 0
	v_perm_b32 v29, v29, v28, s3
	v_perm_b32 v28, v27, v26, s3
	ds_write2_b64 v76, v[32:33], v[28:29] offset1:16
	v_mov_b32_e32 v26, 0
	v_mov_b32_e32 v27, 0
	;; [unrolled: 1-line block ×15, first 2 shown]
	s_cbranch_vccnz .LBB405_14
; %bb.13:                               ;   in Loop: Header=BB405_6 Depth=1
	s_and_b32 s37, s37, 0xffff
	s_mov_b32 s39, s31
	buffer_load_dwordx4 v[38:41], v94, s[36:39], 0 offen
	buffer_load_dwordx4 v[30:33], v94, s[36:39], s62 offen
	;; [unrolled: 1-line block ×4, first 2 shown]
	v_mov_b32_e32 v117, v70
	v_mov_b32_e32 v118, v69
.LBB405_14:                             ;   in Loop: Header=BB405_6 Depth=1
	s_waitcnt lgkmcnt(0)
	s_barrier
	ds_read_b64 v[46:47], v98
	ds_read_b64 v[124:125], v93
	;; [unrolled: 1-line block ×5, first 2 shown]
	ds_read_b64 v[138:139], v90 offset:3072
	ds_read2_b64 v[42:45], v89 offset0:16 offset1:128
	s_waitcnt lgkmcnt(5)
	v_mfma_f32_16x16x16_bf16 a[0:3], v[46:47], v[124:125], 0
	s_add_i32 s29, s54, s65
	s_mul_hi_i32 s37, s29, s49
	s_mul_i32 s29, s29, s49
	s_waitcnt lgkmcnt(0)
	v_mfma_f32_16x16x16_bf16 a[4:7], v[46:47], v[42:43], 0
	ds_read_b64 v[46:47], v103
	ds_read2st64_b64 v[48:51], v90 offset0:2 offset1:4
	s_add_u32 s36, s29, s48
	s_addc_u32 s37, s37, s60
	s_lshl_b64 s[36:37], s[36:37], 15
	s_mul_i32 s39, s67, s49
	s_mul_hi_i32 s29, s67, s49
	s_add_u32 s46, s39, s48
	s_waitcnt lgkmcnt(1)
	v_mfma_f32_16x16x16_bf16 a[8:11], v[46:47], v[124:125], 0
	s_addc_u32 s47, s29, s60
	ds_read2st64_b64 v[120:123], v89 offset0:4 offset1:6
	s_lshl_b64 s[46:47], s[46:47], 9
	v_mfma_f32_16x16x16_bf16 a[0:3], v[126:127], v[44:45], a[0:3]
	s_add_u32 s46, s40, s46
	s_addc_u32 s47, s41, s47
	s_waitcnt lgkmcnt(1)
	v_mfma_f32_16x16x16_bf16 a[4:7], v[126:127], v[48:49], a[4:7]
	ds_read_b64 v[126:127], v104
	ds_read_b64 v[134:135], v105
	ds_read_b64 v[140:141], v106
	v_mfma_f32_16x16x16_bf16 a[12:15], v[46:47], v[42:43], 0
	s_waitcnt lgkmcnt(2)
	v_mfma_f32_16x16x16_bf16 a[8:11], v[126:127], v[44:45], a[8:11]
	global_load_dwordx4 v[42:45], v102, s[46:47]
	v_mfma_f32_16x16x16_bf16 a[12:15], v[126:127], v[48:49], a[12:15]
	global_load_dwordx4 v[46:49], v97, s[46:47]
	ds_read2st64_b64 v[124:127], v91 offset1:8
	s_waitcnt lgkmcnt(0)
	v_mov_b32_e32 v132, v124
	v_mfma_f32_16x16x16_bf16 a[0:3], v[128:129], v[120:121], a[0:3]
	v_mov_b32_e32 v133, v125
	v_mfma_f32_16x16x16_bf16 a[4:7], v[128:129], v[50:51], a[4:7]
	ds_read2st64_b64 v[128:131], v92 offset1:8
	v_mfma_f32_16x16x16_bf16 a[8:11], v[134:135], v[120:121], a[8:11]
	v_lshl_add_u64 v[120:121], v[60:61], 0, s[36:37]
	v_mfma_f32_16x16x16_bf16 a[16:19], v[134:135], v[50:51], a[12:15]
	v_add_co_u32_e32 v50, vcc, s25, v120
	s_waitcnt lgkmcnt(0)
	v_mov_b32_e32 v134, v128
	v_mfma_f32_16x16x16_bf16 a[0:3], v[136:137], v[122:123], a[0:3]
	v_mov_b32_e32 v135, v129
	v_mov_b32_e32 v128, v126
	v_mov_b32_e32 v129, v127
	v_mfma_f32_16x16x16_bf16 a[4:7], v[136:137], v[138:139], a[4:7]
	v_addc_co_u32_e32 v51, vcc, 0, v121, vcc
	global_store_dwordx4 v[50:51], v[128:131], off
	v_mfma_f32_16x16x16_bf16 a[12:15], v[140:141], v[122:123], a[8:11]
	s_and_b64 vcc, exec, s[0:1]
	global_store_dwordx4 v[120:121], v[132:135], off
	s_waitcnt vmcnt(3)
	v_mov_b32_e32 v52, v45
	v_mfma_f32_16x16x16_bf16 a[8:11], v[140:141], v[138:139], a[16:19]
	v_mov_b32_e32 v51, v44
	v_mov_b32_e32 v50, v43
	s_cbranch_vccnz .LBB405_16
; %bb.15:                               ;   in Loop: Header=BB405_6 Depth=1
	v_lshrrev_b32_e32 v43, 3, v117
	v_and_b32_e32 v43, 6, v43
	v_xor_b32_e32 v44, v43, v118
	v_lshlrev_b32_e32 v44, 2, v44
	v_and_b32_e32 v45, 8, v117
	v_xor_b32_e32 v117, 0x440, v44
	v_cmp_eq_u32_e32 vcc, 0, v45
	v_perm_b32 v45, v30, v26, s63
	s_nop 0
	v_cndmask_b32_e32 v44, v117, v44, vcc
	v_lshl_or_b32 v43, v43, 10, v44
	v_perm_b32 v44, v38, v34, s63
	s_barrier
	ds_write2st64_b32 v43, v44, v45 offset0:32 offset1:64
	v_xor_b32_e32 v44, 8, v43
	v_perm_b32 v34, v38, v34, s64
	v_perm_b32 v26, v30, v26, s64
	v_add_u32_e32 v30, 0x80, v44
	ds_write2st64_b32 v30, v34, v26 offset0:32 offset1:64
	v_xor_b32_e32 v26, 16, v43
	v_perm_b32 v30, v39, v35, s63
	v_perm_b32 v34, v31, v27, s63
	ds_write2st64_b32 v26, v30, v34 offset0:33 offset1:65
	v_xor_b32_e32 v26, 24, v43
	v_perm_b32 v30, v39, v35, s64
	v_perm_b32 v27, v31, v27, s64
	v_add_u32_e32 v26, 0x80, v26
	ds_write2st64_b32 v26, v30, v27 offset0:33 offset1:65
	v_xor_b32_e32 v26, 32, v43
	v_perm_b32 v27, v40, v36, s63
	v_perm_b32 v30, v32, v28, s63
	;; [unrolled: 9-line block ×3, first 2 shown]
	ds_write2st64_b32 v26, v27, v28 offset0:35 offset1:67
	v_xor_b32_e32 v26, 56, v43
	v_perm_b32 v27, v41, v37, s64
	v_perm_b32 v28, v33, v29, s64
	v_add_u32_e32 v26, 0x80, v26
	ds_write2st64_b32 v26, v27, v28 offset0:35 offset1:67
	ds_write_b64 v116, v[22:23] offset:24576
	v_xor_b32_e32 v22, 8, v116
	ds_write_b64 v22, v[24:25] offset:24576
	ds_write_b64 v116, v[18:19] offset:32768
	;; [unrolled: 1-line block ×4, first 2 shown]
	v_xor_b32_e32 v14, 8, v115
	ds_write_b64 v14, v[16:17] offset:24576
	ds_write_b64 v115, v[10:11] offset:32768
	ds_write_b64 v14, v[12:13] offset:32768
.LBB405_16:                             ;   in Loop: Header=BB405_6 Depth=1
	v_exp_f32_e32 v26, s28
	s_waitcnt vmcnt(2)
	v_exp_f32_e32 v28, v46
	v_exp_f32_e32 v29, v47
	;; [unrolled: 1-line block ×4, first 2 shown]
	v_accvgpr_read_b32 v21, a3
	v_accvgpr_read_b32 v19, a1
	v_accvgpr_read_b32 v18, a0
	v_accvgpr_read_b32 v13, a7
	v_pk_mul_f32 v[28:29], v[26:27], v[28:29] op_sel_hi:[0,1]
	v_accvgpr_read_b32 v20, a2
	v_accvgpr_read_b32 v11, a5
	;; [unrolled: 1-line block ×3, first 2 shown]
	v_pk_fma_f32 v[2:3], v[2:3], v[28:29], v[18:19]
	v_pk_mul_f32 v[18:19], v[26:27], v[30:31] op_sel_hi:[0,1]
	v_pk_fma_f32 v[4:5], v[4:5], v[18:19], v[20:21]
	v_fma_f32 v107, v107, v28, v10
	v_fma_f32 v108, v108, v29, v11
	v_exp_f32_e32 v10, v42
	v_exp_f32_e32 v11, v50
	;; [unrolled: 1-line block ×4, first 2 shown]
	v_accvgpr_read_b32 v12, a6
	v_accvgpr_read_b32 v25, a15
	;; [unrolled: 1-line block ×9, first 2 shown]
	v_fma_f32 v109, v109, v18, v12
	v_fmac_f32_e32 v13, v114, v19
	v_pk_mul_f32 v[10:11], v[26:27], v[10:11] op_sel_hi:[0,1]
	v_pk_mul_f32 v[18:19], v[26:27], v[20:21] op_sel_hi:[0,1]
	s_add_i32 s59, s59, 64
	v_pk_fma_f32 v[6:7], v[6:7], v[10:11], v[22:23]
	v_pk_fma_f32 v[8:9], v[8:9], v[18:19], v[24:25]
	v_fma_f32 v110, v110, v10, v14
	v_fma_f32 v111, v111, v11, v15
	;; [unrolled: 1-line block ×3, first 2 shown]
	s_cmp_eq_u32 s53, s66
	v_fmac_f32_e32 v17, v113, v19
	s_cbranch_scc1 .LBB405_18
; %bb.17:                               ;   in Loop: Header=BB405_6 Depth=1
	s_mov_b32 s65, s66
	v_mov_b32_e32 v114, v13
	v_mov_b32_e32 v113, v17
	s_branch .LBB405_6
.LBB405_18:
	v_mov_b32_e32 v16, v112
	v_mov_b32_e32 v15, v111
	;; [unrolled: 1-line block ×6, first 2 shown]
.LBB405_19:
	s_lshl_b32 s3, s53, 6
	s_sub_i32 s58, s58, s3
	s_cmp_gt_i32 s58, 0
	v_or_b32_e32 v34, s2, v65
	s_cbranch_scc1 .LBB405_21
; %bb.20:
	s_ashr_i32 s37, s48, 31
	v_or_b32_e32 v35, s2, v65
	s_cbranch_execz .LBB405_22
	s_branch .LBB405_86
.LBB405_21:
                                        ; implicit-def: $vgpr35
                                        ; implicit-def: $sgpr36_sgpr37
.LBB405_22:
	s_add_i32 s36, s3, s42
	s_ashr_i32 s3, s36, 31
	s_cmpk_lg_i32 s23, 0x80
	s_cselect_b64 s[44:45], -1, 0
	s_and_b64 vcc, exec, s[44:45]
	s_cbranch_vccz .LBB405_24
; %bb.23:
	s_mul_hi_i32 s0, s36, s22
	s_mul_i32 s1, s36, s22
	s_ashr_i32 s22, s57, 31
	s_add_u32 s46, s1, s57
	s_addc_u32 s47, s0, s22
	s_cbranch_execz .LBB405_25
	s_branch .LBB405_26
.LBB405_24:
                                        ; implicit-def: $sgpr46_sgpr47
.LBB405_25:
	s_mul_i32 s1, s57, s20
	s_mul_hi_i32 s0, s57, s20
	s_add_u32 s46, s1, s36
	s_addc_u32 s47, s0, s3
.LBB405_26:
	s_add_i32 s20, s53, s54
	s_ashr_i32 s37, s48, 31
	s_add_u32 s0, s56, s36
	v_lshlrev_b32_e32 v22, 5, v1
	v_lshlrev_b32_e32 v40, 2, v65
	s_addc_u32 s1, s55, s3
	s_mov_b32 s3, 0x7060302
	v_or_b32_e32 v25, v22, v40
	v_xor_b32_e32 v23, v1, v40
	v_perm_b32 v19, v5, v4, s3
	v_perm_b32 v18, v3, v2, s3
	;; [unrolled: 1-line block ×4, first 2 shown]
	v_lshlrev_b32_e32 v25, 1, v25
	v_xor_b32_e32 v24, v68, v40
	ds_write2st64_b64 v25, v[18:19], v[20:21] offset0:80 offset1:88
	v_lshlrev_b32_e32 v23, 1, v23
	v_lshlrev_b32_e32 v25, 8, v65
	s_lshl_b64 s[38:39], s[0:1], 8
	v_or_b32_e32 v26, v23, v25
	v_lshlrev_b32_e32 v24, 1, v24
	s_add_u32 s0, s14, s38
	ds_write_b64 v26, v[18:19]
	v_or_b32_e32 v18, v24, v25
	s_addc_u32 s1, s15, s39
	ds_write_b64 v18, v[20:21]
	v_perm_b32 v19, v13, v12, s3
	v_perm_b32 v18, v11, v10, s3
	;; [unrolled: 1-line block ×4, first 2 shown]
	v_or_b32_e32 v25, 16, v65
	s_mul_hi_i32 s3, s20, s21
	s_mul_i32 s20, s20, s21
	v_lshlrev_b32_e32 v37, 2, v25
	s_add_u32 s14, s20, s48
	v_or_b32_e32 v22, v22, v37
	s_addc_u32 s15, s3, s37
	v_lshlrev_b32_e32 v22, 1, v22
	s_ashr_i32 s3, s2, 31
	s_lshl_b64 s[14:15], s[14:15], 15
	ds_write2st64_b64 v22, v[18:19], v[20:21] offset0:80 offset1:88
	v_lshlrev_b32_e32 v22, 8, v25
	s_add_u32 s4, s4, s14
	v_or_b32_e32 v23, v23, v22
	s_addc_u32 s5, s5, s15
	s_lshl_b64 s[2:3], s[2:3], 8
	ds_write_b64 v23, v[18:19]
	v_or_b32_e32 v18, v24, v22
	s_add_u32 s2, s4, s2
	ds_write_b64 v18, v[20:21]
	v_lshrrev_b32_e32 v18, 4, v0
	s_addc_u32 s3, s5, s3
	v_lshlrev_b32_e32 v19, 1, v65
	v_lshlrev_b32_e32 v26, 4, v65
	v_mov_b32_e32 v27, 0
	v_or_b32_e32 v20, 1, v19
	v_xor_b32_e32 v19, v18, v19
	v_lshl_add_u64 v[28:29], s[2:3], 0, v[26:27]
	v_lshlrev_b32_e32 v26, 8, v18
	v_xor_b32_e32 v22, v20, v18
	v_lshl_or_b32 v18, v19, 3, v26
	s_waitcnt lgkmcnt(0)
	s_barrier
	ds_read2st64_b64 v[18:21], v18 offset1:8
	v_lshl_or_b32 v22, v22, 3, v26
	ds_read2st64_b64 v[22:25], v22 offset1:8
	v_lshl_add_u64 v[30:31], v[28:29], 0, v[26:27]
	s_movk_i32 s2, 0x1000
	s_waitcnt lgkmcnt(1)
	v_mov_b32_e32 v26, v18
	v_add_co_u32_e32 v18, vcc, s2, v30
	s_cmp_lg_u32 s58, 64
	v_mov_b32_e32 v27, v19
	v_addc_co_u32_e32 v19, vcc, 0, v31, vcc
	s_cselect_b64 s[4:5], -1, 0
	v_lshl_or_b32 v35, v53, 3, v67
	s_waitcnt lgkmcnt(0)
	v_mov_b32_e32 v28, v22
	v_mov_b32_e32 v29, v23
	;; [unrolled: 1-line block ×4, first 2 shown]
	s_mov_b32 s28, 0
	v_or_b32_e32 v38, 32, v35
	v_and_b32_e32 v36, 56, v66
	s_and_b64 vcc, exec, s[4:5]
	global_store_dwordx4 v[30:31], v[26:29], off
	global_store_dwordx4 v[18:19], v[22:25], off
	s_cbranch_vccz .LBB405_32
; %bb.27:
	s_mov_b32 s29, s28
	s_mov_b32 s30, s28
	;; [unrolled: 1-line block ×3, first 2 shown]
	v_mov_b64_e32 v[22:23], s[28:29]
	v_mov_b64_e32 v[24:25], s[30:31]
	;; [unrolled: 1-line block ×3, first 2 shown]
	v_cmp_gt_i32_e32 vcc, s58, v35
	v_mov_b64_e32 v[20:21], v[24:25]
	s_and_saveexec_b64 s[2:3], vcc
	s_cbranch_execz .LBB405_29
; %bb.28:
	v_lshlrev_b32_e32 v18, 8, v35
	v_mov_b32_e32 v19, 0
	v_lshl_add_u64 v[20:21], s[0:1], 0, v[18:19]
	v_lshlrev_b32_e32 v18, 1, v36
	v_lshl_add_u64 v[26:27], v[20:21], 0, v[18:19]
	global_load_dwordx4 v[22:25], v[26:27], off
	global_load_dwordx4 v[18:21], v[26:27], off offset:128
.LBB405_29:
	s_or_b64 exec, exec, s[2:3]
	s_mov_b32 s30, s28
	s_mov_b32 s31, s28
	;; [unrolled: 1-line block ×3, first 2 shown]
	v_mov_b64_e32 v[32:33], s[30:31]
	v_mov_b64_e32 v[30:31], s[28:29]
	;; [unrolled: 1-line block ×3, first 2 shown]
	v_cmp_gt_i32_e32 vcc, s58, v38
	v_lshlrev_b32_e32 v39, 7, v38
	v_mov_b64_e32 v[28:29], v[32:33]
	s_and_saveexec_b64 s[2:3], vcc
	s_cbranch_execz .LBB405_31
; %bb.30:
	v_lshlrev_b32_e32 v26, 1, v39
	v_mov_b32_e32 v27, 0
	v_lshl_add_u64 v[28:29], s[0:1], 0, v[26:27]
	v_lshlrev_b32_e32 v26, 1, v36
	v_lshl_add_u64 v[42:43], v[28:29], 0, v[26:27]
	global_load_dwordx4 v[30:33], v[42:43], off
	global_load_dwordx4 v[26:29], v[42:43], off offset:128
.LBB405_31:
	s_or_b64 exec, exec, s[2:3]
	v_lshrrev_b32_e32 v41, 3, v36
	v_lshlrev_b32_e32 v42, 3, v35
	v_or_b32_e32 v41, v42, v41
	v_lshlrev_b32_e32 v41, 4, v41
	v_and_b32_e32 v42, 0x78, v42
	v_xor_b32_e32 v41, v41, v42
	s_branch .LBB405_34
.LBB405_32:
                                        ; implicit-def: $vgpr41
                                        ; implicit-def: $vgpr39
                                        ; implicit-def: $vgpr22_vgpr23_vgpr24_vgpr25
                                        ; implicit-def: $vgpr18_vgpr19_vgpr20_vgpr21
                                        ; implicit-def: $vgpr30_vgpr31_vgpr32_vgpr33
                                        ; implicit-def: $vgpr26_vgpr27_vgpr28_vgpr29
	s_cbranch_execz .LBB405_34
; %bb.33:
	s_waitcnt vmcnt(0)
	v_lshlrev_b32_e32 v18, 1, v36
	v_lshl_or_b32 v39, v35, 8, v18
	s_and_b32 s1, s1, 0xffff
	s_mov_b32 s3, 0x20000
	s_movk_i32 s2, 0x4000
	v_lshl_or_b32 v41, v38, 8, v18
	s_movk_i32 s14, 0x80
	buffer_load_dwordx4 v[22:25], v39, s[0:3], 0 offen
	buffer_load_dwordx4 v[18:21], v39, s[0:3], s14 offen
	;; [unrolled: 1-line block ×4, first 2 shown]
	v_lshrrev_b32_e32 v39, 3, v36
	v_lshlrev_b32_e32 v41, 3, v35
	v_or_b32_e32 v39, v41, v39
	v_lshlrev_b32_e32 v39, 4, v39
	v_and_b32_e32 v41, 0x78, v41
	v_xor_b32_e32 v41, v39, v41
	v_lshlrev_b32_e32 v39, 7, v38
.LBB405_34:
	s_lshl_b64 s[0:1], s[46:47], 8
	s_add_u32 s12, s12, s0
	s_movk_i32 s0, 0x1000
	v_and_or_b32 v38, v39, s0, v41
	s_waitcnt vmcnt(1)
	ds_write_b64 v41, v[22:23] offset:24576
	v_xor_b32_e32 v22, 8, v41
	ds_write_b64 v22, v[24:25] offset:24576
	s_waitcnt vmcnt(0)
	ds_write_b64 v41, v[18:19] offset:32768
	ds_write_b64 v22, v[20:21] offset:32768
	;; [unrolled: 1-line block ×3, first 2 shown]
	v_xor_b32_e32 v18, 8, v38
	ds_write_b64 v18, v[32:33] offset:24576
	ds_write_b64 v38, v[26:27] offset:32768
	;; [unrolled: 1-line block ×3, first 2 shown]
	v_or_b32_e32 v18, v62, v65
	v_lshlrev_b32_e32 v18, 3, v18
	v_lshrrev_b32_e32 v19, 5, v63
	s_movk_i32 s14, 0xf8
	v_and_or_b32 v19, v18, s14, v19
	v_lshlrev_b32_e32 v23, 4, v19
	v_lshlrev_b32_e32 v41, 11, v53
	v_and_b32_e32 v24, 0x78, v18
	v_or_b32_e32 v26, 32, v23
	v_and_b32_e32 v22, 0x1000, v41
	v_lshrrev_b32_e32 v19, 1, v63
	v_xor_b32_e32 v26, v26, v24
	v_xor_b32_e32 v18, v23, v24
	v_and_b32_e32 v25, 8, v19
	v_or_b32_e32 v26, v26, v22
	v_or_b32_e32 v18, v18, v22
	v_xor_b32_e32 v45, v26, v25
	v_or_b32_e32 v26, 64, v23
	v_xor_b32_e32 v44, v18, v25
	v_xor_b32_e32 v26, v26, v24
	s_waitcnt lgkmcnt(0)
	s_barrier
	v_or_b32_e32 v28, v26, v22
	ds_read_b64 v[26:27], v44 offset:24576
	v_lshl_or_b32 v38, v64, 7, v40
	v_lshlrev_b32_e32 v42, 1, v38
	v_add_u32_e32 v18, 0xa000, v42
	ds_read2_b64 v[18:21], v18 offset1:16
	v_or_b32_e32 v23, 0x60, v23
	v_xor_b32_e32 v23, v23, v24
	s_waitcnt lgkmcnt(0)
	v_mfma_f32_16x16x16_bf16 a[0:3], v[26:27], v[18:19], 0
	v_or_b32_e32 v18, 64, v38
	v_or_b32_e32 v22, v23, v22
	v_lshlrev_b32_e32 v43, 1, v18
	v_xor_b32_e32 v46, v28, v25
	v_xor_b32_e32 v47, v22, v25
	ds_read_b64 v[28:29], v45 offset:24576
	ds_read_b64 v[30:31], v46 offset:24576
	;; [unrolled: 1-line block ×3, first 2 shown]
	v_mfma_f32_16x16x16_bf16 a[4:7], v[26:27], v[20:21], 0
	ds_read2st64_b64 v[18:21], v43 offset0:82 offset1:84
	ds_read2st64_b64 v[22:25], v42 offset0:82 offset1:84
	s_addc_u32 s13, s13, s1
	s_add_i32 s20, s43, -1
	s_add_i32 s0, s51, s50
	s_add_i32 s25, s0, s52
	s_mul_i32 s0, s48, s27
	s_mul_hi_u32 s1, s48, s26
	s_ashr_i32 s2, s20, 31
	s_mul_i32 s3, s20, s11
	s_mul_hi_u32 s14, s20, s10
	s_add_i32 s0, s1, s0
	s_mul_i32 s1, s37, s26
	s_add_i32 s3, s14, s3
	s_mul_i32 s2, s2, s10
	s_waitcnt lgkmcnt(1)
	v_mfma_f32_16x16x16_bf16 a[4:7], v[28:29], v[18:19], a[4:7]
	s_add_i32 s1, s0, s1
	s_add_i32 s3, s3, s2
	s_lshl_b64 s[14:15], s[24:25], 2
	s_waitcnt lgkmcnt(0)
	v_mfma_f32_16x16x16_bf16 a[0:3], v[28:29], v[22:23], a[0:3]
	s_mul_i32 s0, s48, s26
	s_add_u32 s14, s18, s14
	s_addc_u32 s15, s19, s15
	s_lshl_b64 s[0:1], s[0:1], 2
	s_mul_i32 s2, s20, s10
	s_add_u32 s18, s14, s0
	ds_read_b64 v[18:19], v42 offset:44032
	v_mfma_f32_16x16x16_bf16 a[4:7], v[30:31], v[20:21], a[4:7]
	ds_read_b64 v[20:21], v43 offset:44032
	s_addc_u32 s19, s15, s1
	s_lshl_b64 s[0:1], s[2:3], 2
	v_mfma_f32_16x16x16_bf16 a[0:3], v[30:31], v[24:25], a[0:3]
	s_add_u32 s0, s18, s0
	s_addc_u32 s1, s19, s1
	s_load_dword s22, s[0:1], 0x0
	s_waitcnt lgkmcnt(0)
	v_mfma_f32_16x16x16_bf16 a[0:3], v[32:33], v[18:19], a[0:3]
	s_and_b64 vcc, exec, s[44:45]
	v_mfma_f32_16x16x16_bf16 a[4:7], v[32:33], v[20:21], a[4:7]
	s_cbranch_vccz .LBB405_45
; %bb.35:
	v_lshlrev_b32_e32 v38, 1, v35
	s_and_b64 vcc, exec, s[4:5]
	s_cbranch_vccz .LBB405_46
; %bb.36:
	v_cmp_gt_i32_e32 vcc, s58, v38
	v_mov_b32_e32 v22, 0
	v_mov_b32_e32 v18, 0
	;; [unrolled: 1-line block ×5, first 2 shown]
	s_and_saveexec_b64 s[0:1], vcc
	s_cbranch_execz .LBB405_38
; %bb.37:
	v_mad_i64_i32 v[18:19], s[2:3], s23, v38, 0
	v_lshl_add_u64 v[18:19], v[18:19], 1, s[12:13]
	v_lshlrev_b32_e32 v20, 1, v36
	v_mov_b32_e32 v21, 0
	v_lshl_add_u64 v[18:19], v[18:19], 0, v[20:21]
	global_load_dwordx4 v[18:21], v[18:19], off
.LBB405_38:
	s_or_b64 exec, exec, s[0:1]
	v_or_b32_e32 v39, 1, v38
	v_cmp_gt_i32_e64 s[0:1], s58, v39
	v_mov_b32_e32 v23, 0
	v_mov_b32_e32 v24, 0
	;; [unrolled: 1-line block ×3, first 2 shown]
	s_and_saveexec_b64 s[2:3], s[0:1]
	s_cbranch_execz .LBB405_40
; %bb.39:
	v_mad_i64_i32 v[22:23], s[14:15], s23, v39, 0
	v_lshl_add_u64 v[22:23], v[22:23], 1, s[12:13]
	v_lshlrev_b32_e32 v24, 1, v36
	v_mov_b32_e32 v25, 0
	v_lshl_add_u64 v[22:23], v[22:23], 0, v[24:25]
	global_load_dwordx4 v[22:25], v[22:23], off
.LBB405_40:
	s_or_b64 exec, exec, s[2:3]
	v_mov_b32_e32 v33, 0
	v_mov_b32_e32 v26, 0
	;; [unrolled: 1-line block ×5, first 2 shown]
	s_and_saveexec_b64 s[2:3], vcc
	s_cbranch_execz .LBB405_42
; %bb.41:
	v_mad_i64_i32 v[26:27], s[14:15], s23, v38, 0
	v_lshl_add_u64 v[26:27], v[26:27], 1, s[12:13]
	v_lshlrev_b32_e32 v28, 1, v36
	v_mov_b32_e32 v29, 0
	v_lshl_add_u64 v[26:27], v[26:27], 0, v[28:29]
	global_load_dwordx4 v[26:29], v[26:27], off offset:128
.LBB405_42:
	s_or_b64 exec, exec, s[2:3]
	v_mov_b32_e32 v32, 0
	v_mov_b32_e32 v31, 0
	;; [unrolled: 1-line block ×3, first 2 shown]
	s_and_saveexec_b64 s[2:3], s[0:1]
	s_cbranch_execz .LBB405_44
; %bb.43:
	v_mad_i64_i32 v[30:31], s[0:1], s23, v39, 0
	v_lshl_add_u64 v[30:31], v[30:31], 1, s[12:13]
	v_lshlrev_b32_e32 v32, 1, v36
	v_mov_b32_e32 v33, 0
	v_lshl_add_u64 v[30:31], v[30:31], 0, v[32:33]
	global_load_dwordx4 v[30:33], v[30:31], off offset:128
.LBB405_44:
	s_or_b64 exec, exec, s[2:3]
	s_branch .LBB405_48
.LBB405_45:
                                        ; implicit-def: $vgpr21
                                        ; implicit-def: $vgpr25
                                        ; implicit-def: $vgpr29
                                        ; implicit-def: $vgpr33
	v_lshrrev_b32_e32 v48, 2, v63
	s_branch .LBB405_49
.LBB405_46:
                                        ; implicit-def: $vgpr21
                                        ; implicit-def: $vgpr25
                                        ; implicit-def: $vgpr29
                                        ; implicit-def: $vgpr33
	s_cbranch_execz .LBB405_48
; %bb.47:
	s_waitcnt vmcnt(0)
	v_mad_u64_u32 v[18:19], s[0:1], v38, s23, v[36:37]
	v_lshlrev_b32_e32 v38, 1, v18
	s_lshl_b32 s2, s23, 7
	s_and_b32 s1, s13, 0xffff
	s_mov_b32 s3, 0x20000
	s_mov_b32 s0, s12
	v_add_lshl_u32 v39, v18, s23, 1
	s_movk_i32 s14, 0x80
	buffer_load_dwordx4 v[18:21], v38, s[0:3], 0 offen
	buffer_load_dwordx4 v[26:29], v38, s[0:3], s14 offen
	;; [unrolled: 1-line block ×4, first 2 shown]
.LBB405_48:
	v_lshrrev_b32_e32 v48, 2, v63
	s_cbranch_execnz .LBB405_61
.LBB405_49:
	s_and_b64 vcc, exec, s[4:5]
	s_cbranch_vccz .LBB405_59
; %bb.50:
	s_waitcnt vmcnt(0)
	v_lshlrev_b32_e32 v23, 1, v35
	v_cmp_gt_i32_e32 vcc, s58, v23
	v_mov_b32_e32 v22, 0
	v_lshlrev_b32_e32 v30, 9, v35
	v_mov_b32_e32 v18, 0
	v_mov_b32_e32 v19, 0
	;; [unrolled: 1-line block ×4, first 2 shown]
	s_and_saveexec_b64 s[0:1], vcc
	s_cbranch_execz .LBB405_52
; %bb.51:
	v_mov_b32_e32 v31, 0
	v_lshl_add_u64 v[18:19], s[12:13], 0, v[30:31]
	v_lshlrev_b32_e32 v20, 1, v36
	v_mov_b32_e32 v21, v31
	v_lshl_add_u64 v[18:19], v[18:19], 0, v[20:21]
	global_load_dwordx4 v[18:21], v[18:19], off
.LBB405_52:
	s_or_b64 exec, exec, s[0:1]
	v_or_b32_e32 v23, 1, v23
	v_cmp_gt_i32_e64 s[0:1], s58, v23
	v_lshlrev_b32_e32 v38, 8, v23
	v_mov_b32_e32 v23, 0
	v_mov_b32_e32 v24, 0
	;; [unrolled: 1-line block ×3, first 2 shown]
	s_and_saveexec_b64 s[2:3], s[0:1]
	s_cbranch_execz .LBB405_54
; %bb.53:
	v_mov_b32_e32 v39, 0
	v_lshl_add_u64 v[22:23], s[12:13], 0, v[38:39]
	v_lshlrev_b32_e32 v24, 1, v36
	v_mov_b32_e32 v25, v39
	v_lshl_add_u64 v[22:23], v[22:23], 0, v[24:25]
	global_load_dwordx4 v[22:25], v[22:23], off
.LBB405_54:
	s_or_b64 exec, exec, s[2:3]
	v_mov_b32_e32 v33, 0
	v_mov_b32_e32 v26, 0
	;; [unrolled: 1-line block ×5, first 2 shown]
	s_and_saveexec_b64 s[2:3], vcc
	s_cbranch_execz .LBB405_56
; %bb.55:
	v_mov_b32_e32 v31, 0
	v_lshl_add_u64 v[26:27], s[12:13], 0, v[30:31]
	v_lshlrev_b32_e32 v30, 1, v36
	v_lshl_add_u64 v[26:27], v[26:27], 0, v[30:31]
	global_load_dwordx4 v[26:29], v[26:27], off offset:128
.LBB405_56:
	s_or_b64 exec, exec, s[2:3]
	v_mov_b32_e32 v32, 0
	v_mov_b32_e32 v31, 0
	;; [unrolled: 1-line block ×3, first 2 shown]
	s_and_saveexec_b64 s[2:3], s[0:1]
	s_cbranch_execz .LBB405_58
; %bb.57:
	v_mov_b32_e32 v39, 0
	v_lshl_add_u64 v[30:31], s[12:13], 0, v[38:39]
	v_lshlrev_b32_e32 v38, 1, v36
	v_lshl_add_u64 v[30:31], v[30:31], 0, v[38:39]
	global_load_dwordx4 v[30:33], v[30:31], off offset:128
.LBB405_58:
	s_or_b64 exec, exec, s[2:3]
	s_branch .LBB405_61
.LBB405_59:
                                        ; implicit-def: $vgpr21
                                        ; implicit-def: $vgpr25
                                        ; implicit-def: $vgpr29
                                        ; implicit-def: $vgpr33
	s_cbranch_execz .LBB405_61
; %bb.60:
	s_waitcnt vmcnt(0)
	v_lshlrev_b32_e32 v18, 1, v36
	v_lshl_or_b32 v36, v35, 9, v18
	s_and_b32 s13, s13, 0xffff
	s_mov_b32 s15, 0x20000
	s_movk_i32 s14, 0x4000
	s_movk_i32 s0, 0x80
	buffer_load_dwordx4 v[18:21], v36, s[12:15], 0 offen
	buffer_load_dwordx4 v[22:25], v36, s[12:15], 0 offen offset:256
	buffer_load_dwordx4 v[26:29], v36, s[12:15], s0 offen
	buffer_load_dwordx4 v[30:33], v36, s[12:15], s0 offen offset:256
.LBB405_61:
	ds_read_b64 v[38:39], v44 offset:32768
	v_add_u32_e32 v36, 0xb000, v42
	ds_read2_b64 v[54:57], v36 offset1:16
	ds_read_b64 v[50:51], v45 offset:32768
	ds_read_b64 v[58:59], v46 offset:32768
	;; [unrolled: 1-line block ×3, first 2 shown]
	ds_read2st64_b64 v[44:47], v42 offset0:90 offset1:92
	v_and_b32_e32 v36, 12, v48
	v_and_b32_e32 v48, 6, v0
	v_xor_b32_e32 v35, v35, v48
	v_lshlrev_b32_e32 v35, 2, v35
	s_mov_b32 s0, 0x1000504
	s_waitcnt lgkmcnt(4)
	v_mfma_f32_16x16x16_bf16 a[0:3], v[38:39], v[54:55], a[0:3]
	s_mov_b32 s1, 0x3020706
	v_mfma_f32_16x16x16_bf16 a[4:7], v[38:39], v[56:57], a[4:7]
	ds_read2st64_b64 v[54:57], v43 offset0:90 offset1:92
	s_waitcnt lgkmcnt(1)
	v_mfma_f32_16x16x16_bf16 a[0:3], v[50:51], v[44:45], a[0:3]
	ds_read_b64 v[38:39], v42 offset:48128
	ds_read_b64 v[44:45], v43 offset:48128
	s_waitcnt lgkmcnt(2)
	v_mfma_f32_16x16x16_bf16 a[4:7], v[50:51], v[54:55], a[4:7]
	v_mfma_f32_16x16x16_bf16 a[0:3], v[58:59], v[46:47], a[0:3]
	v_and_b32_e32 v46, 1, v0
	v_xor_b32_e32 v47, 0x440, v35
	v_cmp_eq_u32_e32 vcc, 0, v46
	v_mfma_f32_16x16x16_bf16 a[8:11], v[58:59], v[56:57], a[4:7]
	s_nop 0
	v_cndmask_b32_e32 v35, v47, v35, vcc
	v_lshl_or_b32 v35, v48, 10, v35
	s_waitcnt lgkmcnt(1)
	v_mfma_f32_16x16x16_bf16 a[4:7], v[60:61], v[38:39], a[0:3]
	s_waitcnt vmcnt(0)
	v_perm_b32 v38, v18, v22, s0
	v_perm_b32 v39, v26, v30, s0
	ds_write2st64_b32 v35, v38, v39 offset0:32 offset1:64
	v_xor_b32_e32 v38, 8, v35
	v_perm_b32 v18, v18, v22, s1
	v_perm_b32 v22, v26, v30, s1
	v_add_u32_e32 v26, 0x80, v38
	ds_write2st64_b32 v26, v18, v22 offset0:32 offset1:64
	v_xor_b32_e32 v18, 16, v35
	v_perm_b32 v22, v19, v23, s0
	v_perm_b32 v26, v27, v31, s0
	ds_write2st64_b32 v18, v22, v26 offset0:33 offset1:65
	v_xor_b32_e32 v18, 24, v35
	v_perm_b32 v19, v19, v23, s1
	v_perm_b32 v22, v27, v31, s1
	v_add_u32_e32 v18, 0x80, v18
	ds_write2st64_b32 v18, v19, v22 offset0:33 offset1:65
	v_xor_b32_e32 v18, 32, v35
	v_perm_b32 v19, v20, v24, s0
	v_perm_b32 v22, v28, v32, s0
	ds_write2st64_b32 v18, v19, v22 offset0:34 offset1:66
	v_xor_b32_e32 v18, 40, v35
	s_waitcnt lgkmcnt(5)
	v_mfma_f32_16x16x16_bf16 a[0:3], v[60:61], v[44:45], a[8:11]
	v_perm_b32 v19, v20, v24, s1
	v_perm_b32 v20, v28, v32, s1
	v_add_u32_e32 v18, 0x80, v18
	ds_write2st64_b32 v18, v19, v20 offset0:34 offset1:66
	v_xor_b32_e32 v18, 48, v35
	v_perm_b32 v19, v21, v25, s0
	v_perm_b32 v20, v29, v33, s0
	ds_write2st64_b32 v18, v19, v20 offset0:35 offset1:67
	v_xor_b32_e32 v18, 56, v35
	v_or_b32_e32 v38, v36, v62
	v_perm_b32 v19, v21, v25, s1
	v_perm_b32 v20, v29, v33, s1
	v_add_u32_e32 v18, 0x80, v18
	v_cmp_gt_i32_e64 s[0:1], s58, v38
	v_mov_b32_e32 v44, 0
	v_mov_b32_e32 v45, 0
	ds_write2st64_b32 v18, v19, v20 offset0:35 offset1:67
	s_and_saveexec_b64 s[2:3], s[0:1]
	s_cbranch_execz .LBB405_63
; %bb.62:
	v_add_u32_e32 v18, s36, v38
	v_ashrrev_i32_e32 v19, 31, v18
	v_mul_lo_u32 v20, v19, s10
	v_mul_lo_u32 v21, v18, s11
	v_mad_u64_u32 v[18:19], s[4:5], v18, s10, 0
	v_add3_u32 v19, v19, v21, v20
	v_lshl_add_u64 v[18:19], v[18:19], 2, s[18:19]
	global_load_dword v18, v[18:19], off
	s_waitcnt vmcnt(0)
	v_sub_f32_e32 v18, s22, v18
	v_exp_f32_e32 v45, v18
.LBB405_63:
	s_or_b64 exec, exec, s[2:3]
	v_or_b32_e32 v30, 1, v38
	v_cmp_gt_i32_e64 s[4:5], s58, v30
	s_and_saveexec_b64 s[2:3], s[4:5]
	s_cbranch_execz .LBB405_65
; %bb.64:
	v_add_u32_e32 v18, s36, v30
	v_ashrrev_i32_e32 v19, 31, v18
	v_mul_lo_u32 v20, v19, s10
	v_mul_lo_u32 v21, v18, s11
	v_mad_u64_u32 v[18:19], s[12:13], v18, s10, 0
	v_add3_u32 v19, v19, v21, v20
	v_lshl_add_u64 v[18:19], v[18:19], 2, s[18:19]
	global_load_dword v18, v[18:19], off
	s_waitcnt vmcnt(0)
	v_sub_f32_e32 v18, s22, v18
	v_exp_f32_e32 v44, v18
.LBB405_65:
	s_or_b64 exec, exec, s[2:3]
	v_or_b32_e32 v26, 2, v38
	v_cmp_gt_i32_e64 s[2:3], s58, v26
	v_mov_b32_e32 v39, 0
	v_mov_b32_e32 v46, 0
	s_and_saveexec_b64 s[12:13], s[2:3]
	s_cbranch_execz .LBB405_67
; %bb.66:
	v_add_u32_e32 v18, s36, v26
	v_ashrrev_i32_e32 v19, 31, v18
	v_mul_lo_u32 v20, v19, s10
	v_mul_lo_u32 v21, v18, s11
	v_mad_u64_u32 v[18:19], s[14:15], v18, s10, 0
	v_add3_u32 v19, v19, v21, v20
	v_lshl_add_u64 v[18:19], v[18:19], 2, s[18:19]
	global_load_dword v18, v[18:19], off
	s_waitcnt vmcnt(0)
	v_sub_f32_e32 v18, s22, v18
	v_exp_f32_e32 v46, v18
.LBB405_67:
	s_or_b64 exec, exec, s[12:13]
	v_or_b32_e32 v27, 3, v38
	v_cmp_gt_i32_e32 vcc, s58, v27
	s_and_saveexec_b64 s[12:13], vcc
	s_cbranch_execz .LBB405_69
; %bb.68:
	v_add_u32_e32 v18, s36, v27
	v_ashrrev_i32_e32 v19, 31, v18
	v_mul_lo_u32 v20, v19, s10
	v_mul_lo_u32 v21, v18, s11
	v_mad_u64_u32 v[18:19], s[10:11], v18, s10, 0
	v_add3_u32 v19, v19, v21, v20
	v_lshl_add_u64 v[18:19], v[18:19], 2, s[18:19]
	global_load_dword v18, v[18:19], off
	s_waitcnt vmcnt(0)
	v_sub_f32_e32 v18, s22, v18
	v_exp_f32_e32 v39, v18
.LBB405_69:
	s_or_b64 exec, exec, s[12:13]
	s_add_u32 s10, s16, s38
	s_addc_u32 s11, s17, s39
	s_add_u32 s6, s6, s38
	v_ashrrev_i32_e32 v35, 31, v34
	v_accvgpr_read_b32 v21, a7
	s_addc_u32 s7, s7, s39
	v_lshlrev_b64 v[22:23], 1, v[34:35]
	v_accvgpr_read_b32 v20, a6
	v_accvgpr_read_b32 v19, a5
	;; [unrolled: 1-line block ×3, first 2 shown]
	v_lshl_add_u64 v[24:25], s[10:11], 0, v[22:23]
	v_lshl_add_u64 v[22:23], s[6:7], 0, v[22:23]
	v_mov_b32_e32 v31, 0
	v_lshlrev_b32_e32 v28, 8, v38
	v_mov_b32_e32 v29, 0
	s_and_saveexec_b64 s[6:7], s[0:1]
	s_cbranch_execz .LBB405_71
; %bb.70:
	v_mov_b32_e32 v29, 0
	v_lshl_add_u64 v[32:33], v[24:25], 0, v[28:29]
	global_load_ushort v35, v[32:33], off
	v_lshl_add_u64 v[32:33], v[22:23], 0, v[28:29]
	s_waitcnt vmcnt(0)
	v_lshlrev_b32_e32 v29, 16, v35
	v_sub_f32_e32 v18, v29, v18
	global_store_short_d16_hi v[32:33], v18, off
	v_mul_f32_e32 v18, v45, v18
	v_lshrrev_b32_e32 v29, 16, v18
.LBB405_71:
	s_or_b64 exec, exec, s[6:7]
	v_lshlrev_b32_e32 v30, 8, v30
	s_and_saveexec_b64 s[6:7], s[4:5]
	s_cbranch_execz .LBB405_73
; %bb.72:
	v_mov_b32_e32 v31, 0
	v_lshl_add_u64 v[32:33], v[24:25], 0, v[30:31]
	global_load_ushort v18, v[32:33], off
	v_lshl_add_u64 v[32:33], v[22:23], 0, v[30:31]
	s_waitcnt vmcnt(0)
	v_lshlrev_b32_e32 v18, 16, v18
	v_sub_f32_e32 v18, v18, v19
	global_store_short_d16_hi v[32:33], v18, off
	v_mul_f32_e32 v18, v44, v18
	v_lshrrev_b32_e32 v31, 16, v18
.LBB405_73:
	s_or_b64 exec, exec, s[6:7]
	v_mov_b32_e32 v47, 0
	v_lshlrev_b32_e32 v32, 8, v26
	v_mov_b32_e32 v33, 0
	s_and_saveexec_b64 s[6:7], s[2:3]
	s_cbranch_execz .LBB405_75
; %bb.74:
	v_mov_b32_e32 v33, 0
	v_lshl_add_u64 v[18:19], v[24:25], 0, v[32:33]
	global_load_ushort v26, v[18:19], off
	v_lshl_add_u64 v[18:19], v[22:23], 0, v[32:33]
	s_waitcnt vmcnt(0)
	v_lshlrev_b32_e32 v26, 16, v26
	v_sub_f32_e32 v20, v26, v20
	global_store_short_d16_hi v[18:19], v20, off
	v_mul_f32_e32 v18, v46, v20
	v_lshrrev_b32_e32 v33, 16, v18
.LBB405_75:
	s_or_b64 exec, exec, s[6:7]
	v_lshlrev_b32_e32 v26, 8, v27
	s_and_saveexec_b64 s[6:7], vcc
	s_cbranch_execz .LBB405_77
; %bb.76:
	v_mov_b32_e32 v27, 0
	v_lshl_add_u64 v[18:19], v[24:25], 0, v[26:27]
	global_load_ushort v20, v[18:19], off
	v_lshl_add_u64 v[18:19], v[22:23], 0, v[26:27]
	s_waitcnt vmcnt(0)
	v_lshlrev_b32_e32 v20, 16, v20
	v_sub_f32_e32 v20, v20, v21
	global_store_short_d16_hi v[18:19], v20, off
	v_mul_f32_e32 v18, v39, v20
	v_lshrrev_b32_e32 v47, 16, v18
.LBB405_77:
	s_or_b64 exec, exec, s[6:7]
	v_lshlrev_b32_e32 v35, 5, v38
	v_accvgpr_read_b32 v21, a3
	s_mov_b32 s6, 0x5040100
	v_or_b32_e32 v27, v35, v40
	v_accvgpr_read_b32 v20, a2
	v_accvgpr_read_b32 v19, a1
	;; [unrolled: 1-line block ×3, first 2 shown]
	v_perm_b32 v49, v47, v33, s6
	v_perm_b32 v48, v31, v29, s6
	v_lshlrev_b32_e32 v27, 1, v27
	v_mov_b32_e32 v31, 0
	v_mov_b32_e32 v29, 0
	ds_write_b64 v27, v[48:49] offset:45056
	s_and_saveexec_b64 s[6:7], s[0:1]
	s_cbranch_execz .LBB405_79
; %bb.78:
	v_mov_b32_e32 v29, 0
	v_lshl_add_u64 v[48:49], v[24:25], 0, v[28:29]
	global_load_ushort v27, v[48:49], off offset:32
	v_lshl_add_u64 v[28:29], v[22:23], 0, v[28:29]
	s_waitcnt vmcnt(0)
	v_lshlrev_b32_e32 v27, 16, v27
	v_sub_f32_e32 v18, v27, v18
	global_store_short_d16_hi v[28:29], v18, off offset:32
	v_mul_f32_e32 v18, v45, v18
	v_lshrrev_b32_e32 v29, 16, v18
.LBB405_79:
	s_or_b64 exec, exec, s[6:7]
	s_and_saveexec_b64 s[0:1], s[4:5]
	s_cbranch_execz .LBB405_81
; %bb.80:
	v_mov_b32_e32 v31, 0
	v_lshl_add_u64 v[48:49], v[24:25], 0, v[30:31]
	global_load_ushort v18, v[48:49], off offset:32
	v_lshl_add_u64 v[30:31], v[22:23], 0, v[30:31]
	s_waitcnt vmcnt(0)
	v_lshlrev_b32_e32 v18, 16, v18
	v_sub_f32_e32 v18, v18, v19
	global_store_short_d16_hi v[30:31], v18, off offset:32
	v_mul_f32_e32 v18, v44, v18
	v_lshrrev_b32_e32 v31, 16, v18
.LBB405_81:
	s_or_b64 exec, exec, s[0:1]
	v_mov_b32_e32 v27, 0
	v_mov_b32_e32 v28, 0
	s_and_saveexec_b64 s[0:1], s[2:3]
	s_cbranch_execz .LBB405_83
; %bb.82:
	v_mov_b32_e32 v33, 0
	v_lshl_add_u64 v[18:19], v[24:25], 0, v[32:33]
	global_load_ushort v28, v[18:19], off offset:32
	v_lshl_add_u64 v[18:19], v[22:23], 0, v[32:33]
	s_waitcnt vmcnt(0)
	v_lshlrev_b32_e32 v28, 16, v28
	v_sub_f32_e32 v20, v28, v20
	global_store_short_d16_hi v[18:19], v20, off offset:32
	v_mul_f32_e32 v18, v46, v20
	v_lshrrev_b32_e32 v28, 16, v18
.LBB405_83:
	s_or_b64 exec, exec, s[0:1]
	v_or_b32_e32 v19, 0xb000, v42
	v_or_b32_e32 v18, 0xb000, v43
	s_and_saveexec_b64 s[0:1], vcc
	s_cbranch_execz .LBB405_85
; %bb.84:
	v_mov_b32_e32 v27, 0
	v_lshl_add_u64 v[24:25], v[24:25], 0, v[26:27]
	global_load_ushort v20, v[24:25], off offset:32
	v_lshl_add_u64 v[22:23], v[22:23], 0, v[26:27]
	s_waitcnt vmcnt(0)
	v_lshlrev_b32_e32 v20, 16, v20
	v_sub_f32_e32 v20, v20, v21
	global_store_short_d16_hi v[22:23], v20, off offset:32
	v_mul_f32_e32 v20, v39, v20
	v_lshrrev_b32_e32 v27, 16, v20
.LBB405_85:
	s_or_b64 exec, exec, s[0:1]
	s_mov_b32 s0, 0x5040100
	v_or_b32_e32 v22, v35, v37
	v_perm_b32 v21, v27, v28, s0
	v_perm_b32 v20, v31, v29, s0
	v_lshlrev_b32_e32 v22, 1, v22
	s_movk_i32 s2, 0x100
	ds_write_b64 v22, v[20:21] offset:45056
	v_and_b32_e32 v20, 7, v0
	v_and_b32_e32 v21, 8, v0
	v_cmp_gt_u32_e32 vcc, s2, v0
	v_lshrrev_b32_e32 v0, 1, v0
	v_lshlrev_b32_e32 v26, 3, v20
	v_lshlrev_b32_e32 v35, 7, v20
	v_mov_b32_e32 v20, 0x4000
	v_mov_b32_e32 v22, 0x2000
	v_lshlrev_b32_e32 v24, 3, v53
	v_and_b32_e32 v0, 24, v0
	v_cndmask_b32_e32 v27, v20, v22, vcc
	v_xor_b32_e32 v20, v24, v0
	v_or_b32_e32 v22, 0x440, v20
	v_cmp_eq_u32_e32 vcc, 0, v21
	v_or_b32_e32 v28, 32, v0
	v_xor_b32_e32 v28, v24, v28
	v_cndmask_b32_e32 v20, v22, v20, vcc
	v_or_b32_e32 v20, v20, v41
	v_xor_b32_e32 v48, v20, v26
	v_or_b32_e32 v29, 0x440, v28
	v_add3_u32 v25, v27, v48, v35
	v_cndmask_b32_e32 v28, v29, v28, vcc
	v_or_b32_e32 v29, 64, v0
	v_or_b32_e32 v0, 0x60, v0
	s_waitcnt lgkmcnt(0)
	s_barrier
	v_xor_b32_e32 v29, v24, v29
	v_xor_b32_e32 v0, v24, v0
	ds_read_b64 v[24:25], v25
	v_xor_b32_e32 v30, 0x440, v29
	ds_read2_b64 v[20:23], v19 offset1:16
	v_cndmask_b32_e32 v29, v30, v29, vcc
	v_xor_b32_e32 v30, 0x440, v0
	v_or_b32_e32 v28, v28, v41
	v_or_b32_e32 v29, v29, v41
	v_cndmask_b32_e32 v0, v30, v0, vcc
	v_xor_b32_e32 v49, v28, v26
	v_xor_b32_e32 v50, v29, v26
	v_or_b32_e32 v0, v0, v41
	v_add3_u32 v28, v27, v49, v35
	v_add3_u32 v29, v27, v50, v35
	v_xor_b32_e32 v51, v0, v26
	s_mul_i32 s0, s20, s21
	v_add3_u32 v0, v27, v51, v35
	ds_read_b64 v[26:27], v28
	ds_read_b64 v[32:33], v29
	ds_read_b64 v[44:45], v0
	ds_read2st64_b64 v[28:31], v19 offset0:2 offset1:4
	s_mul_hi_i32 s1, s20, s21
	ds_read2st64_b64 v[40:43], v18 offset0:2 offset1:4
	s_add_u32 s0, s0, s48
	s_waitcnt lgkmcnt(5)
	v_mfma_f32_16x16x16_bf16 a[0:3], v[24:25], v[20:21], 0
	s_addc_u32 s1, s1, s37
	s_lshl_b64 s[0:1], s[0:1], 9
	s_add_u32 s0, s40, s0
	v_mfma_f32_16x16x16_bf16 a[4:7], v[24:25], v[22:23], 0
	s_addc_u32 s1, s41, s1
	v_lshlrev_b32_e32 v0, 2, v38
	v_add_u32_e32 v48, v48, v35
	s_waitcnt lgkmcnt(1)
	v_mfma_f32_16x16x16_bf16 a[0:3], v[26:27], v[28:29], a[0:3]
	v_add_u32_e32 v50, v50, v35
	s_waitcnt lgkmcnt(0)
	v_mfma_f32_16x16x16_bf16 a[4:7], v[26:27], v[40:41], a[4:7]
	global_load_dwordx4 v[24:27], v0, s[0:1]
	v_lshlrev_b32_e32 v0, 6, v53
	s_waitcnt vmcnt(0)
	v_exp_f32_e32 v26, v26
	v_mfma_f32_16x16x16_bf16 a[0:3], v[32:33], v[30:31], a[0:3]
	v_exp_f32_e32 v27, v27
	v_mfma_f32_16x16x16_bf16 a[4:7], v[32:33], v[42:43], a[4:7]
	ds_read_b64 v[32:33], v19 offset:3072
	ds_read_b64 v[46:47], v18 offset:3072
	v_lshlrev_b32_e32 v18, 2, v36
	v_or3_b32 v0, v0, v18, s2
	global_load_dwordx4 v[36:39], v0, s[0:1]
	v_exp_f32_e32 v18, v24
	v_exp_f32_e32 v19, v25
	ds_read_b64 v[24:25], v48 offset:16384
	s_waitcnt lgkmcnt(2)
	v_mfma_f32_16x16x16_bf16 a[0:3], v[44:45], v[32:33], a[0:3]
	v_exp_f32_e32 v0, s22
	s_nop 0
	v_pk_mul_f32 v[54:55], v[0:1], v[18:19] op_sel_hi:[0,1]
	s_waitcnt lgkmcnt(1)
	v_mfma_f32_16x16x16_bf16 a[4:7], v[44:45], v[46:47], a[4:7]
	v_add_u32_e32 v44, v49, v35
	s_nop 0
	v_accvgpr_read_b32 v19, a1
	v_accvgpr_read_b32 v45, a3
	v_add_u32_e32 v35, v51, v35
	ds_read_b64 v[48:49], v44 offset:16384
	ds_read_b64 v[50:51], v50 offset:16384
	ds_read_b64 v[52:53], v35 offset:16384
	v_accvgpr_read_b32 v44, a2
	v_accvgpr_read_b32 v18, a0
	s_waitcnt lgkmcnt(3)
	v_mfma_f32_16x16x16_bf16 a[0:3], v[24:25], v[22:23], 0
	v_pk_fma_f32 v[18:19], v[2:3], v[54:55], v[18:19]
	v_pk_mul_f32 v[2:3], v[0:1], v[26:27] op_sel_hi:[0,1]
	v_mov_b32_e32 v35, v34
	v_mfma_f32_16x16x16_bf16 a[8:11], v[24:25], v[20:21], 0
	v_pk_fma_f32 v[20:21], v[4:5], v[2:3], v[44:45]
	v_accvgpr_read_b32 v4, a4
	v_fma_f32 v26, v10, v54, v4
	s_waitcnt lgkmcnt(2)
	v_mfma_f32_16x16x16_bf16 a[0:3], v[48:49], v[40:41], a[0:3]
	v_accvgpr_read_b32 v4, a5
	v_fma_f32 v27, v11, v55, v4
	v_accvgpr_read_b32 v4, a6
	v_mfma_f32_16x16x16_bf16 a[8:11], v[48:49], v[28:29], a[8:11]
	v_accvgpr_read_b32 v29, a7
	v_fma_f32 v28, v12, v2, v4
	v_fmac_f32_e32 v29, v13, v3
	s_waitcnt lgkmcnt(1)
	v_mfma_f32_16x16x16_bf16 a[0:3], v[50:51], v[42:43], a[0:3]
	s_waitcnt vmcnt(0)
	v_mov_b32_e32 v2, v37
	v_mfma_f32_16x16x16_bf16 a[8:11], v[50:51], v[30:31], a[8:11]
	v_mov_b32_e32 v3, v38
	v_mov_b32_e32 v4, v39
	v_exp_f32_e32 v10, v36
	v_exp_f32_e32 v11, v2
	;; [unrolled: 1-line block ×4, first 2 shown]
	s_waitcnt lgkmcnt(0)
	v_mfma_f32_16x16x16_bf16 a[0:3], v[52:53], v[46:47], a[0:3]
	v_pk_mul_f32 v[10:11], v[0:1], v[10:11] op_sel_hi:[0,1]
	v_pk_mul_f32 v[2:3], v[0:1], v[2:3] op_sel_hi:[0,1]
	v_mfma_f32_16x16x16_bf16 a[4:7], v[52:53], v[32:33], a[8:11]
	s_nop 3
	v_accvgpr_read_b32 v0, a0
	v_fma_f32 v30, v14, v10, v0
	v_accvgpr_read_b32 v0, a1
	v_fma_f32 v31, v15, v11, v0
	v_accvgpr_read_b32 v13, a5
	v_accvgpr_read_b32 v5, a7
	;; [unrolled: 1-line block ×6, first 2 shown]
	v_pk_fma_f32 v[22:23], v[6:7], v[10:11], v[12:13]
	v_pk_fma_f32 v[24:25], v[8:9], v[2:3], v[4:5]
	v_fma_f32 v32, v16, v2, v0
	v_fmac_f32_e32 v33, v17, v3
	v_mov_b64_e32 v[2:3], v[18:19]
	v_mov_b64_e32 v[4:5], v[20:21]
	;; [unrolled: 1-line block ×8, first 2 shown]
.LBB405_86:
	s_mul_i32 s0, s49, s35
	s_mul_hi_u32 s1, s49, s34
	s_add_i32 s0, s1, s0
	s_mul_i32 s1, s33, s34
	s_add_i32 s1, s0, s1
	s_mul_i32 s0, s49, s34
	s_add_u32 s0, s0, s48
	s_addc_u32 s1, s1, s37
	s_lshl_b64 s[0:1], s[0:1], 16
	s_add_u32 s0, s8, s0
	v_lshlrev_b32_e32 v18, 7, v35
	s_addc_u32 s1, s9, s1
	v_ashrrev_i32_e32 v19, 31, v18
	v_lshl_add_u64 v[20:21], v[18:19], 2, s[0:1]
	v_lshlrev_b32_e32 v0, 2, v1
	v_mov_b32_e32 v1, 0
	v_lshl_add_u64 v[20:21], v[20:21], 0, v[0:1]
	global_store_dwordx4 v[20:21], v[2:5], off
	global_store_dwordx4 v[20:21], v[6:9], off offset:256
	s_nop 0
	v_or_b32_e32 v2, 0x800, v18
	v_ashrrev_i32_e32 v3, 31, v2
	v_lshl_add_u64 v[2:3], v[2:3], 2, s[0:1]
	v_lshl_add_u64 v[0:1], v[2:3], 0, v[0:1]
	global_store_dwordx4 v[0:1], v[10:13], off
	global_store_dwordx4 v[0:1], v[14:17], off offset:256
	s_endpgm
	.section	.rodata,"a",@progbits
	.p2align	6, 0x0
	.amdhsa_kernel _ZN12_GLOBAL__N_139chunk_gated_delta_rule_fwd_h_hip_kernelILi32ELb0ELb1ELb1ELb1ELb1ELb1ELb0ELb0EEEvPK12hip_bfloat16S3_S3_PKfS5_PKvPS1_S8_PvPKiSB_iiiiilll
		.amdhsa_group_segment_fixed_size 49152
		.amdhsa_private_segment_fixed_size 0
		.amdhsa_kernarg_size 136
		.amdhsa_user_sgpr_count 2
		.amdhsa_user_sgpr_dispatch_ptr 0
		.amdhsa_user_sgpr_queue_ptr 0
		.amdhsa_user_sgpr_kernarg_segment_ptr 1
		.amdhsa_user_sgpr_dispatch_id 0
		.amdhsa_user_sgpr_kernarg_preload_length 0
		.amdhsa_user_sgpr_kernarg_preload_offset 0
		.amdhsa_user_sgpr_private_segment_size 0
		.amdhsa_uses_dynamic_stack 0
		.amdhsa_enable_private_segment 0
		.amdhsa_system_sgpr_workgroup_id_x 1
		.amdhsa_system_sgpr_workgroup_id_y 1
		.amdhsa_system_sgpr_workgroup_id_z 0
		.amdhsa_system_sgpr_workgroup_info 0
		.amdhsa_system_vgpr_workitem_id 0
		.amdhsa_next_free_vgpr 164
		.amdhsa_next_free_sgpr 70
		.amdhsa_accum_offset 144
		.amdhsa_reserve_vcc 1
		.amdhsa_float_round_mode_32 0
		.amdhsa_float_round_mode_16_64 0
		.amdhsa_float_denorm_mode_32 3
		.amdhsa_float_denorm_mode_16_64 3
		.amdhsa_dx10_clamp 1
		.amdhsa_ieee_mode 1
		.amdhsa_fp16_overflow 0
		.amdhsa_tg_split 0
		.amdhsa_exception_fp_ieee_invalid_op 0
		.amdhsa_exception_fp_denorm_src 0
		.amdhsa_exception_fp_ieee_div_zero 0
		.amdhsa_exception_fp_ieee_overflow 0
		.amdhsa_exception_fp_ieee_underflow 0
		.amdhsa_exception_fp_ieee_inexact 0
		.amdhsa_exception_int_div_zero 0
	.end_amdhsa_kernel
	.section	.text._ZN12_GLOBAL__N_139chunk_gated_delta_rule_fwd_h_hip_kernelILi32ELb0ELb1ELb1ELb1ELb1ELb1ELb0ELb0EEEvPK12hip_bfloat16S3_S3_PKfS5_PKvPS1_S8_PvPKiSB_iiiiilll,"axG",@progbits,_ZN12_GLOBAL__N_139chunk_gated_delta_rule_fwd_h_hip_kernelILi32ELb0ELb1ELb1ELb1ELb1ELb1ELb0ELb0EEEvPK12hip_bfloat16S3_S3_PKfS5_PKvPS1_S8_PvPKiSB_iiiiilll,comdat
.Lfunc_end405:
	.size	_ZN12_GLOBAL__N_139chunk_gated_delta_rule_fwd_h_hip_kernelILi32ELb0ELb1ELb1ELb1ELb1ELb1ELb0ELb0EEEvPK12hip_bfloat16S3_S3_PKfS5_PKvPS1_S8_PvPKiSB_iiiiilll, .Lfunc_end405-_ZN12_GLOBAL__N_139chunk_gated_delta_rule_fwd_h_hip_kernelILi32ELb0ELb1ELb1ELb1ELb1ELb1ELb0ELb0EEEvPK12hip_bfloat16S3_S3_PKfS5_PKvPS1_S8_PvPKiSB_iiiiilll
                                        ; -- End function
	.section	.AMDGPU.csdata,"",@progbits
; Kernel info:
; codeLenInByte = 9796
; NumSgprs: 76
; NumVgprs: 142
; NumAgprs: 20
; TotalNumVgprs: 164
; ScratchSize: 0
; MemoryBound: 0
; FloatMode: 240
; IeeeMode: 1
; LDSByteSize: 49152 bytes/workgroup (compile time only)
; SGPRBlocks: 9
; VGPRBlocks: 20
; NumSGPRsForWavesPerEU: 76
; NumVGPRsForWavesPerEU: 164
; AccumOffset: 144
; Occupancy: 1
; WaveLimiterHint : 1
; COMPUTE_PGM_RSRC2:SCRATCH_EN: 0
; COMPUTE_PGM_RSRC2:USER_SGPR: 2
; COMPUTE_PGM_RSRC2:TRAP_HANDLER: 0
; COMPUTE_PGM_RSRC2:TGID_X_EN: 1
; COMPUTE_PGM_RSRC2:TGID_Y_EN: 1
; COMPUTE_PGM_RSRC2:TGID_Z_EN: 0
; COMPUTE_PGM_RSRC2:TIDIG_COMP_CNT: 0
; COMPUTE_PGM_RSRC3_GFX90A:ACCUM_OFFSET: 35
; COMPUTE_PGM_RSRC3_GFX90A:TG_SPLIT: 0
	.section	.text._ZN12_GLOBAL__N_139chunk_gated_delta_rule_fwd_h_hip_kernelILi32ELb0ELb1ELb0ELb1ELb1ELb1ELb0ELb0EEEvPK12hip_bfloat16S3_S3_PKfS5_PKvPS1_S8_PvPKiSB_iiiiilll,"axG",@progbits,_ZN12_GLOBAL__N_139chunk_gated_delta_rule_fwd_h_hip_kernelILi32ELb0ELb1ELb0ELb1ELb1ELb1ELb0ELb0EEEvPK12hip_bfloat16S3_S3_PKfS5_PKvPS1_S8_PvPKiSB_iiiiilll,comdat
	.globl	_ZN12_GLOBAL__N_139chunk_gated_delta_rule_fwd_h_hip_kernelILi32ELb0ELb1ELb0ELb1ELb1ELb1ELb0ELb0EEEvPK12hip_bfloat16S3_S3_PKfS5_PKvPS1_S8_PvPKiSB_iiiiilll ; -- Begin function _ZN12_GLOBAL__N_139chunk_gated_delta_rule_fwd_h_hip_kernelILi32ELb0ELb1ELb0ELb1ELb1ELb1ELb0ELb0EEEvPK12hip_bfloat16S3_S3_PKfS5_PKvPS1_S8_PvPKiSB_iiiiilll
	.p2align	8
	.type	_ZN12_GLOBAL__N_139chunk_gated_delta_rule_fwd_h_hip_kernelILi32ELb0ELb1ELb0ELb1ELb1ELb1ELb0ELb0EEEvPK12hip_bfloat16S3_S3_PKfS5_PKvPS1_S8_PvPKiSB_iiiiilll,@function
_ZN12_GLOBAL__N_139chunk_gated_delta_rule_fwd_h_hip_kernelILi32ELb0ELb1ELb0ELb1ELb1ELb1ELb0ELb0EEEvPK12hip_bfloat16S3_S3_PKfS5_PKvPS1_S8_PvPKiSB_iiiiilll: ; @_ZN12_GLOBAL__N_139chunk_gated_delta_rule_fwd_h_hip_kernelILi32ELb0ELb1ELb0ELb1ELb1ELb1ELb0ELb0EEEvPK12hip_bfloat16S3_S3_PKfS5_PKvPS1_S8_PvPKiSB_iiiiilll
; %bb.0:
	s_load_dwordx4 s[16:19], s[0:1], 0x5c
	s_load_dwordx4 s[20:23], s[0:1], 0x70
	s_abs_i32 s27, s3
	s_ashr_i32 s26, s3, 31
	s_load_dwordx8 s[4:11], s[0:1], 0x0
	s_load_dwordx2 s[36:37], s[0:1], 0x20
	s_load_dwordx2 s[40:41], s[0:1], 0x30
	s_waitcnt lgkmcnt(0)
	s_abs_i32 s28, s17
	v_cvt_f32_u32_e32 v1, s28
	s_sub_i32 s29, 0, s28
	s_ashr_i32 s33, s17, 31
	s_xor_b32 s26, s26, s33
	v_rcp_iflag_f32_e32 v1, v1
	s_load_dwordx4 s[12:15], s[0:1], 0x40
	s_load_dwordx2 s[24:25], s[0:1], 0x50
	v_lshrrev_b32_e32 v53, 6, v0
	v_bfe_u32 v62, v0, 4, 2
	v_mul_f32_e32 v1, 0x4f7ffffe, v1
	v_cvt_u32_f32_e32 v1, v1
	v_lshlrev_b32_e32 v60, 4, v53
	v_lshlrev_b32_e32 v18, 2, v62
	v_and_b32_e32 v61, 63, v0
	v_readfirstlane_b32 s30, v1
	s_mul_i32 s29, s29, s30
	s_mul_hi_u32 s29, s30, s29
	s_add_i32 s30, s30, s29
	s_mul_hi_u32 s29, s27, s30
	s_mul_i32 s30, s29, s28
	s_sub_i32 s27, s27, s30
	s_add_i32 s30, s29, 1
	s_sub_i32 s31, s27, s28
	s_cmp_ge_u32 s27, s28
	s_cselect_b32 s29, s30, s29
	s_cselect_b32 s27, s31, s27
	s_add_i32 s30, s29, 1
	s_cmp_ge_u32 s27, s28
	s_cselect_b32 s27, s30, s29
	s_xor_b32 s27, s27, s26
	s_sub_i32 s34, s27, s26
	s_mul_i32 s26, s34, s17
	s_ashr_i32 s35, s34, 31
	s_sub_i32 s46, s3, s26
	s_lshl_b64 s[26:27], s[34:35], 2
	s_waitcnt lgkmcnt(0)
	s_add_u32 s14, s14, s26
	s_addc_u32 s15, s15, s27
	s_add_u32 s24, s24, s26
	s_addc_u32 s25, s25, s27
	s_abs_i32 s3, s18
	v_cvt_f32_u32_e32 v1, s3
	s_load_dwordx2 s[38:39], s[14:15], 0x0
	s_sub_i32 s15, 0, s3
	s_load_dword s52, s[24:25], 0x0
	v_rcp_iflag_f32_e32 v1, v1
	v_mov_b32_e32 v17, 0
	s_waitcnt lgkmcnt(0)
	s_sub_i32 s56, s39, s38
	s_ashr_i32 s14, s56, 31
	v_mul_f32_e32 v1, 0x4f7ffffe, v1
	v_cvt_u32_f32_e32 v1, v1
	s_lshr_b32 s14, s14, 26
	s_add_i32 s14, s56, s14
	s_ashr_i32 s51, s14, 6
	v_readfirstlane_b32 s26, v1
	s_mul_i32 s15, s15, s26
	s_mul_hi_u32 s15, s26, s15
	s_add_i32 s26, s26, s15
	s_mul_hi_u32 s15, s28, s26
	s_mul_i32 s26, s15, s3
	s_ashr_i32 s14, s18, 31
	s_sub_i32 s26, s28, s26
	s_xor_b32 s14, s33, s14
	s_add_i32 s27, s15, 1
	s_sub_i32 s28, s26, s3
	s_cmp_ge_u32 s26, s3
	s_cselect_b32 s15, s27, s15
	s_cselect_b32 s26, s28, s26
	s_add_i32 s27, s15, 1
	s_cmp_ge_u32 s26, s3
	s_cselect_b32 s3, s27, s15
	s_xor_b32 s3, s3, s14
	s_sub_i32 s3, s3, s14
	s_abs_i32 s26, s3
	v_cvt_f32_u32_e32 v1, s26
	s_load_dwordx2 s[14:15], s[0:1], 0x80
	s_xor_b32 s0, s46, s3
	s_sub_i32 s3, 0, s26
	v_rcp_iflag_f32_e32 v1, v1
	s_abs_i32 s1, s46
	s_ashr_i32 s0, s0, 31
	s_mov_b32 s47, s17
	v_mul_f32_e32 v1, 0x4f7ffffe, v1
	v_cvt_u32_f32_e32 v1, v1
	v_and_b32_e32 v63, 15, v0
	s_mul_hi_i32 s53, s46, s16
	s_mul_i32 s54, s46, s16
	v_readfirstlane_b32 s24, v1
	s_mul_i32 s3, s3, s24
	s_mul_hi_u32 s3, s24, s3
	s_add_i32 s24, s24, s3
	s_mul_hi_u32 s3, s1, s24
	s_mul_i32 s24, s3, s26
	s_sub_i32 s1, s1, s24
	s_add_i32 s24, s3, 1
	s_sub_i32 s25, s1, s26
	s_cmp_ge_u32 s1, s26
	s_cselect_b32 s3, s24, s3
	s_cselect_b32 s1, s25, s1
	s_add_i32 s24, s3, 1
	s_cmp_ge_u32 s1, s26
	s_cselect_b32 s1, s24, s3
	s_xor_b32 s1, s1, s0
	s_sub_i32 s55, s1, s0
	v_or_b32_e32 v1, v18, v60
	s_lshl_b32 s2, s2, 5
	v_or_b32_e32 v66, 64, v1
	s_cmp_lt_i32 s56, 64
	v_lshrrev_b32_e32 v65, 3, v61
	v_lshlrev_b32_e32 v64, 3, v0
	s_mul_i32 s48, s34, s21
	s_mul_hi_u32 s49, s34, s20
	s_mul_i32 s50, s35, s20
	s_mul_i32 s20, s34, s20
	v_mov_b32_e32 v16, v17
	v_mov_b32_e32 v15, v17
	;; [unrolled: 1-line block ×15, first 2 shown]
	s_cbranch_scc1 .LBB406_19
; %bb.1:
	s_ashr_i32 s58, s46, 31
	s_ashr_i32 s1, s38, 31
	s_add_u32 s0, s54, s38
	s_addc_u32 s1, s53, s1
	s_lshl_b64 s[0:1], s[0:1], 8
	v_and_b32_e32 v68, 56, v64
	s_add_u32 s24, s6, s0
	v_lshl_or_b32 v67, v53, 3, v65
	v_lshlrev_b32_e32 v2, 1, v68
	s_addc_u32 s0, s7, s1
	v_lshl_or_b32 v69, v67, 8, v2
	s_and_b32 s25, s0, 0xffff
	s_mov_b32 s27, 0x20000
	s_movk_i32 s26, 0x4000
	s_movk_i32 s0, 0x80
	v_or_b32_e32 v70, 0x2000, v69
	buffer_load_dwordx4 v[4:7], v69, s[24:27], 0 offen
	buffer_load_dwordx4 v[8:11], v69, s[24:27], s0 offen
	;; [unrolled: 1-line block ×4, first 2 shown]
	v_lshlrev_b32_e32 v3, 3, v67
	v_and_or_b32 v17, v0, 7, v3
	v_and_b32_e32 v3, 0x78, v3
	v_lshlrev_b32_e32 v17, 4, v17
	v_xor_b32_e32 v71, v17, v3
	v_mul_lo_u32 v16, v67, s19
	v_or_b32_e32 v72, 0x1000, v71
	v_xor_b32_e32 v3, 8, v71
	s_cmpk_eq_i32 s19, 0x80
	s_mov_b32 s57, s38
	v_xor_b32_e32 v17, 8, v72
	s_cselect_b64 s[0:1], -1, 0
	s_cmpk_lg_i32 s19, 0x80
	s_waitcnt vmcnt(3)
	ds_write_b64 v71, v[4:5] offset:24576
	ds_write_b64 v3, v[6:7] offset:24576
	s_waitcnt vmcnt(2)
	ds_write_b64 v71, v[8:9] offset:32768
	ds_write_b64 v3, v[10:11] offset:32768
	;; [unrolled: 3-line block ×4, first 2 shown]
	v_lshl_add_u32 v3, v16, 1, v68
	s_cbranch_scc0 .LBB406_3
; %bb.2:
	v_lshlrev_b32_e32 v5, 1, v3
	v_add_lshl_u32 v4, v3, s19, 1
	s_lshl_b32 s26, s19, 7
	v_lshl_or_b32 v2, v67, 9, v2
	s_cbranch_execz .LBB406_4
	s_branch .LBB406_5
.LBB406_3:
                                        ; implicit-def: $vgpr4
                                        ; implicit-def: $vgpr5
                                        ; implicit-def: $sgpr26
	v_lshl_or_b32 v2, v67, 9, v2
.LBB406_4:
	v_or_b32_e32 v4, 0x100, v2
	s_movk_i32 s26, 0x4000
	v_mov_b32_e32 v5, v2
.LBB406_5:
	s_mul_i32 s21, s38, s18
	s_ashr_i32 s59, s55, 31
	s_mul_hi_i32 s3, s38, s18
	s_add_u32 s24, s21, s55
	s_addc_u32 s25, s3, s59
	s_lshl_b64 s[24:25], s[24:25], 8
	s_add_u32 s24, s4, s24
	s_addc_u32 s3, s5, s25
	s_and_b32 s25, s3, 0xffff
	s_movk_i32 s60, 0x80
	buffer_load_dwordx4 v[6:9], v5, s[24:27], 0 offen
	buffer_load_dwordx4 v[10:13], v5, s[24:27], s60 offen
	buffer_load_dwordx4 v[14:17], v4, s[24:27], 0 offen
	buffer_load_dwordx4 v[20:23], v4, s[24:27], s60 offen
	v_and_b32_e32 v4, 6, v0
	v_lshlrev_b32_e32 v24, 6, v1
	v_or_b32_e32 v26, 16, v63
	v_xor_b32_e32 v27, v67, v4
	v_and_b32_e32 v5, 1, v0
	v_lshl_or_b32 v30, v63, 3, v24
	v_lshl_or_b32 v24, v26, 3, v24
	v_lshlrev_b32_e32 v27, 2, v27
	v_lshlrev_b32_e32 v19, 2, v63
	s_mul_i32 s3, s46, s23
	s_mul_hi_u32 s21, s46, s22
	v_or_b32_e32 v75, 0xa000, v24
	v_or_b32_e32 v76, 0xb000, v24
	v_xor_b32_e32 v24, 0x440, v27
	v_cmp_eq_u32_e32 vcc, 0, v5
	s_add_i32 s25, s49, s48
	s_mul_i32 s24, s58, s22
	v_xor_b32_e32 v28, v1, v19
	v_xor_b32_e32 v29, v66, v19
	v_cndmask_b32_e32 v5, v24, v27, vcc
	s_add_i32 s3, s21, s3
	s_add_i32 s21, s25, s50
	s_mov_b32 s61, 0x1000504
	v_lshlrev_b32_e32 v25, 8, v63
	v_lshlrev_b32_e32 v26, 8, v26
	;; [unrolled: 1-line block ×4, first 2 shown]
	v_lshl_or_b32 v4, v4, 10, v5
	s_add_i32 s25, s3, s24
	s_lshl_b64 s[28:29], s[20:21], 2
	s_mov_b32 s62, 0x3020706
	v_or_b32_e32 v73, 0xa000, v30
	v_or_b32_e32 v74, 0xb000, v30
	;; [unrolled: 1-line block ×5, first 2 shown]
	v_xor_b32_e32 v5, 8, v4
	v_xor_b32_e32 v25, 24, v4
	v_xor_b32_e32 v27, 40, v4
	v_xor_b32_e32 v29, 56, v4
	s_mul_i32 s24, s46, s22
	s_add_u32 s3, s10, s28
	v_or_b32_e32 v79, v26, v28
	v_xor_b32_e32 v24, 16, v4
	v_xor_b32_e32 v26, 32, v4
	v_xor_b32_e32 v28, 48, v4
	v_add_u32_e32 v5, 0x80, v5
	v_add_u32_e32 v25, 0x80, v25
	;; [unrolled: 1-line block ×4, first 2 shown]
	s_addc_u32 s21, s11, s29
	s_lshl_b64 s[24:25], s[24:25], 2
	s_add_u32 s42, s3, s24
	s_movk_i32 s3, 0xf8
	s_addc_u32 s43, s21, s25
	s_lshl_b32 s30, s19, 7
	s_movk_i32 s28, 0x100
	v_mov_b32_e32 v55, 0
	v_lshlrev_b32_e32 v54, 4, v63
	v_cmp_gt_u32_e32 vcc, s28, v0
	s_mov_b32 s63, 0
	s_movk_i32 s21, 0x1000
	s_movk_i32 s26, 0x4000
	v_add_u32_e32 v94, v60, v18
	v_mov_b32_e32 v105, v55
	v_mov_b32_e32 v106, v55
	;; [unrolled: 1-line block ×8, first 2 shown]
	s_waitcnt vmcnt(1)
	v_perm_b32 v30, v6, v14, s61
	s_waitcnt vmcnt(0)
	v_perm_b32 v31, v10, v20, s61
	v_perm_b32 v6, v6, v14, s62
	;; [unrolled: 1-line block ×15, first 2 shown]
	ds_write2st64_b32 v4, v30, v31 offset0:32 offset1:64
	ds_write2st64_b32 v5, v6, v10 offset0:32 offset1:64
	ds_write2st64_b32 v24, v14, v20 offset0:33 offset1:65
	ds_write2st64_b32 v25, v7, v11 offset0:33 offset1:65
	ds_write2st64_b32 v26, v15, v21 offset0:34 offset1:66
	ds_write2st64_b32 v27, v8, v12 offset0:34 offset1:66
	ds_write2st64_b32 v28, v16, v22 offset0:35 offset1:67
	ds_write2st64_b32 v29, v9, v13 offset0:35 offset1:67
	v_or_b32_e32 v4, v60, v63
	v_lshlrev_b32_e32 v4, 3, v4
	v_lshrrev_b32_e32 v6, 5, v61
	v_and_or_b32 v6, v4, s3, v6
	v_lshlrev_b32_e32 v6, 4, v6
	v_lshrrev_b32_e32 v5, 2, v61
	v_lshlrev_b32_e32 v11, 11, v53
	v_and_b32_e32 v4, 0x78, v4
	v_or_b32_e32 v10, 32, v6
	v_and_b32_e32 v7, 12, v5
	v_and_b32_e32 v5, 0x1000, v11
	v_xor_b32_e32 v8, v6, v4
	v_lshrrev_b32_e32 v9, 1, v61
	v_xor_b32_e32 v10, v10, v4
	v_or_b32_e32 v8, v8, v5
	v_and_b32_e32 v9, 8, v9
	v_lshlrev_b32_e32 v12, 7, v62
	v_or_b32_e32 v10, v10, v5
	v_xor_b32_e32 v81, v8, v9
	v_or_b32_e32 v8, v12, v19
	v_xor_b32_e32 v83, v10, v9
	v_or_b32_e32 v10, 64, v6
	v_or_b32_e32 v6, 0x60, v6
	s_ashr_i32 s3, s2, 31
	v_lshlrev_b32_e32 v8, 1, v8
	v_xor_b32_e32 v10, v10, v4
	v_xor_b32_e32 v4, v6, v4
	s_lshl_b64 s[24:25], s[2:3], 8
	v_or_b32_e32 v82, 0xa000, v8
	v_or_b32_e32 v84, 0xa080, v8
	;; [unrolled: 1-line block ×6, first 2 shown]
	s_add_u32 s24, s40, s24
	v_lshlrev_b32_e32 v8, 1, v63
	v_lshlrev_b32_e32 v19, 2, v0
	v_lshrrev_b32_e32 v22, 1, v0
	v_xor_b32_e32 v85, v10, v9
	v_xor_b32_e32 v86, v4, v9
	v_lshrrev_b32_e32 v10, 4, v0
	s_addc_u32 s25, s41, s25
	v_or_b32_e32 v9, 1, v8
	v_mov_b32_e32 v20, 0x4000
	v_mov_b32_e32 v21, 0x2000
	v_and_b32_e32 v22, 24, v22
	v_and_or_b32 v12, v19, 60, v12
	v_mov_b32_e32 v19, 0xb000
	v_xor_b32_e32 v15, v10, v8
	v_xor_b32_e32 v16, v9, v10
	v_lshl_add_u64 v[8:9], s[24:25], 0, v[54:55]
	v_lshlrev_b32_e32 v54, 8, v10
	v_cndmask_b32_e32 v20, v20, v21, vcc
	v_lshlrev_b32_e32 v21, 3, v53
	v_lshl_or_b32 v91, v12, 1, v19
	v_or_b32_e32 v12, 32, v22
	v_lshl_or_b32 v89, v15, 3, v54
	v_and_b32_e32 v15, 8, v0
	v_xor_b32_e32 v12, v21, v12
	v_cmp_eq_u32_e32 vcc, 0, v15
	v_or_b32_e32 v19, 0x440, v12
	v_and_b32_e32 v10, 7, v0
	v_cndmask_b32_e32 v12, v19, v12, vcc
	v_lshl_or_b32 v90, v16, 3, v54
	v_lshlrev_b32_e32 v16, 3, v10
	v_or_b32_e32 v12, v12, v11
	v_xor_b32_e32 v19, v12, v16
	v_or_b32_e32 v12, 64, v22
	v_xor_b32_e32 v12, v21, v12
	v_xor_b32_e32 v25, 0x440, v12
	v_cndmask_b32_e32 v12, v25, v12, vcc
	v_or_b32_e32 v12, v12, v11
	v_xor_b32_e32 v25, v12, v16
	v_or_b32_e32 v12, 0x60, v22
	v_xor_b32_e32 v23, v21, v22
	v_xor_b32_e32 v12, v21, v12
	v_or_b32_e32 v24, 0x440, v23
	v_xor_b32_e32 v21, 0x440, v12
	v_cndmask_b32_e32 v15, v24, v23, vcc
	v_cndmask_b32_e32 v12, v21, v12, vcc
	v_or_b32_e32 v15, v15, v11
	v_or_b32_e32 v11, v12, v11
	v_or_b32_e32 v4, s2, v63
	v_xor_b32_e32 v15, v15, v16
	v_xor_b32_e32 v11, v11, v16
	v_lshlrev_b32_e32 v6, 7, v1
	v_ashrrev_i32_e32 v5, 31, v4
	v_lshlrev_b32_e32 v13, 1, v3
	v_add_lshl_u32 v3, v3, s19, 1
	v_or_b32_e32 v14, 0x100, v2
	v_lshlrev_b32_e32 v17, 7, v10
	v_or_b32_e32 v10, v7, v60
	v_add_u32_e32 v23, v20, v15
	v_add_u32_e32 v24, v20, v19
	;; [unrolled: 1-line block ×4, first 2 shown]
	v_or3_b32 v12, v60, v7, 64
	v_add_u32_e32 v7, 0x4000, v15
	v_add_u32_e32 v15, 0x4000, v19
	;; [unrolled: 1-line block ×4, first 2 shown]
	v_cndmask_b32_e64 v92, v13, v2, s[0:1]
	v_cndmask_b32_e64 v93, v3, v14, s[0:1]
	v_lshl_add_u64 v[56:57], v[4:5], 1, s[8:9]
	v_lshl_add_u64 v[58:59], v[8:9], 0, v[54:55]
	s_mov_b32 s3, 0x7060302
	v_lshlrev_b32_e32 v54, 1, v6
	v_lshlrev_b32_e32 v95, 2, v10
	v_add_u32_e32 v96, v23, v17
	v_add_u32_e32 v97, v24, v17
	;; [unrolled: 1-line block ×4, first 2 shown]
	v_lshlrev_b32_e32 v100, 2, v12
	v_add_u32_e32 v101, v7, v17
	v_add_u32_e32 v102, v15, v17
	;; [unrolled: 1-line block ×4, first 2 shown]
	v_mov_b32_e32 v2, v55
	v_mov_b32_e32 v3, v55
	v_mov_b32_e32 v4, v55
	v_mov_b32_e32 v5, v55
	v_mov_b32_e32 v6, v55
	v_mov_b32_e32 v7, v55
	v_mov_b32_e32 v8, v55
	v_mov_b32_e32 v9, v55
	s_waitcnt lgkmcnt(0)
	s_barrier
.LBB406_6:                              ; =>This Inner Loop Header: Depth=1
	s_add_i32 s64, s63, 1
	s_cmp_lt_i32 s64, s51
	s_mov_b64 s[28:29], 0
	s_cselect_b64 s[44:45], -1, 0
	s_cmp_ge_i32 s64, s51
	s_mov_b64 s[24:25], 0
	s_cbranch_scc1 .LBB406_8
; %bb.7:                                ;   in Loop: Header=BB406_6 Depth=1
	s_add_i32 s0, s57, 64
	s_ashr_i32 s1, s0, 31
	s_add_u32 s0, s54, s0
	s_addc_u32 s1, s53, s1
	s_lshl_b64 s[0:1], s[0:1], 8
	s_add_u32 s24, s6, s0
	s_addc_u32 s25, s7, s1
.LBB406_8:                              ;   in Loop: Header=BB406_6 Depth=1
	v_cndmask_b32_e64 v10, 0, 1, s[44:45]
	v_cmp_ne_u32_e64 s[0:1], 1, v10
	s_andn2_b64 vcc, exec, s[44:45]
	s_cbranch_vccnz .LBB406_10
; %bb.9:                                ;   in Loop: Header=BB406_6 Depth=1
	s_add_i32 s28, s57, 64
	s_mul_hi_i32 s29, s28, s18
	s_mul_i32 s28, s28, s18
	s_add_u32 s28, s28, s55
	s_addc_u32 s29, s29, s59
	s_lshl_b64 s[28:29], s[28:29], 8
	s_add_u32 s28, s4, s28
	s_addc_u32 s29, s5, s29
.LBB406_10:                             ;   in Loop: Header=BB406_6 Depth=1
	v_perm_b32 v11, v5, v4, s3
	v_perm_b32 v10, v3, v2, s3
	;; [unrolled: 1-line block ×4, first 2 shown]
	ds_write_b64 v73, v[10:11]
	ds_write_b64 v74, v[12:13]
	ds_write_b64 v77, v[10:11]
	ds_write_b64 v78, v[12:13]
	v_perm_b32 v11, v112, v107, s3
	v_perm_b32 v10, v106, v105, s3
	;; [unrolled: 1-line block ×4, first 2 shown]
	ds_write_b64 v75, v[10:11]
	ds_write_b64 v76, v[12:13]
	;; [unrolled: 1-line block ×4, first 2 shown]
	s_waitcnt lgkmcnt(0)
	s_barrier
	ds_read_b64 v[14:15], v81 offset:24576
	ds_read2_b64 v[10:13], v82 offset1:16
	ds_read_b64 v[18:19], v84 offset:3072
	ds_read_b64 v[20:21], v82 offset:3072
	;; [unrolled: 1-line block ×3, first 2 shown]
	s_waitcnt lgkmcnt(3)
	v_mfma_f32_16x16x16_bf16 a[0:3], v[14:15], v[10:11], 0
	s_add_i32 s65, s57, 63
	s_ashr_i32 s31, s65, 31
	s_mul_i32 s44, s65, s15
	v_mfma_f32_16x16x16_bf16 a[4:7], v[14:15], v[12:13], 0
	ds_read2st64_b64 v[10:13], v82 offset0:2 offset1:4
	s_mul_hi_u32 s45, s65, s14
	s_add_i32 s44, s45, s44
	s_waitcnt lgkmcnt(0)
	v_mfma_f32_16x16x16_bf16 a[0:3], v[22:23], v[10:11], a[0:3]
	ds_read2st64_b64 v[14:17], v84 offset0:2 offset1:4
	ds_read_b64 v[10:11], v85 offset:24576
	s_mul_i32 s31, s31, s14
	s_add_i32 s45, s44, s31
	s_waitcnt lgkmcnt(1)
	v_mfma_f32_16x16x16_bf16 a[4:7], v[22:23], v[14:15], a[4:7]
	ds_read_b64 v[14:15], v86 offset:24576
	s_mul_i32 s44, s65, s14
	s_lshl_b64 s[44:45], s[44:45], 2
	s_waitcnt lgkmcnt(1)
	v_mfma_f32_16x16x16_bf16 a[0:3], v[10:11], v[12:13], a[0:3]
	s_add_u32 s44, s42, s44
	s_addc_u32 s45, s43, s45
	s_and_b64 vcc, exec, s[0:1]
	v_mfma_f32_16x16x16_bf16 a[4:7], v[10:11], v[16:17], a[4:7]
	v_mov_b32_e32 v115, 0
	v_mov_b32_e32 v114, 0
	;; [unrolled: 1-line block ×3, first 2 shown]
	s_waitcnt lgkmcnt(0)
	v_mfma_f32_16x16x16_bf16 a[0:3], v[14:15], v[20:21], a[0:3]
	v_mov_b32_e32 v10, 0
	v_mov_b32_e32 v11, 0
	;; [unrolled: 1-line block ×3, first 2 shown]
	v_mfma_f32_16x16x16_bf16 a[4:7], v[14:15], v[18:19], a[4:7]
	v_mov_b32_e32 v13, 0
	v_mov_b32_e32 v14, 0
	;; [unrolled: 1-line block ×13, first 2 shown]
	s_cbranch_vccnz .LBB406_12
; %bb.11:                               ;   in Loop: Header=BB406_6 Depth=1
	s_and_b32 s25, s25, 0xffff
	buffer_load_dwordx4 v[22:25], v69, s[24:27], 0 offen
	buffer_load_dwordx4 v[18:21], v69, s[24:27], s60 offen
	;; [unrolled: 1-line block ×4, first 2 shown]
	v_mov_b32_e32 v114, v71
	v_mov_b32_e32 v113, v72
.LBB406_12:                             ;   in Loop: Header=BB406_6 Depth=1
	ds_read_b64 v[30:31], v81 offset:32768
	ds_read2_b64 v[26:29], v87 offset1:16
	ds_read_b64 v[34:35], v83 offset:32768
	ds_read_b64 v[36:37], v85 offset:32768
	;; [unrolled: 1-line block ×3, first 2 shown]
	v_add_u32_e32 v42, s57, v94
	s_waitcnt lgkmcnt(3)
	v_mfma_f32_16x16x16_bf16 a[0:3], v[30:31], v[26:27], a[0:3]
	v_mov_b32_e32 v116, 0
	v_mfma_f32_16x16x16_bf16 a[4:7], v[30:31], v[28:29], a[4:7]
	ds_read2st64_b64 v[26:29], v87 offset0:2 offset1:4
	ds_read2st64_b64 v[30:33], v88 offset0:2 offset1:4
	s_waitcnt lgkmcnt(1)
	v_mfma_f32_16x16x16_bf16 a[0:3], v[34:35], v[26:27], a[0:3]
	ds_read_b64 v[26:27], v87 offset:3072
	ds_read_b64 v[40:41], v88 offset:3072
	s_waitcnt lgkmcnt(2)
	v_mfma_f32_16x16x16_bf16 a[4:7], v[34:35], v[30:31], a[4:7]
	v_ashrrev_i32_e32 v30, 31, v42
	v_mul_lo_u32 v31, v42, s15
	v_mul_lo_u32 v30, v30, s14
	v_mfma_f32_16x16x16_bf16 a[0:3], v[36:37], v[28:29], a[0:3]
	v_mad_u64_u32 v[28:29], s[24:25], v42, s14, 0
	v_add3_u32 v29, v29, v31, v30
	v_add_u32_e32 v30, 1, v42
	v_ashrrev_i32_e32 v31, 31, v30
	v_mfma_f32_16x16x16_bf16 a[4:7], v[36:37], v[32:33], a[4:7]
	v_mul_lo_u32 v31, v31, s14
	v_mul_lo_u32 v32, v30, s15
	v_lshl_add_u64 v[28:29], v[28:29], 2, s[42:43]
	s_waitcnt lgkmcnt(1)
	v_mfma_f32_16x16x16_bf16 a[0:3], v[38:39], v[26:27], a[0:3]
	v_mad_u64_u32 v[26:27], s[24:25], v30, s14, 0
	v_add_u32_e32 v30, 2, v42
	v_add3_u32 v27, v27, v32, v31
	v_ashrrev_i32_e32 v31, 31, v30
	v_mul_lo_u32 v32, v31, s14
	v_mul_lo_u32 v33, v30, s15
	v_mad_u64_u32 v[30:31], s[24:25], v30, s14, 0
	v_add3_u32 v31, v31, v33, v32
	v_add_u32_e32 v32, 3, v42
	v_ashrrev_i32_e32 v33, 31, v32
	v_mul_lo_u32 v34, v33, s14
	v_mul_lo_u32 v35, v32, s15
	v_mad_u64_u32 v[32:33], s[24:25], v32, s14, 0
	v_add3_u32 v33, v33, v35, v34
	v_lshl_add_u64 v[32:33], v[32:33], 2, s[42:43]
	s_ashr_i32 s25, s57, 31
	v_lshl_add_u64 v[26:27], v[26:27], 2, s[42:43]
	v_lshl_add_u64 v[30:31], v[30:31], 2, s[42:43]
	global_load_dword v34, v[28:29], off
	global_load_dword v35, v[26:27], off
	;; [unrolled: 1-line block ×3, first 2 shown]
	s_nop 0
	global_load_dword v33, v[32:33], off
	s_add_u32 s24, s54, s57
	s_addc_u32 s25, s53, s25
	s_lshl_b64 s[24:25], s[24:25], 8
	v_lshl_add_u64 v[26:27], v[56:57], 0, s[24:25]
	v_lshl_add_u64 v[26:27], v[26:27], 0, v[54:55]
	global_load_ushort v37, v[26:27], off
	global_load_ushort v42, v[26:27], off offset:256
	global_load_ushort v43, v[26:27], off offset:800
	;; [unrolled: 1-line block ×7, first 2 shown]
	s_load_dword s24, s[44:45], 0x0
	s_waitcnt lgkmcnt(0)
	v_mfma_f32_16x16x16_bf16 a[4:7], v[38:39], v[40:41], a[4:7]
	v_accvgpr_read_b32 v31, a1
	v_accvgpr_read_b32 v27, a3
	;; [unrolled: 1-line block ×4, first 2 shown]
	s_and_b64 vcc, exec, s[0:1]
	s_waitcnt vmcnt(11)
	v_sub_f32_e32 v32, s24, v34
	s_waitcnt vmcnt(10)
	v_sub_f32_e32 v40, s24, v35
	;; [unrolled: 2-line block ×4, first 2 shown]
	v_exp_f32_e32 v32, v32
	v_exp_f32_e32 v33, v40
	;; [unrolled: 1-line block ×4, first 2 shown]
	s_waitcnt vmcnt(6)
	v_lshlrev_b32_e32 v35, 16, v42
	v_lshlrev_b32_e32 v34, 16, v37
	s_waitcnt vmcnt(4)
	v_lshlrev_b32_e32 v37, 16, v44
	s_waitcnt vmcnt(2)
	v_lshlrev_b32_e32 v36, 16, v46
	v_pk_add_f32 v[30:31], v[34:35], v[30:31] neg_lo:[0,1] neg_hi:[0,1]
	v_pk_add_f32 v[26:27], v[36:37], v[26:27] neg_lo:[0,1] neg_hi:[0,1]
	v_pk_mul_f32 v[30:31], v[32:33], v[30:31]
	v_pk_mul_f32 v[26:27], v[40:41], v[26:27]
	s_waitcnt vmcnt(1)
	v_lshlrev_b32_e32 v39, 16, v47
	v_perm_b32 v27, v27, v26, s3
	v_perm_b32 v26, v31, v30, s3
	v_accvgpr_read_b32 v31, a5
	s_waitcnt vmcnt(0)
	v_lshlrev_b32_e32 v38, 16, v48
	v_accvgpr_read_b32 v30, a4
	v_pk_add_f32 v[30:31], v[38:39], v[30:31] neg_lo:[0,1] neg_hi:[0,1]
	v_accvgpr_read_b32 v29, a7
	v_accvgpr_read_b32 v28, a6
	v_pk_mul_f32 v[30:31], v[32:33], v[30:31]
	v_lshlrev_b32_e32 v33, 16, v43
	v_lshlrev_b32_e32 v32, 16, v45
	v_pk_add_f32 v[28:29], v[32:33], v[28:29] neg_lo:[0,1] neg_hi:[0,1]
	v_mov_b32_e32 v32, 0
	v_pk_mul_f32 v[28:29], v[40:41], v[28:29]
	v_mov_b32_e32 v33, 0
	v_perm_b32 v29, v29, v28, s3
	v_perm_b32 v28, v31, v30, s3
	ds_write2_b64 v74, v[26:27], v[28:29] offset1:16
	v_mov_b32_e32 v26, 0
	v_mov_b32_e32 v27, 0
	;; [unrolled: 1-line block ×14, first 2 shown]
	s_cbranch_vccnz .LBB406_14
; %bb.13:                               ;   in Loop: Header=BB406_6 Depth=1
	s_and_b32 s29, s29, 0xffff
	s_mov_b32 s31, s27
	buffer_load_dwordx4 v[38:41], v92, s[28:31], 0 offen
	buffer_load_dwordx4 v[30:33], v92, s[28:31], s60 offen
	;; [unrolled: 1-line block ×4, first 2 shown]
	v_mov_b32_e32 v115, v68
	v_mov_b32_e32 v116, v67
.LBB406_14:                             ;   in Loop: Header=BB406_6 Depth=1
	s_waitcnt lgkmcnt(0)
	s_barrier
	ds_read_b64 v[46:47], v96
	ds_read_b64 v[122:123], v91
	;; [unrolled: 1-line block ×5, first 2 shown]
	ds_read_b64 v[136:137], v88 offset:3072
	ds_read2_b64 v[42:45], v87 offset0:16 offset1:128
	s_waitcnt lgkmcnt(5)
	v_mfma_f32_16x16x16_bf16 a[0:3], v[46:47], v[122:123], 0
	s_add_i32 s25, s52, s63
	s_mul_hi_i32 s29, s25, s47
	s_mul_i32 s25, s25, s47
	s_waitcnt lgkmcnt(0)
	v_mfma_f32_16x16x16_bf16 a[4:7], v[46:47], v[42:43], 0
	ds_read_b64 v[46:47], v101
	ds_read2st64_b64 v[48:51], v88 offset0:2 offset1:4
	s_add_u32 s28, s25, s46
	s_addc_u32 s29, s29, s58
	s_lshl_b64 s[28:29], s[28:29], 15
	s_mul_i32 s31, s65, s47
	s_mul_hi_i32 s25, s65, s47
	s_add_u32 s44, s31, s46
	s_waitcnt lgkmcnt(1)
	v_mfma_f32_16x16x16_bf16 a[8:11], v[46:47], v[122:123], 0
	s_addc_u32 s45, s25, s58
	ds_read2st64_b64 v[118:121], v87 offset0:4 offset1:6
	s_lshl_b64 s[44:45], s[44:45], 9
	v_mfma_f32_16x16x16_bf16 a[0:3], v[124:125], v[44:45], a[0:3]
	s_add_u32 s44, s36, s44
	s_addc_u32 s45, s37, s45
	s_waitcnt lgkmcnt(1)
	v_mfma_f32_16x16x16_bf16 a[4:7], v[124:125], v[48:49], a[4:7]
	ds_read_b64 v[124:125], v102
	ds_read_b64 v[132:133], v103
	;; [unrolled: 1-line block ×3, first 2 shown]
	v_mfma_f32_16x16x16_bf16 a[12:15], v[46:47], v[42:43], 0
	s_waitcnt lgkmcnt(2)
	v_mfma_f32_16x16x16_bf16 a[8:11], v[124:125], v[44:45], a[8:11]
	global_load_dwordx4 v[42:45], v100, s[44:45]
	v_mfma_f32_16x16x16_bf16 a[12:15], v[124:125], v[48:49], a[12:15]
	global_load_dwordx4 v[46:49], v95, s[44:45]
	ds_read2st64_b64 v[122:125], v89 offset1:8
	s_waitcnt lgkmcnt(0)
	v_mov_b32_e32 v130, v122
	v_mfma_f32_16x16x16_bf16 a[0:3], v[126:127], v[118:119], a[0:3]
	v_mov_b32_e32 v131, v123
	v_mfma_f32_16x16x16_bf16 a[4:7], v[126:127], v[50:51], a[4:7]
	ds_read2st64_b64 v[126:129], v90 offset1:8
	v_mfma_f32_16x16x16_bf16 a[8:11], v[132:133], v[118:119], a[8:11]
	v_lshl_add_u64 v[118:119], v[58:59], 0, s[28:29]
	v_mfma_f32_16x16x16_bf16 a[16:19], v[132:133], v[50:51], a[12:15]
	v_add_co_u32_e32 v50, vcc, s21, v118
	s_waitcnt lgkmcnt(0)
	v_mov_b32_e32 v132, v126
	v_mfma_f32_16x16x16_bf16 a[0:3], v[134:135], v[120:121], a[0:3]
	v_mov_b32_e32 v133, v127
	v_mov_b32_e32 v126, v124
	;; [unrolled: 1-line block ×3, first 2 shown]
	v_mfma_f32_16x16x16_bf16 a[4:7], v[134:135], v[136:137], a[4:7]
	v_addc_co_u32_e32 v51, vcc, 0, v119, vcc
	global_store_dwordx4 v[50:51], v[126:129], off
	v_mfma_f32_16x16x16_bf16 a[12:15], v[138:139], v[120:121], a[8:11]
	s_and_b64 vcc, exec, s[0:1]
	global_store_dwordx4 v[118:119], v[130:133], off
	s_waitcnt vmcnt(3)
	v_mov_b32_e32 v52, v45
	v_mfma_f32_16x16x16_bf16 a[8:11], v[138:139], v[136:137], a[16:19]
	v_mov_b32_e32 v51, v44
	v_mov_b32_e32 v50, v43
	s_cbranch_vccnz .LBB406_16
; %bb.15:                               ;   in Loop: Header=BB406_6 Depth=1
	v_lshrrev_b32_e32 v43, 3, v115
	v_and_b32_e32 v43, 6, v43
	v_xor_b32_e32 v44, v43, v116
	v_lshlrev_b32_e32 v44, 2, v44
	v_and_b32_e32 v45, 8, v115
	v_xor_b32_e32 v115, 0x440, v44
	v_cmp_eq_u32_e32 vcc, 0, v45
	v_perm_b32 v45, v30, v26, s61
	s_nop 0
	v_cndmask_b32_e32 v44, v115, v44, vcc
	v_lshl_or_b32 v43, v43, 10, v44
	v_perm_b32 v44, v38, v34, s61
	s_barrier
	ds_write2st64_b32 v43, v44, v45 offset0:32 offset1:64
	v_xor_b32_e32 v44, 8, v43
	v_perm_b32 v34, v38, v34, s62
	v_perm_b32 v26, v30, v26, s62
	v_add_u32_e32 v30, 0x80, v44
	ds_write2st64_b32 v30, v34, v26 offset0:32 offset1:64
	v_xor_b32_e32 v26, 16, v43
	v_perm_b32 v30, v39, v35, s61
	v_perm_b32 v34, v31, v27, s61
	ds_write2st64_b32 v26, v30, v34 offset0:33 offset1:65
	v_xor_b32_e32 v26, 24, v43
	v_perm_b32 v30, v39, v35, s62
	v_perm_b32 v27, v31, v27, s62
	v_add_u32_e32 v26, 0x80, v26
	ds_write2st64_b32 v26, v30, v27 offset0:33 offset1:65
	v_xor_b32_e32 v26, 32, v43
	v_perm_b32 v27, v40, v36, s61
	v_perm_b32 v30, v32, v28, s61
	;; [unrolled: 9-line block ×3, first 2 shown]
	ds_write2st64_b32 v26, v27, v28 offset0:35 offset1:67
	v_xor_b32_e32 v26, 56, v43
	v_perm_b32 v27, v41, v37, s62
	v_perm_b32 v28, v33, v29, s62
	v_add_u32_e32 v26, 0x80, v26
	ds_write2st64_b32 v26, v27, v28 offset0:35 offset1:67
	ds_write_b64 v114, v[22:23] offset:24576
	v_xor_b32_e32 v22, 8, v114
	ds_write_b64 v22, v[24:25] offset:24576
	ds_write_b64 v114, v[18:19] offset:32768
	;; [unrolled: 1-line block ×4, first 2 shown]
	v_xor_b32_e32 v14, 8, v113
	ds_write_b64 v14, v[16:17] offset:24576
	ds_write_b64 v113, v[10:11] offset:32768
	;; [unrolled: 1-line block ×3, first 2 shown]
.LBB406_16:                             ;   in Loop: Header=BB406_6 Depth=1
	v_exp_f32_e32 v26, s24
	s_waitcnt vmcnt(2)
	v_exp_f32_e32 v28, v46
	v_exp_f32_e32 v29, v47
	;; [unrolled: 1-line block ×4, first 2 shown]
	v_accvgpr_read_b32 v21, a3
	v_accvgpr_read_b32 v19, a1
	;; [unrolled: 1-line block ×4, first 2 shown]
	v_pk_mul_f32 v[28:29], v[26:27], v[28:29] op_sel_hi:[0,1]
	v_accvgpr_read_b32 v20, a2
	v_accvgpr_read_b32 v11, a5
	;; [unrolled: 1-line block ×3, first 2 shown]
	v_pk_fma_f32 v[2:3], v[2:3], v[28:29], v[18:19]
	v_pk_mul_f32 v[18:19], v[26:27], v[30:31] op_sel_hi:[0,1]
	v_pk_fma_f32 v[4:5], v[4:5], v[18:19], v[20:21]
	v_fma_f32 v105, v105, v28, v10
	v_fma_f32 v106, v106, v29, v11
	v_exp_f32_e32 v10, v42
	v_exp_f32_e32 v11, v50
	;; [unrolled: 1-line block ×4, first 2 shown]
	v_accvgpr_read_b32 v12, a6
	v_accvgpr_read_b32 v25, a15
	;; [unrolled: 1-line block ×9, first 2 shown]
	v_fma_f32 v107, v107, v18, v12
	v_fmac_f32_e32 v13, v112, v19
	v_pk_mul_f32 v[10:11], v[26:27], v[10:11] op_sel_hi:[0,1]
	v_pk_mul_f32 v[18:19], v[26:27], v[20:21] op_sel_hi:[0,1]
	s_add_i32 s57, s57, 64
	v_pk_fma_f32 v[6:7], v[6:7], v[10:11], v[22:23]
	v_pk_fma_f32 v[8:9], v[8:9], v[18:19], v[24:25]
	v_fma_f32 v108, v108, v10, v14
	v_fma_f32 v109, v109, v11, v15
	;; [unrolled: 1-line block ×3, first 2 shown]
	s_cmp_eq_u32 s51, s64
	v_fmac_f32_e32 v17, v111, v19
	s_cbranch_scc1 .LBB406_18
; %bb.17:                               ;   in Loop: Header=BB406_6 Depth=1
	s_mov_b32 s63, s64
	v_mov_b32_e32 v112, v13
	v_mov_b32_e32 v111, v17
	s_branch .LBB406_6
.LBB406_18:
	v_mov_b32_e32 v16, v110
	v_mov_b32_e32 v15, v109
	;; [unrolled: 1-line block ×6, first 2 shown]
.LBB406_19:
	s_lshl_b32 s3, s51, 6
	s_sub_i32 s56, s56, s3
	s_cmp_gt_i32 s56, 0
	v_or_b32_e32 v34, s2, v63
	s_cbranch_scc1 .LBB406_21
; %bb.20:
	s_ashr_i32 s29, s46, 31
	v_or_b32_e32 v35, s2, v63
	s_cbranch_execz .LBB406_22
	s_branch .LBB406_86
.LBB406_21:
                                        ; implicit-def: $vgpr35
                                        ; implicit-def: $sgpr28_sgpr29
.LBB406_22:
	s_add_i32 s28, s3, s38
	s_ashr_i32 s3, s28, 31
	s_cmpk_lg_i32 s19, 0x80
	s_cselect_b64 s[42:43], -1, 0
	s_and_b64 vcc, exec, s[42:43]
	s_cbranch_vccz .LBB406_24
; %bb.23:
	s_mul_hi_i32 s0, s28, s18
	s_mul_i32 s1, s28, s18
	s_ashr_i32 s18, s55, 31
	s_add_u32 s44, s1, s55
	s_addc_u32 s45, s0, s18
	s_cbranch_execz .LBB406_25
	s_branch .LBB406_26
.LBB406_24:
                                        ; implicit-def: $sgpr44_sgpr45
.LBB406_25:
	s_mul_i32 s1, s55, s16
	s_mul_hi_i32 s0, s55, s16
	s_add_u32 s44, s1, s28
	s_addc_u32 s45, s0, s3
.LBB406_26:
	s_add_i32 s16, s51, s52
	s_ashr_i32 s29, s46, 31
	s_add_u32 s0, s54, s28
	v_lshlrev_b32_e32 v22, 5, v1
	v_lshlrev_b32_e32 v40, 2, v63
	s_addc_u32 s1, s53, s3
	s_mov_b32 s3, 0x7060302
	v_or_b32_e32 v25, v22, v40
	v_xor_b32_e32 v23, v1, v40
	v_perm_b32 v19, v5, v4, s3
	v_perm_b32 v18, v3, v2, s3
	;; [unrolled: 1-line block ×4, first 2 shown]
	v_lshlrev_b32_e32 v25, 1, v25
	v_xor_b32_e32 v24, v66, v40
	ds_write2st64_b64 v25, v[18:19], v[20:21] offset0:80 offset1:88
	v_lshlrev_b32_e32 v23, 1, v23
	v_lshlrev_b32_e32 v25, 8, v63
	s_lshl_b64 s[30:31], s[0:1], 8
	v_or_b32_e32 v26, v23, v25
	v_lshlrev_b32_e32 v24, 1, v24
	s_add_u32 s0, s6, s30
	ds_write_b64 v26, v[18:19]
	v_or_b32_e32 v18, v24, v25
	s_addc_u32 s1, s7, s31
	ds_write_b64 v18, v[20:21]
	v_perm_b32 v19, v13, v12, s3
	v_perm_b32 v18, v11, v10, s3
	;; [unrolled: 1-line block ×4, first 2 shown]
	v_or_b32_e32 v25, 16, v63
	s_mul_hi_i32 s3, s16, s17
	s_mul_i32 s16, s16, s17
	v_lshlrev_b32_e32 v37, 2, v25
	s_add_u32 s6, s16, s46
	v_or_b32_e32 v22, v22, v37
	s_addc_u32 s7, s3, s29
	v_lshlrev_b32_e32 v22, 1, v22
	s_ashr_i32 s3, s2, 31
	s_lshl_b64 s[6:7], s[6:7], 15
	ds_write2st64_b64 v22, v[18:19], v[20:21] offset0:80 offset1:88
	v_lshlrev_b32_e32 v22, 8, v25
	s_add_u32 s6, s40, s6
	v_or_b32_e32 v23, v23, v22
	s_addc_u32 s7, s41, s7
	s_lshl_b64 s[2:3], s[2:3], 8
	ds_write_b64 v23, v[18:19]
	v_or_b32_e32 v18, v24, v22
	s_add_u32 s2, s6, s2
	ds_write_b64 v18, v[20:21]
	v_lshrrev_b32_e32 v18, 4, v0
	s_addc_u32 s3, s7, s3
	v_lshlrev_b32_e32 v19, 1, v63
	v_lshlrev_b32_e32 v26, 4, v63
	v_mov_b32_e32 v27, 0
	v_or_b32_e32 v20, 1, v19
	v_xor_b32_e32 v19, v18, v19
	v_lshl_add_u64 v[28:29], s[2:3], 0, v[26:27]
	v_lshlrev_b32_e32 v26, 8, v18
	v_xor_b32_e32 v22, v20, v18
	v_lshl_or_b32 v18, v19, 3, v26
	s_waitcnt lgkmcnt(0)
	s_barrier
	ds_read2st64_b64 v[18:21], v18 offset1:8
	v_lshl_or_b32 v22, v22, 3, v26
	ds_read2st64_b64 v[22:25], v22 offset1:8
	v_lshl_add_u64 v[30:31], v[28:29], 0, v[26:27]
	s_movk_i32 s2, 0x1000
	s_waitcnt lgkmcnt(1)
	v_mov_b32_e32 v26, v18
	v_add_co_u32_e32 v18, vcc, s2, v30
	s_cmp_lg_u32 s56, 64
	v_mov_b32_e32 v27, v19
	v_addc_co_u32_e32 v19, vcc, 0, v31, vcc
	s_cselect_b64 s[6:7], -1, 0
	v_lshl_or_b32 v35, v53, 3, v65
	s_waitcnt lgkmcnt(0)
	v_mov_b32_e32 v28, v22
	v_mov_b32_e32 v29, v23
	;; [unrolled: 1-line block ×4, first 2 shown]
	s_mov_b32 s24, 0
	v_or_b32_e32 v38, 32, v35
	v_and_b32_e32 v36, 56, v64
	s_and_b64 vcc, exec, s[6:7]
	global_store_dwordx4 v[30:31], v[26:29], off
	global_store_dwordx4 v[18:19], v[22:25], off
	s_cbranch_vccz .LBB406_32
; %bb.27:
	s_mov_b32 s25, s24
	s_mov_b32 s26, s24
	;; [unrolled: 1-line block ×3, first 2 shown]
	v_mov_b64_e32 v[22:23], s[24:25]
	v_mov_b64_e32 v[24:25], s[26:27]
	;; [unrolled: 1-line block ×3, first 2 shown]
	v_cmp_gt_i32_e32 vcc, s56, v35
	v_mov_b64_e32 v[20:21], v[24:25]
	s_and_saveexec_b64 s[2:3], vcc
	s_cbranch_execz .LBB406_29
; %bb.28:
	v_lshlrev_b32_e32 v18, 8, v35
	v_mov_b32_e32 v19, 0
	v_lshl_add_u64 v[20:21], s[0:1], 0, v[18:19]
	v_lshlrev_b32_e32 v18, 1, v36
	v_lshl_add_u64 v[26:27], v[20:21], 0, v[18:19]
	global_load_dwordx4 v[22:25], v[26:27], off
	global_load_dwordx4 v[18:21], v[26:27], off offset:128
.LBB406_29:
	s_or_b64 exec, exec, s[2:3]
	s_mov_b32 s26, s24
	s_mov_b32 s27, s24
	;; [unrolled: 1-line block ×3, first 2 shown]
	v_mov_b64_e32 v[32:33], s[26:27]
	v_mov_b64_e32 v[30:31], s[24:25]
	;; [unrolled: 1-line block ×3, first 2 shown]
	v_cmp_gt_i32_e32 vcc, s56, v38
	v_lshlrev_b32_e32 v39, 7, v38
	v_mov_b64_e32 v[28:29], v[32:33]
	s_and_saveexec_b64 s[2:3], vcc
	s_cbranch_execz .LBB406_31
; %bb.30:
	v_lshlrev_b32_e32 v26, 1, v39
	v_mov_b32_e32 v27, 0
	v_lshl_add_u64 v[28:29], s[0:1], 0, v[26:27]
	v_lshlrev_b32_e32 v26, 1, v36
	v_lshl_add_u64 v[42:43], v[28:29], 0, v[26:27]
	global_load_dwordx4 v[30:33], v[42:43], off
	global_load_dwordx4 v[26:29], v[42:43], off offset:128
.LBB406_31:
	s_or_b64 exec, exec, s[2:3]
	v_lshrrev_b32_e32 v41, 3, v36
	v_lshlrev_b32_e32 v42, 3, v35
	v_or_b32_e32 v41, v42, v41
	v_lshlrev_b32_e32 v41, 4, v41
	v_and_b32_e32 v42, 0x78, v42
	v_xor_b32_e32 v41, v41, v42
	s_branch .LBB406_34
.LBB406_32:
                                        ; implicit-def: $vgpr41
                                        ; implicit-def: $vgpr39
                                        ; implicit-def: $vgpr22_vgpr23_vgpr24_vgpr25
                                        ; implicit-def: $vgpr18_vgpr19_vgpr20_vgpr21
                                        ; implicit-def: $vgpr30_vgpr31_vgpr32_vgpr33
                                        ; implicit-def: $vgpr26_vgpr27_vgpr28_vgpr29
	s_cbranch_execz .LBB406_34
; %bb.33:
	s_waitcnt vmcnt(0)
	v_lshlrev_b32_e32 v18, 1, v36
	v_lshl_or_b32 v39, v35, 8, v18
	s_and_b32 s1, s1, 0xffff
	s_mov_b32 s3, 0x20000
	s_movk_i32 s2, 0x4000
	v_lshl_or_b32 v41, v38, 8, v18
	s_movk_i32 s16, 0x80
	buffer_load_dwordx4 v[22:25], v39, s[0:3], 0 offen
	buffer_load_dwordx4 v[18:21], v39, s[0:3], s16 offen
	;; [unrolled: 1-line block ×4, first 2 shown]
	v_lshrrev_b32_e32 v39, 3, v36
	v_lshlrev_b32_e32 v41, 3, v35
	v_or_b32_e32 v39, v41, v39
	v_lshlrev_b32_e32 v39, 4, v39
	v_and_b32_e32 v41, 0x78, v41
	v_xor_b32_e32 v41, v39, v41
	v_lshlrev_b32_e32 v39, 7, v38
.LBB406_34:
	s_lshl_b64 s[0:1], s[44:45], 8
	s_add_u32 s4, s4, s0
	s_movk_i32 s0, 0x1000
	v_and_or_b32 v38, v39, s0, v41
	s_waitcnt vmcnt(1)
	ds_write_b64 v41, v[22:23] offset:24576
	v_xor_b32_e32 v22, 8, v41
	ds_write_b64 v22, v[24:25] offset:24576
	s_waitcnt vmcnt(0)
	ds_write_b64 v41, v[18:19] offset:32768
	ds_write_b64 v22, v[20:21] offset:32768
	;; [unrolled: 1-line block ×3, first 2 shown]
	v_xor_b32_e32 v18, 8, v38
	ds_write_b64 v18, v[32:33] offset:24576
	ds_write_b64 v38, v[26:27] offset:32768
	;; [unrolled: 1-line block ×3, first 2 shown]
	v_or_b32_e32 v18, v60, v63
	v_lshlrev_b32_e32 v18, 3, v18
	v_lshrrev_b32_e32 v19, 5, v61
	s_movk_i32 s18, 0xf8
	v_and_or_b32 v19, v18, s18, v19
	v_lshlrev_b32_e32 v23, 4, v19
	v_lshlrev_b32_e32 v41, 11, v53
	v_and_b32_e32 v24, 0x78, v18
	v_or_b32_e32 v26, 32, v23
	v_and_b32_e32 v22, 0x1000, v41
	v_lshrrev_b32_e32 v19, 1, v61
	v_xor_b32_e32 v26, v26, v24
	v_xor_b32_e32 v18, v23, v24
	v_and_b32_e32 v25, 8, v19
	v_or_b32_e32 v26, v26, v22
	v_or_b32_e32 v18, v18, v22
	v_xor_b32_e32 v45, v26, v25
	v_or_b32_e32 v26, 64, v23
	v_xor_b32_e32 v44, v18, v25
	v_xor_b32_e32 v26, v26, v24
	s_waitcnt lgkmcnt(0)
	s_barrier
	v_or_b32_e32 v28, v26, v22
	ds_read_b64 v[26:27], v44 offset:24576
	v_lshl_or_b32 v38, v62, 7, v40
	v_lshlrev_b32_e32 v42, 1, v38
	v_add_u32_e32 v18, 0xa000, v42
	ds_read2_b64 v[18:21], v18 offset1:16
	v_or_b32_e32 v23, 0x60, v23
	v_xor_b32_e32 v23, v23, v24
	s_waitcnt lgkmcnt(0)
	v_mfma_f32_16x16x16_bf16 a[0:3], v[26:27], v[18:19], 0
	v_or_b32_e32 v18, 64, v38
	v_or_b32_e32 v22, v23, v22
	v_lshlrev_b32_e32 v43, 1, v18
	v_xor_b32_e32 v46, v28, v25
	v_xor_b32_e32 v47, v22, v25
	ds_read_b64 v[28:29], v45 offset:24576
	ds_read_b64 v[30:31], v46 offset:24576
	;; [unrolled: 1-line block ×3, first 2 shown]
	v_mfma_f32_16x16x16_bf16 a[4:7], v[26:27], v[20:21], 0
	ds_read2st64_b64 v[18:21], v43 offset0:82 offset1:84
	ds_read2st64_b64 v[22:25], v42 offset0:82 offset1:84
	s_addc_u32 s5, s5, s1
	s_add_i32 s16, s39, -1
	s_add_i32 s0, s49, s48
	s_add_i32 s21, s0, s50
	s_mul_i32 s0, s46, s23
	s_mul_hi_u32 s1, s46, s22
	s_ashr_i32 s2, s16, 31
	s_mul_i32 s3, s16, s15
	s_mul_hi_u32 s18, s16, s14
	s_add_i32 s0, s1, s0
	s_mul_i32 s1, s29, s22
	s_add_i32 s3, s18, s3
	s_mul_i32 s2, s2, s14
	s_waitcnt lgkmcnt(1)
	v_mfma_f32_16x16x16_bf16 a[4:7], v[28:29], v[18:19], a[4:7]
	s_add_i32 s1, s0, s1
	s_add_i32 s3, s3, s2
	s_lshl_b64 s[20:21], s[20:21], 2
	s_waitcnt lgkmcnt(0)
	v_mfma_f32_16x16x16_bf16 a[0:3], v[28:29], v[22:23], a[0:3]
	s_mul_i32 s0, s46, s22
	s_add_u32 s10, s10, s20
	s_addc_u32 s11, s11, s21
	s_lshl_b64 s[0:1], s[0:1], 2
	s_mul_i32 s2, s16, s14
	s_add_u32 s10, s10, s0
	ds_read_b64 v[18:19], v42 offset:44032
	v_mfma_f32_16x16x16_bf16 a[4:7], v[30:31], v[20:21], a[4:7]
	ds_read_b64 v[20:21], v43 offset:44032
	s_addc_u32 s11, s11, s1
	s_lshl_b64 s[0:1], s[2:3], 2
	v_mfma_f32_16x16x16_bf16 a[0:3], v[30:31], v[24:25], a[0:3]
	s_add_u32 s0, s10, s0
	s_addc_u32 s1, s11, s1
	s_load_dword s18, s[0:1], 0x0
	s_waitcnt lgkmcnt(0)
	v_mfma_f32_16x16x16_bf16 a[0:3], v[32:33], v[18:19], a[0:3]
	s_and_b64 vcc, exec, s[42:43]
	v_mfma_f32_16x16x16_bf16 a[4:7], v[32:33], v[20:21], a[4:7]
	s_cbranch_vccz .LBB406_45
; %bb.35:
	v_lshlrev_b32_e32 v38, 1, v35
	s_and_b64 vcc, exec, s[6:7]
	s_cbranch_vccz .LBB406_46
; %bb.36:
	v_cmp_gt_i32_e32 vcc, s56, v38
	v_mov_b32_e32 v22, 0
	v_mov_b32_e32 v18, 0
	v_mov_b32_e32 v19, 0
	v_mov_b32_e32 v20, 0
	v_mov_b32_e32 v21, 0
	s_and_saveexec_b64 s[0:1], vcc
	s_cbranch_execz .LBB406_38
; %bb.37:
	v_mad_i64_i32 v[18:19], s[2:3], s19, v38, 0
	v_lshl_add_u64 v[18:19], v[18:19], 1, s[4:5]
	v_lshlrev_b32_e32 v20, 1, v36
	v_mov_b32_e32 v21, 0
	v_lshl_add_u64 v[18:19], v[18:19], 0, v[20:21]
	global_load_dwordx4 v[18:21], v[18:19], off
.LBB406_38:
	s_or_b64 exec, exec, s[0:1]
	v_or_b32_e32 v39, 1, v38
	v_cmp_gt_i32_e64 s[0:1], s56, v39
	v_mov_b32_e32 v23, 0
	v_mov_b32_e32 v24, 0
	;; [unrolled: 1-line block ×3, first 2 shown]
	s_and_saveexec_b64 s[2:3], s[0:1]
	s_cbranch_execz .LBB406_40
; %bb.39:
	v_mad_i64_i32 v[22:23], s[20:21], s19, v39, 0
	v_lshl_add_u64 v[22:23], v[22:23], 1, s[4:5]
	v_lshlrev_b32_e32 v24, 1, v36
	v_mov_b32_e32 v25, 0
	v_lshl_add_u64 v[22:23], v[22:23], 0, v[24:25]
	global_load_dwordx4 v[22:25], v[22:23], off
.LBB406_40:
	s_or_b64 exec, exec, s[2:3]
	v_mov_b32_e32 v33, 0
	v_mov_b32_e32 v26, 0
	v_mov_b32_e32 v27, 0
	v_mov_b32_e32 v28, 0
	v_mov_b32_e32 v29, 0
	s_and_saveexec_b64 s[2:3], vcc
	s_cbranch_execz .LBB406_42
; %bb.41:
	v_mad_i64_i32 v[26:27], s[20:21], s19, v38, 0
	v_lshl_add_u64 v[26:27], v[26:27], 1, s[4:5]
	v_lshlrev_b32_e32 v28, 1, v36
	v_mov_b32_e32 v29, 0
	v_lshl_add_u64 v[26:27], v[26:27], 0, v[28:29]
	global_load_dwordx4 v[26:29], v[26:27], off offset:128
.LBB406_42:
	s_or_b64 exec, exec, s[2:3]
	v_mov_b32_e32 v32, 0
	v_mov_b32_e32 v31, 0
	;; [unrolled: 1-line block ×3, first 2 shown]
	s_and_saveexec_b64 s[2:3], s[0:1]
	s_cbranch_execz .LBB406_44
; %bb.43:
	v_mad_i64_i32 v[30:31], s[0:1], s19, v39, 0
	v_lshl_add_u64 v[30:31], v[30:31], 1, s[4:5]
	v_lshlrev_b32_e32 v32, 1, v36
	v_mov_b32_e32 v33, 0
	v_lshl_add_u64 v[30:31], v[30:31], 0, v[32:33]
	global_load_dwordx4 v[30:33], v[30:31], off offset:128
.LBB406_44:
	s_or_b64 exec, exec, s[2:3]
	s_branch .LBB406_48
.LBB406_45:
                                        ; implicit-def: $vgpr21
                                        ; implicit-def: $vgpr25
                                        ; implicit-def: $vgpr29
                                        ; implicit-def: $vgpr33
	v_lshrrev_b32_e32 v48, 2, v61
	s_branch .LBB406_49
.LBB406_46:
                                        ; implicit-def: $vgpr21
                                        ; implicit-def: $vgpr25
                                        ; implicit-def: $vgpr29
                                        ; implicit-def: $vgpr33
	s_cbranch_execz .LBB406_48
; %bb.47:
	s_waitcnt vmcnt(0)
	v_mad_u64_u32 v[18:19], s[0:1], v38, s19, v[36:37]
	v_lshlrev_b32_e32 v38, 1, v18
	s_lshl_b32 s2, s19, 7
	s_and_b32 s1, s5, 0xffff
	s_mov_b32 s3, 0x20000
	s_mov_b32 s0, s4
	v_add_lshl_u32 v39, v18, s19, 1
	s_movk_i32 s19, 0x80
	buffer_load_dwordx4 v[18:21], v38, s[0:3], 0 offen
	buffer_load_dwordx4 v[26:29], v38, s[0:3], s19 offen
	;; [unrolled: 1-line block ×4, first 2 shown]
.LBB406_48:
	v_lshrrev_b32_e32 v48, 2, v61
	s_cbranch_execnz .LBB406_61
.LBB406_49:
	s_and_b64 vcc, exec, s[6:7]
	s_cbranch_vccz .LBB406_59
; %bb.50:
	s_waitcnt vmcnt(0)
	v_lshlrev_b32_e32 v23, 1, v35
	v_cmp_gt_i32_e32 vcc, s56, v23
	v_mov_b32_e32 v22, 0
	v_lshlrev_b32_e32 v30, 9, v35
	v_mov_b32_e32 v18, 0
	v_mov_b32_e32 v19, 0
	;; [unrolled: 1-line block ×4, first 2 shown]
	s_and_saveexec_b64 s[0:1], vcc
	s_cbranch_execz .LBB406_52
; %bb.51:
	v_mov_b32_e32 v31, 0
	v_lshl_add_u64 v[18:19], s[4:5], 0, v[30:31]
	v_lshlrev_b32_e32 v20, 1, v36
	v_mov_b32_e32 v21, v31
	v_lshl_add_u64 v[18:19], v[18:19], 0, v[20:21]
	global_load_dwordx4 v[18:21], v[18:19], off
.LBB406_52:
	s_or_b64 exec, exec, s[0:1]
	v_or_b32_e32 v23, 1, v23
	v_cmp_gt_i32_e64 s[0:1], s56, v23
	v_lshlrev_b32_e32 v38, 8, v23
	v_mov_b32_e32 v23, 0
	v_mov_b32_e32 v24, 0
	;; [unrolled: 1-line block ×3, first 2 shown]
	s_and_saveexec_b64 s[2:3], s[0:1]
	s_cbranch_execz .LBB406_54
; %bb.53:
	v_mov_b32_e32 v39, 0
	v_lshl_add_u64 v[22:23], s[4:5], 0, v[38:39]
	v_lshlrev_b32_e32 v24, 1, v36
	v_mov_b32_e32 v25, v39
	v_lshl_add_u64 v[22:23], v[22:23], 0, v[24:25]
	global_load_dwordx4 v[22:25], v[22:23], off
.LBB406_54:
	s_or_b64 exec, exec, s[2:3]
	v_mov_b32_e32 v33, 0
	v_mov_b32_e32 v26, 0
	v_mov_b32_e32 v27, 0
	v_mov_b32_e32 v28, 0
	v_mov_b32_e32 v29, 0
	s_and_saveexec_b64 s[2:3], vcc
	s_cbranch_execz .LBB406_56
; %bb.55:
	v_mov_b32_e32 v31, 0
	v_lshl_add_u64 v[26:27], s[4:5], 0, v[30:31]
	v_lshlrev_b32_e32 v30, 1, v36
	v_lshl_add_u64 v[26:27], v[26:27], 0, v[30:31]
	global_load_dwordx4 v[26:29], v[26:27], off offset:128
.LBB406_56:
	s_or_b64 exec, exec, s[2:3]
	v_mov_b32_e32 v32, 0
	v_mov_b32_e32 v31, 0
	;; [unrolled: 1-line block ×3, first 2 shown]
	s_and_saveexec_b64 s[2:3], s[0:1]
	s_cbranch_execz .LBB406_58
; %bb.57:
	v_mov_b32_e32 v39, 0
	v_lshl_add_u64 v[30:31], s[4:5], 0, v[38:39]
	v_lshlrev_b32_e32 v38, 1, v36
	v_lshl_add_u64 v[30:31], v[30:31], 0, v[38:39]
	global_load_dwordx4 v[30:33], v[30:31], off offset:128
.LBB406_58:
	s_or_b64 exec, exec, s[2:3]
	s_branch .LBB406_61
.LBB406_59:
                                        ; implicit-def: $vgpr21
                                        ; implicit-def: $vgpr25
                                        ; implicit-def: $vgpr29
                                        ; implicit-def: $vgpr33
	s_cbranch_execz .LBB406_61
; %bb.60:
	s_waitcnt vmcnt(0)
	v_lshlrev_b32_e32 v18, 1, v36
	v_lshl_or_b32 v36, v35, 9, v18
	s_and_b32 s5, s5, 0xffff
	s_mov_b32 s7, 0x20000
	s_movk_i32 s6, 0x4000
	s_movk_i32 s0, 0x80
	buffer_load_dwordx4 v[18:21], v36, s[4:7], 0 offen
	buffer_load_dwordx4 v[22:25], v36, s[4:7], 0 offen offset:256
	buffer_load_dwordx4 v[26:29], v36, s[4:7], s0 offen
	buffer_load_dwordx4 v[30:33], v36, s[4:7], s0 offen offset:256
.LBB406_61:
	ds_read_b64 v[38:39], v44 offset:32768
	v_add_u32_e32 v36, 0xb000, v42
	ds_read2_b64 v[54:57], v36 offset1:16
	ds_read_b64 v[50:51], v45 offset:32768
	ds_read_b64 v[58:59], v46 offset:32768
	;; [unrolled: 1-line block ×3, first 2 shown]
	ds_read2st64_b64 v[44:47], v42 offset0:90 offset1:92
	v_and_b32_e32 v36, 12, v48
	v_and_b32_e32 v48, 6, v0
	v_xor_b32_e32 v35, v35, v48
	v_lshlrev_b32_e32 v35, 2, v35
	s_mov_b32 s0, 0x1000504
	s_waitcnt lgkmcnt(4)
	v_mfma_f32_16x16x16_bf16 a[0:3], v[38:39], v[54:55], a[0:3]
	s_mov_b32 s1, 0x3020706
	v_mfma_f32_16x16x16_bf16 a[4:7], v[38:39], v[56:57], a[4:7]
	ds_read2st64_b64 v[54:57], v43 offset0:90 offset1:92
	s_waitcnt lgkmcnt(1)
	v_mfma_f32_16x16x16_bf16 a[0:3], v[50:51], v[44:45], a[0:3]
	ds_read_b64 v[38:39], v42 offset:48128
	ds_read_b64 v[44:45], v43 offset:48128
	s_waitcnt lgkmcnt(2)
	v_mfma_f32_16x16x16_bf16 a[4:7], v[50:51], v[54:55], a[4:7]
	v_mfma_f32_16x16x16_bf16 a[0:3], v[58:59], v[46:47], a[0:3]
	v_and_b32_e32 v46, 1, v0
	v_xor_b32_e32 v47, 0x440, v35
	v_cmp_eq_u32_e32 vcc, 0, v46
	v_mfma_f32_16x16x16_bf16 a[8:11], v[58:59], v[56:57], a[4:7]
	s_nop 0
	v_cndmask_b32_e32 v35, v47, v35, vcc
	v_lshl_or_b32 v35, v48, 10, v35
	s_waitcnt lgkmcnt(1)
	v_mfma_f32_16x16x16_bf16 a[4:7], v[62:63], v[38:39], a[0:3]
	s_waitcnt vmcnt(0)
	v_perm_b32 v38, v18, v22, s0
	v_perm_b32 v39, v26, v30, s0
	ds_write2st64_b32 v35, v38, v39 offset0:32 offset1:64
	v_xor_b32_e32 v38, 8, v35
	v_perm_b32 v18, v18, v22, s1
	v_perm_b32 v22, v26, v30, s1
	v_add_u32_e32 v26, 0x80, v38
	ds_write2st64_b32 v26, v18, v22 offset0:32 offset1:64
	v_xor_b32_e32 v18, 16, v35
	v_perm_b32 v22, v19, v23, s0
	v_perm_b32 v26, v27, v31, s0
	ds_write2st64_b32 v18, v22, v26 offset0:33 offset1:65
	v_xor_b32_e32 v18, 24, v35
	v_perm_b32 v19, v19, v23, s1
	v_perm_b32 v22, v27, v31, s1
	v_add_u32_e32 v18, 0x80, v18
	ds_write2st64_b32 v18, v19, v22 offset0:33 offset1:65
	v_xor_b32_e32 v18, 32, v35
	v_perm_b32 v19, v20, v24, s0
	v_perm_b32 v22, v28, v32, s0
	ds_write2st64_b32 v18, v19, v22 offset0:34 offset1:66
	v_xor_b32_e32 v18, 40, v35
	s_waitcnt lgkmcnt(5)
	v_mfma_f32_16x16x16_bf16 a[0:3], v[62:63], v[44:45], a[8:11]
	v_perm_b32 v19, v20, v24, s1
	v_perm_b32 v20, v28, v32, s1
	v_add_u32_e32 v18, 0x80, v18
	ds_write2st64_b32 v18, v19, v20 offset0:34 offset1:66
	v_xor_b32_e32 v18, 48, v35
	v_perm_b32 v19, v21, v25, s0
	v_perm_b32 v20, v29, v33, s0
	ds_write2st64_b32 v18, v19, v20 offset0:35 offset1:67
	v_xor_b32_e32 v18, 56, v35
	v_or_b32_e32 v32, v36, v60
	v_perm_b32 v19, v21, v25, s1
	v_perm_b32 v20, v29, v33, s1
	v_add_u32_e32 v18, 0x80, v18
	v_cmp_gt_i32_e32 vcc, s56, v32
	v_mov_b32_e32 v33, 0
	v_mov_b32_e32 v39, 0
	ds_write2st64_b32 v18, v19, v20 offset0:35 offset1:67
	s_and_saveexec_b64 s[0:1], vcc
	s_cbranch_execz .LBB406_63
; %bb.62:
	v_add_u32_e32 v18, s28, v32
	v_ashrrev_i32_e32 v19, 31, v18
	v_mul_lo_u32 v20, v19, s14
	v_mul_lo_u32 v21, v18, s15
	v_mad_u64_u32 v[18:19], s[2:3], v18, s14, 0
	v_add3_u32 v19, v19, v21, v20
	v_lshl_add_u64 v[18:19], v[18:19], 2, s[10:11]
	global_load_dword v18, v[18:19], off
	s_waitcnt vmcnt(0)
	v_sub_f32_e32 v18, s18, v18
	v_exp_f32_e32 v39, v18
.LBB406_63:
	s_or_b64 exec, exec, s[0:1]
	v_or_b32_e32 v24, 1, v32
	v_cmp_gt_i32_e64 s[0:1], s56, v24
	s_and_saveexec_b64 s[2:3], s[0:1]
	s_cbranch_execz .LBB406_65
; %bb.64:
	v_add_u32_e32 v18, s28, v24
	v_ashrrev_i32_e32 v19, 31, v18
	v_mul_lo_u32 v20, v19, s14
	v_mul_lo_u32 v21, v18, s15
	v_mad_u64_u32 v[18:19], s[4:5], v18, s14, 0
	v_add3_u32 v19, v19, v21, v20
	v_lshl_add_u64 v[18:19], v[18:19], 2, s[10:11]
	global_load_dword v18, v[18:19], off
	s_waitcnt vmcnt(0)
	v_sub_f32_e32 v18, s18, v18
	v_exp_f32_e32 v33, v18
.LBB406_65:
	s_or_b64 exec, exec, s[2:3]
	v_or_b32_e32 v25, 2, v32
	v_cmp_gt_i32_e64 s[2:3], s56, v25
	v_mov_b32_e32 v38, 0
	v_mov_b32_e32 v44, 0
	s_and_saveexec_b64 s[4:5], s[2:3]
	s_cbranch_execz .LBB406_67
; %bb.66:
	v_add_u32_e32 v18, s28, v25
	v_ashrrev_i32_e32 v19, 31, v18
	v_mul_lo_u32 v20, v19, s14
	v_mul_lo_u32 v21, v18, s15
	v_mad_u64_u32 v[18:19], s[6:7], v18, s14, 0
	v_add3_u32 v19, v19, v21, v20
	v_lshl_add_u64 v[18:19], v[18:19], 2, s[10:11]
	global_load_dword v18, v[18:19], off
	s_waitcnt vmcnt(0)
	v_sub_f32_e32 v18, s18, v18
	v_exp_f32_e32 v44, v18
.LBB406_67:
	s_or_b64 exec, exec, s[4:5]
	v_or_b32_e32 v45, 3, v32
	v_cmp_gt_i32_e64 s[4:5], s56, v45
	s_and_saveexec_b64 s[6:7], s[4:5]
	s_cbranch_execz .LBB406_69
; %bb.68:
	v_add_u32_e32 v18, s28, v45
	v_ashrrev_i32_e32 v19, 31, v18
	v_mul_lo_u32 v20, v19, s14
	v_mul_lo_u32 v21, v18, s15
	v_mad_u64_u32 v[18:19], s[14:15], v18, s14, 0
	v_add3_u32 v19, v19, v21, v20
	v_lshl_add_u64 v[18:19], v[18:19], 2, s[10:11]
	global_load_dword v18, v[18:19], off
	s_waitcnt vmcnt(0)
	v_sub_f32_e32 v18, s18, v18
	v_exp_f32_e32 v38, v18
.LBB406_69:
	s_or_b64 exec, exec, s[6:7]
	s_add_u32 s6, s8, s30
	v_accvgpr_read_b32 v21, a7
	s_addc_u32 s7, s9, s31
	v_ashrrev_i32_e32 v35, 31, v34
	v_accvgpr_read_b32 v20, a6
	v_accvgpr_read_b32 v19, a5
	;; [unrolled: 1-line block ×3, first 2 shown]
	v_lshl_add_u64 v[22:23], v[34:35], 1, s[6:7]
	v_mov_b32_e32 v29, 0
	v_lshlrev_b32_e32 v26, 8, v32
	v_mov_b32_e32 v27, 0
	s_and_saveexec_b64 s[6:7], vcc
	s_cbranch_execz .LBB406_71
; %bb.70:
	v_mov_b32_e32 v27, 0
	v_lshl_add_u64 v[30:31], v[22:23], 0, v[26:27]
	global_load_ushort v27, v[30:31], off
	s_waitcnt vmcnt(0)
	v_lshlrev_b32_e32 v27, 16, v27
	v_sub_f32_e32 v18, v27, v18
	v_mul_f32_e32 v18, v39, v18
	v_lshrrev_b32_e32 v27, 16, v18
.LBB406_71:
	s_or_b64 exec, exec, s[6:7]
	v_lshlrev_b32_e32 v28, 8, v24
	s_and_saveexec_b64 s[6:7], s[0:1]
	s_cbranch_execz .LBB406_73
; %bb.72:
	v_mov_b32_e32 v29, 0
	v_lshl_add_u64 v[30:31], v[22:23], 0, v[28:29]
	global_load_ushort v18, v[30:31], off
	s_waitcnt vmcnt(0)
	v_lshlrev_b32_e32 v18, 16, v18
	v_sub_f32_e32 v18, v18, v19
	v_mul_f32_e32 v18, v33, v18
	v_lshrrev_b32_e32 v29, 16, v18
.LBB406_73:
	s_or_b64 exec, exec, s[6:7]
	v_mov_b32_e32 v46, 0
	v_lshlrev_b32_e32 v30, 8, v25
	v_mov_b32_e32 v31, 0
	s_and_saveexec_b64 s[6:7], s[2:3]
	s_cbranch_execz .LBB406_75
; %bb.74:
	v_mov_b32_e32 v31, 0
	v_lshl_add_u64 v[18:19], v[22:23], 0, v[30:31]
	global_load_ushort v18, v[18:19], off
	s_waitcnt vmcnt(0)
	v_lshlrev_b32_e32 v18, 16, v18
	v_sub_f32_e32 v18, v18, v20
	v_mul_f32_e32 v18, v44, v18
	v_lshrrev_b32_e32 v31, 16, v18
.LBB406_75:
	s_or_b64 exec, exec, s[6:7]
	v_lshlrev_b32_e32 v24, 8, v45
	s_and_saveexec_b64 s[6:7], s[4:5]
	s_cbranch_execz .LBB406_77
; %bb.76:
	v_mov_b32_e32 v25, 0
	v_lshl_add_u64 v[18:19], v[22:23], 0, v[24:25]
	global_load_ushort v18, v[18:19], off
	s_waitcnt vmcnt(0)
	v_lshlrev_b32_e32 v18, 16, v18
	v_sub_f32_e32 v18, v18, v21
	v_mul_f32_e32 v18, v38, v18
	v_lshrrev_b32_e32 v46, 16, v18
.LBB406_77:
	s_or_b64 exec, exec, s[6:7]
	v_lshlrev_b32_e32 v35, 5, v32
	v_accvgpr_read_b32 v21, a3
	s_mov_b32 s6, 0x5040100
	v_or_b32_e32 v25, v35, v40
	v_accvgpr_read_b32 v20, a2
	v_accvgpr_read_b32 v19, a1
	;; [unrolled: 1-line block ×3, first 2 shown]
	v_perm_b32 v47, v46, v31, s6
	v_perm_b32 v46, v29, v27, s6
	v_lshlrev_b32_e32 v25, 1, v25
	v_mov_b32_e32 v29, 0
	v_mov_b32_e32 v27, 0
	ds_write_b64 v25, v[46:47] offset:45056
	s_and_saveexec_b64 s[6:7], vcc
	s_cbranch_execz .LBB406_79
; %bb.78:
	v_mov_b32_e32 v27, 0
	v_lshl_add_u64 v[26:27], v[22:23], 0, v[26:27]
	global_load_ushort v25, v[26:27], off offset:32
	s_waitcnt vmcnt(0)
	v_lshlrev_b32_e32 v25, 16, v25
	v_sub_f32_e32 v18, v25, v18
	v_mul_f32_e32 v18, v39, v18
	v_lshrrev_b32_e32 v27, 16, v18
.LBB406_79:
	s_or_b64 exec, exec, s[6:7]
	s_and_saveexec_b64 s[6:7], s[0:1]
	s_cbranch_execz .LBB406_81
; %bb.80:
	v_mov_b32_e32 v29, 0
	v_lshl_add_u64 v[28:29], v[22:23], 0, v[28:29]
	global_load_ushort v18, v[28:29], off offset:32
	s_waitcnt vmcnt(0)
	v_lshlrev_b32_e32 v18, 16, v18
	v_sub_f32_e32 v18, v18, v19
	v_mul_f32_e32 v18, v33, v18
	v_lshrrev_b32_e32 v29, 16, v18
.LBB406_81:
	s_or_b64 exec, exec, s[6:7]
	v_mov_b32_e32 v25, 0
	v_mov_b32_e32 v26, 0
	s_and_saveexec_b64 s[0:1], s[2:3]
	s_cbranch_execz .LBB406_83
; %bb.82:
	v_mov_b32_e32 v31, 0
	v_lshl_add_u64 v[18:19], v[22:23], 0, v[30:31]
	global_load_ushort v18, v[18:19], off offset:32
	s_waitcnt vmcnt(0)
	v_lshlrev_b32_e32 v18, 16, v18
	v_sub_f32_e32 v18, v18, v20
	v_mul_f32_e32 v18, v44, v18
	v_lshrrev_b32_e32 v26, 16, v18
.LBB406_83:
	s_or_b64 exec, exec, s[0:1]
	v_or_b32_e32 v19, 0xb000, v42
	v_or_b32_e32 v18, 0xb000, v43
	s_and_saveexec_b64 s[0:1], s[4:5]
	s_cbranch_execz .LBB406_85
; %bb.84:
	v_mov_b32_e32 v25, 0
	v_lshl_add_u64 v[22:23], v[22:23], 0, v[24:25]
	global_load_ushort v20, v[22:23], off offset:32
	s_waitcnt vmcnt(0)
	v_lshlrev_b32_e32 v20, 16, v20
	v_sub_f32_e32 v20, v20, v21
	v_mul_f32_e32 v20, v38, v20
	v_lshrrev_b32_e32 v25, 16, v20
.LBB406_85:
	s_or_b64 exec, exec, s[0:1]
	s_mov_b32 s0, 0x5040100
	v_or_b32_e32 v22, v35, v37
	v_perm_b32 v21, v25, v26, s0
	v_perm_b32 v20, v29, v27, s0
	v_lshlrev_b32_e32 v22, 1, v22
	s_movk_i32 s2, 0x100
	ds_write_b64 v22, v[20:21] offset:45056
	v_and_b32_e32 v20, 7, v0
	v_and_b32_e32 v21, 8, v0
	v_cmp_gt_u32_e32 vcc, s2, v0
	v_lshrrev_b32_e32 v0, 1, v0
	v_lshlrev_b32_e32 v26, 3, v20
	v_lshlrev_b32_e32 v35, 7, v20
	v_mov_b32_e32 v20, 0x4000
	v_mov_b32_e32 v22, 0x2000
	v_lshlrev_b32_e32 v24, 3, v53
	v_and_b32_e32 v0, 24, v0
	v_cndmask_b32_e32 v27, v20, v22, vcc
	v_xor_b32_e32 v20, v24, v0
	v_or_b32_e32 v22, 0x440, v20
	v_cmp_eq_u32_e32 vcc, 0, v21
	v_or_b32_e32 v28, 32, v0
	v_xor_b32_e32 v28, v24, v28
	v_cndmask_b32_e32 v20, v22, v20, vcc
	v_or_b32_e32 v20, v20, v41
	v_xor_b32_e32 v37, v20, v26
	v_or_b32_e32 v29, 0x440, v28
	v_add3_u32 v25, v27, v37, v35
	v_cndmask_b32_e32 v28, v29, v28, vcc
	v_or_b32_e32 v29, 64, v0
	v_or_b32_e32 v0, 0x60, v0
	s_waitcnt lgkmcnt(0)
	s_barrier
	v_xor_b32_e32 v29, v24, v29
	v_xor_b32_e32 v0, v24, v0
	ds_read_b64 v[24:25], v25
	v_xor_b32_e32 v30, 0x440, v29
	ds_read2_b64 v[20:23], v19 offset1:16
	v_cndmask_b32_e32 v29, v30, v29, vcc
	v_xor_b32_e32 v30, 0x440, v0
	v_or_b32_e32 v28, v28, v41
	v_or_b32_e32 v29, v29, v41
	v_cndmask_b32_e32 v0, v30, v0, vcc
	v_xor_b32_e32 v50, v28, v26
	v_xor_b32_e32 v51, v29, v26
	v_or_b32_e32 v0, v0, v41
	v_add3_u32 v28, v27, v50, v35
	v_add3_u32 v29, v27, v51, v35
	v_xor_b32_e32 v52, v0, v26
	s_mul_i32 s0, s16, s17
	v_add3_u32 v0, v27, v52, v35
	ds_read_b64 v[26:27], v28
	ds_read_b64 v[42:43], v29
	;; [unrolled: 1-line block ×3, first 2 shown]
	ds_read2st64_b64 v[28:31], v19 offset0:2 offset1:4
	s_mul_hi_i32 s1, s16, s17
	ds_read2st64_b64 v[38:41], v18 offset0:2 offset1:4
	s_add_u32 s0, s0, s46
	s_waitcnt lgkmcnt(5)
	v_mfma_f32_16x16x16_bf16 a[0:3], v[24:25], v[20:21], 0
	s_addc_u32 s1, s1, s29
	s_lshl_b64 s[0:1], s[0:1], 9
	s_add_u32 s0, s36, s0
	v_mfma_f32_16x16x16_bf16 a[4:7], v[24:25], v[22:23], 0
	s_addc_u32 s1, s37, s1
	v_lshlrev_b32_e32 v0, 2, v32
	s_waitcnt lgkmcnt(1)
	v_mfma_f32_16x16x16_bf16 a[0:3], v[26:27], v[28:29], a[0:3]
	s_waitcnt lgkmcnt(0)
	v_mfma_f32_16x16x16_bf16 a[4:7], v[26:27], v[38:39], a[4:7]
	global_load_dwordx4 v[24:27], v0, s[0:1]
	ds_read_b64 v[32:33], v19 offset:3072
	ds_read_b64 v[48:49], v18 offset:3072
	v_lshlrev_b32_e32 v0, 6, v53
	v_lshlrev_b32_e32 v18, 2, v36
	v_or3_b32 v0, v0, v18, s2
	v_mfma_f32_16x16x16_bf16 a[0:3], v[42:43], v[30:31], a[0:3]
	v_add_u32_e32 v36, v37, v35
	s_waitcnt vmcnt(0)
	v_exp_f32_e32 v18, v24
	v_mfma_f32_16x16x16_bf16 a[4:7], v[42:43], v[40:41], a[4:7]
	global_load_dwordx4 v[42:45], v0, s[0:1]
	v_exp_f32_e32 v19, v25
	ds_read_b64 v[24:25], v36 offset:16384
	s_waitcnt lgkmcnt(2)
	v_mfma_f32_16x16x16_bf16 a[0:3], v[46:47], v[32:33], a[0:3]
	v_exp_f32_e32 v0, s18
	v_add_u32_e32 v36, v50, v35
	v_add_u32_e32 v50, v51, v35
	s_waitcnt lgkmcnt(1)
	v_mfma_f32_16x16x16_bf16 a[4:7], v[46:47], v[48:49], a[4:7]
	v_pk_mul_f32 v[54:55], v[0:1], v[18:19] op_sel_hi:[0,1]
	v_add_u32_e32 v35, v52, v35
	ds_read_b64 v[46:47], v36 offset:16384
	ds_read_b64 v[50:51], v50 offset:16384
	;; [unrolled: 1-line block ×3, first 2 shown]
	v_accvgpr_read_b32 v19, a1
	v_accvgpr_read_b32 v37, a3
	;; [unrolled: 1-line block ×4, first 2 shown]
	s_waitcnt lgkmcnt(3)
	v_mfma_f32_16x16x16_bf16 a[0:3], v[24:25], v[22:23], 0
	v_exp_f32_e32 v26, v26
	v_exp_f32_e32 v27, v27
	v_pk_fma_f32 v[18:19], v[2:3], v[54:55], v[18:19]
	v_mfma_f32_16x16x16_bf16 a[8:11], v[24:25], v[20:21], 0
	v_mov_b32_e32 v35, v34
	v_pk_mul_f32 v[2:3], v[0:1], v[26:27] op_sel_hi:[0,1]
	v_pk_fma_f32 v[20:21], v[4:5], v[2:3], v[36:37]
	s_waitcnt lgkmcnt(2)
	v_mfma_f32_16x16x16_bf16 a[0:3], v[46:47], v[38:39], a[0:3]
	v_accvgpr_read_b32 v4, a4
	v_fma_f32 v26, v10, v54, v4
	v_accvgpr_read_b32 v4, a5
	v_mfma_f32_16x16x16_bf16 a[8:11], v[46:47], v[28:29], a[8:11]
	v_fma_f32 v27, v11, v55, v4
	v_accvgpr_read_b32 v4, a6
	v_accvgpr_read_b32 v29, a7
	s_waitcnt lgkmcnt(1)
	v_mfma_f32_16x16x16_bf16 a[0:3], v[50:51], v[40:41], a[0:3]
	v_fma_f32 v28, v12, v2, v4
	v_fmac_f32_e32 v29, v13, v3
	s_waitcnt vmcnt(0)
	v_mov_b32_e32 v2, v43
	v_mfma_f32_16x16x16_bf16 a[8:11], v[50:51], v[30:31], a[8:11]
	v_mov_b32_e32 v3, v44
	v_mov_b32_e32 v4, v45
	v_exp_f32_e32 v10, v42
	v_exp_f32_e32 v11, v2
	;; [unrolled: 1-line block ×4, first 2 shown]
	s_waitcnt lgkmcnt(0)
	v_mfma_f32_16x16x16_bf16 a[0:3], v[52:53], v[48:49], a[0:3]
	v_pk_mul_f32 v[10:11], v[0:1], v[10:11] op_sel_hi:[0,1]
	v_pk_mul_f32 v[2:3], v[0:1], v[2:3] op_sel_hi:[0,1]
	v_mfma_f32_16x16x16_bf16 a[4:7], v[52:53], v[32:33], a[8:11]
	s_nop 3
	v_accvgpr_read_b32 v0, a0
	v_fma_f32 v30, v14, v10, v0
	v_accvgpr_read_b32 v0, a1
	v_fma_f32 v31, v15, v11, v0
	v_accvgpr_read_b32 v13, a5
	v_accvgpr_read_b32 v5, a7
	;; [unrolled: 1-line block ×6, first 2 shown]
	v_pk_fma_f32 v[22:23], v[6:7], v[10:11], v[12:13]
	v_pk_fma_f32 v[24:25], v[8:9], v[2:3], v[4:5]
	v_fma_f32 v32, v16, v2, v0
	v_fmac_f32_e32 v33, v17, v3
	v_mov_b64_e32 v[2:3], v[18:19]
	v_mov_b64_e32 v[4:5], v[20:21]
	;; [unrolled: 1-line block ×8, first 2 shown]
.LBB406_86:
	s_mul_i32 s0, s47, s35
	s_mul_hi_u32 s1, s47, s34
	s_add_i32 s0, s1, s0
	s_mul_i32 s1, s33, s34
	s_add_i32 s1, s0, s1
	s_mul_i32 s0, s47, s34
	s_add_u32 s0, s0, s46
	s_addc_u32 s1, s1, s29
	s_lshl_b64 s[0:1], s[0:1], 16
	s_add_u32 s0, s12, s0
	v_lshlrev_b32_e32 v18, 7, v35
	s_addc_u32 s1, s13, s1
	v_ashrrev_i32_e32 v19, 31, v18
	v_lshl_add_u64 v[20:21], v[18:19], 2, s[0:1]
	v_lshlrev_b32_e32 v0, 2, v1
	v_mov_b32_e32 v1, 0
	v_lshl_add_u64 v[20:21], v[20:21], 0, v[0:1]
	global_store_dwordx4 v[20:21], v[2:5], off
	global_store_dwordx4 v[20:21], v[6:9], off offset:256
	s_nop 0
	v_or_b32_e32 v2, 0x800, v18
	v_ashrrev_i32_e32 v3, 31, v2
	v_lshl_add_u64 v[2:3], v[2:3], 2, s[0:1]
	v_lshl_add_u64 v[0:1], v[2:3], 0, v[0:1]
	global_store_dwordx4 v[0:1], v[10:13], off
	global_store_dwordx4 v[0:1], v[14:17], off offset:256
	s_endpgm
	.section	.rodata,"a",@progbits
	.p2align	6, 0x0
	.amdhsa_kernel _ZN12_GLOBAL__N_139chunk_gated_delta_rule_fwd_h_hip_kernelILi32ELb0ELb1ELb0ELb1ELb1ELb1ELb0ELb0EEEvPK12hip_bfloat16S3_S3_PKfS5_PKvPS1_S8_PvPKiSB_iiiiilll
		.amdhsa_group_segment_fixed_size 49152
		.amdhsa_private_segment_fixed_size 0
		.amdhsa_kernarg_size 136
		.amdhsa_user_sgpr_count 2
		.amdhsa_user_sgpr_dispatch_ptr 0
		.amdhsa_user_sgpr_queue_ptr 0
		.amdhsa_user_sgpr_kernarg_segment_ptr 1
		.amdhsa_user_sgpr_dispatch_id 0
		.amdhsa_user_sgpr_kernarg_preload_length 0
		.amdhsa_user_sgpr_kernarg_preload_offset 0
		.amdhsa_user_sgpr_private_segment_size 0
		.amdhsa_uses_dynamic_stack 0
		.amdhsa_enable_private_segment 0
		.amdhsa_system_sgpr_workgroup_id_x 1
		.amdhsa_system_sgpr_workgroup_id_y 1
		.amdhsa_system_sgpr_workgroup_id_z 0
		.amdhsa_system_sgpr_workgroup_info 0
		.amdhsa_system_vgpr_workitem_id 0
		.amdhsa_next_free_vgpr 160
		.amdhsa_next_free_sgpr 66
		.amdhsa_accum_offset 140
		.amdhsa_reserve_vcc 1
		.amdhsa_float_round_mode_32 0
		.amdhsa_float_round_mode_16_64 0
		.amdhsa_float_denorm_mode_32 3
		.amdhsa_float_denorm_mode_16_64 3
		.amdhsa_dx10_clamp 1
		.amdhsa_ieee_mode 1
		.amdhsa_fp16_overflow 0
		.amdhsa_tg_split 0
		.amdhsa_exception_fp_ieee_invalid_op 0
		.amdhsa_exception_fp_denorm_src 0
		.amdhsa_exception_fp_ieee_div_zero 0
		.amdhsa_exception_fp_ieee_overflow 0
		.amdhsa_exception_fp_ieee_underflow 0
		.amdhsa_exception_fp_ieee_inexact 0
		.amdhsa_exception_int_div_zero 0
	.end_amdhsa_kernel
	.section	.text._ZN12_GLOBAL__N_139chunk_gated_delta_rule_fwd_h_hip_kernelILi32ELb0ELb1ELb0ELb1ELb1ELb1ELb0ELb0EEEvPK12hip_bfloat16S3_S3_PKfS5_PKvPS1_S8_PvPKiSB_iiiiilll,"axG",@progbits,_ZN12_GLOBAL__N_139chunk_gated_delta_rule_fwd_h_hip_kernelILi32ELb0ELb1ELb0ELb1ELb1ELb1ELb0ELb0EEEvPK12hip_bfloat16S3_S3_PKfS5_PKvPS1_S8_PvPKiSB_iiiiilll,comdat
.Lfunc_end406:
	.size	_ZN12_GLOBAL__N_139chunk_gated_delta_rule_fwd_h_hip_kernelILi32ELb0ELb1ELb0ELb1ELb1ELb1ELb0ELb0EEEvPK12hip_bfloat16S3_S3_PKfS5_PKvPS1_S8_PvPKiSB_iiiiilll, .Lfunc_end406-_ZN12_GLOBAL__N_139chunk_gated_delta_rule_fwd_h_hip_kernelILi32ELb0ELb1ELb0ELb1ELb1ELb1ELb0ELb0EEEvPK12hip_bfloat16S3_S3_PKfS5_PKvPS1_S8_PvPKiSB_iiiiilll
                                        ; -- End function
	.section	.AMDGPU.csdata,"",@progbits
; Kernel info:
; codeLenInByte = 9564
; NumSgprs: 72
; NumVgprs: 140
; NumAgprs: 20
; TotalNumVgprs: 160
; ScratchSize: 0
; MemoryBound: 0
; FloatMode: 240
; IeeeMode: 1
; LDSByteSize: 49152 bytes/workgroup (compile time only)
; SGPRBlocks: 8
; VGPRBlocks: 19
; NumSGPRsForWavesPerEU: 72
; NumVGPRsForWavesPerEU: 160
; AccumOffset: 140
; Occupancy: 1
; WaveLimiterHint : 1
; COMPUTE_PGM_RSRC2:SCRATCH_EN: 0
; COMPUTE_PGM_RSRC2:USER_SGPR: 2
; COMPUTE_PGM_RSRC2:TRAP_HANDLER: 0
; COMPUTE_PGM_RSRC2:TGID_X_EN: 1
; COMPUTE_PGM_RSRC2:TGID_Y_EN: 1
; COMPUTE_PGM_RSRC2:TGID_Z_EN: 0
; COMPUTE_PGM_RSRC2:TIDIG_COMP_CNT: 0
; COMPUTE_PGM_RSRC3_GFX90A:ACCUM_OFFSET: 34
; COMPUTE_PGM_RSRC3_GFX90A:TG_SPLIT: 0
	.section	.text._ZN12_GLOBAL__N_139chunk_gated_delta_rule_fwd_h_hip_kernelILi32ELb0ELb0ELb1ELb1ELb1ELb1ELb0ELb0EEEvPK12hip_bfloat16S3_S3_PKfS5_PKvPS1_S8_PvPKiSB_iiiiilll,"axG",@progbits,_ZN12_GLOBAL__N_139chunk_gated_delta_rule_fwd_h_hip_kernelILi32ELb0ELb0ELb1ELb1ELb1ELb1ELb0ELb0EEEvPK12hip_bfloat16S3_S3_PKfS5_PKvPS1_S8_PvPKiSB_iiiiilll,comdat
	.globl	_ZN12_GLOBAL__N_139chunk_gated_delta_rule_fwd_h_hip_kernelILi32ELb0ELb0ELb1ELb1ELb1ELb1ELb0ELb0EEEvPK12hip_bfloat16S3_S3_PKfS5_PKvPS1_S8_PvPKiSB_iiiiilll ; -- Begin function _ZN12_GLOBAL__N_139chunk_gated_delta_rule_fwd_h_hip_kernelILi32ELb0ELb0ELb1ELb1ELb1ELb1ELb0ELb0EEEvPK12hip_bfloat16S3_S3_PKfS5_PKvPS1_S8_PvPKiSB_iiiiilll
	.p2align	8
	.type	_ZN12_GLOBAL__N_139chunk_gated_delta_rule_fwd_h_hip_kernelILi32ELb0ELb0ELb1ELb1ELb1ELb1ELb0ELb0EEEvPK12hip_bfloat16S3_S3_PKfS5_PKvPS1_S8_PvPKiSB_iiiiilll,@function
_ZN12_GLOBAL__N_139chunk_gated_delta_rule_fwd_h_hip_kernelILi32ELb0ELb0ELb1ELb1ELb1ELb1ELb0ELb0EEEvPK12hip_bfloat16S3_S3_PKfS5_PKvPS1_S8_PvPKiSB_iiiiilll: ; @_ZN12_GLOBAL__N_139chunk_gated_delta_rule_fwd_h_hip_kernelILi32ELb0ELb0ELb1ELb1ELb1ELb1ELb0ELb0EEEvPK12hip_bfloat16S3_S3_PKfS5_PKvPS1_S8_PvPKiSB_iiiiilll
; %bb.0:
	s_load_dwordx4 s[16:19], s[0:1], 0x5c
	s_load_dwordx4 s[20:23], s[0:1], 0x70
	s_abs_i32 s25, s3
	s_ashr_i32 s24, s3, 31
	s_load_dwordx4 s[12:15], s[0:1], 0x30
	s_load_dwordx4 s[28:31], s[0:1], 0x48
	s_waitcnt lgkmcnt(0)
	s_abs_i32 s34, s17
	v_cvt_f32_u32_e32 v1, s34
	s_sub_i32 s26, 0, s34
	s_ashr_i32 s35, s17, 31
	s_xor_b32 s24, s24, s35
	v_rcp_iflag_f32_e32 v1, v1
	s_load_dwordx8 s[4:11], s[0:1], 0x0
	v_lshrrev_b32_e32 v63, 6, v0
	v_bfe_u32 v64, v0, 4, 2
	v_mul_f32_e32 v1, 0x4f7ffffe, v1
	v_cvt_u32_f32_e32 v1, v1
	v_lshlrev_b32_e32 v2, 2, v64
	v_and_b32_e32 v62, 63, v0
	v_mov_b32_e32 v5, 0
	v_readfirstlane_b32 s27, v1
	s_mul_i32 s26, s26, s27
	s_mul_hi_u32 s26, s27, s26
	s_add_i32 s27, s27, s26
	s_mul_hi_u32 s26, s25, s27
	s_mul_i32 s27, s26, s34
	s_sub_i32 s25, s25, s27
	s_add_i32 s33, s26, 1
	s_sub_i32 s27, s25, s34
	s_cmp_ge_u32 s25, s34
	s_cselect_b32 s26, s33, s26
	s_cselect_b32 s25, s27, s25
	s_add_i32 s27, s26, 1
	s_cmp_ge_u32 s25, s34
	s_cselect_b32 s25, s27, s26
	s_xor_b32 s25, s25, s24
	s_sub_i32 s24, s25, s24
	s_mul_i32 s25, s24, s17
	s_sub_i32 s33, s3, s25
	s_ashr_i32 s25, s24, 31
	s_lshl_b64 s[26:27], s[24:25], 2
	s_add_u32 s28, s28, s26
	s_addc_u32 s29, s29, s27
	s_add_u32 s26, s30, s26
	s_addc_u32 s27, s31, s27
	s_abs_i32 s3, s18
	v_cvt_f32_u32_e32 v1, s3
	s_load_dwordx2 s[38:39], s[28:29], 0x0
	s_sub_i32 s29, 0, s3
	s_load_dword s48, s[26:27], 0x0
	v_rcp_iflag_f32_e32 v1, v1
	v_and_b32_e32 v45, 15, v0
	s_waitcnt lgkmcnt(0)
	s_sub_i32 s49, s39, s38
	s_ashr_i32 s28, s49, 31
	v_mul_f32_e32 v1, 0x4f7ffffe, v1
	v_cvt_u32_f32_e32 v1, v1
	s_lshr_b32 s28, s28, 26
	s_add_i32 s28, s49, s28
	s_ashr_i32 s47, s28, 6
	v_readfirstlane_b32 s30, v1
	s_mul_i32 s29, s29, s30
	s_mul_hi_u32 s29, s30, s29
	s_add_i32 s30, s30, s29
	s_mul_hi_u32 s29, s34, s30
	s_mul_i32 s30, s29, s3
	s_ashr_i32 s28, s18, 31
	s_sub_i32 s30, s34, s30
	s_xor_b32 s28, s35, s28
	s_add_i32 s31, s29, 1
	s_sub_i32 s34, s30, s3
	s_cmp_ge_u32 s30, s3
	s_cselect_b32 s29, s31, s29
	s_cselect_b32 s30, s34, s30
	s_add_i32 s31, s29, 1
	s_cmp_ge_u32 s30, s3
	s_cselect_b32 s3, s31, s29
	s_xor_b32 s3, s3, s28
	s_sub_i32 s3, s3, s28
	s_abs_i32 s28, s3
	v_cvt_f32_u32_e32 v1, s28
	s_sub_i32 s27, 0, s28
	s_abs_i32 s26, s33
	s_xor_b32 s3, s33, s3
	v_rcp_iflag_f32_e32 v1, v1
	s_ashr_i32 s3, s3, 31
	s_load_dwordx2 s[34:35], s[0:1], 0x80
	s_mul_hi_i32 s50, s33, s16
	v_mul_f32_e32 v1, 0x4f7ffffe, v1
	v_cvt_u32_f32_e32 v1, v1
	s_mul_i32 s51, s33, s16
	v_lshrrev_b32_e32 v66, 3, v62
	v_lshlrev_b32_e32 v65, 3, v0
	v_readfirstlane_b32 s29, v1
	s_mul_i32 s27, s27, s29
	s_mul_hi_u32 s27, s29, s27
	s_add_i32 s29, s29, s27
	s_mul_hi_u32 s27, s26, s29
	s_mul_i32 s29, s27, s28
	s_sub_i32 s26, s26, s29
	s_add_i32 s29, s27, 1
	s_sub_i32 s30, s26, s28
	s_cmp_ge_u32 s26, s28
	s_cselect_b32 s27, s29, s27
	s_cselect_b32 s26, s30, s26
	s_add_i32 s29, s27, 1
	s_cmp_ge_u32 s26, s28
	s_cselect_b32 s26, s29, s27
	s_xor_b32 s26, s26, s3
	v_lshlrev_b32_e32 v1, 4, v63
	s_sub_i32 s52, s26, s3
	v_or_b32_e32 v67, v2, v1
	s_lshl_b32 s36, s2, 5
	v_or_b32_e32 v68, 64, v67
	s_cmp_lt_i32 s49, 64
	s_mul_i32 s44, s24, s21
	s_mul_hi_u32 s45, s24, s20
	s_mul_i32 s46, s25, s20
	s_mul_i32 s20, s24, s20
	v_mov_b32_e32 v86, 0
	v_mov_b32_e32 v84, 0
	;; [unrolled: 1-line block ×15, first 2 shown]
	s_cbranch_scc1 .LBB407_18
; %bb.1:
	s_ashr_i32 s55, s33, 31
	s_ashr_i32 s3, s38, 31
	s_add_u32 s2, s51, s38
	s_addc_u32 s3, s50, s3
	s_lshl_b64 s[2:3], s[2:3], 8
	v_and_b32_e32 v70, 56, v65
	s_add_u32 s24, s6, s2
	v_lshl_or_b32 v69, v63, 3, v66
	v_lshlrev_b32_e32 v3, 1, v70
	s_addc_u32 s2, s7, s3
	v_lshl_or_b32 v71, v69, 8, v3
	s_and_b32 s25, s2, 0xffff
	s_mov_b32 s27, 0x20000
	s_movk_i32 s26, 0x4000
	s_movk_i32 s2, 0x80
	v_or_b32_e32 v72, 0x2000, v71
	buffer_load_dwordx4 v[4:7], v71, s[24:27], 0 offen
	buffer_load_dwordx4 v[8:11], v71, s[24:27], s2 offen
	;; [unrolled: 1-line block ×4, first 2 shown]
	v_lshlrev_b32_e32 v20, 3, v69
	v_and_or_b32 v22, v0, 7, v20
	v_and_b32_e32 v20, 0x78, v20
	v_lshlrev_b32_e32 v22, 4, v22
	v_xor_b32_e32 v73, v22, v20
	v_mul_lo_u32 v21, v69, s19
	v_or_b32_e32 v74, 0x1000, v73
	s_cmpk_eq_i32 s19, 0x80
	s_mov_b32 s53, s17
	s_mov_b32 s54, s38
	v_xor_b32_e32 v20, 8, v73
	v_xor_b32_e32 v22, 8, v74
	s_cselect_b64 s[2:3], -1, 0
	s_cmpk_lg_i32 s19, 0x80
	s_waitcnt vmcnt(3)
	ds_write_b64 v73, v[4:5] offset:24576
	ds_write_b64 v20, v[6:7] offset:24576
	s_waitcnt vmcnt(2)
	ds_write_b64 v73, v[8:9] offset:32768
	ds_write_b64 v20, v[10:11] offset:32768
	;; [unrolled: 3-line block ×4, first 2 shown]
	v_lshl_add_u32 v4, v21, 1, v70
	s_cbranch_scc0 .LBB407_3
; %bb.2:
	v_lshlrev_b32_e32 v6, 1, v4
	v_add_lshl_u32 v5, v4, s19, 1
	s_lshl_b32 s26, s19, 7
	s_load_dwordx2 s[40:41], s[0:1], 0x20
	v_lshl_or_b32 v3, v69, 9, v3
	s_cbranch_execz .LBB407_4
	s_branch .LBB407_5
.LBB407_3:
                                        ; implicit-def: $vgpr5
                                        ; implicit-def: $vgpr6
                                        ; implicit-def: $sgpr26
	s_load_dwordx2 s[40:41], s[0:1], 0x20
	v_lshl_or_b32 v3, v69, 9, v3
.LBB407_4:
	v_or_b32_e32 v5, 0x100, v3
	s_movk_i32 s26, 0x4000
	v_mov_b32_e32 v6, v3
.LBB407_5:
	s_mul_i32 s0, s38, s18
	s_ashr_i32 s56, s52, 31
	s_mul_hi_i32 s1, s38, s18
	s_add_u32 s0, s0, s52
	s_addc_u32 s1, s1, s56
	s_lshl_b64 s[0:1], s[0:1], 8
	s_add_u32 s24, s4, s0
	s_addc_u32 s0, s5, s1
	s_and_b32 s25, s0, 0xffff
	s_movk_i32 s57, 0x80
	buffer_load_dwordx4 v[8:11], v6, s[24:27], 0 offen
	buffer_load_dwordx4 v[12:15], v6, s[24:27], s57 offen
	;; [unrolled: 1-line block ×4, first 2 shown]
	v_and_b32_e32 v5, 6, v0
	v_lshlrev_b32_e32 v24, 6, v67
	v_or_b32_e32 v26, 16, v45
	v_xor_b32_e32 v27, v69, v5
	v_and_b32_e32 v6, 1, v0
	v_lshl_or_b32 v30, v45, 3, v24
	v_lshl_or_b32 v24, v26, 3, v24
	v_lshlrev_b32_e32 v27, 2, v27
	v_lshlrev_b32_e32 v7, 2, v45
	s_mul_i32 s0, s33, s23
	s_mul_hi_u32 s1, s33, s22
	v_or_b32_e32 v77, 0xa000, v24
	v_or_b32_e32 v78, 0xb000, v24
	v_xor_b32_e32 v24, 0x440, v27
	v_cmp_eq_u32_e32 vcc, 0, v6
	s_add_i32 s21, s45, s44
	s_mul_i32 s24, s55, s22
	v_xor_b32_e32 v28, v67, v7
	v_xor_b32_e32 v29, v68, v7
	v_cndmask_b32_e32 v6, v24, v27, vcc
	s_add_i32 s0, s1, s0
	s_add_i32 s21, s21, s46
	s_mov_b32 s58, 0x1000504
	v_lshlrev_b32_e32 v25, 8, v45
	v_lshlrev_b32_e32 v26, 8, v26
	;; [unrolled: 1-line block ×4, first 2 shown]
	v_lshl_or_b32 v5, v5, 10, v6
	s_add_i32 s1, s0, s24
	s_lshl_b64 s[24:25], s[20:21], 2
	s_mov_b32 s59, 0x3020706
	v_or_b32_e32 v75, 0xa000, v30
	v_or_b32_e32 v76, 0xb000, v30
	;; [unrolled: 1-line block ×5, first 2 shown]
	v_xor_b32_e32 v6, 8, v5
	v_xor_b32_e32 v25, 24, v5
	;; [unrolled: 1-line block ×4, first 2 shown]
	s_mul_i32 s0, s33, s22
	s_add_u32 s21, s10, s24
	v_or_b32_e32 v81, v26, v28
	v_xor_b32_e32 v24, 16, v5
	v_xor_b32_e32 v26, 32, v5
	;; [unrolled: 1-line block ×3, first 2 shown]
	v_add_u32_e32 v6, 0x80, v6
	v_add_u32_e32 v25, 0x80, v25
	;; [unrolled: 1-line block ×4, first 2 shown]
	s_addc_u32 s24, s11, s25
	s_lshl_b64 s[0:1], s[0:1], 2
	s_add_u32 s42, s21, s0
	s_movk_i32 s0, 0xf8
	s_addc_u32 s43, s24, s1
	s_ashr_i32 s37, s36, 31
	s_lshl_b32 s30, s19, 7
	s_movk_i32 s24, 0x100
	v_mov_b32_e32 v51, 0
	v_lshlrev_b32_e32 v50, 4, v45
	v_cmp_gt_u32_e32 vcc, s24, v0
	s_mov_b32 s60, 0
	s_movk_i32 s21, 0x1000
	s_movk_i32 s26, 0x4000
	v_add_u32_e32 v102, v1, v2
	v_mov_b32_e32 v52, v51
	v_mov_b32_e32 v53, v51
	;; [unrolled: 1-line block ×13, first 2 shown]
	s_waitcnt vmcnt(1)
	v_perm_b32 v30, v8, v16, s58
	s_waitcnt vmcnt(0)
	v_perm_b32 v31, v12, v20, s58
	v_perm_b32 v8, v8, v16, s59
	;; [unrolled: 1-line block ×15, first 2 shown]
	ds_write2st64_b32 v5, v30, v31 offset0:32 offset1:64
	ds_write2st64_b32 v6, v8, v12 offset0:32 offset1:64
	;; [unrolled: 1-line block ×8, first 2 shown]
	v_or_b32_e32 v5, v1, v45
	v_lshlrev_b32_e32 v5, 3, v5
	v_lshrrev_b32_e32 v8, 5, v62
	v_and_or_b32 v8, v5, s0, v8
	v_lshrrev_b32_e32 v6, 2, v62
	v_lshlrev_b32_e32 v11, 11, v63
	v_lshlrev_b32_e32 v8, 4, v8
	v_and_b32_e32 v5, 0x78, v5
	v_and_b32_e32 v9, 12, v6
	;; [unrolled: 1-line block ×3, first 2 shown]
	v_xor_b32_e32 v10, v8, v5
	v_lshrrev_b32_e32 v12, 1, v62
	v_or_b32_e32 v10, v10, v6
	v_and_b32_e32 v12, 8, v12
	v_xor_b32_e32 v83, v10, v12
	v_or_b32_e32 v10, 32, v8
	v_xor_b32_e32 v10, v10, v5
	v_or_b32_e32 v10, v10, v6
	;; [unrolled: 2-line block ×3, first 2 shown]
	v_or_b32_e32 v8, 0x60, v8
	v_xor_b32_e32 v10, v10, v5
	v_xor_b32_e32 v5, v8, v5
	s_lshl_b64 s[0:1], s[36:37], 8
	v_or_b32_e32 v10, v10, v6
	v_or_b32_e32 v5, v5, v6
	v_lshlrev_b32_e32 v14, 1, v4
	v_add_lshl_u32 v15, v4, s19, 1
	s_add_u32 s0, s12, s0
	v_lshlrev_b32_e32 v4, 1, v45
	v_xor_b32_e32 v93, v10, v12
	v_xor_b32_e32 v94, v5, v12
	v_lshrrev_b32_e32 v10, 4, v0
	s_addc_u32 s1, s13, s1
	v_or_b32_e32 v5, 1, v4
	v_mov_b32_e32 v20, 0x4000
	v_mov_b32_e32 v21, 0x2000
	v_lshrrev_b32_e32 v22, 1, v0
	v_xor_b32_e32 v12, v10, v4
	v_xor_b32_e32 v17, v5, v10
	v_lshl_add_u64 v[4:5], s[0:1], 0, v[50:51]
	v_lshlrev_b32_e32 v50, 8, v10
	v_cndmask_b32_e32 v20, v20, v21, vcc
	v_lshlrev_b32_e32 v21, 3, v63
	v_and_b32_e32 v22, 24, v22
	v_lshl_or_b32 v97, v12, 3, v50
	v_and_b32_e32 v12, 8, v0
	v_xor_b32_e32 v23, v21, v22
	v_or_b32_e32 v24, 0x440, v23
	v_cmp_eq_u32_e32 vcc, 0, v12
	v_and_b32_e32 v10, 7, v0
	v_lshlrev_b32_e32 v13, 7, v64
	v_cndmask_b32_e32 v12, v24, v23, vcc
	v_lshl_or_b32 v98, v17, 3, v50
	v_lshlrev_b32_e32 v17, 3, v10
	v_lshlrev_b32_e32 v19, 2, v0
	v_or_b32_e32 v12, v12, v11
	v_or_b32_e32 v7, v13, v7
	v_xor_b32_e32 v23, v12, v17
	v_and_or_b32 v12, v19, 60, v13
	v_mov_b32_e32 v13, 0xb000
	v_lshl_or_b32 v99, v12, 1, v13
	v_or_b32_e32 v12, 32, v22
	v_xor_b32_e32 v12, v21, v12
	v_or_b32_e32 v13, 0x440, v12
	v_cndmask_b32_e32 v12, v13, v12, vcc
	v_or_b32_e32 v12, v12, v11
	v_xor_b32_e32 v13, v12, v17
	v_or_b32_e32 v12, 64, v22
	v_xor_b32_e32 v12, v21, v12
	v_xor_b32_e32 v25, 0x440, v12
	v_cndmask_b32_e32 v12, v25, v12, vcc
	v_or_b32_e32 v12, v12, v11
	v_xor_b32_e32 v25, v12, v17
	v_or_b32_e32 v12, 0x60, v22
	v_xor_b32_e32 v12, v21, v12
	v_xor_b32_e32 v21, 0x440, v12
	v_cndmask_b32_e32 v12, v21, v12, vcc
	v_lshlrev_b32_e32 v7, 1, v7
	v_or_b32_e32 v6, s36, v45
	v_or_b32_e32 v11, v12, v11
	;; [unrolled: 1-line block ×6, first 2 shown]
	v_ashrrev_i32_e32 v7, 31, v6
	v_xor_b32_e32 v11, v11, v17
	v_lshlrev_b32_e32 v8, 7, v67
	v_or_b32_e32 v16, 0x100, v3
	v_lshlrev_b32_e32 v18, 7, v10
	v_or_b32_e32 v10, v9, v1
	v_add_u32_e32 v24, v20, v23
	v_add_u32_e32 v19, v20, v13
	;; [unrolled: 1-line block ×4, first 2 shown]
	v_or3_b32 v12, v1, v9, 64
	v_add_u32_e32 v9, 0x4000, v23
	v_add_u32_e32 v13, 0x4000, v13
	;; [unrolled: 1-line block ×4, first 2 shown]
	v_lshlrev_b64 v[6:7], 1, v[6:7]
	v_cndmask_b32_e64 v100, v14, v3, s[2:3]
	v_cndmask_b32_e64 v101, v15, v16, s[2:3]
	v_lshl_add_u64 v[56:57], s[8:9], 0, v[6:7]
	v_lshl_add_u64 v[58:59], s[14:15], 0, v[6:7]
	;; [unrolled: 1-line block ×3, first 2 shown]
	s_mov_b32 s37, 0x7060302
	v_lshlrev_b32_e32 v50, 1, v8
	v_lshlrev_b32_e32 v103, 2, v10
	v_add_u32_e32 v104, v24, v18
	v_add_u32_e32 v105, v19, v18
	;; [unrolled: 1-line block ×4, first 2 shown]
	v_lshlrev_b32_e32 v108, 2, v12
	v_add_u32_e32 v109, v9, v18
	v_add_u32_e32 v110, v13, v18
	;; [unrolled: 1-line block ×4, first 2 shown]
	v_mov_b32_e32 v84, v51
	v_mov_b32_e32 v86, v51
	;; [unrolled: 1-line block ×3, first 2 shown]
	s_waitcnt lgkmcnt(0)
	s_barrier
.LBB407_6:                              ; =>This Inner Loop Header: Depth=1
	s_add_i32 s61, s60, 1
	s_cmp_lt_i32 s61, s47
	s_mov_b64 s[28:29], 0
	s_cselect_b64 s[2:3], -1, 0
	s_cmp_ge_i32 s61, s47
	s_mov_b64 s[24:25], 0
	s_cbranch_scc1 .LBB407_8
; %bb.7:                                ;   in Loop: Header=BB407_6 Depth=1
	s_add_i32 s0, s54, 64
	s_ashr_i32 s1, s0, 31
	s_add_u32 s0, s51, s0
	s_addc_u32 s1, s50, s1
	s_lshl_b64 s[0:1], s[0:1], 8
	s_add_u32 s24, s6, s0
	s_addc_u32 s25, s7, s1
.LBB407_8:                              ;   in Loop: Header=BB407_6 Depth=1
	v_cndmask_b32_e64 v2, 0, 1, s[2:3]
	v_cmp_ne_u32_e64 s[0:1], 1, v2
	s_andn2_b64 vcc, exec, s[2:3]
	s_cbranch_vccnz .LBB407_10
; %bb.9:                                ;   in Loop: Header=BB407_6 Depth=1
	s_add_i32 s2, s54, 64
	s_mul_hi_i32 s3, s2, s18
	s_mul_i32 s2, s2, s18
	s_add_u32 s2, s2, s52
	s_addc_u32 s3, s3, s56
	s_lshl_b64 s[2:3], s[2:3], 8
	s_add_u32 s28, s4, s2
	s_addc_u32 s29, s5, s3
.LBB407_10:                             ;   in Loop: Header=BB407_6 Depth=1
	v_perm_b32 v3, v55, v54, s37
	v_perm_b32 v2, v53, v52, s37
	;; [unrolled: 1-line block ×4, first 2 shown]
	ds_write_b64 v75, v[2:3]
	ds_write_b64 v76, v[4:5]
	;; [unrolled: 1-line block ×4, first 2 shown]
	v_perm_b32 v3, v114, v90, s37
	v_perm_b32 v2, v88, v89, s37
	;; [unrolled: 1-line block ×4, first 2 shown]
	ds_write_b64 v77, v[2:3]
	ds_write_b64 v78, v[4:5]
	ds_write_b64 v81, v[2:3]
	ds_write_b64 v82, v[4:5]
	s_waitcnt lgkmcnt(0)
	s_barrier
	ds_read_b64 v[6:7], v83 offset:24576
	ds_read2_b64 v[2:5], v87 offset1:16
	ds_read_b64 v[10:11], v92 offset:3072
	ds_read_b64 v[12:13], v87 offset:3072
	;; [unrolled: 1-line block ×3, first 2 shown]
	s_waitcnt lgkmcnt(3)
	v_mfma_f32_16x16x16_bf16 a[0:3], v[6:7], v[2:3], 0
	s_add_i32 s62, s54, 63
	s_ashr_i32 s2, s62, 31
	s_mul_i32 s3, s62, s35
	v_mfma_f32_16x16x16_bf16 a[4:7], v[6:7], v[4:5], 0
	ds_read2st64_b64 v[2:5], v87 offset0:2 offset1:4
	s_mul_hi_u32 s31, s62, s34
	s_add_i32 s3, s31, s3
	s_waitcnt lgkmcnt(0)
	v_mfma_f32_16x16x16_bf16 a[0:3], v[14:15], v[2:3], a[0:3]
	ds_read2st64_b64 v[6:9], v92 offset0:2 offset1:4
	ds_read_b64 v[2:3], v93 offset:24576
	s_mul_i32 s2, s2, s34
	s_add_i32 s3, s3, s2
	s_waitcnt lgkmcnt(1)
	v_mfma_f32_16x16x16_bf16 a[4:7], v[14:15], v[6:7], a[4:7]
	ds_read_b64 v[6:7], v94 offset:24576
	s_mul_i32 s2, s62, s34
	s_lshl_b64 s[2:3], s[2:3], 2
	s_waitcnt lgkmcnt(1)
	v_mfma_f32_16x16x16_bf16 a[0:3], v[2:3], v[4:5], a[0:3]
	s_add_u32 s2, s42, s2
	s_addc_u32 s3, s43, s3
	s_and_b64 vcc, exec, s[0:1]
	v_mfma_f32_16x16x16_bf16 a[8:11], v[2:3], v[8:9], a[4:7]
	v_mov_b32_e32 v117, 0
	v_mov_b32_e32 v116, 0
	;; [unrolled: 1-line block ×3, first 2 shown]
	s_waitcnt lgkmcnt(0)
	v_mfma_f32_16x16x16_bf16 a[4:7], v[6:7], v[12:13], a[0:3]
	v_mov_b32_e32 v2, 0
	v_mov_b32_e32 v3, 0
	;; [unrolled: 1-line block ×3, first 2 shown]
	v_mfma_f32_16x16x16_bf16 a[0:3], v[6:7], v[10:11], a[8:11]
	v_mov_b32_e32 v5, 0
	v_mov_b32_e32 v6, 0
	;; [unrolled: 1-line block ×13, first 2 shown]
	s_cbranch_vccnz .LBB407_12
; %bb.11:                               ;   in Loop: Header=BB407_6 Depth=1
	s_and_b32 s25, s25, 0xffff
	buffer_load_dwordx4 v[14:17], v71, s[24:27], 0 offen
	buffer_load_dwordx4 v[10:13], v71, s[24:27], s57 offen
	;; [unrolled: 1-line block ×4, first 2 shown]
	v_mov_b32_e32 v116, v73
	v_mov_b32_e32 v115, v74
.LBB407_12:                             ;   in Loop: Header=BB407_6 Depth=1
	ds_read_b64 v[26:27], v83 offset:32768
	ds_read2_b64 v[18:21], v95 offset1:16
	ds_read_b64 v[28:29], v91 offset:32768
	ds_read_b64 v[30:31], v93 offset:32768
	;; [unrolled: 1-line block ×3, first 2 shown]
	ds_read2st64_b64 v[22:25], v95 offset0:2 offset1:4
	v_add_u32_e32 v34, s54, v102
	s_waitcnt lgkmcnt(4)
	v_mfma_f32_16x16x16_bf16 a[4:7], v[26:27], v[18:19], a[4:7]
	v_ashrrev_i32_e32 v18, 31, v34
	v_mov_b32_e32 v118, 0
	v_mfma_f32_16x16x16_bf16 a[0:3], v[26:27], v[20:21], a[0:3]
	v_mul_lo_u32 v20, v34, s35
	v_mul_lo_u32 v21, v18, s34
	v_mad_u64_u32 v[18:19], s[24:25], v34, s34, 0
	v_add3_u32 v19, v19, v20, v21
	v_add_u32_e32 v20, 1, v34
	v_ashrrev_i32_e32 v21, 31, v20
	s_waitcnt lgkmcnt(0)
	v_mfma_f32_16x16x16_bf16 a[4:7], v[28:29], v[22:23], a[4:7]
	v_mul_lo_u32 v22, v21, s34
	v_mul_lo_u32 v23, v20, s35
	v_mad_u64_u32 v[20:21], s[24:25], v20, s34, 0
	v_add3_u32 v21, v21, v23, v22
	v_add_u32_e32 v22, 2, v34
	v_ashrrev_i32_e32 v23, 31, v22
	v_mul_lo_u32 v26, v23, s34
	v_mul_lo_u32 v27, v22, s35
	v_mad_u64_u32 v[22:23], s[24:25], v22, s34, 0
	v_add3_u32 v23, v23, v27, v26
	v_add_u32_e32 v26, 3, v34
	v_ashrrev_i32_e32 v27, 31, v26
	v_mul_lo_u32 v34, v27, s34
	v_mul_lo_u32 v35, v26, s35
	v_mad_u64_u32 v[26:27], s[24:25], v26, s34, 0
	s_ashr_i32 s25, s54, 31
	v_add3_u32 v27, v27, v35, v34
	s_add_u32 s24, s51, s54
	v_lshl_add_u64 v[18:19], v[18:19], 2, s[42:43]
	v_lshl_add_u64 v[26:27], v[26:27], 2, s[42:43]
	s_addc_u32 s25, s50, s25
	v_lshl_add_u64 v[20:21], v[20:21], 2, s[42:43]
	v_lshl_add_u64 v[22:23], v[22:23], 2, s[42:43]
	global_load_dword v34, v[18:19], off
	global_load_dword v35, v[20:21], off
	;; [unrolled: 1-line block ×3, first 2 shown]
	s_nop 0
	global_load_dword v27, v[26:27], off
	s_lshl_b64 s[24:25], s[24:25], 8
	v_lshl_add_u64 v[18:19], v[56:57], 0, s[24:25]
	v_lshl_add_u64 v[22:23], v[18:19], 0, v[50:51]
	global_load_ushort v37, v[22:23], off offset:256
	global_load_ushort v38, v[22:23], off
	global_load_ushort v39, v[22:23], off offset:768
	global_load_ushort v40, v[22:23], off offset:512
	ds_read2st64_b64 v[18:21], v96 offset0:2 offset1:4
	global_load_ushort v41, v[22:23], off offset:800
	global_load_ushort v42, v[22:23], off offset:544
	;; [unrolled: 1-line block ×4, first 2 shown]
	s_waitcnt lgkmcnt(0)
	v_mfma_f32_16x16x16_bf16 a[0:3], v[28:29], v[18:19], a[0:3]
	s_and_b64 vcc, exec, s[0:1]
	s_waitcnt vmcnt(7)
	v_lshlrev_b32_e32 v29, 16, v37
	v_mfma_f32_16x16x16_bf16 a[4:7], v[30:31], v[24:25], a[4:7]
	s_waitcnt vmcnt(6)
	v_lshlrev_b32_e32 v28, 16, v38
	v_mfma_f32_16x16x16_bf16 a[0:3], v[30:31], v[20:21], a[0:3]
	ds_read_b64 v[18:19], v95 offset:3072
	ds_read_b64 v[20:21], v96 offset:3072
	s_load_dword s2, s[2:3], 0x0
	s_waitcnt vmcnt(5)
	v_lshlrev_b32_e32 v31, 16, v39
	s_waitcnt lgkmcnt(0)
	v_mfma_f32_16x16x16_bf16 a[4:7], v[32:33], v[18:19], a[4:7]
	v_lshl_add_u64 v[18:19], v[58:59], 0, s[24:25]
	v_sub_f32_e32 v26, s2, v34
	v_sub_f32_e32 v30, s2, v35
	v_mfma_f32_16x16x16_bf16 a[0:3], v[32:33], v[20:21], a[0:3]
	v_sub_f32_e32 v32, s2, v36
	v_sub_f32_e32 v33, s2, v27
	v_exp_f32_e32 v26, v26
	v_exp_f32_e32 v27, v30
	;; [unrolled: 1-line block ×4, first 2 shown]
	v_accvgpr_read_b32 v25, a5
	v_accvgpr_read_b32 v21, a7
	;; [unrolled: 1-line block ×4, first 2 shown]
	s_waitcnt vmcnt(4)
	v_lshlrev_b32_e32 v30, 16, v40
	v_lshl_add_u64 v[18:19], v[18:19], 0, v[50:51]
	v_pk_add_f32 v[24:25], v[28:29], v[24:25] neg_lo:[0,1] neg_hi:[0,1]
	v_pk_add_f32 v[20:21], v[30:31], v[20:21] neg_lo:[0,1] neg_hi:[0,1]
	global_store_short_d16_hi v[18:19], v24, off
	global_store_short_d16_hi v[18:19], v25, off offset:256
	global_store_short_d16_hi v[18:19], v20, off offset:512
	;; [unrolled: 1-line block ×3, first 2 shown]
	v_pk_mul_f32 v[24:25], v[26:27], v[24:25]
	v_pk_mul_f32 v[20:21], v[32:33], v[20:21]
	v_accvgpr_read_b32 v29, a1
	v_perm_b32 v24, v25, v24, s37
	v_perm_b32 v25, v21, v20, s37
	s_waitcnt vmcnt(5)
	v_lshlrev_b32_e32 v21, 16, v43
	s_waitcnt vmcnt(4)
	v_lshlrev_b32_e32 v20, 16, v44
	v_accvgpr_read_b32 v28, a0
	v_accvgpr_read_b32 v23, a3
	;; [unrolled: 1-line block ×3, first 2 shown]
	v_pk_add_f32 v[20:21], v[20:21], v[28:29] neg_lo:[0,1] neg_hi:[0,1]
	v_lshlrev_b32_e32 v29, 16, v41
	v_lshlrev_b32_e32 v28, 16, v42
	v_pk_add_f32 v[22:23], v[28:29], v[22:23] neg_lo:[0,1] neg_hi:[0,1]
	global_store_short_d16_hi v[18:19], v20, off offset:32
	global_store_short_d16_hi v[18:19], v21, off offset:288
	global_store_short_d16_hi v[18:19], v22, off offset:544
	global_store_short_d16_hi v[18:19], v23, off offset:800
	v_pk_mul_f32 v[18:19], v[26:27], v[20:21]
	v_pk_mul_f32 v[20:21], v[32:33], v[22:23]
	v_mov_b32_e32 v22, 0
	v_perm_b32 v21, v21, v20, s37
	v_perm_b32 v20, v19, v18, s37
	ds_write2_b64 v76, v[24:25], v[20:21] offset1:16
	v_mov_b32_e32 v18, 0
	v_mov_b32_e32 v19, 0
	;; [unrolled: 1-line block ×15, first 2 shown]
	s_cbranch_vccnz .LBB407_14
; %bb.13:                               ;   in Loop: Header=BB407_6 Depth=1
	s_and_b32 s29, s29, 0xffff
	s_mov_b32 s31, s27
	buffer_load_dwordx4 v[30:33], v100, s[28:31], 0 offen
	buffer_load_dwordx4 v[22:25], v100, s[28:31], s57 offen
	;; [unrolled: 1-line block ×4, first 2 shown]
	v_mov_b32_e32 v117, v70
	v_mov_b32_e32 v118, v69
.LBB407_14:                             ;   in Loop: Header=BB407_6 Depth=1
	s_waitcnt lgkmcnt(0)
	s_barrier
	ds_read_b64 v[38:39], v104
	ds_read_b64 v[124:125], v99
	;; [unrolled: 1-line block ×5, first 2 shown]
	ds_read_b64 v[138:139], v96 offset:3072
	ds_read2_b64 v[34:37], v95 offset0:16 offset1:128
	s_waitcnt lgkmcnt(5)
	v_mfma_f32_16x16x16_bf16 a[0:3], v[38:39], v[124:125], 0
	s_add_i32 s3, s48, s60
	s_mul_hi_i32 s25, s3, s53
	s_mul_i32 s3, s3, s53
	s_waitcnt lgkmcnt(0)
	v_mfma_f32_16x16x16_bf16 a[4:7], v[38:39], v[34:35], 0
	ds_read_b64 v[38:39], v109
	ds_read2st64_b64 v[40:43], v96 offset0:2 offset1:4
	s_add_u32 s24, s3, s33
	s_addc_u32 s25, s25, s55
	s_lshl_b64 s[24:25], s[24:25], 15
	s_mul_i32 s28, s62, s53
	s_mul_hi_i32 s3, s62, s53
	s_add_u32 s28, s28, s33
	s_waitcnt lgkmcnt(1)
	v_mfma_f32_16x16x16_bf16 a[8:11], v[38:39], v[124:125], 0
	s_addc_u32 s29, s3, s55
	ds_read2st64_b64 v[120:123], v95 offset0:4 offset1:6
	s_lshl_b64 s[28:29], s[28:29], 9
	v_mfma_f32_16x16x16_bf16 a[0:3], v[126:127], v[36:37], a[0:3]
	s_add_u32 s28, s40, s28
	s_addc_u32 s29, s41, s29
	s_waitcnt lgkmcnt(1)
	v_mfma_f32_16x16x16_bf16 a[4:7], v[126:127], v[40:41], a[4:7]
	ds_read_b64 v[126:127], v110
	ds_read_b64 v[134:135], v111
	ds_read_b64 v[140:141], v112
	v_mfma_f32_16x16x16_bf16 a[12:15], v[38:39], v[34:35], 0
	s_waitcnt lgkmcnt(2)
	v_mfma_f32_16x16x16_bf16 a[8:11], v[126:127], v[36:37], a[8:11]
	global_load_dwordx4 v[34:37], v108, s[28:29]
	v_mfma_f32_16x16x16_bf16 a[12:15], v[126:127], v[40:41], a[12:15]
	global_load_dwordx4 v[38:41], v103, s[28:29]
	ds_read2st64_b64 v[124:127], v97 offset1:8
	s_waitcnt lgkmcnt(0)
	v_mov_b32_e32 v132, v124
	v_mfma_f32_16x16x16_bf16 a[0:3], v[128:129], v[120:121], a[0:3]
	v_mov_b32_e32 v133, v125
	v_mfma_f32_16x16x16_bf16 a[4:7], v[128:129], v[42:43], a[4:7]
	ds_read2st64_b64 v[128:131], v98 offset1:8
	v_mfma_f32_16x16x16_bf16 a[8:11], v[134:135], v[120:121], a[8:11]
	v_lshl_add_u64 v[120:121], v[60:61], 0, s[24:25]
	v_mfma_f32_16x16x16_bf16 a[16:19], v[134:135], v[42:43], a[12:15]
	v_add_co_u32_e32 v42, vcc, s21, v120
	s_waitcnt lgkmcnt(0)
	v_mov_b32_e32 v134, v128
	v_mfma_f32_16x16x16_bf16 a[0:3], v[136:137], v[122:123], a[0:3]
	v_mov_b32_e32 v135, v129
	v_mov_b32_e32 v128, v126
	v_mov_b32_e32 v129, v127
	v_mfma_f32_16x16x16_bf16 a[4:7], v[136:137], v[138:139], a[4:7]
	v_addc_co_u32_e32 v43, vcc, 0, v121, vcc
	global_store_dwordx4 v[42:43], v[128:131], off
	v_mfma_f32_16x16x16_bf16 a[12:15], v[140:141], v[122:123], a[8:11]
	s_and_b64 vcc, exec, s[0:1]
	global_store_dwordx4 v[120:121], v[132:135], off
	s_waitcnt vmcnt(3)
	v_mov_b32_e32 v44, v37
	v_mfma_f32_16x16x16_bf16 a[8:11], v[140:141], v[138:139], a[16:19]
	v_mov_b32_e32 v43, v36
	v_mov_b32_e32 v42, v35
	s_cbranch_vccnz .LBB407_16
; %bb.15:                               ;   in Loop: Header=BB407_6 Depth=1
	v_lshrrev_b32_e32 v35, 3, v117
	v_and_b32_e32 v35, 6, v35
	v_xor_b32_e32 v36, v35, v118
	v_lshlrev_b32_e32 v36, 2, v36
	v_and_b32_e32 v37, 8, v117
	v_xor_b32_e32 v117, 0x440, v36
	v_cmp_eq_u32_e32 vcc, 0, v37
	v_perm_b32 v37, v22, v18, s58
	s_nop 0
	v_cndmask_b32_e32 v36, v117, v36, vcc
	v_lshl_or_b32 v35, v35, 10, v36
	v_perm_b32 v36, v30, v26, s58
	s_barrier
	ds_write2st64_b32 v35, v36, v37 offset0:32 offset1:64
	v_xor_b32_e32 v36, 8, v35
	v_perm_b32 v26, v30, v26, s59
	v_perm_b32 v18, v22, v18, s59
	v_add_u32_e32 v22, 0x80, v36
	ds_write2st64_b32 v22, v26, v18 offset0:32 offset1:64
	v_xor_b32_e32 v18, 16, v35
	v_perm_b32 v22, v31, v27, s58
	v_perm_b32 v26, v23, v19, s58
	ds_write2st64_b32 v18, v22, v26 offset0:33 offset1:65
	v_xor_b32_e32 v18, 24, v35
	v_perm_b32 v22, v31, v27, s59
	v_perm_b32 v19, v23, v19, s59
	v_add_u32_e32 v18, 0x80, v18
	ds_write2st64_b32 v18, v22, v19 offset0:33 offset1:65
	v_xor_b32_e32 v18, 32, v35
	v_perm_b32 v19, v32, v28, s58
	v_perm_b32 v22, v24, v20, s58
	ds_write2st64_b32 v18, v19, v22 offset0:34 offset1:66
	v_xor_b32_e32 v18, 40, v35
	v_perm_b32 v19, v32, v28, s59
	v_perm_b32 v20, v24, v20, s59
	v_add_u32_e32 v18, 0x80, v18
	ds_write2st64_b32 v18, v19, v20 offset0:34 offset1:66
	v_xor_b32_e32 v18, 48, v35
	v_perm_b32 v19, v33, v29, s58
	v_perm_b32 v20, v25, v21, s58
	ds_write2st64_b32 v18, v19, v20 offset0:35 offset1:67
	v_xor_b32_e32 v18, 56, v35
	v_perm_b32 v19, v33, v29, s59
	v_perm_b32 v20, v25, v21, s59
	v_add_u32_e32 v18, 0x80, v18
	ds_write2st64_b32 v18, v19, v20 offset0:35 offset1:67
	ds_write_b64 v116, v[14:15] offset:24576
	v_xor_b32_e32 v14, 8, v116
	ds_write_b64 v14, v[16:17] offset:24576
	ds_write_b64 v116, v[10:11] offset:32768
	;; [unrolled: 1-line block ×4, first 2 shown]
	v_xor_b32_e32 v6, 8, v115
	ds_write_b64 v6, v[8:9] offset:24576
	ds_write_b64 v115, v[2:3] offset:32768
	ds_write_b64 v6, v[4:5] offset:32768
.LBB407_16:                             ;   in Loop: Header=BB407_6 Depth=1
	v_exp_f32_e32 v18, s2
	s_waitcnt vmcnt(2)
	v_exp_f32_e32 v20, v38
	v_exp_f32_e32 v21, v39
	;; [unrolled: 1-line block ×4, first 2 shown]
	v_accvgpr_read_b32 v13, a3
	v_accvgpr_read_b32 v11, a1
	;; [unrolled: 1-line block ×4, first 2 shown]
	v_pk_mul_f32 v[20:21], v[18:19], v[20:21] op_sel_hi:[0,1]
	v_accvgpr_read_b32 v12, a2
	v_accvgpr_read_b32 v7, a5
	;; [unrolled: 1-line block ×3, first 2 shown]
	v_pk_fma_f32 v[52:53], v[52:53], v[20:21], v[10:11]
	v_pk_mul_f32 v[10:11], v[18:19], v[22:23] op_sel_hi:[0,1]
	v_pk_fma_f32 v[54:55], v[54:55], v[10:11], v[12:13]
	v_fma_f32 v89, v89, v20, v6
	v_fma_f32 v88, v88, v21, v7
	v_exp_f32_e32 v6, v34
	v_exp_f32_e32 v7, v42
	;; [unrolled: 1-line block ×4, first 2 shown]
	v_accvgpr_read_b32 v8, a6
	v_accvgpr_read_b32 v17, a15
	;; [unrolled: 1-line block ×9, first 2 shown]
	v_fma_f32 v90, v90, v10, v8
	v_fmac_f32_e32 v9, v114, v11
	v_pk_mul_f32 v[6:7], v[18:19], v[6:7] op_sel_hi:[0,1]
	v_pk_mul_f32 v[10:11], v[18:19], v[12:13] op_sel_hi:[0,1]
	s_add_i32 s54, s54, 64
	v_pk_fma_f32 v[46:47], v[46:47], v[6:7], v[14:15]
	v_pk_fma_f32 v[48:49], v[48:49], v[10:11], v[16:17]
	v_fma_f32 v85, v85, v6, v2
	v_fma_f32 v84, v84, v7, v3
	;; [unrolled: 1-line block ×3, first 2 shown]
	s_cmp_eq_u32 s47, s61
	v_fmac_f32_e32 v5, v113, v11
	s_cbranch_scc1 .LBB407_18
; %bb.17:                               ;   in Loop: Header=BB407_6 Depth=1
	s_mov_b32 s60, s61
	v_mov_b32_e32 v114, v9
	v_mov_b32_e32 v113, v5
	s_branch .LBB407_6
.LBB407_18:
	s_lshl_b32 s0, s47, 6
	s_sub_i32 s42, s49, s0
	s_cmp_gt_i32 s42, 0
	s_cbranch_scc0 .LBB407_83
; %bb.19:
	s_add_i32 s38, s0, s38
	s_ashr_i32 s2, s38, 31
	s_cmpk_lg_i32 s19, 0x80
	s_cselect_b64 s[30:31], -1, 0
	s_and_b64 vcc, exec, s[30:31]
	s_cbranch_vccz .LBB407_21
; %bb.20:
	s_mul_i32 s1, s38, s18
	s_ashr_i32 s3, s52, 31
	s_mul_hi_i32 s0, s38, s18
	s_add_u32 s40, s1, s52
	s_addc_u32 s41, s0, s3
	s_cbranch_execz .LBB407_22
	s_branch .LBB407_23
.LBB407_21:
                                        ; implicit-def: $sgpr40_sgpr41
.LBB407_22:
	s_mul_i32 s1, s52, s16
	s_mul_hi_i32 s0, s52, s16
	s_add_u32 s40, s1, s38
	s_addc_u32 s41, s0, s2
.LBB407_23:
	s_add_i32 s3, s47, s48
	s_ashr_i32 s16, s33, 31
	s_add_u32 s0, s51, s38
	v_lshlrev_b32_e32 v8, 5, v67
	v_lshlrev_b32_e32 v22, 2, v45
	s_addc_u32 s1, s50, s2
	s_mov_b32 s2, 0x7060302
	v_or_b32_e32 v11, v8, v22
	v_xor_b32_e32 v4, v67, v22
	v_perm_b32 v3, v55, v54, s2
	v_perm_b32 v2, v53, v52, s2
	;; [unrolled: 1-line block ×4, first 2 shown]
	v_lshlrev_b32_e32 v11, 1, v11
	s_lshl_b64 s[28:29], s[0:1], 8
	v_xor_b32_e32 v10, v68, v22
	ds_write2st64_b64 v11, v[2:3], v[6:7] offset0:80 offset1:88
	v_lshlrev_b32_e32 v11, 1, v4
	v_lshlrev_b32_e32 v4, 8, v45
	s_add_u32 s0, s6, s28
	v_or_b32_e32 v12, v11, v4
	v_lshlrev_b32_e32 v10, 1, v10
	s_addc_u32 s1, s7, s29
	ds_write_b64 v12, v[2:3]
	v_or_b32_e32 v2, v10, v4
	s_mul_hi_i32 s6, s3, s17
	s_mul_i32 s3, s3, s17
	ds_write_b64 v2, v[6:7]
	v_perm_b32 v3, v9, v90, s2
	v_perm_b32 v2, v88, v89, s2
	v_perm_b32 v5, v5, v86, s2
	v_perm_b32 v4, v84, v85, s2
	v_or_b32_e32 v6, 16, v45
	s_add_u32 s2, s3, s33
	v_lshlrev_b32_e32 v19, 2, v6
	s_addc_u32 s3, s6, s16
	v_or_b32_e32 v7, v8, v19
	s_ashr_i32 s37, s36, 31
	s_lshl_b64 s[2:3], s[2:3], 15
	v_lshlrev_b32_e32 v7, 1, v7
	v_lshlrev_b32_e32 v6, 8, v6
	s_add_u32 s6, s12, s2
	ds_write2st64_b64 v7, v[2:3], v[4:5] offset0:80 offset1:88
	v_or_b32_e32 v7, v11, v6
	s_addc_u32 s7, s13, s3
	s_lshl_b64 s[2:3], s[36:37], 8
	ds_write_b64 v7, v[2:3]
	v_or_b32_e32 v2, v10, v6
	s_add_u32 s2, s6, s2
	ds_write_b64 v2, v[4:5]
	v_lshrrev_b32_e32 v2, 4, v0
	s_addc_u32 s3, s7, s3
	v_lshlrev_b32_e32 v3, 1, v45
	v_lshlrev_b32_e32 v10, 4, v45
	v_mov_b32_e32 v11, 0
	v_or_b32_e32 v4, 1, v3
	v_xor_b32_e32 v3, v2, v3
	v_lshl_add_u64 v[12:13], s[2:3], 0, v[10:11]
	v_lshlrev_b32_e32 v10, 8, v2
	v_xor_b32_e32 v6, v4, v2
	v_lshl_or_b32 v2, v3, 3, v10
	s_waitcnt lgkmcnt(0)
	s_barrier
	ds_read2st64_b64 v[2:5], v2 offset1:8
	v_lshl_or_b32 v6, v6, 3, v10
	ds_read2st64_b64 v[6:9], v6 offset1:8
	v_lshl_add_u64 v[14:15], v[12:13], 0, v[10:11]
	s_movk_i32 s2, 0x1000
	s_waitcnt lgkmcnt(1)
	v_mov_b32_e32 v10, v2
	v_add_co_u32_e32 v2, vcc, s2, v14
	s_cmp_lg_u32 s42, 64
	v_mov_b32_e32 v11, v3
	v_addc_co_u32_e32 v3, vcc, 0, v15, vcc
	s_cselect_b64 s[6:7], -1, 0
	v_lshl_or_b32 v23, v63, 3, v66
	s_waitcnt lgkmcnt(0)
	v_mov_b32_e32 v12, v6
	v_mov_b32_e32 v13, v7
	;; [unrolled: 1-line block ×4, first 2 shown]
	s_mov_b32 s24, 0
	v_or_b32_e32 v20, 32, v23
	v_and_b32_e32 v18, 56, v65
	s_and_b64 vcc, exec, s[6:7]
	global_store_dwordx4 v[14:15], v[10:13], off
	global_store_dwordx4 v[2:3], v[6:9], off
	s_cbranch_vccz .LBB407_29
; %bb.24:
	s_mov_b32 s25, s24
	s_mov_b32 s26, s24
	;; [unrolled: 1-line block ×3, first 2 shown]
	v_mov_b64_e32 v[6:7], s[24:25]
	v_mov_b64_e32 v[8:9], s[26:27]
	;; [unrolled: 1-line block ×3, first 2 shown]
	v_cmp_gt_i32_e32 vcc, s42, v23
	v_mov_b64_e32 v[4:5], v[8:9]
	s_and_saveexec_b64 s[2:3], vcc
	s_cbranch_execz .LBB407_26
; %bb.25:
	v_lshlrev_b32_e32 v2, 8, v23
	v_mov_b32_e32 v3, 0
	v_lshl_add_u64 v[4:5], s[0:1], 0, v[2:3]
	v_lshlrev_b32_e32 v2, 1, v18
	v_lshl_add_u64 v[10:11], v[4:5], 0, v[2:3]
	global_load_dwordx4 v[6:9], v[10:11], off
	global_load_dwordx4 v[2:5], v[10:11], off offset:128
.LBB407_26:
	s_or_b64 exec, exec, s[2:3]
	s_mov_b32 s25, s24
	s_mov_b32 s26, s24
	;; [unrolled: 1-line block ×3, first 2 shown]
	v_mov_b64_e32 v[14:15], s[24:25]
	v_mov_b64_e32 v[16:17], s[26:27]
	;; [unrolled: 1-line block ×3, first 2 shown]
	v_cmp_gt_i32_e32 vcc, s42, v20
	v_lshlrev_b32_e32 v21, 7, v20
	v_mov_b64_e32 v[12:13], v[16:17]
	s_and_saveexec_b64 s[2:3], vcc
	s_cbranch_execz .LBB407_28
; %bb.27:
	v_lshlrev_b32_e32 v10, 1, v21
	v_mov_b32_e32 v11, 0
	v_lshl_add_u64 v[12:13], s[0:1], 0, v[10:11]
	v_lshlrev_b32_e32 v10, 1, v18
	v_lshl_add_u64 v[24:25], v[12:13], 0, v[10:11]
	global_load_dwordx4 v[14:17], v[24:25], off
	global_load_dwordx4 v[10:13], v[24:25], off offset:128
.LBB407_28:
	s_or_b64 exec, exec, s[2:3]
	v_lshrrev_b32_e32 v24, 3, v18
	v_lshlrev_b32_e32 v25, 3, v23
	v_or_b32_e32 v24, v25, v24
	v_lshlrev_b32_e32 v24, 4, v24
	v_and_b32_e32 v25, 0x78, v25
	v_xor_b32_e32 v24, v24, v25
	s_branch .LBB407_31
.LBB407_29:
                                        ; implicit-def: $vgpr24
                                        ; implicit-def: $vgpr21
                                        ; implicit-def: $vgpr6_vgpr7_vgpr8_vgpr9
                                        ; implicit-def: $vgpr2_vgpr3_vgpr4_vgpr5
                                        ; implicit-def: $vgpr14_vgpr15_vgpr16_vgpr17
                                        ; implicit-def: $vgpr10_vgpr11_vgpr12_vgpr13
	s_cbranch_execz .LBB407_31
; %bb.30:
	s_waitcnt vmcnt(0)
	v_lshlrev_b32_e32 v2, 1, v18
	v_lshl_or_b32 v21, v23, 8, v2
	s_and_b32 s1, s1, 0xffff
	s_mov_b32 s3, 0x20000
	s_movk_i32 s2, 0x4000
	v_lshl_or_b32 v24, v20, 8, v2
	s_movk_i32 s12, 0x80
	buffer_load_dwordx4 v[6:9], v21, s[0:3], 0 offen
	buffer_load_dwordx4 v[2:5], v21, s[0:3], s12 offen
	;; [unrolled: 1-line block ×4, first 2 shown]
	v_lshrrev_b32_e32 v21, 3, v18
	v_lshlrev_b32_e32 v24, 3, v23
	v_or_b32_e32 v21, v24, v21
	v_lshlrev_b32_e32 v21, 4, v21
	v_and_b32_e32 v24, 0x78, v24
	v_xor_b32_e32 v24, v21, v24
	v_lshlrev_b32_e32 v21, 7, v20
.LBB407_31:
	s_lshl_b64 s[0:1], s[40:41], 8
	s_add_u32 s4, s4, s0
	s_movk_i32 s0, 0x1000
	v_and_or_b32 v20, v21, s0, v24
	s_waitcnt vmcnt(1)
	ds_write_b64 v24, v[6:7] offset:24576
	v_xor_b32_e32 v6, 8, v24
	ds_write_b64 v6, v[8:9] offset:24576
	s_waitcnt vmcnt(0)
	ds_write_b64 v24, v[2:3] offset:32768
	ds_write_b64 v6, v[4:5] offset:32768
	;; [unrolled: 1-line block ×3, first 2 shown]
	v_xor_b32_e32 v2, 8, v20
	ds_write_b64 v2, v[16:17] offset:24576
	ds_write_b64 v20, v[10:11] offset:32768
	;; [unrolled: 1-line block ×3, first 2 shown]
	v_or_b32_e32 v2, v1, v45
	v_lshlrev_b32_e32 v3, 11, v63
	v_lshlrev_b32_e32 v2, 3, v2
	v_and_b32_e32 v6, 0x1000, v3
	v_lshrrev_b32_e32 v3, 5, v62
	s_movk_i32 s13, 0xf8
	v_and_or_b32 v3, v2, s13, v3
	v_lshlrev_b32_e32 v7, 4, v3
	v_and_b32_e32 v8, 0x78, v2
	v_or_b32_e32 v10, 32, v7
	v_lshrrev_b32_e32 v3, 1, v62
	v_xor_b32_e32 v10, v10, v8
	v_xor_b32_e32 v2, v7, v8
	v_and_b32_e32 v9, 8, v3
	v_or_b32_e32 v10, v10, v6
	v_or_b32_e32 v2, v2, v6
	v_xor_b32_e32 v26, v10, v9
	v_or_b32_e32 v10, 64, v7
	v_xor_b32_e32 v25, v2, v9
	v_xor_b32_e32 v10, v10, v8
	s_waitcnt lgkmcnt(0)
	s_barrier
	v_or_b32_e32 v12, v10, v6
	ds_read_b64 v[10:11], v25 offset:24576
	v_lshl_or_b32 v20, v64, 7, v22
	v_lshlrev_b32_e32 v24, 1, v20
	v_add_u32_e32 v2, 0xa000, v24
	ds_read2_b64 v[2:5], v2 offset1:16
	v_or_b32_e32 v7, 0x60, v7
	v_xor_b32_e32 v7, v7, v8
	s_waitcnt lgkmcnt(0)
	v_mfma_f32_16x16x16_bf16 a[0:3], v[10:11], v[2:3], 0
	v_or_b32_e32 v2, 64, v20
	v_or_b32_e32 v6, v7, v6
	v_lshlrev_b32_e32 v29, 1, v2
	v_xor_b32_e32 v27, v12, v9
	v_xor_b32_e32 v28, v6, v9
	ds_read_b64 v[12:13], v26 offset:24576
	ds_read_b64 v[14:15], v27 offset:24576
	ds_read_b64 v[16:17], v28 offset:24576
	v_mfma_f32_16x16x16_bf16 a[4:7], v[10:11], v[4:5], 0
	ds_read2st64_b64 v[2:5], v29 offset0:82 offset1:84
	ds_read2st64_b64 v[6:9], v24 offset0:82 offset1:84
	s_addc_u32 s5, s5, s1
	s_add_i32 s2, s39, -1
	s_add_i32 s0, s45, s44
	s_add_i32 s21, s0, s46
	s_mul_i32 s0, s33, s23
	s_mul_hi_u32 s1, s33, s22
	s_ashr_i32 s3, s2, 31
	s_mul_i32 s12, s2, s35
	s_mul_hi_u32 s13, s2, s34
	s_add_i32 s0, s1, s0
	s_mul_i32 s1, s16, s22
	s_add_i32 s12, s13, s12
	s_mul_i32 s3, s3, s34
	s_waitcnt lgkmcnt(1)
	v_mfma_f32_16x16x16_bf16 a[4:7], v[12:13], v[2:3], a[4:7]
	s_add_i32 s1, s0, s1
	s_add_i32 s3, s12, s3
	s_lshl_b64 s[12:13], s[20:21], 2
	s_waitcnt lgkmcnt(0)
	v_mfma_f32_16x16x16_bf16 a[0:3], v[12:13], v[6:7], a[0:3]
	s_mul_i32 s0, s33, s22
	s_add_u32 s10, s10, s12
	s_addc_u32 s11, s11, s13
	s_lshl_b64 s[0:1], s[0:1], 2
	s_mul_i32 s2, s2, s34
	s_add_u32 s10, s10, s0
	ds_read_b64 v[2:3], v24 offset:44032
	v_mfma_f32_16x16x16_bf16 a[4:7], v[14:15], v[4:5], a[4:7]
	ds_read_b64 v[4:5], v29 offset:44032
	s_addc_u32 s11, s11, s1
	s_lshl_b64 s[0:1], s[2:3], 2
	v_mfma_f32_16x16x16_bf16 a[0:3], v[14:15], v[8:9], a[0:3]
	s_add_u32 s0, s10, s0
	s_addc_u32 s1, s11, s1
	s_load_dword s12, s[0:1], 0x0
	s_waitcnt lgkmcnt(0)
	v_mfma_f32_16x16x16_bf16 a[0:3], v[16:17], v[2:3], a[0:3]
	s_and_b64 vcc, exec, s[30:31]
	v_mfma_f32_16x16x16_bf16 a[4:7], v[16:17], v[4:5], a[4:7]
	s_cbranch_vccz .LBB407_42
; %bb.32:
	v_lshlrev_b32_e32 v20, 1, v23
	s_and_b64 vcc, exec, s[6:7]
	s_cbranch_vccz .LBB407_43
; %bb.33:
	v_cmp_gt_i32_e32 vcc, s42, v20
	v_mov_b32_e32 v6, 0
	v_mov_b32_e32 v2, 0
	;; [unrolled: 1-line block ×5, first 2 shown]
	s_and_saveexec_b64 s[0:1], vcc
	s_cbranch_execz .LBB407_35
; %bb.34:
	v_mad_i64_i32 v[2:3], s[2:3], s19, v20, 0
	v_lshl_add_u64 v[2:3], v[2:3], 1, s[4:5]
	v_lshlrev_b32_e32 v4, 1, v18
	v_mov_b32_e32 v5, 0
	v_lshl_add_u64 v[2:3], v[2:3], 0, v[4:5]
	global_load_dwordx4 v[2:5], v[2:3], off
.LBB407_35:
	s_or_b64 exec, exec, s[0:1]
	v_or_b32_e32 v21, 1, v20
	v_cmp_gt_i32_e64 s[0:1], s42, v21
	v_mov_b32_e32 v7, 0
	v_mov_b32_e32 v8, 0
	;; [unrolled: 1-line block ×3, first 2 shown]
	s_and_saveexec_b64 s[2:3], s[0:1]
	s_cbranch_execz .LBB407_37
; %bb.36:
	v_mad_i64_i32 v[6:7], s[16:17], s19, v21, 0
	v_lshl_add_u64 v[6:7], v[6:7], 1, s[4:5]
	v_lshlrev_b32_e32 v8, 1, v18
	v_mov_b32_e32 v9, 0
	v_lshl_add_u64 v[6:7], v[6:7], 0, v[8:9]
	global_load_dwordx4 v[6:9], v[6:7], off
.LBB407_37:
	s_or_b64 exec, exec, s[2:3]
	v_mov_b32_e32 v17, 0
	v_mov_b32_e32 v10, 0
	;; [unrolled: 1-line block ×5, first 2 shown]
	s_and_saveexec_b64 s[2:3], vcc
	s_cbranch_execz .LBB407_39
; %bb.38:
	v_mad_i64_i32 v[10:11], s[16:17], s19, v20, 0
	v_lshl_add_u64 v[10:11], v[10:11], 1, s[4:5]
	v_lshlrev_b32_e32 v12, 1, v18
	v_mov_b32_e32 v13, 0
	v_lshl_add_u64 v[10:11], v[10:11], 0, v[12:13]
	global_load_dwordx4 v[10:13], v[10:11], off offset:128
.LBB407_39:
	s_or_b64 exec, exec, s[2:3]
	v_mov_b32_e32 v16, 0
	v_mov_b32_e32 v15, 0
	;; [unrolled: 1-line block ×3, first 2 shown]
	s_and_saveexec_b64 s[2:3], s[0:1]
	s_cbranch_execz .LBB407_41
; %bb.40:
	v_mad_i64_i32 v[14:15], s[0:1], s19, v21, 0
	v_lshl_add_u64 v[14:15], v[14:15], 1, s[4:5]
	v_lshlrev_b32_e32 v16, 1, v18
	v_mov_b32_e32 v17, 0
	v_lshl_add_u64 v[14:15], v[14:15], 0, v[16:17]
	global_load_dwordx4 v[14:17], v[14:15], off offset:128
.LBB407_41:
	s_or_b64 exec, exec, s[2:3]
	s_branch .LBB407_45
.LBB407_42:
                                        ; implicit-def: $vgpr5
                                        ; implicit-def: $vgpr9
                                        ; implicit-def: $vgpr13
                                        ; implicit-def: $vgpr17
	v_lshrrev_b32_e32 v30, 2, v62
	s_branch .LBB407_46
.LBB407_43:
                                        ; implicit-def: $vgpr5
                                        ; implicit-def: $vgpr9
                                        ; implicit-def: $vgpr13
                                        ; implicit-def: $vgpr17
	s_cbranch_execz .LBB407_45
; %bb.44:
	s_waitcnt vmcnt(0)
	v_mad_u64_u32 v[2:3], s[0:1], v20, s19, v[18:19]
	v_lshlrev_b32_e32 v20, 1, v2
	s_lshl_b32 s2, s19, 7
	s_and_b32 s1, s5, 0xffff
	s_mov_b32 s3, 0x20000
	s_mov_b32 s0, s4
	v_add_lshl_u32 v21, v2, s19, 1
	s_movk_i32 s13, 0x80
	buffer_load_dwordx4 v[2:5], v20, s[0:3], 0 offen
	buffer_load_dwordx4 v[10:13], v20, s[0:3], s13 offen
	;; [unrolled: 1-line block ×4, first 2 shown]
.LBB407_45:
	v_lshrrev_b32_e32 v30, 2, v62
	s_cbranch_execnz .LBB407_58
.LBB407_46:
	s_and_b64 vcc, exec, s[6:7]
	s_cbranch_vccz .LBB407_56
; %bb.47:
	s_waitcnt vmcnt(0)
	v_lshlrev_b32_e32 v7, 1, v23
	v_cmp_gt_i32_e32 vcc, s42, v7
	v_mov_b32_e32 v6, 0
	v_lshlrev_b32_e32 v14, 9, v23
	v_mov_b32_e32 v2, 0
	v_mov_b32_e32 v3, 0
	;; [unrolled: 1-line block ×4, first 2 shown]
	s_and_saveexec_b64 s[0:1], vcc
	s_cbranch_execz .LBB407_49
; %bb.48:
	v_mov_b32_e32 v15, 0
	v_lshl_add_u64 v[2:3], s[4:5], 0, v[14:15]
	v_lshlrev_b32_e32 v4, 1, v18
	v_mov_b32_e32 v5, v15
	v_lshl_add_u64 v[2:3], v[2:3], 0, v[4:5]
	global_load_dwordx4 v[2:5], v[2:3], off
.LBB407_49:
	s_or_b64 exec, exec, s[0:1]
	v_or_b32_e32 v7, 1, v7
	v_cmp_gt_i32_e64 s[0:1], s42, v7
	v_lshlrev_b32_e32 v20, 8, v7
	v_mov_b32_e32 v7, 0
	v_mov_b32_e32 v8, 0
	;; [unrolled: 1-line block ×3, first 2 shown]
	s_and_saveexec_b64 s[2:3], s[0:1]
	s_cbranch_execz .LBB407_51
; %bb.50:
	v_mov_b32_e32 v21, 0
	v_lshl_add_u64 v[6:7], s[4:5], 0, v[20:21]
	v_lshlrev_b32_e32 v8, 1, v18
	v_mov_b32_e32 v9, v21
	v_lshl_add_u64 v[6:7], v[6:7], 0, v[8:9]
	global_load_dwordx4 v[6:9], v[6:7], off
.LBB407_51:
	s_or_b64 exec, exec, s[2:3]
	v_mov_b32_e32 v17, 0
	v_mov_b32_e32 v10, 0
	;; [unrolled: 1-line block ×5, first 2 shown]
	s_and_saveexec_b64 s[2:3], vcc
	s_cbranch_execz .LBB407_53
; %bb.52:
	v_mov_b32_e32 v15, 0
	v_lshl_add_u64 v[10:11], s[4:5], 0, v[14:15]
	v_lshlrev_b32_e32 v14, 1, v18
	v_lshl_add_u64 v[10:11], v[10:11], 0, v[14:15]
	global_load_dwordx4 v[10:13], v[10:11], off offset:128
.LBB407_53:
	s_or_b64 exec, exec, s[2:3]
	v_mov_b32_e32 v16, 0
	v_mov_b32_e32 v15, 0
	;; [unrolled: 1-line block ×3, first 2 shown]
	s_and_saveexec_b64 s[2:3], s[0:1]
	s_cbranch_execz .LBB407_55
; %bb.54:
	v_mov_b32_e32 v21, 0
	v_lshl_add_u64 v[14:15], s[4:5], 0, v[20:21]
	v_lshlrev_b32_e32 v20, 1, v18
	v_lshl_add_u64 v[14:15], v[14:15], 0, v[20:21]
	global_load_dwordx4 v[14:17], v[14:15], off offset:128
.LBB407_55:
	s_or_b64 exec, exec, s[2:3]
	s_branch .LBB407_58
.LBB407_56:
                                        ; implicit-def: $vgpr5
                                        ; implicit-def: $vgpr9
                                        ; implicit-def: $vgpr13
                                        ; implicit-def: $vgpr17
	s_cbranch_execz .LBB407_58
; %bb.57:
	s_waitcnt vmcnt(0)
	v_lshlrev_b32_e32 v2, 1, v18
	v_lshl_or_b32 v18, v23, 9, v2
	s_and_b32 s5, s5, 0xffff
	s_mov_b32 s7, 0x20000
	s_movk_i32 s6, 0x4000
	s_movk_i32 s0, 0x80
	buffer_load_dwordx4 v[2:5], v18, s[4:7], 0 offen
	buffer_load_dwordx4 v[6:9], v18, s[4:7], 0 offen offset:256
	buffer_load_dwordx4 v[10:13], v18, s[4:7], s0 offen
	buffer_load_dwordx4 v[14:17], v18, s[4:7], s0 offen offset:256
.LBB407_58:
	ds_read_b64 v[20:21], v25 offset:32768
	v_add_u32_e32 v18, 0xb000, v24
	ds_read2_b64 v[32:35], v18 offset1:16
	ds_read_b64 v[40:41], v26 offset:32768
	ds_read_b64 v[26:27], v27 offset:32768
	;; [unrolled: 1-line block ×3, first 2 shown]
	v_and_b32_e32 v18, 6, v0
	v_xor_b32_e32 v23, v23, v18
	v_lshlrev_b32_e32 v23, 2, v23
	v_and_b32_e32 v0, 1, v0
	v_xor_b32_e32 v28, 0x440, v23
	v_cmp_eq_u32_e32 vcc, 0, v0
	s_waitcnt lgkmcnt(3)
	v_mfma_f32_16x16x16_bf16 a[0:3], v[20:21], v[32:33], a[0:3]
	s_mov_b32 s0, 0x1000504
	v_cndmask_b32_e32 v0, v28, v23, vcc
	v_lshl_or_b32 v0, v18, 10, v0
	v_mfma_f32_16x16x16_bf16 a[4:7], v[20:21], v[34:35], a[4:7]
	ds_read2st64_b64 v[32:35], v24 offset0:90 offset1:92
	ds_read2st64_b64 v[36:39], v29 offset0:90 offset1:92
	ds_read_b64 v[20:21], v24 offset:48128
	ds_read_b64 v[24:25], v29 offset:48128
	s_waitcnt vmcnt(0)
	v_perm_b32 v18, v2, v6, s0
	s_waitcnt lgkmcnt(3)
	v_mfma_f32_16x16x16_bf16 a[0:3], v[40:41], v[32:33], a[0:3]
	s_mov_b32 s1, 0x3020706
	v_perm_b32 v2, v2, v6, s1
	v_perm_b32 v6, v10, v14, s1
	s_waitcnt lgkmcnt(2)
	v_mfma_f32_16x16x16_bf16 a[4:7], v[40:41], v[36:37], a[4:7]
	v_mfma_f32_16x16x16_bf16 a[0:3], v[26:27], v[34:35], a[0:3]
	v_mfma_f32_16x16x16_bf16 a[8:11], v[26:27], v[38:39], a[4:7]
	s_waitcnt lgkmcnt(1)
	v_mfma_f32_16x16x16_bf16 a[4:7], v[42:43], v[20:21], a[0:3]
	v_perm_b32 v20, v10, v14, s0
	ds_write2st64_b32 v0, v18, v20 offset0:32 offset1:64
	v_xor_b32_e32 v18, 8, v0
	v_add_u32_e32 v10, 0x80, v18
	ds_write2st64_b32 v10, v2, v6 offset0:32 offset1:64
	v_xor_b32_e32 v2, 16, v0
	v_perm_b32 v6, v3, v7, s0
	v_perm_b32 v10, v11, v15, s0
	ds_write2st64_b32 v2, v6, v10 offset0:33 offset1:65
	v_xor_b32_e32 v2, 24, v0
	v_perm_b32 v3, v3, v7, s1
	v_perm_b32 v6, v11, v15, s1
	v_add_u32_e32 v2, 0x80, v2
	ds_write2st64_b32 v2, v3, v6 offset0:33 offset1:65
	v_xor_b32_e32 v2, 32, v0
	v_perm_b32 v3, v4, v8, s0
	v_perm_b32 v6, v12, v16, s0
	s_waitcnt lgkmcnt(4)
	v_mfma_f32_16x16x16_bf16 a[0:3], v[42:43], v[24:25], a[8:11]
	ds_write2st64_b32 v2, v3, v6 offset0:34 offset1:66
	v_xor_b32_e32 v2, 40, v0
	v_perm_b32 v3, v4, v8, s1
	v_perm_b32 v4, v12, v16, s1
	v_add_u32_e32 v2, 0x80, v2
	ds_write2st64_b32 v2, v3, v4 offset0:34 offset1:66
	v_xor_b32_e32 v2, 48, v0
	v_perm_b32 v3, v5, v9, s0
	v_perm_b32 v4, v13, v17, s0
	v_xor_b32_e32 v0, 56, v0
	v_and_or_b32 v21, v30, 12, v1
	ds_write2st64_b32 v2, v3, v4 offset0:35 offset1:67
	v_perm_b32 v2, v5, v9, s1
	v_perm_b32 v3, v13, v17, s1
	v_add_u32_e32 v0, 0x80, v0
	v_cmp_gt_i32_e32 vcc, s42, v21
	v_mov_b32_e32 v16, 0
	v_mov_b32_e32 v18, 0
	ds_write2st64_b32 v0, v2, v3 offset0:35 offset1:67
	s_and_saveexec_b64 s[0:1], vcc
	s_cbranch_execz .LBB407_60
; %bb.59:
	v_add_u32_e32 v0, s38, v21
	v_ashrrev_i32_e32 v1, 31, v0
	v_mul_lo_u32 v2, v1, s34
	v_mul_lo_u32 v3, v0, s35
	v_mad_u64_u32 v[0:1], s[2:3], v0, s34, 0
	v_add3_u32 v1, v1, v3, v2
	v_lshl_add_u64 v[0:1], v[0:1], 2, s[10:11]
	global_load_dword v0, v[0:1], off
	s_waitcnt vmcnt(0)
	v_sub_f32_e32 v0, s12, v0
	v_exp_f32_e32 v18, v0
.LBB407_60:
	s_or_b64 exec, exec, s[0:1]
	v_or_b32_e32 v10, 1, v21
	v_cmp_gt_i32_e64 s[2:3], s42, v10
	s_and_saveexec_b64 s[0:1], s[2:3]
	s_cbranch_execz .LBB407_62
; %bb.61:
	v_add_u32_e32 v0, s38, v10
	v_ashrrev_i32_e32 v1, 31, v0
	v_mul_lo_u32 v2, v1, s34
	v_mul_lo_u32 v3, v0, s35
	v_mad_u64_u32 v[0:1], s[4:5], v0, s34, 0
	v_add3_u32 v1, v1, v3, v2
	v_lshl_add_u64 v[0:1], v[0:1], 2, s[10:11]
	global_load_dword v0, v[0:1], off
	s_waitcnt vmcnt(0)
	v_sub_f32_e32 v0, s12, v0
	v_exp_f32_e32 v16, v0
.LBB407_62:
	s_or_b64 exec, exec, s[0:1]
	v_or_b32_e32 v12, 2, v21
	v_cmp_gt_i32_e64 s[0:1], s42, v12
	v_mov_b32_e32 v17, 0
	v_mov_b32_e32 v20, 0
	s_and_saveexec_b64 s[4:5], s[0:1]
	s_cbranch_execz .LBB407_64
; %bb.63:
	v_add_u32_e32 v0, s38, v12
	v_ashrrev_i32_e32 v1, 31, v0
	v_mul_lo_u32 v2, v1, s34
	v_mul_lo_u32 v3, v0, s35
	v_mad_u64_u32 v[0:1], s[6:7], v0, s34, 0
	v_add3_u32 v1, v1, v3, v2
	v_lshl_add_u64 v[0:1], v[0:1], 2, s[10:11]
	global_load_dword v0, v[0:1], off
	s_waitcnt vmcnt(0)
	v_sub_f32_e32 v0, s12, v0
	v_exp_f32_e32 v20, v0
.LBB407_64:
	s_or_b64 exec, exec, s[4:5]
	v_or_b32_e32 v14, 3, v21
	v_cmp_gt_i32_e64 s[4:5], s42, v14
	s_and_saveexec_b64 s[6:7], s[4:5]
	s_cbranch_execz .LBB407_66
; %bb.65:
	v_add_u32_e32 v0, s38, v14
	v_ashrrev_i32_e32 v1, 31, v0
	v_mul_lo_u32 v2, v1, s34
	v_mul_lo_u32 v3, v0, s35
	v_mad_u64_u32 v[0:1], s[16:17], v0, s34, 0
	v_add3_u32 v1, v1, v3, v2
	v_lshl_add_u64 v[0:1], v[0:1], 2, s[10:11]
	global_load_dword v0, v[0:1], off
	s_waitcnt vmcnt(0)
	v_sub_f32_e32 v0, s12, v0
	v_exp_f32_e32 v17, v0
.LBB407_66:
	s_or_b64 exec, exec, s[6:7]
	s_add_u32 s6, s8, s28
	v_or_b32_e32 v4, s36, v45
	s_addc_u32 s7, s9, s29
	s_add_u32 s8, s14, s28
	v_ashrrev_i32_e32 v5, 31, v4
	v_accvgpr_read_b32 v0, a4
	s_addc_u32 s9, s15, s29
	v_lshlrev_b64 v[4:5], 1, v[4:5]
	v_accvgpr_read_b32 v1, a5
	v_accvgpr_read_b32 v2, a6
	;; [unrolled: 1-line block ×3, first 2 shown]
	v_lshl_add_u64 v[6:7], s[6:7], 0, v[4:5]
	v_lshl_add_u64 v[4:5], s[8:9], 0, v[4:5]
	v_mov_b32_e32 v11, 0
	v_lshlrev_b32_e32 v8, 8, v21
	v_mov_b32_e32 v9, 0
	s_and_saveexec_b64 s[6:7], vcc
	s_cbranch_execz .LBB407_68
; %bb.67:
	v_mov_b32_e32 v9, 0
	v_lshl_add_u64 v[24:25], v[6:7], 0, v[8:9]
	global_load_ushort v13, v[24:25], off
	v_lshl_add_u64 v[24:25], v[4:5], 0, v[8:9]
	s_waitcnt vmcnt(0)
	v_lshlrev_b32_e32 v9, 16, v13
	v_sub_f32_e32 v0, v9, v0
	global_store_short_d16_hi v[24:25], v0, off
	v_mul_f32_e32 v0, v18, v0
	v_lshrrev_b32_e32 v9, 16, v0
.LBB407_68:
	s_or_b64 exec, exec, s[6:7]
	v_lshlrev_b32_e32 v10, 8, v10
	s_and_saveexec_b64 s[6:7], s[2:3]
	s_cbranch_execz .LBB407_70
; %bb.69:
	v_mov_b32_e32 v11, 0
	v_lshl_add_u64 v[24:25], v[6:7], 0, v[10:11]
	global_load_ushort v0, v[24:25], off
	v_lshl_add_u64 v[24:25], v[4:5], 0, v[10:11]
	s_waitcnt vmcnt(0)
	v_lshlrev_b32_e32 v0, 16, v0
	v_sub_f32_e32 v0, v0, v1
	global_store_short_d16_hi v[24:25], v0, off
	v_mul_f32_e32 v0, v16, v0
	v_lshrrev_b32_e32 v11, 16, v0
.LBB407_70:
	s_or_b64 exec, exec, s[6:7]
	v_mov_b32_e32 v15, 0
	v_lshlrev_b32_e32 v12, 8, v12
	v_mov_b32_e32 v13, 0
	s_and_saveexec_b64 s[6:7], s[0:1]
	s_cbranch_execz .LBB407_72
; %bb.71:
	v_mov_b32_e32 v13, 0
	v_lshl_add_u64 v[0:1], v[6:7], 0, v[12:13]
	global_load_ushort v23, v[0:1], off
	v_lshl_add_u64 v[0:1], v[4:5], 0, v[12:13]
	s_waitcnt vmcnt(0)
	v_lshlrev_b32_e32 v13, 16, v23
	v_sub_f32_e32 v2, v13, v2
	global_store_short_d16_hi v[0:1], v2, off
	v_mul_f32_e32 v0, v20, v2
	v_lshrrev_b32_e32 v13, 16, v0
.LBB407_72:
	s_or_b64 exec, exec, s[6:7]
	v_lshlrev_b32_e32 v14, 8, v14
	s_and_saveexec_b64 s[6:7], s[4:5]
	s_cbranch_execz .LBB407_74
; %bb.73:
	v_mov_b32_e32 v15, 0
	v_lshl_add_u64 v[0:1], v[6:7], 0, v[14:15]
	global_load_ushort v2, v[0:1], off
	v_lshl_add_u64 v[0:1], v[4:5], 0, v[14:15]
	s_waitcnt vmcnt(0)
	v_lshlrev_b32_e32 v2, 16, v2
	v_sub_f32_e32 v2, v2, v3
	global_store_short_d16_hi v[0:1], v2, off
	v_mul_f32_e32 v0, v17, v2
	v_lshrrev_b32_e32 v15, 16, v0
.LBB407_74:
	s_or_b64 exec, exec, s[6:7]
	v_lshlrev_b32_e32 v21, 5, v21
	s_mov_b32 s6, 0x5040100
	v_perm_b32 v24, v11, v9, s6
	v_or_b32_e32 v9, v21, v22
	v_accvgpr_read_b32 v0, a0
	v_perm_b32 v25, v15, v13, s6
	v_lshlrev_b32_e32 v9, 1, v9
	v_accvgpr_read_b32 v1, a1
	v_accvgpr_read_b32 v2, a2
	;; [unrolled: 1-line block ×3, first 2 shown]
	ds_write_b64 v9, v[24:25] offset:45056
	v_mov_b32_e32 v11, 0
	v_mov_b32_e32 v9, 0
	s_and_saveexec_b64 s[6:7], vcc
	s_cbranch_execz .LBB407_76
; %bb.75:
	v_mov_b32_e32 v9, 0
	v_lshl_add_u64 v[22:23], v[6:7], 0, v[8:9]
	global_load_ushort v13, v[22:23], off offset:32
	v_lshl_add_u64 v[8:9], v[4:5], 0, v[8:9]
	s_waitcnt vmcnt(0)
	v_lshlrev_b32_e32 v13, 16, v13
	v_sub_f32_e32 v0, v13, v0
	global_store_short_d16_hi v[8:9], v0, off offset:32
	v_mul_f32_e32 v0, v18, v0
	v_lshrrev_b32_e32 v9, 16, v0
.LBB407_76:
	s_or_b64 exec, exec, s[6:7]
	s_and_saveexec_b64 s[6:7], s[2:3]
	s_cbranch_execz .LBB407_78
; %bb.77:
	v_mov_b32_e32 v11, 0
	v_lshl_add_u64 v[22:23], v[6:7], 0, v[10:11]
	global_load_ushort v0, v[22:23], off offset:32
	v_lshl_add_u64 v[10:11], v[4:5], 0, v[10:11]
	s_waitcnt vmcnt(0)
	v_lshlrev_b32_e32 v0, 16, v0
	v_sub_f32_e32 v0, v0, v1
	global_store_short_d16_hi v[10:11], v0, off offset:32
	v_mul_f32_e32 v0, v16, v0
	v_lshrrev_b32_e32 v11, 16, v0
.LBB407_78:
	s_or_b64 exec, exec, s[6:7]
	v_mov_b32_e32 v0, 0
	v_mov_b32_e32 v1, 0
	s_and_saveexec_b64 s[2:3], s[0:1]
	s_cbranch_execz .LBB407_80
; %bb.79:
	v_mov_b32_e32 v13, 0
	v_lshl_add_u64 v[22:23], v[6:7], 0, v[12:13]
	global_load_ushort v1, v[22:23], off offset:32
	v_lshl_add_u64 v[12:13], v[4:5], 0, v[12:13]
	s_waitcnt vmcnt(0)
	v_lshlrev_b32_e32 v1, 16, v1
	v_sub_f32_e32 v1, v1, v2
	global_store_short_d16_hi v[12:13], v1, off offset:32
	v_mul_f32_e32 v1, v20, v1
	v_lshrrev_b32_e32 v1, 16, v1
.LBB407_80:
	s_or_b64 exec, exec, s[2:3]
	s_and_saveexec_b64 s[0:1], s[4:5]
	s_cbranch_execz .LBB407_82
; %bb.81:
	v_mov_b32_e32 v15, 0
	v_lshl_add_u64 v[6:7], v[6:7], 0, v[14:15]
	global_load_ushort v0, v[6:7], off offset:32
	v_lshl_add_u64 v[4:5], v[4:5], 0, v[14:15]
	s_waitcnt vmcnt(0)
	v_lshlrev_b32_e32 v0, 16, v0
	v_sub_f32_e32 v0, v0, v3
	global_store_short_d16_hi v[4:5], v0, off offset:32
	v_mul_f32_e32 v0, v17, v0
	v_lshrrev_b32_e32 v0, 16, v0
.LBB407_82:
	s_or_b64 exec, exec, s[0:1]
	s_mov_b32 s0, 0x5040100
	v_or_b32_e32 v2, v21, v19
	v_perm_b32 v1, v0, v1, s0
	v_perm_b32 v0, v11, v9, s0
	v_lshlrev_b32_e32 v2, 1, v2
	ds_write_b64 v2, v[0:1] offset:45056
	s_waitcnt lgkmcnt(0)
	s_barrier
.LBB407_83:
	s_endpgm
	.section	.rodata,"a",@progbits
	.p2align	6, 0x0
	.amdhsa_kernel _ZN12_GLOBAL__N_139chunk_gated_delta_rule_fwd_h_hip_kernelILi32ELb0ELb0ELb1ELb1ELb1ELb1ELb0ELb0EEEvPK12hip_bfloat16S3_S3_PKfS5_PKvPS1_S8_PvPKiSB_iiiiilll
		.amdhsa_group_segment_fixed_size 49152
		.amdhsa_private_segment_fixed_size 0
		.amdhsa_kernarg_size 136
		.amdhsa_user_sgpr_count 2
		.amdhsa_user_sgpr_dispatch_ptr 0
		.amdhsa_user_sgpr_queue_ptr 0
		.amdhsa_user_sgpr_kernarg_segment_ptr 1
		.amdhsa_user_sgpr_dispatch_id 0
		.amdhsa_user_sgpr_kernarg_preload_length 0
		.amdhsa_user_sgpr_kernarg_preload_offset 0
		.amdhsa_user_sgpr_private_segment_size 0
		.amdhsa_uses_dynamic_stack 0
		.amdhsa_enable_private_segment 0
		.amdhsa_system_sgpr_workgroup_id_x 1
		.amdhsa_system_sgpr_workgroup_id_y 1
		.amdhsa_system_sgpr_workgroup_id_z 0
		.amdhsa_system_sgpr_workgroup_info 0
		.amdhsa_system_vgpr_workitem_id 0
		.amdhsa_next_free_vgpr 164
		.amdhsa_next_free_sgpr 63
		.amdhsa_accum_offset 144
		.amdhsa_reserve_vcc 1
		.amdhsa_float_round_mode_32 0
		.amdhsa_float_round_mode_16_64 0
		.amdhsa_float_denorm_mode_32 3
		.amdhsa_float_denorm_mode_16_64 3
		.amdhsa_dx10_clamp 1
		.amdhsa_ieee_mode 1
		.amdhsa_fp16_overflow 0
		.amdhsa_tg_split 0
		.amdhsa_exception_fp_ieee_invalid_op 0
		.amdhsa_exception_fp_denorm_src 0
		.amdhsa_exception_fp_ieee_div_zero 0
		.amdhsa_exception_fp_ieee_overflow 0
		.amdhsa_exception_fp_ieee_underflow 0
		.amdhsa_exception_fp_ieee_inexact 0
		.amdhsa_exception_int_div_zero 0
	.end_amdhsa_kernel
	.section	.text._ZN12_GLOBAL__N_139chunk_gated_delta_rule_fwd_h_hip_kernelILi32ELb0ELb0ELb1ELb1ELb1ELb1ELb0ELb0EEEvPK12hip_bfloat16S3_S3_PKfS5_PKvPS1_S8_PvPKiSB_iiiiilll,"axG",@progbits,_ZN12_GLOBAL__N_139chunk_gated_delta_rule_fwd_h_hip_kernelILi32ELb0ELb0ELb1ELb1ELb1ELb1ELb0ELb0EEEvPK12hip_bfloat16S3_S3_PKfS5_PKvPS1_S8_PvPKiSB_iiiiilll,comdat
.Lfunc_end407:
	.size	_ZN12_GLOBAL__N_139chunk_gated_delta_rule_fwd_h_hip_kernelILi32ELb0ELb0ELb1ELb1ELb1ELb1ELb0ELb0EEEvPK12hip_bfloat16S3_S3_PKfS5_PKvPS1_S8_PvPKiSB_iiiiilll, .Lfunc_end407-_ZN12_GLOBAL__N_139chunk_gated_delta_rule_fwd_h_hip_kernelILi32ELb0ELb0ELb1ELb1ELb1ELb1ELb0ELb0EEEvPK12hip_bfloat16S3_S3_PKfS5_PKvPS1_S8_PvPKiSB_iiiiilll
                                        ; -- End function
	.section	.AMDGPU.csdata,"",@progbits
; Kernel info:
; codeLenInByte = 8696
; NumSgprs: 69
; NumVgprs: 142
; NumAgprs: 20
; TotalNumVgprs: 164
; ScratchSize: 0
; MemoryBound: 0
; FloatMode: 240
; IeeeMode: 1
; LDSByteSize: 49152 bytes/workgroup (compile time only)
; SGPRBlocks: 8
; VGPRBlocks: 20
; NumSGPRsForWavesPerEU: 69
; NumVGPRsForWavesPerEU: 164
; AccumOffset: 144
; Occupancy: 1
; WaveLimiterHint : 1
; COMPUTE_PGM_RSRC2:SCRATCH_EN: 0
; COMPUTE_PGM_RSRC2:USER_SGPR: 2
; COMPUTE_PGM_RSRC2:TRAP_HANDLER: 0
; COMPUTE_PGM_RSRC2:TGID_X_EN: 1
; COMPUTE_PGM_RSRC2:TGID_Y_EN: 1
; COMPUTE_PGM_RSRC2:TGID_Z_EN: 0
; COMPUTE_PGM_RSRC2:TIDIG_COMP_CNT: 0
; COMPUTE_PGM_RSRC3_GFX90A:ACCUM_OFFSET: 35
; COMPUTE_PGM_RSRC3_GFX90A:TG_SPLIT: 0
	.section	.text._ZN12_GLOBAL__N_139chunk_gated_delta_rule_fwd_h_hip_kernelILi32ELb0ELb0ELb0ELb1ELb1ELb1ELb0ELb0EEEvPK12hip_bfloat16S3_S3_PKfS5_PKvPS1_S8_PvPKiSB_iiiiilll,"axG",@progbits,_ZN12_GLOBAL__N_139chunk_gated_delta_rule_fwd_h_hip_kernelILi32ELb0ELb0ELb0ELb1ELb1ELb1ELb0ELb0EEEvPK12hip_bfloat16S3_S3_PKfS5_PKvPS1_S8_PvPKiSB_iiiiilll,comdat
	.globl	_ZN12_GLOBAL__N_139chunk_gated_delta_rule_fwd_h_hip_kernelILi32ELb0ELb0ELb0ELb1ELb1ELb1ELb0ELb0EEEvPK12hip_bfloat16S3_S3_PKfS5_PKvPS1_S8_PvPKiSB_iiiiilll ; -- Begin function _ZN12_GLOBAL__N_139chunk_gated_delta_rule_fwd_h_hip_kernelILi32ELb0ELb0ELb0ELb1ELb1ELb1ELb0ELb0EEEvPK12hip_bfloat16S3_S3_PKfS5_PKvPS1_S8_PvPKiSB_iiiiilll
	.p2align	8
	.type	_ZN12_GLOBAL__N_139chunk_gated_delta_rule_fwd_h_hip_kernelILi32ELb0ELb0ELb0ELb1ELb1ELb1ELb0ELb0EEEvPK12hip_bfloat16S3_S3_PKfS5_PKvPS1_S8_PvPKiSB_iiiiilll,@function
_ZN12_GLOBAL__N_139chunk_gated_delta_rule_fwd_h_hip_kernelILi32ELb0ELb0ELb0ELb1ELb1ELb1ELb0ELb0EEEvPK12hip_bfloat16S3_S3_PKfS5_PKvPS1_S8_PvPKiSB_iiiiilll: ; @_ZN12_GLOBAL__N_139chunk_gated_delta_rule_fwd_h_hip_kernelILi32ELb0ELb0ELb0ELb1ELb1ELb1ELb0ELb0EEEvPK12hip_bfloat16S3_S3_PKfS5_PKvPS1_S8_PvPKiSB_iiiiilll
; %bb.0:
	s_load_dwordx4 s[12:15], s[0:1], 0x5c
	s_load_dwordx4 s[16:19], s[0:1], 0x70
	s_abs_i32 s21, s3
	s_ashr_i32 s20, s3, 31
	s_load_dwordx2 s[36:37], s[0:1], 0x30
	s_load_dwordx4 s[24:27], s[0:1], 0x48
	s_waitcnt lgkmcnt(0)
	s_abs_i32 s28, s13
	v_cvt_f32_u32_e32 v1, s28
	s_sub_i32 s22, 0, s28
	s_ashr_i32 s29, s13, 31
	s_xor_b32 s20, s20, s29
	v_rcp_iflag_f32_e32 v1, v1
	s_load_dwordx8 s[4:11], s[0:1], 0x0
	v_lshrrev_b32_e32 v61, 6, v0
	v_bfe_u32 v62, v0, 4, 2
	v_mul_f32_e32 v1, 0x4f7ffffe, v1
	v_cvt_u32_f32_e32 v1, v1
	v_lshlrev_b32_e32 v2, 2, v62
	v_and_b32_e32 v60, 63, v0
	v_mov_b32_e32 v5, 0
	v_readfirstlane_b32 s23, v1
	s_mul_i32 s22, s22, s23
	s_mul_hi_u32 s22, s23, s22
	s_add_i32 s23, s23, s22
	s_mul_hi_u32 s22, s21, s23
	s_mul_i32 s23, s22, s28
	s_sub_i32 s21, s21, s23
	s_add_i32 s30, s22, 1
	s_sub_i32 s23, s21, s28
	s_cmp_ge_u32 s21, s28
	s_cselect_b32 s22, s30, s22
	s_cselect_b32 s21, s23, s21
	s_add_i32 s23, s22, 1
	s_cmp_ge_u32 s21, s28
	s_cselect_b32 s21, s23, s22
	s_xor_b32 s21, s21, s20
	s_sub_i32 s20, s21, s20
	s_mul_i32 s21, s20, s13
	s_sub_i32 s33, s3, s21
	s_ashr_i32 s21, s20, 31
	s_lshl_b64 s[22:23], s[20:21], 2
	s_add_u32 s24, s24, s22
	s_addc_u32 s25, s25, s23
	s_add_u32 s22, s26, s22
	s_addc_u32 s23, s27, s23
	s_abs_i32 s3, s14
	v_cvt_f32_u32_e32 v1, s3
	s_load_dwordx2 s[34:35], s[24:25], 0x0
	s_sub_i32 s25, 0, s3
	s_load_dword s46, s[22:23], 0x0
	v_rcp_iflag_f32_e32 v1, v1
	v_and_b32_e32 v45, 15, v0
	s_waitcnt lgkmcnt(0)
	s_sub_i32 s47, s35, s34
	s_ashr_i32 s24, s47, 31
	v_mul_f32_e32 v1, 0x4f7ffffe, v1
	v_cvt_u32_f32_e32 v1, v1
	s_lshr_b32 s24, s24, 26
	s_add_i32 s24, s47, s24
	s_ashr_i32 s45, s24, 6
	v_readfirstlane_b32 s26, v1
	s_mul_i32 s25, s25, s26
	s_mul_hi_u32 s25, s26, s25
	s_add_i32 s26, s26, s25
	s_mul_hi_u32 s25, s28, s26
	s_mul_i32 s26, s25, s3
	s_ashr_i32 s24, s14, 31
	s_sub_i32 s26, s28, s26
	s_xor_b32 s24, s29, s24
	s_add_i32 s27, s25, 1
	s_sub_i32 s28, s26, s3
	s_cmp_ge_u32 s26, s3
	s_cselect_b32 s25, s27, s25
	s_cselect_b32 s26, s28, s26
	s_add_i32 s27, s25, 1
	s_cmp_ge_u32 s26, s3
	s_cselect_b32 s3, s27, s25
	s_xor_b32 s3, s3, s24
	s_sub_i32 s3, s3, s24
	s_abs_i32 s24, s3
	v_cvt_f32_u32_e32 v1, s24
	s_sub_i32 s23, 0, s24
	s_abs_i32 s22, s33
	s_xor_b32 s3, s33, s3
	v_rcp_iflag_f32_e32 v1, v1
	s_ashr_i32 s3, s3, 31
	s_load_dwordx2 s[28:29], s[0:1], 0x80
	s_mul_hi_i32 s48, s33, s12
	v_mul_f32_e32 v1, 0x4f7ffffe, v1
	v_cvt_u32_f32_e32 v1, v1
	s_mul_i32 s49, s33, s12
	v_lshrrev_b32_e32 v64, 3, v60
	v_lshlrev_b32_e32 v63, 3, v0
	v_readfirstlane_b32 s25, v1
	s_mul_i32 s23, s23, s25
	s_mul_hi_u32 s23, s25, s23
	s_add_i32 s25, s25, s23
	s_mul_hi_u32 s23, s22, s25
	s_mul_i32 s25, s23, s24
	s_sub_i32 s22, s22, s25
	s_add_i32 s25, s23, 1
	s_sub_i32 s26, s22, s24
	s_cmp_ge_u32 s22, s24
	s_cselect_b32 s23, s25, s23
	s_cselect_b32 s22, s26, s22
	s_add_i32 s25, s23, 1
	s_cmp_ge_u32 s22, s24
	s_cselect_b32 s22, s25, s23
	s_xor_b32 s22, s22, s3
	v_lshlrev_b32_e32 v1, 4, v61
	s_sub_i32 s50, s22, s3
	v_or_b32_e32 v65, v2, v1
	s_lshl_b32 s30, s2, 5
	v_or_b32_e32 v66, 64, v65
	s_cmp_lt_i32 s47, 64
	s_mul_i32 s42, s20, s17
	s_mul_hi_u32 s43, s20, s16
	s_mul_i32 s44, s21, s16
	s_mul_i32 s16, s20, s16
	v_mov_b32_e32 v84, 0
	v_mov_b32_e32 v81, 0
	;; [unrolled: 1-line block ×15, first 2 shown]
	s_cbranch_scc1 .LBB408_18
; %bb.1:
	s_ashr_i32 s53, s33, 31
	s_ashr_i32 s3, s34, 31
	s_add_u32 s2, s49, s34
	s_addc_u32 s3, s48, s3
	s_lshl_b64 s[2:3], s[2:3], 8
	v_and_b32_e32 v68, 56, v63
	s_add_u32 s20, s6, s2
	v_lshl_or_b32 v67, v61, 3, v64
	v_lshlrev_b32_e32 v3, 1, v68
	s_addc_u32 s2, s7, s3
	v_lshl_or_b32 v69, v67, 8, v3
	s_and_b32 s21, s2, 0xffff
	s_mov_b32 s23, 0x20000
	s_movk_i32 s22, 0x4000
	s_movk_i32 s2, 0x80
	v_or_b32_e32 v70, 0x2000, v69
	buffer_load_dwordx4 v[4:7], v69, s[20:23], 0 offen
	buffer_load_dwordx4 v[8:11], v69, s[20:23], s2 offen
	;; [unrolled: 1-line block ×4, first 2 shown]
	v_lshlrev_b32_e32 v20, 3, v67
	v_and_or_b32 v22, v0, 7, v20
	v_and_b32_e32 v20, 0x78, v20
	v_lshlrev_b32_e32 v22, 4, v22
	v_xor_b32_e32 v71, v22, v20
	v_mul_lo_u32 v21, v67, s15
	v_or_b32_e32 v72, 0x1000, v71
	s_cmpk_eq_i32 s15, 0x80
	s_mov_b32 s51, s13
	s_mov_b32 s52, s34
	v_xor_b32_e32 v20, 8, v71
	v_xor_b32_e32 v22, 8, v72
	s_cselect_b64 s[2:3], -1, 0
	s_cmpk_lg_i32 s15, 0x80
	s_waitcnt vmcnt(3)
	ds_write_b64 v71, v[4:5] offset:24576
	ds_write_b64 v20, v[6:7] offset:24576
	s_waitcnt vmcnt(2)
	ds_write_b64 v71, v[8:9] offset:32768
	ds_write_b64 v20, v[10:11] offset:32768
	;; [unrolled: 3-line block ×4, first 2 shown]
	v_lshl_add_u32 v4, v21, 1, v68
	s_cbranch_scc0 .LBB408_3
; %bb.2:
	v_lshlrev_b32_e32 v6, 1, v4
	v_add_lshl_u32 v5, v4, s15, 1
	s_lshl_b32 s22, s15, 7
	s_load_dwordx2 s[38:39], s[0:1], 0x20
	v_lshl_or_b32 v3, v67, 9, v3
	s_cbranch_execz .LBB408_4
	s_branch .LBB408_5
.LBB408_3:
                                        ; implicit-def: $vgpr5
                                        ; implicit-def: $vgpr6
                                        ; implicit-def: $sgpr22
	s_load_dwordx2 s[38:39], s[0:1], 0x20
	v_lshl_or_b32 v3, v67, 9, v3
.LBB408_4:
	v_or_b32_e32 v5, 0x100, v3
	s_movk_i32 s22, 0x4000
	v_mov_b32_e32 v6, v3
.LBB408_5:
	s_mul_i32 s0, s34, s14
	s_ashr_i32 s54, s50, 31
	s_mul_hi_i32 s1, s34, s14
	s_add_u32 s0, s0, s50
	s_addc_u32 s1, s1, s54
	s_lshl_b64 s[0:1], s[0:1], 8
	s_add_u32 s20, s4, s0
	s_addc_u32 s0, s5, s1
	s_and_b32 s21, s0, 0xffff
	s_movk_i32 s55, 0x80
	buffer_load_dwordx4 v[8:11], v6, s[20:23], 0 offen
	buffer_load_dwordx4 v[12:15], v6, s[20:23], s55 offen
	;; [unrolled: 1-line block ×4, first 2 shown]
	v_and_b32_e32 v5, 6, v0
	v_lshlrev_b32_e32 v24, 6, v65
	v_or_b32_e32 v26, 16, v45
	v_xor_b32_e32 v27, v67, v5
	v_and_b32_e32 v6, 1, v0
	v_lshl_or_b32 v30, v45, 3, v24
	v_lshl_or_b32 v24, v26, 3, v24
	v_lshlrev_b32_e32 v27, 2, v27
	v_lshlrev_b32_e32 v7, 2, v45
	s_mul_i32 s0, s33, s19
	s_mul_hi_u32 s1, s33, s18
	v_or_b32_e32 v75, 0xa000, v24
	v_or_b32_e32 v76, 0xb000, v24
	v_xor_b32_e32 v24, 0x440, v27
	v_cmp_eq_u32_e32 vcc, 0, v6
	s_add_i32 s17, s43, s42
	s_mul_i32 s20, s53, s18
	v_xor_b32_e32 v28, v65, v7
	v_xor_b32_e32 v29, v66, v7
	v_cndmask_b32_e32 v6, v24, v27, vcc
	s_add_i32 s0, s1, s0
	s_add_i32 s17, s17, s44
	s_mov_b32 s56, 0x1000504
	v_lshlrev_b32_e32 v25, 8, v45
	v_lshlrev_b32_e32 v26, 8, v26
	;; [unrolled: 1-line block ×4, first 2 shown]
	v_lshl_or_b32 v5, v5, 10, v6
	s_add_i32 s1, s0, s20
	s_lshl_b64 s[20:21], s[16:17], 2
	s_mov_b32 s57, 0x3020706
	v_or_b32_e32 v73, 0xa000, v30
	v_or_b32_e32 v74, 0xb000, v30
	v_or_b32_e32 v77, v25, v28
	v_or_b32_e32 v78, v25, v29
	v_or_b32_e32 v80, v26, v29
	v_xor_b32_e32 v6, 8, v5
	v_xor_b32_e32 v25, 24, v5
	;; [unrolled: 1-line block ×4, first 2 shown]
	s_mul_i32 s0, s33, s18
	s_add_u32 s17, s10, s20
	v_or_b32_e32 v79, v26, v28
	v_xor_b32_e32 v24, 16, v5
	v_xor_b32_e32 v26, 32, v5
	;; [unrolled: 1-line block ×3, first 2 shown]
	v_add_u32_e32 v6, 0x80, v6
	v_add_u32_e32 v25, 0x80, v25
	;; [unrolled: 1-line block ×4, first 2 shown]
	s_addc_u32 s20, s11, s21
	s_lshl_b64 s[0:1], s[0:1], 2
	s_add_u32 s40, s17, s0
	s_movk_i32 s0, 0xf8
	s_addc_u32 s41, s20, s1
	s_ashr_i32 s31, s30, 31
	s_lshl_b32 s26, s15, 7
	s_movk_i32 s20, 0x100
	v_mov_b32_e32 v53, 0
	v_lshlrev_b32_e32 v52, 4, v45
	v_cmp_gt_u32_e32 vcc, s20, v0
	s_mov_b32 s58, 0
	s_movk_i32 s17, 0x1000
	s_movk_i32 s22, 0x4000
	v_add_u32_e32 v100, v1, v2
	v_mov_b32_e32 v50, v53
	v_mov_b32_e32 v51, v53
	;; [unrolled: 1-line block ×13, first 2 shown]
	s_waitcnt vmcnt(1)
	v_perm_b32 v30, v8, v16, s56
	s_waitcnt vmcnt(0)
	v_perm_b32 v31, v12, v20, s56
	v_perm_b32 v8, v8, v16, s57
	;; [unrolled: 1-line block ×15, first 2 shown]
	ds_write2st64_b32 v5, v30, v31 offset0:32 offset1:64
	ds_write2st64_b32 v6, v8, v12 offset0:32 offset1:64
	;; [unrolled: 1-line block ×8, first 2 shown]
	v_or_b32_e32 v5, v1, v45
	v_lshlrev_b32_e32 v5, 3, v5
	v_lshrrev_b32_e32 v8, 5, v60
	v_and_or_b32 v8, v5, s0, v8
	v_lshrrev_b32_e32 v6, 2, v60
	v_lshlrev_b32_e32 v11, 11, v61
	v_lshlrev_b32_e32 v8, 4, v8
	v_and_b32_e32 v5, 0x78, v5
	v_and_b32_e32 v9, 12, v6
	;; [unrolled: 1-line block ×3, first 2 shown]
	v_xor_b32_e32 v10, v8, v5
	v_lshrrev_b32_e32 v12, 1, v60
	v_or_b32_e32 v10, v10, v6
	v_and_b32_e32 v12, 8, v12
	v_xor_b32_e32 v83, v10, v12
	v_or_b32_e32 v10, 32, v8
	v_xor_b32_e32 v10, v10, v5
	v_or_b32_e32 v10, v10, v6
	;; [unrolled: 2-line block ×3, first 2 shown]
	v_or_b32_e32 v8, 0x60, v8
	v_xor_b32_e32 v10, v10, v5
	v_xor_b32_e32 v5, v8, v5
	s_lshl_b64 s[0:1], s[30:31], 8
	v_or_b32_e32 v10, v10, v6
	v_or_b32_e32 v5, v5, v6
	v_lshlrev_b32_e32 v14, 1, v4
	v_add_lshl_u32 v15, v4, s15, 1
	s_add_u32 s0, s36, s0
	v_lshlrev_b32_e32 v4, 1, v45
	v_xor_b32_e32 v91, v10, v12
	v_xor_b32_e32 v92, v5, v12
	v_lshrrev_b32_e32 v10, 4, v0
	s_addc_u32 s1, s37, s1
	v_or_b32_e32 v5, 1, v4
	v_mov_b32_e32 v20, 0x4000
	v_mov_b32_e32 v21, 0x2000
	v_lshrrev_b32_e32 v22, 1, v0
	v_xor_b32_e32 v12, v10, v4
	v_xor_b32_e32 v17, v5, v10
	v_lshl_add_u64 v[4:5], s[0:1], 0, v[52:53]
	v_lshlrev_b32_e32 v52, 8, v10
	v_cndmask_b32_e32 v20, v20, v21, vcc
	v_lshlrev_b32_e32 v21, 3, v61
	v_and_b32_e32 v22, 24, v22
	v_lshl_or_b32 v95, v12, 3, v52
	v_and_b32_e32 v12, 8, v0
	v_xor_b32_e32 v23, v21, v22
	v_or_b32_e32 v24, 0x440, v23
	v_cmp_eq_u32_e32 vcc, 0, v12
	v_and_b32_e32 v10, 7, v0
	v_lshlrev_b32_e32 v13, 7, v62
	v_cndmask_b32_e32 v12, v24, v23, vcc
	v_lshl_or_b32 v96, v17, 3, v52
	v_lshlrev_b32_e32 v17, 3, v10
	v_lshlrev_b32_e32 v19, 2, v0
	v_or_b32_e32 v12, v12, v11
	v_or_b32_e32 v7, v13, v7
	v_xor_b32_e32 v23, v12, v17
	v_and_or_b32 v12, v19, 60, v13
	v_mov_b32_e32 v13, 0xb000
	v_lshl_or_b32 v97, v12, 1, v13
	v_or_b32_e32 v12, 32, v22
	v_xor_b32_e32 v12, v21, v12
	v_or_b32_e32 v13, 0x440, v12
	v_cndmask_b32_e32 v12, v13, v12, vcc
	v_or_b32_e32 v12, v12, v11
	v_xor_b32_e32 v13, v12, v17
	v_or_b32_e32 v12, 64, v22
	v_xor_b32_e32 v12, v21, v12
	v_xor_b32_e32 v25, 0x440, v12
	v_cndmask_b32_e32 v12, v25, v12, vcc
	v_or_b32_e32 v12, v12, v11
	v_xor_b32_e32 v25, v12, v17
	v_or_b32_e32 v12, 0x60, v22
	v_xor_b32_e32 v12, v21, v12
	v_xor_b32_e32 v21, 0x440, v12
	v_cndmask_b32_e32 v12, v21, v12, vcc
	v_or_b32_e32 v11, v12, v11
	v_lshlrev_b32_e32 v7, 1, v7
	v_or_b32_e32 v6, s30, v45
	v_xor_b32_e32 v11, v11, v17
	v_or_b32_e32 v87, 0xa000, v7
	v_or_b32_e32 v90, 0xa080, v7
	;; [unrolled: 1-line block ×4, first 2 shown]
	v_lshlrev_b32_e32 v8, 7, v65
	v_ashrrev_i32_e32 v7, 31, v6
	v_or_b32_e32 v16, 0x100, v3
	v_lshlrev_b32_e32 v18, 7, v10
	v_or_b32_e32 v10, v9, v1
	v_add_u32_e32 v24, v20, v23
	v_add_u32_e32 v19, v20, v13
	;; [unrolled: 1-line block ×4, first 2 shown]
	v_or3_b32 v12, v1, v9, 64
	v_add_u32_e32 v9, 0x4000, v23
	v_add_u32_e32 v13, 0x4000, v13
	;; [unrolled: 1-line block ×4, first 2 shown]
	v_cndmask_b32_e64 v98, v14, v3, s[2:3]
	v_cndmask_b32_e64 v99, v15, v16, s[2:3]
	v_lshl_add_u64 v[56:57], v[6:7], 1, s[8:9]
	v_lshl_add_u64 v[58:59], v[4:5], 0, v[52:53]
	s_mov_b32 s31, 0x7060302
	v_lshlrev_b32_e32 v52, 1, v8
	v_lshlrev_b32_e32 v101, 2, v10
	v_add_u32_e32 v102, v24, v18
	v_add_u32_e32 v103, v19, v18
	;; [unrolled: 1-line block ×4, first 2 shown]
	v_lshlrev_b32_e32 v106, 2, v12
	v_add_u32_e32 v107, v9, v18
	v_add_u32_e32 v108, v13, v18
	;; [unrolled: 1-line block ×4, first 2 shown]
	v_mov_b32_e32 v81, v53
	v_mov_b32_e32 v84, v53
	;; [unrolled: 1-line block ×3, first 2 shown]
	s_waitcnt lgkmcnt(0)
	s_barrier
.LBB408_6:                              ; =>This Inner Loop Header: Depth=1
	s_add_i32 s59, s58, 1
	s_cmp_lt_i32 s59, s45
	s_mov_b64 s[24:25], 0
	s_cselect_b64 s[2:3], -1, 0
	s_cmp_ge_i32 s59, s45
	s_mov_b64 s[20:21], 0
	s_cbranch_scc1 .LBB408_8
; %bb.7:                                ;   in Loop: Header=BB408_6 Depth=1
	s_add_i32 s0, s52, 64
	s_ashr_i32 s1, s0, 31
	s_add_u32 s0, s49, s0
	s_addc_u32 s1, s48, s1
	s_lshl_b64 s[0:1], s[0:1], 8
	s_add_u32 s20, s6, s0
	s_addc_u32 s21, s7, s1
.LBB408_8:                              ;   in Loop: Header=BB408_6 Depth=1
	v_cndmask_b32_e64 v2, 0, 1, s[2:3]
	v_cmp_ne_u32_e64 s[0:1], 1, v2
	s_andn2_b64 vcc, exec, s[2:3]
	s_cbranch_vccnz .LBB408_10
; %bb.9:                                ;   in Loop: Header=BB408_6 Depth=1
	s_add_i32 s2, s52, 64
	s_mul_hi_i32 s3, s2, s14
	s_mul_i32 s2, s2, s14
	s_add_u32 s2, s2, s50
	s_addc_u32 s3, s3, s54
	s_lshl_b64 s[2:3], s[2:3], 8
	s_add_u32 s24, s4, s2
	s_addc_u32 s25, s5, s3
.LBB408_10:                             ;   in Loop: Header=BB408_6 Depth=1
	v_perm_b32 v3, v55, v54, s31
	v_perm_b32 v2, v51, v50, s31
	;; [unrolled: 1-line block ×4, first 2 shown]
	ds_write_b64 v73, v[2:3]
	ds_write_b64 v74, v[4:5]
	ds_write_b64 v77, v[2:3]
	ds_write_b64 v78, v[4:5]
	v_perm_b32 v3, v112, v88, s31
	v_perm_b32 v2, v85, v86, s31
	v_perm_b32 v5, v111, v84, s31
	v_perm_b32 v4, v81, v82, s31
	ds_write_b64 v75, v[2:3]
	ds_write_b64 v76, v[4:5]
	;; [unrolled: 1-line block ×4, first 2 shown]
	s_waitcnt lgkmcnt(0)
	s_barrier
	ds_read_b64 v[6:7], v83 offset:24576
	ds_read2_b64 v[2:5], v87 offset1:16
	ds_read_b64 v[10:11], v90 offset:3072
	ds_read_b64 v[12:13], v87 offset:3072
	;; [unrolled: 1-line block ×3, first 2 shown]
	s_waitcnt lgkmcnt(3)
	v_mfma_f32_16x16x16_bf16 a[0:3], v[6:7], v[2:3], 0
	s_add_i32 s60, s52, 63
	s_ashr_i32 s2, s60, 31
	s_mul_i32 s3, s60, s29
	v_mfma_f32_16x16x16_bf16 a[4:7], v[6:7], v[4:5], 0
	ds_read2st64_b64 v[2:5], v87 offset0:2 offset1:4
	s_mul_hi_u32 s27, s60, s28
	s_add_i32 s3, s27, s3
	s_waitcnt lgkmcnt(0)
	v_mfma_f32_16x16x16_bf16 a[0:3], v[14:15], v[2:3], a[0:3]
	ds_read2st64_b64 v[6:9], v90 offset0:2 offset1:4
	ds_read_b64 v[2:3], v91 offset:24576
	s_mul_i32 s2, s2, s28
	s_add_i32 s3, s3, s2
	s_waitcnt lgkmcnt(1)
	v_mfma_f32_16x16x16_bf16 a[4:7], v[14:15], v[6:7], a[4:7]
	ds_read_b64 v[6:7], v92 offset:24576
	s_mul_i32 s2, s60, s28
	s_lshl_b64 s[2:3], s[2:3], 2
	s_waitcnt lgkmcnt(1)
	v_mfma_f32_16x16x16_bf16 a[0:3], v[2:3], v[4:5], a[0:3]
	s_add_u32 s2, s40, s2
	s_addc_u32 s3, s41, s3
	s_and_b64 vcc, exec, s[0:1]
	v_mfma_f32_16x16x16_bf16 a[4:7], v[2:3], v[8:9], a[4:7]
	v_mov_b32_e32 v115, 0
	v_mov_b32_e32 v114, 0
	;; [unrolled: 1-line block ×3, first 2 shown]
	s_waitcnt lgkmcnt(0)
	v_mfma_f32_16x16x16_bf16 a[0:3], v[6:7], v[12:13], a[0:3]
	v_mov_b32_e32 v2, 0
	v_mov_b32_e32 v3, 0
	;; [unrolled: 1-line block ×3, first 2 shown]
	v_mfma_f32_16x16x16_bf16 a[4:7], v[6:7], v[10:11], a[4:7]
	v_mov_b32_e32 v5, 0
	v_mov_b32_e32 v6, 0
	;; [unrolled: 1-line block ×13, first 2 shown]
	s_cbranch_vccnz .LBB408_12
; %bb.11:                               ;   in Loop: Header=BB408_6 Depth=1
	s_and_b32 s21, s21, 0xffff
	buffer_load_dwordx4 v[14:17], v69, s[20:23], 0 offen
	buffer_load_dwordx4 v[10:13], v69, s[20:23], s55 offen
	;; [unrolled: 1-line block ×4, first 2 shown]
	v_mov_b32_e32 v114, v71
	v_mov_b32_e32 v113, v72
.LBB408_12:                             ;   in Loop: Header=BB408_6 Depth=1
	ds_read_b64 v[22:23], v83 offset:32768
	ds_read2_b64 v[18:21], v93 offset1:16
	ds_read_b64 v[26:27], v89 offset:32768
	ds_read_b64 v[28:29], v91 offset:32768
	;; [unrolled: 1-line block ×3, first 2 shown]
	v_add_u32_e32 v34, s52, v100
	s_waitcnt lgkmcnt(3)
	v_mfma_f32_16x16x16_bf16 a[0:3], v[22:23], v[18:19], a[0:3]
	v_mov_b32_e32 v116, 0
	v_mfma_f32_16x16x16_bf16 a[4:7], v[22:23], v[20:21], a[4:7]
	ds_read2st64_b64 v[18:21], v93 offset0:2 offset1:4
	ds_read2st64_b64 v[22:25], v94 offset0:2 offset1:4
	s_waitcnt lgkmcnt(1)
	v_mfma_f32_16x16x16_bf16 a[0:3], v[26:27], v[18:19], a[0:3]
	ds_read_b64 v[18:19], v93 offset:3072
	ds_read_b64 v[32:33], v94 offset:3072
	s_waitcnt lgkmcnt(2)
	v_mfma_f32_16x16x16_bf16 a[4:7], v[26:27], v[22:23], a[4:7]
	v_ashrrev_i32_e32 v22, 31, v34
	v_mul_lo_u32 v23, v34, s29
	v_mul_lo_u32 v22, v22, s28
	v_mfma_f32_16x16x16_bf16 a[0:3], v[28:29], v[20:21], a[0:3]
	v_mad_u64_u32 v[20:21], s[20:21], v34, s28, 0
	v_add3_u32 v21, v21, v23, v22
	v_add_u32_e32 v22, 1, v34
	v_ashrrev_i32_e32 v23, 31, v22
	v_mfma_f32_16x16x16_bf16 a[4:7], v[28:29], v[24:25], a[4:7]
	v_mul_lo_u32 v23, v23, s28
	v_mul_lo_u32 v24, v22, s29
	v_lshl_add_u64 v[20:21], v[20:21], 2, s[40:41]
	s_waitcnt lgkmcnt(1)
	v_mfma_f32_16x16x16_bf16 a[0:3], v[30:31], v[18:19], a[0:3]
	v_mad_u64_u32 v[18:19], s[20:21], v22, s28, 0
	v_add_u32_e32 v22, 2, v34
	v_add3_u32 v19, v19, v24, v23
	v_ashrrev_i32_e32 v23, 31, v22
	v_mul_lo_u32 v24, v23, s28
	v_mul_lo_u32 v25, v22, s29
	v_mad_u64_u32 v[22:23], s[20:21], v22, s28, 0
	v_add3_u32 v23, v23, v25, v24
	v_add_u32_e32 v24, 3, v34
	v_ashrrev_i32_e32 v25, 31, v24
	v_mul_lo_u32 v26, v25, s28
	v_mul_lo_u32 v27, v24, s29
	v_mad_u64_u32 v[24:25], s[20:21], v24, s28, 0
	v_add3_u32 v25, v25, v27, v26
	v_lshl_add_u64 v[24:25], v[24:25], 2, s[40:41]
	s_ashr_i32 s21, s52, 31
	v_lshl_add_u64 v[18:19], v[18:19], 2, s[40:41]
	v_lshl_add_u64 v[22:23], v[22:23], 2, s[40:41]
	global_load_dword v26, v[20:21], off
	global_load_dword v27, v[18:19], off
	;; [unrolled: 1-line block ×3, first 2 shown]
	s_nop 0
	global_load_dword v25, v[24:25], off
	s_add_u32 s20, s49, s52
	s_addc_u32 s21, s48, s21
	s_lshl_b64 s[20:21], s[20:21], 8
	v_lshl_add_u64 v[18:19], v[56:57], 0, s[20:21]
	v_lshl_add_u64 v[18:19], v[18:19], 0, v[52:53]
	global_load_ushort v29, v[18:19], off
	global_load_ushort v34, v[18:19], off offset:256
	global_load_ushort v35, v[18:19], off offset:800
	;; [unrolled: 1-line block ×7, first 2 shown]
	s_load_dword s2, s[2:3], 0x0
	s_waitcnt lgkmcnt(0)
	v_mfma_f32_16x16x16_bf16 a[4:7], v[30:31], v[32:33], a[4:7]
	v_accvgpr_read_b32 v23, a1
	v_accvgpr_read_b32 v19, a3
	;; [unrolled: 1-line block ×4, first 2 shown]
	s_and_b64 vcc, exec, s[0:1]
	s_waitcnt vmcnt(11)
	v_sub_f32_e32 v24, s2, v26
	s_waitcnt vmcnt(10)
	v_sub_f32_e32 v32, s2, v27
	;; [unrolled: 2-line block ×4, first 2 shown]
	v_exp_f32_e32 v24, v24
	v_exp_f32_e32 v25, v32
	;; [unrolled: 1-line block ×4, first 2 shown]
	s_waitcnt vmcnt(6)
	v_lshlrev_b32_e32 v27, 16, v34
	v_lshlrev_b32_e32 v26, 16, v29
	s_waitcnt vmcnt(4)
	v_lshlrev_b32_e32 v29, 16, v36
	s_waitcnt vmcnt(2)
	v_lshlrev_b32_e32 v28, 16, v38
	v_pk_add_f32 v[22:23], v[26:27], v[22:23] neg_lo:[0,1] neg_hi:[0,1]
	v_pk_add_f32 v[18:19], v[28:29], v[18:19] neg_lo:[0,1] neg_hi:[0,1]
	v_pk_mul_f32 v[22:23], v[24:25], v[22:23]
	v_pk_mul_f32 v[18:19], v[32:33], v[18:19]
	s_waitcnt vmcnt(1)
	v_lshlrev_b32_e32 v31, 16, v39
	v_perm_b32 v19, v19, v18, s31
	v_perm_b32 v18, v23, v22, s31
	v_accvgpr_read_b32 v23, a5
	s_waitcnt vmcnt(0)
	v_lshlrev_b32_e32 v30, 16, v40
	v_accvgpr_read_b32 v22, a4
	v_pk_add_f32 v[22:23], v[30:31], v[22:23] neg_lo:[0,1] neg_hi:[0,1]
	v_accvgpr_read_b32 v21, a7
	v_accvgpr_read_b32 v20, a6
	v_pk_mul_f32 v[22:23], v[24:25], v[22:23]
	v_lshlrev_b32_e32 v25, 16, v35
	v_lshlrev_b32_e32 v24, 16, v37
	v_pk_add_f32 v[20:21], v[24:25], v[20:21] neg_lo:[0,1] neg_hi:[0,1]
	v_mov_b32_e32 v24, 0
	v_pk_mul_f32 v[20:21], v[32:33], v[20:21]
	v_mov_b32_e32 v25, 0
	v_perm_b32 v21, v21, v20, s31
	v_perm_b32 v20, v23, v22, s31
	ds_write2_b64 v74, v[18:19], v[20:21] offset1:16
	v_mov_b32_e32 v18, 0
	v_mov_b32_e32 v19, 0
	;; [unrolled: 1-line block ×14, first 2 shown]
	s_cbranch_vccnz .LBB408_14
; %bb.13:                               ;   in Loop: Header=BB408_6 Depth=1
	s_and_b32 s25, s25, 0xffff
	s_mov_b32 s27, s23
	buffer_load_dwordx4 v[30:33], v98, s[24:27], 0 offen
	buffer_load_dwordx4 v[22:25], v98, s[24:27], s55 offen
	;; [unrolled: 1-line block ×4, first 2 shown]
	v_mov_b32_e32 v115, v68
	v_mov_b32_e32 v116, v67
.LBB408_14:                             ;   in Loop: Header=BB408_6 Depth=1
	s_waitcnt lgkmcnt(0)
	s_barrier
	ds_read_b64 v[38:39], v102
	ds_read_b64 v[122:123], v97
	;; [unrolled: 1-line block ×5, first 2 shown]
	ds_read_b64 v[136:137], v94 offset:3072
	ds_read2_b64 v[34:37], v93 offset0:16 offset1:128
	s_waitcnt lgkmcnt(5)
	v_mfma_f32_16x16x16_bf16 a[0:3], v[38:39], v[122:123], 0
	s_add_i32 s3, s46, s58
	s_mul_hi_i32 s21, s3, s51
	s_mul_i32 s3, s3, s51
	s_waitcnt lgkmcnt(0)
	v_mfma_f32_16x16x16_bf16 a[4:7], v[38:39], v[34:35], 0
	ds_read_b64 v[38:39], v107
	ds_read2st64_b64 v[40:43], v94 offset0:2 offset1:4
	s_add_u32 s20, s3, s33
	s_addc_u32 s21, s21, s53
	s_lshl_b64 s[20:21], s[20:21], 15
	s_mul_i32 s24, s60, s51
	s_mul_hi_i32 s3, s60, s51
	s_add_u32 s24, s24, s33
	s_waitcnt lgkmcnt(1)
	v_mfma_f32_16x16x16_bf16 a[8:11], v[38:39], v[122:123], 0
	s_addc_u32 s25, s3, s53
	ds_read2st64_b64 v[118:121], v93 offset0:4 offset1:6
	s_lshl_b64 s[24:25], s[24:25], 9
	v_mfma_f32_16x16x16_bf16 a[0:3], v[124:125], v[36:37], a[0:3]
	s_add_u32 s24, s38, s24
	s_addc_u32 s25, s39, s25
	s_waitcnt lgkmcnt(1)
	v_mfma_f32_16x16x16_bf16 a[4:7], v[124:125], v[40:41], a[4:7]
	ds_read_b64 v[124:125], v108
	ds_read_b64 v[132:133], v109
	;; [unrolled: 1-line block ×3, first 2 shown]
	v_mfma_f32_16x16x16_bf16 a[12:15], v[38:39], v[34:35], 0
	s_waitcnt lgkmcnt(2)
	v_mfma_f32_16x16x16_bf16 a[8:11], v[124:125], v[36:37], a[8:11]
	global_load_dwordx4 v[34:37], v106, s[24:25]
	v_mfma_f32_16x16x16_bf16 a[12:15], v[124:125], v[40:41], a[12:15]
	global_load_dwordx4 v[38:41], v101, s[24:25]
	ds_read2st64_b64 v[122:125], v95 offset1:8
	s_waitcnt lgkmcnt(0)
	v_mov_b32_e32 v130, v122
	v_mfma_f32_16x16x16_bf16 a[0:3], v[126:127], v[118:119], a[0:3]
	v_mov_b32_e32 v131, v123
	v_mfma_f32_16x16x16_bf16 a[4:7], v[126:127], v[42:43], a[4:7]
	ds_read2st64_b64 v[126:129], v96 offset1:8
	v_mfma_f32_16x16x16_bf16 a[8:11], v[132:133], v[118:119], a[8:11]
	v_lshl_add_u64 v[118:119], v[58:59], 0, s[20:21]
	v_mfma_f32_16x16x16_bf16 a[16:19], v[132:133], v[42:43], a[12:15]
	v_add_co_u32_e32 v42, vcc, s17, v118
	s_waitcnt lgkmcnt(0)
	v_mov_b32_e32 v132, v126
	v_mfma_f32_16x16x16_bf16 a[0:3], v[134:135], v[120:121], a[0:3]
	v_mov_b32_e32 v133, v127
	v_mov_b32_e32 v126, v124
	;; [unrolled: 1-line block ×3, first 2 shown]
	v_mfma_f32_16x16x16_bf16 a[4:7], v[134:135], v[136:137], a[4:7]
	v_addc_co_u32_e32 v43, vcc, 0, v119, vcc
	global_store_dwordx4 v[42:43], v[126:129], off
	v_mfma_f32_16x16x16_bf16 a[12:15], v[138:139], v[120:121], a[8:11]
	s_and_b64 vcc, exec, s[0:1]
	global_store_dwordx4 v[118:119], v[130:133], off
	s_waitcnt vmcnt(3)
	v_mov_b32_e32 v44, v37
	v_mfma_f32_16x16x16_bf16 a[8:11], v[138:139], v[136:137], a[16:19]
	v_mov_b32_e32 v43, v36
	v_mov_b32_e32 v42, v35
	s_cbranch_vccnz .LBB408_16
; %bb.15:                               ;   in Loop: Header=BB408_6 Depth=1
	v_lshrrev_b32_e32 v35, 3, v115
	v_and_b32_e32 v35, 6, v35
	v_xor_b32_e32 v36, v35, v116
	v_lshlrev_b32_e32 v36, 2, v36
	v_and_b32_e32 v37, 8, v115
	v_xor_b32_e32 v115, 0x440, v36
	v_cmp_eq_u32_e32 vcc, 0, v37
	v_perm_b32 v37, v22, v18, s56
	s_nop 0
	v_cndmask_b32_e32 v36, v115, v36, vcc
	v_lshl_or_b32 v35, v35, 10, v36
	v_perm_b32 v36, v30, v26, s56
	s_barrier
	ds_write2st64_b32 v35, v36, v37 offset0:32 offset1:64
	v_xor_b32_e32 v36, 8, v35
	v_perm_b32 v26, v30, v26, s57
	v_perm_b32 v18, v22, v18, s57
	v_add_u32_e32 v22, 0x80, v36
	ds_write2st64_b32 v22, v26, v18 offset0:32 offset1:64
	v_xor_b32_e32 v18, 16, v35
	v_perm_b32 v22, v31, v27, s56
	v_perm_b32 v26, v23, v19, s56
	ds_write2st64_b32 v18, v22, v26 offset0:33 offset1:65
	v_xor_b32_e32 v18, 24, v35
	v_perm_b32 v22, v31, v27, s57
	v_perm_b32 v19, v23, v19, s57
	v_add_u32_e32 v18, 0x80, v18
	ds_write2st64_b32 v18, v22, v19 offset0:33 offset1:65
	v_xor_b32_e32 v18, 32, v35
	v_perm_b32 v19, v32, v28, s56
	v_perm_b32 v22, v24, v20, s56
	;; [unrolled: 9-line block ×3, first 2 shown]
	ds_write2st64_b32 v18, v19, v20 offset0:35 offset1:67
	v_xor_b32_e32 v18, 56, v35
	v_perm_b32 v19, v33, v29, s57
	v_perm_b32 v20, v25, v21, s57
	v_add_u32_e32 v18, 0x80, v18
	ds_write2st64_b32 v18, v19, v20 offset0:35 offset1:67
	ds_write_b64 v114, v[14:15] offset:24576
	v_xor_b32_e32 v14, 8, v114
	ds_write_b64 v14, v[16:17] offset:24576
	ds_write_b64 v114, v[10:11] offset:32768
	;; [unrolled: 1-line block ×4, first 2 shown]
	v_xor_b32_e32 v6, 8, v113
	ds_write_b64 v6, v[8:9] offset:24576
	ds_write_b64 v113, v[2:3] offset:32768
	;; [unrolled: 1-line block ×3, first 2 shown]
.LBB408_16:                             ;   in Loop: Header=BB408_6 Depth=1
	v_exp_f32_e32 v18, s2
	s_waitcnt vmcnt(2)
	v_exp_f32_e32 v20, v38
	v_exp_f32_e32 v21, v39
	v_exp_f32_e32 v22, v40
	v_exp_f32_e32 v23, v41
	v_accvgpr_read_b32 v13, a3
	v_accvgpr_read_b32 v11, a1
	v_accvgpr_read_b32 v10, a0
	v_accvgpr_read_b32 v9, a7
	v_pk_mul_f32 v[20:21], v[18:19], v[20:21] op_sel_hi:[0,1]
	v_accvgpr_read_b32 v12, a2
	v_accvgpr_read_b32 v7, a5
	;; [unrolled: 1-line block ×3, first 2 shown]
	v_pk_fma_f32 v[50:51], v[50:51], v[20:21], v[10:11]
	v_pk_mul_f32 v[10:11], v[18:19], v[22:23] op_sel_hi:[0,1]
	v_pk_fma_f32 v[54:55], v[54:55], v[10:11], v[12:13]
	v_fma_f32 v86, v86, v20, v6
	v_fma_f32 v85, v85, v21, v7
	v_exp_f32_e32 v6, v34
	v_exp_f32_e32 v7, v42
	;; [unrolled: 1-line block ×4, first 2 shown]
	v_accvgpr_read_b32 v8, a6
	v_accvgpr_read_b32 v17, a15
	;; [unrolled: 1-line block ×9, first 2 shown]
	v_fma_f32 v88, v88, v10, v8
	v_fmac_f32_e32 v9, v112, v11
	v_pk_mul_f32 v[6:7], v[18:19], v[6:7] op_sel_hi:[0,1]
	v_pk_mul_f32 v[10:11], v[18:19], v[12:13] op_sel_hi:[0,1]
	s_add_i32 s52, s52, 64
	v_pk_fma_f32 v[46:47], v[46:47], v[6:7], v[14:15]
	v_pk_fma_f32 v[48:49], v[48:49], v[10:11], v[16:17]
	v_fma_f32 v82, v82, v6, v2
	v_fma_f32 v81, v81, v7, v3
	v_fma_f32 v84, v84, v10, v4
	s_cmp_eq_u32 s45, s59
	v_fmac_f32_e32 v5, v111, v11
	s_cbranch_scc1 .LBB408_18
; %bb.17:                               ;   in Loop: Header=BB408_6 Depth=1
	s_mov_b32 s58, s59
	v_mov_b32_e32 v112, v9
	v_mov_b32_e32 v111, v5
	s_branch .LBB408_6
.LBB408_18:
	s_lshl_b32 s0, s45, 6
	s_sub_i32 s40, s47, s0
	s_cmp_gt_i32 s40, 0
	s_cbranch_scc0 .LBB408_83
; %bb.19:
	s_add_i32 s34, s0, s34
	s_ashr_i32 s2, s34, 31
	s_cmpk_lg_i32 s15, 0x80
	s_cselect_b64 s[26:27], -1, 0
	s_and_b64 vcc, exec, s[26:27]
	s_cbranch_vccz .LBB408_21
; %bb.20:
	s_mul_i32 s1, s34, s14
	s_ashr_i32 s3, s50, 31
	s_mul_hi_i32 s0, s34, s14
	s_add_u32 s38, s1, s50
	s_addc_u32 s39, s0, s3
	s_cbranch_execz .LBB408_22
	s_branch .LBB408_23
.LBB408_21:
                                        ; implicit-def: $sgpr38_sgpr39
.LBB408_22:
	s_mul_i32 s1, s50, s12
	s_mul_hi_i32 s0, s50, s12
	s_add_u32 s38, s1, s34
	s_addc_u32 s39, s0, s2
.LBB408_23:
	s_add_i32 s3, s45, s46
	s_ashr_i32 s12, s33, 31
	s_add_u32 s0, s49, s34
	v_lshlrev_b32_e32 v8, 5, v65
	v_lshlrev_b32_e32 v22, 2, v45
	s_addc_u32 s1, s48, s2
	s_mov_b32 s2, 0x7060302
	v_or_b32_e32 v11, v8, v22
	v_xor_b32_e32 v4, v65, v22
	v_perm_b32 v3, v55, v54, s2
	v_perm_b32 v2, v51, v50, s2
	;; [unrolled: 1-line block ×4, first 2 shown]
	v_lshlrev_b32_e32 v11, 1, v11
	s_lshl_b64 s[24:25], s[0:1], 8
	v_xor_b32_e32 v10, v66, v22
	ds_write2st64_b64 v11, v[2:3], v[6:7] offset0:80 offset1:88
	v_lshlrev_b32_e32 v11, 1, v4
	v_lshlrev_b32_e32 v4, 8, v45
	s_add_u32 s0, s6, s24
	v_or_b32_e32 v12, v11, v4
	v_lshlrev_b32_e32 v10, 1, v10
	s_addc_u32 s1, s7, s25
	ds_write_b64 v12, v[2:3]
	v_or_b32_e32 v2, v10, v4
	s_mul_hi_i32 s6, s3, s13
	s_mul_i32 s3, s3, s13
	ds_write_b64 v2, v[6:7]
	v_perm_b32 v3, v9, v88, s2
	v_perm_b32 v2, v85, v86, s2
	;; [unrolled: 1-line block ×4, first 2 shown]
	v_or_b32_e32 v6, 16, v45
	s_add_u32 s2, s3, s33
	v_lshlrev_b32_e32 v19, 2, v6
	s_addc_u32 s3, s6, s12
	v_or_b32_e32 v7, v8, v19
	s_ashr_i32 s31, s30, 31
	s_lshl_b64 s[2:3], s[2:3], 15
	v_lshlrev_b32_e32 v7, 1, v7
	v_lshlrev_b32_e32 v6, 8, v6
	s_add_u32 s6, s36, s2
	ds_write2st64_b64 v7, v[2:3], v[4:5] offset0:80 offset1:88
	v_or_b32_e32 v7, v11, v6
	s_addc_u32 s7, s37, s3
	s_lshl_b64 s[2:3], s[30:31], 8
	ds_write_b64 v7, v[2:3]
	v_or_b32_e32 v2, v10, v6
	s_add_u32 s2, s6, s2
	ds_write_b64 v2, v[4:5]
	v_lshrrev_b32_e32 v2, 4, v0
	s_addc_u32 s3, s7, s3
	v_lshlrev_b32_e32 v3, 1, v45
	v_lshlrev_b32_e32 v10, 4, v45
	v_mov_b32_e32 v11, 0
	v_or_b32_e32 v4, 1, v3
	v_xor_b32_e32 v3, v2, v3
	v_lshl_add_u64 v[12:13], s[2:3], 0, v[10:11]
	v_lshlrev_b32_e32 v10, 8, v2
	v_xor_b32_e32 v6, v4, v2
	v_lshl_or_b32 v2, v3, 3, v10
	s_waitcnt lgkmcnt(0)
	s_barrier
	ds_read2st64_b64 v[2:5], v2 offset1:8
	v_lshl_or_b32 v6, v6, 3, v10
	ds_read2st64_b64 v[6:9], v6 offset1:8
	v_lshl_add_u64 v[14:15], v[12:13], 0, v[10:11]
	s_movk_i32 s2, 0x1000
	s_waitcnt lgkmcnt(1)
	v_mov_b32_e32 v10, v2
	v_add_co_u32_e32 v2, vcc, s2, v14
	s_cmp_lg_u32 s40, 64
	v_mov_b32_e32 v11, v3
	v_addc_co_u32_e32 v3, vcc, 0, v15, vcc
	s_cselect_b64 s[6:7], -1, 0
	v_lshl_or_b32 v23, v61, 3, v64
	s_waitcnt lgkmcnt(0)
	v_mov_b32_e32 v12, v6
	v_mov_b32_e32 v13, v7
	;; [unrolled: 1-line block ×4, first 2 shown]
	s_mov_b32 s20, 0
	v_or_b32_e32 v20, 32, v23
	v_and_b32_e32 v18, 56, v63
	s_and_b64 vcc, exec, s[6:7]
	global_store_dwordx4 v[14:15], v[10:13], off
	global_store_dwordx4 v[2:3], v[6:9], off
	s_cbranch_vccz .LBB408_29
; %bb.24:
	s_mov_b32 s21, s20
	s_mov_b32 s22, s20
	;; [unrolled: 1-line block ×3, first 2 shown]
	v_mov_b64_e32 v[6:7], s[20:21]
	v_mov_b64_e32 v[8:9], s[22:23]
	v_mov_b64_e32 v[2:3], v[6:7]
	v_cmp_gt_i32_e32 vcc, s40, v23
	v_mov_b64_e32 v[4:5], v[8:9]
	s_and_saveexec_b64 s[2:3], vcc
	s_cbranch_execz .LBB408_26
; %bb.25:
	v_lshlrev_b32_e32 v2, 8, v23
	v_mov_b32_e32 v3, 0
	v_lshl_add_u64 v[4:5], s[0:1], 0, v[2:3]
	v_lshlrev_b32_e32 v2, 1, v18
	v_lshl_add_u64 v[10:11], v[4:5], 0, v[2:3]
	global_load_dwordx4 v[6:9], v[10:11], off
	global_load_dwordx4 v[2:5], v[10:11], off offset:128
.LBB408_26:
	s_or_b64 exec, exec, s[2:3]
	s_mov_b32 s21, s20
	s_mov_b32 s22, s20
	;; [unrolled: 1-line block ×3, first 2 shown]
	v_mov_b64_e32 v[14:15], s[20:21]
	v_mov_b64_e32 v[16:17], s[22:23]
	;; [unrolled: 1-line block ×3, first 2 shown]
	v_cmp_gt_i32_e32 vcc, s40, v20
	v_lshlrev_b32_e32 v21, 7, v20
	v_mov_b64_e32 v[12:13], v[16:17]
	s_and_saveexec_b64 s[2:3], vcc
	s_cbranch_execz .LBB408_28
; %bb.27:
	v_lshlrev_b32_e32 v10, 1, v21
	v_mov_b32_e32 v11, 0
	v_lshl_add_u64 v[12:13], s[0:1], 0, v[10:11]
	v_lshlrev_b32_e32 v10, 1, v18
	v_lshl_add_u64 v[24:25], v[12:13], 0, v[10:11]
	global_load_dwordx4 v[14:17], v[24:25], off
	global_load_dwordx4 v[10:13], v[24:25], off offset:128
.LBB408_28:
	s_or_b64 exec, exec, s[2:3]
	v_lshrrev_b32_e32 v24, 3, v18
	v_lshlrev_b32_e32 v25, 3, v23
	v_or_b32_e32 v24, v25, v24
	v_lshlrev_b32_e32 v24, 4, v24
	v_and_b32_e32 v25, 0x78, v25
	v_xor_b32_e32 v24, v24, v25
	s_branch .LBB408_31
.LBB408_29:
                                        ; implicit-def: $vgpr24
                                        ; implicit-def: $vgpr21
                                        ; implicit-def: $vgpr6_vgpr7_vgpr8_vgpr9
                                        ; implicit-def: $vgpr2_vgpr3_vgpr4_vgpr5
                                        ; implicit-def: $vgpr14_vgpr15_vgpr16_vgpr17
                                        ; implicit-def: $vgpr10_vgpr11_vgpr12_vgpr13
	s_cbranch_execz .LBB408_31
; %bb.30:
	s_waitcnt vmcnt(0)
	v_lshlrev_b32_e32 v2, 1, v18
	v_lshl_or_b32 v21, v23, 8, v2
	s_and_b32 s1, s1, 0xffff
	s_mov_b32 s3, 0x20000
	s_movk_i32 s2, 0x4000
	v_lshl_or_b32 v24, v20, 8, v2
	s_movk_i32 s13, 0x80
	buffer_load_dwordx4 v[6:9], v21, s[0:3], 0 offen
	buffer_load_dwordx4 v[2:5], v21, s[0:3], s13 offen
	buffer_load_dwordx4 v[14:17], v24, s[0:3], 0 offen
	buffer_load_dwordx4 v[10:13], v24, s[0:3], s13 offen
	v_lshrrev_b32_e32 v21, 3, v18
	v_lshlrev_b32_e32 v24, 3, v23
	v_or_b32_e32 v21, v24, v21
	v_lshlrev_b32_e32 v21, 4, v21
	v_and_b32_e32 v24, 0x78, v24
	v_xor_b32_e32 v24, v21, v24
	v_lshlrev_b32_e32 v21, 7, v20
.LBB408_31:
	s_lshl_b64 s[0:1], s[38:39], 8
	s_add_u32 s4, s4, s0
	s_movk_i32 s0, 0x1000
	v_and_or_b32 v20, v21, s0, v24
	s_waitcnt vmcnt(1)
	ds_write_b64 v24, v[6:7] offset:24576
	v_xor_b32_e32 v6, 8, v24
	ds_write_b64 v6, v[8:9] offset:24576
	s_waitcnt vmcnt(0)
	ds_write_b64 v24, v[2:3] offset:32768
	ds_write_b64 v6, v[4:5] offset:32768
	;; [unrolled: 1-line block ×3, first 2 shown]
	v_xor_b32_e32 v2, 8, v20
	ds_write_b64 v2, v[16:17] offset:24576
	ds_write_b64 v20, v[10:11] offset:32768
	;; [unrolled: 1-line block ×3, first 2 shown]
	v_or_b32_e32 v2, v1, v45
	v_lshlrev_b32_e32 v3, 11, v61
	v_lshlrev_b32_e32 v2, 3, v2
	v_and_b32_e32 v6, 0x1000, v3
	v_lshrrev_b32_e32 v3, 5, v60
	s_movk_i32 s13, 0xf8
	v_and_or_b32 v3, v2, s13, v3
	v_lshlrev_b32_e32 v7, 4, v3
	v_and_b32_e32 v8, 0x78, v2
	v_or_b32_e32 v10, 32, v7
	v_lshrrev_b32_e32 v3, 1, v60
	v_xor_b32_e32 v10, v10, v8
	v_xor_b32_e32 v2, v7, v8
	v_and_b32_e32 v9, 8, v3
	v_or_b32_e32 v10, v10, v6
	v_or_b32_e32 v2, v2, v6
	v_xor_b32_e32 v26, v10, v9
	v_or_b32_e32 v10, 64, v7
	v_xor_b32_e32 v25, v2, v9
	v_xor_b32_e32 v10, v10, v8
	s_waitcnt lgkmcnt(0)
	s_barrier
	v_or_b32_e32 v12, v10, v6
	ds_read_b64 v[10:11], v25 offset:24576
	v_lshl_or_b32 v20, v62, 7, v22
	v_lshlrev_b32_e32 v24, 1, v20
	v_add_u32_e32 v2, 0xa000, v24
	ds_read2_b64 v[2:5], v2 offset1:16
	v_or_b32_e32 v7, 0x60, v7
	v_xor_b32_e32 v7, v7, v8
	s_waitcnt lgkmcnt(0)
	v_mfma_f32_16x16x16_bf16 a[0:3], v[10:11], v[2:3], 0
	v_or_b32_e32 v2, 64, v20
	v_or_b32_e32 v6, v7, v6
	v_lshlrev_b32_e32 v29, 1, v2
	v_xor_b32_e32 v27, v12, v9
	v_xor_b32_e32 v28, v6, v9
	ds_read_b64 v[12:13], v26 offset:24576
	ds_read_b64 v[14:15], v27 offset:24576
	;; [unrolled: 1-line block ×3, first 2 shown]
	v_mfma_f32_16x16x16_bf16 a[4:7], v[10:11], v[4:5], 0
	ds_read2st64_b64 v[2:5], v29 offset0:82 offset1:84
	ds_read2st64_b64 v[6:9], v24 offset0:82 offset1:84
	s_addc_u32 s5, s5, s1
	s_add_i32 s0, s43, s42
	s_add_i32 s2, s35, -1
	s_add_i32 s17, s0, s44
	s_mul_i32 s0, s33, s19
	s_mul_hi_u32 s1, s33, s18
	s_add_i32 s0, s1, s0
	s_mul_i32 s1, s12, s18
	s_ashr_i32 s3, s2, 31
	s_mul_i32 s12, s2, s29
	s_mul_hi_u32 s13, s2, s28
	s_add_i32 s12, s13, s12
	s_mul_i32 s3, s3, s28
	s_waitcnt lgkmcnt(1)
	v_mfma_f32_16x16x16_bf16 a[4:7], v[12:13], v[2:3], a[4:7]
	s_add_i32 s1, s0, s1
	s_add_i32 s3, s12, s3
	s_lshl_b64 s[12:13], s[16:17], 2
	s_waitcnt lgkmcnt(0)
	v_mfma_f32_16x16x16_bf16 a[0:3], v[12:13], v[6:7], a[0:3]
	s_mul_i32 s0, s33, s18
	s_add_u32 s10, s10, s12
	s_addc_u32 s11, s11, s13
	s_lshl_b64 s[0:1], s[0:1], 2
	s_mul_i32 s2, s2, s28
	s_add_u32 s10, s10, s0
	ds_read_b64 v[2:3], v24 offset:44032
	v_mfma_f32_16x16x16_bf16 a[4:7], v[14:15], v[4:5], a[4:7]
	ds_read_b64 v[4:5], v29 offset:44032
	s_addc_u32 s11, s11, s1
	s_lshl_b64 s[0:1], s[2:3], 2
	v_mfma_f32_16x16x16_bf16 a[0:3], v[14:15], v[8:9], a[0:3]
	s_add_u32 s0, s10, s0
	s_addc_u32 s1, s11, s1
	s_load_dword s12, s[0:1], 0x0
	s_waitcnt lgkmcnt(0)
	v_mfma_f32_16x16x16_bf16 a[0:3], v[16:17], v[2:3], a[0:3]
	s_and_b64 vcc, exec, s[26:27]
	v_mfma_f32_16x16x16_bf16 a[4:7], v[16:17], v[4:5], a[4:7]
	s_cbranch_vccz .LBB408_42
; %bb.32:
	v_lshlrev_b32_e32 v20, 1, v23
	s_and_b64 vcc, exec, s[6:7]
	s_cbranch_vccz .LBB408_43
; %bb.33:
	v_cmp_gt_i32_e32 vcc, s40, v20
	v_mov_b32_e32 v6, 0
	v_mov_b32_e32 v2, 0
	;; [unrolled: 1-line block ×5, first 2 shown]
	s_and_saveexec_b64 s[0:1], vcc
	s_cbranch_execz .LBB408_35
; %bb.34:
	v_mad_i64_i32 v[2:3], s[2:3], s15, v20, 0
	v_lshl_add_u64 v[2:3], v[2:3], 1, s[4:5]
	v_lshlrev_b32_e32 v4, 1, v18
	v_mov_b32_e32 v5, 0
	v_lshl_add_u64 v[2:3], v[2:3], 0, v[4:5]
	global_load_dwordx4 v[2:5], v[2:3], off
.LBB408_35:
	s_or_b64 exec, exec, s[0:1]
	v_or_b32_e32 v21, 1, v20
	v_cmp_gt_i32_e64 s[0:1], s40, v21
	v_mov_b32_e32 v7, 0
	v_mov_b32_e32 v8, 0
	;; [unrolled: 1-line block ×3, first 2 shown]
	s_and_saveexec_b64 s[2:3], s[0:1]
	s_cbranch_execz .LBB408_37
; %bb.36:
	v_mad_i64_i32 v[6:7], s[16:17], s15, v21, 0
	v_lshl_add_u64 v[6:7], v[6:7], 1, s[4:5]
	v_lshlrev_b32_e32 v8, 1, v18
	v_mov_b32_e32 v9, 0
	v_lshl_add_u64 v[6:7], v[6:7], 0, v[8:9]
	global_load_dwordx4 v[6:9], v[6:7], off
.LBB408_37:
	s_or_b64 exec, exec, s[2:3]
	v_mov_b32_e32 v17, 0
	v_mov_b32_e32 v10, 0
	v_mov_b32_e32 v11, 0
	v_mov_b32_e32 v12, 0
	v_mov_b32_e32 v13, 0
	s_and_saveexec_b64 s[2:3], vcc
	s_cbranch_execz .LBB408_39
; %bb.38:
	v_mad_i64_i32 v[10:11], s[16:17], s15, v20, 0
	v_lshl_add_u64 v[10:11], v[10:11], 1, s[4:5]
	v_lshlrev_b32_e32 v12, 1, v18
	v_mov_b32_e32 v13, 0
	v_lshl_add_u64 v[10:11], v[10:11], 0, v[12:13]
	global_load_dwordx4 v[10:13], v[10:11], off offset:128
.LBB408_39:
	s_or_b64 exec, exec, s[2:3]
	v_mov_b32_e32 v16, 0
	v_mov_b32_e32 v15, 0
	;; [unrolled: 1-line block ×3, first 2 shown]
	s_and_saveexec_b64 s[2:3], s[0:1]
	s_cbranch_execz .LBB408_41
; %bb.40:
	v_mad_i64_i32 v[14:15], s[0:1], s15, v21, 0
	v_lshl_add_u64 v[14:15], v[14:15], 1, s[4:5]
	v_lshlrev_b32_e32 v16, 1, v18
	v_mov_b32_e32 v17, 0
	v_lshl_add_u64 v[14:15], v[14:15], 0, v[16:17]
	global_load_dwordx4 v[14:17], v[14:15], off offset:128
.LBB408_41:
	s_or_b64 exec, exec, s[2:3]
	s_branch .LBB408_45
.LBB408_42:
                                        ; implicit-def: $vgpr5
                                        ; implicit-def: $vgpr9
                                        ; implicit-def: $vgpr13
                                        ; implicit-def: $vgpr17
	v_lshrrev_b32_e32 v30, 2, v60
	s_branch .LBB408_46
.LBB408_43:
                                        ; implicit-def: $vgpr5
                                        ; implicit-def: $vgpr9
                                        ; implicit-def: $vgpr13
                                        ; implicit-def: $vgpr17
	s_cbranch_execz .LBB408_45
; %bb.44:
	s_waitcnt vmcnt(0)
	v_mad_u64_u32 v[2:3], s[0:1], v20, s15, v[18:19]
	v_lshlrev_b32_e32 v20, 1, v2
	s_lshl_b32 s2, s15, 7
	s_and_b32 s1, s5, 0xffff
	s_mov_b32 s3, 0x20000
	s_mov_b32 s0, s4
	v_add_lshl_u32 v21, v2, s15, 1
	s_movk_i32 s13, 0x80
	buffer_load_dwordx4 v[2:5], v20, s[0:3], 0 offen
	buffer_load_dwordx4 v[10:13], v20, s[0:3], s13 offen
	buffer_load_dwordx4 v[6:9], v21, s[0:3], 0 offen
	buffer_load_dwordx4 v[14:17], v21, s[0:3], s13 offen
.LBB408_45:
	v_lshrrev_b32_e32 v30, 2, v60
	s_cbranch_execnz .LBB408_58
.LBB408_46:
	s_and_b64 vcc, exec, s[6:7]
	s_cbranch_vccz .LBB408_56
; %bb.47:
	s_waitcnt vmcnt(0)
	v_lshlrev_b32_e32 v7, 1, v23
	v_cmp_gt_i32_e32 vcc, s40, v7
	v_mov_b32_e32 v6, 0
	v_lshlrev_b32_e32 v14, 9, v23
	v_mov_b32_e32 v2, 0
	v_mov_b32_e32 v3, 0
	;; [unrolled: 1-line block ×4, first 2 shown]
	s_and_saveexec_b64 s[0:1], vcc
	s_cbranch_execz .LBB408_49
; %bb.48:
	v_mov_b32_e32 v15, 0
	v_lshl_add_u64 v[2:3], s[4:5], 0, v[14:15]
	v_lshlrev_b32_e32 v4, 1, v18
	v_mov_b32_e32 v5, v15
	v_lshl_add_u64 v[2:3], v[2:3], 0, v[4:5]
	global_load_dwordx4 v[2:5], v[2:3], off
.LBB408_49:
	s_or_b64 exec, exec, s[0:1]
	v_or_b32_e32 v7, 1, v7
	v_cmp_gt_i32_e64 s[0:1], s40, v7
	v_lshlrev_b32_e32 v20, 8, v7
	v_mov_b32_e32 v7, 0
	v_mov_b32_e32 v8, 0
	;; [unrolled: 1-line block ×3, first 2 shown]
	s_and_saveexec_b64 s[2:3], s[0:1]
	s_cbranch_execz .LBB408_51
; %bb.50:
	v_mov_b32_e32 v21, 0
	v_lshl_add_u64 v[6:7], s[4:5], 0, v[20:21]
	v_lshlrev_b32_e32 v8, 1, v18
	v_mov_b32_e32 v9, v21
	v_lshl_add_u64 v[6:7], v[6:7], 0, v[8:9]
	global_load_dwordx4 v[6:9], v[6:7], off
.LBB408_51:
	s_or_b64 exec, exec, s[2:3]
	v_mov_b32_e32 v17, 0
	v_mov_b32_e32 v10, 0
	;; [unrolled: 1-line block ×5, first 2 shown]
	s_and_saveexec_b64 s[2:3], vcc
	s_cbranch_execz .LBB408_53
; %bb.52:
	v_mov_b32_e32 v15, 0
	v_lshl_add_u64 v[10:11], s[4:5], 0, v[14:15]
	v_lshlrev_b32_e32 v14, 1, v18
	v_lshl_add_u64 v[10:11], v[10:11], 0, v[14:15]
	global_load_dwordx4 v[10:13], v[10:11], off offset:128
.LBB408_53:
	s_or_b64 exec, exec, s[2:3]
	v_mov_b32_e32 v16, 0
	v_mov_b32_e32 v15, 0
	v_mov_b32_e32 v14, 0
	s_and_saveexec_b64 s[2:3], s[0:1]
	s_cbranch_execz .LBB408_55
; %bb.54:
	v_mov_b32_e32 v21, 0
	v_lshl_add_u64 v[14:15], s[4:5], 0, v[20:21]
	v_lshlrev_b32_e32 v20, 1, v18
	v_lshl_add_u64 v[14:15], v[14:15], 0, v[20:21]
	global_load_dwordx4 v[14:17], v[14:15], off offset:128
.LBB408_55:
	s_or_b64 exec, exec, s[2:3]
	s_branch .LBB408_58
.LBB408_56:
                                        ; implicit-def: $vgpr5
                                        ; implicit-def: $vgpr9
                                        ; implicit-def: $vgpr13
                                        ; implicit-def: $vgpr17
	s_cbranch_execz .LBB408_58
; %bb.57:
	s_waitcnt vmcnt(0)
	v_lshlrev_b32_e32 v2, 1, v18
	v_lshl_or_b32 v18, v23, 9, v2
	s_and_b32 s5, s5, 0xffff
	s_mov_b32 s7, 0x20000
	s_movk_i32 s6, 0x4000
	s_movk_i32 s0, 0x80
	buffer_load_dwordx4 v[2:5], v18, s[4:7], 0 offen
	buffer_load_dwordx4 v[6:9], v18, s[4:7], 0 offen offset:256
	buffer_load_dwordx4 v[10:13], v18, s[4:7], s0 offen
	buffer_load_dwordx4 v[14:17], v18, s[4:7], s0 offen offset:256
.LBB408_58:
	ds_read_b64 v[20:21], v25 offset:32768
	v_add_u32_e32 v18, 0xb000, v24
	ds_read2_b64 v[32:35], v18 offset1:16
	ds_read_b64 v[40:41], v26 offset:32768
	ds_read_b64 v[26:27], v27 offset:32768
	;; [unrolled: 1-line block ×3, first 2 shown]
	v_and_b32_e32 v18, 6, v0
	v_xor_b32_e32 v23, v23, v18
	v_lshlrev_b32_e32 v23, 2, v23
	v_and_b32_e32 v0, 1, v0
	v_xor_b32_e32 v28, 0x440, v23
	v_cmp_eq_u32_e32 vcc, 0, v0
	s_waitcnt lgkmcnt(3)
	v_mfma_f32_16x16x16_bf16 a[0:3], v[20:21], v[32:33], a[0:3]
	s_mov_b32 s0, 0x1000504
	v_cndmask_b32_e32 v0, v28, v23, vcc
	v_lshl_or_b32 v0, v18, 10, v0
	v_mfma_f32_16x16x16_bf16 a[4:7], v[20:21], v[34:35], a[4:7]
	ds_read2st64_b64 v[32:35], v24 offset0:90 offset1:92
	ds_read2st64_b64 v[36:39], v29 offset0:90 offset1:92
	ds_read_b64 v[20:21], v24 offset:48128
	ds_read_b64 v[24:25], v29 offset:48128
	s_waitcnt vmcnt(0)
	v_perm_b32 v18, v2, v6, s0
	s_waitcnt lgkmcnt(3)
	v_mfma_f32_16x16x16_bf16 a[0:3], v[40:41], v[32:33], a[0:3]
	s_mov_b32 s1, 0x3020706
	v_perm_b32 v2, v2, v6, s1
	v_perm_b32 v6, v10, v14, s1
	s_waitcnt lgkmcnt(2)
	v_mfma_f32_16x16x16_bf16 a[4:7], v[40:41], v[36:37], a[4:7]
	v_mfma_f32_16x16x16_bf16 a[0:3], v[26:27], v[34:35], a[0:3]
	;; [unrolled: 1-line block ×3, first 2 shown]
	s_waitcnt lgkmcnt(1)
	v_mfma_f32_16x16x16_bf16 a[4:7], v[42:43], v[20:21], a[0:3]
	v_perm_b32 v20, v10, v14, s0
	ds_write2st64_b32 v0, v18, v20 offset0:32 offset1:64
	v_xor_b32_e32 v18, 8, v0
	v_add_u32_e32 v10, 0x80, v18
	ds_write2st64_b32 v10, v2, v6 offset0:32 offset1:64
	v_xor_b32_e32 v2, 16, v0
	v_perm_b32 v6, v3, v7, s0
	v_perm_b32 v10, v11, v15, s0
	ds_write2st64_b32 v2, v6, v10 offset0:33 offset1:65
	v_xor_b32_e32 v2, 24, v0
	v_perm_b32 v3, v3, v7, s1
	v_perm_b32 v6, v11, v15, s1
	v_add_u32_e32 v2, 0x80, v2
	ds_write2st64_b32 v2, v3, v6 offset0:33 offset1:65
	v_xor_b32_e32 v2, 32, v0
	v_perm_b32 v3, v4, v8, s0
	v_perm_b32 v6, v12, v16, s0
	s_waitcnt lgkmcnt(4)
	v_mfma_f32_16x16x16_bf16 a[0:3], v[42:43], v[24:25], a[8:11]
	ds_write2st64_b32 v2, v3, v6 offset0:34 offset1:66
	v_xor_b32_e32 v2, 40, v0
	v_perm_b32 v3, v4, v8, s1
	v_perm_b32 v4, v12, v16, s1
	v_add_u32_e32 v2, 0x80, v2
	ds_write2st64_b32 v2, v3, v4 offset0:34 offset1:66
	v_xor_b32_e32 v2, 48, v0
	v_perm_b32 v3, v5, v9, s0
	v_perm_b32 v4, v13, v17, s0
	v_xor_b32_e32 v0, 56, v0
	v_and_or_b32 v18, v30, 12, v1
	ds_write2st64_b32 v2, v3, v4 offset0:35 offset1:67
	v_perm_b32 v2, v5, v9, s1
	v_perm_b32 v3, v13, v17, s1
	v_add_u32_e32 v0, 0x80, v0
	v_cmp_gt_i32_e32 vcc, s40, v18
	v_mov_b32_e32 v14, 0
	v_mov_b32_e32 v16, 0
	ds_write2st64_b32 v0, v2, v3 offset0:35 offset1:67
	s_and_saveexec_b64 s[0:1], vcc
	s_cbranch_execz .LBB408_60
; %bb.59:
	v_add_u32_e32 v0, s34, v18
	v_ashrrev_i32_e32 v1, 31, v0
	v_mul_lo_u32 v2, v1, s28
	v_mul_lo_u32 v3, v0, s29
	v_mad_u64_u32 v[0:1], s[2:3], v0, s28, 0
	v_add3_u32 v1, v1, v3, v2
	v_lshl_add_u64 v[0:1], v[0:1], 2, s[10:11]
	global_load_dword v0, v[0:1], off
	s_waitcnt vmcnt(0)
	v_sub_f32_e32 v0, s12, v0
	v_exp_f32_e32 v16, v0
.LBB408_60:
	s_or_b64 exec, exec, s[0:1]
	v_or_b32_e32 v8, 1, v18
	v_cmp_gt_i32_e64 s[0:1], s40, v8
	s_and_saveexec_b64 s[2:3], s[0:1]
	s_cbranch_execz .LBB408_62
; %bb.61:
	v_add_u32_e32 v0, s34, v8
	v_ashrrev_i32_e32 v1, 31, v0
	v_mul_lo_u32 v2, v1, s28
	v_mul_lo_u32 v3, v0, s29
	v_mad_u64_u32 v[0:1], s[4:5], v0, s28, 0
	v_add3_u32 v1, v1, v3, v2
	v_lshl_add_u64 v[0:1], v[0:1], 2, s[10:11]
	global_load_dword v0, v[0:1], off
	s_waitcnt vmcnt(0)
	v_sub_f32_e32 v0, s12, v0
	v_exp_f32_e32 v14, v0
.LBB408_62:
	s_or_b64 exec, exec, s[2:3]
	v_or_b32_e32 v10, 2, v18
	v_cmp_gt_i32_e64 s[2:3], s40, v10
	v_mov_b32_e32 v15, 0
	v_mov_b32_e32 v17, 0
	s_and_saveexec_b64 s[4:5], s[2:3]
	s_cbranch_execz .LBB408_64
; %bb.63:
	v_add_u32_e32 v0, s34, v10
	v_ashrrev_i32_e32 v1, 31, v0
	v_mul_lo_u32 v2, v1, s28
	v_mul_lo_u32 v3, v0, s29
	v_mad_u64_u32 v[0:1], s[6:7], v0, s28, 0
	v_add3_u32 v1, v1, v3, v2
	v_lshl_add_u64 v[0:1], v[0:1], 2, s[10:11]
	global_load_dword v0, v[0:1], off
	s_waitcnt vmcnt(0)
	v_sub_f32_e32 v0, s12, v0
	v_exp_f32_e32 v17, v0
.LBB408_64:
	s_or_b64 exec, exec, s[4:5]
	v_or_b32_e32 v12, 3, v18
	v_cmp_gt_i32_e64 s[4:5], s40, v12
	s_and_saveexec_b64 s[6:7], s[4:5]
	s_cbranch_execz .LBB408_66
; %bb.65:
	v_add_u32_e32 v0, s34, v12
	v_ashrrev_i32_e32 v1, 31, v0
	v_mul_lo_u32 v2, v1, s28
	v_mul_lo_u32 v3, v0, s29
	v_mad_u64_u32 v[0:1], s[14:15], v0, s28, 0
	v_add3_u32 v1, v1, v3, v2
	v_lshl_add_u64 v[0:1], v[0:1], 2, s[10:11]
	global_load_dword v0, v[0:1], off
	s_waitcnt vmcnt(0)
	v_sub_f32_e32 v0, s12, v0
	v_exp_f32_e32 v15, v0
.LBB408_66:
	s_or_b64 exec, exec, s[6:7]
	v_or_b32_e32 v4, s30, v45
	s_add_u32 s6, s8, s24
	v_accvgpr_read_b32 v0, a4
	s_addc_u32 s7, s9, s25
	v_ashrrev_i32_e32 v5, 31, v4
	v_accvgpr_read_b32 v1, a5
	v_accvgpr_read_b32 v2, a6
	v_accvgpr_read_b32 v3, a7
	v_lshl_add_u64 v[4:5], v[4:5], 1, s[6:7]
	v_mov_b32_e32 v9, 0
	v_lshlrev_b32_e32 v6, 8, v18
	v_mov_b32_e32 v7, 0
	s_and_saveexec_b64 s[6:7], vcc
	s_cbranch_execz .LBB408_68
; %bb.67:
	v_mov_b32_e32 v7, 0
	v_lshl_add_u64 v[20:21], v[4:5], 0, v[6:7]
	global_load_ushort v7, v[20:21], off
	s_waitcnt vmcnt(0)
	v_lshlrev_b32_e32 v7, 16, v7
	v_sub_f32_e32 v0, v7, v0
	v_mul_f32_e32 v0, v16, v0
	v_lshrrev_b32_e32 v7, 16, v0
.LBB408_68:
	s_or_b64 exec, exec, s[6:7]
	v_lshlrev_b32_e32 v8, 8, v8
	s_and_saveexec_b64 s[6:7], s[0:1]
	s_cbranch_execz .LBB408_70
; %bb.69:
	v_mov_b32_e32 v9, 0
	v_lshl_add_u64 v[20:21], v[4:5], 0, v[8:9]
	global_load_ushort v0, v[20:21], off
	s_waitcnt vmcnt(0)
	v_lshlrev_b32_e32 v0, 16, v0
	v_sub_f32_e32 v0, v0, v1
	v_mul_f32_e32 v0, v14, v0
	v_lshrrev_b32_e32 v9, 16, v0
.LBB408_70:
	s_or_b64 exec, exec, s[6:7]
	v_mov_b32_e32 v13, 0
	v_lshlrev_b32_e32 v10, 8, v10
	v_mov_b32_e32 v11, 0
	s_and_saveexec_b64 s[6:7], s[2:3]
	s_cbranch_execz .LBB408_72
; %bb.71:
	v_mov_b32_e32 v11, 0
	v_lshl_add_u64 v[0:1], v[4:5], 0, v[10:11]
	global_load_ushort v0, v[0:1], off
	s_waitcnt vmcnt(0)
	v_lshlrev_b32_e32 v0, 16, v0
	v_sub_f32_e32 v0, v0, v2
	v_mul_f32_e32 v0, v17, v0
	v_lshrrev_b32_e32 v11, 16, v0
.LBB408_72:
	s_or_b64 exec, exec, s[6:7]
	v_lshlrev_b32_e32 v12, 8, v12
	s_and_saveexec_b64 s[6:7], s[4:5]
	s_cbranch_execz .LBB408_74
; %bb.73:
	v_mov_b32_e32 v13, 0
	v_lshl_add_u64 v[0:1], v[4:5], 0, v[12:13]
	global_load_ushort v0, v[0:1], off
	s_waitcnt vmcnt(0)
	v_lshlrev_b32_e32 v0, 16, v0
	v_sub_f32_e32 v0, v0, v3
	v_mul_f32_e32 v0, v15, v0
	v_lshrrev_b32_e32 v13, 16, v0
.LBB408_74:
	s_or_b64 exec, exec, s[6:7]
	v_lshlrev_b32_e32 v18, 5, v18
	s_mov_b32 s6, 0x5040100
	v_perm_b32 v20, v9, v7, s6
	v_or_b32_e32 v7, v18, v22
	v_accvgpr_read_b32 v0, a0
	v_perm_b32 v21, v13, v11, s6
	v_lshlrev_b32_e32 v7, 1, v7
	v_accvgpr_read_b32 v1, a1
	v_accvgpr_read_b32 v2, a2
	;; [unrolled: 1-line block ×3, first 2 shown]
	ds_write_b64 v7, v[20:21] offset:45056
	v_mov_b32_e32 v9, 0
	v_mov_b32_e32 v7, 0
	s_and_saveexec_b64 s[6:7], vcc
	s_cbranch_execz .LBB408_76
; %bb.75:
	v_mov_b32_e32 v7, 0
	v_lshl_add_u64 v[6:7], v[4:5], 0, v[6:7]
	global_load_ushort v6, v[6:7], off offset:32
	s_waitcnt vmcnt(0)
	v_lshlrev_b32_e32 v6, 16, v6
	v_sub_f32_e32 v0, v6, v0
	v_mul_f32_e32 v0, v16, v0
	v_lshrrev_b32_e32 v7, 16, v0
.LBB408_76:
	s_or_b64 exec, exec, s[6:7]
	s_and_saveexec_b64 s[6:7], s[0:1]
	s_cbranch_execz .LBB408_78
; %bb.77:
	v_mov_b32_e32 v9, 0
	v_lshl_add_u64 v[8:9], v[4:5], 0, v[8:9]
	global_load_ushort v0, v[8:9], off offset:32
	s_waitcnt vmcnt(0)
	v_lshlrev_b32_e32 v0, 16, v0
	v_sub_f32_e32 v0, v0, v1
	v_mul_f32_e32 v0, v14, v0
	v_lshrrev_b32_e32 v9, 16, v0
.LBB408_78:
	s_or_b64 exec, exec, s[6:7]
	v_mov_b32_e32 v0, 0
	v_mov_b32_e32 v1, 0
	s_and_saveexec_b64 s[0:1], s[2:3]
	s_cbranch_execz .LBB408_80
; %bb.79:
	v_mov_b32_e32 v11, 0
	v_lshl_add_u64 v[10:11], v[4:5], 0, v[10:11]
	global_load_ushort v1, v[10:11], off offset:32
	s_waitcnt vmcnt(0)
	v_lshlrev_b32_e32 v1, 16, v1
	v_sub_f32_e32 v1, v1, v2
	v_mul_f32_e32 v1, v17, v1
	v_lshrrev_b32_e32 v1, 16, v1
.LBB408_80:
	s_or_b64 exec, exec, s[0:1]
	s_and_saveexec_b64 s[0:1], s[4:5]
	s_cbranch_execz .LBB408_82
; %bb.81:
	v_mov_b32_e32 v13, 0
	v_lshl_add_u64 v[4:5], v[4:5], 0, v[12:13]
	global_load_ushort v0, v[4:5], off offset:32
	s_waitcnt vmcnt(0)
	v_lshlrev_b32_e32 v0, 16, v0
	v_sub_f32_e32 v0, v0, v3
	v_mul_f32_e32 v0, v15, v0
	v_lshrrev_b32_e32 v0, 16, v0
.LBB408_82:
	s_or_b64 exec, exec, s[0:1]
	s_mov_b32 s0, 0x5040100
	v_or_b32_e32 v2, v18, v19
	v_perm_b32 v1, v0, v1, s0
	v_perm_b32 v0, v9, v7, s0
	v_lshlrev_b32_e32 v2, 1, v2
	ds_write_b64 v2, v[0:1] offset:45056
	s_waitcnt lgkmcnt(0)
	s_barrier
.LBB408_83:
	s_endpgm
	.section	.rodata,"a",@progbits
	.p2align	6, 0x0
	.amdhsa_kernel _ZN12_GLOBAL__N_139chunk_gated_delta_rule_fwd_h_hip_kernelILi32ELb0ELb0ELb0ELb1ELb1ELb1ELb0ELb0EEEvPK12hip_bfloat16S3_S3_PKfS5_PKvPS1_S8_PvPKiSB_iiiiilll
		.amdhsa_group_segment_fixed_size 49152
		.amdhsa_private_segment_fixed_size 0
		.amdhsa_kernarg_size 136
		.amdhsa_user_sgpr_count 2
		.amdhsa_user_sgpr_dispatch_ptr 0
		.amdhsa_user_sgpr_queue_ptr 0
		.amdhsa_user_sgpr_kernarg_segment_ptr 1
		.amdhsa_user_sgpr_dispatch_id 0
		.amdhsa_user_sgpr_kernarg_preload_length 0
		.amdhsa_user_sgpr_kernarg_preload_offset 0
		.amdhsa_user_sgpr_private_segment_size 0
		.amdhsa_uses_dynamic_stack 0
		.amdhsa_enable_private_segment 0
		.amdhsa_system_sgpr_workgroup_id_x 1
		.amdhsa_system_sgpr_workgroup_id_y 1
		.amdhsa_system_sgpr_workgroup_id_z 0
		.amdhsa_system_sgpr_workgroup_info 0
		.amdhsa_system_vgpr_workitem_id 0
		.amdhsa_next_free_vgpr 160
		.amdhsa_next_free_sgpr 61
		.amdhsa_accum_offset 140
		.amdhsa_reserve_vcc 1
		.amdhsa_float_round_mode_32 0
		.amdhsa_float_round_mode_16_64 0
		.amdhsa_float_denorm_mode_32 3
		.amdhsa_float_denorm_mode_16_64 3
		.amdhsa_dx10_clamp 1
		.amdhsa_ieee_mode 1
		.amdhsa_fp16_overflow 0
		.amdhsa_tg_split 0
		.amdhsa_exception_fp_ieee_invalid_op 0
		.amdhsa_exception_fp_denorm_src 0
		.amdhsa_exception_fp_ieee_div_zero 0
		.amdhsa_exception_fp_ieee_overflow 0
		.amdhsa_exception_fp_ieee_underflow 0
		.amdhsa_exception_fp_ieee_inexact 0
		.amdhsa_exception_int_div_zero 0
	.end_amdhsa_kernel
	.section	.text._ZN12_GLOBAL__N_139chunk_gated_delta_rule_fwd_h_hip_kernelILi32ELb0ELb0ELb0ELb1ELb1ELb1ELb0ELb0EEEvPK12hip_bfloat16S3_S3_PKfS5_PKvPS1_S8_PvPKiSB_iiiiilll,"axG",@progbits,_ZN12_GLOBAL__N_139chunk_gated_delta_rule_fwd_h_hip_kernelILi32ELb0ELb0ELb0ELb1ELb1ELb1ELb0ELb0EEEvPK12hip_bfloat16S3_S3_PKfS5_PKvPS1_S8_PvPKiSB_iiiiilll,comdat
.Lfunc_end408:
	.size	_ZN12_GLOBAL__N_139chunk_gated_delta_rule_fwd_h_hip_kernelILi32ELb0ELb0ELb0ELb1ELb1ELb1ELb0ELb0EEEvPK12hip_bfloat16S3_S3_PKfS5_PKvPS1_S8_PvPKiSB_iiiiilll, .Lfunc_end408-_ZN12_GLOBAL__N_139chunk_gated_delta_rule_fwd_h_hip_kernelILi32ELb0ELb0ELb0ELb1ELb1ELb1ELb0ELb0EEEvPK12hip_bfloat16S3_S3_PKfS5_PKvPS1_S8_PvPKiSB_iiiiilll
                                        ; -- End function
	.section	.AMDGPU.csdata,"",@progbits
; Kernel info:
; codeLenInByte = 8464
; NumSgprs: 67
; NumVgprs: 140
; NumAgprs: 20
; TotalNumVgprs: 160
; ScratchSize: 0
; MemoryBound: 0
; FloatMode: 240
; IeeeMode: 1
; LDSByteSize: 49152 bytes/workgroup (compile time only)
; SGPRBlocks: 8
; VGPRBlocks: 19
; NumSGPRsForWavesPerEU: 67
; NumVGPRsForWavesPerEU: 160
; AccumOffset: 140
; Occupancy: 1
; WaveLimiterHint : 1
; COMPUTE_PGM_RSRC2:SCRATCH_EN: 0
; COMPUTE_PGM_RSRC2:USER_SGPR: 2
; COMPUTE_PGM_RSRC2:TRAP_HANDLER: 0
; COMPUTE_PGM_RSRC2:TGID_X_EN: 1
; COMPUTE_PGM_RSRC2:TGID_Y_EN: 1
; COMPUTE_PGM_RSRC2:TGID_Z_EN: 0
; COMPUTE_PGM_RSRC2:TIDIG_COMP_CNT: 0
; COMPUTE_PGM_RSRC3_GFX90A:ACCUM_OFFSET: 34
; COMPUTE_PGM_RSRC3_GFX90A:TG_SPLIT: 0
	.section	.text._ZN12_GLOBAL__N_139chunk_gated_delta_rule_fwd_h_hip_kernelILi32ELb1ELb1ELb1ELb0ELb1ELb1ELb0ELb0EEEvPK12hip_bfloat16S3_S3_PKfS5_PKvPS1_S8_PvPKiSB_iiiiilll,"axG",@progbits,_ZN12_GLOBAL__N_139chunk_gated_delta_rule_fwd_h_hip_kernelILi32ELb1ELb1ELb1ELb0ELb1ELb1ELb0ELb0EEEvPK12hip_bfloat16S3_S3_PKfS5_PKvPS1_S8_PvPKiSB_iiiiilll,comdat
	.globl	_ZN12_GLOBAL__N_139chunk_gated_delta_rule_fwd_h_hip_kernelILi32ELb1ELb1ELb1ELb0ELb1ELb1ELb0ELb0EEEvPK12hip_bfloat16S3_S3_PKfS5_PKvPS1_S8_PvPKiSB_iiiiilll ; -- Begin function _ZN12_GLOBAL__N_139chunk_gated_delta_rule_fwd_h_hip_kernelILi32ELb1ELb1ELb1ELb0ELb1ELb1ELb0ELb0EEEvPK12hip_bfloat16S3_S3_PKfS5_PKvPS1_S8_PvPKiSB_iiiiilll
	.p2align	8
	.type	_ZN12_GLOBAL__N_139chunk_gated_delta_rule_fwd_h_hip_kernelILi32ELb1ELb1ELb1ELb0ELb1ELb1ELb0ELb0EEEvPK12hip_bfloat16S3_S3_PKfS5_PKvPS1_S8_PvPKiSB_iiiiilll,@function
_ZN12_GLOBAL__N_139chunk_gated_delta_rule_fwd_h_hip_kernelILi32ELb1ELb1ELb1ELb0ELb1ELb1ELb0ELb0EEEvPK12hip_bfloat16S3_S3_PKfS5_PKvPS1_S8_PvPKiSB_iiiiilll: ; @_ZN12_GLOBAL__N_139chunk_gated_delta_rule_fwd_h_hip_kernelILi32ELb1ELb1ELb1ELb0ELb1ELb1ELb0ELb0EEEvPK12hip_bfloat16S3_S3_PKfS5_PKvPS1_S8_PvPKiSB_iiiiilll
; %bb.0:
	s_load_dwordx4 s[24:27], s[0:1], 0x5c
	s_abs_i32 s6, s3
	s_ashr_i32 s5, s3, 31
	v_and_b32_e32 v79, 15, v0
	v_bfe_u32 v78, v0, 4, 2
	s_waitcnt lgkmcnt(0)
	s_abs_i32 s4, s25
	v_cvt_f32_u32_e32 v1, s4
	s_sub_i32 s8, 0, s4
	s_ashr_i32 s7, s25, 31
	s_xor_b32 s5, s5, s7
	v_rcp_iflag_f32_e32 v1, v1
	v_mov_b32_e32 v63, 0
	v_lshlrev_b32_e32 v80, 3, v0
	v_mul_f32_e32 v1, 0x4f7ffffe, v1
	v_cvt_u32_f32_e32 v1, v1
	s_nop 0
	v_readfirstlane_b32 s9, v1
	s_mul_i32 s8, s8, s9
	s_mul_hi_u32 s8, s9, s8
	s_add_i32 s9, s9, s8
	s_mul_hi_u32 s8, s6, s9
	s_mul_i32 s9, s8, s4
	s_sub_i32 s6, s6, s9
	s_add_i32 s10, s8, 1
	s_sub_i32 s9, s6, s4
	s_cmp_ge_u32 s6, s4
	s_cselect_b32 s8, s10, s8
	s_cselect_b32 s6, s9, s6
	s_add_i32 s9, s8, 1
	s_cmp_ge_u32 s6, s4
	s_cselect_b32 s6, s9, s8
	s_xor_b32 s6, s6, s5
	s_sub_i32 s58, s6, s5
	s_mul_i32 s6, s58, s25
	s_sub_i32 s33, s3, s6
	s_abs_i32 s3, s26
	v_cvt_f32_u32_e32 v1, s3
	s_add_i32 s8, s24, 63
	s_ashr_i32 s9, s8, 31
	s_lshr_b32 s5, s9, 26
	v_rcp_iflag_f32_e32 v1, v1
	s_ashr_i32 s57, s24, 31
	s_add_i32 s8, s8, s5
	s_lshr_b32 s5, s57, 26
	v_mul_f32_e32 v1, 0x4f7ffffe, v1
	v_cvt_u32_f32_e32 v1, v1
	s_add_i32 s5, s24, s5
	s_ashr_i32 s60, s26, 31
	s_ashr_i32 s28, s8, 6
	;; [unrolled: 1-line block ×3, first 2 shown]
	s_xor_b32 s5, s7, s60
	s_sub_i32 s7, 0, s3
	v_readfirstlane_b32 s8, v1
	s_mul_i32 s7, s7, s8
	s_mul_hi_u32 s7, s8, s7
	s_add_i32 s8, s8, s7
	s_mul_hi_u32 s7, s4, s8
	s_mul_i32 s8, s7, s3
	s_sub_i32 s4, s4, s8
	s_lshl_b32 s2, s2, 5
	s_add_i32 s8, s7, 1
	s_sub_i32 s9, s4, s3
	s_cmp_ge_u32 s4, s3
	s_cselect_b32 s7, s8, s7
	s_cselect_b32 s4, s9, s4
	s_add_i32 s8, s7, 1
	s_cmp_ge_u32 s4, s3
	s_cselect_b32 s3, s8, s7
	s_xor_b32 s3, s3, s5
	s_sub_i32 s3, s3, s5
	s_abs_i32 s4, s3
	v_cvt_f32_u32_e32 v1, s4
	s_sub_i32 s7, 0, s4
	s_abs_i32 s5, s33
	s_xor_b32 s3, s33, s3
	v_rcp_iflag_f32_e32 v2, v1
	s_ashr_i32 s3, s3, 31
	s_load_dwordx8 s[8:15], s[0:1], 0x20
	v_lshrrev_b32_e32 v1, 6, v0
	v_mul_f32_e32 v2, 0x4f7ffffe, v2
	v_cvt_u32_f32_e32 v2, v2
	v_or_b32_e32 v68, s2, v79
	v_lshlrev_b32_e32 v61, 4, v1
	v_lshlrev_b32_e32 v66, 7, v68
	v_readfirstlane_b32 s16, v2
	s_mul_i32 s7, s7, s16
	s_mul_hi_u32 s7, s16, s7
	s_add_i32 s16, s16, s7
	s_mul_hi_u32 s7, s5, s16
	s_mul_i32 s16, s7, s4
	s_sub_i32 s5, s5, s16
	s_add_i32 s16, s7, 1
	s_sub_i32 s17, s5, s4
	s_cmp_ge_u32 s5, s4
	s_cselect_b32 s7, s16, s7
	s_cselect_b32 s5, s17, s5
	s_add_i32 s16, s7, 1
	s_cmp_ge_u32 s5, s4
	s_cselect_b32 s4, s16, s7
	s_xor_b32 s4, s4, s3
	s_sub_i32 s61, s4, s3
	s_ashr_i32 s3, s58, 31
	s_ashr_i32 s50, s33, 31
	s_mul_hi_i32 s4, s58, s25
	s_add_u32 s42, s6, s33
	s_addc_u32 s43, s4, s50
	s_lshl_b64 s[34:35], s[42:43], 16
	s_waitcnt lgkmcnt(0)
	s_add_u32 s4, s10, s34
	v_lshl_or_b32 v82, v78, 2, v61
	s_addc_u32 s5, s11, s35
	v_ashrrev_i32_e32 v67, 31, v66
	v_lshl_add_u64 v[2:3], v[66:67], 2, s[4:5]
	v_lshlrev_b32_e32 v62, 2, v82
	v_or_b32_e32 v64, 0x800, v66
	v_lshl_add_u64 v[10:11], v[2:3], 0, v[62:63]
	v_ashrrev_i32_e32 v65, 31, v64
	global_load_dwordx4 v[2:5], v[10:11], off
	global_load_dwordx4 v[6:9], v[10:11], off offset:256
	v_lshl_add_u64 v[10:11], v[64:65], 2, s[4:5]
	v_lshl_add_u64 v[10:11], v[10:11], 0, v[62:63]
	global_load_dwordx4 v[18:21], v[10:11], off
	global_load_dwordx4 v[22:25], v[10:11], off offset:256
	s_load_dwordx2 s[10:11], s[0:1], 0x40
	s_load_dwordx8 s[16:23], s[0:1], 0x0
	s_load_dwordx2 s[36:37], s[0:1], 0x80
	s_load_dwordx4 s[4:7], s[0:1], 0x70
	v_and_b32_e32 v63, 63, v0
	s_mul_i32 s51, s58, s24
	s_mul_i32 s62, s58, s28
	v_or_b32_e32 v83, 64, v82
	s_cmp_lt_i32 s24, 64
	v_lshrrev_b32_e32 v81, 3, v63
	s_mul_i32 s63, s43, s24
	s_mul_hi_u32 s64, s42, s24
	s_mul_i32 s44, s42, s24
	s_waitcnt lgkmcnt(0)
	s_mul_i32 s43, s58, s5
	s_mul_hi_u32 s53, s58, s4
	s_mul_i32 s54, s3, s4
	s_mul_i32 s38, s58, s4
	;; [unrolled: 1-line block ×3, first 2 shown]
	s_mul_hi_u32 s55, s33, s6
	s_mul_i32 s56, s50, s6
	s_mul_i32 s40, s33, s6
	s_cbranch_scc1 .LBB409_3
; %bb.1:
	s_add_i32 s45, s64, s63
	s_lshl_b64 s[0:1], s[44:45], 8
	v_and_b32_e32 v85, 56, v80
	s_add_u32 s4, s18, s0
	v_lshl_or_b32 v84, v1, 3, v81
	v_lshlrev_b32_e32 v10, 1, v85
	s_addc_u32 s0, s19, s1
	v_lshl_or_b32 v86, v84, 8, v10
	s_and_b32 s5, s0, 0xffff
	s_mov_b32 s7, 0x20000
	s_movk_i32 s6, 0x4000
	s_movk_i32 s0, 0x80
	v_or_b32_e32 v87, 0x2000, v86
	buffer_load_dwordx4 v[12:15], v86, s[4:7], 0 offen
	buffer_load_dwordx4 v[26:29], v86, s[4:7], s0 offen
	;; [unrolled: 1-line block ×4, first 2 shown]
	v_lshlrev_b32_e32 v11, 3, v84
	v_and_or_b32 v17, v0, 7, v11
	v_and_b32_e32 v11, 0x78, v11
	v_lshlrev_b32_e32 v17, 4, v17
	v_xor_b32_e32 v88, v17, v11
	v_mul_lo_u32 v16, v84, s27
	v_or_b32_e32 v89, 0x1000, v88
	v_xor_b32_e32 v11, 8, v88
	s_cmpk_eq_i32 s27, 0x80
	s_mov_b32 s65, s26
	v_xor_b32_e32 v17, 8, v89
	s_cselect_b64 s[0:1], -1, 0
	s_cmpk_lg_i32 s27, 0x80
	s_waitcnt vmcnt(3)
	ds_write_b64 v88, v[12:13] offset:24576
	ds_write_b64 v11, v[14:15] offset:24576
	s_waitcnt vmcnt(2)
	ds_write_b64 v88, v[26:27] offset:32768
	ds_write_b64 v11, v[28:29] offset:32768
	;; [unrolled: 3-line block ×4, first 2 shown]
	v_lshl_add_u32 v11, v16, 1, v85
	s_cbranch_scc0 .LBB409_4
; %bb.2:
	v_lshlrev_b32_e32 v13, 1, v11
	v_add_lshl_u32 v12, v11, s27, 1
	s_lshl_b32 s6, s27, 7
	v_lshl_or_b32 v10, v84, 9, v10
	s_cbranch_execz .LBB409_5
	s_branch .LBB409_6
.LBB409_3:
	s_waitcnt vmcnt(0)
	v_mov_b32_e32 v17, v25
	v_mov_b32_e32 v16, v24
	;; [unrolled: 1-line block ×5, first 2 shown]
	s_branch .LBB409_20
.LBB409_4:
                                        ; implicit-def: $vgpr12
                                        ; implicit-def: $vgpr13
                                        ; implicit-def: $sgpr6
	v_lshl_or_b32 v10, v84, 9, v10
.LBB409_5:
	v_or_b32_e32 v12, 0x100, v10
	s_movk_i32 s6, 0x4000
	v_mov_b32_e32 v13, v10
.LBB409_6:
	s_mul_hi_u32 s4, s26, s24
	s_mul_i32 s5, s60, s24
	s_add_i32 s4, s4, s5
	s_mul_i32 s5, s26, s24
	s_mul_i32 s7, s5, s3
	s_mul_hi_u32 s28, s5, s58
	s_add_i32 s7, s28, s7
	s_mul_i32 s4, s4, s58
	s_add_i32 s7, s7, s4
	s_mul_i32 s5, s5, s58
	s_ashr_i32 s66, s61, 31
	s_add_u32 s4, s5, s61
	s_addc_u32 s5, s7, s66
	s_lshl_b64 s[4:5], s[4:5], 8
	s_add_u32 s4, s16, s4
	s_addc_u32 s5, s17, s5
	s_and_b32 s5, s5, 0xffff
	s_mov_b32 s7, 0x20000
	s_movk_i32 s67, 0x80
	buffer_load_dwordx4 v[14:17], v13, s[4:7], 0 offen
	buffer_load_dwordx4 v[26:29], v13, s[4:7], s67 offen
	;; [unrolled: 1-line block ×4, first 2 shown]
	v_and_b32_e32 v12, 6, v0
	v_lshlrev_b32_e32 v39, 6, v82
	v_or_b32_e32 v41, 16, v79
	v_xor_b32_e32 v42, v84, v12
	v_and_b32_e32 v13, 1, v0
	s_mul_i32 s3, s3, s24
	s_mul_hi_u32 s4, s58, s24
	v_lshl_or_b32 v45, v79, 3, v39
	v_lshl_or_b32 v39, v41, 3, v39
	v_lshlrev_b32_e32 v42, 2, v42
	v_lshlrev_b32_e32 v38, 2, v79
	v_or_b32_e32 v92, 0xa000, v39
	v_or_b32_e32 v93, 0xb000, v39
	v_xor_b32_e32 v39, 0x440, v42
	v_cmp_eq_u32_e32 vcc, 0, v13
	s_add_i32 s71, s4, s3
	s_add_i32 s3, s53, s43
	v_xor_b32_e32 v43, v82, v38
	v_xor_b32_e32 v44, v83, v38
	v_cndmask_b32_e32 v13, v39, v42, vcc
	s_add_i32 s39, s3, s54
	s_add_i32 s3, s55, s52
	s_mov_b32 s69, 0x1000504
	v_lshlrev_b32_e32 v40, 8, v79
	v_lshlrev_b32_e32 v43, 1, v43
	;; [unrolled: 1-line block ×3, first 2 shown]
	v_lshl_or_b32 v12, v12, 10, v13
	s_add_i32 s41, s3, s56
	s_lshl_b64 s[4:5], s[38:39], 2
	s_mov_b32 s70, 0x3020706
	v_or_b32_e32 v90, 0xa000, v45
	v_or_b32_e32 v91, 0xb000, v45
	;; [unrolled: 1-line block ×4, first 2 shown]
	v_xor_b32_e32 v13, 8, v12
	v_xor_b32_e32 v40, 24, v12
	v_xor_b32_e32 v45, 40, v12
	v_xor_b32_e32 v47, 56, v12
	s_add_u32 s3, s22, s4
	v_xor_b32_e32 v39, 16, v12
	v_xor_b32_e32 v42, 32, v12
	;; [unrolled: 1-line block ×3, first 2 shown]
	v_add_u32_e32 v13, 0x80, v13
	v_add_u32_e32 v40, 0x80, v40
	;; [unrolled: 1-line block ×4, first 2 shown]
	s_addc_u32 s6, s23, s5
	s_lshl_b64 s[4:5], s[40:41], 2
	s_add_u32 s46, s3, s4
	s_movk_i32 s3, 0xf8
	s_addc_u32 s47, s6, s5
	s_lshl_b32 s30, s27, 7
	s_movk_i32 s28, 0x100
	v_mov_b32_e32 v71, 0
	v_lshlrev_b32_e32 v70, 4, v79
	v_cmp_gt_u32_e32 vcc, s28, v0
	v_ashrrev_i32_e32 v69, 31, v68
	v_lshlrev_b32_e32 v41, 8, v41
	s_mov_b32 s68, 0
	v_or_b32_e32 v96, v41, v43
	v_or_b32_e32 v97, v41, v44
	s_movk_i32 s39, 0x1000
	s_movk_i32 s6, 0x4000
	s_mov_b32 s41, 0x7060302
	s_mov_b32 s73, 0
	s_waitcnt vmcnt(1)
	v_perm_b32 v48, v14, v30, s69
	s_waitcnt vmcnt(0)
	v_perm_b32 v49, v26, v34, s69
	v_perm_b32 v14, v14, v30, s70
	v_perm_b32 v26, v26, v34, s70
	v_perm_b32 v30, v15, v31, s69
	v_perm_b32 v34, v27, v35, s69
	v_perm_b32 v15, v15, v31, s70
	v_perm_b32 v27, v27, v35, s70
	v_perm_b32 v31, v16, v32, s69
	v_perm_b32 v35, v28, v36, s69
	v_perm_b32 v16, v16, v32, s70
	v_perm_b32 v28, v28, v36, s70
	v_perm_b32 v32, v17, v33, s69
	v_perm_b32 v36, v29, v37, s69
	v_perm_b32 v17, v17, v33, s70
	v_perm_b32 v29, v29, v37, s70
	ds_write2st64_b32 v12, v48, v49 offset0:32 offset1:64
	ds_write2st64_b32 v13, v14, v26 offset0:32 offset1:64
	;; [unrolled: 1-line block ×8, first 2 shown]
	v_or_b32_e32 v12, v61, v79
	v_lshlrev_b32_e32 v12, 3, v12
	v_lshrrev_b32_e32 v15, 5, v63
	v_and_or_b32 v15, v12, s3, v15
	v_lshlrev_b32_e32 v15, 4, v15
	v_lshlrev_b32_e32 v17, 11, v1
	v_and_b32_e32 v12, 0x78, v12
	v_or_b32_e32 v28, 32, v15
	v_and_b32_e32 v14, 0x1000, v17
	v_lshrrev_b32_e32 v26, 1, v63
	v_xor_b32_e32 v28, v28, v12
	v_xor_b32_e32 v16, v15, v12
	v_and_b32_e32 v26, 8, v26
	v_or_b32_e32 v28, v28, v14
	v_or_b32_e32 v16, v16, v14
	v_lshlrev_b32_e32 v27, 7, v78
	v_xor_b32_e32 v100, v28, v26
	v_or_b32_e32 v28, 64, v15
	v_or_b32_e32 v15, 0x60, v15
	s_ashr_i32 s3, s2, 31
	v_xor_b32_e32 v98, v16, v26
	v_or_b32_e32 v16, v27, v38
	v_xor_b32_e32 v28, v28, v12
	v_xor_b32_e32 v12, v15, v12
	s_lshl_b64 s[4:5], s[2:3], 8
	v_lshlrev_b32_e32 v16, 1, v16
	v_or_b32_e32 v28, v28, v14
	v_or_b32_e32 v12, v12, v14
	s_add_u32 s4, s12, s4
	v_lshlrev_b32_e32 v14, 1, v79
	v_or_b32_e32 v99, 0xa000, v16
	v_or_b32_e32 v101, 0xa080, v16
	;; [unrolled: 1-line block ×4, first 2 shown]
	v_lshrrev_b32_e32 v16, 4, v0
	s_addc_u32 s5, s13, s5
	v_or_b32_e32 v15, 1, v14
	v_mov_b32_e32 v33, 0x4000
	v_mov_b32_e32 v34, 0x2000
	v_lshrrev_b32_e32 v35, 1, v0
	v_xor_b32_e32 v102, v28, v26
	v_xor_b32_e32 v103, v12, v26
	;; [unrolled: 1-line block ×4, first 2 shown]
	v_lshl_add_u64 v[14:15], s[4:5], 0, v[70:71]
	v_lshlrev_b32_e32 v70, 8, v16
	v_cndmask_b32_e32 v33, v33, v34, vcc
	v_lshlrev_b32_e32 v34, 3, v1
	v_and_b32_e32 v35, 24, v35
	v_lshl_or_b32 v106, v26, 3, v70
	v_and_b32_e32 v26, 8, v0
	v_xor_b32_e32 v36, v34, v35
	v_or_b32_e32 v37, 0x440, v36
	v_cmp_eq_u32_e32 vcc, 0, v26
	v_and_b32_e32 v16, 7, v0
	v_lshl_or_b32 v107, v30, 3, v70
	v_cndmask_b32_e32 v26, v37, v36, vcc
	v_lshlrev_b32_e32 v30, 3, v16
	v_lshlrev_b32_e32 v32, 2, v0
	v_or_b32_e32 v26, v26, v17
	v_xor_b32_e32 v36, v26, v30
	v_and_or_b32 v26, v32, 60, v27
	v_mov_b32_e32 v27, 0xb000
	v_lshl_or_b32 v108, v26, 1, v27
	v_or_b32_e32 v26, 32, v35
	v_xor_b32_e32 v26, v34, v26
	v_or_b32_e32 v27, 0x440, v26
	v_cndmask_b32_e32 v26, v27, v26, vcc
	v_or_b32_e32 v26, v26, v17
	v_xor_b32_e32 v27, v26, v30
	v_or_b32_e32 v26, 64, v35
	v_xor_b32_e32 v26, v34, v26
	v_xor_b32_e32 v38, 0x440, v26
	v_cndmask_b32_e32 v26, v38, v26, vcc
	v_or_b32_e32 v26, v26, v17
	v_xor_b32_e32 v38, v26, v30
	v_or_b32_e32 v26, 0x60, v35
	v_xor_b32_e32 v26, v34, v26
	v_xor_b32_e32 v34, 0x440, v26
	v_cndmask_b32_e32 v26, v34, v26, vcc
	v_lshrrev_b32_e32 v13, 2, v63
	v_or_b32_e32 v17, v26, v17
	v_and_b32_e32 v13, 12, v13
	v_lshlrev_b32_e32 v28, 1, v11
	v_add_lshl_u32 v11, v11, s27, 1
	v_or_b32_e32 v29, 0x100, v10
	v_xor_b32_e32 v17, v17, v30
	v_lshlrev_b32_e32 v12, 7, v82
	v_lshlrev_b32_e32 v31, 7, v16
	v_or_b32_e32 v16, v13, v61
	v_add_u32_e32 v37, v33, v36
	v_add_u32_e32 v32, v33, v27
	;; [unrolled: 1-line block ×4, first 2 shown]
	v_or3_b32 v26, v61, v13, 64
	v_add_u32_e32 v13, 0x4000, v36
	v_add_u32_e32 v27, 0x4000, v27
	;; [unrolled: 1-line block ×4, first 2 shown]
	v_cndmask_b32_e64 v109, v28, v10, s[0:1]
	v_cndmask_b32_e64 v110, v11, v29, s[0:1]
	v_lshlrev_b64 v[10:11], 1, v[68:69]
	v_lshl_add_u64 v[72:73], s[20:21], 0, v[10:11]
	v_lshl_add_u64 v[74:75], s[14:15], 0, v[10:11]
	v_lshl_add_u64 v[76:77], v[14:15], 0, v[70:71]
	s_add_i32 s3, s51, 63
	v_lshlrev_b32_e32 v70, 1, v12
	v_lshlrev_b32_e32 v69, 2, v16
	v_add_u32_e32 v111, v37, v31
	v_add_u32_e32 v112, v32, v31
	;; [unrolled: 1-line block ×4, first 2 shown]
	v_lshlrev_b32_e32 v115, 2, v26
	v_add_u32_e32 v116, v13, v31
	v_add_u32_e32 v117, v27, v31
	;; [unrolled: 1-line block ×4, first 2 shown]
	s_waitcnt lgkmcnt(0)
	s_barrier
.LBB409_7:                              ; =>This Inner Loop Header: Depth=1
	s_add_i32 s72, s73, 1
	s_cmp_lt_i32 s72, s59
	s_mov_b64 s[28:29], 0
	s_cselect_b64 s[48:49], -1, 0
	s_cmp_ge_i32 s72, s59
	s_mov_b64 s[4:5], 0
	s_cbranch_scc1 .LBB409_9
; %bb.8:                                ;   in Loop: Header=BB409_7 Depth=1
	s_add_i32 s0, s68, 64
	s_add_u32 s0, s44, s0
	s_addc_u32 s1, s45, 0
	s_lshl_b64 s[0:1], s[0:1], 8
	s_add_u32 s4, s18, s0
	s_addc_u32 s5, s19, s1
.LBB409_9:                              ;   in Loop: Header=BB409_7 Depth=1
	v_cndmask_b32_e64 v10, 0, 1, s[48:49]
	v_cmp_ne_u32_e64 s[0:1], 1, v10
	s_andn2_b64 vcc, exec, s[48:49]
	s_cbranch_vccnz .LBB409_11
; %bb.10:                               ;   in Loop: Header=BB409_7 Depth=1
	s_add_i32 s28, s68, 64
	s_add_u32 s28, s51, s28
	s_addc_u32 s29, s71, 0
	s_mul_i32 s31, s28, s60
	s_mul_hi_u32 s48, s28, s65
	s_add_i32 s31, s48, s31
	s_mul_i32 s29, s29, s65
	s_add_i32 s31, s31, s29
	s_mul_i32 s28, s28, s65
	s_add_u32 s28, s28, s61
	s_addc_u32 s29, s31, s66
	s_lshl_b64 s[28:29], s[28:29], 8
	s_add_u32 s28, s16, s28
	s_addc_u32 s29, s17, s29
.LBB409_11:                             ;   in Loop: Header=BB409_7 Depth=1
	v_perm_b32 v11, v5, v4, s41
	v_perm_b32 v10, v3, v2, s41
	;; [unrolled: 1-line block ×4, first 2 shown]
	ds_write_b64 v90, v[10:11]
	ds_write_b64 v91, v[12:13]
	ds_write_b64 v94, v[10:11]
	ds_write_b64 v95, v[12:13]
	v_perm_b32 v11, v21, v20, s41
	v_perm_b32 v10, v19, v18, s41
	;; [unrolled: 1-line block ×4, first 2 shown]
	ds_write_b64 v92, v[10:11]
	ds_write_b64 v93, v[12:13]
	ds_write_b64 v96, v[10:11]
	ds_write_b64 v97, v[12:13]
	s_waitcnt lgkmcnt(0)
	s_barrier
	ds_read_b64 v[14:15], v98 offset:24576
	ds_read2_b64 v[10:13], v99 offset1:16
	ds_read_b64 v[26:27], v101 offset:3072
	ds_read_b64 v[28:29], v99 offset:3072
	;; [unrolled: 1-line block ×3, first 2 shown]
	s_waitcnt lgkmcnt(3)
	v_mfma_f32_16x16x16_bf16 a[0:3], v[14:15], v[10:11], 0
	s_add_i32 s31, s68, 63
	s_mul_i32 s48, s31, s37
	s_mul_hi_u32 s49, s31, s36
	v_mfma_f32_16x16x16_bf16 a[4:7], v[14:15], v[12:13], 0
	ds_read2st64_b64 v[10:13], v99 offset0:2 offset1:4
	ds_read2st64_b64 v[14:17], v101 offset0:2 offset1:4
	s_add_i32 s49, s49, s48
	s_waitcnt lgkmcnt(1)
	v_mfma_f32_16x16x16_bf16 a[0:3], v[30:31], v[10:11], a[0:3]
	s_mul_i32 s48, s31, s36
	s_lshl_b64 s[48:49], s[48:49], 2
	s_add_u32 s48, s46, s48
	s_waitcnt lgkmcnt(0)
	v_mfma_f32_16x16x16_bf16 a[4:7], v[30:31], v[14:15], a[4:7]
	ds_read_b64 v[10:11], v102 offset:24576
	ds_read_b64 v[14:15], v103 offset:24576
	s_addc_u32 s49, s47, s49
	s_and_b64 vcc, exec, s[0:1]
	s_waitcnt lgkmcnt(1)
	v_mfma_f32_16x16x16_bf16 a[0:3], v[10:11], v[12:13], a[0:3]
	v_mov_b32_e32 v122, 0
	v_mov_b32_e32 v121, 0
	;; [unrolled: 1-line block ×3, first 2 shown]
	v_mfma_f32_16x16x16_bf16 a[8:11], v[10:11], v[16:17], a[4:7]
	v_mov_b32_e32 v10, 0
	v_mov_b32_e32 v11, 0
	;; [unrolled: 1-line block ×3, first 2 shown]
	s_waitcnt lgkmcnt(0)
	v_mfma_f32_16x16x16_bf16 a[4:7], v[14:15], v[28:29], a[0:3]
	v_mov_b32_e32 v13, 0
	v_mov_b32_e32 v16, 0
	;; [unrolled: 1-line block ×3, first 2 shown]
	v_mfma_f32_16x16x16_bf16 a[0:3], v[14:15], v[26:27], a[8:11]
	v_mov_b32_e32 v14, 0
	v_mov_b32_e32 v15, 0
	;; [unrolled: 1-line block ×10, first 2 shown]
	s_cbranch_vccnz .LBB409_13
; %bb.12:                               ;   in Loop: Header=BB409_7 Depth=1
	s_and_b32 s5, s5, 0xffff
	buffer_load_dwordx4 v[30:33], v86, s[4:7], 0 offen
	buffer_load_dwordx4 v[26:29], v86, s[4:7], s67 offen
	;; [unrolled: 1-line block ×4, first 2 shown]
	v_mov_b32_e32 v121, v88
	v_mov_b32_e32 v120, v89
.LBB409_13:                             ;   in Loop: Header=BB409_7 Depth=1
	ds_read_b64 v[42:43], v98 offset:32768
	ds_read2_b64 v[34:37], v104 offset1:16
	ds_read_b64 v[44:45], v100 offset:32768
	ds_read_b64 v[46:47], v102 offset:32768
	;; [unrolled: 1-line block ×3, first 2 shown]
	ds_read2st64_b64 v[38:41], v104 offset0:2 offset1:4
	v_add_u32_e32 v50, s68, v82
	s_waitcnt lgkmcnt(4)
	v_mfma_f32_16x16x16_bf16 a[4:7], v[42:43], v[34:35], a[4:7]
	v_ashrrev_i32_e32 v34, 31, v50
	v_mfma_f32_16x16x16_bf16 a[0:3], v[42:43], v[36:37], a[0:3]
	v_mul_lo_u32 v36, v50, s37
	v_mul_lo_u32 v37, v34, s36
	v_mad_u64_u32 v[34:35], s[4:5], v50, s36, 0
	v_add3_u32 v35, v35, v36, v37
	v_add_u32_e32 v36, 1, v50
	v_ashrrev_i32_e32 v37, 31, v36
	s_waitcnt lgkmcnt(0)
	v_mfma_f32_16x16x16_bf16 a[4:7], v[44:45], v[38:39], a[4:7]
	v_mul_lo_u32 v38, v37, s36
	v_mul_lo_u32 v39, v36, s37
	v_mad_u64_u32 v[36:37], s[4:5], v36, s36, 0
	v_add3_u32 v37, v37, v39, v38
	v_add_u32_e32 v38, 2, v50
	v_ashrrev_i32_e32 v39, 31, v38
	v_mul_lo_u32 v42, v39, s36
	v_mul_lo_u32 v43, v38, s37
	v_mad_u64_u32 v[38:39], s[4:5], v38, s36, 0
	v_add3_u32 v39, v39, v43, v42
	v_add_u32_e32 v42, 3, v50
	v_ashrrev_i32_e32 v43, 31, v42
	v_mul_lo_u32 v50, v43, s36
	v_mul_lo_u32 v51, v42, s37
	v_mad_u64_u32 v[42:43], s[4:5], v42, s36, 0
	s_add_u32 s4, s44, s68
	s_addc_u32 s5, s45, 0
	s_lshl_b64 s[74:75], s[4:5], 8
	v_lshl_add_u64 v[34:35], v[34:35], 2, s[46:47]
	v_add3_u32 v43, v43, v51, v50
	v_lshl_add_u64 v[50:51], v[72:73], 0, s[74:75]
	v_lshl_add_u64 v[36:37], v[36:37], 2, s[46:47]
	;; [unrolled: 1-line block ×3, first 2 shown]
	global_load_dword v52, v[34:35], off
	global_load_ushort v53, v[50:51], off offset:256
	global_load_ushort v54, v[50:51], off
	global_load_ushort v55, v[50:51], off offset:768
	v_lshl_add_u64 v[34:35], v[42:43], 2, s[46:47]
	v_lshl_add_u64 v[38:39], v[38:39], 2, s[46:47]
	global_load_dword v56, v[36:37], off
	global_load_dword v57, v[38:39], off
	;; [unrolled: 1-line block ×3, first 2 shown]
	ds_read2st64_b64 v[34:37], v105 offset0:2 offset1:4
	s_waitcnt lgkmcnt(0)
	v_mfma_f32_16x16x16_bf16 a[0:3], v[44:45], v[34:35], a[0:3]
	global_load_ushort v44, v[50:51], off offset:512
	global_load_ushort v59, v[50:51], off offset:800
	;; [unrolled: 1-line block ×4, first 2 shown]
	s_nop 0
	global_load_ushort v50, v[50:51], off offset:32
	s_and_b64 vcc, exec, s[0:1]
	v_mfma_f32_16x16x16_bf16 a[4:7], v[46:47], v[40:41], a[4:7]
	s_waitcnt vmcnt(10)
	v_lshlrev_b32_e32 v43, 16, v53
	v_mfma_f32_16x16x16_bf16 a[0:3], v[46:47], v[36:37], a[0:3]
	ds_read_b64 v[34:35], v104 offset:3072
	ds_read_b64 v[36:37], v105 offset:3072
	s_load_dword s4, s[48:49], 0x0
	s_waitcnt vmcnt(9)
	v_lshlrev_b32_e32 v42, 16, v54
	s_waitcnt lgkmcnt(0)
	v_mfma_f32_16x16x16_bf16 a[4:7], v[48:49], v[34:35], a[4:7]
	v_lshl_add_u64 v[34:35], v[74:75], 0, s[74:75]
	v_sub_f32_e32 v46, s4, v52
	s_waitcnt vmcnt(7)
	v_sub_f32_e32 v47, s4, v56
	v_mfma_f32_16x16x16_bf16 a[0:3], v[48:49], v[36:37], a[0:3]
	s_waitcnt vmcnt(6)
	v_sub_f32_e32 v48, s4, v57
	s_waitcnt vmcnt(5)
	v_sub_f32_e32 v49, s4, v58
	v_accvgpr_read_b32 v41, a5
	v_accvgpr_read_b32 v40, a4
	v_exp_f32_e32 v46, v46
	v_pk_add_f32 v[40:41], v[42:43], v[40:41] neg_lo:[0,1] neg_hi:[0,1]
	v_exp_f32_e32 v47, v47
	v_exp_f32_e32 v42, v48
	;; [unrolled: 1-line block ×3, first 2 shown]
	v_accvgpr_read_b32 v37, a7
	v_accvgpr_read_b32 v36, a6
	v_lshlrev_b32_e32 v45, 16, v55
	s_waitcnt vmcnt(4)
	v_lshlrev_b32_e32 v44, 16, v44
	v_lshl_add_u64 v[34:35], v[34:35], 0, v[70:71]
	v_pk_add_f32 v[36:37], v[44:45], v[36:37] neg_lo:[0,1] neg_hi:[0,1]
	global_store_short_d16_hi v[34:35], v40, off
	global_store_short_d16_hi v[34:35], v41, off offset:256
	global_store_short_d16_hi v[34:35], v36, off offset:512
	;; [unrolled: 1-line block ×3, first 2 shown]
	v_pk_mul_f32 v[40:41], v[46:47], v[40:41]
	v_pk_mul_f32 v[36:37], v[42:43], v[36:37]
	v_accvgpr_read_b32 v45, a1
	v_perm_b32 v40, v41, v40, s41
	v_perm_b32 v41, v37, v36, s41
	s_waitcnt vmcnt(5)
	v_lshlrev_b32_e32 v37, 16, v123
	s_waitcnt vmcnt(4)
	v_lshlrev_b32_e32 v36, 16, v50
	v_accvgpr_read_b32 v44, a0
	v_accvgpr_read_b32 v39, a3
	;; [unrolled: 1-line block ×3, first 2 shown]
	v_pk_add_f32 v[36:37], v[36:37], v[44:45] neg_lo:[0,1] neg_hi:[0,1]
	v_lshlrev_b32_e32 v45, 16, v59
	v_lshlrev_b32_e32 v44, 16, v60
	v_pk_add_f32 v[38:39], v[44:45], v[38:39] neg_lo:[0,1] neg_hi:[0,1]
	global_store_short_d16_hi v[34:35], v36, off offset:32
	global_store_short_d16_hi v[34:35], v37, off offset:288
	;; [unrolled: 1-line block ×4, first 2 shown]
	v_pk_mul_f32 v[34:35], v[46:47], v[36:37]
	v_pk_mul_f32 v[36:37], v[42:43], v[38:39]
	v_mov_b32_e32 v123, 0
	v_perm_b32 v37, v37, v36, s41
	v_perm_b32 v36, v35, v34, s41
	ds_write2_b64 v91, v[40:41], v[36:37] offset1:16
	v_mov_b32_e32 v34, 0
	v_mov_b32_e32 v35, 0
	;; [unrolled: 1-line block ×16, first 2 shown]
	s_cbranch_vccnz .LBB409_15
; %bb.14:                               ;   in Loop: Header=BB409_7 Depth=1
	s_and_b32 s29, s29, 0xffff
	s_mov_b32 s31, s7
	buffer_load_dwordx4 v[46:49], v109, s[28:31], 0 offen
	buffer_load_dwordx4 v[38:41], v109, s[28:31], s67 offen
	;; [unrolled: 1-line block ×4, first 2 shown]
	v_mov_b32_e32 v122, v85
	v_mov_b32_e32 v123, v84
.LBB409_15:                             ;   in Loop: Header=BB409_7 Depth=1
	s_waitcnt lgkmcnt(0)
	s_barrier
	ds_read_b64 v[54:55], v111
	ds_read_b64 v[128:129], v108
	ds_read_b64 v[130:131], v112
	ds_read_b64 v[132:133], v113
	ds_read_b64 v[140:141], v114
	ds_read_b64 v[142:143], v105 offset:3072
	ds_read2_b64 v[50:53], v104 offset0:16 offset1:128
	s_waitcnt lgkmcnt(5)
	v_mfma_f32_16x16x16_bf16 a[0:3], v[54:55], v[128:129], 0
	s_add_i32 s5, s62, s73
	s_mul_hi_i32 s29, s5, s25
	s_mul_i32 s5, s5, s25
	s_waitcnt lgkmcnt(0)
	v_mfma_f32_16x16x16_bf16 a[4:7], v[54:55], v[50:51], 0
	ds_read_b64 v[54:55], v116
	ds_read2st64_b64 v[56:59], v105 offset0:2 offset1:4
	s_add_u32 s28, s5, s33
	s_addc_u32 s29, s29, s50
	s_add_i32 s5, s3, s68
	s_lshl_b64 s[28:29], s[28:29], 15
	s_mul_hi_i32 s31, s5, s25
	s_mul_i32 s5, s5, s25
	s_add_u32 s48, s5, s33
	s_waitcnt lgkmcnt(1)
	v_mfma_f32_16x16x16_bf16 a[8:11], v[54:55], v[128:129], 0
	s_addc_u32 s49, s31, s50
	ds_read2st64_b64 v[124:127], v104 offset0:4 offset1:6
	s_lshl_b64 s[48:49], s[48:49], 9
	v_mfma_f32_16x16x16_bf16 a[0:3], v[130:131], v[52:53], a[0:3]
	s_add_u32 s48, s8, s48
	s_addc_u32 s49, s9, s49
	s_waitcnt lgkmcnt(1)
	v_mfma_f32_16x16x16_bf16 a[4:7], v[130:131], v[56:57], a[4:7]
	ds_read_b64 v[130:131], v117
	ds_read_b64 v[138:139], v118
	;; [unrolled: 1-line block ×3, first 2 shown]
	v_mfma_f32_16x16x16_bf16 a[12:15], v[54:55], v[50:51], 0
	s_waitcnt lgkmcnt(2)
	v_mfma_f32_16x16x16_bf16 a[8:11], v[130:131], v[52:53], a[8:11]
	global_load_dwordx4 v[50:53], v115, s[48:49]
	v_mfma_f32_16x16x16_bf16 a[12:15], v[130:131], v[56:57], a[12:15]
	global_load_dwordx4 v[54:57], v69, s[48:49]
	ds_read2st64_b64 v[128:131], v106 offset1:8
	s_waitcnt lgkmcnt(0)
	v_mov_b32_e32 v136, v128
	v_mfma_f32_16x16x16_bf16 a[0:3], v[132:133], v[124:125], a[0:3]
	v_mov_b32_e32 v137, v129
	v_mfma_f32_16x16x16_bf16 a[4:7], v[132:133], v[58:59], a[4:7]
	ds_read2st64_b64 v[132:135], v107 offset1:8
	v_mfma_f32_16x16x16_bf16 a[8:11], v[138:139], v[124:125], a[8:11]
	v_lshl_add_u64 v[124:125], v[76:77], 0, s[28:29]
	v_mfma_f32_16x16x16_bf16 a[16:19], v[138:139], v[58:59], a[12:15]
	v_add_co_u32_e32 v58, vcc, s39, v124
	s_waitcnt lgkmcnt(0)
	v_mov_b32_e32 v138, v132
	v_mfma_f32_16x16x16_bf16 a[0:3], v[140:141], v[126:127], a[0:3]
	v_mov_b32_e32 v139, v133
	v_mov_b32_e32 v132, v130
	;; [unrolled: 1-line block ×3, first 2 shown]
	v_mfma_f32_16x16x16_bf16 a[4:7], v[140:141], v[142:143], a[4:7]
	v_addc_co_u32_e32 v59, vcc, 0, v125, vcc
	global_store_dwordx4 v[58:59], v[132:135], off
	v_mfma_f32_16x16x16_bf16 a[12:15], v[144:145], v[126:127], a[8:11]
	s_and_b64 vcc, exec, s[0:1]
	global_store_dwordx4 v[124:125], v[136:139], off
	s_waitcnt vmcnt(3)
	v_mov_b32_e32 v60, v53
	v_mfma_f32_16x16x16_bf16 a[8:11], v[144:145], v[142:143], a[16:19]
	v_mov_b32_e32 v59, v52
	v_mov_b32_e32 v58, v51
	s_cbranch_vccnz .LBB409_17
; %bb.16:                               ;   in Loop: Header=BB409_7 Depth=1
	v_lshrrev_b32_e32 v51, 3, v122
	v_and_b32_e32 v51, 6, v51
	v_xor_b32_e32 v52, v51, v123
	v_lshlrev_b32_e32 v52, 2, v52
	v_and_b32_e32 v53, 8, v122
	v_xor_b32_e32 v122, 0x440, v52
	v_cmp_eq_u32_e32 vcc, 0, v53
	v_perm_b32 v53, v38, v34, s69
	s_nop 0
	v_cndmask_b32_e32 v52, v122, v52, vcc
	v_lshl_or_b32 v51, v51, 10, v52
	v_perm_b32 v52, v46, v42, s69
	s_barrier
	ds_write2st64_b32 v51, v52, v53 offset0:32 offset1:64
	v_xor_b32_e32 v52, 8, v51
	v_perm_b32 v42, v46, v42, s70
	v_perm_b32 v34, v38, v34, s70
	v_add_u32_e32 v38, 0x80, v52
	ds_write2st64_b32 v38, v42, v34 offset0:32 offset1:64
	v_xor_b32_e32 v34, 16, v51
	v_perm_b32 v38, v47, v43, s69
	v_perm_b32 v42, v39, v35, s69
	ds_write2st64_b32 v34, v38, v42 offset0:33 offset1:65
	v_xor_b32_e32 v34, 24, v51
	v_perm_b32 v38, v47, v43, s70
	v_perm_b32 v35, v39, v35, s70
	v_add_u32_e32 v34, 0x80, v34
	ds_write2st64_b32 v34, v38, v35 offset0:33 offset1:65
	v_xor_b32_e32 v34, 32, v51
	v_perm_b32 v35, v48, v44, s69
	v_perm_b32 v38, v40, v36, s69
	;; [unrolled: 9-line block ×3, first 2 shown]
	ds_write2st64_b32 v34, v35, v36 offset0:35 offset1:67
	v_xor_b32_e32 v34, 56, v51
	v_perm_b32 v35, v49, v45, s70
	v_perm_b32 v36, v41, v37, s70
	v_add_u32_e32 v34, 0x80, v34
	ds_write2st64_b32 v34, v35, v36 offset0:35 offset1:67
	ds_write_b64 v121, v[30:31] offset:24576
	v_xor_b32_e32 v30, 8, v121
	ds_write_b64 v30, v[32:33] offset:24576
	ds_write_b64 v121, v[26:27] offset:32768
	;; [unrolled: 1-line block ×4, first 2 shown]
	v_xor_b32_e32 v14, 8, v120
	ds_write_b64 v14, v[16:17] offset:24576
	ds_write_b64 v120, v[10:11] offset:32768
	;; [unrolled: 1-line block ×3, first 2 shown]
.LBB409_17:                             ;   in Loop: Header=BB409_7 Depth=1
	v_exp_f32_e32 v34, s4
	s_waitcnt vmcnt(2)
	v_exp_f32_e32 v36, v54
	v_exp_f32_e32 v37, v55
	;; [unrolled: 1-line block ×4, first 2 shown]
	v_accvgpr_read_b32 v29, a3
	v_accvgpr_read_b32 v27, a1
	;; [unrolled: 1-line block ×4, first 2 shown]
	v_pk_mul_f32 v[36:37], v[34:35], v[36:37] op_sel_hi:[0,1]
	v_accvgpr_read_b32 v28, a2
	v_accvgpr_read_b32 v11, a5
	;; [unrolled: 1-line block ×3, first 2 shown]
	v_pk_fma_f32 v[2:3], v[2:3], v[36:37], v[26:27]
	v_pk_mul_f32 v[26:27], v[34:35], v[38:39] op_sel_hi:[0,1]
	v_pk_fma_f32 v[4:5], v[4:5], v[26:27], v[28:29]
	v_fma_f32 v18, v18, v36, v10
	v_fma_f32 v19, v19, v37, v11
	v_exp_f32_e32 v10, v50
	v_exp_f32_e32 v11, v58
	;; [unrolled: 1-line block ×4, first 2 shown]
	v_accvgpr_read_b32 v12, a6
	v_accvgpr_read_b32 v33, a15
	v_accvgpr_read_b32 v17, a11
	v_accvgpr_read_b32 v32, a14
	v_accvgpr_read_b32 v31, a13
	v_accvgpr_read_b32 v30, a12
	v_accvgpr_read_b32 v16, a10
	v_accvgpr_read_b32 v15, a9
	v_accvgpr_read_b32 v14, a8
	v_fma_f32 v20, v20, v26, v12
	v_fmac_f32_e32 v13, v21, v27
	v_pk_mul_f32 v[10:11], v[34:35], v[10:11] op_sel_hi:[0,1]
	v_pk_mul_f32 v[26:27], v[34:35], v[28:29] op_sel_hi:[0,1]
	s_add_i32 s68, s68, 64
	v_pk_fma_f32 v[6:7], v[6:7], v[10:11], v[30:31]
	v_pk_fma_f32 v[8:9], v[8:9], v[26:27], v[32:33]
	v_fma_f32 v22, v22, v10, v14
	v_fma_f32 v23, v23, v11, v15
	;; [unrolled: 1-line block ×3, first 2 shown]
	s_cmp_eq_u32 s59, s72
	v_fmac_f32_e32 v17, v25, v27
	s_cbranch_scc1 .LBB409_19
; %bb.18:                               ;   in Loop: Header=BB409_7 Depth=1
	s_mov_b32 s73, s72
	v_mov_b32_e32 v21, v13
	v_mov_b32_e32 v25, v17
	s_branch .LBB409_7
.LBB409_19:
	v_mov_b32_e32 v16, v24
	v_mov_b32_e32 v15, v23
	v_mov_b32_e32 v14, v22
.LBB409_20:
	s_lshl_b32 s45, s59, 6
	s_sub_i32 s48, s24, s45
	v_mov_b32_e32 v12, v20
	v_mov_b32_e32 v11, v19
	;; [unrolled: 1-line block ×3, first 2 shown]
	s_cmp_gt_i32 s48, 0
	s_cbranch_scc0 .LBB409_85
; %bb.21:
	s_ashr_i32 s3, s45, 31
	s_cmpk_lg_i32 s27, 0x80
	s_cselect_b64 s[30:31], -1, 0
	s_and_b64 vcc, exec, s[30:31]
	s_cbranch_vccz .LBB409_23
; %bb.22:
	s_mul_hi_i32 s0, s58, s24
	s_add_u32 s1, s51, s45
	s_addc_u32 s0, s0, s3
	s_mul_i32 s4, s1, s60
	s_mul_hi_u32 s5, s1, s26
	s_add_i32 s4, s5, s4
	s_mul_i32 s0, s0, s26
	s_add_i32 s4, s4, s0
	s_mul_i32 s1, s1, s26
	s_ashr_i32 s0, s61, 31
	s_add_u32 s46, s1, s61
	s_addc_u32 s47, s4, s0
	s_cbranch_execz .LBB409_24
	s_branch .LBB409_25
.LBB409_23:
                                        ; implicit-def: $sgpr46_sgpr47
.LBB409_24:
	s_mul_hi_i32 s0, s58, s26
	s_mul_i32 s58, s58, s26
	s_ashr_i32 s1, s61, 31
	s_add_u32 s4, s58, s61
	s_addc_u32 s0, s0, s1
	s_mul_i32 s1, s4, s57
	s_mul_hi_u32 s5, s4, s24
	s_add_i32 s1, s5, s1
	s_mul_i32 s0, s0, s24
	s_add_i32 s1, s1, s0
	s_mul_i32 s4, s4, s24
	s_add_u32 s46, s4, s45
	s_addc_u32 s47, s1, s3
.LBB409_25:
	s_mul_i32 s0, s42, s57
	s_add_i32 s0, s64, s0
	s_add_i32 s4, s62, s59
	;; [unrolled: 1-line block ×3, first 2 shown]
	s_add_u32 s0, s44, s45
	v_lshlrev_b32_e32 v22, 5, v82
	v_lshlrev_b32_e32 v38, 2, v79
	s_addc_u32 s1, s1, s3
	s_mov_b32 s3, 0x7060302
	v_or_b32_e32 v25, v22, v38
	v_xor_b32_e32 v23, v82, v38
	v_perm_b32 v19, v5, v4, s3
	v_perm_b32 v18, v3, v2, s3
	;; [unrolled: 1-line block ×4, first 2 shown]
	v_lshlrev_b32_e32 v25, 1, v25
	v_xor_b32_e32 v24, v83, v38
	ds_write2st64_b64 v25, v[18:19], v[20:21] offset0:80 offset1:88
	v_lshlrev_b32_e32 v23, 1, v23
	v_lshlrev_b32_e32 v25, 8, v79
	s_lshl_b64 s[28:29], s[0:1], 8
	v_or_b32_e32 v26, v23, v25
	v_lshlrev_b32_e32 v24, 1, v24
	s_add_u32 s0, s18, s28
	ds_write_b64 v26, v[18:19]
	v_or_b32_e32 v18, v24, v25
	s_addc_u32 s1, s19, s29
	ds_write_b64 v18, v[20:21]
	v_perm_b32 v19, v13, v12, s3
	v_perm_b32 v18, v11, v10, s3
	;; [unrolled: 1-line block ×4, first 2 shown]
	v_or_b32_e32 v25, 16, v79
	s_mul_hi_i32 s3, s4, s25
	s_mul_i32 s4, s4, s25
	v_lshlrev_b32_e32 v35, 2, v25
	s_add_u32 s4, s4, s33
	v_or_b32_e32 v22, v22, v35
	s_addc_u32 s5, s3, s50
	v_lshlrev_b32_e32 v22, 1, v22
	s_ashr_i32 s3, s2, 31
	s_lshl_b64 s[4:5], s[4:5], 15
	ds_write2st64_b64 v22, v[18:19], v[20:21] offset0:80 offset1:88
	v_lshlrev_b32_e32 v22, 8, v25
	s_add_u32 s4, s12, s4
	v_or_b32_e32 v23, v23, v22
	s_addc_u32 s5, s13, s5
	s_lshl_b64 s[2:3], s[2:3], 8
	ds_write_b64 v23, v[18:19]
	v_or_b32_e32 v18, v24, v22
	s_add_u32 s2, s4, s2
	ds_write_b64 v18, v[20:21]
	v_lshrrev_b32_e32 v18, 4, v0
	s_addc_u32 s3, s5, s3
	v_lshlrev_b32_e32 v19, 1, v79
	v_lshlrev_b32_e32 v26, 4, v79
	v_mov_b32_e32 v27, 0
	v_or_b32_e32 v20, 1, v19
	v_xor_b32_e32 v19, v18, v19
	v_lshl_add_u64 v[28:29], s[2:3], 0, v[26:27]
	v_lshlrev_b32_e32 v26, 8, v18
	v_xor_b32_e32 v22, v20, v18
	v_lshl_or_b32 v18, v19, 3, v26
	s_waitcnt lgkmcnt(0)
	s_barrier
	ds_read2st64_b64 v[18:21], v18 offset1:8
	v_lshl_or_b32 v22, v22, 3, v26
	ds_read2st64_b64 v[22:25], v22 offset1:8
	v_lshl_add_u64 v[30:31], v[28:29], 0, v[26:27]
	s_movk_i32 s2, 0x1000
	s_waitcnt lgkmcnt(1)
	v_mov_b32_e32 v26, v18
	v_add_co_u32_e32 v18, vcc, s2, v30
	s_cmp_lg_u32 s48, 64
	v_mov_b32_e32 v27, v19
	v_addc_co_u32_e32 v19, vcc, 0, v31, vcc
	s_cselect_b64 s[18:19], -1, 0
	v_lshl_or_b32 v42, v1, 3, v81
	s_waitcnt lgkmcnt(0)
	v_mov_b32_e32 v28, v22
	v_mov_b32_e32 v29, v23
	;; [unrolled: 1-line block ×4, first 2 shown]
	s_mov_b32 s4, 0
	v_or_b32_e32 v36, 32, v42
	v_and_b32_e32 v34, 56, v80
	s_and_b64 vcc, exec, s[18:19]
	global_store_dwordx4 v[30:31], v[26:29], off
	global_store_dwordx4 v[18:19], v[22:25], off
	s_cbranch_vccz .LBB409_31
; %bb.26:
	s_mov_b32 s6, s4
	s_mov_b32 s7, s4
	;; [unrolled: 1-line block ×3, first 2 shown]
	v_mov_b64_e32 v[24:25], s[6:7]
	v_mov_b64_e32 v[22:23], s[4:5]
	;; [unrolled: 1-line block ×3, first 2 shown]
	v_cmp_gt_i32_e32 vcc, s48, v42
	v_mov_b64_e32 v[20:21], v[24:25]
	s_and_saveexec_b64 s[2:3], vcc
	s_cbranch_execz .LBB409_28
; %bb.27:
	v_lshlrev_b32_e32 v18, 8, v42
	v_mov_b32_e32 v19, 0
	v_lshl_add_u64 v[20:21], s[0:1], 0, v[18:19]
	v_lshlrev_b32_e32 v18, 1, v34
	v_lshl_add_u64 v[26:27], v[20:21], 0, v[18:19]
	global_load_dwordx4 v[22:25], v[26:27], off
	global_load_dwordx4 v[18:21], v[26:27], off offset:128
.LBB409_28:
	s_or_b64 exec, exec, s[2:3]
	s_mov_b32 s6, s4
	s_mov_b32 s7, s4
	;; [unrolled: 1-line block ×3, first 2 shown]
	v_mov_b64_e32 v[32:33], s[6:7]
	v_mov_b64_e32 v[30:31], s[4:5]
	;; [unrolled: 1-line block ×3, first 2 shown]
	v_cmp_gt_i32_e32 vcc, s48, v36
	v_lshlrev_b32_e32 v37, 7, v36
	v_mov_b64_e32 v[28:29], v[32:33]
	s_and_saveexec_b64 s[2:3], vcc
	s_cbranch_execz .LBB409_30
; %bb.29:
	v_lshlrev_b32_e32 v26, 1, v37
	v_mov_b32_e32 v27, 0
	v_lshl_add_u64 v[28:29], s[0:1], 0, v[26:27]
	v_lshlrev_b32_e32 v26, 1, v34
	v_lshl_add_u64 v[40:41], v[28:29], 0, v[26:27]
	global_load_dwordx4 v[30:33], v[40:41], off
	global_load_dwordx4 v[26:29], v[40:41], off offset:128
.LBB409_30:
	s_or_b64 exec, exec, s[2:3]
	v_lshrrev_b32_e32 v39, 3, v34
	v_lshlrev_b32_e32 v40, 3, v42
	v_or_b32_e32 v39, v40, v39
	v_lshlrev_b32_e32 v39, 4, v39
	v_and_b32_e32 v40, 0x78, v40
	v_xor_b32_e32 v39, v39, v40
	s_branch .LBB409_33
.LBB409_31:
                                        ; implicit-def: $vgpr39
                                        ; implicit-def: $vgpr37
                                        ; implicit-def: $vgpr22_vgpr23_vgpr24_vgpr25
                                        ; implicit-def: $vgpr18_vgpr19_vgpr20_vgpr21
                                        ; implicit-def: $vgpr30_vgpr31_vgpr32_vgpr33
                                        ; implicit-def: $vgpr26_vgpr27_vgpr28_vgpr29
	s_cbranch_execz .LBB409_33
; %bb.32:
	s_waitcnt vmcnt(0)
	v_lshlrev_b32_e32 v18, 1, v34
	v_lshl_or_b32 v37, v42, 8, v18
	s_and_b32 s1, s1, 0xffff
	s_mov_b32 s3, 0x20000
	s_movk_i32 s2, 0x4000
	v_lshl_or_b32 v39, v36, 8, v18
	s_movk_i32 s4, 0x80
	buffer_load_dwordx4 v[22:25], v37, s[0:3], 0 offen
	buffer_load_dwordx4 v[18:21], v37, s[0:3], s4 offen
	;; [unrolled: 1-line block ×4, first 2 shown]
	v_lshrrev_b32_e32 v37, 3, v34
	v_lshlrev_b32_e32 v39, 3, v42
	v_or_b32_e32 v37, v39, v37
	v_lshlrev_b32_e32 v37, 4, v37
	v_and_b32_e32 v39, 0x78, v39
	v_xor_b32_e32 v39, v37, v39
	v_lshlrev_b32_e32 v37, 7, v36
.LBB409_33:
	s_lshl_b64 s[0:1], s[46:47], 8
	s_add_u32 s4, s16, s0
	s_movk_i32 s0, 0x1000
	v_and_or_b32 v36, v37, s0, v39
	s_waitcnt vmcnt(1)
	ds_write_b64 v39, v[22:23] offset:24576
	v_xor_b32_e32 v22, 8, v39
	ds_write_b64 v22, v[24:25] offset:24576
	s_waitcnt vmcnt(0)
	ds_write_b64 v39, v[18:19] offset:32768
	ds_write_b64 v22, v[20:21] offset:32768
	;; [unrolled: 1-line block ×3, first 2 shown]
	v_xor_b32_e32 v18, 8, v36
	ds_write_b64 v18, v[32:33] offset:24576
	ds_write_b64 v36, v[26:27] offset:32768
	;; [unrolled: 1-line block ×3, first 2 shown]
	v_or_b32_e32 v18, v61, v79
	v_lshlrev_b32_e32 v18, 3, v18
	v_lshrrev_b32_e32 v19, 5, v63
	s_movk_i32 s2, 0xf8
	v_and_or_b32 v19, v18, s2, v19
	v_lshlrev_b32_e32 v23, 4, v19
	v_lshlrev_b32_e32 v39, 11, v1
	v_and_b32_e32 v24, 0x78, v18
	v_or_b32_e32 v26, 32, v23
	v_and_b32_e32 v22, 0x1000, v39
	v_lshrrev_b32_e32 v19, 1, v63
	v_xor_b32_e32 v26, v26, v24
	v_xor_b32_e32 v18, v23, v24
	v_and_b32_e32 v25, 8, v19
	v_or_b32_e32 v26, v26, v22
	v_or_b32_e32 v18, v18, v22
	v_xor_b32_e32 v44, v26, v25
	v_or_b32_e32 v26, 64, v23
	v_xor_b32_e32 v43, v18, v25
	v_xor_b32_e32 v26, v26, v24
	s_waitcnt lgkmcnt(0)
	s_barrier
	v_or_b32_e32 v28, v26, v22
	ds_read_b64 v[26:27], v43 offset:24576
	v_lshl_or_b32 v36, v78, 7, v38
	v_lshlrev_b32_e32 v40, 1, v36
	v_add_u32_e32 v18, 0xa000, v40
	ds_read2_b64 v[18:21], v18 offset1:16
	v_or_b32_e32 v23, 0x60, v23
	v_xor_b32_e32 v23, v23, v24
	s_waitcnt lgkmcnt(0)
	v_mfma_f32_16x16x16_bf16 a[0:3], v[26:27], v[18:19], 0
	v_or_b32_e32 v18, 64, v36
	v_or_b32_e32 v22, v23, v22
	v_lshlrev_b32_e32 v41, 1, v18
	v_xor_b32_e32 v45, v28, v25
	v_xor_b32_e32 v46, v22, v25
	ds_read_b64 v[28:29], v44 offset:24576
	ds_read_b64 v[30:31], v45 offset:24576
	;; [unrolled: 1-line block ×3, first 2 shown]
	v_mfma_f32_16x16x16_bf16 a[4:7], v[26:27], v[20:21], 0
	ds_read2st64_b64 v[18:21], v41 offset0:82 offset1:84
	ds_read2st64_b64 v[22:25], v40 offset0:82 offset1:84
	s_addc_u32 s5, s17, s1
	s_add_i32 s0, s53, s43
	s_add_i32 s16, s24, -1
	s_add_i32 s39, s0, s54
	s_add_i32 s0, s55, s52
	;; [unrolled: 1-line block ×3, first 2 shown]
	s_ashr_i32 s0, s16, 31
	s_mul_i32 s1, s16, s37
	s_mul_hi_u32 s2, s16, s36
	s_add_i32 s1, s2, s1
	s_mul_i32 s0, s0, s36
	s_waitcnt lgkmcnt(1)
	v_mfma_f32_16x16x16_bf16 a[4:7], v[28:29], v[18:19], a[4:7]
	s_add_i32 s1, s1, s0
	s_lshl_b64 s[2:3], s[38:39], 2
	s_add_u32 s6, s22, s2
	s_waitcnt lgkmcnt(0)
	v_mfma_f32_16x16x16_bf16 a[0:3], v[28:29], v[22:23], a[0:3]
	s_addc_u32 s7, s23, s3
	s_lshl_b64 s[2:3], s[40:41], 2
	s_mul_i32 s0, s16, s36
	s_add_u32 s12, s6, s2
	ds_read_b64 v[18:19], v40 offset:44032
	v_mfma_f32_16x16x16_bf16 a[4:7], v[30:31], v[20:21], a[4:7]
	ds_read_b64 v[20:21], v41 offset:44032
	s_addc_u32 s13, s7, s3
	s_lshl_b64 s[0:1], s[0:1], 2
	v_mfma_f32_16x16x16_bf16 a[0:3], v[30:31], v[24:25], a[0:3]
	s_add_u32 s0, s12, s0
	s_addc_u32 s1, s13, s1
	s_load_dword s17, s[0:1], 0x0
	s_waitcnt lgkmcnt(0)
	v_mfma_f32_16x16x16_bf16 a[0:3], v[32:33], v[18:19], a[0:3]
	s_and_b64 vcc, exec, s[30:31]
	v_mfma_f32_16x16x16_bf16 a[4:7], v[32:33], v[20:21], a[4:7]
	s_cbranch_vccz .LBB409_44
; %bb.34:
	v_lshlrev_b32_e32 v36, 1, v42
	s_and_b64 vcc, exec, s[18:19]
	s_cbranch_vccz .LBB409_45
; %bb.35:
	v_cmp_gt_i32_e32 vcc, s48, v36
	v_mov_b32_e32 v22, 0
	v_mov_b32_e32 v18, 0
	;; [unrolled: 1-line block ×5, first 2 shown]
	s_and_saveexec_b64 s[0:1], vcc
	s_cbranch_execz .LBB409_37
; %bb.36:
	v_mad_i64_i32 v[18:19], s[2:3], s27, v36, 0
	v_lshl_add_u64 v[18:19], v[18:19], 1, s[4:5]
	v_lshlrev_b32_e32 v20, 1, v34
	v_mov_b32_e32 v21, 0
	v_lshl_add_u64 v[18:19], v[18:19], 0, v[20:21]
	global_load_dwordx4 v[18:21], v[18:19], off
.LBB409_37:
	s_or_b64 exec, exec, s[0:1]
	v_or_b32_e32 v37, 1, v36
	v_cmp_gt_i32_e64 s[0:1], s48, v37
	v_mov_b32_e32 v23, 0
	v_mov_b32_e32 v24, 0
	;; [unrolled: 1-line block ×3, first 2 shown]
	s_and_saveexec_b64 s[2:3], s[0:1]
	s_cbranch_execz .LBB409_39
; %bb.38:
	v_mad_i64_i32 v[22:23], s[6:7], s27, v37, 0
	v_lshl_add_u64 v[22:23], v[22:23], 1, s[4:5]
	v_lshlrev_b32_e32 v24, 1, v34
	v_mov_b32_e32 v25, 0
	v_lshl_add_u64 v[22:23], v[22:23], 0, v[24:25]
	global_load_dwordx4 v[22:25], v[22:23], off
.LBB409_39:
	s_or_b64 exec, exec, s[2:3]
	v_mov_b32_e32 v33, 0
	v_mov_b32_e32 v26, 0
	;; [unrolled: 1-line block ×5, first 2 shown]
	s_and_saveexec_b64 s[2:3], vcc
	s_cbranch_execz .LBB409_41
; %bb.40:
	v_mad_i64_i32 v[26:27], s[6:7], s27, v36, 0
	v_lshl_add_u64 v[26:27], v[26:27], 1, s[4:5]
	v_lshlrev_b32_e32 v28, 1, v34
	v_mov_b32_e32 v29, 0
	v_lshl_add_u64 v[26:27], v[26:27], 0, v[28:29]
	global_load_dwordx4 v[26:29], v[26:27], off offset:128
.LBB409_41:
	s_or_b64 exec, exec, s[2:3]
	v_mov_b32_e32 v32, 0
	v_mov_b32_e32 v31, 0
	;; [unrolled: 1-line block ×3, first 2 shown]
	s_and_saveexec_b64 s[2:3], s[0:1]
	s_cbranch_execz .LBB409_43
; %bb.42:
	v_mad_i64_i32 v[30:31], s[0:1], s27, v37, 0
	v_lshl_add_u64 v[30:31], v[30:31], 1, s[4:5]
	v_lshlrev_b32_e32 v32, 1, v34
	v_mov_b32_e32 v33, 0
	v_lshl_add_u64 v[30:31], v[30:31], 0, v[32:33]
	global_load_dwordx4 v[30:33], v[30:31], off offset:128
.LBB409_43:
	s_or_b64 exec, exec, s[2:3]
	s_branch .LBB409_47
.LBB409_44:
                                        ; implicit-def: $vgpr21
                                        ; implicit-def: $vgpr25
                                        ; implicit-def: $vgpr29
                                        ; implicit-def: $vgpr33
	v_lshrrev_b32_e32 v47, 2, v63
	s_branch .LBB409_48
.LBB409_45:
                                        ; implicit-def: $vgpr21
                                        ; implicit-def: $vgpr25
                                        ; implicit-def: $vgpr29
                                        ; implicit-def: $vgpr33
	s_cbranch_execz .LBB409_47
; %bb.46:
	s_waitcnt vmcnt(0)
	v_mad_u64_u32 v[18:19], s[0:1], v36, s27, v[34:35]
	v_lshlrev_b32_e32 v36, 1, v18
	s_lshl_b32 s2, s27, 7
	s_and_b32 s1, s5, 0xffff
	s_mov_b32 s3, 0x20000
	s_mov_b32 s0, s4
	v_add_lshl_u32 v37, v18, s27, 1
	s_movk_i32 s6, 0x80
	buffer_load_dwordx4 v[18:21], v36, s[0:3], 0 offen
	buffer_load_dwordx4 v[26:29], v36, s[0:3], s6 offen
	;; [unrolled: 1-line block ×4, first 2 shown]
.LBB409_47:
	v_lshrrev_b32_e32 v47, 2, v63
	s_cbranch_execnz .LBB409_60
.LBB409_48:
	s_and_b64 vcc, exec, s[18:19]
	s_cbranch_vccz .LBB409_58
; %bb.49:
	s_waitcnt vmcnt(0)
	v_lshlrev_b32_e32 v23, 1, v42
	v_cmp_gt_i32_e32 vcc, s48, v23
	v_mov_b32_e32 v22, 0
	v_lshlrev_b32_e32 v30, 9, v42
	v_mov_b32_e32 v18, 0
	v_mov_b32_e32 v19, 0
	v_mov_b32_e32 v20, 0
	v_mov_b32_e32 v21, 0
	s_and_saveexec_b64 s[0:1], vcc
	s_cbranch_execz .LBB409_51
; %bb.50:
	v_mov_b32_e32 v31, 0
	v_lshl_add_u64 v[18:19], s[4:5], 0, v[30:31]
	v_lshlrev_b32_e32 v20, 1, v34
	v_mov_b32_e32 v21, v31
	v_lshl_add_u64 v[18:19], v[18:19], 0, v[20:21]
	global_load_dwordx4 v[18:21], v[18:19], off
.LBB409_51:
	s_or_b64 exec, exec, s[0:1]
	v_or_b32_e32 v23, 1, v23
	v_cmp_gt_i32_e64 s[0:1], s48, v23
	v_lshlrev_b32_e32 v36, 8, v23
	v_mov_b32_e32 v23, 0
	v_mov_b32_e32 v24, 0
	;; [unrolled: 1-line block ×3, first 2 shown]
	s_and_saveexec_b64 s[2:3], s[0:1]
	s_cbranch_execz .LBB409_53
; %bb.52:
	v_mov_b32_e32 v37, 0
	v_lshl_add_u64 v[22:23], s[4:5], 0, v[36:37]
	v_lshlrev_b32_e32 v24, 1, v34
	v_mov_b32_e32 v25, v37
	v_lshl_add_u64 v[22:23], v[22:23], 0, v[24:25]
	global_load_dwordx4 v[22:25], v[22:23], off
.LBB409_53:
	s_or_b64 exec, exec, s[2:3]
	v_mov_b32_e32 v33, 0
	v_mov_b32_e32 v26, 0
	;; [unrolled: 1-line block ×5, first 2 shown]
	s_and_saveexec_b64 s[2:3], vcc
	s_cbranch_execz .LBB409_55
; %bb.54:
	v_mov_b32_e32 v31, 0
	v_lshl_add_u64 v[26:27], s[4:5], 0, v[30:31]
	v_lshlrev_b32_e32 v30, 1, v34
	v_lshl_add_u64 v[26:27], v[26:27], 0, v[30:31]
	global_load_dwordx4 v[26:29], v[26:27], off offset:128
.LBB409_55:
	s_or_b64 exec, exec, s[2:3]
	v_mov_b32_e32 v32, 0
	v_mov_b32_e32 v31, 0
	;; [unrolled: 1-line block ×3, first 2 shown]
	s_and_saveexec_b64 s[2:3], s[0:1]
	s_cbranch_execz .LBB409_57
; %bb.56:
	v_mov_b32_e32 v37, 0
	v_lshl_add_u64 v[30:31], s[4:5], 0, v[36:37]
	v_lshlrev_b32_e32 v36, 1, v34
	v_lshl_add_u64 v[30:31], v[30:31], 0, v[36:37]
	global_load_dwordx4 v[30:33], v[30:31], off offset:128
.LBB409_57:
	s_or_b64 exec, exec, s[2:3]
	s_branch .LBB409_60
.LBB409_58:
                                        ; implicit-def: $vgpr21
                                        ; implicit-def: $vgpr25
                                        ; implicit-def: $vgpr29
                                        ; implicit-def: $vgpr33
	s_cbranch_execz .LBB409_60
; %bb.59:
	s_waitcnt vmcnt(0)
	v_lshlrev_b32_e32 v18, 1, v34
	v_lshl_or_b32 v34, v42, 9, v18
	s_and_b32 s5, s5, 0xffff
	s_mov_b32 s7, 0x20000
	s_movk_i32 s6, 0x4000
	s_movk_i32 s0, 0x80
	buffer_load_dwordx4 v[18:21], v34, s[4:7], 0 offen
	buffer_load_dwordx4 v[22:25], v34, s[4:7], 0 offen offset:256
	buffer_load_dwordx4 v[26:29], v34, s[4:7], s0 offen
	buffer_load_dwordx4 v[30:33], v34, s[4:7], s0 offen offset:256
.LBB409_60:
	ds_read_b64 v[36:37], v43 offset:32768
	v_add_u32_e32 v34, 0xb000, v40
	ds_read2_b64 v[48:51], v34 offset1:16
	ds_read_b64 v[56:57], v44 offset:32768
	ds_read_b64 v[44:45], v45 offset:32768
	;; [unrolled: 1-line block ×3, first 2 shown]
	ds_read2st64_b64 v[52:55], v41 offset0:90 offset1:92
	v_and_b32_e32 v43, 6, v0
	v_and_b32_e32 v34, 12, v47
	v_xor_b32_e32 v42, v42, v43
	v_lshlrev_b32_e32 v42, 2, v42
	s_mov_b32 s0, 0x1000504
	s_waitcnt lgkmcnt(4)
	v_mfma_f32_16x16x16_bf16 a[0:3], v[36:37], v[48:49], a[0:3]
	s_mov_b32 s1, 0x3020706
	v_mfma_f32_16x16x16_bf16 a[4:7], v[36:37], v[50:51], a[4:7]
	ds_read2st64_b64 v[48:51], v40 offset0:90 offset1:92
	ds_read_b64 v[36:37], v40 offset:48128
	ds_read_b64 v[46:47], v41 offset:48128
	s_waitcnt lgkmcnt(2)
	v_mfma_f32_16x16x16_bf16 a[0:3], v[56:57], v[48:49], a[0:3]
	v_and_b32_e32 v48, 1, v0
	v_xor_b32_e32 v49, 0x440, v42
	v_cmp_eq_u32_e32 vcc, 0, v48
	v_mfma_f32_16x16x16_bf16 a[4:7], v[56:57], v[52:53], a[4:7]
	s_nop 0
	v_cndmask_b32_e32 v42, v49, v42, vcc
	v_lshl_or_b32 v42, v43, 10, v42
	v_mfma_f32_16x16x16_bf16 a[0:3], v[44:45], v[50:51], a[0:3]
	v_mov_b32_e32 v43, 0
	v_mfma_f32_16x16x16_bf16 a[8:11], v[44:45], v[54:55], a[4:7]
	s_waitcnt lgkmcnt(1)
	v_mfma_f32_16x16x16_bf16 a[4:7], v[58:59], v[36:37], a[0:3]
	s_waitcnt vmcnt(0)
	v_perm_b32 v36, v18, v22, s0
	v_perm_b32 v37, v26, v30, s0
	ds_write2st64_b32 v42, v36, v37 offset0:32 offset1:64
	v_xor_b32_e32 v36, 8, v42
	v_perm_b32 v18, v18, v22, s1
	v_perm_b32 v22, v26, v30, s1
	v_add_u32_e32 v26, 0x80, v36
	ds_write2st64_b32 v26, v18, v22 offset0:32 offset1:64
	v_xor_b32_e32 v18, 16, v42
	v_perm_b32 v22, v19, v23, s0
	v_perm_b32 v26, v27, v31, s0
	ds_write2st64_b32 v18, v22, v26 offset0:33 offset1:65
	v_xor_b32_e32 v18, 24, v42
	v_perm_b32 v19, v19, v23, s1
	v_perm_b32 v22, v27, v31, s1
	v_add_u32_e32 v18, 0x80, v18
	ds_write2st64_b32 v18, v19, v22 offset0:33 offset1:65
	v_xor_b32_e32 v18, 32, v42
	v_perm_b32 v19, v20, v24, s0
	v_perm_b32 v22, v28, v32, s0
	ds_write2st64_b32 v18, v19, v22 offset0:34 offset1:66
	v_xor_b32_e32 v18, 40, v42
	s_waitcnt lgkmcnt(5)
	v_mfma_f32_16x16x16_bf16 a[0:3], v[58:59], v[46:47], a[8:11]
	v_perm_b32 v19, v20, v24, s1
	v_perm_b32 v20, v28, v32, s1
	v_add_u32_e32 v18, 0x80, v18
	ds_write2st64_b32 v18, v19, v20 offset0:34 offset1:66
	v_xor_b32_e32 v18, 48, v42
	v_perm_b32 v19, v21, v25, s0
	v_perm_b32 v20, v29, v33, s0
	ds_write2st64_b32 v18, v19, v20 offset0:35 offset1:67
	v_xor_b32_e32 v18, 56, v42
	v_or_b32_e32 v36, v34, v61
	v_perm_b32 v19, v21, v25, s1
	v_perm_b32 v20, v29, v33, s1
	v_add_u32_e32 v18, 0x80, v18
	v_cmp_gt_i32_e64 s[0:1], s48, v36
	v_mov_b32_e32 v42, 0
	ds_write2st64_b32 v18, v19, v20 offset0:35 offset1:67
	s_and_saveexec_b64 s[2:3], s[0:1]
	s_cbranch_execz .LBB409_62
; %bb.61:
	v_add_u32_e32 v18, s45, v36
	v_ashrrev_i32_e32 v19, 31, v18
	v_mul_lo_u32 v20, v19, s36
	v_mul_lo_u32 v21, v18, s37
	v_mad_u64_u32 v[18:19], s[4:5], v18, s36, 0
	v_add3_u32 v19, v19, v21, v20
	v_lshl_add_u64 v[18:19], v[18:19], 2, s[12:13]
	global_load_dword v18, v[18:19], off
	s_waitcnt vmcnt(0)
	v_sub_f32_e32 v18, s17, v18
	v_exp_f32_e32 v43, v18
.LBB409_62:
	s_or_b64 exec, exec, s[2:3]
	v_or_b32_e32 v30, 1, v36
	v_cmp_gt_i32_e64 s[4:5], s48, v30
	s_and_saveexec_b64 s[2:3], s[4:5]
	s_cbranch_execz .LBB409_64
; %bb.63:
	v_add_u32_e32 v18, s45, v30
	v_ashrrev_i32_e32 v19, 31, v18
	v_mul_lo_u32 v20, v19, s36
	v_mul_lo_u32 v21, v18, s37
	v_mad_u64_u32 v[18:19], s[6:7], v18, s36, 0
	v_add3_u32 v19, v19, v21, v20
	v_lshl_add_u64 v[18:19], v[18:19], 2, s[12:13]
	global_load_dword v18, v[18:19], off
	s_waitcnt vmcnt(0)
	v_sub_f32_e32 v18, s17, v18
	v_exp_f32_e32 v42, v18
.LBB409_64:
	s_or_b64 exec, exec, s[2:3]
	v_or_b32_e32 v28, 2, v36
	v_cmp_gt_i32_e64 s[2:3], s48, v28
	v_mov_b32_e32 v37, 0
	v_mov_b32_e32 v44, 0
	s_and_saveexec_b64 s[6:7], s[2:3]
	s_cbranch_execz .LBB409_66
; %bb.65:
	v_add_u32_e32 v18, s45, v28
	v_ashrrev_i32_e32 v19, 31, v18
	v_mul_lo_u32 v20, v19, s36
	v_mul_lo_u32 v21, v18, s37
	v_mad_u64_u32 v[18:19], s[18:19], v18, s36, 0
	v_add3_u32 v19, v19, v21, v20
	v_lshl_add_u64 v[18:19], v[18:19], 2, s[12:13]
	global_load_dword v18, v[18:19], off
	s_waitcnt vmcnt(0)
	v_sub_f32_e32 v18, s17, v18
	v_exp_f32_e32 v44, v18
.LBB409_66:
	s_or_b64 exec, exec, s[6:7]
	v_or_b32_e32 v29, 3, v36
	v_cmp_gt_i32_e32 vcc, s48, v29
	s_and_saveexec_b64 s[6:7], vcc
	s_cbranch_execz .LBB409_68
; %bb.67:
	v_add_u32_e32 v18, s45, v29
	v_ashrrev_i32_e32 v19, 31, v18
	v_mul_lo_u32 v20, v19, s36
	v_mul_lo_u32 v21, v18, s37
	v_mad_u64_u32 v[18:19], s[18:19], v18, s36, 0
	v_add3_u32 v19, v19, v21, v20
	v_lshl_add_u64 v[18:19], v[18:19], 2, s[12:13]
	global_load_dword v18, v[18:19], off
	s_waitcnt vmcnt(0)
	v_sub_f32_e32 v18, s17, v18
	v_exp_f32_e32 v37, v18
.LBB409_68:
	s_or_b64 exec, exec, s[6:7]
	s_add_u32 s6, s20, s28
	s_addc_u32 s7, s21, s29
	s_add_u32 s12, s14, s28
	v_ashrrev_i32_e32 v69, 31, v68
	v_accvgpr_read_b32 v21, a7
	s_addc_u32 s13, s15, s29
	v_lshlrev_b64 v[22:23], 1, v[68:69]
	v_accvgpr_read_b32 v20, a6
	v_accvgpr_read_b32 v19, a5
	v_accvgpr_read_b32 v18, a4
	v_lshl_add_u64 v[24:25], s[6:7], 0, v[22:23]
	v_lshl_add_u64 v[22:23], s[12:13], 0, v[22:23]
	v_mov_b32_e32 v31, 0
	v_lshlrev_b32_e32 v26, 8, v36
	v_mov_b32_e32 v27, 0
	s_and_saveexec_b64 s[6:7], s[0:1]
	s_cbranch_execz .LBB409_70
; %bb.69:
	v_mov_b32_e32 v27, 0
	v_lshl_add_u64 v[32:33], v[24:25], 0, v[26:27]
	global_load_ushort v45, v[32:33], off
	v_lshl_add_u64 v[32:33], v[22:23], 0, v[26:27]
	s_waitcnt vmcnt(0)
	v_lshlrev_b32_e32 v27, 16, v45
	v_sub_f32_e32 v18, v27, v18
	global_store_short_d16_hi v[32:33], v18, off
	v_mul_f32_e32 v18, v43, v18
	v_lshrrev_b32_e32 v27, 16, v18
.LBB409_70:
	s_or_b64 exec, exec, s[6:7]
	v_lshlrev_b32_e32 v30, 8, v30
	s_and_saveexec_b64 s[6:7], s[4:5]
	s_cbranch_execz .LBB409_72
; %bb.71:
	v_mov_b32_e32 v31, 0
	v_lshl_add_u64 v[32:33], v[24:25], 0, v[30:31]
	global_load_ushort v18, v[32:33], off
	v_lshl_add_u64 v[32:33], v[22:23], 0, v[30:31]
	s_waitcnt vmcnt(0)
	v_lshlrev_b32_e32 v18, 16, v18
	v_sub_f32_e32 v18, v18, v19
	global_store_short_d16_hi v[32:33], v18, off
	v_mul_f32_e32 v18, v42, v18
	v_lshrrev_b32_e32 v31, 16, v18
.LBB409_72:
	s_or_b64 exec, exec, s[6:7]
	v_mov_b32_e32 v46, 0
	v_lshlrev_b32_e32 v32, 8, v28
	v_mov_b32_e32 v33, 0
	s_and_saveexec_b64 s[6:7], s[2:3]
	s_cbranch_execz .LBB409_74
; %bb.73:
	v_mov_b32_e32 v33, 0
	v_lshl_add_u64 v[18:19], v[24:25], 0, v[32:33]
	global_load_ushort v28, v[18:19], off
	v_lshl_add_u64 v[18:19], v[22:23], 0, v[32:33]
	s_waitcnt vmcnt(0)
	v_lshlrev_b32_e32 v28, 16, v28
	v_sub_f32_e32 v20, v28, v20
	global_store_short_d16_hi v[18:19], v20, off
	v_mul_f32_e32 v18, v44, v20
	v_lshrrev_b32_e32 v33, 16, v18
.LBB409_74:
	s_or_b64 exec, exec, s[6:7]
	v_lshlrev_b32_e32 v28, 8, v29
	s_and_saveexec_b64 s[6:7], vcc
	s_cbranch_execz .LBB409_76
; %bb.75:
	v_mov_b32_e32 v29, 0
	v_lshl_add_u64 v[18:19], v[24:25], 0, v[28:29]
	global_load_ushort v20, v[18:19], off
	v_lshl_add_u64 v[18:19], v[22:23], 0, v[28:29]
	s_waitcnt vmcnt(0)
	v_lshlrev_b32_e32 v20, 16, v20
	v_sub_f32_e32 v20, v20, v21
	global_store_short_d16_hi v[18:19], v20, off
	v_mul_f32_e32 v18, v37, v20
	v_lshrrev_b32_e32 v46, 16, v18
.LBB409_76:
	s_or_b64 exec, exec, s[6:7]
	v_lshlrev_b32_e32 v45, 5, v36
	s_mov_b32 s6, 0x5040100
	v_perm_b32 v47, v46, v33, s6
	v_perm_b32 v46, v31, v27, s6
	v_or_b32_e32 v27, v45, v38
	v_accvgpr_read_b32 v21, a3
	v_lshlrev_b32_e32 v27, 1, v27
	v_accvgpr_read_b32 v20, a2
	v_accvgpr_read_b32 v19, a1
	;; [unrolled: 1-line block ×3, first 2 shown]
	ds_write_b64 v27, v[46:47] offset:45056
	v_mov_b32_e32 v31, 0
	v_mov_b32_e32 v27, 0
	s_and_saveexec_b64 s[6:7], s[0:1]
	s_cbranch_execz .LBB409_78
; %bb.77:
	v_mov_b32_e32 v27, 0
	v_lshl_add_u64 v[46:47], v[24:25], 0, v[26:27]
	global_load_ushort v29, v[46:47], off offset:32
	v_lshl_add_u64 v[26:27], v[22:23], 0, v[26:27]
	s_waitcnt vmcnt(0)
	v_lshlrev_b32_e32 v29, 16, v29
	v_sub_f32_e32 v18, v29, v18
	global_store_short_d16_hi v[26:27], v18, off offset:32
	v_mul_f32_e32 v18, v43, v18
	v_lshrrev_b32_e32 v27, 16, v18
.LBB409_78:
	s_or_b64 exec, exec, s[6:7]
	s_and_saveexec_b64 s[0:1], s[4:5]
	s_cbranch_execz .LBB409_80
; %bb.79:
	v_mov_b32_e32 v31, 0
	v_lshl_add_u64 v[46:47], v[24:25], 0, v[30:31]
	global_load_ushort v18, v[46:47], off offset:32
	v_lshl_add_u64 v[30:31], v[22:23], 0, v[30:31]
	s_waitcnt vmcnt(0)
	v_lshlrev_b32_e32 v18, 16, v18
	v_sub_f32_e32 v18, v18, v19
	global_store_short_d16_hi v[30:31], v18, off offset:32
	v_mul_f32_e32 v18, v42, v18
	v_lshrrev_b32_e32 v31, 16, v18
.LBB409_80:
	s_or_b64 exec, exec, s[0:1]
	v_mov_b32_e32 v26, 0
	v_mov_b32_e32 v30, 0
	s_and_saveexec_b64 s[0:1], s[2:3]
	s_cbranch_execz .LBB409_82
; %bb.81:
	v_mov_b32_e32 v33, 0
	v_lshl_add_u64 v[18:19], v[24:25], 0, v[32:33]
	global_load_ushort v29, v[18:19], off offset:32
	v_lshl_add_u64 v[18:19], v[22:23], 0, v[32:33]
	s_waitcnt vmcnt(0)
	v_lshlrev_b32_e32 v29, 16, v29
	v_sub_f32_e32 v20, v29, v20
	global_store_short_d16_hi v[18:19], v20, off offset:32
	v_mul_f32_e32 v18, v44, v20
	v_lshrrev_b32_e32 v30, 16, v18
.LBB409_82:
	s_or_b64 exec, exec, s[0:1]
	v_or_b32_e32 v19, 0xb000, v40
	v_or_b32_e32 v18, 0xb000, v41
	s_and_saveexec_b64 s[0:1], vcc
	s_cbranch_execz .LBB409_84
; %bb.83:
	v_mov_b32_e32 v29, 0
	v_lshl_add_u64 v[24:25], v[24:25], 0, v[28:29]
	global_load_ushort v20, v[24:25], off offset:32
	v_lshl_add_u64 v[22:23], v[22:23], 0, v[28:29]
	s_waitcnt vmcnt(0)
	v_lshlrev_b32_e32 v20, 16, v20
	v_sub_f32_e32 v20, v20, v21
	global_store_short_d16_hi v[22:23], v20, off offset:32
	v_mul_f32_e32 v20, v37, v20
	v_lshrrev_b32_e32 v26, 16, v20
.LBB409_84:
	s_or_b64 exec, exec, s[0:1]
	s_mov_b32 s0, 0x5040100
	v_or_b32_e32 v22, v45, v35
	v_perm_b32 v21, v26, v30, s0
	v_perm_b32 v20, v31, v27, s0
	v_lshlrev_b32_e32 v22, 1, v22
	s_movk_i32 s2, 0x100
	ds_write_b64 v22, v[20:21] offset:45056
	v_and_b32_e32 v20, 7, v0
	v_and_b32_e32 v21, 8, v0
	v_cmp_gt_u32_e32 vcc, s2, v0
	v_lshrrev_b32_e32 v0, 1, v0
	v_lshlrev_b32_e32 v26, 3, v20
	v_lshlrev_b32_e32 v47, 7, v20
	v_mov_b32_e32 v20, 0x4000
	v_mov_b32_e32 v22, 0x2000
	v_lshlrev_b32_e32 v24, 3, v1
	v_and_b32_e32 v0, 24, v0
	v_cndmask_b32_e32 v27, v20, v22, vcc
	v_xor_b32_e32 v20, v24, v0
	v_or_b32_e32 v22, 0x440, v20
	v_cmp_eq_u32_e32 vcc, 0, v21
	v_or_b32_e32 v28, 32, v0
	v_xor_b32_e32 v28, v24, v28
	v_cndmask_b32_e32 v20, v22, v20, vcc
	v_or_b32_e32 v20, v20, v39
	v_xor_b32_e32 v48, v20, v26
	v_or_b32_e32 v29, 0x440, v28
	v_add3_u32 v25, v27, v48, v47
	v_cndmask_b32_e32 v28, v29, v28, vcc
	v_or_b32_e32 v29, 64, v0
	v_or_b32_e32 v0, 0x60, v0
	s_waitcnt lgkmcnt(0)
	s_barrier
	v_xor_b32_e32 v29, v24, v29
	v_xor_b32_e32 v0, v24, v0
	ds_read_b64 v[24:25], v25
	v_xor_b32_e32 v30, 0x440, v29
	v_cndmask_b32_e32 v29, v30, v29, vcc
	v_xor_b32_e32 v30, 0x440, v0
	ds_read2_b64 v[20:23], v19 offset1:16
	v_cndmask_b32_e32 v0, v30, v0, vcc
	v_or_b32_e32 v28, v28, v39
	v_or_b32_e32 v29, v29, v39
	;; [unrolled: 1-line block ×3, first 2 shown]
	v_xor_b32_e32 v49, v28, v26
	v_xor_b32_e32 v50, v29, v26
	;; [unrolled: 1-line block ×3, first 2 shown]
	s_add_i32 s0, s16, s51
	v_add3_u32 v28, v27, v49, v47
	v_add3_u32 v29, v27, v50, v47
	;; [unrolled: 1-line block ×3, first 2 shown]
	s_mul_hi_i32 s1, s0, s25
	s_mul_i32 s0, s0, s25
	ds_read_b64 v[26:27], v28
	ds_read_b64 v[32:33], v29
	;; [unrolled: 1-line block ×3, first 2 shown]
	ds_read2st64_b64 v[28:31], v19 offset0:2 offset1:4
	ds_read2st64_b64 v[38:41], v18 offset0:2 offset1:4
	s_add_u32 s0, s0, s33
	s_waitcnt lgkmcnt(5)
	v_mfma_f32_16x16x16_bf16 a[0:3], v[24:25], v[20:21], 0
	s_addc_u32 s1, s1, s50
	s_lshl_b64 s[0:1], s[0:1], 9
	s_add_u32 s0, s8, s0
	v_mfma_f32_16x16x16_bf16 a[4:7], v[24:25], v[22:23], 0
	s_addc_u32 s1, s9, s1
	v_lshlrev_b32_e32 v24, 2, v36
	v_lshlrev_b32_e32 v1, 6, v1
	s_waitcnt lgkmcnt(1)
	v_mfma_f32_16x16x16_bf16 a[0:3], v[26:27], v[28:29], a[0:3]
	v_add_u32_e32 v48, v48, v47
	v_exp_f32_e32 v46, s17
	v_add_u32_e32 v0, v0, v47
	s_waitcnt lgkmcnt(0)
	v_mfma_f32_16x16x16_bf16 a[4:7], v[26:27], v[38:39], a[4:7]
	global_load_dwordx4 v[24:27], v24, s[0:1]
	ds_read_b64 v[36:37], v19 offset:3072
	ds_read_b64 v[44:45], v18 offset:3072
	v_lshlrev_b32_e32 v18, 2, v34
	v_or3_b32 v1, v1, v18, s2
	v_mfma_f32_16x16x16_bf16 a[0:3], v[32:33], v[30:31], a[0:3]
	s_waitcnt vmcnt(0)
	v_exp_f32_e32 v18, v24
	v_mfma_f32_16x16x16_bf16 a[4:7], v[32:33], v[40:41], a[4:7]
	global_load_dwordx4 v[32:35], v1, s[0:1]
	v_exp_f32_e32 v19, v25
	ds_read_b64 v[24:25], v48 offset:16384
	s_waitcnt lgkmcnt(2)
	v_mfma_f32_16x16x16_bf16 a[0:3], v[42:43], v[36:37], a[0:3]
	v_add_u32_e32 v48, v50, v47
	v_pk_mul_f32 v[52:53], v[46:47], v[18:19] op_sel_hi:[0,1]
	v_exp_f32_e32 v26, v26
	s_waitcnt lgkmcnt(1)
	v_mfma_f32_16x16x16_bf16 a[4:7], v[42:43], v[44:45], a[4:7]
	v_add_u32_e32 v42, v49, v47
	ds_read_b64 v[42:43], v42 offset:16384
	ds_read_b64 v[48:49], v48 offset:16384
	;; [unrolled: 1-line block ×3, first 2 shown]
	v_accvgpr_read_b32 v19, a1
	s_waitcnt lgkmcnt(3)
	v_mfma_f32_16x16x16_bf16 a[8:11], v[24:25], v[20:21], 0
	v_accvgpr_read_b32 v1, a3
	v_accvgpr_read_b32 v0, a2
	;; [unrolled: 1-line block ×3, first 2 shown]
	v_mfma_f32_16x16x16_bf16 a[0:3], v[24:25], v[22:23], 0
	v_exp_f32_e32 v27, v27
	v_pk_fma_f32 v[18:19], v[2:3], v[52:53], v[18:19]
	v_pk_mul_f32 v[2:3], v[46:47], v[26:27] op_sel_hi:[0,1]
	s_waitcnt lgkmcnt(2)
	v_mfma_f32_16x16x16_bf16 a[8:11], v[42:43], v[28:29], a[8:11]
	v_pk_fma_f32 v[20:21], v[4:5], v[2:3], v[0:1]
	v_accvgpr_read_b32 v0, a4
	v_fma_f32 v26, v10, v52, v0
	v_mfma_f32_16x16x16_bf16 a[0:3], v[42:43], v[38:39], a[0:3]
	v_accvgpr_read_b32 v0, a5
	v_fma_f32 v27, v11, v53, v0
	v_accvgpr_read_b32 v0, a6
	s_waitcnt lgkmcnt(1)
	v_mfma_f32_16x16x16_bf16 a[8:11], v[48:49], v[30:31], a[8:11]
	v_fma_f32 v28, v12, v2, v0
	v_accvgpr_read_b32 v29, a7
	v_fmac_f32_e32 v29, v13, v3
	v_mfma_f32_16x16x16_bf16 a[0:3], v[48:49], v[40:41], a[0:3]
	s_waitcnt vmcnt(0)
	v_mov_b32_e32 v0, v33
	v_mov_b32_e32 v1, v34
	;; [unrolled: 1-line block ×3, first 2 shown]
	v_exp_f32_e32 v5, v0
	v_exp_f32_e32 v0, v1
	s_waitcnt lgkmcnt(0)
	v_mfma_f32_16x16x16_bf16 a[4:7], v[50:51], v[36:37], a[8:11]
	v_exp_f32_e32 v1, v2
	v_exp_f32_e32 v4, v32
	v_pk_mul_f32 v[0:1], v[46:47], v[0:1] op_sel_hi:[0,1]
	v_mfma_f32_16x16x16_bf16 a[0:3], v[50:51], v[44:45], a[0:3]
	v_pk_mul_f32 v[4:5], v[46:47], v[4:5] op_sel_hi:[0,1]
	s_nop 1
	v_accvgpr_read_b32 v3, a7
	v_accvgpr_read_b32 v2, a6
	v_pk_fma_f32 v[24:25], v[8:9], v[0:1], v[2:3]
	v_accvgpr_read_b32 v11, a5
	v_accvgpr_read_b32 v10, a4
	v_pk_fma_f32 v[22:23], v[6:7], v[4:5], v[10:11]
	v_accvgpr_read_b32 v2, a0
	v_fma_f32 v30, v14, v4, v2
	v_accvgpr_read_b32 v2, a1
	v_fma_f32 v31, v15, v5, v2
	v_accvgpr_read_b32 v2, a2
	v_accvgpr_read_b32 v33, a3
	v_fma_f32 v32, v16, v0, v2
	v_fmac_f32_e32 v33, v17, v1
	v_mov_b64_e32 v[2:3], v[18:19]
	v_mov_b64_e32 v[4:5], v[20:21]
	v_mov_b64_e32 v[6:7], v[22:23]
	v_mov_b64_e32 v[8:9], v[24:25]
	v_mov_b64_e32 v[10:11], v[26:27]
	v_mov_b64_e32 v[12:13], v[28:29]
	v_mov_b64_e32 v[14:15], v[30:31]
	v_mov_b64_e32 v[16:17], v[32:33]
.LBB409_85:
	s_add_u32 s0, s10, s34
	s_addc_u32 s1, s11, s35
	v_lshl_add_u64 v[0:1], v[66:67], 2, s[0:1]
	v_mov_b32_e32 v63, 0
	v_lshl_add_u64 v[0:1], v[0:1], 0, v[62:63]
	global_store_dwordx4 v[0:1], v[2:5], off
	global_store_dwordx4 v[0:1], v[6:9], off offset:256
	v_lshl_add_u64 v[0:1], v[64:65], 2, s[0:1]
	v_lshl_add_u64 v[0:1], v[0:1], 0, v[62:63]
	global_store_dwordx4 v[0:1], v[10:13], off
	global_store_dwordx4 v[0:1], v[14:17], off offset:256
	s_endpgm
	.section	.rodata,"a",@progbits
	.p2align	6, 0x0
	.amdhsa_kernel _ZN12_GLOBAL__N_139chunk_gated_delta_rule_fwd_h_hip_kernelILi32ELb1ELb1ELb1ELb0ELb1ELb1ELb0ELb0EEEvPK12hip_bfloat16S3_S3_PKfS5_PKvPS1_S8_PvPKiSB_iiiiilll
		.amdhsa_group_segment_fixed_size 49152
		.amdhsa_private_segment_fixed_size 0
		.amdhsa_kernarg_size 136
		.amdhsa_user_sgpr_count 2
		.amdhsa_user_sgpr_dispatch_ptr 0
		.amdhsa_user_sgpr_queue_ptr 0
		.amdhsa_user_sgpr_kernarg_segment_ptr 1
		.amdhsa_user_sgpr_dispatch_id 0
		.amdhsa_user_sgpr_kernarg_preload_length 0
		.amdhsa_user_sgpr_kernarg_preload_offset 0
		.amdhsa_user_sgpr_private_segment_size 0
		.amdhsa_uses_dynamic_stack 0
		.amdhsa_enable_private_segment 0
		.amdhsa_system_sgpr_workgroup_id_x 1
		.amdhsa_system_sgpr_workgroup_id_y 1
		.amdhsa_system_sgpr_workgroup_id_z 0
		.amdhsa_system_sgpr_workgroup_info 0
		.amdhsa_system_vgpr_workitem_id 0
		.amdhsa_next_free_vgpr 168
		.amdhsa_next_free_sgpr 76
		.amdhsa_accum_offset 148
		.amdhsa_reserve_vcc 1
		.amdhsa_float_round_mode_32 0
		.amdhsa_float_round_mode_16_64 0
		.amdhsa_float_denorm_mode_32 3
		.amdhsa_float_denorm_mode_16_64 3
		.amdhsa_dx10_clamp 1
		.amdhsa_ieee_mode 1
		.amdhsa_fp16_overflow 0
		.amdhsa_tg_split 0
		.amdhsa_exception_fp_ieee_invalid_op 0
		.amdhsa_exception_fp_denorm_src 0
		.amdhsa_exception_fp_ieee_div_zero 0
		.amdhsa_exception_fp_ieee_overflow 0
		.amdhsa_exception_fp_ieee_underflow 0
		.amdhsa_exception_fp_ieee_inexact 0
		.amdhsa_exception_int_div_zero 0
	.end_amdhsa_kernel
	.section	.text._ZN12_GLOBAL__N_139chunk_gated_delta_rule_fwd_h_hip_kernelILi32ELb1ELb1ELb1ELb0ELb1ELb1ELb0ELb0EEEvPK12hip_bfloat16S3_S3_PKfS5_PKvPS1_S8_PvPKiSB_iiiiilll,"axG",@progbits,_ZN12_GLOBAL__N_139chunk_gated_delta_rule_fwd_h_hip_kernelILi32ELb1ELb1ELb1ELb0ELb1ELb1ELb0ELb0EEEvPK12hip_bfloat16S3_S3_PKfS5_PKvPS1_S8_PvPKiSB_iiiiilll,comdat
.Lfunc_end409:
	.size	_ZN12_GLOBAL__N_139chunk_gated_delta_rule_fwd_h_hip_kernelILi32ELb1ELb1ELb1ELb0ELb1ELb1ELb0ELb0EEEvPK12hip_bfloat16S3_S3_PKfS5_PKvPS1_S8_PvPKiSB_iiiiilll, .Lfunc_end409-_ZN12_GLOBAL__N_139chunk_gated_delta_rule_fwd_h_hip_kernelILi32ELb1ELb1ELb1ELb0ELb1ELb1ELb0ELb0EEEvPK12hip_bfloat16S3_S3_PKfS5_PKvPS1_S8_PvPKiSB_iiiiilll
                                        ; -- End function
	.section	.AMDGPU.csdata,"",@progbits
; Kernel info:
; codeLenInByte = 9816
; NumSgprs: 82
; NumVgprs: 146
; NumAgprs: 20
; TotalNumVgprs: 168
; ScratchSize: 0
; MemoryBound: 0
; FloatMode: 240
; IeeeMode: 1
; LDSByteSize: 49152 bytes/workgroup (compile time only)
; SGPRBlocks: 10
; VGPRBlocks: 20
; NumSGPRsForWavesPerEU: 82
; NumVGPRsForWavesPerEU: 168
; AccumOffset: 148
; Occupancy: 1
; WaveLimiterHint : 1
; COMPUTE_PGM_RSRC2:SCRATCH_EN: 0
; COMPUTE_PGM_RSRC2:USER_SGPR: 2
; COMPUTE_PGM_RSRC2:TRAP_HANDLER: 0
; COMPUTE_PGM_RSRC2:TGID_X_EN: 1
; COMPUTE_PGM_RSRC2:TGID_Y_EN: 1
; COMPUTE_PGM_RSRC2:TGID_Z_EN: 0
; COMPUTE_PGM_RSRC2:TIDIG_COMP_CNT: 0
; COMPUTE_PGM_RSRC3_GFX90A:ACCUM_OFFSET: 36
; COMPUTE_PGM_RSRC3_GFX90A:TG_SPLIT: 0
	.section	.text._ZN12_GLOBAL__N_139chunk_gated_delta_rule_fwd_h_hip_kernelILi32ELb1ELb1ELb0ELb0ELb1ELb1ELb0ELb0EEEvPK12hip_bfloat16S3_S3_PKfS5_PKvPS1_S8_PvPKiSB_iiiiilll,"axG",@progbits,_ZN12_GLOBAL__N_139chunk_gated_delta_rule_fwd_h_hip_kernelILi32ELb1ELb1ELb0ELb0ELb1ELb1ELb0ELb0EEEvPK12hip_bfloat16S3_S3_PKfS5_PKvPS1_S8_PvPKiSB_iiiiilll,comdat
	.globl	_ZN12_GLOBAL__N_139chunk_gated_delta_rule_fwd_h_hip_kernelILi32ELb1ELb1ELb0ELb0ELb1ELb1ELb0ELb0EEEvPK12hip_bfloat16S3_S3_PKfS5_PKvPS1_S8_PvPKiSB_iiiiilll ; -- Begin function _ZN12_GLOBAL__N_139chunk_gated_delta_rule_fwd_h_hip_kernelILi32ELb1ELb1ELb0ELb0ELb1ELb1ELb0ELb0EEEvPK12hip_bfloat16S3_S3_PKfS5_PKvPS1_S8_PvPKiSB_iiiiilll
	.p2align	8
	.type	_ZN12_GLOBAL__N_139chunk_gated_delta_rule_fwd_h_hip_kernelILi32ELb1ELb1ELb0ELb0ELb1ELb1ELb0ELb0EEEvPK12hip_bfloat16S3_S3_PKfS5_PKvPS1_S8_PvPKiSB_iiiiilll,@function
_ZN12_GLOBAL__N_139chunk_gated_delta_rule_fwd_h_hip_kernelILi32ELb1ELb1ELb0ELb0ELb1ELb1ELb0ELb0EEEvPK12hip_bfloat16S3_S3_PKfS5_PKvPS1_S8_PvPKiSB_iiiiilll: ; @_ZN12_GLOBAL__N_139chunk_gated_delta_rule_fwd_h_hip_kernelILi32ELb1ELb1ELb0ELb0ELb1ELb1ELb0ELb0EEEvPK12hip_bfloat16S3_S3_PKfS5_PKvPS1_S8_PvPKiSB_iiiiilll
; %bb.0:
	s_load_dwordx4 s[12:15], s[0:1], 0x5c
	s_abs_i32 s6, s3
	s_ashr_i32 s5, s3, 31
	s_load_dwordx4 s[16:19], s[0:1], 0x20
	s_load_dwordx2 s[38:39], s[0:1], 0x30
	v_and_b32_e32 v77, 15, v0
	s_waitcnt lgkmcnt(0)
	s_abs_i32 s4, s13
	v_cvt_f32_u32_e32 v1, s4
	s_sub_i32 s8, 0, s4
	s_ashr_i32 s7, s13, 31
	s_xor_b32 s5, s5, s7
	v_rcp_iflag_f32_e32 v1, v1
	v_bfe_u32 v76, v0, 4, 2
	v_mov_b32_e32 v63, 0
	v_lshlrev_b32_e32 v78, 3, v0
	v_mul_f32_e32 v1, 0x4f7ffffe, v1
	v_cvt_u32_f32_e32 v1, v1
	s_nop 0
	v_readfirstlane_b32 s9, v1
	s_mul_i32 s8, s8, s9
	s_mul_hi_u32 s8, s9, s8
	s_add_i32 s9, s9, s8
	s_mul_hi_u32 s8, s6, s9
	s_mul_i32 s9, s8, s4
	s_sub_i32 s6, s6, s9
	s_add_i32 s10, s8, 1
	s_sub_i32 s9, s6, s4
	s_cmp_ge_u32 s6, s4
	s_cselect_b32 s8, s10, s8
	s_cselect_b32 s6, s9, s6
	s_add_i32 s9, s8, 1
	s_cmp_ge_u32 s6, s4
	s_cselect_b32 s6, s9, s8
	s_xor_b32 s6, s6, s5
	s_sub_i32 s56, s6, s5
	s_mul_i32 s6, s56, s13
	s_sub_i32 s33, s3, s6
	s_abs_i32 s3, s14
	v_cvt_f32_u32_e32 v1, s3
	s_add_i32 s8, s12, 63
	s_ashr_i32 s9, s8, 31
	s_lshr_b32 s5, s9, 26
	v_rcp_iflag_f32_e32 v1, v1
	s_ashr_i32 s55, s12, 31
	s_add_i32 s8, s8, s5
	s_lshr_b32 s5, s55, 26
	v_mul_f32_e32 v1, 0x4f7ffffe, v1
	v_cvt_u32_f32_e32 v1, v1
	s_add_i32 s5, s12, s5
	s_ashr_i32 s58, s14, 31
	s_ashr_i32 s24, s8, 6
	;; [unrolled: 1-line block ×3, first 2 shown]
	s_xor_b32 s5, s7, s58
	s_sub_i32 s7, 0, s3
	v_readfirstlane_b32 s8, v1
	s_mul_i32 s7, s7, s8
	s_mul_hi_u32 s7, s8, s7
	s_add_i32 s8, s8, s7
	s_mul_hi_u32 s7, s4, s8
	s_mul_i32 s8, s7, s3
	s_sub_i32 s4, s4, s8
	s_lshl_b32 s2, s2, 5
	s_add_i32 s8, s7, 1
	s_sub_i32 s9, s4, s3
	s_cmp_ge_u32 s4, s3
	s_cselect_b32 s7, s8, s7
	s_cselect_b32 s4, s9, s4
	s_add_i32 s8, s7, 1
	s_cmp_ge_u32 s4, s3
	s_cselect_b32 s3, s8, s7
	s_xor_b32 s3, s3, s5
	s_sub_i32 s3, s3, s5
	s_abs_i32 s4, s3
	v_cvt_f32_u32_e32 v1, s4
	s_sub_i32 s7, 0, s4
	s_abs_i32 s5, s33
	s_xor_b32 s3, s33, s3
	v_rcp_iflag_f32_e32 v2, v1
	s_ashr_i32 s3, s3, 31
	v_lshrrev_b32_e32 v1, 6, v0
	v_or_b32_e32 v68, s2, v77
	v_mul_f32_e32 v2, 0x4f7ffffe, v2
	v_cvt_u32_f32_e32 v2, v2
	v_lshlrev_b32_e32 v61, 4, v1
	v_lshlrev_b32_e32 v66, 7, v68
	v_lshl_or_b32 v80, v76, 2, v61
	v_readfirstlane_b32 s8, v2
	s_mul_i32 s7, s7, s8
	s_mul_hi_u32 s7, s8, s7
	s_add_i32 s8, s8, s7
	s_mul_hi_u32 s7, s5, s8
	s_mul_i32 s8, s7, s4
	s_sub_i32 s5, s5, s8
	s_add_i32 s8, s7, 1
	s_sub_i32 s9, s5, s4
	s_cmp_ge_u32 s5, s4
	s_cselect_b32 s7, s8, s7
	s_cselect_b32 s5, s9, s5
	s_add_i32 s8, s7, 1
	s_cmp_ge_u32 s5, s4
	s_cselect_b32 s4, s8, s7
	s_xor_b32 s4, s4, s3
	s_sub_i32 s59, s4, s3
	s_ashr_i32 s3, s56, 31
	s_ashr_i32 s48, s33, 31
	s_mul_hi_i32 s4, s56, s13
	s_add_u32 s40, s6, s33
	s_addc_u32 s41, s4, s48
	s_lshl_b64 s[28:29], s[40:41], 16
	s_add_u32 s4, s18, s28
	s_addc_u32 s5, s19, s29
	v_ashrrev_i32_e32 v67, 31, v66
	v_lshl_add_u64 v[2:3], v[66:67], 2, s[4:5]
	v_lshlrev_b32_e32 v62, 2, v80
	v_or_b32_e32 v64, 0x800, v66
	v_lshl_add_u64 v[10:11], v[2:3], 0, v[62:63]
	v_ashrrev_i32_e32 v65, 31, v64
	global_load_dwordx4 v[2:5], v[10:11], off
	global_load_dwordx4 v[6:9], v[10:11], off offset:256
	v_lshl_add_u64 v[10:11], v[64:65], 2, s[4:5]
	v_lshl_add_u64 v[10:11], v[10:11], 0, v[62:63]
	global_load_dwordx4 v[18:21], v[10:11], off
	global_load_dwordx4 v[22:25], v[10:11], off offset:256
	s_load_dwordx2 s[18:19], s[0:1], 0x40
	s_load_dwordx8 s[4:11], s[0:1], 0x0
	s_load_dwordx2 s[30:31], s[0:1], 0x80
	s_load_dwordx4 s[20:23], s[0:1], 0x70
	v_and_b32_e32 v63, 63, v0
	s_mul_i32 s49, s56, s12
	s_mul_i32 s60, s56, s24
	v_or_b32_e32 v81, 64, v80
	s_cmp_lt_i32 s12, 64
	v_lshrrev_b32_e32 v79, 3, v63
	s_mul_i32 s61, s41, s12
	s_mul_hi_u32 s62, s40, s12
	s_mul_i32 s42, s40, s12
	s_waitcnt lgkmcnt(0)
	s_mul_i32 s41, s56, s21
	s_mul_hi_u32 s51, s56, s20
	s_mul_i32 s52, s3, s20
	s_mul_i32 s34, s56, s20
	;; [unrolled: 1-line block ×3, first 2 shown]
	s_mul_hi_u32 s53, s33, s22
	s_mul_i32 s54, s48, s22
	s_mul_i32 s36, s33, s22
	s_cbranch_scc1 .LBB410_3
; %bb.1:
	s_add_i32 s43, s62, s61
	s_lshl_b64 s[0:1], s[42:43], 8
	v_and_b32_e32 v83, 56, v78
	s_add_u32 s20, s6, s0
	v_lshl_or_b32 v82, v1, 3, v79
	v_lshlrev_b32_e32 v10, 1, v83
	s_addc_u32 s0, s7, s1
	v_lshl_or_b32 v84, v82, 8, v10
	s_and_b32 s21, s0, 0xffff
	s_mov_b32 s23, 0x20000
	s_movk_i32 s22, 0x4000
	s_movk_i32 s0, 0x80
	v_or_b32_e32 v85, 0x2000, v84
	buffer_load_dwordx4 v[12:15], v84, s[20:23], 0 offen
	buffer_load_dwordx4 v[26:29], v84, s[20:23], s0 offen
	buffer_load_dwordx4 v[30:33], v85, s[20:23], 0 offen
	buffer_load_dwordx4 v[34:37], v85, s[20:23], s0 offen
	v_lshlrev_b32_e32 v11, 3, v82
	v_and_or_b32 v17, v0, 7, v11
	v_and_b32_e32 v11, 0x78, v11
	v_lshlrev_b32_e32 v17, 4, v17
	v_xor_b32_e32 v86, v17, v11
	v_mul_lo_u32 v16, v82, s15
	v_or_b32_e32 v87, 0x1000, v86
	v_xor_b32_e32 v11, 8, v86
	s_cmpk_eq_i32 s15, 0x80
	s_mov_b32 s63, s14
	v_xor_b32_e32 v17, 8, v87
	s_cselect_b64 s[0:1], -1, 0
	s_cmpk_lg_i32 s15, 0x80
	s_waitcnt vmcnt(3)
	ds_write_b64 v86, v[12:13] offset:24576
	ds_write_b64 v11, v[14:15] offset:24576
	s_waitcnt vmcnt(2)
	ds_write_b64 v86, v[26:27] offset:32768
	ds_write_b64 v11, v[28:29] offset:32768
	;; [unrolled: 3-line block ×4, first 2 shown]
	v_lshl_add_u32 v11, v16, 1, v83
	s_cbranch_scc0 .LBB410_4
; %bb.2:
	v_lshlrev_b32_e32 v13, 1, v11
	v_add_lshl_u32 v12, v11, s15, 1
	s_lshl_b32 s22, s15, 7
	v_lshl_or_b32 v10, v82, 9, v10
	s_cbranch_execz .LBB410_5
	s_branch .LBB410_6
.LBB410_3:
	s_waitcnt vmcnt(0)
	v_mov_b32_e32 v17, v25
	v_mov_b32_e32 v16, v24
	v_mov_b32_e32 v15, v23
	v_mov_b32_e32 v14, v22
	v_mov_b32_e32 v13, v21
	s_branch .LBB410_20
.LBB410_4:
                                        ; implicit-def: $vgpr12
                                        ; implicit-def: $vgpr13
                                        ; implicit-def: $sgpr22
	v_lshl_or_b32 v10, v82, 9, v10
.LBB410_5:
	v_or_b32_e32 v12, 0x100, v10
	s_movk_i32 s22, 0x4000
	v_mov_b32_e32 v13, v10
.LBB410_6:
	s_mul_hi_u32 s20, s14, s12
	s_mul_i32 s21, s58, s12
	s_add_i32 s20, s20, s21
	s_mul_i32 s21, s14, s12
	s_mul_i32 s23, s21, s3
	s_mul_hi_u32 s24, s21, s56
	s_add_i32 s23, s24, s23
	s_mul_i32 s20, s20, s56
	s_add_i32 s23, s23, s20
	s_mul_i32 s21, s21, s56
	s_ashr_i32 s64, s59, 31
	s_add_u32 s20, s21, s59
	s_addc_u32 s21, s23, s64
	s_lshl_b64 s[20:21], s[20:21], 8
	s_add_u32 s20, s4, s20
	s_addc_u32 s21, s5, s21
	s_and_b32 s21, s21, 0xffff
	s_mov_b32 s23, 0x20000
	s_movk_i32 s65, 0x80
	buffer_load_dwordx4 v[14:17], v13, s[20:23], 0 offen
	buffer_load_dwordx4 v[26:29], v13, s[20:23], s65 offen
	;; [unrolled: 1-line block ×4, first 2 shown]
	v_and_b32_e32 v12, 6, v0
	v_lshlrev_b32_e32 v39, 6, v80
	v_or_b32_e32 v41, 16, v77
	v_xor_b32_e32 v42, v82, v12
	v_and_b32_e32 v13, 1, v0
	s_mul_i32 s3, s3, s12
	s_mul_hi_u32 s20, s56, s12
	v_lshl_or_b32 v45, v77, 3, v39
	v_lshl_or_b32 v39, v41, 3, v39
	v_lshlrev_b32_e32 v42, 2, v42
	v_lshlrev_b32_e32 v38, 2, v77
	v_or_b32_e32 v90, 0xa000, v39
	v_or_b32_e32 v91, 0xb000, v39
	v_xor_b32_e32 v39, 0x440, v42
	v_cmp_eq_u32_e32 vcc, 0, v13
	s_add_i32 s69, s20, s3
	s_add_i32 s3, s51, s41
	v_xor_b32_e32 v43, v80, v38
	v_xor_b32_e32 v44, v81, v38
	v_cndmask_b32_e32 v13, v39, v42, vcc
	s_add_i32 s35, s3, s52
	s_add_i32 s3, s53, s50
	s_mov_b32 s67, 0x1000504
	v_lshlrev_b32_e32 v40, 8, v77
	v_lshlrev_b32_e32 v43, 1, v43
	;; [unrolled: 1-line block ×3, first 2 shown]
	v_lshl_or_b32 v12, v12, 10, v13
	s_add_i32 s37, s3, s54
	s_lshl_b64 s[20:21], s[34:35], 2
	s_mov_b32 s68, 0x3020706
	v_or_b32_e32 v88, 0xa000, v45
	v_or_b32_e32 v89, 0xb000, v45
	;; [unrolled: 1-line block ×4, first 2 shown]
	v_xor_b32_e32 v13, 8, v12
	v_xor_b32_e32 v40, 24, v12
	;; [unrolled: 1-line block ×4, first 2 shown]
	s_add_u32 s3, s10, s20
	v_xor_b32_e32 v39, 16, v12
	v_xor_b32_e32 v42, 32, v12
	;; [unrolled: 1-line block ×3, first 2 shown]
	v_add_u32_e32 v13, 0x80, v13
	v_add_u32_e32 v40, 0x80, v40
	;; [unrolled: 1-line block ×4, first 2 shown]
	s_addc_u32 s22, s11, s21
	s_lshl_b64 s[20:21], s[36:37], 2
	s_add_u32 s44, s3, s20
	s_movk_i32 s3, 0xf8
	s_addc_u32 s45, s22, s21
	s_lshl_b32 s26, s15, 7
	s_movk_i32 s24, 0x100
	v_mov_b32_e32 v71, 0
	v_lshlrev_b32_e32 v70, 4, v77
	v_cmp_gt_u32_e32 vcc, s24, v0
	v_lshlrev_b32_e32 v41, 8, v41
	v_ashrrev_i32_e32 v69, 31, v68
	s_mov_b32 s66, 0
	v_or_b32_e32 v94, v41, v43
	v_or_b32_e32 v95, v41, v44
	s_movk_i32 s35, 0x1000
	s_movk_i32 s22, 0x4000
	v_lshl_add_u64 v[72:73], v[68:69], 1, s[8:9]
	s_mov_b32 s37, 0x7060302
	s_mov_b32 s71, 0
	s_waitcnt vmcnt(1)
	v_perm_b32 v48, v14, v30, s67
	s_waitcnt vmcnt(0)
	v_perm_b32 v49, v26, v34, s67
	v_perm_b32 v14, v14, v30, s68
	;; [unrolled: 1-line block ×15, first 2 shown]
	ds_write2st64_b32 v12, v48, v49 offset0:32 offset1:64
	ds_write2st64_b32 v13, v14, v26 offset0:32 offset1:64
	;; [unrolled: 1-line block ×8, first 2 shown]
	v_or_b32_e32 v12, v61, v77
	v_lshlrev_b32_e32 v12, 3, v12
	v_lshrrev_b32_e32 v15, 5, v63
	v_and_or_b32 v15, v12, s3, v15
	v_lshlrev_b32_e32 v15, 4, v15
	v_lshlrev_b32_e32 v17, 11, v1
	v_and_b32_e32 v12, 0x78, v12
	v_or_b32_e32 v28, 32, v15
	v_and_b32_e32 v14, 0x1000, v17
	v_lshrrev_b32_e32 v26, 1, v63
	v_xor_b32_e32 v28, v28, v12
	v_xor_b32_e32 v16, v15, v12
	v_and_b32_e32 v26, 8, v26
	v_or_b32_e32 v28, v28, v14
	v_or_b32_e32 v16, v16, v14
	v_lshlrev_b32_e32 v27, 7, v76
	v_xor_b32_e32 v98, v28, v26
	v_or_b32_e32 v28, 64, v15
	v_or_b32_e32 v15, 0x60, v15
	s_ashr_i32 s3, s2, 31
	v_xor_b32_e32 v96, v16, v26
	v_or_b32_e32 v16, v27, v38
	v_xor_b32_e32 v28, v28, v12
	v_xor_b32_e32 v12, v15, v12
	s_lshl_b64 s[20:21], s[2:3], 8
	v_lshlrev_b32_e32 v16, 1, v16
	v_or_b32_e32 v28, v28, v14
	v_or_b32_e32 v12, v12, v14
	s_add_u32 s20, s38, s20
	v_lshlrev_b32_e32 v14, 1, v77
	v_or_b32_e32 v97, 0xa000, v16
	v_or_b32_e32 v99, 0xa080, v16
	;; [unrolled: 1-line block ×4, first 2 shown]
	v_lshrrev_b32_e32 v16, 4, v0
	s_addc_u32 s21, s39, s21
	v_or_b32_e32 v15, 1, v14
	v_mov_b32_e32 v33, 0x4000
	v_mov_b32_e32 v34, 0x2000
	v_lshrrev_b32_e32 v35, 1, v0
	v_xor_b32_e32 v100, v28, v26
	v_xor_b32_e32 v101, v12, v26
	;; [unrolled: 1-line block ×4, first 2 shown]
	v_lshl_add_u64 v[14:15], s[20:21], 0, v[70:71]
	v_lshlrev_b32_e32 v70, 8, v16
	v_cndmask_b32_e32 v33, v33, v34, vcc
	v_lshlrev_b32_e32 v34, 3, v1
	v_and_b32_e32 v35, 24, v35
	v_lshl_or_b32 v104, v26, 3, v70
	v_and_b32_e32 v26, 8, v0
	v_xor_b32_e32 v36, v34, v35
	v_or_b32_e32 v37, 0x440, v36
	v_cmp_eq_u32_e32 vcc, 0, v26
	v_and_b32_e32 v16, 7, v0
	v_lshl_or_b32 v105, v30, 3, v70
	v_cndmask_b32_e32 v26, v37, v36, vcc
	v_lshlrev_b32_e32 v30, 3, v16
	v_lshlrev_b32_e32 v32, 2, v0
	v_or_b32_e32 v26, v26, v17
	v_xor_b32_e32 v36, v26, v30
	v_and_or_b32 v26, v32, 60, v27
	v_mov_b32_e32 v27, 0xb000
	v_lshl_or_b32 v106, v26, 1, v27
	v_or_b32_e32 v26, 32, v35
	v_xor_b32_e32 v26, v34, v26
	v_or_b32_e32 v27, 0x440, v26
	v_cndmask_b32_e32 v26, v27, v26, vcc
	v_or_b32_e32 v26, v26, v17
	v_xor_b32_e32 v27, v26, v30
	v_or_b32_e32 v26, 64, v35
	v_xor_b32_e32 v26, v34, v26
	v_xor_b32_e32 v38, 0x440, v26
	v_cndmask_b32_e32 v26, v38, v26, vcc
	v_or_b32_e32 v26, v26, v17
	v_xor_b32_e32 v38, v26, v30
	v_or_b32_e32 v26, 0x60, v35
	v_xor_b32_e32 v26, v34, v26
	v_xor_b32_e32 v34, 0x440, v26
	v_cndmask_b32_e32 v26, v34, v26, vcc
	v_lshrrev_b32_e32 v13, 2, v63
	v_or_b32_e32 v17, v26, v17
	v_and_b32_e32 v13, 12, v13
	v_xor_b32_e32 v17, v17, v30
	v_lshlrev_b32_e32 v12, 7, v80
	v_lshlrev_b32_e32 v28, 1, v11
	v_add_lshl_u32 v11, v11, s15, 1
	v_or_b32_e32 v29, 0x100, v10
	v_lshlrev_b32_e32 v31, 7, v16
	v_or_b32_e32 v16, v13, v61
	v_add_u32_e32 v37, v33, v36
	v_add_u32_e32 v32, v33, v27
	v_add_u32_e32 v39, v33, v38
	v_add_u32_e32 v30, v33, v17
	v_or3_b32 v26, v61, v13, 64
	v_add_u32_e32 v13, 0x4000, v36
	v_add_u32_e32 v27, 0x4000, v27
	;; [unrolled: 1-line block ×4, first 2 shown]
	v_cndmask_b32_e64 v107, v28, v10, s[0:1]
	v_cndmask_b32_e64 v108, v11, v29, s[0:1]
	v_lshl_add_u64 v[74:75], v[14:15], 0, v[70:71]
	s_add_i32 s3, s49, 63
	v_lshlrev_b32_e32 v70, 1, v12
	v_lshlrev_b32_e32 v69, 2, v16
	v_add_u32_e32 v109, v37, v31
	v_add_u32_e32 v110, v32, v31
	;; [unrolled: 1-line block ×4, first 2 shown]
	v_lshlrev_b32_e32 v113, 2, v26
	v_add_u32_e32 v114, v13, v31
	v_add_u32_e32 v115, v27, v31
	;; [unrolled: 1-line block ×4, first 2 shown]
	s_waitcnt lgkmcnt(0)
	s_barrier
.LBB410_7:                              ; =>This Inner Loop Header: Depth=1
	s_add_i32 s70, s71, 1
	s_cmp_lt_i32 s70, s57
	s_mov_b64 s[24:25], 0
	s_cselect_b64 s[46:47], -1, 0
	s_cmp_ge_i32 s70, s57
	s_mov_b64 s[20:21], 0
	s_cbranch_scc1 .LBB410_9
; %bb.8:                                ;   in Loop: Header=BB410_7 Depth=1
	s_add_i32 s0, s66, 64
	s_add_u32 s0, s42, s0
	s_addc_u32 s1, s43, 0
	s_lshl_b64 s[0:1], s[0:1], 8
	s_add_u32 s20, s6, s0
	s_addc_u32 s21, s7, s1
.LBB410_9:                              ;   in Loop: Header=BB410_7 Depth=1
	v_cndmask_b32_e64 v10, 0, 1, s[46:47]
	v_cmp_ne_u32_e64 s[0:1], 1, v10
	s_andn2_b64 vcc, exec, s[46:47]
	s_cbranch_vccnz .LBB410_11
; %bb.10:                               ;   in Loop: Header=BB410_7 Depth=1
	s_add_i32 s24, s66, 64
	s_add_u32 s24, s49, s24
	s_addc_u32 s25, s69, 0
	s_mul_i32 s27, s24, s58
	s_mul_hi_u32 s46, s24, s63
	s_add_i32 s27, s46, s27
	s_mul_i32 s25, s25, s63
	s_add_i32 s27, s27, s25
	s_mul_i32 s24, s24, s63
	s_add_u32 s24, s24, s59
	s_addc_u32 s25, s27, s64
	s_lshl_b64 s[24:25], s[24:25], 8
	s_add_u32 s24, s4, s24
	s_addc_u32 s25, s5, s25
.LBB410_11:                             ;   in Loop: Header=BB410_7 Depth=1
	v_perm_b32 v11, v5, v4, s37
	v_perm_b32 v10, v3, v2, s37
	;; [unrolled: 1-line block ×4, first 2 shown]
	ds_write_b64 v88, v[10:11]
	ds_write_b64 v89, v[12:13]
	;; [unrolled: 1-line block ×4, first 2 shown]
	v_perm_b32 v11, v21, v20, s37
	v_perm_b32 v10, v19, v18, s37
	;; [unrolled: 1-line block ×4, first 2 shown]
	ds_write_b64 v90, v[10:11]
	ds_write_b64 v91, v[12:13]
	;; [unrolled: 1-line block ×4, first 2 shown]
	s_waitcnt lgkmcnt(0)
	s_barrier
	ds_read_b64 v[14:15], v96 offset:24576
	ds_read2_b64 v[10:13], v97 offset1:16
	ds_read_b64 v[26:27], v99 offset:3072
	ds_read_b64 v[28:29], v97 offset:3072
	;; [unrolled: 1-line block ×3, first 2 shown]
	s_waitcnt lgkmcnt(3)
	v_mfma_f32_16x16x16_bf16 a[0:3], v[14:15], v[10:11], 0
	s_add_i32 s27, s66, 63
	s_mul_i32 s46, s27, s31
	s_mul_hi_u32 s47, s27, s30
	v_mfma_f32_16x16x16_bf16 a[4:7], v[14:15], v[12:13], 0
	ds_read2st64_b64 v[10:13], v97 offset0:2 offset1:4
	ds_read2st64_b64 v[14:17], v99 offset0:2 offset1:4
	s_add_i32 s47, s47, s46
	s_waitcnt lgkmcnt(1)
	v_mfma_f32_16x16x16_bf16 a[0:3], v[30:31], v[10:11], a[0:3]
	s_mul_i32 s46, s27, s30
	s_lshl_b64 s[46:47], s[46:47], 2
	s_add_u32 s46, s44, s46
	s_waitcnt lgkmcnt(0)
	v_mfma_f32_16x16x16_bf16 a[4:7], v[30:31], v[14:15], a[4:7]
	ds_read_b64 v[10:11], v100 offset:24576
	ds_read_b64 v[14:15], v101 offset:24576
	s_addc_u32 s47, s45, s47
	s_and_b64 vcc, exec, s[0:1]
	s_waitcnt lgkmcnt(1)
	v_mfma_f32_16x16x16_bf16 a[0:3], v[10:11], v[12:13], a[0:3]
	v_mov_b32_e32 v120, 0
	v_mov_b32_e32 v119, 0
	;; [unrolled: 1-line block ×3, first 2 shown]
	v_mfma_f32_16x16x16_bf16 a[4:7], v[10:11], v[16:17], a[4:7]
	v_mov_b32_e32 v10, 0
	v_mov_b32_e32 v11, 0
	;; [unrolled: 1-line block ×3, first 2 shown]
	s_waitcnt lgkmcnt(0)
	v_mfma_f32_16x16x16_bf16 a[0:3], v[14:15], v[28:29], a[0:3]
	v_mov_b32_e32 v13, 0
	v_mov_b32_e32 v16, 0
	;; [unrolled: 1-line block ×3, first 2 shown]
	v_mfma_f32_16x16x16_bf16 a[4:7], v[14:15], v[26:27], a[4:7]
	v_mov_b32_e32 v14, 0
	v_mov_b32_e32 v15, 0
	;; [unrolled: 1-line block ×10, first 2 shown]
	s_cbranch_vccnz .LBB410_13
; %bb.12:                               ;   in Loop: Header=BB410_7 Depth=1
	s_and_b32 s21, s21, 0xffff
	buffer_load_dwordx4 v[30:33], v84, s[20:23], 0 offen
	buffer_load_dwordx4 v[26:29], v84, s[20:23], s65 offen
	;; [unrolled: 1-line block ×4, first 2 shown]
	v_mov_b32_e32 v119, v86
	v_mov_b32_e32 v118, v87
.LBB410_13:                             ;   in Loop: Header=BB410_7 Depth=1
	ds_read_b64 v[38:39], v96 offset:32768
	ds_read2_b64 v[34:37], v102 offset1:16
	ds_read_b64 v[42:43], v98 offset:32768
	ds_read_b64 v[44:45], v100 offset:32768
	;; [unrolled: 1-line block ×3, first 2 shown]
	v_add_u32_e32 v50, s66, v80
	s_waitcnt lgkmcnt(3)
	v_mfma_f32_16x16x16_bf16 a[0:3], v[38:39], v[34:35], a[0:3]
	v_mov_b32_e32 v121, 0
	v_mfma_f32_16x16x16_bf16 a[4:7], v[38:39], v[36:37], a[4:7]
	ds_read2st64_b64 v[34:37], v102 offset0:2 offset1:4
	ds_read2st64_b64 v[38:41], v103 offset0:2 offset1:4
	s_waitcnt lgkmcnt(1)
	v_mfma_f32_16x16x16_bf16 a[0:3], v[42:43], v[34:35], a[0:3]
	ds_read_b64 v[34:35], v102 offset:3072
	ds_read_b64 v[48:49], v103 offset:3072
	s_waitcnt lgkmcnt(2)
	v_mfma_f32_16x16x16_bf16 a[4:7], v[42:43], v[38:39], a[4:7]
	v_ashrrev_i32_e32 v38, 31, v50
	v_mul_lo_u32 v39, v50, s31
	v_mul_lo_u32 v38, v38, s30
	v_mfma_f32_16x16x16_bf16 a[0:3], v[44:45], v[36:37], a[0:3]
	v_mad_u64_u32 v[36:37], s[20:21], v50, s30, 0
	v_add3_u32 v37, v37, v39, v38
	v_lshl_add_u64 v[36:37], v[36:37], 2, s[44:45]
	global_load_dword v42, v[36:37], off
	v_add_u32_e32 v36, 1, v50
	v_ashrrev_i32_e32 v37, 31, v36
	s_waitcnt lgkmcnt(1)
	v_mfma_f32_16x16x16_bf16 a[0:3], v[46:47], v[34:35], a[0:3]
	v_mul_lo_u32 v37, v37, s30
	v_mul_lo_u32 v38, v36, s31
	v_mad_u64_u32 v[34:35], s[20:21], v36, s30, 0
	v_add_u32_e32 v36, 2, v50
	v_add3_u32 v35, v35, v38, v37
	v_ashrrev_i32_e32 v37, 31, v36
	v_mul_lo_u32 v38, v37, s30
	v_mul_lo_u32 v39, v36, s31
	v_mad_u64_u32 v[36:37], s[20:21], v36, s30, 0
	v_add3_u32 v37, v37, v39, v38
	v_add_u32_e32 v38, 3, v50
	v_ashrrev_i32_e32 v39, 31, v38
	v_mfma_f32_16x16x16_bf16 a[4:7], v[44:45], v[40:41], a[4:7]
	v_mul_lo_u32 v40, v39, s30
	v_mul_lo_u32 v41, v38, s31
	v_mad_u64_u32 v[38:39], s[20:21], v38, s30, 0
	s_add_u32 s20, s42, s66
	s_addc_u32 s21, s43, 0
	s_lshl_b64 s[20:21], s[20:21], 8
	v_add3_u32 v39, v39, v41, v40
	v_lshl_add_u64 v[40:41], v[72:73], 0, s[20:21]
	v_lshl_add_u64 v[34:35], v[34:35], 2, s[44:45]
	;; [unrolled: 1-line block ×4, first 2 shown]
	global_load_ushort v44, v[40:41], off
	global_load_ushort v43, v[40:41], off offset:256
	global_load_ushort v52, v[40:41], off offset:800
	;; [unrolled: 1-line block ×7, first 2 shown]
	v_lshl_add_u64 v[38:39], v[38:39], 2, s[44:45]
	global_load_dword v55, v[34:35], off
	global_load_dword v56, v[36:37], off
	;; [unrolled: 1-line block ×3, first 2 shown]
	s_load_dword s20, s[46:47], 0x0
	s_waitcnt lgkmcnt(0)
	v_mfma_f32_16x16x16_bf16 a[4:7], v[46:47], v[48:49], a[4:7]
	v_accvgpr_read_b32 v39, a1
	v_accvgpr_read_b32 v35, a3
	;; [unrolled: 1-line block ×4, first 2 shown]
	s_and_b64 vcc, exec, s[0:1]
	s_waitcnt vmcnt(11)
	v_sub_f32_e32 v48, s20, v42
	v_exp_f32_e32 v48, v48
	v_accvgpr_read_b32 v41, a5
	v_accvgpr_read_b32 v40, a4
	;; [unrolled: 1-line block ×4, first 2 shown]
	s_waitcnt vmcnt(10)
	v_lshlrev_b32_e32 v42, 16, v44
	s_waitcnt vmcnt(9)
	v_lshlrev_b32_e32 v43, 16, v43
	v_pk_add_f32 v[38:39], v[42:43], v[38:39] neg_lo:[0,1] neg_hi:[0,1]
	s_waitcnt vmcnt(7)
	v_lshlrev_b32_e32 v45, 16, v45
	v_mov_b32_e32 v42, 0
	s_waitcnt vmcnt(5)
	v_lshlrev_b32_e32 v44, 16, v50
	s_waitcnt vmcnt(4)
	v_lshlrev_b32_e32 v47, 16, v51
	s_waitcnt vmcnt(2)
	v_sub_f32_e32 v49, s20, v55
	s_waitcnt vmcnt(1)
	v_sub_f32_e32 v50, s20, v56
	;; [unrolled: 2-line block ×3, first 2 shown]
	v_exp_f32_e32 v49, v49
	v_exp_f32_e32 v50, v50
	;; [unrolled: 1-line block ×3, first 2 shown]
	v_pk_add_f32 v[34:35], v[44:45], v[34:35] neg_lo:[0,1] neg_hi:[0,1]
	v_lshlrev_b32_e32 v46, 16, v54
	v_pk_mul_f32 v[38:39], v[48:49], v[38:39]
	v_pk_mul_f32 v[34:35], v[50:51], v[34:35]
	v_mov_b32_e32 v43, 0
	v_perm_b32 v35, v35, v34, s37
	v_perm_b32 v34, v39, v38, s37
	v_pk_add_f32 v[38:39], v[46:47], v[40:41] neg_lo:[0,1] neg_hi:[0,1]
	v_lshlrev_b32_e32 v41, 16, v52
	v_lshlrev_b32_e32 v40, 16, v53
	v_pk_add_f32 v[36:37], v[40:41], v[36:37] neg_lo:[0,1] neg_hi:[0,1]
	v_pk_mul_f32 v[38:39], v[48:49], v[38:39]
	v_pk_mul_f32 v[36:37], v[50:51], v[36:37]
	v_mov_b32_e32 v40, 0
	v_perm_b32 v37, v37, v36, s37
	v_perm_b32 v36, v39, v38, s37
	ds_write2_b64 v89, v[34:35], v[36:37] offset1:16
	v_mov_b32_e32 v34, 0
	v_mov_b32_e32 v35, 0
	;; [unrolled: 1-line block ×13, first 2 shown]
	s_cbranch_vccnz .LBB410_15
; %bb.14:                               ;   in Loop: Header=BB410_7 Depth=1
	s_and_b32 s25, s25, 0xffff
	s_mov_b32 s27, s23
	buffer_load_dwordx4 v[46:49], v107, s[24:27], 0 offen
	buffer_load_dwordx4 v[38:41], v107, s[24:27], s65 offen
	;; [unrolled: 1-line block ×4, first 2 shown]
	v_mov_b32_e32 v120, v83
	v_mov_b32_e32 v121, v82
.LBB410_15:                             ;   in Loop: Header=BB410_7 Depth=1
	s_waitcnt lgkmcnt(0)
	s_barrier
	ds_read_b64 v[54:55], v109
	ds_read_b64 v[126:127], v106
	;; [unrolled: 1-line block ×5, first 2 shown]
	ds_read_b64 v[140:141], v103 offset:3072
	ds_read2_b64 v[50:53], v102 offset0:16 offset1:128
	s_waitcnt lgkmcnt(5)
	v_mfma_f32_16x16x16_bf16 a[0:3], v[54:55], v[126:127], 0
	s_add_i32 s21, s60, s71
	s_mul_hi_i32 s25, s21, s13
	s_mul_i32 s21, s21, s13
	s_waitcnt lgkmcnt(0)
	v_mfma_f32_16x16x16_bf16 a[4:7], v[54:55], v[50:51], 0
	ds_read_b64 v[54:55], v114
	ds_read2st64_b64 v[56:59], v103 offset0:2 offset1:4
	s_add_u32 s24, s21, s33
	s_addc_u32 s25, s25, s48
	s_add_i32 s21, s3, s66
	s_lshl_b64 s[24:25], s[24:25], 15
	s_mul_hi_i32 s27, s21, s13
	s_mul_i32 s21, s21, s13
	s_add_u32 s46, s21, s33
	s_waitcnt lgkmcnt(1)
	v_mfma_f32_16x16x16_bf16 a[8:11], v[54:55], v[126:127], 0
	s_addc_u32 s47, s27, s48
	ds_read2st64_b64 v[122:125], v102 offset0:4 offset1:6
	s_lshl_b64 s[46:47], s[46:47], 9
	v_mfma_f32_16x16x16_bf16 a[0:3], v[128:129], v[52:53], a[0:3]
	s_add_u32 s46, s16, s46
	s_addc_u32 s47, s17, s47
	s_waitcnt lgkmcnt(1)
	v_mfma_f32_16x16x16_bf16 a[4:7], v[128:129], v[56:57], a[4:7]
	ds_read_b64 v[128:129], v115
	ds_read_b64 v[136:137], v116
	;; [unrolled: 1-line block ×3, first 2 shown]
	v_mfma_f32_16x16x16_bf16 a[12:15], v[54:55], v[50:51], 0
	s_waitcnt lgkmcnt(2)
	v_mfma_f32_16x16x16_bf16 a[8:11], v[128:129], v[52:53], a[8:11]
	global_load_dwordx4 v[50:53], v113, s[46:47]
	v_mfma_f32_16x16x16_bf16 a[12:15], v[128:129], v[56:57], a[12:15]
	global_load_dwordx4 v[54:57], v69, s[46:47]
	ds_read2st64_b64 v[126:129], v104 offset1:8
	s_waitcnt lgkmcnt(0)
	v_mov_b32_e32 v134, v126
	v_mfma_f32_16x16x16_bf16 a[0:3], v[130:131], v[122:123], a[0:3]
	v_mov_b32_e32 v135, v127
	v_mfma_f32_16x16x16_bf16 a[4:7], v[130:131], v[58:59], a[4:7]
	ds_read2st64_b64 v[130:133], v105 offset1:8
	v_mfma_f32_16x16x16_bf16 a[8:11], v[136:137], v[122:123], a[8:11]
	v_lshl_add_u64 v[122:123], v[74:75], 0, s[24:25]
	v_mfma_f32_16x16x16_bf16 a[16:19], v[136:137], v[58:59], a[12:15]
	v_add_co_u32_e32 v58, vcc, s35, v122
	s_waitcnt lgkmcnt(0)
	v_mov_b32_e32 v136, v130
	v_mfma_f32_16x16x16_bf16 a[0:3], v[138:139], v[124:125], a[0:3]
	v_mov_b32_e32 v137, v131
	v_mov_b32_e32 v130, v128
	;; [unrolled: 1-line block ×3, first 2 shown]
	v_mfma_f32_16x16x16_bf16 a[4:7], v[138:139], v[140:141], a[4:7]
	v_addc_co_u32_e32 v59, vcc, 0, v123, vcc
	global_store_dwordx4 v[58:59], v[130:133], off
	v_mfma_f32_16x16x16_bf16 a[12:15], v[142:143], v[124:125], a[8:11]
	s_and_b64 vcc, exec, s[0:1]
	global_store_dwordx4 v[122:123], v[134:137], off
	s_waitcnt vmcnt(3)
	v_mov_b32_e32 v60, v53
	v_mfma_f32_16x16x16_bf16 a[8:11], v[142:143], v[140:141], a[16:19]
	v_mov_b32_e32 v59, v52
	v_mov_b32_e32 v58, v51
	s_cbranch_vccnz .LBB410_17
; %bb.16:                               ;   in Loop: Header=BB410_7 Depth=1
	v_lshrrev_b32_e32 v51, 3, v120
	v_and_b32_e32 v51, 6, v51
	v_xor_b32_e32 v52, v51, v121
	v_lshlrev_b32_e32 v52, 2, v52
	v_and_b32_e32 v53, 8, v120
	v_xor_b32_e32 v120, 0x440, v52
	v_cmp_eq_u32_e32 vcc, 0, v53
	v_perm_b32 v53, v38, v34, s67
	s_nop 0
	v_cndmask_b32_e32 v52, v120, v52, vcc
	v_lshl_or_b32 v51, v51, 10, v52
	v_perm_b32 v52, v46, v42, s67
	s_barrier
	ds_write2st64_b32 v51, v52, v53 offset0:32 offset1:64
	v_xor_b32_e32 v52, 8, v51
	v_perm_b32 v42, v46, v42, s68
	v_perm_b32 v34, v38, v34, s68
	v_add_u32_e32 v38, 0x80, v52
	ds_write2st64_b32 v38, v42, v34 offset0:32 offset1:64
	v_xor_b32_e32 v34, 16, v51
	v_perm_b32 v38, v47, v43, s67
	v_perm_b32 v42, v39, v35, s67
	ds_write2st64_b32 v34, v38, v42 offset0:33 offset1:65
	v_xor_b32_e32 v34, 24, v51
	v_perm_b32 v38, v47, v43, s68
	v_perm_b32 v35, v39, v35, s68
	v_add_u32_e32 v34, 0x80, v34
	ds_write2st64_b32 v34, v38, v35 offset0:33 offset1:65
	v_xor_b32_e32 v34, 32, v51
	v_perm_b32 v35, v48, v44, s67
	v_perm_b32 v38, v40, v36, s67
	ds_write2st64_b32 v34, v35, v38 offset0:34 offset1:66
	v_xor_b32_e32 v34, 40, v51
	v_perm_b32 v35, v48, v44, s68
	v_perm_b32 v36, v40, v36, s68
	v_add_u32_e32 v34, 0x80, v34
	ds_write2st64_b32 v34, v35, v36 offset0:34 offset1:66
	v_xor_b32_e32 v34, 48, v51
	v_perm_b32 v35, v49, v45, s67
	v_perm_b32 v36, v41, v37, s67
	ds_write2st64_b32 v34, v35, v36 offset0:35 offset1:67
	v_xor_b32_e32 v34, 56, v51
	v_perm_b32 v35, v49, v45, s68
	v_perm_b32 v36, v41, v37, s68
	v_add_u32_e32 v34, 0x80, v34
	ds_write2st64_b32 v34, v35, v36 offset0:35 offset1:67
	ds_write_b64 v119, v[30:31] offset:24576
	v_xor_b32_e32 v30, 8, v119
	ds_write_b64 v30, v[32:33] offset:24576
	ds_write_b64 v119, v[26:27] offset:32768
	;; [unrolled: 1-line block ×4, first 2 shown]
	v_xor_b32_e32 v14, 8, v118
	ds_write_b64 v14, v[16:17] offset:24576
	ds_write_b64 v118, v[10:11] offset:32768
	;; [unrolled: 1-line block ×3, first 2 shown]
.LBB410_17:                             ;   in Loop: Header=BB410_7 Depth=1
	v_exp_f32_e32 v34, s20
	s_waitcnt vmcnt(2)
	v_exp_f32_e32 v36, v54
	v_exp_f32_e32 v37, v55
	;; [unrolled: 1-line block ×4, first 2 shown]
	v_accvgpr_read_b32 v29, a3
	v_accvgpr_read_b32 v27, a1
	;; [unrolled: 1-line block ×4, first 2 shown]
	v_pk_mul_f32 v[36:37], v[34:35], v[36:37] op_sel_hi:[0,1]
	v_accvgpr_read_b32 v28, a2
	v_accvgpr_read_b32 v11, a5
	v_accvgpr_read_b32 v10, a4
	v_pk_fma_f32 v[2:3], v[2:3], v[36:37], v[26:27]
	v_pk_mul_f32 v[26:27], v[34:35], v[38:39] op_sel_hi:[0,1]
	v_pk_fma_f32 v[4:5], v[4:5], v[26:27], v[28:29]
	v_fma_f32 v18, v18, v36, v10
	v_fma_f32 v19, v19, v37, v11
	v_exp_f32_e32 v10, v50
	v_exp_f32_e32 v11, v58
	;; [unrolled: 1-line block ×4, first 2 shown]
	v_accvgpr_read_b32 v12, a6
	v_accvgpr_read_b32 v33, a15
	;; [unrolled: 1-line block ×9, first 2 shown]
	v_fma_f32 v20, v20, v26, v12
	v_fmac_f32_e32 v13, v21, v27
	v_pk_mul_f32 v[10:11], v[34:35], v[10:11] op_sel_hi:[0,1]
	v_pk_mul_f32 v[26:27], v[34:35], v[28:29] op_sel_hi:[0,1]
	s_add_i32 s66, s66, 64
	v_pk_fma_f32 v[6:7], v[6:7], v[10:11], v[30:31]
	v_pk_fma_f32 v[8:9], v[8:9], v[26:27], v[32:33]
	v_fma_f32 v22, v22, v10, v14
	v_fma_f32 v23, v23, v11, v15
	;; [unrolled: 1-line block ×3, first 2 shown]
	s_cmp_eq_u32 s57, s70
	v_fmac_f32_e32 v17, v25, v27
	s_cbranch_scc1 .LBB410_19
; %bb.18:                               ;   in Loop: Header=BB410_7 Depth=1
	s_mov_b32 s71, s70
	v_mov_b32_e32 v21, v13
	v_mov_b32_e32 v25, v17
	s_branch .LBB410_7
.LBB410_19:
	v_mov_b32_e32 v16, v24
	v_mov_b32_e32 v15, v23
	v_mov_b32_e32 v14, v22
.LBB410_20:
	s_lshl_b32 s43, s57, 6
	s_sub_i32 s46, s12, s43
	v_mov_b32_e32 v12, v20
	v_mov_b32_e32 v11, v19
	v_mov_b32_e32 v10, v18
	s_cmp_gt_i32 s46, 0
	s_cbranch_scc0 .LBB410_85
; %bb.21:
	s_ashr_i32 s3, s43, 31
	s_cmpk_lg_i32 s15, 0x80
	s_cselect_b64 s[26:27], -1, 0
	s_and_b64 vcc, exec, s[26:27]
	s_cbranch_vccz .LBB410_23
; %bb.22:
	s_mul_hi_i32 s0, s56, s12
	s_add_u32 s1, s49, s43
	s_addc_u32 s0, s0, s3
	s_mul_i32 s20, s1, s58
	s_mul_hi_u32 s21, s1, s14
	s_add_i32 s20, s21, s20
	s_mul_i32 s0, s0, s14
	s_add_i32 s20, s20, s0
	s_mul_i32 s1, s1, s14
	s_ashr_i32 s0, s59, 31
	s_add_u32 s44, s1, s59
	s_addc_u32 s45, s20, s0
	s_cbranch_execz .LBB410_24
	s_branch .LBB410_25
.LBB410_23:
                                        ; implicit-def: $sgpr44_sgpr45
.LBB410_24:
	s_mul_hi_i32 s0, s56, s14
	s_mul_i32 s56, s56, s14
	s_ashr_i32 s1, s59, 31
	s_add_u32 s14, s56, s59
	s_addc_u32 s0, s0, s1
	s_mul_i32 s1, s14, s55
	s_mul_hi_u32 s20, s14, s12
	s_add_i32 s1, s20, s1
	s_mul_i32 s0, s0, s12
	s_add_i32 s1, s1, s0
	s_mul_i32 s14, s14, s12
	s_add_u32 s44, s14, s43
	s_addc_u32 s45, s1, s3
.LBB410_25:
	s_mul_i32 s0, s40, s55
	s_add_i32 s0, s62, s0
	s_add_i32 s14, s60, s57
	;; [unrolled: 1-line block ×3, first 2 shown]
	s_add_u32 s0, s42, s43
	v_lshlrev_b32_e32 v22, 5, v80
	v_lshlrev_b32_e32 v38, 2, v77
	s_addc_u32 s1, s1, s3
	s_mov_b32 s3, 0x7060302
	v_or_b32_e32 v25, v22, v38
	v_xor_b32_e32 v23, v80, v38
	v_perm_b32 v19, v5, v4, s3
	v_perm_b32 v18, v3, v2, s3
	;; [unrolled: 1-line block ×4, first 2 shown]
	v_lshlrev_b32_e32 v25, 1, v25
	v_xor_b32_e32 v24, v81, v38
	ds_write2st64_b64 v25, v[18:19], v[20:21] offset0:80 offset1:88
	v_lshlrev_b32_e32 v23, 1, v23
	v_lshlrev_b32_e32 v25, 8, v77
	s_lshl_b64 s[24:25], s[0:1], 8
	v_or_b32_e32 v26, v23, v25
	v_lshlrev_b32_e32 v24, 1, v24
	s_add_u32 s0, s6, s24
	ds_write_b64 v26, v[18:19]
	v_or_b32_e32 v18, v24, v25
	s_addc_u32 s1, s7, s25
	ds_write_b64 v18, v[20:21]
	v_perm_b32 v19, v13, v12, s3
	v_perm_b32 v18, v11, v10, s3
	;; [unrolled: 1-line block ×4, first 2 shown]
	v_or_b32_e32 v25, 16, v77
	s_mul_hi_i32 s3, s14, s13
	s_mul_i32 s14, s14, s13
	v_lshlrev_b32_e32 v35, 2, v25
	s_add_u32 s6, s14, s33
	v_or_b32_e32 v22, v22, v35
	s_addc_u32 s7, s3, s48
	v_lshlrev_b32_e32 v22, 1, v22
	s_ashr_i32 s3, s2, 31
	s_lshl_b64 s[6:7], s[6:7], 15
	ds_write2st64_b64 v22, v[18:19], v[20:21] offset0:80 offset1:88
	v_lshlrev_b32_e32 v22, 8, v25
	s_add_u32 s6, s38, s6
	v_or_b32_e32 v23, v23, v22
	s_addc_u32 s7, s39, s7
	s_lshl_b64 s[2:3], s[2:3], 8
	ds_write_b64 v23, v[18:19]
	v_or_b32_e32 v18, v24, v22
	s_add_u32 s2, s6, s2
	ds_write_b64 v18, v[20:21]
	v_lshrrev_b32_e32 v18, 4, v0
	s_addc_u32 s3, s7, s3
	v_lshlrev_b32_e32 v19, 1, v77
	v_lshlrev_b32_e32 v26, 4, v77
	v_mov_b32_e32 v27, 0
	v_or_b32_e32 v20, 1, v19
	v_xor_b32_e32 v19, v18, v19
	v_lshl_add_u64 v[28:29], s[2:3], 0, v[26:27]
	v_lshlrev_b32_e32 v26, 8, v18
	v_xor_b32_e32 v22, v20, v18
	v_lshl_or_b32 v18, v19, 3, v26
	s_waitcnt lgkmcnt(0)
	s_barrier
	ds_read2st64_b64 v[18:21], v18 offset1:8
	v_lshl_or_b32 v22, v22, 3, v26
	ds_read2st64_b64 v[22:25], v22 offset1:8
	v_lshl_add_u64 v[30:31], v[28:29], 0, v[26:27]
	s_movk_i32 s2, 0x1000
	s_waitcnt lgkmcnt(1)
	v_mov_b32_e32 v26, v18
	v_add_co_u32_e32 v18, vcc, s2, v30
	s_cmp_lg_u32 s46, 64
	v_mov_b32_e32 v27, v19
	v_addc_co_u32_e32 v19, vcc, 0, v31, vcc
	s_cselect_b64 s[6:7], -1, 0
	v_lshl_or_b32 v42, v1, 3, v79
	s_waitcnt lgkmcnt(0)
	v_mov_b32_e32 v28, v22
	v_mov_b32_e32 v29, v23
	;; [unrolled: 1-line block ×4, first 2 shown]
	s_mov_b32 s20, 0
	v_or_b32_e32 v36, 32, v42
	v_and_b32_e32 v34, 56, v78
	s_and_b64 vcc, exec, s[6:7]
	global_store_dwordx4 v[30:31], v[26:29], off
	global_store_dwordx4 v[18:19], v[22:25], off
	s_cbranch_vccz .LBB410_31
; %bb.26:
	s_mov_b32 s22, s20
	s_mov_b32 s23, s20
	;; [unrolled: 1-line block ×3, first 2 shown]
	v_mov_b64_e32 v[24:25], s[22:23]
	v_mov_b64_e32 v[22:23], s[20:21]
	;; [unrolled: 1-line block ×3, first 2 shown]
	v_cmp_gt_i32_e32 vcc, s46, v42
	v_mov_b64_e32 v[20:21], v[24:25]
	s_and_saveexec_b64 s[2:3], vcc
	s_cbranch_execz .LBB410_28
; %bb.27:
	v_lshlrev_b32_e32 v18, 8, v42
	v_mov_b32_e32 v19, 0
	v_lshl_add_u64 v[20:21], s[0:1], 0, v[18:19]
	v_lshlrev_b32_e32 v18, 1, v34
	v_lshl_add_u64 v[26:27], v[20:21], 0, v[18:19]
	global_load_dwordx4 v[22:25], v[26:27], off
	global_load_dwordx4 v[18:21], v[26:27], off offset:128
.LBB410_28:
	s_or_b64 exec, exec, s[2:3]
	s_mov_b32 s22, s20
	s_mov_b32 s23, s20
	;; [unrolled: 1-line block ×3, first 2 shown]
	v_mov_b64_e32 v[32:33], s[22:23]
	v_mov_b64_e32 v[30:31], s[20:21]
	;; [unrolled: 1-line block ×3, first 2 shown]
	v_cmp_gt_i32_e32 vcc, s46, v36
	v_lshlrev_b32_e32 v37, 7, v36
	v_mov_b64_e32 v[28:29], v[32:33]
	s_and_saveexec_b64 s[2:3], vcc
	s_cbranch_execz .LBB410_30
; %bb.29:
	v_lshlrev_b32_e32 v26, 1, v37
	v_mov_b32_e32 v27, 0
	v_lshl_add_u64 v[28:29], s[0:1], 0, v[26:27]
	v_lshlrev_b32_e32 v26, 1, v34
	v_lshl_add_u64 v[40:41], v[28:29], 0, v[26:27]
	global_load_dwordx4 v[30:33], v[40:41], off
	global_load_dwordx4 v[26:29], v[40:41], off offset:128
.LBB410_30:
	s_or_b64 exec, exec, s[2:3]
	v_lshrrev_b32_e32 v39, 3, v34
	v_lshlrev_b32_e32 v40, 3, v42
	v_or_b32_e32 v39, v40, v39
	v_lshlrev_b32_e32 v39, 4, v39
	v_and_b32_e32 v40, 0x78, v40
	v_xor_b32_e32 v39, v39, v40
	s_branch .LBB410_33
.LBB410_31:
                                        ; implicit-def: $vgpr39
                                        ; implicit-def: $vgpr37
                                        ; implicit-def: $vgpr22_vgpr23_vgpr24_vgpr25
                                        ; implicit-def: $vgpr18_vgpr19_vgpr20_vgpr21
                                        ; implicit-def: $vgpr30_vgpr31_vgpr32_vgpr33
                                        ; implicit-def: $vgpr26_vgpr27_vgpr28_vgpr29
	s_cbranch_execz .LBB410_33
; %bb.32:
	s_waitcnt vmcnt(0)
	v_lshlrev_b32_e32 v18, 1, v34
	v_lshl_or_b32 v37, v42, 8, v18
	s_and_b32 s1, s1, 0xffff
	s_mov_b32 s3, 0x20000
	s_movk_i32 s2, 0x4000
	v_lshl_or_b32 v39, v36, 8, v18
	s_movk_i32 s14, 0x80
	buffer_load_dwordx4 v[22:25], v37, s[0:3], 0 offen
	buffer_load_dwordx4 v[18:21], v37, s[0:3], s14 offen
	;; [unrolled: 1-line block ×4, first 2 shown]
	v_lshrrev_b32_e32 v37, 3, v34
	v_lshlrev_b32_e32 v39, 3, v42
	v_or_b32_e32 v37, v39, v37
	v_lshlrev_b32_e32 v37, 4, v37
	v_and_b32_e32 v39, 0x78, v39
	v_xor_b32_e32 v39, v37, v39
	v_lshlrev_b32_e32 v37, 7, v36
.LBB410_33:
	s_lshl_b64 s[0:1], s[44:45], 8
	s_add_u32 s4, s4, s0
	s_movk_i32 s0, 0x1000
	v_and_or_b32 v36, v37, s0, v39
	s_waitcnt vmcnt(1)
	ds_write_b64 v39, v[22:23] offset:24576
	v_xor_b32_e32 v22, 8, v39
	ds_write_b64 v22, v[24:25] offset:24576
	s_waitcnt vmcnt(0)
	ds_write_b64 v39, v[18:19] offset:32768
	ds_write_b64 v22, v[20:21] offset:32768
	;; [unrolled: 1-line block ×3, first 2 shown]
	v_xor_b32_e32 v18, 8, v36
	ds_write_b64 v18, v[32:33] offset:24576
	ds_write_b64 v36, v[26:27] offset:32768
	;; [unrolled: 1-line block ×3, first 2 shown]
	v_or_b32_e32 v18, v61, v77
	v_lshlrev_b32_e32 v18, 3, v18
	v_lshrrev_b32_e32 v19, 5, v63
	s_movk_i32 s2, 0xf8
	v_and_or_b32 v19, v18, s2, v19
	v_lshlrev_b32_e32 v23, 4, v19
	v_lshlrev_b32_e32 v39, 11, v1
	v_and_b32_e32 v24, 0x78, v18
	v_or_b32_e32 v26, 32, v23
	v_and_b32_e32 v22, 0x1000, v39
	v_lshrrev_b32_e32 v19, 1, v63
	v_xor_b32_e32 v26, v26, v24
	v_xor_b32_e32 v18, v23, v24
	v_and_b32_e32 v25, 8, v19
	v_or_b32_e32 v26, v26, v22
	v_or_b32_e32 v18, v18, v22
	v_xor_b32_e32 v44, v26, v25
	v_or_b32_e32 v26, 64, v23
	v_xor_b32_e32 v43, v18, v25
	v_xor_b32_e32 v26, v26, v24
	s_waitcnt lgkmcnt(0)
	s_barrier
	v_or_b32_e32 v28, v26, v22
	ds_read_b64 v[26:27], v43 offset:24576
	v_lshl_or_b32 v36, v76, 7, v38
	v_lshlrev_b32_e32 v40, 1, v36
	v_add_u32_e32 v18, 0xa000, v40
	ds_read2_b64 v[18:21], v18 offset1:16
	v_or_b32_e32 v23, 0x60, v23
	v_xor_b32_e32 v23, v23, v24
	s_waitcnt lgkmcnt(0)
	v_mfma_f32_16x16x16_bf16 a[0:3], v[26:27], v[18:19], 0
	v_or_b32_e32 v18, 64, v36
	v_or_b32_e32 v22, v23, v22
	v_lshlrev_b32_e32 v41, 1, v18
	v_xor_b32_e32 v45, v28, v25
	v_xor_b32_e32 v46, v22, v25
	ds_read_b64 v[28:29], v44 offset:24576
	ds_read_b64 v[30:31], v45 offset:24576
	;; [unrolled: 1-line block ×3, first 2 shown]
	v_mfma_f32_16x16x16_bf16 a[4:7], v[26:27], v[20:21], 0
	ds_read2st64_b64 v[18:21], v41 offset0:82 offset1:84
	ds_read2st64_b64 v[22:25], v40 offset0:82 offset1:84
	s_addc_u32 s5, s5, s1
	s_add_i32 s0, s51, s41
	s_add_i32 s12, s12, -1
	s_add_i32 s35, s0, s52
	s_add_i32 s0, s53, s50
	;; [unrolled: 1-line block ×3, first 2 shown]
	s_ashr_i32 s0, s12, 31
	s_mul_i32 s1, s12, s31
	s_mul_hi_u32 s2, s12, s30
	s_add_i32 s1, s2, s1
	s_mul_i32 s0, s0, s30
	s_waitcnt lgkmcnt(1)
	v_mfma_f32_16x16x16_bf16 a[4:7], v[28:29], v[18:19], a[4:7]
	s_add_i32 s1, s1, s0
	s_lshl_b64 s[2:3], s[34:35], 2
	s_add_u32 s10, s10, s2
	s_waitcnt lgkmcnt(0)
	v_mfma_f32_16x16x16_bf16 a[0:3], v[28:29], v[22:23], a[0:3]
	s_addc_u32 s11, s11, s3
	s_lshl_b64 s[2:3], s[36:37], 2
	s_mul_i32 s0, s12, s30
	s_add_u32 s10, s10, s2
	ds_read_b64 v[18:19], v40 offset:44032
	v_mfma_f32_16x16x16_bf16 a[4:7], v[30:31], v[20:21], a[4:7]
	ds_read_b64 v[20:21], v41 offset:44032
	s_addc_u32 s11, s11, s3
	s_lshl_b64 s[0:1], s[0:1], 2
	v_mfma_f32_16x16x16_bf16 a[0:3], v[30:31], v[24:25], a[0:3]
	s_add_u32 s0, s10, s0
	s_addc_u32 s1, s11, s1
	s_load_dword s14, s[0:1], 0x0
	s_waitcnt lgkmcnt(0)
	v_mfma_f32_16x16x16_bf16 a[0:3], v[32:33], v[18:19], a[0:3]
	s_and_b64 vcc, exec, s[26:27]
	v_mfma_f32_16x16x16_bf16 a[4:7], v[32:33], v[20:21], a[4:7]
	s_cbranch_vccz .LBB410_44
; %bb.34:
	v_lshlrev_b32_e32 v36, 1, v42
	s_and_b64 vcc, exec, s[6:7]
	s_cbranch_vccz .LBB410_45
; %bb.35:
	v_cmp_gt_i32_e32 vcc, s46, v36
	v_mov_b32_e32 v22, 0
	v_mov_b32_e32 v18, 0
	;; [unrolled: 1-line block ×5, first 2 shown]
	s_and_saveexec_b64 s[0:1], vcc
	s_cbranch_execz .LBB410_37
; %bb.36:
	v_mad_i64_i32 v[18:19], s[2:3], s15, v36, 0
	v_lshl_add_u64 v[18:19], v[18:19], 1, s[4:5]
	v_lshlrev_b32_e32 v20, 1, v34
	v_mov_b32_e32 v21, 0
	v_lshl_add_u64 v[18:19], v[18:19], 0, v[20:21]
	global_load_dwordx4 v[18:21], v[18:19], off
.LBB410_37:
	s_or_b64 exec, exec, s[0:1]
	v_or_b32_e32 v37, 1, v36
	v_cmp_gt_i32_e64 s[0:1], s46, v37
	v_mov_b32_e32 v23, 0
	v_mov_b32_e32 v24, 0
	;; [unrolled: 1-line block ×3, first 2 shown]
	s_and_saveexec_b64 s[2:3], s[0:1]
	s_cbranch_execz .LBB410_39
; %bb.38:
	v_mad_i64_i32 v[22:23], s[20:21], s15, v37, 0
	v_lshl_add_u64 v[22:23], v[22:23], 1, s[4:5]
	v_lshlrev_b32_e32 v24, 1, v34
	v_mov_b32_e32 v25, 0
	v_lshl_add_u64 v[22:23], v[22:23], 0, v[24:25]
	global_load_dwordx4 v[22:25], v[22:23], off
.LBB410_39:
	s_or_b64 exec, exec, s[2:3]
	v_mov_b32_e32 v33, 0
	v_mov_b32_e32 v26, 0
	;; [unrolled: 1-line block ×5, first 2 shown]
	s_and_saveexec_b64 s[2:3], vcc
	s_cbranch_execz .LBB410_41
; %bb.40:
	v_mad_i64_i32 v[26:27], s[20:21], s15, v36, 0
	v_lshl_add_u64 v[26:27], v[26:27], 1, s[4:5]
	v_lshlrev_b32_e32 v28, 1, v34
	v_mov_b32_e32 v29, 0
	v_lshl_add_u64 v[26:27], v[26:27], 0, v[28:29]
	global_load_dwordx4 v[26:29], v[26:27], off offset:128
.LBB410_41:
	s_or_b64 exec, exec, s[2:3]
	v_mov_b32_e32 v32, 0
	v_mov_b32_e32 v31, 0
	;; [unrolled: 1-line block ×3, first 2 shown]
	s_and_saveexec_b64 s[2:3], s[0:1]
	s_cbranch_execz .LBB410_43
; %bb.42:
	v_mad_i64_i32 v[30:31], s[0:1], s15, v37, 0
	v_lshl_add_u64 v[30:31], v[30:31], 1, s[4:5]
	v_lshlrev_b32_e32 v32, 1, v34
	v_mov_b32_e32 v33, 0
	v_lshl_add_u64 v[30:31], v[30:31], 0, v[32:33]
	global_load_dwordx4 v[30:33], v[30:31], off offset:128
.LBB410_43:
	s_or_b64 exec, exec, s[2:3]
	s_branch .LBB410_47
.LBB410_44:
                                        ; implicit-def: $vgpr21
                                        ; implicit-def: $vgpr25
                                        ; implicit-def: $vgpr29
                                        ; implicit-def: $vgpr33
	v_lshrrev_b32_e32 v47, 2, v63
	s_branch .LBB410_48
.LBB410_45:
                                        ; implicit-def: $vgpr21
                                        ; implicit-def: $vgpr25
                                        ; implicit-def: $vgpr29
                                        ; implicit-def: $vgpr33
	s_cbranch_execz .LBB410_47
; %bb.46:
	s_waitcnt vmcnt(0)
	v_mad_u64_u32 v[18:19], s[0:1], v36, s15, v[34:35]
	v_lshlrev_b32_e32 v36, 1, v18
	s_lshl_b32 s2, s15, 7
	s_and_b32 s1, s5, 0xffff
	s_mov_b32 s3, 0x20000
	s_mov_b32 s0, s4
	v_add_lshl_u32 v37, v18, s15, 1
	s_movk_i32 s15, 0x80
	buffer_load_dwordx4 v[18:21], v36, s[0:3], 0 offen
	buffer_load_dwordx4 v[26:29], v36, s[0:3], s15 offen
	;; [unrolled: 1-line block ×4, first 2 shown]
.LBB410_47:
	v_lshrrev_b32_e32 v47, 2, v63
	s_cbranch_execnz .LBB410_60
.LBB410_48:
	s_and_b64 vcc, exec, s[6:7]
	s_cbranch_vccz .LBB410_58
; %bb.49:
	s_waitcnt vmcnt(0)
	v_lshlrev_b32_e32 v23, 1, v42
	v_cmp_gt_i32_e32 vcc, s46, v23
	v_mov_b32_e32 v22, 0
	v_lshlrev_b32_e32 v30, 9, v42
	v_mov_b32_e32 v18, 0
	v_mov_b32_e32 v19, 0
	;; [unrolled: 1-line block ×4, first 2 shown]
	s_and_saveexec_b64 s[0:1], vcc
	s_cbranch_execz .LBB410_51
; %bb.50:
	v_mov_b32_e32 v31, 0
	v_lshl_add_u64 v[18:19], s[4:5], 0, v[30:31]
	v_lshlrev_b32_e32 v20, 1, v34
	v_mov_b32_e32 v21, v31
	v_lshl_add_u64 v[18:19], v[18:19], 0, v[20:21]
	global_load_dwordx4 v[18:21], v[18:19], off
.LBB410_51:
	s_or_b64 exec, exec, s[0:1]
	v_or_b32_e32 v23, 1, v23
	v_cmp_gt_i32_e64 s[0:1], s46, v23
	v_lshlrev_b32_e32 v36, 8, v23
	v_mov_b32_e32 v23, 0
	v_mov_b32_e32 v24, 0
	;; [unrolled: 1-line block ×3, first 2 shown]
	s_and_saveexec_b64 s[2:3], s[0:1]
	s_cbranch_execz .LBB410_53
; %bb.52:
	v_mov_b32_e32 v37, 0
	v_lshl_add_u64 v[22:23], s[4:5], 0, v[36:37]
	v_lshlrev_b32_e32 v24, 1, v34
	v_mov_b32_e32 v25, v37
	v_lshl_add_u64 v[22:23], v[22:23], 0, v[24:25]
	global_load_dwordx4 v[22:25], v[22:23], off
.LBB410_53:
	s_or_b64 exec, exec, s[2:3]
	v_mov_b32_e32 v33, 0
	v_mov_b32_e32 v26, 0
	;; [unrolled: 1-line block ×5, first 2 shown]
	s_and_saveexec_b64 s[2:3], vcc
	s_cbranch_execz .LBB410_55
; %bb.54:
	v_mov_b32_e32 v31, 0
	v_lshl_add_u64 v[26:27], s[4:5], 0, v[30:31]
	v_lshlrev_b32_e32 v30, 1, v34
	v_lshl_add_u64 v[26:27], v[26:27], 0, v[30:31]
	global_load_dwordx4 v[26:29], v[26:27], off offset:128
.LBB410_55:
	s_or_b64 exec, exec, s[2:3]
	v_mov_b32_e32 v32, 0
	v_mov_b32_e32 v31, 0
	;; [unrolled: 1-line block ×3, first 2 shown]
	s_and_saveexec_b64 s[2:3], s[0:1]
	s_cbranch_execz .LBB410_57
; %bb.56:
	v_mov_b32_e32 v37, 0
	v_lshl_add_u64 v[30:31], s[4:5], 0, v[36:37]
	v_lshlrev_b32_e32 v36, 1, v34
	v_lshl_add_u64 v[30:31], v[30:31], 0, v[36:37]
	global_load_dwordx4 v[30:33], v[30:31], off offset:128
.LBB410_57:
	s_or_b64 exec, exec, s[2:3]
	s_branch .LBB410_60
.LBB410_58:
                                        ; implicit-def: $vgpr21
                                        ; implicit-def: $vgpr25
                                        ; implicit-def: $vgpr29
                                        ; implicit-def: $vgpr33
	s_cbranch_execz .LBB410_60
; %bb.59:
	s_waitcnt vmcnt(0)
	v_lshlrev_b32_e32 v18, 1, v34
	v_lshl_or_b32 v34, v42, 9, v18
	s_and_b32 s5, s5, 0xffff
	s_mov_b32 s7, 0x20000
	s_movk_i32 s6, 0x4000
	s_movk_i32 s0, 0x80
	buffer_load_dwordx4 v[18:21], v34, s[4:7], 0 offen
	buffer_load_dwordx4 v[22:25], v34, s[4:7], 0 offen offset:256
	buffer_load_dwordx4 v[26:29], v34, s[4:7], s0 offen
	buffer_load_dwordx4 v[30:33], v34, s[4:7], s0 offen offset:256
.LBB410_60:
	ds_read_b64 v[36:37], v43 offset:32768
	v_add_u32_e32 v34, 0xb000, v40
	ds_read2_b64 v[48:51], v34 offset1:16
	ds_read_b64 v[56:57], v44 offset:32768
	ds_read_b64 v[44:45], v45 offset:32768
	;; [unrolled: 1-line block ×3, first 2 shown]
	ds_read2st64_b64 v[52:55], v41 offset0:90 offset1:92
	v_and_b32_e32 v43, 6, v0
	v_and_b32_e32 v34, 12, v47
	v_xor_b32_e32 v42, v42, v43
	v_lshlrev_b32_e32 v42, 2, v42
	s_mov_b32 s0, 0x1000504
	s_waitcnt lgkmcnt(4)
	v_mfma_f32_16x16x16_bf16 a[0:3], v[36:37], v[48:49], a[0:3]
	s_mov_b32 s1, 0x3020706
	v_mfma_f32_16x16x16_bf16 a[4:7], v[36:37], v[50:51], a[4:7]
	ds_read2st64_b64 v[48:51], v40 offset0:90 offset1:92
	ds_read_b64 v[36:37], v40 offset:48128
	ds_read_b64 v[46:47], v41 offset:48128
	s_waitcnt lgkmcnt(2)
	v_mfma_f32_16x16x16_bf16 a[0:3], v[56:57], v[48:49], a[0:3]
	v_and_b32_e32 v48, 1, v0
	v_xor_b32_e32 v49, 0x440, v42
	v_cmp_eq_u32_e32 vcc, 0, v48
	v_mfma_f32_16x16x16_bf16 a[4:7], v[56:57], v[52:53], a[4:7]
	s_nop 0
	v_cndmask_b32_e32 v42, v49, v42, vcc
	v_lshl_or_b32 v42, v43, 10, v42
	v_mfma_f32_16x16x16_bf16 a[0:3], v[44:45], v[50:51], a[0:3]
	v_mfma_f32_16x16x16_bf16 a[8:11], v[44:45], v[54:55], a[4:7]
	s_waitcnt lgkmcnt(1)
	v_mfma_f32_16x16x16_bf16 a[4:7], v[58:59], v[36:37], a[0:3]
	s_waitcnt vmcnt(0)
	v_perm_b32 v36, v18, v22, s0
	v_perm_b32 v37, v26, v30, s0
	ds_write2st64_b32 v42, v36, v37 offset0:32 offset1:64
	v_xor_b32_e32 v36, 8, v42
	v_perm_b32 v18, v18, v22, s1
	v_perm_b32 v22, v26, v30, s1
	v_add_u32_e32 v26, 0x80, v36
	ds_write2st64_b32 v26, v18, v22 offset0:32 offset1:64
	v_xor_b32_e32 v18, 16, v42
	v_perm_b32 v22, v19, v23, s0
	v_perm_b32 v26, v27, v31, s0
	ds_write2st64_b32 v18, v22, v26 offset0:33 offset1:65
	v_xor_b32_e32 v18, 24, v42
	v_perm_b32 v19, v19, v23, s1
	v_perm_b32 v22, v27, v31, s1
	v_add_u32_e32 v18, 0x80, v18
	ds_write2st64_b32 v18, v19, v22 offset0:33 offset1:65
	v_xor_b32_e32 v18, 32, v42
	v_perm_b32 v19, v20, v24, s0
	v_perm_b32 v22, v28, v32, s0
	ds_write2st64_b32 v18, v19, v22 offset0:34 offset1:66
	v_xor_b32_e32 v18, 40, v42
	s_waitcnt lgkmcnt(5)
	v_mfma_f32_16x16x16_bf16 a[0:3], v[58:59], v[46:47], a[8:11]
	v_perm_b32 v19, v20, v24, s1
	v_perm_b32 v20, v28, v32, s1
	v_add_u32_e32 v18, 0x80, v18
	ds_write2st64_b32 v18, v19, v20 offset0:34 offset1:66
	v_xor_b32_e32 v18, 48, v42
	v_perm_b32 v19, v21, v25, s0
	v_perm_b32 v20, v29, v33, s0
	ds_write2st64_b32 v18, v19, v20 offset0:35 offset1:67
	v_xor_b32_e32 v18, 56, v42
	v_or_b32_e32 v32, v34, v61
	v_perm_b32 v19, v21, v25, s1
	v_perm_b32 v20, v29, v33, s1
	v_add_u32_e32 v18, 0x80, v18
	v_cmp_gt_i32_e32 vcc, s46, v32
	v_mov_b32_e32 v33, 0
	v_mov_b32_e32 v37, 0
	ds_write2st64_b32 v18, v19, v20 offset0:35 offset1:67
	s_and_saveexec_b64 s[0:1], vcc
	s_cbranch_execz .LBB410_62
; %bb.61:
	v_add_u32_e32 v18, s43, v32
	v_ashrrev_i32_e32 v19, 31, v18
	v_mul_lo_u32 v20, v19, s30
	v_mul_lo_u32 v21, v18, s31
	v_mad_u64_u32 v[18:19], s[2:3], v18, s30, 0
	v_add3_u32 v19, v19, v21, v20
	v_lshl_add_u64 v[18:19], v[18:19], 2, s[10:11]
	global_load_dword v18, v[18:19], off
	s_waitcnt vmcnt(0)
	v_sub_f32_e32 v18, s14, v18
	v_exp_f32_e32 v37, v18
.LBB410_62:
	s_or_b64 exec, exec, s[0:1]
	v_or_b32_e32 v26, 1, v32
	v_cmp_gt_i32_e64 s[0:1], s46, v26
	s_and_saveexec_b64 s[2:3], s[0:1]
	s_cbranch_execz .LBB410_64
; %bb.63:
	v_add_u32_e32 v18, s43, v26
	v_ashrrev_i32_e32 v19, 31, v18
	v_mul_lo_u32 v20, v19, s30
	v_mul_lo_u32 v21, v18, s31
	v_mad_u64_u32 v[18:19], s[4:5], v18, s30, 0
	v_add3_u32 v19, v19, v21, v20
	v_lshl_add_u64 v[18:19], v[18:19], 2, s[10:11]
	global_load_dword v18, v[18:19], off
	s_waitcnt vmcnt(0)
	v_sub_f32_e32 v18, s14, v18
	v_exp_f32_e32 v33, v18
.LBB410_64:
	s_or_b64 exec, exec, s[2:3]
	v_or_b32_e32 v27, 2, v32
	v_cmp_gt_i32_e64 s[2:3], s46, v27
	v_mov_b32_e32 v36, 0
	v_mov_b32_e32 v42, 0
	s_and_saveexec_b64 s[4:5], s[2:3]
	s_cbranch_execz .LBB410_66
; %bb.65:
	v_add_u32_e32 v18, s43, v27
	v_ashrrev_i32_e32 v19, 31, v18
	v_mul_lo_u32 v20, v19, s30
	v_mul_lo_u32 v21, v18, s31
	v_mad_u64_u32 v[18:19], s[6:7], v18, s30, 0
	v_add3_u32 v19, v19, v21, v20
	v_lshl_add_u64 v[18:19], v[18:19], 2, s[10:11]
	global_load_dword v18, v[18:19], off
	s_waitcnt vmcnt(0)
	v_sub_f32_e32 v18, s14, v18
	v_exp_f32_e32 v42, v18
.LBB410_66:
	s_or_b64 exec, exec, s[4:5]
	v_or_b32_e32 v43, 3, v32
	v_cmp_gt_i32_e64 s[4:5], s46, v43
	s_and_saveexec_b64 s[6:7], s[4:5]
	s_cbranch_execz .LBB410_68
; %bb.67:
	v_add_u32_e32 v18, s43, v43
	v_ashrrev_i32_e32 v19, 31, v18
	v_mul_lo_u32 v20, v19, s30
	v_mul_lo_u32 v21, v18, s31
	v_mad_u64_u32 v[18:19], s[20:21], v18, s30, 0
	v_add3_u32 v19, v19, v21, v20
	v_lshl_add_u64 v[18:19], v[18:19], 2, s[10:11]
	global_load_dword v18, v[18:19], off
	s_waitcnt vmcnt(0)
	v_sub_f32_e32 v18, s14, v18
	v_exp_f32_e32 v36, v18
.LBB410_68:
	s_or_b64 exec, exec, s[6:7]
	s_add_u32 s6, s8, s24
	v_accvgpr_read_b32 v21, a7
	s_addc_u32 s7, s9, s25
	v_ashrrev_i32_e32 v69, 31, v68
	v_accvgpr_read_b32 v20, a6
	v_accvgpr_read_b32 v19, a5
	;; [unrolled: 1-line block ×3, first 2 shown]
	v_lshl_add_u64 v[22:23], v[68:69], 1, s[6:7]
	v_mov_b32_e32 v29, 0
	v_lshlrev_b32_e32 v24, 8, v32
	v_mov_b32_e32 v25, 0
	s_and_saveexec_b64 s[6:7], vcc
	s_cbranch_execz .LBB410_70
; %bb.69:
	v_mov_b32_e32 v25, 0
	v_lshl_add_u64 v[30:31], v[22:23], 0, v[24:25]
	global_load_ushort v25, v[30:31], off
	s_waitcnt vmcnt(0)
	v_lshlrev_b32_e32 v25, 16, v25
	v_sub_f32_e32 v18, v25, v18
	v_mul_f32_e32 v18, v37, v18
	v_lshrrev_b32_e32 v25, 16, v18
.LBB410_70:
	s_or_b64 exec, exec, s[6:7]
	v_lshlrev_b32_e32 v28, 8, v26
	s_and_saveexec_b64 s[6:7], s[0:1]
	s_cbranch_execz .LBB410_72
; %bb.71:
	v_mov_b32_e32 v29, 0
	v_lshl_add_u64 v[30:31], v[22:23], 0, v[28:29]
	global_load_ushort v18, v[30:31], off
	s_waitcnt vmcnt(0)
	v_lshlrev_b32_e32 v18, 16, v18
	v_sub_f32_e32 v18, v18, v19
	v_mul_f32_e32 v18, v33, v18
	v_lshrrev_b32_e32 v29, 16, v18
.LBB410_72:
	s_or_b64 exec, exec, s[6:7]
	v_mov_b32_e32 v44, 0
	v_lshlrev_b32_e32 v30, 8, v27
	v_mov_b32_e32 v31, 0
	s_and_saveexec_b64 s[6:7], s[2:3]
	s_cbranch_execz .LBB410_74
; %bb.73:
	v_mov_b32_e32 v31, 0
	v_lshl_add_u64 v[18:19], v[22:23], 0, v[30:31]
	global_load_ushort v18, v[18:19], off
	s_waitcnt vmcnt(0)
	v_lshlrev_b32_e32 v18, 16, v18
	v_sub_f32_e32 v18, v18, v20
	v_mul_f32_e32 v18, v42, v18
	v_lshrrev_b32_e32 v31, 16, v18
.LBB410_74:
	s_or_b64 exec, exec, s[6:7]
	v_lshlrev_b32_e32 v26, 8, v43
	s_and_saveexec_b64 s[6:7], s[4:5]
	s_cbranch_execz .LBB410_76
; %bb.75:
	v_mov_b32_e32 v27, 0
	v_lshl_add_u64 v[18:19], v[22:23], 0, v[26:27]
	global_load_ushort v18, v[18:19], off
	s_waitcnt vmcnt(0)
	v_lshlrev_b32_e32 v18, 16, v18
	v_sub_f32_e32 v18, v18, v21
	v_mul_f32_e32 v18, v36, v18
	v_lshrrev_b32_e32 v44, 16, v18
.LBB410_76:
	s_or_b64 exec, exec, s[6:7]
	v_lshlrev_b32_e32 v43, 5, v32
	s_mov_b32 s6, 0x5040100
	v_perm_b32 v45, v44, v31, s6
	v_perm_b32 v44, v29, v25, s6
	v_or_b32_e32 v25, v43, v38
	v_accvgpr_read_b32 v21, a3
	v_lshlrev_b32_e32 v25, 1, v25
	v_accvgpr_read_b32 v20, a2
	v_accvgpr_read_b32 v19, a1
	;; [unrolled: 1-line block ×3, first 2 shown]
	ds_write_b64 v25, v[44:45] offset:45056
	v_mov_b32_e32 v29, 0
	v_mov_b32_e32 v25, 0
	s_and_saveexec_b64 s[6:7], vcc
	s_cbranch_execz .LBB410_78
; %bb.77:
	v_mov_b32_e32 v25, 0
	v_lshl_add_u64 v[24:25], v[22:23], 0, v[24:25]
	global_load_ushort v24, v[24:25], off offset:32
	s_waitcnt vmcnt(0)
	v_lshlrev_b32_e32 v24, 16, v24
	v_sub_f32_e32 v18, v24, v18
	v_mul_f32_e32 v18, v37, v18
	v_lshrrev_b32_e32 v25, 16, v18
.LBB410_78:
	s_or_b64 exec, exec, s[6:7]
	s_and_saveexec_b64 s[6:7], s[0:1]
	s_cbranch_execz .LBB410_80
; %bb.79:
	v_mov_b32_e32 v29, 0
	v_lshl_add_u64 v[28:29], v[22:23], 0, v[28:29]
	global_load_ushort v18, v[28:29], off offset:32
	s_waitcnt vmcnt(0)
	v_lshlrev_b32_e32 v18, 16, v18
	v_sub_f32_e32 v18, v18, v19
	v_mul_f32_e32 v18, v33, v18
	v_lshrrev_b32_e32 v29, 16, v18
.LBB410_80:
	s_or_b64 exec, exec, s[6:7]
	v_mov_b32_e32 v24, 0
	v_mov_b32_e32 v28, 0
	s_and_saveexec_b64 s[0:1], s[2:3]
	s_cbranch_execz .LBB410_82
; %bb.81:
	v_mov_b32_e32 v31, 0
	v_lshl_add_u64 v[18:19], v[22:23], 0, v[30:31]
	global_load_ushort v18, v[18:19], off offset:32
	s_waitcnt vmcnt(0)
	v_lshlrev_b32_e32 v18, 16, v18
	v_sub_f32_e32 v18, v18, v20
	v_mul_f32_e32 v18, v42, v18
	v_lshrrev_b32_e32 v28, 16, v18
.LBB410_82:
	s_or_b64 exec, exec, s[0:1]
	v_or_b32_e32 v19, 0xb000, v40
	v_or_b32_e32 v18, 0xb000, v41
	s_and_saveexec_b64 s[0:1], s[4:5]
	s_cbranch_execz .LBB410_84
; %bb.83:
	v_mov_b32_e32 v27, 0
	v_lshl_add_u64 v[22:23], v[22:23], 0, v[26:27]
	global_load_ushort v20, v[22:23], off offset:32
	s_waitcnt vmcnt(0)
	v_lshlrev_b32_e32 v20, 16, v20
	v_sub_f32_e32 v20, v20, v21
	v_mul_f32_e32 v20, v36, v20
	v_lshrrev_b32_e32 v24, 16, v20
.LBB410_84:
	s_or_b64 exec, exec, s[0:1]
	s_mov_b32 s0, 0x5040100
	v_or_b32_e32 v22, v43, v35
	v_perm_b32 v21, v24, v28, s0
	v_perm_b32 v20, v29, v25, s0
	v_lshlrev_b32_e32 v22, 1, v22
	s_movk_i32 s2, 0x100
	ds_write_b64 v22, v[20:21] offset:45056
	v_and_b32_e32 v20, 7, v0
	v_and_b32_e32 v21, 8, v0
	v_cmp_gt_u32_e32 vcc, s2, v0
	v_lshrrev_b32_e32 v0, 1, v0
	v_lshlrev_b32_e32 v26, 3, v20
	v_lshlrev_b32_e32 v47, 7, v20
	v_mov_b32_e32 v20, 0x4000
	v_mov_b32_e32 v22, 0x2000
	v_lshlrev_b32_e32 v24, 3, v1
	v_and_b32_e32 v0, 24, v0
	v_cndmask_b32_e32 v27, v20, v22, vcc
	v_xor_b32_e32 v20, v24, v0
	v_or_b32_e32 v22, 0x440, v20
	v_cmp_eq_u32_e32 vcc, 0, v21
	v_or_b32_e32 v28, 32, v0
	v_xor_b32_e32 v28, v24, v28
	v_cndmask_b32_e32 v20, v22, v20, vcc
	v_or_b32_e32 v20, v20, v39
	v_xor_b32_e32 v48, v20, v26
	v_or_b32_e32 v29, 0x440, v28
	v_add3_u32 v25, v27, v48, v47
	v_cndmask_b32_e32 v28, v29, v28, vcc
	v_or_b32_e32 v29, 64, v0
	v_or_b32_e32 v0, 0x60, v0
	s_waitcnt lgkmcnt(0)
	s_barrier
	v_xor_b32_e32 v29, v24, v29
	v_xor_b32_e32 v0, v24, v0
	ds_read_b64 v[24:25], v25
	v_xor_b32_e32 v30, 0x440, v29
	v_cndmask_b32_e32 v29, v30, v29, vcc
	v_xor_b32_e32 v30, 0x440, v0
	ds_read2_b64 v[20:23], v19 offset1:16
	v_cndmask_b32_e32 v0, v30, v0, vcc
	v_or_b32_e32 v28, v28, v39
	v_or_b32_e32 v29, v29, v39
	;; [unrolled: 1-line block ×3, first 2 shown]
	v_xor_b32_e32 v49, v28, v26
	v_xor_b32_e32 v50, v29, v26
	;; [unrolled: 1-line block ×3, first 2 shown]
	s_add_i32 s0, s12, s49
	v_add3_u32 v28, v27, v49, v47
	v_add3_u32 v29, v27, v50, v47
	;; [unrolled: 1-line block ×3, first 2 shown]
	s_mul_hi_i32 s1, s0, s13
	s_mul_i32 s0, s0, s13
	ds_read_b64 v[26:27], v28
	ds_read_b64 v[40:41], v29
	;; [unrolled: 1-line block ×3, first 2 shown]
	ds_read2st64_b64 v[28:31], v19 offset0:2 offset1:4
	ds_read2st64_b64 v[36:39], v18 offset0:2 offset1:4
	s_add_u32 s0, s0, s33
	s_waitcnt lgkmcnt(5)
	v_mfma_f32_16x16x16_bf16 a[0:3], v[24:25], v[20:21], 0
	s_addc_u32 s1, s1, s48
	s_lshl_b64 s[0:1], s[0:1], 9
	s_add_u32 s0, s16, s0
	v_mfma_f32_16x16x16_bf16 a[4:7], v[24:25], v[22:23], 0
	s_addc_u32 s1, s17, s1
	v_lshlrev_b32_e32 v24, 2, v32
	v_lshlrev_b32_e32 v1, 6, v1
	s_waitcnt lgkmcnt(1)
	v_mfma_f32_16x16x16_bf16 a[0:3], v[26:27], v[28:29], a[0:3]
	v_add_u32_e32 v48, v48, v47
	v_exp_f32_e32 v46, s14
	v_add_u32_e32 v0, v0, v47
	s_waitcnt lgkmcnt(0)
	v_mfma_f32_16x16x16_bf16 a[4:7], v[26:27], v[36:37], a[4:7]
	global_load_dwordx4 v[24:27], v24, s[0:1]
	s_waitcnt vmcnt(0)
	v_exp_f32_e32 v26, v26
	v_mfma_f32_16x16x16_bf16 a[0:3], v[40:41], v[30:31], a[0:3]
	v_exp_f32_e32 v27, v27
	v_mfma_f32_16x16x16_bf16 a[4:7], v[40:41], v[38:39], a[4:7]
	ds_read_b64 v[40:41], v19 offset:3072
	ds_read_b64 v[44:45], v18 offset:3072
	v_lshlrev_b32_e32 v18, 2, v34
	v_or3_b32 v1, v1, v18, s2
	global_load_dwordx4 v[32:35], v1, s[0:1]
	v_exp_f32_e32 v18, v24
	v_exp_f32_e32 v19, v25
	ds_read_b64 v[24:25], v48 offset:16384
	s_waitcnt lgkmcnt(2)
	v_mfma_f32_16x16x16_bf16 a[0:3], v[42:43], v[40:41], a[0:3]
	v_add_u32_e32 v48, v50, v47
	v_pk_mul_f32 v[52:53], v[46:47], v[18:19] op_sel_hi:[0,1]
	s_waitcnt lgkmcnt(1)
	v_mfma_f32_16x16x16_bf16 a[4:7], v[42:43], v[44:45], a[4:7]
	v_add_u32_e32 v42, v49, v47
	ds_read_b64 v[42:43], v42 offset:16384
	ds_read_b64 v[48:49], v48 offset:16384
	;; [unrolled: 1-line block ×3, first 2 shown]
	v_accvgpr_read_b32 v19, a1
	s_waitcnt lgkmcnt(3)
	v_mfma_f32_16x16x16_bf16 a[8:11], v[24:25], v[20:21], 0
	v_accvgpr_read_b32 v1, a3
	v_accvgpr_read_b32 v0, a2
	;; [unrolled: 1-line block ×3, first 2 shown]
	v_mfma_f32_16x16x16_bf16 a[0:3], v[24:25], v[22:23], 0
	v_pk_fma_f32 v[18:19], v[2:3], v[52:53], v[18:19]
	v_pk_mul_f32 v[2:3], v[46:47], v[26:27] op_sel_hi:[0,1]
	v_pk_fma_f32 v[20:21], v[4:5], v[2:3], v[0:1]
	s_waitcnt lgkmcnt(2)
	v_mfma_f32_16x16x16_bf16 a[8:11], v[42:43], v[28:29], a[8:11]
	v_accvgpr_read_b32 v0, a4
	v_fma_f32 v26, v10, v52, v0
	v_accvgpr_read_b32 v0, a5
	v_mfma_f32_16x16x16_bf16 a[0:3], v[42:43], v[36:37], a[0:3]
	v_fma_f32 v27, v11, v53, v0
	v_accvgpr_read_b32 v0, a6
	v_fma_f32 v28, v12, v2, v0
	s_waitcnt lgkmcnt(1)
	v_mfma_f32_16x16x16_bf16 a[8:11], v[48:49], v[30:31], a[8:11]
	v_accvgpr_read_b32 v29, a7
	v_fmac_f32_e32 v29, v13, v3
	s_waitcnt vmcnt(0)
	v_mov_b32_e32 v0, v33
	v_mfma_f32_16x16x16_bf16 a[0:3], v[48:49], v[38:39], a[0:3]
	v_mov_b32_e32 v1, v34
	v_mov_b32_e32 v2, v35
	v_exp_f32_e32 v5, v0
	v_exp_f32_e32 v0, v1
	s_waitcnt lgkmcnt(0)
	v_mfma_f32_16x16x16_bf16 a[4:7], v[50:51], v[40:41], a[8:11]
	v_exp_f32_e32 v1, v2
	v_exp_f32_e32 v4, v32
	v_pk_mul_f32 v[0:1], v[46:47], v[0:1] op_sel_hi:[0,1]
	v_mfma_f32_16x16x16_bf16 a[0:3], v[50:51], v[44:45], a[0:3]
	v_pk_mul_f32 v[4:5], v[46:47], v[4:5] op_sel_hi:[0,1]
	s_nop 1
	v_accvgpr_read_b32 v3, a7
	v_accvgpr_read_b32 v2, a6
	v_pk_fma_f32 v[24:25], v[8:9], v[0:1], v[2:3]
	v_accvgpr_read_b32 v11, a5
	v_accvgpr_read_b32 v10, a4
	v_pk_fma_f32 v[22:23], v[6:7], v[4:5], v[10:11]
	v_accvgpr_read_b32 v2, a0
	v_fma_f32 v30, v14, v4, v2
	v_accvgpr_read_b32 v2, a1
	v_fma_f32 v31, v15, v5, v2
	v_accvgpr_read_b32 v2, a2
	v_accvgpr_read_b32 v33, a3
	v_fma_f32 v32, v16, v0, v2
	v_fmac_f32_e32 v33, v17, v1
	v_mov_b64_e32 v[2:3], v[18:19]
	v_mov_b64_e32 v[4:5], v[20:21]
	;; [unrolled: 1-line block ×8, first 2 shown]
.LBB410_85:
	s_add_u32 s0, s18, s28
	s_addc_u32 s1, s19, s29
	v_lshl_add_u64 v[0:1], v[66:67], 2, s[0:1]
	v_mov_b32_e32 v63, 0
	v_lshl_add_u64 v[0:1], v[0:1], 0, v[62:63]
	global_store_dwordx4 v[0:1], v[2:5], off
	global_store_dwordx4 v[0:1], v[6:9], off offset:256
	v_lshl_add_u64 v[0:1], v[64:65], 2, s[0:1]
	v_lshl_add_u64 v[0:1], v[0:1], 0, v[62:63]
	global_store_dwordx4 v[0:1], v[10:13], off
	global_store_dwordx4 v[0:1], v[14:17], off offset:256
	s_endpgm
	.section	.rodata,"a",@progbits
	.p2align	6, 0x0
	.amdhsa_kernel _ZN12_GLOBAL__N_139chunk_gated_delta_rule_fwd_h_hip_kernelILi32ELb1ELb1ELb0ELb0ELb1ELb1ELb0ELb0EEEvPK12hip_bfloat16S3_S3_PKfS5_PKvPS1_S8_PvPKiSB_iiiiilll
		.amdhsa_group_segment_fixed_size 49152
		.amdhsa_private_segment_fixed_size 0
		.amdhsa_kernarg_size 136
		.amdhsa_user_sgpr_count 2
		.amdhsa_user_sgpr_dispatch_ptr 0
		.amdhsa_user_sgpr_queue_ptr 0
		.amdhsa_user_sgpr_kernarg_segment_ptr 1
		.amdhsa_user_sgpr_dispatch_id 0
		.amdhsa_user_sgpr_kernarg_preload_length 0
		.amdhsa_user_sgpr_kernarg_preload_offset 0
		.amdhsa_user_sgpr_private_segment_size 0
		.amdhsa_uses_dynamic_stack 0
		.amdhsa_enable_private_segment 0
		.amdhsa_system_sgpr_workgroup_id_x 1
		.amdhsa_system_sgpr_workgroup_id_y 1
		.amdhsa_system_sgpr_workgroup_id_z 0
		.amdhsa_system_sgpr_workgroup_info 0
		.amdhsa_system_vgpr_workitem_id 0
		.amdhsa_next_free_vgpr 164
		.amdhsa_next_free_sgpr 72
		.amdhsa_accum_offset 144
		.amdhsa_reserve_vcc 1
		.amdhsa_float_round_mode_32 0
		.amdhsa_float_round_mode_16_64 0
		.amdhsa_float_denorm_mode_32 3
		.amdhsa_float_denorm_mode_16_64 3
		.amdhsa_dx10_clamp 1
		.amdhsa_ieee_mode 1
		.amdhsa_fp16_overflow 0
		.amdhsa_tg_split 0
		.amdhsa_exception_fp_ieee_invalid_op 0
		.amdhsa_exception_fp_denorm_src 0
		.amdhsa_exception_fp_ieee_div_zero 0
		.amdhsa_exception_fp_ieee_overflow 0
		.amdhsa_exception_fp_ieee_underflow 0
		.amdhsa_exception_fp_ieee_inexact 0
		.amdhsa_exception_int_div_zero 0
	.end_amdhsa_kernel
	.section	.text._ZN12_GLOBAL__N_139chunk_gated_delta_rule_fwd_h_hip_kernelILi32ELb1ELb1ELb0ELb0ELb1ELb1ELb0ELb0EEEvPK12hip_bfloat16S3_S3_PKfS5_PKvPS1_S8_PvPKiSB_iiiiilll,"axG",@progbits,_ZN12_GLOBAL__N_139chunk_gated_delta_rule_fwd_h_hip_kernelILi32ELb1ELb1ELb0ELb0ELb1ELb1ELb0ELb0EEEvPK12hip_bfloat16S3_S3_PKfS5_PKvPS1_S8_PvPKiSB_iiiiilll,comdat
.Lfunc_end410:
	.size	_ZN12_GLOBAL__N_139chunk_gated_delta_rule_fwd_h_hip_kernelILi32ELb1ELb1ELb0ELb0ELb1ELb1ELb0ELb0EEEvPK12hip_bfloat16S3_S3_PKfS5_PKvPS1_S8_PvPKiSB_iiiiilll, .Lfunc_end410-_ZN12_GLOBAL__N_139chunk_gated_delta_rule_fwd_h_hip_kernelILi32ELb1ELb1ELb0ELb0ELb1ELb1ELb0ELb0EEEvPK12hip_bfloat16S3_S3_PKfS5_PKvPS1_S8_PvPKiSB_iiiiilll
                                        ; -- End function
	.section	.AMDGPU.csdata,"",@progbits
; Kernel info:
; codeLenInByte = 9576
; NumSgprs: 78
; NumVgprs: 144
; NumAgprs: 20
; TotalNumVgprs: 164
; ScratchSize: 0
; MemoryBound: 0
; FloatMode: 240
; IeeeMode: 1
; LDSByteSize: 49152 bytes/workgroup (compile time only)
; SGPRBlocks: 9
; VGPRBlocks: 20
; NumSGPRsForWavesPerEU: 78
; NumVGPRsForWavesPerEU: 164
; AccumOffset: 144
; Occupancy: 1
; WaveLimiterHint : 1
; COMPUTE_PGM_RSRC2:SCRATCH_EN: 0
; COMPUTE_PGM_RSRC2:USER_SGPR: 2
; COMPUTE_PGM_RSRC2:TRAP_HANDLER: 0
; COMPUTE_PGM_RSRC2:TGID_X_EN: 1
; COMPUTE_PGM_RSRC2:TGID_Y_EN: 1
; COMPUTE_PGM_RSRC2:TGID_Z_EN: 0
; COMPUTE_PGM_RSRC2:TIDIG_COMP_CNT: 0
; COMPUTE_PGM_RSRC3_GFX90A:ACCUM_OFFSET: 35
; COMPUTE_PGM_RSRC3_GFX90A:TG_SPLIT: 0
	.section	.text._ZN12_GLOBAL__N_139chunk_gated_delta_rule_fwd_h_hip_kernelILi32ELb1ELb0ELb1ELb0ELb1ELb1ELb0ELb0EEEvPK12hip_bfloat16S3_S3_PKfS5_PKvPS1_S8_PvPKiSB_iiiiilll,"axG",@progbits,_ZN12_GLOBAL__N_139chunk_gated_delta_rule_fwd_h_hip_kernelILi32ELb1ELb0ELb1ELb0ELb1ELb1ELb0ELb0EEEvPK12hip_bfloat16S3_S3_PKfS5_PKvPS1_S8_PvPKiSB_iiiiilll,comdat
	.globl	_ZN12_GLOBAL__N_139chunk_gated_delta_rule_fwd_h_hip_kernelILi32ELb1ELb0ELb1ELb0ELb1ELb1ELb0ELb0EEEvPK12hip_bfloat16S3_S3_PKfS5_PKvPS1_S8_PvPKiSB_iiiiilll ; -- Begin function _ZN12_GLOBAL__N_139chunk_gated_delta_rule_fwd_h_hip_kernelILi32ELb1ELb0ELb1ELb0ELb1ELb1ELb0ELb0EEEvPK12hip_bfloat16S3_S3_PKfS5_PKvPS1_S8_PvPKiSB_iiiiilll
	.p2align	8
	.type	_ZN12_GLOBAL__N_139chunk_gated_delta_rule_fwd_h_hip_kernelILi32ELb1ELb0ELb1ELb0ELb1ELb1ELb0ELb0EEEvPK12hip_bfloat16S3_S3_PKfS5_PKvPS1_S8_PvPKiSB_iiiiilll,@function
_ZN12_GLOBAL__N_139chunk_gated_delta_rule_fwd_h_hip_kernelILi32ELb1ELb0ELb1ELb0ELb1ELb1ELb0ELb0EEEvPK12hip_bfloat16S3_S3_PKfS5_PKvPS1_S8_PvPKiSB_iiiiilll: ; @_ZN12_GLOBAL__N_139chunk_gated_delta_rule_fwd_h_hip_kernelILi32ELb1ELb0ELb1ELb0ELb1ELb1ELb0ELb0EEEvPK12hip_bfloat16S3_S3_PKfS5_PKvPS1_S8_PvPKiSB_iiiiilll
; %bb.0:
	s_load_dwordx4 s[12:15], s[0:1], 0x5c
	s_load_dwordx4 s[20:23], s[0:1], 0x70
	s_abs_i32 s6, s3
	s_ashr_i32 s5, s3, 31
	s_load_dwordx4 s[16:19], s[0:1], 0x28
	s_load_dwordx2 s[28:29], s[0:1], 0x38
	s_waitcnt lgkmcnt(0)
	s_abs_i32 s4, s13
	v_cvt_f32_u32_e32 v1, s4
	s_sub_i32 s8, 0, s4
	s_ashr_i32 s7, s13, 31
	s_xor_b32 s5, s5, s7
	v_rcp_iflag_f32_e32 v1, v1
	v_and_b32_e32 v74, 15, v0
	v_lshrrev_b32_e32 v72, 6, v0
	v_bfe_u32 v73, v0, 4, 2
	v_mul_f32_e32 v1, 0x4f7ffffe, v1
	v_cvt_u32_f32_e32 v1, v1
	v_mov_b32_e32 v7, 0
	v_and_b32_e32 v61, 63, v0
	v_lshrrev_b32_e32 v76, 3, v61
	v_readfirstlane_b32 s9, v1
	s_mul_i32 s8, s8, s9
	s_mul_hi_u32 s8, s9, s8
	s_add_i32 s9, s9, s8
	s_mul_hi_u32 s8, s6, s9
	s_mul_i32 s9, s8, s4
	s_sub_i32 s6, s6, s9
	s_add_i32 s10, s8, 1
	s_sub_i32 s9, s6, s4
	s_cmp_ge_u32 s6, s4
	s_cselect_b32 s8, s10, s8
	s_cselect_b32 s6, s9, s6
	s_add_i32 s9, s8, 1
	s_cmp_ge_u32 s6, s4
	s_cselect_b32 s6, s9, s8
	s_xor_b32 s6, s6, s5
	s_add_i32 s8, s12, 63
	s_sub_i32 s52, s6, s5
	s_ashr_i32 s9, s8, 31
	s_mul_i32 s5, s52, s13
	s_sub_i32 s50, s3, s5
	s_lshr_b32 s3, s9, 26
	s_add_i32 s8, s8, s3
	s_abs_i32 s3, s14
	v_cvt_f32_u32_e32 v1, s3
	s_ashr_i32 s51, s12, 31
	s_lshr_b32 s6, s51, 26
	s_add_i32 s6, s12, s6
	v_rcp_iflag_f32_e32 v1, v1
	s_ashr_i32 s55, s14, 31
	s_ashr_i32 s53, s6, 6
	s_lshl_b32 s38, s2, 5
	v_mul_f32_e32 v1, 0x4f7ffffe, v1
	v_cvt_u32_f32_e32 v1, v1
	s_xor_b32 s2, s7, s55
	s_sub_i32 s6, 0, s3
	s_ashr_i32 s25, s8, 6
	v_readfirstlane_b32 s7, v1
	s_mul_i32 s6, s6, s7
	s_mul_hi_u32 s6, s7, s6
	s_add_i32 s7, s7, s6
	s_mul_hi_u32 s6, s4, s7
	s_mul_i32 s7, s6, s3
	s_sub_i32 s4, s4, s7
	s_add_i32 s7, s6, 1
	s_sub_i32 s8, s4, s3
	s_cmp_ge_u32 s4, s3
	s_cselect_b32 s6, s7, s6
	s_cselect_b32 s4, s8, s4
	s_add_i32 s7, s6, 1
	s_cmp_ge_u32 s4, s3
	s_cselect_b32 s3, s7, s6
	s_xor_b32 s3, s3, s2
	s_sub_i32 s2, s3, s2
	s_abs_i32 s3, s2
	v_cvt_f32_u32_e32 v1, s3
	s_sub_i32 s6, 0, s3
	s_abs_i32 s4, s50
	s_xor_b32 s2, s50, s2
	v_rcp_iflag_f32_e32 v1, v1
	s_ashr_i32 s2, s2, 31
	v_or_b32_e32 v62, s38, v74
	v_lshlrev_b32_e32 v2, 7, v62
	v_mul_f32_e32 v1, 0x4f7ffffe, v1
	v_cvt_u32_f32_e32 v1, v1
	v_ashrrev_i32_e32 v3, 31, v2
	s_mul_i32 s57, s52, s25
	v_lshlrev_b32_e32 v75, 3, v0
	v_readfirstlane_b32 s7, v1
	s_mul_i32 s6, s6, s7
	s_mul_hi_u32 s6, s7, s6
	s_add_i32 s7, s7, s6
	s_mul_hi_u32 s6, s4, s7
	s_mul_i32 s7, s6, s3
	s_sub_i32 s4, s4, s7
	s_add_i32 s7, s6, 1
	s_sub_i32 s8, s4, s3
	s_cmp_ge_u32 s4, s3
	s_cselect_b32 s6, s7, s6
	s_cselect_b32 s4, s8, s4
	s_add_i32 s7, s6, 1
	s_cmp_ge_u32 s4, s3
	s_cselect_b32 s3, s7, s6
	s_xor_b32 s3, s3, s2
	s_sub_i32 s56, s3, s2
	s_ashr_i32 s24, s52, 31
	s_ashr_i32 s54, s50, 31
	s_mul_hi_i32 s2, s52, s13
	s_add_u32 s40, s5, s50
	s_addc_u32 s41, s2, s54
	s_lshl_b64 s[2:3], s[40:41], 16
	s_add_u32 s2, s16, s2
	s_addc_u32 s3, s17, s3
	v_lshlrev_b32_e32 v1, 4, v72
	v_lshl_add_u64 v[4:5], v[2:3], 2, s[2:3]
	v_or_b32_e32 v2, 0x800, v2
	v_lshl_or_b32 v77, v73, 2, v1
	v_ashrrev_i32_e32 v3, 31, v2
	v_lshlrev_b32_e32 v6, 2, v77
	v_lshl_add_u64 v[2:3], v[2:3], 2, s[2:3]
	v_lshl_add_u64 v[4:5], v[4:5], 0, v[6:7]
	;; [unrolled: 1-line block ×3, first 2 shown]
	global_load_dwordx4 v[14:17], v[4:5], off
	global_load_dwordx4 v[10:13], v[4:5], off offset:256
	global_load_dwordx4 v[6:9], v[18:19], off
	s_nop 0
	global_load_dwordx4 v[2:5], v[18:19], off offset:256
	s_load_dwordx8 s[4:11], s[0:1], 0x0
	s_load_dwordx2 s[30:31], s[0:1], 0x80
	v_or_b32_e32 v78, 64, v77
	s_cmp_lt_i32 s12, 64
	s_mul_i32 s58, s41, s12
	s_mul_hi_u32 s59, s40, s12
	s_mul_i32 s16, s40, s12
	s_mul_i32 s33, s52, s21
	s_mul_hi_u32 s46, s52, s20
	s_mul_i32 s47, s24, s20
	s_mul_i32 s34, s52, s20
	;; [unrolled: 1-line block ×3, first 2 shown]
	s_mul_hi_u32 s48, s50, s22
	s_mul_i32 s49, s54, s22
	s_mul_i32 s36, s50, s22
	s_cbranch_scc1 .LBB411_3
; %bb.1:
	s_add_i32 s17, s59, s58
	s_lshl_b64 s[2:3], s[16:17], 8
	v_and_b32_e32 v80, 56, v75
	s_waitcnt lgkmcnt(0)
	s_add_u32 s20, s6, s2
	v_lshl_or_b32 v79, v72, 3, v76
	v_lshlrev_b32_e32 v18, 1, v80
	s_addc_u32 s2, s7, s3
	v_lshl_or_b32 v81, v79, 8, v18
	s_and_b32 s21, s2, 0xffff
	s_mov_b32 s23, 0x20000
	s_movk_i32 s22, 0x4000
	s_movk_i32 s2, 0x80
	v_or_b32_e32 v82, 0x2000, v81
	buffer_load_dwordx4 v[20:23], v81, s[20:23], 0 offen
	buffer_load_dwordx4 v[24:27], v81, s[20:23], s2 offen
	;; [unrolled: 1-line block ×4, first 2 shown]
	v_lshlrev_b32_e32 v19, 3, v79
	v_and_or_b32 v37, v0, 7, v19
	v_and_b32_e32 v19, 0x78, v19
	v_lshlrev_b32_e32 v37, 4, v37
	v_xor_b32_e32 v83, v37, v19
	v_mul_lo_u32 v36, v79, s15
	v_or_b32_e32 v84, 0x1000, v83
	v_xor_b32_e32 v19, 8, v83
	s_cmpk_eq_i32 s15, 0x80
	s_mov_b32 s60, s14
	v_xor_b32_e32 v37, 8, v84
	s_cselect_b64 s[2:3], -1, 0
	s_cmpk_lg_i32 s15, 0x80
	s_waitcnt vmcnt(3)
	ds_write_b64 v83, v[20:21] offset:24576
	ds_write_b64 v19, v[22:23] offset:24576
	s_waitcnt vmcnt(2)
	ds_write_b64 v83, v[24:25] offset:32768
	ds_write_b64 v19, v[26:27] offset:32768
	;; [unrolled: 3-line block ×4, first 2 shown]
	v_lshl_add_u32 v19, v36, 1, v80
	s_cbranch_scc0 .LBB411_29
; %bb.2:
	v_lshlrev_b32_e32 v21, 1, v19
	v_add_lshl_u32 v20, v19, s15, 1
	s_lshl_b32 s22, s15, 7
	s_load_dwordx2 s[42:43], s[0:1], 0x20
	v_lshl_or_b32 v18, v79, 9, v18
	s_cbranch_execz .LBB411_30
	s_branch .LBB411_31
.LBB411_3:
	s_waitcnt vmcnt(0)
	v_mov_b32_e32 v21, v5
	v_mov_b32_e32 v25, v9
.LBB411_4:
	s_lshl_b32 s26, s53, 6
	s_sub_i32 s27, s12, s26
	s_cmp_gt_i32 s27, 0
	s_cbranch_scc0 .LBB411_84
; %bb.5:
	s_ashr_i32 s2, s26, 31
	s_cmpk_lg_i32 s15, 0x80
	s_cselect_b64 s[22:23], -1, 0
	s_and_b64 vcc, exec, s[22:23]
	s_cbranch_vccz .LBB411_7
; %bb.6:
	s_mul_i32 s1, s52, s12
	s_mul_hi_i32 s0, s52, s12
	s_add_u32 s1, s1, s26
	s_addc_u32 s0, s0, s2
	s_mul_i32 s3, s1, s55
	s_mul_hi_u32 s17, s1, s14
	s_add_i32 s3, s17, s3
	s_mul_i32 s0, s0, s14
	s_add_i32 s3, s3, s0
	s_mul_i32 s1, s1, s14
	s_ashr_i32 s0, s56, 31
	s_add_u32 s24, s1, s56
	s_addc_u32 s25, s3, s0
	s_cbranch_execz .LBB411_8
	s_branch .LBB411_9
.LBB411_7:
                                        ; implicit-def: $sgpr24_sgpr25
.LBB411_8:
	s_mul_hi_i32 s0, s52, s14
	s_mul_i32 s52, s52, s14
	s_ashr_i32 s1, s56, 31
	s_add_u32 s3, s52, s56
	s_addc_u32 s0, s0, s1
	s_mul_i32 s1, s3, s51
	s_mul_hi_u32 s14, s3, s12
	s_add_i32 s1, s14, s1
	s_mul_i32 s0, s0, s12
	s_add_i32 s1, s1, s0
	s_mul_i32 s3, s3, s12
	s_add_u32 s24, s3, s26
	s_addc_u32 s25, s1, s2
.LBB411_9:
	s_mul_i32 s0, s40, s51
	s_add_i32 s0, s59, s0
	s_add_i32 s3, s57, s53
	;; [unrolled: 1-line block ×3, first 2 shown]
	s_add_u32 s0, s16, s26
	s_addc_u32 s1, s1, s2
	v_lshlrev_b32_e32 v18, 5, v77
	v_lshlrev_b32_e32 v22, 2, v74
	s_mov_b32 s2, 0x7060302
	v_perm_b32 v13, v13, v12, s2
	v_perm_b32 v12, v11, v10, s2
	v_or_b32_e32 v10, v18, v22
	v_xor_b32_e32 v5, v77, v22
	v_perm_b32 v17, v17, v16, s2
	v_perm_b32 v16, v15, v14, s2
	v_lshlrev_b32_e32 v10, 1, v10
	ds_write2st64_b64 v10, v[16:17], v[12:13] offset0:80 offset1:88
	v_lshlrev_b32_e32 v10, 1, v5
	v_lshlrev_b32_e32 v5, 8, v74
	s_lshl_b64 s[20:21], s[0:1], 8
	v_xor_b32_e32 v9, v78, v22
	v_or_b32_e32 v11, v10, v5
	s_waitcnt lgkmcnt(0)
	s_add_u32 s0, s6, s20
	ds_write_b64 v11, v[16:17]
	v_lshlrev_b32_e32 v11, 1, v9
	s_addc_u32 s1, s7, s21
	v_or_b32_e32 v5, v11, v5
	s_mul_hi_i32 s6, s3, s13
	s_mul_i32 s3, s3, s13
	ds_write_b64 v5, v[12:13]
	v_perm_b32 v9, v25, v8, s2
	v_perm_b32 v8, v7, v6, s2
	;; [unrolled: 1-line block ×4, first 2 shown]
	s_add_u32 s2, s3, s50
	v_or_b32_e32 v2, 16, v74
	s_addc_u32 s3, s6, s54
	v_lshlrev_b32_e32 v19, 2, v2
	s_ashr_i32 s39, s38, 31
	s_lshl_b64 s[2:3], s[2:3], 15
	v_or_b32_e32 v3, v18, v19
	s_add_u32 s6, s18, s2
	v_lshlrev_b32_e32 v3, 1, v3
	v_lshlrev_b32_e32 v2, 8, v2
	s_addc_u32 s7, s19, s3
	s_lshl_b64 s[2:3], s[38:39], 8
	ds_write2st64_b64 v3, v[8:9], v[4:5] offset0:80 offset1:88
	v_or_b32_e32 v3, v10, v2
	v_or_b32_e32 v2, v11, v2
	s_add_u32 s2, s6, s2
	ds_write_b64 v3, v[8:9]
	ds_write_b64 v2, v[4:5]
	v_lshrrev_b32_e32 v2, 4, v0
	s_addc_u32 s3, s7, s3
	v_lshlrev_b32_e32 v3, 1, v74
	v_lshlrev_b32_e32 v10, 4, v74
	v_mov_b32_e32 v11, 0
	v_or_b32_e32 v4, 1, v3
	v_xor_b32_e32 v3, v2, v3
	v_lshl_add_u64 v[12:13], s[2:3], 0, v[10:11]
	v_lshlrev_b32_e32 v10, 8, v2
	v_xor_b32_e32 v6, v4, v2
	v_lshl_or_b32 v2, v3, 3, v10
	s_waitcnt lgkmcnt(0)
	s_barrier
	ds_read2st64_b64 v[2:5], v2 offset1:8
	v_lshl_or_b32 v6, v6, 3, v10
	ds_read2st64_b64 v[6:9], v6 offset1:8
	v_lshl_add_u64 v[14:15], v[12:13], 0, v[10:11]
	s_movk_i32 s2, 0x1000
	s_waitcnt lgkmcnt(1)
	v_mov_b32_e32 v10, v2
	v_add_co_u32_e32 v2, vcc, s2, v14
	s_cmp_lg_u32 s27, 64
	v_mov_b32_e32 v11, v3
	v_addc_co_u32_e32 v3, vcc, 0, v15, vcc
	s_cselect_b64 s[6:7], -1, 0
	v_lshl_or_b32 v23, v72, 3, v76
	s_waitcnt lgkmcnt(0)
	v_mov_b32_e32 v12, v6
	v_mov_b32_e32 v13, v7
	;; [unrolled: 1-line block ×4, first 2 shown]
	s_mov_b32 s16, 0
	v_or_b32_e32 v20, 32, v23
	v_and_b32_e32 v18, 56, v75
	s_and_b64 vcc, exec, s[6:7]
	global_store_dwordx4 v[14:15], v[10:13], off
	global_store_dwordx4 v[2:3], v[6:9], off
	s_cbranch_vccz .LBB411_15
; %bb.10:
	s_mov_b32 s17, s16
	s_mov_b32 s18, s16
	s_mov_b32 s19, s16
	v_mov_b64_e32 v[6:7], s[16:17]
	v_mov_b64_e32 v[8:9], s[18:19]
	;; [unrolled: 1-line block ×3, first 2 shown]
	v_cmp_gt_i32_e32 vcc, s27, v23
	v_mov_b64_e32 v[4:5], v[8:9]
	s_and_saveexec_b64 s[2:3], vcc
	s_cbranch_execz .LBB411_12
; %bb.11:
	v_lshlrev_b32_e32 v2, 8, v23
	v_mov_b32_e32 v3, 0
	v_lshl_add_u64 v[4:5], s[0:1], 0, v[2:3]
	v_lshlrev_b32_e32 v2, 1, v18
	v_lshl_add_u64 v[10:11], v[4:5], 0, v[2:3]
	global_load_dwordx4 v[6:9], v[10:11], off
	global_load_dwordx4 v[2:5], v[10:11], off offset:128
.LBB411_12:
	s_or_b64 exec, exec, s[2:3]
	s_mov_b32 s17, s16
	s_mov_b32 s18, s16
	;; [unrolled: 1-line block ×3, first 2 shown]
	v_mov_b64_e32 v[14:15], s[16:17]
	v_mov_b64_e32 v[16:17], s[18:19]
	;; [unrolled: 1-line block ×3, first 2 shown]
	v_cmp_gt_i32_e32 vcc, s27, v20
	v_lshlrev_b32_e32 v21, 7, v20
	v_mov_b64_e32 v[12:13], v[16:17]
	s_and_saveexec_b64 s[2:3], vcc
	s_cbranch_execz .LBB411_14
; %bb.13:
	v_lshlrev_b32_e32 v10, 1, v21
	v_mov_b32_e32 v11, 0
	v_lshl_add_u64 v[12:13], s[0:1], 0, v[10:11]
	v_lshlrev_b32_e32 v10, 1, v18
	v_lshl_add_u64 v[24:25], v[12:13], 0, v[10:11]
	global_load_dwordx4 v[14:17], v[24:25], off
	global_load_dwordx4 v[10:13], v[24:25], off offset:128
.LBB411_14:
	s_or_b64 exec, exec, s[2:3]
	v_lshrrev_b32_e32 v24, 3, v18
	v_lshlrev_b32_e32 v25, 3, v23
	v_or_b32_e32 v24, v25, v24
	v_lshlrev_b32_e32 v24, 4, v24
	v_and_b32_e32 v25, 0x78, v25
	v_xor_b32_e32 v24, v24, v25
	s_branch .LBB411_17
.LBB411_15:
                                        ; implicit-def: $vgpr24
                                        ; implicit-def: $vgpr21
                                        ; implicit-def: $vgpr6_vgpr7_vgpr8_vgpr9
                                        ; implicit-def: $vgpr2_vgpr3_vgpr4_vgpr5
                                        ; implicit-def: $vgpr14_vgpr15_vgpr16_vgpr17
                                        ; implicit-def: $vgpr10_vgpr11_vgpr12_vgpr13
	s_cbranch_execz .LBB411_17
; %bb.16:
	s_waitcnt vmcnt(0)
	v_lshlrev_b32_e32 v2, 1, v18
	v_lshl_or_b32 v21, v23, 8, v2
	s_and_b32 s1, s1, 0xffff
	s_mov_b32 s3, 0x20000
	s_movk_i32 s2, 0x4000
	v_lshl_or_b32 v24, v20, 8, v2
	s_movk_i32 s13, 0x80
	buffer_load_dwordx4 v[6:9], v21, s[0:3], 0 offen
	buffer_load_dwordx4 v[2:5], v21, s[0:3], s13 offen
	;; [unrolled: 1-line block ×4, first 2 shown]
	v_lshrrev_b32_e32 v21, 3, v18
	v_lshlrev_b32_e32 v24, 3, v23
	v_or_b32_e32 v21, v24, v21
	v_lshlrev_b32_e32 v21, 4, v21
	v_and_b32_e32 v24, 0x78, v24
	v_xor_b32_e32 v24, v21, v24
	v_lshlrev_b32_e32 v21, 7, v20
.LBB411_17:
	s_lshl_b64 s[0:1], s[24:25], 8
	s_add_u32 s4, s4, s0
	s_movk_i32 s0, 0x1000
	v_and_or_b32 v20, v21, s0, v24
	s_waitcnt vmcnt(1)
	ds_write_b64 v24, v[6:7] offset:24576
	v_xor_b32_e32 v6, 8, v24
	ds_write_b64 v6, v[8:9] offset:24576
	s_waitcnt vmcnt(0)
	ds_write_b64 v24, v[2:3] offset:32768
	ds_write_b64 v6, v[4:5] offset:32768
	;; [unrolled: 1-line block ×3, first 2 shown]
	v_xor_b32_e32 v2, 8, v20
	ds_write_b64 v2, v[16:17] offset:24576
	ds_write_b64 v20, v[10:11] offset:32768
	;; [unrolled: 1-line block ×3, first 2 shown]
	v_or_b32_e32 v2, v1, v74
	v_lshlrev_b32_e32 v3, 11, v72
	v_lshlrev_b32_e32 v2, 3, v2
	v_and_b32_e32 v6, 0x1000, v3
	v_lshrrev_b32_e32 v3, 5, v61
	s_movk_i32 s3, 0xf8
	v_and_or_b32 v3, v2, s3, v3
	v_lshlrev_b32_e32 v7, 4, v3
	v_and_b32_e32 v8, 0x78, v2
	v_or_b32_e32 v10, 32, v7
	v_lshrrev_b32_e32 v3, 1, v61
	v_xor_b32_e32 v10, v10, v8
	v_xor_b32_e32 v2, v7, v8
	v_and_b32_e32 v9, 8, v3
	v_or_b32_e32 v10, v10, v6
	v_or_b32_e32 v2, v2, v6
	v_xor_b32_e32 v26, v10, v9
	v_or_b32_e32 v10, 64, v7
	v_xor_b32_e32 v25, v2, v9
	v_xor_b32_e32 v10, v10, v8
	s_waitcnt lgkmcnt(0)
	s_barrier
	v_or_b32_e32 v12, v10, v6
	ds_read_b64 v[10:11], v25 offset:24576
	v_lshl_or_b32 v20, v73, 7, v22
	v_lshlrev_b32_e32 v24, 1, v20
	v_add_u32_e32 v2, 0xa000, v24
	ds_read2_b64 v[2:5], v2 offset1:16
	v_or_b32_e32 v7, 0x60, v7
	v_xor_b32_e32 v7, v7, v8
	s_waitcnt lgkmcnt(0)
	v_mfma_f32_16x16x16_bf16 a[0:3], v[10:11], v[2:3], 0
	v_or_b32_e32 v2, 64, v20
	v_or_b32_e32 v6, v7, v6
	v_lshlrev_b32_e32 v29, 1, v2
	v_xor_b32_e32 v27, v12, v9
	v_xor_b32_e32 v28, v6, v9
	ds_read_b64 v[12:13], v26 offset:24576
	ds_read_b64 v[14:15], v27 offset:24576
	;; [unrolled: 1-line block ×3, first 2 shown]
	v_mfma_f32_16x16x16_bf16 a[4:7], v[10:11], v[4:5], 0
	ds_read2st64_b64 v[2:5], v29 offset0:82 offset1:84
	ds_read2st64_b64 v[6:9], v24 offset0:82 offset1:84
	s_addc_u32 s5, s5, s1
	s_add_i32 s1, s46, s33
	s_add_i32 s0, s12, -1
	s_add_i32 s35, s1, s47
	s_add_i32 s1, s48, s41
	;; [unrolled: 1-line block ×3, first 2 shown]
	s_ashr_i32 s1, s0, 31
	s_mul_i32 s2, s0, s31
	s_mul_hi_u32 s3, s0, s30
	s_add_i32 s2, s3, s2
	s_mul_i32 s1, s1, s30
	s_waitcnt lgkmcnt(1)
	v_mfma_f32_16x16x16_bf16 a[4:7], v[12:13], v[2:3], a[4:7]
	s_add_i32 s1, s2, s1
	s_lshl_b64 s[2:3], s[34:35], 2
	s_add_u32 s10, s10, s2
	s_waitcnt lgkmcnt(0)
	v_mfma_f32_16x16x16_bf16 a[0:3], v[12:13], v[6:7], a[0:3]
	s_addc_u32 s11, s11, s3
	s_lshl_b64 s[2:3], s[36:37], 2
	s_mul_i32 s0, s0, s30
	s_add_u32 s10, s10, s2
	ds_read_b64 v[2:3], v24 offset:44032
	v_mfma_f32_16x16x16_bf16 a[4:7], v[14:15], v[4:5], a[4:7]
	ds_read_b64 v[4:5], v29 offset:44032
	s_addc_u32 s11, s11, s3
	s_lshl_b64 s[0:1], s[0:1], 2
	v_mfma_f32_16x16x16_bf16 a[0:3], v[14:15], v[8:9], a[0:3]
	s_add_u32 s0, s10, s0
	s_addc_u32 s1, s11, s1
	s_load_dword s12, s[0:1], 0x0
	s_waitcnt lgkmcnt(0)
	v_mfma_f32_16x16x16_bf16 a[0:3], v[16:17], v[2:3], a[0:3]
	s_and_b64 vcc, exec, s[22:23]
	v_mfma_f32_16x16x16_bf16 a[4:7], v[16:17], v[4:5], a[4:7]
	s_cbranch_vccz .LBB411_28
; %bb.18:
	v_lshlrev_b32_e32 v20, 1, v23
	s_and_b64 vcc, exec, s[6:7]
	s_cbranch_vccz .LBB411_44
; %bb.19:
	v_cmp_gt_i32_e32 vcc, s27, v20
	v_mov_b32_e32 v6, 0
	v_mov_b32_e32 v2, 0
	;; [unrolled: 1-line block ×5, first 2 shown]
	s_and_saveexec_b64 s[0:1], vcc
	s_cbranch_execz .LBB411_21
; %bb.20:
	v_mad_i64_i32 v[2:3], s[2:3], s15, v20, 0
	v_lshl_add_u64 v[2:3], v[2:3], 1, s[4:5]
	v_lshlrev_b32_e32 v4, 1, v18
	v_mov_b32_e32 v5, 0
	v_lshl_add_u64 v[2:3], v[2:3], 0, v[4:5]
	global_load_dwordx4 v[2:5], v[2:3], off
.LBB411_21:
	s_or_b64 exec, exec, s[0:1]
	v_or_b32_e32 v21, 1, v20
	v_cmp_gt_i32_e64 s[0:1], s27, v21
	v_mov_b32_e32 v7, 0
	v_mov_b32_e32 v8, 0
	;; [unrolled: 1-line block ×3, first 2 shown]
	s_and_saveexec_b64 s[2:3], s[0:1]
	s_cbranch_execz .LBB411_23
; %bb.22:
	v_mad_i64_i32 v[6:7], s[16:17], s15, v21, 0
	v_lshl_add_u64 v[6:7], v[6:7], 1, s[4:5]
	v_lshlrev_b32_e32 v8, 1, v18
	v_mov_b32_e32 v9, 0
	v_lshl_add_u64 v[6:7], v[6:7], 0, v[8:9]
	global_load_dwordx4 v[6:9], v[6:7], off
.LBB411_23:
	s_or_b64 exec, exec, s[2:3]
	v_mov_b32_e32 v17, 0
	v_mov_b32_e32 v10, 0
	;; [unrolled: 1-line block ×5, first 2 shown]
	s_and_saveexec_b64 s[2:3], vcc
	s_cbranch_execz .LBB411_25
; %bb.24:
	v_mad_i64_i32 v[10:11], s[16:17], s15, v20, 0
	v_lshl_add_u64 v[10:11], v[10:11], 1, s[4:5]
	v_lshlrev_b32_e32 v12, 1, v18
	v_mov_b32_e32 v13, 0
	v_lshl_add_u64 v[10:11], v[10:11], 0, v[12:13]
	global_load_dwordx4 v[10:13], v[10:11], off offset:128
.LBB411_25:
	s_or_b64 exec, exec, s[2:3]
	v_mov_b32_e32 v16, 0
	v_mov_b32_e32 v15, 0
	v_mov_b32_e32 v14, 0
	s_and_saveexec_b64 s[2:3], s[0:1]
	s_cbranch_execz .LBB411_27
; %bb.26:
	v_mad_i64_i32 v[14:15], s[0:1], s15, v21, 0
	v_lshl_add_u64 v[14:15], v[14:15], 1, s[4:5]
	v_lshlrev_b32_e32 v16, 1, v18
	v_mov_b32_e32 v17, 0
	v_lshl_add_u64 v[14:15], v[14:15], 0, v[16:17]
	global_load_dwordx4 v[14:17], v[14:15], off offset:128
.LBB411_27:
	s_or_b64 exec, exec, s[2:3]
	s_branch .LBB411_46
.LBB411_28:
                                        ; implicit-def: $vgpr5
                                        ; implicit-def: $vgpr9
                                        ; implicit-def: $vgpr13
                                        ; implicit-def: $vgpr17
	v_lshrrev_b32_e32 v30, 2, v61
	s_branch .LBB411_47
.LBB411_29:
                                        ; implicit-def: $vgpr20
                                        ; implicit-def: $vgpr21
                                        ; implicit-def: $sgpr22
	s_load_dwordx2 s[42:43], s[0:1], 0x20
	v_lshl_or_b32 v18, v79, 9, v18
.LBB411_30:
	v_or_b32_e32 v20, 0x100, v18
	s_movk_i32 s22, 0x4000
	v_mov_b32_e32 v21, v18
.LBB411_31:
	s_mul_hi_u32 s0, s14, s12
	s_mul_i32 s1, s55, s12
	s_add_i32 s0, s0, s1
	s_mul_i32 s1, s14, s12
	s_mul_i32 s20, s1, s24
	s_mul_hi_u32 s21, s1, s52
	s_add_i32 s20, s21, s20
	s_mul_i32 s0, s0, s52
	s_add_i32 s20, s20, s0
	s_mul_i32 s1, s1, s52
	s_ashr_i32 s61, s56, 31
	s_add_u32 s0, s1, s56
	s_addc_u32 s1, s20, s61
	s_lshl_b64 s[0:1], s[0:1], 8
	s_add_u32 s20, s4, s0
	s_addc_u32 s0, s5, s1
	s_and_b32 s21, s0, 0xffff
	s_movk_i32 s62, 0x80
	buffer_load_dwordx4 v[22:25], v21, s[20:23], 0 offen
	buffer_load_dwordx4 v[26:29], v21, s[20:23], s62 offen
	;; [unrolled: 1-line block ×4, first 2 shown]
	v_and_b32_e32 v20, 6, v0
	v_lshlrev_b32_e32 v39, 6, v77
	v_or_b32_e32 v41, 16, v74
	v_xor_b32_e32 v42, v79, v20
	v_and_b32_e32 v21, 1, v0
	v_lshl_or_b32 v45, v74, 3, v39
	v_lshl_or_b32 v39, v41, 3, v39
	v_lshlrev_b32_e32 v42, 2, v42
	s_mul_i32 s24, s24, s12
	s_mul_hi_u32 s0, s52, s12
	v_lshlrev_b32_e32 v38, 2, v74
	v_or_b32_e32 v87, 0xa000, v39
	v_or_b32_e32 v88, 0xb000, v39
	v_xor_b32_e32 v39, 0x440, v42
	v_cmp_eq_u32_e32 vcc, 0, v21
	v_xor_b32_e32 v43, v77, v38
	v_xor_b32_e32 v44, v78, v38
	v_cndmask_b32_e32 v21, v39, v42, vcc
	s_add_i32 s67, s0, s24
	s_add_i32 s0, s46, s33
	s_mov_b32 s65, 0x1000504
	v_lshlrev_b32_e32 v40, 8, v74
	v_lshlrev_b32_e32 v43, 1, v43
	;; [unrolled: 1-line block ×3, first 2 shown]
	v_lshl_or_b32 v20, v20, 10, v21
	s_add_i32 s35, s0, s47
	s_add_i32 s0, s48, s41
	s_mov_b32 s66, 0x3020706
	v_or_b32_e32 v85, 0xa000, v45
	v_or_b32_e32 v86, 0xb000, v45
	;; [unrolled: 1-line block ×4, first 2 shown]
	v_xor_b32_e32 v21, 8, v20
	v_xor_b32_e32 v40, 24, v20
	v_xor_b32_e32 v45, 40, v20
	v_xor_b32_e32 v47, 56, v20
	s_add_i32 s37, s0, s49
	s_lshl_b64 s[0:1], s[34:35], 2
	v_xor_b32_e32 v39, 16, v20
	v_xor_b32_e32 v42, 32, v20
	;; [unrolled: 1-line block ×3, first 2 shown]
	v_add_u32_e32 v21, 0x80, v21
	v_add_u32_e32 v40, 0x80, v40
	;; [unrolled: 1-line block ×4, first 2 shown]
	s_add_u32 s20, s10, s0
	s_addc_u32 s21, s11, s1
	s_lshl_b64 s[0:1], s[36:37], 2
	s_add_u32 s44, s20, s0
	s_movk_i32 s0, 0xf8
	s_addc_u32 s45, s21, s1
	s_ashr_i32 s39, s38, 31
	s_lshl_b32 s26, s15, 7
	s_movk_i32 s20, 0x100
	v_mov_b32_e32 v65, 0
	v_lshlrev_b32_e32 v64, 4, v74
	v_cmp_gt_u32_e32 vcc, s20, v0
	v_ashrrev_i32_e32 v63, 31, v62
	s_mul_i32 s63, s52, s12
	s_mov_b32 s64, 0
	s_movk_i32 s35, 0x1000
	s_movk_i32 s22, 0x4000
	s_mov_b32 s69, 0
	s_waitcnt vmcnt(1)
	v_perm_b32 v48, v22, v30, s65
	s_waitcnt vmcnt(0)
	v_perm_b32 v49, v26, v34, s65
	v_perm_b32 v22, v22, v30, s66
	;; [unrolled: 1-line block ×15, first 2 shown]
	ds_write2st64_b32 v20, v48, v49 offset0:32 offset1:64
	ds_write2st64_b32 v21, v22, v26 offset0:32 offset1:64
	;; [unrolled: 1-line block ×8, first 2 shown]
	v_lshlrev_b32_e32 v20, 8, v41
	v_or_b32_e32 v91, v20, v43
	v_or_b32_e32 v92, v20, v44
	v_or_b32_e32 v20, v1, v74
	v_lshlrev_b32_e32 v20, 3, v20
	v_lshrrev_b32_e32 v23, 5, v61
	v_and_or_b32 v23, v20, s0, v23
	v_lshlrev_b32_e32 v23, 4, v23
	v_lshlrev_b32_e32 v25, 11, v72
	v_and_b32_e32 v20, 0x78, v20
	v_or_b32_e32 v28, 32, v23
	v_and_b32_e32 v22, 0x1000, v25
	v_lshrrev_b32_e32 v26, 1, v61
	v_xor_b32_e32 v28, v28, v20
	v_xor_b32_e32 v24, v23, v20
	v_and_b32_e32 v26, 8, v26
	v_or_b32_e32 v28, v28, v22
	v_or_b32_e32 v24, v24, v22
	v_lshlrev_b32_e32 v27, 7, v73
	v_xor_b32_e32 v95, v28, v26
	v_or_b32_e32 v28, 64, v23
	v_or_b32_e32 v23, 0x60, v23
	v_xor_b32_e32 v93, v24, v26
	v_or_b32_e32 v24, v27, v38
	v_xor_b32_e32 v28, v28, v20
	v_xor_b32_e32 v20, v23, v20
	s_lshl_b64 s[0:1], s[38:39], 8
	v_lshlrev_b32_e32 v24, 1, v24
	v_or_b32_e32 v28, v28, v22
	v_or_b32_e32 v20, v20, v22
	s_add_u32 s0, s18, s0
	v_lshlrev_b32_e32 v22, 1, v74
	v_or_b32_e32 v94, 0xa000, v24
	v_or_b32_e32 v96, 0xa080, v24
	;; [unrolled: 1-line block ×4, first 2 shown]
	v_lshrrev_b32_e32 v24, 4, v0
	s_addc_u32 s1, s19, s1
	v_or_b32_e32 v23, 1, v22
	v_mov_b32_e32 v33, 0x4000
	v_mov_b32_e32 v34, 0x2000
	v_lshrrev_b32_e32 v35, 1, v0
	v_xor_b32_e32 v97, v28, v26
	v_xor_b32_e32 v98, v20, v26
	;; [unrolled: 1-line block ×4, first 2 shown]
	v_lshl_add_u64 v[22:23], s[0:1], 0, v[64:65]
	v_lshlrev_b32_e32 v64, 8, v24
	v_cndmask_b32_e32 v33, v33, v34, vcc
	v_lshlrev_b32_e32 v34, 3, v72
	v_and_b32_e32 v35, 24, v35
	v_lshl_or_b32 v101, v26, 3, v64
	v_and_b32_e32 v26, 8, v0
	v_xor_b32_e32 v36, v34, v35
	v_or_b32_e32 v37, 0x440, v36
	v_cmp_eq_u32_e32 vcc, 0, v26
	v_and_b32_e32 v24, 7, v0
	v_lshl_or_b32 v102, v30, 3, v64
	v_cndmask_b32_e32 v26, v37, v36, vcc
	v_lshlrev_b32_e32 v30, 3, v24
	v_lshlrev_b32_e32 v32, 2, v0
	v_or_b32_e32 v26, v26, v25
	v_xor_b32_e32 v36, v26, v30
	v_and_or_b32 v26, v32, 60, v27
	v_mov_b32_e32 v27, 0xb000
	v_lshl_or_b32 v103, v26, 1, v27
	v_or_b32_e32 v26, 32, v35
	v_xor_b32_e32 v26, v34, v26
	v_or_b32_e32 v27, 0x440, v26
	v_cndmask_b32_e32 v26, v27, v26, vcc
	v_or_b32_e32 v26, v26, v25
	v_xor_b32_e32 v27, v26, v30
	v_or_b32_e32 v26, 64, v35
	v_xor_b32_e32 v26, v34, v26
	v_xor_b32_e32 v38, 0x440, v26
	v_cndmask_b32_e32 v26, v38, v26, vcc
	v_or_b32_e32 v26, v26, v25
	v_xor_b32_e32 v38, v26, v30
	v_or_b32_e32 v26, 0x60, v35
	v_xor_b32_e32 v26, v34, v26
	v_xor_b32_e32 v34, 0x440, v26
	v_cndmask_b32_e32 v26, v34, v26, vcc
	v_lshrrev_b32_e32 v21, 2, v61
	v_or_b32_e32 v25, v26, v25
	v_and_b32_e32 v21, 12, v21
	v_lshlrev_b32_e32 v28, 1, v19
	v_add_lshl_u32 v19, v19, s15, 1
	v_or_b32_e32 v29, 0x100, v18
	v_xor_b32_e32 v25, v25, v30
	v_lshlrev_b32_e32 v20, 7, v77
	v_lshlrev_b32_e32 v31, 7, v24
	v_or_b32_e32 v24, v21, v1
	v_add_u32_e32 v37, v33, v36
	v_add_u32_e32 v32, v33, v27
	;; [unrolled: 1-line block ×4, first 2 shown]
	v_or3_b32 v26, v1, v21, 64
	v_add_u32_e32 v21, 0x4000, v36
	v_add_u32_e32 v27, 0x4000, v27
	;; [unrolled: 1-line block ×4, first 2 shown]
	v_cndmask_b32_e64 v104, v28, v18, s[2:3]
	v_cndmask_b32_e64 v105, v19, v29, s[2:3]
	v_lshlrev_b64 v[18:19], 1, v[62:63]
	v_lshl_add_u64 v[66:67], s[8:9], 0, v[18:19]
	v_lshl_add_u64 v[68:69], s[28:29], 0, v[18:19]
	;; [unrolled: 1-line block ×3, first 2 shown]
	s_add_i32 s37, s63, 63
	s_mov_b32 s39, 0x7060302
	v_lshlrev_b32_e32 v64, 1, v20
	v_lshlrev_b32_e32 v63, 2, v24
	v_add_u32_e32 v106, v37, v31
	v_add_u32_e32 v107, v32, v31
	;; [unrolled: 1-line block ×4, first 2 shown]
	v_lshlrev_b32_e32 v110, 2, v26
	v_add_u32_e32 v111, v21, v31
	v_add_u32_e32 v112, v27, v31
	;; [unrolled: 1-line block ×4, first 2 shown]
	s_waitcnt lgkmcnt(0)
	s_barrier
.LBB411_32:                             ; =>This Inner Loop Header: Depth=1
	s_add_i32 s68, s69, 1
	s_cmp_lt_i32 s68, s53
	s_mov_b64 s[24:25], 0
	s_cselect_b64 s[2:3], -1, 0
	s_cmp_ge_i32 s68, s53
	s_mov_b64 s[20:21], 0
	s_cbranch_scc1 .LBB411_34
; %bb.33:                               ;   in Loop: Header=BB411_32 Depth=1
	s_add_i32 s0, s64, 64
	s_add_u32 s0, s16, s0
	s_addc_u32 s1, s17, 0
	s_lshl_b64 s[0:1], s[0:1], 8
	s_add_u32 s20, s6, s0
	s_addc_u32 s21, s7, s1
.LBB411_34:                             ;   in Loop: Header=BB411_32 Depth=1
	v_cndmask_b32_e64 v18, 0, 1, s[2:3]
	v_cmp_ne_u32_e64 s[0:1], 1, v18
	s_andn2_b64 vcc, exec, s[2:3]
	s_cbranch_vccnz .LBB411_36
; %bb.35:                               ;   in Loop: Header=BB411_32 Depth=1
	s_add_i32 s2, s64, 64
	s_add_u32 s2, s63, s2
	s_addc_u32 s3, s67, 0
	s_mul_i32 s24, s2, s55
	s_mul_hi_u32 s25, s2, s60
	s_add_i32 s24, s25, s24
	s_mul_i32 s3, s3, s60
	s_add_i32 s24, s24, s3
	s_mul_i32 s2, s2, s60
	s_add_u32 s2, s2, s56
	s_addc_u32 s3, s24, s61
	s_lshl_b64 s[2:3], s[2:3], 8
	s_add_u32 s24, s4, s2
	s_addc_u32 s25, s5, s3
.LBB411_36:                             ;   in Loop: Header=BB411_32 Depth=1
	v_perm_b32 v19, v17, v16, s39
	v_perm_b32 v18, v15, v14, s39
	;; [unrolled: 1-line block ×4, first 2 shown]
	ds_write_b64 v85, v[18:19]
	ds_write_b64 v86, v[20:21]
	;; [unrolled: 1-line block ×4, first 2 shown]
	v_perm_b32 v19, v9, v8, s39
	v_perm_b32 v18, v7, v6, s39
	;; [unrolled: 1-line block ×4, first 2 shown]
	ds_write_b64 v87, v[18:19]
	ds_write_b64 v88, v[20:21]
	;; [unrolled: 1-line block ×4, first 2 shown]
	s_waitcnt lgkmcnt(0)
	s_barrier
	ds_read_b64 v[22:23], v93 offset:24576
	ds_read2_b64 v[18:21], v94 offset1:16
	ds_read_b64 v[26:27], v96 offset:3072
	ds_read_b64 v[28:29], v94 offset:3072
	;; [unrolled: 1-line block ×3, first 2 shown]
	s_waitcnt lgkmcnt(3)
	v_mfma_f32_16x16x16_bf16 a[0:3], v[22:23], v[18:19], 0
	s_add_i32 s2, s64, 63
	s_mul_i32 s3, s2, s31
	s_mul_hi_u32 s27, s2, s30
	v_mfma_f32_16x16x16_bf16 a[4:7], v[22:23], v[20:21], 0
	ds_read2st64_b64 v[18:21], v94 offset0:2 offset1:4
	ds_read2st64_b64 v[22:25], v96 offset0:2 offset1:4
	s_add_i32 s3, s27, s3
	s_waitcnt lgkmcnt(1)
	v_mfma_f32_16x16x16_bf16 a[0:3], v[30:31], v[18:19], a[0:3]
	s_mul_i32 s2, s2, s30
	s_lshl_b64 s[2:3], s[2:3], 2
	s_add_u32 s2, s44, s2
	s_waitcnt lgkmcnt(0)
	v_mfma_f32_16x16x16_bf16 a[4:7], v[30:31], v[22:23], a[4:7]
	ds_read_b64 v[18:19], v97 offset:24576
	ds_read_b64 v[22:23], v98 offset:24576
	s_addc_u32 s3, s45, s3
	s_and_b64 vcc, exec, s[0:1]
	s_waitcnt lgkmcnt(1)
	v_mfma_f32_16x16x16_bf16 a[0:3], v[18:19], v[20:21], a[0:3]
	v_mov_b32_e32 v117, 0
	v_mov_b32_e32 v116, 0
	;; [unrolled: 1-line block ×3, first 2 shown]
	v_mfma_f32_16x16x16_bf16 a[8:11], v[18:19], v[24:25], a[4:7]
	v_mov_b32_e32 v18, 0
	v_mov_b32_e32 v19, 0
	;; [unrolled: 1-line block ×3, first 2 shown]
	s_waitcnt lgkmcnt(0)
	v_mfma_f32_16x16x16_bf16 a[4:7], v[22:23], v[28:29], a[0:3]
	v_mov_b32_e32 v21, 0
	v_mov_b32_e32 v24, 0
	;; [unrolled: 1-line block ×3, first 2 shown]
	v_mfma_f32_16x16x16_bf16 a[0:3], v[22:23], v[26:27], a[8:11]
	v_mov_b32_e32 v22, 0
	v_mov_b32_e32 v23, 0
	;; [unrolled: 1-line block ×10, first 2 shown]
	s_cbranch_vccnz .LBB411_38
; %bb.37:                               ;   in Loop: Header=BB411_32 Depth=1
	s_and_b32 s21, s21, 0xffff
	buffer_load_dwordx4 v[30:33], v81, s[20:23], 0 offen
	buffer_load_dwordx4 v[26:29], v81, s[20:23], s62 offen
	;; [unrolled: 1-line block ×4, first 2 shown]
	v_mov_b32_e32 v116, v83
	v_mov_b32_e32 v115, v84
.LBB411_38:                             ;   in Loop: Header=BB411_32 Depth=1
	ds_read_b64 v[42:43], v93 offset:32768
	ds_read2_b64 v[34:37], v99 offset1:16
	ds_read_b64 v[44:45], v95 offset:32768
	ds_read_b64 v[46:47], v97 offset:32768
	;; [unrolled: 1-line block ×3, first 2 shown]
	ds_read2st64_b64 v[38:41], v99 offset0:2 offset1:4
	v_add_u32_e32 v50, s64, v77
	s_waitcnt lgkmcnt(4)
	v_mfma_f32_16x16x16_bf16 a[4:7], v[42:43], v[34:35], a[4:7]
	v_ashrrev_i32_e32 v34, 31, v50
	v_mfma_f32_16x16x16_bf16 a[0:3], v[42:43], v[36:37], a[0:3]
	v_mul_lo_u32 v36, v50, s31
	v_mul_lo_u32 v37, v34, s30
	v_mad_u64_u32 v[34:35], s[20:21], v50, s30, 0
	v_add3_u32 v35, v35, v36, v37
	v_add_u32_e32 v36, 1, v50
	v_ashrrev_i32_e32 v37, 31, v36
	s_waitcnt lgkmcnt(0)
	v_mfma_f32_16x16x16_bf16 a[4:7], v[44:45], v[38:39], a[4:7]
	v_mul_lo_u32 v38, v37, s30
	v_mul_lo_u32 v39, v36, s31
	v_mad_u64_u32 v[36:37], s[20:21], v36, s30, 0
	v_add3_u32 v37, v37, v39, v38
	v_add_u32_e32 v38, 2, v50
	v_ashrrev_i32_e32 v39, 31, v38
	v_mul_lo_u32 v42, v39, s30
	v_mul_lo_u32 v43, v38, s31
	v_mad_u64_u32 v[38:39], s[20:21], v38, s30, 0
	v_add3_u32 v39, v39, v43, v42
	v_add_u32_e32 v42, 3, v50
	v_ashrrev_i32_e32 v43, 31, v42
	v_mul_lo_u32 v50, v43, s30
	v_mul_lo_u32 v51, v42, s31
	v_mad_u64_u32 v[42:43], s[20:21], v42, s30, 0
	s_add_u32 s20, s16, s64
	s_addc_u32 s21, s17, 0
	s_lshl_b64 s[20:21], s[20:21], 8
	v_lshl_add_u64 v[34:35], v[34:35], 2, s[44:45]
	v_add3_u32 v43, v43, v51, v50
	v_lshl_add_u64 v[50:51], v[66:67], 0, s[20:21]
	v_lshl_add_u64 v[36:37], v[36:37], 2, s[44:45]
	;; [unrolled: 1-line block ×3, first 2 shown]
	global_load_dword v52, v[34:35], off
	global_load_ushort v53, v[50:51], off offset:256
	global_load_ushort v54, v[50:51], off
	global_load_ushort v55, v[50:51], off offset:768
	v_lshl_add_u64 v[34:35], v[42:43], 2, s[44:45]
	v_lshl_add_u64 v[38:39], v[38:39], 2, s[44:45]
	global_load_dword v56, v[36:37], off
	global_load_dword v57, v[38:39], off
	;; [unrolled: 1-line block ×3, first 2 shown]
	ds_read2st64_b64 v[34:37], v100 offset0:2 offset1:4
	s_waitcnt lgkmcnt(0)
	v_mfma_f32_16x16x16_bf16 a[0:3], v[44:45], v[34:35], a[0:3]
	global_load_ushort v44, v[50:51], off offset:512
	global_load_ushort v59, v[50:51], off offset:800
	;; [unrolled: 1-line block ×4, first 2 shown]
	s_nop 0
	global_load_ushort v50, v[50:51], off offset:32
	s_and_b64 vcc, exec, s[0:1]
	v_mfma_f32_16x16x16_bf16 a[4:7], v[46:47], v[40:41], a[4:7]
	s_waitcnt vmcnt(10)
	v_lshlrev_b32_e32 v43, 16, v53
	v_mfma_f32_16x16x16_bf16 a[0:3], v[46:47], v[36:37], a[0:3]
	ds_read_b64 v[34:35], v99 offset:3072
	ds_read_b64 v[36:37], v100 offset:3072
	s_load_dword s2, s[2:3], 0x0
	s_waitcnt vmcnt(9)
	v_lshlrev_b32_e32 v42, 16, v54
	s_waitcnt lgkmcnt(0)
	v_mfma_f32_16x16x16_bf16 a[4:7], v[48:49], v[34:35], a[4:7]
	v_lshl_add_u64 v[34:35], v[68:69], 0, s[20:21]
	v_sub_f32_e32 v46, s2, v52
	s_waitcnt vmcnt(7)
	v_sub_f32_e32 v47, s2, v56
	v_mfma_f32_16x16x16_bf16 a[0:3], v[48:49], v[36:37], a[0:3]
	s_waitcnt vmcnt(6)
	v_sub_f32_e32 v48, s2, v57
	s_waitcnt vmcnt(5)
	v_sub_f32_e32 v49, s2, v58
	v_accvgpr_read_b32 v41, a5
	v_accvgpr_read_b32 v40, a4
	v_exp_f32_e32 v46, v46
	v_pk_add_f32 v[40:41], v[42:43], v[40:41] neg_lo:[0,1] neg_hi:[0,1]
	v_exp_f32_e32 v47, v47
	v_exp_f32_e32 v42, v48
	;; [unrolled: 1-line block ×3, first 2 shown]
	v_accvgpr_read_b32 v37, a7
	v_accvgpr_read_b32 v36, a6
	v_lshlrev_b32_e32 v45, 16, v55
	s_waitcnt vmcnt(4)
	v_lshlrev_b32_e32 v44, 16, v44
	v_lshl_add_u64 v[34:35], v[34:35], 0, v[64:65]
	v_pk_add_f32 v[36:37], v[44:45], v[36:37] neg_lo:[0,1] neg_hi:[0,1]
	global_store_short_d16_hi v[34:35], v40, off
	global_store_short_d16_hi v[34:35], v41, off offset:256
	global_store_short_d16_hi v[34:35], v36, off offset:512
	;; [unrolled: 1-line block ×3, first 2 shown]
	v_pk_mul_f32 v[40:41], v[46:47], v[40:41]
	v_pk_mul_f32 v[36:37], v[42:43], v[36:37]
	v_accvgpr_read_b32 v45, a1
	v_perm_b32 v40, v41, v40, s39
	v_perm_b32 v41, v37, v36, s39
	s_waitcnt vmcnt(5)
	v_lshlrev_b32_e32 v37, 16, v118
	s_waitcnt vmcnt(4)
	v_lshlrev_b32_e32 v36, 16, v50
	v_accvgpr_read_b32 v44, a0
	v_accvgpr_read_b32 v39, a3
	;; [unrolled: 1-line block ×3, first 2 shown]
	v_pk_add_f32 v[36:37], v[36:37], v[44:45] neg_lo:[0,1] neg_hi:[0,1]
	v_lshlrev_b32_e32 v45, 16, v59
	v_lshlrev_b32_e32 v44, 16, v60
	v_pk_add_f32 v[38:39], v[44:45], v[38:39] neg_lo:[0,1] neg_hi:[0,1]
	global_store_short_d16_hi v[34:35], v36, off offset:32
	global_store_short_d16_hi v[34:35], v37, off offset:288
	;; [unrolled: 1-line block ×4, first 2 shown]
	v_pk_mul_f32 v[34:35], v[46:47], v[36:37]
	v_pk_mul_f32 v[36:37], v[42:43], v[38:39]
	v_mov_b32_e32 v118, 0
	v_perm_b32 v37, v37, v36, s39
	v_perm_b32 v36, v35, v34, s39
	ds_write2_b64 v86, v[40:41], v[36:37] offset1:16
	v_mov_b32_e32 v34, 0
	v_mov_b32_e32 v35, 0
	;; [unrolled: 1-line block ×16, first 2 shown]
	s_cbranch_vccnz .LBB411_40
; %bb.39:                               ;   in Loop: Header=BB411_32 Depth=1
	s_and_b32 s25, s25, 0xffff
	s_mov_b32 s27, s23
	buffer_load_dwordx4 v[46:49], v104, s[24:27], 0 offen
	buffer_load_dwordx4 v[38:41], v104, s[24:27], s62 offen
	buffer_load_dwordx4 v[42:45], v105, s[24:27], 0 offen
	buffer_load_dwordx4 v[34:37], v105, s[24:27], s62 offen
	v_mov_b32_e32 v117, v80
	v_mov_b32_e32 v118, v79
.LBB411_40:                             ;   in Loop: Header=BB411_32 Depth=1
	s_waitcnt lgkmcnt(0)
	s_barrier
	ds_read_b64 v[54:55], v106
	ds_read_b64 v[124:125], v103
	;; [unrolled: 1-line block ×5, first 2 shown]
	ds_read_b64 v[138:139], v100 offset:3072
	ds_read2_b64 v[50:53], v99 offset0:16 offset1:128
	s_waitcnt lgkmcnt(5)
	v_mfma_f32_16x16x16_bf16 a[0:3], v[54:55], v[124:125], 0
	s_add_i32 s3, s57, s69
	s_mul_hi_i32 s21, s3, s13
	s_mul_i32 s3, s3, s13
	s_waitcnt lgkmcnt(0)
	v_mfma_f32_16x16x16_bf16 a[4:7], v[54:55], v[50:51], 0
	ds_read_b64 v[54:55], v111
	ds_read2st64_b64 v[56:59], v100 offset0:2 offset1:4
	s_add_u32 s20, s3, s50
	s_addc_u32 s21, s21, s54
	s_add_i32 s3, s37, s64
	s_lshl_b64 s[20:21], s[20:21], 15
	s_mul_hi_i32 s25, s3, s13
	s_mul_i32 s3, s3, s13
	s_add_u32 s24, s3, s50
	s_waitcnt lgkmcnt(1)
	v_mfma_f32_16x16x16_bf16 a[8:11], v[54:55], v[124:125], 0
	s_addc_u32 s25, s25, s54
	ds_read2st64_b64 v[120:123], v99 offset0:4 offset1:6
	s_lshl_b64 s[24:25], s[24:25], 9
	v_mfma_f32_16x16x16_bf16 a[0:3], v[126:127], v[52:53], a[0:3]
	s_add_u32 s24, s42, s24
	s_addc_u32 s25, s43, s25
	s_waitcnt lgkmcnt(1)
	v_mfma_f32_16x16x16_bf16 a[4:7], v[126:127], v[56:57], a[4:7]
	ds_read_b64 v[126:127], v112
	ds_read_b64 v[134:135], v113
	;; [unrolled: 1-line block ×3, first 2 shown]
	v_mfma_f32_16x16x16_bf16 a[12:15], v[54:55], v[50:51], 0
	s_waitcnt lgkmcnt(2)
	v_mfma_f32_16x16x16_bf16 a[8:11], v[126:127], v[52:53], a[8:11]
	global_load_dwordx4 v[50:53], v110, s[24:25]
	v_mfma_f32_16x16x16_bf16 a[12:15], v[126:127], v[56:57], a[12:15]
	global_load_dwordx4 v[54:57], v63, s[24:25]
	ds_read2st64_b64 v[124:127], v101 offset1:8
	s_waitcnt lgkmcnt(0)
	v_mov_b32_e32 v132, v124
	v_mfma_f32_16x16x16_bf16 a[0:3], v[128:129], v[120:121], a[0:3]
	v_mov_b32_e32 v133, v125
	v_mfma_f32_16x16x16_bf16 a[4:7], v[128:129], v[58:59], a[4:7]
	ds_read2st64_b64 v[128:131], v102 offset1:8
	v_mfma_f32_16x16x16_bf16 a[8:11], v[134:135], v[120:121], a[8:11]
	v_lshl_add_u64 v[120:121], v[70:71], 0, s[20:21]
	v_mfma_f32_16x16x16_bf16 a[16:19], v[134:135], v[58:59], a[12:15]
	v_add_co_u32_e32 v58, vcc, s35, v120
	s_waitcnt lgkmcnt(0)
	v_mov_b32_e32 v134, v128
	v_mfma_f32_16x16x16_bf16 a[0:3], v[136:137], v[122:123], a[0:3]
	v_mov_b32_e32 v135, v129
	v_mov_b32_e32 v128, v126
	;; [unrolled: 1-line block ×3, first 2 shown]
	v_mfma_f32_16x16x16_bf16 a[4:7], v[136:137], v[138:139], a[4:7]
	v_addc_co_u32_e32 v59, vcc, 0, v121, vcc
	global_store_dwordx4 v[58:59], v[128:131], off
	v_mfma_f32_16x16x16_bf16 a[12:15], v[140:141], v[122:123], a[8:11]
	s_and_b64 vcc, exec, s[0:1]
	global_store_dwordx4 v[120:121], v[132:135], off
	s_waitcnt vmcnt(3)
	v_mov_b32_e32 v60, v53
	v_mfma_f32_16x16x16_bf16 a[8:11], v[140:141], v[138:139], a[16:19]
	v_mov_b32_e32 v59, v52
	v_mov_b32_e32 v58, v51
	s_cbranch_vccnz .LBB411_42
; %bb.41:                               ;   in Loop: Header=BB411_32 Depth=1
	v_lshrrev_b32_e32 v51, 3, v117
	v_and_b32_e32 v51, 6, v51
	v_xor_b32_e32 v52, v51, v118
	v_lshlrev_b32_e32 v52, 2, v52
	v_and_b32_e32 v53, 8, v117
	v_xor_b32_e32 v117, 0x440, v52
	v_cmp_eq_u32_e32 vcc, 0, v53
	v_perm_b32 v53, v38, v34, s65
	s_nop 0
	v_cndmask_b32_e32 v52, v117, v52, vcc
	v_lshl_or_b32 v51, v51, 10, v52
	v_perm_b32 v52, v46, v42, s65
	s_barrier
	ds_write2st64_b32 v51, v52, v53 offset0:32 offset1:64
	v_xor_b32_e32 v52, 8, v51
	v_perm_b32 v42, v46, v42, s66
	v_perm_b32 v34, v38, v34, s66
	v_add_u32_e32 v38, 0x80, v52
	ds_write2st64_b32 v38, v42, v34 offset0:32 offset1:64
	v_xor_b32_e32 v34, 16, v51
	v_perm_b32 v38, v47, v43, s65
	v_perm_b32 v42, v39, v35, s65
	ds_write2st64_b32 v34, v38, v42 offset0:33 offset1:65
	v_xor_b32_e32 v34, 24, v51
	v_perm_b32 v38, v47, v43, s66
	v_perm_b32 v35, v39, v35, s66
	v_add_u32_e32 v34, 0x80, v34
	ds_write2st64_b32 v34, v38, v35 offset0:33 offset1:65
	v_xor_b32_e32 v34, 32, v51
	v_perm_b32 v35, v48, v44, s65
	v_perm_b32 v38, v40, v36, s65
	;; [unrolled: 9-line block ×3, first 2 shown]
	ds_write2st64_b32 v34, v35, v36 offset0:35 offset1:67
	v_xor_b32_e32 v34, 56, v51
	v_perm_b32 v35, v49, v45, s66
	v_perm_b32 v36, v41, v37, s66
	v_add_u32_e32 v34, 0x80, v34
	ds_write2st64_b32 v34, v35, v36 offset0:35 offset1:67
	ds_write_b64 v116, v[30:31] offset:24576
	v_xor_b32_e32 v30, 8, v116
	ds_write_b64 v30, v[32:33] offset:24576
	ds_write_b64 v116, v[26:27] offset:32768
	;; [unrolled: 1-line block ×4, first 2 shown]
	v_xor_b32_e32 v22, 8, v115
	ds_write_b64 v22, v[24:25] offset:24576
	ds_write_b64 v115, v[18:19] offset:32768
	;; [unrolled: 1-line block ×3, first 2 shown]
.LBB411_42:                             ;   in Loop: Header=BB411_32 Depth=1
	v_exp_f32_e32 v34, s2
	s_waitcnt vmcnt(2)
	v_exp_f32_e32 v36, v54
	v_exp_f32_e32 v37, v55
	;; [unrolled: 1-line block ×4, first 2 shown]
	v_accvgpr_read_b32 v29, a3
	v_accvgpr_read_b32 v27, a1
	;; [unrolled: 1-line block ×4, first 2 shown]
	v_pk_mul_f32 v[36:37], v[34:35], v[36:37] op_sel_hi:[0,1]
	v_accvgpr_read_b32 v28, a2
	v_accvgpr_read_b32 v23, a5
	;; [unrolled: 1-line block ×3, first 2 shown]
	v_pk_fma_f32 v[14:15], v[14:15], v[36:37], v[26:27]
	v_pk_mul_f32 v[26:27], v[34:35], v[38:39] op_sel_hi:[0,1]
	v_pk_fma_f32 v[16:17], v[16:17], v[26:27], v[28:29]
	v_fma_f32 v6, v6, v36, v22
	v_fma_f32 v7, v7, v37, v23
	v_exp_f32_e32 v22, v50
	v_exp_f32_e32 v23, v58
	;; [unrolled: 1-line block ×4, first 2 shown]
	v_accvgpr_read_b32 v24, a6
	v_accvgpr_read_b32 v33, a15
	v_accvgpr_read_b32 v21, a11
	v_accvgpr_read_b32 v32, a14
	v_accvgpr_read_b32 v31, a13
	v_accvgpr_read_b32 v30, a12
	v_accvgpr_read_b32 v20, a10
	v_accvgpr_read_b32 v19, a9
	v_accvgpr_read_b32 v18, a8
	v_fma_f32 v8, v8, v26, v24
	v_fmac_f32_e32 v25, v9, v27
	v_pk_mul_f32 v[22:23], v[34:35], v[22:23] op_sel_hi:[0,1]
	v_pk_mul_f32 v[26:27], v[34:35], v[28:29] op_sel_hi:[0,1]
	s_add_i32 s64, s64, 64
	v_pk_fma_f32 v[10:11], v[10:11], v[22:23], v[30:31]
	v_pk_fma_f32 v[12:13], v[12:13], v[26:27], v[32:33]
	v_fma_f32 v2, v2, v22, v18
	v_fma_f32 v3, v3, v23, v19
	;; [unrolled: 1-line block ×3, first 2 shown]
	s_cmp_eq_u32 s53, s68
	v_fmac_f32_e32 v21, v5, v27
	s_cbranch_scc1 .LBB411_4
; %bb.43:                               ;   in Loop: Header=BB411_32 Depth=1
	s_mov_b32 s69, s68
	v_mov_b32_e32 v9, v25
	v_mov_b32_e32 v5, v21
	s_branch .LBB411_32
.LBB411_44:
                                        ; implicit-def: $vgpr5
                                        ; implicit-def: $vgpr9
                                        ; implicit-def: $vgpr13
                                        ; implicit-def: $vgpr17
	s_cbranch_execz .LBB411_46
; %bb.45:
	s_waitcnt vmcnt(0)
	v_mad_u64_u32 v[2:3], s[0:1], v20, s15, v[18:19]
	v_lshlrev_b32_e32 v20, 1, v2
	s_lshl_b32 s2, s15, 7
	s_and_b32 s1, s5, 0xffff
	s_mov_b32 s3, 0x20000
	s_mov_b32 s0, s4
	v_add_lshl_u32 v21, v2, s15, 1
	s_movk_i32 s13, 0x80
	buffer_load_dwordx4 v[2:5], v20, s[0:3], 0 offen
	buffer_load_dwordx4 v[10:13], v20, s[0:3], s13 offen
	;; [unrolled: 1-line block ×4, first 2 shown]
.LBB411_46:
	v_lshrrev_b32_e32 v30, 2, v61
	s_cbranch_execnz .LBB411_59
.LBB411_47:
	s_and_b64 vcc, exec, s[6:7]
	s_cbranch_vccz .LBB411_57
; %bb.48:
	s_waitcnt vmcnt(0)
	v_lshlrev_b32_e32 v7, 1, v23
	v_cmp_gt_i32_e32 vcc, s27, v7
	v_mov_b32_e32 v6, 0
	v_lshlrev_b32_e32 v14, 9, v23
	v_mov_b32_e32 v2, 0
	v_mov_b32_e32 v3, 0
	;; [unrolled: 1-line block ×4, first 2 shown]
	s_and_saveexec_b64 s[0:1], vcc
	s_cbranch_execz .LBB411_50
; %bb.49:
	v_mov_b32_e32 v15, 0
	v_lshl_add_u64 v[2:3], s[4:5], 0, v[14:15]
	v_lshlrev_b32_e32 v4, 1, v18
	v_mov_b32_e32 v5, v15
	v_lshl_add_u64 v[2:3], v[2:3], 0, v[4:5]
	global_load_dwordx4 v[2:5], v[2:3], off
.LBB411_50:
	s_or_b64 exec, exec, s[0:1]
	v_or_b32_e32 v7, 1, v7
	v_cmp_gt_i32_e64 s[0:1], s27, v7
	v_lshlrev_b32_e32 v20, 8, v7
	v_mov_b32_e32 v7, 0
	v_mov_b32_e32 v8, 0
	;; [unrolled: 1-line block ×3, first 2 shown]
	s_and_saveexec_b64 s[2:3], s[0:1]
	s_cbranch_execz .LBB411_52
; %bb.51:
	v_mov_b32_e32 v21, 0
	v_lshl_add_u64 v[6:7], s[4:5], 0, v[20:21]
	v_lshlrev_b32_e32 v8, 1, v18
	v_mov_b32_e32 v9, v21
	v_lshl_add_u64 v[6:7], v[6:7], 0, v[8:9]
	global_load_dwordx4 v[6:9], v[6:7], off
.LBB411_52:
	s_or_b64 exec, exec, s[2:3]
	v_mov_b32_e32 v17, 0
	v_mov_b32_e32 v10, 0
	;; [unrolled: 1-line block ×5, first 2 shown]
	s_and_saveexec_b64 s[2:3], vcc
	s_cbranch_execz .LBB411_54
; %bb.53:
	v_mov_b32_e32 v15, 0
	v_lshl_add_u64 v[10:11], s[4:5], 0, v[14:15]
	v_lshlrev_b32_e32 v14, 1, v18
	v_lshl_add_u64 v[10:11], v[10:11], 0, v[14:15]
	global_load_dwordx4 v[10:13], v[10:11], off offset:128
.LBB411_54:
	s_or_b64 exec, exec, s[2:3]
	v_mov_b32_e32 v16, 0
	v_mov_b32_e32 v15, 0
	;; [unrolled: 1-line block ×3, first 2 shown]
	s_and_saveexec_b64 s[2:3], s[0:1]
	s_cbranch_execz .LBB411_56
; %bb.55:
	v_mov_b32_e32 v21, 0
	v_lshl_add_u64 v[14:15], s[4:5], 0, v[20:21]
	v_lshlrev_b32_e32 v20, 1, v18
	v_lshl_add_u64 v[14:15], v[14:15], 0, v[20:21]
	global_load_dwordx4 v[14:17], v[14:15], off offset:128
.LBB411_56:
	s_or_b64 exec, exec, s[2:3]
	s_branch .LBB411_59
.LBB411_57:
                                        ; implicit-def: $vgpr5
                                        ; implicit-def: $vgpr9
                                        ; implicit-def: $vgpr13
                                        ; implicit-def: $vgpr17
	s_cbranch_execz .LBB411_59
; %bb.58:
	s_waitcnt vmcnt(0)
	v_lshlrev_b32_e32 v2, 1, v18
	v_lshl_or_b32 v18, v23, 9, v2
	s_and_b32 s5, s5, 0xffff
	s_mov_b32 s7, 0x20000
	s_movk_i32 s6, 0x4000
	s_movk_i32 s0, 0x80
	buffer_load_dwordx4 v[2:5], v18, s[4:7], 0 offen
	buffer_load_dwordx4 v[6:9], v18, s[4:7], 0 offen offset:256
	buffer_load_dwordx4 v[10:13], v18, s[4:7], s0 offen
	buffer_load_dwordx4 v[14:17], v18, s[4:7], s0 offen offset:256
.LBB411_59:
	ds_read_b64 v[20:21], v25 offset:32768
	v_add_u32_e32 v18, 0xb000, v24
	ds_read2_b64 v[32:35], v18 offset1:16
	ds_read_b64 v[40:41], v26 offset:32768
	ds_read_b64 v[26:27], v27 offset:32768
	;; [unrolled: 1-line block ×3, first 2 shown]
	v_and_b32_e32 v18, 6, v0
	v_xor_b32_e32 v23, v23, v18
	v_lshlrev_b32_e32 v23, 2, v23
	v_and_b32_e32 v0, 1, v0
	v_xor_b32_e32 v28, 0x440, v23
	v_cmp_eq_u32_e32 vcc, 0, v0
	s_waitcnt lgkmcnt(3)
	v_mfma_f32_16x16x16_bf16 a[0:3], v[20:21], v[32:33], a[0:3]
	s_mov_b32 s0, 0x1000504
	v_cndmask_b32_e32 v0, v28, v23, vcc
	v_lshl_or_b32 v0, v18, 10, v0
	v_mfma_f32_16x16x16_bf16 a[4:7], v[20:21], v[34:35], a[4:7]
	ds_read2st64_b64 v[32:35], v24 offset0:90 offset1:92
	ds_read2st64_b64 v[36:39], v29 offset0:90 offset1:92
	ds_read_b64 v[20:21], v24 offset:48128
	ds_read_b64 v[24:25], v29 offset:48128
	s_waitcnt vmcnt(0)
	v_perm_b32 v18, v2, v6, s0
	s_waitcnt lgkmcnt(3)
	v_mfma_f32_16x16x16_bf16 a[0:3], v[40:41], v[32:33], a[0:3]
	s_mov_b32 s1, 0x3020706
	v_perm_b32 v2, v2, v6, s1
	v_perm_b32 v6, v10, v14, s1
	s_waitcnt lgkmcnt(2)
	v_mfma_f32_16x16x16_bf16 a[4:7], v[40:41], v[36:37], a[4:7]
	v_mfma_f32_16x16x16_bf16 a[0:3], v[26:27], v[34:35], a[0:3]
	v_mfma_f32_16x16x16_bf16 a[8:11], v[26:27], v[38:39], a[4:7]
	s_waitcnt lgkmcnt(1)
	v_mfma_f32_16x16x16_bf16 a[4:7], v[42:43], v[20:21], a[0:3]
	v_perm_b32 v20, v10, v14, s0
	ds_write2st64_b32 v0, v18, v20 offset0:32 offset1:64
	v_xor_b32_e32 v18, 8, v0
	v_add_u32_e32 v10, 0x80, v18
	ds_write2st64_b32 v10, v2, v6 offset0:32 offset1:64
	v_xor_b32_e32 v2, 16, v0
	v_perm_b32 v6, v3, v7, s0
	v_perm_b32 v10, v11, v15, s0
	ds_write2st64_b32 v2, v6, v10 offset0:33 offset1:65
	v_xor_b32_e32 v2, 24, v0
	v_perm_b32 v3, v3, v7, s1
	v_perm_b32 v6, v11, v15, s1
	v_add_u32_e32 v2, 0x80, v2
	ds_write2st64_b32 v2, v3, v6 offset0:33 offset1:65
	v_xor_b32_e32 v2, 32, v0
	v_perm_b32 v3, v4, v8, s0
	v_perm_b32 v6, v12, v16, s0
	s_waitcnt lgkmcnt(4)
	v_mfma_f32_16x16x16_bf16 a[0:3], v[42:43], v[24:25], a[8:11]
	ds_write2st64_b32 v2, v3, v6 offset0:34 offset1:66
	v_xor_b32_e32 v2, 40, v0
	v_perm_b32 v3, v4, v8, s1
	v_perm_b32 v4, v12, v16, s1
	v_add_u32_e32 v2, 0x80, v2
	ds_write2st64_b32 v2, v3, v4 offset0:34 offset1:66
	v_xor_b32_e32 v2, 48, v0
	v_perm_b32 v3, v5, v9, s0
	v_perm_b32 v4, v13, v17, s0
	v_xor_b32_e32 v0, 56, v0
	v_and_or_b32 v21, v30, 12, v1
	ds_write2st64_b32 v2, v3, v4 offset0:35 offset1:67
	v_perm_b32 v2, v5, v9, s1
	v_perm_b32 v3, v13, v17, s1
	v_add_u32_e32 v0, 0x80, v0
	v_cmp_gt_i32_e32 vcc, s27, v21
	v_mov_b32_e32 v16, 0
	v_mov_b32_e32 v18, 0
	ds_write2st64_b32 v0, v2, v3 offset0:35 offset1:67
	s_and_saveexec_b64 s[0:1], vcc
	s_cbranch_execz .LBB411_61
; %bb.60:
	v_add_u32_e32 v0, s26, v21
	v_ashrrev_i32_e32 v1, 31, v0
	v_mul_lo_u32 v2, v1, s30
	v_mul_lo_u32 v3, v0, s31
	v_mad_u64_u32 v[0:1], s[2:3], v0, s30, 0
	v_add3_u32 v1, v1, v3, v2
	v_lshl_add_u64 v[0:1], v[0:1], 2, s[10:11]
	global_load_dword v0, v[0:1], off
	s_waitcnt vmcnt(0)
	v_sub_f32_e32 v0, s12, v0
	v_exp_f32_e32 v18, v0
.LBB411_61:
	s_or_b64 exec, exec, s[0:1]
	v_or_b32_e32 v10, 1, v21
	v_cmp_gt_i32_e64 s[2:3], s27, v10
	s_and_saveexec_b64 s[0:1], s[2:3]
	s_cbranch_execz .LBB411_63
; %bb.62:
	v_add_u32_e32 v0, s26, v10
	v_ashrrev_i32_e32 v1, 31, v0
	v_mul_lo_u32 v2, v1, s30
	v_mul_lo_u32 v3, v0, s31
	v_mad_u64_u32 v[0:1], s[4:5], v0, s30, 0
	v_add3_u32 v1, v1, v3, v2
	v_lshl_add_u64 v[0:1], v[0:1], 2, s[10:11]
	global_load_dword v0, v[0:1], off
	s_waitcnt vmcnt(0)
	v_sub_f32_e32 v0, s12, v0
	v_exp_f32_e32 v16, v0
.LBB411_63:
	s_or_b64 exec, exec, s[0:1]
	v_or_b32_e32 v12, 2, v21
	v_cmp_gt_i32_e64 s[0:1], s27, v12
	v_mov_b32_e32 v17, 0
	v_mov_b32_e32 v20, 0
	s_and_saveexec_b64 s[4:5], s[0:1]
	s_cbranch_execz .LBB411_65
; %bb.64:
	v_add_u32_e32 v0, s26, v12
	v_ashrrev_i32_e32 v1, 31, v0
	v_mul_lo_u32 v2, v1, s30
	v_mul_lo_u32 v3, v0, s31
	v_mad_u64_u32 v[0:1], s[6:7], v0, s30, 0
	v_add3_u32 v1, v1, v3, v2
	v_lshl_add_u64 v[0:1], v[0:1], 2, s[10:11]
	global_load_dword v0, v[0:1], off
	s_waitcnt vmcnt(0)
	v_sub_f32_e32 v0, s12, v0
	v_exp_f32_e32 v20, v0
.LBB411_65:
	s_or_b64 exec, exec, s[4:5]
	v_or_b32_e32 v14, 3, v21
	v_cmp_gt_i32_e64 s[4:5], s27, v14
	s_and_saveexec_b64 s[6:7], s[4:5]
	s_cbranch_execz .LBB411_67
; %bb.66:
	v_add_u32_e32 v0, s26, v14
	v_ashrrev_i32_e32 v1, 31, v0
	v_mul_lo_u32 v2, v1, s30
	v_mul_lo_u32 v3, v0, s31
	v_mad_u64_u32 v[0:1], s[14:15], v0, s30, 0
	v_add3_u32 v1, v1, v3, v2
	v_lshl_add_u64 v[0:1], v[0:1], 2, s[10:11]
	global_load_dword v0, v[0:1], off
	s_waitcnt vmcnt(0)
	v_sub_f32_e32 v0, s12, v0
	v_exp_f32_e32 v17, v0
.LBB411_67:
	s_or_b64 exec, exec, s[6:7]
	s_add_u32 s6, s8, s20
	s_addc_u32 s7, s9, s21
	s_add_u32 s8, s28, s20
	v_ashrrev_i32_e32 v63, 31, v62
	v_accvgpr_read_b32 v0, a4
	s_addc_u32 s9, s29, s21
	v_lshlrev_b64 v[4:5], 1, v[62:63]
	v_accvgpr_read_b32 v1, a5
	v_accvgpr_read_b32 v2, a6
	;; [unrolled: 1-line block ×3, first 2 shown]
	v_lshl_add_u64 v[6:7], s[6:7], 0, v[4:5]
	v_lshl_add_u64 v[4:5], s[8:9], 0, v[4:5]
	v_mov_b32_e32 v11, 0
	v_lshlrev_b32_e32 v8, 8, v21
	v_mov_b32_e32 v9, 0
	s_and_saveexec_b64 s[6:7], vcc
	s_cbranch_execz .LBB411_69
; %bb.68:
	v_mov_b32_e32 v9, 0
	v_lshl_add_u64 v[24:25], v[6:7], 0, v[8:9]
	global_load_ushort v13, v[24:25], off
	v_lshl_add_u64 v[24:25], v[4:5], 0, v[8:9]
	s_waitcnt vmcnt(0)
	v_lshlrev_b32_e32 v9, 16, v13
	v_sub_f32_e32 v0, v9, v0
	global_store_short_d16_hi v[24:25], v0, off
	v_mul_f32_e32 v0, v18, v0
	v_lshrrev_b32_e32 v9, 16, v0
.LBB411_69:
	s_or_b64 exec, exec, s[6:7]
	v_lshlrev_b32_e32 v10, 8, v10
	s_and_saveexec_b64 s[6:7], s[2:3]
	s_cbranch_execz .LBB411_71
; %bb.70:
	v_mov_b32_e32 v11, 0
	v_lshl_add_u64 v[24:25], v[6:7], 0, v[10:11]
	global_load_ushort v0, v[24:25], off
	v_lshl_add_u64 v[24:25], v[4:5], 0, v[10:11]
	s_waitcnt vmcnt(0)
	v_lshlrev_b32_e32 v0, 16, v0
	v_sub_f32_e32 v0, v0, v1
	global_store_short_d16_hi v[24:25], v0, off
	v_mul_f32_e32 v0, v16, v0
	v_lshrrev_b32_e32 v11, 16, v0
.LBB411_71:
	s_or_b64 exec, exec, s[6:7]
	v_mov_b32_e32 v15, 0
	v_lshlrev_b32_e32 v12, 8, v12
	v_mov_b32_e32 v13, 0
	s_and_saveexec_b64 s[6:7], s[0:1]
	s_cbranch_execz .LBB411_73
; %bb.72:
	v_mov_b32_e32 v13, 0
	v_lshl_add_u64 v[0:1], v[6:7], 0, v[12:13]
	global_load_ushort v23, v[0:1], off
	v_lshl_add_u64 v[0:1], v[4:5], 0, v[12:13]
	s_waitcnt vmcnt(0)
	v_lshlrev_b32_e32 v13, 16, v23
	v_sub_f32_e32 v2, v13, v2
	global_store_short_d16_hi v[0:1], v2, off
	v_mul_f32_e32 v0, v20, v2
	v_lshrrev_b32_e32 v13, 16, v0
.LBB411_73:
	s_or_b64 exec, exec, s[6:7]
	v_lshlrev_b32_e32 v14, 8, v14
	s_and_saveexec_b64 s[6:7], s[4:5]
	s_cbranch_execz .LBB411_75
; %bb.74:
	v_mov_b32_e32 v15, 0
	v_lshl_add_u64 v[0:1], v[6:7], 0, v[14:15]
	global_load_ushort v2, v[0:1], off
	v_lshl_add_u64 v[0:1], v[4:5], 0, v[14:15]
	s_waitcnt vmcnt(0)
	v_lshlrev_b32_e32 v2, 16, v2
	v_sub_f32_e32 v2, v2, v3
	global_store_short_d16_hi v[0:1], v2, off
	v_mul_f32_e32 v0, v17, v2
	v_lshrrev_b32_e32 v15, 16, v0
.LBB411_75:
	s_or_b64 exec, exec, s[6:7]
	v_lshlrev_b32_e32 v21, 5, v21
	s_mov_b32 s6, 0x5040100
	v_perm_b32 v24, v11, v9, s6
	v_or_b32_e32 v9, v21, v22
	v_accvgpr_read_b32 v0, a0
	v_perm_b32 v25, v15, v13, s6
	v_lshlrev_b32_e32 v9, 1, v9
	v_accvgpr_read_b32 v1, a1
	v_accvgpr_read_b32 v2, a2
	;; [unrolled: 1-line block ×3, first 2 shown]
	ds_write_b64 v9, v[24:25] offset:45056
	v_mov_b32_e32 v11, 0
	v_mov_b32_e32 v9, 0
	s_and_saveexec_b64 s[6:7], vcc
	s_cbranch_execz .LBB411_77
; %bb.76:
	v_mov_b32_e32 v9, 0
	v_lshl_add_u64 v[22:23], v[6:7], 0, v[8:9]
	global_load_ushort v13, v[22:23], off offset:32
	v_lshl_add_u64 v[8:9], v[4:5], 0, v[8:9]
	s_waitcnt vmcnt(0)
	v_lshlrev_b32_e32 v13, 16, v13
	v_sub_f32_e32 v0, v13, v0
	global_store_short_d16_hi v[8:9], v0, off offset:32
	v_mul_f32_e32 v0, v18, v0
	v_lshrrev_b32_e32 v9, 16, v0
.LBB411_77:
	s_or_b64 exec, exec, s[6:7]
	s_and_saveexec_b64 s[6:7], s[2:3]
	s_cbranch_execz .LBB411_79
; %bb.78:
	v_mov_b32_e32 v11, 0
	v_lshl_add_u64 v[22:23], v[6:7], 0, v[10:11]
	global_load_ushort v0, v[22:23], off offset:32
	v_lshl_add_u64 v[10:11], v[4:5], 0, v[10:11]
	s_waitcnt vmcnt(0)
	v_lshlrev_b32_e32 v0, 16, v0
	v_sub_f32_e32 v0, v0, v1
	global_store_short_d16_hi v[10:11], v0, off offset:32
	v_mul_f32_e32 v0, v16, v0
	v_lshrrev_b32_e32 v11, 16, v0
.LBB411_79:
	s_or_b64 exec, exec, s[6:7]
	v_mov_b32_e32 v0, 0
	v_mov_b32_e32 v1, 0
	s_and_saveexec_b64 s[2:3], s[0:1]
	s_cbranch_execz .LBB411_81
; %bb.80:
	v_mov_b32_e32 v13, 0
	v_lshl_add_u64 v[22:23], v[6:7], 0, v[12:13]
	global_load_ushort v1, v[22:23], off offset:32
	v_lshl_add_u64 v[12:13], v[4:5], 0, v[12:13]
	s_waitcnt vmcnt(0)
	v_lshlrev_b32_e32 v1, 16, v1
	v_sub_f32_e32 v1, v1, v2
	global_store_short_d16_hi v[12:13], v1, off offset:32
	v_mul_f32_e32 v1, v20, v1
	v_lshrrev_b32_e32 v1, 16, v1
.LBB411_81:
	s_or_b64 exec, exec, s[2:3]
	s_and_saveexec_b64 s[0:1], s[4:5]
	s_cbranch_execz .LBB411_83
; %bb.82:
	v_mov_b32_e32 v15, 0
	v_lshl_add_u64 v[6:7], v[6:7], 0, v[14:15]
	global_load_ushort v0, v[6:7], off offset:32
	v_lshl_add_u64 v[4:5], v[4:5], 0, v[14:15]
	s_waitcnt vmcnt(0)
	v_lshlrev_b32_e32 v0, 16, v0
	v_sub_f32_e32 v0, v0, v3
	global_store_short_d16_hi v[4:5], v0, off offset:32
	v_mul_f32_e32 v0, v17, v0
	v_lshrrev_b32_e32 v0, 16, v0
.LBB411_83:
	s_or_b64 exec, exec, s[0:1]
	s_mov_b32 s0, 0x5040100
	v_or_b32_e32 v2, v21, v19
	v_perm_b32 v1, v0, v1, s0
	v_perm_b32 v0, v11, v9, s0
	v_lshlrev_b32_e32 v2, 1, v2
	ds_write_b64 v2, v[0:1] offset:45056
	s_waitcnt lgkmcnt(0)
	s_barrier
.LBB411_84:
	s_endpgm
	.section	.rodata,"a",@progbits
	.p2align	6, 0x0
	.amdhsa_kernel _ZN12_GLOBAL__N_139chunk_gated_delta_rule_fwd_h_hip_kernelILi32ELb1ELb0ELb1ELb0ELb1ELb1ELb0ELb0EEEvPK12hip_bfloat16S3_S3_PKfS5_PKvPS1_S8_PvPKiSB_iiiiilll
		.amdhsa_group_segment_fixed_size 49152
		.amdhsa_private_segment_fixed_size 0
		.amdhsa_kernarg_size 136
		.amdhsa_user_sgpr_count 2
		.amdhsa_user_sgpr_dispatch_ptr 0
		.amdhsa_user_sgpr_queue_ptr 0
		.amdhsa_user_sgpr_kernarg_segment_ptr 1
		.amdhsa_user_sgpr_dispatch_id 0
		.amdhsa_user_sgpr_kernarg_preload_length 0
		.amdhsa_user_sgpr_kernarg_preload_offset 0
		.amdhsa_user_sgpr_private_segment_size 0
		.amdhsa_uses_dynamic_stack 0
		.amdhsa_enable_private_segment 0
		.amdhsa_system_sgpr_workgroup_id_x 1
		.amdhsa_system_sgpr_workgroup_id_y 1
		.amdhsa_system_sgpr_workgroup_id_z 0
		.amdhsa_system_sgpr_workgroup_info 0
		.amdhsa_system_vgpr_workitem_id 0
		.amdhsa_next_free_vgpr 164
		.amdhsa_next_free_sgpr 70
		.amdhsa_accum_offset 144
		.amdhsa_reserve_vcc 1
		.amdhsa_float_round_mode_32 0
		.amdhsa_float_round_mode_16_64 0
		.amdhsa_float_denorm_mode_32 3
		.amdhsa_float_denorm_mode_16_64 3
		.amdhsa_dx10_clamp 1
		.amdhsa_ieee_mode 1
		.amdhsa_fp16_overflow 0
		.amdhsa_tg_split 0
		.amdhsa_exception_fp_ieee_invalid_op 0
		.amdhsa_exception_fp_denorm_src 0
		.amdhsa_exception_fp_ieee_div_zero 0
		.amdhsa_exception_fp_ieee_overflow 0
		.amdhsa_exception_fp_ieee_underflow 0
		.amdhsa_exception_fp_ieee_inexact 0
		.amdhsa_exception_int_div_zero 0
	.end_amdhsa_kernel
	.section	.text._ZN12_GLOBAL__N_139chunk_gated_delta_rule_fwd_h_hip_kernelILi32ELb1ELb0ELb1ELb0ELb1ELb1ELb0ELb0EEEvPK12hip_bfloat16S3_S3_PKfS5_PKvPS1_S8_PvPKiSB_iiiiilll,"axG",@progbits,_ZN12_GLOBAL__N_139chunk_gated_delta_rule_fwd_h_hip_kernelILi32ELb1ELb0ELb1ELb0ELb1ELb1ELb0ELb0EEEvPK12hip_bfloat16S3_S3_PKfS5_PKvPS1_S8_PvPKiSB_iiiiilll,comdat
.Lfunc_end411:
	.size	_ZN12_GLOBAL__N_139chunk_gated_delta_rule_fwd_h_hip_kernelILi32ELb1ELb0ELb1ELb0ELb1ELb1ELb0ELb0EEEvPK12hip_bfloat16S3_S3_PKfS5_PKvPS1_S8_PvPKiSB_iiiiilll, .Lfunc_end411-_ZN12_GLOBAL__N_139chunk_gated_delta_rule_fwd_h_hip_kernelILi32ELb1ELb0ELb1ELb0ELb1ELb1ELb0ELb0EEEvPK12hip_bfloat16S3_S3_PKfS5_PKvPS1_S8_PvPKiSB_iiiiilll
                                        ; -- End function
	.section	.AMDGPU.csdata,"",@progbits
; Kernel info:
; codeLenInByte = 8800
; NumSgprs: 76
; NumVgprs: 142
; NumAgprs: 20
; TotalNumVgprs: 164
; ScratchSize: 0
; MemoryBound: 0
; FloatMode: 240
; IeeeMode: 1
; LDSByteSize: 49152 bytes/workgroup (compile time only)
; SGPRBlocks: 9
; VGPRBlocks: 20
; NumSGPRsForWavesPerEU: 76
; NumVGPRsForWavesPerEU: 164
; AccumOffset: 144
; Occupancy: 1
; WaveLimiterHint : 1
; COMPUTE_PGM_RSRC2:SCRATCH_EN: 0
; COMPUTE_PGM_RSRC2:USER_SGPR: 2
; COMPUTE_PGM_RSRC2:TRAP_HANDLER: 0
; COMPUTE_PGM_RSRC2:TGID_X_EN: 1
; COMPUTE_PGM_RSRC2:TGID_Y_EN: 1
; COMPUTE_PGM_RSRC2:TGID_Z_EN: 0
; COMPUTE_PGM_RSRC2:TIDIG_COMP_CNT: 0
; COMPUTE_PGM_RSRC3_GFX90A:ACCUM_OFFSET: 35
; COMPUTE_PGM_RSRC3_GFX90A:TG_SPLIT: 0
	.section	.text._ZN12_GLOBAL__N_139chunk_gated_delta_rule_fwd_h_hip_kernelILi32ELb1ELb0ELb0ELb0ELb1ELb1ELb0ELb0EEEvPK12hip_bfloat16S3_S3_PKfS5_PKvPS1_S8_PvPKiSB_iiiiilll,"axG",@progbits,_ZN12_GLOBAL__N_139chunk_gated_delta_rule_fwd_h_hip_kernelILi32ELb1ELb0ELb0ELb0ELb1ELb1ELb0ELb0EEEvPK12hip_bfloat16S3_S3_PKfS5_PKvPS1_S8_PvPKiSB_iiiiilll,comdat
	.globl	_ZN12_GLOBAL__N_139chunk_gated_delta_rule_fwd_h_hip_kernelILi32ELb1ELb0ELb0ELb0ELb1ELb1ELb0ELb0EEEvPK12hip_bfloat16S3_S3_PKfS5_PKvPS1_S8_PvPKiSB_iiiiilll ; -- Begin function _ZN12_GLOBAL__N_139chunk_gated_delta_rule_fwd_h_hip_kernelILi32ELb1ELb0ELb0ELb0ELb1ELb1ELb0ELb0EEEvPK12hip_bfloat16S3_S3_PKfS5_PKvPS1_S8_PvPKiSB_iiiiilll
	.p2align	8
	.type	_ZN12_GLOBAL__N_139chunk_gated_delta_rule_fwd_h_hip_kernelILi32ELb1ELb0ELb0ELb0ELb1ELb1ELb0ELb0EEEvPK12hip_bfloat16S3_S3_PKfS5_PKvPS1_S8_PvPKiSB_iiiiilll,@function
_ZN12_GLOBAL__N_139chunk_gated_delta_rule_fwd_h_hip_kernelILi32ELb1ELb0ELb0ELb0ELb1ELb1ELb0ELb0EEEvPK12hip_bfloat16S3_S3_PKfS5_PKvPS1_S8_PvPKiSB_iiiiilll: ; @_ZN12_GLOBAL__N_139chunk_gated_delta_rule_fwd_h_hip_kernelILi32ELb1ELb0ELb0ELb0ELb1ELb1ELb0ELb0EEEvPK12hip_bfloat16S3_S3_PKfS5_PKvPS1_S8_PvPKiSB_iiiiilll
; %bb.0:
	s_load_dwordx4 s[12:15], s[0:1], 0x5c
	s_load_dwordx4 s[16:19], s[0:1], 0x28
	s_abs_i32 s6, s3
	s_ashr_i32 s5, s3, 31
	v_and_b32_e32 v72, 15, v0
	s_waitcnt lgkmcnt(0)
	s_abs_i32 s4, s13
	v_cvt_f32_u32_e32 v1, s4
	s_sub_i32 s8, 0, s4
	s_ashr_i32 s7, s13, 31
	s_xor_b32 s5, s5, s7
	v_rcp_iflag_f32_e32 v1, v1
	v_lshrrev_b32_e32 v70, 6, v0
	v_bfe_u32 v71, v0, 4, 2
	v_mov_b32_e32 v7, 0
	v_mul_f32_e32 v1, 0x4f7ffffe, v1
	v_cvt_u32_f32_e32 v1, v1
	v_and_b32_e32 v61, 63, v0
	v_lshrrev_b32_e32 v74, 3, v61
	v_lshlrev_b32_e32 v73, 3, v0
	v_readfirstlane_b32 s9, v1
	s_mul_i32 s8, s8, s9
	s_mul_hi_u32 s8, s9, s8
	s_add_i32 s9, s9, s8
	s_mul_hi_u32 s8, s6, s9
	s_mul_i32 s9, s8, s4
	s_sub_i32 s6, s6, s9
	s_add_i32 s10, s8, 1
	s_sub_i32 s9, s6, s4
	s_cmp_ge_u32 s6, s4
	s_cselect_b32 s8, s10, s8
	s_cselect_b32 s6, s9, s6
	s_add_i32 s9, s8, 1
	s_cmp_ge_u32 s6, s4
	s_cselect_b32 s6, s9, s8
	s_xor_b32 s6, s6, s5
	s_sub_i32 s50, s6, s5
	s_mul_i32 s6, s50, s13
	s_sub_i32 s48, s3, s6
	s_abs_i32 s3, s14
	v_cvt_f32_u32_e32 v1, s3
	s_add_i32 s8, s12, 63
	s_ashr_i32 s9, s8, 31
	s_lshr_b32 s5, s9, 26
	v_rcp_iflag_f32_e32 v1, v1
	s_ashr_i32 s49, s12, 31
	s_add_i32 s8, s8, s5
	s_lshr_b32 s5, s49, 26
	v_mul_f32_e32 v1, 0x4f7ffffe, v1
	v_cvt_u32_f32_e32 v1, v1
	s_add_i32 s5, s12, s5
	s_ashr_i32 s53, s14, 31
	s_ashr_i32 s51, s5, 6
	s_lshl_b32 s36, s2, 5
	s_xor_b32 s2, s7, s53
	s_sub_i32 s5, 0, s3
	v_readfirstlane_b32 s7, v1
	s_mul_i32 s5, s5, s7
	s_mul_hi_u32 s5, s7, s5
	s_add_i32 s7, s7, s5
	s_mul_hi_u32 s5, s4, s7
	s_mul_i32 s7, s5, s3
	s_sub_i32 s4, s4, s7
	s_ashr_i32 s25, s8, 6
	s_add_i32 s7, s5, 1
	s_sub_i32 s8, s4, s3
	s_cmp_ge_u32 s4, s3
	s_cselect_b32 s5, s7, s5
	s_cselect_b32 s4, s8, s4
	s_add_i32 s7, s5, 1
	s_cmp_ge_u32 s4, s3
	s_cselect_b32 s3, s7, s5
	s_xor_b32 s3, s3, s2
	s_sub_i32 s2, s3, s2
	s_abs_i32 s3, s2
	v_cvt_f32_u32_e32 v1, s3
	s_sub_i32 s5, 0, s3
	s_abs_i32 s4, s48
	s_xor_b32 s2, s48, s2
	v_rcp_iflag_f32_e32 v1, v1
	s_ashr_i32 s2, s2, 31
	v_or_b32_e32 v62, s36, v72
	v_lshlrev_b32_e32 v2, 7, v62
	v_mul_f32_e32 v1, 0x4f7ffffe, v1
	v_cvt_u32_f32_e32 v1, v1
	v_ashrrev_i32_e32 v3, 31, v2
	s_mul_i32 s55, s50, s25
	v_readfirstlane_b32 s7, v1
	s_mul_i32 s5, s5, s7
	s_mul_hi_u32 s5, s7, s5
	s_add_i32 s7, s7, s5
	s_mul_hi_u32 s5, s4, s7
	s_mul_i32 s7, s5, s3
	s_sub_i32 s4, s4, s7
	s_add_i32 s7, s5, 1
	s_sub_i32 s8, s4, s3
	s_cmp_ge_u32 s4, s3
	s_cselect_b32 s5, s7, s5
	s_cselect_b32 s4, s8, s4
	s_add_i32 s7, s5, 1
	s_cmp_ge_u32 s4, s3
	s_cselect_b32 s3, s7, s5
	s_xor_b32 s3, s3, s2
	s_sub_i32 s54, s3, s2
	s_ashr_i32 s24, s50, 31
	s_ashr_i32 s52, s48, 31
	s_mul_hi_i32 s2, s50, s13
	s_add_u32 s38, s6, s48
	s_addc_u32 s39, s2, s52
	s_lshl_b64 s[2:3], s[38:39], 16
	s_add_u32 s2, s16, s2
	s_addc_u32 s3, s17, s3
	v_lshlrev_b32_e32 v1, 4, v70
	v_lshl_add_u64 v[4:5], v[2:3], 2, s[2:3]
	v_or_b32_e32 v2, 0x800, v2
	v_lshl_or_b32 v75, v71, 2, v1
	v_ashrrev_i32_e32 v3, 31, v2
	v_lshlrev_b32_e32 v6, 2, v75
	v_lshl_add_u64 v[2:3], v[2:3], 2, s[2:3]
	v_lshl_add_u64 v[4:5], v[4:5], 0, v[6:7]
	;; [unrolled: 1-line block ×3, first 2 shown]
	global_load_dwordx4 v[14:17], v[4:5], off
	global_load_dwordx4 v[10:13], v[4:5], off offset:256
	global_load_dwordx4 v[6:9], v[18:19], off
	s_nop 0
	global_load_dwordx4 v[2:5], v[18:19], off offset:256
	s_load_dwordx8 s[4:11], s[0:1], 0x0
	s_load_dwordx2 s[28:29], s[0:1], 0x80
	s_load_dwordx4 s[20:23], s[0:1], 0x70
	v_or_b32_e32 v76, 64, v75
	s_cmp_lt_i32 s12, 64
	s_mul_i32 s56, s39, s12
	s_mul_hi_u32 s57, s38, s12
	s_mul_i32 s16, s38, s12
	s_waitcnt lgkmcnt(0)
	s_mul_i32 s33, s50, s21
	s_mul_hi_u32 s44, s50, s20
	s_mul_i32 s45, s24, s20
	s_mul_i32 s30, s50, s20
	s_mul_i32 s39, s48, s23
	s_mul_hi_u32 s46, s48, s22
	s_mul_i32 s47, s52, s22
	s_mul_i32 s34, s48, s22
	s_cbranch_scc1 .LBB412_3
; %bb.1:
	s_add_i32 s17, s57, s56
	s_lshl_b64 s[2:3], s[16:17], 8
	v_and_b32_e32 v78, 56, v73
	s_add_u32 s20, s6, s2
	v_lshl_or_b32 v77, v70, 3, v74
	v_lshlrev_b32_e32 v18, 1, v78
	s_addc_u32 s2, s7, s3
	v_lshl_or_b32 v79, v77, 8, v18
	s_and_b32 s21, s2, 0xffff
	s_mov_b32 s23, 0x20000
	s_movk_i32 s22, 0x4000
	s_movk_i32 s2, 0x80
	v_or_b32_e32 v80, 0x2000, v79
	buffer_load_dwordx4 v[20:23], v79, s[20:23], 0 offen
	buffer_load_dwordx4 v[24:27], v79, s[20:23], s2 offen
	;; [unrolled: 1-line block ×4, first 2 shown]
	v_lshlrev_b32_e32 v19, 3, v77
	v_and_or_b32 v37, v0, 7, v19
	v_and_b32_e32 v19, 0x78, v19
	v_lshlrev_b32_e32 v37, 4, v37
	v_xor_b32_e32 v81, v37, v19
	v_mul_lo_u32 v36, v77, s15
	v_or_b32_e32 v82, 0x1000, v81
	v_xor_b32_e32 v19, 8, v81
	s_cmpk_eq_i32 s15, 0x80
	s_mov_b32 s58, s14
	v_xor_b32_e32 v37, 8, v82
	s_cselect_b64 s[2:3], -1, 0
	s_cmpk_lg_i32 s15, 0x80
	s_waitcnt vmcnt(3)
	ds_write_b64 v81, v[20:21] offset:24576
	ds_write_b64 v19, v[22:23] offset:24576
	s_waitcnt vmcnt(2)
	ds_write_b64 v81, v[24:25] offset:32768
	ds_write_b64 v19, v[26:27] offset:32768
	s_waitcnt vmcnt(1)
	ds_write_b64 v81, v[28:29] offset:28672
	ds_write_b64 v37, v[30:31] offset:24576
	s_waitcnt vmcnt(0)
	ds_write_b64 v81, v[32:33] offset:36864
	ds_write_b64 v37, v[34:35] offset:32768
	v_lshl_add_u32 v19, v36, 1, v78
	s_cbranch_scc0 .LBB412_29
; %bb.2:
	v_lshlrev_b32_e32 v21, 1, v19
	v_add_lshl_u32 v20, v19, s15, 1
	s_lshl_b32 s22, s15, 7
	s_load_dwordx2 s[40:41], s[0:1], 0x20
	v_lshl_or_b32 v18, v77, 9, v18
	s_cbranch_execz .LBB412_30
	s_branch .LBB412_31
.LBB412_3:
	s_waitcnt vmcnt(0)
	v_mov_b32_e32 v21, v5
	v_mov_b32_e32 v25, v9
.LBB412_4:
	s_lshl_b32 s26, s51, 6
	s_sub_i32 s27, s12, s26
	s_cmp_gt_i32 s27, 0
	s_cbranch_scc0 .LBB412_84
; %bb.5:
	s_ashr_i32 s2, s26, 31
	s_cmpk_lg_i32 s15, 0x80
	s_cselect_b64 s[22:23], -1, 0
	s_and_b64 vcc, exec, s[22:23]
	s_cbranch_vccz .LBB412_7
; %bb.6:
	s_mul_i32 s1, s50, s12
	s_mul_hi_i32 s0, s50, s12
	s_add_u32 s1, s1, s26
	s_addc_u32 s0, s0, s2
	s_mul_i32 s3, s1, s53
	s_mul_hi_u32 s17, s1, s14
	s_add_i32 s3, s17, s3
	s_mul_i32 s0, s0, s14
	s_add_i32 s3, s3, s0
	s_mul_i32 s1, s1, s14
	s_ashr_i32 s0, s54, 31
	s_add_u32 s24, s1, s54
	s_addc_u32 s25, s3, s0
	s_cbranch_execz .LBB412_8
	s_branch .LBB412_9
.LBB412_7:
                                        ; implicit-def: $sgpr24_sgpr25
.LBB412_8:
	s_mul_hi_i32 s0, s50, s14
	s_mul_i32 s50, s50, s14
	s_ashr_i32 s1, s54, 31
	s_add_u32 s3, s50, s54
	s_addc_u32 s0, s0, s1
	s_mul_i32 s1, s3, s49
	s_mul_hi_u32 s14, s3, s12
	s_add_i32 s1, s14, s1
	s_mul_i32 s0, s0, s12
	s_add_i32 s1, s1, s0
	s_mul_i32 s3, s3, s12
	s_add_u32 s24, s3, s26
	s_addc_u32 s25, s1, s2
.LBB412_9:
	s_mul_i32 s0, s38, s49
	s_add_i32 s0, s57, s0
	s_add_i32 s3, s55, s51
	;; [unrolled: 1-line block ×3, first 2 shown]
	s_add_u32 s0, s16, s26
	s_addc_u32 s1, s1, s2
	v_lshlrev_b32_e32 v18, 5, v75
	v_lshlrev_b32_e32 v22, 2, v72
	s_mov_b32 s2, 0x7060302
	v_perm_b32 v13, v13, v12, s2
	v_perm_b32 v12, v11, v10, s2
	v_or_b32_e32 v10, v18, v22
	v_xor_b32_e32 v5, v75, v22
	v_perm_b32 v17, v17, v16, s2
	v_perm_b32 v16, v15, v14, s2
	v_lshlrev_b32_e32 v10, 1, v10
	ds_write2st64_b64 v10, v[16:17], v[12:13] offset0:80 offset1:88
	v_lshlrev_b32_e32 v10, 1, v5
	v_lshlrev_b32_e32 v5, 8, v72
	s_lshl_b64 s[20:21], s[0:1], 8
	v_xor_b32_e32 v9, v76, v22
	v_or_b32_e32 v11, v10, v5
	s_add_u32 s0, s6, s20
	ds_write_b64 v11, v[16:17]
	v_lshlrev_b32_e32 v11, 1, v9
	s_addc_u32 s1, s7, s21
	v_or_b32_e32 v5, v11, v5
	s_mul_hi_i32 s6, s3, s13
	s_mul_i32 s3, s3, s13
	ds_write_b64 v5, v[12:13]
	v_perm_b32 v9, v25, v8, s2
	v_perm_b32 v8, v7, v6, s2
	;; [unrolled: 1-line block ×4, first 2 shown]
	s_add_u32 s2, s3, s48
	v_or_b32_e32 v2, 16, v72
	s_addc_u32 s3, s6, s52
	v_lshlrev_b32_e32 v19, 2, v2
	s_ashr_i32 s37, s36, 31
	s_lshl_b64 s[2:3], s[2:3], 15
	v_or_b32_e32 v3, v18, v19
	s_add_u32 s6, s18, s2
	v_lshlrev_b32_e32 v3, 1, v3
	v_lshlrev_b32_e32 v2, 8, v2
	s_addc_u32 s7, s19, s3
	s_lshl_b64 s[2:3], s[36:37], 8
	ds_write2st64_b64 v3, v[8:9], v[4:5] offset0:80 offset1:88
	v_or_b32_e32 v3, v10, v2
	v_or_b32_e32 v2, v11, v2
	s_add_u32 s2, s6, s2
	ds_write_b64 v3, v[8:9]
	ds_write_b64 v2, v[4:5]
	v_lshrrev_b32_e32 v2, 4, v0
	s_addc_u32 s3, s7, s3
	v_lshlrev_b32_e32 v3, 1, v72
	v_lshlrev_b32_e32 v10, 4, v72
	v_mov_b32_e32 v11, 0
	v_or_b32_e32 v4, 1, v3
	v_xor_b32_e32 v3, v2, v3
	v_lshl_add_u64 v[12:13], s[2:3], 0, v[10:11]
	v_lshlrev_b32_e32 v10, 8, v2
	v_xor_b32_e32 v6, v4, v2
	v_lshl_or_b32 v2, v3, 3, v10
	s_waitcnt lgkmcnt(0)
	s_barrier
	ds_read2st64_b64 v[2:5], v2 offset1:8
	v_lshl_or_b32 v6, v6, 3, v10
	ds_read2st64_b64 v[6:9], v6 offset1:8
	v_lshl_add_u64 v[14:15], v[12:13], 0, v[10:11]
	s_movk_i32 s2, 0x1000
	s_waitcnt lgkmcnt(1)
	v_mov_b32_e32 v10, v2
	v_add_co_u32_e32 v2, vcc, s2, v14
	s_cmp_lg_u32 s27, 64
	v_mov_b32_e32 v11, v3
	v_addc_co_u32_e32 v3, vcc, 0, v15, vcc
	s_cselect_b64 s[6:7], -1, 0
	v_lshl_or_b32 v23, v70, 3, v74
	s_waitcnt lgkmcnt(0)
	v_mov_b32_e32 v12, v6
	v_mov_b32_e32 v13, v7
	v_mov_b32_e32 v6, v4
	v_mov_b32_e32 v7, v5
	s_mov_b32 s16, 0
	v_or_b32_e32 v20, 32, v23
	v_and_b32_e32 v18, 56, v73
	s_and_b64 vcc, exec, s[6:7]
	global_store_dwordx4 v[14:15], v[10:13], off
	global_store_dwordx4 v[2:3], v[6:9], off
	s_cbranch_vccz .LBB412_15
; %bb.10:
	s_mov_b32 s17, s16
	s_mov_b32 s18, s16
	;; [unrolled: 1-line block ×3, first 2 shown]
	v_mov_b64_e32 v[6:7], s[16:17]
	v_mov_b64_e32 v[8:9], s[18:19]
	;; [unrolled: 1-line block ×3, first 2 shown]
	v_cmp_gt_i32_e32 vcc, s27, v23
	v_mov_b64_e32 v[4:5], v[8:9]
	s_and_saveexec_b64 s[2:3], vcc
	s_cbranch_execz .LBB412_12
; %bb.11:
	v_lshlrev_b32_e32 v2, 8, v23
	v_mov_b32_e32 v3, 0
	v_lshl_add_u64 v[4:5], s[0:1], 0, v[2:3]
	v_lshlrev_b32_e32 v2, 1, v18
	v_lshl_add_u64 v[10:11], v[4:5], 0, v[2:3]
	global_load_dwordx4 v[6:9], v[10:11], off
	global_load_dwordx4 v[2:5], v[10:11], off offset:128
.LBB412_12:
	s_or_b64 exec, exec, s[2:3]
	s_mov_b32 s17, s16
	s_mov_b32 s18, s16
	;; [unrolled: 1-line block ×3, first 2 shown]
	v_mov_b64_e32 v[14:15], s[16:17]
	v_mov_b64_e32 v[16:17], s[18:19]
	;; [unrolled: 1-line block ×3, first 2 shown]
	v_cmp_gt_i32_e32 vcc, s27, v20
	v_lshlrev_b32_e32 v21, 7, v20
	v_mov_b64_e32 v[12:13], v[16:17]
	s_and_saveexec_b64 s[2:3], vcc
	s_cbranch_execz .LBB412_14
; %bb.13:
	v_lshlrev_b32_e32 v10, 1, v21
	v_mov_b32_e32 v11, 0
	v_lshl_add_u64 v[12:13], s[0:1], 0, v[10:11]
	v_lshlrev_b32_e32 v10, 1, v18
	v_lshl_add_u64 v[24:25], v[12:13], 0, v[10:11]
	global_load_dwordx4 v[14:17], v[24:25], off
	global_load_dwordx4 v[10:13], v[24:25], off offset:128
.LBB412_14:
	s_or_b64 exec, exec, s[2:3]
	v_lshrrev_b32_e32 v24, 3, v18
	v_lshlrev_b32_e32 v25, 3, v23
	v_or_b32_e32 v24, v25, v24
	v_lshlrev_b32_e32 v24, 4, v24
	v_and_b32_e32 v25, 0x78, v25
	v_xor_b32_e32 v24, v24, v25
	s_branch .LBB412_17
.LBB412_15:
                                        ; implicit-def: $vgpr24
                                        ; implicit-def: $vgpr21
                                        ; implicit-def: $vgpr6_vgpr7_vgpr8_vgpr9
                                        ; implicit-def: $vgpr2_vgpr3_vgpr4_vgpr5
                                        ; implicit-def: $vgpr14_vgpr15_vgpr16_vgpr17
                                        ; implicit-def: $vgpr10_vgpr11_vgpr12_vgpr13
	s_cbranch_execz .LBB412_17
; %bb.16:
	s_waitcnt vmcnt(0)
	v_lshlrev_b32_e32 v2, 1, v18
	v_lshl_or_b32 v21, v23, 8, v2
	s_and_b32 s1, s1, 0xffff
	s_mov_b32 s3, 0x20000
	s_movk_i32 s2, 0x4000
	v_lshl_or_b32 v24, v20, 8, v2
	s_movk_i32 s13, 0x80
	buffer_load_dwordx4 v[6:9], v21, s[0:3], 0 offen
	buffer_load_dwordx4 v[2:5], v21, s[0:3], s13 offen
	;; [unrolled: 1-line block ×4, first 2 shown]
	v_lshrrev_b32_e32 v21, 3, v18
	v_lshlrev_b32_e32 v24, 3, v23
	v_or_b32_e32 v21, v24, v21
	v_lshlrev_b32_e32 v21, 4, v21
	v_and_b32_e32 v24, 0x78, v24
	v_xor_b32_e32 v24, v21, v24
	v_lshlrev_b32_e32 v21, 7, v20
.LBB412_17:
	s_lshl_b64 s[0:1], s[24:25], 8
	s_add_u32 s4, s4, s0
	s_movk_i32 s0, 0x1000
	v_and_or_b32 v20, v21, s0, v24
	s_waitcnt vmcnt(1)
	ds_write_b64 v24, v[6:7] offset:24576
	v_xor_b32_e32 v6, 8, v24
	ds_write_b64 v6, v[8:9] offset:24576
	s_waitcnt vmcnt(0)
	ds_write_b64 v24, v[2:3] offset:32768
	ds_write_b64 v6, v[4:5] offset:32768
	;; [unrolled: 1-line block ×3, first 2 shown]
	v_xor_b32_e32 v2, 8, v20
	ds_write_b64 v2, v[16:17] offset:24576
	ds_write_b64 v20, v[10:11] offset:32768
	;; [unrolled: 1-line block ×3, first 2 shown]
	v_or_b32_e32 v2, v1, v72
	v_lshlrev_b32_e32 v3, 11, v70
	v_lshlrev_b32_e32 v2, 3, v2
	v_and_b32_e32 v6, 0x1000, v3
	v_lshrrev_b32_e32 v3, 5, v61
	s_movk_i32 s3, 0xf8
	v_and_or_b32 v3, v2, s3, v3
	v_lshlrev_b32_e32 v7, 4, v3
	v_and_b32_e32 v8, 0x78, v2
	v_or_b32_e32 v10, 32, v7
	v_lshrrev_b32_e32 v3, 1, v61
	v_xor_b32_e32 v10, v10, v8
	v_xor_b32_e32 v2, v7, v8
	v_and_b32_e32 v9, 8, v3
	v_or_b32_e32 v10, v10, v6
	v_or_b32_e32 v2, v2, v6
	v_xor_b32_e32 v26, v10, v9
	v_or_b32_e32 v10, 64, v7
	v_xor_b32_e32 v25, v2, v9
	v_xor_b32_e32 v10, v10, v8
	s_waitcnt lgkmcnt(0)
	s_barrier
	v_or_b32_e32 v12, v10, v6
	ds_read_b64 v[10:11], v25 offset:24576
	v_lshl_or_b32 v20, v71, 7, v22
	v_lshlrev_b32_e32 v24, 1, v20
	v_add_u32_e32 v2, 0xa000, v24
	ds_read2_b64 v[2:5], v2 offset1:16
	v_or_b32_e32 v7, 0x60, v7
	v_xor_b32_e32 v7, v7, v8
	s_waitcnt lgkmcnt(0)
	v_mfma_f32_16x16x16_bf16 a[0:3], v[10:11], v[2:3], 0
	v_or_b32_e32 v2, 64, v20
	v_or_b32_e32 v6, v7, v6
	v_lshlrev_b32_e32 v29, 1, v2
	v_xor_b32_e32 v27, v12, v9
	v_xor_b32_e32 v28, v6, v9
	ds_read_b64 v[12:13], v26 offset:24576
	ds_read_b64 v[14:15], v27 offset:24576
	;; [unrolled: 1-line block ×3, first 2 shown]
	v_mfma_f32_16x16x16_bf16 a[4:7], v[10:11], v[4:5], 0
	ds_read2st64_b64 v[2:5], v29 offset0:82 offset1:84
	ds_read2st64_b64 v[6:9], v24 offset0:82 offset1:84
	s_addc_u32 s5, s5, s1
	s_add_i32 s1, s44, s33
	s_add_i32 s0, s12, -1
	s_add_i32 s31, s1, s45
	s_add_i32 s1, s46, s39
	;; [unrolled: 1-line block ×3, first 2 shown]
	s_ashr_i32 s1, s0, 31
	s_mul_i32 s2, s0, s29
	s_mul_hi_u32 s3, s0, s28
	s_add_i32 s2, s3, s2
	s_mul_i32 s1, s1, s28
	s_waitcnt lgkmcnt(1)
	v_mfma_f32_16x16x16_bf16 a[4:7], v[12:13], v[2:3], a[4:7]
	s_add_i32 s1, s2, s1
	s_lshl_b64 s[2:3], s[30:31], 2
	s_add_u32 s10, s10, s2
	s_waitcnt lgkmcnt(0)
	v_mfma_f32_16x16x16_bf16 a[0:3], v[12:13], v[6:7], a[0:3]
	s_addc_u32 s11, s11, s3
	s_lshl_b64 s[2:3], s[34:35], 2
	s_mul_i32 s0, s0, s28
	s_add_u32 s10, s10, s2
	ds_read_b64 v[2:3], v24 offset:44032
	v_mfma_f32_16x16x16_bf16 a[4:7], v[14:15], v[4:5], a[4:7]
	ds_read_b64 v[4:5], v29 offset:44032
	s_addc_u32 s11, s11, s3
	s_lshl_b64 s[0:1], s[0:1], 2
	v_mfma_f32_16x16x16_bf16 a[0:3], v[14:15], v[8:9], a[0:3]
	s_add_u32 s0, s10, s0
	s_addc_u32 s1, s11, s1
	s_load_dword s12, s[0:1], 0x0
	s_waitcnt lgkmcnt(0)
	v_mfma_f32_16x16x16_bf16 a[0:3], v[16:17], v[2:3], a[0:3]
	s_and_b64 vcc, exec, s[22:23]
	v_mfma_f32_16x16x16_bf16 a[4:7], v[16:17], v[4:5], a[4:7]
	s_cbranch_vccz .LBB412_28
; %bb.18:
	v_lshlrev_b32_e32 v20, 1, v23
	s_and_b64 vcc, exec, s[6:7]
	s_cbranch_vccz .LBB412_44
; %bb.19:
	v_cmp_gt_i32_e32 vcc, s27, v20
	v_mov_b32_e32 v6, 0
	v_mov_b32_e32 v2, 0
	;; [unrolled: 1-line block ×5, first 2 shown]
	s_and_saveexec_b64 s[0:1], vcc
	s_cbranch_execz .LBB412_21
; %bb.20:
	v_mad_i64_i32 v[2:3], s[2:3], s15, v20, 0
	v_lshl_add_u64 v[2:3], v[2:3], 1, s[4:5]
	v_lshlrev_b32_e32 v4, 1, v18
	v_mov_b32_e32 v5, 0
	v_lshl_add_u64 v[2:3], v[2:3], 0, v[4:5]
	global_load_dwordx4 v[2:5], v[2:3], off
.LBB412_21:
	s_or_b64 exec, exec, s[0:1]
	v_or_b32_e32 v21, 1, v20
	v_cmp_gt_i32_e64 s[0:1], s27, v21
	v_mov_b32_e32 v7, 0
	v_mov_b32_e32 v8, 0
	;; [unrolled: 1-line block ×3, first 2 shown]
	s_and_saveexec_b64 s[2:3], s[0:1]
	s_cbranch_execz .LBB412_23
; %bb.22:
	v_mad_i64_i32 v[6:7], s[16:17], s15, v21, 0
	v_lshl_add_u64 v[6:7], v[6:7], 1, s[4:5]
	v_lshlrev_b32_e32 v8, 1, v18
	v_mov_b32_e32 v9, 0
	v_lshl_add_u64 v[6:7], v[6:7], 0, v[8:9]
	global_load_dwordx4 v[6:9], v[6:7], off
.LBB412_23:
	s_or_b64 exec, exec, s[2:3]
	v_mov_b32_e32 v17, 0
	v_mov_b32_e32 v10, 0
	;; [unrolled: 1-line block ×5, first 2 shown]
	s_and_saveexec_b64 s[2:3], vcc
	s_cbranch_execz .LBB412_25
; %bb.24:
	v_mad_i64_i32 v[10:11], s[16:17], s15, v20, 0
	v_lshl_add_u64 v[10:11], v[10:11], 1, s[4:5]
	v_lshlrev_b32_e32 v12, 1, v18
	v_mov_b32_e32 v13, 0
	v_lshl_add_u64 v[10:11], v[10:11], 0, v[12:13]
	global_load_dwordx4 v[10:13], v[10:11], off offset:128
.LBB412_25:
	s_or_b64 exec, exec, s[2:3]
	v_mov_b32_e32 v16, 0
	v_mov_b32_e32 v15, 0
	;; [unrolled: 1-line block ×3, first 2 shown]
	s_and_saveexec_b64 s[2:3], s[0:1]
	s_cbranch_execz .LBB412_27
; %bb.26:
	v_mad_i64_i32 v[14:15], s[0:1], s15, v21, 0
	v_lshl_add_u64 v[14:15], v[14:15], 1, s[4:5]
	v_lshlrev_b32_e32 v16, 1, v18
	v_mov_b32_e32 v17, 0
	v_lshl_add_u64 v[14:15], v[14:15], 0, v[16:17]
	global_load_dwordx4 v[14:17], v[14:15], off offset:128
.LBB412_27:
	s_or_b64 exec, exec, s[2:3]
	s_branch .LBB412_46
.LBB412_28:
                                        ; implicit-def: $vgpr5
                                        ; implicit-def: $vgpr9
                                        ; implicit-def: $vgpr13
                                        ; implicit-def: $vgpr17
	v_lshrrev_b32_e32 v30, 2, v61
	s_branch .LBB412_47
.LBB412_29:
                                        ; implicit-def: $vgpr20
                                        ; implicit-def: $vgpr21
                                        ; implicit-def: $sgpr22
	s_load_dwordx2 s[40:41], s[0:1], 0x20
	v_lshl_or_b32 v18, v77, 9, v18
.LBB412_30:
	v_or_b32_e32 v20, 0x100, v18
	s_movk_i32 s22, 0x4000
	v_mov_b32_e32 v21, v18
.LBB412_31:
	s_mul_hi_u32 s0, s14, s12
	s_mul_i32 s1, s53, s12
	s_add_i32 s0, s0, s1
	s_mul_i32 s1, s14, s12
	s_mul_i32 s20, s1, s24
	s_mul_hi_u32 s21, s1, s50
	s_add_i32 s20, s21, s20
	s_mul_i32 s0, s0, s50
	s_add_i32 s20, s20, s0
	s_mul_i32 s1, s1, s50
	s_ashr_i32 s59, s54, 31
	s_add_u32 s0, s1, s54
	s_addc_u32 s1, s20, s59
	s_lshl_b64 s[0:1], s[0:1], 8
	s_add_u32 s20, s4, s0
	s_addc_u32 s0, s5, s1
	s_and_b32 s21, s0, 0xffff
	s_movk_i32 s60, 0x80
	buffer_load_dwordx4 v[22:25], v21, s[20:23], 0 offen
	buffer_load_dwordx4 v[26:29], v21, s[20:23], s60 offen
	buffer_load_dwordx4 v[30:33], v20, s[20:23], 0 offen
	buffer_load_dwordx4 v[34:37], v20, s[20:23], s60 offen
	v_and_b32_e32 v20, 6, v0
	v_lshlrev_b32_e32 v39, 6, v75
	v_or_b32_e32 v41, 16, v72
	v_xor_b32_e32 v42, v77, v20
	v_and_b32_e32 v21, 1, v0
	v_lshl_or_b32 v45, v72, 3, v39
	v_lshl_or_b32 v39, v41, 3, v39
	v_lshlrev_b32_e32 v42, 2, v42
	s_mul_i32 s24, s24, s12
	s_mul_hi_u32 s0, s50, s12
	v_lshlrev_b32_e32 v38, 2, v72
	v_or_b32_e32 v85, 0xa000, v39
	v_or_b32_e32 v86, 0xb000, v39
	v_xor_b32_e32 v39, 0x440, v42
	v_cmp_eq_u32_e32 vcc, 0, v21
	v_xor_b32_e32 v43, v75, v38
	v_xor_b32_e32 v44, v76, v38
	v_cndmask_b32_e32 v21, v39, v42, vcc
	s_add_i32 s65, s0, s24
	s_add_i32 s0, s44, s33
	s_mov_b32 s63, 0x1000504
	v_lshlrev_b32_e32 v40, 8, v72
	v_lshlrev_b32_e32 v43, 1, v43
	v_lshlrev_b32_e32 v44, 1, v44
	v_lshl_or_b32 v20, v20, 10, v21
	s_add_i32 s31, s0, s45
	s_add_i32 s0, s46, s39
	s_mov_b32 s64, 0x3020706
	v_or_b32_e32 v83, 0xa000, v45
	v_or_b32_e32 v84, 0xb000, v45
	v_or_b32_e32 v87, v40, v43
	v_or_b32_e32 v88, v40, v44
	v_xor_b32_e32 v21, 8, v20
	v_xor_b32_e32 v40, 24, v20
	;; [unrolled: 1-line block ×4, first 2 shown]
	s_add_i32 s35, s0, s47
	s_lshl_b64 s[0:1], s[30:31], 2
	v_xor_b32_e32 v39, 16, v20
	v_xor_b32_e32 v42, 32, v20
	;; [unrolled: 1-line block ×3, first 2 shown]
	v_add_u32_e32 v21, 0x80, v21
	v_add_u32_e32 v40, 0x80, v40
	;; [unrolled: 1-line block ×4, first 2 shown]
	s_add_u32 s20, s10, s0
	s_addc_u32 s21, s11, s1
	s_lshl_b64 s[0:1], s[34:35], 2
	s_add_u32 s42, s20, s0
	s_movk_i32 s0, 0xf8
	s_addc_u32 s43, s21, s1
	s_ashr_i32 s37, s36, 31
	s_lshl_b32 s26, s15, 7
	s_movk_i32 s20, 0x100
	v_mov_b32_e32 v65, 0
	v_lshlrev_b32_e32 v64, 4, v72
	v_cmp_gt_u32_e32 vcc, s20, v0
	s_mul_i32 s61, s50, s12
	v_ashrrev_i32_e32 v63, 31, v62
	s_mov_b32 s62, 0
	s_movk_i32 s31, 0x1000
	s_movk_i32 s22, 0x4000
	v_lshl_add_u64 v[66:67], v[62:63], 1, s[8:9]
	s_mov_b32 s67, 0
	s_waitcnt vmcnt(1)
	v_perm_b32 v48, v22, v30, s63
	s_waitcnt vmcnt(0)
	v_perm_b32 v49, v26, v34, s63
	v_perm_b32 v22, v22, v30, s64
	v_perm_b32 v26, v26, v34, s64
	v_perm_b32 v30, v23, v31, s63
	v_perm_b32 v34, v27, v35, s63
	v_perm_b32 v23, v23, v31, s64
	v_perm_b32 v27, v27, v35, s64
	v_perm_b32 v31, v24, v32, s63
	v_perm_b32 v35, v28, v36, s63
	v_perm_b32 v24, v24, v32, s64
	v_perm_b32 v28, v28, v36, s64
	v_perm_b32 v32, v25, v33, s63
	v_perm_b32 v36, v29, v37, s63
	v_perm_b32 v25, v25, v33, s64
	v_perm_b32 v29, v29, v37, s64
	ds_write2st64_b32 v20, v48, v49 offset0:32 offset1:64
	ds_write2st64_b32 v21, v22, v26 offset0:32 offset1:64
	ds_write2st64_b32 v39, v30, v34 offset0:33 offset1:65
	ds_write2st64_b32 v40, v23, v27 offset0:33 offset1:65
	ds_write2st64_b32 v42, v31, v35 offset0:34 offset1:66
	ds_write2st64_b32 v45, v24, v28 offset0:34 offset1:66
	ds_write2st64_b32 v46, v32, v36 offset0:35 offset1:67
	ds_write2st64_b32 v47, v25, v29 offset0:35 offset1:67
	v_lshlrev_b32_e32 v20, 8, v41
	v_or_b32_e32 v89, v20, v43
	v_or_b32_e32 v90, v20, v44
	;; [unrolled: 1-line block ×3, first 2 shown]
	v_lshlrev_b32_e32 v20, 3, v20
	v_lshrrev_b32_e32 v23, 5, v61
	v_and_or_b32 v23, v20, s0, v23
	v_lshlrev_b32_e32 v23, 4, v23
	v_lshlrev_b32_e32 v25, 11, v70
	v_and_b32_e32 v20, 0x78, v20
	v_or_b32_e32 v28, 32, v23
	v_and_b32_e32 v22, 0x1000, v25
	v_lshrrev_b32_e32 v26, 1, v61
	v_xor_b32_e32 v28, v28, v20
	v_xor_b32_e32 v24, v23, v20
	v_and_b32_e32 v26, 8, v26
	v_or_b32_e32 v28, v28, v22
	v_or_b32_e32 v24, v24, v22
	v_lshlrev_b32_e32 v27, 7, v71
	v_xor_b32_e32 v93, v28, v26
	v_or_b32_e32 v28, 64, v23
	v_or_b32_e32 v23, 0x60, v23
	v_xor_b32_e32 v91, v24, v26
	v_or_b32_e32 v24, v27, v38
	v_xor_b32_e32 v28, v28, v20
	v_xor_b32_e32 v20, v23, v20
	s_lshl_b64 s[0:1], s[36:37], 8
	v_lshlrev_b32_e32 v24, 1, v24
	v_or_b32_e32 v28, v28, v22
	v_or_b32_e32 v20, v20, v22
	s_add_u32 s0, s18, s0
	v_lshlrev_b32_e32 v22, 1, v72
	v_or_b32_e32 v92, 0xa000, v24
	v_or_b32_e32 v94, 0xa080, v24
	;; [unrolled: 1-line block ×4, first 2 shown]
	v_lshrrev_b32_e32 v24, 4, v0
	s_addc_u32 s1, s19, s1
	v_or_b32_e32 v23, 1, v22
	v_mov_b32_e32 v33, 0x4000
	v_mov_b32_e32 v34, 0x2000
	v_lshrrev_b32_e32 v35, 1, v0
	v_xor_b32_e32 v95, v28, v26
	v_xor_b32_e32 v96, v20, v26
	;; [unrolled: 1-line block ×4, first 2 shown]
	v_lshl_add_u64 v[22:23], s[0:1], 0, v[64:65]
	v_lshlrev_b32_e32 v64, 8, v24
	v_cndmask_b32_e32 v33, v33, v34, vcc
	v_lshlrev_b32_e32 v34, 3, v70
	v_and_b32_e32 v35, 24, v35
	v_lshl_or_b32 v99, v26, 3, v64
	v_and_b32_e32 v26, 8, v0
	v_xor_b32_e32 v36, v34, v35
	v_or_b32_e32 v37, 0x440, v36
	v_cmp_eq_u32_e32 vcc, 0, v26
	v_and_b32_e32 v24, 7, v0
	v_lshl_or_b32 v100, v30, 3, v64
	v_cndmask_b32_e32 v26, v37, v36, vcc
	v_lshlrev_b32_e32 v30, 3, v24
	v_lshlrev_b32_e32 v32, 2, v0
	v_or_b32_e32 v26, v26, v25
	v_xor_b32_e32 v36, v26, v30
	v_and_or_b32 v26, v32, 60, v27
	v_mov_b32_e32 v27, 0xb000
	v_lshl_or_b32 v101, v26, 1, v27
	v_or_b32_e32 v26, 32, v35
	v_xor_b32_e32 v26, v34, v26
	v_or_b32_e32 v27, 0x440, v26
	v_cndmask_b32_e32 v26, v27, v26, vcc
	v_or_b32_e32 v26, v26, v25
	v_xor_b32_e32 v27, v26, v30
	v_or_b32_e32 v26, 64, v35
	v_xor_b32_e32 v26, v34, v26
	v_xor_b32_e32 v38, 0x440, v26
	v_cndmask_b32_e32 v26, v38, v26, vcc
	v_or_b32_e32 v26, v26, v25
	v_xor_b32_e32 v38, v26, v30
	v_or_b32_e32 v26, 0x60, v35
	v_xor_b32_e32 v26, v34, v26
	v_xor_b32_e32 v34, 0x440, v26
	v_cndmask_b32_e32 v26, v34, v26, vcc
	v_lshrrev_b32_e32 v21, 2, v61
	v_or_b32_e32 v25, v26, v25
	v_and_b32_e32 v21, 12, v21
	v_xor_b32_e32 v25, v25, v30
	v_lshlrev_b32_e32 v20, 7, v75
	v_lshlrev_b32_e32 v28, 1, v19
	v_add_lshl_u32 v19, v19, s15, 1
	v_or_b32_e32 v29, 0x100, v18
	v_lshlrev_b32_e32 v31, 7, v24
	v_or_b32_e32 v24, v21, v1
	v_add_u32_e32 v37, v33, v36
	v_add_u32_e32 v32, v33, v27
	;; [unrolled: 1-line block ×4, first 2 shown]
	v_or3_b32 v26, v1, v21, 64
	v_add_u32_e32 v21, 0x4000, v36
	v_add_u32_e32 v27, 0x4000, v27
	;; [unrolled: 1-line block ×4, first 2 shown]
	v_cndmask_b32_e64 v102, v28, v18, s[2:3]
	v_cndmask_b32_e64 v103, v19, v29, s[2:3]
	v_lshl_add_u64 v[68:69], v[22:23], 0, v[64:65]
	s_add_i32 s35, s61, 63
	s_mov_b32 s37, 0x7060302
	v_lshlrev_b32_e32 v64, 1, v20
	v_lshlrev_b32_e32 v63, 2, v24
	v_add_u32_e32 v104, v37, v31
	v_add_u32_e32 v105, v32, v31
	;; [unrolled: 1-line block ×4, first 2 shown]
	v_lshlrev_b32_e32 v108, 2, v26
	v_add_u32_e32 v109, v21, v31
	v_add_u32_e32 v110, v27, v31
	;; [unrolled: 1-line block ×4, first 2 shown]
	s_waitcnt lgkmcnt(0)
	s_barrier
.LBB412_32:                             ; =>This Inner Loop Header: Depth=1
	s_add_i32 s66, s67, 1
	s_cmp_lt_i32 s66, s51
	s_mov_b64 s[24:25], 0
	s_cselect_b64 s[2:3], -1, 0
	s_cmp_ge_i32 s66, s51
	s_mov_b64 s[20:21], 0
	s_cbranch_scc1 .LBB412_34
; %bb.33:                               ;   in Loop: Header=BB412_32 Depth=1
	s_add_i32 s0, s62, 64
	s_add_u32 s0, s16, s0
	s_addc_u32 s1, s17, 0
	s_lshl_b64 s[0:1], s[0:1], 8
	s_add_u32 s20, s6, s0
	s_addc_u32 s21, s7, s1
.LBB412_34:                             ;   in Loop: Header=BB412_32 Depth=1
	v_cndmask_b32_e64 v18, 0, 1, s[2:3]
	v_cmp_ne_u32_e64 s[0:1], 1, v18
	s_andn2_b64 vcc, exec, s[2:3]
	s_cbranch_vccnz .LBB412_36
; %bb.35:                               ;   in Loop: Header=BB412_32 Depth=1
	s_add_i32 s2, s62, 64
	s_add_u32 s2, s61, s2
	s_addc_u32 s3, s65, 0
	s_mul_i32 s24, s2, s53
	s_mul_hi_u32 s25, s2, s58
	s_add_i32 s24, s25, s24
	s_mul_i32 s3, s3, s58
	s_add_i32 s24, s24, s3
	s_mul_i32 s2, s2, s58
	s_add_u32 s2, s2, s54
	s_addc_u32 s3, s24, s59
	s_lshl_b64 s[2:3], s[2:3], 8
	s_add_u32 s24, s4, s2
	s_addc_u32 s25, s5, s3
.LBB412_36:                             ;   in Loop: Header=BB412_32 Depth=1
	v_perm_b32 v19, v17, v16, s37
	v_perm_b32 v18, v15, v14, s37
	;; [unrolled: 1-line block ×4, first 2 shown]
	ds_write_b64 v83, v[18:19]
	ds_write_b64 v84, v[20:21]
	;; [unrolled: 1-line block ×4, first 2 shown]
	v_perm_b32 v19, v9, v8, s37
	v_perm_b32 v18, v7, v6, s37
	;; [unrolled: 1-line block ×4, first 2 shown]
	ds_write_b64 v85, v[18:19]
	ds_write_b64 v86, v[20:21]
	;; [unrolled: 1-line block ×4, first 2 shown]
	s_waitcnt lgkmcnt(0)
	s_barrier
	ds_read_b64 v[22:23], v91 offset:24576
	ds_read2_b64 v[18:21], v92 offset1:16
	ds_read_b64 v[26:27], v94 offset:3072
	ds_read_b64 v[28:29], v92 offset:3072
	;; [unrolled: 1-line block ×3, first 2 shown]
	s_waitcnt lgkmcnt(3)
	v_mfma_f32_16x16x16_bf16 a[0:3], v[22:23], v[18:19], 0
	s_add_i32 s2, s62, 63
	s_mul_i32 s3, s2, s29
	s_mul_hi_u32 s27, s2, s28
	v_mfma_f32_16x16x16_bf16 a[4:7], v[22:23], v[20:21], 0
	ds_read2st64_b64 v[18:21], v92 offset0:2 offset1:4
	ds_read2st64_b64 v[22:25], v94 offset0:2 offset1:4
	s_add_i32 s3, s27, s3
	s_waitcnt lgkmcnt(1)
	v_mfma_f32_16x16x16_bf16 a[0:3], v[30:31], v[18:19], a[0:3]
	s_mul_i32 s2, s2, s28
	s_lshl_b64 s[2:3], s[2:3], 2
	s_add_u32 s2, s42, s2
	s_waitcnt lgkmcnt(0)
	v_mfma_f32_16x16x16_bf16 a[4:7], v[30:31], v[22:23], a[4:7]
	ds_read_b64 v[18:19], v95 offset:24576
	ds_read_b64 v[22:23], v96 offset:24576
	s_addc_u32 s3, s43, s3
	s_and_b64 vcc, exec, s[0:1]
	s_waitcnt lgkmcnt(1)
	v_mfma_f32_16x16x16_bf16 a[0:3], v[18:19], v[20:21], a[0:3]
	v_mov_b32_e32 v115, 0
	v_mov_b32_e32 v114, 0
	;; [unrolled: 1-line block ×3, first 2 shown]
	v_mfma_f32_16x16x16_bf16 a[4:7], v[18:19], v[24:25], a[4:7]
	v_mov_b32_e32 v18, 0
	v_mov_b32_e32 v19, 0
	;; [unrolled: 1-line block ×3, first 2 shown]
	s_waitcnt lgkmcnt(0)
	v_mfma_f32_16x16x16_bf16 a[0:3], v[22:23], v[28:29], a[0:3]
	v_mov_b32_e32 v21, 0
	v_mov_b32_e32 v24, 0
	;; [unrolled: 1-line block ×3, first 2 shown]
	v_mfma_f32_16x16x16_bf16 a[4:7], v[22:23], v[26:27], a[4:7]
	v_mov_b32_e32 v22, 0
	v_mov_b32_e32 v23, 0
	v_mov_b32_e32 v26, 0
	v_mov_b32_e32 v27, 0
	v_mov_b32_e32 v28, 0
	v_mov_b32_e32 v29, 0
	v_mov_b32_e32 v30, 0
	v_mov_b32_e32 v31, 0
	v_mov_b32_e32 v32, 0
	v_mov_b32_e32 v33, 0
	s_cbranch_vccnz .LBB412_38
; %bb.37:                               ;   in Loop: Header=BB412_32 Depth=1
	s_and_b32 s21, s21, 0xffff
	buffer_load_dwordx4 v[30:33], v79, s[20:23], 0 offen
	buffer_load_dwordx4 v[26:29], v79, s[20:23], s60 offen
	;; [unrolled: 1-line block ×4, first 2 shown]
	v_mov_b32_e32 v114, v81
	v_mov_b32_e32 v113, v82
.LBB412_38:                             ;   in Loop: Header=BB412_32 Depth=1
	ds_read_b64 v[38:39], v91 offset:32768
	ds_read2_b64 v[34:37], v97 offset1:16
	ds_read_b64 v[42:43], v93 offset:32768
	ds_read_b64 v[44:45], v95 offset:32768
	;; [unrolled: 1-line block ×3, first 2 shown]
	v_add_u32_e32 v50, s62, v75
	s_waitcnt lgkmcnt(3)
	v_mfma_f32_16x16x16_bf16 a[0:3], v[38:39], v[34:35], a[0:3]
	v_mov_b32_e32 v116, 0
	v_mfma_f32_16x16x16_bf16 a[4:7], v[38:39], v[36:37], a[4:7]
	ds_read2st64_b64 v[34:37], v97 offset0:2 offset1:4
	ds_read2st64_b64 v[38:41], v98 offset0:2 offset1:4
	s_waitcnt lgkmcnt(1)
	v_mfma_f32_16x16x16_bf16 a[0:3], v[42:43], v[34:35], a[0:3]
	ds_read_b64 v[34:35], v97 offset:3072
	ds_read_b64 v[48:49], v98 offset:3072
	s_waitcnt lgkmcnt(2)
	v_mfma_f32_16x16x16_bf16 a[4:7], v[42:43], v[38:39], a[4:7]
	v_ashrrev_i32_e32 v38, 31, v50
	v_mul_lo_u32 v39, v50, s29
	v_mul_lo_u32 v38, v38, s28
	v_mfma_f32_16x16x16_bf16 a[0:3], v[44:45], v[36:37], a[0:3]
	v_mad_u64_u32 v[36:37], s[20:21], v50, s28, 0
	v_add3_u32 v37, v37, v39, v38
	v_lshl_add_u64 v[36:37], v[36:37], 2, s[42:43]
	global_load_dword v42, v[36:37], off
	v_add_u32_e32 v36, 1, v50
	v_ashrrev_i32_e32 v37, 31, v36
	s_waitcnt lgkmcnt(1)
	v_mfma_f32_16x16x16_bf16 a[0:3], v[46:47], v[34:35], a[0:3]
	v_mul_lo_u32 v37, v37, s28
	v_mul_lo_u32 v38, v36, s29
	v_mad_u64_u32 v[34:35], s[20:21], v36, s28, 0
	v_add_u32_e32 v36, 2, v50
	v_add3_u32 v35, v35, v38, v37
	v_ashrrev_i32_e32 v37, 31, v36
	v_mul_lo_u32 v38, v37, s28
	v_mul_lo_u32 v39, v36, s29
	v_mad_u64_u32 v[36:37], s[20:21], v36, s28, 0
	v_add3_u32 v37, v37, v39, v38
	v_add_u32_e32 v38, 3, v50
	v_ashrrev_i32_e32 v39, 31, v38
	v_mfma_f32_16x16x16_bf16 a[4:7], v[44:45], v[40:41], a[4:7]
	v_mul_lo_u32 v40, v39, s28
	v_mul_lo_u32 v41, v38, s29
	v_mad_u64_u32 v[38:39], s[20:21], v38, s28, 0
	s_add_u32 s20, s16, s62
	s_addc_u32 s21, s17, 0
	s_lshl_b64 s[20:21], s[20:21], 8
	v_add3_u32 v39, v39, v41, v40
	v_lshl_add_u64 v[40:41], v[66:67], 0, s[20:21]
	v_lshl_add_u64 v[34:35], v[34:35], 2, s[42:43]
	;; [unrolled: 1-line block ×4, first 2 shown]
	global_load_ushort v44, v[40:41], off
	global_load_ushort v43, v[40:41], off offset:256
	global_load_ushort v52, v[40:41], off offset:800
	;; [unrolled: 1-line block ×7, first 2 shown]
	v_lshl_add_u64 v[38:39], v[38:39], 2, s[42:43]
	global_load_dword v55, v[34:35], off
	global_load_dword v56, v[36:37], off
	global_load_dword v57, v[38:39], off
	s_load_dword s2, s[2:3], 0x0
	s_waitcnt lgkmcnt(0)
	v_mfma_f32_16x16x16_bf16 a[4:7], v[46:47], v[48:49], a[4:7]
	v_accvgpr_read_b32 v39, a1
	v_accvgpr_read_b32 v35, a3
	;; [unrolled: 1-line block ×4, first 2 shown]
	s_and_b64 vcc, exec, s[0:1]
	s_waitcnt vmcnt(11)
	v_sub_f32_e32 v48, s2, v42
	v_exp_f32_e32 v48, v48
	v_accvgpr_read_b32 v41, a5
	v_accvgpr_read_b32 v40, a4
	v_accvgpr_read_b32 v37, a7
	v_accvgpr_read_b32 v36, a6
	s_waitcnt vmcnt(10)
	v_lshlrev_b32_e32 v42, 16, v44
	s_waitcnt vmcnt(9)
	v_lshlrev_b32_e32 v43, 16, v43
	v_pk_add_f32 v[38:39], v[42:43], v[38:39] neg_lo:[0,1] neg_hi:[0,1]
	s_waitcnt vmcnt(7)
	v_lshlrev_b32_e32 v45, 16, v45
	v_mov_b32_e32 v42, 0
	s_waitcnt vmcnt(5)
	v_lshlrev_b32_e32 v44, 16, v50
	s_waitcnt vmcnt(4)
	v_lshlrev_b32_e32 v47, 16, v51
	s_waitcnt vmcnt(2)
	v_sub_f32_e32 v49, s2, v55
	s_waitcnt vmcnt(1)
	v_sub_f32_e32 v50, s2, v56
	;; [unrolled: 2-line block ×3, first 2 shown]
	v_exp_f32_e32 v49, v49
	v_exp_f32_e32 v50, v50
	;; [unrolled: 1-line block ×3, first 2 shown]
	v_pk_add_f32 v[34:35], v[44:45], v[34:35] neg_lo:[0,1] neg_hi:[0,1]
	v_lshlrev_b32_e32 v46, 16, v54
	v_pk_mul_f32 v[38:39], v[48:49], v[38:39]
	v_pk_mul_f32 v[34:35], v[50:51], v[34:35]
	v_mov_b32_e32 v43, 0
	v_perm_b32 v35, v35, v34, s37
	v_perm_b32 v34, v39, v38, s37
	v_pk_add_f32 v[38:39], v[46:47], v[40:41] neg_lo:[0,1] neg_hi:[0,1]
	v_lshlrev_b32_e32 v41, 16, v52
	v_lshlrev_b32_e32 v40, 16, v53
	v_pk_add_f32 v[36:37], v[40:41], v[36:37] neg_lo:[0,1] neg_hi:[0,1]
	v_pk_mul_f32 v[38:39], v[48:49], v[38:39]
	v_pk_mul_f32 v[36:37], v[50:51], v[36:37]
	v_mov_b32_e32 v40, 0
	v_perm_b32 v37, v37, v36, s37
	v_perm_b32 v36, v39, v38, s37
	ds_write2_b64 v84, v[34:35], v[36:37] offset1:16
	v_mov_b32_e32 v34, 0
	v_mov_b32_e32 v35, 0
	;; [unrolled: 1-line block ×13, first 2 shown]
	s_cbranch_vccnz .LBB412_40
; %bb.39:                               ;   in Loop: Header=BB412_32 Depth=1
	s_and_b32 s25, s25, 0xffff
	s_mov_b32 s27, s23
	buffer_load_dwordx4 v[46:49], v102, s[24:27], 0 offen
	buffer_load_dwordx4 v[38:41], v102, s[24:27], s60 offen
	;; [unrolled: 1-line block ×4, first 2 shown]
	v_mov_b32_e32 v115, v78
	v_mov_b32_e32 v116, v77
.LBB412_40:                             ;   in Loop: Header=BB412_32 Depth=1
	s_waitcnt lgkmcnt(0)
	s_barrier
	ds_read_b64 v[54:55], v104
	ds_read_b64 v[122:123], v101
	ds_read_b64 v[124:125], v105
	ds_read_b64 v[126:127], v106
	ds_read_b64 v[134:135], v107
	ds_read_b64 v[136:137], v98 offset:3072
	ds_read2_b64 v[50:53], v97 offset0:16 offset1:128
	s_waitcnt lgkmcnt(5)
	v_mfma_f32_16x16x16_bf16 a[0:3], v[54:55], v[122:123], 0
	s_add_i32 s3, s55, s67
	s_mul_hi_i32 s21, s3, s13
	s_mul_i32 s3, s3, s13
	s_waitcnt lgkmcnt(0)
	v_mfma_f32_16x16x16_bf16 a[4:7], v[54:55], v[50:51], 0
	ds_read_b64 v[54:55], v109
	ds_read2st64_b64 v[56:59], v98 offset0:2 offset1:4
	s_add_u32 s20, s3, s48
	s_addc_u32 s21, s21, s52
	s_add_i32 s3, s35, s62
	s_lshl_b64 s[20:21], s[20:21], 15
	s_mul_hi_i32 s25, s3, s13
	s_mul_i32 s3, s3, s13
	s_add_u32 s24, s3, s48
	s_waitcnt lgkmcnt(1)
	v_mfma_f32_16x16x16_bf16 a[8:11], v[54:55], v[122:123], 0
	s_addc_u32 s25, s25, s52
	ds_read2st64_b64 v[118:121], v97 offset0:4 offset1:6
	s_lshl_b64 s[24:25], s[24:25], 9
	v_mfma_f32_16x16x16_bf16 a[0:3], v[124:125], v[52:53], a[0:3]
	s_add_u32 s24, s40, s24
	s_addc_u32 s25, s41, s25
	s_waitcnt lgkmcnt(1)
	v_mfma_f32_16x16x16_bf16 a[4:7], v[124:125], v[56:57], a[4:7]
	ds_read_b64 v[124:125], v110
	ds_read_b64 v[132:133], v111
	;; [unrolled: 1-line block ×3, first 2 shown]
	v_mfma_f32_16x16x16_bf16 a[12:15], v[54:55], v[50:51], 0
	s_waitcnt lgkmcnt(2)
	v_mfma_f32_16x16x16_bf16 a[8:11], v[124:125], v[52:53], a[8:11]
	global_load_dwordx4 v[50:53], v108, s[24:25]
	v_mfma_f32_16x16x16_bf16 a[12:15], v[124:125], v[56:57], a[12:15]
	global_load_dwordx4 v[54:57], v63, s[24:25]
	ds_read2st64_b64 v[122:125], v99 offset1:8
	s_waitcnt lgkmcnt(0)
	v_mov_b32_e32 v130, v122
	v_mfma_f32_16x16x16_bf16 a[0:3], v[126:127], v[118:119], a[0:3]
	v_mov_b32_e32 v131, v123
	v_mfma_f32_16x16x16_bf16 a[4:7], v[126:127], v[58:59], a[4:7]
	ds_read2st64_b64 v[126:129], v100 offset1:8
	v_mfma_f32_16x16x16_bf16 a[8:11], v[132:133], v[118:119], a[8:11]
	v_lshl_add_u64 v[118:119], v[68:69], 0, s[20:21]
	v_mfma_f32_16x16x16_bf16 a[16:19], v[132:133], v[58:59], a[12:15]
	v_add_co_u32_e32 v58, vcc, s31, v118
	s_waitcnt lgkmcnt(0)
	v_mov_b32_e32 v132, v126
	v_mfma_f32_16x16x16_bf16 a[0:3], v[134:135], v[120:121], a[0:3]
	v_mov_b32_e32 v133, v127
	v_mov_b32_e32 v126, v124
	;; [unrolled: 1-line block ×3, first 2 shown]
	v_mfma_f32_16x16x16_bf16 a[4:7], v[134:135], v[136:137], a[4:7]
	v_addc_co_u32_e32 v59, vcc, 0, v119, vcc
	global_store_dwordx4 v[58:59], v[126:129], off
	v_mfma_f32_16x16x16_bf16 a[12:15], v[138:139], v[120:121], a[8:11]
	s_and_b64 vcc, exec, s[0:1]
	global_store_dwordx4 v[118:119], v[130:133], off
	s_waitcnt vmcnt(3)
	v_mov_b32_e32 v60, v53
	v_mfma_f32_16x16x16_bf16 a[8:11], v[138:139], v[136:137], a[16:19]
	v_mov_b32_e32 v59, v52
	v_mov_b32_e32 v58, v51
	s_cbranch_vccnz .LBB412_42
; %bb.41:                               ;   in Loop: Header=BB412_32 Depth=1
	v_lshrrev_b32_e32 v51, 3, v115
	v_and_b32_e32 v51, 6, v51
	v_xor_b32_e32 v52, v51, v116
	v_lshlrev_b32_e32 v52, 2, v52
	v_and_b32_e32 v53, 8, v115
	v_xor_b32_e32 v115, 0x440, v52
	v_cmp_eq_u32_e32 vcc, 0, v53
	v_perm_b32 v53, v38, v34, s63
	s_nop 0
	v_cndmask_b32_e32 v52, v115, v52, vcc
	v_lshl_or_b32 v51, v51, 10, v52
	v_perm_b32 v52, v46, v42, s63
	s_barrier
	ds_write2st64_b32 v51, v52, v53 offset0:32 offset1:64
	v_xor_b32_e32 v52, 8, v51
	v_perm_b32 v42, v46, v42, s64
	v_perm_b32 v34, v38, v34, s64
	v_add_u32_e32 v38, 0x80, v52
	ds_write2st64_b32 v38, v42, v34 offset0:32 offset1:64
	v_xor_b32_e32 v34, 16, v51
	v_perm_b32 v38, v47, v43, s63
	v_perm_b32 v42, v39, v35, s63
	ds_write2st64_b32 v34, v38, v42 offset0:33 offset1:65
	v_xor_b32_e32 v34, 24, v51
	v_perm_b32 v38, v47, v43, s64
	v_perm_b32 v35, v39, v35, s64
	v_add_u32_e32 v34, 0x80, v34
	ds_write2st64_b32 v34, v38, v35 offset0:33 offset1:65
	v_xor_b32_e32 v34, 32, v51
	v_perm_b32 v35, v48, v44, s63
	v_perm_b32 v38, v40, v36, s63
	;; [unrolled: 9-line block ×3, first 2 shown]
	ds_write2st64_b32 v34, v35, v36 offset0:35 offset1:67
	v_xor_b32_e32 v34, 56, v51
	v_perm_b32 v35, v49, v45, s64
	v_perm_b32 v36, v41, v37, s64
	v_add_u32_e32 v34, 0x80, v34
	ds_write2st64_b32 v34, v35, v36 offset0:35 offset1:67
	ds_write_b64 v114, v[30:31] offset:24576
	v_xor_b32_e32 v30, 8, v114
	ds_write_b64 v30, v[32:33] offset:24576
	ds_write_b64 v114, v[26:27] offset:32768
	;; [unrolled: 1-line block ×4, first 2 shown]
	v_xor_b32_e32 v22, 8, v113
	ds_write_b64 v22, v[24:25] offset:24576
	ds_write_b64 v113, v[18:19] offset:32768
	;; [unrolled: 1-line block ×3, first 2 shown]
.LBB412_42:                             ;   in Loop: Header=BB412_32 Depth=1
	v_exp_f32_e32 v34, s2
	s_waitcnt vmcnt(2)
	v_exp_f32_e32 v36, v54
	v_exp_f32_e32 v37, v55
	;; [unrolled: 1-line block ×4, first 2 shown]
	v_accvgpr_read_b32 v29, a3
	v_accvgpr_read_b32 v27, a1
	;; [unrolled: 1-line block ×4, first 2 shown]
	v_pk_mul_f32 v[36:37], v[34:35], v[36:37] op_sel_hi:[0,1]
	v_accvgpr_read_b32 v28, a2
	v_accvgpr_read_b32 v23, a5
	;; [unrolled: 1-line block ×3, first 2 shown]
	v_pk_fma_f32 v[14:15], v[14:15], v[36:37], v[26:27]
	v_pk_mul_f32 v[26:27], v[34:35], v[38:39] op_sel_hi:[0,1]
	v_pk_fma_f32 v[16:17], v[16:17], v[26:27], v[28:29]
	v_fma_f32 v6, v6, v36, v22
	v_fma_f32 v7, v7, v37, v23
	v_exp_f32_e32 v22, v50
	v_exp_f32_e32 v23, v58
	;; [unrolled: 1-line block ×4, first 2 shown]
	v_accvgpr_read_b32 v24, a6
	v_accvgpr_read_b32 v33, a15
	;; [unrolled: 1-line block ×9, first 2 shown]
	v_fma_f32 v8, v8, v26, v24
	v_fmac_f32_e32 v25, v9, v27
	v_pk_mul_f32 v[22:23], v[34:35], v[22:23] op_sel_hi:[0,1]
	v_pk_mul_f32 v[26:27], v[34:35], v[28:29] op_sel_hi:[0,1]
	s_add_i32 s62, s62, 64
	v_pk_fma_f32 v[10:11], v[10:11], v[22:23], v[30:31]
	v_pk_fma_f32 v[12:13], v[12:13], v[26:27], v[32:33]
	v_fma_f32 v2, v2, v22, v18
	v_fma_f32 v3, v3, v23, v19
	;; [unrolled: 1-line block ×3, first 2 shown]
	s_cmp_eq_u32 s51, s66
	v_fmac_f32_e32 v21, v5, v27
	s_cbranch_scc1 .LBB412_4
; %bb.43:                               ;   in Loop: Header=BB412_32 Depth=1
	s_mov_b32 s67, s66
	v_mov_b32_e32 v9, v25
	v_mov_b32_e32 v5, v21
	s_branch .LBB412_32
.LBB412_44:
                                        ; implicit-def: $vgpr5
                                        ; implicit-def: $vgpr9
                                        ; implicit-def: $vgpr13
                                        ; implicit-def: $vgpr17
	s_cbranch_execz .LBB412_46
; %bb.45:
	s_waitcnt vmcnt(0)
	v_mad_u64_u32 v[2:3], s[0:1], v20, s15, v[18:19]
	v_lshlrev_b32_e32 v20, 1, v2
	s_lshl_b32 s2, s15, 7
	s_and_b32 s1, s5, 0xffff
	s_mov_b32 s3, 0x20000
	s_mov_b32 s0, s4
	v_add_lshl_u32 v21, v2, s15, 1
	s_movk_i32 s13, 0x80
	buffer_load_dwordx4 v[2:5], v20, s[0:3], 0 offen
	buffer_load_dwordx4 v[10:13], v20, s[0:3], s13 offen
	;; [unrolled: 1-line block ×4, first 2 shown]
.LBB412_46:
	v_lshrrev_b32_e32 v30, 2, v61
	s_cbranch_execnz .LBB412_59
.LBB412_47:
	s_and_b64 vcc, exec, s[6:7]
	s_cbranch_vccz .LBB412_57
; %bb.48:
	s_waitcnt vmcnt(0)
	v_lshlrev_b32_e32 v7, 1, v23
	v_cmp_gt_i32_e32 vcc, s27, v7
	v_mov_b32_e32 v6, 0
	v_lshlrev_b32_e32 v14, 9, v23
	v_mov_b32_e32 v2, 0
	v_mov_b32_e32 v3, 0
	;; [unrolled: 1-line block ×4, first 2 shown]
	s_and_saveexec_b64 s[0:1], vcc
	s_cbranch_execz .LBB412_50
; %bb.49:
	v_mov_b32_e32 v15, 0
	v_lshl_add_u64 v[2:3], s[4:5], 0, v[14:15]
	v_lshlrev_b32_e32 v4, 1, v18
	v_mov_b32_e32 v5, v15
	v_lshl_add_u64 v[2:3], v[2:3], 0, v[4:5]
	global_load_dwordx4 v[2:5], v[2:3], off
.LBB412_50:
	s_or_b64 exec, exec, s[0:1]
	v_or_b32_e32 v7, 1, v7
	v_cmp_gt_i32_e64 s[0:1], s27, v7
	v_lshlrev_b32_e32 v20, 8, v7
	v_mov_b32_e32 v7, 0
	v_mov_b32_e32 v8, 0
	;; [unrolled: 1-line block ×3, first 2 shown]
	s_and_saveexec_b64 s[2:3], s[0:1]
	s_cbranch_execz .LBB412_52
; %bb.51:
	v_mov_b32_e32 v21, 0
	v_lshl_add_u64 v[6:7], s[4:5], 0, v[20:21]
	v_lshlrev_b32_e32 v8, 1, v18
	v_mov_b32_e32 v9, v21
	v_lshl_add_u64 v[6:7], v[6:7], 0, v[8:9]
	global_load_dwordx4 v[6:9], v[6:7], off
.LBB412_52:
	s_or_b64 exec, exec, s[2:3]
	v_mov_b32_e32 v17, 0
	v_mov_b32_e32 v10, 0
	;; [unrolled: 1-line block ×5, first 2 shown]
	s_and_saveexec_b64 s[2:3], vcc
	s_cbranch_execz .LBB412_54
; %bb.53:
	v_mov_b32_e32 v15, 0
	v_lshl_add_u64 v[10:11], s[4:5], 0, v[14:15]
	v_lshlrev_b32_e32 v14, 1, v18
	v_lshl_add_u64 v[10:11], v[10:11], 0, v[14:15]
	global_load_dwordx4 v[10:13], v[10:11], off offset:128
.LBB412_54:
	s_or_b64 exec, exec, s[2:3]
	v_mov_b32_e32 v16, 0
	v_mov_b32_e32 v15, 0
	v_mov_b32_e32 v14, 0
	s_and_saveexec_b64 s[2:3], s[0:1]
	s_cbranch_execz .LBB412_56
; %bb.55:
	v_mov_b32_e32 v21, 0
	v_lshl_add_u64 v[14:15], s[4:5], 0, v[20:21]
	v_lshlrev_b32_e32 v20, 1, v18
	v_lshl_add_u64 v[14:15], v[14:15], 0, v[20:21]
	global_load_dwordx4 v[14:17], v[14:15], off offset:128
.LBB412_56:
	s_or_b64 exec, exec, s[2:3]
	s_branch .LBB412_59
.LBB412_57:
                                        ; implicit-def: $vgpr5
                                        ; implicit-def: $vgpr9
                                        ; implicit-def: $vgpr13
                                        ; implicit-def: $vgpr17
	s_cbranch_execz .LBB412_59
; %bb.58:
	s_waitcnt vmcnt(0)
	v_lshlrev_b32_e32 v2, 1, v18
	v_lshl_or_b32 v18, v23, 9, v2
	s_and_b32 s5, s5, 0xffff
	s_mov_b32 s7, 0x20000
	s_movk_i32 s6, 0x4000
	s_movk_i32 s0, 0x80
	buffer_load_dwordx4 v[2:5], v18, s[4:7], 0 offen
	buffer_load_dwordx4 v[6:9], v18, s[4:7], 0 offen offset:256
	buffer_load_dwordx4 v[10:13], v18, s[4:7], s0 offen
	buffer_load_dwordx4 v[14:17], v18, s[4:7], s0 offen offset:256
.LBB412_59:
	ds_read_b64 v[20:21], v25 offset:32768
	v_add_u32_e32 v18, 0xb000, v24
	ds_read2_b64 v[32:35], v18 offset1:16
	ds_read_b64 v[40:41], v26 offset:32768
	ds_read_b64 v[26:27], v27 offset:32768
	;; [unrolled: 1-line block ×3, first 2 shown]
	v_and_b32_e32 v18, 6, v0
	v_xor_b32_e32 v23, v23, v18
	v_lshlrev_b32_e32 v23, 2, v23
	v_and_b32_e32 v0, 1, v0
	v_xor_b32_e32 v28, 0x440, v23
	v_cmp_eq_u32_e32 vcc, 0, v0
	s_waitcnt lgkmcnt(3)
	v_mfma_f32_16x16x16_bf16 a[0:3], v[20:21], v[32:33], a[0:3]
	s_mov_b32 s0, 0x1000504
	v_cndmask_b32_e32 v0, v28, v23, vcc
	v_lshl_or_b32 v0, v18, 10, v0
	v_mfma_f32_16x16x16_bf16 a[4:7], v[20:21], v[34:35], a[4:7]
	ds_read2st64_b64 v[32:35], v24 offset0:90 offset1:92
	ds_read2st64_b64 v[36:39], v29 offset0:90 offset1:92
	ds_read_b64 v[20:21], v24 offset:48128
	ds_read_b64 v[24:25], v29 offset:48128
	s_waitcnt vmcnt(0)
	v_perm_b32 v18, v2, v6, s0
	s_waitcnt lgkmcnt(3)
	v_mfma_f32_16x16x16_bf16 a[0:3], v[40:41], v[32:33], a[0:3]
	s_mov_b32 s1, 0x3020706
	v_perm_b32 v2, v2, v6, s1
	v_perm_b32 v6, v10, v14, s1
	s_waitcnt lgkmcnt(2)
	v_mfma_f32_16x16x16_bf16 a[4:7], v[40:41], v[36:37], a[4:7]
	v_mfma_f32_16x16x16_bf16 a[0:3], v[26:27], v[34:35], a[0:3]
	;; [unrolled: 1-line block ×3, first 2 shown]
	s_waitcnt lgkmcnt(1)
	v_mfma_f32_16x16x16_bf16 a[4:7], v[42:43], v[20:21], a[0:3]
	v_perm_b32 v20, v10, v14, s0
	ds_write2st64_b32 v0, v18, v20 offset0:32 offset1:64
	v_xor_b32_e32 v18, 8, v0
	v_add_u32_e32 v10, 0x80, v18
	ds_write2st64_b32 v10, v2, v6 offset0:32 offset1:64
	v_xor_b32_e32 v2, 16, v0
	v_perm_b32 v6, v3, v7, s0
	v_perm_b32 v10, v11, v15, s0
	ds_write2st64_b32 v2, v6, v10 offset0:33 offset1:65
	v_xor_b32_e32 v2, 24, v0
	v_perm_b32 v3, v3, v7, s1
	v_perm_b32 v6, v11, v15, s1
	v_add_u32_e32 v2, 0x80, v2
	ds_write2st64_b32 v2, v3, v6 offset0:33 offset1:65
	v_xor_b32_e32 v2, 32, v0
	v_perm_b32 v3, v4, v8, s0
	v_perm_b32 v6, v12, v16, s0
	s_waitcnt lgkmcnt(4)
	v_mfma_f32_16x16x16_bf16 a[0:3], v[42:43], v[24:25], a[8:11]
	ds_write2st64_b32 v2, v3, v6 offset0:34 offset1:66
	v_xor_b32_e32 v2, 40, v0
	v_perm_b32 v3, v4, v8, s1
	v_perm_b32 v4, v12, v16, s1
	v_add_u32_e32 v2, 0x80, v2
	ds_write2st64_b32 v2, v3, v4 offset0:34 offset1:66
	v_xor_b32_e32 v2, 48, v0
	v_perm_b32 v3, v5, v9, s0
	v_perm_b32 v4, v13, v17, s0
	v_xor_b32_e32 v0, 56, v0
	v_and_or_b32 v18, v30, 12, v1
	ds_write2st64_b32 v2, v3, v4 offset0:35 offset1:67
	v_perm_b32 v2, v5, v9, s1
	v_perm_b32 v3, v13, v17, s1
	v_add_u32_e32 v0, 0x80, v0
	v_cmp_gt_i32_e32 vcc, s27, v18
	v_mov_b32_e32 v14, 0
	v_mov_b32_e32 v16, 0
	ds_write2st64_b32 v0, v2, v3 offset0:35 offset1:67
	s_and_saveexec_b64 s[0:1], vcc
	s_cbranch_execz .LBB412_61
; %bb.60:
	v_add_u32_e32 v0, s26, v18
	v_ashrrev_i32_e32 v1, 31, v0
	v_mul_lo_u32 v2, v1, s28
	v_mul_lo_u32 v3, v0, s29
	v_mad_u64_u32 v[0:1], s[2:3], v0, s28, 0
	v_add3_u32 v1, v1, v3, v2
	v_lshl_add_u64 v[0:1], v[0:1], 2, s[10:11]
	global_load_dword v0, v[0:1], off
	s_waitcnt vmcnt(0)
	v_sub_f32_e32 v0, s12, v0
	v_exp_f32_e32 v16, v0
.LBB412_61:
	s_or_b64 exec, exec, s[0:1]
	v_or_b32_e32 v8, 1, v18
	v_cmp_gt_i32_e64 s[0:1], s27, v8
	s_and_saveexec_b64 s[2:3], s[0:1]
	s_cbranch_execz .LBB412_63
; %bb.62:
	v_add_u32_e32 v0, s26, v8
	v_ashrrev_i32_e32 v1, 31, v0
	v_mul_lo_u32 v2, v1, s28
	v_mul_lo_u32 v3, v0, s29
	v_mad_u64_u32 v[0:1], s[4:5], v0, s28, 0
	v_add3_u32 v1, v1, v3, v2
	v_lshl_add_u64 v[0:1], v[0:1], 2, s[10:11]
	global_load_dword v0, v[0:1], off
	s_waitcnt vmcnt(0)
	v_sub_f32_e32 v0, s12, v0
	v_exp_f32_e32 v14, v0
.LBB412_63:
	s_or_b64 exec, exec, s[2:3]
	v_or_b32_e32 v10, 2, v18
	v_cmp_gt_i32_e64 s[2:3], s27, v10
	v_mov_b32_e32 v15, 0
	v_mov_b32_e32 v17, 0
	s_and_saveexec_b64 s[4:5], s[2:3]
	s_cbranch_execz .LBB412_65
; %bb.64:
	v_add_u32_e32 v0, s26, v10
	v_ashrrev_i32_e32 v1, 31, v0
	v_mul_lo_u32 v2, v1, s28
	v_mul_lo_u32 v3, v0, s29
	v_mad_u64_u32 v[0:1], s[6:7], v0, s28, 0
	v_add3_u32 v1, v1, v3, v2
	v_lshl_add_u64 v[0:1], v[0:1], 2, s[10:11]
	global_load_dword v0, v[0:1], off
	s_waitcnt vmcnt(0)
	v_sub_f32_e32 v0, s12, v0
	v_exp_f32_e32 v17, v0
.LBB412_65:
	s_or_b64 exec, exec, s[4:5]
	v_or_b32_e32 v12, 3, v18
	v_cmp_gt_i32_e64 s[4:5], s27, v12
	s_and_saveexec_b64 s[6:7], s[4:5]
	s_cbranch_execz .LBB412_67
; %bb.66:
	v_add_u32_e32 v0, s26, v12
	v_ashrrev_i32_e32 v1, 31, v0
	v_mul_lo_u32 v2, v1, s28
	v_mul_lo_u32 v3, v0, s29
	v_mad_u64_u32 v[0:1], s[14:15], v0, s28, 0
	v_add3_u32 v1, v1, v3, v2
	v_lshl_add_u64 v[0:1], v[0:1], 2, s[10:11]
	global_load_dword v0, v[0:1], off
	s_waitcnt vmcnt(0)
	v_sub_f32_e32 v0, s12, v0
	v_exp_f32_e32 v15, v0
.LBB412_67:
	s_or_b64 exec, exec, s[6:7]
	s_add_u32 s6, s8, s20
	v_accvgpr_read_b32 v0, a4
	s_addc_u32 s7, s9, s21
	v_ashrrev_i32_e32 v63, 31, v62
	v_accvgpr_read_b32 v1, a5
	v_accvgpr_read_b32 v2, a6
	;; [unrolled: 1-line block ×3, first 2 shown]
	v_lshl_add_u64 v[4:5], v[62:63], 1, s[6:7]
	v_mov_b32_e32 v9, 0
	v_lshlrev_b32_e32 v6, 8, v18
	v_mov_b32_e32 v7, 0
	s_and_saveexec_b64 s[6:7], vcc
	s_cbranch_execz .LBB412_69
; %bb.68:
	v_mov_b32_e32 v7, 0
	v_lshl_add_u64 v[20:21], v[4:5], 0, v[6:7]
	global_load_ushort v7, v[20:21], off
	s_waitcnt vmcnt(0)
	v_lshlrev_b32_e32 v7, 16, v7
	v_sub_f32_e32 v0, v7, v0
	v_mul_f32_e32 v0, v16, v0
	v_lshrrev_b32_e32 v7, 16, v0
.LBB412_69:
	s_or_b64 exec, exec, s[6:7]
	v_lshlrev_b32_e32 v8, 8, v8
	s_and_saveexec_b64 s[6:7], s[0:1]
	s_cbranch_execz .LBB412_71
; %bb.70:
	v_mov_b32_e32 v9, 0
	v_lshl_add_u64 v[20:21], v[4:5], 0, v[8:9]
	global_load_ushort v0, v[20:21], off
	s_waitcnt vmcnt(0)
	v_lshlrev_b32_e32 v0, 16, v0
	v_sub_f32_e32 v0, v0, v1
	v_mul_f32_e32 v0, v14, v0
	v_lshrrev_b32_e32 v9, 16, v0
.LBB412_71:
	s_or_b64 exec, exec, s[6:7]
	v_mov_b32_e32 v13, 0
	v_lshlrev_b32_e32 v10, 8, v10
	v_mov_b32_e32 v11, 0
	s_and_saveexec_b64 s[6:7], s[2:3]
	s_cbranch_execz .LBB412_73
; %bb.72:
	v_mov_b32_e32 v11, 0
	v_lshl_add_u64 v[0:1], v[4:5], 0, v[10:11]
	global_load_ushort v0, v[0:1], off
	s_waitcnt vmcnt(0)
	v_lshlrev_b32_e32 v0, 16, v0
	v_sub_f32_e32 v0, v0, v2
	v_mul_f32_e32 v0, v17, v0
	v_lshrrev_b32_e32 v11, 16, v0
.LBB412_73:
	s_or_b64 exec, exec, s[6:7]
	v_lshlrev_b32_e32 v12, 8, v12
	s_and_saveexec_b64 s[6:7], s[4:5]
	s_cbranch_execz .LBB412_75
; %bb.74:
	v_mov_b32_e32 v13, 0
	v_lshl_add_u64 v[0:1], v[4:5], 0, v[12:13]
	global_load_ushort v0, v[0:1], off
	s_waitcnt vmcnt(0)
	v_lshlrev_b32_e32 v0, 16, v0
	v_sub_f32_e32 v0, v0, v3
	v_mul_f32_e32 v0, v15, v0
	v_lshrrev_b32_e32 v13, 16, v0
.LBB412_75:
	s_or_b64 exec, exec, s[6:7]
	v_lshlrev_b32_e32 v18, 5, v18
	s_mov_b32 s6, 0x5040100
	v_perm_b32 v20, v9, v7, s6
	v_or_b32_e32 v7, v18, v22
	v_accvgpr_read_b32 v0, a0
	v_perm_b32 v21, v13, v11, s6
	v_lshlrev_b32_e32 v7, 1, v7
	v_accvgpr_read_b32 v1, a1
	v_accvgpr_read_b32 v2, a2
	;; [unrolled: 1-line block ×3, first 2 shown]
	ds_write_b64 v7, v[20:21] offset:45056
	v_mov_b32_e32 v9, 0
	v_mov_b32_e32 v7, 0
	s_and_saveexec_b64 s[6:7], vcc
	s_cbranch_execz .LBB412_77
; %bb.76:
	v_mov_b32_e32 v7, 0
	v_lshl_add_u64 v[6:7], v[4:5], 0, v[6:7]
	global_load_ushort v6, v[6:7], off offset:32
	s_waitcnt vmcnt(0)
	v_lshlrev_b32_e32 v6, 16, v6
	v_sub_f32_e32 v0, v6, v0
	v_mul_f32_e32 v0, v16, v0
	v_lshrrev_b32_e32 v7, 16, v0
.LBB412_77:
	s_or_b64 exec, exec, s[6:7]
	s_and_saveexec_b64 s[6:7], s[0:1]
	s_cbranch_execz .LBB412_79
; %bb.78:
	v_mov_b32_e32 v9, 0
	v_lshl_add_u64 v[8:9], v[4:5], 0, v[8:9]
	global_load_ushort v0, v[8:9], off offset:32
	s_waitcnt vmcnt(0)
	v_lshlrev_b32_e32 v0, 16, v0
	v_sub_f32_e32 v0, v0, v1
	v_mul_f32_e32 v0, v14, v0
	v_lshrrev_b32_e32 v9, 16, v0
.LBB412_79:
	s_or_b64 exec, exec, s[6:7]
	v_mov_b32_e32 v0, 0
	v_mov_b32_e32 v1, 0
	s_and_saveexec_b64 s[0:1], s[2:3]
	s_cbranch_execz .LBB412_81
; %bb.80:
	v_mov_b32_e32 v11, 0
	v_lshl_add_u64 v[10:11], v[4:5], 0, v[10:11]
	global_load_ushort v1, v[10:11], off offset:32
	s_waitcnt vmcnt(0)
	v_lshlrev_b32_e32 v1, 16, v1
	v_sub_f32_e32 v1, v1, v2
	v_mul_f32_e32 v1, v17, v1
	v_lshrrev_b32_e32 v1, 16, v1
.LBB412_81:
	s_or_b64 exec, exec, s[0:1]
	s_and_saveexec_b64 s[0:1], s[4:5]
	s_cbranch_execz .LBB412_83
; %bb.82:
	v_mov_b32_e32 v13, 0
	v_lshl_add_u64 v[4:5], v[4:5], 0, v[12:13]
	global_load_ushort v0, v[4:5], off offset:32
	s_waitcnt vmcnt(0)
	v_lshlrev_b32_e32 v0, 16, v0
	v_sub_f32_e32 v0, v0, v3
	v_mul_f32_e32 v0, v15, v0
	v_lshrrev_b32_e32 v0, 16, v0
.LBB412_83:
	s_or_b64 exec, exec, s[0:1]
	s_mov_b32 s0, 0x5040100
	v_or_b32_e32 v2, v18, v19
	v_perm_b32 v1, v0, v1, s0
	v_perm_b32 v0, v9, v7, s0
	v_lshlrev_b32_e32 v2, 1, v2
	ds_write_b64 v2, v[0:1] offset:45056
	s_waitcnt lgkmcnt(0)
	s_barrier
.LBB412_84:
	s_endpgm
	.section	.rodata,"a",@progbits
	.p2align	6, 0x0
	.amdhsa_kernel _ZN12_GLOBAL__N_139chunk_gated_delta_rule_fwd_h_hip_kernelILi32ELb1ELb0ELb0ELb0ELb1ELb1ELb0ELb0EEEvPK12hip_bfloat16S3_S3_PKfS5_PKvPS1_S8_PvPKiSB_iiiiilll
		.amdhsa_group_segment_fixed_size 49152
		.amdhsa_private_segment_fixed_size 0
		.amdhsa_kernarg_size 136
		.amdhsa_user_sgpr_count 2
		.amdhsa_user_sgpr_dispatch_ptr 0
		.amdhsa_user_sgpr_queue_ptr 0
		.amdhsa_user_sgpr_kernarg_segment_ptr 1
		.amdhsa_user_sgpr_dispatch_id 0
		.amdhsa_user_sgpr_kernarg_preload_length 0
		.amdhsa_user_sgpr_kernarg_preload_offset 0
		.amdhsa_user_sgpr_private_segment_size 0
		.amdhsa_uses_dynamic_stack 0
		.amdhsa_enable_private_segment 0
		.amdhsa_system_sgpr_workgroup_id_x 1
		.amdhsa_system_sgpr_workgroup_id_y 1
		.amdhsa_system_sgpr_workgroup_id_z 0
		.amdhsa_system_sgpr_workgroup_info 0
		.amdhsa_system_vgpr_workitem_id 0
		.amdhsa_next_free_vgpr 160
		.amdhsa_next_free_sgpr 68
		.amdhsa_accum_offset 140
		.amdhsa_reserve_vcc 1
		.amdhsa_float_round_mode_32 0
		.amdhsa_float_round_mode_16_64 0
		.amdhsa_float_denorm_mode_32 3
		.amdhsa_float_denorm_mode_16_64 3
		.amdhsa_dx10_clamp 1
		.amdhsa_ieee_mode 1
		.amdhsa_fp16_overflow 0
		.amdhsa_tg_split 0
		.amdhsa_exception_fp_ieee_invalid_op 0
		.amdhsa_exception_fp_denorm_src 0
		.amdhsa_exception_fp_ieee_div_zero 0
		.amdhsa_exception_fp_ieee_overflow 0
		.amdhsa_exception_fp_ieee_underflow 0
		.amdhsa_exception_fp_ieee_inexact 0
		.amdhsa_exception_int_div_zero 0
	.end_amdhsa_kernel
	.section	.text._ZN12_GLOBAL__N_139chunk_gated_delta_rule_fwd_h_hip_kernelILi32ELb1ELb0ELb0ELb0ELb1ELb1ELb0ELb0EEEvPK12hip_bfloat16S3_S3_PKfS5_PKvPS1_S8_PvPKiSB_iiiiilll,"axG",@progbits,_ZN12_GLOBAL__N_139chunk_gated_delta_rule_fwd_h_hip_kernelILi32ELb1ELb0ELb0ELb0ELb1ELb1ELb0ELb0EEEvPK12hip_bfloat16S3_S3_PKfS5_PKvPS1_S8_PvPKiSB_iiiiilll,comdat
.Lfunc_end412:
	.size	_ZN12_GLOBAL__N_139chunk_gated_delta_rule_fwd_h_hip_kernelILi32ELb1ELb0ELb0ELb0ELb1ELb1ELb0ELb0EEEvPK12hip_bfloat16S3_S3_PKfS5_PKvPS1_S8_PvPKiSB_iiiiilll, .Lfunc_end412-_ZN12_GLOBAL__N_139chunk_gated_delta_rule_fwd_h_hip_kernelILi32ELb1ELb0ELb0ELb0ELb1ELb1ELb0ELb0EEEvPK12hip_bfloat16S3_S3_PKfS5_PKvPS1_S8_PvPKiSB_iiiiilll
                                        ; -- End function
	.section	.AMDGPU.csdata,"",@progbits
; Kernel info:
; codeLenInByte = 8544
; NumSgprs: 74
; NumVgprs: 140
; NumAgprs: 20
; TotalNumVgprs: 160
; ScratchSize: 0
; MemoryBound: 0
; FloatMode: 240
; IeeeMode: 1
; LDSByteSize: 49152 bytes/workgroup (compile time only)
; SGPRBlocks: 9
; VGPRBlocks: 19
; NumSGPRsForWavesPerEU: 74
; NumVGPRsForWavesPerEU: 160
; AccumOffset: 140
; Occupancy: 1
; WaveLimiterHint : 1
; COMPUTE_PGM_RSRC2:SCRATCH_EN: 0
; COMPUTE_PGM_RSRC2:USER_SGPR: 2
; COMPUTE_PGM_RSRC2:TRAP_HANDLER: 0
; COMPUTE_PGM_RSRC2:TGID_X_EN: 1
; COMPUTE_PGM_RSRC2:TGID_Y_EN: 1
; COMPUTE_PGM_RSRC2:TGID_Z_EN: 0
; COMPUTE_PGM_RSRC2:TIDIG_COMP_CNT: 0
; COMPUTE_PGM_RSRC3_GFX90A:ACCUM_OFFSET: 34
; COMPUTE_PGM_RSRC3_GFX90A:TG_SPLIT: 0
	.section	.text._ZN12_GLOBAL__N_139chunk_gated_delta_rule_fwd_h_hip_kernelILi32ELb0ELb1ELb1ELb0ELb1ELb1ELb0ELb0EEEvPK12hip_bfloat16S3_S3_PKfS5_PKvPS1_S8_PvPKiSB_iiiiilll,"axG",@progbits,_ZN12_GLOBAL__N_139chunk_gated_delta_rule_fwd_h_hip_kernelILi32ELb0ELb1ELb1ELb0ELb1ELb1ELb0ELb0EEEvPK12hip_bfloat16S3_S3_PKfS5_PKvPS1_S8_PvPKiSB_iiiiilll,comdat
	.globl	_ZN12_GLOBAL__N_139chunk_gated_delta_rule_fwd_h_hip_kernelILi32ELb0ELb1ELb1ELb0ELb1ELb1ELb0ELb0EEEvPK12hip_bfloat16S3_S3_PKfS5_PKvPS1_S8_PvPKiSB_iiiiilll ; -- Begin function _ZN12_GLOBAL__N_139chunk_gated_delta_rule_fwd_h_hip_kernelILi32ELb0ELb1ELb1ELb0ELb1ELb1ELb0ELb0EEEvPK12hip_bfloat16S3_S3_PKfS5_PKvPS1_S8_PvPKiSB_iiiiilll
	.p2align	8
	.type	_ZN12_GLOBAL__N_139chunk_gated_delta_rule_fwd_h_hip_kernelILi32ELb0ELb1ELb1ELb0ELb1ELb1ELb0ELb0EEEvPK12hip_bfloat16S3_S3_PKfS5_PKvPS1_S8_PvPKiSB_iiiiilll,@function
_ZN12_GLOBAL__N_139chunk_gated_delta_rule_fwd_h_hip_kernelILi32ELb0ELb1ELb1ELb0ELb1ELb1ELb0ELb0EEEvPK12hip_bfloat16S3_S3_PKfS5_PKvPS1_S8_PvPKiSB_iiiiilll: ; @_ZN12_GLOBAL__N_139chunk_gated_delta_rule_fwd_h_hip_kernelILi32ELb0ELb1ELb1ELb0ELb1ELb1ELb0ELb0EEEvPK12hip_bfloat16S3_S3_PKfS5_PKvPS1_S8_PvPKiSB_iiiiilll
; %bb.0:
	s_load_dwordx4 s[12:15], s[0:1], 0x5c
	s_load_dwordx2 s[34:35], s[0:1], 0x40
	s_abs_i32 s22, s3
	s_ashr_i32 s21, s3, 31
	s_load_dwordx8 s[4:11], s[0:1], 0x0
	s_load_dwordx2 s[36:37], s[0:1], 0x20
	s_load_dwordx4 s[16:19], s[0:1], 0x30
	s_waitcnt lgkmcnt(0)
	s_abs_i32 s20, s13
	v_cvt_f32_u32_e32 v1, s20
	s_sub_i32 s24, 0, s20
	s_ashr_i32 s23, s13, 31
	s_xor_b32 s21, s21, s23
	v_rcp_iflag_f32_e32 v1, v1
	v_lshrrev_b32_e32 v53, 6, v0
	v_bfe_u32 v64, v0, 4, 2
	v_lshlrev_b32_e32 v62, 4, v53
	v_mul_f32_e32 v1, 0x4f7ffffe, v1
	v_cvt_u32_f32_e32 v1, v1
	v_lshlrev_b32_e32 v18, 2, v64
	v_and_b32_e32 v63, 63, v0
	v_mov_b32_e32 v17, 0
	v_readfirstlane_b32 s25, v1
	s_mul_i32 s24, s24, s25
	s_mul_hi_u32 s24, s25, s24
	s_add_i32 s25, s25, s24
	s_mul_hi_u32 s24, s22, s25
	s_mul_i32 s25, s24, s20
	s_sub_i32 s22, s22, s25
	s_add_i32 s25, s24, 1
	s_sub_i32 s26, s22, s20
	s_cmp_ge_u32 s22, s20
	s_cselect_b32 s24, s25, s24
	s_cselect_b32 s22, s26, s22
	s_add_i32 s25, s24, 1
	s_cmp_ge_u32 s22, s20
	s_cselect_b32 s22, s25, s24
	s_xor_b32 s22, s22, s21
	s_sub_i32 s52, s22, s21
	s_abs_i32 s21, s14
	v_cvt_f32_u32_e32 v1, s21
	s_ashr_i32 s51, s12, 31
	s_lshr_b32 s22, s51, 26
	s_add_i32 s22, s12, s22
	v_rcp_iflag_f32_e32 v1, v1
	s_ashr_i32 s54, s14, 31
	s_ashr_i32 s53, s22, 6
	s_xor_b32 s22, s23, s54
	v_mul_f32_e32 v1, 0x4f7ffffe, v1
	v_cvt_u32_f32_e32 v1, v1
	s_sub_i32 s23, 0, s21
	s_mul_i32 s50, s52, s13
	s_sub_i32 s33, s3, s50
	v_readfirstlane_b32 s24, v1
	s_mul_i32 s23, s23, s24
	s_mul_hi_u32 s23, s24, s23
	s_add_i32 s24, s24, s23
	s_mul_hi_u32 s23, s20, s24
	s_mul_i32 s24, s23, s21
	s_sub_i32 s20, s20, s24
	s_add_i32 s3, s12, 63
	s_add_i32 s24, s23, 1
	s_sub_i32 s25, s20, s21
	s_cmp_ge_u32 s20, s21
	s_cselect_b32 s23, s24, s23
	s_cselect_b32 s20, s25, s20
	s_add_i32 s24, s23, 1
	s_cmp_ge_u32 s20, s21
	s_cselect_b32 s20, s24, s23
	s_xor_b32 s20, s20, s22
	s_sub_i32 s24, s20, s22
	s_abs_i32 s25, s24
	v_cvt_f32_u32_e32 v1, s25
	s_load_dwordx2 s[38:39], s[0:1], 0x80
	s_load_dwordx4 s[20:23], s[0:1], 0x70
	s_xor_b32 s0, s33, s24
	s_sub_i32 s24, 0, s25
	v_rcp_iflag_f32_e32 v1, v1
	s_abs_i32 s1, s33
	s_ashr_i32 s0, s0, 31
	s_mul_i32 s48, s52, s12
	v_mul_f32_e32 v1, 0x4f7ffffe, v1
	v_cvt_u32_f32_e32 v1, v1
	v_and_b32_e32 v65, 15, v0
	s_mul_hi_i32 s56, s52, s13
	v_lshrrev_b32_e32 v67, 3, v63
	v_readfirstlane_b32 s26, v1
	s_mul_i32 s24, s24, s26
	s_mul_hi_u32 s24, s26, s24
	s_add_i32 s26, s26, s24
	s_mul_hi_u32 s24, s1, s26
	s_mul_i32 s26, s24, s25
	s_sub_i32 s1, s1, s26
	s_add_i32 s26, s24, 1
	s_sub_i32 s27, s1, s25
	s_cmp_ge_u32 s1, s25
	s_cselect_b32 s24, s26, s24
	s_cselect_b32 s1, s27, s1
	s_add_i32 s26, s24, 1
	s_cmp_ge_u32 s1, s25
	s_cselect_b32 s1, s26, s24
	s_xor_b32 s1, s1, s0
	s_sub_i32 s57, s1, s0
	s_ashr_i32 s0, s3, 31
	s_lshr_b32 s0, s0, 26
	s_add_i32 s3, s3, s0
	v_or_b32_e32 v1, v18, v62
	s_ashr_i32 s0, s3, 6
	s_lshl_b32 s2, s2, 5
	s_mul_i32 s55, s52, s0
	v_or_b32_e32 v68, 64, v1
	s_cmp_lt_i32 s12, 64
	v_lshlrev_b32_e32 v66, 3, v0
	s_waitcnt lgkmcnt(0)
	s_mul_i32 s21, s52, s21
	s_mul_hi_u32 s49, s52, s20
	s_mul_i32 s40, s52, s20
	v_mov_b32_e32 v16, v17
	v_mov_b32_e32 v15, v17
	;; [unrolled: 1-line block ×15, first 2 shown]
	s_cbranch_scc1 .LBB413_19
; %bb.1:
	s_ashr_i32 s3, s52, 31
	s_ashr_i32 s59, s33, 31
	s_add_u32 s0, s50, s33
	s_addc_u32 s1, s56, s59
	s_mul_i32 s1, s12, s1
	s_mul_hi_u32 s24, s12, s0
	s_add_i32 s43, s24, s1
	s_mul_i32 s42, s12, s0
	s_lshl_b64 s[0:1], s[42:43], 8
	v_and_b32_e32 v70, 56, v66
	s_add_u32 s24, s6, s0
	v_lshl_or_b32 v69, v53, 3, v67
	v_lshlrev_b32_e32 v2, 1, v70
	s_addc_u32 s0, s7, s1
	v_lshl_or_b32 v71, v69, 8, v2
	s_and_b32 s25, s0, 0xffff
	s_mov_b32 s27, 0x20000
	s_movk_i32 s26, 0x4000
	s_movk_i32 s0, 0x80
	v_or_b32_e32 v72, 0x2000, v71
	buffer_load_dwordx4 v[4:7], v71, s[24:27], 0 offen
	buffer_load_dwordx4 v[8:11], v71, s[24:27], s0 offen
	;; [unrolled: 1-line block ×4, first 2 shown]
	v_lshlrev_b32_e32 v3, 3, v69
	v_and_or_b32 v17, v0, 7, v3
	v_and_b32_e32 v3, 0x78, v3
	v_lshlrev_b32_e32 v17, 4, v17
	v_xor_b32_e32 v73, v17, v3
	v_mul_lo_u32 v16, v69, s15
	v_or_b32_e32 v74, 0x1000, v73
	v_xor_b32_e32 v3, 8, v73
	s_cmpk_eq_i32 s15, 0x80
	s_mov_b32 s58, s14
	v_xor_b32_e32 v17, 8, v74
	s_cselect_b64 s[0:1], -1, 0
	s_cmpk_lg_i32 s15, 0x80
	s_waitcnt vmcnt(3)
	ds_write_b64 v73, v[4:5] offset:24576
	ds_write_b64 v3, v[6:7] offset:24576
	s_waitcnt vmcnt(2)
	ds_write_b64 v73, v[8:9] offset:32768
	ds_write_b64 v3, v[10:11] offset:32768
	s_waitcnt vmcnt(1)
	ds_write_b64 v73, v[12:13] offset:28672
	ds_write_b64 v17, v[14:15] offset:24576
	s_waitcnt vmcnt(0)
	ds_write_b64 v73, v[20:21] offset:36864
	ds_write_b64 v17, v[22:23] offset:32768
	v_lshl_add_u32 v3, v16, 1, v70
	s_cbranch_scc0 .LBB413_3
; %bb.2:
	v_lshlrev_b32_e32 v5, 1, v3
	v_add_lshl_u32 v4, v3, s15, 1
	s_lshl_b32 s26, s15, 7
	v_lshl_or_b32 v2, v69, 9, v2
	s_cbranch_execz .LBB413_4
	s_branch .LBB413_5
.LBB413_3:
                                        ; implicit-def: $vgpr4
                                        ; implicit-def: $vgpr5
                                        ; implicit-def: $sgpr26
	v_lshl_or_b32 v2, v69, 9, v2
.LBB413_4:
	v_or_b32_e32 v4, 0x100, v2
	s_movk_i32 s26, 0x4000
	v_mov_b32_e32 v5, v2
.LBB413_5:
	s_mul_hi_u32 s24, s14, s12
	s_mul_i32 s25, s54, s12
	s_add_i32 s24, s24, s25
	s_mul_i32 s25, s14, s12
	s_mul_i32 s27, s25, s3
	s_mul_hi_u32 s28, s25, s52
	s_add_i32 s27, s28, s27
	s_mul_i32 s24, s24, s52
	s_add_i32 s27, s27, s24
	s_mul_i32 s25, s25, s52
	s_ashr_i32 s60, s57, 31
	s_add_u32 s24, s25, s57
	s_addc_u32 s25, s27, s60
	s_lshl_b64 s[24:25], s[24:25], 8
	s_add_u32 s24, s4, s24
	s_addc_u32 s25, s5, s25
	s_and_b32 s25, s25, 0xffff
	s_mov_b32 s27, 0x20000
	s_movk_i32 s61, 0x80
	buffer_load_dwordx4 v[6:9], v5, s[24:27], 0 offen
	buffer_load_dwordx4 v[10:13], v5, s[24:27], s61 offen
	buffer_load_dwordx4 v[14:17], v4, s[24:27], 0 offen
	buffer_load_dwordx4 v[20:23], v4, s[24:27], s61 offen
	v_and_b32_e32 v4, 6, v0
	s_mul_i32 s24, s3, s12
	s_mul_hi_u32 s25, s52, s12
	v_lshlrev_b32_e32 v24, 6, v1
	v_or_b32_e32 v26, 16, v65
	v_xor_b32_e32 v27, v69, v4
	v_and_b32_e32 v5, 1, v0
	v_lshl_or_b32 v30, v65, 3, v24
	v_lshl_or_b32 v24, v26, 3, v24
	v_lshlrev_b32_e32 v27, 2, v27
	s_add_i32 s65, s25, s24
	s_add_i32 s24, s49, s21
	s_mul_i32 s3, s3, s20
	v_lshlrev_b32_e32 v19, 2, v65
	v_or_b32_e32 v77, 0xa000, v24
	v_or_b32_e32 v78, 0xb000, v24
	v_xor_b32_e32 v24, 0x440, v27
	v_cmp_eq_u32_e32 vcc, 0, v5
	s_add_i32 s41, s24, s3
	s_mul_i32 s3, s33, s23
	s_mul_hi_u32 s24, s33, s22
	v_xor_b32_e32 v28, v1, v19
	v_xor_b32_e32 v29, v68, v19
	v_cndmask_b32_e32 v5, v24, v27, vcc
	s_add_i32 s3, s24, s3
	s_mul_i32 s24, s59, s22
	s_mov_b32 s63, 0x1000504
	v_lshlrev_b32_e32 v25, 8, v65
	v_lshlrev_b32_e32 v28, 1, v28
	;; [unrolled: 1-line block ×3, first 2 shown]
	v_lshl_or_b32 v4, v4, 10, v5
	s_add_i32 s25, s3, s24
	s_lshl_b64 s[28:29], s[40:41], 2
	s_mov_b32 s64, 0x3020706
	v_or_b32_e32 v75, 0xa000, v30
	v_or_b32_e32 v76, 0xb000, v30
	;; [unrolled: 1-line block ×4, first 2 shown]
	v_xor_b32_e32 v5, 8, v4
	v_xor_b32_e32 v25, 24, v4
	;; [unrolled: 1-line block ×4, first 2 shown]
	s_mul_i32 s24, s33, s22
	s_add_u32 s3, s10, s28
	v_xor_b32_e32 v24, 16, v4
	v_xor_b32_e32 v27, 32, v4
	;; [unrolled: 1-line block ×3, first 2 shown]
	v_add_u32_e32 v5, 0x80, v5
	v_add_u32_e32 v25, 0x80, v25
	;; [unrolled: 1-line block ×4, first 2 shown]
	s_addc_u32 s26, s11, s29
	s_lshl_b64 s[24:25], s[24:25], 2
	s_add_u32 s44, s3, s24
	s_movk_i32 s3, 0xf8
	s_addc_u32 s45, s26, s25
	s_lshl_b32 s30, s15, 7
	s_movk_i32 s28, 0x100
	v_mov_b32_e32 v55, 0
	v_lshlrev_b32_e32 v54, 4, v65
	v_cmp_gt_u32_e32 vcc, s28, v0
	v_lshlrev_b32_e32 v26, 8, v26
	v_or_b32_e32 v81, v26, v28
	v_or_b32_e32 v82, v26, v29
	s_mov_b32 s62, 0
	s_movk_i32 s41, 0x1000
	s_movk_i32 s26, 0x4000
	v_add_u32_e32 v96, v62, v18
	s_mov_b32 s66, 0x7060302
	s_mov_b32 s68, 0
	v_mov_b32_e32 v107, v55
	v_mov_b32_e32 v108, v55
	;; [unrolled: 1-line block ×8, first 2 shown]
	s_waitcnt vmcnt(1)
	v_perm_b32 v33, v6, v14, s63
	s_waitcnt vmcnt(0)
	v_perm_b32 v34, v10, v20, s63
	v_perm_b32 v6, v6, v14, s64
	;; [unrolled: 1-line block ×15, first 2 shown]
	ds_write2st64_b32 v4, v33, v34 offset0:32 offset1:64
	ds_write2st64_b32 v5, v6, v10 offset0:32 offset1:64
	;; [unrolled: 1-line block ×8, first 2 shown]
	v_or_b32_e32 v4, v62, v65
	v_lshlrev_b32_e32 v4, 3, v4
	v_lshrrev_b32_e32 v6, 5, v63
	v_and_or_b32 v6, v4, s3, v6
	v_lshlrev_b32_e32 v6, 4, v6
	v_lshrrev_b32_e32 v5, 2, v63
	v_lshlrev_b32_e32 v11, 11, v53
	v_and_b32_e32 v4, 0x78, v4
	v_or_b32_e32 v10, 32, v6
	v_and_b32_e32 v7, 12, v5
	v_and_b32_e32 v5, 0x1000, v11
	v_xor_b32_e32 v8, v6, v4
	v_lshrrev_b32_e32 v9, 1, v63
	v_xor_b32_e32 v10, v10, v4
	v_or_b32_e32 v8, v8, v5
	v_and_b32_e32 v9, 8, v9
	v_lshlrev_b32_e32 v12, 7, v64
	v_or_b32_e32 v10, v10, v5
	v_xor_b32_e32 v83, v8, v9
	v_or_b32_e32 v8, v12, v19
	v_xor_b32_e32 v85, v10, v9
	v_or_b32_e32 v10, 64, v6
	v_or_b32_e32 v6, 0x60, v6
	s_ashr_i32 s3, s2, 31
	v_lshlrev_b32_e32 v8, 1, v8
	v_xor_b32_e32 v10, v10, v4
	v_xor_b32_e32 v4, v6, v4
	s_lshl_b64 s[24:25], s[2:3], 8
	v_or_b32_e32 v84, 0xa000, v8
	v_or_b32_e32 v86, 0xa080, v8
	;; [unrolled: 1-line block ×6, first 2 shown]
	s_add_u32 s24, s16, s24
	v_lshlrev_b32_e32 v8, 1, v65
	v_lshlrev_b32_e32 v19, 2, v0
	v_lshrrev_b32_e32 v22, 1, v0
	v_xor_b32_e32 v87, v10, v9
	v_xor_b32_e32 v88, v4, v9
	v_lshrrev_b32_e32 v10, 4, v0
	s_addc_u32 s25, s17, s25
	v_or_b32_e32 v9, 1, v8
	v_mov_b32_e32 v20, 0x4000
	v_mov_b32_e32 v21, 0x2000
	v_and_b32_e32 v22, 24, v22
	v_and_or_b32 v12, v19, 60, v12
	v_mov_b32_e32 v19, 0xb000
	v_xor_b32_e32 v15, v10, v8
	v_xor_b32_e32 v16, v9, v10
	v_lshl_add_u64 v[8:9], s[24:25], 0, v[54:55]
	v_lshlrev_b32_e32 v54, 8, v10
	v_cndmask_b32_e32 v20, v20, v21, vcc
	v_lshlrev_b32_e32 v21, 3, v53
	v_lshl_or_b32 v93, v12, 1, v19
	v_or_b32_e32 v12, 32, v22
	v_lshl_or_b32 v91, v15, 3, v54
	v_and_b32_e32 v15, 8, v0
	v_xor_b32_e32 v12, v21, v12
	v_cmp_eq_u32_e32 vcc, 0, v15
	v_or_b32_e32 v19, 0x440, v12
	v_and_b32_e32 v10, 7, v0
	v_cndmask_b32_e32 v12, v19, v12, vcc
	v_lshl_or_b32 v92, v16, 3, v54
	v_lshlrev_b32_e32 v16, 3, v10
	v_or_b32_e32 v12, v12, v11
	v_xor_b32_e32 v19, v12, v16
	v_or_b32_e32 v12, 64, v22
	v_xor_b32_e32 v12, v21, v12
	v_xor_b32_e32 v25, 0x440, v12
	v_cndmask_b32_e32 v12, v25, v12, vcc
	v_or_b32_e32 v12, v12, v11
	v_xor_b32_e32 v25, v12, v16
	v_or_b32_e32 v12, 0x60, v22
	v_xor_b32_e32 v23, v21, v22
	v_xor_b32_e32 v12, v21, v12
	v_or_b32_e32 v24, 0x440, v23
	v_xor_b32_e32 v21, 0x440, v12
	v_cndmask_b32_e32 v15, v24, v23, vcc
	v_cndmask_b32_e32 v12, v21, v12, vcc
	v_or_b32_e32 v4, s2, v65
	v_or_b32_e32 v15, v15, v11
	;; [unrolled: 1-line block ×3, first 2 shown]
	v_ashrrev_i32_e32 v5, 31, v4
	v_lshlrev_b32_e32 v13, 1, v3
	v_add_lshl_u32 v3, v3, s15, 1
	v_or_b32_e32 v14, 0x100, v2
	v_xor_b32_e32 v15, v15, v16
	v_xor_b32_e32 v11, v11, v16
	v_lshlrev_b32_e32 v6, 7, v1
	v_lshlrev_b32_e32 v17, 7, v10
	v_or_b32_e32 v10, v7, v62
	v_add_u32_e32 v23, v20, v15
	v_add_u32_e32 v24, v20, v19
	;; [unrolled: 1-line block ×4, first 2 shown]
	v_or3_b32 v12, v62, v7, 64
	v_add_u32_e32 v7, 0x4000, v15
	v_add_u32_e32 v15, 0x4000, v19
	;; [unrolled: 1-line block ×4, first 2 shown]
	v_cndmask_b32_e64 v94, v13, v2, s[0:1]
	v_cndmask_b32_e64 v95, v3, v14, s[0:1]
	v_lshlrev_b64 v[2:3], 1, v[4:5]
	v_lshl_add_u64 v[56:57], s[8:9], 0, v[2:3]
	v_lshl_add_u64 v[58:59], s[18:19], 0, v[2:3]
	;; [unrolled: 1-line block ×3, first 2 shown]
	s_add_i32 s3, s48, 63
	v_lshlrev_b32_e32 v54, 1, v6
	v_lshlrev_b32_e32 v97, 2, v10
	v_add_u32_e32 v98, v23, v17
	v_add_u32_e32 v99, v24, v17
	;; [unrolled: 1-line block ×4, first 2 shown]
	v_lshlrev_b32_e32 v102, 2, v12
	v_add_u32_e32 v103, v7, v17
	v_add_u32_e32 v104, v15, v17
	;; [unrolled: 1-line block ×4, first 2 shown]
	v_mov_b32_e32 v2, v55
	v_mov_b32_e32 v3, v55
	;; [unrolled: 1-line block ×8, first 2 shown]
	s_waitcnt lgkmcnt(0)
	s_barrier
.LBB413_6:                              ; =>This Inner Loop Header: Depth=1
	s_add_i32 s67, s68, 1
	s_cmp_lt_i32 s67, s53
	s_mov_b64 s[28:29], 0
	s_cselect_b64 s[46:47], -1, 0
	s_cmp_ge_i32 s67, s53
	s_mov_b64 s[24:25], 0
	s_cbranch_scc1 .LBB413_8
; %bb.7:                                ;   in Loop: Header=BB413_6 Depth=1
	s_add_i32 s0, s62, 64
	s_add_u32 s0, s42, s0
	s_addc_u32 s1, s43, 0
	s_lshl_b64 s[0:1], s[0:1], 8
	s_add_u32 s24, s6, s0
	s_addc_u32 s25, s7, s1
.LBB413_8:                              ;   in Loop: Header=BB413_6 Depth=1
	v_cndmask_b32_e64 v10, 0, 1, s[46:47]
	v_cmp_ne_u32_e64 s[0:1], 1, v10
	s_andn2_b64 vcc, exec, s[46:47]
	s_cbranch_vccnz .LBB413_10
; %bb.9:                                ;   in Loop: Header=BB413_6 Depth=1
	s_add_i32 s28, s62, 64
	s_add_u32 s28, s48, s28
	s_addc_u32 s29, s65, 0
	s_mul_i32 s31, s28, s54
	s_mul_hi_u32 s46, s28, s58
	s_add_i32 s31, s46, s31
	s_mul_i32 s29, s29, s58
	s_add_i32 s31, s31, s29
	s_mul_i32 s28, s28, s58
	s_add_u32 s28, s28, s57
	s_addc_u32 s29, s31, s60
	s_lshl_b64 s[28:29], s[28:29], 8
	s_add_u32 s28, s4, s28
	s_addc_u32 s29, s5, s29
.LBB413_10:                             ;   in Loop: Header=BB413_6 Depth=1
	v_perm_b32 v11, v5, v4, s66
	v_perm_b32 v10, v3, v2, s66
	;; [unrolled: 1-line block ×4, first 2 shown]
	ds_write_b64 v75, v[10:11]
	ds_write_b64 v76, v[12:13]
	ds_write_b64 v79, v[10:11]
	ds_write_b64 v80, v[12:13]
	v_perm_b32 v11, v114, v109, s66
	v_perm_b32 v10, v108, v107, s66
	;; [unrolled: 1-line block ×4, first 2 shown]
	ds_write_b64 v77, v[10:11]
	ds_write_b64 v78, v[12:13]
	;; [unrolled: 1-line block ×4, first 2 shown]
	s_waitcnt lgkmcnt(0)
	s_barrier
	ds_read_b64 v[14:15], v83 offset:24576
	ds_read2_b64 v[10:13], v84 offset1:16
	ds_read_b64 v[18:19], v86 offset:3072
	ds_read_b64 v[20:21], v84 offset:3072
	;; [unrolled: 1-line block ×3, first 2 shown]
	s_waitcnt lgkmcnt(3)
	v_mfma_f32_16x16x16_bf16 a[0:3], v[14:15], v[10:11], 0
	s_add_i32 s31, s62, 63
	s_mul_i32 s46, s31, s39
	s_mul_hi_u32 s47, s31, s38
	v_mfma_f32_16x16x16_bf16 a[4:7], v[14:15], v[12:13], 0
	ds_read2st64_b64 v[10:13], v84 offset0:2 offset1:4
	ds_read2st64_b64 v[14:17], v86 offset0:2 offset1:4
	s_add_i32 s47, s47, s46
	s_waitcnt lgkmcnt(1)
	v_mfma_f32_16x16x16_bf16 a[0:3], v[22:23], v[10:11], a[0:3]
	s_mul_i32 s46, s31, s38
	s_lshl_b64 s[46:47], s[46:47], 2
	s_add_u32 s46, s44, s46
	s_waitcnt lgkmcnt(0)
	v_mfma_f32_16x16x16_bf16 a[4:7], v[22:23], v[14:15], a[4:7]
	ds_read_b64 v[10:11], v87 offset:24576
	ds_read_b64 v[14:15], v88 offset:24576
	s_addc_u32 s47, s45, s47
	s_and_b64 vcc, exec, s[0:1]
	s_waitcnt lgkmcnt(1)
	v_mfma_f32_16x16x16_bf16 a[0:3], v[10:11], v[12:13], a[0:3]
	v_mov_b32_e32 v117, 0
	v_mov_b32_e32 v116, 0
	;; [unrolled: 1-line block ×3, first 2 shown]
	v_mfma_f32_16x16x16_bf16 a[8:11], v[10:11], v[16:17], a[4:7]
	v_mov_b32_e32 v10, 0
	v_mov_b32_e32 v11, 0
	v_mov_b32_e32 v12, 0
	s_waitcnt lgkmcnt(0)
	v_mfma_f32_16x16x16_bf16 a[4:7], v[14:15], v[20:21], a[0:3]
	v_mov_b32_e32 v13, 0
	v_mov_b32_e32 v16, 0
	v_mov_b32_e32 v17, 0
	v_mfma_f32_16x16x16_bf16 a[0:3], v[14:15], v[18:19], a[8:11]
	v_mov_b32_e32 v14, 0
	v_mov_b32_e32 v15, 0
	;; [unrolled: 1-line block ×10, first 2 shown]
	s_cbranch_vccnz .LBB413_12
; %bb.11:                               ;   in Loop: Header=BB413_6 Depth=1
	s_and_b32 s25, s25, 0xffff
	buffer_load_dwordx4 v[22:25], v71, s[24:27], 0 offen
	buffer_load_dwordx4 v[18:21], v71, s[24:27], s61 offen
	;; [unrolled: 1-line block ×4, first 2 shown]
	v_mov_b32_e32 v116, v73
	v_mov_b32_e32 v115, v74
.LBB413_12:                             ;   in Loop: Header=BB413_6 Depth=1
	ds_read_b64 v[34:35], v83 offset:32768
	ds_read2_b64 v[26:29], v89 offset1:16
	ds_read_b64 v[36:37], v85 offset:32768
	ds_read_b64 v[38:39], v87 offset:32768
	;; [unrolled: 1-line block ×3, first 2 shown]
	ds_read2st64_b64 v[30:33], v89 offset0:2 offset1:4
	v_add_u32_e32 v42, s62, v96
	s_waitcnt lgkmcnt(4)
	v_mfma_f32_16x16x16_bf16 a[4:7], v[34:35], v[26:27], a[4:7]
	v_ashrrev_i32_e32 v26, 31, v42
	v_mfma_f32_16x16x16_bf16 a[0:3], v[34:35], v[28:29], a[0:3]
	v_mul_lo_u32 v28, v42, s39
	v_mul_lo_u32 v29, v26, s38
	v_mad_u64_u32 v[26:27], s[24:25], v42, s38, 0
	v_add3_u32 v27, v27, v28, v29
	v_add_u32_e32 v28, 1, v42
	v_ashrrev_i32_e32 v29, 31, v28
	s_waitcnt lgkmcnt(0)
	v_mfma_f32_16x16x16_bf16 a[4:7], v[36:37], v[30:31], a[4:7]
	v_mul_lo_u32 v30, v29, s38
	v_mul_lo_u32 v31, v28, s39
	v_mad_u64_u32 v[28:29], s[24:25], v28, s38, 0
	v_add3_u32 v29, v29, v31, v30
	v_add_u32_e32 v30, 2, v42
	v_ashrrev_i32_e32 v31, 31, v30
	v_mul_lo_u32 v34, v31, s38
	v_mul_lo_u32 v35, v30, s39
	v_mad_u64_u32 v[30:31], s[24:25], v30, s38, 0
	v_add3_u32 v31, v31, v35, v34
	v_add_u32_e32 v34, 3, v42
	v_ashrrev_i32_e32 v35, 31, v34
	v_mul_lo_u32 v42, v35, s38
	v_mul_lo_u32 v43, v34, s39
	v_mad_u64_u32 v[34:35], s[24:25], v34, s38, 0
	s_add_u32 s24, s42, s62
	s_addc_u32 s25, s43, 0
	s_lshl_b64 s[70:71], s[24:25], 8
	v_lshl_add_u64 v[26:27], v[26:27], 2, s[44:45]
	v_add3_u32 v35, v35, v43, v42
	v_lshl_add_u64 v[42:43], v[56:57], 0, s[70:71]
	v_lshl_add_u64 v[28:29], v[28:29], 2, s[44:45]
	;; [unrolled: 1-line block ×3, first 2 shown]
	global_load_dword v44, v[26:27], off
	global_load_ushort v45, v[42:43], off offset:256
	global_load_ushort v46, v[42:43], off
	global_load_ushort v47, v[42:43], off offset:768
	v_lshl_add_u64 v[26:27], v[34:35], 2, s[44:45]
	v_lshl_add_u64 v[30:31], v[30:31], 2, s[44:45]
	global_load_dword v48, v[28:29], off
	global_load_dword v49, v[30:31], off
	;; [unrolled: 1-line block ×3, first 2 shown]
	ds_read2st64_b64 v[26:29], v90 offset0:2 offset1:4
	s_waitcnt lgkmcnt(0)
	v_mfma_f32_16x16x16_bf16 a[0:3], v[36:37], v[26:27], a[0:3]
	global_load_ushort v36, v[42:43], off offset:512
	global_load_ushort v51, v[42:43], off offset:800
	global_load_ushort v52, v[42:43], off offset:544
	global_load_ushort v118, v[42:43], off offset:288
	s_nop 0
	global_load_ushort v42, v[42:43], off offset:32
	s_and_b64 vcc, exec, s[0:1]
	v_mfma_f32_16x16x16_bf16 a[4:7], v[38:39], v[32:33], a[4:7]
	s_waitcnt vmcnt(10)
	v_lshlrev_b32_e32 v35, 16, v45
	v_mfma_f32_16x16x16_bf16 a[0:3], v[38:39], v[28:29], a[0:3]
	ds_read_b64 v[26:27], v89 offset:3072
	ds_read_b64 v[28:29], v90 offset:3072
	s_load_dword s24, s[46:47], 0x0
	s_waitcnt vmcnt(9)
	v_lshlrev_b32_e32 v34, 16, v46
	s_waitcnt lgkmcnt(0)
	v_mfma_f32_16x16x16_bf16 a[4:7], v[40:41], v[26:27], a[4:7]
	v_lshl_add_u64 v[26:27], v[58:59], 0, s[70:71]
	v_sub_f32_e32 v38, s24, v44
	s_waitcnt vmcnt(7)
	v_sub_f32_e32 v39, s24, v48
	v_mfma_f32_16x16x16_bf16 a[0:3], v[40:41], v[28:29], a[0:3]
	s_waitcnt vmcnt(6)
	v_sub_f32_e32 v40, s24, v49
	s_waitcnt vmcnt(5)
	v_sub_f32_e32 v41, s24, v50
	v_accvgpr_read_b32 v33, a5
	v_accvgpr_read_b32 v32, a4
	v_exp_f32_e32 v38, v38
	v_pk_add_f32 v[32:33], v[34:35], v[32:33] neg_lo:[0,1] neg_hi:[0,1]
	v_exp_f32_e32 v39, v39
	v_exp_f32_e32 v34, v40
	;; [unrolled: 1-line block ×3, first 2 shown]
	v_accvgpr_read_b32 v29, a7
	v_accvgpr_read_b32 v28, a6
	v_lshlrev_b32_e32 v37, 16, v47
	s_waitcnt vmcnt(4)
	v_lshlrev_b32_e32 v36, 16, v36
	v_lshl_add_u64 v[26:27], v[26:27], 0, v[54:55]
	v_pk_add_f32 v[28:29], v[36:37], v[28:29] neg_lo:[0,1] neg_hi:[0,1]
	global_store_short_d16_hi v[26:27], v32, off
	global_store_short_d16_hi v[26:27], v33, off offset:256
	global_store_short_d16_hi v[26:27], v28, off offset:512
	;; [unrolled: 1-line block ×3, first 2 shown]
	v_pk_mul_f32 v[32:33], v[38:39], v[32:33]
	v_pk_mul_f32 v[28:29], v[34:35], v[28:29]
	v_accvgpr_read_b32 v37, a1
	v_perm_b32 v32, v33, v32, s66
	v_perm_b32 v33, v29, v28, s66
	s_waitcnt vmcnt(5)
	v_lshlrev_b32_e32 v29, 16, v118
	s_waitcnt vmcnt(4)
	v_lshlrev_b32_e32 v28, 16, v42
	v_accvgpr_read_b32 v36, a0
	v_accvgpr_read_b32 v31, a3
	;; [unrolled: 1-line block ×3, first 2 shown]
	v_pk_add_f32 v[28:29], v[28:29], v[36:37] neg_lo:[0,1] neg_hi:[0,1]
	v_lshlrev_b32_e32 v37, 16, v51
	v_lshlrev_b32_e32 v36, 16, v52
	v_pk_add_f32 v[30:31], v[36:37], v[30:31] neg_lo:[0,1] neg_hi:[0,1]
	global_store_short_d16_hi v[26:27], v28, off offset:32
	global_store_short_d16_hi v[26:27], v29, off offset:288
	;; [unrolled: 1-line block ×4, first 2 shown]
	v_pk_mul_f32 v[26:27], v[38:39], v[28:29]
	v_pk_mul_f32 v[28:29], v[34:35], v[30:31]
	v_mov_b32_e32 v118, 0
	v_perm_b32 v29, v29, v28, s66
	v_perm_b32 v28, v27, v26, s66
	ds_write2_b64 v76, v[32:33], v[28:29] offset1:16
	v_mov_b32_e32 v26, 0
	v_mov_b32_e32 v27, 0
	;; [unrolled: 1-line block ×16, first 2 shown]
	s_cbranch_vccnz .LBB413_14
; %bb.13:                               ;   in Loop: Header=BB413_6 Depth=1
	s_and_b32 s29, s29, 0xffff
	s_mov_b32 s31, s27
	buffer_load_dwordx4 v[38:41], v94, s[28:31], 0 offen
	buffer_load_dwordx4 v[30:33], v94, s[28:31], s61 offen
	;; [unrolled: 1-line block ×4, first 2 shown]
	v_mov_b32_e32 v117, v70
	v_mov_b32_e32 v118, v69
.LBB413_14:                             ;   in Loop: Header=BB413_6 Depth=1
	s_waitcnt lgkmcnt(0)
	s_barrier
	ds_read_b64 v[46:47], v98
	ds_read_b64 v[124:125], v93
	;; [unrolled: 1-line block ×5, first 2 shown]
	ds_read_b64 v[138:139], v90 offset:3072
	ds_read2_b64 v[42:45], v89 offset0:16 offset1:128
	s_waitcnt lgkmcnt(5)
	v_mfma_f32_16x16x16_bf16 a[0:3], v[46:47], v[124:125], 0
	s_add_i32 s25, s55, s68
	s_mul_hi_i32 s29, s25, s13
	s_mul_i32 s25, s25, s13
	s_waitcnt lgkmcnt(0)
	v_mfma_f32_16x16x16_bf16 a[4:7], v[46:47], v[42:43], 0
	ds_read_b64 v[46:47], v103
	ds_read2st64_b64 v[48:51], v90 offset0:2 offset1:4
	s_add_u32 s28, s25, s33
	s_addc_u32 s29, s29, s59
	s_add_i32 s25, s3, s62
	s_lshl_b64 s[28:29], s[28:29], 15
	s_mul_hi_i32 s31, s25, s13
	s_mul_i32 s25, s25, s13
	s_add_u32 s46, s25, s33
	s_waitcnt lgkmcnt(1)
	v_mfma_f32_16x16x16_bf16 a[8:11], v[46:47], v[124:125], 0
	s_addc_u32 s47, s31, s59
	ds_read2st64_b64 v[120:123], v89 offset0:4 offset1:6
	s_lshl_b64 s[46:47], s[46:47], 9
	v_mfma_f32_16x16x16_bf16 a[0:3], v[126:127], v[44:45], a[0:3]
	s_add_u32 s46, s36, s46
	s_addc_u32 s47, s37, s47
	s_waitcnt lgkmcnt(1)
	v_mfma_f32_16x16x16_bf16 a[4:7], v[126:127], v[48:49], a[4:7]
	ds_read_b64 v[126:127], v104
	ds_read_b64 v[134:135], v105
	;; [unrolled: 1-line block ×3, first 2 shown]
	v_mfma_f32_16x16x16_bf16 a[12:15], v[46:47], v[42:43], 0
	s_waitcnt lgkmcnt(2)
	v_mfma_f32_16x16x16_bf16 a[8:11], v[126:127], v[44:45], a[8:11]
	global_load_dwordx4 v[42:45], v102, s[46:47]
	v_mfma_f32_16x16x16_bf16 a[12:15], v[126:127], v[48:49], a[12:15]
	global_load_dwordx4 v[46:49], v97, s[46:47]
	ds_read2st64_b64 v[124:127], v91 offset1:8
	s_waitcnt lgkmcnt(0)
	v_mov_b32_e32 v132, v124
	v_mfma_f32_16x16x16_bf16 a[0:3], v[128:129], v[120:121], a[0:3]
	v_mov_b32_e32 v133, v125
	v_mfma_f32_16x16x16_bf16 a[4:7], v[128:129], v[50:51], a[4:7]
	ds_read2st64_b64 v[128:131], v92 offset1:8
	v_mfma_f32_16x16x16_bf16 a[8:11], v[134:135], v[120:121], a[8:11]
	v_lshl_add_u64 v[120:121], v[60:61], 0, s[28:29]
	v_mfma_f32_16x16x16_bf16 a[16:19], v[134:135], v[50:51], a[12:15]
	v_add_co_u32_e32 v50, vcc, s41, v120
	s_waitcnt lgkmcnt(0)
	v_mov_b32_e32 v134, v128
	v_mfma_f32_16x16x16_bf16 a[0:3], v[136:137], v[122:123], a[0:3]
	v_mov_b32_e32 v135, v129
	v_mov_b32_e32 v128, v126
	;; [unrolled: 1-line block ×3, first 2 shown]
	v_mfma_f32_16x16x16_bf16 a[4:7], v[136:137], v[138:139], a[4:7]
	v_addc_co_u32_e32 v51, vcc, 0, v121, vcc
	global_store_dwordx4 v[50:51], v[128:131], off
	v_mfma_f32_16x16x16_bf16 a[12:15], v[140:141], v[122:123], a[8:11]
	s_and_b64 vcc, exec, s[0:1]
	global_store_dwordx4 v[120:121], v[132:135], off
	s_waitcnt vmcnt(3)
	v_mov_b32_e32 v52, v45
	v_mfma_f32_16x16x16_bf16 a[8:11], v[140:141], v[138:139], a[16:19]
	v_mov_b32_e32 v51, v44
	v_mov_b32_e32 v50, v43
	s_cbranch_vccnz .LBB413_16
; %bb.15:                               ;   in Loop: Header=BB413_6 Depth=1
	v_lshrrev_b32_e32 v43, 3, v117
	v_and_b32_e32 v43, 6, v43
	v_xor_b32_e32 v44, v43, v118
	v_lshlrev_b32_e32 v44, 2, v44
	v_and_b32_e32 v45, 8, v117
	v_xor_b32_e32 v117, 0x440, v44
	v_cmp_eq_u32_e32 vcc, 0, v45
	v_perm_b32 v45, v30, v26, s63
	s_nop 0
	v_cndmask_b32_e32 v44, v117, v44, vcc
	v_lshl_or_b32 v43, v43, 10, v44
	v_perm_b32 v44, v38, v34, s63
	s_barrier
	ds_write2st64_b32 v43, v44, v45 offset0:32 offset1:64
	v_xor_b32_e32 v44, 8, v43
	v_perm_b32 v34, v38, v34, s64
	v_perm_b32 v26, v30, v26, s64
	v_add_u32_e32 v30, 0x80, v44
	ds_write2st64_b32 v30, v34, v26 offset0:32 offset1:64
	v_xor_b32_e32 v26, 16, v43
	v_perm_b32 v30, v39, v35, s63
	v_perm_b32 v34, v31, v27, s63
	ds_write2st64_b32 v26, v30, v34 offset0:33 offset1:65
	v_xor_b32_e32 v26, 24, v43
	v_perm_b32 v30, v39, v35, s64
	v_perm_b32 v27, v31, v27, s64
	v_add_u32_e32 v26, 0x80, v26
	ds_write2st64_b32 v26, v30, v27 offset0:33 offset1:65
	v_xor_b32_e32 v26, 32, v43
	v_perm_b32 v27, v40, v36, s63
	v_perm_b32 v30, v32, v28, s63
	;; [unrolled: 9-line block ×3, first 2 shown]
	ds_write2st64_b32 v26, v27, v28 offset0:35 offset1:67
	v_xor_b32_e32 v26, 56, v43
	v_perm_b32 v27, v41, v37, s64
	v_perm_b32 v28, v33, v29, s64
	v_add_u32_e32 v26, 0x80, v26
	ds_write2st64_b32 v26, v27, v28 offset0:35 offset1:67
	ds_write_b64 v116, v[22:23] offset:24576
	v_xor_b32_e32 v22, 8, v116
	ds_write_b64 v22, v[24:25] offset:24576
	ds_write_b64 v116, v[18:19] offset:32768
	ds_write_b64 v22, v[20:21] offset:32768
	ds_write_b64 v115, v[14:15] offset:24576
	v_xor_b32_e32 v14, 8, v115
	ds_write_b64 v14, v[16:17] offset:24576
	ds_write_b64 v115, v[10:11] offset:32768
	;; [unrolled: 1-line block ×3, first 2 shown]
.LBB413_16:                             ;   in Loop: Header=BB413_6 Depth=1
	v_exp_f32_e32 v26, s24
	s_waitcnt vmcnt(2)
	v_exp_f32_e32 v28, v46
	v_exp_f32_e32 v29, v47
	;; [unrolled: 1-line block ×4, first 2 shown]
	v_accvgpr_read_b32 v21, a3
	v_accvgpr_read_b32 v19, a1
	;; [unrolled: 1-line block ×4, first 2 shown]
	v_pk_mul_f32 v[28:29], v[26:27], v[28:29] op_sel_hi:[0,1]
	v_accvgpr_read_b32 v20, a2
	v_accvgpr_read_b32 v11, a5
	v_accvgpr_read_b32 v10, a4
	v_pk_fma_f32 v[2:3], v[2:3], v[28:29], v[18:19]
	v_pk_mul_f32 v[18:19], v[26:27], v[30:31] op_sel_hi:[0,1]
	v_pk_fma_f32 v[4:5], v[4:5], v[18:19], v[20:21]
	v_fma_f32 v107, v107, v28, v10
	v_fma_f32 v108, v108, v29, v11
	v_exp_f32_e32 v10, v42
	v_exp_f32_e32 v11, v50
	v_exp_f32_e32 v20, v51
	v_exp_f32_e32 v21, v52
	v_accvgpr_read_b32 v12, a6
	v_accvgpr_read_b32 v25, a15
	;; [unrolled: 1-line block ×9, first 2 shown]
	v_fma_f32 v109, v109, v18, v12
	v_fmac_f32_e32 v13, v114, v19
	v_pk_mul_f32 v[10:11], v[26:27], v[10:11] op_sel_hi:[0,1]
	v_pk_mul_f32 v[18:19], v[26:27], v[20:21] op_sel_hi:[0,1]
	s_add_i32 s62, s62, 64
	v_pk_fma_f32 v[6:7], v[6:7], v[10:11], v[22:23]
	v_pk_fma_f32 v[8:9], v[8:9], v[18:19], v[24:25]
	v_fma_f32 v110, v110, v10, v14
	v_fma_f32 v111, v111, v11, v15
	;; [unrolled: 1-line block ×3, first 2 shown]
	s_cmp_eq_u32 s53, s67
	v_fmac_f32_e32 v17, v113, v19
	s_cbranch_scc1 .LBB413_18
; %bb.17:                               ;   in Loop: Header=BB413_6 Depth=1
	s_mov_b32 s68, s67
	v_mov_b32_e32 v114, v13
	v_mov_b32_e32 v113, v17
	s_branch .LBB413_6
.LBB413_18:
	v_mov_b32_e32 v16, v112
	v_mov_b32_e32 v15, v111
	;; [unrolled: 1-line block ×6, first 2 shown]
.LBB413_19:
	s_lshl_b32 s46, s53, 6
	s_sub_i32 s47, s12, s46
	s_cmp_gt_i32 s47, 0
	v_or_b32_e32 v34, s2, v65
	s_cbranch_scc1 .LBB413_21
; %bb.20:
	s_ashr_i32 s0, s33, 31
	s_add_u32 s28, s50, s33
	s_addc_u32 s29, s56, s0
	v_or_b32_e32 v35, s2, v65
	s_cbranch_execz .LBB413_22
	s_branch .LBB413_86
.LBB413_21:
                                        ; implicit-def: $sgpr28_sgpr29
                                        ; implicit-def: $vgpr35
.LBB413_22:
	s_ashr_i32 s41, s52, 31
	s_ashr_i32 s3, s46, 31
	s_cmpk_lg_i32 s15, 0x80
	s_cselect_b64 s[42:43], -1, 0
	s_and_b64 vcc, exec, s[42:43]
	s_cbranch_vccz .LBB413_24
; %bb.23:
	s_mul_hi_i32 s0, s52, s12
	s_add_u32 s1, s48, s46
	s_addc_u32 s0, s0, s3
	s_mul_i32 s24, s1, s54
	s_mul_hi_u32 s25, s1, s14
	s_add_i32 s24, s25, s24
	s_mul_i32 s0, s0, s14
	s_add_i32 s24, s24, s0
	s_mul_i32 s1, s1, s14
	s_ashr_i32 s0, s57, 31
	s_add_u32 s44, s1, s57
	s_addc_u32 s45, s24, s0
	s_cbranch_execz .LBB413_25
	s_branch .LBB413_26
.LBB413_24:
                                        ; implicit-def: $sgpr44_sgpr45
.LBB413_25:
	s_mul_hi_i32 s0, s52, s14
	s_mul_i32 s52, s52, s14
	s_ashr_i32 s1, s57, 31
	s_add_u32 s14, s52, s57
	s_addc_u32 s0, s0, s1
	s_mul_i32 s1, s14, s51
	s_mul_hi_u32 s24, s14, s12
	s_add_i32 s1, s24, s1
	s_mul_i32 s0, s0, s12
	s_add_i32 s1, s1, s0
	s_mul_i32 s14, s14, s12
	s_add_u32 s44, s14, s46
	s_addc_u32 s45, s1, s3
.LBB413_26:
	s_add_i32 s24, s55, s53
	s_ashr_i32 s14, s33, 31
	s_add_u32 s28, s50, s33
	s_addc_u32 s29, s56, s14
	s_mul_i32 s0, s28, s51
	s_mul_hi_u32 s1, s28, s12
	s_add_i32 s0, s1, s0
	s_mul_i32 s1, s29, s12
	s_add_i32 s1, s0, s1
	s_mul_i32 s0, s28, s12
	s_add_u32 s0, s0, s46
	v_lshlrev_b32_e32 v22, 5, v1
	v_lshlrev_b32_e32 v40, 2, v65
	s_addc_u32 s1, s1, s3
	s_mov_b32 s3, 0x7060302
	v_or_b32_e32 v25, v22, v40
	v_xor_b32_e32 v23, v1, v40
	v_perm_b32 v19, v5, v4, s3
	v_perm_b32 v18, v3, v2, s3
	;; [unrolled: 1-line block ×4, first 2 shown]
	v_lshlrev_b32_e32 v25, 1, v25
	v_xor_b32_e32 v24, v68, v40
	ds_write2st64_b64 v25, v[18:19], v[20:21] offset0:80 offset1:88
	v_lshlrev_b32_e32 v23, 1, v23
	v_lshlrev_b32_e32 v25, 8, v65
	s_lshl_b64 s[30:31], s[0:1], 8
	v_or_b32_e32 v26, v23, v25
	v_lshlrev_b32_e32 v24, 1, v24
	s_add_u32 s0, s6, s30
	ds_write_b64 v26, v[18:19]
	v_or_b32_e32 v18, v24, v25
	s_addc_u32 s1, s7, s31
	ds_write_b64 v18, v[20:21]
	v_perm_b32 v19, v13, v12, s3
	v_perm_b32 v18, v11, v10, s3
	;; [unrolled: 1-line block ×4, first 2 shown]
	v_or_b32_e32 v25, 16, v65
	s_mul_hi_i32 s3, s24, s13
	s_mul_i32 s24, s24, s13
	v_lshlrev_b32_e32 v37, 2, v25
	s_add_u32 s6, s24, s33
	v_or_b32_e32 v22, v22, v37
	s_addc_u32 s7, s3, s14
	v_lshlrev_b32_e32 v22, 1, v22
	s_ashr_i32 s3, s2, 31
	s_lshl_b64 s[6:7], s[6:7], 15
	ds_write2st64_b64 v22, v[18:19], v[20:21] offset0:80 offset1:88
	v_lshlrev_b32_e32 v22, 8, v25
	s_add_u32 s6, s16, s6
	v_or_b32_e32 v23, v23, v22
	s_addc_u32 s7, s17, s7
	s_lshl_b64 s[2:3], s[2:3], 8
	ds_write_b64 v23, v[18:19]
	v_or_b32_e32 v18, v24, v22
	s_add_u32 s2, s6, s2
	ds_write_b64 v18, v[20:21]
	v_lshrrev_b32_e32 v18, 4, v0
	s_addc_u32 s3, s7, s3
	v_lshlrev_b32_e32 v19, 1, v65
	v_lshlrev_b32_e32 v26, 4, v65
	v_mov_b32_e32 v27, 0
	v_or_b32_e32 v20, 1, v19
	v_xor_b32_e32 v19, v18, v19
	v_lshl_add_u64 v[28:29], s[2:3], 0, v[26:27]
	v_lshlrev_b32_e32 v26, 8, v18
	v_xor_b32_e32 v22, v20, v18
	v_lshl_or_b32 v18, v19, 3, v26
	s_waitcnt lgkmcnt(0)
	s_barrier
	ds_read2st64_b64 v[18:21], v18 offset1:8
	v_lshl_or_b32 v22, v22, 3, v26
	ds_read2st64_b64 v[22:25], v22 offset1:8
	v_lshl_add_u64 v[30:31], v[28:29], 0, v[26:27]
	s_movk_i32 s2, 0x1000
	s_waitcnt lgkmcnt(1)
	v_mov_b32_e32 v26, v18
	v_add_co_u32_e32 v18, vcc, s2, v30
	s_cmp_lg_u32 s47, 64
	v_mov_b32_e32 v27, v19
	v_addc_co_u32_e32 v19, vcc, 0, v31, vcc
	s_cselect_b64 s[6:7], -1, 0
	v_lshl_or_b32 v35, v53, 3, v67
	s_waitcnt lgkmcnt(0)
	v_mov_b32_e32 v28, v22
	v_mov_b32_e32 v29, v23
	;; [unrolled: 1-line block ×4, first 2 shown]
	s_mov_b32 s24, 0
	v_or_b32_e32 v38, 32, v35
	v_and_b32_e32 v36, 56, v66
	s_and_b64 vcc, exec, s[6:7]
	global_store_dwordx4 v[30:31], v[26:29], off
	global_store_dwordx4 v[18:19], v[22:25], off
	s_cbranch_vccz .LBB413_32
; %bb.27:
	s_mov_b32 s25, s24
	s_mov_b32 s26, s24
	;; [unrolled: 1-line block ×3, first 2 shown]
	v_mov_b64_e32 v[22:23], s[24:25]
	v_mov_b64_e32 v[24:25], s[26:27]
	;; [unrolled: 1-line block ×3, first 2 shown]
	v_cmp_gt_i32_e32 vcc, s47, v35
	v_mov_b64_e32 v[20:21], v[24:25]
	s_and_saveexec_b64 s[2:3], vcc
	s_cbranch_execz .LBB413_29
; %bb.28:
	v_lshlrev_b32_e32 v18, 8, v35
	v_mov_b32_e32 v19, 0
	v_lshl_add_u64 v[20:21], s[0:1], 0, v[18:19]
	v_lshlrev_b32_e32 v18, 1, v36
	v_lshl_add_u64 v[26:27], v[20:21], 0, v[18:19]
	global_load_dwordx4 v[22:25], v[26:27], off
	global_load_dwordx4 v[18:21], v[26:27], off offset:128
.LBB413_29:
	s_or_b64 exec, exec, s[2:3]
	s_mov_b32 s26, s24
	s_mov_b32 s27, s24
	;; [unrolled: 1-line block ×3, first 2 shown]
	v_mov_b64_e32 v[32:33], s[26:27]
	v_mov_b64_e32 v[30:31], s[24:25]
	;; [unrolled: 1-line block ×3, first 2 shown]
	v_cmp_gt_i32_e32 vcc, s47, v38
	v_lshlrev_b32_e32 v39, 7, v38
	v_mov_b64_e32 v[28:29], v[32:33]
	s_and_saveexec_b64 s[2:3], vcc
	s_cbranch_execz .LBB413_31
; %bb.30:
	v_lshlrev_b32_e32 v26, 1, v39
	v_mov_b32_e32 v27, 0
	v_lshl_add_u64 v[28:29], s[0:1], 0, v[26:27]
	v_lshlrev_b32_e32 v26, 1, v36
	v_lshl_add_u64 v[42:43], v[28:29], 0, v[26:27]
	global_load_dwordx4 v[30:33], v[42:43], off
	global_load_dwordx4 v[26:29], v[42:43], off offset:128
.LBB413_31:
	s_or_b64 exec, exec, s[2:3]
	v_lshrrev_b32_e32 v41, 3, v36
	v_lshlrev_b32_e32 v42, 3, v35
	v_or_b32_e32 v41, v42, v41
	v_lshlrev_b32_e32 v41, 4, v41
	v_and_b32_e32 v42, 0x78, v42
	v_xor_b32_e32 v41, v41, v42
	s_branch .LBB413_34
.LBB413_32:
                                        ; implicit-def: $vgpr41
                                        ; implicit-def: $vgpr39
                                        ; implicit-def: $vgpr22_vgpr23_vgpr24_vgpr25
                                        ; implicit-def: $vgpr18_vgpr19_vgpr20_vgpr21
                                        ; implicit-def: $vgpr30_vgpr31_vgpr32_vgpr33
                                        ; implicit-def: $vgpr26_vgpr27_vgpr28_vgpr29
	s_cbranch_execz .LBB413_34
; %bb.33:
	s_waitcnt vmcnt(0)
	v_lshlrev_b32_e32 v18, 1, v36
	v_lshl_or_b32 v39, v35, 8, v18
	s_and_b32 s1, s1, 0xffff
	s_mov_b32 s3, 0x20000
	s_movk_i32 s2, 0x4000
	v_lshl_or_b32 v41, v38, 8, v18
	s_movk_i32 s16, 0x80
	buffer_load_dwordx4 v[22:25], v39, s[0:3], 0 offen
	buffer_load_dwordx4 v[18:21], v39, s[0:3], s16 offen
	;; [unrolled: 1-line block ×4, first 2 shown]
	v_lshrrev_b32_e32 v39, 3, v36
	v_lshlrev_b32_e32 v41, 3, v35
	v_or_b32_e32 v39, v41, v39
	v_lshlrev_b32_e32 v39, 4, v39
	v_and_b32_e32 v41, 0x78, v41
	v_xor_b32_e32 v41, v39, v41
	v_lshlrev_b32_e32 v39, 7, v38
.LBB413_34:
	s_lshl_b64 s[0:1], s[44:45], 8
	s_add_u32 s4, s4, s0
	s_movk_i32 s0, 0x1000
	v_and_or_b32 v38, v39, s0, v41
	s_waitcnt vmcnt(1)
	ds_write_b64 v41, v[22:23] offset:24576
	v_xor_b32_e32 v22, 8, v41
	ds_write_b64 v22, v[24:25] offset:24576
	s_waitcnt vmcnt(0)
	ds_write_b64 v41, v[18:19] offset:32768
	ds_write_b64 v22, v[20:21] offset:32768
	ds_write_b64 v38, v[30:31] offset:24576
	v_xor_b32_e32 v18, 8, v38
	ds_write_b64 v18, v[32:33] offset:24576
	ds_write_b64 v38, v[26:27] offset:32768
	;; [unrolled: 1-line block ×3, first 2 shown]
	v_or_b32_e32 v18, v62, v65
	v_lshlrev_b32_e32 v18, 3, v18
	v_lshrrev_b32_e32 v19, 5, v63
	s_movk_i32 s16, 0xf8
	v_and_or_b32 v19, v18, s16, v19
	v_lshlrev_b32_e32 v23, 4, v19
	v_lshlrev_b32_e32 v41, 11, v53
	v_and_b32_e32 v24, 0x78, v18
	v_or_b32_e32 v26, 32, v23
	v_and_b32_e32 v22, 0x1000, v41
	v_lshrrev_b32_e32 v19, 1, v63
	v_xor_b32_e32 v26, v26, v24
	v_xor_b32_e32 v18, v23, v24
	v_and_b32_e32 v25, 8, v19
	v_or_b32_e32 v26, v26, v22
	v_or_b32_e32 v18, v18, v22
	v_xor_b32_e32 v45, v26, v25
	v_or_b32_e32 v26, 64, v23
	v_xor_b32_e32 v44, v18, v25
	v_xor_b32_e32 v26, v26, v24
	s_waitcnt lgkmcnt(0)
	s_barrier
	v_or_b32_e32 v28, v26, v22
	ds_read_b64 v[26:27], v44 offset:24576
	v_lshl_or_b32 v38, v64, 7, v40
	v_lshlrev_b32_e32 v42, 1, v38
	v_add_u32_e32 v18, 0xa000, v42
	ds_read2_b64 v[18:21], v18 offset1:16
	v_or_b32_e32 v23, 0x60, v23
	v_xor_b32_e32 v23, v23, v24
	s_waitcnt lgkmcnt(0)
	v_mfma_f32_16x16x16_bf16 a[0:3], v[26:27], v[18:19], 0
	v_or_b32_e32 v18, 64, v38
	v_or_b32_e32 v22, v23, v22
	v_lshlrev_b32_e32 v43, 1, v18
	v_xor_b32_e32 v46, v28, v25
	v_xor_b32_e32 v47, v22, v25
	ds_read_b64 v[28:29], v45 offset:24576
	ds_read_b64 v[30:31], v46 offset:24576
	;; [unrolled: 1-line block ×3, first 2 shown]
	v_mfma_f32_16x16x16_bf16 a[4:7], v[26:27], v[20:21], 0
	ds_read2st64_b64 v[18:21], v43 offset0:82 offset1:84
	ds_read2st64_b64 v[22:25], v42 offset0:82 offset1:84
	s_addc_u32 s5, s5, s1
	s_add_i32 s12, s12, -1
	s_add_i32 s0, s49, s21
	s_mul_i32 s41, s41, s20
	s_add_i32 s41, s0, s41
	s_mul_i32 s0, s33, s23
	s_mul_hi_u32 s1, s33, s22
	s_ashr_i32 s2, s12, 31
	s_mul_i32 s3, s12, s39
	s_mul_hi_u32 s16, s12, s38
	s_add_i32 s0, s1, s0
	s_mul_i32 s1, s14, s22
	s_add_i32 s3, s16, s3
	s_mul_i32 s2, s2, s38
	s_waitcnt lgkmcnt(1)
	v_mfma_f32_16x16x16_bf16 a[4:7], v[28:29], v[18:19], a[4:7]
	s_add_i32 s1, s0, s1
	s_add_i32 s3, s3, s2
	s_lshl_b64 s[16:17], s[40:41], 2
	s_waitcnt lgkmcnt(0)
	v_mfma_f32_16x16x16_bf16 a[0:3], v[28:29], v[22:23], a[0:3]
	s_mul_i32 s0, s33, s22
	s_add_u32 s10, s10, s16
	s_addc_u32 s11, s11, s17
	s_lshl_b64 s[0:1], s[0:1], 2
	s_mul_i32 s2, s12, s38
	s_add_u32 s10, s10, s0
	ds_read_b64 v[18:19], v42 offset:44032
	v_mfma_f32_16x16x16_bf16 a[4:7], v[30:31], v[20:21], a[4:7]
	ds_read_b64 v[20:21], v43 offset:44032
	s_addc_u32 s11, s11, s1
	s_lshl_b64 s[0:1], s[2:3], 2
	v_mfma_f32_16x16x16_bf16 a[0:3], v[30:31], v[24:25], a[0:3]
	s_add_u32 s0, s10, s0
	s_addc_u32 s1, s11, s1
	s_load_dword s16, s[0:1], 0x0
	s_waitcnt lgkmcnt(0)
	v_mfma_f32_16x16x16_bf16 a[0:3], v[32:33], v[18:19], a[0:3]
	s_and_b64 vcc, exec, s[42:43]
	v_mfma_f32_16x16x16_bf16 a[4:7], v[32:33], v[20:21], a[4:7]
	s_cbranch_vccz .LBB413_45
; %bb.35:
	v_lshlrev_b32_e32 v38, 1, v35
	s_and_b64 vcc, exec, s[6:7]
	s_cbranch_vccz .LBB413_46
; %bb.36:
	v_cmp_gt_i32_e32 vcc, s47, v38
	v_mov_b32_e32 v22, 0
	v_mov_b32_e32 v18, 0
	;; [unrolled: 1-line block ×5, first 2 shown]
	s_and_saveexec_b64 s[0:1], vcc
	s_cbranch_execz .LBB413_38
; %bb.37:
	v_mad_i64_i32 v[18:19], s[2:3], s15, v38, 0
	v_lshl_add_u64 v[18:19], v[18:19], 1, s[4:5]
	v_lshlrev_b32_e32 v20, 1, v36
	v_mov_b32_e32 v21, 0
	v_lshl_add_u64 v[18:19], v[18:19], 0, v[20:21]
	global_load_dwordx4 v[18:21], v[18:19], off
.LBB413_38:
	s_or_b64 exec, exec, s[0:1]
	v_or_b32_e32 v39, 1, v38
	v_cmp_gt_i32_e64 s[0:1], s47, v39
	v_mov_b32_e32 v23, 0
	v_mov_b32_e32 v24, 0
	;; [unrolled: 1-line block ×3, first 2 shown]
	s_and_saveexec_b64 s[2:3], s[0:1]
	s_cbranch_execz .LBB413_40
; %bb.39:
	v_mad_i64_i32 v[22:23], s[20:21], s15, v39, 0
	v_lshl_add_u64 v[22:23], v[22:23], 1, s[4:5]
	v_lshlrev_b32_e32 v24, 1, v36
	v_mov_b32_e32 v25, 0
	v_lshl_add_u64 v[22:23], v[22:23], 0, v[24:25]
	global_load_dwordx4 v[22:25], v[22:23], off
.LBB413_40:
	s_or_b64 exec, exec, s[2:3]
	v_mov_b32_e32 v33, 0
	v_mov_b32_e32 v26, 0
	;; [unrolled: 1-line block ×5, first 2 shown]
	s_and_saveexec_b64 s[2:3], vcc
	s_cbranch_execz .LBB413_42
; %bb.41:
	v_mad_i64_i32 v[26:27], s[20:21], s15, v38, 0
	v_lshl_add_u64 v[26:27], v[26:27], 1, s[4:5]
	v_lshlrev_b32_e32 v28, 1, v36
	v_mov_b32_e32 v29, 0
	v_lshl_add_u64 v[26:27], v[26:27], 0, v[28:29]
	global_load_dwordx4 v[26:29], v[26:27], off offset:128
.LBB413_42:
	s_or_b64 exec, exec, s[2:3]
	v_mov_b32_e32 v32, 0
	v_mov_b32_e32 v31, 0
	;; [unrolled: 1-line block ×3, first 2 shown]
	s_and_saveexec_b64 s[2:3], s[0:1]
	s_cbranch_execz .LBB413_44
; %bb.43:
	v_mad_i64_i32 v[30:31], s[0:1], s15, v39, 0
	v_lshl_add_u64 v[30:31], v[30:31], 1, s[4:5]
	v_lshlrev_b32_e32 v32, 1, v36
	v_mov_b32_e32 v33, 0
	v_lshl_add_u64 v[30:31], v[30:31], 0, v[32:33]
	global_load_dwordx4 v[30:33], v[30:31], off offset:128
.LBB413_44:
	s_or_b64 exec, exec, s[2:3]
	s_branch .LBB413_48
.LBB413_45:
                                        ; implicit-def: $vgpr21
                                        ; implicit-def: $vgpr25
                                        ; implicit-def: $vgpr29
                                        ; implicit-def: $vgpr33
	v_lshrrev_b32_e32 v48, 2, v63
	s_branch .LBB413_49
.LBB413_46:
                                        ; implicit-def: $vgpr21
                                        ; implicit-def: $vgpr25
                                        ; implicit-def: $vgpr29
                                        ; implicit-def: $vgpr33
	s_cbranch_execz .LBB413_48
; %bb.47:
	s_waitcnt vmcnt(0)
	v_mad_u64_u32 v[18:19], s[0:1], v38, s15, v[36:37]
	v_lshlrev_b32_e32 v38, 1, v18
	s_lshl_b32 s2, s15, 7
	s_and_b32 s1, s5, 0xffff
	s_mov_b32 s3, 0x20000
	s_mov_b32 s0, s4
	v_add_lshl_u32 v39, v18, s15, 1
	s_movk_i32 s15, 0x80
	buffer_load_dwordx4 v[18:21], v38, s[0:3], 0 offen
	buffer_load_dwordx4 v[26:29], v38, s[0:3], s15 offen
	;; [unrolled: 1-line block ×4, first 2 shown]
.LBB413_48:
	v_lshrrev_b32_e32 v48, 2, v63
	s_cbranch_execnz .LBB413_61
.LBB413_49:
	s_and_b64 vcc, exec, s[6:7]
	s_cbranch_vccz .LBB413_59
; %bb.50:
	s_waitcnt vmcnt(0)
	v_lshlrev_b32_e32 v23, 1, v35
	v_cmp_gt_i32_e32 vcc, s47, v23
	v_mov_b32_e32 v22, 0
	v_lshlrev_b32_e32 v30, 9, v35
	v_mov_b32_e32 v18, 0
	v_mov_b32_e32 v19, 0
	;; [unrolled: 1-line block ×4, first 2 shown]
	s_and_saveexec_b64 s[0:1], vcc
	s_cbranch_execz .LBB413_52
; %bb.51:
	v_mov_b32_e32 v31, 0
	v_lshl_add_u64 v[18:19], s[4:5], 0, v[30:31]
	v_lshlrev_b32_e32 v20, 1, v36
	v_mov_b32_e32 v21, v31
	v_lshl_add_u64 v[18:19], v[18:19], 0, v[20:21]
	global_load_dwordx4 v[18:21], v[18:19], off
.LBB413_52:
	s_or_b64 exec, exec, s[0:1]
	v_or_b32_e32 v23, 1, v23
	v_cmp_gt_i32_e64 s[0:1], s47, v23
	v_lshlrev_b32_e32 v38, 8, v23
	v_mov_b32_e32 v23, 0
	v_mov_b32_e32 v24, 0
	;; [unrolled: 1-line block ×3, first 2 shown]
	s_and_saveexec_b64 s[2:3], s[0:1]
	s_cbranch_execz .LBB413_54
; %bb.53:
	v_mov_b32_e32 v39, 0
	v_lshl_add_u64 v[22:23], s[4:5], 0, v[38:39]
	v_lshlrev_b32_e32 v24, 1, v36
	v_mov_b32_e32 v25, v39
	v_lshl_add_u64 v[22:23], v[22:23], 0, v[24:25]
	global_load_dwordx4 v[22:25], v[22:23], off
.LBB413_54:
	s_or_b64 exec, exec, s[2:3]
	v_mov_b32_e32 v33, 0
	v_mov_b32_e32 v26, 0
	;; [unrolled: 1-line block ×5, first 2 shown]
	s_and_saveexec_b64 s[2:3], vcc
	s_cbranch_execz .LBB413_56
; %bb.55:
	v_mov_b32_e32 v31, 0
	v_lshl_add_u64 v[26:27], s[4:5], 0, v[30:31]
	v_lshlrev_b32_e32 v30, 1, v36
	v_lshl_add_u64 v[26:27], v[26:27], 0, v[30:31]
	global_load_dwordx4 v[26:29], v[26:27], off offset:128
.LBB413_56:
	s_or_b64 exec, exec, s[2:3]
	v_mov_b32_e32 v32, 0
	v_mov_b32_e32 v31, 0
	;; [unrolled: 1-line block ×3, first 2 shown]
	s_and_saveexec_b64 s[2:3], s[0:1]
	s_cbranch_execz .LBB413_58
; %bb.57:
	v_mov_b32_e32 v39, 0
	v_lshl_add_u64 v[30:31], s[4:5], 0, v[38:39]
	v_lshlrev_b32_e32 v38, 1, v36
	v_lshl_add_u64 v[30:31], v[30:31], 0, v[38:39]
	global_load_dwordx4 v[30:33], v[30:31], off offset:128
.LBB413_58:
	s_or_b64 exec, exec, s[2:3]
	s_branch .LBB413_61
.LBB413_59:
                                        ; implicit-def: $vgpr21
                                        ; implicit-def: $vgpr25
                                        ; implicit-def: $vgpr29
                                        ; implicit-def: $vgpr33
	s_cbranch_execz .LBB413_61
; %bb.60:
	s_waitcnt vmcnt(0)
	v_lshlrev_b32_e32 v18, 1, v36
	v_lshl_or_b32 v36, v35, 9, v18
	s_and_b32 s5, s5, 0xffff
	s_mov_b32 s7, 0x20000
	s_movk_i32 s6, 0x4000
	s_movk_i32 s0, 0x80
	buffer_load_dwordx4 v[18:21], v36, s[4:7], 0 offen
	buffer_load_dwordx4 v[22:25], v36, s[4:7], 0 offen offset:256
	buffer_load_dwordx4 v[26:29], v36, s[4:7], s0 offen
	buffer_load_dwordx4 v[30:33], v36, s[4:7], s0 offen offset:256
.LBB413_61:
	ds_read_b64 v[38:39], v44 offset:32768
	v_add_u32_e32 v36, 0xb000, v42
	ds_read2_b64 v[54:57], v36 offset1:16
	ds_read_b64 v[50:51], v45 offset:32768
	ds_read_b64 v[58:59], v46 offset:32768
	;; [unrolled: 1-line block ×3, first 2 shown]
	ds_read2st64_b64 v[44:47], v42 offset0:90 offset1:92
	v_and_b32_e32 v36, 12, v48
	v_and_b32_e32 v48, 6, v0
	v_xor_b32_e32 v35, v35, v48
	v_lshlrev_b32_e32 v35, 2, v35
	s_mov_b32 s0, 0x1000504
	s_waitcnt lgkmcnt(4)
	v_mfma_f32_16x16x16_bf16 a[0:3], v[38:39], v[54:55], a[0:3]
	s_mov_b32 s1, 0x3020706
	v_mfma_f32_16x16x16_bf16 a[4:7], v[38:39], v[56:57], a[4:7]
	ds_read2st64_b64 v[54:57], v43 offset0:90 offset1:92
	s_waitcnt lgkmcnt(1)
	v_mfma_f32_16x16x16_bf16 a[0:3], v[50:51], v[44:45], a[0:3]
	ds_read_b64 v[38:39], v42 offset:48128
	ds_read_b64 v[44:45], v43 offset:48128
	s_waitcnt lgkmcnt(2)
	v_mfma_f32_16x16x16_bf16 a[4:7], v[50:51], v[54:55], a[4:7]
	v_mfma_f32_16x16x16_bf16 a[0:3], v[58:59], v[46:47], a[0:3]
	v_and_b32_e32 v46, 1, v0
	v_xor_b32_e32 v47, 0x440, v35
	v_cmp_eq_u32_e32 vcc, 0, v46
	v_mfma_f32_16x16x16_bf16 a[8:11], v[58:59], v[56:57], a[4:7]
	s_nop 0
	v_cndmask_b32_e32 v35, v47, v35, vcc
	v_lshl_or_b32 v35, v48, 10, v35
	s_waitcnt lgkmcnt(1)
	v_mfma_f32_16x16x16_bf16 a[4:7], v[60:61], v[38:39], a[0:3]
	s_waitcnt vmcnt(0)
	v_perm_b32 v38, v18, v22, s0
	v_perm_b32 v39, v26, v30, s0
	ds_write2st64_b32 v35, v38, v39 offset0:32 offset1:64
	v_xor_b32_e32 v38, 8, v35
	v_perm_b32 v18, v18, v22, s1
	v_perm_b32 v22, v26, v30, s1
	v_add_u32_e32 v26, 0x80, v38
	ds_write2st64_b32 v26, v18, v22 offset0:32 offset1:64
	v_xor_b32_e32 v18, 16, v35
	v_perm_b32 v22, v19, v23, s0
	v_perm_b32 v26, v27, v31, s0
	ds_write2st64_b32 v18, v22, v26 offset0:33 offset1:65
	v_xor_b32_e32 v18, 24, v35
	v_perm_b32 v19, v19, v23, s1
	v_perm_b32 v22, v27, v31, s1
	v_add_u32_e32 v18, 0x80, v18
	ds_write2st64_b32 v18, v19, v22 offset0:33 offset1:65
	v_xor_b32_e32 v18, 32, v35
	v_perm_b32 v19, v20, v24, s0
	v_perm_b32 v22, v28, v32, s0
	ds_write2st64_b32 v18, v19, v22 offset0:34 offset1:66
	v_xor_b32_e32 v18, 40, v35
	s_waitcnt lgkmcnt(5)
	v_mfma_f32_16x16x16_bf16 a[0:3], v[60:61], v[44:45], a[8:11]
	v_perm_b32 v19, v20, v24, s1
	v_perm_b32 v20, v28, v32, s1
	v_add_u32_e32 v18, 0x80, v18
	ds_write2st64_b32 v18, v19, v20 offset0:34 offset1:66
	v_xor_b32_e32 v18, 48, v35
	v_perm_b32 v19, v21, v25, s0
	v_perm_b32 v20, v29, v33, s0
	ds_write2st64_b32 v18, v19, v20 offset0:35 offset1:67
	v_xor_b32_e32 v18, 56, v35
	v_or_b32_e32 v38, v36, v62
	v_perm_b32 v19, v21, v25, s1
	v_perm_b32 v20, v29, v33, s1
	v_add_u32_e32 v18, 0x80, v18
	v_cmp_gt_i32_e64 s[0:1], s47, v38
	v_mov_b32_e32 v44, 0
	v_mov_b32_e32 v45, 0
	ds_write2st64_b32 v18, v19, v20 offset0:35 offset1:67
	s_and_saveexec_b64 s[2:3], s[0:1]
	s_cbranch_execz .LBB413_63
; %bb.62:
	v_add_u32_e32 v18, s46, v38
	v_ashrrev_i32_e32 v19, 31, v18
	v_mul_lo_u32 v20, v19, s38
	v_mul_lo_u32 v21, v18, s39
	v_mad_u64_u32 v[18:19], s[4:5], v18, s38, 0
	v_add3_u32 v19, v19, v21, v20
	v_lshl_add_u64 v[18:19], v[18:19], 2, s[10:11]
	global_load_dword v18, v[18:19], off
	s_waitcnt vmcnt(0)
	v_sub_f32_e32 v18, s16, v18
	v_exp_f32_e32 v45, v18
.LBB413_63:
	s_or_b64 exec, exec, s[2:3]
	v_or_b32_e32 v30, 1, v38
	v_cmp_gt_i32_e64 s[4:5], s47, v30
	s_and_saveexec_b64 s[2:3], s[4:5]
	s_cbranch_execz .LBB413_65
; %bb.64:
	v_add_u32_e32 v18, s46, v30
	v_ashrrev_i32_e32 v19, 31, v18
	v_mul_lo_u32 v20, v19, s38
	v_mul_lo_u32 v21, v18, s39
	v_mad_u64_u32 v[18:19], s[6:7], v18, s38, 0
	v_add3_u32 v19, v19, v21, v20
	v_lshl_add_u64 v[18:19], v[18:19], 2, s[10:11]
	global_load_dword v18, v[18:19], off
	s_waitcnt vmcnt(0)
	v_sub_f32_e32 v18, s16, v18
	v_exp_f32_e32 v44, v18
.LBB413_65:
	s_or_b64 exec, exec, s[2:3]
	v_or_b32_e32 v28, 2, v38
	v_cmp_gt_i32_e64 s[2:3], s47, v28
	v_mov_b32_e32 v39, 0
	v_mov_b32_e32 v46, 0
	s_and_saveexec_b64 s[6:7], s[2:3]
	s_cbranch_execz .LBB413_67
; %bb.66:
	v_add_u32_e32 v18, s46, v28
	v_ashrrev_i32_e32 v19, 31, v18
	v_mul_lo_u32 v20, v19, s38
	v_mul_lo_u32 v21, v18, s39
	v_mad_u64_u32 v[18:19], s[20:21], v18, s38, 0
	v_add3_u32 v19, v19, v21, v20
	v_lshl_add_u64 v[18:19], v[18:19], 2, s[10:11]
	global_load_dword v18, v[18:19], off
	s_waitcnt vmcnt(0)
	v_sub_f32_e32 v18, s16, v18
	v_exp_f32_e32 v46, v18
.LBB413_67:
	s_or_b64 exec, exec, s[6:7]
	v_or_b32_e32 v29, 3, v38
	v_cmp_gt_i32_e32 vcc, s47, v29
	s_and_saveexec_b64 s[6:7], vcc
	s_cbranch_execz .LBB413_69
; %bb.68:
	v_add_u32_e32 v18, s46, v29
	v_ashrrev_i32_e32 v19, 31, v18
	v_mul_lo_u32 v20, v19, s38
	v_mul_lo_u32 v21, v18, s39
	v_mad_u64_u32 v[18:19], s[20:21], v18, s38, 0
	v_add3_u32 v19, v19, v21, v20
	v_lshl_add_u64 v[18:19], v[18:19], 2, s[10:11]
	global_load_dword v18, v[18:19], off
	s_waitcnt vmcnt(0)
	v_sub_f32_e32 v18, s16, v18
	v_exp_f32_e32 v39, v18
.LBB413_69:
	s_or_b64 exec, exec, s[6:7]
	s_add_u32 s6, s8, s30
	s_addc_u32 s7, s9, s31
	s_add_u32 s8, s18, s30
	v_ashrrev_i32_e32 v35, 31, v34
	v_accvgpr_read_b32 v21, a7
	s_addc_u32 s9, s19, s31
	v_lshlrev_b64 v[22:23], 1, v[34:35]
	v_accvgpr_read_b32 v20, a6
	v_accvgpr_read_b32 v19, a5
	;; [unrolled: 1-line block ×3, first 2 shown]
	v_lshl_add_u64 v[24:25], s[6:7], 0, v[22:23]
	v_lshl_add_u64 v[22:23], s[8:9], 0, v[22:23]
	v_mov_b32_e32 v31, 0
	v_lshlrev_b32_e32 v26, 8, v38
	v_mov_b32_e32 v27, 0
	s_and_saveexec_b64 s[6:7], s[0:1]
	s_cbranch_execz .LBB413_71
; %bb.70:
	v_mov_b32_e32 v27, 0
	v_lshl_add_u64 v[32:33], v[24:25], 0, v[26:27]
	global_load_ushort v35, v[32:33], off
	v_lshl_add_u64 v[32:33], v[22:23], 0, v[26:27]
	s_waitcnt vmcnt(0)
	v_lshlrev_b32_e32 v27, 16, v35
	v_sub_f32_e32 v18, v27, v18
	global_store_short_d16_hi v[32:33], v18, off
	v_mul_f32_e32 v18, v45, v18
	v_lshrrev_b32_e32 v27, 16, v18
.LBB413_71:
	s_or_b64 exec, exec, s[6:7]
	v_lshlrev_b32_e32 v30, 8, v30
	s_and_saveexec_b64 s[6:7], s[4:5]
	s_cbranch_execz .LBB413_73
; %bb.72:
	v_mov_b32_e32 v31, 0
	v_lshl_add_u64 v[32:33], v[24:25], 0, v[30:31]
	global_load_ushort v18, v[32:33], off
	v_lshl_add_u64 v[32:33], v[22:23], 0, v[30:31]
	s_waitcnt vmcnt(0)
	v_lshlrev_b32_e32 v18, 16, v18
	v_sub_f32_e32 v18, v18, v19
	global_store_short_d16_hi v[32:33], v18, off
	v_mul_f32_e32 v18, v44, v18
	v_lshrrev_b32_e32 v31, 16, v18
.LBB413_73:
	s_or_b64 exec, exec, s[6:7]
	v_mov_b32_e32 v47, 0
	v_lshlrev_b32_e32 v32, 8, v28
	v_mov_b32_e32 v33, 0
	s_and_saveexec_b64 s[6:7], s[2:3]
	s_cbranch_execz .LBB413_75
; %bb.74:
	v_mov_b32_e32 v33, 0
	v_lshl_add_u64 v[18:19], v[24:25], 0, v[32:33]
	global_load_ushort v28, v[18:19], off
	v_lshl_add_u64 v[18:19], v[22:23], 0, v[32:33]
	s_waitcnt vmcnt(0)
	v_lshlrev_b32_e32 v28, 16, v28
	v_sub_f32_e32 v20, v28, v20
	global_store_short_d16_hi v[18:19], v20, off
	v_mul_f32_e32 v18, v46, v20
	v_lshrrev_b32_e32 v33, 16, v18
.LBB413_75:
	s_or_b64 exec, exec, s[6:7]
	v_lshlrev_b32_e32 v28, 8, v29
	s_and_saveexec_b64 s[6:7], vcc
	s_cbranch_execz .LBB413_77
; %bb.76:
	v_mov_b32_e32 v29, 0
	v_lshl_add_u64 v[18:19], v[24:25], 0, v[28:29]
	global_load_ushort v20, v[18:19], off
	v_lshl_add_u64 v[18:19], v[22:23], 0, v[28:29]
	s_waitcnt vmcnt(0)
	v_lshlrev_b32_e32 v20, 16, v20
	v_sub_f32_e32 v20, v20, v21
	global_store_short_d16_hi v[18:19], v20, off
	v_mul_f32_e32 v18, v39, v20
	v_lshrrev_b32_e32 v47, 16, v18
.LBB413_77:
	s_or_b64 exec, exec, s[6:7]
	v_lshlrev_b32_e32 v35, 5, v38
	s_mov_b32 s6, 0x5040100
	v_perm_b32 v48, v31, v27, s6
	v_or_b32_e32 v27, v35, v40
	v_accvgpr_read_b32 v21, a3
	v_perm_b32 v49, v47, v33, s6
	v_lshlrev_b32_e32 v27, 1, v27
	v_accvgpr_read_b32 v20, a2
	v_accvgpr_read_b32 v19, a1
	;; [unrolled: 1-line block ×3, first 2 shown]
	ds_write_b64 v27, v[48:49] offset:45056
	v_mov_b32_e32 v31, 0
	v_mov_b32_e32 v27, 0
	s_and_saveexec_b64 s[6:7], s[0:1]
	s_cbranch_execz .LBB413_79
; %bb.78:
	v_mov_b32_e32 v27, 0
	v_lshl_add_u64 v[48:49], v[24:25], 0, v[26:27]
	global_load_ushort v29, v[48:49], off offset:32
	v_lshl_add_u64 v[26:27], v[22:23], 0, v[26:27]
	s_waitcnt vmcnt(0)
	v_lshlrev_b32_e32 v29, 16, v29
	v_sub_f32_e32 v18, v29, v18
	global_store_short_d16_hi v[26:27], v18, off offset:32
	v_mul_f32_e32 v18, v45, v18
	v_lshrrev_b32_e32 v27, 16, v18
.LBB413_79:
	s_or_b64 exec, exec, s[6:7]
	s_and_saveexec_b64 s[0:1], s[4:5]
	s_cbranch_execz .LBB413_81
; %bb.80:
	v_mov_b32_e32 v31, 0
	v_lshl_add_u64 v[48:49], v[24:25], 0, v[30:31]
	global_load_ushort v18, v[48:49], off offset:32
	v_lshl_add_u64 v[30:31], v[22:23], 0, v[30:31]
	s_waitcnt vmcnt(0)
	v_lshlrev_b32_e32 v18, 16, v18
	v_sub_f32_e32 v18, v18, v19
	global_store_short_d16_hi v[30:31], v18, off offset:32
	v_mul_f32_e32 v18, v44, v18
	v_lshrrev_b32_e32 v31, 16, v18
.LBB413_81:
	s_or_b64 exec, exec, s[0:1]
	v_mov_b32_e32 v26, 0
	v_mov_b32_e32 v30, 0
	s_and_saveexec_b64 s[0:1], s[2:3]
	s_cbranch_execz .LBB413_83
; %bb.82:
	v_mov_b32_e32 v33, 0
	v_lshl_add_u64 v[18:19], v[24:25], 0, v[32:33]
	global_load_ushort v29, v[18:19], off offset:32
	v_lshl_add_u64 v[18:19], v[22:23], 0, v[32:33]
	s_waitcnt vmcnt(0)
	v_lshlrev_b32_e32 v29, 16, v29
	v_sub_f32_e32 v20, v29, v20
	global_store_short_d16_hi v[18:19], v20, off offset:32
	v_mul_f32_e32 v18, v46, v20
	v_lshrrev_b32_e32 v30, 16, v18
.LBB413_83:
	s_or_b64 exec, exec, s[0:1]
	v_or_b32_e32 v19, 0xb000, v42
	v_or_b32_e32 v18, 0xb000, v43
	s_and_saveexec_b64 s[0:1], vcc
	s_cbranch_execz .LBB413_85
; %bb.84:
	v_mov_b32_e32 v29, 0
	v_lshl_add_u64 v[24:25], v[24:25], 0, v[28:29]
	global_load_ushort v20, v[24:25], off offset:32
	v_lshl_add_u64 v[22:23], v[22:23], 0, v[28:29]
	s_waitcnt vmcnt(0)
	v_lshlrev_b32_e32 v20, 16, v20
	v_sub_f32_e32 v20, v20, v21
	global_store_short_d16_hi v[22:23], v20, off offset:32
	v_mul_f32_e32 v20, v39, v20
	v_lshrrev_b32_e32 v26, 16, v20
.LBB413_85:
	s_or_b64 exec, exec, s[0:1]
	s_mov_b32 s0, 0x5040100
	v_or_b32_e32 v22, v35, v37
	v_perm_b32 v21, v26, v30, s0
	v_perm_b32 v20, v31, v27, s0
	v_lshlrev_b32_e32 v22, 1, v22
	s_movk_i32 s2, 0x100
	ds_write_b64 v22, v[20:21] offset:45056
	v_and_b32_e32 v20, 7, v0
	v_and_b32_e32 v21, 8, v0
	v_cmp_gt_u32_e32 vcc, s2, v0
	v_lshrrev_b32_e32 v0, 1, v0
	v_lshlrev_b32_e32 v26, 3, v20
	v_lshlrev_b32_e32 v35, 7, v20
	v_mov_b32_e32 v20, 0x4000
	v_mov_b32_e32 v22, 0x2000
	v_lshlrev_b32_e32 v24, 3, v53
	v_and_b32_e32 v0, 24, v0
	v_cndmask_b32_e32 v27, v20, v22, vcc
	v_xor_b32_e32 v20, v24, v0
	v_or_b32_e32 v22, 0x440, v20
	v_cmp_eq_u32_e32 vcc, 0, v21
	v_or_b32_e32 v28, 32, v0
	v_xor_b32_e32 v28, v24, v28
	v_cndmask_b32_e32 v20, v22, v20, vcc
	v_or_b32_e32 v20, v20, v41
	v_xor_b32_e32 v48, v20, v26
	v_or_b32_e32 v29, 0x440, v28
	v_add3_u32 v25, v27, v48, v35
	v_cndmask_b32_e32 v28, v29, v28, vcc
	v_or_b32_e32 v29, 64, v0
	v_or_b32_e32 v0, 0x60, v0
	s_waitcnt lgkmcnt(0)
	s_barrier
	v_xor_b32_e32 v29, v24, v29
	v_xor_b32_e32 v0, v24, v0
	ds_read_b64 v[24:25], v25
	v_xor_b32_e32 v30, 0x440, v29
	ds_read2_b64 v[20:23], v19 offset1:16
	v_cndmask_b32_e32 v29, v30, v29, vcc
	v_xor_b32_e32 v30, 0x440, v0
	v_or_b32_e32 v28, v28, v41
	v_or_b32_e32 v29, v29, v41
	v_cndmask_b32_e32 v0, v30, v0, vcc
	v_xor_b32_e32 v49, v28, v26
	v_xor_b32_e32 v50, v29, v26
	v_or_b32_e32 v0, v0, v41
	s_add_i32 s0, s12, s48
	v_add3_u32 v28, v27, v49, v35
	v_add3_u32 v29, v27, v50, v35
	v_xor_b32_e32 v51, v0, v26
	s_mul_hi_i32 s1, s0, s13
	s_mul_i32 s0, s0, s13
	v_add3_u32 v0, v27, v51, v35
	ds_read_b64 v[26:27], v28
	ds_read_b64 v[32:33], v29
	;; [unrolled: 1-line block ×3, first 2 shown]
	ds_read2st64_b64 v[28:31], v19 offset0:2 offset1:4
	ds_read2st64_b64 v[40:43], v18 offset0:2 offset1:4
	s_add_u32 s0, s0, s33
	s_waitcnt lgkmcnt(5)
	v_mfma_f32_16x16x16_bf16 a[0:3], v[24:25], v[20:21], 0
	s_addc_u32 s1, s1, s14
	s_lshl_b64 s[0:1], s[0:1], 9
	s_add_u32 s0, s36, s0
	v_mfma_f32_16x16x16_bf16 a[4:7], v[24:25], v[22:23], 0
	s_addc_u32 s1, s37, s1
	v_lshlrev_b32_e32 v0, 2, v38
	v_add_u32_e32 v48, v48, v35
	s_waitcnt lgkmcnt(1)
	v_mfma_f32_16x16x16_bf16 a[0:3], v[26:27], v[28:29], a[0:3]
	v_add_u32_e32 v50, v50, v35
	s_waitcnt lgkmcnt(0)
	v_mfma_f32_16x16x16_bf16 a[4:7], v[26:27], v[40:41], a[4:7]
	global_load_dwordx4 v[24:27], v0, s[0:1]
	v_lshlrev_b32_e32 v0, 6, v53
	s_waitcnt vmcnt(0)
	v_exp_f32_e32 v26, v26
	v_mfma_f32_16x16x16_bf16 a[0:3], v[32:33], v[30:31], a[0:3]
	v_exp_f32_e32 v27, v27
	v_mfma_f32_16x16x16_bf16 a[4:7], v[32:33], v[42:43], a[4:7]
	ds_read_b64 v[32:33], v19 offset:3072
	ds_read_b64 v[46:47], v18 offset:3072
	v_lshlrev_b32_e32 v18, 2, v36
	v_or3_b32 v0, v0, v18, s2
	global_load_dwordx4 v[36:39], v0, s[0:1]
	v_exp_f32_e32 v18, v24
	v_exp_f32_e32 v19, v25
	ds_read_b64 v[24:25], v48 offset:16384
	s_waitcnt lgkmcnt(2)
	v_mfma_f32_16x16x16_bf16 a[0:3], v[44:45], v[32:33], a[0:3]
	v_exp_f32_e32 v0, s16
	s_nop 0
	v_pk_mul_f32 v[54:55], v[0:1], v[18:19] op_sel_hi:[0,1]
	s_waitcnt lgkmcnt(1)
	v_mfma_f32_16x16x16_bf16 a[4:7], v[44:45], v[46:47], a[4:7]
	v_add_u32_e32 v44, v49, v35
	s_nop 0
	v_accvgpr_read_b32 v19, a1
	v_accvgpr_read_b32 v45, a3
	v_add_u32_e32 v35, v51, v35
	ds_read_b64 v[48:49], v44 offset:16384
	ds_read_b64 v[50:51], v50 offset:16384
	;; [unrolled: 1-line block ×3, first 2 shown]
	v_accvgpr_read_b32 v44, a2
	v_accvgpr_read_b32 v18, a0
	s_waitcnt lgkmcnt(3)
	v_mfma_f32_16x16x16_bf16 a[0:3], v[24:25], v[22:23], 0
	v_pk_fma_f32 v[18:19], v[2:3], v[54:55], v[18:19]
	v_pk_mul_f32 v[2:3], v[0:1], v[26:27] op_sel_hi:[0,1]
	v_mov_b32_e32 v35, v34
	v_mfma_f32_16x16x16_bf16 a[8:11], v[24:25], v[20:21], 0
	v_pk_fma_f32 v[20:21], v[4:5], v[2:3], v[44:45]
	v_accvgpr_read_b32 v4, a4
	v_fma_f32 v26, v10, v54, v4
	s_waitcnt lgkmcnt(2)
	v_mfma_f32_16x16x16_bf16 a[0:3], v[48:49], v[40:41], a[0:3]
	v_accvgpr_read_b32 v4, a5
	v_fma_f32 v27, v11, v55, v4
	v_accvgpr_read_b32 v4, a6
	v_mfma_f32_16x16x16_bf16 a[8:11], v[48:49], v[28:29], a[8:11]
	v_accvgpr_read_b32 v29, a7
	v_fma_f32 v28, v12, v2, v4
	v_fmac_f32_e32 v29, v13, v3
	s_waitcnt lgkmcnt(1)
	v_mfma_f32_16x16x16_bf16 a[0:3], v[50:51], v[42:43], a[0:3]
	s_waitcnt vmcnt(0)
	v_mov_b32_e32 v2, v37
	v_mfma_f32_16x16x16_bf16 a[8:11], v[50:51], v[30:31], a[8:11]
	v_mov_b32_e32 v3, v38
	v_mov_b32_e32 v4, v39
	v_exp_f32_e32 v10, v36
	v_exp_f32_e32 v11, v2
	;; [unrolled: 1-line block ×4, first 2 shown]
	s_waitcnt lgkmcnt(0)
	v_mfma_f32_16x16x16_bf16 a[0:3], v[52:53], v[46:47], a[0:3]
	v_pk_mul_f32 v[10:11], v[0:1], v[10:11] op_sel_hi:[0,1]
	v_pk_mul_f32 v[2:3], v[0:1], v[2:3] op_sel_hi:[0,1]
	v_mfma_f32_16x16x16_bf16 a[4:7], v[52:53], v[32:33], a[8:11]
	s_nop 3
	v_accvgpr_read_b32 v0, a0
	v_fma_f32 v30, v14, v10, v0
	v_accvgpr_read_b32 v0, a1
	v_fma_f32 v31, v15, v11, v0
	v_accvgpr_read_b32 v13, a5
	v_accvgpr_read_b32 v5, a7
	;; [unrolled: 1-line block ×6, first 2 shown]
	v_pk_fma_f32 v[22:23], v[6:7], v[10:11], v[12:13]
	v_pk_fma_f32 v[24:25], v[8:9], v[2:3], v[4:5]
	v_fma_f32 v32, v16, v2, v0
	v_fmac_f32_e32 v33, v17, v3
	v_mov_b64_e32 v[2:3], v[18:19]
	v_mov_b64_e32 v[4:5], v[20:21]
	;; [unrolled: 1-line block ×8, first 2 shown]
.LBB413_86:
	s_lshl_b64 s[0:1], s[28:29], 16
	s_add_u32 s0, s34, s0
	v_lshlrev_b32_e32 v18, 7, v35
	s_addc_u32 s1, s35, s1
	v_ashrrev_i32_e32 v19, 31, v18
	v_lshl_add_u64 v[20:21], v[18:19], 2, s[0:1]
	v_lshlrev_b32_e32 v0, 2, v1
	v_mov_b32_e32 v1, 0
	v_lshl_add_u64 v[20:21], v[20:21], 0, v[0:1]
	global_store_dwordx4 v[20:21], v[2:5], off
	global_store_dwordx4 v[20:21], v[6:9], off offset:256
	s_nop 0
	v_or_b32_e32 v2, 0x800, v18
	v_ashrrev_i32_e32 v3, 31, v2
	v_lshl_add_u64 v[2:3], v[2:3], 2, s[0:1]
	v_lshl_add_u64 v[0:1], v[2:3], 0, v[0:1]
	global_store_dwordx4 v[0:1], v[10:13], off
	global_store_dwordx4 v[0:1], v[14:17], off offset:256
	s_endpgm
	.section	.rodata,"a",@progbits
	.p2align	6, 0x0
	.amdhsa_kernel _ZN12_GLOBAL__N_139chunk_gated_delta_rule_fwd_h_hip_kernelILi32ELb0ELb1ELb1ELb0ELb1ELb1ELb0ELb0EEEvPK12hip_bfloat16S3_S3_PKfS5_PKvPS1_S8_PvPKiSB_iiiiilll
		.amdhsa_group_segment_fixed_size 49152
		.amdhsa_private_segment_fixed_size 0
		.amdhsa_kernarg_size 136
		.amdhsa_user_sgpr_count 2
		.amdhsa_user_sgpr_dispatch_ptr 0
		.amdhsa_user_sgpr_queue_ptr 0
		.amdhsa_user_sgpr_kernarg_segment_ptr 1
		.amdhsa_user_sgpr_dispatch_id 0
		.amdhsa_user_sgpr_kernarg_preload_length 0
		.amdhsa_user_sgpr_kernarg_preload_offset 0
		.amdhsa_user_sgpr_private_segment_size 0
		.amdhsa_uses_dynamic_stack 0
		.amdhsa_enable_private_segment 0
		.amdhsa_system_sgpr_workgroup_id_x 1
		.amdhsa_system_sgpr_workgroup_id_y 1
		.amdhsa_system_sgpr_workgroup_id_z 0
		.amdhsa_system_sgpr_workgroup_info 0
		.amdhsa_system_vgpr_workitem_id 0
		.amdhsa_next_free_vgpr 164
		.amdhsa_next_free_sgpr 72
		.amdhsa_accum_offset 144
		.amdhsa_reserve_vcc 1
		.amdhsa_float_round_mode_32 0
		.amdhsa_float_round_mode_16_64 0
		.amdhsa_float_denorm_mode_32 3
		.amdhsa_float_denorm_mode_16_64 3
		.amdhsa_dx10_clamp 1
		.amdhsa_ieee_mode 1
		.amdhsa_fp16_overflow 0
		.amdhsa_tg_split 0
		.amdhsa_exception_fp_ieee_invalid_op 0
		.amdhsa_exception_fp_denorm_src 0
		.amdhsa_exception_fp_ieee_div_zero 0
		.amdhsa_exception_fp_ieee_overflow 0
		.amdhsa_exception_fp_ieee_underflow 0
		.amdhsa_exception_fp_ieee_inexact 0
		.amdhsa_exception_int_div_zero 0
	.end_amdhsa_kernel
	.section	.text._ZN12_GLOBAL__N_139chunk_gated_delta_rule_fwd_h_hip_kernelILi32ELb0ELb1ELb1ELb0ELb1ELb1ELb0ELb0EEEvPK12hip_bfloat16S3_S3_PKfS5_PKvPS1_S8_PvPKiSB_iiiiilll,"axG",@progbits,_ZN12_GLOBAL__N_139chunk_gated_delta_rule_fwd_h_hip_kernelILi32ELb0ELb1ELb1ELb0ELb1ELb1ELb0ELb0EEEvPK12hip_bfloat16S3_S3_PKfS5_PKvPS1_S8_PvPKiSB_iiiiilll,comdat
.Lfunc_end413:
	.size	_ZN12_GLOBAL__N_139chunk_gated_delta_rule_fwd_h_hip_kernelILi32ELb0ELb1ELb1ELb0ELb1ELb1ELb0ELb0EEEvPK12hip_bfloat16S3_S3_PKfS5_PKvPS1_S8_PvPKiSB_iiiiilll, .Lfunc_end413-_ZN12_GLOBAL__N_139chunk_gated_delta_rule_fwd_h_hip_kernelILi32ELb0ELb1ELb1ELb0ELb1ELb1ELb0ELb0EEEvPK12hip_bfloat16S3_S3_PKfS5_PKvPS1_S8_PvPKiSB_iiiiilll
                                        ; -- End function
	.section	.AMDGPU.csdata,"",@progbits
; Kernel info:
; codeLenInByte = 9940
; NumSgprs: 78
; NumVgprs: 142
; NumAgprs: 20
; TotalNumVgprs: 164
; ScratchSize: 0
; MemoryBound: 0
; FloatMode: 240
; IeeeMode: 1
; LDSByteSize: 49152 bytes/workgroup (compile time only)
; SGPRBlocks: 9
; VGPRBlocks: 20
; NumSGPRsForWavesPerEU: 78
; NumVGPRsForWavesPerEU: 164
; AccumOffset: 144
; Occupancy: 1
; WaveLimiterHint : 1
; COMPUTE_PGM_RSRC2:SCRATCH_EN: 0
; COMPUTE_PGM_RSRC2:USER_SGPR: 2
; COMPUTE_PGM_RSRC2:TRAP_HANDLER: 0
; COMPUTE_PGM_RSRC2:TGID_X_EN: 1
; COMPUTE_PGM_RSRC2:TGID_Y_EN: 1
; COMPUTE_PGM_RSRC2:TGID_Z_EN: 0
; COMPUTE_PGM_RSRC2:TIDIG_COMP_CNT: 0
; COMPUTE_PGM_RSRC3_GFX90A:ACCUM_OFFSET: 35
; COMPUTE_PGM_RSRC3_GFX90A:TG_SPLIT: 0
	.section	.text._ZN12_GLOBAL__N_139chunk_gated_delta_rule_fwd_h_hip_kernelILi32ELb0ELb1ELb0ELb0ELb1ELb1ELb0ELb0EEEvPK12hip_bfloat16S3_S3_PKfS5_PKvPS1_S8_PvPKiSB_iiiiilll,"axG",@progbits,_ZN12_GLOBAL__N_139chunk_gated_delta_rule_fwd_h_hip_kernelILi32ELb0ELb1ELb0ELb0ELb1ELb1ELb0ELb0EEEvPK12hip_bfloat16S3_S3_PKfS5_PKvPS1_S8_PvPKiSB_iiiiilll,comdat
	.globl	_ZN12_GLOBAL__N_139chunk_gated_delta_rule_fwd_h_hip_kernelILi32ELb0ELb1ELb0ELb0ELb1ELb1ELb0ELb0EEEvPK12hip_bfloat16S3_S3_PKfS5_PKvPS1_S8_PvPKiSB_iiiiilll ; -- Begin function _ZN12_GLOBAL__N_139chunk_gated_delta_rule_fwd_h_hip_kernelILi32ELb0ELb1ELb0ELb0ELb1ELb1ELb0ELb0EEEvPK12hip_bfloat16S3_S3_PKfS5_PKvPS1_S8_PvPKiSB_iiiiilll
	.p2align	8
	.type	_ZN12_GLOBAL__N_139chunk_gated_delta_rule_fwd_h_hip_kernelILi32ELb0ELb1ELb0ELb0ELb1ELb1ELb0ELb0EEEvPK12hip_bfloat16S3_S3_PKfS5_PKvPS1_S8_PvPKiSB_iiiiilll,@function
_ZN12_GLOBAL__N_139chunk_gated_delta_rule_fwd_h_hip_kernelILi32ELb0ELb1ELb0ELb0ELb1ELb1ELb0ELb0EEEvPK12hip_bfloat16S3_S3_PKfS5_PKvPS1_S8_PvPKiSB_iiiiilll: ; @_ZN12_GLOBAL__N_139chunk_gated_delta_rule_fwd_h_hip_kernelILi32ELb0ELb1ELb0ELb0ELb1ELb1ELb0ELb0EEEvPK12hip_bfloat16S3_S3_PKfS5_PKvPS1_S8_PvPKiSB_iiiiilll
; %bb.0:
	s_load_dwordx4 s[12:15], s[0:1], 0x5c
	s_load_dwordx4 s[16:19], s[0:1], 0x70
	s_abs_i32 s22, s3
	s_ashr_i32 s21, s3, 31
	s_load_dwordx8 s[4:11], s[0:1], 0x0
	s_load_dwordx2 s[30:31], s[0:1], 0x20
	s_waitcnt lgkmcnt(0)
	s_abs_i32 s20, s13
	v_cvt_f32_u32_e32 v1, s20
	s_sub_i32 s24, 0, s20
	s_ashr_i32 s23, s13, 31
	s_xor_b32 s21, s21, s23
	v_rcp_iflag_f32_e32 v1, v1
	s_load_dwordx2 s[28:29], s[0:1], 0x40
	s_load_dwordx2 s[38:39], s[0:1], 0x30
	;; [unrolled: 1-line block ×3, first 2 shown]
	v_lshrrev_b32_e32 v53, 6, v0
	v_mul_f32_e32 v1, 0x4f7ffffe, v1
	v_cvt_u32_f32_e32 v1, v1
	v_bfe_u32 v62, v0, 4, 2
	v_lshlrev_b32_e32 v60, 4, v53
	v_lshlrev_b32_e32 v18, 2, v62
	v_readfirstlane_b32 s25, v1
	s_mul_i32 s24, s24, s25
	s_mul_hi_u32 s24, s25, s24
	s_add_i32 s25, s25, s24
	s_mul_hi_u32 s24, s22, s25
	s_mul_i32 s25, s24, s20
	s_sub_i32 s22, s22, s25
	s_add_i32 s25, s24, 1
	s_sub_i32 s26, s22, s20
	s_cmp_ge_u32 s22, s20
	s_cselect_b32 s24, s25, s24
	s_cselect_b32 s22, s26, s22
	s_add_i32 s25, s24, 1
	s_cmp_ge_u32 s22, s20
	s_cselect_b32 s22, s25, s24
	s_xor_b32 s22, s22, s21
	s_sub_i32 s50, s22, s21
	s_abs_i32 s21, s14
	v_cvt_f32_u32_e32 v1, s21
	s_ashr_i32 s49, s12, 31
	s_lshr_b32 s22, s49, 26
	s_add_i32 s22, s12, s22
	v_rcp_iflag_f32_e32 v1, v1
	s_ashr_i32 s52, s14, 31
	s_ashr_i32 s51, s22, 6
	s_xor_b32 s22, s23, s52
	v_mul_f32_e32 v1, 0x4f7ffffe, v1
	v_cvt_u32_f32_e32 v1, v1
	s_sub_i32 s23, 0, s21
	s_mul_i32 s48, s50, s13
	s_sub_i32 s33, s3, s48
	v_readfirstlane_b32 s24, v1
	s_mul_i32 s23, s23, s24
	s_mul_hi_u32 s23, s24, s23
	s_add_i32 s24, s24, s23
	s_mul_hi_u32 s23, s20, s24
	s_mul_i32 s24, s23, s21
	s_sub_i32 s20, s20, s24
	s_add_i32 s3, s12, 63
	s_add_i32 s24, s23, 1
	s_sub_i32 s25, s20, s21
	s_cmp_ge_u32 s20, s21
	s_cselect_b32 s23, s24, s23
	s_cselect_b32 s20, s25, s20
	s_add_i32 s24, s23, 1
	s_cmp_ge_u32 s20, s21
	s_cselect_b32 s20, s24, s23
	s_xor_b32 s20, s20, s22
	s_sub_i32 s20, s20, s22
	s_abs_i32 s21, s20
	v_cvt_f32_u32_e32 v1, s21
	s_xor_b32 s0, s33, s20
	s_sub_i32 s20, 0, s21
	s_abs_i32 s1, s33
	v_rcp_iflag_f32_e32 v1, v1
	s_ashr_i32 s0, s0, 31
	v_and_b32_e32 v61, 63, v0
	v_mov_b32_e32 v17, 0
	v_mul_f32_e32 v1, 0x4f7ffffe, v1
	v_cvt_u32_f32_e32 v1, v1
	s_mul_i32 s46, s50, s12
	v_and_b32_e32 v63, 15, v0
	s_mul_hi_i32 s54, s50, s13
	v_readfirstlane_b32 s22, v1
	s_mul_i32 s20, s20, s22
	s_mul_hi_u32 s20, s22, s20
	s_add_i32 s22, s22, s20
	s_mul_hi_u32 s20, s1, s22
	s_mul_i32 s22, s20, s21
	s_sub_i32 s1, s1, s22
	s_add_i32 s22, s20, 1
	s_sub_i32 s23, s1, s21
	s_cmp_ge_u32 s1, s21
	s_cselect_b32 s20, s22, s20
	s_cselect_b32 s1, s23, s1
	s_add_i32 s22, s20, 1
	s_cmp_ge_u32 s1, s21
	s_cselect_b32 s1, s22, s20
	s_xor_b32 s1, s1, s0
	s_sub_i32 s55, s1, s0
	s_ashr_i32 s0, s3, 31
	s_lshr_b32 s0, s0, 26
	s_add_i32 s3, s3, s0
	v_or_b32_e32 v1, v18, v60
	s_ashr_i32 s0, s3, 6
	s_lshl_b32 s2, s2, 5
	s_mul_i32 s53, s50, s0
	v_or_b32_e32 v66, 64, v1
	s_cmp_lt_i32 s12, 64
	v_lshrrev_b32_e32 v65, 3, v61
	v_lshlrev_b32_e32 v64, 3, v0
	s_mul_i32 s17, s50, s17
	s_mul_hi_u32 s47, s50, s16
	s_mul_i32 s36, s50, s16
	v_mov_b32_e32 v16, v17
	v_mov_b32_e32 v15, v17
	;; [unrolled: 1-line block ×15, first 2 shown]
	s_cbranch_scc1 .LBB414_19
; %bb.1:
	s_ashr_i32 s3, s50, 31
	s_ashr_i32 s57, s33, 31
	s_add_u32 s0, s48, s33
	s_addc_u32 s1, s54, s57
	s_mul_i32 s1, s12, s1
	s_mul_hi_u32 s20, s12, s0
	s_add_i32 s41, s20, s1
	s_mul_i32 s40, s12, s0
	s_lshl_b64 s[0:1], s[40:41], 8
	v_and_b32_e32 v68, 56, v64
	s_add_u32 s20, s6, s0
	v_lshl_or_b32 v67, v53, 3, v65
	v_lshlrev_b32_e32 v2, 1, v68
	s_addc_u32 s0, s7, s1
	v_lshl_or_b32 v69, v67, 8, v2
	s_and_b32 s21, s0, 0xffff
	s_mov_b32 s23, 0x20000
	s_movk_i32 s22, 0x4000
	s_movk_i32 s0, 0x80
	v_or_b32_e32 v70, 0x2000, v69
	buffer_load_dwordx4 v[4:7], v69, s[20:23], 0 offen
	buffer_load_dwordx4 v[8:11], v69, s[20:23], s0 offen
	;; [unrolled: 1-line block ×4, first 2 shown]
	v_lshlrev_b32_e32 v3, 3, v67
	v_and_or_b32 v17, v0, 7, v3
	v_and_b32_e32 v3, 0x78, v3
	v_lshlrev_b32_e32 v17, 4, v17
	v_xor_b32_e32 v71, v17, v3
	v_mul_lo_u32 v16, v67, s15
	v_or_b32_e32 v72, 0x1000, v71
	v_xor_b32_e32 v3, 8, v71
	s_cmpk_eq_i32 s15, 0x80
	s_mov_b32 s56, s14
	v_xor_b32_e32 v17, 8, v72
	s_cselect_b64 s[0:1], -1, 0
	s_cmpk_lg_i32 s15, 0x80
	s_waitcnt vmcnt(3)
	ds_write_b64 v71, v[4:5] offset:24576
	ds_write_b64 v3, v[6:7] offset:24576
	s_waitcnt vmcnt(2)
	ds_write_b64 v71, v[8:9] offset:32768
	ds_write_b64 v3, v[10:11] offset:32768
	;; [unrolled: 3-line block ×4, first 2 shown]
	v_lshl_add_u32 v3, v16, 1, v68
	s_cbranch_scc0 .LBB414_3
; %bb.2:
	v_lshlrev_b32_e32 v5, 1, v3
	v_add_lshl_u32 v4, v3, s15, 1
	s_lshl_b32 s22, s15, 7
	v_lshl_or_b32 v2, v67, 9, v2
	s_cbranch_execz .LBB414_4
	s_branch .LBB414_5
.LBB414_3:
                                        ; implicit-def: $vgpr4
                                        ; implicit-def: $vgpr5
                                        ; implicit-def: $sgpr22
	v_lshl_or_b32 v2, v67, 9, v2
.LBB414_4:
	v_or_b32_e32 v4, 0x100, v2
	s_movk_i32 s22, 0x4000
	v_mov_b32_e32 v5, v2
.LBB414_5:
	s_mul_hi_u32 s20, s14, s12
	s_mul_i32 s21, s52, s12
	s_add_i32 s20, s20, s21
	s_mul_i32 s21, s14, s12
	s_mul_i32 s23, s21, s3
	s_mul_hi_u32 s24, s21, s50
	s_add_i32 s23, s24, s23
	s_mul_i32 s20, s20, s50
	s_add_i32 s23, s23, s20
	s_mul_i32 s21, s21, s50
	s_ashr_i32 s58, s55, 31
	s_add_u32 s20, s21, s55
	s_addc_u32 s21, s23, s58
	s_lshl_b64 s[20:21], s[20:21], 8
	s_add_u32 s20, s4, s20
	s_addc_u32 s21, s5, s21
	s_and_b32 s21, s21, 0xffff
	s_mov_b32 s23, 0x20000
	s_movk_i32 s59, 0x80
	buffer_load_dwordx4 v[6:9], v5, s[20:23], 0 offen
	buffer_load_dwordx4 v[10:13], v5, s[20:23], s59 offen
	;; [unrolled: 1-line block ×4, first 2 shown]
	v_and_b32_e32 v4, 6, v0
	s_mul_i32 s20, s3, s12
	s_mul_hi_u32 s21, s50, s12
	v_lshlrev_b32_e32 v24, 6, v1
	v_or_b32_e32 v26, 16, v63
	v_xor_b32_e32 v27, v67, v4
	v_and_b32_e32 v5, 1, v0
	v_lshl_or_b32 v30, v63, 3, v24
	v_lshl_or_b32 v24, v26, 3, v24
	v_lshlrev_b32_e32 v27, 2, v27
	s_add_i32 s63, s21, s20
	s_add_i32 s20, s47, s17
	s_mul_i32 s3, s3, s16
	v_lshlrev_b32_e32 v19, 2, v63
	v_or_b32_e32 v75, 0xa000, v24
	v_or_b32_e32 v76, 0xb000, v24
	v_xor_b32_e32 v24, 0x440, v27
	v_cmp_eq_u32_e32 vcc, 0, v5
	s_add_i32 s37, s20, s3
	s_mul_i32 s3, s33, s19
	s_mul_hi_u32 s20, s33, s18
	v_xor_b32_e32 v28, v1, v19
	v_xor_b32_e32 v29, v66, v19
	v_cndmask_b32_e32 v5, v24, v27, vcc
	s_add_i32 s3, s20, s3
	s_mul_i32 s20, s57, s18
	s_mov_b32 s61, 0x1000504
	v_lshlrev_b32_e32 v25, 8, v63
	v_lshlrev_b32_e32 v28, 1, v28
	;; [unrolled: 1-line block ×3, first 2 shown]
	v_lshl_or_b32 v4, v4, 10, v5
	s_add_i32 s21, s3, s20
	s_lshl_b64 s[24:25], s[36:37], 2
	s_mov_b32 s62, 0x3020706
	v_or_b32_e32 v73, 0xa000, v30
	v_or_b32_e32 v74, 0xb000, v30
	;; [unrolled: 1-line block ×4, first 2 shown]
	v_xor_b32_e32 v5, 8, v4
	v_xor_b32_e32 v25, 24, v4
	;; [unrolled: 1-line block ×4, first 2 shown]
	s_mul_i32 s20, s33, s18
	s_add_u32 s3, s10, s24
	v_xor_b32_e32 v24, 16, v4
	v_xor_b32_e32 v27, 32, v4
	;; [unrolled: 1-line block ×3, first 2 shown]
	v_add_u32_e32 v5, 0x80, v5
	v_add_u32_e32 v25, 0x80, v25
	v_add_u32_e32 v30, 0x80, v30
	v_add_u32_e32 v32, 0x80, v32
	s_addc_u32 s22, s11, s25
	s_lshl_b64 s[20:21], s[20:21], 2
	s_add_u32 s42, s3, s20
	s_movk_i32 s3, 0xf8
	s_addc_u32 s43, s22, s21
	s_lshl_b32 s26, s15, 7
	s_movk_i32 s24, 0x100
	v_mov_b32_e32 v55, 0
	v_lshlrev_b32_e32 v54, 4, v63
	v_cmp_gt_u32_e32 vcc, s24, v0
	v_lshlrev_b32_e32 v26, 8, v26
	v_or_b32_e32 v79, v26, v28
	v_or_b32_e32 v80, v26, v29
	s_mov_b32 s60, 0
	s_movk_i32 s37, 0x1000
	s_movk_i32 s22, 0x4000
	v_add_u32_e32 v94, v60, v18
	s_mov_b32 s64, 0x7060302
	s_mov_b32 s66, 0
	v_mov_b32_e32 v105, v55
	v_mov_b32_e32 v106, v55
	;; [unrolled: 1-line block ×8, first 2 shown]
	s_waitcnt vmcnt(1)
	v_perm_b32 v33, v6, v14, s61
	s_waitcnt vmcnt(0)
	v_perm_b32 v34, v10, v20, s61
	v_perm_b32 v6, v6, v14, s62
	;; [unrolled: 1-line block ×15, first 2 shown]
	ds_write2st64_b32 v4, v33, v34 offset0:32 offset1:64
	ds_write2st64_b32 v5, v6, v10 offset0:32 offset1:64
	;; [unrolled: 1-line block ×8, first 2 shown]
	v_or_b32_e32 v4, v60, v63
	v_lshlrev_b32_e32 v4, 3, v4
	v_lshrrev_b32_e32 v6, 5, v61
	v_and_or_b32 v6, v4, s3, v6
	v_lshlrev_b32_e32 v6, 4, v6
	v_lshrrev_b32_e32 v5, 2, v61
	v_lshlrev_b32_e32 v11, 11, v53
	v_and_b32_e32 v4, 0x78, v4
	v_or_b32_e32 v10, 32, v6
	v_and_b32_e32 v7, 12, v5
	v_and_b32_e32 v5, 0x1000, v11
	v_xor_b32_e32 v8, v6, v4
	v_lshrrev_b32_e32 v9, 1, v61
	v_xor_b32_e32 v10, v10, v4
	v_or_b32_e32 v8, v8, v5
	v_and_b32_e32 v9, 8, v9
	v_lshlrev_b32_e32 v12, 7, v62
	v_or_b32_e32 v10, v10, v5
	v_xor_b32_e32 v81, v8, v9
	v_or_b32_e32 v8, v12, v19
	v_xor_b32_e32 v83, v10, v9
	v_or_b32_e32 v10, 64, v6
	v_or_b32_e32 v6, 0x60, v6
	s_ashr_i32 s3, s2, 31
	v_lshlrev_b32_e32 v8, 1, v8
	v_xor_b32_e32 v10, v10, v4
	v_xor_b32_e32 v4, v6, v4
	s_lshl_b64 s[20:21], s[2:3], 8
	v_or_b32_e32 v82, 0xa000, v8
	v_or_b32_e32 v84, 0xa080, v8
	;; [unrolled: 1-line block ×6, first 2 shown]
	s_waitcnt lgkmcnt(0)
	s_add_u32 s20, s38, s20
	v_lshlrev_b32_e32 v8, 1, v63
	v_lshlrev_b32_e32 v19, 2, v0
	v_lshrrev_b32_e32 v22, 1, v0
	v_xor_b32_e32 v85, v10, v9
	v_xor_b32_e32 v86, v4, v9
	v_lshrrev_b32_e32 v10, 4, v0
	s_addc_u32 s21, s39, s21
	v_or_b32_e32 v9, 1, v8
	v_mov_b32_e32 v20, 0x4000
	v_mov_b32_e32 v21, 0x2000
	v_and_b32_e32 v22, 24, v22
	v_and_or_b32 v12, v19, 60, v12
	v_mov_b32_e32 v19, 0xb000
	v_xor_b32_e32 v15, v10, v8
	v_xor_b32_e32 v16, v9, v10
	v_lshl_add_u64 v[8:9], s[20:21], 0, v[54:55]
	v_lshlrev_b32_e32 v54, 8, v10
	v_cndmask_b32_e32 v20, v20, v21, vcc
	v_lshlrev_b32_e32 v21, 3, v53
	v_lshl_or_b32 v91, v12, 1, v19
	v_or_b32_e32 v12, 32, v22
	v_lshl_or_b32 v89, v15, 3, v54
	v_and_b32_e32 v15, 8, v0
	v_xor_b32_e32 v12, v21, v12
	v_cmp_eq_u32_e32 vcc, 0, v15
	v_or_b32_e32 v19, 0x440, v12
	v_and_b32_e32 v10, 7, v0
	v_cndmask_b32_e32 v12, v19, v12, vcc
	v_lshl_or_b32 v90, v16, 3, v54
	v_lshlrev_b32_e32 v16, 3, v10
	v_or_b32_e32 v12, v12, v11
	v_xor_b32_e32 v19, v12, v16
	v_or_b32_e32 v12, 64, v22
	v_xor_b32_e32 v12, v21, v12
	v_xor_b32_e32 v25, 0x440, v12
	v_cndmask_b32_e32 v12, v25, v12, vcc
	v_or_b32_e32 v12, v12, v11
	v_xor_b32_e32 v25, v12, v16
	v_or_b32_e32 v12, 0x60, v22
	v_xor_b32_e32 v23, v21, v22
	v_xor_b32_e32 v12, v21, v12
	v_or_b32_e32 v24, 0x440, v23
	v_xor_b32_e32 v21, 0x440, v12
	v_cndmask_b32_e32 v15, v24, v23, vcc
	v_cndmask_b32_e32 v12, v21, v12, vcc
	v_or_b32_e32 v15, v15, v11
	v_or_b32_e32 v11, v12, v11
	;; [unrolled: 1-line block ×3, first 2 shown]
	v_xor_b32_e32 v15, v15, v16
	v_xor_b32_e32 v11, v11, v16
	v_lshlrev_b32_e32 v6, 7, v1
	v_ashrrev_i32_e32 v5, 31, v4
	v_lshlrev_b32_e32 v13, 1, v3
	v_add_lshl_u32 v3, v3, s15, 1
	v_or_b32_e32 v14, 0x100, v2
	v_lshlrev_b32_e32 v17, 7, v10
	v_or_b32_e32 v10, v7, v60
	v_add_u32_e32 v23, v20, v15
	v_add_u32_e32 v24, v20, v19
	;; [unrolled: 1-line block ×4, first 2 shown]
	v_or3_b32 v12, v60, v7, 64
	v_add_u32_e32 v7, 0x4000, v15
	v_add_u32_e32 v15, 0x4000, v19
	;; [unrolled: 1-line block ×4, first 2 shown]
	v_cndmask_b32_e64 v92, v13, v2, s[0:1]
	v_cndmask_b32_e64 v93, v3, v14, s[0:1]
	v_lshl_add_u64 v[56:57], v[4:5], 1, s[8:9]
	v_lshl_add_u64 v[58:59], v[8:9], 0, v[54:55]
	s_add_i32 s3, s46, 63
	v_lshlrev_b32_e32 v54, 1, v6
	v_lshlrev_b32_e32 v95, 2, v10
	v_add_u32_e32 v96, v23, v17
	v_add_u32_e32 v97, v24, v17
	;; [unrolled: 1-line block ×4, first 2 shown]
	v_lshlrev_b32_e32 v100, 2, v12
	v_add_u32_e32 v101, v7, v17
	v_add_u32_e32 v102, v15, v17
	;; [unrolled: 1-line block ×4, first 2 shown]
	v_mov_b32_e32 v2, v55
	v_mov_b32_e32 v3, v55
	;; [unrolled: 1-line block ×8, first 2 shown]
	s_barrier
.LBB414_6:                              ; =>This Inner Loop Header: Depth=1
	s_add_i32 s65, s66, 1
	s_cmp_lt_i32 s65, s51
	s_mov_b64 s[24:25], 0
	s_cselect_b64 s[44:45], -1, 0
	s_cmp_ge_i32 s65, s51
	s_mov_b64 s[20:21], 0
	s_cbranch_scc1 .LBB414_8
; %bb.7:                                ;   in Loop: Header=BB414_6 Depth=1
	s_add_i32 s0, s60, 64
	s_add_u32 s0, s40, s0
	s_addc_u32 s1, s41, 0
	s_lshl_b64 s[0:1], s[0:1], 8
	s_add_u32 s20, s6, s0
	s_addc_u32 s21, s7, s1
.LBB414_8:                              ;   in Loop: Header=BB414_6 Depth=1
	v_cndmask_b32_e64 v10, 0, 1, s[44:45]
	v_cmp_ne_u32_e64 s[0:1], 1, v10
	s_andn2_b64 vcc, exec, s[44:45]
	s_cbranch_vccnz .LBB414_10
; %bb.9:                                ;   in Loop: Header=BB414_6 Depth=1
	s_add_i32 s24, s60, 64
	s_add_u32 s24, s46, s24
	s_addc_u32 s25, s63, 0
	s_mul_i32 s27, s24, s52
	s_mul_hi_u32 s44, s24, s56
	s_add_i32 s27, s44, s27
	s_mul_i32 s25, s25, s56
	s_add_i32 s27, s27, s25
	s_mul_i32 s24, s24, s56
	s_add_u32 s24, s24, s55
	s_addc_u32 s25, s27, s58
	s_lshl_b64 s[24:25], s[24:25], 8
	s_add_u32 s24, s4, s24
	s_addc_u32 s25, s5, s25
.LBB414_10:                             ;   in Loop: Header=BB414_6 Depth=1
	v_perm_b32 v11, v5, v4, s64
	v_perm_b32 v10, v3, v2, s64
	;; [unrolled: 1-line block ×4, first 2 shown]
	ds_write_b64 v73, v[10:11]
	ds_write_b64 v74, v[12:13]
	;; [unrolled: 1-line block ×4, first 2 shown]
	v_perm_b32 v11, v112, v107, s64
	v_perm_b32 v10, v106, v105, s64
	;; [unrolled: 1-line block ×4, first 2 shown]
	ds_write_b64 v75, v[10:11]
	ds_write_b64 v76, v[12:13]
	;; [unrolled: 1-line block ×4, first 2 shown]
	s_waitcnt lgkmcnt(0)
	s_barrier
	ds_read_b64 v[14:15], v81 offset:24576
	ds_read2_b64 v[10:13], v82 offset1:16
	ds_read_b64 v[18:19], v84 offset:3072
	ds_read_b64 v[20:21], v82 offset:3072
	;; [unrolled: 1-line block ×3, first 2 shown]
	s_waitcnt lgkmcnt(3)
	v_mfma_f32_16x16x16_bf16 a[0:3], v[14:15], v[10:11], 0
	s_add_i32 s27, s60, 63
	s_mul_i32 s44, s27, s35
	s_mul_hi_u32 s45, s27, s34
	v_mfma_f32_16x16x16_bf16 a[4:7], v[14:15], v[12:13], 0
	ds_read2st64_b64 v[10:13], v82 offset0:2 offset1:4
	ds_read2st64_b64 v[14:17], v84 offset0:2 offset1:4
	s_add_i32 s45, s45, s44
	s_waitcnt lgkmcnt(1)
	v_mfma_f32_16x16x16_bf16 a[0:3], v[22:23], v[10:11], a[0:3]
	s_mul_i32 s44, s27, s34
	s_lshl_b64 s[44:45], s[44:45], 2
	s_add_u32 s44, s42, s44
	s_waitcnt lgkmcnt(0)
	v_mfma_f32_16x16x16_bf16 a[4:7], v[22:23], v[14:15], a[4:7]
	ds_read_b64 v[10:11], v85 offset:24576
	ds_read_b64 v[14:15], v86 offset:24576
	s_addc_u32 s45, s43, s45
	s_and_b64 vcc, exec, s[0:1]
	s_waitcnt lgkmcnt(1)
	v_mfma_f32_16x16x16_bf16 a[0:3], v[10:11], v[12:13], a[0:3]
	v_mov_b32_e32 v115, 0
	v_mov_b32_e32 v114, 0
	;; [unrolled: 1-line block ×3, first 2 shown]
	v_mfma_f32_16x16x16_bf16 a[4:7], v[10:11], v[16:17], a[4:7]
	v_mov_b32_e32 v10, 0
	v_mov_b32_e32 v11, 0
	;; [unrolled: 1-line block ×3, first 2 shown]
	s_waitcnt lgkmcnt(0)
	v_mfma_f32_16x16x16_bf16 a[0:3], v[14:15], v[20:21], a[0:3]
	v_mov_b32_e32 v13, 0
	v_mov_b32_e32 v16, 0
	;; [unrolled: 1-line block ×3, first 2 shown]
	v_mfma_f32_16x16x16_bf16 a[4:7], v[14:15], v[18:19], a[4:7]
	v_mov_b32_e32 v14, 0
	v_mov_b32_e32 v15, 0
	;; [unrolled: 1-line block ×10, first 2 shown]
	s_cbranch_vccnz .LBB414_12
; %bb.11:                               ;   in Loop: Header=BB414_6 Depth=1
	s_and_b32 s21, s21, 0xffff
	buffer_load_dwordx4 v[22:25], v69, s[20:23], 0 offen
	buffer_load_dwordx4 v[18:21], v69, s[20:23], s59 offen
	;; [unrolled: 1-line block ×4, first 2 shown]
	v_mov_b32_e32 v114, v71
	v_mov_b32_e32 v113, v72
.LBB414_12:                             ;   in Loop: Header=BB414_6 Depth=1
	ds_read_b64 v[30:31], v81 offset:32768
	ds_read2_b64 v[26:29], v87 offset1:16
	ds_read_b64 v[34:35], v83 offset:32768
	ds_read_b64 v[36:37], v85 offset:32768
	;; [unrolled: 1-line block ×3, first 2 shown]
	v_add_u32_e32 v42, s60, v94
	s_waitcnt lgkmcnt(3)
	v_mfma_f32_16x16x16_bf16 a[0:3], v[30:31], v[26:27], a[0:3]
	v_mov_b32_e32 v116, 0
	v_mfma_f32_16x16x16_bf16 a[4:7], v[30:31], v[28:29], a[4:7]
	ds_read2st64_b64 v[26:29], v87 offset0:2 offset1:4
	ds_read2st64_b64 v[30:33], v88 offset0:2 offset1:4
	s_waitcnt lgkmcnt(1)
	v_mfma_f32_16x16x16_bf16 a[0:3], v[34:35], v[26:27], a[0:3]
	ds_read_b64 v[26:27], v87 offset:3072
	ds_read_b64 v[40:41], v88 offset:3072
	s_waitcnt lgkmcnt(2)
	v_mfma_f32_16x16x16_bf16 a[4:7], v[34:35], v[30:31], a[4:7]
	v_ashrrev_i32_e32 v30, 31, v42
	v_mul_lo_u32 v31, v42, s35
	v_mul_lo_u32 v30, v30, s34
	v_mfma_f32_16x16x16_bf16 a[0:3], v[36:37], v[28:29], a[0:3]
	v_mad_u64_u32 v[28:29], s[20:21], v42, s34, 0
	v_add3_u32 v29, v29, v31, v30
	v_lshl_add_u64 v[28:29], v[28:29], 2, s[42:43]
	global_load_dword v34, v[28:29], off
	v_add_u32_e32 v28, 1, v42
	v_ashrrev_i32_e32 v29, 31, v28
	s_waitcnt lgkmcnt(1)
	v_mfma_f32_16x16x16_bf16 a[0:3], v[38:39], v[26:27], a[0:3]
	v_mul_lo_u32 v29, v29, s34
	v_mul_lo_u32 v30, v28, s35
	v_mad_u64_u32 v[26:27], s[20:21], v28, s34, 0
	v_add_u32_e32 v28, 2, v42
	v_add3_u32 v27, v27, v30, v29
	v_ashrrev_i32_e32 v29, 31, v28
	v_mul_lo_u32 v30, v29, s34
	v_mul_lo_u32 v31, v28, s35
	v_mad_u64_u32 v[28:29], s[20:21], v28, s34, 0
	v_add3_u32 v29, v29, v31, v30
	v_add_u32_e32 v30, 3, v42
	v_ashrrev_i32_e32 v31, 31, v30
	v_mfma_f32_16x16x16_bf16 a[4:7], v[36:37], v[32:33], a[4:7]
	v_mul_lo_u32 v32, v31, s34
	v_mul_lo_u32 v33, v30, s35
	v_mad_u64_u32 v[30:31], s[20:21], v30, s34, 0
	s_add_u32 s20, s40, s60
	s_addc_u32 s21, s41, 0
	s_lshl_b64 s[20:21], s[20:21], 8
	v_add3_u32 v31, v31, v33, v32
	v_lshl_add_u64 v[32:33], v[56:57], 0, s[20:21]
	v_lshl_add_u64 v[26:27], v[26:27], 2, s[42:43]
	;; [unrolled: 1-line block ×4, first 2 shown]
	global_load_ushort v36, v[32:33], off
	global_load_ushort v35, v[32:33], off offset:256
	global_load_ushort v44, v[32:33], off offset:800
	;; [unrolled: 1-line block ×7, first 2 shown]
	v_lshl_add_u64 v[30:31], v[30:31], 2, s[42:43]
	global_load_dword v47, v[26:27], off
	global_load_dword v48, v[28:29], off
	;; [unrolled: 1-line block ×3, first 2 shown]
	s_load_dword s20, s[44:45], 0x0
	s_waitcnt lgkmcnt(0)
	v_mfma_f32_16x16x16_bf16 a[4:7], v[38:39], v[40:41], a[4:7]
	v_accvgpr_read_b32 v31, a1
	v_accvgpr_read_b32 v27, a3
	;; [unrolled: 1-line block ×4, first 2 shown]
	s_and_b64 vcc, exec, s[0:1]
	s_waitcnt vmcnt(11)
	v_sub_f32_e32 v40, s20, v34
	v_exp_f32_e32 v40, v40
	v_accvgpr_read_b32 v33, a5
	v_accvgpr_read_b32 v32, a4
	;; [unrolled: 1-line block ×4, first 2 shown]
	s_waitcnt vmcnt(10)
	v_lshlrev_b32_e32 v34, 16, v36
	s_waitcnt vmcnt(9)
	v_lshlrev_b32_e32 v35, 16, v35
	v_pk_add_f32 v[30:31], v[34:35], v[30:31] neg_lo:[0,1] neg_hi:[0,1]
	s_waitcnt vmcnt(7)
	v_lshlrev_b32_e32 v37, 16, v37
	v_mov_b32_e32 v34, 0
	s_waitcnt vmcnt(5)
	v_lshlrev_b32_e32 v36, 16, v42
	s_waitcnt vmcnt(4)
	v_lshlrev_b32_e32 v39, 16, v43
	s_waitcnt vmcnt(2)
	v_sub_f32_e32 v41, s20, v47
	s_waitcnt vmcnt(1)
	v_sub_f32_e32 v42, s20, v48
	;; [unrolled: 2-line block ×3, first 2 shown]
	v_exp_f32_e32 v41, v41
	v_exp_f32_e32 v42, v42
	;; [unrolled: 1-line block ×3, first 2 shown]
	v_pk_add_f32 v[26:27], v[36:37], v[26:27] neg_lo:[0,1] neg_hi:[0,1]
	v_lshlrev_b32_e32 v38, 16, v46
	v_pk_mul_f32 v[30:31], v[40:41], v[30:31]
	v_pk_mul_f32 v[26:27], v[42:43], v[26:27]
	v_mov_b32_e32 v35, 0
	v_perm_b32 v27, v27, v26, s64
	v_perm_b32 v26, v31, v30, s64
	v_pk_add_f32 v[30:31], v[38:39], v[32:33] neg_lo:[0,1] neg_hi:[0,1]
	v_lshlrev_b32_e32 v33, 16, v44
	v_lshlrev_b32_e32 v32, 16, v45
	v_pk_add_f32 v[28:29], v[32:33], v[28:29] neg_lo:[0,1] neg_hi:[0,1]
	v_pk_mul_f32 v[30:31], v[40:41], v[30:31]
	v_pk_mul_f32 v[28:29], v[42:43], v[28:29]
	v_mov_b32_e32 v32, 0
	v_perm_b32 v29, v29, v28, s64
	v_perm_b32 v28, v31, v30, s64
	ds_write2_b64 v74, v[26:27], v[28:29] offset1:16
	v_mov_b32_e32 v26, 0
	v_mov_b32_e32 v27, 0
	;; [unrolled: 1-line block ×13, first 2 shown]
	s_cbranch_vccnz .LBB414_14
; %bb.13:                               ;   in Loop: Header=BB414_6 Depth=1
	s_and_b32 s25, s25, 0xffff
	s_mov_b32 s27, s23
	buffer_load_dwordx4 v[38:41], v92, s[24:27], 0 offen
	buffer_load_dwordx4 v[30:33], v92, s[24:27], s59 offen
	buffer_load_dwordx4 v[34:37], v93, s[24:27], 0 offen
	buffer_load_dwordx4 v[26:29], v93, s[24:27], s59 offen
	v_mov_b32_e32 v115, v68
	v_mov_b32_e32 v116, v67
.LBB414_14:                             ;   in Loop: Header=BB414_6 Depth=1
	s_waitcnt lgkmcnt(0)
	s_barrier
	ds_read_b64 v[46:47], v96
	ds_read_b64 v[122:123], v91
	;; [unrolled: 1-line block ×5, first 2 shown]
	ds_read_b64 v[136:137], v88 offset:3072
	ds_read2_b64 v[42:45], v87 offset0:16 offset1:128
	s_waitcnt lgkmcnt(5)
	v_mfma_f32_16x16x16_bf16 a[0:3], v[46:47], v[122:123], 0
	s_add_i32 s21, s53, s66
	s_mul_hi_i32 s25, s21, s13
	s_mul_i32 s21, s21, s13
	s_waitcnt lgkmcnt(0)
	v_mfma_f32_16x16x16_bf16 a[4:7], v[46:47], v[42:43], 0
	ds_read_b64 v[46:47], v101
	ds_read2st64_b64 v[48:51], v88 offset0:2 offset1:4
	s_add_u32 s24, s21, s33
	s_addc_u32 s25, s25, s57
	s_add_i32 s21, s3, s60
	s_lshl_b64 s[24:25], s[24:25], 15
	s_mul_hi_i32 s27, s21, s13
	s_mul_i32 s21, s21, s13
	s_add_u32 s44, s21, s33
	s_waitcnt lgkmcnt(1)
	v_mfma_f32_16x16x16_bf16 a[8:11], v[46:47], v[122:123], 0
	s_addc_u32 s45, s27, s57
	ds_read2st64_b64 v[118:121], v87 offset0:4 offset1:6
	s_lshl_b64 s[44:45], s[44:45], 9
	v_mfma_f32_16x16x16_bf16 a[0:3], v[124:125], v[44:45], a[0:3]
	s_add_u32 s44, s30, s44
	s_addc_u32 s45, s31, s45
	s_waitcnt lgkmcnt(1)
	v_mfma_f32_16x16x16_bf16 a[4:7], v[124:125], v[48:49], a[4:7]
	ds_read_b64 v[124:125], v102
	ds_read_b64 v[132:133], v103
	ds_read_b64 v[138:139], v104
	v_mfma_f32_16x16x16_bf16 a[12:15], v[46:47], v[42:43], 0
	s_waitcnt lgkmcnt(2)
	v_mfma_f32_16x16x16_bf16 a[8:11], v[124:125], v[44:45], a[8:11]
	global_load_dwordx4 v[42:45], v100, s[44:45]
	v_mfma_f32_16x16x16_bf16 a[12:15], v[124:125], v[48:49], a[12:15]
	global_load_dwordx4 v[46:49], v95, s[44:45]
	ds_read2st64_b64 v[122:125], v89 offset1:8
	s_waitcnt lgkmcnt(0)
	v_mov_b32_e32 v130, v122
	v_mfma_f32_16x16x16_bf16 a[0:3], v[126:127], v[118:119], a[0:3]
	v_mov_b32_e32 v131, v123
	v_mfma_f32_16x16x16_bf16 a[4:7], v[126:127], v[50:51], a[4:7]
	ds_read2st64_b64 v[126:129], v90 offset1:8
	v_mfma_f32_16x16x16_bf16 a[8:11], v[132:133], v[118:119], a[8:11]
	v_lshl_add_u64 v[118:119], v[58:59], 0, s[24:25]
	v_mfma_f32_16x16x16_bf16 a[16:19], v[132:133], v[50:51], a[12:15]
	v_add_co_u32_e32 v50, vcc, s37, v118
	s_waitcnt lgkmcnt(0)
	v_mov_b32_e32 v132, v126
	v_mfma_f32_16x16x16_bf16 a[0:3], v[134:135], v[120:121], a[0:3]
	v_mov_b32_e32 v133, v127
	v_mov_b32_e32 v126, v124
	v_mov_b32_e32 v127, v125
	v_mfma_f32_16x16x16_bf16 a[4:7], v[134:135], v[136:137], a[4:7]
	v_addc_co_u32_e32 v51, vcc, 0, v119, vcc
	global_store_dwordx4 v[50:51], v[126:129], off
	v_mfma_f32_16x16x16_bf16 a[12:15], v[138:139], v[120:121], a[8:11]
	s_and_b64 vcc, exec, s[0:1]
	global_store_dwordx4 v[118:119], v[130:133], off
	s_waitcnt vmcnt(3)
	v_mov_b32_e32 v52, v45
	v_mfma_f32_16x16x16_bf16 a[8:11], v[138:139], v[136:137], a[16:19]
	v_mov_b32_e32 v51, v44
	v_mov_b32_e32 v50, v43
	s_cbranch_vccnz .LBB414_16
; %bb.15:                               ;   in Loop: Header=BB414_6 Depth=1
	v_lshrrev_b32_e32 v43, 3, v115
	v_and_b32_e32 v43, 6, v43
	v_xor_b32_e32 v44, v43, v116
	v_lshlrev_b32_e32 v44, 2, v44
	v_and_b32_e32 v45, 8, v115
	v_xor_b32_e32 v115, 0x440, v44
	v_cmp_eq_u32_e32 vcc, 0, v45
	v_perm_b32 v45, v30, v26, s61
	s_nop 0
	v_cndmask_b32_e32 v44, v115, v44, vcc
	v_lshl_or_b32 v43, v43, 10, v44
	v_perm_b32 v44, v38, v34, s61
	s_barrier
	ds_write2st64_b32 v43, v44, v45 offset0:32 offset1:64
	v_xor_b32_e32 v44, 8, v43
	v_perm_b32 v34, v38, v34, s62
	v_perm_b32 v26, v30, v26, s62
	v_add_u32_e32 v30, 0x80, v44
	ds_write2st64_b32 v30, v34, v26 offset0:32 offset1:64
	v_xor_b32_e32 v26, 16, v43
	v_perm_b32 v30, v39, v35, s61
	v_perm_b32 v34, v31, v27, s61
	ds_write2st64_b32 v26, v30, v34 offset0:33 offset1:65
	v_xor_b32_e32 v26, 24, v43
	v_perm_b32 v30, v39, v35, s62
	v_perm_b32 v27, v31, v27, s62
	v_add_u32_e32 v26, 0x80, v26
	ds_write2st64_b32 v26, v30, v27 offset0:33 offset1:65
	v_xor_b32_e32 v26, 32, v43
	v_perm_b32 v27, v40, v36, s61
	v_perm_b32 v30, v32, v28, s61
	;; [unrolled: 9-line block ×3, first 2 shown]
	ds_write2st64_b32 v26, v27, v28 offset0:35 offset1:67
	v_xor_b32_e32 v26, 56, v43
	v_perm_b32 v27, v41, v37, s62
	v_perm_b32 v28, v33, v29, s62
	v_add_u32_e32 v26, 0x80, v26
	ds_write2st64_b32 v26, v27, v28 offset0:35 offset1:67
	ds_write_b64 v114, v[22:23] offset:24576
	v_xor_b32_e32 v22, 8, v114
	ds_write_b64 v22, v[24:25] offset:24576
	ds_write_b64 v114, v[18:19] offset:32768
	;; [unrolled: 1-line block ×4, first 2 shown]
	v_xor_b32_e32 v14, 8, v113
	ds_write_b64 v14, v[16:17] offset:24576
	ds_write_b64 v113, v[10:11] offset:32768
	;; [unrolled: 1-line block ×3, first 2 shown]
.LBB414_16:                             ;   in Loop: Header=BB414_6 Depth=1
	v_exp_f32_e32 v26, s20
	s_waitcnt vmcnt(2)
	v_exp_f32_e32 v28, v46
	v_exp_f32_e32 v29, v47
	;; [unrolled: 1-line block ×4, first 2 shown]
	v_accvgpr_read_b32 v21, a3
	v_accvgpr_read_b32 v19, a1
	v_accvgpr_read_b32 v18, a0
	v_accvgpr_read_b32 v13, a7
	v_pk_mul_f32 v[28:29], v[26:27], v[28:29] op_sel_hi:[0,1]
	v_accvgpr_read_b32 v20, a2
	v_accvgpr_read_b32 v11, a5
	;; [unrolled: 1-line block ×3, first 2 shown]
	v_pk_fma_f32 v[2:3], v[2:3], v[28:29], v[18:19]
	v_pk_mul_f32 v[18:19], v[26:27], v[30:31] op_sel_hi:[0,1]
	v_pk_fma_f32 v[4:5], v[4:5], v[18:19], v[20:21]
	v_fma_f32 v105, v105, v28, v10
	v_fma_f32 v106, v106, v29, v11
	v_exp_f32_e32 v10, v42
	v_exp_f32_e32 v11, v50
	;; [unrolled: 1-line block ×4, first 2 shown]
	v_accvgpr_read_b32 v12, a6
	v_accvgpr_read_b32 v25, a15
	;; [unrolled: 1-line block ×9, first 2 shown]
	v_fma_f32 v107, v107, v18, v12
	v_fmac_f32_e32 v13, v112, v19
	v_pk_mul_f32 v[10:11], v[26:27], v[10:11] op_sel_hi:[0,1]
	v_pk_mul_f32 v[18:19], v[26:27], v[20:21] op_sel_hi:[0,1]
	s_add_i32 s60, s60, 64
	v_pk_fma_f32 v[6:7], v[6:7], v[10:11], v[22:23]
	v_pk_fma_f32 v[8:9], v[8:9], v[18:19], v[24:25]
	v_fma_f32 v108, v108, v10, v14
	v_fma_f32 v109, v109, v11, v15
	;; [unrolled: 1-line block ×3, first 2 shown]
	s_cmp_eq_u32 s51, s65
	v_fmac_f32_e32 v17, v111, v19
	s_cbranch_scc1 .LBB414_18
; %bb.17:                               ;   in Loop: Header=BB414_6 Depth=1
	s_mov_b32 s66, s65
	v_mov_b32_e32 v112, v13
	v_mov_b32_e32 v111, v17
	s_branch .LBB414_6
.LBB414_18:
	v_mov_b32_e32 v16, v110
	v_mov_b32_e32 v15, v109
	;; [unrolled: 1-line block ×6, first 2 shown]
.LBB414_19:
	s_lshl_b32 s44, s51, 6
	s_sub_i32 s45, s12, s44
	s_cmp_gt_i32 s45, 0
	v_or_b32_e32 v34, s2, v63
	s_cbranch_scc1 .LBB414_21
; %bb.20:
	s_ashr_i32 s0, s33, 31
	s_add_u32 s24, s48, s33
	s_addc_u32 s25, s54, s0
	v_or_b32_e32 v35, s2, v63
	s_cbranch_execz .LBB414_22
	s_branch .LBB414_86
.LBB414_21:
                                        ; implicit-def: $sgpr24_sgpr25
                                        ; implicit-def: $vgpr35
.LBB414_22:
	s_ashr_i32 s37, s50, 31
	s_ashr_i32 s3, s44, 31
	s_cmpk_lg_i32 s15, 0x80
	s_cselect_b64 s[40:41], -1, 0
	s_and_b64 vcc, exec, s[40:41]
	s_cbranch_vccz .LBB414_24
; %bb.23:
	s_mul_hi_i32 s0, s50, s12
	s_add_u32 s1, s46, s44
	s_addc_u32 s0, s0, s3
	s_mul_i32 s20, s1, s52
	s_mul_hi_u32 s21, s1, s14
	s_add_i32 s20, s21, s20
	s_mul_i32 s0, s0, s14
	s_add_i32 s20, s20, s0
	s_mul_i32 s1, s1, s14
	s_ashr_i32 s0, s55, 31
	s_add_u32 s42, s1, s55
	s_addc_u32 s43, s20, s0
	s_cbranch_execz .LBB414_25
	s_branch .LBB414_26
.LBB414_24:
                                        ; implicit-def: $sgpr42_sgpr43
.LBB414_25:
	s_mul_hi_i32 s0, s50, s14
	s_mul_i32 s50, s50, s14
	s_ashr_i32 s1, s55, 31
	s_add_u32 s14, s50, s55
	s_addc_u32 s0, s0, s1
	s_mul_i32 s1, s14, s49
	s_mul_hi_u32 s20, s14, s12
	s_add_i32 s1, s20, s1
	s_mul_i32 s0, s0, s12
	s_add_i32 s1, s1, s0
	s_mul_i32 s14, s14, s12
	s_add_u32 s42, s14, s44
	s_addc_u32 s43, s1, s3
.LBB414_26:
	s_add_i32 s20, s53, s51
	s_ashr_i32 s14, s33, 31
	s_add_u32 s24, s48, s33
	s_addc_u32 s25, s54, s14
	s_mul_i32 s0, s24, s49
	s_mul_hi_u32 s1, s24, s12
	s_add_i32 s0, s1, s0
	s_mul_i32 s1, s25, s12
	s_add_i32 s1, s0, s1
	s_mul_i32 s0, s24, s12
	s_add_u32 s0, s0, s44
	v_lshlrev_b32_e32 v22, 5, v1
	v_lshlrev_b32_e32 v40, 2, v63
	s_addc_u32 s1, s1, s3
	s_mov_b32 s3, 0x7060302
	v_or_b32_e32 v25, v22, v40
	v_xor_b32_e32 v23, v1, v40
	v_perm_b32 v19, v5, v4, s3
	v_perm_b32 v18, v3, v2, s3
	;; [unrolled: 1-line block ×4, first 2 shown]
	v_lshlrev_b32_e32 v25, 1, v25
	v_xor_b32_e32 v24, v66, v40
	ds_write2st64_b64 v25, v[18:19], v[20:21] offset0:80 offset1:88
	v_lshlrev_b32_e32 v23, 1, v23
	v_lshlrev_b32_e32 v25, 8, v63
	s_lshl_b64 s[26:27], s[0:1], 8
	v_or_b32_e32 v26, v23, v25
	v_lshlrev_b32_e32 v24, 1, v24
	s_add_u32 s0, s6, s26
	ds_write_b64 v26, v[18:19]
	v_or_b32_e32 v18, v24, v25
	s_addc_u32 s1, s7, s27
	ds_write_b64 v18, v[20:21]
	v_perm_b32 v19, v13, v12, s3
	v_perm_b32 v18, v11, v10, s3
	;; [unrolled: 1-line block ×4, first 2 shown]
	v_or_b32_e32 v25, 16, v63
	s_mul_hi_i32 s3, s20, s13
	s_mul_i32 s20, s20, s13
	v_lshlrev_b32_e32 v37, 2, v25
	s_add_u32 s6, s20, s33
	v_or_b32_e32 v22, v22, v37
	s_addc_u32 s7, s3, s14
	v_lshlrev_b32_e32 v22, 1, v22
	s_ashr_i32 s3, s2, 31
	s_lshl_b64 s[6:7], s[6:7], 15
	ds_write2st64_b64 v22, v[18:19], v[20:21] offset0:80 offset1:88
	v_lshlrev_b32_e32 v22, 8, v25
	s_waitcnt lgkmcnt(0)
	s_add_u32 s6, s38, s6
	v_or_b32_e32 v23, v23, v22
	s_addc_u32 s7, s39, s7
	s_lshl_b64 s[2:3], s[2:3], 8
	ds_write_b64 v23, v[18:19]
	v_or_b32_e32 v18, v24, v22
	s_add_u32 s2, s6, s2
	ds_write_b64 v18, v[20:21]
	v_lshrrev_b32_e32 v18, 4, v0
	s_addc_u32 s3, s7, s3
	v_lshlrev_b32_e32 v19, 1, v63
	v_lshlrev_b32_e32 v26, 4, v63
	v_mov_b32_e32 v27, 0
	v_or_b32_e32 v20, 1, v19
	v_xor_b32_e32 v19, v18, v19
	v_lshl_add_u64 v[28:29], s[2:3], 0, v[26:27]
	v_lshlrev_b32_e32 v26, 8, v18
	v_xor_b32_e32 v22, v20, v18
	v_lshl_or_b32 v18, v19, 3, v26
	s_waitcnt lgkmcnt(0)
	s_barrier
	ds_read2st64_b64 v[18:21], v18 offset1:8
	v_lshl_or_b32 v22, v22, 3, v26
	ds_read2st64_b64 v[22:25], v22 offset1:8
	v_lshl_add_u64 v[30:31], v[28:29], 0, v[26:27]
	s_movk_i32 s2, 0x1000
	s_waitcnt lgkmcnt(1)
	v_mov_b32_e32 v26, v18
	v_add_co_u32_e32 v18, vcc, s2, v30
	s_cmp_lg_u32 s45, 64
	v_mov_b32_e32 v27, v19
	v_addc_co_u32_e32 v19, vcc, 0, v31, vcc
	s_cselect_b64 s[6:7], -1, 0
	v_lshl_or_b32 v35, v53, 3, v65
	s_waitcnt lgkmcnt(0)
	v_mov_b32_e32 v28, v22
	v_mov_b32_e32 v29, v23
	v_mov_b32_e32 v22, v20
	v_mov_b32_e32 v23, v21
	s_mov_b32 s20, 0
	v_or_b32_e32 v38, 32, v35
	v_and_b32_e32 v36, 56, v64
	s_and_b64 vcc, exec, s[6:7]
	global_store_dwordx4 v[30:31], v[26:29], off
	global_store_dwordx4 v[18:19], v[22:25], off
	s_cbranch_vccz .LBB414_32
; %bb.27:
	s_mov_b32 s22, s20
	s_mov_b32 s23, s20
	;; [unrolled: 1-line block ×3, first 2 shown]
	v_mov_b64_e32 v[24:25], s[22:23]
	v_mov_b64_e32 v[22:23], s[20:21]
	;; [unrolled: 1-line block ×3, first 2 shown]
	v_cmp_gt_i32_e32 vcc, s45, v35
	v_mov_b64_e32 v[20:21], v[24:25]
	s_and_saveexec_b64 s[2:3], vcc
	s_cbranch_execz .LBB414_29
; %bb.28:
	v_lshlrev_b32_e32 v18, 8, v35
	v_mov_b32_e32 v19, 0
	v_lshl_add_u64 v[20:21], s[0:1], 0, v[18:19]
	v_lshlrev_b32_e32 v18, 1, v36
	v_lshl_add_u64 v[26:27], v[20:21], 0, v[18:19]
	global_load_dwordx4 v[22:25], v[26:27], off
	global_load_dwordx4 v[18:21], v[26:27], off offset:128
.LBB414_29:
	s_or_b64 exec, exec, s[2:3]
	s_mov_b32 s22, s20
	s_mov_b32 s23, s20
	;; [unrolled: 1-line block ×3, first 2 shown]
	v_mov_b64_e32 v[32:33], s[22:23]
	v_mov_b64_e32 v[30:31], s[20:21]
	;; [unrolled: 1-line block ×3, first 2 shown]
	v_cmp_gt_i32_e32 vcc, s45, v38
	v_lshlrev_b32_e32 v39, 7, v38
	v_mov_b64_e32 v[28:29], v[32:33]
	s_and_saveexec_b64 s[2:3], vcc
	s_cbranch_execz .LBB414_31
; %bb.30:
	v_lshlrev_b32_e32 v26, 1, v39
	v_mov_b32_e32 v27, 0
	v_lshl_add_u64 v[28:29], s[0:1], 0, v[26:27]
	v_lshlrev_b32_e32 v26, 1, v36
	v_lshl_add_u64 v[42:43], v[28:29], 0, v[26:27]
	global_load_dwordx4 v[30:33], v[42:43], off
	global_load_dwordx4 v[26:29], v[42:43], off offset:128
.LBB414_31:
	s_or_b64 exec, exec, s[2:3]
	v_lshrrev_b32_e32 v41, 3, v36
	v_lshlrev_b32_e32 v42, 3, v35
	v_or_b32_e32 v41, v42, v41
	v_lshlrev_b32_e32 v41, 4, v41
	v_and_b32_e32 v42, 0x78, v42
	v_xor_b32_e32 v41, v41, v42
	s_branch .LBB414_34
.LBB414_32:
                                        ; implicit-def: $vgpr41
                                        ; implicit-def: $vgpr39
                                        ; implicit-def: $vgpr22_vgpr23_vgpr24_vgpr25
                                        ; implicit-def: $vgpr18_vgpr19_vgpr20_vgpr21
                                        ; implicit-def: $vgpr30_vgpr31_vgpr32_vgpr33
                                        ; implicit-def: $vgpr26_vgpr27_vgpr28_vgpr29
	s_cbranch_execz .LBB414_34
; %bb.33:
	s_waitcnt vmcnt(0)
	v_lshlrev_b32_e32 v18, 1, v36
	v_lshl_or_b32 v39, v35, 8, v18
	s_and_b32 s1, s1, 0xffff
	s_mov_b32 s3, 0x20000
	s_movk_i32 s2, 0x4000
	v_lshl_or_b32 v41, v38, 8, v18
	s_movk_i32 s20, 0x80
	buffer_load_dwordx4 v[22:25], v39, s[0:3], 0 offen
	buffer_load_dwordx4 v[18:21], v39, s[0:3], s20 offen
	;; [unrolled: 1-line block ×4, first 2 shown]
	v_lshrrev_b32_e32 v39, 3, v36
	v_lshlrev_b32_e32 v41, 3, v35
	v_or_b32_e32 v39, v41, v39
	v_lshlrev_b32_e32 v39, 4, v39
	v_and_b32_e32 v41, 0x78, v41
	v_xor_b32_e32 v41, v39, v41
	v_lshlrev_b32_e32 v39, 7, v38
.LBB414_34:
	s_lshl_b64 s[0:1], s[42:43], 8
	s_add_u32 s4, s4, s0
	s_movk_i32 s0, 0x1000
	v_and_or_b32 v38, v39, s0, v41
	s_waitcnt vmcnt(1)
	ds_write_b64 v41, v[22:23] offset:24576
	v_xor_b32_e32 v22, 8, v41
	ds_write_b64 v22, v[24:25] offset:24576
	s_waitcnt vmcnt(0)
	ds_write_b64 v41, v[18:19] offset:32768
	ds_write_b64 v22, v[20:21] offset:32768
	;; [unrolled: 1-line block ×3, first 2 shown]
	v_xor_b32_e32 v18, 8, v38
	ds_write_b64 v18, v[32:33] offset:24576
	ds_write_b64 v38, v[26:27] offset:32768
	;; [unrolled: 1-line block ×3, first 2 shown]
	v_or_b32_e32 v18, v60, v63
	s_mul_i32 s37, s37, s16
	v_lshlrev_b32_e32 v18, 3, v18
	v_lshrrev_b32_e32 v19, 5, v61
	s_movk_i32 s16, 0xf8
	v_and_or_b32 v19, v18, s16, v19
	v_lshlrev_b32_e32 v23, 4, v19
	v_lshlrev_b32_e32 v41, 11, v53
	v_and_b32_e32 v24, 0x78, v18
	v_or_b32_e32 v26, 32, v23
	v_and_b32_e32 v22, 0x1000, v41
	v_lshrrev_b32_e32 v19, 1, v61
	v_xor_b32_e32 v26, v26, v24
	v_xor_b32_e32 v18, v23, v24
	v_and_b32_e32 v25, 8, v19
	v_or_b32_e32 v26, v26, v22
	v_or_b32_e32 v18, v18, v22
	v_xor_b32_e32 v45, v26, v25
	v_or_b32_e32 v26, 64, v23
	v_xor_b32_e32 v44, v18, v25
	v_xor_b32_e32 v26, v26, v24
	s_waitcnt lgkmcnt(0)
	s_barrier
	v_or_b32_e32 v28, v26, v22
	ds_read_b64 v[26:27], v44 offset:24576
	v_lshl_or_b32 v38, v62, 7, v40
	v_lshlrev_b32_e32 v42, 1, v38
	v_add_u32_e32 v18, 0xa000, v42
	ds_read2_b64 v[18:21], v18 offset1:16
	v_or_b32_e32 v23, 0x60, v23
	v_xor_b32_e32 v23, v23, v24
	s_waitcnt lgkmcnt(0)
	v_mfma_f32_16x16x16_bf16 a[0:3], v[26:27], v[18:19], 0
	v_or_b32_e32 v18, 64, v38
	v_or_b32_e32 v22, v23, v22
	v_lshlrev_b32_e32 v43, 1, v18
	v_xor_b32_e32 v46, v28, v25
	v_xor_b32_e32 v47, v22, v25
	ds_read_b64 v[28:29], v45 offset:24576
	ds_read_b64 v[30:31], v46 offset:24576
	;; [unrolled: 1-line block ×3, first 2 shown]
	v_mfma_f32_16x16x16_bf16 a[4:7], v[26:27], v[20:21], 0
	ds_read2st64_b64 v[18:21], v43 offset0:82 offset1:84
	ds_read2st64_b64 v[22:25], v42 offset0:82 offset1:84
	s_addc_u32 s5, s5, s1
	s_add_i32 s12, s12, -1
	s_add_i32 s0, s47, s17
	s_add_i32 s37, s0, s37
	s_mul_i32 s0, s33, s19
	s_mul_hi_u32 s1, s33, s18
	s_ashr_i32 s2, s12, 31
	s_mul_i32 s3, s12, s35
	s_mul_hi_u32 s16, s12, s34
	s_add_i32 s0, s1, s0
	s_mul_i32 s1, s14, s18
	s_add_i32 s3, s16, s3
	s_mul_i32 s2, s2, s34
	s_waitcnt lgkmcnt(1)
	v_mfma_f32_16x16x16_bf16 a[4:7], v[28:29], v[18:19], a[4:7]
	s_add_i32 s1, s0, s1
	s_add_i32 s3, s3, s2
	s_lshl_b64 s[16:17], s[36:37], 2
	s_waitcnt lgkmcnt(0)
	v_mfma_f32_16x16x16_bf16 a[0:3], v[28:29], v[22:23], a[0:3]
	s_mul_i32 s0, s33, s18
	s_add_u32 s10, s10, s16
	s_addc_u32 s11, s11, s17
	s_lshl_b64 s[0:1], s[0:1], 2
	s_mul_i32 s2, s12, s34
	s_add_u32 s10, s10, s0
	ds_read_b64 v[18:19], v42 offset:44032
	v_mfma_f32_16x16x16_bf16 a[4:7], v[30:31], v[20:21], a[4:7]
	ds_read_b64 v[20:21], v43 offset:44032
	s_addc_u32 s11, s11, s1
	s_lshl_b64 s[0:1], s[2:3], 2
	v_mfma_f32_16x16x16_bf16 a[0:3], v[30:31], v[24:25], a[0:3]
	s_add_u32 s0, s10, s0
	s_addc_u32 s1, s11, s1
	s_load_dword s16, s[0:1], 0x0
	s_waitcnt lgkmcnt(0)
	v_mfma_f32_16x16x16_bf16 a[0:3], v[32:33], v[18:19], a[0:3]
	s_and_b64 vcc, exec, s[40:41]
	v_mfma_f32_16x16x16_bf16 a[4:7], v[32:33], v[20:21], a[4:7]
	s_cbranch_vccz .LBB414_45
; %bb.35:
	v_lshlrev_b32_e32 v38, 1, v35
	s_and_b64 vcc, exec, s[6:7]
	s_cbranch_vccz .LBB414_46
; %bb.36:
	v_cmp_gt_i32_e32 vcc, s45, v38
	v_mov_b32_e32 v22, 0
	v_mov_b32_e32 v18, 0
	;; [unrolled: 1-line block ×5, first 2 shown]
	s_and_saveexec_b64 s[0:1], vcc
	s_cbranch_execz .LBB414_38
; %bb.37:
	v_mad_i64_i32 v[18:19], s[2:3], s15, v38, 0
	v_lshl_add_u64 v[18:19], v[18:19], 1, s[4:5]
	v_lshlrev_b32_e32 v20, 1, v36
	v_mov_b32_e32 v21, 0
	v_lshl_add_u64 v[18:19], v[18:19], 0, v[20:21]
	global_load_dwordx4 v[18:21], v[18:19], off
.LBB414_38:
	s_or_b64 exec, exec, s[0:1]
	v_or_b32_e32 v39, 1, v38
	v_cmp_gt_i32_e64 s[0:1], s45, v39
	v_mov_b32_e32 v23, 0
	v_mov_b32_e32 v24, 0
	v_mov_b32_e32 v25, 0
	s_and_saveexec_b64 s[2:3], s[0:1]
	s_cbranch_execz .LBB414_40
; %bb.39:
	v_mad_i64_i32 v[22:23], s[18:19], s15, v39, 0
	v_lshl_add_u64 v[22:23], v[22:23], 1, s[4:5]
	v_lshlrev_b32_e32 v24, 1, v36
	v_mov_b32_e32 v25, 0
	v_lshl_add_u64 v[22:23], v[22:23], 0, v[24:25]
	global_load_dwordx4 v[22:25], v[22:23], off
.LBB414_40:
	s_or_b64 exec, exec, s[2:3]
	v_mov_b32_e32 v33, 0
	v_mov_b32_e32 v26, 0
	;; [unrolled: 1-line block ×5, first 2 shown]
	s_and_saveexec_b64 s[2:3], vcc
	s_cbranch_execz .LBB414_42
; %bb.41:
	v_mad_i64_i32 v[26:27], s[18:19], s15, v38, 0
	v_lshl_add_u64 v[26:27], v[26:27], 1, s[4:5]
	v_lshlrev_b32_e32 v28, 1, v36
	v_mov_b32_e32 v29, 0
	v_lshl_add_u64 v[26:27], v[26:27], 0, v[28:29]
	global_load_dwordx4 v[26:29], v[26:27], off offset:128
.LBB414_42:
	s_or_b64 exec, exec, s[2:3]
	v_mov_b32_e32 v32, 0
	v_mov_b32_e32 v31, 0
	;; [unrolled: 1-line block ×3, first 2 shown]
	s_and_saveexec_b64 s[2:3], s[0:1]
	s_cbranch_execz .LBB414_44
; %bb.43:
	v_mad_i64_i32 v[30:31], s[0:1], s15, v39, 0
	v_lshl_add_u64 v[30:31], v[30:31], 1, s[4:5]
	v_lshlrev_b32_e32 v32, 1, v36
	v_mov_b32_e32 v33, 0
	v_lshl_add_u64 v[30:31], v[30:31], 0, v[32:33]
	global_load_dwordx4 v[30:33], v[30:31], off offset:128
.LBB414_44:
	s_or_b64 exec, exec, s[2:3]
	s_branch .LBB414_48
.LBB414_45:
                                        ; implicit-def: $vgpr21
                                        ; implicit-def: $vgpr25
                                        ; implicit-def: $vgpr29
                                        ; implicit-def: $vgpr33
	v_lshrrev_b32_e32 v48, 2, v61
	s_branch .LBB414_49
.LBB414_46:
                                        ; implicit-def: $vgpr21
                                        ; implicit-def: $vgpr25
                                        ; implicit-def: $vgpr29
                                        ; implicit-def: $vgpr33
	s_cbranch_execz .LBB414_48
; %bb.47:
	s_waitcnt vmcnt(0)
	v_mad_u64_u32 v[18:19], s[0:1], v38, s15, v[36:37]
	v_lshlrev_b32_e32 v38, 1, v18
	s_lshl_b32 s2, s15, 7
	s_and_b32 s1, s5, 0xffff
	s_mov_b32 s3, 0x20000
	s_mov_b32 s0, s4
	v_add_lshl_u32 v39, v18, s15, 1
	s_movk_i32 s15, 0x80
	buffer_load_dwordx4 v[18:21], v38, s[0:3], 0 offen
	buffer_load_dwordx4 v[26:29], v38, s[0:3], s15 offen
	;; [unrolled: 1-line block ×4, first 2 shown]
.LBB414_48:
	v_lshrrev_b32_e32 v48, 2, v61
	s_cbranch_execnz .LBB414_61
.LBB414_49:
	s_and_b64 vcc, exec, s[6:7]
	s_cbranch_vccz .LBB414_59
; %bb.50:
	s_waitcnt vmcnt(0)
	v_lshlrev_b32_e32 v23, 1, v35
	v_cmp_gt_i32_e32 vcc, s45, v23
	v_mov_b32_e32 v22, 0
	v_lshlrev_b32_e32 v30, 9, v35
	v_mov_b32_e32 v18, 0
	v_mov_b32_e32 v19, 0
	;; [unrolled: 1-line block ×4, first 2 shown]
	s_and_saveexec_b64 s[0:1], vcc
	s_cbranch_execz .LBB414_52
; %bb.51:
	v_mov_b32_e32 v31, 0
	v_lshl_add_u64 v[18:19], s[4:5], 0, v[30:31]
	v_lshlrev_b32_e32 v20, 1, v36
	v_mov_b32_e32 v21, v31
	v_lshl_add_u64 v[18:19], v[18:19], 0, v[20:21]
	global_load_dwordx4 v[18:21], v[18:19], off
.LBB414_52:
	s_or_b64 exec, exec, s[0:1]
	v_or_b32_e32 v23, 1, v23
	v_cmp_gt_i32_e64 s[0:1], s45, v23
	v_lshlrev_b32_e32 v38, 8, v23
	v_mov_b32_e32 v23, 0
	v_mov_b32_e32 v24, 0
	;; [unrolled: 1-line block ×3, first 2 shown]
	s_and_saveexec_b64 s[2:3], s[0:1]
	s_cbranch_execz .LBB414_54
; %bb.53:
	v_mov_b32_e32 v39, 0
	v_lshl_add_u64 v[22:23], s[4:5], 0, v[38:39]
	v_lshlrev_b32_e32 v24, 1, v36
	v_mov_b32_e32 v25, v39
	v_lshl_add_u64 v[22:23], v[22:23], 0, v[24:25]
	global_load_dwordx4 v[22:25], v[22:23], off
.LBB414_54:
	s_or_b64 exec, exec, s[2:3]
	v_mov_b32_e32 v33, 0
	v_mov_b32_e32 v26, 0
	;; [unrolled: 1-line block ×5, first 2 shown]
	s_and_saveexec_b64 s[2:3], vcc
	s_cbranch_execz .LBB414_56
; %bb.55:
	v_mov_b32_e32 v31, 0
	v_lshl_add_u64 v[26:27], s[4:5], 0, v[30:31]
	v_lshlrev_b32_e32 v30, 1, v36
	v_lshl_add_u64 v[26:27], v[26:27], 0, v[30:31]
	global_load_dwordx4 v[26:29], v[26:27], off offset:128
.LBB414_56:
	s_or_b64 exec, exec, s[2:3]
	v_mov_b32_e32 v32, 0
	v_mov_b32_e32 v31, 0
	;; [unrolled: 1-line block ×3, first 2 shown]
	s_and_saveexec_b64 s[2:3], s[0:1]
	s_cbranch_execz .LBB414_58
; %bb.57:
	v_mov_b32_e32 v39, 0
	v_lshl_add_u64 v[30:31], s[4:5], 0, v[38:39]
	v_lshlrev_b32_e32 v38, 1, v36
	v_lshl_add_u64 v[30:31], v[30:31], 0, v[38:39]
	global_load_dwordx4 v[30:33], v[30:31], off offset:128
.LBB414_58:
	s_or_b64 exec, exec, s[2:3]
	s_branch .LBB414_61
.LBB414_59:
                                        ; implicit-def: $vgpr21
                                        ; implicit-def: $vgpr25
                                        ; implicit-def: $vgpr29
                                        ; implicit-def: $vgpr33
	s_cbranch_execz .LBB414_61
; %bb.60:
	s_waitcnt vmcnt(0)
	v_lshlrev_b32_e32 v18, 1, v36
	v_lshl_or_b32 v36, v35, 9, v18
	s_and_b32 s5, s5, 0xffff
	s_mov_b32 s7, 0x20000
	s_movk_i32 s6, 0x4000
	s_movk_i32 s0, 0x80
	buffer_load_dwordx4 v[18:21], v36, s[4:7], 0 offen
	buffer_load_dwordx4 v[22:25], v36, s[4:7], 0 offen offset:256
	buffer_load_dwordx4 v[26:29], v36, s[4:7], s0 offen
	buffer_load_dwordx4 v[30:33], v36, s[4:7], s0 offen offset:256
.LBB414_61:
	ds_read_b64 v[38:39], v44 offset:32768
	v_add_u32_e32 v36, 0xb000, v42
	ds_read2_b64 v[54:57], v36 offset1:16
	ds_read_b64 v[50:51], v45 offset:32768
	ds_read_b64 v[58:59], v46 offset:32768
	ds_read_b64 v[62:63], v47 offset:32768
	ds_read2st64_b64 v[44:47], v42 offset0:90 offset1:92
	v_and_b32_e32 v36, 12, v48
	v_and_b32_e32 v48, 6, v0
	v_xor_b32_e32 v35, v35, v48
	v_lshlrev_b32_e32 v35, 2, v35
	s_mov_b32 s0, 0x1000504
	s_waitcnt lgkmcnt(4)
	v_mfma_f32_16x16x16_bf16 a[0:3], v[38:39], v[54:55], a[0:3]
	s_mov_b32 s1, 0x3020706
	v_mfma_f32_16x16x16_bf16 a[4:7], v[38:39], v[56:57], a[4:7]
	ds_read2st64_b64 v[54:57], v43 offset0:90 offset1:92
	s_waitcnt lgkmcnt(1)
	v_mfma_f32_16x16x16_bf16 a[0:3], v[50:51], v[44:45], a[0:3]
	ds_read_b64 v[38:39], v42 offset:48128
	ds_read_b64 v[44:45], v43 offset:48128
	s_waitcnt lgkmcnt(2)
	v_mfma_f32_16x16x16_bf16 a[4:7], v[50:51], v[54:55], a[4:7]
	v_mfma_f32_16x16x16_bf16 a[0:3], v[58:59], v[46:47], a[0:3]
	v_and_b32_e32 v46, 1, v0
	v_xor_b32_e32 v47, 0x440, v35
	v_cmp_eq_u32_e32 vcc, 0, v46
	v_mfma_f32_16x16x16_bf16 a[8:11], v[58:59], v[56:57], a[4:7]
	s_nop 0
	v_cndmask_b32_e32 v35, v47, v35, vcc
	v_lshl_or_b32 v35, v48, 10, v35
	s_waitcnt lgkmcnt(1)
	v_mfma_f32_16x16x16_bf16 a[4:7], v[62:63], v[38:39], a[0:3]
	s_waitcnt vmcnt(0)
	v_perm_b32 v38, v18, v22, s0
	v_perm_b32 v39, v26, v30, s0
	ds_write2st64_b32 v35, v38, v39 offset0:32 offset1:64
	v_xor_b32_e32 v38, 8, v35
	v_perm_b32 v18, v18, v22, s1
	v_perm_b32 v22, v26, v30, s1
	v_add_u32_e32 v26, 0x80, v38
	ds_write2st64_b32 v26, v18, v22 offset0:32 offset1:64
	v_xor_b32_e32 v18, 16, v35
	v_perm_b32 v22, v19, v23, s0
	v_perm_b32 v26, v27, v31, s0
	ds_write2st64_b32 v18, v22, v26 offset0:33 offset1:65
	v_xor_b32_e32 v18, 24, v35
	v_perm_b32 v19, v19, v23, s1
	v_perm_b32 v22, v27, v31, s1
	v_add_u32_e32 v18, 0x80, v18
	ds_write2st64_b32 v18, v19, v22 offset0:33 offset1:65
	v_xor_b32_e32 v18, 32, v35
	v_perm_b32 v19, v20, v24, s0
	v_perm_b32 v22, v28, v32, s0
	ds_write2st64_b32 v18, v19, v22 offset0:34 offset1:66
	v_xor_b32_e32 v18, 40, v35
	s_waitcnt lgkmcnt(5)
	v_mfma_f32_16x16x16_bf16 a[0:3], v[62:63], v[44:45], a[8:11]
	v_perm_b32 v19, v20, v24, s1
	v_perm_b32 v20, v28, v32, s1
	v_add_u32_e32 v18, 0x80, v18
	ds_write2st64_b32 v18, v19, v20 offset0:34 offset1:66
	v_xor_b32_e32 v18, 48, v35
	v_perm_b32 v19, v21, v25, s0
	v_perm_b32 v20, v29, v33, s0
	ds_write2st64_b32 v18, v19, v20 offset0:35 offset1:67
	v_xor_b32_e32 v18, 56, v35
	v_or_b32_e32 v32, v36, v60
	v_perm_b32 v19, v21, v25, s1
	v_perm_b32 v20, v29, v33, s1
	v_add_u32_e32 v18, 0x80, v18
	v_cmp_gt_i32_e32 vcc, s45, v32
	v_mov_b32_e32 v33, 0
	v_mov_b32_e32 v39, 0
	ds_write2st64_b32 v18, v19, v20 offset0:35 offset1:67
	s_and_saveexec_b64 s[0:1], vcc
	s_cbranch_execz .LBB414_63
; %bb.62:
	v_add_u32_e32 v18, s44, v32
	v_ashrrev_i32_e32 v19, 31, v18
	v_mul_lo_u32 v20, v19, s34
	v_mul_lo_u32 v21, v18, s35
	v_mad_u64_u32 v[18:19], s[2:3], v18, s34, 0
	v_add3_u32 v19, v19, v21, v20
	v_lshl_add_u64 v[18:19], v[18:19], 2, s[10:11]
	global_load_dword v18, v[18:19], off
	s_waitcnt vmcnt(0)
	v_sub_f32_e32 v18, s16, v18
	v_exp_f32_e32 v39, v18
.LBB414_63:
	s_or_b64 exec, exec, s[0:1]
	v_or_b32_e32 v26, 1, v32
	v_cmp_gt_i32_e64 s[0:1], s45, v26
	s_and_saveexec_b64 s[2:3], s[0:1]
	s_cbranch_execz .LBB414_65
; %bb.64:
	v_add_u32_e32 v18, s44, v26
	v_ashrrev_i32_e32 v19, 31, v18
	v_mul_lo_u32 v20, v19, s34
	v_mul_lo_u32 v21, v18, s35
	v_mad_u64_u32 v[18:19], s[4:5], v18, s34, 0
	v_add3_u32 v19, v19, v21, v20
	v_lshl_add_u64 v[18:19], v[18:19], 2, s[10:11]
	global_load_dword v18, v[18:19], off
	s_waitcnt vmcnt(0)
	v_sub_f32_e32 v18, s16, v18
	v_exp_f32_e32 v33, v18
.LBB414_65:
	s_or_b64 exec, exec, s[2:3]
	v_or_b32_e32 v27, 2, v32
	v_cmp_gt_i32_e64 s[2:3], s45, v27
	v_mov_b32_e32 v38, 0
	v_mov_b32_e32 v44, 0
	s_and_saveexec_b64 s[4:5], s[2:3]
	s_cbranch_execz .LBB414_67
; %bb.66:
	v_add_u32_e32 v18, s44, v27
	v_ashrrev_i32_e32 v19, 31, v18
	v_mul_lo_u32 v20, v19, s34
	v_mul_lo_u32 v21, v18, s35
	v_mad_u64_u32 v[18:19], s[6:7], v18, s34, 0
	v_add3_u32 v19, v19, v21, v20
	v_lshl_add_u64 v[18:19], v[18:19], 2, s[10:11]
	global_load_dword v18, v[18:19], off
	s_waitcnt vmcnt(0)
	v_sub_f32_e32 v18, s16, v18
	v_exp_f32_e32 v44, v18
.LBB414_67:
	s_or_b64 exec, exec, s[4:5]
	v_or_b32_e32 v45, 3, v32
	v_cmp_gt_i32_e64 s[4:5], s45, v45
	s_and_saveexec_b64 s[6:7], s[4:5]
	s_cbranch_execz .LBB414_69
; %bb.68:
	v_add_u32_e32 v18, s44, v45
	v_ashrrev_i32_e32 v19, 31, v18
	v_mul_lo_u32 v20, v19, s34
	v_mul_lo_u32 v21, v18, s35
	v_mad_u64_u32 v[18:19], s[18:19], v18, s34, 0
	v_add3_u32 v19, v19, v21, v20
	v_lshl_add_u64 v[18:19], v[18:19], 2, s[10:11]
	global_load_dword v18, v[18:19], off
	s_waitcnt vmcnt(0)
	v_sub_f32_e32 v18, s16, v18
	v_exp_f32_e32 v38, v18
.LBB414_69:
	s_or_b64 exec, exec, s[6:7]
	s_add_u32 s6, s8, s26
	v_accvgpr_read_b32 v21, a7
	s_addc_u32 s7, s9, s27
	v_ashrrev_i32_e32 v35, 31, v34
	v_accvgpr_read_b32 v20, a6
	v_accvgpr_read_b32 v19, a5
	;; [unrolled: 1-line block ×3, first 2 shown]
	v_lshl_add_u64 v[22:23], v[34:35], 1, s[6:7]
	v_mov_b32_e32 v29, 0
	v_lshlrev_b32_e32 v24, 8, v32
	v_mov_b32_e32 v25, 0
	s_and_saveexec_b64 s[6:7], vcc
	s_cbranch_execz .LBB414_71
; %bb.70:
	v_mov_b32_e32 v25, 0
	v_lshl_add_u64 v[30:31], v[22:23], 0, v[24:25]
	global_load_ushort v25, v[30:31], off
	s_waitcnt vmcnt(0)
	v_lshlrev_b32_e32 v25, 16, v25
	v_sub_f32_e32 v18, v25, v18
	v_mul_f32_e32 v18, v39, v18
	v_lshrrev_b32_e32 v25, 16, v18
.LBB414_71:
	s_or_b64 exec, exec, s[6:7]
	v_lshlrev_b32_e32 v28, 8, v26
	s_and_saveexec_b64 s[6:7], s[0:1]
	s_cbranch_execz .LBB414_73
; %bb.72:
	v_mov_b32_e32 v29, 0
	v_lshl_add_u64 v[30:31], v[22:23], 0, v[28:29]
	global_load_ushort v18, v[30:31], off
	s_waitcnt vmcnt(0)
	v_lshlrev_b32_e32 v18, 16, v18
	v_sub_f32_e32 v18, v18, v19
	v_mul_f32_e32 v18, v33, v18
	v_lshrrev_b32_e32 v29, 16, v18
.LBB414_73:
	s_or_b64 exec, exec, s[6:7]
	v_mov_b32_e32 v46, 0
	v_lshlrev_b32_e32 v30, 8, v27
	v_mov_b32_e32 v31, 0
	s_and_saveexec_b64 s[6:7], s[2:3]
	s_cbranch_execz .LBB414_75
; %bb.74:
	v_mov_b32_e32 v31, 0
	v_lshl_add_u64 v[18:19], v[22:23], 0, v[30:31]
	global_load_ushort v18, v[18:19], off
	s_waitcnt vmcnt(0)
	v_lshlrev_b32_e32 v18, 16, v18
	v_sub_f32_e32 v18, v18, v20
	v_mul_f32_e32 v18, v44, v18
	v_lshrrev_b32_e32 v31, 16, v18
.LBB414_75:
	s_or_b64 exec, exec, s[6:7]
	v_lshlrev_b32_e32 v26, 8, v45
	s_and_saveexec_b64 s[6:7], s[4:5]
	s_cbranch_execz .LBB414_77
; %bb.76:
	v_mov_b32_e32 v27, 0
	v_lshl_add_u64 v[18:19], v[22:23], 0, v[26:27]
	global_load_ushort v18, v[18:19], off
	s_waitcnt vmcnt(0)
	v_lshlrev_b32_e32 v18, 16, v18
	v_sub_f32_e32 v18, v18, v21
	v_mul_f32_e32 v18, v38, v18
	v_lshrrev_b32_e32 v46, 16, v18
.LBB414_77:
	s_or_b64 exec, exec, s[6:7]
	v_lshlrev_b32_e32 v35, 5, v32
	s_mov_b32 s6, 0x5040100
	v_perm_b32 v47, v46, v31, s6
	v_perm_b32 v46, v29, v25, s6
	v_or_b32_e32 v25, v35, v40
	v_accvgpr_read_b32 v21, a3
	v_lshlrev_b32_e32 v25, 1, v25
	v_accvgpr_read_b32 v20, a2
	v_accvgpr_read_b32 v19, a1
	;; [unrolled: 1-line block ×3, first 2 shown]
	ds_write_b64 v25, v[46:47] offset:45056
	v_mov_b32_e32 v29, 0
	v_mov_b32_e32 v25, 0
	s_and_saveexec_b64 s[6:7], vcc
	s_cbranch_execz .LBB414_79
; %bb.78:
	v_mov_b32_e32 v25, 0
	v_lshl_add_u64 v[24:25], v[22:23], 0, v[24:25]
	global_load_ushort v24, v[24:25], off offset:32
	s_waitcnt vmcnt(0)
	v_lshlrev_b32_e32 v24, 16, v24
	v_sub_f32_e32 v18, v24, v18
	v_mul_f32_e32 v18, v39, v18
	v_lshrrev_b32_e32 v25, 16, v18
.LBB414_79:
	s_or_b64 exec, exec, s[6:7]
	s_and_saveexec_b64 s[6:7], s[0:1]
	s_cbranch_execz .LBB414_81
; %bb.80:
	v_mov_b32_e32 v29, 0
	v_lshl_add_u64 v[28:29], v[22:23], 0, v[28:29]
	global_load_ushort v18, v[28:29], off offset:32
	s_waitcnt vmcnt(0)
	v_lshlrev_b32_e32 v18, 16, v18
	v_sub_f32_e32 v18, v18, v19
	v_mul_f32_e32 v18, v33, v18
	v_lshrrev_b32_e32 v29, 16, v18
.LBB414_81:
	s_or_b64 exec, exec, s[6:7]
	v_mov_b32_e32 v24, 0
	v_mov_b32_e32 v28, 0
	s_and_saveexec_b64 s[0:1], s[2:3]
	s_cbranch_execz .LBB414_83
; %bb.82:
	v_mov_b32_e32 v31, 0
	v_lshl_add_u64 v[18:19], v[22:23], 0, v[30:31]
	global_load_ushort v18, v[18:19], off offset:32
	s_waitcnt vmcnt(0)
	v_lshlrev_b32_e32 v18, 16, v18
	v_sub_f32_e32 v18, v18, v20
	v_mul_f32_e32 v18, v44, v18
	v_lshrrev_b32_e32 v28, 16, v18
.LBB414_83:
	s_or_b64 exec, exec, s[0:1]
	v_or_b32_e32 v19, 0xb000, v42
	v_or_b32_e32 v18, 0xb000, v43
	s_and_saveexec_b64 s[0:1], s[4:5]
	s_cbranch_execz .LBB414_85
; %bb.84:
	v_mov_b32_e32 v27, 0
	v_lshl_add_u64 v[22:23], v[22:23], 0, v[26:27]
	global_load_ushort v20, v[22:23], off offset:32
	s_waitcnt vmcnt(0)
	v_lshlrev_b32_e32 v20, 16, v20
	v_sub_f32_e32 v20, v20, v21
	v_mul_f32_e32 v20, v38, v20
	v_lshrrev_b32_e32 v24, 16, v20
.LBB414_85:
	s_or_b64 exec, exec, s[0:1]
	s_mov_b32 s0, 0x5040100
	v_or_b32_e32 v22, v35, v37
	v_perm_b32 v21, v24, v28, s0
	v_perm_b32 v20, v29, v25, s0
	v_lshlrev_b32_e32 v22, 1, v22
	s_movk_i32 s2, 0x100
	ds_write_b64 v22, v[20:21] offset:45056
	v_and_b32_e32 v20, 7, v0
	v_and_b32_e32 v21, 8, v0
	v_cmp_gt_u32_e32 vcc, s2, v0
	v_lshrrev_b32_e32 v0, 1, v0
	v_lshlrev_b32_e32 v26, 3, v20
	v_lshlrev_b32_e32 v35, 7, v20
	v_mov_b32_e32 v20, 0x4000
	v_mov_b32_e32 v22, 0x2000
	v_lshlrev_b32_e32 v24, 3, v53
	v_and_b32_e32 v0, 24, v0
	v_cndmask_b32_e32 v27, v20, v22, vcc
	v_xor_b32_e32 v20, v24, v0
	v_or_b32_e32 v22, 0x440, v20
	v_cmp_eq_u32_e32 vcc, 0, v21
	v_or_b32_e32 v28, 32, v0
	v_xor_b32_e32 v28, v24, v28
	v_cndmask_b32_e32 v20, v22, v20, vcc
	v_or_b32_e32 v20, v20, v41
	v_xor_b32_e32 v37, v20, v26
	v_or_b32_e32 v29, 0x440, v28
	v_add3_u32 v25, v27, v37, v35
	v_cndmask_b32_e32 v28, v29, v28, vcc
	v_or_b32_e32 v29, 64, v0
	v_or_b32_e32 v0, 0x60, v0
	s_waitcnt lgkmcnt(0)
	s_barrier
	v_xor_b32_e32 v29, v24, v29
	v_xor_b32_e32 v0, v24, v0
	ds_read_b64 v[24:25], v25
	v_xor_b32_e32 v30, 0x440, v29
	ds_read2_b64 v[20:23], v19 offset1:16
	v_cndmask_b32_e32 v29, v30, v29, vcc
	v_xor_b32_e32 v30, 0x440, v0
	v_or_b32_e32 v28, v28, v41
	v_or_b32_e32 v29, v29, v41
	v_cndmask_b32_e32 v0, v30, v0, vcc
	v_xor_b32_e32 v50, v28, v26
	v_xor_b32_e32 v51, v29, v26
	v_or_b32_e32 v0, v0, v41
	s_add_i32 s0, s12, s46
	v_add3_u32 v28, v27, v50, v35
	v_add3_u32 v29, v27, v51, v35
	v_xor_b32_e32 v52, v0, v26
	s_mul_hi_i32 s1, s0, s13
	s_mul_i32 s0, s0, s13
	v_add3_u32 v0, v27, v52, v35
	ds_read_b64 v[26:27], v28
	ds_read_b64 v[42:43], v29
	;; [unrolled: 1-line block ×3, first 2 shown]
	ds_read2st64_b64 v[28:31], v19 offset0:2 offset1:4
	ds_read2st64_b64 v[38:41], v18 offset0:2 offset1:4
	s_add_u32 s0, s0, s33
	s_waitcnt lgkmcnt(5)
	v_mfma_f32_16x16x16_bf16 a[0:3], v[24:25], v[20:21], 0
	s_addc_u32 s1, s1, s14
	s_lshl_b64 s[0:1], s[0:1], 9
	s_add_u32 s0, s30, s0
	v_mfma_f32_16x16x16_bf16 a[4:7], v[24:25], v[22:23], 0
	s_addc_u32 s1, s31, s1
	v_lshlrev_b32_e32 v0, 2, v32
	s_waitcnt lgkmcnt(1)
	v_mfma_f32_16x16x16_bf16 a[0:3], v[26:27], v[28:29], a[0:3]
	s_waitcnt lgkmcnt(0)
	v_mfma_f32_16x16x16_bf16 a[4:7], v[26:27], v[38:39], a[4:7]
	global_load_dwordx4 v[24:27], v0, s[0:1]
	ds_read_b64 v[32:33], v19 offset:3072
	ds_read_b64 v[48:49], v18 offset:3072
	v_lshlrev_b32_e32 v0, 6, v53
	v_lshlrev_b32_e32 v18, 2, v36
	v_or3_b32 v0, v0, v18, s2
	v_mfma_f32_16x16x16_bf16 a[0:3], v[42:43], v[30:31], a[0:3]
	v_add_u32_e32 v36, v37, v35
	s_waitcnt vmcnt(0)
	v_exp_f32_e32 v18, v24
	v_mfma_f32_16x16x16_bf16 a[4:7], v[42:43], v[40:41], a[4:7]
	global_load_dwordx4 v[42:45], v0, s[0:1]
	v_exp_f32_e32 v19, v25
	ds_read_b64 v[24:25], v36 offset:16384
	s_waitcnt lgkmcnt(2)
	v_mfma_f32_16x16x16_bf16 a[0:3], v[46:47], v[32:33], a[0:3]
	v_exp_f32_e32 v0, s16
	v_add_u32_e32 v36, v50, v35
	v_add_u32_e32 v50, v51, v35
	s_waitcnt lgkmcnt(1)
	v_mfma_f32_16x16x16_bf16 a[4:7], v[46:47], v[48:49], a[4:7]
	v_pk_mul_f32 v[54:55], v[0:1], v[18:19] op_sel_hi:[0,1]
	v_add_u32_e32 v35, v52, v35
	ds_read_b64 v[46:47], v36 offset:16384
	ds_read_b64 v[50:51], v50 offset:16384
	;; [unrolled: 1-line block ×3, first 2 shown]
	v_accvgpr_read_b32 v19, a1
	v_accvgpr_read_b32 v37, a3
	;; [unrolled: 1-line block ×4, first 2 shown]
	s_waitcnt lgkmcnt(3)
	v_mfma_f32_16x16x16_bf16 a[0:3], v[24:25], v[22:23], 0
	v_exp_f32_e32 v26, v26
	v_exp_f32_e32 v27, v27
	v_pk_fma_f32 v[18:19], v[2:3], v[54:55], v[18:19]
	v_mfma_f32_16x16x16_bf16 a[8:11], v[24:25], v[20:21], 0
	v_mov_b32_e32 v35, v34
	v_pk_mul_f32 v[2:3], v[0:1], v[26:27] op_sel_hi:[0,1]
	v_pk_fma_f32 v[20:21], v[4:5], v[2:3], v[36:37]
	s_waitcnt lgkmcnt(2)
	v_mfma_f32_16x16x16_bf16 a[0:3], v[46:47], v[38:39], a[0:3]
	v_accvgpr_read_b32 v4, a4
	v_fma_f32 v26, v10, v54, v4
	v_accvgpr_read_b32 v4, a5
	v_mfma_f32_16x16x16_bf16 a[8:11], v[46:47], v[28:29], a[8:11]
	v_fma_f32 v27, v11, v55, v4
	v_accvgpr_read_b32 v4, a6
	v_accvgpr_read_b32 v29, a7
	s_waitcnt lgkmcnt(1)
	v_mfma_f32_16x16x16_bf16 a[0:3], v[50:51], v[40:41], a[0:3]
	v_fma_f32 v28, v12, v2, v4
	v_fmac_f32_e32 v29, v13, v3
	s_waitcnt vmcnt(0)
	v_mov_b32_e32 v2, v43
	v_mfma_f32_16x16x16_bf16 a[8:11], v[50:51], v[30:31], a[8:11]
	v_mov_b32_e32 v3, v44
	v_mov_b32_e32 v4, v45
	v_exp_f32_e32 v10, v42
	v_exp_f32_e32 v11, v2
	;; [unrolled: 1-line block ×4, first 2 shown]
	s_waitcnt lgkmcnt(0)
	v_mfma_f32_16x16x16_bf16 a[0:3], v[52:53], v[48:49], a[0:3]
	v_pk_mul_f32 v[10:11], v[0:1], v[10:11] op_sel_hi:[0,1]
	v_pk_mul_f32 v[2:3], v[0:1], v[2:3] op_sel_hi:[0,1]
	v_mfma_f32_16x16x16_bf16 a[4:7], v[52:53], v[32:33], a[8:11]
	s_nop 3
	v_accvgpr_read_b32 v0, a0
	v_fma_f32 v30, v14, v10, v0
	v_accvgpr_read_b32 v0, a1
	v_fma_f32 v31, v15, v11, v0
	v_accvgpr_read_b32 v13, a5
	v_accvgpr_read_b32 v5, a7
	;; [unrolled: 1-line block ×6, first 2 shown]
	v_pk_fma_f32 v[22:23], v[6:7], v[10:11], v[12:13]
	v_pk_fma_f32 v[24:25], v[8:9], v[2:3], v[4:5]
	v_fma_f32 v32, v16, v2, v0
	v_fmac_f32_e32 v33, v17, v3
	v_mov_b64_e32 v[2:3], v[18:19]
	v_mov_b64_e32 v[4:5], v[20:21]
	;; [unrolled: 1-line block ×8, first 2 shown]
.LBB414_86:
	s_lshl_b64 s[0:1], s[24:25], 16
	s_waitcnt lgkmcnt(0)
	s_add_u32 s0, s28, s0
	v_lshlrev_b32_e32 v18, 7, v35
	s_addc_u32 s1, s29, s1
	v_ashrrev_i32_e32 v19, 31, v18
	v_lshl_add_u64 v[20:21], v[18:19], 2, s[0:1]
	v_lshlrev_b32_e32 v0, 2, v1
	v_mov_b32_e32 v1, 0
	v_lshl_add_u64 v[20:21], v[20:21], 0, v[0:1]
	global_store_dwordx4 v[20:21], v[2:5], off
	global_store_dwordx4 v[20:21], v[6:9], off offset:256
	s_nop 0
	v_or_b32_e32 v2, 0x800, v18
	v_ashrrev_i32_e32 v3, 31, v2
	v_lshl_add_u64 v[2:3], v[2:3], 2, s[0:1]
	v_lshl_add_u64 v[0:1], v[2:3], 0, v[0:1]
	global_store_dwordx4 v[0:1], v[10:13], off
	global_store_dwordx4 v[0:1], v[14:17], off offset:256
	s_endpgm
	.section	.rodata,"a",@progbits
	.p2align	6, 0x0
	.amdhsa_kernel _ZN12_GLOBAL__N_139chunk_gated_delta_rule_fwd_h_hip_kernelILi32ELb0ELb1ELb0ELb0ELb1ELb1ELb0ELb0EEEvPK12hip_bfloat16S3_S3_PKfS5_PKvPS1_S8_PvPKiSB_iiiiilll
		.amdhsa_group_segment_fixed_size 49152
		.amdhsa_private_segment_fixed_size 0
		.amdhsa_kernarg_size 136
		.amdhsa_user_sgpr_count 2
		.amdhsa_user_sgpr_dispatch_ptr 0
		.amdhsa_user_sgpr_queue_ptr 0
		.amdhsa_user_sgpr_kernarg_segment_ptr 1
		.amdhsa_user_sgpr_dispatch_id 0
		.amdhsa_user_sgpr_kernarg_preload_length 0
		.amdhsa_user_sgpr_kernarg_preload_offset 0
		.amdhsa_user_sgpr_private_segment_size 0
		.amdhsa_uses_dynamic_stack 0
		.amdhsa_enable_private_segment 0
		.amdhsa_system_sgpr_workgroup_id_x 1
		.amdhsa_system_sgpr_workgroup_id_y 1
		.amdhsa_system_sgpr_workgroup_id_z 0
		.amdhsa_system_sgpr_workgroup_info 0
		.amdhsa_system_vgpr_workitem_id 0
		.amdhsa_next_free_vgpr 160
		.amdhsa_next_free_sgpr 67
		.amdhsa_accum_offset 140
		.amdhsa_reserve_vcc 1
		.amdhsa_float_round_mode_32 0
		.amdhsa_float_round_mode_16_64 0
		.amdhsa_float_denorm_mode_32 3
		.amdhsa_float_denorm_mode_16_64 3
		.amdhsa_dx10_clamp 1
		.amdhsa_ieee_mode 1
		.amdhsa_fp16_overflow 0
		.amdhsa_tg_split 0
		.amdhsa_exception_fp_ieee_invalid_op 0
		.amdhsa_exception_fp_denorm_src 0
		.amdhsa_exception_fp_ieee_div_zero 0
		.amdhsa_exception_fp_ieee_overflow 0
		.amdhsa_exception_fp_ieee_underflow 0
		.amdhsa_exception_fp_ieee_inexact 0
		.amdhsa_exception_int_div_zero 0
	.end_amdhsa_kernel
	.section	.text._ZN12_GLOBAL__N_139chunk_gated_delta_rule_fwd_h_hip_kernelILi32ELb0ELb1ELb0ELb0ELb1ELb1ELb0ELb0EEEvPK12hip_bfloat16S3_S3_PKfS5_PKvPS1_S8_PvPKiSB_iiiiilll,"axG",@progbits,_ZN12_GLOBAL__N_139chunk_gated_delta_rule_fwd_h_hip_kernelILi32ELb0ELb1ELb0ELb0ELb1ELb1ELb0ELb0EEEvPK12hip_bfloat16S3_S3_PKfS5_PKvPS1_S8_PvPKiSB_iiiiilll,comdat
.Lfunc_end414:
	.size	_ZN12_GLOBAL__N_139chunk_gated_delta_rule_fwd_h_hip_kernelILi32ELb0ELb1ELb0ELb0ELb1ELb1ELb0ELb0EEEvPK12hip_bfloat16S3_S3_PKfS5_PKvPS1_S8_PvPKiSB_iiiiilll, .Lfunc_end414-_ZN12_GLOBAL__N_139chunk_gated_delta_rule_fwd_h_hip_kernelILi32ELb0ELb1ELb0ELb0ELb1ELb1ELb0ELb0EEEvPK12hip_bfloat16S3_S3_PKfS5_PKvPS1_S8_PvPKiSB_iiiiilll
                                        ; -- End function
	.section	.AMDGPU.csdata,"",@progbits
; Kernel info:
; codeLenInByte = 9692
; NumSgprs: 73
; NumVgprs: 140
; NumAgprs: 20
; TotalNumVgprs: 160
; ScratchSize: 0
; MemoryBound: 0
; FloatMode: 240
; IeeeMode: 1
; LDSByteSize: 49152 bytes/workgroup (compile time only)
; SGPRBlocks: 9
; VGPRBlocks: 19
; NumSGPRsForWavesPerEU: 73
; NumVGPRsForWavesPerEU: 160
; AccumOffset: 140
; Occupancy: 1
; WaveLimiterHint : 1
; COMPUTE_PGM_RSRC2:SCRATCH_EN: 0
; COMPUTE_PGM_RSRC2:USER_SGPR: 2
; COMPUTE_PGM_RSRC2:TRAP_HANDLER: 0
; COMPUTE_PGM_RSRC2:TGID_X_EN: 1
; COMPUTE_PGM_RSRC2:TGID_Y_EN: 1
; COMPUTE_PGM_RSRC2:TGID_Z_EN: 0
; COMPUTE_PGM_RSRC2:TIDIG_COMP_CNT: 0
; COMPUTE_PGM_RSRC3_GFX90A:ACCUM_OFFSET: 34
; COMPUTE_PGM_RSRC3_GFX90A:TG_SPLIT: 0
	.section	.text._ZN12_GLOBAL__N_139chunk_gated_delta_rule_fwd_h_hip_kernelILi32ELb0ELb0ELb1ELb0ELb1ELb1ELb0ELb0EEEvPK12hip_bfloat16S3_S3_PKfS5_PKvPS1_S8_PvPKiSB_iiiiilll,"axG",@progbits,_ZN12_GLOBAL__N_139chunk_gated_delta_rule_fwd_h_hip_kernelILi32ELb0ELb0ELb1ELb0ELb1ELb1ELb0ELb0EEEvPK12hip_bfloat16S3_S3_PKfS5_PKvPS1_S8_PvPKiSB_iiiiilll,comdat
	.globl	_ZN12_GLOBAL__N_139chunk_gated_delta_rule_fwd_h_hip_kernelILi32ELb0ELb0ELb1ELb0ELb1ELb1ELb0ELb0EEEvPK12hip_bfloat16S3_S3_PKfS5_PKvPS1_S8_PvPKiSB_iiiiilll ; -- Begin function _ZN12_GLOBAL__N_139chunk_gated_delta_rule_fwd_h_hip_kernelILi32ELb0ELb0ELb1ELb0ELb1ELb1ELb0ELb0EEEvPK12hip_bfloat16S3_S3_PKfS5_PKvPS1_S8_PvPKiSB_iiiiilll
	.p2align	8
	.type	_ZN12_GLOBAL__N_139chunk_gated_delta_rule_fwd_h_hip_kernelILi32ELb0ELb0ELb1ELb0ELb1ELb1ELb0ELb0EEEvPK12hip_bfloat16S3_S3_PKfS5_PKvPS1_S8_PvPKiSB_iiiiilll,@function
_ZN12_GLOBAL__N_139chunk_gated_delta_rule_fwd_h_hip_kernelILi32ELb0ELb0ELb1ELb0ELb1ELb1ELb0ELb0EEEvPK12hip_bfloat16S3_S3_PKfS5_PKvPS1_S8_PvPKiSB_iiiiilll: ; @_ZN12_GLOBAL__N_139chunk_gated_delta_rule_fwd_h_hip_kernelILi32ELb0ELb0ELb1ELb0ELb1ELb1ELb0ELb0EEEvPK12hip_bfloat16S3_S3_PKfS5_PKvPS1_S8_PvPKiSB_iiiiilll
; %bb.0:
	s_load_dwordx4 s[16:19], s[0:1], 0x5c
	s_load_dwordx4 s[12:15], s[0:1], 0x30
	s_abs_i32 s22, s3
	s_ashr_i32 s21, s3, 31
	s_load_dwordx8 s[4:11], s[0:1], 0x0
	s_waitcnt lgkmcnt(0)
	s_abs_i32 s20, s17
	v_cvt_f32_u32_e32 v1, s20
	s_sub_i32 s24, 0, s20
	s_ashr_i32 s23, s17, 31
	s_xor_b32 s21, s21, s23
	v_rcp_iflag_f32_e32 v1, v1
	v_lshrrev_b32_e32 v63, 6, v0
	v_bfe_u32 v64, v0, 4, 2
	v_lshlrev_b32_e32 v2, 2, v64
	v_mul_f32_e32 v1, 0x4f7ffffe, v1
	v_cvt_u32_f32_e32 v1, v1
	v_and_b32_e32 v62, 63, v0
	v_mov_b32_e32 v5, 0
	v_and_b32_e32 v45, 15, v0
	v_readfirstlane_b32 s25, v1
	s_mul_i32 s24, s24, s25
	s_mul_hi_u32 s24, s25, s24
	s_add_i32 s25, s25, s24
	s_mul_hi_u32 s24, s22, s25
	s_mul_i32 s25, s24, s20
	s_sub_i32 s22, s22, s25
	s_add_i32 s26, s24, 1
	s_sub_i32 s25, s22, s20
	s_cmp_ge_u32 s22, s20
	s_cselect_b32 s24, s26, s24
	s_cselect_b32 s22, s25, s22
	s_add_i32 s25, s24, 1
	s_cmp_ge_u32 s22, s20
	s_cselect_b32 s22, s25, s24
	s_abs_i32 s24, s18
	v_cvt_f32_u32_e32 v1, s24
	s_xor_b32 s22, s22, s21
	s_ashr_i32 s48, s16, 31
	s_sub_i32 s50, s22, s21
	v_rcp_iflag_f32_e32 v1, v1
	s_lshr_b32 s21, s48, 26
	s_add_i32 s21, s16, s21
	s_ashr_i32 s51, s18, 31
	v_mul_f32_e32 v1, 0x4f7ffffe, v1
	v_cvt_u32_f32_e32 v1, v1
	s_ashr_i32 s49, s21, 6
	s_xor_b32 s21, s23, s51
	s_sub_i32 s22, 0, s24
	v_readfirstlane_b32 s23, v1
	s_mul_i32 s22, s22, s23
	s_mul_hi_u32 s22, s23, s22
	s_add_i32 s23, s23, s22
	s_mul_hi_u32 s22, s20, s23
	s_mul_i32 s23, s22, s24
	s_mul_i32 s47, s50, s17
	s_sub_i32 s20, s20, s23
	s_sub_i32 s33, s3, s47
	s_add_i32 s3, s16, 63
	s_add_i32 s23, s22, 1
	s_sub_i32 s25, s20, s24
	s_cmp_ge_u32 s20, s24
	s_cselect_b32 s22, s23, s22
	s_cselect_b32 s20, s25, s20
	s_add_i32 s23, s22, 1
	s_cmp_ge_u32 s20, s24
	s_cselect_b32 s20, s23, s22
	s_xor_b32 s20, s20, s21
	s_sub_i32 s24, s20, s21
	s_abs_i32 s25, s24
	v_cvt_f32_u32_e32 v1, s25
	s_sub_i32 s27, 0, s25
	s_abs_i32 s26, s33
	s_xor_b32 s24, s33, s24
	v_rcp_iflag_f32_e32 v1, v1
	s_ashr_i32 s24, s24, 31
	s_load_dwordx2 s[34:35], s[0:1], 0x80
	s_load_dwordx4 s[20:23], s[0:1], 0x70
	s_mul_hi_i32 s53, s50, s17
	v_mul_f32_e32 v1, 0x4f7ffffe, v1
	v_cvt_u32_f32_e32 v1, v1
	v_lshrrev_b32_e32 v66, 3, v62
	v_lshlrev_b32_e32 v65, 3, v0
	s_waitcnt lgkmcnt(0)
	s_mul_i32 s21, s50, s21
	v_readfirstlane_b32 s28, v1
	s_mul_i32 s27, s27, s28
	s_mul_hi_u32 s27, s28, s27
	s_add_i32 s28, s28, s27
	s_mul_hi_u32 s27, s26, s28
	s_mul_i32 s28, s27, s25
	s_sub_i32 s26, s26, s28
	s_add_i32 s28, s27, 1
	s_sub_i32 s29, s26, s25
	s_cmp_ge_u32 s26, s25
	s_cselect_b32 s27, s28, s27
	s_cselect_b32 s26, s29, s26
	s_add_i32 s28, s27, 1
	s_cmp_ge_u32 s26, s25
	s_cselect_b32 s25, s28, s27
	s_xor_b32 s25, s25, s24
	s_sub_i32 s54, s25, s24
	s_ashr_i32 s24, s3, 31
	s_lshr_b32 s24, s24, 26
	v_lshlrev_b32_e32 v1, 4, v63
	s_add_i32 s3, s3, s24
	v_or_b32_e32 v67, v2, v1
	s_ashr_i32 s3, s3, 6
	s_lshl_b32 s36, s2, 5
	s_mul_i32 s52, s50, s3
	v_or_b32_e32 v68, 64, v67
	s_cmp_lt_i32 s16, 64
	s_mul_hi_u32 s46, s50, s20
	s_mul_i32 s38, s50, s20
	v_mov_b32_e32 v85, 0
	v_mov_b32_e32 v83, 0
	;; [unrolled: 1-line block ×15, first 2 shown]
	s_cbranch_scc1 .LBB415_18
; %bb.1:
	s_ashr_i32 s28, s50, 31
	s_ashr_i32 s56, s33, 31
	s_add_u32 s2, s47, s33
	s_addc_u32 s3, s53, s56
	s_mul_i32 s3, s16, s3
	s_mul_hi_u32 s24, s16, s2
	s_add_i32 s41, s24, s3
	s_mul_i32 s40, s16, s2
	s_lshl_b64 s[2:3], s[40:41], 8
	v_and_b32_e32 v70, 56, v65
	s_add_u32 s24, s6, s2
	v_lshl_or_b32 v69, v63, 3, v66
	v_lshlrev_b32_e32 v3, 1, v70
	s_addc_u32 s2, s7, s3
	v_lshl_or_b32 v71, v69, 8, v3
	s_and_b32 s25, s2, 0xffff
	s_mov_b32 s27, 0x20000
	s_movk_i32 s26, 0x4000
	s_movk_i32 s2, 0x80
	v_or_b32_e32 v72, 0x2000, v71
	buffer_load_dwordx4 v[4:7], v71, s[24:27], 0 offen
	buffer_load_dwordx4 v[8:11], v71, s[24:27], s2 offen
	;; [unrolled: 1-line block ×4, first 2 shown]
	v_lshlrev_b32_e32 v20, 3, v69
	v_and_or_b32 v22, v0, 7, v20
	v_and_b32_e32 v20, 0x78, v20
	v_lshlrev_b32_e32 v22, 4, v22
	v_xor_b32_e32 v73, v22, v20
	v_mul_lo_u32 v21, v69, s19
	v_or_b32_e32 v74, 0x1000, v73
	s_cmpk_eq_i32 s19, 0x80
	s_mov_b32 s55, s18
	v_xor_b32_e32 v20, 8, v73
	v_xor_b32_e32 v22, 8, v74
	s_cselect_b64 s[2:3], -1, 0
	s_cmpk_lg_i32 s19, 0x80
	s_waitcnt vmcnt(3)
	ds_write_b64 v73, v[4:5] offset:24576
	ds_write_b64 v20, v[6:7] offset:24576
	s_waitcnt vmcnt(2)
	ds_write_b64 v73, v[8:9] offset:32768
	ds_write_b64 v20, v[10:11] offset:32768
	;; [unrolled: 3-line block ×4, first 2 shown]
	v_lshl_add_u32 v4, v21, 1, v70
	s_cbranch_scc0 .LBB415_3
; %bb.2:
	v_lshlrev_b32_e32 v6, 1, v4
	v_add_lshl_u32 v5, v4, s19, 1
	s_lshl_b32 s26, s19, 7
	s_load_dwordx2 s[42:43], s[0:1], 0x20
	v_lshl_or_b32 v3, v69, 9, v3
	s_cbranch_execz .LBB415_4
	s_branch .LBB415_5
.LBB415_3:
                                        ; implicit-def: $vgpr5
                                        ; implicit-def: $vgpr6
                                        ; implicit-def: $sgpr26
	s_load_dwordx2 s[42:43], s[0:1], 0x20
	v_lshl_or_b32 v3, v69, 9, v3
.LBB415_4:
	v_or_b32_e32 v5, 0x100, v3
	s_movk_i32 s26, 0x4000
	v_mov_b32_e32 v6, v3
.LBB415_5:
	s_mul_hi_u32 s0, s18, s16
	s_mul_i32 s1, s51, s16
	s_add_i32 s0, s0, s1
	s_mul_i32 s1, s18, s16
	s_mul_i32 s24, s1, s28
	s_mul_hi_u32 s25, s1, s50
	s_add_i32 s24, s25, s24
	s_mul_i32 s0, s0, s50
	s_add_i32 s24, s24, s0
	s_mul_i32 s1, s1, s50
	s_ashr_i32 s57, s54, 31
	s_add_u32 s0, s1, s54
	s_addc_u32 s1, s24, s57
	s_lshl_b64 s[0:1], s[0:1], 8
	s_add_u32 s24, s4, s0
	s_addc_u32 s0, s5, s1
	s_and_b32 s25, s0, 0xffff
	s_movk_i32 s58, 0x80
	buffer_load_dwordx4 v[8:11], v6, s[24:27], 0 offen
	buffer_load_dwordx4 v[12:15], v6, s[24:27], s58 offen
	;; [unrolled: 1-line block ×4, first 2 shown]
	v_and_b32_e32 v5, 6, v0
	v_lshlrev_b32_e32 v24, 6, v67
	v_or_b32_e32 v26, 16, v45
	v_xor_b32_e32 v27, v69, v5
	v_and_b32_e32 v6, 1, v0
	s_mul_i32 s0, s28, s16
	s_mul_hi_u32 s1, s50, s16
	v_lshl_or_b32 v30, v45, 3, v24
	v_lshl_or_b32 v24, v26, 3, v24
	v_lshlrev_b32_e32 v27, 2, v27
	v_lshlrev_b32_e32 v7, 2, v45
	v_or_b32_e32 v77, 0xa000, v24
	v_or_b32_e32 v78, 0xb000, v24
	v_xor_b32_e32 v24, 0x440, v27
	v_cmp_eq_u32_e32 vcc, 0, v6
	s_add_i32 s63, s1, s0
	s_add_i32 s0, s46, s21
	s_mul_i32 s28, s28, s20
	v_xor_b32_e32 v28, v67, v7
	v_xor_b32_e32 v29, v68, v7
	v_cndmask_b32_e32 v6, v24, v27, vcc
	s_add_i32 s39, s0, s28
	s_mul_i32 s0, s33, s23
	s_mul_hi_u32 s1, s33, s22
	s_mov_b32 s61, 0x1000504
	v_lshlrev_b32_e32 v25, 8, v45
	v_lshlrev_b32_e32 v28, 1, v28
	;; [unrolled: 1-line block ×3, first 2 shown]
	v_lshl_or_b32 v5, v5, 10, v6
	s_add_i32 s0, s1, s0
	s_mul_i32 s1, s56, s22
	s_mov_b32 s62, 0x3020706
	v_or_b32_e32 v75, 0xa000, v30
	v_or_b32_e32 v76, 0xb000, v30
	;; [unrolled: 1-line block ×4, first 2 shown]
	v_xor_b32_e32 v6, 8, v5
	v_xor_b32_e32 v25, 24, v5
	;; [unrolled: 1-line block ×4, first 2 shown]
	s_add_i32 s1, s0, s1
	s_lshl_b64 s[24:25], s[38:39], 2
	v_xor_b32_e32 v24, 16, v5
	v_xor_b32_e32 v27, 32, v5
	;; [unrolled: 1-line block ×3, first 2 shown]
	v_add_u32_e32 v6, 0x80, v6
	v_add_u32_e32 v25, 0x80, v25
	;; [unrolled: 1-line block ×4, first 2 shown]
	s_mul_i32 s0, s33, s22
	s_add_u32 s24, s10, s24
	s_addc_u32 s25, s11, s25
	s_lshl_b64 s[0:1], s[0:1], 2
	s_add_u32 s44, s24, s0
	s_movk_i32 s0, 0xf8
	s_addc_u32 s45, s25, s1
	s_ashr_i32 s37, s36, 31
	s_lshl_b32 s30, s19, 7
	s_movk_i32 s24, 0x100
	v_mov_b32_e32 v55, 0
	v_lshlrev_b32_e32 v54, 4, v45
	v_cmp_gt_u32_e32 vcc, s24, v0
	s_mul_i32 s59, s50, s16
	s_mov_b32 s60, 0
	s_movk_i32 s39, 0x1000
	s_movk_i32 s26, 0x4000
	v_add_u32_e32 v102, v1, v2
	s_mov_b32 s64, 0x7060302
	s_mov_b32 s66, 0
	v_mov_b32_e32 v50, v55
	v_mov_b32_e32 v51, v55
	;; [unrolled: 1-line block ×9, first 2 shown]
	s_waitcnt vmcnt(1)
	v_perm_b32 v33, v8, v16, s61
	s_waitcnt vmcnt(0)
	v_perm_b32 v34, v12, v20, s61
	v_perm_b32 v8, v8, v16, s62
	;; [unrolled: 1-line block ×15, first 2 shown]
	ds_write2st64_b32 v5, v33, v34 offset0:32 offset1:64
	ds_write2st64_b32 v6, v8, v12 offset0:32 offset1:64
	;; [unrolled: 1-line block ×8, first 2 shown]
	v_lshlrev_b32_e32 v5, 8, v26
	v_or_b32_e32 v81, v5, v28
	v_or_b32_e32 v82, v5, v29
	;; [unrolled: 1-line block ×3, first 2 shown]
	v_lshlrev_b32_e32 v5, 3, v5
	v_lshrrev_b32_e32 v8, 5, v62
	v_and_or_b32 v8, v5, s0, v8
	v_lshrrev_b32_e32 v6, 2, v62
	v_lshlrev_b32_e32 v11, 11, v63
	v_lshlrev_b32_e32 v8, 4, v8
	v_and_b32_e32 v5, 0x78, v5
	v_and_b32_e32 v9, 12, v6
	;; [unrolled: 1-line block ×3, first 2 shown]
	v_xor_b32_e32 v10, v8, v5
	v_lshrrev_b32_e32 v12, 1, v62
	v_or_b32_e32 v10, v10, v6
	v_and_b32_e32 v12, 8, v12
	v_xor_b32_e32 v89, v10, v12
	v_or_b32_e32 v10, 32, v8
	v_xor_b32_e32 v10, v10, v5
	v_or_b32_e32 v10, v10, v6
	;; [unrolled: 2-line block ×3, first 2 shown]
	v_or_b32_e32 v8, 0x60, v8
	v_xor_b32_e32 v10, v10, v5
	v_xor_b32_e32 v5, v8, v5
	s_lshl_b64 s[0:1], s[36:37], 8
	v_or_b32_e32 v10, v10, v6
	v_or_b32_e32 v5, v5, v6
	v_lshlrev_b32_e32 v14, 1, v4
	v_add_lshl_u32 v15, v4, s19, 1
	s_add_u32 s0, s12, s0
	v_lshlrev_b32_e32 v4, 1, v45
	v_xor_b32_e32 v93, v10, v12
	v_xor_b32_e32 v94, v5, v12
	v_lshrrev_b32_e32 v10, 4, v0
	s_addc_u32 s1, s13, s1
	v_or_b32_e32 v5, 1, v4
	v_mov_b32_e32 v20, 0x4000
	v_mov_b32_e32 v21, 0x2000
	v_lshrrev_b32_e32 v22, 1, v0
	v_xor_b32_e32 v12, v10, v4
	v_xor_b32_e32 v17, v5, v10
	v_lshl_add_u64 v[4:5], s[0:1], 0, v[54:55]
	v_lshlrev_b32_e32 v54, 8, v10
	v_cndmask_b32_e32 v20, v20, v21, vcc
	v_lshlrev_b32_e32 v21, 3, v63
	v_and_b32_e32 v22, 24, v22
	v_lshl_or_b32 v97, v12, 3, v54
	v_and_b32_e32 v12, 8, v0
	v_xor_b32_e32 v23, v21, v22
	v_or_b32_e32 v24, 0x440, v23
	v_cmp_eq_u32_e32 vcc, 0, v12
	v_and_b32_e32 v10, 7, v0
	v_lshlrev_b32_e32 v13, 7, v64
	v_cndmask_b32_e32 v12, v24, v23, vcc
	v_lshl_or_b32 v98, v17, 3, v54
	v_lshlrev_b32_e32 v17, 3, v10
	v_lshlrev_b32_e32 v19, 2, v0
	v_or_b32_e32 v12, v12, v11
	v_or_b32_e32 v7, v13, v7
	v_xor_b32_e32 v23, v12, v17
	v_and_or_b32 v12, v19, 60, v13
	v_mov_b32_e32 v13, 0xb000
	v_lshl_or_b32 v99, v12, 1, v13
	v_or_b32_e32 v12, 32, v22
	v_xor_b32_e32 v12, v21, v12
	v_or_b32_e32 v13, 0x440, v12
	v_cndmask_b32_e32 v12, v13, v12, vcc
	v_or_b32_e32 v12, v12, v11
	v_xor_b32_e32 v13, v12, v17
	v_or_b32_e32 v12, 64, v22
	v_xor_b32_e32 v12, v21, v12
	v_xor_b32_e32 v25, 0x440, v12
	v_cndmask_b32_e32 v12, v25, v12, vcc
	v_or_b32_e32 v12, v12, v11
	v_xor_b32_e32 v25, v12, v17
	v_or_b32_e32 v12, 0x60, v22
	v_xor_b32_e32 v12, v21, v12
	v_xor_b32_e32 v21, 0x440, v12
	v_cndmask_b32_e32 v12, v21, v12, vcc
	v_lshlrev_b32_e32 v7, 1, v7
	v_or_b32_e32 v6, s36, v45
	v_or_b32_e32 v11, v12, v11
	;; [unrolled: 1-line block ×6, first 2 shown]
	v_ashrrev_i32_e32 v7, 31, v6
	v_xor_b32_e32 v11, v11, v17
	v_lshlrev_b32_e32 v8, 7, v67
	v_or_b32_e32 v16, 0x100, v3
	v_lshlrev_b32_e32 v18, 7, v10
	v_or_b32_e32 v10, v9, v1
	v_add_u32_e32 v24, v20, v23
	v_add_u32_e32 v19, v20, v13
	;; [unrolled: 1-line block ×4, first 2 shown]
	v_or3_b32 v12, v1, v9, 64
	v_add_u32_e32 v9, 0x4000, v23
	v_add_u32_e32 v13, 0x4000, v13
	;; [unrolled: 1-line block ×4, first 2 shown]
	v_lshlrev_b64 v[6:7], 1, v[6:7]
	v_cndmask_b32_e64 v100, v14, v3, s[2:3]
	v_cndmask_b32_e64 v101, v15, v16, s[2:3]
	v_lshl_add_u64 v[56:57], s[8:9], 0, v[6:7]
	v_lshl_add_u64 v[58:59], s[14:15], 0, v[6:7]
	;; [unrolled: 1-line block ×3, first 2 shown]
	s_add_i32 s37, s59, 63
	v_lshlrev_b32_e32 v54, 1, v8
	v_lshlrev_b32_e32 v103, 2, v10
	v_add_u32_e32 v104, v24, v18
	v_add_u32_e32 v105, v19, v18
	;; [unrolled: 1-line block ×4, first 2 shown]
	v_lshlrev_b32_e32 v108, 2, v12
	v_add_u32_e32 v109, v9, v18
	v_add_u32_e32 v110, v13, v18
	;; [unrolled: 1-line block ×4, first 2 shown]
	v_mov_b32_e32 v86, v55
	v_mov_b32_e32 v88, v55
	v_mov_b32_e32 v114, v55
	v_mov_b32_e32 v84, v55
	v_mov_b32_e32 v83, v55
	v_mov_b32_e32 v85, v55
	v_mov_b32_e32 v113, v55
	s_waitcnt lgkmcnt(0)
	s_barrier
.LBB415_6:                              ; =>This Inner Loop Header: Depth=1
	s_add_i32 s65, s66, 1
	s_cmp_lt_i32 s65, s49
	s_mov_b64 s[28:29], 0
	s_cselect_b64 s[2:3], -1, 0
	s_cmp_ge_i32 s65, s49
	s_mov_b64 s[24:25], 0
	s_cbranch_scc1 .LBB415_8
; %bb.7:                                ;   in Loop: Header=BB415_6 Depth=1
	s_add_i32 s0, s60, 64
	s_add_u32 s0, s40, s0
	s_addc_u32 s1, s41, 0
	s_lshl_b64 s[0:1], s[0:1], 8
	s_add_u32 s24, s6, s0
	s_addc_u32 s25, s7, s1
.LBB415_8:                              ;   in Loop: Header=BB415_6 Depth=1
	v_cndmask_b32_e64 v2, 0, 1, s[2:3]
	v_cmp_ne_u32_e64 s[0:1], 1, v2
	s_andn2_b64 vcc, exec, s[2:3]
	s_cbranch_vccnz .LBB415_10
; %bb.9:                                ;   in Loop: Header=BB415_6 Depth=1
	s_add_i32 s2, s60, 64
	s_add_u32 s2, s59, s2
	s_addc_u32 s3, s63, 0
	s_mul_i32 s28, s2, s51
	s_mul_hi_u32 s29, s2, s55
	s_add_i32 s28, s29, s28
	s_mul_i32 s3, s3, s55
	s_add_i32 s28, s28, s3
	s_mul_i32 s2, s2, s55
	s_add_u32 s2, s2, s54
	s_addc_u32 s3, s28, s57
	s_lshl_b64 s[2:3], s[2:3], 8
	s_add_u32 s28, s4, s2
	s_addc_u32 s29, s5, s3
.LBB415_10:                             ;   in Loop: Header=BB415_6 Depth=1
	v_perm_b32 v3, v53, v52, s64
	v_perm_b32 v2, v51, v50, s64
	;; [unrolled: 1-line block ×4, first 2 shown]
	ds_write_b64 v75, v[2:3]
	ds_write_b64 v76, v[4:5]
	;; [unrolled: 1-line block ×4, first 2 shown]
	v_perm_b32 v3, v114, v88, s64
	v_perm_b32 v2, v86, v87, s64
	;; [unrolled: 1-line block ×4, first 2 shown]
	ds_write_b64 v77, v[2:3]
	ds_write_b64 v78, v[4:5]
	;; [unrolled: 1-line block ×4, first 2 shown]
	s_waitcnt lgkmcnt(0)
	s_barrier
	ds_read_b64 v[6:7], v89 offset:24576
	ds_read2_b64 v[2:5], v90 offset1:16
	ds_read_b64 v[10:11], v92 offset:3072
	ds_read_b64 v[12:13], v90 offset:3072
	;; [unrolled: 1-line block ×3, first 2 shown]
	s_waitcnt lgkmcnt(3)
	v_mfma_f32_16x16x16_bf16 a[0:3], v[6:7], v[2:3], 0
	s_add_i32 s2, s60, 63
	s_mul_i32 s3, s2, s35
	s_mul_hi_u32 s31, s2, s34
	v_mfma_f32_16x16x16_bf16 a[4:7], v[6:7], v[4:5], 0
	ds_read2st64_b64 v[2:5], v90 offset0:2 offset1:4
	ds_read2st64_b64 v[6:9], v92 offset0:2 offset1:4
	s_add_i32 s3, s31, s3
	s_waitcnt lgkmcnt(1)
	v_mfma_f32_16x16x16_bf16 a[0:3], v[14:15], v[2:3], a[0:3]
	s_mul_i32 s2, s2, s34
	s_lshl_b64 s[2:3], s[2:3], 2
	s_add_u32 s2, s44, s2
	s_waitcnt lgkmcnt(0)
	v_mfma_f32_16x16x16_bf16 a[4:7], v[14:15], v[6:7], a[4:7]
	ds_read_b64 v[2:3], v93 offset:24576
	ds_read_b64 v[6:7], v94 offset:24576
	s_addc_u32 s3, s45, s3
	s_and_b64 vcc, exec, s[0:1]
	s_waitcnt lgkmcnt(1)
	v_mfma_f32_16x16x16_bf16 a[0:3], v[2:3], v[4:5], a[0:3]
	v_mov_b32_e32 v117, 0
	v_mov_b32_e32 v116, 0
	;; [unrolled: 1-line block ×3, first 2 shown]
	v_mfma_f32_16x16x16_bf16 a[8:11], v[2:3], v[8:9], a[4:7]
	v_mov_b32_e32 v2, 0
	v_mov_b32_e32 v3, 0
	;; [unrolled: 1-line block ×3, first 2 shown]
	s_waitcnt lgkmcnt(0)
	v_mfma_f32_16x16x16_bf16 a[4:7], v[6:7], v[12:13], a[0:3]
	v_mov_b32_e32 v5, 0
	v_mov_b32_e32 v8, 0
	;; [unrolled: 1-line block ×3, first 2 shown]
	v_mfma_f32_16x16x16_bf16 a[0:3], v[6:7], v[10:11], a[8:11]
	v_mov_b32_e32 v6, 0
	v_mov_b32_e32 v7, 0
	;; [unrolled: 1-line block ×10, first 2 shown]
	s_cbranch_vccnz .LBB415_12
; %bb.11:                               ;   in Loop: Header=BB415_6 Depth=1
	s_and_b32 s25, s25, 0xffff
	buffer_load_dwordx4 v[14:17], v71, s[24:27], 0 offen
	buffer_load_dwordx4 v[10:13], v71, s[24:27], s58 offen
	;; [unrolled: 1-line block ×4, first 2 shown]
	v_mov_b32_e32 v116, v73
	v_mov_b32_e32 v115, v74
.LBB415_12:                             ;   in Loop: Header=BB415_6 Depth=1
	ds_read_b64 v[26:27], v89 offset:32768
	ds_read2_b64 v[18:21], v95 offset1:16
	ds_read_b64 v[28:29], v91 offset:32768
	ds_read_b64 v[30:31], v93 offset:32768
	;; [unrolled: 1-line block ×3, first 2 shown]
	ds_read2st64_b64 v[22:25], v95 offset0:2 offset1:4
	v_add_u32_e32 v34, s60, v102
	s_waitcnt lgkmcnt(4)
	v_mfma_f32_16x16x16_bf16 a[4:7], v[26:27], v[18:19], a[4:7]
	v_ashrrev_i32_e32 v18, 31, v34
	v_mfma_f32_16x16x16_bf16 a[0:3], v[26:27], v[20:21], a[0:3]
	v_mul_lo_u32 v20, v34, s35
	v_mul_lo_u32 v21, v18, s34
	v_mad_u64_u32 v[18:19], s[24:25], v34, s34, 0
	v_add3_u32 v19, v19, v20, v21
	v_add_u32_e32 v20, 1, v34
	v_ashrrev_i32_e32 v21, 31, v20
	s_waitcnt lgkmcnt(0)
	v_mfma_f32_16x16x16_bf16 a[4:7], v[28:29], v[22:23], a[4:7]
	v_mul_lo_u32 v22, v21, s34
	v_mul_lo_u32 v23, v20, s35
	v_mad_u64_u32 v[20:21], s[24:25], v20, s34, 0
	v_add3_u32 v21, v21, v23, v22
	v_add_u32_e32 v22, 2, v34
	v_ashrrev_i32_e32 v23, 31, v22
	v_mul_lo_u32 v26, v23, s34
	v_mul_lo_u32 v27, v22, s35
	v_mad_u64_u32 v[22:23], s[24:25], v22, s34, 0
	v_add3_u32 v23, v23, v27, v26
	v_add_u32_e32 v26, 3, v34
	v_ashrrev_i32_e32 v27, 31, v26
	v_mul_lo_u32 v34, v27, s34
	v_mul_lo_u32 v35, v26, s35
	v_mad_u64_u32 v[26:27], s[24:25], v26, s34, 0
	s_add_u32 s24, s40, s60
	s_addc_u32 s25, s41, 0
	s_lshl_b64 s[24:25], s[24:25], 8
	v_lshl_add_u64 v[18:19], v[18:19], 2, s[44:45]
	v_add3_u32 v27, v27, v35, v34
	v_lshl_add_u64 v[34:35], v[56:57], 0, s[24:25]
	v_lshl_add_u64 v[20:21], v[20:21], 2, s[44:45]
	v_lshl_add_u64 v[34:35], v[34:35], 0, v[54:55]
	global_load_dword v36, v[18:19], off
	global_load_ushort v37, v[34:35], off offset:256
	global_load_ushort v38, v[34:35], off
	global_load_ushort v39, v[34:35], off offset:768
	v_lshl_add_u64 v[18:19], v[26:27], 2, s[44:45]
	v_lshl_add_u64 v[22:23], v[22:23], 2, s[44:45]
	global_load_dword v40, v[20:21], off
	global_load_dword v41, v[22:23], off
	;; [unrolled: 1-line block ×3, first 2 shown]
	ds_read2st64_b64 v[18:21], v96 offset0:2 offset1:4
	s_waitcnt lgkmcnt(0)
	v_mfma_f32_16x16x16_bf16 a[0:3], v[28:29], v[18:19], a[0:3]
	global_load_ushort v28, v[34:35], off offset:512
	global_load_ushort v43, v[34:35], off offset:800
	;; [unrolled: 1-line block ×4, first 2 shown]
	s_nop 0
	global_load_ushort v34, v[34:35], off offset:32
	s_and_b64 vcc, exec, s[0:1]
	v_mfma_f32_16x16x16_bf16 a[4:7], v[30:31], v[24:25], a[4:7]
	s_waitcnt vmcnt(10)
	v_lshlrev_b32_e32 v27, 16, v37
	v_mfma_f32_16x16x16_bf16 a[0:3], v[30:31], v[20:21], a[0:3]
	ds_read_b64 v[18:19], v95 offset:3072
	ds_read_b64 v[20:21], v96 offset:3072
	s_load_dword s2, s[2:3], 0x0
	s_waitcnt vmcnt(9)
	v_lshlrev_b32_e32 v26, 16, v38
	s_waitcnt lgkmcnt(0)
	v_mfma_f32_16x16x16_bf16 a[4:7], v[32:33], v[18:19], a[4:7]
	v_lshl_add_u64 v[18:19], v[58:59], 0, s[24:25]
	v_sub_f32_e32 v30, s2, v36
	s_waitcnt vmcnt(7)
	v_sub_f32_e32 v31, s2, v40
	v_mfma_f32_16x16x16_bf16 a[0:3], v[32:33], v[20:21], a[0:3]
	s_waitcnt vmcnt(6)
	v_sub_f32_e32 v32, s2, v41
	s_waitcnt vmcnt(5)
	v_sub_f32_e32 v33, s2, v42
	v_accvgpr_read_b32 v25, a5
	v_accvgpr_read_b32 v24, a4
	v_exp_f32_e32 v30, v30
	v_pk_add_f32 v[24:25], v[26:27], v[24:25] neg_lo:[0,1] neg_hi:[0,1]
	v_exp_f32_e32 v31, v31
	v_exp_f32_e32 v26, v32
	;; [unrolled: 1-line block ×3, first 2 shown]
	v_accvgpr_read_b32 v21, a7
	v_accvgpr_read_b32 v20, a6
	v_lshlrev_b32_e32 v29, 16, v39
	s_waitcnt vmcnt(4)
	v_lshlrev_b32_e32 v28, 16, v28
	v_lshl_add_u64 v[18:19], v[18:19], 0, v[54:55]
	v_pk_add_f32 v[20:21], v[28:29], v[20:21] neg_lo:[0,1] neg_hi:[0,1]
	global_store_short_d16_hi v[18:19], v24, off
	global_store_short_d16_hi v[18:19], v25, off offset:256
	global_store_short_d16_hi v[18:19], v20, off offset:512
	;; [unrolled: 1-line block ×3, first 2 shown]
	v_pk_mul_f32 v[24:25], v[30:31], v[24:25]
	v_pk_mul_f32 v[20:21], v[26:27], v[20:21]
	v_accvgpr_read_b32 v29, a1
	v_perm_b32 v24, v25, v24, s64
	v_perm_b32 v25, v21, v20, s64
	s_waitcnt vmcnt(5)
	v_lshlrev_b32_e32 v21, 16, v118
	s_waitcnt vmcnt(4)
	v_lshlrev_b32_e32 v20, 16, v34
	v_accvgpr_read_b32 v28, a0
	v_accvgpr_read_b32 v23, a3
	;; [unrolled: 1-line block ×3, first 2 shown]
	v_pk_add_f32 v[20:21], v[20:21], v[28:29] neg_lo:[0,1] neg_hi:[0,1]
	v_lshlrev_b32_e32 v29, 16, v43
	v_lshlrev_b32_e32 v28, 16, v44
	v_pk_add_f32 v[22:23], v[28:29], v[22:23] neg_lo:[0,1] neg_hi:[0,1]
	global_store_short_d16_hi v[18:19], v20, off offset:32
	global_store_short_d16_hi v[18:19], v21, off offset:288
	;; [unrolled: 1-line block ×4, first 2 shown]
	v_pk_mul_f32 v[18:19], v[30:31], v[20:21]
	v_pk_mul_f32 v[20:21], v[26:27], v[22:23]
	v_mov_b32_e32 v118, 0
	v_perm_b32 v21, v21, v20, s64
	v_perm_b32 v20, v19, v18, s64
	ds_write2_b64 v76, v[24:25], v[20:21] offset1:16
	v_mov_b32_e32 v18, 0
	v_mov_b32_e32 v19, 0
	;; [unrolled: 1-line block ×16, first 2 shown]
	s_cbranch_vccnz .LBB415_14
; %bb.13:                               ;   in Loop: Header=BB415_6 Depth=1
	s_and_b32 s29, s29, 0xffff
	s_mov_b32 s31, s27
	buffer_load_dwordx4 v[30:33], v100, s[28:31], 0 offen
	buffer_load_dwordx4 v[22:25], v100, s[28:31], s58 offen
	;; [unrolled: 1-line block ×4, first 2 shown]
	v_mov_b32_e32 v117, v70
	v_mov_b32_e32 v118, v69
.LBB415_14:                             ;   in Loop: Header=BB415_6 Depth=1
	s_waitcnt lgkmcnt(0)
	s_barrier
	ds_read_b64 v[38:39], v104
	ds_read_b64 v[124:125], v99
	ds_read_b64 v[126:127], v105
	ds_read_b64 v[128:129], v106
	ds_read_b64 v[136:137], v107
	ds_read_b64 v[138:139], v96 offset:3072
	ds_read2_b64 v[34:37], v95 offset0:16 offset1:128
	s_waitcnt lgkmcnt(5)
	v_mfma_f32_16x16x16_bf16 a[0:3], v[38:39], v[124:125], 0
	s_add_i32 s3, s52, s66
	s_mul_hi_i32 s25, s3, s17
	s_mul_i32 s3, s3, s17
	s_waitcnt lgkmcnt(0)
	v_mfma_f32_16x16x16_bf16 a[4:7], v[38:39], v[34:35], 0
	ds_read_b64 v[38:39], v109
	ds_read2st64_b64 v[40:43], v96 offset0:2 offset1:4
	s_add_u32 s24, s3, s33
	s_addc_u32 s25, s25, s56
	s_add_i32 s3, s37, s60
	s_lshl_b64 s[24:25], s[24:25], 15
	s_mul_hi_i32 s29, s3, s17
	s_mul_i32 s3, s3, s17
	s_add_u32 s28, s3, s33
	s_waitcnt lgkmcnt(1)
	v_mfma_f32_16x16x16_bf16 a[8:11], v[38:39], v[124:125], 0
	s_addc_u32 s29, s29, s56
	ds_read2st64_b64 v[120:123], v95 offset0:4 offset1:6
	s_lshl_b64 s[28:29], s[28:29], 9
	v_mfma_f32_16x16x16_bf16 a[0:3], v[126:127], v[36:37], a[0:3]
	s_add_u32 s28, s42, s28
	s_addc_u32 s29, s43, s29
	s_waitcnt lgkmcnt(1)
	v_mfma_f32_16x16x16_bf16 a[4:7], v[126:127], v[40:41], a[4:7]
	ds_read_b64 v[126:127], v110
	ds_read_b64 v[134:135], v111
	;; [unrolled: 1-line block ×3, first 2 shown]
	v_mfma_f32_16x16x16_bf16 a[12:15], v[38:39], v[34:35], 0
	s_waitcnt lgkmcnt(2)
	v_mfma_f32_16x16x16_bf16 a[8:11], v[126:127], v[36:37], a[8:11]
	global_load_dwordx4 v[34:37], v108, s[28:29]
	v_mfma_f32_16x16x16_bf16 a[12:15], v[126:127], v[40:41], a[12:15]
	global_load_dwordx4 v[38:41], v103, s[28:29]
	ds_read2st64_b64 v[124:127], v97 offset1:8
	s_waitcnt lgkmcnt(0)
	v_mov_b32_e32 v132, v124
	v_mfma_f32_16x16x16_bf16 a[0:3], v[128:129], v[120:121], a[0:3]
	v_mov_b32_e32 v133, v125
	v_mfma_f32_16x16x16_bf16 a[4:7], v[128:129], v[42:43], a[4:7]
	ds_read2st64_b64 v[128:131], v98 offset1:8
	v_mfma_f32_16x16x16_bf16 a[8:11], v[134:135], v[120:121], a[8:11]
	v_lshl_add_u64 v[120:121], v[60:61], 0, s[24:25]
	v_mfma_f32_16x16x16_bf16 a[16:19], v[134:135], v[42:43], a[12:15]
	v_add_co_u32_e32 v42, vcc, s39, v120
	s_waitcnt lgkmcnt(0)
	v_mov_b32_e32 v134, v128
	v_mfma_f32_16x16x16_bf16 a[0:3], v[136:137], v[122:123], a[0:3]
	v_mov_b32_e32 v135, v129
	v_mov_b32_e32 v128, v126
	;; [unrolled: 1-line block ×3, first 2 shown]
	v_mfma_f32_16x16x16_bf16 a[4:7], v[136:137], v[138:139], a[4:7]
	v_addc_co_u32_e32 v43, vcc, 0, v121, vcc
	global_store_dwordx4 v[42:43], v[128:131], off
	v_mfma_f32_16x16x16_bf16 a[12:15], v[140:141], v[122:123], a[8:11]
	s_and_b64 vcc, exec, s[0:1]
	global_store_dwordx4 v[120:121], v[132:135], off
	s_waitcnt vmcnt(3)
	v_mov_b32_e32 v44, v37
	v_mfma_f32_16x16x16_bf16 a[8:11], v[140:141], v[138:139], a[16:19]
	v_mov_b32_e32 v43, v36
	v_mov_b32_e32 v42, v35
	s_cbranch_vccnz .LBB415_16
; %bb.15:                               ;   in Loop: Header=BB415_6 Depth=1
	v_lshrrev_b32_e32 v35, 3, v117
	v_and_b32_e32 v35, 6, v35
	v_xor_b32_e32 v36, v35, v118
	v_lshlrev_b32_e32 v36, 2, v36
	v_and_b32_e32 v37, 8, v117
	v_xor_b32_e32 v117, 0x440, v36
	v_cmp_eq_u32_e32 vcc, 0, v37
	v_perm_b32 v37, v22, v18, s61
	s_nop 0
	v_cndmask_b32_e32 v36, v117, v36, vcc
	v_lshl_or_b32 v35, v35, 10, v36
	v_perm_b32 v36, v30, v26, s61
	s_barrier
	ds_write2st64_b32 v35, v36, v37 offset0:32 offset1:64
	v_xor_b32_e32 v36, 8, v35
	v_perm_b32 v26, v30, v26, s62
	v_perm_b32 v18, v22, v18, s62
	v_add_u32_e32 v22, 0x80, v36
	ds_write2st64_b32 v22, v26, v18 offset0:32 offset1:64
	v_xor_b32_e32 v18, 16, v35
	v_perm_b32 v22, v31, v27, s61
	v_perm_b32 v26, v23, v19, s61
	ds_write2st64_b32 v18, v22, v26 offset0:33 offset1:65
	v_xor_b32_e32 v18, 24, v35
	v_perm_b32 v22, v31, v27, s62
	v_perm_b32 v19, v23, v19, s62
	v_add_u32_e32 v18, 0x80, v18
	ds_write2st64_b32 v18, v22, v19 offset0:33 offset1:65
	v_xor_b32_e32 v18, 32, v35
	v_perm_b32 v19, v32, v28, s61
	v_perm_b32 v22, v24, v20, s61
	;; [unrolled: 9-line block ×3, first 2 shown]
	ds_write2st64_b32 v18, v19, v20 offset0:35 offset1:67
	v_xor_b32_e32 v18, 56, v35
	v_perm_b32 v19, v33, v29, s62
	v_perm_b32 v20, v25, v21, s62
	v_add_u32_e32 v18, 0x80, v18
	ds_write2st64_b32 v18, v19, v20 offset0:35 offset1:67
	ds_write_b64 v116, v[14:15] offset:24576
	v_xor_b32_e32 v14, 8, v116
	ds_write_b64 v14, v[16:17] offset:24576
	ds_write_b64 v116, v[10:11] offset:32768
	;; [unrolled: 1-line block ×4, first 2 shown]
	v_xor_b32_e32 v6, 8, v115
	ds_write_b64 v6, v[8:9] offset:24576
	ds_write_b64 v115, v[2:3] offset:32768
	;; [unrolled: 1-line block ×3, first 2 shown]
.LBB415_16:                             ;   in Loop: Header=BB415_6 Depth=1
	v_exp_f32_e32 v18, s2
	s_waitcnt vmcnt(2)
	v_exp_f32_e32 v20, v38
	v_exp_f32_e32 v21, v39
	;; [unrolled: 1-line block ×4, first 2 shown]
	v_accvgpr_read_b32 v13, a3
	v_accvgpr_read_b32 v11, a1
	;; [unrolled: 1-line block ×4, first 2 shown]
	v_pk_mul_f32 v[20:21], v[18:19], v[20:21] op_sel_hi:[0,1]
	v_accvgpr_read_b32 v12, a2
	v_accvgpr_read_b32 v7, a5
	;; [unrolled: 1-line block ×3, first 2 shown]
	v_pk_fma_f32 v[50:51], v[50:51], v[20:21], v[10:11]
	v_pk_mul_f32 v[10:11], v[18:19], v[22:23] op_sel_hi:[0,1]
	v_pk_fma_f32 v[52:53], v[52:53], v[10:11], v[12:13]
	v_fma_f32 v87, v87, v20, v6
	v_fma_f32 v86, v86, v21, v7
	v_exp_f32_e32 v6, v34
	v_exp_f32_e32 v7, v42
	;; [unrolled: 1-line block ×4, first 2 shown]
	v_accvgpr_read_b32 v8, a6
	v_accvgpr_read_b32 v17, a15
	;; [unrolled: 1-line block ×9, first 2 shown]
	v_fma_f32 v88, v88, v10, v8
	v_fmac_f32_e32 v9, v114, v11
	v_pk_mul_f32 v[6:7], v[18:19], v[6:7] op_sel_hi:[0,1]
	v_pk_mul_f32 v[10:11], v[18:19], v[12:13] op_sel_hi:[0,1]
	s_add_i32 s60, s60, 64
	v_pk_fma_f32 v[46:47], v[46:47], v[6:7], v[14:15]
	v_pk_fma_f32 v[48:49], v[48:49], v[10:11], v[16:17]
	v_fma_f32 v84, v84, v6, v2
	v_fma_f32 v83, v83, v7, v3
	;; [unrolled: 1-line block ×3, first 2 shown]
	s_cmp_eq_u32 s49, s65
	v_fmac_f32_e32 v5, v113, v11
	s_cbranch_scc1 .LBB415_18
; %bb.17:                               ;   in Loop: Header=BB415_6 Depth=1
	s_mov_b32 s66, s65
	v_mov_b32_e32 v114, v9
	v_mov_b32_e32 v113, v5
	s_branch .LBB415_6
.LBB415_18:
	s_lshl_b32 s42, s49, 6
	s_sub_i32 s43, s16, s42
	s_cmp_gt_i32 s43, 0
	s_cbranch_scc0 .LBB415_83
; %bb.19:
	s_ashr_i32 s39, s50, 31
	s_ashr_i32 s2, s42, 31
	s_cmpk_lg_i32 s19, 0x80
	s_cselect_b64 s[30:31], -1, 0
	s_and_b64 vcc, exec, s[30:31]
	s_cbranch_vccz .LBB415_21
; %bb.20:
	s_mul_i32 s1, s50, s16
	s_mul_hi_i32 s0, s50, s16
	s_add_u32 s1, s1, s42
	s_addc_u32 s0, s0, s2
	s_mul_i32 s3, s1, s51
	s_mul_hi_u32 s24, s1, s18
	s_add_i32 s3, s24, s3
	s_mul_i32 s0, s0, s18
	s_add_i32 s3, s3, s0
	s_mul_i32 s1, s1, s18
	s_ashr_i32 s0, s54, 31
	s_add_u32 s40, s1, s54
	s_addc_u32 s41, s3, s0
	s_cbranch_execz .LBB415_22
	s_branch .LBB415_23
.LBB415_21:
                                        ; implicit-def: $sgpr40_sgpr41
.LBB415_22:
	s_mul_hi_i32 s0, s50, s18
	s_mul_i32 s50, s50, s18
	s_ashr_i32 s1, s54, 31
	s_add_u32 s3, s50, s54
	s_addc_u32 s0, s0, s1
	s_mul_i32 s1, s3, s48
	s_mul_hi_u32 s18, s3, s16
	s_add_i32 s1, s18, s1
	s_mul_i32 s0, s0, s16
	s_add_i32 s1, s1, s0
	s_mul_i32 s3, s3, s16
	s_add_u32 s40, s3, s42
	s_addc_u32 s41, s1, s2
.LBB415_23:
	s_add_i32 s3, s52, s49
	s_ashr_i32 s18, s33, 31
	s_add_u32 s0, s47, s33
	s_addc_u32 s1, s53, s18
	s_mul_i32 s24, s0, s48
	s_mul_hi_u32 s25, s0, s16
	s_add_i32 s24, s25, s24
	s_mul_i32 s1, s1, s16
	s_add_i32 s24, s24, s1
	s_mul_i32 s0, s0, s16
	s_add_u32 s0, s0, s42
	v_lshlrev_b32_e32 v8, 5, v67
	v_lshlrev_b32_e32 v22, 2, v45
	s_addc_u32 s1, s24, s2
	s_mov_b32 s2, 0x7060302
	v_or_b32_e32 v11, v8, v22
	v_xor_b32_e32 v4, v67, v22
	v_perm_b32 v3, v53, v52, s2
	v_perm_b32 v2, v51, v50, s2
	v_perm_b32 v7, v49, v48, s2
	v_perm_b32 v6, v47, v46, s2
	v_lshlrev_b32_e32 v11, 1, v11
	s_lshl_b64 s[28:29], s[0:1], 8
	v_xor_b32_e32 v10, v68, v22
	ds_write2st64_b64 v11, v[2:3], v[6:7] offset0:80 offset1:88
	v_lshlrev_b32_e32 v11, 1, v4
	v_lshlrev_b32_e32 v4, 8, v45
	s_add_u32 s0, s6, s28
	v_or_b32_e32 v12, v11, v4
	v_lshlrev_b32_e32 v10, 1, v10
	s_addc_u32 s1, s7, s29
	ds_write_b64 v12, v[2:3]
	v_or_b32_e32 v2, v10, v4
	s_mul_hi_i32 s6, s3, s17
	s_mul_i32 s3, s3, s17
	ds_write_b64 v2, v[6:7]
	v_perm_b32 v3, v9, v88, s2
	v_perm_b32 v2, v86, v87, s2
	;; [unrolled: 1-line block ×4, first 2 shown]
	v_or_b32_e32 v6, 16, v45
	s_add_u32 s2, s3, s33
	v_lshlrev_b32_e32 v19, 2, v6
	s_addc_u32 s3, s6, s18
	v_or_b32_e32 v7, v8, v19
	s_ashr_i32 s37, s36, 31
	s_lshl_b64 s[2:3], s[2:3], 15
	v_lshlrev_b32_e32 v7, 1, v7
	v_lshlrev_b32_e32 v6, 8, v6
	s_add_u32 s6, s12, s2
	ds_write2st64_b64 v7, v[2:3], v[4:5] offset0:80 offset1:88
	v_or_b32_e32 v7, v11, v6
	s_addc_u32 s7, s13, s3
	s_lshl_b64 s[2:3], s[36:37], 8
	ds_write_b64 v7, v[2:3]
	v_or_b32_e32 v2, v10, v6
	s_add_u32 s2, s6, s2
	ds_write_b64 v2, v[4:5]
	v_lshrrev_b32_e32 v2, 4, v0
	s_addc_u32 s3, s7, s3
	v_lshlrev_b32_e32 v3, 1, v45
	v_lshlrev_b32_e32 v10, 4, v45
	v_mov_b32_e32 v11, 0
	v_or_b32_e32 v4, 1, v3
	v_xor_b32_e32 v3, v2, v3
	v_lshl_add_u64 v[12:13], s[2:3], 0, v[10:11]
	v_lshlrev_b32_e32 v10, 8, v2
	v_xor_b32_e32 v6, v4, v2
	v_lshl_or_b32 v2, v3, 3, v10
	s_waitcnt lgkmcnt(0)
	s_barrier
	ds_read2st64_b64 v[2:5], v2 offset1:8
	v_lshl_or_b32 v6, v6, 3, v10
	ds_read2st64_b64 v[6:9], v6 offset1:8
	v_lshl_add_u64 v[14:15], v[12:13], 0, v[10:11]
	s_movk_i32 s2, 0x1000
	s_waitcnt lgkmcnt(1)
	v_mov_b32_e32 v10, v2
	v_add_co_u32_e32 v2, vcc, s2, v14
	s_cmp_lg_u32 s43, 64
	v_mov_b32_e32 v11, v3
	v_addc_co_u32_e32 v3, vcc, 0, v15, vcc
	s_cselect_b64 s[6:7], -1, 0
	v_lshl_or_b32 v23, v63, 3, v66
	s_waitcnt lgkmcnt(0)
	v_mov_b32_e32 v12, v6
	v_mov_b32_e32 v13, v7
	v_mov_b32_e32 v6, v4
	v_mov_b32_e32 v7, v5
	s_mov_b32 s24, 0
	v_or_b32_e32 v20, 32, v23
	v_and_b32_e32 v18, 56, v65
	s_and_b64 vcc, exec, s[6:7]
	global_store_dwordx4 v[14:15], v[10:13], off
	global_store_dwordx4 v[2:3], v[6:9], off
	s_cbranch_vccz .LBB415_29
; %bb.24:
	s_mov_b32 s25, s24
	s_mov_b32 s26, s24
	;; [unrolled: 1-line block ×3, first 2 shown]
	v_mov_b64_e32 v[6:7], s[24:25]
	v_mov_b64_e32 v[8:9], s[26:27]
	;; [unrolled: 1-line block ×3, first 2 shown]
	v_cmp_gt_i32_e32 vcc, s43, v23
	v_mov_b64_e32 v[4:5], v[8:9]
	s_and_saveexec_b64 s[2:3], vcc
	s_cbranch_execz .LBB415_26
; %bb.25:
	v_lshlrev_b32_e32 v2, 8, v23
	v_mov_b32_e32 v3, 0
	v_lshl_add_u64 v[4:5], s[0:1], 0, v[2:3]
	v_lshlrev_b32_e32 v2, 1, v18
	v_lshl_add_u64 v[10:11], v[4:5], 0, v[2:3]
	global_load_dwordx4 v[6:9], v[10:11], off
	global_load_dwordx4 v[2:5], v[10:11], off offset:128
.LBB415_26:
	s_or_b64 exec, exec, s[2:3]
	s_mov_b32 s25, s24
	s_mov_b32 s26, s24
	;; [unrolled: 1-line block ×3, first 2 shown]
	v_mov_b64_e32 v[14:15], s[24:25]
	v_mov_b64_e32 v[16:17], s[26:27]
	;; [unrolled: 1-line block ×3, first 2 shown]
	v_cmp_gt_i32_e32 vcc, s43, v20
	v_lshlrev_b32_e32 v21, 7, v20
	v_mov_b64_e32 v[12:13], v[16:17]
	s_and_saveexec_b64 s[2:3], vcc
	s_cbranch_execz .LBB415_28
; %bb.27:
	v_lshlrev_b32_e32 v10, 1, v21
	v_mov_b32_e32 v11, 0
	v_lshl_add_u64 v[12:13], s[0:1], 0, v[10:11]
	v_lshlrev_b32_e32 v10, 1, v18
	v_lshl_add_u64 v[24:25], v[12:13], 0, v[10:11]
	global_load_dwordx4 v[14:17], v[24:25], off
	global_load_dwordx4 v[10:13], v[24:25], off offset:128
.LBB415_28:
	s_or_b64 exec, exec, s[2:3]
	v_lshrrev_b32_e32 v24, 3, v18
	v_lshlrev_b32_e32 v25, 3, v23
	v_or_b32_e32 v24, v25, v24
	v_lshlrev_b32_e32 v24, 4, v24
	v_and_b32_e32 v25, 0x78, v25
	v_xor_b32_e32 v24, v24, v25
	s_branch .LBB415_31
.LBB415_29:
                                        ; implicit-def: $vgpr24
                                        ; implicit-def: $vgpr21
                                        ; implicit-def: $vgpr6_vgpr7_vgpr8_vgpr9
                                        ; implicit-def: $vgpr2_vgpr3_vgpr4_vgpr5
                                        ; implicit-def: $vgpr14_vgpr15_vgpr16_vgpr17
                                        ; implicit-def: $vgpr10_vgpr11_vgpr12_vgpr13
	s_cbranch_execz .LBB415_31
; %bb.30:
	s_waitcnt vmcnt(0)
	v_lshlrev_b32_e32 v2, 1, v18
	v_lshl_or_b32 v21, v23, 8, v2
	s_and_b32 s1, s1, 0xffff
	s_mov_b32 s3, 0x20000
	s_movk_i32 s2, 0x4000
	v_lshl_or_b32 v24, v20, 8, v2
	s_movk_i32 s12, 0x80
	buffer_load_dwordx4 v[6:9], v21, s[0:3], 0 offen
	buffer_load_dwordx4 v[2:5], v21, s[0:3], s12 offen
	;; [unrolled: 1-line block ×4, first 2 shown]
	v_lshrrev_b32_e32 v21, 3, v18
	v_lshlrev_b32_e32 v24, 3, v23
	v_or_b32_e32 v21, v24, v21
	v_lshlrev_b32_e32 v21, 4, v21
	v_and_b32_e32 v24, 0x78, v24
	v_xor_b32_e32 v24, v21, v24
	v_lshlrev_b32_e32 v21, 7, v20
.LBB415_31:
	s_lshl_b64 s[0:1], s[40:41], 8
	s_add_u32 s4, s4, s0
	s_movk_i32 s0, 0x1000
	v_and_or_b32 v20, v21, s0, v24
	s_waitcnt vmcnt(1)
	ds_write_b64 v24, v[6:7] offset:24576
	v_xor_b32_e32 v6, 8, v24
	ds_write_b64 v6, v[8:9] offset:24576
	s_waitcnt vmcnt(0)
	ds_write_b64 v24, v[2:3] offset:32768
	ds_write_b64 v6, v[4:5] offset:32768
	;; [unrolled: 1-line block ×3, first 2 shown]
	v_xor_b32_e32 v2, 8, v20
	ds_write_b64 v2, v[16:17] offset:24576
	ds_write_b64 v20, v[10:11] offset:32768
	;; [unrolled: 1-line block ×3, first 2 shown]
	v_or_b32_e32 v2, v1, v45
	v_lshlrev_b32_e32 v3, 11, v63
	v_lshlrev_b32_e32 v2, 3, v2
	v_and_b32_e32 v6, 0x1000, v3
	v_lshrrev_b32_e32 v3, 5, v62
	s_movk_i32 s13, 0xf8
	v_and_or_b32 v3, v2, s13, v3
	v_lshlrev_b32_e32 v7, 4, v3
	v_and_b32_e32 v8, 0x78, v2
	v_or_b32_e32 v10, 32, v7
	v_lshrrev_b32_e32 v3, 1, v62
	v_xor_b32_e32 v10, v10, v8
	v_xor_b32_e32 v2, v7, v8
	v_and_b32_e32 v9, 8, v3
	v_or_b32_e32 v10, v10, v6
	v_or_b32_e32 v2, v2, v6
	v_xor_b32_e32 v26, v10, v9
	v_or_b32_e32 v10, 64, v7
	v_xor_b32_e32 v25, v2, v9
	v_xor_b32_e32 v10, v10, v8
	s_waitcnt lgkmcnt(0)
	s_barrier
	v_or_b32_e32 v12, v10, v6
	ds_read_b64 v[10:11], v25 offset:24576
	v_lshl_or_b32 v20, v64, 7, v22
	v_lshlrev_b32_e32 v24, 1, v20
	v_add_u32_e32 v2, 0xa000, v24
	ds_read2_b64 v[2:5], v2 offset1:16
	v_or_b32_e32 v7, 0x60, v7
	v_xor_b32_e32 v7, v7, v8
	s_waitcnt lgkmcnt(0)
	v_mfma_f32_16x16x16_bf16 a[0:3], v[10:11], v[2:3], 0
	v_or_b32_e32 v2, 64, v20
	v_or_b32_e32 v6, v7, v6
	v_lshlrev_b32_e32 v29, 1, v2
	v_xor_b32_e32 v27, v12, v9
	v_xor_b32_e32 v28, v6, v9
	ds_read_b64 v[12:13], v26 offset:24576
	ds_read_b64 v[14:15], v27 offset:24576
	;; [unrolled: 1-line block ×3, first 2 shown]
	v_mfma_f32_16x16x16_bf16 a[4:7], v[10:11], v[4:5], 0
	ds_read2st64_b64 v[2:5], v29 offset0:82 offset1:84
	ds_read2st64_b64 v[6:9], v24 offset0:82 offset1:84
	s_addc_u32 s5, s5, s1
	s_add_i32 s2, s16, -1
	s_add_i32 s0, s46, s21
	s_mul_i32 s39, s39, s20
	s_add_i32 s39, s0, s39
	s_mul_i32 s0, s33, s23
	s_mul_hi_u32 s1, s33, s22
	s_ashr_i32 s3, s2, 31
	s_mul_i32 s12, s2, s35
	s_mul_hi_u32 s13, s2, s34
	s_add_i32 s0, s1, s0
	s_mul_i32 s1, s18, s22
	s_add_i32 s12, s13, s12
	s_mul_i32 s3, s3, s34
	s_waitcnt lgkmcnt(1)
	v_mfma_f32_16x16x16_bf16 a[4:7], v[12:13], v[2:3], a[4:7]
	s_add_i32 s1, s0, s1
	s_add_i32 s3, s12, s3
	s_lshl_b64 s[12:13], s[38:39], 2
	s_waitcnt lgkmcnt(0)
	v_mfma_f32_16x16x16_bf16 a[0:3], v[12:13], v[6:7], a[0:3]
	s_mul_i32 s0, s33, s22
	s_add_u32 s10, s10, s12
	s_addc_u32 s11, s11, s13
	s_lshl_b64 s[0:1], s[0:1], 2
	s_mul_i32 s2, s2, s34
	s_add_u32 s10, s10, s0
	ds_read_b64 v[2:3], v24 offset:44032
	v_mfma_f32_16x16x16_bf16 a[4:7], v[14:15], v[4:5], a[4:7]
	ds_read_b64 v[4:5], v29 offset:44032
	s_addc_u32 s11, s11, s1
	s_lshl_b64 s[0:1], s[2:3], 2
	v_mfma_f32_16x16x16_bf16 a[0:3], v[14:15], v[8:9], a[0:3]
	s_add_u32 s0, s10, s0
	s_addc_u32 s1, s11, s1
	s_load_dword s12, s[0:1], 0x0
	s_waitcnt lgkmcnt(0)
	v_mfma_f32_16x16x16_bf16 a[0:3], v[16:17], v[2:3], a[0:3]
	s_and_b64 vcc, exec, s[30:31]
	v_mfma_f32_16x16x16_bf16 a[4:7], v[16:17], v[4:5], a[4:7]
	s_cbranch_vccz .LBB415_42
; %bb.32:
	v_lshlrev_b32_e32 v20, 1, v23
	s_and_b64 vcc, exec, s[6:7]
	s_cbranch_vccz .LBB415_43
; %bb.33:
	v_cmp_gt_i32_e32 vcc, s43, v20
	v_mov_b32_e32 v6, 0
	v_mov_b32_e32 v2, 0
	;; [unrolled: 1-line block ×5, first 2 shown]
	s_and_saveexec_b64 s[0:1], vcc
	s_cbranch_execz .LBB415_35
; %bb.34:
	v_mad_i64_i32 v[2:3], s[2:3], s19, v20, 0
	v_lshl_add_u64 v[2:3], v[2:3], 1, s[4:5]
	v_lshlrev_b32_e32 v4, 1, v18
	v_mov_b32_e32 v5, 0
	v_lshl_add_u64 v[2:3], v[2:3], 0, v[4:5]
	global_load_dwordx4 v[2:5], v[2:3], off
.LBB415_35:
	s_or_b64 exec, exec, s[0:1]
	v_or_b32_e32 v21, 1, v20
	v_cmp_gt_i32_e64 s[0:1], s43, v21
	v_mov_b32_e32 v7, 0
	v_mov_b32_e32 v8, 0
	;; [unrolled: 1-line block ×3, first 2 shown]
	s_and_saveexec_b64 s[2:3], s[0:1]
	s_cbranch_execz .LBB415_37
; %bb.36:
	v_mad_i64_i32 v[6:7], s[16:17], s19, v21, 0
	v_lshl_add_u64 v[6:7], v[6:7], 1, s[4:5]
	v_lshlrev_b32_e32 v8, 1, v18
	v_mov_b32_e32 v9, 0
	v_lshl_add_u64 v[6:7], v[6:7], 0, v[8:9]
	global_load_dwordx4 v[6:9], v[6:7], off
.LBB415_37:
	s_or_b64 exec, exec, s[2:3]
	v_mov_b32_e32 v17, 0
	v_mov_b32_e32 v10, 0
	;; [unrolled: 1-line block ×5, first 2 shown]
	s_and_saveexec_b64 s[2:3], vcc
	s_cbranch_execz .LBB415_39
; %bb.38:
	v_mad_i64_i32 v[10:11], s[16:17], s19, v20, 0
	v_lshl_add_u64 v[10:11], v[10:11], 1, s[4:5]
	v_lshlrev_b32_e32 v12, 1, v18
	v_mov_b32_e32 v13, 0
	v_lshl_add_u64 v[10:11], v[10:11], 0, v[12:13]
	global_load_dwordx4 v[10:13], v[10:11], off offset:128
.LBB415_39:
	s_or_b64 exec, exec, s[2:3]
	v_mov_b32_e32 v16, 0
	v_mov_b32_e32 v15, 0
	;; [unrolled: 1-line block ×3, first 2 shown]
	s_and_saveexec_b64 s[2:3], s[0:1]
	s_cbranch_execz .LBB415_41
; %bb.40:
	v_mad_i64_i32 v[14:15], s[0:1], s19, v21, 0
	v_lshl_add_u64 v[14:15], v[14:15], 1, s[4:5]
	v_lshlrev_b32_e32 v16, 1, v18
	v_mov_b32_e32 v17, 0
	v_lshl_add_u64 v[14:15], v[14:15], 0, v[16:17]
	global_load_dwordx4 v[14:17], v[14:15], off offset:128
.LBB415_41:
	s_or_b64 exec, exec, s[2:3]
	s_branch .LBB415_45
.LBB415_42:
                                        ; implicit-def: $vgpr5
                                        ; implicit-def: $vgpr9
                                        ; implicit-def: $vgpr13
                                        ; implicit-def: $vgpr17
	v_lshrrev_b32_e32 v30, 2, v62
	s_branch .LBB415_46
.LBB415_43:
                                        ; implicit-def: $vgpr5
                                        ; implicit-def: $vgpr9
                                        ; implicit-def: $vgpr13
                                        ; implicit-def: $vgpr17
	s_cbranch_execz .LBB415_45
; %bb.44:
	s_waitcnt vmcnt(0)
	v_mad_u64_u32 v[2:3], s[0:1], v20, s19, v[18:19]
	v_lshlrev_b32_e32 v20, 1, v2
	s_lshl_b32 s2, s19, 7
	s_and_b32 s1, s5, 0xffff
	s_mov_b32 s3, 0x20000
	s_mov_b32 s0, s4
	v_add_lshl_u32 v21, v2, s19, 1
	s_movk_i32 s13, 0x80
	buffer_load_dwordx4 v[2:5], v20, s[0:3], 0 offen
	buffer_load_dwordx4 v[10:13], v20, s[0:3], s13 offen
	;; [unrolled: 1-line block ×4, first 2 shown]
.LBB415_45:
	v_lshrrev_b32_e32 v30, 2, v62
	s_cbranch_execnz .LBB415_58
.LBB415_46:
	s_and_b64 vcc, exec, s[6:7]
	s_cbranch_vccz .LBB415_56
; %bb.47:
	s_waitcnt vmcnt(0)
	v_lshlrev_b32_e32 v7, 1, v23
	v_cmp_gt_i32_e32 vcc, s43, v7
	v_mov_b32_e32 v6, 0
	v_lshlrev_b32_e32 v14, 9, v23
	v_mov_b32_e32 v2, 0
	v_mov_b32_e32 v3, 0
	;; [unrolled: 1-line block ×4, first 2 shown]
	s_and_saveexec_b64 s[0:1], vcc
	s_cbranch_execz .LBB415_49
; %bb.48:
	v_mov_b32_e32 v15, 0
	v_lshl_add_u64 v[2:3], s[4:5], 0, v[14:15]
	v_lshlrev_b32_e32 v4, 1, v18
	v_mov_b32_e32 v5, v15
	v_lshl_add_u64 v[2:3], v[2:3], 0, v[4:5]
	global_load_dwordx4 v[2:5], v[2:3], off
.LBB415_49:
	s_or_b64 exec, exec, s[0:1]
	v_or_b32_e32 v7, 1, v7
	v_cmp_gt_i32_e64 s[0:1], s43, v7
	v_lshlrev_b32_e32 v20, 8, v7
	v_mov_b32_e32 v7, 0
	v_mov_b32_e32 v8, 0
	;; [unrolled: 1-line block ×3, first 2 shown]
	s_and_saveexec_b64 s[2:3], s[0:1]
	s_cbranch_execz .LBB415_51
; %bb.50:
	v_mov_b32_e32 v21, 0
	v_lshl_add_u64 v[6:7], s[4:5], 0, v[20:21]
	v_lshlrev_b32_e32 v8, 1, v18
	v_mov_b32_e32 v9, v21
	v_lshl_add_u64 v[6:7], v[6:7], 0, v[8:9]
	global_load_dwordx4 v[6:9], v[6:7], off
.LBB415_51:
	s_or_b64 exec, exec, s[2:3]
	v_mov_b32_e32 v17, 0
	v_mov_b32_e32 v10, 0
	;; [unrolled: 1-line block ×5, first 2 shown]
	s_and_saveexec_b64 s[2:3], vcc
	s_cbranch_execz .LBB415_53
; %bb.52:
	v_mov_b32_e32 v15, 0
	v_lshl_add_u64 v[10:11], s[4:5], 0, v[14:15]
	v_lshlrev_b32_e32 v14, 1, v18
	v_lshl_add_u64 v[10:11], v[10:11], 0, v[14:15]
	global_load_dwordx4 v[10:13], v[10:11], off offset:128
.LBB415_53:
	s_or_b64 exec, exec, s[2:3]
	v_mov_b32_e32 v16, 0
	v_mov_b32_e32 v15, 0
	;; [unrolled: 1-line block ×3, first 2 shown]
	s_and_saveexec_b64 s[2:3], s[0:1]
	s_cbranch_execz .LBB415_55
; %bb.54:
	v_mov_b32_e32 v21, 0
	v_lshl_add_u64 v[14:15], s[4:5], 0, v[20:21]
	v_lshlrev_b32_e32 v20, 1, v18
	v_lshl_add_u64 v[14:15], v[14:15], 0, v[20:21]
	global_load_dwordx4 v[14:17], v[14:15], off offset:128
.LBB415_55:
	s_or_b64 exec, exec, s[2:3]
	s_branch .LBB415_58
.LBB415_56:
                                        ; implicit-def: $vgpr5
                                        ; implicit-def: $vgpr9
                                        ; implicit-def: $vgpr13
                                        ; implicit-def: $vgpr17
	s_cbranch_execz .LBB415_58
; %bb.57:
	s_waitcnt vmcnt(0)
	v_lshlrev_b32_e32 v2, 1, v18
	v_lshl_or_b32 v18, v23, 9, v2
	s_and_b32 s5, s5, 0xffff
	s_mov_b32 s7, 0x20000
	s_movk_i32 s6, 0x4000
	s_movk_i32 s0, 0x80
	buffer_load_dwordx4 v[2:5], v18, s[4:7], 0 offen
	buffer_load_dwordx4 v[6:9], v18, s[4:7], 0 offen offset:256
	buffer_load_dwordx4 v[10:13], v18, s[4:7], s0 offen
	buffer_load_dwordx4 v[14:17], v18, s[4:7], s0 offen offset:256
.LBB415_58:
	ds_read_b64 v[20:21], v25 offset:32768
	v_add_u32_e32 v18, 0xb000, v24
	ds_read2_b64 v[32:35], v18 offset1:16
	ds_read_b64 v[40:41], v26 offset:32768
	ds_read_b64 v[26:27], v27 offset:32768
	;; [unrolled: 1-line block ×3, first 2 shown]
	v_and_b32_e32 v18, 6, v0
	v_xor_b32_e32 v23, v23, v18
	v_lshlrev_b32_e32 v23, 2, v23
	v_and_b32_e32 v0, 1, v0
	v_xor_b32_e32 v28, 0x440, v23
	v_cmp_eq_u32_e32 vcc, 0, v0
	s_waitcnt lgkmcnt(3)
	v_mfma_f32_16x16x16_bf16 a[0:3], v[20:21], v[32:33], a[0:3]
	s_mov_b32 s0, 0x1000504
	v_cndmask_b32_e32 v0, v28, v23, vcc
	v_lshl_or_b32 v0, v18, 10, v0
	v_mfma_f32_16x16x16_bf16 a[4:7], v[20:21], v[34:35], a[4:7]
	ds_read2st64_b64 v[32:35], v24 offset0:90 offset1:92
	ds_read2st64_b64 v[36:39], v29 offset0:90 offset1:92
	ds_read_b64 v[20:21], v24 offset:48128
	ds_read_b64 v[24:25], v29 offset:48128
	s_waitcnt vmcnt(0)
	v_perm_b32 v18, v2, v6, s0
	s_waitcnt lgkmcnt(3)
	v_mfma_f32_16x16x16_bf16 a[0:3], v[40:41], v[32:33], a[0:3]
	s_mov_b32 s1, 0x3020706
	v_perm_b32 v2, v2, v6, s1
	v_perm_b32 v6, v10, v14, s1
	s_waitcnt lgkmcnt(2)
	v_mfma_f32_16x16x16_bf16 a[4:7], v[40:41], v[36:37], a[4:7]
	v_mfma_f32_16x16x16_bf16 a[0:3], v[26:27], v[34:35], a[0:3]
	;; [unrolled: 1-line block ×3, first 2 shown]
	s_waitcnt lgkmcnt(1)
	v_mfma_f32_16x16x16_bf16 a[4:7], v[42:43], v[20:21], a[0:3]
	v_perm_b32 v20, v10, v14, s0
	ds_write2st64_b32 v0, v18, v20 offset0:32 offset1:64
	v_xor_b32_e32 v18, 8, v0
	v_add_u32_e32 v10, 0x80, v18
	ds_write2st64_b32 v10, v2, v6 offset0:32 offset1:64
	v_xor_b32_e32 v2, 16, v0
	v_perm_b32 v6, v3, v7, s0
	v_perm_b32 v10, v11, v15, s0
	ds_write2st64_b32 v2, v6, v10 offset0:33 offset1:65
	v_xor_b32_e32 v2, 24, v0
	v_perm_b32 v3, v3, v7, s1
	v_perm_b32 v6, v11, v15, s1
	v_add_u32_e32 v2, 0x80, v2
	ds_write2st64_b32 v2, v3, v6 offset0:33 offset1:65
	v_xor_b32_e32 v2, 32, v0
	v_perm_b32 v3, v4, v8, s0
	v_perm_b32 v6, v12, v16, s0
	s_waitcnt lgkmcnt(4)
	v_mfma_f32_16x16x16_bf16 a[0:3], v[42:43], v[24:25], a[8:11]
	ds_write2st64_b32 v2, v3, v6 offset0:34 offset1:66
	v_xor_b32_e32 v2, 40, v0
	v_perm_b32 v3, v4, v8, s1
	v_perm_b32 v4, v12, v16, s1
	v_add_u32_e32 v2, 0x80, v2
	ds_write2st64_b32 v2, v3, v4 offset0:34 offset1:66
	v_xor_b32_e32 v2, 48, v0
	v_perm_b32 v3, v5, v9, s0
	v_perm_b32 v4, v13, v17, s0
	v_xor_b32_e32 v0, 56, v0
	v_and_or_b32 v21, v30, 12, v1
	ds_write2st64_b32 v2, v3, v4 offset0:35 offset1:67
	v_perm_b32 v2, v5, v9, s1
	v_perm_b32 v3, v13, v17, s1
	v_add_u32_e32 v0, 0x80, v0
	v_cmp_gt_i32_e32 vcc, s43, v21
	v_mov_b32_e32 v16, 0
	v_mov_b32_e32 v18, 0
	ds_write2st64_b32 v0, v2, v3 offset0:35 offset1:67
	s_and_saveexec_b64 s[0:1], vcc
	s_cbranch_execz .LBB415_60
; %bb.59:
	v_add_u32_e32 v0, s42, v21
	v_ashrrev_i32_e32 v1, 31, v0
	v_mul_lo_u32 v2, v1, s34
	v_mul_lo_u32 v3, v0, s35
	v_mad_u64_u32 v[0:1], s[2:3], v0, s34, 0
	v_add3_u32 v1, v1, v3, v2
	v_lshl_add_u64 v[0:1], v[0:1], 2, s[10:11]
	global_load_dword v0, v[0:1], off
	s_waitcnt vmcnt(0)
	v_sub_f32_e32 v0, s12, v0
	v_exp_f32_e32 v18, v0
.LBB415_60:
	s_or_b64 exec, exec, s[0:1]
	v_or_b32_e32 v10, 1, v21
	v_cmp_gt_i32_e64 s[2:3], s43, v10
	s_and_saveexec_b64 s[0:1], s[2:3]
	s_cbranch_execz .LBB415_62
; %bb.61:
	v_add_u32_e32 v0, s42, v10
	v_ashrrev_i32_e32 v1, 31, v0
	v_mul_lo_u32 v2, v1, s34
	v_mul_lo_u32 v3, v0, s35
	v_mad_u64_u32 v[0:1], s[4:5], v0, s34, 0
	v_add3_u32 v1, v1, v3, v2
	v_lshl_add_u64 v[0:1], v[0:1], 2, s[10:11]
	global_load_dword v0, v[0:1], off
	s_waitcnt vmcnt(0)
	v_sub_f32_e32 v0, s12, v0
	v_exp_f32_e32 v16, v0
.LBB415_62:
	s_or_b64 exec, exec, s[0:1]
	v_or_b32_e32 v12, 2, v21
	v_cmp_gt_i32_e64 s[0:1], s43, v12
	v_mov_b32_e32 v17, 0
	v_mov_b32_e32 v20, 0
	s_and_saveexec_b64 s[4:5], s[0:1]
	s_cbranch_execz .LBB415_64
; %bb.63:
	v_add_u32_e32 v0, s42, v12
	v_ashrrev_i32_e32 v1, 31, v0
	v_mul_lo_u32 v2, v1, s34
	v_mul_lo_u32 v3, v0, s35
	v_mad_u64_u32 v[0:1], s[6:7], v0, s34, 0
	v_add3_u32 v1, v1, v3, v2
	v_lshl_add_u64 v[0:1], v[0:1], 2, s[10:11]
	global_load_dword v0, v[0:1], off
	s_waitcnt vmcnt(0)
	v_sub_f32_e32 v0, s12, v0
	v_exp_f32_e32 v20, v0
.LBB415_64:
	s_or_b64 exec, exec, s[4:5]
	v_or_b32_e32 v14, 3, v21
	v_cmp_gt_i32_e64 s[4:5], s43, v14
	s_and_saveexec_b64 s[6:7], s[4:5]
	s_cbranch_execz .LBB415_66
; %bb.65:
	v_add_u32_e32 v0, s42, v14
	v_ashrrev_i32_e32 v1, 31, v0
	v_mul_lo_u32 v2, v1, s34
	v_mul_lo_u32 v3, v0, s35
	v_mad_u64_u32 v[0:1], s[16:17], v0, s34, 0
	v_add3_u32 v1, v1, v3, v2
	v_lshl_add_u64 v[0:1], v[0:1], 2, s[10:11]
	global_load_dword v0, v[0:1], off
	s_waitcnt vmcnt(0)
	v_sub_f32_e32 v0, s12, v0
	v_exp_f32_e32 v17, v0
.LBB415_66:
	s_or_b64 exec, exec, s[6:7]
	s_add_u32 s6, s8, s28
	v_or_b32_e32 v4, s36, v45
	s_addc_u32 s7, s9, s29
	s_add_u32 s8, s14, s28
	v_ashrrev_i32_e32 v5, 31, v4
	v_accvgpr_read_b32 v0, a4
	s_addc_u32 s9, s15, s29
	v_lshlrev_b64 v[4:5], 1, v[4:5]
	v_accvgpr_read_b32 v1, a5
	v_accvgpr_read_b32 v2, a6
	;; [unrolled: 1-line block ×3, first 2 shown]
	v_lshl_add_u64 v[6:7], s[6:7], 0, v[4:5]
	v_lshl_add_u64 v[4:5], s[8:9], 0, v[4:5]
	v_mov_b32_e32 v11, 0
	v_lshlrev_b32_e32 v8, 8, v21
	v_mov_b32_e32 v9, 0
	s_and_saveexec_b64 s[6:7], vcc
	s_cbranch_execz .LBB415_68
; %bb.67:
	v_mov_b32_e32 v9, 0
	v_lshl_add_u64 v[24:25], v[6:7], 0, v[8:9]
	global_load_ushort v13, v[24:25], off
	v_lshl_add_u64 v[24:25], v[4:5], 0, v[8:9]
	s_waitcnt vmcnt(0)
	v_lshlrev_b32_e32 v9, 16, v13
	v_sub_f32_e32 v0, v9, v0
	global_store_short_d16_hi v[24:25], v0, off
	v_mul_f32_e32 v0, v18, v0
	v_lshrrev_b32_e32 v9, 16, v0
.LBB415_68:
	s_or_b64 exec, exec, s[6:7]
	v_lshlrev_b32_e32 v10, 8, v10
	s_and_saveexec_b64 s[6:7], s[2:3]
	s_cbranch_execz .LBB415_70
; %bb.69:
	v_mov_b32_e32 v11, 0
	v_lshl_add_u64 v[24:25], v[6:7], 0, v[10:11]
	global_load_ushort v0, v[24:25], off
	v_lshl_add_u64 v[24:25], v[4:5], 0, v[10:11]
	s_waitcnt vmcnt(0)
	v_lshlrev_b32_e32 v0, 16, v0
	v_sub_f32_e32 v0, v0, v1
	global_store_short_d16_hi v[24:25], v0, off
	v_mul_f32_e32 v0, v16, v0
	v_lshrrev_b32_e32 v11, 16, v0
.LBB415_70:
	s_or_b64 exec, exec, s[6:7]
	v_mov_b32_e32 v15, 0
	v_lshlrev_b32_e32 v12, 8, v12
	v_mov_b32_e32 v13, 0
	s_and_saveexec_b64 s[6:7], s[0:1]
	s_cbranch_execz .LBB415_72
; %bb.71:
	v_mov_b32_e32 v13, 0
	v_lshl_add_u64 v[0:1], v[6:7], 0, v[12:13]
	global_load_ushort v23, v[0:1], off
	v_lshl_add_u64 v[0:1], v[4:5], 0, v[12:13]
	s_waitcnt vmcnt(0)
	v_lshlrev_b32_e32 v13, 16, v23
	v_sub_f32_e32 v2, v13, v2
	global_store_short_d16_hi v[0:1], v2, off
	v_mul_f32_e32 v0, v20, v2
	v_lshrrev_b32_e32 v13, 16, v0
.LBB415_72:
	s_or_b64 exec, exec, s[6:7]
	v_lshlrev_b32_e32 v14, 8, v14
	s_and_saveexec_b64 s[6:7], s[4:5]
	s_cbranch_execz .LBB415_74
; %bb.73:
	v_mov_b32_e32 v15, 0
	v_lshl_add_u64 v[0:1], v[6:7], 0, v[14:15]
	global_load_ushort v2, v[0:1], off
	v_lshl_add_u64 v[0:1], v[4:5], 0, v[14:15]
	s_waitcnt vmcnt(0)
	v_lshlrev_b32_e32 v2, 16, v2
	v_sub_f32_e32 v2, v2, v3
	global_store_short_d16_hi v[0:1], v2, off
	v_mul_f32_e32 v0, v17, v2
	v_lshrrev_b32_e32 v15, 16, v0
.LBB415_74:
	s_or_b64 exec, exec, s[6:7]
	v_lshlrev_b32_e32 v21, 5, v21
	s_mov_b32 s6, 0x5040100
	v_perm_b32 v24, v11, v9, s6
	v_or_b32_e32 v9, v21, v22
	v_accvgpr_read_b32 v0, a0
	v_perm_b32 v25, v15, v13, s6
	v_lshlrev_b32_e32 v9, 1, v9
	v_accvgpr_read_b32 v1, a1
	v_accvgpr_read_b32 v2, a2
	;; [unrolled: 1-line block ×3, first 2 shown]
	ds_write_b64 v9, v[24:25] offset:45056
	v_mov_b32_e32 v11, 0
	v_mov_b32_e32 v9, 0
	s_and_saveexec_b64 s[6:7], vcc
	s_cbranch_execz .LBB415_76
; %bb.75:
	v_mov_b32_e32 v9, 0
	v_lshl_add_u64 v[22:23], v[6:7], 0, v[8:9]
	global_load_ushort v13, v[22:23], off offset:32
	v_lshl_add_u64 v[8:9], v[4:5], 0, v[8:9]
	s_waitcnt vmcnt(0)
	v_lshlrev_b32_e32 v13, 16, v13
	v_sub_f32_e32 v0, v13, v0
	global_store_short_d16_hi v[8:9], v0, off offset:32
	v_mul_f32_e32 v0, v18, v0
	v_lshrrev_b32_e32 v9, 16, v0
.LBB415_76:
	s_or_b64 exec, exec, s[6:7]
	s_and_saveexec_b64 s[6:7], s[2:3]
	s_cbranch_execz .LBB415_78
; %bb.77:
	v_mov_b32_e32 v11, 0
	v_lshl_add_u64 v[22:23], v[6:7], 0, v[10:11]
	global_load_ushort v0, v[22:23], off offset:32
	v_lshl_add_u64 v[10:11], v[4:5], 0, v[10:11]
	s_waitcnt vmcnt(0)
	v_lshlrev_b32_e32 v0, 16, v0
	v_sub_f32_e32 v0, v0, v1
	global_store_short_d16_hi v[10:11], v0, off offset:32
	v_mul_f32_e32 v0, v16, v0
	v_lshrrev_b32_e32 v11, 16, v0
.LBB415_78:
	s_or_b64 exec, exec, s[6:7]
	v_mov_b32_e32 v0, 0
	v_mov_b32_e32 v1, 0
	s_and_saveexec_b64 s[2:3], s[0:1]
	s_cbranch_execz .LBB415_80
; %bb.79:
	v_mov_b32_e32 v13, 0
	v_lshl_add_u64 v[22:23], v[6:7], 0, v[12:13]
	global_load_ushort v1, v[22:23], off offset:32
	v_lshl_add_u64 v[12:13], v[4:5], 0, v[12:13]
	s_waitcnt vmcnt(0)
	v_lshlrev_b32_e32 v1, 16, v1
	v_sub_f32_e32 v1, v1, v2
	global_store_short_d16_hi v[12:13], v1, off offset:32
	v_mul_f32_e32 v1, v20, v1
	v_lshrrev_b32_e32 v1, 16, v1
.LBB415_80:
	s_or_b64 exec, exec, s[2:3]
	s_and_saveexec_b64 s[0:1], s[4:5]
	s_cbranch_execz .LBB415_82
; %bb.81:
	v_mov_b32_e32 v15, 0
	v_lshl_add_u64 v[6:7], v[6:7], 0, v[14:15]
	global_load_ushort v0, v[6:7], off offset:32
	v_lshl_add_u64 v[4:5], v[4:5], 0, v[14:15]
	s_waitcnt vmcnt(0)
	v_lshlrev_b32_e32 v0, 16, v0
	v_sub_f32_e32 v0, v0, v3
	global_store_short_d16_hi v[4:5], v0, off offset:32
	v_mul_f32_e32 v0, v17, v0
	v_lshrrev_b32_e32 v0, 16, v0
.LBB415_82:
	s_or_b64 exec, exec, s[0:1]
	s_mov_b32 s0, 0x5040100
	v_or_b32_e32 v2, v21, v19
	v_perm_b32 v1, v0, v1, s0
	v_perm_b32 v0, v11, v9, s0
	v_lshlrev_b32_e32 v2, 1, v2
	ds_write_b64 v2, v[0:1] offset:45056
	s_waitcnt lgkmcnt(0)
	s_barrier
.LBB415_83:
	s_endpgm
	.section	.rodata,"a",@progbits
	.p2align	6, 0x0
	.amdhsa_kernel _ZN12_GLOBAL__N_139chunk_gated_delta_rule_fwd_h_hip_kernelILi32ELb0ELb0ELb1ELb0ELb1ELb1ELb0ELb0EEEvPK12hip_bfloat16S3_S3_PKfS5_PKvPS1_S8_PvPKiSB_iiiiilll
		.amdhsa_group_segment_fixed_size 49152
		.amdhsa_private_segment_fixed_size 0
		.amdhsa_kernarg_size 136
		.amdhsa_user_sgpr_count 2
		.amdhsa_user_sgpr_dispatch_ptr 0
		.amdhsa_user_sgpr_queue_ptr 0
		.amdhsa_user_sgpr_kernarg_segment_ptr 1
		.amdhsa_user_sgpr_dispatch_id 0
		.amdhsa_user_sgpr_kernarg_preload_length 0
		.amdhsa_user_sgpr_kernarg_preload_offset 0
		.amdhsa_user_sgpr_private_segment_size 0
		.amdhsa_uses_dynamic_stack 0
		.amdhsa_enable_private_segment 0
		.amdhsa_system_sgpr_workgroup_id_x 1
		.amdhsa_system_sgpr_workgroup_id_y 1
		.amdhsa_system_sgpr_workgroup_id_z 0
		.amdhsa_system_sgpr_workgroup_info 0
		.amdhsa_system_vgpr_workitem_id 0
		.amdhsa_next_free_vgpr 164
		.amdhsa_next_free_sgpr 67
		.amdhsa_accum_offset 144
		.amdhsa_reserve_vcc 1
		.amdhsa_float_round_mode_32 0
		.amdhsa_float_round_mode_16_64 0
		.amdhsa_float_denorm_mode_32 3
		.amdhsa_float_denorm_mode_16_64 3
		.amdhsa_dx10_clamp 1
		.amdhsa_ieee_mode 1
		.amdhsa_fp16_overflow 0
		.amdhsa_tg_split 0
		.amdhsa_exception_fp_ieee_invalid_op 0
		.amdhsa_exception_fp_denorm_src 0
		.amdhsa_exception_fp_ieee_div_zero 0
		.amdhsa_exception_fp_ieee_overflow 0
		.amdhsa_exception_fp_ieee_underflow 0
		.amdhsa_exception_fp_ieee_inexact 0
		.amdhsa_exception_int_div_zero 0
	.end_amdhsa_kernel
	.section	.text._ZN12_GLOBAL__N_139chunk_gated_delta_rule_fwd_h_hip_kernelILi32ELb0ELb0ELb1ELb0ELb1ELb1ELb0ELb0EEEvPK12hip_bfloat16S3_S3_PKfS5_PKvPS1_S8_PvPKiSB_iiiiilll,"axG",@progbits,_ZN12_GLOBAL__N_139chunk_gated_delta_rule_fwd_h_hip_kernelILi32ELb0ELb0ELb1ELb0ELb1ELb1ELb0ELb0EEEvPK12hip_bfloat16S3_S3_PKfS5_PKvPS1_S8_PvPKiSB_iiiiilll,comdat
.Lfunc_end415:
	.size	_ZN12_GLOBAL__N_139chunk_gated_delta_rule_fwd_h_hip_kernelILi32ELb0ELb0ELb1ELb0ELb1ELb1ELb0ELb0EEEvPK12hip_bfloat16S3_S3_PKfS5_PKvPS1_S8_PvPKiSB_iiiiilll, .Lfunc_end415-_ZN12_GLOBAL__N_139chunk_gated_delta_rule_fwd_h_hip_kernelILi32ELb0ELb0ELb1ELb0ELb1ELb1ELb0ELb0EEEvPK12hip_bfloat16S3_S3_PKfS5_PKvPS1_S8_PvPKiSB_iiiiilll
                                        ; -- End function
	.section	.AMDGPU.csdata,"",@progbits
; Kernel info:
; codeLenInByte = 8852
; NumSgprs: 73
; NumVgprs: 142
; NumAgprs: 20
; TotalNumVgprs: 164
; ScratchSize: 0
; MemoryBound: 0
; FloatMode: 240
; IeeeMode: 1
; LDSByteSize: 49152 bytes/workgroup (compile time only)
; SGPRBlocks: 9
; VGPRBlocks: 20
; NumSGPRsForWavesPerEU: 73
; NumVGPRsForWavesPerEU: 164
; AccumOffset: 144
; Occupancy: 1
; WaveLimiterHint : 1
; COMPUTE_PGM_RSRC2:SCRATCH_EN: 0
; COMPUTE_PGM_RSRC2:USER_SGPR: 2
; COMPUTE_PGM_RSRC2:TRAP_HANDLER: 0
; COMPUTE_PGM_RSRC2:TGID_X_EN: 1
; COMPUTE_PGM_RSRC2:TGID_Y_EN: 1
; COMPUTE_PGM_RSRC2:TGID_Z_EN: 0
; COMPUTE_PGM_RSRC2:TIDIG_COMP_CNT: 0
; COMPUTE_PGM_RSRC3_GFX90A:ACCUM_OFFSET: 35
; COMPUTE_PGM_RSRC3_GFX90A:TG_SPLIT: 0
	.section	.text._ZN12_GLOBAL__N_139chunk_gated_delta_rule_fwd_h_hip_kernelILi32ELb0ELb0ELb0ELb0ELb1ELb1ELb0ELb0EEEvPK12hip_bfloat16S3_S3_PKfS5_PKvPS1_S8_PvPKiSB_iiiiilll,"axG",@progbits,_ZN12_GLOBAL__N_139chunk_gated_delta_rule_fwd_h_hip_kernelILi32ELb0ELb0ELb0ELb0ELb1ELb1ELb0ELb0EEEvPK12hip_bfloat16S3_S3_PKfS5_PKvPS1_S8_PvPKiSB_iiiiilll,comdat
	.globl	_ZN12_GLOBAL__N_139chunk_gated_delta_rule_fwd_h_hip_kernelILi32ELb0ELb0ELb0ELb0ELb1ELb1ELb0ELb0EEEvPK12hip_bfloat16S3_S3_PKfS5_PKvPS1_S8_PvPKiSB_iiiiilll ; -- Begin function _ZN12_GLOBAL__N_139chunk_gated_delta_rule_fwd_h_hip_kernelILi32ELb0ELb0ELb0ELb0ELb1ELb1ELb0ELb0EEEvPK12hip_bfloat16S3_S3_PKfS5_PKvPS1_S8_PvPKiSB_iiiiilll
	.p2align	8
	.type	_ZN12_GLOBAL__N_139chunk_gated_delta_rule_fwd_h_hip_kernelILi32ELb0ELb0ELb0ELb0ELb1ELb1ELb0ELb0EEEvPK12hip_bfloat16S3_S3_PKfS5_PKvPS1_S8_PvPKiSB_iiiiilll,@function
_ZN12_GLOBAL__N_139chunk_gated_delta_rule_fwd_h_hip_kernelILi32ELb0ELb0ELb0ELb0ELb1ELb1ELb0ELb0EEEvPK12hip_bfloat16S3_S3_PKfS5_PKvPS1_S8_PvPKiSB_iiiiilll: ; @_ZN12_GLOBAL__N_139chunk_gated_delta_rule_fwd_h_hip_kernelILi32ELb0ELb0ELb0ELb0ELb1ELb1ELb0ELb0EEEvPK12hip_bfloat16S3_S3_PKfS5_PKvPS1_S8_PvPKiSB_iiiiilll
; %bb.0:
	s_load_dwordx4 s[12:15], s[0:1], 0x5c
	s_load_dwordx2 s[36:37], s[0:1], 0x30
	s_abs_i32 s18, s3
	s_ashr_i32 s17, s3, 31
	s_load_dwordx8 s[4:11], s[0:1], 0x0
	s_waitcnt lgkmcnt(0)
	s_abs_i32 s16, s13
	v_cvt_f32_u32_e32 v1, s16
	s_sub_i32 s20, 0, s16
	s_ashr_i32 s19, s13, 31
	s_xor_b32 s17, s17, s19
	v_rcp_iflag_f32_e32 v1, v1
	v_lshrrev_b32_e32 v61, 6, v0
	v_bfe_u32 v62, v0, 4, 2
	v_lshlrev_b32_e32 v2, 2, v62
	v_mul_f32_e32 v1, 0x4f7ffffe, v1
	v_cvt_u32_f32_e32 v1, v1
	v_and_b32_e32 v60, 63, v0
	v_mov_b32_e32 v5, 0
	v_and_b32_e32 v45, 15, v0
	v_readfirstlane_b32 s21, v1
	s_mul_i32 s20, s20, s21
	s_mul_hi_u32 s20, s21, s20
	s_add_i32 s21, s21, s20
	s_mul_hi_u32 s20, s18, s21
	s_mul_i32 s21, s20, s16
	s_sub_i32 s18, s18, s21
	s_add_i32 s22, s20, 1
	s_sub_i32 s21, s18, s16
	s_cmp_ge_u32 s18, s16
	s_cselect_b32 s20, s22, s20
	s_cselect_b32 s18, s21, s18
	s_add_i32 s21, s20, 1
	s_cmp_ge_u32 s18, s16
	s_cselect_b32 s18, s21, s20
	s_abs_i32 s20, s14
	v_cvt_f32_u32_e32 v1, s20
	s_xor_b32 s18, s18, s17
	s_ashr_i32 s46, s12, 31
	s_sub_i32 s48, s18, s17
	v_rcp_iflag_f32_e32 v1, v1
	s_lshr_b32 s17, s46, 26
	s_add_i32 s17, s12, s17
	s_ashr_i32 s49, s14, 31
	v_mul_f32_e32 v1, 0x4f7ffffe, v1
	v_cvt_u32_f32_e32 v1, v1
	s_ashr_i32 s47, s17, 6
	s_xor_b32 s17, s19, s49
	s_sub_i32 s18, 0, s20
	v_readfirstlane_b32 s19, v1
	s_mul_i32 s18, s18, s19
	s_mul_hi_u32 s18, s19, s18
	s_add_i32 s19, s19, s18
	s_mul_hi_u32 s18, s16, s19
	s_mul_i32 s19, s18, s20
	s_mul_i32 s45, s48, s13
	s_sub_i32 s16, s16, s19
	s_sub_i32 s33, s3, s45
	s_add_i32 s3, s12, 63
	s_add_i32 s19, s18, 1
	s_sub_i32 s21, s16, s20
	s_cmp_ge_u32 s16, s20
	s_cselect_b32 s18, s19, s18
	s_cselect_b32 s16, s21, s16
	s_add_i32 s19, s18, 1
	s_cmp_ge_u32 s16, s20
	s_cselect_b32 s16, s19, s18
	s_xor_b32 s16, s16, s17
	s_sub_i32 s20, s16, s17
	s_abs_i32 s21, s20
	v_cvt_f32_u32_e32 v1, s21
	s_sub_i32 s23, 0, s21
	s_abs_i32 s22, s33
	s_xor_b32 s20, s33, s20
	v_rcp_iflag_f32_e32 v1, v1
	s_ashr_i32 s20, s20, 31
	s_load_dwordx2 s[28:29], s[0:1], 0x80
	s_load_dwordx4 s[16:19], s[0:1], 0x70
	s_mul_hi_i32 s51, s48, s13
	v_mul_f32_e32 v1, 0x4f7ffffe, v1
	v_cvt_u32_f32_e32 v1, v1
	v_lshrrev_b32_e32 v64, 3, v60
	v_lshlrev_b32_e32 v63, 3, v0
	s_waitcnt lgkmcnt(0)
	s_mul_i32 s17, s48, s17
	v_readfirstlane_b32 s24, v1
	s_mul_i32 s23, s23, s24
	s_mul_hi_u32 s23, s24, s23
	s_add_i32 s24, s24, s23
	s_mul_hi_u32 s23, s22, s24
	s_mul_i32 s24, s23, s21
	s_sub_i32 s22, s22, s24
	s_add_i32 s24, s23, 1
	s_sub_i32 s25, s22, s21
	s_cmp_ge_u32 s22, s21
	s_cselect_b32 s23, s24, s23
	s_cselect_b32 s22, s25, s22
	s_add_i32 s24, s23, 1
	s_cmp_ge_u32 s22, s21
	s_cselect_b32 s21, s24, s23
	s_xor_b32 s21, s21, s20
	s_sub_i32 s52, s21, s20
	s_ashr_i32 s20, s3, 31
	s_lshr_b32 s20, s20, 26
	v_lshlrev_b32_e32 v1, 4, v61
	s_add_i32 s3, s3, s20
	v_or_b32_e32 v65, v2, v1
	s_ashr_i32 s3, s3, 6
	s_lshl_b32 s30, s2, 5
	s_mul_i32 s50, s48, s3
	v_or_b32_e32 v66, 64, v65
	s_cmp_lt_i32 s12, 64
	s_mul_hi_u32 s44, s48, s16
	s_mul_i32 s34, s48, s16
	v_mov_b32_e32 v83, 0
	v_mov_b32_e32 v81, 0
	;; [unrolled: 1-line block ×15, first 2 shown]
	s_cbranch_scc1 .LBB416_18
; %bb.1:
	s_ashr_i32 s24, s48, 31
	s_ashr_i32 s54, s33, 31
	s_add_u32 s2, s45, s33
	s_addc_u32 s3, s51, s54
	s_mul_i32 s3, s12, s3
	s_mul_hi_u32 s20, s12, s2
	s_add_i32 s39, s20, s3
	s_mul_i32 s38, s12, s2
	s_lshl_b64 s[2:3], s[38:39], 8
	v_and_b32_e32 v68, 56, v63
	s_add_u32 s20, s6, s2
	v_lshl_or_b32 v67, v61, 3, v64
	v_lshlrev_b32_e32 v3, 1, v68
	s_addc_u32 s2, s7, s3
	v_lshl_or_b32 v69, v67, 8, v3
	s_and_b32 s21, s2, 0xffff
	s_mov_b32 s23, 0x20000
	s_movk_i32 s22, 0x4000
	s_movk_i32 s2, 0x80
	v_or_b32_e32 v70, 0x2000, v69
	buffer_load_dwordx4 v[4:7], v69, s[20:23], 0 offen
	buffer_load_dwordx4 v[8:11], v69, s[20:23], s2 offen
	;; [unrolled: 1-line block ×4, first 2 shown]
	v_lshlrev_b32_e32 v20, 3, v67
	v_and_or_b32 v22, v0, 7, v20
	v_and_b32_e32 v20, 0x78, v20
	v_lshlrev_b32_e32 v22, 4, v22
	v_xor_b32_e32 v71, v22, v20
	v_mul_lo_u32 v21, v67, s15
	v_or_b32_e32 v72, 0x1000, v71
	s_cmpk_eq_i32 s15, 0x80
	s_mov_b32 s53, s14
	v_xor_b32_e32 v20, 8, v71
	v_xor_b32_e32 v22, 8, v72
	s_cselect_b64 s[2:3], -1, 0
	s_cmpk_lg_i32 s15, 0x80
	s_waitcnt vmcnt(3)
	ds_write_b64 v71, v[4:5] offset:24576
	ds_write_b64 v20, v[6:7] offset:24576
	s_waitcnt vmcnt(2)
	ds_write_b64 v71, v[8:9] offset:32768
	ds_write_b64 v20, v[10:11] offset:32768
	;; [unrolled: 3-line block ×4, first 2 shown]
	v_lshl_add_u32 v4, v21, 1, v68
	s_cbranch_scc0 .LBB416_3
; %bb.2:
	v_lshlrev_b32_e32 v6, 1, v4
	v_add_lshl_u32 v5, v4, s15, 1
	s_lshl_b32 s22, s15, 7
	s_load_dwordx2 s[40:41], s[0:1], 0x20
	v_lshl_or_b32 v3, v67, 9, v3
	s_cbranch_execz .LBB416_4
	s_branch .LBB416_5
.LBB416_3:
                                        ; implicit-def: $vgpr5
                                        ; implicit-def: $vgpr6
                                        ; implicit-def: $sgpr22
	s_load_dwordx2 s[40:41], s[0:1], 0x20
	v_lshl_or_b32 v3, v67, 9, v3
.LBB416_4:
	v_or_b32_e32 v5, 0x100, v3
	s_movk_i32 s22, 0x4000
	v_mov_b32_e32 v6, v3
.LBB416_5:
	s_mul_hi_u32 s0, s14, s12
	s_mul_i32 s1, s49, s12
	s_add_i32 s0, s0, s1
	s_mul_i32 s1, s14, s12
	s_mul_i32 s20, s1, s24
	s_mul_hi_u32 s21, s1, s48
	s_add_i32 s20, s21, s20
	s_mul_i32 s0, s0, s48
	s_add_i32 s20, s20, s0
	s_mul_i32 s1, s1, s48
	s_ashr_i32 s55, s52, 31
	s_add_u32 s0, s1, s52
	s_addc_u32 s1, s20, s55
	s_lshl_b64 s[0:1], s[0:1], 8
	s_add_u32 s20, s4, s0
	s_addc_u32 s0, s5, s1
	s_and_b32 s21, s0, 0xffff
	s_movk_i32 s56, 0x80
	buffer_load_dwordx4 v[8:11], v6, s[20:23], 0 offen
	buffer_load_dwordx4 v[12:15], v6, s[20:23], s56 offen
	;; [unrolled: 1-line block ×4, first 2 shown]
	v_and_b32_e32 v5, 6, v0
	v_lshlrev_b32_e32 v24, 6, v65
	v_or_b32_e32 v26, 16, v45
	v_xor_b32_e32 v27, v67, v5
	v_and_b32_e32 v6, 1, v0
	s_mul_i32 s0, s24, s12
	s_mul_hi_u32 s1, s48, s12
	v_lshl_or_b32 v30, v45, 3, v24
	v_lshl_or_b32 v24, v26, 3, v24
	v_lshlrev_b32_e32 v27, 2, v27
	v_lshlrev_b32_e32 v7, 2, v45
	v_or_b32_e32 v75, 0xa000, v24
	v_or_b32_e32 v76, 0xb000, v24
	v_xor_b32_e32 v24, 0x440, v27
	v_cmp_eq_u32_e32 vcc, 0, v6
	s_add_i32 s61, s1, s0
	s_add_i32 s0, s44, s17
	s_mul_i32 s24, s24, s16
	v_xor_b32_e32 v28, v65, v7
	v_xor_b32_e32 v29, v66, v7
	v_cndmask_b32_e32 v6, v24, v27, vcc
	s_add_i32 s35, s0, s24
	s_mul_i32 s0, s33, s19
	s_mul_hi_u32 s1, s33, s18
	s_mov_b32 s59, 0x1000504
	v_lshlrev_b32_e32 v25, 8, v45
	v_lshlrev_b32_e32 v28, 1, v28
	;; [unrolled: 1-line block ×3, first 2 shown]
	v_lshl_or_b32 v5, v5, 10, v6
	s_add_i32 s0, s1, s0
	s_mul_i32 s1, s54, s18
	s_mov_b32 s60, 0x3020706
	v_or_b32_e32 v73, 0xa000, v30
	v_or_b32_e32 v74, 0xb000, v30
	;; [unrolled: 1-line block ×4, first 2 shown]
	v_xor_b32_e32 v6, 8, v5
	v_xor_b32_e32 v25, 24, v5
	;; [unrolled: 1-line block ×4, first 2 shown]
	s_add_i32 s1, s0, s1
	s_lshl_b64 s[20:21], s[34:35], 2
	v_xor_b32_e32 v24, 16, v5
	v_xor_b32_e32 v27, 32, v5
	;; [unrolled: 1-line block ×3, first 2 shown]
	v_add_u32_e32 v6, 0x80, v6
	v_add_u32_e32 v25, 0x80, v25
	;; [unrolled: 1-line block ×4, first 2 shown]
	s_mul_i32 s0, s33, s18
	s_add_u32 s20, s10, s20
	s_addc_u32 s21, s11, s21
	s_lshl_b64 s[0:1], s[0:1], 2
	s_add_u32 s42, s20, s0
	s_movk_i32 s0, 0xf8
	s_addc_u32 s43, s21, s1
	s_ashr_i32 s31, s30, 31
	s_lshl_b32 s26, s15, 7
	s_movk_i32 s20, 0x100
	v_mov_b32_e32 v55, 0
	v_lshlrev_b32_e32 v54, 4, v45
	v_cmp_gt_u32_e32 vcc, s20, v0
	s_mul_i32 s57, s48, s12
	s_mov_b32 s58, 0
	s_movk_i32 s35, 0x1000
	s_movk_i32 s22, 0x4000
	v_add_u32_e32 v100, v1, v2
	s_mov_b32 s62, 0x7060302
	s_mov_b32 s64, 0
	v_mov_b32_e32 v50, v55
	v_mov_b32_e32 v51, v55
	;; [unrolled: 1-line block ×9, first 2 shown]
	s_waitcnt vmcnt(1)
	v_perm_b32 v33, v8, v16, s59
	s_waitcnt vmcnt(0)
	v_perm_b32 v34, v12, v20, s59
	v_perm_b32 v8, v8, v16, s60
	;; [unrolled: 1-line block ×15, first 2 shown]
	ds_write2st64_b32 v5, v33, v34 offset0:32 offset1:64
	ds_write2st64_b32 v6, v8, v12 offset0:32 offset1:64
	;; [unrolled: 1-line block ×8, first 2 shown]
	v_lshlrev_b32_e32 v5, 8, v26
	v_or_b32_e32 v79, v5, v28
	v_or_b32_e32 v80, v5, v29
	v_or_b32_e32 v5, v1, v45
	v_lshlrev_b32_e32 v5, 3, v5
	v_lshrrev_b32_e32 v8, 5, v60
	v_and_or_b32 v8, v5, s0, v8
	v_lshrrev_b32_e32 v6, 2, v60
	v_lshlrev_b32_e32 v11, 11, v61
	v_lshlrev_b32_e32 v8, 4, v8
	v_and_b32_e32 v5, 0x78, v5
	v_and_b32_e32 v9, 12, v6
	;; [unrolled: 1-line block ×3, first 2 shown]
	v_xor_b32_e32 v10, v8, v5
	v_lshrrev_b32_e32 v12, 1, v60
	v_or_b32_e32 v10, v10, v6
	v_and_b32_e32 v12, 8, v12
	v_xor_b32_e32 v87, v10, v12
	v_or_b32_e32 v10, 32, v8
	v_xor_b32_e32 v10, v10, v5
	v_or_b32_e32 v10, v10, v6
	;; [unrolled: 2-line block ×3, first 2 shown]
	v_or_b32_e32 v8, 0x60, v8
	v_xor_b32_e32 v10, v10, v5
	v_xor_b32_e32 v5, v8, v5
	s_lshl_b64 s[0:1], s[30:31], 8
	v_or_b32_e32 v10, v10, v6
	v_or_b32_e32 v5, v5, v6
	v_lshlrev_b32_e32 v14, 1, v4
	v_add_lshl_u32 v15, v4, s15, 1
	s_add_u32 s0, s36, s0
	v_lshlrev_b32_e32 v4, 1, v45
	v_xor_b32_e32 v91, v10, v12
	v_xor_b32_e32 v92, v5, v12
	v_lshrrev_b32_e32 v10, 4, v0
	s_addc_u32 s1, s37, s1
	v_or_b32_e32 v5, 1, v4
	v_mov_b32_e32 v20, 0x4000
	v_mov_b32_e32 v21, 0x2000
	v_lshrrev_b32_e32 v22, 1, v0
	v_xor_b32_e32 v12, v10, v4
	v_xor_b32_e32 v17, v5, v10
	v_lshl_add_u64 v[4:5], s[0:1], 0, v[54:55]
	v_lshlrev_b32_e32 v54, 8, v10
	v_cndmask_b32_e32 v20, v20, v21, vcc
	v_lshlrev_b32_e32 v21, 3, v61
	v_and_b32_e32 v22, 24, v22
	v_lshl_or_b32 v95, v12, 3, v54
	v_and_b32_e32 v12, 8, v0
	v_xor_b32_e32 v23, v21, v22
	v_or_b32_e32 v24, 0x440, v23
	v_cmp_eq_u32_e32 vcc, 0, v12
	v_and_b32_e32 v10, 7, v0
	v_lshlrev_b32_e32 v13, 7, v62
	v_cndmask_b32_e32 v12, v24, v23, vcc
	v_lshl_or_b32 v96, v17, 3, v54
	v_lshlrev_b32_e32 v17, 3, v10
	v_lshlrev_b32_e32 v19, 2, v0
	v_or_b32_e32 v12, v12, v11
	v_or_b32_e32 v7, v13, v7
	v_xor_b32_e32 v23, v12, v17
	v_and_or_b32 v12, v19, 60, v13
	v_mov_b32_e32 v13, 0xb000
	v_lshl_or_b32 v97, v12, 1, v13
	v_or_b32_e32 v12, 32, v22
	v_xor_b32_e32 v12, v21, v12
	v_or_b32_e32 v13, 0x440, v12
	v_cndmask_b32_e32 v12, v13, v12, vcc
	v_or_b32_e32 v12, v12, v11
	v_xor_b32_e32 v13, v12, v17
	v_or_b32_e32 v12, 64, v22
	v_xor_b32_e32 v12, v21, v12
	v_xor_b32_e32 v25, 0x440, v12
	v_cndmask_b32_e32 v12, v25, v12, vcc
	v_or_b32_e32 v12, v12, v11
	v_xor_b32_e32 v25, v12, v17
	v_or_b32_e32 v12, 0x60, v22
	v_xor_b32_e32 v12, v21, v12
	v_xor_b32_e32 v21, 0x440, v12
	v_cndmask_b32_e32 v12, v21, v12, vcc
	v_or_b32_e32 v11, v12, v11
	v_lshlrev_b32_e32 v7, 1, v7
	v_or_b32_e32 v6, s30, v45
	v_xor_b32_e32 v11, v11, v17
	v_or_b32_e32 v88, 0xa000, v7
	v_or_b32_e32 v90, 0xa080, v7
	;; [unrolled: 1-line block ×4, first 2 shown]
	v_lshlrev_b32_e32 v8, 7, v65
	v_ashrrev_i32_e32 v7, 31, v6
	v_or_b32_e32 v16, 0x100, v3
	v_lshlrev_b32_e32 v18, 7, v10
	v_or_b32_e32 v10, v9, v1
	v_add_u32_e32 v24, v20, v23
	v_add_u32_e32 v19, v20, v13
	;; [unrolled: 1-line block ×4, first 2 shown]
	v_or3_b32 v12, v1, v9, 64
	v_add_u32_e32 v9, 0x4000, v23
	v_add_u32_e32 v13, 0x4000, v13
	;; [unrolled: 1-line block ×4, first 2 shown]
	v_cndmask_b32_e64 v98, v14, v3, s[2:3]
	v_cndmask_b32_e64 v99, v15, v16, s[2:3]
	v_lshl_add_u64 v[56:57], v[6:7], 1, s[8:9]
	v_lshl_add_u64 v[58:59], v[4:5], 0, v[54:55]
	s_add_i32 s31, s57, 63
	v_lshlrev_b32_e32 v54, 1, v8
	v_lshlrev_b32_e32 v101, 2, v10
	v_add_u32_e32 v102, v24, v18
	v_add_u32_e32 v103, v19, v18
	;; [unrolled: 1-line block ×4, first 2 shown]
	v_lshlrev_b32_e32 v106, 2, v12
	v_add_u32_e32 v107, v9, v18
	v_add_u32_e32 v108, v13, v18
	;; [unrolled: 1-line block ×4, first 2 shown]
	v_mov_b32_e32 v84, v55
	v_mov_b32_e32 v86, v55
	;; [unrolled: 1-line block ×7, first 2 shown]
	s_waitcnt lgkmcnt(0)
	s_barrier
.LBB416_6:                              ; =>This Inner Loop Header: Depth=1
	s_add_i32 s63, s64, 1
	s_cmp_lt_i32 s63, s47
	s_mov_b64 s[24:25], 0
	s_cselect_b64 s[2:3], -1, 0
	s_cmp_ge_i32 s63, s47
	s_mov_b64 s[20:21], 0
	s_cbranch_scc1 .LBB416_8
; %bb.7:                                ;   in Loop: Header=BB416_6 Depth=1
	s_add_i32 s0, s58, 64
	s_add_u32 s0, s38, s0
	s_addc_u32 s1, s39, 0
	s_lshl_b64 s[0:1], s[0:1], 8
	s_add_u32 s20, s6, s0
	s_addc_u32 s21, s7, s1
.LBB416_8:                              ;   in Loop: Header=BB416_6 Depth=1
	v_cndmask_b32_e64 v2, 0, 1, s[2:3]
	v_cmp_ne_u32_e64 s[0:1], 1, v2
	s_andn2_b64 vcc, exec, s[2:3]
	s_cbranch_vccnz .LBB416_10
; %bb.9:                                ;   in Loop: Header=BB416_6 Depth=1
	s_add_i32 s2, s58, 64
	s_add_u32 s2, s57, s2
	s_addc_u32 s3, s61, 0
	s_mul_i32 s24, s2, s49
	s_mul_hi_u32 s25, s2, s53
	s_add_i32 s24, s25, s24
	s_mul_i32 s3, s3, s53
	s_add_i32 s24, s24, s3
	s_mul_i32 s2, s2, s53
	s_add_u32 s2, s2, s52
	s_addc_u32 s3, s24, s55
	s_lshl_b64 s[2:3], s[2:3], 8
	s_add_u32 s24, s4, s2
	s_addc_u32 s25, s5, s3
.LBB416_10:                             ;   in Loop: Header=BB416_6 Depth=1
	v_perm_b32 v3, v53, v52, s62
	v_perm_b32 v2, v51, v50, s62
	;; [unrolled: 1-line block ×4, first 2 shown]
	ds_write_b64 v73, v[2:3]
	ds_write_b64 v74, v[4:5]
	;; [unrolled: 1-line block ×4, first 2 shown]
	v_perm_b32 v3, v112, v86, s62
	v_perm_b32 v2, v84, v85, s62
	v_perm_b32 v5, v111, v83, s62
	v_perm_b32 v4, v81, v82, s62
	ds_write_b64 v75, v[2:3]
	ds_write_b64 v76, v[4:5]
	;; [unrolled: 1-line block ×4, first 2 shown]
	s_waitcnt lgkmcnt(0)
	s_barrier
	ds_read_b64 v[6:7], v87 offset:24576
	ds_read2_b64 v[2:5], v88 offset1:16
	ds_read_b64 v[10:11], v90 offset:3072
	ds_read_b64 v[12:13], v88 offset:3072
	;; [unrolled: 1-line block ×3, first 2 shown]
	s_waitcnt lgkmcnt(3)
	v_mfma_f32_16x16x16_bf16 a[0:3], v[6:7], v[2:3], 0
	s_add_i32 s2, s58, 63
	s_mul_i32 s3, s2, s29
	s_mul_hi_u32 s27, s2, s28
	v_mfma_f32_16x16x16_bf16 a[4:7], v[6:7], v[4:5], 0
	ds_read2st64_b64 v[2:5], v88 offset0:2 offset1:4
	ds_read2st64_b64 v[6:9], v90 offset0:2 offset1:4
	s_add_i32 s3, s27, s3
	s_waitcnt lgkmcnt(1)
	v_mfma_f32_16x16x16_bf16 a[0:3], v[14:15], v[2:3], a[0:3]
	s_mul_i32 s2, s2, s28
	s_lshl_b64 s[2:3], s[2:3], 2
	s_add_u32 s2, s42, s2
	s_waitcnt lgkmcnt(0)
	v_mfma_f32_16x16x16_bf16 a[4:7], v[14:15], v[6:7], a[4:7]
	ds_read_b64 v[2:3], v91 offset:24576
	ds_read_b64 v[6:7], v92 offset:24576
	s_addc_u32 s3, s43, s3
	s_and_b64 vcc, exec, s[0:1]
	s_waitcnt lgkmcnt(1)
	v_mfma_f32_16x16x16_bf16 a[0:3], v[2:3], v[4:5], a[0:3]
	v_mov_b32_e32 v115, 0
	v_mov_b32_e32 v114, 0
	;; [unrolled: 1-line block ×3, first 2 shown]
	v_mfma_f32_16x16x16_bf16 a[4:7], v[2:3], v[8:9], a[4:7]
	v_mov_b32_e32 v2, 0
	v_mov_b32_e32 v3, 0
	;; [unrolled: 1-line block ×3, first 2 shown]
	s_waitcnt lgkmcnt(0)
	v_mfma_f32_16x16x16_bf16 a[0:3], v[6:7], v[12:13], a[0:3]
	v_mov_b32_e32 v5, 0
	v_mov_b32_e32 v8, 0
	v_mov_b32_e32 v9, 0
	v_mfma_f32_16x16x16_bf16 a[4:7], v[6:7], v[10:11], a[4:7]
	v_mov_b32_e32 v6, 0
	v_mov_b32_e32 v7, 0
	;; [unrolled: 1-line block ×10, first 2 shown]
	s_cbranch_vccnz .LBB416_12
; %bb.11:                               ;   in Loop: Header=BB416_6 Depth=1
	s_and_b32 s21, s21, 0xffff
	buffer_load_dwordx4 v[14:17], v69, s[20:23], 0 offen
	buffer_load_dwordx4 v[10:13], v69, s[20:23], s56 offen
	;; [unrolled: 1-line block ×4, first 2 shown]
	v_mov_b32_e32 v114, v71
	v_mov_b32_e32 v113, v72
.LBB416_12:                             ;   in Loop: Header=BB416_6 Depth=1
	ds_read_b64 v[22:23], v87 offset:32768
	ds_read2_b64 v[18:21], v93 offset1:16
	ds_read_b64 v[26:27], v89 offset:32768
	ds_read_b64 v[28:29], v91 offset:32768
	;; [unrolled: 1-line block ×3, first 2 shown]
	v_add_u32_e32 v34, s58, v100
	s_waitcnt lgkmcnt(3)
	v_mfma_f32_16x16x16_bf16 a[0:3], v[22:23], v[18:19], a[0:3]
	v_mov_b32_e32 v116, 0
	v_mfma_f32_16x16x16_bf16 a[4:7], v[22:23], v[20:21], a[4:7]
	ds_read2st64_b64 v[18:21], v93 offset0:2 offset1:4
	ds_read2st64_b64 v[22:25], v94 offset0:2 offset1:4
	s_waitcnt lgkmcnt(1)
	v_mfma_f32_16x16x16_bf16 a[0:3], v[26:27], v[18:19], a[0:3]
	ds_read_b64 v[18:19], v93 offset:3072
	ds_read_b64 v[32:33], v94 offset:3072
	s_waitcnt lgkmcnt(2)
	v_mfma_f32_16x16x16_bf16 a[4:7], v[26:27], v[22:23], a[4:7]
	v_ashrrev_i32_e32 v22, 31, v34
	v_mul_lo_u32 v23, v34, s29
	v_mul_lo_u32 v22, v22, s28
	v_mfma_f32_16x16x16_bf16 a[0:3], v[28:29], v[20:21], a[0:3]
	v_mad_u64_u32 v[20:21], s[20:21], v34, s28, 0
	v_add3_u32 v21, v21, v23, v22
	v_lshl_add_u64 v[20:21], v[20:21], 2, s[42:43]
	global_load_dword v26, v[20:21], off
	v_add_u32_e32 v20, 1, v34
	v_ashrrev_i32_e32 v21, 31, v20
	s_waitcnt lgkmcnt(1)
	v_mfma_f32_16x16x16_bf16 a[0:3], v[30:31], v[18:19], a[0:3]
	v_mul_lo_u32 v21, v21, s28
	v_mul_lo_u32 v22, v20, s29
	v_mad_u64_u32 v[18:19], s[20:21], v20, s28, 0
	v_add_u32_e32 v20, 2, v34
	v_add3_u32 v19, v19, v22, v21
	v_ashrrev_i32_e32 v21, 31, v20
	v_mul_lo_u32 v22, v21, s28
	v_mul_lo_u32 v23, v20, s29
	v_mad_u64_u32 v[20:21], s[20:21], v20, s28, 0
	v_add3_u32 v21, v21, v23, v22
	v_add_u32_e32 v22, 3, v34
	v_ashrrev_i32_e32 v23, 31, v22
	v_mfma_f32_16x16x16_bf16 a[4:7], v[28:29], v[24:25], a[4:7]
	v_mul_lo_u32 v24, v23, s28
	v_mul_lo_u32 v25, v22, s29
	v_mad_u64_u32 v[22:23], s[20:21], v22, s28, 0
	s_add_u32 s20, s38, s58
	s_addc_u32 s21, s39, 0
	s_lshl_b64 s[20:21], s[20:21], 8
	v_add3_u32 v23, v23, v25, v24
	v_lshl_add_u64 v[24:25], v[56:57], 0, s[20:21]
	v_lshl_add_u64 v[18:19], v[18:19], 2, s[42:43]
	;; [unrolled: 1-line block ×4, first 2 shown]
	global_load_ushort v28, v[24:25], off
	global_load_ushort v27, v[24:25], off offset:256
	global_load_ushort v36, v[24:25], off offset:800
	;; [unrolled: 1-line block ×7, first 2 shown]
	v_lshl_add_u64 v[22:23], v[22:23], 2, s[42:43]
	global_load_dword v39, v[18:19], off
	global_load_dword v40, v[20:21], off
	;; [unrolled: 1-line block ×3, first 2 shown]
	s_load_dword s2, s[2:3], 0x0
	s_waitcnt lgkmcnt(0)
	v_mfma_f32_16x16x16_bf16 a[4:7], v[30:31], v[32:33], a[4:7]
	v_accvgpr_read_b32 v23, a1
	v_accvgpr_read_b32 v19, a3
	;; [unrolled: 1-line block ×4, first 2 shown]
	s_and_b64 vcc, exec, s[0:1]
	s_waitcnt vmcnt(11)
	v_sub_f32_e32 v32, s2, v26
	v_exp_f32_e32 v32, v32
	v_accvgpr_read_b32 v25, a5
	v_accvgpr_read_b32 v24, a4
	;; [unrolled: 1-line block ×4, first 2 shown]
	s_waitcnt vmcnt(10)
	v_lshlrev_b32_e32 v26, 16, v28
	s_waitcnt vmcnt(9)
	v_lshlrev_b32_e32 v27, 16, v27
	v_pk_add_f32 v[22:23], v[26:27], v[22:23] neg_lo:[0,1] neg_hi:[0,1]
	s_waitcnt vmcnt(7)
	v_lshlrev_b32_e32 v29, 16, v29
	v_mov_b32_e32 v26, 0
	s_waitcnt vmcnt(5)
	v_lshlrev_b32_e32 v28, 16, v34
	s_waitcnt vmcnt(4)
	v_lshlrev_b32_e32 v31, 16, v35
	s_waitcnt vmcnt(2)
	v_sub_f32_e32 v33, s2, v39
	s_waitcnt vmcnt(1)
	v_sub_f32_e32 v34, s2, v40
	;; [unrolled: 2-line block ×3, first 2 shown]
	v_exp_f32_e32 v33, v33
	v_exp_f32_e32 v34, v34
	;; [unrolled: 1-line block ×3, first 2 shown]
	v_pk_add_f32 v[18:19], v[28:29], v[18:19] neg_lo:[0,1] neg_hi:[0,1]
	v_lshlrev_b32_e32 v30, 16, v38
	v_pk_mul_f32 v[22:23], v[32:33], v[22:23]
	v_pk_mul_f32 v[18:19], v[34:35], v[18:19]
	v_mov_b32_e32 v27, 0
	v_perm_b32 v19, v19, v18, s62
	v_perm_b32 v18, v23, v22, s62
	v_pk_add_f32 v[22:23], v[30:31], v[24:25] neg_lo:[0,1] neg_hi:[0,1]
	v_lshlrev_b32_e32 v25, 16, v36
	v_lshlrev_b32_e32 v24, 16, v37
	v_pk_add_f32 v[20:21], v[24:25], v[20:21] neg_lo:[0,1] neg_hi:[0,1]
	v_pk_mul_f32 v[22:23], v[32:33], v[22:23]
	v_pk_mul_f32 v[20:21], v[34:35], v[20:21]
	v_mov_b32_e32 v24, 0
	v_perm_b32 v21, v21, v20, s62
	v_perm_b32 v20, v23, v22, s62
	ds_write2_b64 v74, v[18:19], v[20:21] offset1:16
	v_mov_b32_e32 v18, 0
	v_mov_b32_e32 v19, 0
	;; [unrolled: 1-line block ×13, first 2 shown]
	s_cbranch_vccnz .LBB416_14
; %bb.13:                               ;   in Loop: Header=BB416_6 Depth=1
	s_and_b32 s25, s25, 0xffff
	s_mov_b32 s27, s23
	buffer_load_dwordx4 v[30:33], v98, s[24:27], 0 offen
	buffer_load_dwordx4 v[22:25], v98, s[24:27], s56 offen
	;; [unrolled: 1-line block ×4, first 2 shown]
	v_mov_b32_e32 v115, v68
	v_mov_b32_e32 v116, v67
.LBB416_14:                             ;   in Loop: Header=BB416_6 Depth=1
	s_waitcnt lgkmcnt(0)
	s_barrier
	ds_read_b64 v[38:39], v102
	ds_read_b64 v[122:123], v97
	;; [unrolled: 1-line block ×5, first 2 shown]
	ds_read_b64 v[136:137], v94 offset:3072
	ds_read2_b64 v[34:37], v93 offset0:16 offset1:128
	s_waitcnt lgkmcnt(5)
	v_mfma_f32_16x16x16_bf16 a[0:3], v[38:39], v[122:123], 0
	s_add_i32 s3, s50, s64
	s_mul_hi_i32 s21, s3, s13
	s_mul_i32 s3, s3, s13
	s_waitcnt lgkmcnt(0)
	v_mfma_f32_16x16x16_bf16 a[4:7], v[38:39], v[34:35], 0
	ds_read_b64 v[38:39], v107
	ds_read2st64_b64 v[40:43], v94 offset0:2 offset1:4
	s_add_u32 s20, s3, s33
	s_addc_u32 s21, s21, s54
	s_add_i32 s3, s31, s58
	s_lshl_b64 s[20:21], s[20:21], 15
	s_mul_hi_i32 s25, s3, s13
	s_mul_i32 s3, s3, s13
	s_add_u32 s24, s3, s33
	s_waitcnt lgkmcnt(1)
	v_mfma_f32_16x16x16_bf16 a[8:11], v[38:39], v[122:123], 0
	s_addc_u32 s25, s25, s54
	ds_read2st64_b64 v[118:121], v93 offset0:4 offset1:6
	s_lshl_b64 s[24:25], s[24:25], 9
	v_mfma_f32_16x16x16_bf16 a[0:3], v[124:125], v[36:37], a[0:3]
	s_add_u32 s24, s40, s24
	s_addc_u32 s25, s41, s25
	s_waitcnt lgkmcnt(1)
	v_mfma_f32_16x16x16_bf16 a[4:7], v[124:125], v[40:41], a[4:7]
	ds_read_b64 v[124:125], v108
	ds_read_b64 v[132:133], v109
	;; [unrolled: 1-line block ×3, first 2 shown]
	v_mfma_f32_16x16x16_bf16 a[12:15], v[38:39], v[34:35], 0
	s_waitcnt lgkmcnt(2)
	v_mfma_f32_16x16x16_bf16 a[8:11], v[124:125], v[36:37], a[8:11]
	global_load_dwordx4 v[34:37], v106, s[24:25]
	v_mfma_f32_16x16x16_bf16 a[12:15], v[124:125], v[40:41], a[12:15]
	global_load_dwordx4 v[38:41], v101, s[24:25]
	ds_read2st64_b64 v[122:125], v95 offset1:8
	s_waitcnt lgkmcnt(0)
	v_mov_b32_e32 v130, v122
	v_mfma_f32_16x16x16_bf16 a[0:3], v[126:127], v[118:119], a[0:3]
	v_mov_b32_e32 v131, v123
	v_mfma_f32_16x16x16_bf16 a[4:7], v[126:127], v[42:43], a[4:7]
	ds_read2st64_b64 v[126:129], v96 offset1:8
	v_mfma_f32_16x16x16_bf16 a[8:11], v[132:133], v[118:119], a[8:11]
	v_lshl_add_u64 v[118:119], v[58:59], 0, s[20:21]
	v_mfma_f32_16x16x16_bf16 a[16:19], v[132:133], v[42:43], a[12:15]
	v_add_co_u32_e32 v42, vcc, s35, v118
	s_waitcnt lgkmcnt(0)
	v_mov_b32_e32 v132, v126
	v_mfma_f32_16x16x16_bf16 a[0:3], v[134:135], v[120:121], a[0:3]
	v_mov_b32_e32 v133, v127
	v_mov_b32_e32 v126, v124
	;; [unrolled: 1-line block ×3, first 2 shown]
	v_mfma_f32_16x16x16_bf16 a[4:7], v[134:135], v[136:137], a[4:7]
	v_addc_co_u32_e32 v43, vcc, 0, v119, vcc
	global_store_dwordx4 v[42:43], v[126:129], off
	v_mfma_f32_16x16x16_bf16 a[12:15], v[138:139], v[120:121], a[8:11]
	s_and_b64 vcc, exec, s[0:1]
	global_store_dwordx4 v[118:119], v[130:133], off
	s_waitcnt vmcnt(3)
	v_mov_b32_e32 v44, v37
	v_mfma_f32_16x16x16_bf16 a[8:11], v[138:139], v[136:137], a[16:19]
	v_mov_b32_e32 v43, v36
	v_mov_b32_e32 v42, v35
	s_cbranch_vccnz .LBB416_16
; %bb.15:                               ;   in Loop: Header=BB416_6 Depth=1
	v_lshrrev_b32_e32 v35, 3, v115
	v_and_b32_e32 v35, 6, v35
	v_xor_b32_e32 v36, v35, v116
	v_lshlrev_b32_e32 v36, 2, v36
	v_and_b32_e32 v37, 8, v115
	v_xor_b32_e32 v115, 0x440, v36
	v_cmp_eq_u32_e32 vcc, 0, v37
	v_perm_b32 v37, v22, v18, s59
	s_nop 0
	v_cndmask_b32_e32 v36, v115, v36, vcc
	v_lshl_or_b32 v35, v35, 10, v36
	v_perm_b32 v36, v30, v26, s59
	s_barrier
	ds_write2st64_b32 v35, v36, v37 offset0:32 offset1:64
	v_xor_b32_e32 v36, 8, v35
	v_perm_b32 v26, v30, v26, s60
	v_perm_b32 v18, v22, v18, s60
	v_add_u32_e32 v22, 0x80, v36
	ds_write2st64_b32 v22, v26, v18 offset0:32 offset1:64
	v_xor_b32_e32 v18, 16, v35
	v_perm_b32 v22, v31, v27, s59
	v_perm_b32 v26, v23, v19, s59
	ds_write2st64_b32 v18, v22, v26 offset0:33 offset1:65
	v_xor_b32_e32 v18, 24, v35
	v_perm_b32 v22, v31, v27, s60
	v_perm_b32 v19, v23, v19, s60
	v_add_u32_e32 v18, 0x80, v18
	ds_write2st64_b32 v18, v22, v19 offset0:33 offset1:65
	v_xor_b32_e32 v18, 32, v35
	v_perm_b32 v19, v32, v28, s59
	v_perm_b32 v22, v24, v20, s59
	;; [unrolled: 9-line block ×3, first 2 shown]
	ds_write2st64_b32 v18, v19, v20 offset0:35 offset1:67
	v_xor_b32_e32 v18, 56, v35
	v_perm_b32 v19, v33, v29, s60
	v_perm_b32 v20, v25, v21, s60
	v_add_u32_e32 v18, 0x80, v18
	ds_write2st64_b32 v18, v19, v20 offset0:35 offset1:67
	ds_write_b64 v114, v[14:15] offset:24576
	v_xor_b32_e32 v14, 8, v114
	ds_write_b64 v14, v[16:17] offset:24576
	ds_write_b64 v114, v[10:11] offset:32768
	;; [unrolled: 1-line block ×4, first 2 shown]
	v_xor_b32_e32 v6, 8, v113
	ds_write_b64 v6, v[8:9] offset:24576
	ds_write_b64 v113, v[2:3] offset:32768
	;; [unrolled: 1-line block ×3, first 2 shown]
.LBB416_16:                             ;   in Loop: Header=BB416_6 Depth=1
	v_exp_f32_e32 v18, s2
	s_waitcnt vmcnt(2)
	v_exp_f32_e32 v20, v38
	v_exp_f32_e32 v21, v39
	;; [unrolled: 1-line block ×4, first 2 shown]
	v_accvgpr_read_b32 v13, a3
	v_accvgpr_read_b32 v11, a1
	;; [unrolled: 1-line block ×4, first 2 shown]
	v_pk_mul_f32 v[20:21], v[18:19], v[20:21] op_sel_hi:[0,1]
	v_accvgpr_read_b32 v12, a2
	v_accvgpr_read_b32 v7, a5
	;; [unrolled: 1-line block ×3, first 2 shown]
	v_pk_fma_f32 v[50:51], v[50:51], v[20:21], v[10:11]
	v_pk_mul_f32 v[10:11], v[18:19], v[22:23] op_sel_hi:[0,1]
	v_pk_fma_f32 v[52:53], v[52:53], v[10:11], v[12:13]
	v_fma_f32 v85, v85, v20, v6
	v_fma_f32 v84, v84, v21, v7
	v_exp_f32_e32 v6, v34
	v_exp_f32_e32 v7, v42
	v_exp_f32_e32 v12, v43
	v_exp_f32_e32 v13, v44
	v_accvgpr_read_b32 v8, a6
	v_accvgpr_read_b32 v17, a15
	;; [unrolled: 1-line block ×9, first 2 shown]
	v_fma_f32 v86, v86, v10, v8
	v_fmac_f32_e32 v9, v112, v11
	v_pk_mul_f32 v[6:7], v[18:19], v[6:7] op_sel_hi:[0,1]
	v_pk_mul_f32 v[10:11], v[18:19], v[12:13] op_sel_hi:[0,1]
	s_add_i32 s58, s58, 64
	v_pk_fma_f32 v[46:47], v[46:47], v[6:7], v[14:15]
	v_pk_fma_f32 v[48:49], v[48:49], v[10:11], v[16:17]
	v_fma_f32 v82, v82, v6, v2
	v_fma_f32 v81, v81, v7, v3
	;; [unrolled: 1-line block ×3, first 2 shown]
	s_cmp_eq_u32 s47, s63
	v_fmac_f32_e32 v5, v111, v11
	s_cbranch_scc1 .LBB416_18
; %bb.17:                               ;   in Loop: Header=BB416_6 Depth=1
	s_mov_b32 s64, s63
	v_mov_b32_e32 v112, v9
	v_mov_b32_e32 v111, v5
	s_branch .LBB416_6
.LBB416_18:
	s_lshl_b32 s40, s47, 6
	s_sub_i32 s41, s12, s40
	s_cmp_gt_i32 s41, 0
	s_cbranch_scc0 .LBB416_83
; %bb.19:
	s_ashr_i32 s35, s48, 31
	s_ashr_i32 s2, s40, 31
	s_cmpk_lg_i32 s15, 0x80
	s_cselect_b64 s[26:27], -1, 0
	s_and_b64 vcc, exec, s[26:27]
	s_cbranch_vccz .LBB416_21
; %bb.20:
	s_mul_i32 s1, s48, s12
	s_mul_hi_i32 s0, s48, s12
	s_add_u32 s1, s1, s40
	s_addc_u32 s0, s0, s2
	s_mul_i32 s3, s1, s49
	s_mul_hi_u32 s20, s1, s14
	s_add_i32 s3, s20, s3
	s_mul_i32 s0, s0, s14
	s_add_i32 s3, s3, s0
	s_mul_i32 s1, s1, s14
	s_ashr_i32 s0, s52, 31
	s_add_u32 s38, s1, s52
	s_addc_u32 s39, s3, s0
	s_cbranch_execz .LBB416_22
	s_branch .LBB416_23
.LBB416_21:
                                        ; implicit-def: $sgpr38_sgpr39
.LBB416_22:
	s_mul_hi_i32 s0, s48, s14
	s_mul_i32 s48, s48, s14
	s_ashr_i32 s1, s52, 31
	s_add_u32 s3, s48, s52
	s_addc_u32 s0, s0, s1
	s_mul_i32 s1, s3, s46
	s_mul_hi_u32 s14, s3, s12
	s_add_i32 s1, s14, s1
	s_mul_i32 s0, s0, s12
	s_add_i32 s1, s1, s0
	s_mul_i32 s3, s3, s12
	s_add_u32 s38, s3, s40
	s_addc_u32 s39, s1, s2
.LBB416_23:
	s_add_i32 s3, s50, s47
	s_ashr_i32 s14, s33, 31
	s_add_u32 s0, s45, s33
	s_addc_u32 s1, s51, s14
	s_mul_i32 s20, s0, s46
	s_mul_hi_u32 s21, s0, s12
	s_add_i32 s20, s21, s20
	s_mul_i32 s1, s1, s12
	s_add_i32 s20, s20, s1
	s_mul_i32 s0, s0, s12
	s_add_u32 s0, s0, s40
	v_lshlrev_b32_e32 v8, 5, v65
	v_lshlrev_b32_e32 v22, 2, v45
	s_addc_u32 s1, s20, s2
	s_mov_b32 s2, 0x7060302
	v_or_b32_e32 v11, v8, v22
	v_xor_b32_e32 v4, v65, v22
	v_perm_b32 v3, v53, v52, s2
	v_perm_b32 v2, v51, v50, s2
	;; [unrolled: 1-line block ×4, first 2 shown]
	v_lshlrev_b32_e32 v11, 1, v11
	s_lshl_b64 s[24:25], s[0:1], 8
	v_xor_b32_e32 v10, v66, v22
	ds_write2st64_b64 v11, v[2:3], v[6:7] offset0:80 offset1:88
	v_lshlrev_b32_e32 v11, 1, v4
	v_lshlrev_b32_e32 v4, 8, v45
	s_add_u32 s0, s6, s24
	v_or_b32_e32 v12, v11, v4
	v_lshlrev_b32_e32 v10, 1, v10
	s_addc_u32 s1, s7, s25
	ds_write_b64 v12, v[2:3]
	v_or_b32_e32 v2, v10, v4
	s_mul_hi_i32 s6, s3, s13
	s_mul_i32 s3, s3, s13
	ds_write_b64 v2, v[6:7]
	v_perm_b32 v3, v9, v86, s2
	v_perm_b32 v2, v84, v85, s2
	;; [unrolled: 1-line block ×4, first 2 shown]
	v_or_b32_e32 v6, 16, v45
	s_add_u32 s2, s3, s33
	v_lshlrev_b32_e32 v19, 2, v6
	s_addc_u32 s3, s6, s14
	v_or_b32_e32 v7, v8, v19
	s_ashr_i32 s31, s30, 31
	s_lshl_b64 s[2:3], s[2:3], 15
	v_lshlrev_b32_e32 v7, 1, v7
	v_lshlrev_b32_e32 v6, 8, v6
	s_add_u32 s6, s36, s2
	ds_write2st64_b64 v7, v[2:3], v[4:5] offset0:80 offset1:88
	v_or_b32_e32 v7, v11, v6
	s_addc_u32 s7, s37, s3
	s_lshl_b64 s[2:3], s[30:31], 8
	ds_write_b64 v7, v[2:3]
	v_or_b32_e32 v2, v10, v6
	s_add_u32 s2, s6, s2
	ds_write_b64 v2, v[4:5]
	v_lshrrev_b32_e32 v2, 4, v0
	s_addc_u32 s3, s7, s3
	v_lshlrev_b32_e32 v3, 1, v45
	v_lshlrev_b32_e32 v10, 4, v45
	v_mov_b32_e32 v11, 0
	v_or_b32_e32 v4, 1, v3
	v_xor_b32_e32 v3, v2, v3
	v_lshl_add_u64 v[12:13], s[2:3], 0, v[10:11]
	v_lshlrev_b32_e32 v10, 8, v2
	v_xor_b32_e32 v6, v4, v2
	v_lshl_or_b32 v2, v3, 3, v10
	s_waitcnt lgkmcnt(0)
	s_barrier
	ds_read2st64_b64 v[2:5], v2 offset1:8
	v_lshl_or_b32 v6, v6, 3, v10
	ds_read2st64_b64 v[6:9], v6 offset1:8
	v_lshl_add_u64 v[14:15], v[12:13], 0, v[10:11]
	s_movk_i32 s2, 0x1000
	s_waitcnt lgkmcnt(1)
	v_mov_b32_e32 v10, v2
	v_add_co_u32_e32 v2, vcc, s2, v14
	s_cmp_lg_u32 s41, 64
	v_mov_b32_e32 v11, v3
	v_addc_co_u32_e32 v3, vcc, 0, v15, vcc
	s_cselect_b64 s[6:7], -1, 0
	v_lshl_or_b32 v23, v61, 3, v64
	s_waitcnt lgkmcnt(0)
	v_mov_b32_e32 v12, v6
	v_mov_b32_e32 v13, v7
	v_mov_b32_e32 v6, v4
	v_mov_b32_e32 v7, v5
	s_mov_b32 s20, 0
	v_or_b32_e32 v20, 32, v23
	v_and_b32_e32 v18, 56, v63
	s_and_b64 vcc, exec, s[6:7]
	global_store_dwordx4 v[14:15], v[10:13], off
	global_store_dwordx4 v[2:3], v[6:9], off
	s_cbranch_vccz .LBB416_29
; %bb.24:
	s_mov_b32 s21, s20
	s_mov_b32 s22, s20
	;; [unrolled: 1-line block ×3, first 2 shown]
	v_mov_b64_e32 v[6:7], s[20:21]
	v_mov_b64_e32 v[8:9], s[22:23]
	;; [unrolled: 1-line block ×3, first 2 shown]
	v_cmp_gt_i32_e32 vcc, s41, v23
	v_mov_b64_e32 v[4:5], v[8:9]
	s_and_saveexec_b64 s[2:3], vcc
	s_cbranch_execz .LBB416_26
; %bb.25:
	v_lshlrev_b32_e32 v2, 8, v23
	v_mov_b32_e32 v3, 0
	v_lshl_add_u64 v[4:5], s[0:1], 0, v[2:3]
	v_lshlrev_b32_e32 v2, 1, v18
	v_lshl_add_u64 v[10:11], v[4:5], 0, v[2:3]
	global_load_dwordx4 v[6:9], v[10:11], off
	global_load_dwordx4 v[2:5], v[10:11], off offset:128
.LBB416_26:
	s_or_b64 exec, exec, s[2:3]
	s_mov_b32 s21, s20
	s_mov_b32 s22, s20
	s_mov_b32 s23, s20
	v_mov_b64_e32 v[14:15], s[20:21]
	v_mov_b64_e32 v[16:17], s[22:23]
	;; [unrolled: 1-line block ×3, first 2 shown]
	v_cmp_gt_i32_e32 vcc, s41, v20
	v_lshlrev_b32_e32 v21, 7, v20
	v_mov_b64_e32 v[12:13], v[16:17]
	s_and_saveexec_b64 s[2:3], vcc
	s_cbranch_execz .LBB416_28
; %bb.27:
	v_lshlrev_b32_e32 v10, 1, v21
	v_mov_b32_e32 v11, 0
	v_lshl_add_u64 v[12:13], s[0:1], 0, v[10:11]
	v_lshlrev_b32_e32 v10, 1, v18
	v_lshl_add_u64 v[24:25], v[12:13], 0, v[10:11]
	global_load_dwordx4 v[14:17], v[24:25], off
	global_load_dwordx4 v[10:13], v[24:25], off offset:128
.LBB416_28:
	s_or_b64 exec, exec, s[2:3]
	v_lshrrev_b32_e32 v24, 3, v18
	v_lshlrev_b32_e32 v25, 3, v23
	v_or_b32_e32 v24, v25, v24
	v_lshlrev_b32_e32 v24, 4, v24
	v_and_b32_e32 v25, 0x78, v25
	v_xor_b32_e32 v24, v24, v25
	s_branch .LBB416_31
.LBB416_29:
                                        ; implicit-def: $vgpr24
                                        ; implicit-def: $vgpr21
                                        ; implicit-def: $vgpr6_vgpr7_vgpr8_vgpr9
                                        ; implicit-def: $vgpr2_vgpr3_vgpr4_vgpr5
                                        ; implicit-def: $vgpr14_vgpr15_vgpr16_vgpr17
                                        ; implicit-def: $vgpr10_vgpr11_vgpr12_vgpr13
	s_cbranch_execz .LBB416_31
; %bb.30:
	s_waitcnt vmcnt(0)
	v_lshlrev_b32_e32 v2, 1, v18
	v_lshl_or_b32 v21, v23, 8, v2
	s_and_b32 s1, s1, 0xffff
	s_mov_b32 s3, 0x20000
	s_movk_i32 s2, 0x4000
	v_lshl_or_b32 v24, v20, 8, v2
	s_movk_i32 s13, 0x80
	buffer_load_dwordx4 v[6:9], v21, s[0:3], 0 offen
	buffer_load_dwordx4 v[2:5], v21, s[0:3], s13 offen
	;; [unrolled: 1-line block ×4, first 2 shown]
	v_lshrrev_b32_e32 v21, 3, v18
	v_lshlrev_b32_e32 v24, 3, v23
	v_or_b32_e32 v21, v24, v21
	v_lshlrev_b32_e32 v21, 4, v21
	v_and_b32_e32 v24, 0x78, v24
	v_xor_b32_e32 v24, v21, v24
	v_lshlrev_b32_e32 v21, 7, v20
.LBB416_31:
	s_lshl_b64 s[0:1], s[38:39], 8
	s_add_u32 s4, s4, s0
	s_movk_i32 s0, 0x1000
	v_and_or_b32 v20, v21, s0, v24
	s_waitcnt vmcnt(1)
	ds_write_b64 v24, v[6:7] offset:24576
	v_xor_b32_e32 v6, 8, v24
	ds_write_b64 v6, v[8:9] offset:24576
	s_waitcnt vmcnt(0)
	ds_write_b64 v24, v[2:3] offset:32768
	ds_write_b64 v6, v[4:5] offset:32768
	;; [unrolled: 1-line block ×3, first 2 shown]
	v_xor_b32_e32 v2, 8, v20
	ds_write_b64 v2, v[16:17] offset:24576
	ds_write_b64 v20, v[10:11] offset:32768
	;; [unrolled: 1-line block ×3, first 2 shown]
	v_or_b32_e32 v2, v1, v45
	v_lshlrev_b32_e32 v3, 11, v61
	v_lshlrev_b32_e32 v2, 3, v2
	v_and_b32_e32 v6, 0x1000, v3
	v_lshrrev_b32_e32 v3, 5, v60
	s_movk_i32 s13, 0xf8
	v_and_or_b32 v3, v2, s13, v3
	v_lshlrev_b32_e32 v7, 4, v3
	v_and_b32_e32 v8, 0x78, v2
	v_or_b32_e32 v10, 32, v7
	v_lshrrev_b32_e32 v3, 1, v60
	v_xor_b32_e32 v10, v10, v8
	v_xor_b32_e32 v2, v7, v8
	v_and_b32_e32 v9, 8, v3
	v_or_b32_e32 v10, v10, v6
	v_or_b32_e32 v2, v2, v6
	v_xor_b32_e32 v26, v10, v9
	v_or_b32_e32 v10, 64, v7
	v_xor_b32_e32 v25, v2, v9
	v_xor_b32_e32 v10, v10, v8
	s_waitcnt lgkmcnt(0)
	s_barrier
	v_or_b32_e32 v12, v10, v6
	ds_read_b64 v[10:11], v25 offset:24576
	v_lshl_or_b32 v20, v62, 7, v22
	v_lshlrev_b32_e32 v24, 1, v20
	v_add_u32_e32 v2, 0xa000, v24
	ds_read2_b64 v[2:5], v2 offset1:16
	v_or_b32_e32 v7, 0x60, v7
	v_xor_b32_e32 v7, v7, v8
	s_waitcnt lgkmcnt(0)
	v_mfma_f32_16x16x16_bf16 a[0:3], v[10:11], v[2:3], 0
	v_or_b32_e32 v2, 64, v20
	v_or_b32_e32 v6, v7, v6
	v_lshlrev_b32_e32 v29, 1, v2
	v_xor_b32_e32 v27, v12, v9
	v_xor_b32_e32 v28, v6, v9
	ds_read_b64 v[12:13], v26 offset:24576
	ds_read_b64 v[14:15], v27 offset:24576
	;; [unrolled: 1-line block ×3, first 2 shown]
	v_mfma_f32_16x16x16_bf16 a[4:7], v[10:11], v[4:5], 0
	ds_read2st64_b64 v[2:5], v29 offset0:82 offset1:84
	ds_read2st64_b64 v[6:9], v24 offset0:82 offset1:84
	s_addc_u32 s5, s5, s1
	s_add_i32 s2, s12, -1
	s_add_i32 s0, s44, s17
	s_mul_i32 s35, s35, s16
	s_add_i32 s35, s0, s35
	s_mul_i32 s0, s33, s19
	s_mul_hi_u32 s1, s33, s18
	s_ashr_i32 s3, s2, 31
	s_mul_i32 s12, s2, s29
	s_mul_hi_u32 s13, s2, s28
	s_add_i32 s0, s1, s0
	s_mul_i32 s1, s14, s18
	s_add_i32 s12, s13, s12
	s_mul_i32 s3, s3, s28
	s_waitcnt lgkmcnt(1)
	v_mfma_f32_16x16x16_bf16 a[4:7], v[12:13], v[2:3], a[4:7]
	s_add_i32 s1, s0, s1
	s_add_i32 s3, s12, s3
	s_lshl_b64 s[12:13], s[34:35], 2
	s_waitcnt lgkmcnt(0)
	v_mfma_f32_16x16x16_bf16 a[0:3], v[12:13], v[6:7], a[0:3]
	s_mul_i32 s0, s33, s18
	s_add_u32 s10, s10, s12
	s_addc_u32 s11, s11, s13
	s_lshl_b64 s[0:1], s[0:1], 2
	s_mul_i32 s2, s2, s28
	s_add_u32 s10, s10, s0
	ds_read_b64 v[2:3], v24 offset:44032
	v_mfma_f32_16x16x16_bf16 a[4:7], v[14:15], v[4:5], a[4:7]
	ds_read_b64 v[4:5], v29 offset:44032
	s_addc_u32 s11, s11, s1
	s_lshl_b64 s[0:1], s[2:3], 2
	v_mfma_f32_16x16x16_bf16 a[0:3], v[14:15], v[8:9], a[0:3]
	s_add_u32 s0, s10, s0
	s_addc_u32 s1, s11, s1
	s_load_dword s12, s[0:1], 0x0
	s_waitcnt lgkmcnt(0)
	v_mfma_f32_16x16x16_bf16 a[0:3], v[16:17], v[2:3], a[0:3]
	s_and_b64 vcc, exec, s[26:27]
	v_mfma_f32_16x16x16_bf16 a[4:7], v[16:17], v[4:5], a[4:7]
	s_cbranch_vccz .LBB416_42
; %bb.32:
	v_lshlrev_b32_e32 v20, 1, v23
	s_and_b64 vcc, exec, s[6:7]
	s_cbranch_vccz .LBB416_43
; %bb.33:
	v_cmp_gt_i32_e32 vcc, s41, v20
	v_mov_b32_e32 v6, 0
	v_mov_b32_e32 v2, 0
	;; [unrolled: 1-line block ×5, first 2 shown]
	s_and_saveexec_b64 s[0:1], vcc
	s_cbranch_execz .LBB416_35
; %bb.34:
	v_mad_i64_i32 v[2:3], s[2:3], s15, v20, 0
	v_lshl_add_u64 v[2:3], v[2:3], 1, s[4:5]
	v_lshlrev_b32_e32 v4, 1, v18
	v_mov_b32_e32 v5, 0
	v_lshl_add_u64 v[2:3], v[2:3], 0, v[4:5]
	global_load_dwordx4 v[2:5], v[2:3], off
.LBB416_35:
	s_or_b64 exec, exec, s[0:1]
	v_or_b32_e32 v21, 1, v20
	v_cmp_gt_i32_e64 s[0:1], s41, v21
	v_mov_b32_e32 v7, 0
	v_mov_b32_e32 v8, 0
	;; [unrolled: 1-line block ×3, first 2 shown]
	s_and_saveexec_b64 s[2:3], s[0:1]
	s_cbranch_execz .LBB416_37
; %bb.36:
	v_mad_i64_i32 v[6:7], s[16:17], s15, v21, 0
	v_lshl_add_u64 v[6:7], v[6:7], 1, s[4:5]
	v_lshlrev_b32_e32 v8, 1, v18
	v_mov_b32_e32 v9, 0
	v_lshl_add_u64 v[6:7], v[6:7], 0, v[8:9]
	global_load_dwordx4 v[6:9], v[6:7], off
.LBB416_37:
	s_or_b64 exec, exec, s[2:3]
	v_mov_b32_e32 v17, 0
	v_mov_b32_e32 v10, 0
	v_mov_b32_e32 v11, 0
	v_mov_b32_e32 v12, 0
	v_mov_b32_e32 v13, 0
	s_and_saveexec_b64 s[2:3], vcc
	s_cbranch_execz .LBB416_39
; %bb.38:
	v_mad_i64_i32 v[10:11], s[16:17], s15, v20, 0
	v_lshl_add_u64 v[10:11], v[10:11], 1, s[4:5]
	v_lshlrev_b32_e32 v12, 1, v18
	v_mov_b32_e32 v13, 0
	v_lshl_add_u64 v[10:11], v[10:11], 0, v[12:13]
	global_load_dwordx4 v[10:13], v[10:11], off offset:128
.LBB416_39:
	s_or_b64 exec, exec, s[2:3]
	v_mov_b32_e32 v16, 0
	v_mov_b32_e32 v15, 0
	;; [unrolled: 1-line block ×3, first 2 shown]
	s_and_saveexec_b64 s[2:3], s[0:1]
	s_cbranch_execz .LBB416_41
; %bb.40:
	v_mad_i64_i32 v[14:15], s[0:1], s15, v21, 0
	v_lshl_add_u64 v[14:15], v[14:15], 1, s[4:5]
	v_lshlrev_b32_e32 v16, 1, v18
	v_mov_b32_e32 v17, 0
	v_lshl_add_u64 v[14:15], v[14:15], 0, v[16:17]
	global_load_dwordx4 v[14:17], v[14:15], off offset:128
.LBB416_41:
	s_or_b64 exec, exec, s[2:3]
	s_branch .LBB416_45
.LBB416_42:
                                        ; implicit-def: $vgpr5
                                        ; implicit-def: $vgpr9
                                        ; implicit-def: $vgpr13
                                        ; implicit-def: $vgpr17
	v_lshrrev_b32_e32 v30, 2, v60
	s_branch .LBB416_46
.LBB416_43:
                                        ; implicit-def: $vgpr5
                                        ; implicit-def: $vgpr9
                                        ; implicit-def: $vgpr13
                                        ; implicit-def: $vgpr17
	s_cbranch_execz .LBB416_45
; %bb.44:
	s_waitcnt vmcnt(0)
	v_mad_u64_u32 v[2:3], s[0:1], v20, s15, v[18:19]
	v_lshlrev_b32_e32 v20, 1, v2
	s_lshl_b32 s2, s15, 7
	s_and_b32 s1, s5, 0xffff
	s_mov_b32 s3, 0x20000
	s_mov_b32 s0, s4
	v_add_lshl_u32 v21, v2, s15, 1
	s_movk_i32 s13, 0x80
	buffer_load_dwordx4 v[2:5], v20, s[0:3], 0 offen
	buffer_load_dwordx4 v[10:13], v20, s[0:3], s13 offen
	buffer_load_dwordx4 v[6:9], v21, s[0:3], 0 offen
	buffer_load_dwordx4 v[14:17], v21, s[0:3], s13 offen
.LBB416_45:
	v_lshrrev_b32_e32 v30, 2, v60
	s_cbranch_execnz .LBB416_58
.LBB416_46:
	s_and_b64 vcc, exec, s[6:7]
	s_cbranch_vccz .LBB416_56
; %bb.47:
	s_waitcnt vmcnt(0)
	v_lshlrev_b32_e32 v7, 1, v23
	v_cmp_gt_i32_e32 vcc, s41, v7
	v_mov_b32_e32 v6, 0
	v_lshlrev_b32_e32 v14, 9, v23
	v_mov_b32_e32 v2, 0
	v_mov_b32_e32 v3, 0
	;; [unrolled: 1-line block ×4, first 2 shown]
	s_and_saveexec_b64 s[0:1], vcc
	s_cbranch_execz .LBB416_49
; %bb.48:
	v_mov_b32_e32 v15, 0
	v_lshl_add_u64 v[2:3], s[4:5], 0, v[14:15]
	v_lshlrev_b32_e32 v4, 1, v18
	v_mov_b32_e32 v5, v15
	v_lshl_add_u64 v[2:3], v[2:3], 0, v[4:5]
	global_load_dwordx4 v[2:5], v[2:3], off
.LBB416_49:
	s_or_b64 exec, exec, s[0:1]
	v_or_b32_e32 v7, 1, v7
	v_cmp_gt_i32_e64 s[0:1], s41, v7
	v_lshlrev_b32_e32 v20, 8, v7
	v_mov_b32_e32 v7, 0
	v_mov_b32_e32 v8, 0
	;; [unrolled: 1-line block ×3, first 2 shown]
	s_and_saveexec_b64 s[2:3], s[0:1]
	s_cbranch_execz .LBB416_51
; %bb.50:
	v_mov_b32_e32 v21, 0
	v_lshl_add_u64 v[6:7], s[4:5], 0, v[20:21]
	v_lshlrev_b32_e32 v8, 1, v18
	v_mov_b32_e32 v9, v21
	v_lshl_add_u64 v[6:7], v[6:7], 0, v[8:9]
	global_load_dwordx4 v[6:9], v[6:7], off
.LBB416_51:
	s_or_b64 exec, exec, s[2:3]
	v_mov_b32_e32 v17, 0
	v_mov_b32_e32 v10, 0
	;; [unrolled: 1-line block ×5, first 2 shown]
	s_and_saveexec_b64 s[2:3], vcc
	s_cbranch_execz .LBB416_53
; %bb.52:
	v_mov_b32_e32 v15, 0
	v_lshl_add_u64 v[10:11], s[4:5], 0, v[14:15]
	v_lshlrev_b32_e32 v14, 1, v18
	v_lshl_add_u64 v[10:11], v[10:11], 0, v[14:15]
	global_load_dwordx4 v[10:13], v[10:11], off offset:128
.LBB416_53:
	s_or_b64 exec, exec, s[2:3]
	v_mov_b32_e32 v16, 0
	v_mov_b32_e32 v15, 0
	;; [unrolled: 1-line block ×3, first 2 shown]
	s_and_saveexec_b64 s[2:3], s[0:1]
	s_cbranch_execz .LBB416_55
; %bb.54:
	v_mov_b32_e32 v21, 0
	v_lshl_add_u64 v[14:15], s[4:5], 0, v[20:21]
	v_lshlrev_b32_e32 v20, 1, v18
	v_lshl_add_u64 v[14:15], v[14:15], 0, v[20:21]
	global_load_dwordx4 v[14:17], v[14:15], off offset:128
.LBB416_55:
	s_or_b64 exec, exec, s[2:3]
	s_branch .LBB416_58
.LBB416_56:
                                        ; implicit-def: $vgpr5
                                        ; implicit-def: $vgpr9
                                        ; implicit-def: $vgpr13
                                        ; implicit-def: $vgpr17
	s_cbranch_execz .LBB416_58
; %bb.57:
	s_waitcnt vmcnt(0)
	v_lshlrev_b32_e32 v2, 1, v18
	v_lshl_or_b32 v18, v23, 9, v2
	s_and_b32 s5, s5, 0xffff
	s_mov_b32 s7, 0x20000
	s_movk_i32 s6, 0x4000
	s_movk_i32 s0, 0x80
	buffer_load_dwordx4 v[2:5], v18, s[4:7], 0 offen
	buffer_load_dwordx4 v[6:9], v18, s[4:7], 0 offen offset:256
	buffer_load_dwordx4 v[10:13], v18, s[4:7], s0 offen
	buffer_load_dwordx4 v[14:17], v18, s[4:7], s0 offen offset:256
.LBB416_58:
	ds_read_b64 v[20:21], v25 offset:32768
	v_add_u32_e32 v18, 0xb000, v24
	ds_read2_b64 v[32:35], v18 offset1:16
	ds_read_b64 v[40:41], v26 offset:32768
	ds_read_b64 v[26:27], v27 offset:32768
	;; [unrolled: 1-line block ×3, first 2 shown]
	v_and_b32_e32 v18, 6, v0
	v_xor_b32_e32 v23, v23, v18
	v_lshlrev_b32_e32 v23, 2, v23
	v_and_b32_e32 v0, 1, v0
	v_xor_b32_e32 v28, 0x440, v23
	v_cmp_eq_u32_e32 vcc, 0, v0
	s_waitcnt lgkmcnt(3)
	v_mfma_f32_16x16x16_bf16 a[0:3], v[20:21], v[32:33], a[0:3]
	s_mov_b32 s0, 0x1000504
	v_cndmask_b32_e32 v0, v28, v23, vcc
	v_lshl_or_b32 v0, v18, 10, v0
	v_mfma_f32_16x16x16_bf16 a[4:7], v[20:21], v[34:35], a[4:7]
	ds_read2st64_b64 v[32:35], v24 offset0:90 offset1:92
	ds_read2st64_b64 v[36:39], v29 offset0:90 offset1:92
	ds_read_b64 v[20:21], v24 offset:48128
	ds_read_b64 v[24:25], v29 offset:48128
	s_waitcnt vmcnt(0)
	v_perm_b32 v18, v2, v6, s0
	s_waitcnt lgkmcnt(3)
	v_mfma_f32_16x16x16_bf16 a[0:3], v[40:41], v[32:33], a[0:3]
	s_mov_b32 s1, 0x3020706
	v_perm_b32 v2, v2, v6, s1
	v_perm_b32 v6, v10, v14, s1
	s_waitcnt lgkmcnt(2)
	v_mfma_f32_16x16x16_bf16 a[4:7], v[40:41], v[36:37], a[4:7]
	v_mfma_f32_16x16x16_bf16 a[0:3], v[26:27], v[34:35], a[0:3]
	;; [unrolled: 1-line block ×3, first 2 shown]
	s_waitcnt lgkmcnt(1)
	v_mfma_f32_16x16x16_bf16 a[4:7], v[42:43], v[20:21], a[0:3]
	v_perm_b32 v20, v10, v14, s0
	ds_write2st64_b32 v0, v18, v20 offset0:32 offset1:64
	v_xor_b32_e32 v18, 8, v0
	v_add_u32_e32 v10, 0x80, v18
	ds_write2st64_b32 v10, v2, v6 offset0:32 offset1:64
	v_xor_b32_e32 v2, 16, v0
	v_perm_b32 v6, v3, v7, s0
	v_perm_b32 v10, v11, v15, s0
	ds_write2st64_b32 v2, v6, v10 offset0:33 offset1:65
	v_xor_b32_e32 v2, 24, v0
	v_perm_b32 v3, v3, v7, s1
	v_perm_b32 v6, v11, v15, s1
	v_add_u32_e32 v2, 0x80, v2
	ds_write2st64_b32 v2, v3, v6 offset0:33 offset1:65
	v_xor_b32_e32 v2, 32, v0
	v_perm_b32 v3, v4, v8, s0
	v_perm_b32 v6, v12, v16, s0
	s_waitcnt lgkmcnt(4)
	v_mfma_f32_16x16x16_bf16 a[0:3], v[42:43], v[24:25], a[8:11]
	ds_write2st64_b32 v2, v3, v6 offset0:34 offset1:66
	v_xor_b32_e32 v2, 40, v0
	v_perm_b32 v3, v4, v8, s1
	v_perm_b32 v4, v12, v16, s1
	v_add_u32_e32 v2, 0x80, v2
	ds_write2st64_b32 v2, v3, v4 offset0:34 offset1:66
	v_xor_b32_e32 v2, 48, v0
	v_perm_b32 v3, v5, v9, s0
	v_perm_b32 v4, v13, v17, s0
	v_xor_b32_e32 v0, 56, v0
	v_and_or_b32 v18, v30, 12, v1
	ds_write2st64_b32 v2, v3, v4 offset0:35 offset1:67
	v_perm_b32 v2, v5, v9, s1
	v_perm_b32 v3, v13, v17, s1
	v_add_u32_e32 v0, 0x80, v0
	v_cmp_gt_i32_e32 vcc, s41, v18
	v_mov_b32_e32 v14, 0
	v_mov_b32_e32 v16, 0
	ds_write2st64_b32 v0, v2, v3 offset0:35 offset1:67
	s_and_saveexec_b64 s[0:1], vcc
	s_cbranch_execz .LBB416_60
; %bb.59:
	v_add_u32_e32 v0, s40, v18
	v_ashrrev_i32_e32 v1, 31, v0
	v_mul_lo_u32 v2, v1, s28
	v_mul_lo_u32 v3, v0, s29
	v_mad_u64_u32 v[0:1], s[2:3], v0, s28, 0
	v_add3_u32 v1, v1, v3, v2
	v_lshl_add_u64 v[0:1], v[0:1], 2, s[10:11]
	global_load_dword v0, v[0:1], off
	s_waitcnt vmcnt(0)
	v_sub_f32_e32 v0, s12, v0
	v_exp_f32_e32 v16, v0
.LBB416_60:
	s_or_b64 exec, exec, s[0:1]
	v_or_b32_e32 v8, 1, v18
	v_cmp_gt_i32_e64 s[0:1], s41, v8
	s_and_saveexec_b64 s[2:3], s[0:1]
	s_cbranch_execz .LBB416_62
; %bb.61:
	v_add_u32_e32 v0, s40, v8
	v_ashrrev_i32_e32 v1, 31, v0
	v_mul_lo_u32 v2, v1, s28
	v_mul_lo_u32 v3, v0, s29
	v_mad_u64_u32 v[0:1], s[4:5], v0, s28, 0
	v_add3_u32 v1, v1, v3, v2
	v_lshl_add_u64 v[0:1], v[0:1], 2, s[10:11]
	global_load_dword v0, v[0:1], off
	s_waitcnt vmcnt(0)
	v_sub_f32_e32 v0, s12, v0
	v_exp_f32_e32 v14, v0
.LBB416_62:
	s_or_b64 exec, exec, s[2:3]
	v_or_b32_e32 v10, 2, v18
	v_cmp_gt_i32_e64 s[2:3], s41, v10
	v_mov_b32_e32 v15, 0
	v_mov_b32_e32 v17, 0
	s_and_saveexec_b64 s[4:5], s[2:3]
	s_cbranch_execz .LBB416_64
; %bb.63:
	v_add_u32_e32 v0, s40, v10
	v_ashrrev_i32_e32 v1, 31, v0
	v_mul_lo_u32 v2, v1, s28
	v_mul_lo_u32 v3, v0, s29
	v_mad_u64_u32 v[0:1], s[6:7], v0, s28, 0
	v_add3_u32 v1, v1, v3, v2
	v_lshl_add_u64 v[0:1], v[0:1], 2, s[10:11]
	global_load_dword v0, v[0:1], off
	s_waitcnt vmcnt(0)
	v_sub_f32_e32 v0, s12, v0
	v_exp_f32_e32 v17, v0
.LBB416_64:
	s_or_b64 exec, exec, s[4:5]
	v_or_b32_e32 v12, 3, v18
	v_cmp_gt_i32_e64 s[4:5], s41, v12
	s_and_saveexec_b64 s[6:7], s[4:5]
	s_cbranch_execz .LBB416_66
; %bb.65:
	v_add_u32_e32 v0, s40, v12
	v_ashrrev_i32_e32 v1, 31, v0
	v_mul_lo_u32 v2, v1, s28
	v_mul_lo_u32 v3, v0, s29
	v_mad_u64_u32 v[0:1], s[14:15], v0, s28, 0
	v_add3_u32 v1, v1, v3, v2
	v_lshl_add_u64 v[0:1], v[0:1], 2, s[10:11]
	global_load_dword v0, v[0:1], off
	s_waitcnt vmcnt(0)
	v_sub_f32_e32 v0, s12, v0
	v_exp_f32_e32 v15, v0
.LBB416_66:
	s_or_b64 exec, exec, s[6:7]
	v_or_b32_e32 v4, s30, v45
	s_add_u32 s6, s8, s24
	v_accvgpr_read_b32 v0, a4
	s_addc_u32 s7, s9, s25
	v_ashrrev_i32_e32 v5, 31, v4
	v_accvgpr_read_b32 v1, a5
	v_accvgpr_read_b32 v2, a6
	;; [unrolled: 1-line block ×3, first 2 shown]
	v_lshl_add_u64 v[4:5], v[4:5], 1, s[6:7]
	v_mov_b32_e32 v9, 0
	v_lshlrev_b32_e32 v6, 8, v18
	v_mov_b32_e32 v7, 0
	s_and_saveexec_b64 s[6:7], vcc
	s_cbranch_execz .LBB416_68
; %bb.67:
	v_mov_b32_e32 v7, 0
	v_lshl_add_u64 v[20:21], v[4:5], 0, v[6:7]
	global_load_ushort v7, v[20:21], off
	s_waitcnt vmcnt(0)
	v_lshlrev_b32_e32 v7, 16, v7
	v_sub_f32_e32 v0, v7, v0
	v_mul_f32_e32 v0, v16, v0
	v_lshrrev_b32_e32 v7, 16, v0
.LBB416_68:
	s_or_b64 exec, exec, s[6:7]
	v_lshlrev_b32_e32 v8, 8, v8
	s_and_saveexec_b64 s[6:7], s[0:1]
	s_cbranch_execz .LBB416_70
; %bb.69:
	v_mov_b32_e32 v9, 0
	v_lshl_add_u64 v[20:21], v[4:5], 0, v[8:9]
	global_load_ushort v0, v[20:21], off
	s_waitcnt vmcnt(0)
	v_lshlrev_b32_e32 v0, 16, v0
	v_sub_f32_e32 v0, v0, v1
	v_mul_f32_e32 v0, v14, v0
	v_lshrrev_b32_e32 v9, 16, v0
.LBB416_70:
	s_or_b64 exec, exec, s[6:7]
	v_mov_b32_e32 v13, 0
	v_lshlrev_b32_e32 v10, 8, v10
	v_mov_b32_e32 v11, 0
	s_and_saveexec_b64 s[6:7], s[2:3]
	s_cbranch_execz .LBB416_72
; %bb.71:
	v_mov_b32_e32 v11, 0
	v_lshl_add_u64 v[0:1], v[4:5], 0, v[10:11]
	global_load_ushort v0, v[0:1], off
	s_waitcnt vmcnt(0)
	v_lshlrev_b32_e32 v0, 16, v0
	v_sub_f32_e32 v0, v0, v2
	v_mul_f32_e32 v0, v17, v0
	v_lshrrev_b32_e32 v11, 16, v0
.LBB416_72:
	s_or_b64 exec, exec, s[6:7]
	v_lshlrev_b32_e32 v12, 8, v12
	s_and_saveexec_b64 s[6:7], s[4:5]
	s_cbranch_execz .LBB416_74
; %bb.73:
	v_mov_b32_e32 v13, 0
	v_lshl_add_u64 v[0:1], v[4:5], 0, v[12:13]
	global_load_ushort v0, v[0:1], off
	s_waitcnt vmcnt(0)
	v_lshlrev_b32_e32 v0, 16, v0
	v_sub_f32_e32 v0, v0, v3
	v_mul_f32_e32 v0, v15, v0
	v_lshrrev_b32_e32 v13, 16, v0
.LBB416_74:
	s_or_b64 exec, exec, s[6:7]
	v_lshlrev_b32_e32 v18, 5, v18
	s_mov_b32 s6, 0x5040100
	v_perm_b32 v20, v9, v7, s6
	v_or_b32_e32 v7, v18, v22
	v_accvgpr_read_b32 v0, a0
	v_perm_b32 v21, v13, v11, s6
	v_lshlrev_b32_e32 v7, 1, v7
	v_accvgpr_read_b32 v1, a1
	v_accvgpr_read_b32 v2, a2
	;; [unrolled: 1-line block ×3, first 2 shown]
	ds_write_b64 v7, v[20:21] offset:45056
	v_mov_b32_e32 v9, 0
	v_mov_b32_e32 v7, 0
	s_and_saveexec_b64 s[6:7], vcc
	s_cbranch_execz .LBB416_76
; %bb.75:
	v_mov_b32_e32 v7, 0
	v_lshl_add_u64 v[6:7], v[4:5], 0, v[6:7]
	global_load_ushort v6, v[6:7], off offset:32
	s_waitcnt vmcnt(0)
	v_lshlrev_b32_e32 v6, 16, v6
	v_sub_f32_e32 v0, v6, v0
	v_mul_f32_e32 v0, v16, v0
	v_lshrrev_b32_e32 v7, 16, v0
.LBB416_76:
	s_or_b64 exec, exec, s[6:7]
	s_and_saveexec_b64 s[6:7], s[0:1]
	s_cbranch_execz .LBB416_78
; %bb.77:
	v_mov_b32_e32 v9, 0
	v_lshl_add_u64 v[8:9], v[4:5], 0, v[8:9]
	global_load_ushort v0, v[8:9], off offset:32
	s_waitcnt vmcnt(0)
	v_lshlrev_b32_e32 v0, 16, v0
	v_sub_f32_e32 v0, v0, v1
	v_mul_f32_e32 v0, v14, v0
	v_lshrrev_b32_e32 v9, 16, v0
.LBB416_78:
	s_or_b64 exec, exec, s[6:7]
	v_mov_b32_e32 v0, 0
	v_mov_b32_e32 v1, 0
	s_and_saveexec_b64 s[0:1], s[2:3]
	s_cbranch_execz .LBB416_80
; %bb.79:
	v_mov_b32_e32 v11, 0
	v_lshl_add_u64 v[10:11], v[4:5], 0, v[10:11]
	global_load_ushort v1, v[10:11], off offset:32
	s_waitcnt vmcnt(0)
	v_lshlrev_b32_e32 v1, 16, v1
	v_sub_f32_e32 v1, v1, v2
	v_mul_f32_e32 v1, v17, v1
	v_lshrrev_b32_e32 v1, 16, v1
.LBB416_80:
	s_or_b64 exec, exec, s[0:1]
	s_and_saveexec_b64 s[0:1], s[4:5]
	s_cbranch_execz .LBB416_82
; %bb.81:
	v_mov_b32_e32 v13, 0
	v_lshl_add_u64 v[4:5], v[4:5], 0, v[12:13]
	global_load_ushort v0, v[4:5], off offset:32
	s_waitcnt vmcnt(0)
	v_lshlrev_b32_e32 v0, 16, v0
	v_sub_f32_e32 v0, v0, v3
	v_mul_f32_e32 v0, v15, v0
	v_lshrrev_b32_e32 v0, 16, v0
.LBB416_82:
	s_or_b64 exec, exec, s[0:1]
	s_mov_b32 s0, 0x5040100
	v_or_b32_e32 v2, v18, v19
	v_perm_b32 v1, v0, v1, s0
	v_perm_b32 v0, v9, v7, s0
	v_lshlrev_b32_e32 v2, 1, v2
	ds_write_b64 v2, v[0:1] offset:45056
	s_waitcnt lgkmcnt(0)
	s_barrier
.LBB416_83:
	s_endpgm
	.section	.rodata,"a",@progbits
	.p2align	6, 0x0
	.amdhsa_kernel _ZN12_GLOBAL__N_139chunk_gated_delta_rule_fwd_h_hip_kernelILi32ELb0ELb0ELb0ELb0ELb1ELb1ELb0ELb0EEEvPK12hip_bfloat16S3_S3_PKfS5_PKvPS1_S8_PvPKiSB_iiiiilll
		.amdhsa_group_segment_fixed_size 49152
		.amdhsa_private_segment_fixed_size 0
		.amdhsa_kernarg_size 136
		.amdhsa_user_sgpr_count 2
		.amdhsa_user_sgpr_dispatch_ptr 0
		.amdhsa_user_sgpr_queue_ptr 0
		.amdhsa_user_sgpr_kernarg_segment_ptr 1
		.amdhsa_user_sgpr_dispatch_id 0
		.amdhsa_user_sgpr_kernarg_preload_length 0
		.amdhsa_user_sgpr_kernarg_preload_offset 0
		.amdhsa_user_sgpr_private_segment_size 0
		.amdhsa_uses_dynamic_stack 0
		.amdhsa_enable_private_segment 0
		.amdhsa_system_sgpr_workgroup_id_x 1
		.amdhsa_system_sgpr_workgroup_id_y 1
		.amdhsa_system_sgpr_workgroup_id_z 0
		.amdhsa_system_sgpr_workgroup_info 0
		.amdhsa_system_vgpr_workitem_id 0
		.amdhsa_next_free_vgpr 160
		.amdhsa_next_free_sgpr 65
		.amdhsa_accum_offset 140
		.amdhsa_reserve_vcc 1
		.amdhsa_float_round_mode_32 0
		.amdhsa_float_round_mode_16_64 0
		.amdhsa_float_denorm_mode_32 3
		.amdhsa_float_denorm_mode_16_64 3
		.amdhsa_dx10_clamp 1
		.amdhsa_ieee_mode 1
		.amdhsa_fp16_overflow 0
		.amdhsa_tg_split 0
		.amdhsa_exception_fp_ieee_invalid_op 0
		.amdhsa_exception_fp_denorm_src 0
		.amdhsa_exception_fp_ieee_div_zero 0
		.amdhsa_exception_fp_ieee_overflow 0
		.amdhsa_exception_fp_ieee_underflow 0
		.amdhsa_exception_fp_ieee_inexact 0
		.amdhsa_exception_int_div_zero 0
	.end_amdhsa_kernel
	.section	.text._ZN12_GLOBAL__N_139chunk_gated_delta_rule_fwd_h_hip_kernelILi32ELb0ELb0ELb0ELb0ELb1ELb1ELb0ELb0EEEvPK12hip_bfloat16S3_S3_PKfS5_PKvPS1_S8_PvPKiSB_iiiiilll,"axG",@progbits,_ZN12_GLOBAL__N_139chunk_gated_delta_rule_fwd_h_hip_kernelILi32ELb0ELb0ELb0ELb0ELb1ELb1ELb0ELb0EEEvPK12hip_bfloat16S3_S3_PKfS5_PKvPS1_S8_PvPKiSB_iiiiilll,comdat
.Lfunc_end416:
	.size	_ZN12_GLOBAL__N_139chunk_gated_delta_rule_fwd_h_hip_kernelILi32ELb0ELb0ELb0ELb0ELb1ELb1ELb0ELb0EEEvPK12hip_bfloat16S3_S3_PKfS5_PKvPS1_S8_PvPKiSB_iiiiilll, .Lfunc_end416-_ZN12_GLOBAL__N_139chunk_gated_delta_rule_fwd_h_hip_kernelILi32ELb0ELb0ELb0ELb0ELb1ELb1ELb0ELb0EEEvPK12hip_bfloat16S3_S3_PKfS5_PKvPS1_S8_PvPKiSB_iiiiilll
                                        ; -- End function
	.section	.AMDGPU.csdata,"",@progbits
; Kernel info:
; codeLenInByte = 8608
; NumSgprs: 71
; NumVgprs: 140
; NumAgprs: 20
; TotalNumVgprs: 160
; ScratchSize: 0
; MemoryBound: 0
; FloatMode: 240
; IeeeMode: 1
; LDSByteSize: 49152 bytes/workgroup (compile time only)
; SGPRBlocks: 8
; VGPRBlocks: 19
; NumSGPRsForWavesPerEU: 71
; NumVGPRsForWavesPerEU: 160
; AccumOffset: 140
; Occupancy: 1
; WaveLimiterHint : 1
; COMPUTE_PGM_RSRC2:SCRATCH_EN: 0
; COMPUTE_PGM_RSRC2:USER_SGPR: 2
; COMPUTE_PGM_RSRC2:TRAP_HANDLER: 0
; COMPUTE_PGM_RSRC2:TGID_X_EN: 1
; COMPUTE_PGM_RSRC2:TGID_Y_EN: 1
; COMPUTE_PGM_RSRC2:TGID_Z_EN: 0
; COMPUTE_PGM_RSRC2:TIDIG_COMP_CNT: 0
; COMPUTE_PGM_RSRC3_GFX90A:ACCUM_OFFSET: 34
; COMPUTE_PGM_RSRC3_GFX90A:TG_SPLIT: 0
	.section	.text._ZN12_GLOBAL__N_139chunk_gated_delta_rule_fwd_h_hip_kernelILi32ELb1ELb1ELb1ELb1ELb1ELb0ELb1ELb0EEEvPK12hip_bfloat16S3_S3_PKfS5_PKvPS1_S8_PvPKiSB_iiiiilll,"axG",@progbits,_ZN12_GLOBAL__N_139chunk_gated_delta_rule_fwd_h_hip_kernelILi32ELb1ELb1ELb1ELb1ELb1ELb0ELb1ELb0EEEvPK12hip_bfloat16S3_S3_PKfS5_PKvPS1_S8_PvPKiSB_iiiiilll,comdat
	.globl	_ZN12_GLOBAL__N_139chunk_gated_delta_rule_fwd_h_hip_kernelILi32ELb1ELb1ELb1ELb1ELb1ELb0ELb1ELb0EEEvPK12hip_bfloat16S3_S3_PKfS5_PKvPS1_S8_PvPKiSB_iiiiilll ; -- Begin function _ZN12_GLOBAL__N_139chunk_gated_delta_rule_fwd_h_hip_kernelILi32ELb1ELb1ELb1ELb1ELb1ELb0ELb1ELb0EEEvPK12hip_bfloat16S3_S3_PKfS5_PKvPS1_S8_PvPKiSB_iiiiilll
	.p2align	8
	.type	_ZN12_GLOBAL__N_139chunk_gated_delta_rule_fwd_h_hip_kernelILi32ELb1ELb1ELb1ELb1ELb1ELb0ELb1ELb0EEEvPK12hip_bfloat16S3_S3_PKfS5_PKvPS1_S8_PvPKiSB_iiiiilll,@function
_ZN12_GLOBAL__N_139chunk_gated_delta_rule_fwd_h_hip_kernelILi32ELb1ELb1ELb1ELb1ELb1ELb0ELb1ELb0EEEvPK12hip_bfloat16S3_S3_PKfS5_PKvPS1_S8_PvPKiSB_iiiiilll: ; @_ZN12_GLOBAL__N_139chunk_gated_delta_rule_fwd_h_hip_kernelILi32ELb1ELb1ELb1ELb1ELb1ELb0ELb1ELb0EEEvPK12hip_bfloat16S3_S3_PKfS5_PKvPS1_S8_PvPKiSB_iiiiilll
; %bb.0:
	s_load_dwordx4 s[20:23], s[0:1], 0x5c
	s_load_dwordx4 s[4:7], s[0:1], 0x48
	s_abs_i32 s9, s3
	s_ashr_i32 s8, s3, 31
	v_and_b32_e32 v68, 15, v0
	s_waitcnt lgkmcnt(0)
	s_abs_i32 s10, s21
	v_cvt_f32_u32_e32 v1, s10
	s_sub_i32 s12, 0, s10
	s_ashr_i32 s11, s21, 31
	s_xor_b32 s8, s8, s11
	v_rcp_iflag_f32_e32 v1, v1
	v_bfe_u32 v67, v0, 4, 2
	v_mov_b32_e32 v51, 0
	v_lshlrev_b32_e32 v69, 3, v0
	v_mul_f32_e32 v1, 0x4f7ffffe, v1
	v_cvt_u32_f32_e32 v1, v1
	s_nop 0
	v_readfirstlane_b32 s13, v1
	s_mul_i32 s12, s12, s13
	s_mul_hi_u32 s12, s13, s12
	s_add_i32 s13, s13, s12
	s_mul_hi_u32 s12, s9, s13
	s_mul_i32 s13, s12, s10
	s_sub_i32 s9, s9, s13
	s_add_i32 s14, s12, 1
	s_sub_i32 s13, s9, s10
	s_cmp_ge_u32 s9, s10
	s_cselect_b32 s12, s14, s12
	s_cselect_b32 s9, s13, s9
	s_add_i32 s13, s12, 1
	s_cmp_ge_u32 s9, s10
	s_cselect_b32 s9, s13, s12
	s_xor_b32 s9, s9, s8
	s_sub_i32 s24, s9, s8
	s_mul_i32 s12, s24, s21
	s_ashr_i32 s25, s24, 31
	s_sub_i32 s51, s3, s12
	s_lshl_b64 s[8:9], s[24:25], 2
	s_add_u32 s4, s4, s8
	s_addc_u32 s5, s5, s9
	s_add_u32 s26, s6, s8
	s_addc_u32 s27, s7, s9
	s_abs_i32 s3, s22
	v_cvt_f32_u32_e32 v1, s3
	s_load_dwordx2 s[38:39], s[4:5], 0x0
	s_sub_i32 s5, 0, s3
	s_lshl_b32 s2, s2, 5
	v_rcp_iflag_f32_e32 v1, v1
	v_or_b32_e32 v56, s2, v68
	s_waitcnt lgkmcnt(0)
	s_sub_i32 s54, s39, s38
	s_ashr_i32 s4, s54, 31
	v_mul_f32_e32 v1, 0x4f7ffffe, v1
	v_cvt_u32_f32_e32 v1, v1
	s_lshr_b32 s4, s4, 26
	s_add_i32 s4, s54, s4
	s_ashr_i32 s52, s4, 6
	v_readfirstlane_b32 s6, v1
	s_mul_i32 s5, s5, s6
	s_mul_hi_u32 s5, s6, s5
	s_add_i32 s6, s6, s5
	s_mul_hi_u32 s5, s10, s6
	s_mul_i32 s6, s5, s3
	s_ashr_i32 s4, s22, 31
	s_sub_i32 s6, s10, s6
	s_xor_b32 s4, s11, s4
	s_add_i32 s7, s5, 1
	s_sub_i32 s8, s6, s3
	s_cmp_ge_u32 s6, s3
	s_cselect_b32 s5, s7, s5
	s_cselect_b32 s6, s8, s6
	s_add_i32 s7, s5, 1
	s_cmp_ge_u32 s6, s3
	s_cselect_b32 s3, s7, s5
	s_xor_b32 s3, s3, s4
	s_sub_i32 s3, s3, s4
	s_abs_i32 s13, s3
	v_cvt_f32_u32_e32 v1, s13
	s_sub_i32 s15, 0, s13
	s_abs_i32 s14, s51
	s_xor_b32 s3, s51, s3
	v_rcp_iflag_f32_e32 v2, v1
	s_ashr_i32 s3, s3, 31
	s_load_dwordx8 s[4:11], s[0:1], 0x28
	v_lshrrev_b32_e32 v1, 6, v0
	v_mul_f32_e32 v2, 0x4f7ffffe, v2
	v_cvt_u32_f32_e32 v2, v2
	v_lshlrev_b32_e32 v66, 4, v1
	v_lshlrev_b32_e32 v52, 7, v56
	v_lshl_or_b32 v71, v67, 2, v66
	v_readfirstlane_b32 s16, v2
	s_mul_i32 s15, s15, s16
	s_mul_hi_u32 s15, s16, s15
	s_add_i32 s16, s16, s15
	s_mul_hi_u32 s15, s14, s16
	s_mul_i32 s16, s15, s13
	s_sub_i32 s14, s14, s16
	s_add_i32 s16, s15, 1
	s_sub_i32 s17, s14, s13
	s_cmp_ge_u32 s14, s13
	s_cselect_b32 s15, s16, s15
	s_cselect_b32 s14, s17, s14
	s_add_i32 s16, s15, 1
	s_cmp_ge_u32 s14, s13
	s_cselect_b32 s13, s16, s15
	s_xor_b32 s13, s13, s3
	s_sub_i32 s55, s13, s3
	s_ashr_i32 s53, s51, 31
	s_mul_hi_i32 s3, s24, s21
	s_add_u32 s12, s12, s51
	s_addc_u32 s13, s3, s53
	s_lshl_b64 s[34:35], s[12:13], 16
	s_waitcnt lgkmcnt(0)
	s_add_u32 s4, s4, s34
	s_addc_u32 s5, s5, s35
	v_ashrrev_i32_e32 v53, 31, v52
	v_lshl_add_u64 v[2:3], v[52:53], 2, s[4:5]
	v_lshlrev_b32_e32 v50, 2, v71
	v_or_b32_e32 v54, 0x800, v52
	v_lshl_add_u64 v[10:11], v[2:3], 0, v[50:51]
	v_ashrrev_i32_e32 v55, 31, v54
	global_load_dwordx4 v[2:5], v[10:11], off
	global_load_dwordx4 v[6:9], v[10:11], off offset:256
	v_lshl_add_u64 v[10:11], v[54:55], 2, s[4:5]
	v_lshl_add_u64 v[18:19], v[10:11], 0, v[50:51]
	global_load_dwordx4 v[10:13], v[18:19], off
	global_load_dwordx4 v[14:17], v[18:19], off offset:256
	s_load_dwordx8 s[12:19], s[0:1], 0x0
	s_load_dwordx2 s[36:37], s[0:1], 0x80
	s_load_dwordx4 s[28:31], s[0:1], 0x70
	s_load_dword s56, s[26:27], 0x0
	v_and_b32_e32 v51, 63, v0
	v_or_b32_e32 v72, 64, v71
	s_cmp_lt_i32 s54, 64
	s_mul_hi_i32 s57, s51, s20
	s_mul_i32 s58, s51, s20
	v_lshrrev_b32_e32 v70, 3, v51
	s_waitcnt lgkmcnt(0)
	s_mul_i32 s33, s24, s29
	s_mul_hi_u32 s47, s24, s28
	s_mul_i32 s48, s25, s28
	s_mul_i32 s40, s24, s28
	;; [unrolled: 1-line block ×3, first 2 shown]
	s_mul_hi_u32 s49, s51, s30
	s_mul_i32 s50, s53, s30
	s_mul_i32 s42, s51, s30
	s_cbranch_scc1 .LBB417_19
; %bb.1:
	s_ashr_i32 s1, s38, 31
	s_add_u32 s0, s58, s38
	s_addc_u32 s1, s57, s1
	s_lshl_b64 s[0:1], s[0:1], 8
	v_and_b32_e32 v74, 56, v69
	s_add_u32 s24, s14, s0
	v_lshl_or_b32 v73, v1, 3, v70
	v_lshlrev_b32_e32 v18, 1, v74
	s_addc_u32 s0, s15, s1
	v_lshl_or_b32 v75, v73, 8, v18
	s_and_b32 s25, s0, 0xffff
	s_mov_b32 s27, 0x20000
	s_movk_i32 s26, 0x4000
	s_movk_i32 s0, 0x80
	v_or_b32_e32 v76, 0x2000, v75
	buffer_load_dwordx4 v[20:23], v75, s[24:27], 0 offen
	buffer_load_dwordx4 v[24:27], v75, s[24:27], s0 offen
	;; [unrolled: 1-line block ×4, first 2 shown]
	v_lshlrev_b32_e32 v19, 3, v73
	v_and_or_b32 v37, v0, 7, v19
	v_and_b32_e32 v19, 0x78, v19
	v_lshlrev_b32_e32 v37, 4, v37
	v_xor_b32_e32 v77, v37, v19
	v_mul_lo_u32 v36, v73, s23
	v_or_b32_e32 v78, 0x1000, v77
	v_xor_b32_e32 v19, 8, v77
	s_cmpk_eq_i32 s23, 0x80
	s_mov_b32 s59, s38
	v_xor_b32_e32 v37, 8, v78
	s_cselect_b64 s[0:1], -1, 0
	s_cmpk_lg_i32 s23, 0x80
	s_waitcnt vmcnt(3)
	ds_write_b64 v77, v[20:21] offset:24576
	ds_write_b64 v19, v[22:23] offset:24576
	s_waitcnt vmcnt(2)
	ds_write_b64 v77, v[24:25] offset:32768
	ds_write_b64 v19, v[26:27] offset:32768
	;; [unrolled: 3-line block ×4, first 2 shown]
	v_lshl_add_u32 v19, v36, 1, v74
	s_cbranch_scc0 .LBB417_3
; %bb.2:
	v_lshlrev_b32_e32 v21, 1, v19
	v_add_lshl_u32 v20, v19, s23, 1
	s_lshl_b32 s26, s23, 7
	v_lshl_or_b32 v18, v73, 9, v18
	s_cbranch_execz .LBB417_4
	s_branch .LBB417_5
.LBB417_3:
                                        ; implicit-def: $vgpr20
                                        ; implicit-def: $vgpr21
                                        ; implicit-def: $sgpr26
	v_lshl_or_b32 v18, v73, 9, v18
.LBB417_4:
	v_or_b32_e32 v20, 0x100, v18
	s_movk_i32 s26, 0x4000
	v_mov_b32_e32 v21, v18
.LBB417_5:
	s_mul_i32 s4, s38, s22
	s_ashr_i32 s60, s55, 31
	s_mul_hi_i32 s3, s38, s22
	s_add_u32 s4, s4, s55
	s_addc_u32 s5, s3, s60
	s_lshl_b64 s[4:5], s[4:5], 8
	s_add_u32 s24, s12, s4
	s_addc_u32 s3, s13, s5
	s_and_b32 s25, s3, 0xffff
	s_movk_i32 s61, 0x80
	buffer_load_dwordx4 v[22:25], v21, s[24:27], 0 offen
	buffer_load_dwordx4 v[26:29], v21, s[24:27], s61 offen
	;; [unrolled: 1-line block ×4, first 2 shown]
	v_and_b32_e32 v20, 6, v0
	v_lshlrev_b32_e32 v39, 6, v71
	v_or_b32_e32 v41, 16, v68
	v_xor_b32_e32 v42, v73, v20
	v_and_b32_e32 v21, 1, v0
	v_lshl_or_b32 v45, v68, 3, v39
	v_lshl_or_b32 v39, v41, 3, v39
	v_lshlrev_b32_e32 v42, 2, v42
	v_lshlrev_b32_e32 v38, 2, v68
	v_or_b32_e32 v81, 0xa000, v39
	v_or_b32_e32 v82, 0xb000, v39
	v_xor_b32_e32 v39, 0x440, v42
	v_cmp_eq_u32_e32 vcc, 0, v21
	s_add_i32 s3, s47, s33
	v_xor_b32_e32 v43, v71, v38
	v_xor_b32_e32 v44, v72, v38
	v_cndmask_b32_e32 v21, v39, v42, vcc
	s_add_i32 s4, s49, s46
	s_add_i32 s41, s3, s48
	s_mov_b32 s62, 0x1000504
	v_lshlrev_b32_e32 v40, 8, v68
	v_lshlrev_b32_e32 v41, 8, v41
	v_lshlrev_b32_e32 v43, 1, v43
	v_lshlrev_b32_e32 v44, 1, v44
	v_lshl_or_b32 v20, v20, 10, v21
	s_add_i32 s43, s4, s50
	s_lshl_b64 s[4:5], s[40:41], 2
	s_mov_b32 s63, 0x3020706
	v_or_b32_e32 v79, 0xa000, v45
	v_or_b32_e32 v80, 0xb000, v45
	;; [unrolled: 1-line block ×5, first 2 shown]
	v_xor_b32_e32 v21, 8, v20
	v_xor_b32_e32 v40, 24, v20
	;; [unrolled: 1-line block ×4, first 2 shown]
	s_add_u32 s3, s18, s4
	v_or_b32_e32 v85, v41, v43
	v_xor_b32_e32 v39, 16, v20
	v_xor_b32_e32 v41, 32, v20
	;; [unrolled: 1-line block ×3, first 2 shown]
	v_add_u32_e32 v21, 0x80, v21
	v_add_u32_e32 v40, 0x80, v40
	;; [unrolled: 1-line block ×4, first 2 shown]
	s_addc_u32 s24, s19, s5
	s_lshl_b64 s[4:5], s[42:43], 2
	s_add_u32 s4, s3, s4
	s_movk_i32 s3, 0xf8
	s_addc_u32 s5, s24, s5
	s_lshl_b32 s30, s23, 7
	s_movk_i32 s28, 0x100
	v_mov_b32_e32 v59, 0
	v_lshlrev_b32_e32 v58, 4, v68
	v_cmp_gt_u32_e32 vcc, s28, v0
	v_ashrrev_i32_e32 v57, 31, v56
	s_mov_b32 s64, 0
	s_movk_i32 s41, 0x1000
	s_movk_i32 s26, 0x4000
	s_waitcnt vmcnt(1)
	v_perm_b32 v45, v22, v30, s62
	s_waitcnt vmcnt(0)
	v_perm_b32 v46, v26, v34, s62
	v_perm_b32 v22, v22, v30, s63
	;; [unrolled: 1-line block ×15, first 2 shown]
	ds_write2st64_b32 v20, v45, v46 offset0:32 offset1:64
	ds_write2st64_b32 v21, v22, v26 offset0:32 offset1:64
	;; [unrolled: 1-line block ×8, first 2 shown]
	v_or_b32_e32 v20, v66, v68
	v_lshlrev_b32_e32 v20, 3, v20
	v_lshrrev_b32_e32 v23, 5, v51
	v_and_or_b32 v23, v20, s3, v23
	v_lshlrev_b32_e32 v23, 4, v23
	v_lshlrev_b32_e32 v21, 11, v1
	v_and_b32_e32 v20, 0x78, v20
	v_or_b32_e32 v28, 32, v23
	v_and_b32_e32 v22, 0x1000, v21
	v_lshrrev_b32_e32 v25, 1, v0
	v_xor_b32_e32 v28, v28, v20
	v_and_b32_e32 v26, 8, v25
	v_or_b32_e32 v28, v28, v22
	v_xor_b32_e32 v24, v23, v20
	v_xor_b32_e32 v89, v28, v26
	v_or_b32_e32 v28, 64, v23
	v_or_b32_e32 v23, 0x60, v23
	s_ashr_i32 s3, s2, 31
	v_xor_b32_e32 v28, v28, v20
	v_xor_b32_e32 v20, v23, v20
	s_lshl_b64 s[24:25], s[2:3], 8
	v_or_b32_e32 v24, v24, v22
	v_or_b32_e32 v28, v28, v22
	;; [unrolled: 1-line block ×3, first 2 shown]
	s_add_u32 s24, s6, s24
	v_lshlrev_b32_e32 v22, 1, v68
	v_xor_b32_e32 v91, v28, v26
	v_lshrrev_b32_e32 v28, 4, v0
	s_addc_u32 s25, s7, s25
	v_or_b32_e32 v23, 1, v22
	v_mov_b32_e32 v32, 0x4000
	v_mov_b32_e32 v33, 0x2000
	v_xor_b32_e32 v29, v28, v22
	v_xor_b32_e32 v30, v23, v28
	v_lshl_add_u64 v[22:23], s[24:25], 0, v[58:59]
	v_lshlrev_b32_e32 v58, 8, v28
	v_cndmask_b32_e32 v32, v32, v33, vcc
	v_lshlrev_b32_e32 v33, 3, v1
	v_and_b32_e32 v25, 24, v25
	v_lshl_or_b32 v95, v29, 3, v58
	v_and_b32_e32 v29, 8, v0
	v_xor_b32_e32 v34, v33, v25
	v_or_b32_e32 v35, 0x440, v34
	v_cmp_eq_u32_e32 vcc, 0, v29
	v_and_b32_e32 v28, 7, v0
	v_xor_b32_e32 v87, v24, v26
	v_cndmask_b32_e32 v29, v35, v34, vcc
	v_lshlrev_b32_e32 v24, 7, v67
	v_lshl_or_b32 v96, v30, 3, v58
	v_lshlrev_b32_e32 v30, 3, v28
	v_lshlrev_b32_e32 v28, 7, v28
	;; [unrolled: 1-line block ×3, first 2 shown]
	v_or_b32_e32 v29, v29, v21
	v_or_b32_e32 v27, v24, v38
	v_xad_u32 v97, v29, v30, v28
	v_and_or_b32 v24, v31, 60, v24
	v_mov_b32_e32 v29, 0xb000
	v_lshl_or_b32 v98, v24, 1, v29
	v_or_b32_e32 v24, 32, v25
	v_xor_b32_e32 v24, v33, v24
	v_or_b32_e32 v29, 0x440, v24
	v_cndmask_b32_e32 v24, v29, v24, vcc
	v_or_b32_e32 v24, v24, v21
	v_xad_u32 v99, v24, v30, v28
	v_or_b32_e32 v24, 64, v25
	v_xor_b32_e32 v24, v33, v24
	v_xor_b32_e32 v29, 0x440, v24
	v_cndmask_b32_e32 v24, v29, v24, vcc
	v_or_b32_e32 v24, v24, v21
	v_xad_u32 v100, v24, v30, v28
	v_or_b32_e32 v24, 0x60, v25
	v_xor_b32_e32 v24, v33, v24
	v_xor_b32_e32 v25, 0x440, v24
	v_lshlrev_b32_e32 v27, 1, v27
	v_cndmask_b32_e32 v24, v25, v24, vcc
	v_or_b32_e32 v88, 0xa000, v27
	v_or_b32_e32 v90, 0xa080, v27
	v_xor_b32_e32 v92, v20, v26
	v_or_b32_e32 v93, 0xb000, v27
	v_or_b32_e32 v94, 0xb080, v27
	v_lshlrev_b32_e32 v26, 1, v19
	v_add_lshl_u32 v19, v19, s23, 1
	v_or_b32_e32 v27, 0x100, v18
	v_or_b32_e32 v21, v24, v21
	v_lshlrev_b32_e32 v20, 7, v71
	v_xad_u32 v101, v21, v30, v28
	v_cndmask_b32_e64 v102, v26, v18, s[0:1]
	v_cndmask_b32_e64 v103, v19, v27, s[0:1]
	v_lshlrev_b64 v[18:19], 1, v[56:57]
	v_lshl_add_u64 v[60:61], s[16:17], 0, v[18:19]
	v_lshl_add_u64 v[62:63], s[8:9], 0, v[18:19]
	;; [unrolled: 1-line block ×3, first 2 shown]
	s_mov_b32 s3, 0x7060302
	v_lshlrev_b32_e32 v58, 1, v20
	v_add_u32_e32 v57, v32, v97
	v_add_u32_e32 v104, v32, v99
	;; [unrolled: 1-line block ×4, first 2 shown]
	s_waitcnt lgkmcnt(0)
	s_barrier
.LBB417_6:                              ; =>This Inner Loop Header: Depth=1
	s_add_i32 s43, s64, 1
	s_cmp_lt_i32 s43, s52
	s_mov_b64 s[28:29], 0
	s_cselect_b64 s[44:45], -1, 0
	s_cmp_ge_i32 s43, s52
	s_mov_b64 s[24:25], 0
	s_cbranch_scc1 .LBB417_8
; %bb.7:                                ;   in Loop: Header=BB417_6 Depth=1
	s_add_i32 s0, s59, 64
	s_ashr_i32 s1, s0, 31
	s_add_u32 s0, s58, s0
	s_addc_u32 s1, s57, s1
	s_lshl_b64 s[0:1], s[0:1], 8
	s_add_u32 s24, s14, s0
	s_addc_u32 s25, s15, s1
.LBB417_8:                              ;   in Loop: Header=BB417_6 Depth=1
	v_cndmask_b32_e64 v18, 0, 1, s[44:45]
	v_cmp_ne_u32_e64 s[0:1], 1, v18
	s_andn2_b64 vcc, exec, s[44:45]
	s_cbranch_vccnz .LBB417_10
; %bb.9:                                ;   in Loop: Header=BB417_6 Depth=1
	s_add_i32 s28, s59, 64
	s_mul_hi_i32 s29, s28, s22
	s_mul_i32 s28, s28, s22
	s_add_u32 s28, s28, s55
	s_addc_u32 s29, s29, s60
	s_lshl_b64 s[28:29], s[28:29], 8
	s_add_u32 s28, s12, s28
	s_addc_u32 s29, s13, s29
.LBB417_10:                             ;   in Loop: Header=BB417_6 Depth=1
	v_perm_b32 v19, v5, v4, s3
	v_perm_b32 v18, v3, v2, s3
	;; [unrolled: 1-line block ×4, first 2 shown]
	ds_write_b64 v79, v[18:19]
	ds_write_b64 v80, v[20:21]
	;; [unrolled: 1-line block ×4, first 2 shown]
	v_perm_b32 v19, v13, v12, s3
	v_perm_b32 v18, v11, v10, s3
	v_perm_b32 v21, v17, v16, s3
	v_perm_b32 v20, v15, v14, s3
	ds_write_b64 v81, v[18:19]
	ds_write_b64 v82, v[20:21]
	;; [unrolled: 1-line block ×4, first 2 shown]
	s_waitcnt lgkmcnt(0)
	s_barrier
	ds_read_b64 v[22:23], v87 offset:24576
	ds_read2_b64 v[18:21], v88 offset1:16
	ds_read_b64 v[26:27], v90 offset:3072
	ds_read_b64 v[28:29], v88 offset:3072
	;; [unrolled: 1-line block ×3, first 2 shown]
	s_waitcnt lgkmcnt(3)
	v_mfma_f32_16x16x16_bf16 a[0:3], v[22:23], v[18:19], 0
	s_add_i32 s31, s59, 63
	s_ashr_i32 s44, s31, 31
	s_mul_i32 s45, s31, s37
	v_mfma_f32_16x16x16_bf16 a[4:7], v[22:23], v[20:21], 0
	ds_read2st64_b64 v[18:21], v88 offset0:2 offset1:4
	s_mul_hi_u32 s65, s31, s36
	s_add_i32 s45, s65, s45
	s_waitcnt lgkmcnt(0)
	v_mfma_f32_16x16x16_bf16 a[0:3], v[30:31], v[18:19], a[0:3]
	ds_read2st64_b64 v[22:25], v90 offset0:2 offset1:4
	ds_read_b64 v[18:19], v91 offset:24576
	s_mul_i32 s44, s44, s36
	s_add_i32 s45, s45, s44
	s_waitcnt lgkmcnt(1)
	v_mfma_f32_16x16x16_bf16 a[4:7], v[30:31], v[22:23], a[4:7]
	ds_read_b64 v[22:23], v92 offset:24576
	s_mul_i32 s44, s31, s36
	s_lshl_b64 s[44:45], s[44:45], 2
	s_waitcnt lgkmcnt(1)
	v_mfma_f32_16x16x16_bf16 a[0:3], v[18:19], v[20:21], a[0:3]
	s_add_u32 s44, s4, s44
	s_addc_u32 s45, s5, s45
	s_and_b64 vcc, exec, s[0:1]
	v_mfma_f32_16x16x16_bf16 a[8:11], v[18:19], v[24:25], a[4:7]
	v_mov_b32_e32 v109, 0
	v_mov_b32_e32 v108, 0
	v_mov_b32_e32 v107, 0
	s_waitcnt lgkmcnt(0)
	v_mfma_f32_16x16x16_bf16 a[4:7], v[22:23], v[28:29], a[0:3]
	v_mov_b32_e32 v18, 0
	v_mov_b32_e32 v19, 0
	v_mov_b32_e32 v20, 0
	v_mfma_f32_16x16x16_bf16 a[0:3], v[22:23], v[26:27], a[8:11]
	v_mov_b32_e32 v21, 0
	v_mov_b32_e32 v22, 0
	;; [unrolled: 1-line block ×13, first 2 shown]
	s_cbranch_vccnz .LBB417_12
; %bb.11:                               ;   in Loop: Header=BB417_6 Depth=1
	s_and_b32 s25, s25, 0xffff
	buffer_load_dwordx4 v[30:33], v75, s[24:27], 0 offen
	buffer_load_dwordx4 v[26:29], v75, s[24:27], s61 offen
	;; [unrolled: 1-line block ×4, first 2 shown]
	v_mov_b32_e32 v108, v77
	v_mov_b32_e32 v107, v78
.LBB417_12:                             ;   in Loop: Header=BB417_6 Depth=1
	ds_read_b64 v[42:43], v87 offset:32768
	ds_read2_b64 v[34:37], v93 offset1:16
	ds_read_b64 v[44:45], v89 offset:32768
	ds_read_b64 v[46:47], v91 offset:32768
	;; [unrolled: 1-line block ×3, first 2 shown]
	ds_read2st64_b64 v[38:41], v93 offset0:2 offset1:4
	v_add_u32_e32 v110, s59, v71
	s_waitcnt lgkmcnt(4)
	v_mfma_f32_16x16x16_bf16 a[4:7], v[42:43], v[34:35], a[4:7]
	v_ashrrev_i32_e32 v34, 31, v110
	v_mfma_f32_16x16x16_bf16 a[0:3], v[42:43], v[36:37], a[0:3]
	v_mul_lo_u32 v36, v110, s37
	v_mul_lo_u32 v37, v34, s36
	v_mad_u64_u32 v[34:35], s[24:25], v110, s36, 0
	v_add3_u32 v35, v35, v36, v37
	v_add_u32_e32 v36, 1, v110
	v_ashrrev_i32_e32 v37, 31, v36
	s_waitcnt lgkmcnt(0)
	v_mfma_f32_16x16x16_bf16 a[4:7], v[44:45], v[38:39], a[4:7]
	v_mul_lo_u32 v38, v37, s36
	v_mul_lo_u32 v39, v36, s37
	v_mad_u64_u32 v[36:37], s[24:25], v36, s36, 0
	v_add3_u32 v37, v37, v39, v38
	v_add_u32_e32 v38, 2, v110
	v_ashrrev_i32_e32 v39, 31, v38
	v_mul_lo_u32 v42, v39, s36
	v_mul_lo_u32 v43, v38, s37
	v_mad_u64_u32 v[38:39], s[24:25], v38, s36, 0
	v_add3_u32 v39, v39, v43, v42
	v_add_u32_e32 v42, 3, v110
	v_ashrrev_i32_e32 v43, 31, v42
	v_mul_lo_u32 v110, v43, s36
	v_mul_lo_u32 v111, v42, s37
	v_mad_u64_u32 v[42:43], s[24:25], v42, s36, 0
	s_ashr_i32 s25, s59, 31
	v_add3_u32 v43, v43, v111, v110
	s_add_u32 s24, s58, s59
	v_lshl_add_u64 v[34:35], v[34:35], 2, s[4:5]
	v_lshl_add_u64 v[42:43], v[42:43], 2, s[4:5]
	s_addc_u32 s25, s57, s25
	v_lshl_add_u64 v[36:37], v[36:37], 2, s[4:5]
	v_lshl_add_u64 v[38:39], v[38:39], 2, s[4:5]
	global_load_dword v110, v[34:35], off
	global_load_dword v111, v[36:37], off
	;; [unrolled: 1-line block ×3, first 2 shown]
	s_nop 0
	global_load_dword v43, v[42:43], off
	s_lshl_b64 s[66:67], s[24:25], 8
	v_lshl_add_u64 v[34:35], v[60:61], 0, s[66:67]
	v_lshl_add_u64 v[38:39], v[34:35], 0, v[58:59]
	global_load_ushort v113, v[38:39], off offset:256
	global_load_ushort v114, v[38:39], off
	global_load_ushort v115, v[38:39], off offset:768
	global_load_ushort v116, v[38:39], off offset:512
	ds_read2st64_b64 v[34:37], v94 offset0:2 offset1:4
	global_load_ushort v117, v[38:39], off offset:800
	global_load_ushort v118, v[38:39], off offset:544
	;; [unrolled: 1-line block ×4, first 2 shown]
	s_waitcnt lgkmcnt(0)
	v_mfma_f32_16x16x16_bf16 a[0:3], v[44:45], v[34:35], a[0:3]
	s_and_b64 vcc, exec, s[0:1]
	s_waitcnt vmcnt(7)
	v_lshlrev_b32_e32 v45, 16, v113
	v_mfma_f32_16x16x16_bf16 a[4:7], v[46:47], v[40:41], a[4:7]
	s_waitcnt vmcnt(6)
	v_lshlrev_b32_e32 v44, 16, v114
	v_mfma_f32_16x16x16_bf16 a[0:3], v[46:47], v[36:37], a[0:3]
	ds_read_b64 v[34:35], v93 offset:3072
	ds_read_b64 v[36:37], v94 offset:3072
	s_load_dword s24, s[44:45], 0x0
	s_waitcnt vmcnt(5)
	v_lshlrev_b32_e32 v47, 16, v115
	s_waitcnt lgkmcnt(0)
	v_mfma_f32_16x16x16_bf16 a[4:7], v[48:49], v[34:35], a[4:7]
	v_lshl_add_u64 v[34:35], v[62:63], 0, s[66:67]
	v_sub_f32_e32 v42, s24, v110
	v_sub_f32_e32 v46, s24, v111
	v_mfma_f32_16x16x16_bf16 a[0:3], v[48:49], v[36:37], a[0:3]
	v_sub_f32_e32 v48, s24, v112
	v_sub_f32_e32 v49, s24, v43
	v_exp_f32_e32 v42, v42
	v_exp_f32_e32 v43, v46
	;; [unrolled: 1-line block ×4, first 2 shown]
	v_accvgpr_read_b32 v41, a5
	v_accvgpr_read_b32 v37, a7
	;; [unrolled: 1-line block ×4, first 2 shown]
	s_waitcnt vmcnt(4)
	v_lshlrev_b32_e32 v46, 16, v116
	v_lshl_add_u64 v[34:35], v[34:35], 0, v[58:59]
	v_pk_add_f32 v[40:41], v[44:45], v[40:41] neg_lo:[0,1] neg_hi:[0,1]
	v_pk_add_f32 v[36:37], v[46:47], v[36:37] neg_lo:[0,1] neg_hi:[0,1]
	global_store_short_d16_hi v[34:35], v40, off
	global_store_short_d16_hi v[34:35], v41, off offset:256
	global_store_short_d16_hi v[34:35], v36, off offset:512
	;; [unrolled: 1-line block ×3, first 2 shown]
	v_pk_mul_f32 v[40:41], v[42:43], v[40:41]
	v_pk_mul_f32 v[36:37], v[48:49], v[36:37]
	v_accvgpr_read_b32 v45, a1
	v_perm_b32 v40, v41, v40, s3
	v_perm_b32 v41, v37, v36, s3
	s_waitcnt vmcnt(5)
	v_lshlrev_b32_e32 v37, 16, v119
	s_waitcnt vmcnt(4)
	v_lshlrev_b32_e32 v36, 16, v120
	v_accvgpr_read_b32 v44, a0
	v_accvgpr_read_b32 v39, a3
	;; [unrolled: 1-line block ×3, first 2 shown]
	v_pk_add_f32 v[36:37], v[36:37], v[44:45] neg_lo:[0,1] neg_hi:[0,1]
	v_lshlrev_b32_e32 v45, 16, v117
	v_lshlrev_b32_e32 v44, 16, v118
	v_pk_add_f32 v[38:39], v[44:45], v[38:39] neg_lo:[0,1] neg_hi:[0,1]
	global_store_short_d16_hi v[34:35], v36, off offset:32
	global_store_short_d16_hi v[34:35], v37, off offset:288
	;; [unrolled: 1-line block ×4, first 2 shown]
	v_pk_mul_f32 v[34:35], v[42:43], v[36:37]
	v_pk_mul_f32 v[36:37], v[48:49], v[38:39]
	v_mov_b32_e32 v110, 0
	v_perm_b32 v37, v37, v36, s3
	v_perm_b32 v36, v35, v34, s3
	ds_write2_b64 v80, v[40:41], v[36:37] offset1:16
	v_mov_b32_e32 v34, 0
	v_mov_b32_e32 v35, 0
	;; [unrolled: 1-line block ×16, first 2 shown]
	s_cbranch_vccnz .LBB417_14
; %bb.13:                               ;   in Loop: Header=BB417_6 Depth=1
	s_and_b32 s29, s29, 0xffff
	s_mov_b32 s31, s27
	buffer_load_dwordx4 v[46:49], v102, s[28:31], 0 offen
	buffer_load_dwordx4 v[38:41], v102, s[28:31], s61 offen
	;; [unrolled: 1-line block ×4, first 2 shown]
	v_mov_b32_e32 v109, v74
	v_mov_b32_e32 v110, v73
.LBB417_14:                             ;   in Loop: Header=BB417_6 Depth=1
	s_waitcnt lgkmcnt(0)
	s_barrier
	ds_read_b64 v[116:117], v57
	ds_read_b64 v[124:125], v98
	;; [unrolled: 1-line block ×5, first 2 shown]
	ds_read_b64 v[130:131], v99 offset:16384
	ds_read_b64 v[132:133], v97 offset:16384
	ds_read2_b64 v[112:115], v93 offset0:16 offset1:128
	s_waitcnt lgkmcnt(6)
	v_mfma_f32_16x16x16_bf16 a[0:3], v[116:117], v[124:125], 0
	ds_read_b64 v[134:135], v94 offset:3072
	ds_read_b64 v[136:137], v101 offset:16384
	s_add_i32 s25, s56, s64
	s_waitcnt lgkmcnt(2)
	v_mfma_f32_16x16x16_bf16 a[4:7], v[116:117], v[112:113], 0
	ds_read2st64_b64 v[116:119], v94 offset0:2 offset1:4
	s_mul_hi_i32 s29, s25, s21
	s_mul_i32 s25, s25, s21
	v_mfma_f32_16x16x16_bf16 a[0:3], v[120:121], v[114:115], a[0:3]
	s_add_u32 s28, s25, s51
	s_addc_u32 s29, s29, s53
	s_lshl_b64 s[28:29], s[28:29], 15
	s_waitcnt lgkmcnt(0)
	v_mfma_f32_16x16x16_bf16 a[4:7], v[120:121], v[116:117], a[4:7]
	ds_read2st64_b64 v[120:123], v93 offset0:4 offset1:6
	s_waitcnt lgkmcnt(0)
	v_mfma_f32_16x16x16_bf16 a[0:3], v[126:127], v[120:121], a[0:3]
	v_mfma_f32_16x16x16_bf16 a[8:11], v[126:127], v[118:119], a[4:7]
	v_mfma_f32_16x16x16_bf16 a[4:7], v[128:129], v[122:123], a[0:3]
	v_mfma_f32_16x16x16_bf16 a[0:3], v[128:129], v[134:135], a[8:11]
	v_mfma_f32_16x16x16_bf16 a[8:11], v[132:133], v[124:125], 0
	ds_read2st64_b64 v[124:127], v96 offset1:8
	v_mfma_f32_16x16x16_bf16 a[12:15], v[132:133], v[112:113], 0
	ds_read_b64 v[132:133], v100 offset:16384
	v_mfma_f32_16x16x16_bf16 a[8:11], v[130:131], v[114:115], a[8:11]
	ds_read2st64_b64 v[112:115], v95 offset1:8
	s_waitcnt lgkmcnt(0)
	v_mov_b32_e32 v128, v112
	v_mfma_f32_16x16x16_bf16 a[12:15], v[130:131], v[116:117], a[12:15]
	v_lshl_add_u64 v[116:117], v[64:65], 0, s[28:29]
	v_add_co_u32_e32 v112, vcc, s41, v116
	v_mfma_f32_16x16x16_bf16 a[8:11], v[132:133], v[120:121], a[8:11]
	v_mov_b32_e32 v129, v113
	v_addc_co_u32_e32 v113, vcc, 0, v117, vcc
	v_mfma_f32_16x16x16_bf16 a[12:15], v[132:133], v[118:119], a[12:15]
	v_mov_b32_e32 v130, v124
	v_mov_b32_e32 v131, v125
	v_mov_b32_e32 v124, v114
	v_mfma_f32_16x16x16_bf16 a[8:11], v[136:137], v[122:123], a[8:11]
	v_mov_b32_e32 v125, v115
	s_and_b64 vcc, exec, s[0:1]
	global_store_dwordx4 v[116:117], v[128:131], off
	v_mfma_f32_16x16x16_bf16 a[12:15], v[136:137], v[134:135], a[12:15]
	global_store_dwordx4 v[112:113], v[124:127], off
	s_cbranch_vccnz .LBB417_16
; %bb.15:                               ;   in Loop: Header=BB417_6 Depth=1
	v_lshrrev_b32_e32 v111, 3, v109
	v_and_b32_e32 v111, 6, v111
	v_xor_b32_e32 v110, v111, v110
	v_lshlrev_b32_e32 v110, 2, v110
	v_and_b32_e32 v109, 8, v109
	v_xor_b32_e32 v112, 0x440, v110
	v_cmp_eq_u32_e32 vcc, 0, v109
	s_barrier
	s_nop 0
	v_cndmask_b32_e32 v109, v112, v110, vcc
	v_lshl_or_b32 v109, v111, 10, v109
	s_waitcnt vmcnt(3)
	v_perm_b32 v110, v46, v42, s62
	s_waitcnt vmcnt(2)
	v_perm_b32 v111, v38, v34, s62
	ds_write2st64_b32 v109, v110, v111 offset0:32 offset1:64
	v_xor_b32_e32 v110, 8, v109
	v_perm_b32 v42, v46, v42, s63
	v_perm_b32 v34, v38, v34, s63
	v_add_u32_e32 v38, 0x80, v110
	ds_write2st64_b32 v38, v42, v34 offset0:32 offset1:64
	v_xor_b32_e32 v34, 16, v109
	v_perm_b32 v38, v47, v43, s62
	v_perm_b32 v42, v39, v35, s62
	ds_write2st64_b32 v34, v38, v42 offset0:33 offset1:65
	v_xor_b32_e32 v34, 24, v109
	v_perm_b32 v38, v47, v43, s63
	v_perm_b32 v35, v39, v35, s63
	v_add_u32_e32 v34, 0x80, v34
	ds_write2st64_b32 v34, v38, v35 offset0:33 offset1:65
	v_xor_b32_e32 v34, 32, v109
	v_perm_b32 v35, v48, v44, s62
	;; [unrolled: 9-line block ×3, first 2 shown]
	v_perm_b32 v36, v41, v37, s62
	ds_write2st64_b32 v34, v35, v36 offset0:35 offset1:67
	v_xor_b32_e32 v34, 56, v109
	v_perm_b32 v35, v49, v45, s63
	v_perm_b32 v36, v41, v37, s63
	v_add_u32_e32 v34, 0x80, v34
	ds_write2st64_b32 v34, v35, v36 offset0:35 offset1:67
	ds_write_b64 v108, v[30:31] offset:24576
	v_xor_b32_e32 v30, 8, v108
	ds_write_b64 v30, v[32:33] offset:24576
	ds_write_b64 v108, v[26:27] offset:32768
	;; [unrolled: 1-line block ×4, first 2 shown]
	v_xor_b32_e32 v22, 8, v107
	ds_write_b64 v22, v[24:25] offset:24576
	ds_write_b64 v107, v[18:19] offset:32768
	;; [unrolled: 1-line block ×3, first 2 shown]
.LBB417_16:                             ;   in Loop: Header=BB417_6 Depth=1
	s_waitcnt vmcnt(2)
	v_exp_f32_e32 v34, s24
	v_accvgpr_read_b32 v33, a7
	v_accvgpr_read_b32 v25, a3
	;; [unrolled: 1-line block ×16, first 2 shown]
	s_add_i32 s59, s59, 64
	v_fma_f32 v2, v2, v34, v30
	v_fma_f32 v3, v3, v34, v31
	v_fma_f32 v4, v4, v34, v32
	v_fmac_f32_e32 v33, v5, v34
	v_fma_f32 v10, v10, v34, v22
	v_fma_f32 v11, v11, v34, v23
	v_fma_f32 v12, v12, v34, v24
	v_fmac_f32_e32 v25, v13, v34
	;; [unrolled: 4-line block ×3, first 2 shown]
	v_fma_f32 v14, v14, v34, v18
	v_fma_f32 v15, v15, v34, v19
	v_fma_f32 v16, v16, v34, v20
	s_cmp_eq_u32 s52, s43
	v_fmac_f32_e32 v21, v17, v34
	s_cbranch_scc1 .LBB417_18
; %bb.17:                               ;   in Loop: Header=BB417_6 Depth=1
	s_mov_b32 s64, s43
	v_mov_b32_e32 v5, v33
	v_mov_b32_e32 v9, v29
	;; [unrolled: 1-line block ×4, first 2 shown]
	s_branch .LBB417_6
.LBB417_18:
	v_mov_b32_e32 v5, v33
	v_mov_b32_e32 v9, v29
	;; [unrolled: 1-line block ×4, first 2 shown]
.LBB417_19:
	s_lshl_b32 s30, s52, 6
	s_sub_i32 s31, s54, s30
	s_cmp_gt_i32 s31, 0
	s_cbranch_scc0 .LBB417_84
; %bb.20:
	s_add_i32 s30, s30, s38
	s_ashr_i32 s3, s30, 31
	s_cmpk_lg_i32 s23, 0x80
	s_cselect_b64 s[26:27], -1, 0
	s_and_b64 vcc, exec, s[26:27]
	s_cbranch_vccz .LBB417_22
; %bb.21:
	s_mul_i32 s1, s30, s22
	s_ashr_i32 s4, s55, 31
	s_mul_hi_i32 s0, s30, s22
	s_add_u32 s28, s1, s55
	s_addc_u32 s29, s0, s4
	s_cbranch_execz .LBB417_23
	s_branch .LBB417_24
.LBB417_22:
                                        ; implicit-def: $sgpr28_sgpr29
.LBB417_23:
	s_mul_i32 s1, s55, s20
	s_mul_hi_i32 s0, s55, s20
	s_add_u32 s28, s1, s30
	s_addc_u32 s29, s0, s3
.LBB417_24:
	s_add_i32 s4, s52, s56
	s_add_u32 s0, s58, s30
	v_lshlrev_b32_e32 v22, 5, v71
	v_lshlrev_b32_e32 v38, 2, v68
	s_addc_u32 s1, s57, s3
	s_mov_b32 s3, 0x7060302
	v_or_b32_e32 v25, v22, v38
	v_xor_b32_e32 v23, v71, v38
	s_waitcnt vmcnt(3)
	v_perm_b32 v19, v5, v4, s3
	v_perm_b32 v18, v3, v2, s3
	s_waitcnt vmcnt(2)
	v_perm_b32 v21, v9, v8, s3
	v_perm_b32 v20, v7, v6, s3
	v_lshlrev_b32_e32 v25, 1, v25
	v_xor_b32_e32 v24, v72, v38
	ds_write2st64_b64 v25, v[18:19], v[20:21] offset0:80 offset1:88
	v_lshlrev_b32_e32 v23, 1, v23
	v_lshlrev_b32_e32 v25, 8, v68
	s_lshl_b64 s[24:25], s[0:1], 8
	v_or_b32_e32 v26, v23, v25
	v_lshlrev_b32_e32 v24, 1, v24
	s_add_u32 s0, s14, s24
	ds_write_b64 v26, v[18:19]
	v_or_b32_e32 v18, v24, v25
	s_addc_u32 s1, s15, s25
	ds_write_b64 v18, v[20:21]
	s_waitcnt vmcnt(1)
	v_perm_b32 v19, v13, v12, s3
	v_perm_b32 v18, v11, v10, s3
	s_waitcnt vmcnt(0)
	v_perm_b32 v21, v17, v16, s3
	v_perm_b32 v20, v15, v14, s3
	v_or_b32_e32 v25, 16, v68
	s_mul_hi_i32 s3, s4, s21
	s_mul_i32 s4, s4, s21
	v_lshlrev_b32_e32 v35, 2, v25
	s_add_u32 s4, s4, s51
	v_or_b32_e32 v22, v22, v35
	s_addc_u32 s5, s3, s53
	v_lshlrev_b32_e32 v22, 1, v22
	s_ashr_i32 s3, s2, 31
	s_lshl_b64 s[4:5], s[4:5], 15
	ds_write2st64_b64 v22, v[18:19], v[20:21] offset0:80 offset1:88
	v_lshlrev_b32_e32 v22, 8, v25
	s_add_u32 s4, s6, s4
	v_or_b32_e32 v23, v23, v22
	s_addc_u32 s5, s7, s5
	s_lshl_b64 s[2:3], s[2:3], 8
	ds_write_b64 v23, v[18:19]
	v_or_b32_e32 v18, v24, v22
	s_add_u32 s2, s4, s2
	ds_write_b64 v18, v[20:21]
	v_lshrrev_b32_e32 v18, 4, v0
	s_addc_u32 s3, s5, s3
	v_lshlrev_b32_e32 v19, 1, v68
	v_lshlrev_b32_e32 v26, 4, v68
	v_mov_b32_e32 v27, 0
	v_or_b32_e32 v20, 1, v19
	v_xor_b32_e32 v19, v18, v19
	v_lshl_add_u64 v[28:29], s[2:3], 0, v[26:27]
	v_lshlrev_b32_e32 v26, 8, v18
	v_xor_b32_e32 v22, v20, v18
	v_lshl_or_b32 v18, v19, 3, v26
	s_waitcnt lgkmcnt(0)
	s_barrier
	ds_read2st64_b64 v[18:21], v18 offset1:8
	v_lshl_or_b32 v22, v22, 3, v26
	ds_read2st64_b64 v[22:25], v22 offset1:8
	v_lshl_add_u64 v[30:31], v[28:29], 0, v[26:27]
	s_movk_i32 s2, 0x1000
	s_waitcnt lgkmcnt(1)
	v_mov_b32_e32 v26, v18
	v_add_co_u32_e32 v18, vcc, s2, v30
	s_cmp_lg_u32 s31, 64
	v_mov_b32_e32 v27, v19
	v_addc_co_u32_e32 v19, vcc, 0, v31, vcc
	s_cselect_b64 s[14:15], -1, 0
	v_lshl_or_b32 v42, v1, 3, v70
	s_waitcnt lgkmcnt(0)
	v_mov_b32_e32 v28, v22
	v_mov_b32_e32 v29, v23
	;; [unrolled: 1-line block ×4, first 2 shown]
	s_mov_b32 s4, 0
	v_or_b32_e32 v36, 32, v42
	v_and_b32_e32 v34, 56, v69
	s_and_b64 vcc, exec, s[14:15]
	global_store_dwordx4 v[30:31], v[26:29], off
	global_store_dwordx4 v[18:19], v[22:25], off
	s_cbranch_vccz .LBB417_30
; %bb.25:
	s_mov_b32 s6, s4
	s_mov_b32 s7, s4
	;; [unrolled: 1-line block ×3, first 2 shown]
	v_mov_b64_e32 v[24:25], s[6:7]
	v_mov_b64_e32 v[22:23], s[4:5]
	;; [unrolled: 1-line block ×3, first 2 shown]
	v_cmp_gt_i32_e32 vcc, s31, v42
	v_mov_b64_e32 v[20:21], v[24:25]
	s_and_saveexec_b64 s[2:3], vcc
	s_cbranch_execz .LBB417_27
; %bb.26:
	v_lshlrev_b32_e32 v18, 8, v42
	v_mov_b32_e32 v19, 0
	v_lshl_add_u64 v[20:21], s[0:1], 0, v[18:19]
	v_lshlrev_b32_e32 v18, 1, v34
	v_lshl_add_u64 v[26:27], v[20:21], 0, v[18:19]
	global_load_dwordx4 v[22:25], v[26:27], off
	global_load_dwordx4 v[18:21], v[26:27], off offset:128
.LBB417_27:
	s_or_b64 exec, exec, s[2:3]
	s_mov_b32 s6, s4
	s_mov_b32 s7, s4
	;; [unrolled: 1-line block ×3, first 2 shown]
	v_mov_b64_e32 v[32:33], s[6:7]
	v_mov_b64_e32 v[30:31], s[4:5]
	;; [unrolled: 1-line block ×3, first 2 shown]
	v_cmp_gt_i32_e32 vcc, s31, v36
	v_lshlrev_b32_e32 v37, 7, v36
	v_mov_b64_e32 v[28:29], v[32:33]
	s_and_saveexec_b64 s[2:3], vcc
	s_cbranch_execz .LBB417_29
; %bb.28:
	v_lshlrev_b32_e32 v26, 1, v37
	v_mov_b32_e32 v27, 0
	v_lshl_add_u64 v[28:29], s[0:1], 0, v[26:27]
	v_lshlrev_b32_e32 v26, 1, v34
	v_lshl_add_u64 v[40:41], v[28:29], 0, v[26:27]
	global_load_dwordx4 v[30:33], v[40:41], off
	global_load_dwordx4 v[26:29], v[40:41], off offset:128
.LBB417_29:
	s_or_b64 exec, exec, s[2:3]
	v_lshrrev_b32_e32 v39, 3, v34
	v_lshlrev_b32_e32 v40, 3, v42
	v_or_b32_e32 v39, v40, v39
	v_lshlrev_b32_e32 v39, 4, v39
	v_and_b32_e32 v40, 0x78, v40
	v_xor_b32_e32 v39, v39, v40
	s_branch .LBB417_32
.LBB417_30:
                                        ; implicit-def: $vgpr39
                                        ; implicit-def: $vgpr37
                                        ; implicit-def: $vgpr22_vgpr23_vgpr24_vgpr25
                                        ; implicit-def: $vgpr18_vgpr19_vgpr20_vgpr21
                                        ; implicit-def: $vgpr30_vgpr31_vgpr32_vgpr33
                                        ; implicit-def: $vgpr26_vgpr27_vgpr28_vgpr29
	s_cbranch_execz .LBB417_32
; %bb.31:
	s_waitcnt vmcnt(0)
	v_lshlrev_b32_e32 v18, 1, v34
	v_lshl_or_b32 v37, v42, 8, v18
	s_and_b32 s1, s1, 0xffff
	s_mov_b32 s3, 0x20000
	s_movk_i32 s2, 0x4000
	v_lshl_or_b32 v39, v36, 8, v18
	s_movk_i32 s4, 0x80
	buffer_load_dwordx4 v[22:25], v37, s[0:3], 0 offen
	buffer_load_dwordx4 v[18:21], v37, s[0:3], s4 offen
	;; [unrolled: 1-line block ×4, first 2 shown]
	v_lshrrev_b32_e32 v37, 3, v34
	v_lshlrev_b32_e32 v39, 3, v42
	v_or_b32_e32 v37, v39, v37
	v_lshlrev_b32_e32 v37, 4, v37
	v_and_b32_e32 v39, 0x78, v39
	v_xor_b32_e32 v39, v37, v39
	v_lshlrev_b32_e32 v37, 7, v36
.LBB417_32:
	s_lshl_b64 s[0:1], s[28:29], 8
	s_add_u32 s4, s12, s0
	s_movk_i32 s0, 0x1000
	v_and_or_b32 v36, v37, s0, v39
	s_waitcnt vmcnt(1)
	ds_write_b64 v39, v[22:23] offset:24576
	v_xor_b32_e32 v22, 8, v39
	ds_write_b64 v22, v[24:25] offset:24576
	s_waitcnt vmcnt(0)
	ds_write_b64 v39, v[18:19] offset:32768
	ds_write_b64 v22, v[20:21] offset:32768
	;; [unrolled: 1-line block ×3, first 2 shown]
	v_xor_b32_e32 v18, 8, v36
	ds_write_b64 v18, v[32:33] offset:24576
	ds_write_b64 v36, v[26:27] offset:32768
	;; [unrolled: 1-line block ×3, first 2 shown]
	v_or_b32_e32 v18, v66, v68
	v_lshlrev_b32_e32 v18, 3, v18
	v_lshrrev_b32_e32 v19, 5, v51
	s_movk_i32 s3, 0xf8
	v_and_or_b32 v19, v18, s3, v19
	v_lshlrev_b32_e32 v23, 4, v19
	v_lshlrev_b32_e32 v39, 11, v1
	v_and_b32_e32 v24, 0x78, v18
	v_or_b32_e32 v26, 32, v23
	v_and_b32_e32 v22, 0x1000, v39
	v_lshrrev_b32_e32 v19, 1, v51
	v_xor_b32_e32 v26, v26, v24
	v_xor_b32_e32 v18, v23, v24
	v_and_b32_e32 v25, 8, v19
	v_or_b32_e32 v26, v26, v22
	v_or_b32_e32 v18, v18, v22
	v_xor_b32_e32 v44, v26, v25
	v_or_b32_e32 v26, 64, v23
	v_xor_b32_e32 v43, v18, v25
	v_xor_b32_e32 v26, v26, v24
	s_waitcnt lgkmcnt(0)
	s_barrier
	v_or_b32_e32 v28, v26, v22
	ds_read_b64 v[26:27], v43 offset:24576
	v_lshl_or_b32 v36, v67, 7, v38
	v_lshlrev_b32_e32 v40, 1, v36
	v_add_u32_e32 v18, 0xa000, v40
	ds_read2_b64 v[18:21], v18 offset1:16
	v_or_b32_e32 v23, 0x60, v23
	v_xor_b32_e32 v23, v23, v24
	s_waitcnt lgkmcnt(0)
	v_mfma_f32_16x16x16_bf16 a[0:3], v[26:27], v[18:19], 0
	v_or_b32_e32 v18, 64, v36
	v_or_b32_e32 v22, v23, v22
	v_lshlrev_b32_e32 v41, 1, v18
	v_xor_b32_e32 v45, v28, v25
	v_xor_b32_e32 v46, v22, v25
	ds_read_b64 v[28:29], v44 offset:24576
	ds_read_b64 v[30:31], v45 offset:24576
	;; [unrolled: 1-line block ×3, first 2 shown]
	v_mfma_f32_16x16x16_bf16 a[4:7], v[26:27], v[20:21], 0
	ds_read2st64_b64 v[18:21], v41 offset0:82 offset1:84
	ds_read2st64_b64 v[22:25], v40 offset0:82 offset1:84
	s_addc_u32 s5, s13, s1
	s_add_i32 s1, s47, s33
	s_add_i32 s0, s39, -1
	s_add_i32 s41, s1, s48
	s_add_i32 s1, s49, s46
	s_add_i32 s43, s1, s50
	s_ashr_i32 s1, s0, 31
	s_mul_i32 s2, s0, s37
	s_mul_hi_u32 s3, s0, s36
	s_add_i32 s2, s3, s2
	s_mul_i32 s1, s1, s36
	s_waitcnt lgkmcnt(1)
	v_mfma_f32_16x16x16_bf16 a[4:7], v[28:29], v[18:19], a[4:7]
	s_add_i32 s1, s2, s1
	s_lshl_b64 s[2:3], s[40:41], 2
	s_add_u32 s6, s18, s2
	s_waitcnt lgkmcnt(0)
	v_mfma_f32_16x16x16_bf16 a[0:3], v[28:29], v[22:23], a[0:3]
	s_addc_u32 s7, s19, s3
	s_lshl_b64 s[2:3], s[42:43], 2
	s_mul_i32 s0, s0, s36
	s_add_u32 s12, s6, s2
	ds_read_b64 v[18:19], v40 offset:44032
	v_mfma_f32_16x16x16_bf16 a[4:7], v[30:31], v[20:21], a[4:7]
	ds_read_b64 v[20:21], v41 offset:44032
	s_addc_u32 s13, s7, s3
	s_lshl_b64 s[0:1], s[0:1], 2
	v_mfma_f32_16x16x16_bf16 a[0:3], v[30:31], v[24:25], a[0:3]
	s_add_u32 s0, s12, s0
	s_addc_u32 s1, s13, s1
	s_load_dword s18, s[0:1], 0x0
	s_waitcnt lgkmcnt(0)
	v_mfma_f32_16x16x16_bf16 a[0:3], v[32:33], v[18:19], a[0:3]
	s_and_b64 vcc, exec, s[26:27]
	v_mfma_f32_16x16x16_bf16 a[4:7], v[32:33], v[20:21], a[4:7]
	s_cbranch_vccz .LBB417_43
; %bb.33:
	v_lshlrev_b32_e32 v36, 1, v42
	s_and_b64 vcc, exec, s[14:15]
	s_cbranch_vccz .LBB417_44
; %bb.34:
	v_cmp_gt_i32_e32 vcc, s31, v36
	v_mov_b32_e32 v22, 0
	v_mov_b32_e32 v18, 0
	v_mov_b32_e32 v19, 0
	v_mov_b32_e32 v20, 0
	v_mov_b32_e32 v21, 0
	s_and_saveexec_b64 s[0:1], vcc
	s_cbranch_execz .LBB417_36
; %bb.35:
	v_mad_i64_i32 v[18:19], s[2:3], s23, v36, 0
	v_lshl_add_u64 v[18:19], v[18:19], 1, s[4:5]
	v_lshlrev_b32_e32 v20, 1, v34
	v_mov_b32_e32 v21, 0
	v_lshl_add_u64 v[18:19], v[18:19], 0, v[20:21]
	global_load_dwordx4 v[18:21], v[18:19], off
.LBB417_36:
	s_or_b64 exec, exec, s[0:1]
	v_or_b32_e32 v37, 1, v36
	v_cmp_gt_i32_e64 s[0:1], s31, v37
	v_mov_b32_e32 v23, 0
	v_mov_b32_e32 v24, 0
	;; [unrolled: 1-line block ×3, first 2 shown]
	s_and_saveexec_b64 s[2:3], s[0:1]
	s_cbranch_execz .LBB417_38
; %bb.37:
	v_mad_i64_i32 v[22:23], s[6:7], s23, v37, 0
	v_lshl_add_u64 v[22:23], v[22:23], 1, s[4:5]
	v_lshlrev_b32_e32 v24, 1, v34
	v_mov_b32_e32 v25, 0
	v_lshl_add_u64 v[22:23], v[22:23], 0, v[24:25]
	global_load_dwordx4 v[22:25], v[22:23], off
.LBB417_38:
	s_or_b64 exec, exec, s[2:3]
	v_mov_b32_e32 v33, 0
	v_mov_b32_e32 v26, 0
	;; [unrolled: 1-line block ×5, first 2 shown]
	s_and_saveexec_b64 s[2:3], vcc
	s_cbranch_execz .LBB417_40
; %bb.39:
	v_mad_i64_i32 v[26:27], s[6:7], s23, v36, 0
	v_lshl_add_u64 v[26:27], v[26:27], 1, s[4:5]
	v_lshlrev_b32_e32 v28, 1, v34
	v_mov_b32_e32 v29, 0
	v_lshl_add_u64 v[26:27], v[26:27], 0, v[28:29]
	global_load_dwordx4 v[26:29], v[26:27], off offset:128
.LBB417_40:
	s_or_b64 exec, exec, s[2:3]
	v_mov_b32_e32 v32, 0
	v_mov_b32_e32 v31, 0
	;; [unrolled: 1-line block ×3, first 2 shown]
	s_and_saveexec_b64 s[2:3], s[0:1]
	s_cbranch_execz .LBB417_42
; %bb.41:
	v_mad_i64_i32 v[30:31], s[0:1], s23, v37, 0
	v_lshl_add_u64 v[30:31], v[30:31], 1, s[4:5]
	v_lshlrev_b32_e32 v32, 1, v34
	v_mov_b32_e32 v33, 0
	v_lshl_add_u64 v[30:31], v[30:31], 0, v[32:33]
	global_load_dwordx4 v[30:33], v[30:31], off offset:128
.LBB417_42:
	s_or_b64 exec, exec, s[2:3]
	s_branch .LBB417_46
.LBB417_43:
                                        ; implicit-def: $vgpr21
                                        ; implicit-def: $vgpr25
                                        ; implicit-def: $vgpr29
                                        ; implicit-def: $vgpr33
	v_lshrrev_b32_e32 v47, 2, v51
	s_branch .LBB417_47
.LBB417_44:
                                        ; implicit-def: $vgpr21
                                        ; implicit-def: $vgpr25
                                        ; implicit-def: $vgpr29
                                        ; implicit-def: $vgpr33
	s_cbranch_execz .LBB417_46
; %bb.45:
	s_waitcnt vmcnt(0)
	v_mad_u64_u32 v[18:19], s[0:1], v36, s23, v[34:35]
	v_lshlrev_b32_e32 v36, 1, v18
	s_lshl_b32 s2, s23, 7
	s_and_b32 s1, s5, 0xffff
	s_mov_b32 s3, 0x20000
	s_mov_b32 s0, s4
	v_add_lshl_u32 v37, v18, s23, 1
	s_movk_i32 s6, 0x80
	buffer_load_dwordx4 v[18:21], v36, s[0:3], 0 offen
	buffer_load_dwordx4 v[26:29], v36, s[0:3], s6 offen
	;; [unrolled: 1-line block ×4, first 2 shown]
.LBB417_46:
	v_lshrrev_b32_e32 v47, 2, v51
	s_cbranch_execnz .LBB417_59
.LBB417_47:
	s_and_b64 vcc, exec, s[14:15]
	s_cbranch_vccz .LBB417_57
; %bb.48:
	s_waitcnt vmcnt(0)
	v_lshlrev_b32_e32 v23, 1, v42
	v_cmp_gt_i32_e32 vcc, s31, v23
	v_mov_b32_e32 v22, 0
	v_lshlrev_b32_e32 v30, 9, v42
	v_mov_b32_e32 v18, 0
	v_mov_b32_e32 v19, 0
	;; [unrolled: 1-line block ×4, first 2 shown]
	s_and_saveexec_b64 s[0:1], vcc
	s_cbranch_execz .LBB417_50
; %bb.49:
	v_mov_b32_e32 v31, 0
	v_lshl_add_u64 v[18:19], s[4:5], 0, v[30:31]
	v_lshlrev_b32_e32 v20, 1, v34
	v_mov_b32_e32 v21, v31
	v_lshl_add_u64 v[18:19], v[18:19], 0, v[20:21]
	global_load_dwordx4 v[18:21], v[18:19], off
.LBB417_50:
	s_or_b64 exec, exec, s[0:1]
	v_or_b32_e32 v23, 1, v23
	v_cmp_gt_i32_e64 s[0:1], s31, v23
	v_lshlrev_b32_e32 v36, 8, v23
	v_mov_b32_e32 v23, 0
	v_mov_b32_e32 v24, 0
	;; [unrolled: 1-line block ×3, first 2 shown]
	s_and_saveexec_b64 s[2:3], s[0:1]
	s_cbranch_execz .LBB417_52
; %bb.51:
	v_mov_b32_e32 v37, 0
	v_lshl_add_u64 v[22:23], s[4:5], 0, v[36:37]
	v_lshlrev_b32_e32 v24, 1, v34
	v_mov_b32_e32 v25, v37
	v_lshl_add_u64 v[22:23], v[22:23], 0, v[24:25]
	global_load_dwordx4 v[22:25], v[22:23], off
.LBB417_52:
	s_or_b64 exec, exec, s[2:3]
	v_mov_b32_e32 v33, 0
	v_mov_b32_e32 v26, 0
	;; [unrolled: 1-line block ×5, first 2 shown]
	s_and_saveexec_b64 s[2:3], vcc
	s_cbranch_execz .LBB417_54
; %bb.53:
	v_mov_b32_e32 v31, 0
	v_lshl_add_u64 v[26:27], s[4:5], 0, v[30:31]
	v_lshlrev_b32_e32 v30, 1, v34
	v_lshl_add_u64 v[26:27], v[26:27], 0, v[30:31]
	global_load_dwordx4 v[26:29], v[26:27], off offset:128
.LBB417_54:
	s_or_b64 exec, exec, s[2:3]
	v_mov_b32_e32 v32, 0
	v_mov_b32_e32 v31, 0
	;; [unrolled: 1-line block ×3, first 2 shown]
	s_and_saveexec_b64 s[2:3], s[0:1]
	s_cbranch_execz .LBB417_56
; %bb.55:
	v_mov_b32_e32 v37, 0
	v_lshl_add_u64 v[30:31], s[4:5], 0, v[36:37]
	v_lshlrev_b32_e32 v36, 1, v34
	v_lshl_add_u64 v[30:31], v[30:31], 0, v[36:37]
	global_load_dwordx4 v[30:33], v[30:31], off offset:128
.LBB417_56:
	s_or_b64 exec, exec, s[2:3]
	s_branch .LBB417_59
.LBB417_57:
                                        ; implicit-def: $vgpr21
                                        ; implicit-def: $vgpr25
                                        ; implicit-def: $vgpr29
                                        ; implicit-def: $vgpr33
	s_cbranch_execz .LBB417_59
; %bb.58:
	s_waitcnt vmcnt(0)
	v_lshlrev_b32_e32 v18, 1, v34
	v_lshl_or_b32 v34, v42, 9, v18
	s_and_b32 s5, s5, 0xffff
	s_mov_b32 s7, 0x20000
	s_movk_i32 s6, 0x4000
	s_movk_i32 s0, 0x80
	buffer_load_dwordx4 v[18:21], v34, s[4:7], 0 offen
	buffer_load_dwordx4 v[22:25], v34, s[4:7], 0 offen offset:256
	buffer_load_dwordx4 v[26:29], v34, s[4:7], s0 offen
	buffer_load_dwordx4 v[30:33], v34, s[4:7], s0 offen offset:256
.LBB417_59:
	ds_read_b64 v[36:37], v43 offset:32768
	v_add_u32_e32 v34, 0xb000, v40
	ds_read2_b64 v[58:61], v34 offset1:16
	ds_read_b64 v[48:49], v44 offset:32768
	ds_read_b64 v[44:45], v45 offset:32768
	;; [unrolled: 1-line block ×3, first 2 shown]
	v_and_b32_e32 v34, 6, v0
	v_xor_b32_e32 v42, v42, v34
	v_lshlrev_b32_e32 v42, 2, v42
	v_and_b32_e32 v43, 1, v0
	v_xor_b32_e32 v46, 0x440, v42
	v_cmp_eq_u32_e32 vcc, 0, v43
	s_waitcnt lgkmcnt(3)
	v_mfma_f32_16x16x16_bf16 a[0:3], v[36:37], v[58:59], a[0:3]
	s_mov_b32 s0, 0x1000504
	v_cndmask_b32_e32 v42, v46, v42, vcc
	v_lshl_or_b32 v34, v34, 10, v42
	v_mfma_f32_16x16x16_bf16 a[4:7], v[36:37], v[60:61], a[4:7]
	ds_read2st64_b64 v[58:61], v40 offset0:90 offset1:92
	ds_read2st64_b64 v[62:65], v41 offset0:90 offset1:92
	s_waitcnt vmcnt(0)
	v_perm_b32 v42, v18, v22, s0
	s_mov_b32 s1, 0x3020706
	s_waitcnt lgkmcnt(1)
	v_mfma_f32_16x16x16_bf16 a[0:3], v[48:49], v[58:59], a[0:3]
	ds_read_b64 v[36:37], v40 offset:48128
	ds_read_b64 v[58:59], v41 offset:48128
	v_perm_b32 v18, v18, v22, s1
	v_perm_b32 v22, v26, v30, s1
	s_waitcnt lgkmcnt(2)
	v_mfma_f32_16x16x16_bf16 a[4:7], v[48:49], v[62:63], a[4:7]
	v_and_or_b32 v43, v47, 12, v66
	v_mfma_f32_16x16x16_bf16 a[0:3], v[44:45], v[60:61], a[0:3]
	v_mfma_f32_16x16x16_bf16 a[8:11], v[44:45], v[64:65], a[4:7]
	s_waitcnt lgkmcnt(1)
	v_mfma_f32_16x16x16_bf16 a[4:7], v[68:69], v[36:37], a[0:3]
	v_perm_b32 v36, v26, v30, s0
	ds_write2st64_b32 v34, v42, v36 offset0:32 offset1:64
	v_xor_b32_e32 v36, 8, v34
	v_add_u32_e32 v26, 0x80, v36
	ds_write2st64_b32 v26, v18, v22 offset0:32 offset1:64
	v_xor_b32_e32 v18, 16, v34
	v_perm_b32 v22, v19, v23, s0
	v_perm_b32 v26, v27, v31, s0
	ds_write2st64_b32 v18, v22, v26 offset0:33 offset1:65
	v_xor_b32_e32 v18, 24, v34
	v_perm_b32 v19, v19, v23, s1
	v_perm_b32 v22, v27, v31, s1
	v_add_u32_e32 v18, 0x80, v18
	ds_write2st64_b32 v18, v19, v22 offset0:33 offset1:65
	v_xor_b32_e32 v18, 32, v34
	v_perm_b32 v19, v20, v24, s0
	v_perm_b32 v22, v28, v32, s0
	ds_write2st64_b32 v18, v19, v22 offset0:34 offset1:66
	v_xor_b32_e32 v18, 40, v34
	s_waitcnt lgkmcnt(5)
	v_mfma_f32_16x16x16_bf16 a[0:3], v[68:69], v[58:59], a[8:11]
	v_perm_b32 v19, v20, v24, s1
	v_perm_b32 v20, v28, v32, s1
	v_add_u32_e32 v18, 0x80, v18
	ds_write2st64_b32 v18, v19, v20 offset0:34 offset1:66
	v_xor_b32_e32 v18, 48, v34
	v_perm_b32 v19, v21, v25, s0
	v_perm_b32 v20, v29, v33, s0
	ds_write2st64_b32 v18, v19, v20 offset0:35 offset1:67
	v_xor_b32_e32 v18, 56, v34
	v_perm_b32 v19, v21, v25, s1
	v_perm_b32 v20, v29, v33, s1
	v_add_u32_e32 v18, 0x80, v18
	v_cmp_gt_i32_e64 s[0:1], s31, v43
	v_mov_b32_e32 v36, 0
	v_mov_b32_e32 v37, 0
	ds_write2st64_b32 v18, v19, v20 offset0:35 offset1:67
	s_and_saveexec_b64 s[2:3], s[0:1]
	s_cbranch_execz .LBB417_61
; %bb.60:
	v_add_u32_e32 v18, s30, v43
	v_ashrrev_i32_e32 v19, 31, v18
	v_mul_lo_u32 v20, v19, s36
	v_mul_lo_u32 v21, v18, s37
	v_mad_u64_u32 v[18:19], s[4:5], v18, s36, 0
	v_add3_u32 v19, v19, v21, v20
	v_lshl_add_u64 v[18:19], v[18:19], 2, s[12:13]
	global_load_dword v18, v[18:19], off
	s_waitcnt vmcnt(0)
	v_sub_f32_e32 v18, s18, v18
	v_exp_f32_e32 v37, v18
.LBB417_61:
	s_or_b64 exec, exec, s[2:3]
	v_or_b32_e32 v30, 1, v43
	v_cmp_gt_i32_e64 s[4:5], s31, v30
	s_and_saveexec_b64 s[2:3], s[4:5]
	s_cbranch_execz .LBB417_63
; %bb.62:
	v_add_u32_e32 v18, s30, v30
	v_ashrrev_i32_e32 v19, 31, v18
	v_mul_lo_u32 v20, v19, s36
	v_mul_lo_u32 v21, v18, s37
	v_mad_u64_u32 v[18:19], s[6:7], v18, s36, 0
	v_add3_u32 v19, v19, v21, v20
	v_lshl_add_u64 v[18:19], v[18:19], 2, s[12:13]
	global_load_dword v18, v[18:19], off
	s_waitcnt vmcnt(0)
	v_sub_f32_e32 v18, s18, v18
	v_exp_f32_e32 v36, v18
.LBB417_63:
	s_or_b64 exec, exec, s[2:3]
	v_or_b32_e32 v28, 2, v43
	v_cmp_gt_i32_e64 s[2:3], s31, v28
	v_mov_b32_e32 v34, 0
	v_mov_b32_e32 v42, 0
	s_and_saveexec_b64 s[6:7], s[2:3]
	s_cbranch_execz .LBB417_65
; %bb.64:
	v_add_u32_e32 v18, s30, v28
	v_ashrrev_i32_e32 v19, 31, v18
	v_mul_lo_u32 v20, v19, s36
	v_mul_lo_u32 v21, v18, s37
	v_mad_u64_u32 v[18:19], s[14:15], v18, s36, 0
	v_add3_u32 v19, v19, v21, v20
	v_lshl_add_u64 v[18:19], v[18:19], 2, s[12:13]
	global_load_dword v18, v[18:19], off
	s_waitcnt vmcnt(0)
	v_sub_f32_e32 v18, s18, v18
	v_exp_f32_e32 v42, v18
.LBB417_65:
	s_or_b64 exec, exec, s[6:7]
	v_or_b32_e32 v29, 3, v43
	v_cmp_gt_i32_e32 vcc, s31, v29
	s_and_saveexec_b64 s[6:7], vcc
	s_cbranch_execz .LBB417_67
; %bb.66:
	v_add_u32_e32 v18, s30, v29
	v_ashrrev_i32_e32 v19, 31, v18
	v_mul_lo_u32 v20, v19, s36
	v_mul_lo_u32 v21, v18, s37
	v_mad_u64_u32 v[18:19], s[14:15], v18, s36, 0
	v_add3_u32 v19, v19, v21, v20
	v_lshl_add_u64 v[18:19], v[18:19], 2, s[12:13]
	global_load_dword v18, v[18:19], off
	s_waitcnt vmcnt(0)
	v_sub_f32_e32 v18, s18, v18
	v_exp_f32_e32 v34, v18
.LBB417_67:
	s_or_b64 exec, exec, s[6:7]
	s_add_u32 s6, s16, s24
	s_addc_u32 s7, s17, s25
	s_add_u32 s8, s8, s24
	v_ashrrev_i32_e32 v57, 31, v56
	v_accvgpr_read_b32 v21, a7
	s_addc_u32 s9, s9, s25
	v_lshlrev_b64 v[22:23], 1, v[56:57]
	v_accvgpr_read_b32 v20, a6
	v_accvgpr_read_b32 v19, a5
	;; [unrolled: 1-line block ×3, first 2 shown]
	v_lshl_add_u64 v[24:25], s[6:7], 0, v[22:23]
	v_lshl_add_u64 v[22:23], s[8:9], 0, v[22:23]
	v_mov_b32_e32 v31, 0
	v_lshlrev_b32_e32 v26, 8, v43
	v_mov_b32_e32 v27, 0
	s_and_saveexec_b64 s[6:7], s[0:1]
	s_cbranch_execz .LBB417_69
; %bb.68:
	v_mov_b32_e32 v27, 0
	v_lshl_add_u64 v[32:33], v[24:25], 0, v[26:27]
	global_load_ushort v44, v[32:33], off
	v_lshl_add_u64 v[32:33], v[22:23], 0, v[26:27]
	s_waitcnt vmcnt(0)
	v_lshlrev_b32_e32 v27, 16, v44
	v_sub_f32_e32 v18, v27, v18
	global_store_short_d16_hi v[32:33], v18, off
	v_mul_f32_e32 v18, v37, v18
	v_lshrrev_b32_e32 v27, 16, v18
.LBB417_69:
	s_or_b64 exec, exec, s[6:7]
	v_lshlrev_b32_e32 v30, 8, v30
	s_and_saveexec_b64 s[6:7], s[4:5]
	s_cbranch_execz .LBB417_71
; %bb.70:
	v_mov_b32_e32 v31, 0
	v_lshl_add_u64 v[32:33], v[24:25], 0, v[30:31]
	global_load_ushort v18, v[32:33], off
	v_lshl_add_u64 v[32:33], v[22:23], 0, v[30:31]
	s_waitcnt vmcnt(0)
	v_lshlrev_b32_e32 v18, 16, v18
	v_sub_f32_e32 v18, v18, v19
	global_store_short_d16_hi v[32:33], v18, off
	v_mul_f32_e32 v18, v36, v18
	v_lshrrev_b32_e32 v31, 16, v18
.LBB417_71:
	s_or_b64 exec, exec, s[6:7]
	v_mov_b32_e32 v44, 0
	v_lshlrev_b32_e32 v32, 8, v28
	v_mov_b32_e32 v33, 0
	s_and_saveexec_b64 s[6:7], s[2:3]
	s_cbranch_execz .LBB417_73
; %bb.72:
	v_mov_b32_e32 v33, 0
	v_lshl_add_u64 v[18:19], v[24:25], 0, v[32:33]
	global_load_ushort v28, v[18:19], off
	v_lshl_add_u64 v[18:19], v[22:23], 0, v[32:33]
	s_waitcnt vmcnt(0)
	v_lshlrev_b32_e32 v28, 16, v28
	v_sub_f32_e32 v20, v28, v20
	global_store_short_d16_hi v[18:19], v20, off
	v_mul_f32_e32 v18, v42, v20
	v_lshrrev_b32_e32 v33, 16, v18
.LBB417_73:
	s_or_b64 exec, exec, s[6:7]
	v_lshlrev_b32_e32 v28, 8, v29
	s_and_saveexec_b64 s[6:7], vcc
	s_cbranch_execz .LBB417_75
; %bb.74:
	v_mov_b32_e32 v29, 0
	v_lshl_add_u64 v[18:19], v[24:25], 0, v[28:29]
	global_load_ushort v20, v[18:19], off
	v_lshl_add_u64 v[18:19], v[22:23], 0, v[28:29]
	s_waitcnt vmcnt(0)
	v_lshlrev_b32_e32 v20, 16, v20
	v_sub_f32_e32 v20, v20, v21
	global_store_short_d16_hi v[18:19], v20, off
	v_mul_f32_e32 v18, v34, v20
	v_lshrrev_b32_e32 v44, 16, v18
.LBB417_75:
	s_or_b64 exec, exec, s[6:7]
	v_lshlrev_b32_e32 v43, 5, v43
	s_mov_b32 s6, 0x5040100
	v_perm_b32 v45, v44, v33, s6
	v_perm_b32 v44, v31, v27, s6
	v_or_b32_e32 v27, v43, v38
	v_accvgpr_read_b32 v21, a3
	v_lshlrev_b32_e32 v27, 1, v27
	v_accvgpr_read_b32 v20, a2
	v_accvgpr_read_b32 v19, a1
	;; [unrolled: 1-line block ×3, first 2 shown]
	ds_write_b64 v27, v[44:45] offset:45056
	v_mov_b32_e32 v31, 0
	v_mov_b32_e32 v27, 0
	s_and_saveexec_b64 s[6:7], s[0:1]
	s_cbranch_execz .LBB417_77
; %bb.76:
	v_mov_b32_e32 v27, 0
	v_lshl_add_u64 v[44:45], v[24:25], 0, v[26:27]
	global_load_ushort v29, v[44:45], off offset:32
	v_lshl_add_u64 v[26:27], v[22:23], 0, v[26:27]
	s_waitcnt vmcnt(0)
	v_lshlrev_b32_e32 v29, 16, v29
	v_sub_f32_e32 v18, v29, v18
	global_store_short_d16_hi v[26:27], v18, off offset:32
	v_mul_f32_e32 v18, v37, v18
	v_lshrrev_b32_e32 v27, 16, v18
.LBB417_77:
	s_or_b64 exec, exec, s[6:7]
	s_and_saveexec_b64 s[0:1], s[4:5]
	s_cbranch_execz .LBB417_79
; %bb.78:
	v_mov_b32_e32 v31, 0
	v_lshl_add_u64 v[44:45], v[24:25], 0, v[30:31]
	global_load_ushort v18, v[44:45], off offset:32
	v_lshl_add_u64 v[30:31], v[22:23], 0, v[30:31]
	s_waitcnt vmcnt(0)
	v_lshlrev_b32_e32 v18, 16, v18
	v_sub_f32_e32 v18, v18, v19
	global_store_short_d16_hi v[30:31], v18, off offset:32
	v_mul_f32_e32 v18, v36, v18
	v_lshrrev_b32_e32 v31, 16, v18
.LBB417_79:
	s_or_b64 exec, exec, s[0:1]
	v_mov_b32_e32 v26, 0
	v_mov_b32_e32 v30, 0
	s_and_saveexec_b64 s[0:1], s[2:3]
	s_cbranch_execz .LBB417_81
; %bb.80:
	v_mov_b32_e32 v33, 0
	v_lshl_add_u64 v[18:19], v[24:25], 0, v[32:33]
	global_load_ushort v29, v[18:19], off offset:32
	v_lshl_add_u64 v[18:19], v[22:23], 0, v[32:33]
	s_waitcnt vmcnt(0)
	v_lshlrev_b32_e32 v29, 16, v29
	v_sub_f32_e32 v20, v29, v20
	global_store_short_d16_hi v[18:19], v20, off offset:32
	v_mul_f32_e32 v18, v42, v20
	v_lshrrev_b32_e32 v30, 16, v18
.LBB417_81:
	s_or_b64 exec, exec, s[0:1]
	v_or_b32_e32 v19, 0xb000, v40
	v_or_b32_e32 v18, 0xb000, v41
	s_and_saveexec_b64 s[0:1], vcc
	s_cbranch_execz .LBB417_83
; %bb.82:
	v_mov_b32_e32 v29, 0
	v_lshl_add_u64 v[24:25], v[24:25], 0, v[28:29]
	global_load_ushort v20, v[24:25], off offset:32
	v_lshl_add_u64 v[22:23], v[22:23], 0, v[28:29]
	s_waitcnt vmcnt(0)
	v_lshlrev_b32_e32 v20, 16, v20
	v_sub_f32_e32 v20, v20, v21
	global_store_short_d16_hi v[22:23], v20, off offset:32
	v_mul_f32_e32 v20, v34, v20
	v_lshrrev_b32_e32 v26, 16, v20
.LBB417_83:
	s_or_b64 exec, exec, s[0:1]
	s_mov_b32 s0, 0x5040100
	v_or_b32_e32 v22, v43, v35
	v_perm_b32 v21, v26, v30, s0
	v_perm_b32 v20, v31, v27, s0
	v_lshlrev_b32_e32 v22, 1, v22
	s_movk_i32 s0, 0x100
	ds_write_b64 v22, v[20:21] offset:45056
	v_and_b32_e32 v20, 7, v0
	v_and_b32_e32 v21, 8, v0
	v_cmp_gt_u32_e32 vcc, s0, v0
	v_lshrrev_b32_e32 v0, 1, v0
	v_lshlrev_b32_e32 v37, 3, v1
	v_and_b32_e32 v38, 24, v0
	v_lshlrev_b32_e32 v34, 3, v20
	v_lshlrev_b32_e32 v35, 7, v20
	v_mov_b32_e32 v20, 0x4000
	v_mov_b32_e32 v22, 0x2000
	v_xor_b32_e32 v0, v37, v38
	v_cndmask_b32_e32 v36, v20, v22, vcc
	v_or_b32_e32 v1, 0x440, v0
	v_cmp_eq_u32_e32 vcc, 0, v21
	s_waitcnt lgkmcnt(0)
	s_barrier
	v_cndmask_b32_e32 v0, v1, v0, vcc
	v_or_b32_e32 v0, v0, v39
	v_xad_u32 v40, v0, v34, v35
	v_add_u32_e32 v0, v36, v40
	ds_read_b64 v[0:1], v0
	ds_read2_b64 v[20:23], v19 offset1:16
	v_or_b32_e32 v24, 32, v38
	v_xor_b32_e32 v24, v37, v24
	v_or_b32_e32 v25, 0x440, v24
	v_cndmask_b32_e32 v24, v25, v24, vcc
	s_waitcnt lgkmcnt(0)
	v_mfma_f32_16x16x16_bf16 a[0:3], v[0:1], v[20:21], 0
	v_or_b32_e32 v24, v24, v39
	v_xad_u32 v41, v24, v34, v35
	v_add_u32_e32 v24, v36, v41
	v_mfma_f32_16x16x16_bf16 a[4:7], v[0:1], v[22:23], 0
	v_or_b32_e32 v0, 64, v38
	v_xor_b32_e32 v0, v37, v0
	v_xor_b32_e32 v1, 0x440, v0
	ds_read_b64 v[32:33], v24
	v_cndmask_b32_e32 v0, v1, v0, vcc
	v_or_b32_e32 v0, v0, v39
	v_xad_u32 v42, v0, v34, v35
	v_add_u32_e32 v0, v36, v42
	ds_read_b64 v[0:1], v0
	ds_read2st64_b64 v[24:27], v19 offset0:2 offset1:4
	ds_read2st64_b64 v[28:31], v18 offset0:2 offset1:4
	s_waitcnt lgkmcnt(1)
	v_mfma_f32_16x16x16_bf16 a[0:3], v[32:33], v[24:25], a[0:3]
	s_waitcnt lgkmcnt(0)
	v_mfma_f32_16x16x16_bf16 a[4:7], v[32:33], v[28:29], a[4:7]
	v_or_b32_e32 v32, 0x60, v38
	v_xor_b32_e32 v32, v37, v32
	v_xor_b32_e32 v33, 0x440, v32
	v_cndmask_b32_e32 v32, v33, v32, vcc
	v_or_b32_e32 v32, v32, v39
	v_xad_u32 v37, v32, v34, v35
	v_add_u32_e32 v32, v36, v37
	ds_read_b64 v[32:33], v32
	v_mfma_f32_16x16x16_bf16 a[0:3], v[0:1], v[26:27], a[0:3]
	v_exp_f32_e32 v36, s18
	v_mfma_f32_16x16x16_bf16 a[4:7], v[0:1], v[30:31], a[4:7]
	ds_read_b64 v[0:1], v19 offset:3072
	ds_read_b64 v[34:35], v18 offset:3072
	;; [unrolled: 1-line block ×3, first 2 shown]
	s_waitcnt lgkmcnt(0)
	v_mfma_f32_16x16x16_bf16 a[8:11], v[18:19], v[20:21], 0
	ds_read_b64 v[20:21], v41 offset:16384
	v_mfma_f32_16x16x16_bf16 a[0:3], v[32:33], v[0:1], a[0:3]
	v_mfma_f32_16x16x16_bf16 a[12:15], v[18:19], v[22:23], 0
	ds_read_b64 v[22:23], v42 offset:16384
	s_nop 4
	v_accvgpr_read_b32 v18, a0
	v_fma_f32 v18, v2, v36, v18
	v_accvgpr_read_b32 v2, a1
	v_fma_f32 v19, v3, v36, v2
	v_accvgpr_read_b32 v2, a2
	s_waitcnt lgkmcnt(1)
	v_mfma_f32_16x16x16_bf16 a[8:11], v[20:21], v[24:25], a[8:11]
	v_mfma_f32_16x16x16_bf16 a[12:15], v[20:21], v[28:29], a[12:15]
	v_fma_f32 v20, v4, v36, v2
	ds_read_b64 v[2:3], v37 offset:16384
	v_accvgpr_read_b32 v21, a3
	s_waitcnt lgkmcnt(1)
	v_mfma_f32_16x16x16_bf16 a[0:3], v[22:23], v[26:27], a[8:11]
	v_fmac_f32_e32 v21, v5, v36
	v_mfma_f32_16x16x16_bf16 a[4:7], v[32:33], v[34:35], a[4:7]
	v_mfma_f32_16x16x16_bf16 a[8:11], v[22:23], v[30:31], a[12:15]
	s_waitcnt lgkmcnt(0)
	v_mfma_f32_16x16x16_bf16 a[0:3], v[2:3], v[0:1], a[0:3]
	s_nop 3
	v_accvgpr_read_b32 v4, a4
	v_fma_f32 v26, v10, v36, v4
	v_accvgpr_read_b32 v4, a5
	v_fma_f32 v27, v11, v36, v4
	v_accvgpr_read_b32 v4, a6
	v_accvgpr_read_b32 v29, a7
	v_mfma_f32_16x16x16_bf16 a[4:7], v[2:3], v[34:35], a[8:11]
	v_accvgpr_read_b32 v0, a0
	v_fma_f32 v22, v6, v36, v0
	v_accvgpr_read_b32 v0, a1
	v_fma_f32 v23, v7, v36, v0
	;; [unrolled: 2-line block ×3, first 2 shown]
	v_accvgpr_read_b32 v25, a3
	v_accvgpr_read_b32 v0, a4
	v_fma_f32 v30, v14, v36, v0
	v_accvgpr_read_b32 v0, a5
	v_fma_f32 v31, v15, v36, v0
	v_accvgpr_read_b32 v0, a6
	v_accvgpr_read_b32 v33, a7
	v_fma_f32 v28, v12, v36, v4
	v_fmac_f32_e32 v29, v13, v36
	v_fmac_f32_e32 v25, v9, v36
	v_fma_f32 v32, v16, v36, v0
	v_fmac_f32_e32 v33, v17, v36
	v_mov_b64_e32 v[2:3], v[18:19]
	v_mov_b64_e32 v[4:5], v[20:21]
	v_mov_b64_e32 v[6:7], v[22:23]
	v_mov_b64_e32 v[8:9], v[24:25]
	v_mov_b64_e32 v[10:11], v[26:27]
	v_mov_b64_e32 v[12:13], v[28:29]
	v_mov_b64_e32 v[14:15], v[30:31]
	v_mov_b64_e32 v[16:17], v[32:33]
.LBB417_84:
	s_add_u32 s0, s10, s34
	s_addc_u32 s1, s11, s35
	v_lshl_add_u64 v[0:1], v[52:53], 2, s[0:1]
	v_mov_b32_e32 v51, 0
	v_lshl_add_u64 v[0:1], v[0:1], 0, v[50:51]
	s_waitcnt vmcnt(3)
	global_store_dwordx4 v[0:1], v[2:5], off
	s_waitcnt vmcnt(3)
	global_store_dwordx4 v[0:1], v[6:9], off offset:256
	v_lshl_add_u64 v[0:1], v[54:55], 2, s[0:1]
	v_lshl_add_u64 v[0:1], v[0:1], 0, v[50:51]
	s_waitcnt vmcnt(3)
	global_store_dwordx4 v[0:1], v[10:13], off
	s_waitcnt vmcnt(3)
	global_store_dwordx4 v[0:1], v[14:17], off offset:256
	s_endpgm
	.section	.rodata,"a",@progbits
	.p2align	6, 0x0
	.amdhsa_kernel _ZN12_GLOBAL__N_139chunk_gated_delta_rule_fwd_h_hip_kernelILi32ELb1ELb1ELb1ELb1ELb1ELb0ELb1ELb0EEEvPK12hip_bfloat16S3_S3_PKfS5_PKvPS1_S8_PvPKiSB_iiiiilll
		.amdhsa_group_segment_fixed_size 49152
		.amdhsa_private_segment_fixed_size 0
		.amdhsa_kernarg_size 136
		.amdhsa_user_sgpr_count 2
		.amdhsa_user_sgpr_dispatch_ptr 0
		.amdhsa_user_sgpr_queue_ptr 0
		.amdhsa_user_sgpr_kernarg_segment_ptr 1
		.amdhsa_user_sgpr_dispatch_id 0
		.amdhsa_user_sgpr_kernarg_preload_length 0
		.amdhsa_user_sgpr_kernarg_preload_offset 0
		.amdhsa_user_sgpr_private_segment_size 0
		.amdhsa_uses_dynamic_stack 0
		.amdhsa_enable_private_segment 0
		.amdhsa_system_sgpr_workgroup_id_x 1
		.amdhsa_system_sgpr_workgroup_id_y 1
		.amdhsa_system_sgpr_workgroup_id_z 0
		.amdhsa_system_sgpr_workgroup_info 0
		.amdhsa_system_vgpr_workitem_id 0
		.amdhsa_next_free_vgpr 156
		.amdhsa_next_free_sgpr 68
		.amdhsa_accum_offset 140
		.amdhsa_reserve_vcc 1
		.amdhsa_float_round_mode_32 0
		.amdhsa_float_round_mode_16_64 0
		.amdhsa_float_denorm_mode_32 3
		.amdhsa_float_denorm_mode_16_64 3
		.amdhsa_dx10_clamp 1
		.amdhsa_ieee_mode 1
		.amdhsa_fp16_overflow 0
		.amdhsa_tg_split 0
		.amdhsa_exception_fp_ieee_invalid_op 0
		.amdhsa_exception_fp_denorm_src 0
		.amdhsa_exception_fp_ieee_div_zero 0
		.amdhsa_exception_fp_ieee_overflow 0
		.amdhsa_exception_fp_ieee_underflow 0
		.amdhsa_exception_fp_ieee_inexact 0
		.amdhsa_exception_int_div_zero 0
	.end_amdhsa_kernel
	.section	.text._ZN12_GLOBAL__N_139chunk_gated_delta_rule_fwd_h_hip_kernelILi32ELb1ELb1ELb1ELb1ELb1ELb0ELb1ELb0EEEvPK12hip_bfloat16S3_S3_PKfS5_PKvPS1_S8_PvPKiSB_iiiiilll,"axG",@progbits,_ZN12_GLOBAL__N_139chunk_gated_delta_rule_fwd_h_hip_kernelILi32ELb1ELb1ELb1ELb1ELb1ELb0ELb1ELb0EEEvPK12hip_bfloat16S3_S3_PKfS5_PKvPS1_S8_PvPKiSB_iiiiilll,comdat
.Lfunc_end417:
	.size	_ZN12_GLOBAL__N_139chunk_gated_delta_rule_fwd_h_hip_kernelILi32ELb1ELb1ELb1ELb1ELb1ELb0ELb1ELb0EEEvPK12hip_bfloat16S3_S3_PKfS5_PKvPS1_S8_PvPKiSB_iiiiilll, .Lfunc_end417-_ZN12_GLOBAL__N_139chunk_gated_delta_rule_fwd_h_hip_kernelILi32ELb1ELb1ELb1ELb1ELb1ELb0ELb1ELb0EEEvPK12hip_bfloat16S3_S3_PKfS5_PKvPS1_S8_PvPKiSB_iiiiilll
                                        ; -- End function
	.section	.AMDGPU.csdata,"",@progbits
; Kernel info:
; codeLenInByte = 9364
; NumSgprs: 74
; NumVgprs: 138
; NumAgprs: 16
; TotalNumVgprs: 156
; ScratchSize: 0
; MemoryBound: 0
; FloatMode: 240
; IeeeMode: 1
; LDSByteSize: 49152 bytes/workgroup (compile time only)
; SGPRBlocks: 9
; VGPRBlocks: 19
; NumSGPRsForWavesPerEU: 74
; NumVGPRsForWavesPerEU: 156
; AccumOffset: 140
; Occupancy: 1
; WaveLimiterHint : 1
; COMPUTE_PGM_RSRC2:SCRATCH_EN: 0
; COMPUTE_PGM_RSRC2:USER_SGPR: 2
; COMPUTE_PGM_RSRC2:TRAP_HANDLER: 0
; COMPUTE_PGM_RSRC2:TGID_X_EN: 1
; COMPUTE_PGM_RSRC2:TGID_Y_EN: 1
; COMPUTE_PGM_RSRC2:TGID_Z_EN: 0
; COMPUTE_PGM_RSRC2:TIDIG_COMP_CNT: 0
; COMPUTE_PGM_RSRC3_GFX90A:ACCUM_OFFSET: 34
; COMPUTE_PGM_RSRC3_GFX90A:TG_SPLIT: 0
	.section	.text._ZN12_GLOBAL__N_139chunk_gated_delta_rule_fwd_h_hip_kernelILi32ELb1ELb1ELb0ELb1ELb1ELb0ELb1ELb0EEEvPK12hip_bfloat16S3_S3_PKfS5_PKvPS1_S8_PvPKiSB_iiiiilll,"axG",@progbits,_ZN12_GLOBAL__N_139chunk_gated_delta_rule_fwd_h_hip_kernelILi32ELb1ELb1ELb0ELb1ELb1ELb0ELb1ELb0EEEvPK12hip_bfloat16S3_S3_PKfS5_PKvPS1_S8_PvPKiSB_iiiiilll,comdat
	.globl	_ZN12_GLOBAL__N_139chunk_gated_delta_rule_fwd_h_hip_kernelILi32ELb1ELb1ELb0ELb1ELb1ELb0ELb1ELb0EEEvPK12hip_bfloat16S3_S3_PKfS5_PKvPS1_S8_PvPKiSB_iiiiilll ; -- Begin function _ZN12_GLOBAL__N_139chunk_gated_delta_rule_fwd_h_hip_kernelILi32ELb1ELb1ELb0ELb1ELb1ELb0ELb1ELb0EEEvPK12hip_bfloat16S3_S3_PKfS5_PKvPS1_S8_PvPKiSB_iiiiilll
	.p2align	8
	.type	_ZN12_GLOBAL__N_139chunk_gated_delta_rule_fwd_h_hip_kernelILi32ELb1ELb1ELb0ELb1ELb1ELb0ELb1ELb0EEEvPK12hip_bfloat16S3_S3_PKfS5_PKvPS1_S8_PvPKiSB_iiiiilll,@function
_ZN12_GLOBAL__N_139chunk_gated_delta_rule_fwd_h_hip_kernelILi32ELb1ELb1ELb0ELb1ELb1ELb0ELb1ELb0EEEvPK12hip_bfloat16S3_S3_PKfS5_PKvPS1_S8_PvPKiSB_iiiiilll: ; @_ZN12_GLOBAL__N_139chunk_gated_delta_rule_fwd_h_hip_kernelILi32ELb1ELb1ELb0ELb1ELb1ELb0ELb1ELb0EEEvPK12hip_bfloat16S3_S3_PKfS5_PKvPS1_S8_PvPKiSB_iiiiilll
; %bb.0:
	s_load_dwordx4 s[16:19], s[0:1], 0x5c
	s_load_dwordx2 s[4:5], s[0:1], 0x50
	s_abs_i32 s7, s3
	s_ashr_i32 s6, s3, 31
	s_load_dwordx4 s[12:15], s[0:1], 0x40
	s_load_dwordx4 s[20:23], s[0:1], 0x28
	s_waitcnt lgkmcnt(0)
	s_abs_i32 s10, s17
	v_cvt_f32_u32_e32 v1, s10
	s_sub_i32 s8, 0, s10
	s_ashr_i32 s11, s17, 31
	s_xor_b32 s6, s6, s11
	v_rcp_iflag_f32_e32 v1, v1
	v_and_b32_e32 v66, 15, v0
	v_bfe_u32 v65, v0, 4, 2
	v_mov_b32_e32 v51, 0
	v_mul_f32_e32 v1, 0x4f7ffffe, v1
	v_cvt_u32_f32_e32 v1, v1
	v_lshlrev_b32_e32 v67, 3, v0
	v_readfirstlane_b32 s9, v1
	s_mul_i32 s8, s8, s9
	s_mul_hi_u32 s8, s9, s8
	s_add_i32 s9, s9, s8
	s_mul_hi_u32 s8, s7, s9
	s_mul_i32 s9, s8, s10
	s_sub_i32 s7, s7, s9
	s_add_i32 s24, s8, 1
	s_sub_i32 s9, s7, s10
	s_cmp_ge_u32 s7, s10
	s_cselect_b32 s8, s24, s8
	s_cselect_b32 s7, s9, s7
	s_add_i32 s9, s8, 1
	s_cmp_ge_u32 s7, s10
	s_cselect_b32 s7, s9, s8
	s_xor_b32 s7, s7, s6
	s_sub_i32 s24, s7, s6
	s_mul_i32 s28, s24, s17
	s_ashr_i32 s25, s24, 31
	s_sub_i32 s49, s3, s28
	s_lshl_b64 s[6:7], s[24:25], 2
	s_add_u32 s8, s14, s6
	s_addc_u32 s9, s15, s7
	s_add_u32 s26, s4, s6
	s_addc_u32 s27, s5, s7
	s_abs_i32 s3, s18
	v_cvt_f32_u32_e32 v1, s3
	s_load_dwordx2 s[36:37], s[8:9], 0x0
	s_sub_i32 s5, 0, s3
	s_lshl_b32 s2, s2, 5
	v_rcp_iflag_f32_e32 v1, v1
	v_or_b32_e32 v56, s2, v66
	s_waitcnt lgkmcnt(0)
	s_sub_i32 s52, s37, s36
	s_ashr_i32 s4, s52, 31
	v_mul_f32_e32 v1, 0x4f7ffffe, v1
	v_cvt_u32_f32_e32 v1, v1
	s_lshr_b32 s4, s4, 26
	s_add_i32 s4, s52, s4
	s_ashr_i32 s50, s4, 6
	v_readfirstlane_b32 s6, v1
	s_mul_i32 s5, s5, s6
	s_mul_hi_u32 s5, s6, s5
	s_add_i32 s6, s6, s5
	s_mul_hi_u32 s5, s10, s6
	s_mul_i32 s6, s5, s3
	s_ashr_i32 s4, s18, 31
	s_sub_i32 s6, s10, s6
	s_xor_b32 s4, s11, s4
	s_add_i32 s7, s5, 1
	s_sub_i32 s8, s6, s3
	s_cmp_ge_u32 s6, s3
	s_cselect_b32 s5, s7, s5
	s_cselect_b32 s6, s8, s6
	s_add_i32 s7, s5, 1
	s_cmp_ge_u32 s6, s3
	s_cselect_b32 s3, s7, s5
	s_xor_b32 s3, s3, s4
	s_sub_i32 s3, s3, s4
	s_abs_i32 s4, s3
	v_cvt_f32_u32_e32 v1, s4
	s_sub_i32 s6, 0, s4
	s_abs_i32 s5, s49
	s_xor_b32 s3, s49, s3
	v_rcp_iflag_f32_e32 v2, v1
	s_ashr_i32 s3, s3, 31
	v_lshrrev_b32_e32 v1, 6, v0
	v_lshlrev_b32_e32 v64, 4, v1
	v_mul_f32_e32 v2, 0x4f7ffffe, v2
	v_cvt_u32_f32_e32 v2, v2
	v_lshlrev_b32_e32 v52, 7, v56
	v_lshl_or_b32 v69, v65, 2, v64
	v_ashrrev_i32_e32 v53, 31, v52
	v_readfirstlane_b32 s7, v2
	s_mul_i32 s6, s6, s7
	s_mul_hi_u32 s6, s7, s6
	s_add_i32 s7, s7, s6
	s_mul_hi_u32 s6, s5, s7
	s_mul_i32 s7, s6, s4
	s_sub_i32 s5, s5, s7
	s_add_i32 s7, s6, 1
	s_sub_i32 s8, s5, s4
	s_cmp_ge_u32 s5, s4
	s_cselect_b32 s6, s7, s6
	s_cselect_b32 s5, s8, s5
	s_add_i32 s7, s6, 1
	s_cmp_ge_u32 s5, s4
	s_cselect_b32 s4, s7, s6
	s_xor_b32 s4, s4, s3
	s_sub_i32 s53, s4, s3
	s_ashr_i32 s51, s49, 31
	s_mul_hi_i32 s3, s24, s17
	s_add_u32 s4, s28, s49
	s_addc_u32 s5, s3, s51
	s_lshl_b64 s[14:15], s[4:5], 16
	s_add_u32 s4, s20, s14
	s_addc_u32 s5, s21, s15
	v_lshl_add_u64 v[2:3], v[52:53], 2, s[4:5]
	v_lshlrev_b32_e32 v50, 2, v69
	v_or_b32_e32 v54, 0x800, v52
	v_lshl_add_u64 v[10:11], v[2:3], 0, v[50:51]
	v_ashrrev_i32_e32 v55, 31, v54
	global_load_dwordx4 v[2:5], v[10:11], off
	global_load_dwordx4 v[6:9], v[10:11], off offset:256
	v_lshl_add_u64 v[10:11], v[54:55], 2, s[4:5]
	v_lshl_add_u64 v[18:19], v[10:11], 0, v[50:51]
	global_load_dwordx4 v[10:13], v[18:19], off
	global_load_dwordx4 v[14:17], v[18:19], off offset:256
	s_load_dwordx8 s[4:11], s[0:1], 0x0
	s_load_dwordx2 s[34:35], s[0:1], 0x80
	s_load_dwordx4 s[28:31], s[0:1], 0x70
	s_load_dword s54, s[26:27], 0x0
	v_and_b32_e32 v51, 63, v0
	v_or_b32_e32 v70, 64, v69
	s_cmp_lt_i32 s52, 64
	s_mul_hi_i32 s55, s49, s16
	s_mul_i32 s56, s49, s16
	v_lshrrev_b32_e32 v68, 3, v51
	s_waitcnt lgkmcnt(0)
	s_mul_i32 s33, s24, s29
	s_mul_hi_u32 s45, s24, s28
	s_mul_i32 s46, s25, s28
	s_mul_i32 s38, s24, s28
	;; [unrolled: 1-line block ×3, first 2 shown]
	s_mul_hi_u32 s47, s49, s30
	s_mul_i32 s48, s51, s30
	s_mul_i32 s40, s49, s30
	s_cbranch_scc1 .LBB418_19
; %bb.1:
	s_ashr_i32 s1, s36, 31
	s_add_u32 s0, s56, s36
	s_addc_u32 s1, s55, s1
	s_lshl_b64 s[0:1], s[0:1], 8
	v_and_b32_e32 v72, 56, v67
	s_add_u32 s24, s6, s0
	v_lshl_or_b32 v71, v1, 3, v68
	v_lshlrev_b32_e32 v18, 1, v72
	s_addc_u32 s0, s7, s1
	v_lshl_or_b32 v73, v71, 8, v18
	s_and_b32 s25, s0, 0xffff
	s_mov_b32 s27, 0x20000
	s_movk_i32 s26, 0x4000
	s_movk_i32 s0, 0x80
	v_or_b32_e32 v74, 0x2000, v73
	buffer_load_dwordx4 v[20:23], v73, s[24:27], 0 offen
	buffer_load_dwordx4 v[24:27], v73, s[24:27], s0 offen
	;; [unrolled: 1-line block ×4, first 2 shown]
	v_lshlrev_b32_e32 v19, 3, v71
	v_and_or_b32 v37, v0, 7, v19
	v_and_b32_e32 v19, 0x78, v19
	v_lshlrev_b32_e32 v37, 4, v37
	v_xor_b32_e32 v75, v37, v19
	v_mul_lo_u32 v36, v71, s19
	v_or_b32_e32 v76, 0x1000, v75
	v_xor_b32_e32 v19, 8, v75
	s_cmpk_eq_i32 s19, 0x80
	s_mov_b32 s57, s36
	v_xor_b32_e32 v37, 8, v76
	s_cselect_b64 s[0:1], -1, 0
	s_cmpk_lg_i32 s19, 0x80
	s_waitcnt vmcnt(3)
	ds_write_b64 v75, v[20:21] offset:24576
	ds_write_b64 v19, v[22:23] offset:24576
	s_waitcnt vmcnt(2)
	ds_write_b64 v75, v[24:25] offset:32768
	ds_write_b64 v19, v[26:27] offset:32768
	;; [unrolled: 3-line block ×4, first 2 shown]
	v_lshl_add_u32 v19, v36, 1, v72
	s_cbranch_scc0 .LBB418_3
; %bb.2:
	v_lshlrev_b32_e32 v21, 1, v19
	v_add_lshl_u32 v20, v19, s19, 1
	s_lshl_b32 s26, s19, 7
	v_lshl_or_b32 v18, v71, 9, v18
	s_cbranch_execz .LBB418_4
	s_branch .LBB418_5
.LBB418_3:
                                        ; implicit-def: $vgpr20
                                        ; implicit-def: $vgpr21
                                        ; implicit-def: $sgpr26
	v_lshl_or_b32 v18, v71, 9, v18
.LBB418_4:
	v_or_b32_e32 v20, 0x100, v18
	s_movk_i32 s26, 0x4000
	v_mov_b32_e32 v21, v18
.LBB418_5:
	s_mul_i32 s20, s36, s18
	s_ashr_i32 s58, s53, 31
	s_mul_hi_i32 s3, s36, s18
	s_add_u32 s20, s20, s53
	s_addc_u32 s21, s3, s58
	s_lshl_b64 s[20:21], s[20:21], 8
	s_add_u32 s24, s4, s20
	s_addc_u32 s3, s5, s21
	s_and_b32 s25, s3, 0xffff
	s_movk_i32 s59, 0x80
	buffer_load_dwordx4 v[22:25], v21, s[24:27], 0 offen
	buffer_load_dwordx4 v[26:29], v21, s[24:27], s59 offen
	;; [unrolled: 1-line block ×4, first 2 shown]
	v_and_b32_e32 v20, 6, v0
	v_lshlrev_b32_e32 v39, 6, v69
	v_or_b32_e32 v41, 16, v66
	v_xor_b32_e32 v42, v71, v20
	v_and_b32_e32 v21, 1, v0
	v_lshl_or_b32 v45, v66, 3, v39
	v_lshl_or_b32 v39, v41, 3, v39
	v_lshlrev_b32_e32 v42, 2, v42
	v_lshlrev_b32_e32 v38, 2, v66
	v_or_b32_e32 v79, 0xa000, v39
	v_or_b32_e32 v80, 0xb000, v39
	v_xor_b32_e32 v39, 0x440, v42
	v_cmp_eq_u32_e32 vcc, 0, v21
	s_add_i32 s3, s45, s33
	v_xor_b32_e32 v43, v69, v38
	v_xor_b32_e32 v44, v70, v38
	v_cndmask_b32_e32 v21, v39, v42, vcc
	s_add_i32 s20, s47, s44
	s_add_i32 s39, s3, s46
	s_mov_b32 s60, 0x1000504
	v_lshlrev_b32_e32 v40, 8, v66
	v_lshlrev_b32_e32 v41, 8, v41
	;; [unrolled: 1-line block ×4, first 2 shown]
	v_lshl_or_b32 v20, v20, 10, v21
	s_add_i32 s41, s20, s48
	s_lshl_b64 s[20:21], s[38:39], 2
	s_mov_b32 s61, 0x3020706
	v_or_b32_e32 v77, 0xa000, v45
	v_or_b32_e32 v78, 0xb000, v45
	;; [unrolled: 1-line block ×5, first 2 shown]
	v_xor_b32_e32 v21, 8, v20
	v_xor_b32_e32 v40, 24, v20
	v_xor_b32_e32 v42, 40, v20
	v_xor_b32_e32 v44, 56, v20
	s_add_u32 s3, s10, s20
	v_or_b32_e32 v83, v41, v43
	v_xor_b32_e32 v39, 16, v20
	v_xor_b32_e32 v41, 32, v20
	;; [unrolled: 1-line block ×3, first 2 shown]
	v_add_u32_e32 v21, 0x80, v21
	v_add_u32_e32 v40, 0x80, v40
	;; [unrolled: 1-line block ×4, first 2 shown]
	s_addc_u32 s24, s11, s21
	s_lshl_b64 s[20:21], s[40:41], 2
	s_add_u32 s20, s3, s20
	s_movk_i32 s3, 0xf8
	s_addc_u32 s21, s24, s21
	s_lshl_b32 s30, s19, 7
	s_movk_i32 s28, 0x100
	v_mov_b32_e32 v59, 0
	v_lshlrev_b32_e32 v58, 4, v66
	v_cmp_gt_u32_e32 vcc, s28, v0
	v_ashrrev_i32_e32 v57, 31, v56
	s_mov_b32 s62, 0
	s_movk_i32 s39, 0x1000
	s_movk_i32 s26, 0x4000
	v_lshl_add_u64 v[60:61], v[56:57], 1, s[8:9]
	s_waitcnt vmcnt(1)
	v_perm_b32 v45, v22, v30, s60
	s_waitcnt vmcnt(0)
	v_perm_b32 v46, v26, v34, s60
	v_perm_b32 v22, v22, v30, s61
	;; [unrolled: 1-line block ×15, first 2 shown]
	ds_write2st64_b32 v20, v45, v46 offset0:32 offset1:64
	ds_write2st64_b32 v21, v22, v26 offset0:32 offset1:64
	;; [unrolled: 1-line block ×8, first 2 shown]
	v_or_b32_e32 v20, v64, v66
	v_lshlrev_b32_e32 v20, 3, v20
	v_lshrrev_b32_e32 v23, 5, v51
	v_and_or_b32 v23, v20, s3, v23
	v_lshlrev_b32_e32 v23, 4, v23
	v_lshlrev_b32_e32 v21, 11, v1
	v_and_b32_e32 v20, 0x78, v20
	v_or_b32_e32 v28, 32, v23
	v_and_b32_e32 v22, 0x1000, v21
	v_lshrrev_b32_e32 v25, 1, v0
	v_xor_b32_e32 v28, v28, v20
	v_and_b32_e32 v26, 8, v25
	v_or_b32_e32 v28, v28, v22
	v_xor_b32_e32 v24, v23, v20
	v_xor_b32_e32 v87, v28, v26
	v_or_b32_e32 v28, 64, v23
	v_or_b32_e32 v23, 0x60, v23
	s_ashr_i32 s3, s2, 31
	v_xor_b32_e32 v28, v28, v20
	v_xor_b32_e32 v20, v23, v20
	s_lshl_b64 s[24:25], s[2:3], 8
	v_or_b32_e32 v24, v24, v22
	v_or_b32_e32 v28, v28, v22
	;; [unrolled: 1-line block ×3, first 2 shown]
	s_add_u32 s24, s22, s24
	v_lshlrev_b32_e32 v22, 1, v66
	v_xor_b32_e32 v89, v28, v26
	v_lshrrev_b32_e32 v28, 4, v0
	s_addc_u32 s25, s23, s25
	v_or_b32_e32 v23, 1, v22
	v_mov_b32_e32 v32, 0x4000
	v_mov_b32_e32 v33, 0x2000
	v_xor_b32_e32 v29, v28, v22
	v_xor_b32_e32 v30, v23, v28
	v_lshl_add_u64 v[22:23], s[24:25], 0, v[58:59]
	v_lshlrev_b32_e32 v58, 8, v28
	v_cndmask_b32_e32 v32, v32, v33, vcc
	v_lshlrev_b32_e32 v33, 3, v1
	v_and_b32_e32 v25, 24, v25
	v_lshl_or_b32 v93, v29, 3, v58
	v_and_b32_e32 v29, 8, v0
	v_xor_b32_e32 v34, v33, v25
	v_or_b32_e32 v35, 0x440, v34
	v_cmp_eq_u32_e32 vcc, 0, v29
	v_and_b32_e32 v28, 7, v0
	v_xor_b32_e32 v85, v24, v26
	v_cndmask_b32_e32 v29, v35, v34, vcc
	v_lshlrev_b32_e32 v24, 7, v65
	v_lshl_or_b32 v94, v30, 3, v58
	v_lshlrev_b32_e32 v30, 3, v28
	v_lshlrev_b32_e32 v28, 7, v28
	;; [unrolled: 1-line block ×3, first 2 shown]
	v_or_b32_e32 v29, v29, v21
	v_or_b32_e32 v27, v24, v38
	v_xad_u32 v95, v29, v30, v28
	v_and_or_b32 v24, v31, 60, v24
	v_mov_b32_e32 v29, 0xb000
	v_lshl_or_b32 v96, v24, 1, v29
	v_or_b32_e32 v24, 32, v25
	v_xor_b32_e32 v24, v33, v24
	v_or_b32_e32 v29, 0x440, v24
	v_cndmask_b32_e32 v24, v29, v24, vcc
	v_or_b32_e32 v24, v24, v21
	v_xad_u32 v97, v24, v30, v28
	v_or_b32_e32 v24, 64, v25
	v_xor_b32_e32 v24, v33, v24
	v_xor_b32_e32 v29, 0x440, v24
	v_cndmask_b32_e32 v24, v29, v24, vcc
	v_or_b32_e32 v24, v24, v21
	v_xad_u32 v98, v24, v30, v28
	v_or_b32_e32 v24, 0x60, v25
	v_xor_b32_e32 v24, v33, v24
	v_xor_b32_e32 v25, 0x440, v24
	v_cndmask_b32_e32 v24, v25, v24, vcc
	v_lshlrev_b32_e32 v27, 1, v27
	v_or_b32_e32 v21, v24, v21
	v_or_b32_e32 v86, 0xa000, v27
	;; [unrolled: 1-line block ×3, first 2 shown]
	v_xor_b32_e32 v90, v20, v26
	v_or_b32_e32 v91, 0xb000, v27
	v_or_b32_e32 v92, 0xb080, v27
	v_lshlrev_b32_e32 v20, 7, v69
	v_lshlrev_b32_e32 v26, 1, v19
	v_add_lshl_u32 v19, v19, s19, 1
	v_or_b32_e32 v27, 0x100, v18
	v_xad_u32 v99, v21, v30, v28
	v_cndmask_b32_e64 v100, v26, v18, s[0:1]
	v_cndmask_b32_e64 v101, v19, v27, s[0:1]
	v_lshl_add_u64 v[62:63], v[22:23], 0, v[58:59]
	s_mov_b32 s3, 0x7060302
	v_lshlrev_b32_e32 v58, 1, v20
	v_add_u32_e32 v57, v32, v95
	v_add_u32_e32 v102, v32, v97
	;; [unrolled: 1-line block ×4, first 2 shown]
	s_waitcnt lgkmcnt(0)
	s_barrier
.LBB418_6:                              ; =>This Inner Loop Header: Depth=1
	s_add_i32 s41, s62, 1
	s_cmp_lt_i32 s41, s50
	s_mov_b64 s[28:29], 0
	s_cselect_b64 s[42:43], -1, 0
	s_cmp_ge_i32 s41, s50
	s_mov_b64 s[24:25], 0
	s_cbranch_scc1 .LBB418_8
; %bb.7:                                ;   in Loop: Header=BB418_6 Depth=1
	s_add_i32 s0, s57, 64
	s_ashr_i32 s1, s0, 31
	s_add_u32 s0, s56, s0
	s_addc_u32 s1, s55, s1
	s_lshl_b64 s[0:1], s[0:1], 8
	s_add_u32 s24, s6, s0
	s_addc_u32 s25, s7, s1
.LBB418_8:                              ;   in Loop: Header=BB418_6 Depth=1
	v_cndmask_b32_e64 v18, 0, 1, s[42:43]
	v_cmp_ne_u32_e64 s[0:1], 1, v18
	s_andn2_b64 vcc, exec, s[42:43]
	s_cbranch_vccnz .LBB418_10
; %bb.9:                                ;   in Loop: Header=BB418_6 Depth=1
	s_add_i32 s28, s57, 64
	s_mul_hi_i32 s29, s28, s18
	s_mul_i32 s28, s28, s18
	s_add_u32 s28, s28, s53
	s_addc_u32 s29, s29, s58
	s_lshl_b64 s[28:29], s[28:29], 8
	s_add_u32 s28, s4, s28
	s_addc_u32 s29, s5, s29
.LBB418_10:                             ;   in Loop: Header=BB418_6 Depth=1
	v_perm_b32 v19, v5, v4, s3
	v_perm_b32 v18, v3, v2, s3
	;; [unrolled: 1-line block ×4, first 2 shown]
	ds_write_b64 v77, v[18:19]
	ds_write_b64 v78, v[20:21]
	;; [unrolled: 1-line block ×4, first 2 shown]
	v_perm_b32 v19, v13, v12, s3
	v_perm_b32 v18, v11, v10, s3
	;; [unrolled: 1-line block ×4, first 2 shown]
	ds_write_b64 v79, v[18:19]
	ds_write_b64 v80, v[20:21]
	;; [unrolled: 1-line block ×4, first 2 shown]
	s_waitcnt lgkmcnt(0)
	s_barrier
	ds_read_b64 v[22:23], v85 offset:24576
	ds_read2_b64 v[18:21], v86 offset1:16
	ds_read_b64 v[26:27], v88 offset:3072
	ds_read_b64 v[28:29], v86 offset:3072
	;; [unrolled: 1-line block ×3, first 2 shown]
	s_waitcnt lgkmcnt(3)
	v_mfma_f32_16x16x16_bf16 a[0:3], v[22:23], v[18:19], 0
	s_add_i32 s31, s57, 63
	s_ashr_i32 s42, s31, 31
	s_mul_i32 s43, s31, s35
	v_mfma_f32_16x16x16_bf16 a[4:7], v[22:23], v[20:21], 0
	ds_read2st64_b64 v[18:21], v86 offset0:2 offset1:4
	s_mul_hi_u32 s63, s31, s34
	s_add_i32 s43, s63, s43
	s_waitcnt lgkmcnt(0)
	v_mfma_f32_16x16x16_bf16 a[0:3], v[30:31], v[18:19], a[0:3]
	ds_read2st64_b64 v[22:25], v88 offset0:2 offset1:4
	ds_read_b64 v[18:19], v89 offset:24576
	s_mul_i32 s42, s42, s34
	s_add_i32 s43, s43, s42
	s_waitcnt lgkmcnt(1)
	v_mfma_f32_16x16x16_bf16 a[4:7], v[30:31], v[22:23], a[4:7]
	ds_read_b64 v[22:23], v90 offset:24576
	s_mul_i32 s42, s31, s34
	s_lshl_b64 s[42:43], s[42:43], 2
	s_waitcnt lgkmcnt(1)
	v_mfma_f32_16x16x16_bf16 a[0:3], v[18:19], v[20:21], a[0:3]
	s_add_u32 s42, s20, s42
	s_addc_u32 s43, s21, s43
	s_and_b64 vcc, exec, s[0:1]
	v_mfma_f32_16x16x16_bf16 a[4:7], v[18:19], v[24:25], a[4:7]
	v_mov_b32_e32 v107, 0
	v_mov_b32_e32 v106, 0
	;; [unrolled: 1-line block ×3, first 2 shown]
	s_waitcnt lgkmcnt(0)
	v_mfma_f32_16x16x16_bf16 a[0:3], v[22:23], v[28:29], a[0:3]
	v_mov_b32_e32 v18, 0
	v_mov_b32_e32 v19, 0
	;; [unrolled: 1-line block ×3, first 2 shown]
	v_mfma_f32_16x16x16_bf16 a[4:7], v[22:23], v[26:27], a[4:7]
	v_mov_b32_e32 v21, 0
	v_mov_b32_e32 v22, 0
	;; [unrolled: 1-line block ×13, first 2 shown]
	s_cbranch_vccnz .LBB418_12
; %bb.11:                               ;   in Loop: Header=BB418_6 Depth=1
	s_and_b32 s25, s25, 0xffff
	buffer_load_dwordx4 v[30:33], v73, s[24:27], 0 offen
	buffer_load_dwordx4 v[26:29], v73, s[24:27], s59 offen
	;; [unrolled: 1-line block ×4, first 2 shown]
	v_mov_b32_e32 v106, v75
	v_mov_b32_e32 v105, v76
.LBB418_12:                             ;   in Loop: Header=BB418_6 Depth=1
	ds_read_b64 v[38:39], v85 offset:32768
	ds_read2_b64 v[34:37], v91 offset1:16
	ds_read_b64 v[42:43], v87 offset:32768
	ds_read_b64 v[44:45], v89 offset:32768
	;; [unrolled: 1-line block ×3, first 2 shown]
	v_add_u32_e32 v108, s57, v69
	s_waitcnt lgkmcnt(3)
	v_mfma_f32_16x16x16_bf16 a[0:3], v[38:39], v[34:35], a[0:3]
	v_mfma_f32_16x16x16_bf16 a[4:7], v[38:39], v[36:37], a[4:7]
	ds_read2st64_b64 v[34:37], v91 offset0:2 offset1:4
	ds_read2st64_b64 v[38:41], v92 offset0:2 offset1:4
	s_waitcnt lgkmcnt(1)
	v_mfma_f32_16x16x16_bf16 a[0:3], v[42:43], v[34:35], a[0:3]
	ds_read_b64 v[34:35], v91 offset:3072
	ds_read_b64 v[48:49], v92 offset:3072
	s_waitcnt lgkmcnt(2)
	v_mfma_f32_16x16x16_bf16 a[4:7], v[42:43], v[38:39], a[4:7]
	v_ashrrev_i32_e32 v38, 31, v108
	v_mul_lo_u32 v39, v108, s35
	v_mul_lo_u32 v38, v38, s34
	v_mfma_f32_16x16x16_bf16 a[0:3], v[44:45], v[36:37], a[0:3]
	v_mad_u64_u32 v[36:37], s[24:25], v108, s34, 0
	v_add3_u32 v37, v37, v39, v38
	v_add_u32_e32 v38, 1, v108
	v_ashrrev_i32_e32 v39, 31, v38
	v_mfma_f32_16x16x16_bf16 a[4:7], v[44:45], v[40:41], a[4:7]
	v_mul_lo_u32 v39, v39, s34
	v_mul_lo_u32 v40, v38, s35
	v_lshl_add_u64 v[36:37], v[36:37], 2, s[20:21]
	s_waitcnt lgkmcnt(1)
	v_mfma_f32_16x16x16_bf16 a[0:3], v[46:47], v[34:35], a[0:3]
	v_mad_u64_u32 v[34:35], s[24:25], v38, s34, 0
	v_add_u32_e32 v38, 2, v108
	v_add3_u32 v35, v35, v40, v39
	v_ashrrev_i32_e32 v39, 31, v38
	v_mul_lo_u32 v40, v39, s34
	v_mul_lo_u32 v41, v38, s35
	v_mad_u64_u32 v[38:39], s[24:25], v38, s34, 0
	v_add3_u32 v39, v39, v41, v40
	v_add_u32_e32 v40, 3, v108
	v_ashrrev_i32_e32 v41, 31, v40
	v_mul_lo_u32 v42, v41, s34
	v_mul_lo_u32 v43, v40, s35
	v_mad_u64_u32 v[40:41], s[24:25], v40, s34, 0
	v_add3_u32 v41, v41, v43, v42
	v_lshl_add_u64 v[40:41], v[40:41], 2, s[20:21]
	s_ashr_i32 s25, s57, 31
	v_lshl_add_u64 v[34:35], v[34:35], 2, s[20:21]
	v_lshl_add_u64 v[38:39], v[38:39], 2, s[20:21]
	global_load_dword v42, v[36:37], off
	global_load_dword v43, v[34:35], off
	;; [unrolled: 1-line block ×3, first 2 shown]
	s_nop 0
	global_load_dword v41, v[40:41], off
	s_add_u32 s24, s56, s57
	s_addc_u32 s25, s55, s25
	s_lshl_b64 s[24:25], s[24:25], 8
	v_lshl_add_u64 v[34:35], v[60:61], 0, s[24:25]
	v_lshl_add_u64 v[34:35], v[34:35], 0, v[58:59]
	global_load_ushort v45, v[34:35], off
	global_load_ushort v108, v[34:35], off offset:256
	global_load_ushort v109, v[34:35], off offset:800
	;; [unrolled: 1-line block ×7, first 2 shown]
	s_load_dword s24, s[42:43], 0x0
	s_waitcnt lgkmcnt(0)
	v_mfma_f32_16x16x16_bf16 a[4:7], v[46:47], v[48:49], a[4:7]
	v_accvgpr_read_b32 v39, a1
	v_accvgpr_read_b32 v35, a3
	;; [unrolled: 1-line block ×4, first 2 shown]
	s_and_b64 vcc, exec, s[0:1]
	s_waitcnt vmcnt(11)
	v_sub_f32_e32 v40, s24, v42
	s_waitcnt vmcnt(10)
	v_sub_f32_e32 v48, s24, v43
	;; [unrolled: 2-line block ×4, first 2 shown]
	v_exp_f32_e32 v40, v40
	v_exp_f32_e32 v41, v48
	;; [unrolled: 1-line block ×4, first 2 shown]
	s_waitcnt vmcnt(6)
	v_lshlrev_b32_e32 v43, 16, v108
	v_lshlrev_b32_e32 v42, 16, v45
	s_waitcnt vmcnt(4)
	v_lshlrev_b32_e32 v45, 16, v110
	s_waitcnt vmcnt(2)
	v_lshlrev_b32_e32 v44, 16, v112
	v_pk_add_f32 v[38:39], v[42:43], v[38:39] neg_lo:[0,1] neg_hi:[0,1]
	v_pk_add_f32 v[34:35], v[44:45], v[34:35] neg_lo:[0,1] neg_hi:[0,1]
	v_pk_mul_f32 v[38:39], v[40:41], v[38:39]
	v_pk_mul_f32 v[34:35], v[48:49], v[34:35]
	s_waitcnt vmcnt(1)
	v_lshlrev_b32_e32 v47, 16, v113
	v_perm_b32 v35, v35, v34, s3
	v_perm_b32 v34, v39, v38, s3
	v_accvgpr_read_b32 v39, a5
	s_waitcnt vmcnt(0)
	v_lshlrev_b32_e32 v46, 16, v114
	v_accvgpr_read_b32 v38, a4
	v_pk_add_f32 v[38:39], v[46:47], v[38:39] neg_lo:[0,1] neg_hi:[0,1]
	v_accvgpr_read_b32 v37, a7
	v_accvgpr_read_b32 v36, a6
	v_pk_mul_f32 v[38:39], v[40:41], v[38:39]
	v_lshlrev_b32_e32 v41, 16, v109
	v_lshlrev_b32_e32 v40, 16, v111
	v_pk_add_f32 v[36:37], v[40:41], v[36:37] neg_lo:[0,1] neg_hi:[0,1]
	v_mov_b32_e32 v108, 0
	v_pk_mul_f32 v[36:37], v[48:49], v[36:37]
	v_mov_b32_e32 v40, 0
	v_perm_b32 v37, v37, v36, s3
	v_perm_b32 v36, v39, v38, s3
	ds_write2_b64 v78, v[34:35], v[36:37] offset1:16
	v_mov_b32_e32 v34, 0
	v_mov_b32_e32 v35, 0
	;; [unrolled: 1-line block ×15, first 2 shown]
	s_cbranch_vccnz .LBB418_14
; %bb.13:                               ;   in Loop: Header=BB418_6 Depth=1
	s_and_b32 s29, s29, 0xffff
	s_mov_b32 s31, s27
	buffer_load_dwordx4 v[46:49], v100, s[28:31], 0 offen
	buffer_load_dwordx4 v[38:41], v100, s[28:31], s59 offen
	;; [unrolled: 1-line block ×4, first 2 shown]
	v_mov_b32_e32 v107, v72
	v_mov_b32_e32 v108, v71
.LBB418_14:                             ;   in Loop: Header=BB418_6 Depth=1
	s_waitcnt lgkmcnt(0)
	s_barrier
	ds_read_b64 v[114:115], v57
	ds_read_b64 v[122:123], v96
	ds_read_b64 v[118:119], v102
	ds_read_b64 v[124:125], v103
	ds_read_b64 v[126:127], v104
	ds_read_b64 v[128:129], v97 offset:16384
	ds_read_b64 v[130:131], v95 offset:16384
	ds_read2_b64 v[110:113], v91 offset0:16 offset1:128
	s_waitcnt lgkmcnt(6)
	v_mfma_f32_16x16x16_bf16 a[0:3], v[114:115], v[122:123], 0
	ds_read_b64 v[132:133], v92 offset:3072
	ds_read_b64 v[134:135], v99 offset:16384
	s_add_i32 s25, s54, s62
	s_waitcnt lgkmcnt(2)
	v_mfma_f32_16x16x16_bf16 a[4:7], v[114:115], v[110:111], 0
	ds_read2st64_b64 v[114:117], v92 offset0:2 offset1:4
	s_mul_hi_i32 s29, s25, s17
	s_mul_i32 s25, s25, s17
	v_mfma_f32_16x16x16_bf16 a[0:3], v[118:119], v[112:113], a[0:3]
	s_add_u32 s28, s25, s49
	s_addc_u32 s29, s29, s51
	s_lshl_b64 s[28:29], s[28:29], 15
	s_waitcnt lgkmcnt(0)
	v_mfma_f32_16x16x16_bf16 a[4:7], v[118:119], v[114:115], a[4:7]
	ds_read2st64_b64 v[118:121], v91 offset0:4 offset1:6
	s_waitcnt lgkmcnt(0)
	v_mfma_f32_16x16x16_bf16 a[0:3], v[124:125], v[118:119], a[0:3]
	v_mfma_f32_16x16x16_bf16 a[8:11], v[124:125], v[116:117], a[4:7]
	;; [unrolled: 1-line block ×5, first 2 shown]
	ds_read2st64_b64 v[122:125], v94 offset1:8
	v_mfma_f32_16x16x16_bf16 a[12:15], v[130:131], v[110:111], 0
	ds_read_b64 v[130:131], v98 offset:16384
	v_mfma_f32_16x16x16_bf16 a[8:11], v[128:129], v[112:113], a[8:11]
	ds_read2st64_b64 v[110:113], v93 offset1:8
	s_waitcnt lgkmcnt(0)
	v_mov_b32_e32 v126, v110
	v_mfma_f32_16x16x16_bf16 a[12:15], v[128:129], v[114:115], a[12:15]
	v_lshl_add_u64 v[114:115], v[62:63], 0, s[28:29]
	v_add_co_u32_e32 v110, vcc, s39, v114
	v_mfma_f32_16x16x16_bf16 a[8:11], v[130:131], v[118:119], a[8:11]
	v_mov_b32_e32 v127, v111
	v_addc_co_u32_e32 v111, vcc, 0, v115, vcc
	v_mfma_f32_16x16x16_bf16 a[12:15], v[130:131], v[116:117], a[12:15]
	v_mov_b32_e32 v128, v122
	v_mov_b32_e32 v129, v123
	;; [unrolled: 1-line block ×3, first 2 shown]
	v_mfma_f32_16x16x16_bf16 a[8:11], v[134:135], v[120:121], a[8:11]
	v_mov_b32_e32 v123, v113
	s_and_b64 vcc, exec, s[0:1]
	global_store_dwordx4 v[114:115], v[126:129], off
	v_mfma_f32_16x16x16_bf16 a[12:15], v[134:135], v[132:133], a[12:15]
	global_store_dwordx4 v[110:111], v[122:125], off
	s_cbranch_vccnz .LBB418_16
; %bb.15:                               ;   in Loop: Header=BB418_6 Depth=1
	v_lshrrev_b32_e32 v109, 3, v107
	v_and_b32_e32 v109, 6, v109
	v_xor_b32_e32 v108, v109, v108
	v_lshlrev_b32_e32 v108, 2, v108
	v_and_b32_e32 v107, 8, v107
	v_xor_b32_e32 v110, 0x440, v108
	v_cmp_eq_u32_e32 vcc, 0, v107
	s_barrier
	s_nop 0
	v_cndmask_b32_e32 v107, v110, v108, vcc
	v_lshl_or_b32 v107, v109, 10, v107
	s_waitcnt vmcnt(3)
	v_perm_b32 v108, v46, v42, s60
	s_waitcnt vmcnt(2)
	v_perm_b32 v109, v38, v34, s60
	ds_write2st64_b32 v107, v108, v109 offset0:32 offset1:64
	v_xor_b32_e32 v108, 8, v107
	v_perm_b32 v42, v46, v42, s61
	v_perm_b32 v34, v38, v34, s61
	v_add_u32_e32 v38, 0x80, v108
	ds_write2st64_b32 v38, v42, v34 offset0:32 offset1:64
	v_xor_b32_e32 v34, 16, v107
	v_perm_b32 v38, v47, v43, s60
	v_perm_b32 v42, v39, v35, s60
	ds_write2st64_b32 v34, v38, v42 offset0:33 offset1:65
	v_xor_b32_e32 v34, 24, v107
	v_perm_b32 v38, v47, v43, s61
	v_perm_b32 v35, v39, v35, s61
	v_add_u32_e32 v34, 0x80, v34
	ds_write2st64_b32 v34, v38, v35 offset0:33 offset1:65
	v_xor_b32_e32 v34, 32, v107
	v_perm_b32 v35, v48, v44, s60
	;; [unrolled: 9-line block ×3, first 2 shown]
	v_perm_b32 v36, v41, v37, s60
	ds_write2st64_b32 v34, v35, v36 offset0:35 offset1:67
	v_xor_b32_e32 v34, 56, v107
	v_perm_b32 v35, v49, v45, s61
	v_perm_b32 v36, v41, v37, s61
	v_add_u32_e32 v34, 0x80, v34
	ds_write2st64_b32 v34, v35, v36 offset0:35 offset1:67
	ds_write_b64 v106, v[30:31] offset:24576
	v_xor_b32_e32 v30, 8, v106
	ds_write_b64 v30, v[32:33] offset:24576
	ds_write_b64 v106, v[26:27] offset:32768
	;; [unrolled: 1-line block ×4, first 2 shown]
	v_xor_b32_e32 v22, 8, v105
	ds_write_b64 v22, v[24:25] offset:24576
	ds_write_b64 v105, v[18:19] offset:32768
	;; [unrolled: 1-line block ×3, first 2 shown]
.LBB418_16:                             ;   in Loop: Header=BB418_6 Depth=1
	s_waitcnt vmcnt(2)
	v_exp_f32_e32 v34, s24
	v_accvgpr_read_b32 v33, a7
	v_accvgpr_read_b32 v25, a3
	;; [unrolled: 1-line block ×16, first 2 shown]
	s_add_i32 s57, s57, 64
	v_fma_f32 v2, v2, v34, v30
	v_fma_f32 v3, v3, v34, v31
	v_fma_f32 v4, v4, v34, v32
	v_fmac_f32_e32 v33, v5, v34
	v_fma_f32 v10, v10, v34, v22
	v_fma_f32 v11, v11, v34, v23
	v_fma_f32 v12, v12, v34, v24
	v_fmac_f32_e32 v25, v13, v34
	;; [unrolled: 4-line block ×3, first 2 shown]
	v_fma_f32 v14, v14, v34, v18
	v_fma_f32 v15, v15, v34, v19
	;; [unrolled: 1-line block ×3, first 2 shown]
	s_cmp_eq_u32 s50, s41
	v_fmac_f32_e32 v21, v17, v34
	s_cbranch_scc1 .LBB418_18
; %bb.17:                               ;   in Loop: Header=BB418_6 Depth=1
	s_mov_b32 s62, s41
	v_mov_b32_e32 v5, v33
	v_mov_b32_e32 v9, v29
	;; [unrolled: 1-line block ×4, first 2 shown]
	s_branch .LBB418_6
.LBB418_18:
	v_mov_b32_e32 v5, v33
	v_mov_b32_e32 v9, v29
	;; [unrolled: 1-line block ×4, first 2 shown]
.LBB418_19:
	s_lshl_b32 s30, s50, 6
	s_sub_i32 s31, s52, s30
	s_cmp_gt_i32 s31, 0
	s_cbranch_scc0 .LBB418_84
; %bb.20:
	s_add_i32 s30, s30, s36
	s_ashr_i32 s3, s30, 31
	s_cmpk_lg_i32 s19, 0x80
	s_cselect_b64 s[26:27], -1, 0
	s_and_b64 vcc, exec, s[26:27]
	s_cbranch_vccz .LBB418_22
; %bb.21:
	s_mul_hi_i32 s0, s30, s18
	s_mul_i32 s1, s30, s18
	s_ashr_i32 s18, s53, 31
	s_add_u32 s28, s1, s53
	s_addc_u32 s29, s0, s18
	s_cbranch_execz .LBB418_23
	s_branch .LBB418_24
.LBB418_22:
                                        ; implicit-def: $sgpr28_sgpr29
.LBB418_23:
	s_mul_i32 s1, s53, s16
	s_mul_hi_i32 s0, s53, s16
	s_add_u32 s28, s1, s30
	s_addc_u32 s29, s0, s3
.LBB418_24:
	s_add_i32 s16, s50, s54
	s_add_u32 s0, s56, s30
	v_lshlrev_b32_e32 v22, 5, v69
	v_lshlrev_b32_e32 v38, 2, v66
	s_addc_u32 s1, s55, s3
	s_mov_b32 s3, 0x7060302
	v_or_b32_e32 v25, v22, v38
	v_xor_b32_e32 v23, v69, v38
	s_waitcnt vmcnt(3)
	v_perm_b32 v19, v5, v4, s3
	v_perm_b32 v18, v3, v2, s3
	s_waitcnt vmcnt(2)
	v_perm_b32 v21, v9, v8, s3
	v_perm_b32 v20, v7, v6, s3
	v_lshlrev_b32_e32 v25, 1, v25
	v_xor_b32_e32 v24, v70, v38
	ds_write2st64_b64 v25, v[18:19], v[20:21] offset0:80 offset1:88
	v_lshlrev_b32_e32 v23, 1, v23
	v_lshlrev_b32_e32 v25, 8, v66
	s_lshl_b64 s[24:25], s[0:1], 8
	v_or_b32_e32 v26, v23, v25
	v_lshlrev_b32_e32 v24, 1, v24
	s_add_u32 s0, s6, s24
	ds_write_b64 v26, v[18:19]
	v_or_b32_e32 v18, v24, v25
	s_addc_u32 s1, s7, s25
	ds_write_b64 v18, v[20:21]
	s_waitcnt vmcnt(1)
	v_perm_b32 v19, v13, v12, s3
	v_perm_b32 v18, v11, v10, s3
	s_waitcnt vmcnt(0)
	v_perm_b32 v21, v17, v16, s3
	v_perm_b32 v20, v15, v14, s3
	v_or_b32_e32 v25, 16, v66
	s_mul_hi_i32 s3, s16, s17
	s_mul_i32 s16, s16, s17
	v_lshlrev_b32_e32 v35, 2, v25
	s_add_u32 s6, s16, s49
	v_or_b32_e32 v22, v22, v35
	s_addc_u32 s7, s3, s51
	v_lshlrev_b32_e32 v22, 1, v22
	s_ashr_i32 s3, s2, 31
	s_lshl_b64 s[6:7], s[6:7], 15
	ds_write2st64_b64 v22, v[18:19], v[20:21] offset0:80 offset1:88
	v_lshlrev_b32_e32 v22, 8, v25
	s_add_u32 s6, s22, s6
	v_or_b32_e32 v23, v23, v22
	s_addc_u32 s7, s23, s7
	s_lshl_b64 s[2:3], s[2:3], 8
	ds_write_b64 v23, v[18:19]
	v_or_b32_e32 v18, v24, v22
	s_add_u32 s2, s6, s2
	ds_write_b64 v18, v[20:21]
	v_lshrrev_b32_e32 v18, 4, v0
	s_addc_u32 s3, s7, s3
	v_lshlrev_b32_e32 v19, 1, v66
	v_lshlrev_b32_e32 v26, 4, v66
	v_mov_b32_e32 v27, 0
	v_or_b32_e32 v20, 1, v19
	v_xor_b32_e32 v19, v18, v19
	v_lshl_add_u64 v[28:29], s[2:3], 0, v[26:27]
	v_lshlrev_b32_e32 v26, 8, v18
	v_xor_b32_e32 v22, v20, v18
	v_lshl_or_b32 v18, v19, 3, v26
	s_waitcnt lgkmcnt(0)
	s_barrier
	ds_read2st64_b64 v[18:21], v18 offset1:8
	v_lshl_or_b32 v22, v22, 3, v26
	ds_read2st64_b64 v[22:25], v22 offset1:8
	v_lshl_add_u64 v[30:31], v[28:29], 0, v[26:27]
	s_movk_i32 s2, 0x1000
	s_waitcnt lgkmcnt(1)
	v_mov_b32_e32 v26, v18
	v_add_co_u32_e32 v18, vcc, s2, v30
	s_cmp_lg_u32 s31, 64
	v_mov_b32_e32 v27, v19
	v_addc_co_u32_e32 v19, vcc, 0, v31, vcc
	s_cselect_b64 s[6:7], -1, 0
	v_lshl_or_b32 v42, v1, 3, v68
	s_waitcnt lgkmcnt(0)
	v_mov_b32_e32 v28, v22
	v_mov_b32_e32 v29, v23
	;; [unrolled: 1-line block ×4, first 2 shown]
	s_mov_b32 s20, 0
	v_or_b32_e32 v36, 32, v42
	v_and_b32_e32 v34, 56, v67
	s_and_b64 vcc, exec, s[6:7]
	global_store_dwordx4 v[30:31], v[26:29], off
	global_store_dwordx4 v[18:19], v[22:25], off
	s_cbranch_vccz .LBB418_30
; %bb.25:
	s_mov_b32 s22, s20
	s_mov_b32 s23, s20
	;; [unrolled: 1-line block ×3, first 2 shown]
	v_mov_b64_e32 v[24:25], s[22:23]
	v_mov_b64_e32 v[22:23], s[20:21]
	v_mov_b64_e32 v[18:19], v[22:23]
	v_cmp_gt_i32_e32 vcc, s31, v42
	v_mov_b64_e32 v[20:21], v[24:25]
	s_and_saveexec_b64 s[2:3], vcc
	s_cbranch_execz .LBB418_27
; %bb.26:
	v_lshlrev_b32_e32 v18, 8, v42
	v_mov_b32_e32 v19, 0
	v_lshl_add_u64 v[20:21], s[0:1], 0, v[18:19]
	v_lshlrev_b32_e32 v18, 1, v34
	v_lshl_add_u64 v[26:27], v[20:21], 0, v[18:19]
	global_load_dwordx4 v[22:25], v[26:27], off
	global_load_dwordx4 v[18:21], v[26:27], off offset:128
.LBB418_27:
	s_or_b64 exec, exec, s[2:3]
	s_mov_b32 s22, s20
	s_mov_b32 s23, s20
	s_mov_b32 s21, s20
	v_mov_b64_e32 v[32:33], s[22:23]
	v_mov_b64_e32 v[30:31], s[20:21]
	;; [unrolled: 1-line block ×3, first 2 shown]
	v_cmp_gt_i32_e32 vcc, s31, v36
	v_lshlrev_b32_e32 v37, 7, v36
	v_mov_b64_e32 v[28:29], v[32:33]
	s_and_saveexec_b64 s[2:3], vcc
	s_cbranch_execz .LBB418_29
; %bb.28:
	v_lshlrev_b32_e32 v26, 1, v37
	v_mov_b32_e32 v27, 0
	v_lshl_add_u64 v[28:29], s[0:1], 0, v[26:27]
	v_lshlrev_b32_e32 v26, 1, v34
	v_lshl_add_u64 v[40:41], v[28:29], 0, v[26:27]
	global_load_dwordx4 v[30:33], v[40:41], off
	global_load_dwordx4 v[26:29], v[40:41], off offset:128
.LBB418_29:
	s_or_b64 exec, exec, s[2:3]
	v_lshrrev_b32_e32 v39, 3, v34
	v_lshlrev_b32_e32 v40, 3, v42
	v_or_b32_e32 v39, v40, v39
	v_lshlrev_b32_e32 v39, 4, v39
	v_and_b32_e32 v40, 0x78, v40
	v_xor_b32_e32 v39, v39, v40
	s_branch .LBB418_32
.LBB418_30:
                                        ; implicit-def: $vgpr39
                                        ; implicit-def: $vgpr37
                                        ; implicit-def: $vgpr22_vgpr23_vgpr24_vgpr25
                                        ; implicit-def: $vgpr18_vgpr19_vgpr20_vgpr21
                                        ; implicit-def: $vgpr30_vgpr31_vgpr32_vgpr33
                                        ; implicit-def: $vgpr26_vgpr27_vgpr28_vgpr29
	s_cbranch_execz .LBB418_32
; %bb.31:
	s_waitcnt vmcnt(0)
	v_lshlrev_b32_e32 v18, 1, v34
	v_lshl_or_b32 v37, v42, 8, v18
	s_and_b32 s1, s1, 0xffff
	s_mov_b32 s3, 0x20000
	s_movk_i32 s2, 0x4000
	v_lshl_or_b32 v39, v36, 8, v18
	s_movk_i32 s16, 0x80
	buffer_load_dwordx4 v[22:25], v37, s[0:3], 0 offen
	buffer_load_dwordx4 v[18:21], v37, s[0:3], s16 offen
	;; [unrolled: 1-line block ×4, first 2 shown]
	v_lshrrev_b32_e32 v37, 3, v34
	v_lshlrev_b32_e32 v39, 3, v42
	v_or_b32_e32 v37, v39, v37
	v_lshlrev_b32_e32 v37, 4, v37
	v_and_b32_e32 v39, 0x78, v39
	v_xor_b32_e32 v39, v37, v39
	v_lshlrev_b32_e32 v37, 7, v36
.LBB418_32:
	s_lshl_b64 s[0:1], s[28:29], 8
	s_add_u32 s4, s4, s0
	s_movk_i32 s0, 0x1000
	v_and_or_b32 v36, v37, s0, v39
	s_waitcnt vmcnt(1)
	ds_write_b64 v39, v[22:23] offset:24576
	v_xor_b32_e32 v22, 8, v39
	ds_write_b64 v22, v[24:25] offset:24576
	s_waitcnt vmcnt(0)
	ds_write_b64 v39, v[18:19] offset:32768
	ds_write_b64 v22, v[20:21] offset:32768
	;; [unrolled: 1-line block ×3, first 2 shown]
	v_xor_b32_e32 v18, 8, v36
	ds_write_b64 v18, v[32:33] offset:24576
	ds_write_b64 v36, v[26:27] offset:32768
	;; [unrolled: 1-line block ×3, first 2 shown]
	v_or_b32_e32 v18, v64, v66
	v_lshlrev_b32_e32 v18, 3, v18
	v_lshrrev_b32_e32 v19, 5, v51
	s_movk_i32 s3, 0xf8
	v_and_or_b32 v19, v18, s3, v19
	v_lshlrev_b32_e32 v23, 4, v19
	v_lshlrev_b32_e32 v39, 11, v1
	v_and_b32_e32 v24, 0x78, v18
	v_or_b32_e32 v26, 32, v23
	v_and_b32_e32 v22, 0x1000, v39
	v_lshrrev_b32_e32 v19, 1, v51
	v_xor_b32_e32 v26, v26, v24
	v_xor_b32_e32 v18, v23, v24
	v_and_b32_e32 v25, 8, v19
	v_or_b32_e32 v26, v26, v22
	v_or_b32_e32 v18, v18, v22
	v_xor_b32_e32 v44, v26, v25
	v_or_b32_e32 v26, 64, v23
	v_xor_b32_e32 v43, v18, v25
	v_xor_b32_e32 v26, v26, v24
	s_waitcnt lgkmcnt(0)
	s_barrier
	v_or_b32_e32 v28, v26, v22
	ds_read_b64 v[26:27], v43 offset:24576
	v_lshl_or_b32 v36, v65, 7, v38
	v_lshlrev_b32_e32 v40, 1, v36
	v_add_u32_e32 v18, 0xa000, v40
	ds_read2_b64 v[18:21], v18 offset1:16
	v_or_b32_e32 v23, 0x60, v23
	v_xor_b32_e32 v23, v23, v24
	s_waitcnt lgkmcnt(0)
	v_mfma_f32_16x16x16_bf16 a[0:3], v[26:27], v[18:19], 0
	v_or_b32_e32 v18, 64, v36
	v_or_b32_e32 v22, v23, v22
	v_lshlrev_b32_e32 v41, 1, v18
	v_xor_b32_e32 v45, v28, v25
	v_xor_b32_e32 v46, v22, v25
	ds_read_b64 v[28:29], v44 offset:24576
	ds_read_b64 v[30:31], v45 offset:24576
	;; [unrolled: 1-line block ×3, first 2 shown]
	v_mfma_f32_16x16x16_bf16 a[4:7], v[26:27], v[20:21], 0
	ds_read2st64_b64 v[18:21], v41 offset0:82 offset1:84
	ds_read2st64_b64 v[22:25], v40 offset0:82 offset1:84
	s_addc_u32 s5, s5, s1
	s_add_i32 s1, s45, s33
	s_add_i32 s0, s37, -1
	s_add_i32 s39, s1, s46
	s_add_i32 s1, s47, s44
	;; [unrolled: 1-line block ×3, first 2 shown]
	s_ashr_i32 s1, s0, 31
	s_mul_i32 s2, s0, s35
	s_mul_hi_u32 s3, s0, s34
	s_add_i32 s2, s3, s2
	s_mul_i32 s1, s1, s34
	s_waitcnt lgkmcnt(1)
	v_mfma_f32_16x16x16_bf16 a[4:7], v[28:29], v[18:19], a[4:7]
	s_add_i32 s1, s2, s1
	s_lshl_b64 s[2:3], s[38:39], 2
	s_add_u32 s10, s10, s2
	s_waitcnt lgkmcnt(0)
	v_mfma_f32_16x16x16_bf16 a[0:3], v[28:29], v[22:23], a[0:3]
	s_addc_u32 s11, s11, s3
	s_lshl_b64 s[2:3], s[40:41], 2
	s_mul_i32 s0, s0, s34
	s_add_u32 s10, s10, s2
	ds_read_b64 v[18:19], v40 offset:44032
	v_mfma_f32_16x16x16_bf16 a[4:7], v[30:31], v[20:21], a[4:7]
	ds_read_b64 v[20:21], v41 offset:44032
	s_addc_u32 s11, s11, s3
	s_lshl_b64 s[0:1], s[0:1], 2
	v_mfma_f32_16x16x16_bf16 a[0:3], v[30:31], v[24:25], a[0:3]
	s_add_u32 s0, s10, s0
	s_addc_u32 s1, s11, s1
	s_load_dword s16, s[0:1], 0x0
	s_waitcnt lgkmcnt(0)
	v_mfma_f32_16x16x16_bf16 a[0:3], v[32:33], v[18:19], a[0:3]
	s_and_b64 vcc, exec, s[26:27]
	v_mfma_f32_16x16x16_bf16 a[4:7], v[32:33], v[20:21], a[4:7]
	s_cbranch_vccz .LBB418_43
; %bb.33:
	v_lshlrev_b32_e32 v36, 1, v42
	s_and_b64 vcc, exec, s[6:7]
	s_cbranch_vccz .LBB418_44
; %bb.34:
	v_cmp_gt_i32_e32 vcc, s31, v36
	v_mov_b32_e32 v22, 0
	v_mov_b32_e32 v18, 0
	;; [unrolled: 1-line block ×5, first 2 shown]
	s_and_saveexec_b64 s[0:1], vcc
	s_cbranch_execz .LBB418_36
; %bb.35:
	v_mad_i64_i32 v[18:19], s[2:3], s19, v36, 0
	v_lshl_add_u64 v[18:19], v[18:19], 1, s[4:5]
	v_lshlrev_b32_e32 v20, 1, v34
	v_mov_b32_e32 v21, 0
	v_lshl_add_u64 v[18:19], v[18:19], 0, v[20:21]
	global_load_dwordx4 v[18:21], v[18:19], off
.LBB418_36:
	s_or_b64 exec, exec, s[0:1]
	v_or_b32_e32 v37, 1, v36
	v_cmp_gt_i32_e64 s[0:1], s31, v37
	v_mov_b32_e32 v23, 0
	v_mov_b32_e32 v24, 0
	;; [unrolled: 1-line block ×3, first 2 shown]
	s_and_saveexec_b64 s[2:3], s[0:1]
	s_cbranch_execz .LBB418_38
; %bb.37:
	v_mad_i64_i32 v[22:23], s[20:21], s19, v37, 0
	v_lshl_add_u64 v[22:23], v[22:23], 1, s[4:5]
	v_lshlrev_b32_e32 v24, 1, v34
	v_mov_b32_e32 v25, 0
	v_lshl_add_u64 v[22:23], v[22:23], 0, v[24:25]
	global_load_dwordx4 v[22:25], v[22:23], off
.LBB418_38:
	s_or_b64 exec, exec, s[2:3]
	v_mov_b32_e32 v33, 0
	v_mov_b32_e32 v26, 0
	;; [unrolled: 1-line block ×5, first 2 shown]
	s_and_saveexec_b64 s[2:3], vcc
	s_cbranch_execz .LBB418_40
; %bb.39:
	v_mad_i64_i32 v[26:27], s[20:21], s19, v36, 0
	v_lshl_add_u64 v[26:27], v[26:27], 1, s[4:5]
	v_lshlrev_b32_e32 v28, 1, v34
	v_mov_b32_e32 v29, 0
	v_lshl_add_u64 v[26:27], v[26:27], 0, v[28:29]
	global_load_dwordx4 v[26:29], v[26:27], off offset:128
.LBB418_40:
	s_or_b64 exec, exec, s[2:3]
	v_mov_b32_e32 v32, 0
	v_mov_b32_e32 v31, 0
	;; [unrolled: 1-line block ×3, first 2 shown]
	s_and_saveexec_b64 s[2:3], s[0:1]
	s_cbranch_execz .LBB418_42
; %bb.41:
	v_mad_i64_i32 v[30:31], s[0:1], s19, v37, 0
	v_lshl_add_u64 v[30:31], v[30:31], 1, s[4:5]
	v_lshlrev_b32_e32 v32, 1, v34
	v_mov_b32_e32 v33, 0
	v_lshl_add_u64 v[30:31], v[30:31], 0, v[32:33]
	global_load_dwordx4 v[30:33], v[30:31], off offset:128
.LBB418_42:
	s_or_b64 exec, exec, s[2:3]
	s_branch .LBB418_46
.LBB418_43:
                                        ; implicit-def: $vgpr21
                                        ; implicit-def: $vgpr25
                                        ; implicit-def: $vgpr29
                                        ; implicit-def: $vgpr33
	v_lshrrev_b32_e32 v47, 2, v51
	s_branch .LBB418_47
.LBB418_44:
                                        ; implicit-def: $vgpr21
                                        ; implicit-def: $vgpr25
                                        ; implicit-def: $vgpr29
                                        ; implicit-def: $vgpr33
	s_cbranch_execz .LBB418_46
; %bb.45:
	s_waitcnt vmcnt(0)
	v_mad_u64_u32 v[18:19], s[0:1], v36, s19, v[34:35]
	v_lshlrev_b32_e32 v36, 1, v18
	s_lshl_b32 s2, s19, 7
	s_and_b32 s1, s5, 0xffff
	s_mov_b32 s3, 0x20000
	s_mov_b32 s0, s4
	v_add_lshl_u32 v37, v18, s19, 1
	s_movk_i32 s17, 0x80
	buffer_load_dwordx4 v[18:21], v36, s[0:3], 0 offen
	buffer_load_dwordx4 v[26:29], v36, s[0:3], s17 offen
	;; [unrolled: 1-line block ×4, first 2 shown]
.LBB418_46:
	v_lshrrev_b32_e32 v47, 2, v51
	s_cbranch_execnz .LBB418_59
.LBB418_47:
	s_and_b64 vcc, exec, s[6:7]
	s_cbranch_vccz .LBB418_57
; %bb.48:
	s_waitcnt vmcnt(0)
	v_lshlrev_b32_e32 v23, 1, v42
	v_cmp_gt_i32_e32 vcc, s31, v23
	v_mov_b32_e32 v22, 0
	v_lshlrev_b32_e32 v30, 9, v42
	v_mov_b32_e32 v18, 0
	v_mov_b32_e32 v19, 0
	;; [unrolled: 1-line block ×4, first 2 shown]
	s_and_saveexec_b64 s[0:1], vcc
	s_cbranch_execz .LBB418_50
; %bb.49:
	v_mov_b32_e32 v31, 0
	v_lshl_add_u64 v[18:19], s[4:5], 0, v[30:31]
	v_lshlrev_b32_e32 v20, 1, v34
	v_mov_b32_e32 v21, v31
	v_lshl_add_u64 v[18:19], v[18:19], 0, v[20:21]
	global_load_dwordx4 v[18:21], v[18:19], off
.LBB418_50:
	s_or_b64 exec, exec, s[0:1]
	v_or_b32_e32 v23, 1, v23
	v_cmp_gt_i32_e64 s[0:1], s31, v23
	v_lshlrev_b32_e32 v36, 8, v23
	v_mov_b32_e32 v23, 0
	v_mov_b32_e32 v24, 0
	;; [unrolled: 1-line block ×3, first 2 shown]
	s_and_saveexec_b64 s[2:3], s[0:1]
	s_cbranch_execz .LBB418_52
; %bb.51:
	v_mov_b32_e32 v37, 0
	v_lshl_add_u64 v[22:23], s[4:5], 0, v[36:37]
	v_lshlrev_b32_e32 v24, 1, v34
	v_mov_b32_e32 v25, v37
	v_lshl_add_u64 v[22:23], v[22:23], 0, v[24:25]
	global_load_dwordx4 v[22:25], v[22:23], off
.LBB418_52:
	s_or_b64 exec, exec, s[2:3]
	v_mov_b32_e32 v33, 0
	v_mov_b32_e32 v26, 0
	;; [unrolled: 1-line block ×5, first 2 shown]
	s_and_saveexec_b64 s[2:3], vcc
	s_cbranch_execz .LBB418_54
; %bb.53:
	v_mov_b32_e32 v31, 0
	v_lshl_add_u64 v[26:27], s[4:5], 0, v[30:31]
	v_lshlrev_b32_e32 v30, 1, v34
	v_lshl_add_u64 v[26:27], v[26:27], 0, v[30:31]
	global_load_dwordx4 v[26:29], v[26:27], off offset:128
.LBB418_54:
	s_or_b64 exec, exec, s[2:3]
	v_mov_b32_e32 v32, 0
	v_mov_b32_e32 v31, 0
	;; [unrolled: 1-line block ×3, first 2 shown]
	s_and_saveexec_b64 s[2:3], s[0:1]
	s_cbranch_execz .LBB418_56
; %bb.55:
	v_mov_b32_e32 v37, 0
	v_lshl_add_u64 v[30:31], s[4:5], 0, v[36:37]
	v_lshlrev_b32_e32 v36, 1, v34
	v_lshl_add_u64 v[30:31], v[30:31], 0, v[36:37]
	global_load_dwordx4 v[30:33], v[30:31], off offset:128
.LBB418_56:
	s_or_b64 exec, exec, s[2:3]
	s_branch .LBB418_59
.LBB418_57:
                                        ; implicit-def: $vgpr21
                                        ; implicit-def: $vgpr25
                                        ; implicit-def: $vgpr29
                                        ; implicit-def: $vgpr33
	s_cbranch_execz .LBB418_59
; %bb.58:
	s_waitcnt vmcnt(0)
	v_lshlrev_b32_e32 v18, 1, v34
	v_lshl_or_b32 v34, v42, 9, v18
	s_and_b32 s5, s5, 0xffff
	s_mov_b32 s7, 0x20000
	s_movk_i32 s6, 0x4000
	s_movk_i32 s0, 0x80
	buffer_load_dwordx4 v[18:21], v34, s[4:7], 0 offen
	buffer_load_dwordx4 v[22:25], v34, s[4:7], 0 offen offset:256
	buffer_load_dwordx4 v[26:29], v34, s[4:7], s0 offen
	buffer_load_dwordx4 v[30:33], v34, s[4:7], s0 offen offset:256
.LBB418_59:
	ds_read_b64 v[36:37], v43 offset:32768
	v_add_u32_e32 v34, 0xb000, v40
	ds_read2_b64 v[58:61], v34 offset1:16
	ds_read_b64 v[48:49], v44 offset:32768
	ds_read_b64 v[44:45], v45 offset:32768
	;; [unrolled: 1-line block ×3, first 2 shown]
	v_and_b32_e32 v34, 6, v0
	v_xor_b32_e32 v42, v42, v34
	v_lshlrev_b32_e32 v42, 2, v42
	v_and_b32_e32 v43, 1, v0
	v_xor_b32_e32 v46, 0x440, v42
	v_cmp_eq_u32_e32 vcc, 0, v43
	s_waitcnt lgkmcnt(3)
	v_mfma_f32_16x16x16_bf16 a[0:3], v[36:37], v[58:59], a[0:3]
	s_mov_b32 s0, 0x1000504
	v_cndmask_b32_e32 v42, v46, v42, vcc
	v_lshl_or_b32 v34, v34, 10, v42
	v_mfma_f32_16x16x16_bf16 a[4:7], v[36:37], v[60:61], a[4:7]
	ds_read2st64_b64 v[58:61], v40 offset0:90 offset1:92
	ds_read2st64_b64 v[66:69], v41 offset0:90 offset1:92
	s_waitcnt vmcnt(0)
	v_perm_b32 v42, v18, v22, s0
	s_mov_b32 s1, 0x3020706
	s_waitcnt lgkmcnt(1)
	v_mfma_f32_16x16x16_bf16 a[0:3], v[48:49], v[58:59], a[0:3]
	ds_read_b64 v[36:37], v40 offset:48128
	ds_read_b64 v[58:59], v41 offset:48128
	v_perm_b32 v18, v18, v22, s1
	v_perm_b32 v22, v26, v30, s1
	s_waitcnt lgkmcnt(2)
	v_mfma_f32_16x16x16_bf16 a[4:7], v[48:49], v[66:67], a[4:7]
	v_mfma_f32_16x16x16_bf16 a[0:3], v[44:45], v[60:61], a[0:3]
	;; [unrolled: 1-line block ×3, first 2 shown]
	s_waitcnt lgkmcnt(1)
	v_mfma_f32_16x16x16_bf16 a[4:7], v[62:63], v[36:37], a[0:3]
	v_perm_b32 v36, v26, v30, s0
	ds_write2st64_b32 v34, v42, v36 offset0:32 offset1:64
	v_xor_b32_e32 v36, 8, v34
	v_add_u32_e32 v26, 0x80, v36
	ds_write2st64_b32 v26, v18, v22 offset0:32 offset1:64
	v_xor_b32_e32 v18, 16, v34
	v_perm_b32 v22, v19, v23, s0
	v_perm_b32 v26, v27, v31, s0
	ds_write2st64_b32 v18, v22, v26 offset0:33 offset1:65
	v_xor_b32_e32 v18, 24, v34
	v_perm_b32 v19, v19, v23, s1
	v_perm_b32 v22, v27, v31, s1
	v_add_u32_e32 v18, 0x80, v18
	ds_write2st64_b32 v18, v19, v22 offset0:33 offset1:65
	v_xor_b32_e32 v18, 32, v34
	v_perm_b32 v19, v20, v24, s0
	v_perm_b32 v22, v28, v32, s0
	ds_write2st64_b32 v18, v19, v22 offset0:34 offset1:66
	v_xor_b32_e32 v18, 40, v34
	s_waitcnt lgkmcnt(5)
	v_mfma_f32_16x16x16_bf16 a[0:3], v[62:63], v[58:59], a[8:11]
	v_perm_b32 v19, v20, v24, s1
	v_perm_b32 v20, v28, v32, s1
	v_add_u32_e32 v18, 0x80, v18
	ds_write2st64_b32 v18, v19, v20 offset0:34 offset1:66
	v_xor_b32_e32 v18, 48, v34
	v_perm_b32 v19, v21, v25, s0
	v_perm_b32 v20, v29, v33, s0
	ds_write2st64_b32 v18, v19, v20 offset0:35 offset1:67
	v_xor_b32_e32 v18, 56, v34
	v_and_or_b32 v37, v47, 12, v64
	v_perm_b32 v19, v21, v25, s1
	v_perm_b32 v20, v29, v33, s1
	v_add_u32_e32 v18, 0x80, v18
	v_cmp_gt_i32_e32 vcc, s31, v37
	v_mov_b32_e32 v32, 0
	v_mov_b32_e32 v34, 0
	ds_write2st64_b32 v18, v19, v20 offset0:35 offset1:67
	s_and_saveexec_b64 s[0:1], vcc
	s_cbranch_execz .LBB418_61
; %bb.60:
	v_add_u32_e32 v18, s30, v37
	v_ashrrev_i32_e32 v19, 31, v18
	v_mul_lo_u32 v20, v19, s34
	v_mul_lo_u32 v21, v18, s35
	v_mad_u64_u32 v[18:19], s[2:3], v18, s34, 0
	v_add3_u32 v19, v19, v21, v20
	v_lshl_add_u64 v[18:19], v[18:19], 2, s[10:11]
	global_load_dword v18, v[18:19], off
	s_waitcnt vmcnt(0)
	v_sub_f32_e32 v18, s16, v18
	v_exp_f32_e32 v34, v18
.LBB418_61:
	s_or_b64 exec, exec, s[0:1]
	v_or_b32_e32 v26, 1, v37
	v_cmp_gt_i32_e64 s[0:1], s31, v26
	s_and_saveexec_b64 s[2:3], s[0:1]
	s_cbranch_execz .LBB418_63
; %bb.62:
	v_add_u32_e32 v18, s30, v26
	v_ashrrev_i32_e32 v19, 31, v18
	v_mul_lo_u32 v20, v19, s34
	v_mul_lo_u32 v21, v18, s35
	v_mad_u64_u32 v[18:19], s[4:5], v18, s34, 0
	v_add3_u32 v19, v19, v21, v20
	v_lshl_add_u64 v[18:19], v[18:19], 2, s[10:11]
	global_load_dword v18, v[18:19], off
	s_waitcnt vmcnt(0)
	v_sub_f32_e32 v18, s16, v18
	v_exp_f32_e32 v32, v18
.LBB418_63:
	s_or_b64 exec, exec, s[2:3]
	v_or_b32_e32 v27, 2, v37
	v_cmp_gt_i32_e64 s[2:3], s31, v27
	v_mov_b32_e32 v33, 0
	v_mov_b32_e32 v36, 0
	s_and_saveexec_b64 s[4:5], s[2:3]
	s_cbranch_execz .LBB418_65
; %bb.64:
	v_add_u32_e32 v18, s30, v27
	v_ashrrev_i32_e32 v19, 31, v18
	v_mul_lo_u32 v20, v19, s34
	v_mul_lo_u32 v21, v18, s35
	v_mad_u64_u32 v[18:19], s[6:7], v18, s34, 0
	v_add3_u32 v19, v19, v21, v20
	v_lshl_add_u64 v[18:19], v[18:19], 2, s[10:11]
	global_load_dword v18, v[18:19], off
	s_waitcnt vmcnt(0)
	v_sub_f32_e32 v18, s16, v18
	v_exp_f32_e32 v36, v18
.LBB418_65:
	s_or_b64 exec, exec, s[4:5]
	v_or_b32_e32 v42, 3, v37
	v_cmp_gt_i32_e64 s[4:5], s31, v42
	s_and_saveexec_b64 s[6:7], s[4:5]
	s_cbranch_execz .LBB418_67
; %bb.66:
	v_add_u32_e32 v18, s30, v42
	v_ashrrev_i32_e32 v19, 31, v18
	v_mul_lo_u32 v20, v19, s34
	v_mul_lo_u32 v21, v18, s35
	v_mad_u64_u32 v[18:19], s[18:19], v18, s34, 0
	v_add3_u32 v19, v19, v21, v20
	v_lshl_add_u64 v[18:19], v[18:19], 2, s[10:11]
	global_load_dword v18, v[18:19], off
	s_waitcnt vmcnt(0)
	v_sub_f32_e32 v18, s16, v18
	v_exp_f32_e32 v33, v18
.LBB418_67:
	s_or_b64 exec, exec, s[6:7]
	s_add_u32 s6, s8, s24
	v_accvgpr_read_b32 v21, a7
	s_addc_u32 s7, s9, s25
	v_ashrrev_i32_e32 v57, 31, v56
	v_accvgpr_read_b32 v20, a6
	v_accvgpr_read_b32 v19, a5
	v_accvgpr_read_b32 v18, a4
	v_lshl_add_u64 v[22:23], v[56:57], 1, s[6:7]
	v_mov_b32_e32 v29, 0
	v_lshlrev_b32_e32 v24, 8, v37
	v_mov_b32_e32 v25, 0
	s_and_saveexec_b64 s[6:7], vcc
	s_cbranch_execz .LBB418_69
; %bb.68:
	v_mov_b32_e32 v25, 0
	v_lshl_add_u64 v[30:31], v[22:23], 0, v[24:25]
	global_load_ushort v25, v[30:31], off
	s_waitcnt vmcnt(0)
	v_lshlrev_b32_e32 v25, 16, v25
	v_sub_f32_e32 v18, v25, v18
	v_mul_f32_e32 v18, v34, v18
	v_lshrrev_b32_e32 v25, 16, v18
.LBB418_69:
	s_or_b64 exec, exec, s[6:7]
	v_lshlrev_b32_e32 v28, 8, v26
	s_and_saveexec_b64 s[6:7], s[0:1]
	s_cbranch_execz .LBB418_71
; %bb.70:
	v_mov_b32_e32 v29, 0
	v_lshl_add_u64 v[30:31], v[22:23], 0, v[28:29]
	global_load_ushort v18, v[30:31], off
	s_waitcnt vmcnt(0)
	v_lshlrev_b32_e32 v18, 16, v18
	v_sub_f32_e32 v18, v18, v19
	v_mul_f32_e32 v18, v32, v18
	v_lshrrev_b32_e32 v29, 16, v18
.LBB418_71:
	s_or_b64 exec, exec, s[6:7]
	v_mov_b32_e32 v43, 0
	v_lshlrev_b32_e32 v30, 8, v27
	v_mov_b32_e32 v31, 0
	s_and_saveexec_b64 s[6:7], s[2:3]
	s_cbranch_execz .LBB418_73
; %bb.72:
	v_mov_b32_e32 v31, 0
	v_lshl_add_u64 v[18:19], v[22:23], 0, v[30:31]
	global_load_ushort v18, v[18:19], off
	s_waitcnt vmcnt(0)
	v_lshlrev_b32_e32 v18, 16, v18
	v_sub_f32_e32 v18, v18, v20
	v_mul_f32_e32 v18, v36, v18
	v_lshrrev_b32_e32 v31, 16, v18
.LBB418_73:
	s_or_b64 exec, exec, s[6:7]
	v_lshlrev_b32_e32 v26, 8, v42
	s_and_saveexec_b64 s[6:7], s[4:5]
	s_cbranch_execz .LBB418_75
; %bb.74:
	v_mov_b32_e32 v27, 0
	v_lshl_add_u64 v[18:19], v[22:23], 0, v[26:27]
	global_load_ushort v18, v[18:19], off
	s_waitcnt vmcnt(0)
	v_lshlrev_b32_e32 v18, 16, v18
	v_sub_f32_e32 v18, v18, v21
	v_mul_f32_e32 v18, v33, v18
	v_lshrrev_b32_e32 v43, 16, v18
.LBB418_75:
	s_or_b64 exec, exec, s[6:7]
	v_lshlrev_b32_e32 v37, 5, v37
	s_mov_b32 s6, 0x5040100
	v_perm_b32 v42, v29, v25, s6
	v_or_b32_e32 v25, v37, v38
	v_accvgpr_read_b32 v21, a3
	v_perm_b32 v43, v43, v31, s6
	v_lshlrev_b32_e32 v25, 1, v25
	v_accvgpr_read_b32 v20, a2
	v_accvgpr_read_b32 v19, a1
	;; [unrolled: 1-line block ×3, first 2 shown]
	ds_write_b64 v25, v[42:43] offset:45056
	v_mov_b32_e32 v29, 0
	v_mov_b32_e32 v25, 0
	s_and_saveexec_b64 s[6:7], vcc
	s_cbranch_execz .LBB418_77
; %bb.76:
	v_mov_b32_e32 v25, 0
	v_lshl_add_u64 v[24:25], v[22:23], 0, v[24:25]
	global_load_ushort v24, v[24:25], off offset:32
	s_waitcnt vmcnt(0)
	v_lshlrev_b32_e32 v24, 16, v24
	v_sub_f32_e32 v18, v24, v18
	v_mul_f32_e32 v18, v34, v18
	v_lshrrev_b32_e32 v25, 16, v18
.LBB418_77:
	s_or_b64 exec, exec, s[6:7]
	s_and_saveexec_b64 s[6:7], s[0:1]
	s_cbranch_execz .LBB418_79
; %bb.78:
	v_mov_b32_e32 v29, 0
	v_lshl_add_u64 v[28:29], v[22:23], 0, v[28:29]
	global_load_ushort v18, v[28:29], off offset:32
	s_waitcnt vmcnt(0)
	v_lshlrev_b32_e32 v18, 16, v18
	v_sub_f32_e32 v18, v18, v19
	v_mul_f32_e32 v18, v32, v18
	v_lshrrev_b32_e32 v29, 16, v18
.LBB418_79:
	s_or_b64 exec, exec, s[6:7]
	v_mov_b32_e32 v24, 0
	v_mov_b32_e32 v28, 0
	s_and_saveexec_b64 s[0:1], s[2:3]
	s_cbranch_execz .LBB418_81
; %bb.80:
	v_mov_b32_e32 v31, 0
	v_lshl_add_u64 v[18:19], v[22:23], 0, v[30:31]
	global_load_ushort v18, v[18:19], off offset:32
	s_waitcnt vmcnt(0)
	v_lshlrev_b32_e32 v18, 16, v18
	v_sub_f32_e32 v18, v18, v20
	v_mul_f32_e32 v18, v36, v18
	v_lshrrev_b32_e32 v28, 16, v18
.LBB418_81:
	s_or_b64 exec, exec, s[0:1]
	v_or_b32_e32 v19, 0xb000, v40
	v_or_b32_e32 v18, 0xb000, v41
	s_and_saveexec_b64 s[0:1], s[4:5]
	s_cbranch_execz .LBB418_83
; %bb.82:
	v_mov_b32_e32 v27, 0
	v_lshl_add_u64 v[22:23], v[22:23], 0, v[26:27]
	global_load_ushort v20, v[22:23], off offset:32
	s_waitcnt vmcnt(0)
	v_lshlrev_b32_e32 v20, 16, v20
	v_sub_f32_e32 v20, v20, v21
	v_mul_f32_e32 v20, v33, v20
	v_lshrrev_b32_e32 v24, 16, v20
.LBB418_83:
	s_or_b64 exec, exec, s[0:1]
	s_mov_b32 s0, 0x5040100
	v_or_b32_e32 v22, v37, v35
	v_perm_b32 v21, v24, v28, s0
	v_perm_b32 v20, v29, v25, s0
	v_lshlrev_b32_e32 v22, 1, v22
	s_movk_i32 s0, 0x100
	ds_write_b64 v22, v[20:21] offset:45056
	v_and_b32_e32 v20, 7, v0
	v_and_b32_e32 v21, 8, v0
	v_cmp_gt_u32_e32 vcc, s0, v0
	v_lshrrev_b32_e32 v0, 1, v0
	v_lshlrev_b32_e32 v37, 3, v1
	v_and_b32_e32 v38, 24, v0
	v_lshlrev_b32_e32 v34, 3, v20
	v_lshlrev_b32_e32 v35, 7, v20
	v_mov_b32_e32 v20, 0x4000
	v_mov_b32_e32 v22, 0x2000
	v_xor_b32_e32 v0, v37, v38
	v_cndmask_b32_e32 v36, v20, v22, vcc
	v_or_b32_e32 v1, 0x440, v0
	v_cmp_eq_u32_e32 vcc, 0, v21
	s_waitcnt lgkmcnt(0)
	s_barrier
	v_cndmask_b32_e32 v0, v1, v0, vcc
	v_or_b32_e32 v0, v0, v39
	v_xad_u32 v40, v0, v34, v35
	v_add_u32_e32 v0, v36, v40
	ds_read_b64 v[0:1], v0
	ds_read2_b64 v[20:23], v19 offset1:16
	v_or_b32_e32 v24, 32, v38
	v_xor_b32_e32 v24, v37, v24
	v_or_b32_e32 v25, 0x440, v24
	v_cndmask_b32_e32 v24, v25, v24, vcc
	s_waitcnt lgkmcnt(0)
	v_mfma_f32_16x16x16_bf16 a[0:3], v[0:1], v[20:21], 0
	v_or_b32_e32 v24, v24, v39
	v_xad_u32 v41, v24, v34, v35
	v_add_u32_e32 v24, v36, v41
	v_mfma_f32_16x16x16_bf16 a[4:7], v[0:1], v[22:23], 0
	v_or_b32_e32 v0, 64, v38
	v_xor_b32_e32 v0, v37, v0
	v_xor_b32_e32 v1, 0x440, v0
	ds_read_b64 v[32:33], v24
	v_cndmask_b32_e32 v0, v1, v0, vcc
	v_or_b32_e32 v0, v0, v39
	v_xad_u32 v42, v0, v34, v35
	v_add_u32_e32 v0, v36, v42
	ds_read_b64 v[0:1], v0
	ds_read2st64_b64 v[24:27], v19 offset0:2 offset1:4
	ds_read2st64_b64 v[28:31], v18 offset0:2 offset1:4
	s_waitcnt lgkmcnt(1)
	v_mfma_f32_16x16x16_bf16 a[0:3], v[32:33], v[24:25], a[0:3]
	s_waitcnt lgkmcnt(0)
	v_mfma_f32_16x16x16_bf16 a[4:7], v[32:33], v[28:29], a[4:7]
	v_or_b32_e32 v32, 0x60, v38
	v_xor_b32_e32 v32, v37, v32
	v_xor_b32_e32 v33, 0x440, v32
	v_cndmask_b32_e32 v32, v33, v32, vcc
	v_or_b32_e32 v32, v32, v39
	v_xad_u32 v37, v32, v34, v35
	v_add_u32_e32 v32, v36, v37
	ds_read_b64 v[32:33], v32
	v_mfma_f32_16x16x16_bf16 a[0:3], v[0:1], v[26:27], a[0:3]
	v_exp_f32_e32 v36, s16
	v_mfma_f32_16x16x16_bf16 a[4:7], v[0:1], v[30:31], a[4:7]
	ds_read_b64 v[0:1], v19 offset:3072
	ds_read_b64 v[34:35], v18 offset:3072
	;; [unrolled: 1-line block ×3, first 2 shown]
	s_waitcnt lgkmcnt(0)
	v_mfma_f32_16x16x16_bf16 a[8:11], v[18:19], v[20:21], 0
	ds_read_b64 v[20:21], v41 offset:16384
	v_mfma_f32_16x16x16_bf16 a[0:3], v[32:33], v[0:1], a[0:3]
	v_mfma_f32_16x16x16_bf16 a[12:15], v[18:19], v[22:23], 0
	ds_read_b64 v[22:23], v42 offset:16384
	s_nop 4
	v_accvgpr_read_b32 v18, a0
	v_fma_f32 v18, v2, v36, v18
	v_accvgpr_read_b32 v2, a1
	v_fma_f32 v19, v3, v36, v2
	v_accvgpr_read_b32 v2, a2
	s_waitcnt lgkmcnt(1)
	v_mfma_f32_16x16x16_bf16 a[8:11], v[20:21], v[24:25], a[8:11]
	v_mfma_f32_16x16x16_bf16 a[12:15], v[20:21], v[28:29], a[12:15]
	v_fma_f32 v20, v4, v36, v2
	ds_read_b64 v[2:3], v37 offset:16384
	v_accvgpr_read_b32 v21, a3
	s_waitcnt lgkmcnt(1)
	v_mfma_f32_16x16x16_bf16 a[0:3], v[22:23], v[26:27], a[8:11]
	v_fmac_f32_e32 v21, v5, v36
	v_mfma_f32_16x16x16_bf16 a[4:7], v[32:33], v[34:35], a[4:7]
	v_mfma_f32_16x16x16_bf16 a[8:11], v[22:23], v[30:31], a[12:15]
	s_waitcnt lgkmcnt(0)
	v_mfma_f32_16x16x16_bf16 a[0:3], v[2:3], v[0:1], a[0:3]
	s_nop 3
	v_accvgpr_read_b32 v4, a4
	v_fma_f32 v26, v10, v36, v4
	v_accvgpr_read_b32 v4, a5
	v_fma_f32 v27, v11, v36, v4
	v_accvgpr_read_b32 v4, a6
	v_accvgpr_read_b32 v29, a7
	v_mfma_f32_16x16x16_bf16 a[4:7], v[2:3], v[34:35], a[8:11]
	v_accvgpr_read_b32 v0, a0
	v_fma_f32 v22, v6, v36, v0
	v_accvgpr_read_b32 v0, a1
	v_fma_f32 v23, v7, v36, v0
	;; [unrolled: 2-line block ×3, first 2 shown]
	v_accvgpr_read_b32 v25, a3
	v_accvgpr_read_b32 v0, a4
	v_fma_f32 v30, v14, v36, v0
	v_accvgpr_read_b32 v0, a5
	v_fma_f32 v31, v15, v36, v0
	v_accvgpr_read_b32 v0, a6
	v_accvgpr_read_b32 v33, a7
	v_fma_f32 v28, v12, v36, v4
	v_fmac_f32_e32 v29, v13, v36
	v_fmac_f32_e32 v25, v9, v36
	v_fma_f32 v32, v16, v36, v0
	v_fmac_f32_e32 v33, v17, v36
	v_mov_b64_e32 v[2:3], v[18:19]
	v_mov_b64_e32 v[4:5], v[20:21]
	;; [unrolled: 1-line block ×8, first 2 shown]
.LBB418_84:
	s_add_u32 s0, s12, s14
	s_addc_u32 s1, s13, s15
	v_lshl_add_u64 v[0:1], v[52:53], 2, s[0:1]
	v_mov_b32_e32 v51, 0
	v_lshl_add_u64 v[0:1], v[0:1], 0, v[50:51]
	s_waitcnt vmcnt(3)
	global_store_dwordx4 v[0:1], v[2:5], off
	s_waitcnt vmcnt(3)
	global_store_dwordx4 v[0:1], v[6:9], off offset:256
	v_lshl_add_u64 v[0:1], v[54:55], 2, s[0:1]
	v_lshl_add_u64 v[0:1], v[0:1], 0, v[50:51]
	s_waitcnt vmcnt(3)
	global_store_dwordx4 v[0:1], v[10:13], off
	s_waitcnt vmcnt(3)
	global_store_dwordx4 v[0:1], v[14:17], off offset:256
	s_endpgm
	.section	.rodata,"a",@progbits
	.p2align	6, 0x0
	.amdhsa_kernel _ZN12_GLOBAL__N_139chunk_gated_delta_rule_fwd_h_hip_kernelILi32ELb1ELb1ELb0ELb1ELb1ELb0ELb1ELb0EEEvPK12hip_bfloat16S3_S3_PKfS5_PKvPS1_S8_PvPKiSB_iiiiilll
		.amdhsa_group_segment_fixed_size 49152
		.amdhsa_private_segment_fixed_size 0
		.amdhsa_kernarg_size 136
		.amdhsa_user_sgpr_count 2
		.amdhsa_user_sgpr_dispatch_ptr 0
		.amdhsa_user_sgpr_queue_ptr 0
		.amdhsa_user_sgpr_kernarg_segment_ptr 1
		.amdhsa_user_sgpr_dispatch_id 0
		.amdhsa_user_sgpr_kernarg_preload_length 0
		.amdhsa_user_sgpr_kernarg_preload_offset 0
		.amdhsa_user_sgpr_private_segment_size 0
		.amdhsa_uses_dynamic_stack 0
		.amdhsa_enable_private_segment 0
		.amdhsa_system_sgpr_workgroup_id_x 1
		.amdhsa_system_sgpr_workgroup_id_y 1
		.amdhsa_system_sgpr_workgroup_id_z 0
		.amdhsa_system_sgpr_workgroup_info 0
		.amdhsa_system_vgpr_workitem_id 0
		.amdhsa_next_free_vgpr 152
		.amdhsa_next_free_sgpr 64
		.amdhsa_accum_offset 136
		.amdhsa_reserve_vcc 1
		.amdhsa_float_round_mode_32 0
		.amdhsa_float_round_mode_16_64 0
		.amdhsa_float_denorm_mode_32 3
		.amdhsa_float_denorm_mode_16_64 3
		.amdhsa_dx10_clamp 1
		.amdhsa_ieee_mode 1
		.amdhsa_fp16_overflow 0
		.amdhsa_tg_split 0
		.amdhsa_exception_fp_ieee_invalid_op 0
		.amdhsa_exception_fp_denorm_src 0
		.amdhsa_exception_fp_ieee_div_zero 0
		.amdhsa_exception_fp_ieee_overflow 0
		.amdhsa_exception_fp_ieee_underflow 0
		.amdhsa_exception_fp_ieee_inexact 0
		.amdhsa_exception_int_div_zero 0
	.end_amdhsa_kernel
	.section	.text._ZN12_GLOBAL__N_139chunk_gated_delta_rule_fwd_h_hip_kernelILi32ELb1ELb1ELb0ELb1ELb1ELb0ELb1ELb0EEEvPK12hip_bfloat16S3_S3_PKfS5_PKvPS1_S8_PvPKiSB_iiiiilll,"axG",@progbits,_ZN12_GLOBAL__N_139chunk_gated_delta_rule_fwd_h_hip_kernelILi32ELb1ELb1ELb0ELb1ELb1ELb0ELb1ELb0EEEvPK12hip_bfloat16S3_S3_PKfS5_PKvPS1_S8_PvPKiSB_iiiiilll,comdat
.Lfunc_end418:
	.size	_ZN12_GLOBAL__N_139chunk_gated_delta_rule_fwd_h_hip_kernelILi32ELb1ELb1ELb0ELb1ELb1ELb0ELb1ELb0EEEvPK12hip_bfloat16S3_S3_PKfS5_PKvPS1_S8_PvPKiSB_iiiiilll, .Lfunc_end418-_ZN12_GLOBAL__N_139chunk_gated_delta_rule_fwd_h_hip_kernelILi32ELb1ELb1ELb0ELb1ELb1ELb0ELb1ELb0EEEvPK12hip_bfloat16S3_S3_PKfS5_PKvPS1_S8_PvPKiSB_iiiiilll
                                        ; -- End function
	.section	.AMDGPU.csdata,"",@progbits
; Kernel info:
; codeLenInByte = 9132
; NumSgprs: 70
; NumVgprs: 136
; NumAgprs: 16
; TotalNumVgprs: 152
; ScratchSize: 0
; MemoryBound: 0
; FloatMode: 240
; IeeeMode: 1
; LDSByteSize: 49152 bytes/workgroup (compile time only)
; SGPRBlocks: 8
; VGPRBlocks: 18
; NumSGPRsForWavesPerEU: 70
; NumVGPRsForWavesPerEU: 152
; AccumOffset: 136
; Occupancy: 1
; WaveLimiterHint : 1
; COMPUTE_PGM_RSRC2:SCRATCH_EN: 0
; COMPUTE_PGM_RSRC2:USER_SGPR: 2
; COMPUTE_PGM_RSRC2:TRAP_HANDLER: 0
; COMPUTE_PGM_RSRC2:TGID_X_EN: 1
; COMPUTE_PGM_RSRC2:TGID_Y_EN: 1
; COMPUTE_PGM_RSRC2:TGID_Z_EN: 0
; COMPUTE_PGM_RSRC2:TIDIG_COMP_CNT: 0
; COMPUTE_PGM_RSRC3_GFX90A:ACCUM_OFFSET: 33
; COMPUTE_PGM_RSRC3_GFX90A:TG_SPLIT: 0
	.section	.text._ZN12_GLOBAL__N_139chunk_gated_delta_rule_fwd_h_hip_kernelILi32ELb1ELb0ELb1ELb1ELb1ELb0ELb1ELb0EEEvPK12hip_bfloat16S3_S3_PKfS5_PKvPS1_S8_PvPKiSB_iiiiilll,"axG",@progbits,_ZN12_GLOBAL__N_139chunk_gated_delta_rule_fwd_h_hip_kernelILi32ELb1ELb0ELb1ELb1ELb1ELb0ELb1ELb0EEEvPK12hip_bfloat16S3_S3_PKfS5_PKvPS1_S8_PvPKiSB_iiiiilll,comdat
	.globl	_ZN12_GLOBAL__N_139chunk_gated_delta_rule_fwd_h_hip_kernelILi32ELb1ELb0ELb1ELb1ELb1ELb0ELb1ELb0EEEvPK12hip_bfloat16S3_S3_PKfS5_PKvPS1_S8_PvPKiSB_iiiiilll ; -- Begin function _ZN12_GLOBAL__N_139chunk_gated_delta_rule_fwd_h_hip_kernelILi32ELb1ELb0ELb1ELb1ELb1ELb0ELb1ELb0EEEvPK12hip_bfloat16S3_S3_PKfS5_PKvPS1_S8_PvPKiSB_iiiiilll
	.p2align	8
	.type	_ZN12_GLOBAL__N_139chunk_gated_delta_rule_fwd_h_hip_kernelILi32ELb1ELb0ELb1ELb1ELb1ELb0ELb1ELb0EEEvPK12hip_bfloat16S3_S3_PKfS5_PKvPS1_S8_PvPKiSB_iiiiilll,@function
_ZN12_GLOBAL__N_139chunk_gated_delta_rule_fwd_h_hip_kernelILi32ELb1ELb0ELb1ELb1ELb1ELb0ELb1ELb0EEEvPK12hip_bfloat16S3_S3_PKfS5_PKvPS1_S8_PvPKiSB_iiiiilll: ; @_ZN12_GLOBAL__N_139chunk_gated_delta_rule_fwd_h_hip_kernelILi32ELb1ELb0ELb1ELb1ELb1ELb0ELb1ELb0EEEvPK12hip_bfloat16S3_S3_PKfS5_PKvPS1_S8_PvPKiSB_iiiiilll
; %bb.0:
	s_load_dwordx4 s[12:15], s[0:1], 0x5c
	s_load_dwordx4 s[4:7], s[0:1], 0x48
	s_abs_i32 s9, s3
	s_ashr_i32 s8, s3, 31
	v_and_b32_e32 v63, 15, v0
	s_waitcnt lgkmcnt(0)
	s_abs_i32 s10, s13
	v_cvt_f32_u32_e32 v1, s10
	s_sub_i32 s16, 0, s10
	s_ashr_i32 s11, s13, 31
	s_xor_b32 s8, s8, s11
	v_rcp_iflag_f32_e32 v1, v1
	v_lshrrev_b32_e32 v61, 6, v0
	v_bfe_u32 v62, v0, 4, 2
	v_mov_b32_e32 v7, 0
	v_mul_f32_e32 v1, 0x4f7ffffe, v1
	v_cvt_u32_f32_e32 v1, v1
	v_and_b32_e32 v60, 63, v0
	v_lshrrev_b32_e32 v65, 3, v60
	v_lshlrev_b32_e32 v64, 3, v0
	v_readfirstlane_b32 s17, v1
	s_mul_i32 s16, s16, s17
	s_mul_hi_u32 s16, s17, s16
	s_add_i32 s17, s17, s16
	s_mul_hi_u32 s16, s9, s17
	s_mul_i32 s17, s16, s10
	s_sub_i32 s9, s9, s17
	s_add_i32 s18, s16, 1
	s_sub_i32 s17, s9, s10
	s_cmp_ge_u32 s9, s10
	s_cselect_b32 s16, s18, s16
	s_cselect_b32 s9, s17, s9
	s_add_i32 s17, s16, 1
	s_cmp_ge_u32 s9, s10
	s_cselect_b32 s9, s17, s16
	s_xor_b32 s9, s9, s8
	s_sub_i32 s20, s9, s8
	s_mul_i32 s24, s20, s13
	s_ashr_i32 s21, s20, 31
	s_sub_i32 s47, s3, s24
	s_lshl_b64 s[8:9], s[20:21], 2
	s_add_u32 s4, s4, s8
	s_addc_u32 s5, s5, s9
	s_add_u32 s22, s6, s8
	s_addc_u32 s23, s7, s9
	s_abs_i32 s3, s14
	v_cvt_f32_u32_e32 v1, s3
	s_load_dwordx2 s[34:35], s[4:5], 0x0
	s_sub_i32 s5, 0, s3
	s_lshl_b32 s2, s2, 5
	v_rcp_iflag_f32_e32 v1, v1
	s_load_dwordx4 s[16:19], s[0:1], 0x28
	s_load_dwordx2 s[28:29], s[0:1], 0x38
	s_waitcnt lgkmcnt(0)
	s_sub_i32 s50, s35, s34
	s_ashr_i32 s4, s50, 31
	v_mul_f32_e32 v1, 0x4f7ffffe, v1
	v_cvt_u32_f32_e32 v1, v1
	s_lshr_b32 s4, s4, 26
	s_add_i32 s4, s50, s4
	s_ashr_i32 s48, s4, 6
	v_readfirstlane_b32 s6, v1
	s_mul_i32 s5, s5, s6
	s_mul_hi_u32 s5, s6, s5
	s_add_i32 s6, s6, s5
	s_mul_hi_u32 s5, s10, s6
	s_mul_i32 s6, s5, s3
	s_ashr_i32 s4, s14, 31
	s_sub_i32 s6, s10, s6
	s_xor_b32 s4, s11, s4
	s_add_i32 s7, s5, 1
	s_sub_i32 s8, s6, s3
	s_cmp_ge_u32 s6, s3
	s_cselect_b32 s5, s7, s5
	s_cselect_b32 s6, s8, s6
	s_add_i32 s7, s5, 1
	s_cmp_ge_u32 s6, s3
	s_cselect_b32 s3, s7, s5
	s_xor_b32 s3, s3, s4
	s_sub_i32 s3, s3, s4
	s_abs_i32 s4, s3
	v_cvt_f32_u32_e32 v1, s4
	s_sub_i32 s6, 0, s4
	s_abs_i32 s5, s47
	s_xor_b32 s3, s47, s3
	v_rcp_iflag_f32_e32 v1, v1
	s_ashr_i32 s3, s3, 31
	v_or_b32_e32 v50, s2, v63
	v_lshlrev_b32_e32 v2, 7, v50
	v_mul_f32_e32 v1, 0x4f7ffffe, v1
	v_cvt_u32_f32_e32 v1, v1
	v_ashrrev_i32_e32 v3, 31, v2
	s_mul_hi_i32 s53, s47, s12
	s_mul_i32 s54, s47, s12
	v_readfirstlane_b32 s7, v1
	s_mul_i32 s6, s6, s7
	s_mul_hi_u32 s6, s7, s6
	s_add_i32 s7, s7, s6
	s_mul_hi_u32 s6, s5, s7
	s_mul_i32 s7, s6, s4
	s_sub_i32 s5, s5, s7
	s_add_i32 s7, s6, 1
	s_sub_i32 s8, s5, s4
	s_cmp_ge_u32 s5, s4
	s_cselect_b32 s6, s7, s6
	s_cselect_b32 s5, s8, s5
	s_add_i32 s7, s6, 1
	s_cmp_ge_u32 s5, s4
	s_cselect_b32 s4, s7, s6
	s_xor_b32 s4, s4, s3
	s_sub_i32 s51, s4, s3
	s_ashr_i32 s49, s47, 31
	s_mul_hi_i32 s3, s20, s13
	s_add_u32 s4, s24, s47
	s_addc_u32 s5, s3, s49
	s_lshl_b64 s[4:5], s[4:5], 16
	s_add_u32 s4, s16, s4
	s_addc_u32 s5, s17, s5
	v_lshlrev_b32_e32 v1, 4, v61
	v_lshl_add_u64 v[4:5], v[2:3], 2, s[4:5]
	v_or_b32_e32 v2, 0x800, v2
	v_lshl_or_b32 v66, v62, 2, v1
	v_ashrrev_i32_e32 v3, 31, v2
	v_lshlrev_b32_e32 v6, 2, v66
	v_lshl_add_u64 v[2:3], v[2:3], 2, s[4:5]
	v_lshl_add_u64 v[4:5], v[4:5], 0, v[6:7]
	;; [unrolled: 1-line block ×3, first 2 shown]
	global_load_dwordx4 v[14:17], v[4:5], off
	global_load_dwordx4 v[10:13], v[4:5], off offset:256
	global_load_dwordx4 v[6:9], v[18:19], off
	s_nop 0
	global_load_dwordx4 v[2:5], v[18:19], off offset:256
	s_load_dwordx8 s[4:11], s[0:1], 0x0
	s_load_dwordx2 s[30:31], s[0:1], 0x80
	s_load_dwordx4 s[24:27], s[0:1], 0x70
	s_load_dword s52, s[22:23], 0x0
	v_or_b32_e32 v67, 64, v66
	s_cmp_lt_i32 s50, 64
	s_waitcnt lgkmcnt(0)
	s_mul_i32 s33, s20, s25
	s_mul_hi_u32 s43, s20, s24
	s_mul_i32 s44, s21, s24
	s_mul_i32 s36, s20, s24
	s_mul_i32 s42, s47, s27
	s_mul_hi_u32 s45, s47, s26
	s_mul_i32 s46, s49, s26
	s_mul_i32 s38, s47, s26
	s_cbranch_scc1 .LBB419_3
; %bb.1:
	s_ashr_i32 s1, s34, 31
	s_add_u32 s0, s54, s34
	s_addc_u32 s1, s53, s1
	s_lshl_b64 s[0:1], s[0:1], 8
	v_and_b32_e32 v69, 56, v64
	s_add_u32 s20, s6, s0
	v_lshl_or_b32 v68, v61, 3, v65
	v_lshlrev_b32_e32 v18, 1, v69
	s_addc_u32 s0, s7, s1
	v_lshl_or_b32 v70, v68, 8, v18
	s_and_b32 s21, s0, 0xffff
	s_mov_b32 s23, 0x20000
	s_movk_i32 s22, 0x4000
	s_movk_i32 s0, 0x80
	v_or_b32_e32 v71, 0x2000, v70
	buffer_load_dwordx4 v[20:23], v70, s[20:23], 0 offen
	buffer_load_dwordx4 v[24:27], v70, s[20:23], s0 offen
	;; [unrolled: 1-line block ×4, first 2 shown]
	v_lshlrev_b32_e32 v19, 3, v68
	v_and_or_b32 v37, v0, 7, v19
	v_and_b32_e32 v19, 0x78, v19
	v_lshlrev_b32_e32 v37, 4, v37
	v_xor_b32_e32 v72, v37, v19
	v_mul_lo_u32 v36, v68, s15
	v_or_b32_e32 v73, 0x1000, v72
	v_xor_b32_e32 v19, 8, v72
	s_cmpk_eq_i32 s15, 0x80
	s_mov_b32 s55, s34
	v_xor_b32_e32 v37, 8, v73
	s_cselect_b64 s[0:1], -1, 0
	s_cmpk_lg_i32 s15, 0x80
	s_waitcnt vmcnt(3)
	ds_write_b64 v72, v[20:21] offset:24576
	ds_write_b64 v19, v[22:23] offset:24576
	s_waitcnt vmcnt(2)
	ds_write_b64 v72, v[24:25] offset:32768
	ds_write_b64 v19, v[26:27] offset:32768
	;; [unrolled: 3-line block ×4, first 2 shown]
	v_lshl_add_u32 v19, v36, 1, v69
	s_cbranch_scc0 .LBB419_29
; %bb.2:
	v_lshlrev_b32_e32 v21, 1, v19
	v_add_lshl_u32 v20, v19, s15, 1
	s_lshl_b32 s22, s15, 7
	v_lshl_or_b32 v18, v68, 9, v18
	s_cbranch_execz .LBB419_30
	s_branch .LBB419_31
.LBB419_3:
	s_waitcnt vmcnt(0)
	v_mov_b32_e32 v19, v5
	v_mov_b32_e32 v18, v9
	v_mov_b32_e32 v9, v13
	v_mov_b32_e32 v20, v17
.LBB419_4:
	s_lshl_b32 s26, s48, 6
	s_sub_i32 s27, s50, s26
	s_cmp_gt_i32 s27, 0
	s_cbranch_scc0 .LBB419_84
; %bb.5:
	s_add_i32 s26, s26, s34
	s_ashr_i32 s3, s26, 31
	s_cmpk_lg_i32 s15, 0x80
	s_cselect_b64 s[22:23], -1, 0
	s_and_b64 vcc, exec, s[22:23]
	s_cbranch_vccz .LBB419_7
; %bb.6:
	s_mul_hi_i32 s0, s26, s14
	s_mul_i32 s1, s26, s14
	s_ashr_i32 s14, s51, 31
	s_add_u32 s24, s1, s51
	s_addc_u32 s25, s0, s14
	s_cbranch_execz .LBB419_8
	s_branch .LBB419_9
.LBB419_7:
                                        ; implicit-def: $sgpr24_sgpr25
.LBB419_8:
	s_mul_i32 s1, s51, s12
	s_mul_hi_i32 s0, s51, s12
	s_add_u32 s24, s1, s26
	s_addc_u32 s25, s0, s3
.LBB419_9:
	s_add_i32 s12, s48, s52
	s_add_u32 s0, s54, s26
	s_addc_u32 s1, s53, s3
	v_lshlrev_b32_e32 v21, 5, v66
	v_lshlrev_b32_e32 v22, 2, v63
	s_mov_b32 s3, 0x7060302
	v_xor_b32_e32 v5, v66, v22
	v_xor_b32_e32 v23, v67, v22
	v_perm_b32 v13, v9, v12, s3
	v_or_b32_e32 v9, v21, v22
	s_lshl_b64 s[20:21], s[0:1], 8
	v_perm_b32 v17, v20, v16, s3
	v_perm_b32 v16, v15, v14, s3
	v_perm_b32 v12, v11, v10, s3
	v_lshlrev_b32_e32 v9, 1, v9
	v_lshlrev_b32_e32 v10, 1, v5
	;; [unrolled: 1-line block ×4, first 2 shown]
	s_add_u32 s0, s6, s20
	ds_write2st64_b64 v9, v[16:17], v[12:13] offset0:80 offset1:88
	v_or_b32_e32 v9, v10, v5
	v_or_b32_e32 v5, v11, v5
	s_addc_u32 s1, s7, s21
	ds_write_b64 v9, v[16:17]
	ds_write_b64 v5, v[12:13]
	v_perm_b32 v9, v18, v8, s3
	v_perm_b32 v8, v7, v6, s3
	;; [unrolled: 1-line block ×4, first 2 shown]
	s_mul_hi_i32 s3, s12, s13
	s_mul_i32 s12, s12, s13
	s_add_u32 s6, s12, s47
	v_or_b32_e32 v2, 16, v63
	s_addc_u32 s7, s3, s49
	v_lshlrev_b32_e32 v19, 2, v2
	s_ashr_i32 s3, s2, 31
	s_lshl_b64 s[6:7], s[6:7], 15
	v_or_b32_e32 v3, v21, v19
	s_add_u32 s6, s18, s6
	v_lshlrev_b32_e32 v3, 1, v3
	v_lshlrev_b32_e32 v2, 8, v2
	s_addc_u32 s7, s19, s7
	s_lshl_b64 s[2:3], s[2:3], 8
	ds_write2st64_b64 v3, v[8:9], v[4:5] offset0:80 offset1:88
	v_or_b32_e32 v3, v10, v2
	v_or_b32_e32 v2, v11, v2
	s_add_u32 s2, s6, s2
	ds_write_b64 v3, v[8:9]
	ds_write_b64 v2, v[4:5]
	v_lshrrev_b32_e32 v2, 4, v0
	s_addc_u32 s3, s7, s3
	v_lshlrev_b32_e32 v3, 1, v63
	v_lshlrev_b32_e32 v10, 4, v63
	v_mov_b32_e32 v11, 0
	v_or_b32_e32 v4, 1, v3
	v_xor_b32_e32 v3, v2, v3
	v_lshl_add_u64 v[12:13], s[2:3], 0, v[10:11]
	v_lshlrev_b32_e32 v10, 8, v2
	v_xor_b32_e32 v6, v4, v2
	v_lshl_or_b32 v2, v3, 3, v10
	s_waitcnt lgkmcnt(0)
	s_barrier
	ds_read2st64_b64 v[2:5], v2 offset1:8
	v_lshl_or_b32 v6, v6, 3, v10
	ds_read2st64_b64 v[6:9], v6 offset1:8
	v_lshl_add_u64 v[14:15], v[12:13], 0, v[10:11]
	s_movk_i32 s2, 0x1000
	s_waitcnt lgkmcnt(1)
	v_mov_b32_e32 v10, v2
	v_add_co_u32_e32 v2, vcc, s2, v14
	s_cmp_lg_u32 s27, 64
	v_mov_b32_e32 v11, v3
	v_addc_co_u32_e32 v3, vcc, 0, v15, vcc
	s_cselect_b64 s[6:7], -1, 0
	v_lshl_or_b32 v23, v61, 3, v65
	s_waitcnt lgkmcnt(0)
	v_mov_b32_e32 v12, v6
	v_mov_b32_e32 v13, v7
	v_mov_b32_e32 v6, v4
	v_mov_b32_e32 v7, v5
	s_mov_b32 s16, 0
	v_or_b32_e32 v20, 32, v23
	v_and_b32_e32 v18, 56, v64
	s_and_b64 vcc, exec, s[6:7]
	global_store_dwordx4 v[14:15], v[10:13], off
	global_store_dwordx4 v[2:3], v[6:9], off
	s_cbranch_vccz .LBB419_15
; %bb.10:
	s_mov_b32 s17, s16
	s_mov_b32 s18, s16
	;; [unrolled: 1-line block ×3, first 2 shown]
	v_mov_b64_e32 v[6:7], s[16:17]
	v_mov_b64_e32 v[8:9], s[18:19]
	;; [unrolled: 1-line block ×3, first 2 shown]
	v_cmp_gt_i32_e32 vcc, s27, v23
	v_mov_b64_e32 v[4:5], v[8:9]
	s_and_saveexec_b64 s[2:3], vcc
	s_cbranch_execz .LBB419_12
; %bb.11:
	v_lshlrev_b32_e32 v2, 8, v23
	v_mov_b32_e32 v3, 0
	v_lshl_add_u64 v[4:5], s[0:1], 0, v[2:3]
	v_lshlrev_b32_e32 v2, 1, v18
	v_lshl_add_u64 v[10:11], v[4:5], 0, v[2:3]
	global_load_dwordx4 v[6:9], v[10:11], off
	global_load_dwordx4 v[2:5], v[10:11], off offset:128
.LBB419_12:
	s_or_b64 exec, exec, s[2:3]
	s_mov_b32 s17, s16
	s_mov_b32 s18, s16
	;; [unrolled: 1-line block ×3, first 2 shown]
	v_mov_b64_e32 v[14:15], s[16:17]
	v_mov_b64_e32 v[16:17], s[18:19]
	;; [unrolled: 1-line block ×3, first 2 shown]
	v_cmp_gt_i32_e32 vcc, s27, v20
	v_lshlrev_b32_e32 v21, 7, v20
	v_mov_b64_e32 v[12:13], v[16:17]
	s_and_saveexec_b64 s[2:3], vcc
	s_cbranch_execz .LBB419_14
; %bb.13:
	v_lshlrev_b32_e32 v10, 1, v21
	v_mov_b32_e32 v11, 0
	v_lshl_add_u64 v[12:13], s[0:1], 0, v[10:11]
	v_lshlrev_b32_e32 v10, 1, v18
	v_lshl_add_u64 v[24:25], v[12:13], 0, v[10:11]
	global_load_dwordx4 v[14:17], v[24:25], off
	global_load_dwordx4 v[10:13], v[24:25], off offset:128
.LBB419_14:
	s_or_b64 exec, exec, s[2:3]
	v_lshrrev_b32_e32 v24, 3, v18
	v_lshlrev_b32_e32 v25, 3, v23
	v_or_b32_e32 v24, v25, v24
	v_lshlrev_b32_e32 v24, 4, v24
	v_and_b32_e32 v25, 0x78, v25
	v_xor_b32_e32 v24, v24, v25
	s_branch .LBB419_17
.LBB419_15:
                                        ; implicit-def: $vgpr24
                                        ; implicit-def: $vgpr21
                                        ; implicit-def: $vgpr6_vgpr7_vgpr8_vgpr9
                                        ; implicit-def: $vgpr2_vgpr3_vgpr4_vgpr5
                                        ; implicit-def: $vgpr14_vgpr15_vgpr16_vgpr17
                                        ; implicit-def: $vgpr10_vgpr11_vgpr12_vgpr13
	s_cbranch_execz .LBB419_17
; %bb.16:
	s_waitcnt vmcnt(0)
	v_lshlrev_b32_e32 v2, 1, v18
	v_lshl_or_b32 v21, v23, 8, v2
	s_and_b32 s1, s1, 0xffff
	s_mov_b32 s3, 0x20000
	s_movk_i32 s2, 0x4000
	v_lshl_or_b32 v24, v20, 8, v2
	s_movk_i32 s12, 0x80
	buffer_load_dwordx4 v[6:9], v21, s[0:3], 0 offen
	buffer_load_dwordx4 v[2:5], v21, s[0:3], s12 offen
	;; [unrolled: 1-line block ×4, first 2 shown]
	v_lshrrev_b32_e32 v21, 3, v18
	v_lshlrev_b32_e32 v24, 3, v23
	v_or_b32_e32 v21, v24, v21
	v_lshlrev_b32_e32 v21, 4, v21
	v_and_b32_e32 v24, 0x78, v24
	v_xor_b32_e32 v24, v21, v24
	v_lshlrev_b32_e32 v21, 7, v20
.LBB419_17:
	s_lshl_b64 s[0:1], s[24:25], 8
	s_add_u32 s4, s4, s0
	s_movk_i32 s0, 0x1000
	v_and_or_b32 v20, v21, s0, v24
	s_waitcnt vmcnt(1)
	ds_write_b64 v24, v[6:7] offset:24576
	v_xor_b32_e32 v6, 8, v24
	ds_write_b64 v6, v[8:9] offset:24576
	s_waitcnt vmcnt(0)
	ds_write_b64 v24, v[2:3] offset:32768
	ds_write_b64 v6, v[4:5] offset:32768
	ds_write_b64 v20, v[14:15] offset:24576
	v_xor_b32_e32 v2, 8, v20
	ds_write_b64 v2, v[16:17] offset:24576
	ds_write_b64 v20, v[10:11] offset:32768
	ds_write_b64 v2, v[12:13] offset:32768
	v_or_b32_e32 v2, v1, v63
	v_lshlrev_b32_e32 v3, 11, v61
	v_lshlrev_b32_e32 v2, 3, v2
	v_and_b32_e32 v6, 0x1000, v3
	v_lshrrev_b32_e32 v3, 5, v60
	s_movk_i32 s3, 0xf8
	v_and_or_b32 v3, v2, s3, v3
	v_lshlrev_b32_e32 v7, 4, v3
	v_and_b32_e32 v8, 0x78, v2
	v_or_b32_e32 v10, 32, v7
	v_lshrrev_b32_e32 v3, 1, v60
	v_xor_b32_e32 v10, v10, v8
	v_xor_b32_e32 v2, v7, v8
	v_and_b32_e32 v9, 8, v3
	v_or_b32_e32 v10, v10, v6
	v_or_b32_e32 v2, v2, v6
	v_xor_b32_e32 v26, v10, v9
	v_or_b32_e32 v10, 64, v7
	v_xor_b32_e32 v25, v2, v9
	v_xor_b32_e32 v10, v10, v8
	s_waitcnt lgkmcnt(0)
	s_barrier
	v_or_b32_e32 v12, v10, v6
	ds_read_b64 v[10:11], v25 offset:24576
	v_lshl_or_b32 v20, v62, 7, v22
	v_lshlrev_b32_e32 v24, 1, v20
	v_add_u32_e32 v2, 0xa000, v24
	ds_read2_b64 v[2:5], v2 offset1:16
	v_or_b32_e32 v7, 0x60, v7
	v_xor_b32_e32 v7, v7, v8
	s_waitcnt lgkmcnt(0)
	v_mfma_f32_16x16x16_bf16 a[0:3], v[10:11], v[2:3], 0
	v_or_b32_e32 v2, 64, v20
	v_or_b32_e32 v6, v7, v6
	v_lshlrev_b32_e32 v29, 1, v2
	v_xor_b32_e32 v27, v12, v9
	v_xor_b32_e32 v28, v6, v9
	ds_read_b64 v[12:13], v26 offset:24576
	ds_read_b64 v[14:15], v27 offset:24576
	;; [unrolled: 1-line block ×3, first 2 shown]
	v_mfma_f32_16x16x16_bf16 a[4:7], v[10:11], v[4:5], 0
	ds_read2st64_b64 v[2:5], v29 offset0:82 offset1:84
	ds_read2st64_b64 v[6:9], v24 offset0:82 offset1:84
	s_addc_u32 s5, s5, s1
	s_add_i32 s1, s43, s33
	s_add_i32 s0, s35, -1
	s_add_i32 s37, s1, s44
	s_add_i32 s1, s45, s42
	;; [unrolled: 1-line block ×3, first 2 shown]
	s_ashr_i32 s1, s0, 31
	s_mul_i32 s2, s0, s31
	s_mul_hi_u32 s3, s0, s30
	s_add_i32 s2, s3, s2
	s_mul_i32 s1, s1, s30
	s_waitcnt lgkmcnt(1)
	v_mfma_f32_16x16x16_bf16 a[4:7], v[12:13], v[2:3], a[4:7]
	s_add_i32 s1, s2, s1
	s_lshl_b64 s[2:3], s[36:37], 2
	s_add_u32 s10, s10, s2
	s_waitcnt lgkmcnt(0)
	v_mfma_f32_16x16x16_bf16 a[0:3], v[12:13], v[6:7], a[0:3]
	s_addc_u32 s11, s11, s3
	s_lshl_b64 s[2:3], s[38:39], 2
	s_mul_i32 s0, s0, s30
	s_add_u32 s10, s10, s2
	ds_read_b64 v[2:3], v24 offset:44032
	v_mfma_f32_16x16x16_bf16 a[4:7], v[14:15], v[4:5], a[4:7]
	ds_read_b64 v[4:5], v29 offset:44032
	s_addc_u32 s11, s11, s3
	s_lshl_b64 s[0:1], s[0:1], 2
	v_mfma_f32_16x16x16_bf16 a[0:3], v[14:15], v[8:9], a[0:3]
	s_add_u32 s0, s10, s0
	s_addc_u32 s1, s11, s1
	s_load_dword s12, s[0:1], 0x0
	s_waitcnt lgkmcnt(0)
	v_mfma_f32_16x16x16_bf16 a[0:3], v[16:17], v[2:3], a[0:3]
	s_and_b64 vcc, exec, s[22:23]
	v_mfma_f32_16x16x16_bf16 a[4:7], v[16:17], v[4:5], a[4:7]
	s_cbranch_vccz .LBB419_28
; %bb.18:
	v_lshlrev_b32_e32 v20, 1, v23
	s_and_b64 vcc, exec, s[6:7]
	s_cbranch_vccz .LBB419_44
; %bb.19:
	v_cmp_gt_i32_e32 vcc, s27, v20
	v_mov_b32_e32 v6, 0
	v_mov_b32_e32 v2, 0
	v_mov_b32_e32 v3, 0
	v_mov_b32_e32 v4, 0
	v_mov_b32_e32 v5, 0
	s_and_saveexec_b64 s[0:1], vcc
	s_cbranch_execz .LBB419_21
; %bb.20:
	v_mad_i64_i32 v[2:3], s[2:3], s15, v20, 0
	v_lshl_add_u64 v[2:3], v[2:3], 1, s[4:5]
	v_lshlrev_b32_e32 v4, 1, v18
	v_mov_b32_e32 v5, 0
	v_lshl_add_u64 v[2:3], v[2:3], 0, v[4:5]
	global_load_dwordx4 v[2:5], v[2:3], off
.LBB419_21:
	s_or_b64 exec, exec, s[0:1]
	v_or_b32_e32 v21, 1, v20
	v_cmp_gt_i32_e64 s[0:1], s27, v21
	v_mov_b32_e32 v7, 0
	v_mov_b32_e32 v8, 0
	;; [unrolled: 1-line block ×3, first 2 shown]
	s_and_saveexec_b64 s[2:3], s[0:1]
	s_cbranch_execz .LBB419_23
; %bb.22:
	v_mad_i64_i32 v[6:7], s[16:17], s15, v21, 0
	v_lshl_add_u64 v[6:7], v[6:7], 1, s[4:5]
	v_lshlrev_b32_e32 v8, 1, v18
	v_mov_b32_e32 v9, 0
	v_lshl_add_u64 v[6:7], v[6:7], 0, v[8:9]
	global_load_dwordx4 v[6:9], v[6:7], off
.LBB419_23:
	s_or_b64 exec, exec, s[2:3]
	v_mov_b32_e32 v17, 0
	v_mov_b32_e32 v10, 0
	;; [unrolled: 1-line block ×5, first 2 shown]
	s_and_saveexec_b64 s[2:3], vcc
	s_cbranch_execz .LBB419_25
; %bb.24:
	v_mad_i64_i32 v[10:11], s[16:17], s15, v20, 0
	v_lshl_add_u64 v[10:11], v[10:11], 1, s[4:5]
	v_lshlrev_b32_e32 v12, 1, v18
	v_mov_b32_e32 v13, 0
	v_lshl_add_u64 v[10:11], v[10:11], 0, v[12:13]
	global_load_dwordx4 v[10:13], v[10:11], off offset:128
.LBB419_25:
	s_or_b64 exec, exec, s[2:3]
	v_mov_b32_e32 v16, 0
	v_mov_b32_e32 v15, 0
	;; [unrolled: 1-line block ×3, first 2 shown]
	s_and_saveexec_b64 s[2:3], s[0:1]
	s_cbranch_execz .LBB419_27
; %bb.26:
	v_mad_i64_i32 v[14:15], s[0:1], s15, v21, 0
	v_lshl_add_u64 v[14:15], v[14:15], 1, s[4:5]
	v_lshlrev_b32_e32 v16, 1, v18
	v_mov_b32_e32 v17, 0
	v_lshl_add_u64 v[14:15], v[14:15], 0, v[16:17]
	global_load_dwordx4 v[14:17], v[14:15], off offset:128
.LBB419_27:
	s_or_b64 exec, exec, s[2:3]
	s_branch .LBB419_46
.LBB419_28:
                                        ; implicit-def: $vgpr5
                                        ; implicit-def: $vgpr9
                                        ; implicit-def: $vgpr13
                                        ; implicit-def: $vgpr17
	v_lshrrev_b32_e32 v30, 2, v60
	s_branch .LBB419_47
.LBB419_29:
                                        ; implicit-def: $vgpr20
                                        ; implicit-def: $vgpr21
                                        ; implicit-def: $sgpr22
	v_lshl_or_b32 v18, v68, 9, v18
.LBB419_30:
	v_or_b32_e32 v20, 0x100, v18
	s_movk_i32 s22, 0x4000
	v_mov_b32_e32 v21, v18
.LBB419_31:
	s_mul_i32 s16, s34, s14
	s_ashr_i32 s56, s51, 31
	s_mul_hi_i32 s3, s34, s14
	s_add_u32 s16, s16, s51
	s_addc_u32 s17, s3, s56
	s_lshl_b64 s[16:17], s[16:17], 8
	s_add_u32 s20, s4, s16
	s_addc_u32 s3, s5, s17
	s_and_b32 s21, s3, 0xffff
	s_movk_i32 s57, 0x80
	buffer_load_dwordx4 v[22:25], v21, s[20:23], 0 offen
	buffer_load_dwordx4 v[26:29], v21, s[20:23], s57 offen
	;; [unrolled: 1-line block ×4, first 2 shown]
	v_and_b32_e32 v20, 6, v0
	v_lshlrev_b32_e32 v39, 6, v66
	v_or_b32_e32 v41, 16, v63
	v_xor_b32_e32 v42, v68, v20
	v_and_b32_e32 v21, 1, v0
	v_lshl_or_b32 v45, v63, 3, v39
	v_lshl_or_b32 v39, v41, 3, v39
	v_lshlrev_b32_e32 v42, 2, v42
	v_lshlrev_b32_e32 v38, 2, v63
	v_or_b32_e32 v76, 0xa000, v39
	v_or_b32_e32 v77, 0xb000, v39
	v_xor_b32_e32 v39, 0x440, v42
	v_cmp_eq_u32_e32 vcc, 0, v21
	s_add_i32 s3, s43, s33
	v_xor_b32_e32 v43, v66, v38
	v_xor_b32_e32 v44, v67, v38
	v_cndmask_b32_e32 v21, v39, v42, vcc
	s_add_i32 s16, s45, s42
	s_add_i32 s37, s3, s44
	s_mov_b32 s58, 0x1000504
	v_lshlrev_b32_e32 v40, 8, v63
	v_lshlrev_b32_e32 v41, 8, v41
	v_lshlrev_b32_e32 v43, 1, v43
	v_lshlrev_b32_e32 v44, 1, v44
	v_lshl_or_b32 v20, v20, 10, v21
	s_add_i32 s39, s16, s46
	s_lshl_b64 s[16:17], s[36:37], 2
	s_mov_b32 s59, 0x3020706
	v_or_b32_e32 v74, 0xa000, v45
	v_or_b32_e32 v75, 0xb000, v45
	;; [unrolled: 1-line block ×5, first 2 shown]
	v_xor_b32_e32 v21, 8, v20
	v_xor_b32_e32 v40, 24, v20
	;; [unrolled: 1-line block ×4, first 2 shown]
	s_add_u32 s3, s10, s16
	v_or_b32_e32 v80, v41, v43
	v_xor_b32_e32 v39, 16, v20
	v_xor_b32_e32 v41, 32, v20
	;; [unrolled: 1-line block ×3, first 2 shown]
	v_add_u32_e32 v21, 0x80, v21
	v_add_u32_e32 v40, 0x80, v40
	;; [unrolled: 1-line block ×4, first 2 shown]
	s_addc_u32 s20, s11, s17
	s_lshl_b64 s[16:17], s[38:39], 2
	s_add_u32 s16, s3, s16
	s_movk_i32 s3, 0xf8
	s_addc_u32 s17, s20, s17
	s_lshl_b32 s26, s15, 7
	s_movk_i32 s24, 0x100
	v_mov_b32_e32 v53, 0
	v_lshlrev_b32_e32 v52, 4, v63
	v_cmp_gt_u32_e32 vcc, s24, v0
	v_ashrrev_i32_e32 v51, 31, v50
	s_mov_b32 s60, 0
	s_movk_i32 s37, 0x1000
	s_movk_i32 s22, 0x4000
	s_waitcnt vmcnt(1)
	v_perm_b32 v45, v22, v30, s58
	s_waitcnt vmcnt(0)
	v_perm_b32 v46, v26, v34, s58
	v_perm_b32 v22, v22, v30, s59
	;; [unrolled: 1-line block ×15, first 2 shown]
	ds_write2st64_b32 v20, v45, v46 offset0:32 offset1:64
	ds_write2st64_b32 v21, v22, v26 offset0:32 offset1:64
	;; [unrolled: 1-line block ×8, first 2 shown]
	v_or_b32_e32 v20, v1, v63
	v_lshlrev_b32_e32 v20, 3, v20
	v_lshrrev_b32_e32 v23, 5, v60
	v_and_or_b32 v23, v20, s3, v23
	v_lshlrev_b32_e32 v23, 4, v23
	v_lshlrev_b32_e32 v21, 11, v61
	v_and_b32_e32 v20, 0x78, v20
	v_or_b32_e32 v28, 32, v23
	v_and_b32_e32 v22, 0x1000, v21
	v_lshrrev_b32_e32 v25, 1, v0
	v_xor_b32_e32 v28, v28, v20
	v_and_b32_e32 v26, 8, v25
	v_or_b32_e32 v28, v28, v22
	v_xor_b32_e32 v24, v23, v20
	v_xor_b32_e32 v84, v28, v26
	v_or_b32_e32 v28, 64, v23
	v_or_b32_e32 v23, 0x60, v23
	s_ashr_i32 s3, s2, 31
	v_xor_b32_e32 v28, v28, v20
	v_xor_b32_e32 v20, v23, v20
	s_lshl_b64 s[20:21], s[2:3], 8
	v_or_b32_e32 v24, v24, v22
	v_or_b32_e32 v28, v28, v22
	;; [unrolled: 1-line block ×3, first 2 shown]
	s_add_u32 s20, s18, s20
	v_lshlrev_b32_e32 v22, 1, v63
	v_xor_b32_e32 v86, v28, v26
	v_lshrrev_b32_e32 v28, 4, v0
	s_addc_u32 s21, s19, s21
	v_or_b32_e32 v23, 1, v22
	v_mov_b32_e32 v32, 0x4000
	v_mov_b32_e32 v33, 0x2000
	v_xor_b32_e32 v29, v28, v22
	v_xor_b32_e32 v30, v23, v28
	v_lshl_add_u64 v[22:23], s[20:21], 0, v[52:53]
	v_lshlrev_b32_e32 v52, 8, v28
	v_cndmask_b32_e32 v32, v32, v33, vcc
	v_lshlrev_b32_e32 v33, 3, v61
	v_and_b32_e32 v25, 24, v25
	v_lshl_or_b32 v90, v29, 3, v52
	v_and_b32_e32 v29, 8, v0
	v_xor_b32_e32 v34, v33, v25
	v_or_b32_e32 v35, 0x440, v34
	v_cmp_eq_u32_e32 vcc, 0, v29
	v_and_b32_e32 v28, 7, v0
	v_xor_b32_e32 v82, v24, v26
	v_cndmask_b32_e32 v29, v35, v34, vcc
	v_lshlrev_b32_e32 v24, 7, v62
	v_lshl_or_b32 v91, v30, 3, v52
	v_lshlrev_b32_e32 v30, 3, v28
	v_lshlrev_b32_e32 v28, 7, v28
	;; [unrolled: 1-line block ×3, first 2 shown]
	v_or_b32_e32 v29, v29, v21
	v_or_b32_e32 v27, v24, v38
	v_xad_u32 v92, v29, v30, v28
	v_and_or_b32 v24, v31, 60, v24
	v_mov_b32_e32 v29, 0xb000
	v_lshl_or_b32 v93, v24, 1, v29
	v_or_b32_e32 v24, 32, v25
	v_xor_b32_e32 v24, v33, v24
	v_or_b32_e32 v29, 0x440, v24
	v_cndmask_b32_e32 v24, v29, v24, vcc
	v_or_b32_e32 v24, v24, v21
	v_xad_u32 v94, v24, v30, v28
	v_or_b32_e32 v24, 64, v25
	v_xor_b32_e32 v24, v33, v24
	v_xor_b32_e32 v29, 0x440, v24
	v_cndmask_b32_e32 v24, v29, v24, vcc
	v_or_b32_e32 v24, v24, v21
	v_xad_u32 v95, v24, v30, v28
	v_or_b32_e32 v24, 0x60, v25
	v_xor_b32_e32 v24, v33, v24
	v_xor_b32_e32 v25, 0x440, v24
	v_lshlrev_b32_e32 v27, 1, v27
	v_cndmask_b32_e32 v24, v25, v24, vcc
	v_or_b32_e32 v83, 0xa000, v27
	v_or_b32_e32 v85, 0xa080, v27
	v_xor_b32_e32 v87, v20, v26
	v_or_b32_e32 v88, 0xb000, v27
	v_or_b32_e32 v89, 0xb080, v27
	v_lshlrev_b32_e32 v26, 1, v19
	v_add_lshl_u32 v19, v19, s15, 1
	v_or_b32_e32 v27, 0x100, v18
	v_or_b32_e32 v21, v24, v21
	v_lshlrev_b32_e32 v20, 7, v66
	v_xad_u32 v96, v21, v30, v28
	v_cndmask_b32_e64 v97, v26, v18, s[0:1]
	v_cndmask_b32_e64 v98, v19, v27, s[0:1]
	v_lshlrev_b64 v[18:19], 1, v[50:51]
	v_lshl_add_u64 v[54:55], s[8:9], 0, v[18:19]
	v_lshl_add_u64 v[56:57], s[28:29], 0, v[18:19]
	;; [unrolled: 1-line block ×3, first 2 shown]
	s_mov_b32 s3, 0x7060302
	v_lshlrev_b32_e32 v52, 1, v20
	v_add_u32_e32 v51, v32, v92
	v_add_u32_e32 v99, v32, v94
	v_add_u32_e32 v100, v32, v95
	v_add_u32_e32 v101, v32, v96
	s_waitcnt lgkmcnt(0)
	s_barrier
.LBB419_32:                             ; =>This Inner Loop Header: Depth=1
	s_add_i32 s39, s60, 1
	s_cmp_lt_i32 s39, s48
	s_mov_b64 s[24:25], 0
	s_cselect_b64 s[40:41], -1, 0
	s_cmp_ge_i32 s39, s48
	s_mov_b64 s[20:21], 0
	s_cbranch_scc1 .LBB419_34
; %bb.33:                               ;   in Loop: Header=BB419_32 Depth=1
	s_add_i32 s0, s55, 64
	s_ashr_i32 s1, s0, 31
	s_add_u32 s0, s54, s0
	s_addc_u32 s1, s53, s1
	s_lshl_b64 s[0:1], s[0:1], 8
	s_add_u32 s20, s6, s0
	s_addc_u32 s21, s7, s1
.LBB419_34:                             ;   in Loop: Header=BB419_32 Depth=1
	v_cndmask_b32_e64 v18, 0, 1, s[40:41]
	v_cmp_ne_u32_e64 s[0:1], 1, v18
	s_andn2_b64 vcc, exec, s[40:41]
	s_cbranch_vccnz .LBB419_36
; %bb.35:                               ;   in Loop: Header=BB419_32 Depth=1
	s_add_i32 s24, s55, 64
	s_mul_hi_i32 s25, s24, s14
	s_mul_i32 s24, s24, s14
	s_add_u32 s24, s24, s51
	s_addc_u32 s25, s25, s56
	s_lshl_b64 s[24:25], s[24:25], 8
	s_add_u32 s24, s4, s24
	s_addc_u32 s25, s5, s25
.LBB419_36:                             ;   in Loop: Header=BB419_32 Depth=1
	v_perm_b32 v19, v17, v16, s3
	v_perm_b32 v18, v15, v14, s3
	;; [unrolled: 1-line block ×4, first 2 shown]
	ds_write_b64 v74, v[18:19]
	ds_write_b64 v75, v[20:21]
	;; [unrolled: 1-line block ×4, first 2 shown]
	v_perm_b32 v19, v9, v8, s3
	v_perm_b32 v18, v7, v6, s3
	;; [unrolled: 1-line block ×4, first 2 shown]
	ds_write_b64 v76, v[18:19]
	ds_write_b64 v77, v[20:21]
	;; [unrolled: 1-line block ×4, first 2 shown]
	s_waitcnt lgkmcnt(0)
	s_barrier
	ds_read_b64 v[22:23], v82 offset:24576
	ds_read2_b64 v[18:21], v83 offset1:16
	ds_read_b64 v[26:27], v85 offset:3072
	ds_read_b64 v[28:29], v83 offset:3072
	;; [unrolled: 1-line block ×3, first 2 shown]
	s_waitcnt lgkmcnt(3)
	v_mfma_f32_16x16x16_bf16 a[0:3], v[22:23], v[18:19], 0
	s_add_i32 s27, s55, 63
	s_ashr_i32 s40, s27, 31
	s_mul_i32 s41, s27, s31
	v_mfma_f32_16x16x16_bf16 a[4:7], v[22:23], v[20:21], 0
	ds_read2st64_b64 v[18:21], v83 offset0:2 offset1:4
	s_mul_hi_u32 s61, s27, s30
	s_add_i32 s41, s61, s41
	s_waitcnt lgkmcnt(0)
	v_mfma_f32_16x16x16_bf16 a[0:3], v[30:31], v[18:19], a[0:3]
	ds_read2st64_b64 v[22:25], v85 offset0:2 offset1:4
	ds_read_b64 v[18:19], v86 offset:24576
	s_mul_i32 s40, s40, s30
	s_add_i32 s41, s41, s40
	s_waitcnt lgkmcnt(1)
	v_mfma_f32_16x16x16_bf16 a[4:7], v[30:31], v[22:23], a[4:7]
	ds_read_b64 v[22:23], v87 offset:24576
	s_mul_i32 s40, s27, s30
	s_lshl_b64 s[40:41], s[40:41], 2
	s_waitcnt lgkmcnt(1)
	v_mfma_f32_16x16x16_bf16 a[0:3], v[18:19], v[20:21], a[0:3]
	s_add_u32 s40, s16, s40
	s_addc_u32 s41, s17, s41
	s_and_b64 vcc, exec, s[0:1]
	v_mfma_f32_16x16x16_bf16 a[8:11], v[18:19], v[24:25], a[4:7]
	v_mov_b32_e32 v104, 0
	v_mov_b32_e32 v103, 0
	;; [unrolled: 1-line block ×3, first 2 shown]
	s_waitcnt lgkmcnt(0)
	v_mfma_f32_16x16x16_bf16 a[4:7], v[22:23], v[28:29], a[0:3]
	v_mov_b32_e32 v18, 0
	v_mov_b32_e32 v19, 0
	;; [unrolled: 1-line block ×3, first 2 shown]
	v_mfma_f32_16x16x16_bf16 a[0:3], v[22:23], v[26:27], a[8:11]
	v_mov_b32_e32 v21, 0
	v_mov_b32_e32 v22, 0
	;; [unrolled: 1-line block ×13, first 2 shown]
	s_cbranch_vccnz .LBB419_38
; %bb.37:                               ;   in Loop: Header=BB419_32 Depth=1
	s_and_b32 s21, s21, 0xffff
	buffer_load_dwordx4 v[30:33], v70, s[20:23], 0 offen
	buffer_load_dwordx4 v[26:29], v70, s[20:23], s57 offen
	;; [unrolled: 1-line block ×4, first 2 shown]
	v_mov_b32_e32 v103, v72
	v_mov_b32_e32 v102, v73
.LBB419_38:                             ;   in Loop: Header=BB419_32 Depth=1
	s_waitcnt vmcnt(3)
	ds_read_b64 v[42:43], v82 offset:32768
	s_waitcnt vmcnt(2)
	ds_read2_b64 v[34:37], v88 offset1:16
	ds_read_b64 v[44:45], v84 offset:32768
	ds_read_b64 v[46:47], v86 offset:32768
	ds_read_b64 v[48:49], v87 offset:32768
	ds_read2st64_b64 v[38:41], v88 offset0:2 offset1:4
	v_add_u32_e32 v105, s55, v66
	s_waitcnt lgkmcnt(4)
	v_mfma_f32_16x16x16_bf16 a[4:7], v[42:43], v[34:35], a[4:7]
	v_ashrrev_i32_e32 v34, 31, v105
	v_mfma_f32_16x16x16_bf16 a[0:3], v[42:43], v[36:37], a[0:3]
	v_mul_lo_u32 v36, v105, s31
	v_mul_lo_u32 v37, v34, s30
	v_mad_u64_u32 v[34:35], s[20:21], v105, s30, 0
	v_add3_u32 v35, v35, v36, v37
	v_add_u32_e32 v36, 1, v105
	v_ashrrev_i32_e32 v37, 31, v36
	s_waitcnt lgkmcnt(0)
	v_mfma_f32_16x16x16_bf16 a[4:7], v[44:45], v[38:39], a[4:7]
	v_mul_lo_u32 v38, v37, s30
	v_mul_lo_u32 v39, v36, s31
	v_mad_u64_u32 v[36:37], s[20:21], v36, s30, 0
	v_add3_u32 v37, v37, v39, v38
	v_add_u32_e32 v38, 2, v105
	v_ashrrev_i32_e32 v39, 31, v38
	v_mul_lo_u32 v42, v39, s30
	v_mul_lo_u32 v43, v38, s31
	v_mad_u64_u32 v[38:39], s[20:21], v38, s30, 0
	v_add3_u32 v39, v39, v43, v42
	v_add_u32_e32 v42, 3, v105
	v_ashrrev_i32_e32 v43, 31, v42
	v_mul_lo_u32 v105, v43, s30
	v_mul_lo_u32 v106, v42, s31
	v_mad_u64_u32 v[42:43], s[20:21], v42, s30, 0
	s_ashr_i32 s21, s55, 31
	v_add3_u32 v43, v43, v106, v105
	s_add_u32 s20, s54, s55
	v_lshl_add_u64 v[34:35], v[34:35], 2, s[16:17]
	v_lshl_add_u64 v[42:43], v[42:43], 2, s[16:17]
	s_addc_u32 s21, s53, s21
	v_lshl_add_u64 v[36:37], v[36:37], 2, s[16:17]
	v_lshl_add_u64 v[38:39], v[38:39], 2, s[16:17]
	global_load_dword v105, v[34:35], off
	global_load_dword v106, v[36:37], off
	;; [unrolled: 1-line block ×3, first 2 shown]
	s_nop 0
	global_load_dword v43, v[42:43], off
	s_lshl_b64 s[62:63], s[20:21], 8
	v_lshl_add_u64 v[34:35], v[54:55], 0, s[62:63]
	v_lshl_add_u64 v[38:39], v[34:35], 0, v[52:53]
	global_load_ushort v108, v[38:39], off offset:256
	global_load_ushort v109, v[38:39], off
	global_load_ushort v110, v[38:39], off offset:768
	global_load_ushort v111, v[38:39], off offset:512
	ds_read2st64_b64 v[34:37], v89 offset0:2 offset1:4
	global_load_ushort v112, v[38:39], off offset:800
	global_load_ushort v113, v[38:39], off offset:544
	;; [unrolled: 1-line block ×4, first 2 shown]
	s_waitcnt lgkmcnt(0)
	v_mfma_f32_16x16x16_bf16 a[0:3], v[44:45], v[34:35], a[0:3]
	s_and_b64 vcc, exec, s[0:1]
	s_waitcnt vmcnt(7)
	v_lshlrev_b32_e32 v45, 16, v108
	v_mfma_f32_16x16x16_bf16 a[4:7], v[46:47], v[40:41], a[4:7]
	s_waitcnt vmcnt(6)
	v_lshlrev_b32_e32 v44, 16, v109
	v_mfma_f32_16x16x16_bf16 a[0:3], v[46:47], v[36:37], a[0:3]
	ds_read_b64 v[34:35], v88 offset:3072
	ds_read_b64 v[36:37], v89 offset:3072
	s_load_dword s20, s[40:41], 0x0
	s_waitcnt vmcnt(5)
	v_lshlrev_b32_e32 v47, 16, v110
	s_waitcnt lgkmcnt(0)
	v_mfma_f32_16x16x16_bf16 a[4:7], v[48:49], v[34:35], a[4:7]
	v_lshl_add_u64 v[34:35], v[56:57], 0, s[62:63]
	v_sub_f32_e32 v42, s20, v105
	v_sub_f32_e32 v46, s20, v106
	v_mfma_f32_16x16x16_bf16 a[0:3], v[48:49], v[36:37], a[0:3]
	v_sub_f32_e32 v48, s20, v107
	v_sub_f32_e32 v49, s20, v43
	v_exp_f32_e32 v42, v42
	v_exp_f32_e32 v43, v46
	;; [unrolled: 1-line block ×4, first 2 shown]
	v_accvgpr_read_b32 v41, a5
	v_accvgpr_read_b32 v37, a7
	v_accvgpr_read_b32 v36, a6
	v_accvgpr_read_b32 v40, a4
	s_waitcnt vmcnt(4)
	v_lshlrev_b32_e32 v46, 16, v111
	v_lshl_add_u64 v[34:35], v[34:35], 0, v[52:53]
	v_pk_add_f32 v[40:41], v[44:45], v[40:41] neg_lo:[0,1] neg_hi:[0,1]
	v_pk_add_f32 v[36:37], v[46:47], v[36:37] neg_lo:[0,1] neg_hi:[0,1]
	global_store_short_d16_hi v[34:35], v40, off
	global_store_short_d16_hi v[34:35], v41, off offset:256
	global_store_short_d16_hi v[34:35], v36, off offset:512
	;; [unrolled: 1-line block ×3, first 2 shown]
	v_pk_mul_f32 v[40:41], v[42:43], v[40:41]
	v_pk_mul_f32 v[36:37], v[48:49], v[36:37]
	v_accvgpr_read_b32 v45, a1
	v_perm_b32 v40, v41, v40, s3
	v_perm_b32 v41, v37, v36, s3
	s_waitcnt vmcnt(5)
	v_lshlrev_b32_e32 v37, 16, v114
	s_waitcnt vmcnt(4)
	v_lshlrev_b32_e32 v36, 16, v115
	v_accvgpr_read_b32 v44, a0
	v_accvgpr_read_b32 v39, a3
	;; [unrolled: 1-line block ×3, first 2 shown]
	v_pk_add_f32 v[36:37], v[36:37], v[44:45] neg_lo:[0,1] neg_hi:[0,1]
	v_lshlrev_b32_e32 v45, 16, v112
	v_lshlrev_b32_e32 v44, 16, v113
	v_pk_add_f32 v[38:39], v[44:45], v[38:39] neg_lo:[0,1] neg_hi:[0,1]
	global_store_short_d16_hi v[34:35], v36, off offset:32
	global_store_short_d16_hi v[34:35], v37, off offset:288
	;; [unrolled: 1-line block ×4, first 2 shown]
	v_pk_mul_f32 v[34:35], v[42:43], v[36:37]
	v_pk_mul_f32 v[36:37], v[48:49], v[38:39]
	v_mov_b32_e32 v105, 0
	v_perm_b32 v37, v37, v36, s3
	v_perm_b32 v36, v35, v34, s3
	ds_write2_b64 v75, v[40:41], v[36:37] offset1:16
	v_mov_b32_e32 v34, 0
	v_mov_b32_e32 v35, 0
	;; [unrolled: 1-line block ×16, first 2 shown]
	s_cbranch_vccnz .LBB419_40
; %bb.39:                               ;   in Loop: Header=BB419_32 Depth=1
	s_and_b32 s25, s25, 0xffff
	s_mov_b32 s27, s23
	buffer_load_dwordx4 v[46:49], v97, s[24:27], 0 offen
	buffer_load_dwordx4 v[38:41], v97, s[24:27], s57 offen
	;; [unrolled: 1-line block ×4, first 2 shown]
	v_mov_b32_e32 v104, v69
	v_mov_b32_e32 v105, v68
.LBB419_40:                             ;   in Loop: Header=BB419_32 Depth=1
	s_waitcnt lgkmcnt(0)
	s_barrier
	ds_read_b64 v[110:111], v51
	ds_read_b64 v[118:119], v93
	;; [unrolled: 1-line block ×5, first 2 shown]
	ds_read_b64 v[124:125], v94 offset:16384
	ds_read_b64 v[126:127], v92 offset:16384
	ds_read2_b64 v[106:109], v88 offset0:16 offset1:128
	s_waitcnt lgkmcnt(6)
	v_mfma_f32_16x16x16_bf16 a[0:3], v[110:111], v[118:119], 0
	ds_read_b64 v[128:129], v89 offset:3072
	ds_read_b64 v[130:131], v96 offset:16384
	s_add_i32 s21, s52, s60
	s_waitcnt lgkmcnt(2)
	v_mfma_f32_16x16x16_bf16 a[4:7], v[110:111], v[106:107], 0
	ds_read2st64_b64 v[110:113], v89 offset0:2 offset1:4
	s_mul_hi_i32 s25, s21, s13
	s_mul_i32 s21, s21, s13
	v_mfma_f32_16x16x16_bf16 a[0:3], v[114:115], v[108:109], a[0:3]
	s_add_u32 s24, s21, s47
	s_addc_u32 s25, s25, s49
	s_lshl_b64 s[24:25], s[24:25], 15
	s_waitcnt lgkmcnt(0)
	v_mfma_f32_16x16x16_bf16 a[4:7], v[114:115], v[110:111], a[4:7]
	ds_read2st64_b64 v[114:117], v88 offset0:4 offset1:6
	s_waitcnt lgkmcnt(0)
	v_mfma_f32_16x16x16_bf16 a[0:3], v[120:121], v[114:115], a[0:3]
	v_mfma_f32_16x16x16_bf16 a[8:11], v[120:121], v[112:113], a[4:7]
	;; [unrolled: 1-line block ×5, first 2 shown]
	ds_read2st64_b64 v[118:121], v91 offset1:8
	v_mfma_f32_16x16x16_bf16 a[12:15], v[126:127], v[106:107], 0
	ds_read_b64 v[126:127], v95 offset:16384
	v_mfma_f32_16x16x16_bf16 a[8:11], v[124:125], v[108:109], a[8:11]
	ds_read2st64_b64 v[106:109], v90 offset1:8
	s_waitcnt lgkmcnt(0)
	v_mov_b32_e32 v122, v106
	v_mfma_f32_16x16x16_bf16 a[12:15], v[124:125], v[110:111], a[12:15]
	v_lshl_add_u64 v[110:111], v[58:59], 0, s[24:25]
	v_add_co_u32_e32 v106, vcc, s37, v110
	v_mfma_f32_16x16x16_bf16 a[8:11], v[126:127], v[114:115], a[8:11]
	v_mov_b32_e32 v123, v107
	v_addc_co_u32_e32 v107, vcc, 0, v111, vcc
	v_mfma_f32_16x16x16_bf16 a[16:19], v[126:127], v[112:113], a[12:15]
	v_mov_b32_e32 v124, v118
	v_mov_b32_e32 v125, v119
	;; [unrolled: 1-line block ×3, first 2 shown]
	v_mfma_f32_16x16x16_bf16 a[12:15], v[130:131], v[116:117], a[8:11]
	v_mov_b32_e32 v119, v109
	s_and_b64 vcc, exec, s[0:1]
	global_store_dwordx4 v[110:111], v[122:125], off
	v_mfma_f32_16x16x16_bf16 a[8:11], v[130:131], v[128:129], a[16:19]
	global_store_dwordx4 v[106:107], v[118:121], off
	s_cbranch_vccnz .LBB419_42
; %bb.41:                               ;   in Loop: Header=BB419_32 Depth=1
	v_lshrrev_b32_e32 v106, 3, v104
	v_and_b32_e32 v106, 6, v106
	v_xor_b32_e32 v105, v106, v105
	v_lshlrev_b32_e32 v105, 2, v105
	v_and_b32_e32 v104, 8, v104
	v_xor_b32_e32 v107, 0x440, v105
	v_cmp_eq_u32_e32 vcc, 0, v104
	s_barrier
	s_nop 0
	v_cndmask_b32_e32 v104, v107, v105, vcc
	v_lshl_or_b32 v104, v106, 10, v104
	s_waitcnt vmcnt(3)
	v_perm_b32 v105, v46, v42, s58
	s_waitcnt vmcnt(2)
	v_perm_b32 v106, v38, v34, s58
	ds_write2st64_b32 v104, v105, v106 offset0:32 offset1:64
	v_xor_b32_e32 v105, 8, v104
	v_perm_b32 v42, v46, v42, s59
	v_perm_b32 v34, v38, v34, s59
	v_add_u32_e32 v38, 0x80, v105
	ds_write2st64_b32 v38, v42, v34 offset0:32 offset1:64
	v_xor_b32_e32 v34, 16, v104
	v_perm_b32 v38, v47, v43, s58
	v_perm_b32 v42, v39, v35, s58
	ds_write2st64_b32 v34, v38, v42 offset0:33 offset1:65
	v_xor_b32_e32 v34, 24, v104
	v_perm_b32 v38, v47, v43, s59
	v_perm_b32 v35, v39, v35, s59
	v_add_u32_e32 v34, 0x80, v34
	ds_write2st64_b32 v34, v38, v35 offset0:33 offset1:65
	v_xor_b32_e32 v34, 32, v104
	v_perm_b32 v35, v48, v44, s58
	v_perm_b32 v38, v40, v36, s58
	ds_write2st64_b32 v34, v35, v38 offset0:34 offset1:66
	v_xor_b32_e32 v34, 40, v104
	v_perm_b32 v35, v48, v44, s59
	v_perm_b32 v36, v40, v36, s59
	v_add_u32_e32 v34, 0x80, v34
	ds_write2st64_b32 v34, v35, v36 offset0:34 offset1:66
	v_xor_b32_e32 v34, 48, v104
	v_perm_b32 v35, v49, v45, s58
	v_perm_b32 v36, v41, v37, s58
	ds_write2st64_b32 v34, v35, v36 offset0:35 offset1:67
	v_xor_b32_e32 v34, 56, v104
	v_perm_b32 v35, v49, v45, s59
	v_perm_b32 v36, v41, v37, s59
	v_add_u32_e32 v34, 0x80, v34
	ds_write2st64_b32 v34, v35, v36 offset0:35 offset1:67
	ds_write_b64 v103, v[30:31] offset:24576
	v_xor_b32_e32 v30, 8, v103
	ds_write_b64 v30, v[32:33] offset:24576
	ds_write_b64 v103, v[26:27] offset:32768
	;; [unrolled: 1-line block ×4, first 2 shown]
	v_xor_b32_e32 v22, 8, v102
	ds_write_b64 v22, v[24:25] offset:24576
	ds_write_b64 v102, v[18:19] offset:32768
	;; [unrolled: 1-line block ×3, first 2 shown]
.LBB419_42:                             ;   in Loop: Header=BB419_32 Depth=1
	v_exp_f32_e32 v21, s20
	v_accvgpr_read_b32 v18, a4
	v_accvgpr_read_b32 v20, a7
	;; [unrolled: 1-line block ×3, first 2 shown]
	v_fma_f32 v14, v14, v21, v18
	v_accvgpr_read_b32 v18, a6
	v_fma_f32 v16, v16, v21, v18
	v_accvgpr_read_b32 v18, a3
	v_fmac_f32_e32 v18, v9, v21
	v_accvgpr_read_b32 v9, a12
	v_fma_f32 v10, v10, v21, v9
	v_accvgpr_read_b32 v9, a13
	v_fma_f32 v11, v11, v21, v9
	;; [unrolled: 2-line block ×3, first 2 shown]
	v_accvgpr_read_b32 v9, a15
	v_fmac_f32_e32 v20, v17, v21
	v_accvgpr_read_b32 v17, a0
	v_fmac_f32_e32 v9, v13, v21
	v_accvgpr_read_b32 v13, a8
	v_fma_f32 v6, v6, v21, v17
	v_accvgpr_read_b32 v17, a1
	v_fma_f32 v2, v2, v21, v13
	;; [unrolled: 2-line block ×3, first 2 shown]
	v_fma_f32 v7, v7, v21, v17
	v_accvgpr_read_b32 v17, a2
	v_fma_f32 v3, v3, v21, v13
	v_accvgpr_read_b32 v13, a10
	v_accvgpr_read_b32 v19, a11
	s_add_i32 s55, s55, 64
	v_fma_f32 v8, v8, v21, v17
	v_fma_f32 v4, v4, v21, v13
	s_cmp_eq_u32 s48, s39
	v_fmac_f32_e32 v19, v5, v21
	s_cbranch_scc1 .LBB419_4
; %bb.43:                               ;   in Loop: Header=BB419_32 Depth=1
	s_mov_b32 s60, s39
	v_mov_b32_e32 v17, v20
	v_mov_b32_e32 v13, v9
	;; [unrolled: 1-line block ×4, first 2 shown]
	s_branch .LBB419_32
.LBB419_44:
                                        ; implicit-def: $vgpr5
                                        ; implicit-def: $vgpr9
                                        ; implicit-def: $vgpr13
                                        ; implicit-def: $vgpr17
	s_cbranch_execz .LBB419_46
; %bb.45:
	s_waitcnt vmcnt(0)
	v_mad_u64_u32 v[2:3], s[0:1], v20, s15, v[18:19]
	v_lshlrev_b32_e32 v20, 1, v2
	s_lshl_b32 s2, s15, 7
	s_and_b32 s1, s5, 0xffff
	s_mov_b32 s3, 0x20000
	s_mov_b32 s0, s4
	v_add_lshl_u32 v21, v2, s15, 1
	s_movk_i32 s13, 0x80
	buffer_load_dwordx4 v[2:5], v20, s[0:3], 0 offen
	buffer_load_dwordx4 v[10:13], v20, s[0:3], s13 offen
	;; [unrolled: 1-line block ×4, first 2 shown]
.LBB419_46:
	v_lshrrev_b32_e32 v30, 2, v60
	s_cbranch_execnz .LBB419_59
.LBB419_47:
	s_and_b64 vcc, exec, s[6:7]
	s_cbranch_vccz .LBB419_57
; %bb.48:
	s_waitcnt vmcnt(0)
	v_lshlrev_b32_e32 v7, 1, v23
	v_cmp_gt_i32_e32 vcc, s27, v7
	v_mov_b32_e32 v6, 0
	v_lshlrev_b32_e32 v14, 9, v23
	v_mov_b32_e32 v2, 0
	v_mov_b32_e32 v3, 0
	;; [unrolled: 1-line block ×4, first 2 shown]
	s_and_saveexec_b64 s[0:1], vcc
	s_cbranch_execz .LBB419_50
; %bb.49:
	v_mov_b32_e32 v15, 0
	v_lshl_add_u64 v[2:3], s[4:5], 0, v[14:15]
	v_lshlrev_b32_e32 v4, 1, v18
	v_mov_b32_e32 v5, v15
	v_lshl_add_u64 v[2:3], v[2:3], 0, v[4:5]
	global_load_dwordx4 v[2:5], v[2:3], off
.LBB419_50:
	s_or_b64 exec, exec, s[0:1]
	v_or_b32_e32 v7, 1, v7
	v_cmp_gt_i32_e64 s[0:1], s27, v7
	v_lshlrev_b32_e32 v20, 8, v7
	v_mov_b32_e32 v7, 0
	v_mov_b32_e32 v8, 0
	;; [unrolled: 1-line block ×3, first 2 shown]
	s_and_saveexec_b64 s[2:3], s[0:1]
	s_cbranch_execz .LBB419_52
; %bb.51:
	v_mov_b32_e32 v21, 0
	v_lshl_add_u64 v[6:7], s[4:5], 0, v[20:21]
	v_lshlrev_b32_e32 v8, 1, v18
	v_mov_b32_e32 v9, v21
	v_lshl_add_u64 v[6:7], v[6:7], 0, v[8:9]
	global_load_dwordx4 v[6:9], v[6:7], off
.LBB419_52:
	s_or_b64 exec, exec, s[2:3]
	v_mov_b32_e32 v17, 0
	v_mov_b32_e32 v10, 0
	;; [unrolled: 1-line block ×5, first 2 shown]
	s_and_saveexec_b64 s[2:3], vcc
	s_cbranch_execz .LBB419_54
; %bb.53:
	v_mov_b32_e32 v15, 0
	v_lshl_add_u64 v[10:11], s[4:5], 0, v[14:15]
	v_lshlrev_b32_e32 v14, 1, v18
	v_lshl_add_u64 v[10:11], v[10:11], 0, v[14:15]
	global_load_dwordx4 v[10:13], v[10:11], off offset:128
.LBB419_54:
	s_or_b64 exec, exec, s[2:3]
	v_mov_b32_e32 v16, 0
	v_mov_b32_e32 v15, 0
	;; [unrolled: 1-line block ×3, first 2 shown]
	s_and_saveexec_b64 s[2:3], s[0:1]
	s_cbranch_execz .LBB419_56
; %bb.55:
	v_mov_b32_e32 v21, 0
	v_lshl_add_u64 v[14:15], s[4:5], 0, v[20:21]
	v_lshlrev_b32_e32 v20, 1, v18
	v_lshl_add_u64 v[14:15], v[14:15], 0, v[20:21]
	global_load_dwordx4 v[14:17], v[14:15], off offset:128
.LBB419_56:
	s_or_b64 exec, exec, s[2:3]
	s_branch .LBB419_59
.LBB419_57:
                                        ; implicit-def: $vgpr5
                                        ; implicit-def: $vgpr9
                                        ; implicit-def: $vgpr13
                                        ; implicit-def: $vgpr17
	s_cbranch_execz .LBB419_59
; %bb.58:
	s_waitcnt vmcnt(0)
	v_lshlrev_b32_e32 v2, 1, v18
	v_lshl_or_b32 v18, v23, 9, v2
	s_and_b32 s5, s5, 0xffff
	s_mov_b32 s7, 0x20000
	s_movk_i32 s6, 0x4000
	s_movk_i32 s0, 0x80
	buffer_load_dwordx4 v[2:5], v18, s[4:7], 0 offen
	buffer_load_dwordx4 v[6:9], v18, s[4:7], 0 offen offset:256
	buffer_load_dwordx4 v[10:13], v18, s[4:7], s0 offen
	buffer_load_dwordx4 v[14:17], v18, s[4:7], s0 offen offset:256
.LBB419_59:
	ds_read_b64 v[20:21], v25 offset:32768
	v_add_u32_e32 v18, 0xb000, v24
	ds_read2_b64 v[32:35], v18 offset1:16
	ds_read_b64 v[40:41], v26 offset:32768
	ds_read_b64 v[26:27], v27 offset:32768
	;; [unrolled: 1-line block ×3, first 2 shown]
	v_and_b32_e32 v18, 6, v0
	v_xor_b32_e32 v23, v23, v18
	v_lshlrev_b32_e32 v23, 2, v23
	v_and_b32_e32 v0, 1, v0
	v_xor_b32_e32 v28, 0x440, v23
	v_cmp_eq_u32_e32 vcc, 0, v0
	s_waitcnt lgkmcnt(3)
	v_mfma_f32_16x16x16_bf16 a[0:3], v[20:21], v[32:33], a[0:3]
	s_mov_b32 s0, 0x1000504
	v_cndmask_b32_e32 v0, v28, v23, vcc
	v_lshl_or_b32 v0, v18, 10, v0
	v_mfma_f32_16x16x16_bf16 a[4:7], v[20:21], v[34:35], a[4:7]
	ds_read2st64_b64 v[32:35], v24 offset0:90 offset1:92
	ds_read2st64_b64 v[36:39], v29 offset0:90 offset1:92
	ds_read_b64 v[20:21], v24 offset:48128
	ds_read_b64 v[24:25], v29 offset:48128
	s_waitcnt vmcnt(0)
	v_perm_b32 v18, v2, v6, s0
	s_waitcnt lgkmcnt(3)
	v_mfma_f32_16x16x16_bf16 a[0:3], v[40:41], v[32:33], a[0:3]
	s_mov_b32 s1, 0x3020706
	v_perm_b32 v2, v2, v6, s1
	v_perm_b32 v6, v10, v14, s1
	s_waitcnt lgkmcnt(2)
	v_mfma_f32_16x16x16_bf16 a[4:7], v[40:41], v[36:37], a[4:7]
	v_mfma_f32_16x16x16_bf16 a[0:3], v[26:27], v[34:35], a[0:3]
	;; [unrolled: 1-line block ×3, first 2 shown]
	s_waitcnt lgkmcnt(1)
	v_mfma_f32_16x16x16_bf16 a[4:7], v[42:43], v[20:21], a[0:3]
	v_perm_b32 v20, v10, v14, s0
	ds_write2st64_b32 v0, v18, v20 offset0:32 offset1:64
	v_xor_b32_e32 v18, 8, v0
	v_add_u32_e32 v10, 0x80, v18
	ds_write2st64_b32 v10, v2, v6 offset0:32 offset1:64
	v_xor_b32_e32 v2, 16, v0
	v_perm_b32 v6, v3, v7, s0
	v_perm_b32 v10, v11, v15, s0
	ds_write2st64_b32 v2, v6, v10 offset0:33 offset1:65
	v_xor_b32_e32 v2, 24, v0
	v_perm_b32 v3, v3, v7, s1
	v_perm_b32 v6, v11, v15, s1
	v_add_u32_e32 v2, 0x80, v2
	ds_write2st64_b32 v2, v3, v6 offset0:33 offset1:65
	v_xor_b32_e32 v2, 32, v0
	v_perm_b32 v3, v4, v8, s0
	v_perm_b32 v6, v12, v16, s0
	s_waitcnt lgkmcnt(4)
	v_mfma_f32_16x16x16_bf16 a[0:3], v[42:43], v[24:25], a[8:11]
	ds_write2st64_b32 v2, v3, v6 offset0:34 offset1:66
	v_xor_b32_e32 v2, 40, v0
	v_perm_b32 v3, v4, v8, s1
	v_perm_b32 v4, v12, v16, s1
	v_add_u32_e32 v2, 0x80, v2
	ds_write2st64_b32 v2, v3, v4 offset0:34 offset1:66
	v_xor_b32_e32 v2, 48, v0
	v_perm_b32 v3, v5, v9, s0
	v_perm_b32 v4, v13, v17, s0
	v_xor_b32_e32 v0, 56, v0
	v_and_or_b32 v21, v30, 12, v1
	ds_write2st64_b32 v2, v3, v4 offset0:35 offset1:67
	v_perm_b32 v2, v5, v9, s1
	v_perm_b32 v3, v13, v17, s1
	v_add_u32_e32 v0, 0x80, v0
	v_cmp_gt_i32_e32 vcc, s27, v21
	v_mov_b32_e32 v16, 0
	v_mov_b32_e32 v18, 0
	ds_write2st64_b32 v0, v2, v3 offset0:35 offset1:67
	s_and_saveexec_b64 s[0:1], vcc
	s_cbranch_execz .LBB419_61
; %bb.60:
	v_add_u32_e32 v0, s26, v21
	v_ashrrev_i32_e32 v1, 31, v0
	v_mul_lo_u32 v2, v1, s30
	v_mul_lo_u32 v3, v0, s31
	v_mad_u64_u32 v[0:1], s[2:3], v0, s30, 0
	v_add3_u32 v1, v1, v3, v2
	v_lshl_add_u64 v[0:1], v[0:1], 2, s[10:11]
	global_load_dword v0, v[0:1], off
	s_waitcnt vmcnt(0)
	v_sub_f32_e32 v0, s12, v0
	v_exp_f32_e32 v18, v0
.LBB419_61:
	s_or_b64 exec, exec, s[0:1]
	v_or_b32_e32 v10, 1, v21
	v_cmp_gt_i32_e64 s[2:3], s27, v10
	s_and_saveexec_b64 s[0:1], s[2:3]
	s_cbranch_execz .LBB419_63
; %bb.62:
	v_add_u32_e32 v0, s26, v10
	v_ashrrev_i32_e32 v1, 31, v0
	v_mul_lo_u32 v2, v1, s30
	v_mul_lo_u32 v3, v0, s31
	v_mad_u64_u32 v[0:1], s[4:5], v0, s30, 0
	v_add3_u32 v1, v1, v3, v2
	v_lshl_add_u64 v[0:1], v[0:1], 2, s[10:11]
	global_load_dword v0, v[0:1], off
	s_waitcnt vmcnt(0)
	v_sub_f32_e32 v0, s12, v0
	v_exp_f32_e32 v16, v0
.LBB419_63:
	s_or_b64 exec, exec, s[0:1]
	v_or_b32_e32 v12, 2, v21
	v_cmp_gt_i32_e64 s[0:1], s27, v12
	v_mov_b32_e32 v17, 0
	v_mov_b32_e32 v20, 0
	s_and_saveexec_b64 s[4:5], s[0:1]
	s_cbranch_execz .LBB419_65
; %bb.64:
	v_add_u32_e32 v0, s26, v12
	v_ashrrev_i32_e32 v1, 31, v0
	v_mul_lo_u32 v2, v1, s30
	v_mul_lo_u32 v3, v0, s31
	v_mad_u64_u32 v[0:1], s[6:7], v0, s30, 0
	v_add3_u32 v1, v1, v3, v2
	v_lshl_add_u64 v[0:1], v[0:1], 2, s[10:11]
	global_load_dword v0, v[0:1], off
	s_waitcnt vmcnt(0)
	v_sub_f32_e32 v0, s12, v0
	v_exp_f32_e32 v20, v0
.LBB419_65:
	s_or_b64 exec, exec, s[4:5]
	v_or_b32_e32 v14, 3, v21
	v_cmp_gt_i32_e64 s[4:5], s27, v14
	s_and_saveexec_b64 s[6:7], s[4:5]
	s_cbranch_execz .LBB419_67
; %bb.66:
	v_add_u32_e32 v0, s26, v14
	v_ashrrev_i32_e32 v1, 31, v0
	v_mul_lo_u32 v2, v1, s30
	v_mul_lo_u32 v3, v0, s31
	v_mad_u64_u32 v[0:1], s[14:15], v0, s30, 0
	v_add3_u32 v1, v1, v3, v2
	v_lshl_add_u64 v[0:1], v[0:1], 2, s[10:11]
	global_load_dword v0, v[0:1], off
	s_waitcnt vmcnt(0)
	v_sub_f32_e32 v0, s12, v0
	v_exp_f32_e32 v17, v0
.LBB419_67:
	s_or_b64 exec, exec, s[6:7]
	s_add_u32 s6, s8, s20
	s_addc_u32 s7, s9, s21
	s_add_u32 s8, s28, s20
	v_ashrrev_i32_e32 v51, 31, v50
	v_accvgpr_read_b32 v0, a4
	s_addc_u32 s9, s29, s21
	v_lshlrev_b64 v[4:5], 1, v[50:51]
	v_accvgpr_read_b32 v1, a5
	v_accvgpr_read_b32 v2, a6
	;; [unrolled: 1-line block ×3, first 2 shown]
	v_lshl_add_u64 v[6:7], s[6:7], 0, v[4:5]
	v_lshl_add_u64 v[4:5], s[8:9], 0, v[4:5]
	v_mov_b32_e32 v11, 0
	v_lshlrev_b32_e32 v8, 8, v21
	v_mov_b32_e32 v9, 0
	s_and_saveexec_b64 s[6:7], vcc
	s_cbranch_execz .LBB419_69
; %bb.68:
	v_mov_b32_e32 v9, 0
	v_lshl_add_u64 v[24:25], v[6:7], 0, v[8:9]
	global_load_ushort v13, v[24:25], off
	v_lshl_add_u64 v[24:25], v[4:5], 0, v[8:9]
	s_waitcnt vmcnt(0)
	v_lshlrev_b32_e32 v9, 16, v13
	v_sub_f32_e32 v0, v9, v0
	global_store_short_d16_hi v[24:25], v0, off
	v_mul_f32_e32 v0, v18, v0
	v_lshrrev_b32_e32 v9, 16, v0
.LBB419_69:
	s_or_b64 exec, exec, s[6:7]
	v_lshlrev_b32_e32 v10, 8, v10
	s_and_saveexec_b64 s[6:7], s[2:3]
	s_cbranch_execz .LBB419_71
; %bb.70:
	v_mov_b32_e32 v11, 0
	v_lshl_add_u64 v[24:25], v[6:7], 0, v[10:11]
	global_load_ushort v0, v[24:25], off
	v_lshl_add_u64 v[24:25], v[4:5], 0, v[10:11]
	s_waitcnt vmcnt(0)
	v_lshlrev_b32_e32 v0, 16, v0
	v_sub_f32_e32 v0, v0, v1
	global_store_short_d16_hi v[24:25], v0, off
	v_mul_f32_e32 v0, v16, v0
	v_lshrrev_b32_e32 v11, 16, v0
.LBB419_71:
	s_or_b64 exec, exec, s[6:7]
	v_mov_b32_e32 v15, 0
	v_lshlrev_b32_e32 v12, 8, v12
	v_mov_b32_e32 v13, 0
	s_and_saveexec_b64 s[6:7], s[0:1]
	s_cbranch_execz .LBB419_73
; %bb.72:
	v_mov_b32_e32 v13, 0
	v_lshl_add_u64 v[0:1], v[6:7], 0, v[12:13]
	global_load_ushort v23, v[0:1], off
	v_lshl_add_u64 v[0:1], v[4:5], 0, v[12:13]
	s_waitcnt vmcnt(0)
	v_lshlrev_b32_e32 v13, 16, v23
	v_sub_f32_e32 v2, v13, v2
	global_store_short_d16_hi v[0:1], v2, off
	v_mul_f32_e32 v0, v20, v2
	v_lshrrev_b32_e32 v13, 16, v0
.LBB419_73:
	s_or_b64 exec, exec, s[6:7]
	v_lshlrev_b32_e32 v14, 8, v14
	s_and_saveexec_b64 s[6:7], s[4:5]
	s_cbranch_execz .LBB419_75
; %bb.74:
	v_mov_b32_e32 v15, 0
	v_lshl_add_u64 v[0:1], v[6:7], 0, v[14:15]
	global_load_ushort v2, v[0:1], off
	v_lshl_add_u64 v[0:1], v[4:5], 0, v[14:15]
	s_waitcnt vmcnt(0)
	v_lshlrev_b32_e32 v2, 16, v2
	v_sub_f32_e32 v2, v2, v3
	global_store_short_d16_hi v[0:1], v2, off
	v_mul_f32_e32 v0, v17, v2
	v_lshrrev_b32_e32 v15, 16, v0
.LBB419_75:
	s_or_b64 exec, exec, s[6:7]
	v_lshlrev_b32_e32 v21, 5, v21
	s_mov_b32 s6, 0x5040100
	v_perm_b32 v24, v11, v9, s6
	v_or_b32_e32 v9, v21, v22
	v_accvgpr_read_b32 v0, a0
	v_perm_b32 v25, v15, v13, s6
	v_lshlrev_b32_e32 v9, 1, v9
	v_accvgpr_read_b32 v1, a1
	v_accvgpr_read_b32 v2, a2
	;; [unrolled: 1-line block ×3, first 2 shown]
	ds_write_b64 v9, v[24:25] offset:45056
	v_mov_b32_e32 v11, 0
	v_mov_b32_e32 v9, 0
	s_and_saveexec_b64 s[6:7], vcc
	s_cbranch_execz .LBB419_77
; %bb.76:
	v_mov_b32_e32 v9, 0
	v_lshl_add_u64 v[22:23], v[6:7], 0, v[8:9]
	global_load_ushort v13, v[22:23], off offset:32
	v_lshl_add_u64 v[8:9], v[4:5], 0, v[8:9]
	s_waitcnt vmcnt(0)
	v_lshlrev_b32_e32 v13, 16, v13
	v_sub_f32_e32 v0, v13, v0
	global_store_short_d16_hi v[8:9], v0, off offset:32
	v_mul_f32_e32 v0, v18, v0
	v_lshrrev_b32_e32 v9, 16, v0
.LBB419_77:
	s_or_b64 exec, exec, s[6:7]
	s_and_saveexec_b64 s[6:7], s[2:3]
	s_cbranch_execz .LBB419_79
; %bb.78:
	v_mov_b32_e32 v11, 0
	v_lshl_add_u64 v[22:23], v[6:7], 0, v[10:11]
	global_load_ushort v0, v[22:23], off offset:32
	v_lshl_add_u64 v[10:11], v[4:5], 0, v[10:11]
	s_waitcnt vmcnt(0)
	v_lshlrev_b32_e32 v0, 16, v0
	v_sub_f32_e32 v0, v0, v1
	global_store_short_d16_hi v[10:11], v0, off offset:32
	v_mul_f32_e32 v0, v16, v0
	v_lshrrev_b32_e32 v11, 16, v0
.LBB419_79:
	s_or_b64 exec, exec, s[6:7]
	v_mov_b32_e32 v0, 0
	v_mov_b32_e32 v1, 0
	s_and_saveexec_b64 s[2:3], s[0:1]
	s_cbranch_execz .LBB419_81
; %bb.80:
	v_mov_b32_e32 v13, 0
	v_lshl_add_u64 v[22:23], v[6:7], 0, v[12:13]
	global_load_ushort v1, v[22:23], off offset:32
	v_lshl_add_u64 v[12:13], v[4:5], 0, v[12:13]
	s_waitcnt vmcnt(0)
	v_lshlrev_b32_e32 v1, 16, v1
	v_sub_f32_e32 v1, v1, v2
	global_store_short_d16_hi v[12:13], v1, off offset:32
	v_mul_f32_e32 v1, v20, v1
	v_lshrrev_b32_e32 v1, 16, v1
.LBB419_81:
	s_or_b64 exec, exec, s[2:3]
	s_and_saveexec_b64 s[0:1], s[4:5]
	s_cbranch_execz .LBB419_83
; %bb.82:
	v_mov_b32_e32 v15, 0
	v_lshl_add_u64 v[6:7], v[6:7], 0, v[14:15]
	global_load_ushort v0, v[6:7], off offset:32
	v_lshl_add_u64 v[4:5], v[4:5], 0, v[14:15]
	s_waitcnt vmcnt(0)
	v_lshlrev_b32_e32 v0, 16, v0
	v_sub_f32_e32 v0, v0, v3
	global_store_short_d16_hi v[4:5], v0, off offset:32
	v_mul_f32_e32 v0, v17, v0
	v_lshrrev_b32_e32 v0, 16, v0
.LBB419_83:
	s_or_b64 exec, exec, s[0:1]
	s_mov_b32 s0, 0x5040100
	v_or_b32_e32 v2, v21, v19
	v_perm_b32 v1, v0, v1, s0
	v_perm_b32 v0, v11, v9, s0
	v_lshlrev_b32_e32 v2, 1, v2
	ds_write_b64 v2, v[0:1] offset:45056
	s_waitcnt lgkmcnt(0)
	s_barrier
.LBB419_84:
	s_endpgm
	.section	.rodata,"a",@progbits
	.p2align	6, 0x0
	.amdhsa_kernel _ZN12_GLOBAL__N_139chunk_gated_delta_rule_fwd_h_hip_kernelILi32ELb1ELb0ELb1ELb1ELb1ELb0ELb1ELb0EEEvPK12hip_bfloat16S3_S3_PKfS5_PKvPS1_S8_PvPKiSB_iiiiilll
		.amdhsa_group_segment_fixed_size 49152
		.amdhsa_private_segment_fixed_size 0
		.amdhsa_kernarg_size 136
		.amdhsa_user_sgpr_count 2
		.amdhsa_user_sgpr_dispatch_ptr 0
		.amdhsa_user_sgpr_queue_ptr 0
		.amdhsa_user_sgpr_kernarg_segment_ptr 1
		.amdhsa_user_sgpr_dispatch_id 0
		.amdhsa_user_sgpr_kernarg_preload_length 0
		.amdhsa_user_sgpr_kernarg_preload_offset 0
		.amdhsa_user_sgpr_private_segment_size 0
		.amdhsa_uses_dynamic_stack 0
		.amdhsa_enable_private_segment 0
		.amdhsa_system_sgpr_workgroup_id_x 1
		.amdhsa_system_sgpr_workgroup_id_y 1
		.amdhsa_system_sgpr_workgroup_id_z 0
		.amdhsa_system_sgpr_workgroup_info 0
		.amdhsa_system_vgpr_workitem_id 0
		.amdhsa_next_free_vgpr 152
		.amdhsa_next_free_sgpr 64
		.amdhsa_accum_offset 132
		.amdhsa_reserve_vcc 1
		.amdhsa_float_round_mode_32 0
		.amdhsa_float_round_mode_16_64 0
		.amdhsa_float_denorm_mode_32 3
		.amdhsa_float_denorm_mode_16_64 3
		.amdhsa_dx10_clamp 1
		.amdhsa_ieee_mode 1
		.amdhsa_fp16_overflow 0
		.amdhsa_tg_split 0
		.amdhsa_exception_fp_ieee_invalid_op 0
		.amdhsa_exception_fp_denorm_src 0
		.amdhsa_exception_fp_ieee_div_zero 0
		.amdhsa_exception_fp_ieee_overflow 0
		.amdhsa_exception_fp_ieee_underflow 0
		.amdhsa_exception_fp_ieee_inexact 0
		.amdhsa_exception_int_div_zero 0
	.end_amdhsa_kernel
	.section	.text._ZN12_GLOBAL__N_139chunk_gated_delta_rule_fwd_h_hip_kernelILi32ELb1ELb0ELb1ELb1ELb1ELb0ELb1ELb0EEEvPK12hip_bfloat16S3_S3_PKfS5_PKvPS1_S8_PvPKiSB_iiiiilll,"axG",@progbits,_ZN12_GLOBAL__N_139chunk_gated_delta_rule_fwd_h_hip_kernelILi32ELb1ELb0ELb1ELb1ELb1ELb0ELb1ELb0EEEvPK12hip_bfloat16S3_S3_PKfS5_PKvPS1_S8_PvPKiSB_iiiiilll,comdat
.Lfunc_end419:
	.size	_ZN12_GLOBAL__N_139chunk_gated_delta_rule_fwd_h_hip_kernelILi32ELb1ELb0ELb1ELb1ELb1ELb0ELb1ELb0EEEvPK12hip_bfloat16S3_S3_PKfS5_PKvPS1_S8_PvPKiSB_iiiiilll, .Lfunc_end419-_ZN12_GLOBAL__N_139chunk_gated_delta_rule_fwd_h_hip_kernelILi32ELb1ELb0ELb1ELb1ELb1ELb0ELb1ELb0EEEvPK12hip_bfloat16S3_S3_PKfS5_PKvPS1_S8_PvPKiSB_iiiiilll
                                        ; -- End function
	.section	.AMDGPU.csdata,"",@progbits
; Kernel info:
; codeLenInByte = 8504
; NumSgprs: 70
; NumVgprs: 132
; NumAgprs: 20
; TotalNumVgprs: 152
; ScratchSize: 0
; MemoryBound: 0
; FloatMode: 240
; IeeeMode: 1
; LDSByteSize: 49152 bytes/workgroup (compile time only)
; SGPRBlocks: 8
; VGPRBlocks: 18
; NumSGPRsForWavesPerEU: 70
; NumVGPRsForWavesPerEU: 152
; AccumOffset: 132
; Occupancy: 1
; WaveLimiterHint : 1
; COMPUTE_PGM_RSRC2:SCRATCH_EN: 0
; COMPUTE_PGM_RSRC2:USER_SGPR: 2
; COMPUTE_PGM_RSRC2:TRAP_HANDLER: 0
; COMPUTE_PGM_RSRC2:TGID_X_EN: 1
; COMPUTE_PGM_RSRC2:TGID_Y_EN: 1
; COMPUTE_PGM_RSRC2:TGID_Z_EN: 0
; COMPUTE_PGM_RSRC2:TIDIG_COMP_CNT: 0
; COMPUTE_PGM_RSRC3_GFX90A:ACCUM_OFFSET: 32
; COMPUTE_PGM_RSRC3_GFX90A:TG_SPLIT: 0
	.section	.text._ZN12_GLOBAL__N_139chunk_gated_delta_rule_fwd_h_hip_kernelILi32ELb1ELb0ELb0ELb1ELb1ELb0ELb1ELb0EEEvPK12hip_bfloat16S3_S3_PKfS5_PKvPS1_S8_PvPKiSB_iiiiilll,"axG",@progbits,_ZN12_GLOBAL__N_139chunk_gated_delta_rule_fwd_h_hip_kernelILi32ELb1ELb0ELb0ELb1ELb1ELb0ELb1ELb0EEEvPK12hip_bfloat16S3_S3_PKfS5_PKvPS1_S8_PvPKiSB_iiiiilll,comdat
	.globl	_ZN12_GLOBAL__N_139chunk_gated_delta_rule_fwd_h_hip_kernelILi32ELb1ELb0ELb0ELb1ELb1ELb0ELb1ELb0EEEvPK12hip_bfloat16S3_S3_PKfS5_PKvPS1_S8_PvPKiSB_iiiiilll ; -- Begin function _ZN12_GLOBAL__N_139chunk_gated_delta_rule_fwd_h_hip_kernelILi32ELb1ELb0ELb0ELb1ELb1ELb0ELb1ELb0EEEvPK12hip_bfloat16S3_S3_PKfS5_PKvPS1_S8_PvPKiSB_iiiiilll
	.p2align	8
	.type	_ZN12_GLOBAL__N_139chunk_gated_delta_rule_fwd_h_hip_kernelILi32ELb1ELb0ELb0ELb1ELb1ELb0ELb1ELb0EEEvPK12hip_bfloat16S3_S3_PKfS5_PKvPS1_S8_PvPKiSB_iiiiilll,@function
_ZN12_GLOBAL__N_139chunk_gated_delta_rule_fwd_h_hip_kernelILi32ELb1ELb0ELb0ELb1ELb1ELb0ELb1ELb0EEEvPK12hip_bfloat16S3_S3_PKfS5_PKvPS1_S8_PvPKiSB_iiiiilll: ; @_ZN12_GLOBAL__N_139chunk_gated_delta_rule_fwd_h_hip_kernelILi32ELb1ELb0ELb0ELb1ELb1ELb0ELb1ELb0EEEvPK12hip_bfloat16S3_S3_PKfS5_PKvPS1_S8_PvPKiSB_iiiiilll
; %bb.0:
	s_load_dwordx4 s[12:15], s[0:1], 0x5c
	s_load_dwordx4 s[20:23], s[0:1], 0x70
	s_abs_i32 s9, s3
	s_ashr_i32 s8, s3, 31
	s_load_dwordx4 s[4:7], s[0:1], 0x48
	s_waitcnt lgkmcnt(0)
	s_abs_i32 s10, s13
	v_cvt_f32_u32_e32 v1, s10
	s_sub_i32 s16, 0, s10
	s_ashr_i32 s11, s13, 31
	s_xor_b32 s8, s8, s11
	v_rcp_iflag_f32_e32 v1, v1
	v_and_b32_e32 v61, 15, v0
	v_lshrrev_b32_e32 v59, 6, v0
	v_bfe_u32 v60, v0, 4, 2
	v_mul_f32_e32 v1, 0x4f7ffffe, v1
	v_cvt_u32_f32_e32 v1, v1
	v_mov_b32_e32 v7, 0
	v_and_b32_e32 v58, 63, v0
	v_lshrrev_b32_e32 v63, 3, v58
	v_readfirstlane_b32 s17, v1
	s_mul_i32 s16, s16, s17
	s_mul_hi_u32 s16, s17, s16
	s_add_i32 s17, s17, s16
	s_mul_hi_u32 s16, s9, s17
	s_mul_i32 s17, s16, s10
	s_sub_i32 s9, s9, s17
	s_add_i32 s18, s16, 1
	s_sub_i32 s17, s9, s10
	s_cmp_ge_u32 s9, s10
	s_cselect_b32 s16, s18, s16
	s_cselect_b32 s9, s17, s9
	s_add_i32 s17, s16, 1
	s_cmp_ge_u32 s9, s10
	s_cselect_b32 s9, s17, s16
	s_load_dwordx4 s[16:19], s[0:1], 0x28
	s_xor_b32 s9, s9, s8
	s_sub_i32 s24, s9, s8
	s_mul_i32 s28, s24, s13
	s_ashr_i32 s25, s24, 31
	s_sub_i32 s45, s3, s28
	s_lshl_b64 s[8:9], s[24:25], 2
	s_add_u32 s4, s4, s8
	s_addc_u32 s5, s5, s9
	s_add_u32 s26, s6, s8
	s_addc_u32 s27, s7, s9
	s_abs_i32 s3, s14
	v_cvt_f32_u32_e32 v1, s3
	s_load_dwordx2 s[30:31], s[4:5], 0x0
	s_sub_i32 s5, 0, s3
	s_lshl_b32 s2, s2, 5
	v_rcp_iflag_f32_e32 v1, v1
	v_or_b32_e32 v50, s2, v61
	s_waitcnt lgkmcnt(0)
	s_sub_i32 s48, s31, s30
	s_ashr_i32 s4, s48, 31
	v_mul_f32_e32 v1, 0x4f7ffffe, v1
	v_cvt_u32_f32_e32 v1, v1
	s_lshr_b32 s4, s4, 26
	s_add_i32 s4, s48, s4
	s_ashr_i32 s46, s4, 6
	v_readfirstlane_b32 s6, v1
	s_mul_i32 s5, s5, s6
	s_mul_hi_u32 s5, s6, s5
	s_add_i32 s6, s6, s5
	s_mul_hi_u32 s5, s10, s6
	s_mul_i32 s6, s5, s3
	s_ashr_i32 s4, s14, 31
	s_sub_i32 s6, s10, s6
	s_xor_b32 s4, s11, s4
	s_add_i32 s7, s5, 1
	s_sub_i32 s8, s6, s3
	s_cmp_ge_u32 s6, s3
	s_cselect_b32 s5, s7, s5
	s_cselect_b32 s6, s8, s6
	s_add_i32 s7, s5, 1
	s_cmp_ge_u32 s6, s3
	s_cselect_b32 s3, s7, s5
	s_xor_b32 s3, s3, s4
	s_sub_i32 s3, s3, s4
	s_abs_i32 s4, s3
	v_cvt_f32_u32_e32 v1, s4
	s_sub_i32 s6, 0, s4
	s_abs_i32 s5, s45
	s_xor_b32 s3, s45, s3
	v_rcp_iflag_f32_e32 v1, v1
	s_ashr_i32 s3, s3, 31
	v_lshlrev_b32_e32 v2, 7, v50
	v_ashrrev_i32_e32 v3, 31, v2
	v_mul_f32_e32 v1, 0x4f7ffffe, v1
	v_cvt_u32_f32_e32 v1, v1
	s_mul_hi_i32 s51, s45, s12
	s_mul_i32 s52, s45, s12
	v_lshlrev_b32_e32 v62, 3, v0
	v_readfirstlane_b32 s7, v1
	s_mul_i32 s6, s6, s7
	s_mul_hi_u32 s6, s7, s6
	s_add_i32 s7, s7, s6
	s_mul_hi_u32 s6, s5, s7
	s_mul_i32 s7, s6, s4
	s_sub_i32 s5, s5, s7
	s_add_i32 s7, s6, 1
	s_sub_i32 s8, s5, s4
	s_cmp_ge_u32 s5, s4
	s_cselect_b32 s6, s7, s6
	s_cselect_b32 s5, s8, s5
	s_add_i32 s7, s6, 1
	s_cmp_ge_u32 s5, s4
	s_cselect_b32 s4, s7, s6
	s_xor_b32 s4, s4, s3
	s_sub_i32 s49, s4, s3
	s_ashr_i32 s47, s45, 31
	s_mul_hi_i32 s3, s24, s13
	s_add_u32 s4, s28, s45
	s_addc_u32 s5, s3, s47
	s_lshl_b64 s[4:5], s[4:5], 16
	s_add_u32 s4, s16, s4
	s_addc_u32 s5, s17, s5
	v_lshlrev_b32_e32 v1, 4, v59
	v_lshl_add_u64 v[4:5], v[2:3], 2, s[4:5]
	v_or_b32_e32 v2, 0x800, v2
	v_lshl_or_b32 v64, v60, 2, v1
	v_ashrrev_i32_e32 v3, 31, v2
	v_lshlrev_b32_e32 v6, 2, v64
	v_lshl_add_u64 v[2:3], v[2:3], 2, s[4:5]
	v_lshl_add_u64 v[4:5], v[4:5], 0, v[6:7]
	;; [unrolled: 1-line block ×3, first 2 shown]
	global_load_dwordx4 v[14:17], v[4:5], off
	global_load_dwordx4 v[10:13], v[4:5], off offset:256
	global_load_dwordx4 v[6:9], v[18:19], off
	s_nop 0
	global_load_dwordx4 v[2:5], v[18:19], off offset:256
	s_load_dwordx8 s[4:11], s[0:1], 0x0
	s_load_dwordx2 s[28:29], s[0:1], 0x80
	s_load_dword s50, s[26:27], 0x0
	v_or_b32_e32 v65, 64, v64
	s_cmp_lt_i32 s48, 64
	s_mul_i32 s33, s24, s21
	s_mul_hi_u32 s41, s24, s20
	s_mul_i32 s42, s25, s20
	s_mul_i32 s34, s24, s20
	;; [unrolled: 1-line block ×3, first 2 shown]
	s_mul_hi_u32 s43, s45, s22
	s_mul_i32 s44, s47, s22
	s_mul_i32 s36, s45, s22
	s_cbranch_scc1 .LBB420_3
; %bb.1:
	s_ashr_i32 s1, s30, 31
	s_add_u32 s0, s52, s30
	s_addc_u32 s1, s51, s1
	s_lshl_b64 s[0:1], s[0:1], 8
	v_and_b32_e32 v67, 56, v62
	s_waitcnt lgkmcnt(0)
	s_add_u32 s20, s6, s0
	v_lshl_or_b32 v66, v59, 3, v63
	v_lshlrev_b32_e32 v18, 1, v67
	s_addc_u32 s0, s7, s1
	v_lshl_or_b32 v68, v66, 8, v18
	s_and_b32 s21, s0, 0xffff
	s_mov_b32 s23, 0x20000
	s_movk_i32 s22, 0x4000
	s_movk_i32 s0, 0x80
	v_or_b32_e32 v69, 0x2000, v68
	buffer_load_dwordx4 v[20:23], v68, s[20:23], 0 offen
	buffer_load_dwordx4 v[24:27], v68, s[20:23], s0 offen
	buffer_load_dwordx4 v[28:31], v69, s[20:23], 0 offen
	buffer_load_dwordx4 v[32:35], v69, s[20:23], s0 offen
	v_lshlrev_b32_e32 v19, 3, v66
	v_and_or_b32 v37, v0, 7, v19
	v_and_b32_e32 v19, 0x78, v19
	v_lshlrev_b32_e32 v37, 4, v37
	v_xor_b32_e32 v70, v37, v19
	v_mul_lo_u32 v36, v66, s15
	v_or_b32_e32 v71, 0x1000, v70
	v_xor_b32_e32 v19, 8, v70
	s_cmpk_eq_i32 s15, 0x80
	s_mov_b32 s53, s30
	v_xor_b32_e32 v37, 8, v71
	s_cselect_b64 s[0:1], -1, 0
	s_cmpk_lg_i32 s15, 0x80
	s_waitcnt vmcnt(3)
	ds_write_b64 v70, v[20:21] offset:24576
	ds_write_b64 v19, v[22:23] offset:24576
	s_waitcnt vmcnt(2)
	ds_write_b64 v70, v[24:25] offset:32768
	ds_write_b64 v19, v[26:27] offset:32768
	s_waitcnt vmcnt(1)
	ds_write_b64 v70, v[28:29] offset:28672
	ds_write_b64 v37, v[30:31] offset:24576
	s_waitcnt vmcnt(0)
	ds_write_b64 v70, v[32:33] offset:36864
	ds_write_b64 v37, v[34:35] offset:32768
	v_lshl_add_u32 v19, v36, 1, v67
	s_cbranch_scc0 .LBB420_29
; %bb.2:
	v_lshlrev_b32_e32 v21, 1, v19
	v_add_lshl_u32 v20, v19, s15, 1
	s_lshl_b32 s22, s15, 7
	v_lshl_or_b32 v18, v66, 9, v18
	s_cbranch_execz .LBB420_30
	s_branch .LBB420_31
.LBB420_3:
	s_waitcnt vmcnt(0)
	v_mov_b32_e32 v19, v5
	v_mov_b32_e32 v18, v9
	;; [unrolled: 1-line block ×4, first 2 shown]
.LBB420_4:
	s_lshl_b32 s26, s46, 6
	s_sub_i32 s27, s48, s26
	s_cmp_gt_i32 s27, 0
	s_cbranch_scc0 .LBB420_84
; %bb.5:
	s_add_i32 s26, s26, s30
	s_ashr_i32 s3, s26, 31
	s_cmpk_lg_i32 s15, 0x80
	s_cselect_b64 s[22:23], -1, 0
	s_and_b64 vcc, exec, s[22:23]
	s_cbranch_vccz .LBB420_7
; %bb.6:
	s_mul_hi_i32 s0, s26, s14
	s_mul_i32 s1, s26, s14
	s_ashr_i32 s14, s49, 31
	s_add_u32 s24, s1, s49
	s_addc_u32 s25, s0, s14
	s_cbranch_execz .LBB420_8
	s_branch .LBB420_9
.LBB420_7:
                                        ; implicit-def: $sgpr24_sgpr25
.LBB420_8:
	s_mul_i32 s1, s49, s12
	s_mul_hi_i32 s0, s49, s12
	s_add_u32 s24, s1, s26
	s_addc_u32 s25, s0, s3
.LBB420_9:
	s_waitcnt lgkmcnt(0)
	s_add_i32 s12, s46, s50
	s_add_u32 s0, s52, s26
	s_addc_u32 s1, s51, s3
	v_lshlrev_b32_e32 v21, 5, v64
	v_lshlrev_b32_e32 v22, 2, v61
	s_mov_b32 s3, 0x7060302
	v_xor_b32_e32 v5, v64, v22
	v_xor_b32_e32 v23, v65, v22
	v_perm_b32 v13, v9, v12, s3
	v_or_b32_e32 v9, v21, v22
	s_lshl_b64 s[20:21], s[0:1], 8
	v_perm_b32 v17, v20, v16, s3
	v_perm_b32 v16, v15, v14, s3
	;; [unrolled: 1-line block ×3, first 2 shown]
	v_lshlrev_b32_e32 v9, 1, v9
	v_lshlrev_b32_e32 v10, 1, v5
	;; [unrolled: 1-line block ×4, first 2 shown]
	s_add_u32 s0, s6, s20
	ds_write2st64_b64 v9, v[16:17], v[12:13] offset0:80 offset1:88
	v_or_b32_e32 v9, v10, v5
	v_or_b32_e32 v5, v11, v5
	s_addc_u32 s1, s7, s21
	ds_write_b64 v9, v[16:17]
	ds_write_b64 v5, v[12:13]
	v_perm_b32 v9, v18, v8, s3
	v_perm_b32 v8, v7, v6, s3
	;; [unrolled: 1-line block ×4, first 2 shown]
	s_mul_hi_i32 s3, s12, s13
	s_mul_i32 s12, s12, s13
	s_add_u32 s6, s12, s45
	v_or_b32_e32 v2, 16, v61
	s_addc_u32 s7, s3, s47
	v_lshlrev_b32_e32 v19, 2, v2
	s_ashr_i32 s3, s2, 31
	s_lshl_b64 s[6:7], s[6:7], 15
	v_or_b32_e32 v3, v21, v19
	s_add_u32 s6, s18, s6
	v_lshlrev_b32_e32 v3, 1, v3
	v_lshlrev_b32_e32 v2, 8, v2
	s_addc_u32 s7, s19, s7
	s_lshl_b64 s[2:3], s[2:3], 8
	ds_write2st64_b64 v3, v[8:9], v[4:5] offset0:80 offset1:88
	v_or_b32_e32 v3, v10, v2
	v_or_b32_e32 v2, v11, v2
	s_add_u32 s2, s6, s2
	ds_write_b64 v3, v[8:9]
	ds_write_b64 v2, v[4:5]
	v_lshrrev_b32_e32 v2, 4, v0
	s_addc_u32 s3, s7, s3
	v_lshlrev_b32_e32 v3, 1, v61
	v_lshlrev_b32_e32 v10, 4, v61
	v_mov_b32_e32 v11, 0
	v_or_b32_e32 v4, 1, v3
	v_xor_b32_e32 v3, v2, v3
	v_lshl_add_u64 v[12:13], s[2:3], 0, v[10:11]
	v_lshlrev_b32_e32 v10, 8, v2
	v_xor_b32_e32 v6, v4, v2
	v_lshl_or_b32 v2, v3, 3, v10
	s_waitcnt lgkmcnt(0)
	s_barrier
	ds_read2st64_b64 v[2:5], v2 offset1:8
	v_lshl_or_b32 v6, v6, 3, v10
	ds_read2st64_b64 v[6:9], v6 offset1:8
	v_lshl_add_u64 v[14:15], v[12:13], 0, v[10:11]
	s_movk_i32 s2, 0x1000
	s_waitcnt lgkmcnt(1)
	v_mov_b32_e32 v10, v2
	v_add_co_u32_e32 v2, vcc, s2, v14
	s_cmp_lg_u32 s27, 64
	v_mov_b32_e32 v11, v3
	v_addc_co_u32_e32 v3, vcc, 0, v15, vcc
	s_cselect_b64 s[6:7], -1, 0
	v_lshl_or_b32 v23, v59, 3, v63
	s_waitcnt lgkmcnt(0)
	v_mov_b32_e32 v12, v6
	v_mov_b32_e32 v13, v7
	;; [unrolled: 1-line block ×4, first 2 shown]
	s_mov_b32 s16, 0
	v_or_b32_e32 v20, 32, v23
	v_and_b32_e32 v18, 56, v62
	s_and_b64 vcc, exec, s[6:7]
	global_store_dwordx4 v[14:15], v[10:13], off
	global_store_dwordx4 v[2:3], v[6:9], off
	s_cbranch_vccz .LBB420_15
; %bb.10:
	s_mov_b32 s17, s16
	s_mov_b32 s18, s16
	;; [unrolled: 1-line block ×3, first 2 shown]
	v_mov_b64_e32 v[6:7], s[16:17]
	v_mov_b64_e32 v[8:9], s[18:19]
	;; [unrolled: 1-line block ×3, first 2 shown]
	v_cmp_gt_i32_e32 vcc, s27, v23
	v_mov_b64_e32 v[4:5], v[8:9]
	s_and_saveexec_b64 s[2:3], vcc
	s_cbranch_execz .LBB420_12
; %bb.11:
	v_lshlrev_b32_e32 v2, 8, v23
	v_mov_b32_e32 v3, 0
	v_lshl_add_u64 v[4:5], s[0:1], 0, v[2:3]
	v_lshlrev_b32_e32 v2, 1, v18
	v_lshl_add_u64 v[10:11], v[4:5], 0, v[2:3]
	global_load_dwordx4 v[6:9], v[10:11], off
	global_load_dwordx4 v[2:5], v[10:11], off offset:128
.LBB420_12:
	s_or_b64 exec, exec, s[2:3]
	s_mov_b32 s17, s16
	s_mov_b32 s18, s16
	;; [unrolled: 1-line block ×3, first 2 shown]
	v_mov_b64_e32 v[14:15], s[16:17]
	v_mov_b64_e32 v[16:17], s[18:19]
	;; [unrolled: 1-line block ×3, first 2 shown]
	v_cmp_gt_i32_e32 vcc, s27, v20
	v_lshlrev_b32_e32 v21, 7, v20
	v_mov_b64_e32 v[12:13], v[16:17]
	s_and_saveexec_b64 s[2:3], vcc
	s_cbranch_execz .LBB420_14
; %bb.13:
	v_lshlrev_b32_e32 v10, 1, v21
	v_mov_b32_e32 v11, 0
	v_lshl_add_u64 v[12:13], s[0:1], 0, v[10:11]
	v_lshlrev_b32_e32 v10, 1, v18
	v_lshl_add_u64 v[24:25], v[12:13], 0, v[10:11]
	global_load_dwordx4 v[14:17], v[24:25], off
	global_load_dwordx4 v[10:13], v[24:25], off offset:128
.LBB420_14:
	s_or_b64 exec, exec, s[2:3]
	v_lshrrev_b32_e32 v24, 3, v18
	v_lshlrev_b32_e32 v25, 3, v23
	v_or_b32_e32 v24, v25, v24
	v_lshlrev_b32_e32 v24, 4, v24
	v_and_b32_e32 v25, 0x78, v25
	v_xor_b32_e32 v24, v24, v25
	s_branch .LBB420_17
.LBB420_15:
                                        ; implicit-def: $vgpr24
                                        ; implicit-def: $vgpr21
                                        ; implicit-def: $vgpr6_vgpr7_vgpr8_vgpr9
                                        ; implicit-def: $vgpr2_vgpr3_vgpr4_vgpr5
                                        ; implicit-def: $vgpr14_vgpr15_vgpr16_vgpr17
                                        ; implicit-def: $vgpr10_vgpr11_vgpr12_vgpr13
	s_cbranch_execz .LBB420_17
; %bb.16:
	s_waitcnt vmcnt(0)
	v_lshlrev_b32_e32 v2, 1, v18
	v_lshl_or_b32 v21, v23, 8, v2
	s_and_b32 s1, s1, 0xffff
	s_mov_b32 s3, 0x20000
	s_movk_i32 s2, 0x4000
	v_lshl_or_b32 v24, v20, 8, v2
	s_movk_i32 s12, 0x80
	buffer_load_dwordx4 v[6:9], v21, s[0:3], 0 offen
	buffer_load_dwordx4 v[2:5], v21, s[0:3], s12 offen
	;; [unrolled: 1-line block ×4, first 2 shown]
	v_lshrrev_b32_e32 v21, 3, v18
	v_lshlrev_b32_e32 v24, 3, v23
	v_or_b32_e32 v21, v24, v21
	v_lshlrev_b32_e32 v21, 4, v21
	v_and_b32_e32 v24, 0x78, v24
	v_xor_b32_e32 v24, v21, v24
	v_lshlrev_b32_e32 v21, 7, v20
.LBB420_17:
	s_lshl_b64 s[0:1], s[24:25], 8
	s_add_u32 s4, s4, s0
	s_movk_i32 s0, 0x1000
	v_and_or_b32 v20, v21, s0, v24
	s_waitcnt vmcnt(1)
	ds_write_b64 v24, v[6:7] offset:24576
	v_xor_b32_e32 v6, 8, v24
	ds_write_b64 v6, v[8:9] offset:24576
	s_waitcnt vmcnt(0)
	ds_write_b64 v24, v[2:3] offset:32768
	ds_write_b64 v6, v[4:5] offset:32768
	ds_write_b64 v20, v[14:15] offset:24576
	v_xor_b32_e32 v2, 8, v20
	ds_write_b64 v2, v[16:17] offset:24576
	ds_write_b64 v20, v[10:11] offset:32768
	ds_write_b64 v2, v[12:13] offset:32768
	v_or_b32_e32 v2, v1, v61
	v_lshlrev_b32_e32 v3, 11, v59
	v_lshlrev_b32_e32 v2, 3, v2
	v_and_b32_e32 v6, 0x1000, v3
	v_lshrrev_b32_e32 v3, 5, v58
	s_movk_i32 s3, 0xf8
	v_and_or_b32 v3, v2, s3, v3
	v_lshlrev_b32_e32 v7, 4, v3
	v_and_b32_e32 v8, 0x78, v2
	v_or_b32_e32 v10, 32, v7
	v_lshrrev_b32_e32 v3, 1, v58
	v_xor_b32_e32 v10, v10, v8
	v_xor_b32_e32 v2, v7, v8
	v_and_b32_e32 v9, 8, v3
	v_or_b32_e32 v10, v10, v6
	v_or_b32_e32 v2, v2, v6
	v_xor_b32_e32 v26, v10, v9
	v_or_b32_e32 v10, 64, v7
	v_xor_b32_e32 v25, v2, v9
	v_xor_b32_e32 v10, v10, v8
	s_waitcnt lgkmcnt(0)
	s_barrier
	v_or_b32_e32 v12, v10, v6
	ds_read_b64 v[10:11], v25 offset:24576
	v_lshl_or_b32 v20, v60, 7, v22
	v_lshlrev_b32_e32 v24, 1, v20
	v_add_u32_e32 v2, 0xa000, v24
	ds_read2_b64 v[2:5], v2 offset1:16
	v_or_b32_e32 v7, 0x60, v7
	v_xor_b32_e32 v7, v7, v8
	s_waitcnt lgkmcnt(0)
	v_mfma_f32_16x16x16_bf16 a[0:3], v[10:11], v[2:3], 0
	v_or_b32_e32 v2, 64, v20
	v_or_b32_e32 v6, v7, v6
	v_lshlrev_b32_e32 v29, 1, v2
	v_xor_b32_e32 v27, v12, v9
	v_xor_b32_e32 v28, v6, v9
	ds_read_b64 v[12:13], v26 offset:24576
	ds_read_b64 v[14:15], v27 offset:24576
	;; [unrolled: 1-line block ×3, first 2 shown]
	v_mfma_f32_16x16x16_bf16 a[4:7], v[10:11], v[4:5], 0
	ds_read2st64_b64 v[2:5], v29 offset0:82 offset1:84
	ds_read2st64_b64 v[6:9], v24 offset0:82 offset1:84
	s_addc_u32 s5, s5, s1
	s_add_i32 s1, s41, s33
	s_add_i32 s0, s31, -1
	s_add_i32 s35, s1, s42
	s_add_i32 s1, s43, s40
	;; [unrolled: 1-line block ×3, first 2 shown]
	s_ashr_i32 s1, s0, 31
	s_mul_i32 s2, s0, s29
	s_mul_hi_u32 s3, s0, s28
	s_add_i32 s2, s3, s2
	s_mul_i32 s1, s1, s28
	s_waitcnt lgkmcnt(1)
	v_mfma_f32_16x16x16_bf16 a[4:7], v[12:13], v[2:3], a[4:7]
	s_add_i32 s1, s2, s1
	s_lshl_b64 s[2:3], s[34:35], 2
	s_add_u32 s10, s10, s2
	s_waitcnt lgkmcnt(0)
	v_mfma_f32_16x16x16_bf16 a[0:3], v[12:13], v[6:7], a[0:3]
	s_addc_u32 s11, s11, s3
	s_lshl_b64 s[2:3], s[36:37], 2
	s_mul_i32 s0, s0, s28
	s_add_u32 s10, s10, s2
	ds_read_b64 v[2:3], v24 offset:44032
	v_mfma_f32_16x16x16_bf16 a[4:7], v[14:15], v[4:5], a[4:7]
	ds_read_b64 v[4:5], v29 offset:44032
	s_addc_u32 s11, s11, s3
	s_lshl_b64 s[0:1], s[0:1], 2
	v_mfma_f32_16x16x16_bf16 a[0:3], v[14:15], v[8:9], a[0:3]
	s_add_u32 s0, s10, s0
	s_addc_u32 s1, s11, s1
	s_load_dword s12, s[0:1], 0x0
	s_waitcnt lgkmcnt(0)
	v_mfma_f32_16x16x16_bf16 a[0:3], v[16:17], v[2:3], a[0:3]
	s_and_b64 vcc, exec, s[22:23]
	v_mfma_f32_16x16x16_bf16 a[4:7], v[16:17], v[4:5], a[4:7]
	s_cbranch_vccz .LBB420_28
; %bb.18:
	v_lshlrev_b32_e32 v20, 1, v23
	s_and_b64 vcc, exec, s[6:7]
	s_cbranch_vccz .LBB420_44
; %bb.19:
	v_cmp_gt_i32_e32 vcc, s27, v20
	v_mov_b32_e32 v6, 0
	v_mov_b32_e32 v2, 0
	;; [unrolled: 1-line block ×5, first 2 shown]
	s_and_saveexec_b64 s[0:1], vcc
	s_cbranch_execz .LBB420_21
; %bb.20:
	v_mad_i64_i32 v[2:3], s[2:3], s15, v20, 0
	v_lshl_add_u64 v[2:3], v[2:3], 1, s[4:5]
	v_lshlrev_b32_e32 v4, 1, v18
	v_mov_b32_e32 v5, 0
	v_lshl_add_u64 v[2:3], v[2:3], 0, v[4:5]
	global_load_dwordx4 v[2:5], v[2:3], off
.LBB420_21:
	s_or_b64 exec, exec, s[0:1]
	v_or_b32_e32 v21, 1, v20
	v_cmp_gt_i32_e64 s[0:1], s27, v21
	v_mov_b32_e32 v7, 0
	v_mov_b32_e32 v8, 0
	;; [unrolled: 1-line block ×3, first 2 shown]
	s_and_saveexec_b64 s[2:3], s[0:1]
	s_cbranch_execz .LBB420_23
; %bb.22:
	v_mad_i64_i32 v[6:7], s[16:17], s15, v21, 0
	v_lshl_add_u64 v[6:7], v[6:7], 1, s[4:5]
	v_lshlrev_b32_e32 v8, 1, v18
	v_mov_b32_e32 v9, 0
	v_lshl_add_u64 v[6:7], v[6:7], 0, v[8:9]
	global_load_dwordx4 v[6:9], v[6:7], off
.LBB420_23:
	s_or_b64 exec, exec, s[2:3]
	v_mov_b32_e32 v17, 0
	v_mov_b32_e32 v10, 0
	;; [unrolled: 1-line block ×5, first 2 shown]
	s_and_saveexec_b64 s[2:3], vcc
	s_cbranch_execz .LBB420_25
; %bb.24:
	v_mad_i64_i32 v[10:11], s[16:17], s15, v20, 0
	v_lshl_add_u64 v[10:11], v[10:11], 1, s[4:5]
	v_lshlrev_b32_e32 v12, 1, v18
	v_mov_b32_e32 v13, 0
	v_lshl_add_u64 v[10:11], v[10:11], 0, v[12:13]
	global_load_dwordx4 v[10:13], v[10:11], off offset:128
.LBB420_25:
	s_or_b64 exec, exec, s[2:3]
	v_mov_b32_e32 v16, 0
	v_mov_b32_e32 v15, 0
	;; [unrolled: 1-line block ×3, first 2 shown]
	s_and_saveexec_b64 s[2:3], s[0:1]
	s_cbranch_execz .LBB420_27
; %bb.26:
	v_mad_i64_i32 v[14:15], s[0:1], s15, v21, 0
	v_lshl_add_u64 v[14:15], v[14:15], 1, s[4:5]
	v_lshlrev_b32_e32 v16, 1, v18
	v_mov_b32_e32 v17, 0
	v_lshl_add_u64 v[14:15], v[14:15], 0, v[16:17]
	global_load_dwordx4 v[14:17], v[14:15], off offset:128
.LBB420_27:
	s_or_b64 exec, exec, s[2:3]
	s_branch .LBB420_46
.LBB420_28:
                                        ; implicit-def: $vgpr5
                                        ; implicit-def: $vgpr9
                                        ; implicit-def: $vgpr13
                                        ; implicit-def: $vgpr17
	v_lshrrev_b32_e32 v30, 2, v58
	s_branch .LBB420_47
.LBB420_29:
                                        ; implicit-def: $vgpr20
                                        ; implicit-def: $vgpr21
                                        ; implicit-def: $sgpr22
	v_lshl_or_b32 v18, v66, 9, v18
.LBB420_30:
	v_or_b32_e32 v20, 0x100, v18
	s_movk_i32 s22, 0x4000
	v_mov_b32_e32 v21, v18
.LBB420_31:
	s_mul_i32 s16, s30, s14
	s_ashr_i32 s54, s49, 31
	s_mul_hi_i32 s3, s30, s14
	s_add_u32 s16, s16, s49
	s_addc_u32 s17, s3, s54
	s_lshl_b64 s[16:17], s[16:17], 8
	s_add_u32 s20, s4, s16
	s_addc_u32 s3, s5, s17
	s_and_b32 s21, s3, 0xffff
	s_movk_i32 s55, 0x80
	buffer_load_dwordx4 v[22:25], v21, s[20:23], 0 offen
	buffer_load_dwordx4 v[26:29], v21, s[20:23], s55 offen
	buffer_load_dwordx4 v[30:33], v20, s[20:23], 0 offen
	buffer_load_dwordx4 v[34:37], v20, s[20:23], s55 offen
	v_and_b32_e32 v20, 6, v0
	v_lshlrev_b32_e32 v39, 6, v64
	v_or_b32_e32 v41, 16, v61
	v_xor_b32_e32 v42, v66, v20
	v_and_b32_e32 v21, 1, v0
	v_lshl_or_b32 v45, v61, 3, v39
	v_lshl_or_b32 v39, v41, 3, v39
	v_lshlrev_b32_e32 v42, 2, v42
	v_lshlrev_b32_e32 v38, 2, v61
	v_or_b32_e32 v74, 0xa000, v39
	v_or_b32_e32 v75, 0xb000, v39
	v_xor_b32_e32 v39, 0x440, v42
	v_cmp_eq_u32_e32 vcc, 0, v21
	s_add_i32 s3, s41, s33
	v_xor_b32_e32 v43, v64, v38
	v_xor_b32_e32 v44, v65, v38
	v_cndmask_b32_e32 v21, v39, v42, vcc
	s_add_i32 s16, s43, s40
	s_add_i32 s35, s3, s42
	s_mov_b32 s56, 0x1000504
	v_lshlrev_b32_e32 v40, 8, v61
	v_lshlrev_b32_e32 v41, 8, v41
	;; [unrolled: 1-line block ×4, first 2 shown]
	v_lshl_or_b32 v20, v20, 10, v21
	s_add_i32 s37, s16, s44
	s_lshl_b64 s[16:17], s[34:35], 2
	s_mov_b32 s57, 0x3020706
	v_or_b32_e32 v72, 0xa000, v45
	v_or_b32_e32 v73, 0xb000, v45
	;; [unrolled: 1-line block ×5, first 2 shown]
	v_xor_b32_e32 v21, 8, v20
	v_xor_b32_e32 v40, 24, v20
	;; [unrolled: 1-line block ×4, first 2 shown]
	s_add_u32 s3, s10, s16
	v_or_b32_e32 v78, v41, v43
	v_xor_b32_e32 v39, 16, v20
	v_xor_b32_e32 v41, 32, v20
	;; [unrolled: 1-line block ×3, first 2 shown]
	v_add_u32_e32 v21, 0x80, v21
	v_add_u32_e32 v40, 0x80, v40
	;; [unrolled: 1-line block ×4, first 2 shown]
	s_addc_u32 s20, s11, s17
	s_lshl_b64 s[16:17], s[36:37], 2
	s_add_u32 s16, s3, s16
	s_movk_i32 s3, 0xf8
	s_addc_u32 s17, s20, s17
	s_lshl_b32 s26, s15, 7
	s_movk_i32 s24, 0x100
	v_mov_b32_e32 v53, 0
	v_lshlrev_b32_e32 v52, 4, v61
	v_cmp_gt_u32_e32 vcc, s24, v0
	v_ashrrev_i32_e32 v51, 31, v50
	s_mov_b32 s58, 0
	s_movk_i32 s35, 0x1000
	s_movk_i32 s22, 0x4000
	v_lshl_add_u64 v[54:55], v[50:51], 1, s[8:9]
	s_waitcnt vmcnt(1)
	v_perm_b32 v45, v22, v30, s56
	s_waitcnt vmcnt(0)
	v_perm_b32 v46, v26, v34, s56
	v_perm_b32 v22, v22, v30, s57
	;; [unrolled: 1-line block ×15, first 2 shown]
	ds_write2st64_b32 v20, v45, v46 offset0:32 offset1:64
	ds_write2st64_b32 v21, v22, v26 offset0:32 offset1:64
	;; [unrolled: 1-line block ×8, first 2 shown]
	v_or_b32_e32 v20, v1, v61
	v_lshlrev_b32_e32 v20, 3, v20
	v_lshrrev_b32_e32 v23, 5, v58
	v_and_or_b32 v23, v20, s3, v23
	v_lshlrev_b32_e32 v23, 4, v23
	v_lshlrev_b32_e32 v21, 11, v59
	v_and_b32_e32 v20, 0x78, v20
	v_or_b32_e32 v28, 32, v23
	v_and_b32_e32 v22, 0x1000, v21
	v_lshrrev_b32_e32 v25, 1, v0
	v_xor_b32_e32 v28, v28, v20
	v_and_b32_e32 v26, 8, v25
	v_or_b32_e32 v28, v28, v22
	v_xor_b32_e32 v24, v23, v20
	v_xor_b32_e32 v82, v28, v26
	v_or_b32_e32 v28, 64, v23
	v_or_b32_e32 v23, 0x60, v23
	s_ashr_i32 s3, s2, 31
	v_xor_b32_e32 v28, v28, v20
	v_xor_b32_e32 v20, v23, v20
	s_lshl_b64 s[20:21], s[2:3], 8
	v_or_b32_e32 v24, v24, v22
	v_or_b32_e32 v28, v28, v22
	v_or_b32_e32 v20, v20, v22
	s_add_u32 s20, s18, s20
	v_lshlrev_b32_e32 v22, 1, v61
	v_xor_b32_e32 v84, v28, v26
	v_lshrrev_b32_e32 v28, 4, v0
	s_addc_u32 s21, s19, s21
	v_or_b32_e32 v23, 1, v22
	v_mov_b32_e32 v32, 0x4000
	v_mov_b32_e32 v33, 0x2000
	v_xor_b32_e32 v29, v28, v22
	v_xor_b32_e32 v30, v23, v28
	v_lshl_add_u64 v[22:23], s[20:21], 0, v[52:53]
	v_lshlrev_b32_e32 v52, 8, v28
	v_cndmask_b32_e32 v32, v32, v33, vcc
	v_lshlrev_b32_e32 v33, 3, v59
	v_and_b32_e32 v25, 24, v25
	v_lshl_or_b32 v88, v29, 3, v52
	v_and_b32_e32 v29, 8, v0
	v_xor_b32_e32 v34, v33, v25
	v_or_b32_e32 v35, 0x440, v34
	v_cmp_eq_u32_e32 vcc, 0, v29
	v_and_b32_e32 v28, 7, v0
	v_xor_b32_e32 v80, v24, v26
	v_cndmask_b32_e32 v29, v35, v34, vcc
	v_lshlrev_b32_e32 v24, 7, v60
	v_lshl_or_b32 v89, v30, 3, v52
	v_lshlrev_b32_e32 v30, 3, v28
	v_lshlrev_b32_e32 v28, 7, v28
	;; [unrolled: 1-line block ×3, first 2 shown]
	v_or_b32_e32 v29, v29, v21
	v_or_b32_e32 v27, v24, v38
	v_xad_u32 v90, v29, v30, v28
	v_and_or_b32 v24, v31, 60, v24
	v_mov_b32_e32 v29, 0xb000
	v_lshl_or_b32 v91, v24, 1, v29
	v_or_b32_e32 v24, 32, v25
	v_xor_b32_e32 v24, v33, v24
	v_or_b32_e32 v29, 0x440, v24
	v_cndmask_b32_e32 v24, v29, v24, vcc
	v_or_b32_e32 v24, v24, v21
	v_xad_u32 v92, v24, v30, v28
	v_or_b32_e32 v24, 64, v25
	v_xor_b32_e32 v24, v33, v24
	v_xor_b32_e32 v29, 0x440, v24
	v_cndmask_b32_e32 v24, v29, v24, vcc
	v_or_b32_e32 v24, v24, v21
	v_xad_u32 v93, v24, v30, v28
	v_or_b32_e32 v24, 0x60, v25
	v_xor_b32_e32 v24, v33, v24
	v_xor_b32_e32 v25, 0x440, v24
	v_cndmask_b32_e32 v24, v25, v24, vcc
	v_lshlrev_b32_e32 v27, 1, v27
	v_or_b32_e32 v21, v24, v21
	v_or_b32_e32 v81, 0xa000, v27
	;; [unrolled: 1-line block ×3, first 2 shown]
	v_xor_b32_e32 v85, v20, v26
	v_or_b32_e32 v86, 0xb000, v27
	v_or_b32_e32 v87, 0xb080, v27
	v_lshlrev_b32_e32 v20, 7, v64
	v_lshlrev_b32_e32 v26, 1, v19
	v_add_lshl_u32 v19, v19, s15, 1
	v_or_b32_e32 v27, 0x100, v18
	v_xad_u32 v94, v21, v30, v28
	v_cndmask_b32_e64 v95, v26, v18, s[0:1]
	v_cndmask_b32_e64 v96, v19, v27, s[0:1]
	v_lshl_add_u64 v[56:57], v[22:23], 0, v[52:53]
	s_mov_b32 s3, 0x7060302
	v_lshlrev_b32_e32 v52, 1, v20
	v_add_u32_e32 v51, v32, v90
	v_add_u32_e32 v97, v32, v92
	v_add_u32_e32 v98, v32, v93
	v_add_u32_e32 v99, v32, v94
	s_waitcnt lgkmcnt(0)
	s_barrier
.LBB420_32:                             ; =>This Inner Loop Header: Depth=1
	s_add_i32 s37, s58, 1
	s_cmp_lt_i32 s37, s46
	s_mov_b64 s[24:25], 0
	s_cselect_b64 s[38:39], -1, 0
	s_cmp_ge_i32 s37, s46
	s_mov_b64 s[20:21], 0
	s_cbranch_scc1 .LBB420_34
; %bb.33:                               ;   in Loop: Header=BB420_32 Depth=1
	s_add_i32 s0, s53, 64
	s_ashr_i32 s1, s0, 31
	s_add_u32 s0, s52, s0
	s_addc_u32 s1, s51, s1
	s_lshl_b64 s[0:1], s[0:1], 8
	s_add_u32 s20, s6, s0
	s_addc_u32 s21, s7, s1
.LBB420_34:                             ;   in Loop: Header=BB420_32 Depth=1
	v_cndmask_b32_e64 v18, 0, 1, s[38:39]
	v_cmp_ne_u32_e64 s[0:1], 1, v18
	s_andn2_b64 vcc, exec, s[38:39]
	s_cbranch_vccnz .LBB420_36
; %bb.35:                               ;   in Loop: Header=BB420_32 Depth=1
	s_add_i32 s24, s53, 64
	s_mul_hi_i32 s25, s24, s14
	s_mul_i32 s24, s24, s14
	s_add_u32 s24, s24, s49
	s_addc_u32 s25, s25, s54
	s_lshl_b64 s[24:25], s[24:25], 8
	s_add_u32 s24, s4, s24
	s_addc_u32 s25, s5, s25
.LBB420_36:                             ;   in Loop: Header=BB420_32 Depth=1
	v_perm_b32 v19, v17, v16, s3
	v_perm_b32 v18, v15, v14, s3
	;; [unrolled: 1-line block ×4, first 2 shown]
	ds_write_b64 v72, v[18:19]
	ds_write_b64 v73, v[20:21]
	ds_write_b64 v76, v[18:19]
	ds_write_b64 v77, v[20:21]
	v_perm_b32 v19, v9, v8, s3
	v_perm_b32 v18, v7, v6, s3
	;; [unrolled: 1-line block ×4, first 2 shown]
	ds_write_b64 v74, v[18:19]
	ds_write_b64 v75, v[20:21]
	;; [unrolled: 1-line block ×4, first 2 shown]
	s_waitcnt lgkmcnt(0)
	s_barrier
	ds_read_b64 v[22:23], v80 offset:24576
	ds_read2_b64 v[18:21], v81 offset1:16
	ds_read_b64 v[26:27], v83 offset:3072
	ds_read_b64 v[28:29], v81 offset:3072
	;; [unrolled: 1-line block ×3, first 2 shown]
	s_waitcnt lgkmcnt(3)
	v_mfma_f32_16x16x16_bf16 a[0:3], v[22:23], v[18:19], 0
	s_add_i32 s27, s53, 63
	s_ashr_i32 s38, s27, 31
	s_mul_i32 s39, s27, s29
	v_mfma_f32_16x16x16_bf16 a[4:7], v[22:23], v[20:21], 0
	ds_read2st64_b64 v[18:21], v81 offset0:2 offset1:4
	s_mul_hi_u32 s59, s27, s28
	s_add_i32 s39, s59, s39
	s_waitcnt lgkmcnt(0)
	v_mfma_f32_16x16x16_bf16 a[0:3], v[30:31], v[18:19], a[0:3]
	ds_read2st64_b64 v[22:25], v83 offset0:2 offset1:4
	ds_read_b64 v[18:19], v84 offset:24576
	s_mul_i32 s38, s38, s28
	s_add_i32 s39, s39, s38
	s_waitcnt lgkmcnt(1)
	v_mfma_f32_16x16x16_bf16 a[4:7], v[30:31], v[22:23], a[4:7]
	ds_read_b64 v[22:23], v85 offset:24576
	s_mul_i32 s38, s27, s28
	s_lshl_b64 s[38:39], s[38:39], 2
	s_waitcnt lgkmcnt(1)
	v_mfma_f32_16x16x16_bf16 a[0:3], v[18:19], v[20:21], a[0:3]
	s_add_u32 s38, s16, s38
	s_addc_u32 s39, s17, s39
	s_and_b64 vcc, exec, s[0:1]
	v_mfma_f32_16x16x16_bf16 a[4:7], v[18:19], v[24:25], a[4:7]
	v_mov_b32_e32 v102, 0
	v_mov_b32_e32 v101, 0
	;; [unrolled: 1-line block ×3, first 2 shown]
	s_waitcnt lgkmcnt(0)
	v_mfma_f32_16x16x16_bf16 a[0:3], v[22:23], v[28:29], a[0:3]
	v_mov_b32_e32 v18, 0
	v_mov_b32_e32 v19, 0
	v_mov_b32_e32 v20, 0
	v_mfma_f32_16x16x16_bf16 a[4:7], v[22:23], v[26:27], a[4:7]
	v_mov_b32_e32 v21, 0
	v_mov_b32_e32 v22, 0
	;; [unrolled: 1-line block ×13, first 2 shown]
	s_cbranch_vccnz .LBB420_38
; %bb.37:                               ;   in Loop: Header=BB420_32 Depth=1
	s_and_b32 s21, s21, 0xffff
	buffer_load_dwordx4 v[30:33], v68, s[20:23], 0 offen
	buffer_load_dwordx4 v[26:29], v68, s[20:23], s55 offen
	;; [unrolled: 1-line block ×4, first 2 shown]
	v_mov_b32_e32 v101, v70
	v_mov_b32_e32 v100, v71
.LBB420_38:                             ;   in Loop: Header=BB420_32 Depth=1
	s_waitcnt vmcnt(4)
	ds_read_b64 v[38:39], v80 offset:32768
	s_waitcnt vmcnt(2)
	ds_read2_b64 v[34:37], v86 offset1:16
	ds_read_b64 v[42:43], v82 offset:32768
	ds_read_b64 v[44:45], v84 offset:32768
	;; [unrolled: 1-line block ×3, first 2 shown]
	v_add_u32_e32 v103, s53, v64
	s_waitcnt lgkmcnt(3)
	v_mfma_f32_16x16x16_bf16 a[0:3], v[38:39], v[34:35], a[0:3]
	v_mfma_f32_16x16x16_bf16 a[4:7], v[38:39], v[36:37], a[4:7]
	ds_read2st64_b64 v[34:37], v86 offset0:2 offset1:4
	ds_read2st64_b64 v[38:41], v87 offset0:2 offset1:4
	s_waitcnt lgkmcnt(1)
	v_mfma_f32_16x16x16_bf16 a[0:3], v[42:43], v[34:35], a[0:3]
	ds_read_b64 v[34:35], v86 offset:3072
	ds_read_b64 v[48:49], v87 offset:3072
	s_waitcnt lgkmcnt(2)
	v_mfma_f32_16x16x16_bf16 a[4:7], v[42:43], v[38:39], a[4:7]
	v_ashrrev_i32_e32 v38, 31, v103
	v_mul_lo_u32 v39, v103, s29
	v_mul_lo_u32 v38, v38, s28
	v_mfma_f32_16x16x16_bf16 a[0:3], v[44:45], v[36:37], a[0:3]
	v_mad_u64_u32 v[36:37], s[20:21], v103, s28, 0
	v_add3_u32 v37, v37, v39, v38
	v_add_u32_e32 v38, 1, v103
	v_ashrrev_i32_e32 v39, 31, v38
	v_mfma_f32_16x16x16_bf16 a[4:7], v[44:45], v[40:41], a[4:7]
	v_mul_lo_u32 v39, v39, s28
	v_mul_lo_u32 v40, v38, s29
	v_lshl_add_u64 v[36:37], v[36:37], 2, s[16:17]
	s_waitcnt lgkmcnt(1)
	v_mfma_f32_16x16x16_bf16 a[0:3], v[46:47], v[34:35], a[0:3]
	v_mad_u64_u32 v[34:35], s[20:21], v38, s28, 0
	v_add_u32_e32 v38, 2, v103
	v_add3_u32 v35, v35, v40, v39
	v_ashrrev_i32_e32 v39, 31, v38
	v_mul_lo_u32 v40, v39, s28
	v_mul_lo_u32 v41, v38, s29
	v_mad_u64_u32 v[38:39], s[20:21], v38, s28, 0
	v_add3_u32 v39, v39, v41, v40
	v_add_u32_e32 v40, 3, v103
	v_ashrrev_i32_e32 v41, 31, v40
	v_mul_lo_u32 v42, v41, s28
	v_mul_lo_u32 v43, v40, s29
	v_mad_u64_u32 v[40:41], s[20:21], v40, s28, 0
	v_add3_u32 v41, v41, v43, v42
	v_lshl_add_u64 v[40:41], v[40:41], 2, s[16:17]
	s_ashr_i32 s21, s53, 31
	v_lshl_add_u64 v[34:35], v[34:35], 2, s[16:17]
	v_lshl_add_u64 v[38:39], v[38:39], 2, s[16:17]
	global_load_dword v42, v[36:37], off
	global_load_dword v43, v[34:35], off
	;; [unrolled: 1-line block ×3, first 2 shown]
	s_nop 0
	global_load_dword v41, v[40:41], off
	s_add_u32 s20, s52, s53
	s_addc_u32 s21, s51, s21
	s_lshl_b64 s[20:21], s[20:21], 8
	v_lshl_add_u64 v[34:35], v[54:55], 0, s[20:21]
	v_lshl_add_u64 v[34:35], v[34:35], 0, v[52:53]
	global_load_ushort v45, v[34:35], off
	global_load_ushort v103, v[34:35], off offset:256
	global_load_ushort v104, v[34:35], off offset:800
	;; [unrolled: 1-line block ×7, first 2 shown]
	s_load_dword s20, s[38:39], 0x0
	s_waitcnt lgkmcnt(0)
	v_mfma_f32_16x16x16_bf16 a[4:7], v[46:47], v[48:49], a[4:7]
	v_accvgpr_read_b32 v39, a1
	v_accvgpr_read_b32 v35, a3
	;; [unrolled: 1-line block ×4, first 2 shown]
	s_and_b64 vcc, exec, s[0:1]
	s_waitcnt vmcnt(11)
	v_sub_f32_e32 v40, s20, v42
	s_waitcnt vmcnt(10)
	v_sub_f32_e32 v48, s20, v43
	;; [unrolled: 2-line block ×4, first 2 shown]
	v_exp_f32_e32 v40, v40
	v_exp_f32_e32 v41, v48
	v_exp_f32_e32 v48, v49
	v_exp_f32_e32 v49, v110
	s_waitcnt vmcnt(6)
	v_lshlrev_b32_e32 v43, 16, v103
	v_lshlrev_b32_e32 v42, 16, v45
	s_waitcnt vmcnt(4)
	v_lshlrev_b32_e32 v45, 16, v105
	s_waitcnt vmcnt(2)
	v_lshlrev_b32_e32 v44, 16, v107
	v_pk_add_f32 v[38:39], v[42:43], v[38:39] neg_lo:[0,1] neg_hi:[0,1]
	v_pk_add_f32 v[34:35], v[44:45], v[34:35] neg_lo:[0,1] neg_hi:[0,1]
	v_pk_mul_f32 v[38:39], v[40:41], v[38:39]
	v_pk_mul_f32 v[34:35], v[48:49], v[34:35]
	s_waitcnt vmcnt(1)
	v_lshlrev_b32_e32 v47, 16, v108
	v_perm_b32 v35, v35, v34, s3
	v_perm_b32 v34, v39, v38, s3
	v_accvgpr_read_b32 v39, a5
	s_waitcnt vmcnt(0)
	v_lshlrev_b32_e32 v46, 16, v109
	v_accvgpr_read_b32 v38, a4
	v_pk_add_f32 v[38:39], v[46:47], v[38:39] neg_lo:[0,1] neg_hi:[0,1]
	v_accvgpr_read_b32 v37, a7
	v_accvgpr_read_b32 v36, a6
	v_pk_mul_f32 v[38:39], v[40:41], v[38:39]
	v_lshlrev_b32_e32 v41, 16, v104
	v_lshlrev_b32_e32 v40, 16, v106
	v_pk_add_f32 v[36:37], v[40:41], v[36:37] neg_lo:[0,1] neg_hi:[0,1]
	v_mov_b32_e32 v103, 0
	v_pk_mul_f32 v[36:37], v[48:49], v[36:37]
	v_mov_b32_e32 v40, 0
	v_perm_b32 v37, v37, v36, s3
	v_perm_b32 v36, v39, v38, s3
	ds_write2_b64 v73, v[34:35], v[36:37] offset1:16
	v_mov_b32_e32 v34, 0
	v_mov_b32_e32 v35, 0
	;; [unrolled: 1-line block ×15, first 2 shown]
	s_cbranch_vccnz .LBB420_40
; %bb.39:                               ;   in Loop: Header=BB420_32 Depth=1
	s_and_b32 s25, s25, 0xffff
	s_mov_b32 s27, s23
	buffer_load_dwordx4 v[46:49], v95, s[24:27], 0 offen
	buffer_load_dwordx4 v[38:41], v95, s[24:27], s55 offen
	;; [unrolled: 1-line block ×4, first 2 shown]
	v_mov_b32_e32 v102, v67
	v_mov_b32_e32 v103, v66
.LBB420_40:                             ;   in Loop: Header=BB420_32 Depth=1
	s_waitcnt lgkmcnt(0)
	s_barrier
	ds_read_b64 v[108:109], v51
	ds_read_b64 v[116:117], v91
	;; [unrolled: 1-line block ×5, first 2 shown]
	ds_read_b64 v[122:123], v92 offset:16384
	ds_read_b64 v[124:125], v90 offset:16384
	ds_read2_b64 v[104:107], v86 offset0:16 offset1:128
	s_waitcnt lgkmcnt(6)
	v_mfma_f32_16x16x16_bf16 a[0:3], v[108:109], v[116:117], 0
	ds_read_b64 v[126:127], v87 offset:3072
	ds_read_b64 v[128:129], v94 offset:16384
	s_add_i32 s21, s50, s58
	s_waitcnt lgkmcnt(2)
	v_mfma_f32_16x16x16_bf16 a[4:7], v[108:109], v[104:105], 0
	ds_read2st64_b64 v[108:111], v87 offset0:2 offset1:4
	s_mul_hi_i32 s25, s21, s13
	s_mul_i32 s21, s21, s13
	v_mfma_f32_16x16x16_bf16 a[0:3], v[112:113], v[106:107], a[0:3]
	s_add_u32 s24, s21, s45
	s_addc_u32 s25, s25, s47
	s_lshl_b64 s[24:25], s[24:25], 15
	s_waitcnt lgkmcnt(0)
	v_mfma_f32_16x16x16_bf16 a[4:7], v[112:113], v[108:109], a[4:7]
	ds_read2st64_b64 v[112:115], v86 offset0:4 offset1:6
	s_waitcnt lgkmcnt(0)
	v_mfma_f32_16x16x16_bf16 a[0:3], v[118:119], v[112:113], a[0:3]
	v_mfma_f32_16x16x16_bf16 a[8:11], v[118:119], v[110:111], a[4:7]
	;; [unrolled: 1-line block ×5, first 2 shown]
	ds_read2st64_b64 v[116:119], v89 offset1:8
	v_mfma_f32_16x16x16_bf16 a[12:15], v[124:125], v[104:105], 0
	ds_read_b64 v[124:125], v93 offset:16384
	v_mfma_f32_16x16x16_bf16 a[8:11], v[122:123], v[106:107], a[8:11]
	ds_read2st64_b64 v[104:107], v88 offset1:8
	s_waitcnt lgkmcnt(0)
	v_mov_b32_e32 v120, v104
	v_mfma_f32_16x16x16_bf16 a[12:15], v[122:123], v[108:109], a[12:15]
	v_lshl_add_u64 v[108:109], v[56:57], 0, s[24:25]
	v_add_co_u32_e32 v104, vcc, s35, v108
	v_mfma_f32_16x16x16_bf16 a[8:11], v[124:125], v[112:113], a[8:11]
	v_mov_b32_e32 v121, v105
	v_addc_co_u32_e32 v105, vcc, 0, v109, vcc
	v_mfma_f32_16x16x16_bf16 a[16:19], v[124:125], v[110:111], a[12:15]
	v_mov_b32_e32 v122, v116
	v_mov_b32_e32 v123, v117
	v_mov_b32_e32 v116, v106
	v_mfma_f32_16x16x16_bf16 a[12:15], v[128:129], v[114:115], a[8:11]
	v_mov_b32_e32 v117, v107
	s_and_b64 vcc, exec, s[0:1]
	global_store_dwordx4 v[108:109], v[120:123], off
	v_mfma_f32_16x16x16_bf16 a[8:11], v[128:129], v[126:127], a[16:19]
	global_store_dwordx4 v[104:105], v[116:119], off
	s_cbranch_vccnz .LBB420_42
; %bb.41:                               ;   in Loop: Header=BB420_32 Depth=1
	v_lshrrev_b32_e32 v104, 3, v102
	v_and_b32_e32 v104, 6, v104
	v_xor_b32_e32 v103, v104, v103
	v_lshlrev_b32_e32 v103, 2, v103
	v_and_b32_e32 v102, 8, v102
	v_xor_b32_e32 v105, 0x440, v103
	v_cmp_eq_u32_e32 vcc, 0, v102
	s_barrier
	s_nop 0
	v_cndmask_b32_e32 v102, v105, v103, vcc
	v_lshl_or_b32 v102, v104, 10, v102
	s_waitcnt vmcnt(3)
	v_perm_b32 v103, v46, v42, s56
	s_waitcnt vmcnt(2)
	v_perm_b32 v104, v38, v34, s56
	ds_write2st64_b32 v102, v103, v104 offset0:32 offset1:64
	v_xor_b32_e32 v103, 8, v102
	v_perm_b32 v42, v46, v42, s57
	v_perm_b32 v34, v38, v34, s57
	v_add_u32_e32 v38, 0x80, v103
	ds_write2st64_b32 v38, v42, v34 offset0:32 offset1:64
	v_xor_b32_e32 v34, 16, v102
	v_perm_b32 v38, v47, v43, s56
	v_perm_b32 v42, v39, v35, s56
	ds_write2st64_b32 v34, v38, v42 offset0:33 offset1:65
	v_xor_b32_e32 v34, 24, v102
	v_perm_b32 v38, v47, v43, s57
	v_perm_b32 v35, v39, v35, s57
	v_add_u32_e32 v34, 0x80, v34
	ds_write2st64_b32 v34, v38, v35 offset0:33 offset1:65
	v_xor_b32_e32 v34, 32, v102
	v_perm_b32 v35, v48, v44, s56
	;; [unrolled: 9-line block ×3, first 2 shown]
	v_perm_b32 v36, v41, v37, s56
	ds_write2st64_b32 v34, v35, v36 offset0:35 offset1:67
	v_xor_b32_e32 v34, 56, v102
	v_perm_b32 v35, v49, v45, s57
	v_perm_b32 v36, v41, v37, s57
	v_add_u32_e32 v34, 0x80, v34
	ds_write2st64_b32 v34, v35, v36 offset0:35 offset1:67
	ds_write_b64 v101, v[30:31] offset:24576
	v_xor_b32_e32 v30, 8, v101
	ds_write_b64 v30, v[32:33] offset:24576
	ds_write_b64 v101, v[26:27] offset:32768
	;; [unrolled: 1-line block ×4, first 2 shown]
	v_xor_b32_e32 v22, 8, v100
	ds_write_b64 v22, v[24:25] offset:24576
	ds_write_b64 v100, v[18:19] offset:32768
	;; [unrolled: 1-line block ×3, first 2 shown]
.LBB420_42:                             ;   in Loop: Header=BB420_32 Depth=1
	v_exp_f32_e32 v21, s20
	v_accvgpr_read_b32 v18, a4
	v_accvgpr_read_b32 v20, a7
	;; [unrolled: 1-line block ×3, first 2 shown]
	v_fma_f32 v14, v14, v21, v18
	v_accvgpr_read_b32 v18, a6
	v_fma_f32 v16, v16, v21, v18
	v_accvgpr_read_b32 v18, a3
	v_fmac_f32_e32 v18, v9, v21
	v_accvgpr_read_b32 v9, a12
	v_fma_f32 v10, v10, v21, v9
	v_accvgpr_read_b32 v9, a13
	v_fma_f32 v11, v11, v21, v9
	;; [unrolled: 2-line block ×3, first 2 shown]
	v_accvgpr_read_b32 v9, a15
	v_fmac_f32_e32 v20, v17, v21
	v_accvgpr_read_b32 v17, a0
	v_fmac_f32_e32 v9, v13, v21
	v_accvgpr_read_b32 v13, a8
	v_fma_f32 v6, v6, v21, v17
	v_accvgpr_read_b32 v17, a1
	v_fma_f32 v2, v2, v21, v13
	;; [unrolled: 2-line block ×3, first 2 shown]
	v_fma_f32 v7, v7, v21, v17
	v_accvgpr_read_b32 v17, a2
	v_fma_f32 v3, v3, v21, v13
	v_accvgpr_read_b32 v13, a10
	v_accvgpr_read_b32 v19, a11
	s_add_i32 s53, s53, 64
	v_fma_f32 v8, v8, v21, v17
	v_fma_f32 v4, v4, v21, v13
	s_cmp_eq_u32 s46, s37
	v_fmac_f32_e32 v19, v5, v21
	s_cbranch_scc1 .LBB420_4
; %bb.43:                               ;   in Loop: Header=BB420_32 Depth=1
	s_mov_b32 s58, s37
	v_mov_b32_e32 v17, v20
	v_mov_b32_e32 v13, v9
	;; [unrolled: 1-line block ×4, first 2 shown]
	s_branch .LBB420_32
.LBB420_44:
                                        ; implicit-def: $vgpr5
                                        ; implicit-def: $vgpr9
                                        ; implicit-def: $vgpr13
                                        ; implicit-def: $vgpr17
	s_cbranch_execz .LBB420_46
; %bb.45:
	s_waitcnt vmcnt(0)
	v_mad_u64_u32 v[2:3], s[0:1], v20, s15, v[18:19]
	v_lshlrev_b32_e32 v20, 1, v2
	s_lshl_b32 s2, s15, 7
	s_and_b32 s1, s5, 0xffff
	s_mov_b32 s3, 0x20000
	s_mov_b32 s0, s4
	v_add_lshl_u32 v21, v2, s15, 1
	s_movk_i32 s13, 0x80
	buffer_load_dwordx4 v[2:5], v20, s[0:3], 0 offen
	buffer_load_dwordx4 v[10:13], v20, s[0:3], s13 offen
	buffer_load_dwordx4 v[6:9], v21, s[0:3], 0 offen
	buffer_load_dwordx4 v[14:17], v21, s[0:3], s13 offen
.LBB420_46:
	v_lshrrev_b32_e32 v30, 2, v58
	s_cbranch_execnz .LBB420_59
.LBB420_47:
	s_and_b64 vcc, exec, s[6:7]
	s_cbranch_vccz .LBB420_57
; %bb.48:
	s_waitcnt vmcnt(0)
	v_lshlrev_b32_e32 v7, 1, v23
	v_cmp_gt_i32_e32 vcc, s27, v7
	v_mov_b32_e32 v6, 0
	v_lshlrev_b32_e32 v14, 9, v23
	v_mov_b32_e32 v2, 0
	v_mov_b32_e32 v3, 0
	;; [unrolled: 1-line block ×4, first 2 shown]
	s_and_saveexec_b64 s[0:1], vcc
	s_cbranch_execz .LBB420_50
; %bb.49:
	v_mov_b32_e32 v15, 0
	v_lshl_add_u64 v[2:3], s[4:5], 0, v[14:15]
	v_lshlrev_b32_e32 v4, 1, v18
	v_mov_b32_e32 v5, v15
	v_lshl_add_u64 v[2:3], v[2:3], 0, v[4:5]
	global_load_dwordx4 v[2:5], v[2:3], off
.LBB420_50:
	s_or_b64 exec, exec, s[0:1]
	v_or_b32_e32 v7, 1, v7
	v_cmp_gt_i32_e64 s[0:1], s27, v7
	v_lshlrev_b32_e32 v20, 8, v7
	v_mov_b32_e32 v7, 0
	v_mov_b32_e32 v8, 0
	;; [unrolled: 1-line block ×3, first 2 shown]
	s_and_saveexec_b64 s[2:3], s[0:1]
	s_cbranch_execz .LBB420_52
; %bb.51:
	v_mov_b32_e32 v21, 0
	v_lshl_add_u64 v[6:7], s[4:5], 0, v[20:21]
	v_lshlrev_b32_e32 v8, 1, v18
	v_mov_b32_e32 v9, v21
	v_lshl_add_u64 v[6:7], v[6:7], 0, v[8:9]
	global_load_dwordx4 v[6:9], v[6:7], off
.LBB420_52:
	s_or_b64 exec, exec, s[2:3]
	v_mov_b32_e32 v17, 0
	v_mov_b32_e32 v10, 0
	;; [unrolled: 1-line block ×5, first 2 shown]
	s_and_saveexec_b64 s[2:3], vcc
	s_cbranch_execz .LBB420_54
; %bb.53:
	v_mov_b32_e32 v15, 0
	v_lshl_add_u64 v[10:11], s[4:5], 0, v[14:15]
	v_lshlrev_b32_e32 v14, 1, v18
	v_lshl_add_u64 v[10:11], v[10:11], 0, v[14:15]
	global_load_dwordx4 v[10:13], v[10:11], off offset:128
.LBB420_54:
	s_or_b64 exec, exec, s[2:3]
	v_mov_b32_e32 v16, 0
	v_mov_b32_e32 v15, 0
	;; [unrolled: 1-line block ×3, first 2 shown]
	s_and_saveexec_b64 s[2:3], s[0:1]
	s_cbranch_execz .LBB420_56
; %bb.55:
	v_mov_b32_e32 v21, 0
	v_lshl_add_u64 v[14:15], s[4:5], 0, v[20:21]
	v_lshlrev_b32_e32 v20, 1, v18
	v_lshl_add_u64 v[14:15], v[14:15], 0, v[20:21]
	global_load_dwordx4 v[14:17], v[14:15], off offset:128
.LBB420_56:
	s_or_b64 exec, exec, s[2:3]
	s_branch .LBB420_59
.LBB420_57:
                                        ; implicit-def: $vgpr5
                                        ; implicit-def: $vgpr9
                                        ; implicit-def: $vgpr13
                                        ; implicit-def: $vgpr17
	s_cbranch_execz .LBB420_59
; %bb.58:
	s_waitcnt vmcnt(0)
	v_lshlrev_b32_e32 v2, 1, v18
	v_lshl_or_b32 v18, v23, 9, v2
	s_and_b32 s5, s5, 0xffff
	s_mov_b32 s7, 0x20000
	s_movk_i32 s6, 0x4000
	s_movk_i32 s0, 0x80
	buffer_load_dwordx4 v[2:5], v18, s[4:7], 0 offen
	buffer_load_dwordx4 v[6:9], v18, s[4:7], 0 offen offset:256
	buffer_load_dwordx4 v[10:13], v18, s[4:7], s0 offen
	buffer_load_dwordx4 v[14:17], v18, s[4:7], s0 offen offset:256
.LBB420_59:
	ds_read_b64 v[20:21], v25 offset:32768
	v_add_u32_e32 v18, 0xb000, v24
	ds_read2_b64 v[32:35], v18 offset1:16
	ds_read_b64 v[40:41], v26 offset:32768
	ds_read_b64 v[26:27], v27 offset:32768
	;; [unrolled: 1-line block ×3, first 2 shown]
	v_and_b32_e32 v18, 6, v0
	v_xor_b32_e32 v23, v23, v18
	v_lshlrev_b32_e32 v23, 2, v23
	v_and_b32_e32 v0, 1, v0
	v_xor_b32_e32 v28, 0x440, v23
	v_cmp_eq_u32_e32 vcc, 0, v0
	s_waitcnt lgkmcnt(3)
	v_mfma_f32_16x16x16_bf16 a[0:3], v[20:21], v[32:33], a[0:3]
	s_mov_b32 s0, 0x1000504
	v_cndmask_b32_e32 v0, v28, v23, vcc
	v_lshl_or_b32 v0, v18, 10, v0
	v_mfma_f32_16x16x16_bf16 a[4:7], v[20:21], v[34:35], a[4:7]
	ds_read2st64_b64 v[32:35], v24 offset0:90 offset1:92
	ds_read2st64_b64 v[36:39], v29 offset0:90 offset1:92
	ds_read_b64 v[20:21], v24 offset:48128
	ds_read_b64 v[24:25], v29 offset:48128
	s_waitcnt vmcnt(0)
	v_perm_b32 v18, v2, v6, s0
	s_waitcnt lgkmcnt(3)
	v_mfma_f32_16x16x16_bf16 a[0:3], v[40:41], v[32:33], a[0:3]
	s_mov_b32 s1, 0x3020706
	v_perm_b32 v2, v2, v6, s1
	v_perm_b32 v6, v10, v14, s1
	s_waitcnt lgkmcnt(2)
	v_mfma_f32_16x16x16_bf16 a[4:7], v[40:41], v[36:37], a[4:7]
	v_mfma_f32_16x16x16_bf16 a[0:3], v[26:27], v[34:35], a[0:3]
	;; [unrolled: 1-line block ×3, first 2 shown]
	s_waitcnt lgkmcnt(1)
	v_mfma_f32_16x16x16_bf16 a[4:7], v[42:43], v[20:21], a[0:3]
	v_perm_b32 v20, v10, v14, s0
	ds_write2st64_b32 v0, v18, v20 offset0:32 offset1:64
	v_xor_b32_e32 v18, 8, v0
	v_add_u32_e32 v10, 0x80, v18
	ds_write2st64_b32 v10, v2, v6 offset0:32 offset1:64
	v_xor_b32_e32 v2, 16, v0
	v_perm_b32 v6, v3, v7, s0
	v_perm_b32 v10, v11, v15, s0
	ds_write2st64_b32 v2, v6, v10 offset0:33 offset1:65
	v_xor_b32_e32 v2, 24, v0
	v_perm_b32 v3, v3, v7, s1
	v_perm_b32 v6, v11, v15, s1
	v_add_u32_e32 v2, 0x80, v2
	ds_write2st64_b32 v2, v3, v6 offset0:33 offset1:65
	v_xor_b32_e32 v2, 32, v0
	v_perm_b32 v3, v4, v8, s0
	v_perm_b32 v6, v12, v16, s0
	s_waitcnt lgkmcnt(4)
	v_mfma_f32_16x16x16_bf16 a[0:3], v[42:43], v[24:25], a[8:11]
	ds_write2st64_b32 v2, v3, v6 offset0:34 offset1:66
	v_xor_b32_e32 v2, 40, v0
	v_perm_b32 v3, v4, v8, s1
	v_perm_b32 v4, v12, v16, s1
	v_add_u32_e32 v2, 0x80, v2
	ds_write2st64_b32 v2, v3, v4 offset0:34 offset1:66
	v_xor_b32_e32 v2, 48, v0
	v_perm_b32 v3, v5, v9, s0
	v_perm_b32 v4, v13, v17, s0
	v_xor_b32_e32 v0, 56, v0
	v_and_or_b32 v18, v30, 12, v1
	ds_write2st64_b32 v2, v3, v4 offset0:35 offset1:67
	v_perm_b32 v2, v5, v9, s1
	v_perm_b32 v3, v13, v17, s1
	v_add_u32_e32 v0, 0x80, v0
	v_cmp_gt_i32_e32 vcc, s27, v18
	v_mov_b32_e32 v14, 0
	v_mov_b32_e32 v16, 0
	ds_write2st64_b32 v0, v2, v3 offset0:35 offset1:67
	s_and_saveexec_b64 s[0:1], vcc
	s_cbranch_execz .LBB420_61
; %bb.60:
	v_add_u32_e32 v0, s26, v18
	v_ashrrev_i32_e32 v1, 31, v0
	v_mul_lo_u32 v2, v1, s28
	v_mul_lo_u32 v3, v0, s29
	v_mad_u64_u32 v[0:1], s[2:3], v0, s28, 0
	v_add3_u32 v1, v1, v3, v2
	v_lshl_add_u64 v[0:1], v[0:1], 2, s[10:11]
	global_load_dword v0, v[0:1], off
	s_waitcnt vmcnt(0)
	v_sub_f32_e32 v0, s12, v0
	v_exp_f32_e32 v16, v0
.LBB420_61:
	s_or_b64 exec, exec, s[0:1]
	v_or_b32_e32 v8, 1, v18
	v_cmp_gt_i32_e64 s[0:1], s27, v8
	s_and_saveexec_b64 s[2:3], s[0:1]
	s_cbranch_execz .LBB420_63
; %bb.62:
	v_add_u32_e32 v0, s26, v8
	v_ashrrev_i32_e32 v1, 31, v0
	v_mul_lo_u32 v2, v1, s28
	v_mul_lo_u32 v3, v0, s29
	v_mad_u64_u32 v[0:1], s[4:5], v0, s28, 0
	v_add3_u32 v1, v1, v3, v2
	v_lshl_add_u64 v[0:1], v[0:1], 2, s[10:11]
	global_load_dword v0, v[0:1], off
	s_waitcnt vmcnt(0)
	v_sub_f32_e32 v0, s12, v0
	v_exp_f32_e32 v14, v0
.LBB420_63:
	s_or_b64 exec, exec, s[2:3]
	v_or_b32_e32 v10, 2, v18
	v_cmp_gt_i32_e64 s[2:3], s27, v10
	v_mov_b32_e32 v15, 0
	v_mov_b32_e32 v17, 0
	s_and_saveexec_b64 s[4:5], s[2:3]
	s_cbranch_execz .LBB420_65
; %bb.64:
	v_add_u32_e32 v0, s26, v10
	v_ashrrev_i32_e32 v1, 31, v0
	v_mul_lo_u32 v2, v1, s28
	v_mul_lo_u32 v3, v0, s29
	v_mad_u64_u32 v[0:1], s[6:7], v0, s28, 0
	v_add3_u32 v1, v1, v3, v2
	v_lshl_add_u64 v[0:1], v[0:1], 2, s[10:11]
	global_load_dword v0, v[0:1], off
	s_waitcnt vmcnt(0)
	v_sub_f32_e32 v0, s12, v0
	v_exp_f32_e32 v17, v0
.LBB420_65:
	s_or_b64 exec, exec, s[4:5]
	v_or_b32_e32 v12, 3, v18
	v_cmp_gt_i32_e64 s[4:5], s27, v12
	s_and_saveexec_b64 s[6:7], s[4:5]
	s_cbranch_execz .LBB420_67
; %bb.66:
	v_add_u32_e32 v0, s26, v12
	v_ashrrev_i32_e32 v1, 31, v0
	v_mul_lo_u32 v2, v1, s28
	v_mul_lo_u32 v3, v0, s29
	v_mad_u64_u32 v[0:1], s[14:15], v0, s28, 0
	v_add3_u32 v1, v1, v3, v2
	v_lshl_add_u64 v[0:1], v[0:1], 2, s[10:11]
	global_load_dword v0, v[0:1], off
	s_waitcnt vmcnt(0)
	v_sub_f32_e32 v0, s12, v0
	v_exp_f32_e32 v15, v0
.LBB420_67:
	s_or_b64 exec, exec, s[6:7]
	s_add_u32 s6, s8, s20
	v_accvgpr_read_b32 v0, a4
	s_addc_u32 s7, s9, s21
	v_ashrrev_i32_e32 v51, 31, v50
	v_accvgpr_read_b32 v1, a5
	v_accvgpr_read_b32 v2, a6
	;; [unrolled: 1-line block ×3, first 2 shown]
	v_lshl_add_u64 v[4:5], v[50:51], 1, s[6:7]
	v_mov_b32_e32 v9, 0
	v_lshlrev_b32_e32 v6, 8, v18
	v_mov_b32_e32 v7, 0
	s_and_saveexec_b64 s[6:7], vcc
	s_cbranch_execz .LBB420_69
; %bb.68:
	v_mov_b32_e32 v7, 0
	v_lshl_add_u64 v[20:21], v[4:5], 0, v[6:7]
	global_load_ushort v7, v[20:21], off
	s_waitcnt vmcnt(0)
	v_lshlrev_b32_e32 v7, 16, v7
	v_sub_f32_e32 v0, v7, v0
	v_mul_f32_e32 v0, v16, v0
	v_lshrrev_b32_e32 v7, 16, v0
.LBB420_69:
	s_or_b64 exec, exec, s[6:7]
	v_lshlrev_b32_e32 v8, 8, v8
	s_and_saveexec_b64 s[6:7], s[0:1]
	s_cbranch_execz .LBB420_71
; %bb.70:
	v_mov_b32_e32 v9, 0
	v_lshl_add_u64 v[20:21], v[4:5], 0, v[8:9]
	global_load_ushort v0, v[20:21], off
	s_waitcnt vmcnt(0)
	v_lshlrev_b32_e32 v0, 16, v0
	v_sub_f32_e32 v0, v0, v1
	v_mul_f32_e32 v0, v14, v0
	v_lshrrev_b32_e32 v9, 16, v0
.LBB420_71:
	s_or_b64 exec, exec, s[6:7]
	v_mov_b32_e32 v13, 0
	v_lshlrev_b32_e32 v10, 8, v10
	v_mov_b32_e32 v11, 0
	s_and_saveexec_b64 s[6:7], s[2:3]
	s_cbranch_execz .LBB420_73
; %bb.72:
	v_mov_b32_e32 v11, 0
	v_lshl_add_u64 v[0:1], v[4:5], 0, v[10:11]
	global_load_ushort v0, v[0:1], off
	s_waitcnt vmcnt(0)
	v_lshlrev_b32_e32 v0, 16, v0
	v_sub_f32_e32 v0, v0, v2
	v_mul_f32_e32 v0, v17, v0
	v_lshrrev_b32_e32 v11, 16, v0
.LBB420_73:
	s_or_b64 exec, exec, s[6:7]
	v_lshlrev_b32_e32 v12, 8, v12
	s_and_saveexec_b64 s[6:7], s[4:5]
	s_cbranch_execz .LBB420_75
; %bb.74:
	v_mov_b32_e32 v13, 0
	v_lshl_add_u64 v[0:1], v[4:5], 0, v[12:13]
	global_load_ushort v0, v[0:1], off
	s_waitcnt vmcnt(0)
	v_lshlrev_b32_e32 v0, 16, v0
	v_sub_f32_e32 v0, v0, v3
	v_mul_f32_e32 v0, v15, v0
	v_lshrrev_b32_e32 v13, 16, v0
.LBB420_75:
	s_or_b64 exec, exec, s[6:7]
	v_lshlrev_b32_e32 v18, 5, v18
	s_mov_b32 s6, 0x5040100
	v_perm_b32 v20, v9, v7, s6
	v_or_b32_e32 v7, v18, v22
	v_accvgpr_read_b32 v0, a0
	v_perm_b32 v21, v13, v11, s6
	v_lshlrev_b32_e32 v7, 1, v7
	v_accvgpr_read_b32 v1, a1
	v_accvgpr_read_b32 v2, a2
	;; [unrolled: 1-line block ×3, first 2 shown]
	ds_write_b64 v7, v[20:21] offset:45056
	v_mov_b32_e32 v9, 0
	v_mov_b32_e32 v7, 0
	s_and_saveexec_b64 s[6:7], vcc
	s_cbranch_execz .LBB420_77
; %bb.76:
	v_mov_b32_e32 v7, 0
	v_lshl_add_u64 v[6:7], v[4:5], 0, v[6:7]
	global_load_ushort v6, v[6:7], off offset:32
	s_waitcnt vmcnt(0)
	v_lshlrev_b32_e32 v6, 16, v6
	v_sub_f32_e32 v0, v6, v0
	v_mul_f32_e32 v0, v16, v0
	v_lshrrev_b32_e32 v7, 16, v0
.LBB420_77:
	s_or_b64 exec, exec, s[6:7]
	s_and_saveexec_b64 s[6:7], s[0:1]
	s_cbranch_execz .LBB420_79
; %bb.78:
	v_mov_b32_e32 v9, 0
	v_lshl_add_u64 v[8:9], v[4:5], 0, v[8:9]
	global_load_ushort v0, v[8:9], off offset:32
	s_waitcnt vmcnt(0)
	v_lshlrev_b32_e32 v0, 16, v0
	v_sub_f32_e32 v0, v0, v1
	v_mul_f32_e32 v0, v14, v0
	v_lshrrev_b32_e32 v9, 16, v0
.LBB420_79:
	s_or_b64 exec, exec, s[6:7]
	v_mov_b32_e32 v0, 0
	v_mov_b32_e32 v1, 0
	s_and_saveexec_b64 s[0:1], s[2:3]
	s_cbranch_execz .LBB420_81
; %bb.80:
	v_mov_b32_e32 v11, 0
	v_lshl_add_u64 v[10:11], v[4:5], 0, v[10:11]
	global_load_ushort v1, v[10:11], off offset:32
	s_waitcnt vmcnt(0)
	v_lshlrev_b32_e32 v1, 16, v1
	v_sub_f32_e32 v1, v1, v2
	v_mul_f32_e32 v1, v17, v1
	v_lshrrev_b32_e32 v1, 16, v1
.LBB420_81:
	s_or_b64 exec, exec, s[0:1]
	s_and_saveexec_b64 s[0:1], s[4:5]
	s_cbranch_execz .LBB420_83
; %bb.82:
	v_mov_b32_e32 v13, 0
	v_lshl_add_u64 v[4:5], v[4:5], 0, v[12:13]
	global_load_ushort v0, v[4:5], off offset:32
	s_waitcnt vmcnt(0)
	v_lshlrev_b32_e32 v0, 16, v0
	v_sub_f32_e32 v0, v0, v3
	v_mul_f32_e32 v0, v15, v0
	v_lshrrev_b32_e32 v0, 16, v0
.LBB420_83:
	s_or_b64 exec, exec, s[0:1]
	s_mov_b32 s0, 0x5040100
	v_or_b32_e32 v2, v18, v19
	v_perm_b32 v1, v0, v1, s0
	v_perm_b32 v0, v9, v7, s0
	v_lshlrev_b32_e32 v2, 1, v2
	ds_write_b64 v2, v[0:1] offset:45056
	s_waitcnt lgkmcnt(0)
	s_barrier
.LBB420_84:
	s_endpgm
	.section	.rodata,"a",@progbits
	.p2align	6, 0x0
	.amdhsa_kernel _ZN12_GLOBAL__N_139chunk_gated_delta_rule_fwd_h_hip_kernelILi32ELb1ELb0ELb0ELb1ELb1ELb0ELb1ELb0EEEvPK12hip_bfloat16S3_S3_PKfS5_PKvPS1_S8_PvPKiSB_iiiiilll
		.amdhsa_group_segment_fixed_size 49152
		.amdhsa_private_segment_fixed_size 0
		.amdhsa_kernarg_size 136
		.amdhsa_user_sgpr_count 2
		.amdhsa_user_sgpr_dispatch_ptr 0
		.amdhsa_user_sgpr_queue_ptr 0
		.amdhsa_user_sgpr_kernarg_segment_ptr 1
		.amdhsa_user_sgpr_dispatch_id 0
		.amdhsa_user_sgpr_kernarg_preload_length 0
		.amdhsa_user_sgpr_kernarg_preload_offset 0
		.amdhsa_user_sgpr_private_segment_size 0
		.amdhsa_uses_dynamic_stack 0
		.amdhsa_enable_private_segment 0
		.amdhsa_system_sgpr_workgroup_id_x 1
		.amdhsa_system_sgpr_workgroup_id_y 1
		.amdhsa_system_sgpr_workgroup_id_z 0
		.amdhsa_system_sgpr_workgroup_info 0
		.amdhsa_system_vgpr_workitem_id 0
		.amdhsa_next_free_vgpr 152
		.amdhsa_next_free_sgpr 60
		.amdhsa_accum_offset 132
		.amdhsa_reserve_vcc 1
		.amdhsa_float_round_mode_32 0
		.amdhsa_float_round_mode_16_64 0
		.amdhsa_float_denorm_mode_32 3
		.amdhsa_float_denorm_mode_16_64 3
		.amdhsa_dx10_clamp 1
		.amdhsa_ieee_mode 1
		.amdhsa_fp16_overflow 0
		.amdhsa_tg_split 0
		.amdhsa_exception_fp_ieee_invalid_op 0
		.amdhsa_exception_fp_denorm_src 0
		.amdhsa_exception_fp_ieee_div_zero 0
		.amdhsa_exception_fp_ieee_overflow 0
		.amdhsa_exception_fp_ieee_underflow 0
		.amdhsa_exception_fp_ieee_inexact 0
		.amdhsa_exception_int_div_zero 0
	.end_amdhsa_kernel
	.section	.text._ZN12_GLOBAL__N_139chunk_gated_delta_rule_fwd_h_hip_kernelILi32ELb1ELb0ELb0ELb1ELb1ELb0ELb1ELb0EEEvPK12hip_bfloat16S3_S3_PKfS5_PKvPS1_S8_PvPKiSB_iiiiilll,"axG",@progbits,_ZN12_GLOBAL__N_139chunk_gated_delta_rule_fwd_h_hip_kernelILi32ELb1ELb0ELb0ELb1ELb1ELb0ELb1ELb0EEEvPK12hip_bfloat16S3_S3_PKfS5_PKvPS1_S8_PvPKiSB_iiiiilll,comdat
.Lfunc_end420:
	.size	_ZN12_GLOBAL__N_139chunk_gated_delta_rule_fwd_h_hip_kernelILi32ELb1ELb0ELb0ELb1ELb1ELb0ELb1ELb0EEEvPK12hip_bfloat16S3_S3_PKfS5_PKvPS1_S8_PvPKiSB_iiiiilll, .Lfunc_end420-_ZN12_GLOBAL__N_139chunk_gated_delta_rule_fwd_h_hip_kernelILi32ELb1ELb0ELb0ELb1ELb1ELb0ELb1ELb0EEEvPK12hip_bfloat16S3_S3_PKfS5_PKvPS1_S8_PvPKiSB_iiiiilll
                                        ; -- End function
	.section	.AMDGPU.csdata,"",@progbits
; Kernel info:
; codeLenInByte = 8268
; NumSgprs: 66
; NumVgprs: 130
; NumAgprs: 20
; TotalNumVgprs: 152
; ScratchSize: 0
; MemoryBound: 0
; FloatMode: 240
; IeeeMode: 1
; LDSByteSize: 49152 bytes/workgroup (compile time only)
; SGPRBlocks: 8
; VGPRBlocks: 18
; NumSGPRsForWavesPerEU: 66
; NumVGPRsForWavesPerEU: 152
; AccumOffset: 132
; Occupancy: 1
; WaveLimiterHint : 1
; COMPUTE_PGM_RSRC2:SCRATCH_EN: 0
; COMPUTE_PGM_RSRC2:USER_SGPR: 2
; COMPUTE_PGM_RSRC2:TRAP_HANDLER: 0
; COMPUTE_PGM_RSRC2:TGID_X_EN: 1
; COMPUTE_PGM_RSRC2:TGID_Y_EN: 1
; COMPUTE_PGM_RSRC2:TGID_Z_EN: 0
; COMPUTE_PGM_RSRC2:TIDIG_COMP_CNT: 0
; COMPUTE_PGM_RSRC3_GFX90A:ACCUM_OFFSET: 32
; COMPUTE_PGM_RSRC3_GFX90A:TG_SPLIT: 0
	.section	.text._ZN12_GLOBAL__N_139chunk_gated_delta_rule_fwd_h_hip_kernelILi32ELb0ELb1ELb1ELb1ELb1ELb0ELb1ELb0EEEvPK12hip_bfloat16S3_S3_PKfS5_PKvPS1_S8_PvPKiSB_iiiiilll,"axG",@progbits,_ZN12_GLOBAL__N_139chunk_gated_delta_rule_fwd_h_hip_kernelILi32ELb0ELb1ELb1ELb1ELb1ELb0ELb1ELb0EEEvPK12hip_bfloat16S3_S3_PKfS5_PKvPS1_S8_PvPKiSB_iiiiilll,comdat
	.globl	_ZN12_GLOBAL__N_139chunk_gated_delta_rule_fwd_h_hip_kernelILi32ELb0ELb1ELb1ELb1ELb1ELb0ELb1ELb0EEEvPK12hip_bfloat16S3_S3_PKfS5_PKvPS1_S8_PvPKiSB_iiiiilll ; -- Begin function _ZN12_GLOBAL__N_139chunk_gated_delta_rule_fwd_h_hip_kernelILi32ELb0ELb1ELb1ELb1ELb1ELb0ELb1ELb0EEEvPK12hip_bfloat16S3_S3_PKfS5_PKvPS1_S8_PvPKiSB_iiiiilll
	.p2align	8
	.type	_ZN12_GLOBAL__N_139chunk_gated_delta_rule_fwd_h_hip_kernelILi32ELb0ELb1ELb1ELb1ELb1ELb0ELb1ELb0EEEvPK12hip_bfloat16S3_S3_PKfS5_PKvPS1_S8_PvPKiSB_iiiiilll,@function
_ZN12_GLOBAL__N_139chunk_gated_delta_rule_fwd_h_hip_kernelILi32ELb0ELb1ELb1ELb1ELb1ELb0ELb1ELb0EEEvPK12hip_bfloat16S3_S3_PKfS5_PKvPS1_S8_PvPKiSB_iiiiilll: ; @_ZN12_GLOBAL__N_139chunk_gated_delta_rule_fwd_h_hip_kernelILi32ELb0ELb1ELb1ELb1ELb1ELb0ELb1ELb0EEEvPK12hip_bfloat16S3_S3_PKfS5_PKvPS1_S8_PvPKiSB_iiiiilll
; %bb.0:
	s_load_dwordx4 s[36:39], s[0:1], 0x5c
	s_abs_i32 s7, s3
	s_ashr_i32 s6, s3, 31
	s_load_dwordx2 s[4:5], s[0:1], 0x50
	s_load_dwordx8 s[16:23], s[0:1], 0x30
	s_load_dwordx8 s[24:31], s[0:1], 0x0
	v_lshrrev_b32_e32 v58, 6, v0
	s_waitcnt lgkmcnt(0)
	s_abs_i32 s10, s37
	v_cvt_f32_u32_e32 v1, s10
	s_sub_i32 s8, 0, s10
	s_ashr_i32 s50, s37, 31
	s_xor_b32 s6, s6, s50
	v_rcp_iflag_f32_e32 v1, v1
	v_bfe_u32 v61, v0, 4, 2
	v_lshlrev_b32_e32 v59, 4, v58
	v_lshlrev_b32_e32 v18, 2, v61
	v_mul_f32_e32 v1, 0x4f7ffffe, v1
	v_cvt_u32_f32_e32 v1, v1
	v_and_b32_e32 v60, 63, v0
	s_mov_b32 s33, s37
	v_and_b32_e32 v62, 15, v0
	v_readfirstlane_b32 s9, v1
	s_mul_i32 s8, s8, s9
	s_mul_hi_u32 s8, s9, s8
	s_add_i32 s9, s9, s8
	s_mul_hi_u32 s8, s7, s9
	s_mul_i32 s9, s8, s10
	s_sub_i32 s7, s7, s9
	s_add_i32 s11, s8, 1
	s_sub_i32 s9, s7, s10
	s_cmp_ge_u32 s7, s10
	s_cselect_b32 s8, s11, s8
	s_cselect_b32 s7, s9, s7
	s_add_i32 s9, s8, 1
	s_cmp_ge_u32 s7, s10
	s_cselect_b32 s7, s9, s8
	s_xor_b32 s7, s7, s6
	s_sub_i32 s34, s7, s6
	s_mul_i32 s6, s34, s37
	s_ashr_i32 s35, s34, 31
	s_sub_i32 s51, s3, s6
	s_lshl_b64 s[6:7], s[34:35], 2
	s_add_u32 s8, s22, s6
	s_addc_u32 s9, s23, s7
	s_add_u32 s4, s4, s6
	s_addc_u32 s5, s5, s7
	s_abs_i32 s3, s38
	v_cvt_f32_u32_e32 v1, s3
	s_load_dwordx2 s[44:45], s[8:9], 0x0
	s_load_dwordx2 s[22:23], s[0:1], 0x80
	s_load_dwordx4 s[40:43], s[0:1], 0x70
	s_sub_i32 s1, 0, s3
	v_rcp_iflag_f32_e32 v1, v1
	s_load_dword s57, s[4:5], 0x0
	s_waitcnt lgkmcnt(0)
	s_sub_i32 s48, s45, s44
	s_ashr_i32 s0, s48, 31
	v_mul_f32_e32 v1, 0x4f7ffffe, v1
	v_cvt_u32_f32_e32 v1, v1
	s_lshr_b32 s0, s0, 26
	s_add_i32 s0, s48, s0
	s_ashr_i32 s55, s0, 6
	v_readfirstlane_b32 s6, v1
	s_mul_i32 s1, s1, s6
	s_mul_hi_u32 s1, s6, s1
	s_add_i32 s6, s6, s1
	s_mul_hi_u32 s1, s10, s6
	s_mul_i32 s6, s1, s3
	s_ashr_i32 s0, s38, 31
	s_sub_i32 s6, s10, s6
	s_xor_b32 s0, s50, s0
	s_add_i32 s7, s1, 1
	s_sub_i32 s8, s6, s3
	s_cmp_ge_u32 s6, s3
	s_cselect_b32 s1, s7, s1
	s_cselect_b32 s6, s8, s6
	s_add_i32 s7, s1, 1
	s_cmp_ge_u32 s6, s3
	s_cselect_b32 s1, s7, s1
	s_xor_b32 s1, s1, s0
	s_sub_i32 s1, s1, s0
	s_abs_i32 s3, s1
	v_cvt_f32_u32_e32 v1, s3
	s_sub_i32 s5, 0, s3
	s_abs_i32 s4, s51
	s_xor_b32 s1, s51, s1
	v_rcp_iflag_f32_e32 v1, v1
	s_ashr_i32 s1, s1, 31
	s_mov_b32 s0, 0
	s_mov_b32 s14, s0
	v_mul_f32_e32 v1, 0x4f7ffffe, v1
	v_cvt_u32_f32_e32 v1, v1
	s_mov_b32 s15, s0
	s_mov_b32 s8, s0
	;; [unrolled: 1-line block ×3, first 2 shown]
	v_readfirstlane_b32 s6, v1
	s_mul_i32 s5, s5, s6
	s_mul_hi_u32 s5, s6, s5
	s_add_i32 s6, s6, s5
	s_mul_hi_u32 s5, s4, s6
	s_mul_i32 s6, s5, s3
	s_sub_i32 s4, s4, s6
	s_add_i32 s6, s5, 1
	s_sub_i32 s7, s4, s3
	s_cmp_ge_u32 s4, s3
	s_cselect_b32 s5, s6, s5
	s_cselect_b32 s4, s7, s4
	s_add_i32 s6, s5, 1
	s_cmp_ge_u32 s4, s3
	s_cselect_b32 s3, s6, s5
	s_xor_b32 s3, s3, s1
	s_sub_i32 s58, s3, s1
	v_or_b32_e32 v1, v18, v59
	s_lshl_b32 s46, s2, 5
	s_mov_b32 s1, s0
	s_mov_b32 s2, s0
	;; [unrolled: 1-line block ×11, first 2 shown]
	v_mov_b64_e32 v[16:17], s[14:15]
	v_or_b32_e32 v65, 64, v1
	s_cmp_lt_i32 s48, 64
	v_mov_b64_e32 v[14:15], s[12:13]
	v_mov_b64_e32 v[12:13], s[10:11]
	;; [unrolled: 1-line block ×7, first 2 shown]
	s_mul_hi_i32 s59, s51, s36
	s_mul_i32 s60, s51, s36
	v_lshrrev_b32_e32 v64, 3, v60
	v_lshlrev_b32_e32 v63, 3, v0
	s_mul_i32 s52, s34, s41
	s_mul_hi_u32 s53, s34, s40
	s_mul_i32 s54, s35, s40
	s_mul_i32 s12, s34, s40
	s_cbranch_scc1 .LBB421_19
; %bb.1:
	s_ashr_i32 s40, s51, 31
	s_ashr_i32 s1, s44, 31
	s_add_u32 s0, s60, s44
	s_addc_u32 s1, s59, s1
	s_lshl_b64 s[0:1], s[0:1], 8
	v_and_b32_e32 v9, 56, v63
	s_add_u32 s0, s26, s0
	v_lshl_or_b32 v5, v58, 3, v64
	v_lshlrev_b32_e32 v2, 1, v9
	s_addc_u32 s1, s27, s1
	v_lshl_or_b32 v13, v5, 8, v2
	s_and_b32 s1, s1, 0xffff
	s_mov_b32 s3, 0x20000
	s_movk_i32 s2, 0x4000
	s_movk_i32 s4, 0x80
	v_or_b32_e32 v17, 0x2000, v13
	buffer_load_dwordx4 v[20:23], v13, s[0:3], 0 offen
	buffer_load_dwordx4 v[24:27], v13, s[0:3], s4 offen
	;; [unrolled: 1-line block ×4, first 2 shown]
	v_lshlrev_b32_e32 v3, 3, v5
	v_and_or_b32 v6, v0, 7, v3
	v_and_b32_e32 v3, 0x78, v3
	v_lshlrev_b32_e32 v6, 4, v6
	v_xor_b32_e32 v66, v6, v3
	v_mul_lo_u32 v4, v5, s39
	v_or_b32_e32 v67, 0x1000, v66
	v_xor_b32_e32 v3, 8, v66
	s_cmpk_eq_i32 s39, 0x80
	s_mov_b32 s49, s44
	v_xor_b32_e32 v6, 8, v67
	s_cselect_b64 s[0:1], -1, 0
	s_cmpk_lg_i32 s39, 0x80
	s_waitcnt vmcnt(3)
	ds_write_b64 v66, v[20:21] offset:24576
	ds_write_b64 v3, v[22:23] offset:24576
	s_waitcnt vmcnt(2)
	ds_write_b64 v66, v[24:25] offset:32768
	ds_write_b64 v3, v[26:27] offset:32768
	;; [unrolled: 3-line block ×4, first 2 shown]
	v_lshl_add_u32 v3, v4, 1, v9
	s_cbranch_scc0 .LBB421_3
; %bb.2:
	v_lshlrev_b32_e32 v6, 1, v3
	v_add_lshl_u32 v4, v3, s39, 1
	s_lshl_b32 s6, s39, 7
	v_lshl_or_b32 v2, v5, 9, v2
	s_cbranch_execz .LBB421_4
	s_branch .LBB421_5
.LBB421_3:
                                        ; implicit-def: $vgpr4
                                        ; implicit-def: $vgpr6
                                        ; implicit-def: $sgpr6
	v_lshl_or_b32 v2, v5, 9, v2
.LBB421_4:
	v_or_b32_e32 v4, 0x100, v2
	s_movk_i32 s6, 0x4000
	v_mov_b32_e32 v6, v2
.LBB421_5:
	s_mul_i32 s2, s44, s38
	s_ashr_i32 s41, s58, 31
	s_mul_hi_i32 s3, s44, s38
	s_add_u32 s2, s2, s58
	s_addc_u32 s3, s3, s41
	s_lshl_b64 s[2:3], s[2:3], 8
	s_add_u32 s4, s24, s2
	s_addc_u32 s2, s25, s3
	s_and_b32 s5, s2, 0xffff
	s_mov_b32 s7, 0x20000
	s_movk_i32 s56, 0x80
	buffer_load_dwordx4 v[20:23], v6, s[4:7], 0 offen
	buffer_load_dwordx4 v[24:27], v6, s[4:7], s56 offen
	;; [unrolled: 1-line block ×4, first 2 shown]
	v_and_b32_e32 v4, 6, v0
	v_lshlrev_b32_e32 v8, 6, v1
	v_or_b32_e32 v11, 16, v62
	v_xor_b32_e32 v12, v5, v4
	v_and_b32_e32 v6, 1, v0
	v_lshl_or_b32 v16, v62, 3, v8
	v_lshl_or_b32 v8, v11, 3, v8
	v_lshlrev_b32_e32 v12, 2, v12
	v_lshlrev_b32_e32 v7, 2, v62
	s_mul_i32 s2, s51, s43
	s_mul_hi_u32 s3, s51, s42
	v_or_b32_e32 v70, 0xa000, v8
	v_or_b32_e32 v71, 0xb000, v8
	v_xor_b32_e32 v8, 0x440, v12
	v_cmp_eq_u32_e32 vcc, 0, v6
	s_add_i32 s5, s53, s52
	s_mul_i32 s4, s40, s42
	v_xor_b32_e32 v14, v1, v7
	v_xor_b32_e32 v15, v65, v7
	v_cndmask_b32_e32 v6, v8, v12, vcc
	s_add_i32 s2, s3, s2
	s_add_i32 s13, s5, s54
	s_mov_b32 s61, 0x1000504
	v_lshlrev_b32_e32 v10, 8, v62
	v_lshlrev_b32_e32 v11, 8, v11
	;; [unrolled: 1-line block ×4, first 2 shown]
	v_lshl_or_b32 v4, v4, 10, v6
	s_add_i32 s3, s2, s4
	s_lshl_b64 s[4:5], s[12:13], 2
	s_mov_b32 s62, 0x3020706
	v_or_b32_e32 v68, 0xa000, v16
	v_or_b32_e32 v69, 0xb000, v16
	v_or_b32_e32 v72, v10, v14
	v_or_b32_e32 v73, v10, v15
	v_or_b32_e32 v75, v11, v15
	v_xor_b32_e32 v6, 8, v4
	v_xor_b32_e32 v10, 24, v4
	;; [unrolled: 1-line block ×4, first 2 shown]
	s_mul_i32 s2, s51, s42
	s_add_u32 s4, s30, s4
	v_or_b32_e32 v74, v11, v14
	v_xor_b32_e32 v8, 16, v4
	v_xor_b32_e32 v11, 32, v4
	;; [unrolled: 1-line block ×3, first 2 shown]
	v_add_u32_e32 v6, 0x80, v6
	v_add_u32_e32 v10, 0x80, v10
	;; [unrolled: 1-line block ×4, first 2 shown]
	s_addc_u32 s5, s31, s5
	s_lshl_b64 s[2:3], s[2:3], 2
	s_add_u32 s2, s4, s2
	s_movk_i32 s4, 0xf8
	s_addc_u32 s3, s5, s3
	s_ashr_i32 s47, s46, 31
	s_lshl_b32 s10, s39, 7
	s_movk_i32 s8, 0x100
	v_mov_b32_e32 v51, 0
	v_lshlrev_b32_e32 v50, 4, v62
	v_cmp_gt_u32_e32 vcc, s8, v0
	s_mov_b32 s63, 0
	s_movk_i32 s13, 0x1000
	s_movk_i32 s6, 0x4000
	v_add_u32_e32 v93, v59, v18
	v_mov_b32_e32 v99, v51
	v_mov_b32_e32 v98, v51
	;; [unrolled: 1-line block ×4, first 2 shown]
	s_waitcnt vmcnt(1)
	v_perm_b32 v16, v20, v28, s61
	s_waitcnt vmcnt(0)
	v_perm_b32 v19, v24, v32, s61
	v_perm_b32 v20, v20, v28, s62
	;; [unrolled: 1-line block ×15, first 2 shown]
	ds_write2st64_b32 v4, v16, v19 offset0:32 offset1:64
	ds_write2st64_b32 v6, v20, v24 offset0:32 offset1:64
	;; [unrolled: 1-line block ×8, first 2 shown]
	v_or_b32_e32 v4, v59, v62
	v_lshlrev_b32_e32 v4, 3, v4
	v_lshrrev_b32_e32 v10, 5, v60
	v_and_or_b32 v10, v4, s4, v10
	v_lshlrev_b32_e32 v8, 11, v58
	v_lshlrev_b32_e32 v10, 4, v10
	v_and_b32_e32 v4, 0x78, v4
	v_and_b32_e32 v6, 0x1000, v8
	v_xor_b32_e32 v11, v10, v4
	v_lshrrev_b32_e32 v12, 1, v0
	v_or_b32_e32 v11, v11, v6
	v_and_b32_e32 v14, 8, v12
	v_xor_b32_e32 v76, v11, v14
	v_or_b32_e32 v11, 32, v10
	v_xor_b32_e32 v11, v11, v4
	v_or_b32_e32 v11, v11, v6
	;; [unrolled: 2-line block ×4, first 2 shown]
	s_lshl_b64 s[4:5], s[46:47], 8
	v_or_b32_e32 v11, v11, v6
	v_xor_b32_e32 v4, v10, v4
	s_add_u32 s4, s16, s4
	v_lshlrev_b32_e32 v10, 1, v62
	v_xor_b32_e32 v80, v11, v14
	v_lshrrev_b32_e32 v19, 4, v0
	s_addc_u32 s5, s17, s5
	v_or_b32_e32 v11, 1, v10
	v_mov_b32_e32 v23, 0x4000
	v_mov_b32_e32 v24, 0x2000
	v_xor_b32_e32 v20, v19, v10
	v_xor_b32_e32 v21, v11, v19
	v_lshl_add_u64 v[10:11], s[4:5], 0, v[50:51]
	v_lshlrev_b32_e32 v50, 8, v19
	v_cndmask_b32_e32 v23, v23, v24, vcc
	v_lshlrev_b32_e32 v24, 3, v58
	v_and_b32_e32 v12, 24, v12
	v_lshl_or_b32 v84, v20, 3, v50
	v_and_b32_e32 v20, 8, v0
	v_xor_b32_e32 v25, v24, v12
	v_or_b32_e32 v26, 0x440, v25
	v_cmp_eq_u32_e32 vcc, 0, v20
	v_and_b32_e32 v19, 7, v0
	v_lshlrev_b32_e32 v15, 7, v61
	v_cndmask_b32_e32 v20, v26, v25, vcc
	v_lshl_or_b32 v85, v21, 3, v50
	v_lshlrev_b32_e32 v21, 3, v19
	v_lshlrev_b32_e32 v19, 7, v19
	v_lshlrev_b32_e32 v22, 2, v0
	v_or_b32_e32 v20, v20, v8
	v_or_b32_e32 v7, v15, v7
	v_xad_u32 v86, v20, v21, v19
	v_and_or_b32 v15, v22, 60, v15
	v_mov_b32_e32 v20, 0xb000
	v_lshl_or_b32 v87, v15, 1, v20
	v_or_b32_e32 v15, 32, v12
	v_xor_b32_e32 v15, v24, v15
	v_or_b32_e32 v20, 0x440, v15
	v_cndmask_b32_e32 v15, v20, v15, vcc
	v_or_b32_e32 v15, v15, v8
	v_xad_u32 v88, v15, v21, v19
	v_or_b32_e32 v15, 64, v12
	v_xor_b32_e32 v15, v24, v15
	v_xor_b32_e32 v20, 0x440, v15
	v_cndmask_b32_e32 v15, v20, v15, vcc
	v_or_b32_e32 v12, 0x60, v12
	v_or_b32_e32 v15, v15, v8
	v_xor_b32_e32 v12, v24, v12
	v_xad_u32 v89, v15, v21, v19
	v_xor_b32_e32 v15, 0x440, v12
	v_lshlrev_b32_e32 v7, 1, v7
	v_or_b32_e32 v4, v4, v6
	v_or_b32_e32 v6, s46, v62
	v_cndmask_b32_e32 v12, v15, v12, vcc
	v_or_b32_e32 v77, 0xa000, v7
	v_or_b32_e32 v79, 0xa080, v7
	v_xor_b32_e32 v81, v4, v14
	v_or_b32_e32 v82, 0xb000, v7
	v_or_b32_e32 v83, 0xb080, v7
	v_ashrrev_i32_e32 v7, 31, v6
	v_lshlrev_b32_e32 v14, 1, v3
	v_add_lshl_u32 v3, v3, s39, 1
	v_or_b32_e32 v16, 0x100, v2
	v_or_b32_e32 v8, v12, v8
	v_lshlrev_b32_e32 v4, 7, v1
	v_xad_u32 v90, v8, v21, v19
	v_cndmask_b32_e64 v91, v14, v2, s[0:1]
	v_cndmask_b32_e64 v92, v3, v16, s[0:1]
	v_lshlrev_b64 v[2:3], 1, v[6:7]
	v_lshl_add_u64 v[52:53], s[28:29], 0, v[2:3]
	v_lshl_add_u64 v[54:55], s[18:19], 0, v[2:3]
	;; [unrolled: 1-line block ×3, first 2 shown]
	s_mov_b32 s47, 0x7060302
	v_lshlrev_b32_e32 v50, 1, v4
	v_add_u32_e32 v94, v23, v86
	v_add_u32_e32 v95, v23, v88
	;; [unrolled: 1-line block ×4, first 2 shown]
	v_mov_b32_e32 v2, v51
	v_mov_b32_e32 v3, v51
	;; [unrolled: 1-line block ×12, first 2 shown]
	s_waitcnt lgkmcnt(0)
	s_barrier
.LBB421_6:                              ; =>This Inner Loop Header: Depth=1
	s_add_i32 s64, s63, 1
	s_cmp_lt_i32 s64, s55
	s_mov_b64 s[8:9], 0
	s_cselect_b64 s[14:15], -1, 0
	s_cmp_ge_i32 s64, s55
	s_mov_b64 s[4:5], 0
	s_cbranch_scc1 .LBB421_8
; %bb.7:                                ;   in Loop: Header=BB421_6 Depth=1
	s_add_i32 s0, s49, 64
	s_ashr_i32 s1, s0, 31
	s_add_u32 s0, s60, s0
	s_addc_u32 s1, s59, s1
	s_lshl_b64 s[0:1], s[0:1], 8
	s_add_u32 s4, s26, s0
	s_addc_u32 s5, s27, s1
.LBB421_8:                              ;   in Loop: Header=BB421_6 Depth=1
	v_cndmask_b32_e64 v18, 0, 1, s[14:15]
	v_cmp_ne_u32_e64 s[0:1], 1, v18
	s_andn2_b64 vcc, exec, s[14:15]
	s_cbranch_vccnz .LBB421_10
; %bb.9:                                ;   in Loop: Header=BB421_6 Depth=1
	s_add_i32 s8, s49, 64
	s_mul_hi_i32 s9, s8, s38
	s_mul_i32 s8, s8, s38
	s_add_u32 s8, s8, s58
	s_addc_u32 s9, s9, s41
	s_lshl_b64 s[8:9], s[8:9], 8
	s_add_u32 s8, s24, s8
	s_addc_u32 s9, s25, s9
.LBB421_10:                             ;   in Loop: Header=BB421_6 Depth=1
	v_perm_b32 v19, v99, v4, s47
	v_perm_b32 v18, v3, v2, s47
	;; [unrolled: 1-line block ×4, first 2 shown]
	ds_write_b64 v68, v[18:19]
	ds_write_b64 v69, v[20:21]
	;; [unrolled: 1-line block ×4, first 2 shown]
	v_perm_b32 v19, v101, v12, s47
	v_perm_b32 v18, v11, v10, s47
	;; [unrolled: 1-line block ×4, first 2 shown]
	ds_write_b64 v70, v[18:19]
	ds_write_b64 v71, v[20:21]
	;; [unrolled: 1-line block ×4, first 2 shown]
	s_waitcnt lgkmcnt(0)
	s_barrier
	ds_read_b64 v[22:23], v76 offset:24576
	ds_read2_b64 v[18:21], v77 offset1:16
	ds_read_b64 v[26:27], v79 offset:3072
	ds_read_b64 v[28:29], v77 offset:3072
	;; [unrolled: 1-line block ×3, first 2 shown]
	s_waitcnt lgkmcnt(3)
	v_mfma_f32_16x16x16_bf16 a[0:3], v[22:23], v[18:19], 0
	s_add_i32 s11, s49, 63
	s_ashr_i32 s14, s11, 31
	s_mul_i32 s15, s11, s23
	v_mfma_f32_16x16x16_bf16 a[4:7], v[22:23], v[20:21], 0
	ds_read2st64_b64 v[18:21], v77 offset0:2 offset1:4
	s_mul_hi_u32 s65, s11, s22
	s_add_i32 s15, s65, s15
	s_waitcnt lgkmcnt(0)
	v_mfma_f32_16x16x16_bf16 a[0:3], v[30:31], v[18:19], a[0:3]
	ds_read2st64_b64 v[22:25], v79 offset0:2 offset1:4
	ds_read_b64 v[18:19], v80 offset:24576
	s_mul_i32 s14, s14, s22
	s_add_i32 s15, s15, s14
	s_waitcnt lgkmcnt(1)
	v_mfma_f32_16x16x16_bf16 a[4:7], v[30:31], v[22:23], a[4:7]
	ds_read_b64 v[22:23], v81 offset:24576
	s_mul_i32 s14, s11, s22
	s_lshl_b64 s[14:15], s[14:15], 2
	s_waitcnt lgkmcnt(1)
	v_mfma_f32_16x16x16_bf16 a[0:3], v[18:19], v[20:21], a[0:3]
	s_add_u32 s14, s2, s14
	s_addc_u32 s15, s3, s15
	s_and_b64 vcc, exec, s[0:1]
	v_mfma_f32_16x16x16_bf16 a[8:11], v[18:19], v[24:25], a[4:7]
	v_mov_b32_e32 v104, 0
	v_mov_b32_e32 v103, 0
	;; [unrolled: 1-line block ×3, first 2 shown]
	s_waitcnt lgkmcnt(0)
	v_mfma_f32_16x16x16_bf16 a[4:7], v[22:23], v[28:29], a[0:3]
	v_mov_b32_e32 v18, 0
	v_mov_b32_e32 v19, 0
	;; [unrolled: 1-line block ×3, first 2 shown]
	v_mfma_f32_16x16x16_bf16 a[0:3], v[22:23], v[26:27], a[8:11]
	v_mov_b32_e32 v21, 0
	v_mov_b32_e32 v22, 0
	;; [unrolled: 1-line block ×13, first 2 shown]
	s_cbranch_vccnz .LBB421_12
; %bb.11:                               ;   in Loop: Header=BB421_6 Depth=1
	s_and_b32 s5, s5, 0xffff
	buffer_load_dwordx4 v[30:33], v13, s[4:7], 0 offen
	buffer_load_dwordx4 v[26:29], v13, s[4:7], s56 offen
	;; [unrolled: 1-line block ×4, first 2 shown]
	v_mov_b32_e32 v103, v66
	v_mov_b32_e32 v102, v67
.LBB421_12:                             ;   in Loop: Header=BB421_6 Depth=1
	ds_read_b64 v[42:43], v76 offset:32768
	ds_read2_b64 v[34:37], v82 offset1:16
	ds_read_b64 v[44:45], v78 offset:32768
	ds_read_b64 v[46:47], v80 offset:32768
	;; [unrolled: 1-line block ×3, first 2 shown]
	ds_read2st64_b64 v[38:41], v82 offset0:2 offset1:4
	v_add_u32_e32 v105, s49, v93
	s_waitcnt lgkmcnt(4)
	v_mfma_f32_16x16x16_bf16 a[4:7], v[42:43], v[34:35], a[4:7]
	v_ashrrev_i32_e32 v34, 31, v105
	v_mfma_f32_16x16x16_bf16 a[0:3], v[42:43], v[36:37], a[0:3]
	v_mul_lo_u32 v36, v105, s23
	v_mul_lo_u32 v37, v34, s22
	v_mad_u64_u32 v[34:35], s[4:5], v105, s22, 0
	v_add3_u32 v35, v35, v36, v37
	v_add_u32_e32 v36, 1, v105
	v_ashrrev_i32_e32 v37, 31, v36
	s_waitcnt lgkmcnt(0)
	v_mfma_f32_16x16x16_bf16 a[4:7], v[44:45], v[38:39], a[4:7]
	v_mul_lo_u32 v38, v37, s22
	v_mul_lo_u32 v39, v36, s23
	v_mad_u64_u32 v[36:37], s[4:5], v36, s22, 0
	v_add3_u32 v37, v37, v39, v38
	v_add_u32_e32 v38, 2, v105
	v_ashrrev_i32_e32 v39, 31, v38
	v_mul_lo_u32 v42, v39, s22
	v_mul_lo_u32 v43, v38, s23
	v_mad_u64_u32 v[38:39], s[4:5], v38, s22, 0
	v_add3_u32 v39, v39, v43, v42
	v_add_u32_e32 v42, 3, v105
	v_ashrrev_i32_e32 v43, 31, v42
	v_mul_lo_u32 v105, v43, s22
	v_mul_lo_u32 v106, v42, s23
	v_mad_u64_u32 v[42:43], s[4:5], v42, s22, 0
	s_ashr_i32 s5, s49, 31
	v_add3_u32 v43, v43, v106, v105
	s_add_u32 s4, s60, s49
	v_lshl_add_u64 v[34:35], v[34:35], 2, s[2:3]
	v_lshl_add_u64 v[42:43], v[42:43], 2, s[2:3]
	s_addc_u32 s5, s59, s5
	v_lshl_add_u64 v[36:37], v[36:37], 2, s[2:3]
	v_lshl_add_u64 v[38:39], v[38:39], 2, s[2:3]
	global_load_dword v105, v[34:35], off
	global_load_dword v106, v[36:37], off
	;; [unrolled: 1-line block ×3, first 2 shown]
	s_nop 0
	global_load_dword v43, v[42:43], off
	s_lshl_b64 s[66:67], s[4:5], 8
	v_lshl_add_u64 v[34:35], v[52:53], 0, s[66:67]
	v_lshl_add_u64 v[38:39], v[34:35], 0, v[50:51]
	global_load_ushort v108, v[38:39], off offset:256
	global_load_ushort v109, v[38:39], off
	global_load_ushort v110, v[38:39], off offset:768
	global_load_ushort v111, v[38:39], off offset:512
	ds_read2st64_b64 v[34:37], v83 offset0:2 offset1:4
	global_load_ushort v112, v[38:39], off offset:800
	global_load_ushort v113, v[38:39], off offset:544
	;; [unrolled: 1-line block ×4, first 2 shown]
	s_waitcnt lgkmcnt(0)
	v_mfma_f32_16x16x16_bf16 a[0:3], v[44:45], v[34:35], a[0:3]
	s_and_b64 vcc, exec, s[0:1]
	s_waitcnt vmcnt(7)
	v_lshlrev_b32_e32 v45, 16, v108
	v_mfma_f32_16x16x16_bf16 a[4:7], v[46:47], v[40:41], a[4:7]
	s_waitcnt vmcnt(6)
	v_lshlrev_b32_e32 v44, 16, v109
	v_mfma_f32_16x16x16_bf16 a[0:3], v[46:47], v[36:37], a[0:3]
	ds_read_b64 v[34:35], v82 offset:3072
	ds_read_b64 v[36:37], v83 offset:3072
	s_load_dword s4, s[14:15], 0x0
	s_waitcnt vmcnt(5)
	v_lshlrev_b32_e32 v47, 16, v110
	s_waitcnt lgkmcnt(0)
	v_mfma_f32_16x16x16_bf16 a[4:7], v[48:49], v[34:35], a[4:7]
	v_lshl_add_u64 v[34:35], v[54:55], 0, s[66:67]
	v_sub_f32_e32 v42, s4, v105
	v_sub_f32_e32 v46, s4, v106
	v_mfma_f32_16x16x16_bf16 a[0:3], v[48:49], v[36:37], a[0:3]
	v_sub_f32_e32 v48, s4, v107
	v_sub_f32_e32 v49, s4, v43
	v_exp_f32_e32 v42, v42
	v_exp_f32_e32 v43, v46
	;; [unrolled: 1-line block ×4, first 2 shown]
	v_accvgpr_read_b32 v41, a5
	v_accvgpr_read_b32 v37, a7
	;; [unrolled: 1-line block ×4, first 2 shown]
	s_waitcnt vmcnt(4)
	v_lshlrev_b32_e32 v46, 16, v111
	v_lshl_add_u64 v[34:35], v[34:35], 0, v[50:51]
	v_pk_add_f32 v[40:41], v[44:45], v[40:41] neg_lo:[0,1] neg_hi:[0,1]
	v_pk_add_f32 v[36:37], v[46:47], v[36:37] neg_lo:[0,1] neg_hi:[0,1]
	global_store_short_d16_hi v[34:35], v40, off
	global_store_short_d16_hi v[34:35], v41, off offset:256
	global_store_short_d16_hi v[34:35], v36, off offset:512
	;; [unrolled: 1-line block ×3, first 2 shown]
	v_pk_mul_f32 v[40:41], v[42:43], v[40:41]
	v_pk_mul_f32 v[36:37], v[48:49], v[36:37]
	v_accvgpr_read_b32 v45, a1
	v_perm_b32 v40, v41, v40, s47
	v_perm_b32 v41, v37, v36, s47
	s_waitcnt vmcnt(5)
	v_lshlrev_b32_e32 v37, 16, v114
	s_waitcnt vmcnt(4)
	v_lshlrev_b32_e32 v36, 16, v115
	v_accvgpr_read_b32 v44, a0
	v_accvgpr_read_b32 v39, a3
	;; [unrolled: 1-line block ×3, first 2 shown]
	v_pk_add_f32 v[36:37], v[36:37], v[44:45] neg_lo:[0,1] neg_hi:[0,1]
	v_lshlrev_b32_e32 v45, 16, v112
	v_lshlrev_b32_e32 v44, 16, v113
	v_pk_add_f32 v[38:39], v[44:45], v[38:39] neg_lo:[0,1] neg_hi:[0,1]
	global_store_short_d16_hi v[34:35], v36, off offset:32
	global_store_short_d16_hi v[34:35], v37, off offset:288
	;; [unrolled: 1-line block ×4, first 2 shown]
	v_pk_mul_f32 v[34:35], v[42:43], v[36:37]
	v_pk_mul_f32 v[36:37], v[48:49], v[38:39]
	v_mov_b32_e32 v105, 0
	v_perm_b32 v37, v37, v36, s47
	v_perm_b32 v36, v35, v34, s47
	ds_write2_b64 v69, v[40:41], v[36:37] offset1:16
	v_mov_b32_e32 v34, 0
	v_mov_b32_e32 v35, 0
	;; [unrolled: 1-line block ×16, first 2 shown]
	s_cbranch_vccnz .LBB421_14
; %bb.13:                               ;   in Loop: Header=BB421_6 Depth=1
	s_and_b32 s9, s9, 0xffff
	s_mov_b32 s11, s7
	buffer_load_dwordx4 v[46:49], v91, s[8:11], 0 offen
	buffer_load_dwordx4 v[38:41], v91, s[8:11], s56 offen
	;; [unrolled: 1-line block ×4, first 2 shown]
	v_mov_b32_e32 v104, v9
	v_mov_b32_e32 v105, v5
.LBB421_14:                             ;   in Loop: Header=BB421_6 Depth=1
	s_waitcnt lgkmcnt(0)
	s_barrier
	ds_read_b64 v[110:111], v94
	ds_read_b64 v[118:119], v87
	ds_read_b64 v[114:115], v95
	ds_read_b64 v[120:121], v96
	ds_read_b64 v[122:123], v97
	ds_read_b64 v[124:125], v88 offset:16384
	ds_read_b64 v[126:127], v86 offset:16384
	ds_read2_b64 v[106:109], v82 offset0:16 offset1:128
	s_waitcnt lgkmcnt(6)
	v_mfma_f32_16x16x16_bf16 a[0:3], v[110:111], v[118:119], 0
	ds_read_b64 v[128:129], v83 offset:3072
	ds_read_b64 v[130:131], v90 offset:16384
	s_add_i32 s5, s57, s63
	s_waitcnt lgkmcnt(2)
	v_mfma_f32_16x16x16_bf16 a[4:7], v[110:111], v[106:107], 0
	ds_read2st64_b64 v[110:113], v83 offset0:2 offset1:4
	s_mul_hi_i32 s9, s5, s33
	s_mul_i32 s5, s5, s33
	v_mfma_f32_16x16x16_bf16 a[0:3], v[114:115], v[108:109], a[0:3]
	s_add_u32 s8, s5, s51
	s_addc_u32 s9, s9, s40
	s_lshl_b64 s[8:9], s[8:9], 15
	s_waitcnt lgkmcnt(0)
	v_mfma_f32_16x16x16_bf16 a[4:7], v[114:115], v[110:111], a[4:7]
	ds_read2st64_b64 v[114:117], v82 offset0:4 offset1:6
	s_waitcnt lgkmcnt(0)
	v_mfma_f32_16x16x16_bf16 a[0:3], v[120:121], v[114:115], a[0:3]
	v_mfma_f32_16x16x16_bf16 a[8:11], v[120:121], v[112:113], a[4:7]
	;; [unrolled: 1-line block ×5, first 2 shown]
	ds_read2st64_b64 v[118:121], v85 offset1:8
	v_mfma_f32_16x16x16_bf16 a[12:15], v[126:127], v[106:107], 0
	ds_read_b64 v[126:127], v89 offset:16384
	v_mfma_f32_16x16x16_bf16 a[8:11], v[124:125], v[108:109], a[8:11]
	ds_read2st64_b64 v[106:109], v84 offset1:8
	s_waitcnt lgkmcnt(0)
	v_mov_b32_e32 v122, v106
	v_mfma_f32_16x16x16_bf16 a[12:15], v[124:125], v[110:111], a[12:15]
	v_lshl_add_u64 v[110:111], v[56:57], 0, s[8:9]
	v_add_co_u32_e32 v106, vcc, s13, v110
	v_mfma_f32_16x16x16_bf16 a[8:11], v[126:127], v[114:115], a[8:11]
	v_mov_b32_e32 v123, v107
	v_addc_co_u32_e32 v107, vcc, 0, v111, vcc
	v_mfma_f32_16x16x16_bf16 a[12:15], v[126:127], v[112:113], a[12:15]
	v_mov_b32_e32 v124, v118
	v_mov_b32_e32 v125, v119
	;; [unrolled: 1-line block ×3, first 2 shown]
	v_mfma_f32_16x16x16_bf16 a[8:11], v[130:131], v[116:117], a[8:11]
	v_mov_b32_e32 v119, v109
	s_and_b64 vcc, exec, s[0:1]
	global_store_dwordx4 v[110:111], v[122:125], off
	v_mfma_f32_16x16x16_bf16 a[12:15], v[130:131], v[128:129], a[12:15]
	global_store_dwordx4 v[106:107], v[118:121], off
	s_cbranch_vccnz .LBB421_16
; %bb.15:                               ;   in Loop: Header=BB421_6 Depth=1
	v_lshrrev_b32_e32 v106, 3, v104
	v_and_b32_e32 v106, 6, v106
	v_xor_b32_e32 v105, v106, v105
	v_lshlrev_b32_e32 v105, 2, v105
	v_and_b32_e32 v104, 8, v104
	v_xor_b32_e32 v107, 0x440, v105
	v_cmp_eq_u32_e32 vcc, 0, v104
	s_barrier
	s_nop 0
	v_cndmask_b32_e32 v104, v107, v105, vcc
	v_lshl_or_b32 v104, v106, 10, v104
	s_waitcnt vmcnt(3)
	v_perm_b32 v105, v46, v42, s61
	s_waitcnt vmcnt(2)
	v_perm_b32 v106, v38, v34, s61
	ds_write2st64_b32 v104, v105, v106 offset0:32 offset1:64
	v_xor_b32_e32 v105, 8, v104
	v_perm_b32 v42, v46, v42, s62
	v_perm_b32 v34, v38, v34, s62
	v_add_u32_e32 v38, 0x80, v105
	ds_write2st64_b32 v38, v42, v34 offset0:32 offset1:64
	v_xor_b32_e32 v34, 16, v104
	v_perm_b32 v38, v47, v43, s61
	v_perm_b32 v42, v39, v35, s61
	ds_write2st64_b32 v34, v38, v42 offset0:33 offset1:65
	v_xor_b32_e32 v34, 24, v104
	v_perm_b32 v38, v47, v43, s62
	v_perm_b32 v35, v39, v35, s62
	v_add_u32_e32 v34, 0x80, v34
	ds_write2st64_b32 v34, v38, v35 offset0:33 offset1:65
	v_xor_b32_e32 v34, 32, v104
	v_perm_b32 v35, v48, v44, s61
	;; [unrolled: 9-line block ×3, first 2 shown]
	v_perm_b32 v36, v41, v37, s61
	ds_write2st64_b32 v34, v35, v36 offset0:35 offset1:67
	v_xor_b32_e32 v34, 56, v104
	v_perm_b32 v35, v49, v45, s62
	v_perm_b32 v36, v41, v37, s62
	v_add_u32_e32 v34, 0x80, v34
	ds_write2st64_b32 v34, v35, v36 offset0:35 offset1:67
	ds_write_b64 v103, v[30:31] offset:24576
	v_xor_b32_e32 v30, 8, v103
	ds_write_b64 v30, v[32:33] offset:24576
	ds_write_b64 v103, v[26:27] offset:32768
	;; [unrolled: 1-line block ×4, first 2 shown]
	v_xor_b32_e32 v22, 8, v102
	ds_write_b64 v22, v[24:25] offset:24576
	ds_write_b64 v102, v[18:19] offset:32768
	;; [unrolled: 1-line block ×3, first 2 shown]
.LBB421_16:                             ;   in Loop: Header=BB421_6 Depth=1
	s_waitcnt vmcnt(2)
	v_exp_f32_e32 v34, s4
	v_accvgpr_read_b32 v33, a7
	v_accvgpr_read_b32 v25, a3
	;; [unrolled: 1-line block ×16, first 2 shown]
	s_add_i32 s49, s49, 64
	v_fma_f32 v2, v2, v34, v30
	v_fma_f32 v3, v3, v34, v31
	v_fma_f32 v4, v4, v34, v32
	v_fmac_f32_e32 v33, v99, v34
	v_fma_f32 v10, v10, v34, v22
	v_fma_f32 v11, v11, v34, v23
	v_fma_f32 v12, v12, v34, v24
	v_fmac_f32_e32 v25, v101, v34
	;; [unrolled: 4-line block ×3, first 2 shown]
	v_fma_f32 v14, v14, v34, v18
	v_fma_f32 v15, v15, v34, v19
	;; [unrolled: 1-line block ×3, first 2 shown]
	s_cmp_eq_u32 s55, s64
	v_fmac_f32_e32 v21, v100, v34
	s_cbranch_scc1 .LBB421_18
; %bb.17:                               ;   in Loop: Header=BB421_6 Depth=1
	s_mov_b32 s63, s64
	v_mov_b32_e32 v99, v33
	v_mov_b32_e32 v98, v29
	;; [unrolled: 1-line block ×4, first 2 shown]
	s_branch .LBB421_6
.LBB421_18:
	v_mov_b32_e32 v5, v33
	v_mov_b32_e32 v9, v29
	;; [unrolled: 1-line block ×4, first 2 shown]
.LBB421_19:
	s_lshl_b32 s2, s55, 6
	s_sub_i32 s56, s48, s2
	s_cmp_gt_i32 s56, 0
	v_or_b32_e32 v34, s46, v62
	s_cbranch_scc1 .LBB421_21
; %bb.20:
	s_ashr_i32 s9, s51, 31
	v_or_b32_e32 v18, s46, v62
	s_cbranch_execz .LBB421_22
	s_branch .LBB421_86
.LBB421_21:
                                        ; implicit-def: $vgpr18
                                        ; implicit-def: $sgpr8_sgpr9
.LBB421_22:
	s_add_i32 s8, s2, s44
	s_ashr_i32 s2, s8, 31
	s_cmpk_lg_i32 s39, 0x80
	s_cselect_b64 s[40:41], -1, 0
	s_and_b64 vcc, exec, s[40:41]
	s_cbranch_vccz .LBB421_24
; %bb.23:
	s_mul_i32 s1, s8, s38
	s_ashr_i32 s3, s58, 31
	s_mul_hi_i32 s0, s8, s38
	s_add_u32 s48, s1, s58
	s_addc_u32 s49, s0, s3
	s_cbranch_execz .LBB421_25
	s_branch .LBB421_26
.LBB421_24:
                                        ; implicit-def: $sgpr48_sgpr49
.LBB421_25:
	s_mul_i32 s1, s58, s36
	s_mul_hi_i32 s0, s58, s36
	s_add_u32 s48, s1, s8
	s_addc_u32 s49, s0, s2
.LBB421_26:
	s_add_i32 s3, s55, s57
	s_ashr_i32 s9, s51, 31
	s_add_u32 s0, s60, s8
	v_lshlrev_b32_e32 v22, 5, v1
	v_lshlrev_b32_e32 v40, 2, v62
	s_addc_u32 s1, s59, s2
	s_mov_b32 s2, 0x7060302
	v_or_b32_e32 v25, v22, v40
	v_xor_b32_e32 v23, v1, v40
	v_perm_b32 v19, v5, v4, s2
	v_perm_b32 v18, v3, v2, s2
	;; [unrolled: 1-line block ×4, first 2 shown]
	v_lshlrev_b32_e32 v25, 1, v25
	s_lshl_b64 s[10:11], s[0:1], 8
	v_xor_b32_e32 v24, v65, v40
	ds_write2st64_b64 v25, v[18:19], v[20:21] offset0:80 offset1:88
	v_lshlrev_b32_e32 v23, 1, v23
	v_lshlrev_b32_e32 v25, 8, v62
	s_add_u32 s0, s26, s10
	v_or_b32_e32 v26, v23, v25
	v_lshlrev_b32_e32 v24, 1, v24
	s_addc_u32 s1, s27, s11
	ds_write_b64 v26, v[18:19]
	v_or_b32_e32 v18, v24, v25
	v_or_b32_e32 v25, 16, v62
	s_mul_hi_i32 s4, s3, s37
	s_mul_i32 s3, s3, s37
	ds_write_b64 v18, v[20:21]
	v_perm_b32 v19, v13, v12, s2
	v_perm_b32 v18, v11, v10, s2
	;; [unrolled: 1-line block ×4, first 2 shown]
	v_lshlrev_b32_e32 v37, 2, v25
	s_add_u32 s2, s3, s51
	v_or_b32_e32 v22, v22, v37
	s_addc_u32 s3, s4, s9
	v_lshlrev_b32_e32 v22, 1, v22
	s_ashr_i32 s47, s46, 31
	s_lshl_b64 s[2:3], s[2:3], 15
	ds_write2st64_b64 v22, v[18:19], v[20:21] offset0:80 offset1:88
	v_lshlrev_b32_e32 v22, 8, v25
	s_add_u32 s4, s16, s2
	v_or_b32_e32 v23, v23, v22
	s_addc_u32 s5, s17, s3
	s_lshl_b64 s[2:3], s[46:47], 8
	ds_write_b64 v23, v[18:19]
	v_or_b32_e32 v18, v24, v22
	s_add_u32 s2, s4, s2
	ds_write_b64 v18, v[20:21]
	v_lshrrev_b32_e32 v18, 4, v0
	s_addc_u32 s3, s5, s3
	v_lshlrev_b32_e32 v19, 1, v62
	v_lshlrev_b32_e32 v26, 4, v62
	v_mov_b32_e32 v27, 0
	v_or_b32_e32 v20, 1, v19
	v_xor_b32_e32 v19, v18, v19
	v_lshl_add_u64 v[28:29], s[2:3], 0, v[26:27]
	v_lshlrev_b32_e32 v26, 8, v18
	v_xor_b32_e32 v22, v20, v18
	v_lshl_or_b32 v18, v19, 3, v26
	s_waitcnt lgkmcnt(0)
	s_barrier
	ds_read2st64_b64 v[18:21], v18 offset1:8
	v_lshl_or_b32 v22, v22, 3, v26
	ds_read2st64_b64 v[22:25], v22 offset1:8
	v_lshl_add_u64 v[30:31], v[28:29], 0, v[26:27]
	s_movk_i32 s2, 0x1000
	s_waitcnt lgkmcnt(1)
	v_mov_b32_e32 v26, v18
	v_add_co_u32_e32 v18, vcc, s2, v30
	s_cmp_lg_u32 s56, 64
	v_mov_b32_e32 v27, v19
	v_addc_co_u32_e32 v19, vcc, 0, v31, vcc
	s_cselect_b64 s[14:15], -1, 0
	v_lshl_or_b32 v35, v58, 3, v64
	s_waitcnt lgkmcnt(0)
	v_mov_b32_e32 v28, v22
	v_mov_b32_e32 v29, v23
	;; [unrolled: 1-line block ×4, first 2 shown]
	s_mov_b32 s4, 0
	v_or_b32_e32 v38, 32, v35
	v_and_b32_e32 v36, 56, v63
	s_and_b64 vcc, exec, s[14:15]
	global_store_dwordx4 v[30:31], v[26:29], off
	global_store_dwordx4 v[18:19], v[22:25], off
	s_cbranch_vccz .LBB421_32
; %bb.27:
	s_mov_b32 s6, s4
	s_mov_b32 s7, s4
	;; [unrolled: 1-line block ×3, first 2 shown]
	v_mov_b64_e32 v[24:25], s[6:7]
	v_mov_b64_e32 v[22:23], s[4:5]
	;; [unrolled: 1-line block ×3, first 2 shown]
	v_cmp_gt_i32_e32 vcc, s56, v35
	v_mov_b64_e32 v[20:21], v[24:25]
	s_and_saveexec_b64 s[2:3], vcc
	s_cbranch_execz .LBB421_29
; %bb.28:
	v_lshlrev_b32_e32 v18, 8, v35
	v_mov_b32_e32 v19, 0
	v_lshl_add_u64 v[20:21], s[0:1], 0, v[18:19]
	v_lshlrev_b32_e32 v18, 1, v36
	v_lshl_add_u64 v[26:27], v[20:21], 0, v[18:19]
	global_load_dwordx4 v[22:25], v[26:27], off
	global_load_dwordx4 v[18:21], v[26:27], off offset:128
.LBB421_29:
	s_or_b64 exec, exec, s[2:3]
	s_mov_b32 s6, s4
	s_mov_b32 s7, s4
	;; [unrolled: 1-line block ×3, first 2 shown]
	v_mov_b64_e32 v[32:33], s[6:7]
	v_mov_b64_e32 v[30:31], s[4:5]
	;; [unrolled: 1-line block ×3, first 2 shown]
	v_cmp_gt_i32_e32 vcc, s56, v38
	v_lshlrev_b32_e32 v39, 7, v38
	v_mov_b64_e32 v[28:29], v[32:33]
	s_and_saveexec_b64 s[2:3], vcc
	s_cbranch_execz .LBB421_31
; %bb.30:
	v_lshlrev_b32_e32 v26, 1, v39
	v_mov_b32_e32 v27, 0
	v_lshl_add_u64 v[28:29], s[0:1], 0, v[26:27]
	v_lshlrev_b32_e32 v26, 1, v36
	v_lshl_add_u64 v[42:43], v[28:29], 0, v[26:27]
	global_load_dwordx4 v[30:33], v[42:43], off
	global_load_dwordx4 v[26:29], v[42:43], off offset:128
.LBB421_31:
	s_or_b64 exec, exec, s[2:3]
	v_lshrrev_b32_e32 v41, 3, v36
	v_lshlrev_b32_e32 v42, 3, v35
	v_or_b32_e32 v41, v42, v41
	v_lshlrev_b32_e32 v41, 4, v41
	v_and_b32_e32 v42, 0x78, v42
	v_xor_b32_e32 v41, v41, v42
	s_branch .LBB421_34
.LBB421_32:
                                        ; implicit-def: $vgpr41
                                        ; implicit-def: $vgpr39
                                        ; implicit-def: $vgpr22_vgpr23_vgpr24_vgpr25
                                        ; implicit-def: $vgpr18_vgpr19_vgpr20_vgpr21
                                        ; implicit-def: $vgpr30_vgpr31_vgpr32_vgpr33
                                        ; implicit-def: $vgpr26_vgpr27_vgpr28_vgpr29
	s_cbranch_execz .LBB421_34
; %bb.33:
	s_waitcnt vmcnt(0)
	v_lshlrev_b32_e32 v18, 1, v36
	v_lshl_or_b32 v39, v35, 8, v18
	s_and_b32 s1, s1, 0xffff
	s_mov_b32 s3, 0x20000
	s_movk_i32 s2, 0x4000
	v_lshl_or_b32 v41, v38, 8, v18
	s_movk_i32 s4, 0x80
	buffer_load_dwordx4 v[22:25], v39, s[0:3], 0 offen
	buffer_load_dwordx4 v[18:21], v39, s[0:3], s4 offen
	;; [unrolled: 1-line block ×4, first 2 shown]
	v_lshrrev_b32_e32 v39, 3, v36
	v_lshlrev_b32_e32 v41, 3, v35
	v_or_b32_e32 v39, v41, v39
	v_lshlrev_b32_e32 v39, 4, v39
	v_and_b32_e32 v41, 0x78, v41
	v_xor_b32_e32 v41, v39, v41
	v_lshlrev_b32_e32 v39, 7, v38
.LBB421_34:
	s_lshl_b64 s[0:1], s[48:49], 8
	s_add_u32 s4, s24, s0
	s_movk_i32 s0, 0x1000
	v_and_or_b32 v38, v39, s0, v41
	s_waitcnt vmcnt(1)
	ds_write_b64 v41, v[22:23] offset:24576
	v_xor_b32_e32 v22, 8, v41
	ds_write_b64 v22, v[24:25] offset:24576
	s_waitcnt vmcnt(0)
	ds_write_b64 v41, v[18:19] offset:32768
	ds_write_b64 v22, v[20:21] offset:32768
	;; [unrolled: 1-line block ×3, first 2 shown]
	v_xor_b32_e32 v18, 8, v38
	ds_write_b64 v18, v[32:33] offset:24576
	ds_write_b64 v38, v[26:27] offset:32768
	;; [unrolled: 1-line block ×3, first 2 shown]
	v_or_b32_e32 v18, v59, v62
	v_lshlrev_b32_e32 v18, 3, v18
	v_lshrrev_b32_e32 v19, 5, v60
	s_movk_i32 s7, 0xf8
	v_and_or_b32 v19, v18, s7, v19
	v_lshlrev_b32_e32 v23, 4, v19
	v_lshlrev_b32_e32 v41, 11, v58
	v_and_b32_e32 v24, 0x78, v18
	v_or_b32_e32 v26, 32, v23
	v_and_b32_e32 v22, 0x1000, v41
	v_lshrrev_b32_e32 v19, 1, v60
	v_xor_b32_e32 v26, v26, v24
	v_xor_b32_e32 v18, v23, v24
	v_and_b32_e32 v25, 8, v19
	v_or_b32_e32 v26, v26, v22
	v_or_b32_e32 v18, v18, v22
	v_xor_b32_e32 v45, v26, v25
	v_or_b32_e32 v26, 64, v23
	v_xor_b32_e32 v44, v18, v25
	v_xor_b32_e32 v26, v26, v24
	s_waitcnt lgkmcnt(0)
	s_barrier
	v_or_b32_e32 v28, v26, v22
	ds_read_b64 v[26:27], v44 offset:24576
	v_lshl_or_b32 v38, v61, 7, v40
	v_lshlrev_b32_e32 v42, 1, v38
	v_add_u32_e32 v18, 0xa000, v42
	ds_read2_b64 v[18:21], v18 offset1:16
	v_or_b32_e32 v23, 0x60, v23
	v_xor_b32_e32 v23, v23, v24
	s_waitcnt lgkmcnt(0)
	v_mfma_f32_16x16x16_bf16 a[0:3], v[26:27], v[18:19], 0
	v_or_b32_e32 v18, 64, v38
	v_or_b32_e32 v22, v23, v22
	v_lshlrev_b32_e32 v43, 1, v18
	v_xor_b32_e32 v46, v28, v25
	v_xor_b32_e32 v47, v22, v25
	ds_read_b64 v[28:29], v45 offset:24576
	ds_read_b64 v[30:31], v46 offset:24576
	;; [unrolled: 1-line block ×3, first 2 shown]
	v_mfma_f32_16x16x16_bf16 a[4:7], v[26:27], v[20:21], 0
	ds_read2st64_b64 v[18:21], v43 offset0:82 offset1:84
	ds_read2st64_b64 v[22:25], v42 offset0:82 offset1:84
	s_addc_u32 s5, s25, s1
	s_add_i32 s2, s45, -1
	s_add_i32 s0, s53, s52
	s_add_i32 s13, s0, s54
	s_mul_i32 s0, s51, s43
	s_mul_hi_u32 s1, s51, s42
	s_ashr_i32 s3, s2, 31
	s_mul_i32 s6, s2, s23
	s_mul_hi_u32 s7, s2, s22
	s_add_i32 s0, s1, s0
	s_mul_i32 s1, s9, s42
	s_add_i32 s6, s7, s6
	s_mul_i32 s3, s3, s22
	s_waitcnt lgkmcnt(1)
	v_mfma_f32_16x16x16_bf16 a[4:7], v[28:29], v[18:19], a[4:7]
	s_add_i32 s1, s0, s1
	s_add_i32 s3, s6, s3
	s_lshl_b64 s[6:7], s[12:13], 2
	s_waitcnt lgkmcnt(0)
	v_mfma_f32_16x16x16_bf16 a[0:3], v[28:29], v[22:23], a[0:3]
	s_mul_i32 s0, s51, s42
	s_add_u32 s6, s30, s6
	s_addc_u32 s7, s31, s7
	s_lshl_b64 s[0:1], s[0:1], 2
	s_mul_i32 s2, s2, s22
	s_add_u32 s12, s6, s0
	ds_read_b64 v[18:19], v42 offset:44032
	v_mfma_f32_16x16x16_bf16 a[4:7], v[30:31], v[20:21], a[4:7]
	ds_read_b64 v[20:21], v43 offset:44032
	s_addc_u32 s13, s7, s1
	s_lshl_b64 s[0:1], s[2:3], 2
	v_mfma_f32_16x16x16_bf16 a[0:3], v[30:31], v[24:25], a[0:3]
	s_add_u32 s0, s12, s0
	s_addc_u32 s1, s13, s1
	s_load_dword s16, s[0:1], 0x0
	s_waitcnt lgkmcnt(0)
	v_mfma_f32_16x16x16_bf16 a[0:3], v[32:33], v[18:19], a[0:3]
	s_and_b64 vcc, exec, s[40:41]
	v_mfma_f32_16x16x16_bf16 a[4:7], v[32:33], v[20:21], a[4:7]
	s_cbranch_vccz .LBB421_45
; %bb.35:
	v_lshlrev_b32_e32 v38, 1, v35
	s_and_b64 vcc, exec, s[14:15]
	s_cbranch_vccz .LBB421_46
; %bb.36:
	v_cmp_gt_i32_e32 vcc, s56, v38
	v_mov_b32_e32 v22, 0
	v_mov_b32_e32 v18, 0
	;; [unrolled: 1-line block ×5, first 2 shown]
	s_and_saveexec_b64 s[0:1], vcc
	s_cbranch_execz .LBB421_38
; %bb.37:
	v_mad_i64_i32 v[18:19], s[2:3], s39, v38, 0
	v_lshl_add_u64 v[18:19], v[18:19], 1, s[4:5]
	v_lshlrev_b32_e32 v20, 1, v36
	v_mov_b32_e32 v21, 0
	v_lshl_add_u64 v[18:19], v[18:19], 0, v[20:21]
	global_load_dwordx4 v[18:21], v[18:19], off
.LBB421_38:
	s_or_b64 exec, exec, s[0:1]
	v_or_b32_e32 v39, 1, v38
	v_cmp_gt_i32_e64 s[0:1], s56, v39
	v_mov_b32_e32 v23, 0
	v_mov_b32_e32 v24, 0
	;; [unrolled: 1-line block ×3, first 2 shown]
	s_and_saveexec_b64 s[2:3], s[0:1]
	s_cbranch_execz .LBB421_40
; %bb.39:
	v_mad_i64_i32 v[22:23], s[6:7], s39, v39, 0
	v_lshl_add_u64 v[22:23], v[22:23], 1, s[4:5]
	v_lshlrev_b32_e32 v24, 1, v36
	v_mov_b32_e32 v25, 0
	v_lshl_add_u64 v[22:23], v[22:23], 0, v[24:25]
	global_load_dwordx4 v[22:25], v[22:23], off
.LBB421_40:
	s_or_b64 exec, exec, s[2:3]
	v_mov_b32_e32 v33, 0
	v_mov_b32_e32 v26, 0
	;; [unrolled: 1-line block ×5, first 2 shown]
	s_and_saveexec_b64 s[2:3], vcc
	s_cbranch_execz .LBB421_42
; %bb.41:
	v_mad_i64_i32 v[26:27], s[6:7], s39, v38, 0
	v_lshl_add_u64 v[26:27], v[26:27], 1, s[4:5]
	v_lshlrev_b32_e32 v28, 1, v36
	v_mov_b32_e32 v29, 0
	v_lshl_add_u64 v[26:27], v[26:27], 0, v[28:29]
	global_load_dwordx4 v[26:29], v[26:27], off offset:128
.LBB421_42:
	s_or_b64 exec, exec, s[2:3]
	v_mov_b32_e32 v32, 0
	v_mov_b32_e32 v31, 0
	;; [unrolled: 1-line block ×3, first 2 shown]
	s_and_saveexec_b64 s[2:3], s[0:1]
	s_cbranch_execz .LBB421_44
; %bb.43:
	v_mad_i64_i32 v[30:31], s[0:1], s39, v39, 0
	v_lshl_add_u64 v[30:31], v[30:31], 1, s[4:5]
	v_lshlrev_b32_e32 v32, 1, v36
	v_mov_b32_e32 v33, 0
	v_lshl_add_u64 v[30:31], v[30:31], 0, v[32:33]
	global_load_dwordx4 v[30:33], v[30:31], off offset:128
.LBB421_44:
	s_or_b64 exec, exec, s[2:3]
	s_branch .LBB421_48
.LBB421_45:
                                        ; implicit-def: $vgpr21
                                        ; implicit-def: $vgpr25
                                        ; implicit-def: $vgpr29
                                        ; implicit-def: $vgpr33
	v_lshrrev_b32_e32 v48, 2, v60
	s_branch .LBB421_49
.LBB421_46:
                                        ; implicit-def: $vgpr21
                                        ; implicit-def: $vgpr25
                                        ; implicit-def: $vgpr29
                                        ; implicit-def: $vgpr33
	s_cbranch_execz .LBB421_48
; %bb.47:
	s_waitcnt vmcnt(0)
	v_mad_u64_u32 v[18:19], s[0:1], v38, s39, v[36:37]
	v_lshlrev_b32_e32 v38, 1, v18
	s_lshl_b32 s2, s39, 7
	s_and_b32 s1, s5, 0xffff
	s_mov_b32 s3, 0x20000
	s_mov_b32 s0, s4
	v_add_lshl_u32 v39, v18, s39, 1
	s_movk_i32 s6, 0x80
	buffer_load_dwordx4 v[18:21], v38, s[0:3], 0 offen
	buffer_load_dwordx4 v[26:29], v38, s[0:3], s6 offen
	;; [unrolled: 1-line block ×4, first 2 shown]
.LBB421_48:
	v_lshrrev_b32_e32 v48, 2, v60
	s_cbranch_execnz .LBB421_61
.LBB421_49:
	s_and_b64 vcc, exec, s[14:15]
	s_cbranch_vccz .LBB421_59
; %bb.50:
	s_waitcnt vmcnt(0)
	v_lshlrev_b32_e32 v23, 1, v35
	v_cmp_gt_i32_e32 vcc, s56, v23
	v_mov_b32_e32 v22, 0
	v_lshlrev_b32_e32 v30, 9, v35
	v_mov_b32_e32 v18, 0
	v_mov_b32_e32 v19, 0
	v_mov_b32_e32 v20, 0
	v_mov_b32_e32 v21, 0
	s_and_saveexec_b64 s[0:1], vcc
	s_cbranch_execz .LBB421_52
; %bb.51:
	v_mov_b32_e32 v31, 0
	v_lshl_add_u64 v[18:19], s[4:5], 0, v[30:31]
	v_lshlrev_b32_e32 v20, 1, v36
	v_mov_b32_e32 v21, v31
	v_lshl_add_u64 v[18:19], v[18:19], 0, v[20:21]
	global_load_dwordx4 v[18:21], v[18:19], off
.LBB421_52:
	s_or_b64 exec, exec, s[0:1]
	v_or_b32_e32 v23, 1, v23
	v_cmp_gt_i32_e64 s[0:1], s56, v23
	v_lshlrev_b32_e32 v38, 8, v23
	v_mov_b32_e32 v23, 0
	v_mov_b32_e32 v24, 0
	;; [unrolled: 1-line block ×3, first 2 shown]
	s_and_saveexec_b64 s[2:3], s[0:1]
	s_cbranch_execz .LBB421_54
; %bb.53:
	v_mov_b32_e32 v39, 0
	v_lshl_add_u64 v[22:23], s[4:5], 0, v[38:39]
	v_lshlrev_b32_e32 v24, 1, v36
	v_mov_b32_e32 v25, v39
	v_lshl_add_u64 v[22:23], v[22:23], 0, v[24:25]
	global_load_dwordx4 v[22:25], v[22:23], off
.LBB421_54:
	s_or_b64 exec, exec, s[2:3]
	v_mov_b32_e32 v33, 0
	v_mov_b32_e32 v26, 0
	;; [unrolled: 1-line block ×5, first 2 shown]
	s_and_saveexec_b64 s[2:3], vcc
	s_cbranch_execz .LBB421_56
; %bb.55:
	v_mov_b32_e32 v31, 0
	v_lshl_add_u64 v[26:27], s[4:5], 0, v[30:31]
	v_lshlrev_b32_e32 v30, 1, v36
	v_lshl_add_u64 v[26:27], v[26:27], 0, v[30:31]
	global_load_dwordx4 v[26:29], v[26:27], off offset:128
.LBB421_56:
	s_or_b64 exec, exec, s[2:3]
	v_mov_b32_e32 v32, 0
	v_mov_b32_e32 v31, 0
	;; [unrolled: 1-line block ×3, first 2 shown]
	s_and_saveexec_b64 s[2:3], s[0:1]
	s_cbranch_execz .LBB421_58
; %bb.57:
	v_mov_b32_e32 v39, 0
	v_lshl_add_u64 v[30:31], s[4:5], 0, v[38:39]
	v_lshlrev_b32_e32 v38, 1, v36
	v_lshl_add_u64 v[30:31], v[30:31], 0, v[38:39]
	global_load_dwordx4 v[30:33], v[30:31], off offset:128
.LBB421_58:
	s_or_b64 exec, exec, s[2:3]
	s_branch .LBB421_61
.LBB421_59:
                                        ; implicit-def: $vgpr21
                                        ; implicit-def: $vgpr25
                                        ; implicit-def: $vgpr29
                                        ; implicit-def: $vgpr33
	s_cbranch_execz .LBB421_61
; %bb.60:
	s_waitcnt vmcnt(0)
	v_lshlrev_b32_e32 v18, 1, v36
	v_lshl_or_b32 v36, v35, 9, v18
	s_and_b32 s5, s5, 0xffff
	s_mov_b32 s7, 0x20000
	s_movk_i32 s6, 0x4000
	s_movk_i32 s0, 0x80
	buffer_load_dwordx4 v[18:21], v36, s[4:7], 0 offen
	buffer_load_dwordx4 v[22:25], v36, s[4:7], 0 offen offset:256
	buffer_load_dwordx4 v[26:29], v36, s[4:7], s0 offen
	buffer_load_dwordx4 v[30:33], v36, s[4:7], s0 offen offset:256
.LBB421_61:
	ds_read_b64 v[38:39], v44 offset:32768
	v_add_u32_e32 v36, 0xb000, v42
	ds_read2_b64 v[50:53], v36 offset1:16
	ds_read_b64 v[54:55], v45 offset:32768
	ds_read_b64 v[56:57], v46 offset:32768
	;; [unrolled: 1-line block ×3, first 2 shown]
	v_and_b32_e32 v36, 6, v0
	v_xor_b32_e32 v35, v35, v36
	v_lshlrev_b32_e32 v35, 2, v35
	v_and_b32_e32 v49, 1, v0
	v_cmp_eq_u32_e32 vcc, 0, v49
	s_mov_b32 s0, 0x1000504
	s_waitcnt lgkmcnt(3)
	v_mfma_f32_16x16x16_bf16 a[0:3], v[38:39], v[50:51], a[0:3]
	s_mov_b32 s1, 0x3020706
	v_mfma_f32_16x16x16_bf16 a[4:7], v[38:39], v[52:53], a[4:7]
	ds_read2st64_b64 v[44:47], v42 offset0:90 offset1:92
	ds_read2st64_b64 v[50:53], v43 offset0:90 offset1:92
	s_waitcnt lgkmcnt(1)
	v_mfma_f32_16x16x16_bf16 a[0:3], v[54:55], v[44:45], a[0:3]
	ds_read_b64 v[38:39], v42 offset:48128
	ds_read_b64 v[44:45], v43 offset:48128
	s_waitcnt lgkmcnt(2)
	v_mfma_f32_16x16x16_bf16 a[4:7], v[54:55], v[50:51], a[4:7]
	v_mfma_f32_16x16x16_bf16 a[0:3], v[56:57], v[46:47], a[0:3]
	v_xor_b32_e32 v46, 0x440, v35
	v_cndmask_b32_e32 v35, v46, v35, vcc
	v_lshl_or_b32 v35, v36, 10, v35
	v_mfma_f32_16x16x16_bf16 a[8:11], v[56:57], v[52:53], a[4:7]
	s_waitcnt vmcnt(0)
	v_perm_b32 v36, v18, v22, s0
	v_perm_b32 v18, v18, v22, s1
	v_perm_b32 v22, v26, v30, s1
	s_waitcnt lgkmcnt(1)
	v_mfma_f32_16x16x16_bf16 a[4:7], v[60:61], v[38:39], a[0:3]
	v_perm_b32 v38, v26, v30, s0
	ds_write2st64_b32 v35, v36, v38 offset0:32 offset1:64
	v_xor_b32_e32 v36, 8, v35
	v_add_u32_e32 v26, 0x80, v36
	ds_write2st64_b32 v26, v18, v22 offset0:32 offset1:64
	v_xor_b32_e32 v18, 16, v35
	v_perm_b32 v22, v19, v23, s0
	v_perm_b32 v26, v27, v31, s0
	ds_write2st64_b32 v18, v22, v26 offset0:33 offset1:65
	v_xor_b32_e32 v18, 24, v35
	v_perm_b32 v19, v19, v23, s1
	v_perm_b32 v22, v27, v31, s1
	v_add_u32_e32 v18, 0x80, v18
	ds_write2st64_b32 v18, v19, v22 offset0:33 offset1:65
	v_xor_b32_e32 v18, 32, v35
	v_perm_b32 v19, v20, v24, s0
	v_perm_b32 v22, v28, v32, s0
	ds_write2st64_b32 v18, v19, v22 offset0:34 offset1:66
	v_xor_b32_e32 v18, 40, v35
	s_waitcnt lgkmcnt(5)
	v_mfma_f32_16x16x16_bf16 a[0:3], v[60:61], v[44:45], a[8:11]
	v_perm_b32 v19, v20, v24, s1
	v_perm_b32 v20, v28, v32, s1
	v_add_u32_e32 v18, 0x80, v18
	ds_write2st64_b32 v18, v19, v20 offset0:34 offset1:66
	v_xor_b32_e32 v18, 48, v35
	v_perm_b32 v19, v21, v25, s0
	v_perm_b32 v20, v29, v33, s0
	ds_write2st64_b32 v18, v19, v20 offset0:35 offset1:67
	v_xor_b32_e32 v18, 56, v35
	v_and_or_b32 v45, v48, 12, v59
	v_perm_b32 v19, v21, v25, s1
	v_perm_b32 v20, v29, v33, s1
	v_add_u32_e32 v18, 0x80, v18
	v_cmp_gt_i32_e64 s[0:1], s56, v45
	v_mov_b32_e32 v38, 0
	v_mov_b32_e32 v39, 0
	ds_write2st64_b32 v18, v19, v20 offset0:35 offset1:67
	s_and_saveexec_b64 s[2:3], s[0:1]
	s_cbranch_execz .LBB421_63
; %bb.62:
	v_add_u32_e32 v18, s8, v45
	v_ashrrev_i32_e32 v19, 31, v18
	v_mul_lo_u32 v20, v19, s22
	v_mul_lo_u32 v21, v18, s23
	v_mad_u64_u32 v[18:19], s[4:5], v18, s22, 0
	v_add3_u32 v19, v19, v21, v20
	v_lshl_add_u64 v[18:19], v[18:19], 2, s[12:13]
	global_load_dword v18, v[18:19], off
	s_waitcnt vmcnt(0)
	v_sub_f32_e32 v18, s16, v18
	v_exp_f32_e32 v39, v18
.LBB421_63:
	s_or_b64 exec, exec, s[2:3]
	v_or_b32_e32 v30, 1, v45
	v_cmp_gt_i32_e64 s[4:5], s56, v30
	s_and_saveexec_b64 s[2:3], s[4:5]
	s_cbranch_execz .LBB421_65
; %bb.64:
	v_add_u32_e32 v18, s8, v30
	v_ashrrev_i32_e32 v19, 31, v18
	v_mul_lo_u32 v20, v19, s22
	v_mul_lo_u32 v21, v18, s23
	v_mad_u64_u32 v[18:19], s[6:7], v18, s22, 0
	v_add3_u32 v19, v19, v21, v20
	v_lshl_add_u64 v[18:19], v[18:19], 2, s[12:13]
	global_load_dword v18, v[18:19], off
	s_waitcnt vmcnt(0)
	v_sub_f32_e32 v18, s16, v18
	v_exp_f32_e32 v38, v18
.LBB421_65:
	s_or_b64 exec, exec, s[2:3]
	v_or_b32_e32 v28, 2, v45
	v_cmp_gt_i32_e64 s[2:3], s56, v28
	v_mov_b32_e32 v36, 0
	v_mov_b32_e32 v44, 0
	s_and_saveexec_b64 s[6:7], s[2:3]
	s_cbranch_execz .LBB421_67
; %bb.66:
	v_add_u32_e32 v18, s8, v28
	v_ashrrev_i32_e32 v19, 31, v18
	v_mul_lo_u32 v20, v19, s22
	v_mul_lo_u32 v21, v18, s23
	v_mad_u64_u32 v[18:19], s[14:15], v18, s22, 0
	v_add3_u32 v19, v19, v21, v20
	v_lshl_add_u64 v[18:19], v[18:19], 2, s[12:13]
	global_load_dword v18, v[18:19], off
	s_waitcnt vmcnt(0)
	v_sub_f32_e32 v18, s16, v18
	v_exp_f32_e32 v44, v18
.LBB421_67:
	s_or_b64 exec, exec, s[6:7]
	v_or_b32_e32 v29, 3, v45
	v_cmp_gt_i32_e32 vcc, s56, v29
	s_and_saveexec_b64 s[6:7], vcc
	s_cbranch_execz .LBB421_69
; %bb.68:
	v_add_u32_e32 v18, s8, v29
	v_ashrrev_i32_e32 v19, 31, v18
	v_mul_lo_u32 v20, v19, s22
	v_mul_lo_u32 v21, v18, s23
	v_mad_u64_u32 v[18:19], s[14:15], v18, s22, 0
	v_add3_u32 v19, v19, v21, v20
	v_lshl_add_u64 v[18:19], v[18:19], 2, s[12:13]
	global_load_dword v18, v[18:19], off
	s_waitcnt vmcnt(0)
	v_sub_f32_e32 v18, s16, v18
	v_exp_f32_e32 v36, v18
.LBB421_69:
	s_or_b64 exec, exec, s[6:7]
	s_add_u32 s6, s28, s10
	s_addc_u32 s7, s29, s11
	s_add_u32 s10, s18, s10
	v_ashrrev_i32_e32 v35, 31, v34
	v_accvgpr_read_b32 v21, a7
	s_addc_u32 s11, s19, s11
	v_lshlrev_b64 v[22:23], 1, v[34:35]
	v_accvgpr_read_b32 v20, a6
	v_accvgpr_read_b32 v19, a5
	;; [unrolled: 1-line block ×3, first 2 shown]
	v_lshl_add_u64 v[24:25], s[6:7], 0, v[22:23]
	v_lshl_add_u64 v[22:23], s[10:11], 0, v[22:23]
	v_mov_b32_e32 v31, 0
	v_lshlrev_b32_e32 v26, 8, v45
	v_mov_b32_e32 v27, 0
	s_and_saveexec_b64 s[6:7], s[0:1]
	s_cbranch_execz .LBB421_71
; %bb.70:
	v_mov_b32_e32 v27, 0
	v_lshl_add_u64 v[32:33], v[24:25], 0, v[26:27]
	global_load_ushort v35, v[32:33], off
	v_lshl_add_u64 v[32:33], v[22:23], 0, v[26:27]
	s_waitcnt vmcnt(0)
	v_lshlrev_b32_e32 v27, 16, v35
	v_sub_f32_e32 v18, v27, v18
	global_store_short_d16_hi v[32:33], v18, off
	v_mul_f32_e32 v18, v39, v18
	v_lshrrev_b32_e32 v27, 16, v18
.LBB421_71:
	s_or_b64 exec, exec, s[6:7]
	v_lshlrev_b32_e32 v30, 8, v30
	s_and_saveexec_b64 s[6:7], s[4:5]
	s_cbranch_execz .LBB421_73
; %bb.72:
	v_mov_b32_e32 v31, 0
	v_lshl_add_u64 v[32:33], v[24:25], 0, v[30:31]
	global_load_ushort v18, v[32:33], off
	v_lshl_add_u64 v[32:33], v[22:23], 0, v[30:31]
	s_waitcnt vmcnt(0)
	v_lshlrev_b32_e32 v18, 16, v18
	v_sub_f32_e32 v18, v18, v19
	global_store_short_d16_hi v[32:33], v18, off
	v_mul_f32_e32 v18, v38, v18
	v_lshrrev_b32_e32 v31, 16, v18
.LBB421_73:
	s_or_b64 exec, exec, s[6:7]
	v_mov_b32_e32 v46, 0
	v_lshlrev_b32_e32 v32, 8, v28
	v_mov_b32_e32 v33, 0
	s_and_saveexec_b64 s[6:7], s[2:3]
	s_cbranch_execz .LBB421_75
; %bb.74:
	v_mov_b32_e32 v33, 0
	v_lshl_add_u64 v[18:19], v[24:25], 0, v[32:33]
	global_load_ushort v28, v[18:19], off
	v_lshl_add_u64 v[18:19], v[22:23], 0, v[32:33]
	s_waitcnt vmcnt(0)
	v_lshlrev_b32_e32 v28, 16, v28
	v_sub_f32_e32 v20, v28, v20
	global_store_short_d16_hi v[18:19], v20, off
	v_mul_f32_e32 v18, v44, v20
	v_lshrrev_b32_e32 v33, 16, v18
.LBB421_75:
	s_or_b64 exec, exec, s[6:7]
	v_lshlrev_b32_e32 v28, 8, v29
	s_and_saveexec_b64 s[6:7], vcc
	s_cbranch_execz .LBB421_77
; %bb.76:
	v_mov_b32_e32 v29, 0
	v_lshl_add_u64 v[18:19], v[24:25], 0, v[28:29]
	global_load_ushort v20, v[18:19], off
	v_lshl_add_u64 v[18:19], v[22:23], 0, v[28:29]
	s_waitcnt vmcnt(0)
	v_lshlrev_b32_e32 v20, 16, v20
	v_sub_f32_e32 v20, v20, v21
	global_store_short_d16_hi v[18:19], v20, off
	v_mul_f32_e32 v18, v36, v20
	v_lshrrev_b32_e32 v46, 16, v18
.LBB421_77:
	s_or_b64 exec, exec, s[6:7]
	v_lshlrev_b32_e32 v35, 5, v45
	s_mov_b32 s6, 0x5040100
	v_perm_b32 v47, v46, v33, s6
	v_perm_b32 v46, v31, v27, s6
	v_or_b32_e32 v27, v35, v40
	v_accvgpr_read_b32 v21, a3
	v_lshlrev_b32_e32 v27, 1, v27
	v_accvgpr_read_b32 v20, a2
	v_accvgpr_read_b32 v19, a1
	;; [unrolled: 1-line block ×3, first 2 shown]
	ds_write_b64 v27, v[46:47] offset:45056
	v_mov_b32_e32 v31, 0
	v_mov_b32_e32 v27, 0
	s_and_saveexec_b64 s[6:7], s[0:1]
	s_cbranch_execz .LBB421_79
; %bb.78:
	v_mov_b32_e32 v27, 0
	v_lshl_add_u64 v[46:47], v[24:25], 0, v[26:27]
	global_load_ushort v29, v[46:47], off offset:32
	v_lshl_add_u64 v[26:27], v[22:23], 0, v[26:27]
	s_waitcnt vmcnt(0)
	v_lshlrev_b32_e32 v29, 16, v29
	v_sub_f32_e32 v18, v29, v18
	global_store_short_d16_hi v[26:27], v18, off offset:32
	v_mul_f32_e32 v18, v39, v18
	v_lshrrev_b32_e32 v27, 16, v18
.LBB421_79:
	s_or_b64 exec, exec, s[6:7]
	s_and_saveexec_b64 s[0:1], s[4:5]
	s_cbranch_execz .LBB421_81
; %bb.80:
	v_mov_b32_e32 v31, 0
	v_lshl_add_u64 v[46:47], v[24:25], 0, v[30:31]
	global_load_ushort v18, v[46:47], off offset:32
	v_lshl_add_u64 v[30:31], v[22:23], 0, v[30:31]
	s_waitcnt vmcnt(0)
	v_lshlrev_b32_e32 v18, 16, v18
	v_sub_f32_e32 v18, v18, v19
	global_store_short_d16_hi v[30:31], v18, off offset:32
	v_mul_f32_e32 v18, v38, v18
	v_lshrrev_b32_e32 v31, 16, v18
.LBB421_81:
	s_or_b64 exec, exec, s[0:1]
	v_mov_b32_e32 v26, 0
	v_mov_b32_e32 v30, 0
	s_and_saveexec_b64 s[0:1], s[2:3]
	s_cbranch_execz .LBB421_83
; %bb.82:
	v_mov_b32_e32 v33, 0
	v_lshl_add_u64 v[18:19], v[24:25], 0, v[32:33]
	global_load_ushort v29, v[18:19], off offset:32
	v_lshl_add_u64 v[18:19], v[22:23], 0, v[32:33]
	s_waitcnt vmcnt(0)
	v_lshlrev_b32_e32 v29, 16, v29
	v_sub_f32_e32 v20, v29, v20
	global_store_short_d16_hi v[18:19], v20, off offset:32
	v_mul_f32_e32 v18, v44, v20
	v_lshrrev_b32_e32 v30, 16, v18
.LBB421_83:
	s_or_b64 exec, exec, s[0:1]
	v_or_b32_e32 v19, 0xb000, v42
	v_or_b32_e32 v18, 0xb000, v43
	s_and_saveexec_b64 s[0:1], vcc
	s_cbranch_execz .LBB421_85
; %bb.84:
	v_mov_b32_e32 v29, 0
	v_lshl_add_u64 v[24:25], v[24:25], 0, v[28:29]
	global_load_ushort v20, v[24:25], off offset:32
	v_lshl_add_u64 v[22:23], v[22:23], 0, v[28:29]
	s_waitcnt vmcnt(0)
	v_lshlrev_b32_e32 v20, 16, v20
	v_sub_f32_e32 v20, v20, v21
	global_store_short_d16_hi v[22:23], v20, off offset:32
	v_mul_f32_e32 v20, v36, v20
	v_lshrrev_b32_e32 v26, 16, v20
.LBB421_85:
	s_or_b64 exec, exec, s[0:1]
	s_mov_b32 s0, 0x5040100
	v_or_b32_e32 v22, v35, v37
	v_perm_b32 v21, v26, v30, s0
	v_perm_b32 v20, v31, v27, s0
	v_lshlrev_b32_e32 v22, 1, v22
	s_movk_i32 s0, 0x100
	ds_write_b64 v22, v[20:21] offset:45056
	v_and_b32_e32 v20, 7, v0
	v_and_b32_e32 v21, 8, v0
	v_cmp_gt_u32_e32 vcc, s0, v0
	v_lshrrev_b32_e32 v0, 1, v0
	v_lshlrev_b32_e32 v35, 3, v20
	v_lshlrev_b32_e32 v36, 7, v20
	v_mov_b32_e32 v20, 0x4000
	v_mov_b32_e32 v22, 0x2000
	v_lshlrev_b32_e32 v38, 3, v58
	v_and_b32_e32 v0, 24, v0
	v_cndmask_b32_e32 v37, v20, v22, vcc
	v_xor_b32_e32 v20, v38, v0
	v_or_b32_e32 v26, 32, v0
	v_or_b32_e32 v22, 0x440, v20
	v_cmp_eq_u32_e32 vcc, 0, v21
	v_xor_b32_e32 v26, v38, v26
	v_or_b32_e32 v27, 0x440, v26
	v_cndmask_b32_e32 v20, v22, v20, vcc
	v_or_b32_e32 v20, v20, v41
	v_cndmask_b32_e32 v26, v27, v26, vcc
	v_xad_u32 v40, v20, v35, v36
	v_or_b32_e32 v26, v26, v41
	v_add_u32_e32 v20, v37, v40
	v_xad_u32 v42, v26, v35, v36
	s_waitcnt lgkmcnt(0)
	s_barrier
	ds_read_b64 v[24:25], v20
	ds_read2_b64 v[20:23], v19 offset1:16
	v_add_u32_e32 v26, v37, v42
	ds_read_b64 v[32:33], v26
	s_waitcnt lgkmcnt(1)
	v_mfma_f32_16x16x16_bf16 a[0:3], v[24:25], v[20:21], 0
	ds_read2st64_b64 v[28:31], v18 offset0:2 offset1:4
	v_mfma_f32_16x16x16_bf16 a[4:7], v[24:25], v[22:23], 0
	ds_read2st64_b64 v[24:27], v19 offset0:2 offset1:4
	s_waitcnt lgkmcnt(0)
	v_mfma_f32_16x16x16_bf16 a[0:3], v[32:33], v[24:25], a[0:3]
	v_mfma_f32_16x16x16_bf16 a[4:7], v[32:33], v[28:29], a[4:7]
	v_or_b32_e32 v32, 64, v0
	v_xor_b32_e32 v32, v38, v32
	v_xor_b32_e32 v33, 0x440, v32
	v_cndmask_b32_e32 v32, v33, v32, vcc
	v_or_b32_e32 v32, v32, v41
	v_xad_u32 v43, v32, v35, v36
	v_add_u32_e32 v32, v37, v43
	ds_read_b64 v[32:33], v32
	v_or_b32_e32 v0, 0x60, v0
	v_xor_b32_e32 v0, v38, v0
	v_xor_b32_e32 v38, 0x440, v0
	v_cndmask_b32_e32 v0, v38, v0, vcc
	v_or_b32_e32 v0, v0, v41
	v_xad_u32 v0, v0, v35, v36
	v_add_u32_e32 v35, v37, v0
	ds_read_b64 v[36:37], v35
	s_waitcnt lgkmcnt(1)
	v_mfma_f32_16x16x16_bf16 a[0:3], v[32:33], v[26:27], a[0:3]
	v_exp_f32_e32 v35, s16
	v_mfma_f32_16x16x16_bf16 a[4:7], v[32:33], v[30:31], a[4:7]
	ds_read_b64 v[32:33], v19 offset:3072
	ds_read_b64 v[38:39], v18 offset:3072
	;; [unrolled: 1-line block ×3, first 2 shown]
	s_waitcnt lgkmcnt(0)
	v_mfma_f32_16x16x16_bf16 a[8:11], v[18:19], v[20:21], 0
	ds_read_b64 v[20:21], v42 offset:16384
	v_mfma_f32_16x16x16_bf16 a[0:3], v[36:37], v[32:33], a[0:3]
	v_mfma_f32_16x16x16_bf16 a[12:15], v[18:19], v[22:23], 0
	ds_read_b64 v[22:23], v43 offset:16384
	s_nop 4
	v_accvgpr_read_b32 v18, a0
	v_fma_f32 v18, v2, v35, v18
	v_accvgpr_read_b32 v2, a1
	v_fma_f32 v19, v3, v35, v2
	v_accvgpr_read_b32 v2, a2
	s_waitcnt lgkmcnt(1)
	v_mfma_f32_16x16x16_bf16 a[8:11], v[20:21], v[24:25], a[8:11]
	v_mfma_f32_16x16x16_bf16 a[12:15], v[20:21], v[28:29], a[12:15]
	v_fma_f32 v20, v4, v35, v2
	ds_read_b64 v[2:3], v0 offset:16384
	v_accvgpr_read_b32 v21, a3
	s_waitcnt lgkmcnt(1)
	v_mfma_f32_16x16x16_bf16 a[0:3], v[22:23], v[26:27], a[8:11]
	v_fmac_f32_e32 v21, v5, v35
	v_mfma_f32_16x16x16_bf16 a[4:7], v[36:37], v[38:39], a[4:7]
	v_mfma_f32_16x16x16_bf16 a[8:11], v[22:23], v[30:31], a[12:15]
	s_waitcnt lgkmcnt(0)
	v_mfma_f32_16x16x16_bf16 a[0:3], v[2:3], v[32:33], a[0:3]
	s_nop 3
	v_accvgpr_read_b32 v0, a4
	v_fma_f32 v26, v10, v35, v0
	v_accvgpr_read_b32 v0, a5
	v_fma_f32 v27, v11, v35, v0
	v_accvgpr_read_b32 v0, a6
	v_accvgpr_read_b32 v29, a7
	v_mfma_f32_16x16x16_bf16 a[4:7], v[2:3], v[38:39], a[8:11]
	v_fma_f32 v28, v12, v35, v0
	v_accvgpr_read_b32 v0, a0
	v_fma_f32 v22, v6, v35, v0
	v_accvgpr_read_b32 v0, a1
	;; [unrolled: 2-line block ×5, first 2 shown]
	v_accvgpr_read_b32 v25, a3
	v_fma_f32 v31, v15, v35, v0
	v_accvgpr_read_b32 v0, a6
	v_accvgpr_read_b32 v33, a7
	v_fmac_f32_e32 v29, v13, v35
	v_fmac_f32_e32 v25, v9, v35
	v_fma_f32 v32, v16, v35, v0
	v_fmac_f32_e32 v33, v17, v35
	v_mov_b64_e32 v[2:3], v[18:19]
	v_mov_b64_e32 v[4:5], v[20:21]
	;; [unrolled: 1-line block ×8, first 2 shown]
	v_mov_b32_e32 v18, v34
.LBB421_86:
	s_mul_i32 s0, s33, s35
	s_mul_hi_u32 s1, s33, s34
	s_add_i32 s0, s1, s0
	s_mul_i32 s1, s50, s34
	s_add_i32 s1, s0, s1
	s_mul_i32 s0, s33, s34
	s_add_u32 s0, s0, s51
	s_addc_u32 s1, s1, s9
	s_lshl_b64 s[0:1], s[0:1], 16
	s_add_u32 s0, s20, s0
	v_lshlrev_b32_e32 v18, 7, v18
	s_addc_u32 s1, s21, s1
	v_ashrrev_i32_e32 v19, 31, v18
	v_lshl_add_u64 v[20:21], v[18:19], 2, s[0:1]
	v_lshlrev_b32_e32 v0, 2, v1
	v_mov_b32_e32 v1, 0
	v_lshl_add_u64 v[20:21], v[20:21], 0, v[0:1]
	global_store_dwordx4 v[20:21], v[2:5], off
	global_store_dwordx4 v[20:21], v[6:9], off offset:256
	s_nop 0
	v_or_b32_e32 v2, 0x800, v18
	v_ashrrev_i32_e32 v3, 31, v2
	v_lshl_add_u64 v[2:3], v[2:3], 2, s[0:1]
	v_lshl_add_u64 v[0:1], v[2:3], 0, v[0:1]
	global_store_dwordx4 v[0:1], v[10:13], off
	global_store_dwordx4 v[0:1], v[14:17], off offset:256
	s_endpgm
	.section	.rodata,"a",@progbits
	.p2align	6, 0x0
	.amdhsa_kernel _ZN12_GLOBAL__N_139chunk_gated_delta_rule_fwd_h_hip_kernelILi32ELb0ELb1ELb1ELb1ELb1ELb0ELb1ELb0EEEvPK12hip_bfloat16S3_S3_PKfS5_PKvPS1_S8_PvPKiSB_iiiiilll
		.amdhsa_group_segment_fixed_size 49152
		.amdhsa_private_segment_fixed_size 0
		.amdhsa_kernarg_size 136
		.amdhsa_user_sgpr_count 2
		.amdhsa_user_sgpr_dispatch_ptr 0
		.amdhsa_user_sgpr_queue_ptr 0
		.amdhsa_user_sgpr_kernarg_segment_ptr 1
		.amdhsa_user_sgpr_dispatch_id 0
		.amdhsa_user_sgpr_kernarg_preload_length 0
		.amdhsa_user_sgpr_kernarg_preload_offset 0
		.amdhsa_user_sgpr_private_segment_size 0
		.amdhsa_uses_dynamic_stack 0
		.amdhsa_enable_private_segment 0
		.amdhsa_system_sgpr_workgroup_id_x 1
		.amdhsa_system_sgpr_workgroup_id_y 1
		.amdhsa_system_sgpr_workgroup_id_z 0
		.amdhsa_system_sgpr_workgroup_info 0
		.amdhsa_system_vgpr_workitem_id 0
		.amdhsa_next_free_vgpr 148
		.amdhsa_next_free_sgpr 68
		.amdhsa_accum_offset 132
		.amdhsa_reserve_vcc 1
		.amdhsa_float_round_mode_32 0
		.amdhsa_float_round_mode_16_64 0
		.amdhsa_float_denorm_mode_32 3
		.amdhsa_float_denorm_mode_16_64 3
		.amdhsa_dx10_clamp 1
		.amdhsa_ieee_mode 1
		.amdhsa_fp16_overflow 0
		.amdhsa_tg_split 0
		.amdhsa_exception_fp_ieee_invalid_op 0
		.amdhsa_exception_fp_denorm_src 0
		.amdhsa_exception_fp_ieee_div_zero 0
		.amdhsa_exception_fp_ieee_overflow 0
		.amdhsa_exception_fp_ieee_underflow 0
		.amdhsa_exception_fp_ieee_inexact 0
		.amdhsa_exception_int_div_zero 0
	.end_amdhsa_kernel
	.section	.text._ZN12_GLOBAL__N_139chunk_gated_delta_rule_fwd_h_hip_kernelILi32ELb0ELb1ELb1ELb1ELb1ELb0ELb1ELb0EEEvPK12hip_bfloat16S3_S3_PKfS5_PKvPS1_S8_PvPKiSB_iiiiilll,"axG",@progbits,_ZN12_GLOBAL__N_139chunk_gated_delta_rule_fwd_h_hip_kernelILi32ELb0ELb1ELb1ELb1ELb1ELb0ELb1ELb0EEEvPK12hip_bfloat16S3_S3_PKfS5_PKvPS1_S8_PvPKiSB_iiiiilll,comdat
.Lfunc_end421:
	.size	_ZN12_GLOBAL__N_139chunk_gated_delta_rule_fwd_h_hip_kernelILi32ELb0ELb1ELb1ELb1ELb1ELb0ELb1ELb0EEEvPK12hip_bfloat16S3_S3_PKfS5_PKvPS1_S8_PvPKiSB_iiiiilll, .Lfunc_end421-_ZN12_GLOBAL__N_139chunk_gated_delta_rule_fwd_h_hip_kernelILi32ELb0ELb1ELb1ELb1ELb1ELb0ELb1ELb0EEEvPK12hip_bfloat16S3_S3_PKfS5_PKvPS1_S8_PvPKiSB_iiiiilll
                                        ; -- End function
	.section	.AMDGPU.csdata,"",@progbits
; Kernel info:
; codeLenInByte = 9488
; NumSgprs: 74
; NumVgprs: 132
; NumAgprs: 16
; TotalNumVgprs: 148
; ScratchSize: 0
; MemoryBound: 0
; FloatMode: 240
; IeeeMode: 1
; LDSByteSize: 49152 bytes/workgroup (compile time only)
; SGPRBlocks: 9
; VGPRBlocks: 18
; NumSGPRsForWavesPerEU: 74
; NumVGPRsForWavesPerEU: 148
; AccumOffset: 132
; Occupancy: 1
; WaveLimiterHint : 1
; COMPUTE_PGM_RSRC2:SCRATCH_EN: 0
; COMPUTE_PGM_RSRC2:USER_SGPR: 2
; COMPUTE_PGM_RSRC2:TRAP_HANDLER: 0
; COMPUTE_PGM_RSRC2:TGID_X_EN: 1
; COMPUTE_PGM_RSRC2:TGID_Y_EN: 1
; COMPUTE_PGM_RSRC2:TGID_Z_EN: 0
; COMPUTE_PGM_RSRC2:TIDIG_COMP_CNT: 0
; COMPUTE_PGM_RSRC3_GFX90A:ACCUM_OFFSET: 32
; COMPUTE_PGM_RSRC3_GFX90A:TG_SPLIT: 0
	.section	.text._ZN12_GLOBAL__N_139chunk_gated_delta_rule_fwd_h_hip_kernelILi32ELb0ELb1ELb0ELb1ELb1ELb0ELb1ELb0EEEvPK12hip_bfloat16S3_S3_PKfS5_PKvPS1_S8_PvPKiSB_iiiiilll,"axG",@progbits,_ZN12_GLOBAL__N_139chunk_gated_delta_rule_fwd_h_hip_kernelILi32ELb0ELb1ELb0ELb1ELb1ELb0ELb1ELb0EEEvPK12hip_bfloat16S3_S3_PKfS5_PKvPS1_S8_PvPKiSB_iiiiilll,comdat
	.globl	_ZN12_GLOBAL__N_139chunk_gated_delta_rule_fwd_h_hip_kernelILi32ELb0ELb1ELb0ELb1ELb1ELb0ELb1ELb0EEEvPK12hip_bfloat16S3_S3_PKfS5_PKvPS1_S8_PvPKiSB_iiiiilll ; -- Begin function _ZN12_GLOBAL__N_139chunk_gated_delta_rule_fwd_h_hip_kernelILi32ELb0ELb1ELb0ELb1ELb1ELb0ELb1ELb0EEEvPK12hip_bfloat16S3_S3_PKfS5_PKvPS1_S8_PvPKiSB_iiiiilll
	.p2align	8
	.type	_ZN12_GLOBAL__N_139chunk_gated_delta_rule_fwd_h_hip_kernelILi32ELb0ELb1ELb0ELb1ELb1ELb0ELb1ELb0EEEvPK12hip_bfloat16S3_S3_PKfS5_PKvPS1_S8_PvPKiSB_iiiiilll,@function
_ZN12_GLOBAL__N_139chunk_gated_delta_rule_fwd_h_hip_kernelILi32ELb0ELb1ELb0ELb1ELb1ELb0ELb1ELb0EEEvPK12hip_bfloat16S3_S3_PKfS5_PKvPS1_S8_PvPKiSB_iiiiilll: ; @_ZN12_GLOBAL__N_139chunk_gated_delta_rule_fwd_h_hip_kernelILi32ELb0ELb1ELb0ELb1ELb1ELb0ELb1ELb0EEEvPK12hip_bfloat16S3_S3_PKfS5_PKvPS1_S8_PvPKiSB_iiiiilll
; %bb.0:
	s_load_dwordx4 s[28:31], s[0:1], 0x5c
	s_load_dwordx2 s[4:5], s[0:1], 0x50
	s_abs_i32 s7, s3
	s_ashr_i32 s6, s3, 31
	s_load_dwordx8 s[16:23], s[0:1], 0x0
	s_load_dwordx4 s[24:27], s[0:1], 0x40
	s_load_dwordx2 s[42:43], s[0:1], 0x30
	s_waitcnt lgkmcnt(0)
	s_abs_i32 s10, s29
	v_cvt_f32_u32_e32 v1, s10
	s_sub_i32 s8, 0, s10
	s_ashr_i32 s48, s29, 31
	s_xor_b32 s6, s6, s48
	v_rcp_iflag_f32_e32 v1, v1
	v_lshrrev_b32_e32 v56, 6, v0
	v_bfe_u32 v59, v0, 4, 2
	v_lshlrev_b32_e32 v57, 4, v56
	v_mul_f32_e32 v1, 0x4f7ffffe, v1
	v_cvt_u32_f32_e32 v1, v1
	v_lshlrev_b32_e32 v18, 2, v59
	v_and_b32_e32 v58, 63, v0
	s_mov_b32 s33, s29
	v_readfirstlane_b32 s9, v1
	s_mul_i32 s8, s8, s9
	s_mul_hi_u32 s8, s9, s8
	s_add_i32 s9, s9, s8
	s_mul_hi_u32 s8, s7, s9
	s_mul_i32 s9, s8, s10
	s_sub_i32 s7, s7, s9
	s_add_i32 s9, s8, 1
	s_sub_i32 s11, s7, s10
	s_cmp_ge_u32 s7, s10
	s_cselect_b32 s8, s9, s8
	s_cselect_b32 s7, s11, s7
	s_add_i32 s9, s8, 1
	s_cmp_ge_u32 s7, s10
	s_cselect_b32 s7, s9, s8
	s_xor_b32 s7, s7, s6
	s_sub_i32 s34, s7, s6
	s_mul_i32 s6, s34, s29
	s_ashr_i32 s35, s34, 31
	s_sub_i32 s49, s3, s6
	s_lshl_b64 s[6:7], s[34:35], 2
	s_add_u32 s8, s26, s6
	s_addc_u32 s9, s27, s7
	s_add_u32 s4, s4, s6
	s_addc_u32 s5, s5, s7
	s_abs_i32 s3, s30
	v_cvt_f32_u32_e32 v1, s3
	s_load_dwordx2 s[40:41], s[8:9], 0x0
	s_load_dwordx2 s[26:27], s[0:1], 0x80
	s_load_dwordx4 s[36:39], s[0:1], 0x70
	s_sub_i32 s1, 0, s3
	v_rcp_iflag_f32_e32 v1, v1
	s_load_dword s55, s[4:5], 0x0
	s_waitcnt lgkmcnt(0)
	s_sub_i32 s46, s41, s40
	s_ashr_i32 s0, s46, 31
	v_mul_f32_e32 v1, 0x4f7ffffe, v1
	v_cvt_u32_f32_e32 v1, v1
	s_lshr_b32 s0, s0, 26
	s_add_i32 s0, s46, s0
	s_ashr_i32 s53, s0, 6
	v_readfirstlane_b32 s6, v1
	s_mul_i32 s1, s1, s6
	s_mul_hi_u32 s1, s6, s1
	s_add_i32 s6, s6, s1
	s_mul_hi_u32 s1, s10, s6
	s_mul_i32 s6, s1, s3
	s_ashr_i32 s0, s30, 31
	s_sub_i32 s6, s10, s6
	s_xor_b32 s0, s48, s0
	s_add_i32 s7, s1, 1
	s_sub_i32 s8, s6, s3
	s_cmp_ge_u32 s6, s3
	s_cselect_b32 s1, s7, s1
	s_cselect_b32 s6, s8, s6
	s_add_i32 s7, s1, 1
	s_cmp_ge_u32 s6, s3
	s_cselect_b32 s1, s7, s1
	s_xor_b32 s1, s1, s0
	s_sub_i32 s1, s1, s0
	s_abs_i32 s3, s1
	v_cvt_f32_u32_e32 v1, s3
	s_sub_i32 s5, 0, s3
	s_abs_i32 s4, s49
	s_xor_b32 s1, s49, s1
	v_rcp_iflag_f32_e32 v1, v1
	s_ashr_i32 s1, s1, 31
	s_mov_b32 s0, 0
	s_mov_b32 s14, s0
	v_mul_f32_e32 v1, 0x4f7ffffe, v1
	v_cvt_u32_f32_e32 v1, v1
	s_mov_b32 s15, s0
	s_mov_b32 s8, s0
	s_mov_b32 s9, s0
	v_readfirstlane_b32 s6, v1
	s_mul_i32 s5, s5, s6
	s_mul_hi_u32 s5, s6, s5
	s_add_i32 s6, s6, s5
	s_mul_hi_u32 s5, s4, s6
	s_mul_i32 s6, s5, s3
	s_sub_i32 s4, s4, s6
	s_add_i32 s6, s5, 1
	s_sub_i32 s7, s4, s3
	s_cmp_ge_u32 s4, s3
	s_cselect_b32 s5, s6, s5
	s_cselect_b32 s4, s7, s4
	s_add_i32 s6, s5, 1
	s_cmp_ge_u32 s4, s3
	s_cselect_b32 s3, s6, s5
	s_xor_b32 s3, s3, s1
	s_sub_i32 s56, s3, s1
	v_or_b32_e32 v1, v18, v57
	s_lshl_b32 s44, s2, 5
	s_mov_b32 s1, s0
	s_mov_b32 s2, s0
	;; [unrolled: 1-line block ×11, first 2 shown]
	v_mov_b64_e32 v[16:17], s[14:15]
	v_and_b32_e32 v60, 15, v0
	v_or_b32_e32 v63, 64, v1
	s_cmp_lt_i32 s46, 64
	v_mov_b64_e32 v[14:15], s[12:13]
	v_mov_b64_e32 v[12:13], s[10:11]
	v_mov_b64_e32 v[10:11], s[8:9]
	v_mov_b64_e32 v[8:9], s[6:7]
	v_mov_b64_e32 v[6:7], s[4:5]
	v_mov_b64_e32 v[4:5], s[2:3]
	v_mov_b64_e32 v[2:3], s[0:1]
	s_mul_hi_i32 s57, s49, s28
	s_mul_i32 s58, s49, s28
	v_lshrrev_b32_e32 v62, 3, v58
	v_lshlrev_b32_e32 v61, 3, v0
	s_mul_i32 s50, s34, s37
	s_mul_hi_u32 s51, s34, s36
	s_mul_i32 s52, s35, s36
	s_mul_i32 s12, s34, s36
	s_cbranch_scc1 .LBB422_19
; %bb.1:
	s_ashr_i32 s36, s49, 31
	s_ashr_i32 s1, s40, 31
	s_add_u32 s0, s58, s40
	s_addc_u32 s1, s57, s1
	s_lshl_b64 s[0:1], s[0:1], 8
	v_and_b32_e32 v9, 56, v61
	s_add_u32 s0, s18, s0
	v_lshl_or_b32 v5, v56, 3, v62
	v_lshlrev_b32_e32 v2, 1, v9
	s_addc_u32 s1, s19, s1
	v_lshl_or_b32 v13, v5, 8, v2
	s_and_b32 s1, s1, 0xffff
	s_mov_b32 s3, 0x20000
	s_movk_i32 s2, 0x4000
	s_movk_i32 s4, 0x80
	v_or_b32_e32 v17, 0x2000, v13
	buffer_load_dwordx4 v[20:23], v13, s[0:3], 0 offen
	buffer_load_dwordx4 v[24:27], v13, s[0:3], s4 offen
	buffer_load_dwordx4 v[28:31], v17, s[0:3], 0 offen
	buffer_load_dwordx4 v[32:35], v17, s[0:3], s4 offen
	v_lshlrev_b32_e32 v3, 3, v5
	v_and_or_b32 v6, v0, 7, v3
	v_and_b32_e32 v3, 0x78, v3
	v_lshlrev_b32_e32 v6, 4, v6
	v_xor_b32_e32 v64, v6, v3
	v_mul_lo_u32 v4, v5, s31
	v_or_b32_e32 v65, 0x1000, v64
	v_xor_b32_e32 v3, 8, v64
	s_cmpk_eq_i32 s31, 0x80
	s_mov_b32 s47, s40
	v_xor_b32_e32 v6, 8, v65
	s_cselect_b64 s[0:1], -1, 0
	s_cmpk_lg_i32 s31, 0x80
	s_waitcnt vmcnt(3)
	ds_write_b64 v64, v[20:21] offset:24576
	ds_write_b64 v3, v[22:23] offset:24576
	s_waitcnt vmcnt(2)
	ds_write_b64 v64, v[24:25] offset:32768
	ds_write_b64 v3, v[26:27] offset:32768
	s_waitcnt vmcnt(1)
	ds_write_b64 v64, v[28:29] offset:28672
	ds_write_b64 v6, v[30:31] offset:24576
	s_waitcnt vmcnt(0)
	ds_write_b64 v64, v[32:33] offset:36864
	ds_write_b64 v6, v[34:35] offset:32768
	v_lshl_add_u32 v3, v4, 1, v9
	s_cbranch_scc0 .LBB422_3
; %bb.2:
	v_lshlrev_b32_e32 v6, 1, v3
	v_add_lshl_u32 v4, v3, s31, 1
	s_lshl_b32 s6, s31, 7
	v_lshl_or_b32 v2, v5, 9, v2
	s_cbranch_execz .LBB422_4
	s_branch .LBB422_5
.LBB422_3:
                                        ; implicit-def: $vgpr4
                                        ; implicit-def: $vgpr6
                                        ; implicit-def: $sgpr6
	v_lshl_or_b32 v2, v5, 9, v2
.LBB422_4:
	v_or_b32_e32 v4, 0x100, v2
	s_movk_i32 s6, 0x4000
	v_mov_b32_e32 v6, v2
.LBB422_5:
	s_mul_i32 s2, s40, s30
	s_ashr_i32 s37, s56, 31
	s_mul_hi_i32 s3, s40, s30
	s_add_u32 s2, s2, s56
	s_addc_u32 s3, s3, s37
	s_lshl_b64 s[2:3], s[2:3], 8
	s_add_u32 s4, s16, s2
	s_addc_u32 s2, s17, s3
	s_and_b32 s5, s2, 0xffff
	s_mov_b32 s7, 0x20000
	s_movk_i32 s54, 0x80
	buffer_load_dwordx4 v[20:23], v6, s[4:7], 0 offen
	buffer_load_dwordx4 v[24:27], v6, s[4:7], s54 offen
	;; [unrolled: 1-line block ×4, first 2 shown]
	v_and_b32_e32 v4, 6, v0
	v_lshlrev_b32_e32 v8, 6, v1
	v_or_b32_e32 v11, 16, v60
	v_xor_b32_e32 v12, v5, v4
	v_and_b32_e32 v6, 1, v0
	v_lshl_or_b32 v16, v60, 3, v8
	v_lshl_or_b32 v8, v11, 3, v8
	v_lshlrev_b32_e32 v12, 2, v12
	v_lshlrev_b32_e32 v7, 2, v60
	s_mul_i32 s2, s49, s39
	s_mul_hi_u32 s3, s49, s38
	v_or_b32_e32 v68, 0xa000, v8
	v_or_b32_e32 v69, 0xb000, v8
	v_xor_b32_e32 v8, 0x440, v12
	v_cmp_eq_u32_e32 vcc, 0, v6
	s_add_i32 s5, s51, s50
	s_mul_i32 s4, s36, s38
	v_xor_b32_e32 v14, v1, v7
	v_xor_b32_e32 v15, v63, v7
	v_cndmask_b32_e32 v6, v8, v12, vcc
	s_add_i32 s2, s3, s2
	s_add_i32 s13, s5, s52
	s_mov_b32 s59, 0x1000504
	v_lshlrev_b32_e32 v10, 8, v60
	v_lshlrev_b32_e32 v11, 8, v11
	;; [unrolled: 1-line block ×4, first 2 shown]
	v_lshl_or_b32 v4, v4, 10, v6
	s_add_i32 s3, s2, s4
	s_lshl_b64 s[4:5], s[12:13], 2
	s_mov_b32 s60, 0x3020706
	v_or_b32_e32 v66, 0xa000, v16
	v_or_b32_e32 v67, 0xb000, v16
	;; [unrolled: 1-line block ×5, first 2 shown]
	v_xor_b32_e32 v6, 8, v4
	v_xor_b32_e32 v10, 24, v4
	;; [unrolled: 1-line block ×4, first 2 shown]
	s_mul_i32 s2, s49, s38
	s_add_u32 s4, s22, s4
	v_or_b32_e32 v72, v11, v14
	v_xor_b32_e32 v8, 16, v4
	v_xor_b32_e32 v11, 32, v4
	;; [unrolled: 1-line block ×3, first 2 shown]
	v_add_u32_e32 v6, 0x80, v6
	v_add_u32_e32 v10, 0x80, v10
	;; [unrolled: 1-line block ×4, first 2 shown]
	s_addc_u32 s5, s23, s5
	s_lshl_b64 s[2:3], s[2:3], 2
	s_add_u32 s2, s4, s2
	s_movk_i32 s4, 0xf8
	s_addc_u32 s3, s5, s3
	s_ashr_i32 s45, s44, 31
	s_lshl_b32 s10, s31, 7
	s_movk_i32 s8, 0x100
	v_mov_b32_e32 v51, 0
	v_lshlrev_b32_e32 v50, 4, v60
	v_cmp_gt_u32_e32 vcc, s8, v0
	s_mov_b32 s61, 0
	s_movk_i32 s13, 0x1000
	s_movk_i32 s6, 0x4000
	v_add_u32_e32 v91, v57, v18
	v_mov_b32_e32 v97, v51
	v_mov_b32_e32 v96, v51
	;; [unrolled: 1-line block ×4, first 2 shown]
	s_waitcnt vmcnt(1)
	v_perm_b32 v16, v20, v28, s59
	s_waitcnt vmcnt(0)
	v_perm_b32 v19, v24, v32, s59
	v_perm_b32 v20, v20, v28, s60
	;; [unrolled: 1-line block ×15, first 2 shown]
	ds_write2st64_b32 v4, v16, v19 offset0:32 offset1:64
	ds_write2st64_b32 v6, v20, v24 offset0:32 offset1:64
	;; [unrolled: 1-line block ×8, first 2 shown]
	v_or_b32_e32 v4, v57, v60
	v_lshlrev_b32_e32 v4, 3, v4
	v_lshrrev_b32_e32 v10, 5, v58
	v_and_or_b32 v10, v4, s4, v10
	v_lshlrev_b32_e32 v8, 11, v56
	v_lshlrev_b32_e32 v10, 4, v10
	v_and_b32_e32 v4, 0x78, v4
	v_and_b32_e32 v6, 0x1000, v8
	v_xor_b32_e32 v11, v10, v4
	v_lshrrev_b32_e32 v12, 1, v0
	v_or_b32_e32 v11, v11, v6
	v_and_b32_e32 v14, 8, v12
	v_xor_b32_e32 v74, v11, v14
	v_or_b32_e32 v11, 32, v10
	v_xor_b32_e32 v11, v11, v4
	v_or_b32_e32 v11, v11, v6
	;; [unrolled: 2-line block ×4, first 2 shown]
	s_lshl_b64 s[4:5], s[44:45], 8
	v_or_b32_e32 v11, v11, v6
	v_xor_b32_e32 v4, v10, v4
	s_add_u32 s4, s42, s4
	v_lshlrev_b32_e32 v10, 1, v60
	v_xor_b32_e32 v78, v11, v14
	v_lshrrev_b32_e32 v19, 4, v0
	s_addc_u32 s5, s43, s5
	v_or_b32_e32 v11, 1, v10
	v_mov_b32_e32 v23, 0x4000
	v_mov_b32_e32 v24, 0x2000
	v_xor_b32_e32 v20, v19, v10
	v_xor_b32_e32 v21, v11, v19
	v_lshl_add_u64 v[10:11], s[4:5], 0, v[50:51]
	v_lshlrev_b32_e32 v50, 8, v19
	v_cndmask_b32_e32 v23, v23, v24, vcc
	v_lshlrev_b32_e32 v24, 3, v56
	v_and_b32_e32 v12, 24, v12
	v_lshl_or_b32 v82, v20, 3, v50
	v_and_b32_e32 v20, 8, v0
	v_xor_b32_e32 v25, v24, v12
	v_or_b32_e32 v26, 0x440, v25
	v_cmp_eq_u32_e32 vcc, 0, v20
	v_and_b32_e32 v19, 7, v0
	v_lshlrev_b32_e32 v15, 7, v59
	v_cndmask_b32_e32 v20, v26, v25, vcc
	v_lshl_or_b32 v83, v21, 3, v50
	v_lshlrev_b32_e32 v21, 3, v19
	v_lshlrev_b32_e32 v19, 7, v19
	;; [unrolled: 1-line block ×3, first 2 shown]
	v_or_b32_e32 v20, v20, v8
	v_or_b32_e32 v7, v15, v7
	v_xad_u32 v84, v20, v21, v19
	v_and_or_b32 v15, v22, 60, v15
	v_mov_b32_e32 v20, 0xb000
	v_lshl_or_b32 v85, v15, 1, v20
	v_or_b32_e32 v15, 32, v12
	v_xor_b32_e32 v15, v24, v15
	v_or_b32_e32 v20, 0x440, v15
	v_cndmask_b32_e32 v15, v20, v15, vcc
	v_or_b32_e32 v15, v15, v8
	v_xad_u32 v86, v15, v21, v19
	v_or_b32_e32 v15, 64, v12
	v_xor_b32_e32 v15, v24, v15
	v_xor_b32_e32 v20, 0x440, v15
	v_cndmask_b32_e32 v15, v20, v15, vcc
	v_or_b32_e32 v12, 0x60, v12
	v_or_b32_e32 v15, v15, v8
	v_xor_b32_e32 v12, v24, v12
	v_xad_u32 v87, v15, v21, v19
	v_xor_b32_e32 v15, 0x440, v12
	v_cndmask_b32_e32 v12, v15, v12, vcc
	v_lshlrev_b32_e32 v7, 1, v7
	v_or_b32_e32 v4, v4, v6
	v_or_b32_e32 v6, s44, v60
	;; [unrolled: 1-line block ×5, first 2 shown]
	v_xor_b32_e32 v79, v4, v14
	v_or_b32_e32 v80, 0xb000, v7
	v_or_b32_e32 v81, 0xb080, v7
	v_lshlrev_b32_e32 v4, 7, v1
	v_ashrrev_i32_e32 v7, 31, v6
	v_lshlrev_b32_e32 v14, 1, v3
	v_add_lshl_u32 v3, v3, s31, 1
	v_or_b32_e32 v16, 0x100, v2
	v_xad_u32 v88, v8, v21, v19
	v_cndmask_b32_e64 v89, v14, v2, s[0:1]
	v_cndmask_b32_e64 v90, v3, v16, s[0:1]
	v_lshl_add_u64 v[52:53], v[6:7], 1, s[20:21]
	v_lshl_add_u64 v[54:55], v[10:11], 0, v[50:51]
	s_mov_b32 s45, 0x7060302
	v_lshlrev_b32_e32 v50, 1, v4
	v_add_u32_e32 v92, v23, v84
	v_add_u32_e32 v93, v23, v86
	;; [unrolled: 1-line block ×4, first 2 shown]
	v_mov_b32_e32 v2, v51
	v_mov_b32_e32 v3, v51
	;; [unrolled: 1-line block ×12, first 2 shown]
	s_waitcnt lgkmcnt(0)
	s_barrier
.LBB422_6:                              ; =>This Inner Loop Header: Depth=1
	s_add_i32 s62, s61, 1
	s_cmp_lt_i32 s62, s53
	s_mov_b64 s[8:9], 0
	s_cselect_b64 s[14:15], -1, 0
	s_cmp_ge_i32 s62, s53
	s_mov_b64 s[4:5], 0
	s_cbranch_scc1 .LBB422_8
; %bb.7:                                ;   in Loop: Header=BB422_6 Depth=1
	s_add_i32 s0, s47, 64
	s_ashr_i32 s1, s0, 31
	s_add_u32 s0, s58, s0
	s_addc_u32 s1, s57, s1
	s_lshl_b64 s[0:1], s[0:1], 8
	s_add_u32 s4, s18, s0
	s_addc_u32 s5, s19, s1
.LBB422_8:                              ;   in Loop: Header=BB422_6 Depth=1
	v_cndmask_b32_e64 v18, 0, 1, s[14:15]
	v_cmp_ne_u32_e64 s[0:1], 1, v18
	s_andn2_b64 vcc, exec, s[14:15]
	s_cbranch_vccnz .LBB422_10
; %bb.9:                                ;   in Loop: Header=BB422_6 Depth=1
	s_add_i32 s8, s47, 64
	s_mul_hi_i32 s9, s8, s30
	s_mul_i32 s8, s8, s30
	s_add_u32 s8, s8, s56
	s_addc_u32 s9, s9, s37
	s_lshl_b64 s[8:9], s[8:9], 8
	s_add_u32 s8, s16, s8
	s_addc_u32 s9, s17, s9
.LBB422_10:                             ;   in Loop: Header=BB422_6 Depth=1
	v_perm_b32 v19, v97, v4, s45
	v_perm_b32 v18, v3, v2, s45
	;; [unrolled: 1-line block ×4, first 2 shown]
	ds_write_b64 v66, v[18:19]
	ds_write_b64 v67, v[20:21]
	;; [unrolled: 1-line block ×4, first 2 shown]
	v_perm_b32 v19, v99, v12, s45
	v_perm_b32 v18, v11, v10, s45
	;; [unrolled: 1-line block ×4, first 2 shown]
	ds_write_b64 v68, v[18:19]
	ds_write_b64 v69, v[20:21]
	;; [unrolled: 1-line block ×4, first 2 shown]
	s_waitcnt lgkmcnt(0)
	s_barrier
	ds_read_b64 v[22:23], v74 offset:24576
	ds_read2_b64 v[18:21], v75 offset1:16
	ds_read_b64 v[26:27], v77 offset:3072
	ds_read_b64 v[28:29], v75 offset:3072
	;; [unrolled: 1-line block ×3, first 2 shown]
	s_waitcnt lgkmcnt(3)
	v_mfma_f32_16x16x16_bf16 a[0:3], v[22:23], v[18:19], 0
	s_add_i32 s11, s47, 63
	s_ashr_i32 s14, s11, 31
	s_mul_i32 s15, s11, s27
	v_mfma_f32_16x16x16_bf16 a[4:7], v[22:23], v[20:21], 0
	ds_read2st64_b64 v[18:21], v75 offset0:2 offset1:4
	s_mul_hi_u32 s63, s11, s26
	s_add_i32 s15, s63, s15
	s_waitcnt lgkmcnt(0)
	v_mfma_f32_16x16x16_bf16 a[0:3], v[30:31], v[18:19], a[0:3]
	ds_read2st64_b64 v[22:25], v77 offset0:2 offset1:4
	ds_read_b64 v[18:19], v78 offset:24576
	s_mul_i32 s14, s14, s26
	s_add_i32 s15, s15, s14
	s_waitcnt lgkmcnt(1)
	v_mfma_f32_16x16x16_bf16 a[4:7], v[30:31], v[22:23], a[4:7]
	ds_read_b64 v[22:23], v79 offset:24576
	s_mul_i32 s14, s11, s26
	s_lshl_b64 s[14:15], s[14:15], 2
	s_waitcnt lgkmcnt(1)
	v_mfma_f32_16x16x16_bf16 a[0:3], v[18:19], v[20:21], a[0:3]
	s_add_u32 s14, s2, s14
	s_addc_u32 s15, s3, s15
	s_and_b64 vcc, exec, s[0:1]
	v_mfma_f32_16x16x16_bf16 a[4:7], v[18:19], v[24:25], a[4:7]
	v_mov_b32_e32 v102, 0
	v_mov_b32_e32 v101, 0
	;; [unrolled: 1-line block ×3, first 2 shown]
	s_waitcnt lgkmcnt(0)
	v_mfma_f32_16x16x16_bf16 a[0:3], v[22:23], v[28:29], a[0:3]
	v_mov_b32_e32 v18, 0
	v_mov_b32_e32 v19, 0
	;; [unrolled: 1-line block ×3, first 2 shown]
	v_mfma_f32_16x16x16_bf16 a[4:7], v[22:23], v[26:27], a[4:7]
	v_mov_b32_e32 v21, 0
	v_mov_b32_e32 v22, 0
	;; [unrolled: 1-line block ×13, first 2 shown]
	s_cbranch_vccnz .LBB422_12
; %bb.11:                               ;   in Loop: Header=BB422_6 Depth=1
	s_and_b32 s5, s5, 0xffff
	buffer_load_dwordx4 v[30:33], v13, s[4:7], 0 offen
	buffer_load_dwordx4 v[26:29], v13, s[4:7], s54 offen
	;; [unrolled: 1-line block ×4, first 2 shown]
	v_mov_b32_e32 v101, v64
	v_mov_b32_e32 v100, v65
.LBB422_12:                             ;   in Loop: Header=BB422_6 Depth=1
	ds_read_b64 v[38:39], v74 offset:32768
	ds_read2_b64 v[34:37], v80 offset1:16
	ds_read_b64 v[42:43], v76 offset:32768
	ds_read_b64 v[44:45], v78 offset:32768
	;; [unrolled: 1-line block ×3, first 2 shown]
	v_add_u32_e32 v103, s47, v91
	s_waitcnt lgkmcnt(3)
	v_mfma_f32_16x16x16_bf16 a[0:3], v[38:39], v[34:35], a[0:3]
	v_mfma_f32_16x16x16_bf16 a[4:7], v[38:39], v[36:37], a[4:7]
	ds_read2st64_b64 v[34:37], v80 offset0:2 offset1:4
	ds_read2st64_b64 v[38:41], v81 offset0:2 offset1:4
	s_waitcnt lgkmcnt(1)
	v_mfma_f32_16x16x16_bf16 a[0:3], v[42:43], v[34:35], a[0:3]
	ds_read_b64 v[34:35], v80 offset:3072
	ds_read_b64 v[48:49], v81 offset:3072
	s_waitcnt lgkmcnt(2)
	v_mfma_f32_16x16x16_bf16 a[4:7], v[42:43], v[38:39], a[4:7]
	v_ashrrev_i32_e32 v38, 31, v103
	v_mul_lo_u32 v39, v103, s27
	v_mul_lo_u32 v38, v38, s26
	v_mfma_f32_16x16x16_bf16 a[0:3], v[44:45], v[36:37], a[0:3]
	v_mad_u64_u32 v[36:37], s[4:5], v103, s26, 0
	v_add3_u32 v37, v37, v39, v38
	v_add_u32_e32 v38, 1, v103
	v_ashrrev_i32_e32 v39, 31, v38
	v_mfma_f32_16x16x16_bf16 a[4:7], v[44:45], v[40:41], a[4:7]
	v_mul_lo_u32 v39, v39, s26
	v_mul_lo_u32 v40, v38, s27
	v_lshl_add_u64 v[36:37], v[36:37], 2, s[2:3]
	s_waitcnt lgkmcnt(1)
	v_mfma_f32_16x16x16_bf16 a[0:3], v[46:47], v[34:35], a[0:3]
	v_mad_u64_u32 v[34:35], s[4:5], v38, s26, 0
	v_add_u32_e32 v38, 2, v103
	v_add3_u32 v35, v35, v40, v39
	v_ashrrev_i32_e32 v39, 31, v38
	v_mul_lo_u32 v40, v39, s26
	v_mul_lo_u32 v41, v38, s27
	v_mad_u64_u32 v[38:39], s[4:5], v38, s26, 0
	v_add3_u32 v39, v39, v41, v40
	v_add_u32_e32 v40, 3, v103
	v_ashrrev_i32_e32 v41, 31, v40
	v_mul_lo_u32 v42, v41, s26
	v_mul_lo_u32 v43, v40, s27
	v_mad_u64_u32 v[40:41], s[4:5], v40, s26, 0
	v_add3_u32 v41, v41, v43, v42
	v_lshl_add_u64 v[40:41], v[40:41], 2, s[2:3]
	s_ashr_i32 s5, s47, 31
	v_lshl_add_u64 v[34:35], v[34:35], 2, s[2:3]
	v_lshl_add_u64 v[38:39], v[38:39], 2, s[2:3]
	global_load_dword v42, v[36:37], off
	global_load_dword v43, v[34:35], off
	global_load_dword v44, v[38:39], off
	s_nop 0
	global_load_dword v41, v[40:41], off
	s_add_u32 s4, s58, s47
	s_addc_u32 s5, s57, s5
	s_lshl_b64 s[4:5], s[4:5], 8
	v_lshl_add_u64 v[34:35], v[52:53], 0, s[4:5]
	v_lshl_add_u64 v[34:35], v[34:35], 0, v[50:51]
	global_load_ushort v45, v[34:35], off
	global_load_ushort v103, v[34:35], off offset:256
	global_load_ushort v104, v[34:35], off offset:800
	;; [unrolled: 1-line block ×7, first 2 shown]
	s_load_dword s4, s[14:15], 0x0
	s_waitcnt lgkmcnt(0)
	v_mfma_f32_16x16x16_bf16 a[4:7], v[46:47], v[48:49], a[4:7]
	v_accvgpr_read_b32 v39, a1
	v_accvgpr_read_b32 v35, a3
	;; [unrolled: 1-line block ×4, first 2 shown]
	s_and_b64 vcc, exec, s[0:1]
	s_waitcnt vmcnt(11)
	v_sub_f32_e32 v40, s4, v42
	s_waitcnt vmcnt(10)
	v_sub_f32_e32 v48, s4, v43
	;; [unrolled: 2-line block ×4, first 2 shown]
	v_exp_f32_e32 v40, v40
	v_exp_f32_e32 v41, v48
	;; [unrolled: 1-line block ×4, first 2 shown]
	s_waitcnt vmcnt(6)
	v_lshlrev_b32_e32 v43, 16, v103
	v_lshlrev_b32_e32 v42, 16, v45
	s_waitcnt vmcnt(4)
	v_lshlrev_b32_e32 v45, 16, v105
	s_waitcnt vmcnt(2)
	v_lshlrev_b32_e32 v44, 16, v107
	v_pk_add_f32 v[38:39], v[42:43], v[38:39] neg_lo:[0,1] neg_hi:[0,1]
	v_pk_add_f32 v[34:35], v[44:45], v[34:35] neg_lo:[0,1] neg_hi:[0,1]
	v_pk_mul_f32 v[38:39], v[40:41], v[38:39]
	v_pk_mul_f32 v[34:35], v[48:49], v[34:35]
	s_waitcnt vmcnt(1)
	v_lshlrev_b32_e32 v47, 16, v108
	v_perm_b32 v35, v35, v34, s45
	v_perm_b32 v34, v39, v38, s45
	v_accvgpr_read_b32 v39, a5
	s_waitcnt vmcnt(0)
	v_lshlrev_b32_e32 v46, 16, v109
	v_accvgpr_read_b32 v38, a4
	v_pk_add_f32 v[38:39], v[46:47], v[38:39] neg_lo:[0,1] neg_hi:[0,1]
	v_accvgpr_read_b32 v37, a7
	v_accvgpr_read_b32 v36, a6
	v_pk_mul_f32 v[38:39], v[40:41], v[38:39]
	v_lshlrev_b32_e32 v41, 16, v104
	v_lshlrev_b32_e32 v40, 16, v106
	v_pk_add_f32 v[36:37], v[40:41], v[36:37] neg_lo:[0,1] neg_hi:[0,1]
	v_mov_b32_e32 v103, 0
	v_pk_mul_f32 v[36:37], v[48:49], v[36:37]
	v_mov_b32_e32 v40, 0
	v_perm_b32 v37, v37, v36, s45
	v_perm_b32 v36, v39, v38, s45
	ds_write2_b64 v67, v[34:35], v[36:37] offset1:16
	v_mov_b32_e32 v34, 0
	v_mov_b32_e32 v35, 0
	;; [unrolled: 1-line block ×15, first 2 shown]
	s_cbranch_vccnz .LBB422_14
; %bb.13:                               ;   in Loop: Header=BB422_6 Depth=1
	s_and_b32 s9, s9, 0xffff
	s_mov_b32 s11, s7
	buffer_load_dwordx4 v[46:49], v89, s[8:11], 0 offen
	buffer_load_dwordx4 v[38:41], v89, s[8:11], s54 offen
	;; [unrolled: 1-line block ×4, first 2 shown]
	v_mov_b32_e32 v102, v9
	v_mov_b32_e32 v103, v5
.LBB422_14:                             ;   in Loop: Header=BB422_6 Depth=1
	s_waitcnt lgkmcnt(0)
	s_barrier
	ds_read_b64 v[108:109], v92
	ds_read_b64 v[116:117], v85
	;; [unrolled: 1-line block ×5, first 2 shown]
	ds_read_b64 v[122:123], v86 offset:16384
	ds_read_b64 v[124:125], v84 offset:16384
	ds_read2_b64 v[104:107], v80 offset0:16 offset1:128
	s_waitcnt lgkmcnt(6)
	v_mfma_f32_16x16x16_bf16 a[0:3], v[108:109], v[116:117], 0
	ds_read_b64 v[126:127], v81 offset:3072
	ds_read_b64 v[128:129], v88 offset:16384
	s_add_i32 s5, s55, s61
	s_waitcnt lgkmcnt(2)
	v_mfma_f32_16x16x16_bf16 a[4:7], v[108:109], v[104:105], 0
	ds_read2st64_b64 v[108:111], v81 offset0:2 offset1:4
	s_mul_hi_i32 s9, s5, s33
	s_mul_i32 s5, s5, s33
	v_mfma_f32_16x16x16_bf16 a[0:3], v[112:113], v[106:107], a[0:3]
	s_add_u32 s8, s5, s49
	s_addc_u32 s9, s9, s36
	s_lshl_b64 s[8:9], s[8:9], 15
	s_waitcnt lgkmcnt(0)
	v_mfma_f32_16x16x16_bf16 a[4:7], v[112:113], v[108:109], a[4:7]
	ds_read2st64_b64 v[112:115], v80 offset0:4 offset1:6
	s_waitcnt lgkmcnt(0)
	v_mfma_f32_16x16x16_bf16 a[0:3], v[118:119], v[112:113], a[0:3]
	v_mfma_f32_16x16x16_bf16 a[8:11], v[118:119], v[110:111], a[4:7]
	;; [unrolled: 1-line block ×5, first 2 shown]
	ds_read2st64_b64 v[116:119], v83 offset1:8
	v_mfma_f32_16x16x16_bf16 a[12:15], v[124:125], v[104:105], 0
	ds_read_b64 v[124:125], v87 offset:16384
	v_mfma_f32_16x16x16_bf16 a[8:11], v[122:123], v[106:107], a[8:11]
	ds_read2st64_b64 v[104:107], v82 offset1:8
	s_waitcnt lgkmcnt(0)
	v_mov_b32_e32 v120, v104
	v_mfma_f32_16x16x16_bf16 a[12:15], v[122:123], v[108:109], a[12:15]
	v_lshl_add_u64 v[108:109], v[54:55], 0, s[8:9]
	v_add_co_u32_e32 v104, vcc, s13, v108
	v_mfma_f32_16x16x16_bf16 a[8:11], v[124:125], v[112:113], a[8:11]
	v_mov_b32_e32 v121, v105
	v_addc_co_u32_e32 v105, vcc, 0, v109, vcc
	v_mfma_f32_16x16x16_bf16 a[12:15], v[124:125], v[110:111], a[12:15]
	v_mov_b32_e32 v122, v116
	v_mov_b32_e32 v123, v117
	;; [unrolled: 1-line block ×3, first 2 shown]
	v_mfma_f32_16x16x16_bf16 a[8:11], v[128:129], v[114:115], a[8:11]
	v_mov_b32_e32 v117, v107
	s_and_b64 vcc, exec, s[0:1]
	global_store_dwordx4 v[108:109], v[120:123], off
	v_mfma_f32_16x16x16_bf16 a[12:15], v[128:129], v[126:127], a[12:15]
	global_store_dwordx4 v[104:105], v[116:119], off
	s_cbranch_vccnz .LBB422_16
; %bb.15:                               ;   in Loop: Header=BB422_6 Depth=1
	v_lshrrev_b32_e32 v104, 3, v102
	v_and_b32_e32 v104, 6, v104
	v_xor_b32_e32 v103, v104, v103
	v_lshlrev_b32_e32 v103, 2, v103
	v_and_b32_e32 v102, 8, v102
	v_xor_b32_e32 v105, 0x440, v103
	v_cmp_eq_u32_e32 vcc, 0, v102
	s_barrier
	s_nop 0
	v_cndmask_b32_e32 v102, v105, v103, vcc
	v_lshl_or_b32 v102, v104, 10, v102
	s_waitcnt vmcnt(3)
	v_perm_b32 v103, v46, v42, s59
	s_waitcnt vmcnt(2)
	v_perm_b32 v104, v38, v34, s59
	ds_write2st64_b32 v102, v103, v104 offset0:32 offset1:64
	v_xor_b32_e32 v103, 8, v102
	v_perm_b32 v42, v46, v42, s60
	v_perm_b32 v34, v38, v34, s60
	v_add_u32_e32 v38, 0x80, v103
	ds_write2st64_b32 v38, v42, v34 offset0:32 offset1:64
	v_xor_b32_e32 v34, 16, v102
	v_perm_b32 v38, v47, v43, s59
	v_perm_b32 v42, v39, v35, s59
	ds_write2st64_b32 v34, v38, v42 offset0:33 offset1:65
	v_xor_b32_e32 v34, 24, v102
	v_perm_b32 v38, v47, v43, s60
	v_perm_b32 v35, v39, v35, s60
	v_add_u32_e32 v34, 0x80, v34
	ds_write2st64_b32 v34, v38, v35 offset0:33 offset1:65
	v_xor_b32_e32 v34, 32, v102
	v_perm_b32 v35, v48, v44, s59
	;; [unrolled: 9-line block ×3, first 2 shown]
	v_perm_b32 v36, v41, v37, s59
	ds_write2st64_b32 v34, v35, v36 offset0:35 offset1:67
	v_xor_b32_e32 v34, 56, v102
	v_perm_b32 v35, v49, v45, s60
	v_perm_b32 v36, v41, v37, s60
	v_add_u32_e32 v34, 0x80, v34
	ds_write2st64_b32 v34, v35, v36 offset0:35 offset1:67
	ds_write_b64 v101, v[30:31] offset:24576
	v_xor_b32_e32 v30, 8, v101
	ds_write_b64 v30, v[32:33] offset:24576
	ds_write_b64 v101, v[26:27] offset:32768
	;; [unrolled: 1-line block ×4, first 2 shown]
	v_xor_b32_e32 v22, 8, v100
	ds_write_b64 v22, v[24:25] offset:24576
	ds_write_b64 v100, v[18:19] offset:32768
	;; [unrolled: 1-line block ×3, first 2 shown]
.LBB422_16:                             ;   in Loop: Header=BB422_6 Depth=1
	s_waitcnt vmcnt(2)
	v_exp_f32_e32 v34, s4
	v_accvgpr_read_b32 v33, a7
	v_accvgpr_read_b32 v25, a3
	;; [unrolled: 1-line block ×16, first 2 shown]
	s_add_i32 s47, s47, 64
	v_fma_f32 v2, v2, v34, v30
	v_fma_f32 v3, v3, v34, v31
	v_fma_f32 v4, v4, v34, v32
	v_fmac_f32_e32 v33, v97, v34
	v_fma_f32 v10, v10, v34, v22
	v_fma_f32 v11, v11, v34, v23
	v_fma_f32 v12, v12, v34, v24
	v_fmac_f32_e32 v25, v99, v34
	;; [unrolled: 4-line block ×3, first 2 shown]
	v_fma_f32 v14, v14, v34, v18
	v_fma_f32 v15, v15, v34, v19
	;; [unrolled: 1-line block ×3, first 2 shown]
	s_cmp_eq_u32 s53, s62
	v_fmac_f32_e32 v21, v98, v34
	s_cbranch_scc1 .LBB422_18
; %bb.17:                               ;   in Loop: Header=BB422_6 Depth=1
	s_mov_b32 s61, s62
	v_mov_b32_e32 v97, v33
	v_mov_b32_e32 v96, v29
	;; [unrolled: 1-line block ×4, first 2 shown]
	s_branch .LBB422_6
.LBB422_18:
	v_mov_b32_e32 v5, v33
	v_mov_b32_e32 v9, v29
	;; [unrolled: 1-line block ×4, first 2 shown]
.LBB422_19:
	s_lshl_b32 s2, s53, 6
	s_sub_i32 s54, s46, s2
	s_cmp_gt_i32 s54, 0
	v_or_b32_e32 v34, s44, v60
	s_cbranch_scc1 .LBB422_21
; %bb.20:
	s_ashr_i32 s9, s49, 31
	v_or_b32_e32 v18, s44, v60
	s_cbranch_execz .LBB422_22
	s_branch .LBB422_86
.LBB422_21:
                                        ; implicit-def: $vgpr18
                                        ; implicit-def: $sgpr8_sgpr9
.LBB422_22:
	s_add_i32 s8, s2, s40
	s_ashr_i32 s2, s8, 31
	s_cmpk_lg_i32 s31, 0x80
	s_cselect_b64 s[36:37], -1, 0
	s_and_b64 vcc, exec, s[36:37]
	s_cbranch_vccz .LBB422_24
; %bb.23:
	s_mul_i32 s1, s8, s30
	s_ashr_i32 s3, s56, 31
	s_mul_hi_i32 s0, s8, s30
	s_add_u32 s46, s1, s56
	s_addc_u32 s47, s0, s3
	s_cbranch_execz .LBB422_25
	s_branch .LBB422_26
.LBB422_24:
                                        ; implicit-def: $sgpr46_sgpr47
.LBB422_25:
	s_mul_i32 s1, s56, s28
	s_mul_hi_i32 s0, s56, s28
	s_add_u32 s46, s1, s8
	s_addc_u32 s47, s0, s2
.LBB422_26:
	s_add_i32 s3, s53, s55
	s_ashr_i32 s9, s49, 31
	s_add_u32 s0, s58, s8
	v_lshlrev_b32_e32 v22, 5, v1
	v_lshlrev_b32_e32 v40, 2, v60
	s_addc_u32 s1, s57, s2
	s_mov_b32 s2, 0x7060302
	v_or_b32_e32 v25, v22, v40
	v_xor_b32_e32 v23, v1, v40
	v_perm_b32 v19, v5, v4, s2
	v_perm_b32 v18, v3, v2, s2
	;; [unrolled: 1-line block ×4, first 2 shown]
	v_lshlrev_b32_e32 v25, 1, v25
	s_lshl_b64 s[10:11], s[0:1], 8
	v_xor_b32_e32 v24, v63, v40
	ds_write2st64_b64 v25, v[18:19], v[20:21] offset0:80 offset1:88
	v_lshlrev_b32_e32 v23, 1, v23
	v_lshlrev_b32_e32 v25, 8, v60
	s_add_u32 s0, s18, s10
	v_or_b32_e32 v26, v23, v25
	v_lshlrev_b32_e32 v24, 1, v24
	s_addc_u32 s1, s19, s11
	ds_write_b64 v26, v[18:19]
	v_or_b32_e32 v18, v24, v25
	v_or_b32_e32 v25, 16, v60
	s_mul_hi_i32 s4, s3, s29
	s_mul_i32 s3, s3, s29
	ds_write_b64 v18, v[20:21]
	v_perm_b32 v19, v13, v12, s2
	v_perm_b32 v18, v11, v10, s2
	;; [unrolled: 1-line block ×4, first 2 shown]
	v_lshlrev_b32_e32 v37, 2, v25
	s_add_u32 s2, s3, s49
	v_or_b32_e32 v22, v22, v37
	s_addc_u32 s3, s4, s9
	v_lshlrev_b32_e32 v22, 1, v22
	s_ashr_i32 s45, s44, 31
	s_lshl_b64 s[2:3], s[2:3], 15
	ds_write2st64_b64 v22, v[18:19], v[20:21] offset0:80 offset1:88
	v_lshlrev_b32_e32 v22, 8, v25
	s_add_u32 s4, s42, s2
	v_or_b32_e32 v23, v23, v22
	s_addc_u32 s5, s43, s3
	s_lshl_b64 s[2:3], s[44:45], 8
	ds_write_b64 v23, v[18:19]
	v_or_b32_e32 v18, v24, v22
	s_add_u32 s2, s4, s2
	ds_write_b64 v18, v[20:21]
	v_lshrrev_b32_e32 v18, 4, v0
	s_addc_u32 s3, s5, s3
	v_lshlrev_b32_e32 v19, 1, v60
	v_lshlrev_b32_e32 v26, 4, v60
	v_mov_b32_e32 v27, 0
	v_or_b32_e32 v20, 1, v19
	v_xor_b32_e32 v19, v18, v19
	v_lshl_add_u64 v[28:29], s[2:3], 0, v[26:27]
	v_lshlrev_b32_e32 v26, 8, v18
	v_xor_b32_e32 v22, v20, v18
	v_lshl_or_b32 v18, v19, 3, v26
	s_waitcnt lgkmcnt(0)
	s_barrier
	ds_read2st64_b64 v[18:21], v18 offset1:8
	v_lshl_or_b32 v22, v22, 3, v26
	ds_read2st64_b64 v[22:25], v22 offset1:8
	v_lshl_add_u64 v[30:31], v[28:29], 0, v[26:27]
	s_movk_i32 s2, 0x1000
	s_waitcnt lgkmcnt(1)
	v_mov_b32_e32 v26, v18
	v_add_co_u32_e32 v18, vcc, s2, v30
	s_cmp_lg_u32 s54, 64
	v_mov_b32_e32 v27, v19
	v_addc_co_u32_e32 v19, vcc, 0, v31, vcc
	s_cselect_b64 s[14:15], -1, 0
	v_lshl_or_b32 v35, v56, 3, v62
	s_waitcnt lgkmcnt(0)
	v_mov_b32_e32 v28, v22
	v_mov_b32_e32 v29, v23
	;; [unrolled: 1-line block ×4, first 2 shown]
	s_mov_b32 s4, 0
	v_or_b32_e32 v38, 32, v35
	v_and_b32_e32 v36, 56, v61
	s_and_b64 vcc, exec, s[14:15]
	global_store_dwordx4 v[30:31], v[26:29], off
	global_store_dwordx4 v[18:19], v[22:25], off
	s_cbranch_vccz .LBB422_32
; %bb.27:
	s_mov_b32 s6, s4
	s_mov_b32 s7, s4
	;; [unrolled: 1-line block ×3, first 2 shown]
	v_mov_b64_e32 v[24:25], s[6:7]
	v_mov_b64_e32 v[22:23], s[4:5]
	;; [unrolled: 1-line block ×3, first 2 shown]
	v_cmp_gt_i32_e32 vcc, s54, v35
	v_mov_b64_e32 v[20:21], v[24:25]
	s_and_saveexec_b64 s[2:3], vcc
	s_cbranch_execz .LBB422_29
; %bb.28:
	v_lshlrev_b32_e32 v18, 8, v35
	v_mov_b32_e32 v19, 0
	v_lshl_add_u64 v[20:21], s[0:1], 0, v[18:19]
	v_lshlrev_b32_e32 v18, 1, v36
	v_lshl_add_u64 v[26:27], v[20:21], 0, v[18:19]
	global_load_dwordx4 v[22:25], v[26:27], off
	global_load_dwordx4 v[18:21], v[26:27], off offset:128
.LBB422_29:
	s_or_b64 exec, exec, s[2:3]
	s_mov_b32 s6, s4
	s_mov_b32 s7, s4
	;; [unrolled: 1-line block ×3, first 2 shown]
	v_mov_b64_e32 v[32:33], s[6:7]
	v_mov_b64_e32 v[30:31], s[4:5]
	;; [unrolled: 1-line block ×3, first 2 shown]
	v_cmp_gt_i32_e32 vcc, s54, v38
	v_lshlrev_b32_e32 v39, 7, v38
	v_mov_b64_e32 v[28:29], v[32:33]
	s_and_saveexec_b64 s[2:3], vcc
	s_cbranch_execz .LBB422_31
; %bb.30:
	v_lshlrev_b32_e32 v26, 1, v39
	v_mov_b32_e32 v27, 0
	v_lshl_add_u64 v[28:29], s[0:1], 0, v[26:27]
	v_lshlrev_b32_e32 v26, 1, v36
	v_lshl_add_u64 v[42:43], v[28:29], 0, v[26:27]
	global_load_dwordx4 v[30:33], v[42:43], off
	global_load_dwordx4 v[26:29], v[42:43], off offset:128
.LBB422_31:
	s_or_b64 exec, exec, s[2:3]
	v_lshrrev_b32_e32 v41, 3, v36
	v_lshlrev_b32_e32 v42, 3, v35
	v_or_b32_e32 v41, v42, v41
	v_lshlrev_b32_e32 v41, 4, v41
	v_and_b32_e32 v42, 0x78, v42
	v_xor_b32_e32 v41, v41, v42
	s_branch .LBB422_34
.LBB422_32:
                                        ; implicit-def: $vgpr41
                                        ; implicit-def: $vgpr39
                                        ; implicit-def: $vgpr22_vgpr23_vgpr24_vgpr25
                                        ; implicit-def: $vgpr18_vgpr19_vgpr20_vgpr21
                                        ; implicit-def: $vgpr30_vgpr31_vgpr32_vgpr33
                                        ; implicit-def: $vgpr26_vgpr27_vgpr28_vgpr29
	s_cbranch_execz .LBB422_34
; %bb.33:
	s_waitcnt vmcnt(0)
	v_lshlrev_b32_e32 v18, 1, v36
	v_lshl_or_b32 v39, v35, 8, v18
	s_and_b32 s1, s1, 0xffff
	s_mov_b32 s3, 0x20000
	s_movk_i32 s2, 0x4000
	v_lshl_or_b32 v41, v38, 8, v18
	s_movk_i32 s4, 0x80
	buffer_load_dwordx4 v[22:25], v39, s[0:3], 0 offen
	buffer_load_dwordx4 v[18:21], v39, s[0:3], s4 offen
	;; [unrolled: 1-line block ×4, first 2 shown]
	v_lshrrev_b32_e32 v39, 3, v36
	v_lshlrev_b32_e32 v41, 3, v35
	v_or_b32_e32 v39, v41, v39
	v_lshlrev_b32_e32 v39, 4, v39
	v_and_b32_e32 v41, 0x78, v41
	v_xor_b32_e32 v41, v39, v41
	v_lshlrev_b32_e32 v39, 7, v38
.LBB422_34:
	s_lshl_b64 s[0:1], s[46:47], 8
	s_add_u32 s4, s16, s0
	s_movk_i32 s0, 0x1000
	v_and_or_b32 v38, v39, s0, v41
	s_waitcnt vmcnt(1)
	ds_write_b64 v41, v[22:23] offset:24576
	v_xor_b32_e32 v22, 8, v41
	ds_write_b64 v22, v[24:25] offset:24576
	s_waitcnt vmcnt(0)
	ds_write_b64 v41, v[18:19] offset:32768
	ds_write_b64 v22, v[20:21] offset:32768
	;; [unrolled: 1-line block ×3, first 2 shown]
	v_xor_b32_e32 v18, 8, v38
	ds_write_b64 v18, v[32:33] offset:24576
	ds_write_b64 v38, v[26:27] offset:32768
	;; [unrolled: 1-line block ×3, first 2 shown]
	v_or_b32_e32 v18, v57, v60
	v_lshlrev_b32_e32 v18, 3, v18
	v_lshrrev_b32_e32 v19, 5, v58
	s_movk_i32 s7, 0xf8
	v_and_or_b32 v19, v18, s7, v19
	v_lshlrev_b32_e32 v23, 4, v19
	v_lshlrev_b32_e32 v41, 11, v56
	v_and_b32_e32 v24, 0x78, v18
	v_or_b32_e32 v26, 32, v23
	v_and_b32_e32 v22, 0x1000, v41
	v_lshrrev_b32_e32 v19, 1, v58
	v_xor_b32_e32 v26, v26, v24
	v_xor_b32_e32 v18, v23, v24
	v_and_b32_e32 v25, 8, v19
	v_or_b32_e32 v26, v26, v22
	v_or_b32_e32 v18, v18, v22
	v_xor_b32_e32 v45, v26, v25
	v_or_b32_e32 v26, 64, v23
	v_xor_b32_e32 v44, v18, v25
	v_xor_b32_e32 v26, v26, v24
	s_waitcnt lgkmcnt(0)
	s_barrier
	v_or_b32_e32 v28, v26, v22
	ds_read_b64 v[26:27], v44 offset:24576
	v_lshl_or_b32 v38, v59, 7, v40
	v_lshlrev_b32_e32 v42, 1, v38
	v_add_u32_e32 v18, 0xa000, v42
	ds_read2_b64 v[18:21], v18 offset1:16
	v_or_b32_e32 v23, 0x60, v23
	v_xor_b32_e32 v23, v23, v24
	s_waitcnt lgkmcnt(0)
	v_mfma_f32_16x16x16_bf16 a[0:3], v[26:27], v[18:19], 0
	v_or_b32_e32 v18, 64, v38
	v_or_b32_e32 v22, v23, v22
	v_lshlrev_b32_e32 v43, 1, v18
	v_xor_b32_e32 v46, v28, v25
	v_xor_b32_e32 v47, v22, v25
	ds_read_b64 v[28:29], v45 offset:24576
	ds_read_b64 v[30:31], v46 offset:24576
	;; [unrolled: 1-line block ×3, first 2 shown]
	v_mfma_f32_16x16x16_bf16 a[4:7], v[26:27], v[20:21], 0
	ds_read2st64_b64 v[18:21], v43 offset0:82 offset1:84
	ds_read2st64_b64 v[22:25], v42 offset0:82 offset1:84
	s_addc_u32 s5, s17, s1
	s_add_i32 s2, s41, -1
	s_add_i32 s0, s51, s50
	s_add_i32 s13, s0, s52
	s_mul_i32 s0, s49, s39
	s_mul_hi_u32 s1, s49, s38
	s_ashr_i32 s3, s2, 31
	s_mul_i32 s6, s2, s27
	s_mul_hi_u32 s7, s2, s26
	s_add_i32 s0, s1, s0
	s_mul_i32 s1, s9, s38
	s_add_i32 s6, s7, s6
	s_mul_i32 s3, s3, s26
	s_waitcnt lgkmcnt(1)
	v_mfma_f32_16x16x16_bf16 a[4:7], v[28:29], v[18:19], a[4:7]
	s_add_i32 s1, s0, s1
	s_add_i32 s3, s6, s3
	s_lshl_b64 s[6:7], s[12:13], 2
	s_waitcnt lgkmcnt(0)
	v_mfma_f32_16x16x16_bf16 a[0:3], v[28:29], v[22:23], a[0:3]
	s_mul_i32 s0, s49, s38
	s_add_u32 s6, s22, s6
	s_addc_u32 s7, s23, s7
	s_lshl_b64 s[0:1], s[0:1], 2
	s_mul_i32 s2, s2, s26
	s_add_u32 s12, s6, s0
	ds_read_b64 v[18:19], v42 offset:44032
	v_mfma_f32_16x16x16_bf16 a[4:7], v[30:31], v[20:21], a[4:7]
	ds_read_b64 v[20:21], v43 offset:44032
	s_addc_u32 s13, s7, s1
	s_lshl_b64 s[0:1], s[2:3], 2
	v_mfma_f32_16x16x16_bf16 a[0:3], v[30:31], v[24:25], a[0:3]
	s_add_u32 s0, s12, s0
	s_addc_u32 s1, s13, s1
	s_load_dword s16, s[0:1], 0x0
	s_waitcnt lgkmcnt(0)
	v_mfma_f32_16x16x16_bf16 a[0:3], v[32:33], v[18:19], a[0:3]
	s_and_b64 vcc, exec, s[36:37]
	v_mfma_f32_16x16x16_bf16 a[4:7], v[32:33], v[20:21], a[4:7]
	s_cbranch_vccz .LBB422_45
; %bb.35:
	v_lshlrev_b32_e32 v38, 1, v35
	s_and_b64 vcc, exec, s[14:15]
	s_cbranch_vccz .LBB422_46
; %bb.36:
	v_cmp_gt_i32_e32 vcc, s54, v38
	v_mov_b32_e32 v22, 0
	v_mov_b32_e32 v18, 0
	;; [unrolled: 1-line block ×5, first 2 shown]
	s_and_saveexec_b64 s[0:1], vcc
	s_cbranch_execz .LBB422_38
; %bb.37:
	v_mad_i64_i32 v[18:19], s[2:3], s31, v38, 0
	v_lshl_add_u64 v[18:19], v[18:19], 1, s[4:5]
	v_lshlrev_b32_e32 v20, 1, v36
	v_mov_b32_e32 v21, 0
	v_lshl_add_u64 v[18:19], v[18:19], 0, v[20:21]
	global_load_dwordx4 v[18:21], v[18:19], off
.LBB422_38:
	s_or_b64 exec, exec, s[0:1]
	v_or_b32_e32 v39, 1, v38
	v_cmp_gt_i32_e64 s[0:1], s54, v39
	v_mov_b32_e32 v23, 0
	v_mov_b32_e32 v24, 0
	;; [unrolled: 1-line block ×3, first 2 shown]
	s_and_saveexec_b64 s[2:3], s[0:1]
	s_cbranch_execz .LBB422_40
; %bb.39:
	v_mad_i64_i32 v[22:23], s[6:7], s31, v39, 0
	v_lshl_add_u64 v[22:23], v[22:23], 1, s[4:5]
	v_lshlrev_b32_e32 v24, 1, v36
	v_mov_b32_e32 v25, 0
	v_lshl_add_u64 v[22:23], v[22:23], 0, v[24:25]
	global_load_dwordx4 v[22:25], v[22:23], off
.LBB422_40:
	s_or_b64 exec, exec, s[2:3]
	v_mov_b32_e32 v33, 0
	v_mov_b32_e32 v26, 0
	;; [unrolled: 1-line block ×5, first 2 shown]
	s_and_saveexec_b64 s[2:3], vcc
	s_cbranch_execz .LBB422_42
; %bb.41:
	v_mad_i64_i32 v[26:27], s[6:7], s31, v38, 0
	v_lshl_add_u64 v[26:27], v[26:27], 1, s[4:5]
	v_lshlrev_b32_e32 v28, 1, v36
	v_mov_b32_e32 v29, 0
	v_lshl_add_u64 v[26:27], v[26:27], 0, v[28:29]
	global_load_dwordx4 v[26:29], v[26:27], off offset:128
.LBB422_42:
	s_or_b64 exec, exec, s[2:3]
	v_mov_b32_e32 v32, 0
	v_mov_b32_e32 v31, 0
	;; [unrolled: 1-line block ×3, first 2 shown]
	s_and_saveexec_b64 s[2:3], s[0:1]
	s_cbranch_execz .LBB422_44
; %bb.43:
	v_mad_i64_i32 v[30:31], s[0:1], s31, v39, 0
	v_lshl_add_u64 v[30:31], v[30:31], 1, s[4:5]
	v_lshlrev_b32_e32 v32, 1, v36
	v_mov_b32_e32 v33, 0
	v_lshl_add_u64 v[30:31], v[30:31], 0, v[32:33]
	global_load_dwordx4 v[30:33], v[30:31], off offset:128
.LBB422_44:
	s_or_b64 exec, exec, s[2:3]
	s_branch .LBB422_48
.LBB422_45:
                                        ; implicit-def: $vgpr21
                                        ; implicit-def: $vgpr25
                                        ; implicit-def: $vgpr29
                                        ; implicit-def: $vgpr33
	v_lshrrev_b32_e32 v48, 2, v58
	s_branch .LBB422_49
.LBB422_46:
                                        ; implicit-def: $vgpr21
                                        ; implicit-def: $vgpr25
                                        ; implicit-def: $vgpr29
                                        ; implicit-def: $vgpr33
	s_cbranch_execz .LBB422_48
; %bb.47:
	s_waitcnt vmcnt(0)
	v_mad_u64_u32 v[18:19], s[0:1], v38, s31, v[36:37]
	v_lshlrev_b32_e32 v38, 1, v18
	s_lshl_b32 s2, s31, 7
	s_and_b32 s1, s5, 0xffff
	s_mov_b32 s3, 0x20000
	s_mov_b32 s0, s4
	v_add_lshl_u32 v39, v18, s31, 1
	s_movk_i32 s6, 0x80
	buffer_load_dwordx4 v[18:21], v38, s[0:3], 0 offen
	buffer_load_dwordx4 v[26:29], v38, s[0:3], s6 offen
	;; [unrolled: 1-line block ×4, first 2 shown]
.LBB422_48:
	v_lshrrev_b32_e32 v48, 2, v58
	s_cbranch_execnz .LBB422_61
.LBB422_49:
	s_and_b64 vcc, exec, s[14:15]
	s_cbranch_vccz .LBB422_59
; %bb.50:
	s_waitcnt vmcnt(0)
	v_lshlrev_b32_e32 v23, 1, v35
	v_cmp_gt_i32_e32 vcc, s54, v23
	v_mov_b32_e32 v22, 0
	v_lshlrev_b32_e32 v30, 9, v35
	v_mov_b32_e32 v18, 0
	v_mov_b32_e32 v19, 0
	;; [unrolled: 1-line block ×4, first 2 shown]
	s_and_saveexec_b64 s[0:1], vcc
	s_cbranch_execz .LBB422_52
; %bb.51:
	v_mov_b32_e32 v31, 0
	v_lshl_add_u64 v[18:19], s[4:5], 0, v[30:31]
	v_lshlrev_b32_e32 v20, 1, v36
	v_mov_b32_e32 v21, v31
	v_lshl_add_u64 v[18:19], v[18:19], 0, v[20:21]
	global_load_dwordx4 v[18:21], v[18:19], off
.LBB422_52:
	s_or_b64 exec, exec, s[0:1]
	v_or_b32_e32 v23, 1, v23
	v_cmp_gt_i32_e64 s[0:1], s54, v23
	v_lshlrev_b32_e32 v38, 8, v23
	v_mov_b32_e32 v23, 0
	v_mov_b32_e32 v24, 0
	;; [unrolled: 1-line block ×3, first 2 shown]
	s_and_saveexec_b64 s[2:3], s[0:1]
	s_cbranch_execz .LBB422_54
; %bb.53:
	v_mov_b32_e32 v39, 0
	v_lshl_add_u64 v[22:23], s[4:5], 0, v[38:39]
	v_lshlrev_b32_e32 v24, 1, v36
	v_mov_b32_e32 v25, v39
	v_lshl_add_u64 v[22:23], v[22:23], 0, v[24:25]
	global_load_dwordx4 v[22:25], v[22:23], off
.LBB422_54:
	s_or_b64 exec, exec, s[2:3]
	v_mov_b32_e32 v33, 0
	v_mov_b32_e32 v26, 0
	;; [unrolled: 1-line block ×5, first 2 shown]
	s_and_saveexec_b64 s[2:3], vcc
	s_cbranch_execz .LBB422_56
; %bb.55:
	v_mov_b32_e32 v31, 0
	v_lshl_add_u64 v[26:27], s[4:5], 0, v[30:31]
	v_lshlrev_b32_e32 v30, 1, v36
	v_lshl_add_u64 v[26:27], v[26:27], 0, v[30:31]
	global_load_dwordx4 v[26:29], v[26:27], off offset:128
.LBB422_56:
	s_or_b64 exec, exec, s[2:3]
	v_mov_b32_e32 v32, 0
	v_mov_b32_e32 v31, 0
	;; [unrolled: 1-line block ×3, first 2 shown]
	s_and_saveexec_b64 s[2:3], s[0:1]
	s_cbranch_execz .LBB422_58
; %bb.57:
	v_mov_b32_e32 v39, 0
	v_lshl_add_u64 v[30:31], s[4:5], 0, v[38:39]
	v_lshlrev_b32_e32 v38, 1, v36
	v_lshl_add_u64 v[30:31], v[30:31], 0, v[38:39]
	global_load_dwordx4 v[30:33], v[30:31], off offset:128
.LBB422_58:
	s_or_b64 exec, exec, s[2:3]
	s_branch .LBB422_61
.LBB422_59:
                                        ; implicit-def: $vgpr21
                                        ; implicit-def: $vgpr25
                                        ; implicit-def: $vgpr29
                                        ; implicit-def: $vgpr33
	s_cbranch_execz .LBB422_61
; %bb.60:
	s_waitcnt vmcnt(0)
	v_lshlrev_b32_e32 v18, 1, v36
	v_lshl_or_b32 v36, v35, 9, v18
	s_and_b32 s5, s5, 0xffff
	s_mov_b32 s7, 0x20000
	s_movk_i32 s6, 0x4000
	s_movk_i32 s0, 0x80
	buffer_load_dwordx4 v[18:21], v36, s[4:7], 0 offen
	buffer_load_dwordx4 v[22:25], v36, s[4:7], 0 offen offset:256
	buffer_load_dwordx4 v[26:29], v36, s[4:7], s0 offen
	buffer_load_dwordx4 v[30:33], v36, s[4:7], s0 offen offset:256
.LBB422_61:
	ds_read_b64 v[38:39], v44 offset:32768
	v_add_u32_e32 v36, 0xb000, v42
	ds_read2_b64 v[50:53], v36 offset1:16
	ds_read_b64 v[54:55], v45 offset:32768
	ds_read_b64 v[58:59], v46 offset:32768
	;; [unrolled: 1-line block ×3, first 2 shown]
	v_and_b32_e32 v36, 6, v0
	v_xor_b32_e32 v35, v35, v36
	v_lshlrev_b32_e32 v35, 2, v35
	v_and_b32_e32 v49, 1, v0
	v_cmp_eq_u32_e32 vcc, 0, v49
	s_mov_b32 s0, 0x1000504
	s_waitcnt lgkmcnt(3)
	v_mfma_f32_16x16x16_bf16 a[0:3], v[38:39], v[50:51], a[0:3]
	s_mov_b32 s1, 0x3020706
	v_mfma_f32_16x16x16_bf16 a[4:7], v[38:39], v[52:53], a[4:7]
	ds_read2st64_b64 v[44:47], v42 offset0:90 offset1:92
	ds_read2st64_b64 v[50:53], v43 offset0:90 offset1:92
	s_waitcnt lgkmcnt(1)
	v_mfma_f32_16x16x16_bf16 a[0:3], v[54:55], v[44:45], a[0:3]
	ds_read_b64 v[38:39], v42 offset:48128
	ds_read_b64 v[44:45], v43 offset:48128
	s_waitcnt lgkmcnt(2)
	v_mfma_f32_16x16x16_bf16 a[4:7], v[54:55], v[50:51], a[4:7]
	v_mfma_f32_16x16x16_bf16 a[0:3], v[58:59], v[46:47], a[0:3]
	v_xor_b32_e32 v46, 0x440, v35
	v_cndmask_b32_e32 v35, v46, v35, vcc
	v_lshl_or_b32 v35, v36, 10, v35
	v_mfma_f32_16x16x16_bf16 a[8:11], v[58:59], v[52:53], a[4:7]
	s_waitcnt vmcnt(0)
	v_perm_b32 v36, v18, v22, s0
	v_perm_b32 v18, v18, v22, s1
	;; [unrolled: 1-line block ×3, first 2 shown]
	s_waitcnt lgkmcnt(1)
	v_mfma_f32_16x16x16_bf16 a[4:7], v[60:61], v[38:39], a[0:3]
	v_perm_b32 v38, v26, v30, s0
	ds_write2st64_b32 v35, v36, v38 offset0:32 offset1:64
	v_xor_b32_e32 v36, 8, v35
	v_add_u32_e32 v26, 0x80, v36
	ds_write2st64_b32 v26, v18, v22 offset0:32 offset1:64
	v_xor_b32_e32 v18, 16, v35
	v_perm_b32 v22, v19, v23, s0
	v_perm_b32 v26, v27, v31, s0
	ds_write2st64_b32 v18, v22, v26 offset0:33 offset1:65
	v_xor_b32_e32 v18, 24, v35
	v_perm_b32 v19, v19, v23, s1
	v_perm_b32 v22, v27, v31, s1
	v_add_u32_e32 v18, 0x80, v18
	ds_write2st64_b32 v18, v19, v22 offset0:33 offset1:65
	v_xor_b32_e32 v18, 32, v35
	v_perm_b32 v19, v20, v24, s0
	v_perm_b32 v22, v28, v32, s0
	ds_write2st64_b32 v18, v19, v22 offset0:34 offset1:66
	v_xor_b32_e32 v18, 40, v35
	s_waitcnt lgkmcnt(5)
	v_mfma_f32_16x16x16_bf16 a[0:3], v[60:61], v[44:45], a[8:11]
	v_perm_b32 v19, v20, v24, s1
	v_perm_b32 v20, v28, v32, s1
	v_add_u32_e32 v18, 0x80, v18
	ds_write2st64_b32 v18, v19, v20 offset0:34 offset1:66
	v_xor_b32_e32 v18, 48, v35
	v_perm_b32 v19, v21, v25, s0
	v_perm_b32 v20, v29, v33, s0
	ds_write2st64_b32 v18, v19, v20 offset0:35 offset1:67
	v_xor_b32_e32 v18, 56, v35
	v_and_or_b32 v39, v48, 12, v57
	v_perm_b32 v19, v21, v25, s1
	v_perm_b32 v20, v29, v33, s1
	v_add_u32_e32 v18, 0x80, v18
	v_cmp_gt_i32_e32 vcc, s54, v39
	v_mov_b32_e32 v32, 0
	v_mov_b32_e32 v36, 0
	ds_write2st64_b32 v18, v19, v20 offset0:35 offset1:67
	s_and_saveexec_b64 s[0:1], vcc
	s_cbranch_execz .LBB422_63
; %bb.62:
	v_add_u32_e32 v18, s8, v39
	v_ashrrev_i32_e32 v19, 31, v18
	v_mul_lo_u32 v20, v19, s26
	v_mul_lo_u32 v21, v18, s27
	v_mad_u64_u32 v[18:19], s[2:3], v18, s26, 0
	v_add3_u32 v19, v19, v21, v20
	v_lshl_add_u64 v[18:19], v[18:19], 2, s[12:13]
	global_load_dword v18, v[18:19], off
	s_waitcnt vmcnt(0)
	v_sub_f32_e32 v18, s16, v18
	v_exp_f32_e32 v36, v18
.LBB422_63:
	s_or_b64 exec, exec, s[0:1]
	v_or_b32_e32 v26, 1, v39
	v_cmp_gt_i32_e64 s[0:1], s54, v26
	s_and_saveexec_b64 s[2:3], s[0:1]
	s_cbranch_execz .LBB422_65
; %bb.64:
	v_add_u32_e32 v18, s8, v26
	v_ashrrev_i32_e32 v19, 31, v18
	v_mul_lo_u32 v20, v19, s26
	v_mul_lo_u32 v21, v18, s27
	v_mad_u64_u32 v[18:19], s[4:5], v18, s26, 0
	v_add3_u32 v19, v19, v21, v20
	v_lshl_add_u64 v[18:19], v[18:19], 2, s[12:13]
	global_load_dword v18, v[18:19], off
	s_waitcnt vmcnt(0)
	v_sub_f32_e32 v18, s16, v18
	v_exp_f32_e32 v32, v18
.LBB422_65:
	s_or_b64 exec, exec, s[2:3]
	v_or_b32_e32 v27, 2, v39
	v_cmp_gt_i32_e64 s[2:3], s54, v27
	v_mov_b32_e32 v33, 0
	v_mov_b32_e32 v38, 0
	s_and_saveexec_b64 s[4:5], s[2:3]
	s_cbranch_execz .LBB422_67
; %bb.66:
	v_add_u32_e32 v18, s8, v27
	v_ashrrev_i32_e32 v19, 31, v18
	v_mul_lo_u32 v20, v19, s26
	v_mul_lo_u32 v21, v18, s27
	v_mad_u64_u32 v[18:19], s[6:7], v18, s26, 0
	v_add3_u32 v19, v19, v21, v20
	v_lshl_add_u64 v[18:19], v[18:19], 2, s[12:13]
	global_load_dword v18, v[18:19], off
	s_waitcnt vmcnt(0)
	v_sub_f32_e32 v18, s16, v18
	v_exp_f32_e32 v38, v18
.LBB422_67:
	s_or_b64 exec, exec, s[4:5]
	v_or_b32_e32 v44, 3, v39
	v_cmp_gt_i32_e64 s[4:5], s54, v44
	s_and_saveexec_b64 s[6:7], s[4:5]
	s_cbranch_execz .LBB422_69
; %bb.68:
	v_add_u32_e32 v18, s8, v44
	v_ashrrev_i32_e32 v19, 31, v18
	v_mul_lo_u32 v20, v19, s26
	v_mul_lo_u32 v21, v18, s27
	v_mad_u64_u32 v[18:19], s[14:15], v18, s26, 0
	v_add3_u32 v19, v19, v21, v20
	v_lshl_add_u64 v[18:19], v[18:19], 2, s[12:13]
	global_load_dword v18, v[18:19], off
	s_waitcnt vmcnt(0)
	v_sub_f32_e32 v18, s16, v18
	v_exp_f32_e32 v33, v18
.LBB422_69:
	s_or_b64 exec, exec, s[6:7]
	s_add_u32 s6, s20, s10
	v_accvgpr_read_b32 v21, a7
	s_addc_u32 s7, s21, s11
	v_ashrrev_i32_e32 v35, 31, v34
	v_accvgpr_read_b32 v20, a6
	v_accvgpr_read_b32 v19, a5
	;; [unrolled: 1-line block ×3, first 2 shown]
	v_lshl_add_u64 v[22:23], v[34:35], 1, s[6:7]
	v_mov_b32_e32 v29, 0
	v_lshlrev_b32_e32 v24, 8, v39
	v_mov_b32_e32 v25, 0
	s_and_saveexec_b64 s[6:7], vcc
	s_cbranch_execz .LBB422_71
; %bb.70:
	v_mov_b32_e32 v25, 0
	v_lshl_add_u64 v[30:31], v[22:23], 0, v[24:25]
	global_load_ushort v25, v[30:31], off
	s_waitcnt vmcnt(0)
	v_lshlrev_b32_e32 v25, 16, v25
	v_sub_f32_e32 v18, v25, v18
	v_mul_f32_e32 v18, v36, v18
	v_lshrrev_b32_e32 v25, 16, v18
.LBB422_71:
	s_or_b64 exec, exec, s[6:7]
	v_lshlrev_b32_e32 v28, 8, v26
	s_and_saveexec_b64 s[6:7], s[0:1]
	s_cbranch_execz .LBB422_73
; %bb.72:
	v_mov_b32_e32 v29, 0
	v_lshl_add_u64 v[30:31], v[22:23], 0, v[28:29]
	global_load_ushort v18, v[30:31], off
	s_waitcnt vmcnt(0)
	v_lshlrev_b32_e32 v18, 16, v18
	v_sub_f32_e32 v18, v18, v19
	v_mul_f32_e32 v18, v32, v18
	v_lshrrev_b32_e32 v29, 16, v18
.LBB422_73:
	s_or_b64 exec, exec, s[6:7]
	v_mov_b32_e32 v45, 0
	v_lshlrev_b32_e32 v30, 8, v27
	v_mov_b32_e32 v31, 0
	s_and_saveexec_b64 s[6:7], s[2:3]
	s_cbranch_execz .LBB422_75
; %bb.74:
	v_mov_b32_e32 v31, 0
	v_lshl_add_u64 v[18:19], v[22:23], 0, v[30:31]
	global_load_ushort v18, v[18:19], off
	s_waitcnt vmcnt(0)
	v_lshlrev_b32_e32 v18, 16, v18
	v_sub_f32_e32 v18, v18, v20
	v_mul_f32_e32 v18, v38, v18
	v_lshrrev_b32_e32 v31, 16, v18
.LBB422_75:
	s_or_b64 exec, exec, s[6:7]
	v_lshlrev_b32_e32 v26, 8, v44
	s_and_saveexec_b64 s[6:7], s[4:5]
	s_cbranch_execz .LBB422_77
; %bb.76:
	v_mov_b32_e32 v27, 0
	v_lshl_add_u64 v[18:19], v[22:23], 0, v[26:27]
	global_load_ushort v18, v[18:19], off
	s_waitcnt vmcnt(0)
	v_lshlrev_b32_e32 v18, 16, v18
	v_sub_f32_e32 v18, v18, v21
	v_mul_f32_e32 v18, v33, v18
	v_lshrrev_b32_e32 v45, 16, v18
.LBB422_77:
	s_or_b64 exec, exec, s[6:7]
	v_lshlrev_b32_e32 v35, 5, v39
	s_mov_b32 s6, 0x5040100
	v_perm_b32 v44, v29, v25, s6
	v_or_b32_e32 v25, v35, v40
	v_accvgpr_read_b32 v21, a3
	v_perm_b32 v45, v45, v31, s6
	v_lshlrev_b32_e32 v25, 1, v25
	v_accvgpr_read_b32 v20, a2
	v_accvgpr_read_b32 v19, a1
	;; [unrolled: 1-line block ×3, first 2 shown]
	ds_write_b64 v25, v[44:45] offset:45056
	v_mov_b32_e32 v29, 0
	v_mov_b32_e32 v25, 0
	s_and_saveexec_b64 s[6:7], vcc
	s_cbranch_execz .LBB422_79
; %bb.78:
	v_mov_b32_e32 v25, 0
	v_lshl_add_u64 v[24:25], v[22:23], 0, v[24:25]
	global_load_ushort v24, v[24:25], off offset:32
	s_waitcnt vmcnt(0)
	v_lshlrev_b32_e32 v24, 16, v24
	v_sub_f32_e32 v18, v24, v18
	v_mul_f32_e32 v18, v36, v18
	v_lshrrev_b32_e32 v25, 16, v18
.LBB422_79:
	s_or_b64 exec, exec, s[6:7]
	s_and_saveexec_b64 s[6:7], s[0:1]
	s_cbranch_execz .LBB422_81
; %bb.80:
	v_mov_b32_e32 v29, 0
	v_lshl_add_u64 v[28:29], v[22:23], 0, v[28:29]
	global_load_ushort v18, v[28:29], off offset:32
	s_waitcnt vmcnt(0)
	v_lshlrev_b32_e32 v18, 16, v18
	v_sub_f32_e32 v18, v18, v19
	v_mul_f32_e32 v18, v32, v18
	v_lshrrev_b32_e32 v29, 16, v18
.LBB422_81:
	s_or_b64 exec, exec, s[6:7]
	v_mov_b32_e32 v24, 0
	v_mov_b32_e32 v28, 0
	s_and_saveexec_b64 s[0:1], s[2:3]
	s_cbranch_execz .LBB422_83
; %bb.82:
	v_mov_b32_e32 v31, 0
	v_lshl_add_u64 v[18:19], v[22:23], 0, v[30:31]
	global_load_ushort v18, v[18:19], off offset:32
	s_waitcnt vmcnt(0)
	v_lshlrev_b32_e32 v18, 16, v18
	v_sub_f32_e32 v18, v18, v20
	v_mul_f32_e32 v18, v38, v18
	v_lshrrev_b32_e32 v28, 16, v18
.LBB422_83:
	s_or_b64 exec, exec, s[0:1]
	v_or_b32_e32 v19, 0xb000, v42
	v_or_b32_e32 v18, 0xb000, v43
	s_and_saveexec_b64 s[0:1], s[4:5]
	s_cbranch_execz .LBB422_85
; %bb.84:
	v_mov_b32_e32 v27, 0
	v_lshl_add_u64 v[22:23], v[22:23], 0, v[26:27]
	global_load_ushort v20, v[22:23], off offset:32
	s_waitcnt vmcnt(0)
	v_lshlrev_b32_e32 v20, 16, v20
	v_sub_f32_e32 v20, v20, v21
	v_mul_f32_e32 v20, v33, v20
	v_lshrrev_b32_e32 v24, 16, v20
.LBB422_85:
	s_or_b64 exec, exec, s[0:1]
	s_mov_b32 s0, 0x5040100
	v_or_b32_e32 v22, v35, v37
	v_perm_b32 v21, v24, v28, s0
	v_perm_b32 v20, v29, v25, s0
	v_lshlrev_b32_e32 v22, 1, v22
	s_movk_i32 s0, 0x100
	ds_write_b64 v22, v[20:21] offset:45056
	v_and_b32_e32 v20, 7, v0
	v_and_b32_e32 v21, 8, v0
	v_cmp_gt_u32_e32 vcc, s0, v0
	v_lshrrev_b32_e32 v0, 1, v0
	v_lshlrev_b32_e32 v35, 3, v20
	v_lshlrev_b32_e32 v36, 7, v20
	v_mov_b32_e32 v20, 0x4000
	v_mov_b32_e32 v22, 0x2000
	v_lshlrev_b32_e32 v38, 3, v56
	v_and_b32_e32 v0, 24, v0
	v_cndmask_b32_e32 v37, v20, v22, vcc
	v_xor_b32_e32 v20, v38, v0
	v_or_b32_e32 v26, 32, v0
	v_or_b32_e32 v22, 0x440, v20
	v_cmp_eq_u32_e32 vcc, 0, v21
	v_xor_b32_e32 v26, v38, v26
	v_or_b32_e32 v27, 0x440, v26
	v_cndmask_b32_e32 v20, v22, v20, vcc
	v_or_b32_e32 v20, v20, v41
	v_cndmask_b32_e32 v26, v27, v26, vcc
	v_xad_u32 v40, v20, v35, v36
	v_or_b32_e32 v26, v26, v41
	v_add_u32_e32 v20, v37, v40
	v_xad_u32 v42, v26, v35, v36
	s_waitcnt lgkmcnt(0)
	s_barrier
	ds_read_b64 v[24:25], v20
	ds_read2_b64 v[20:23], v19 offset1:16
	v_add_u32_e32 v26, v37, v42
	ds_read_b64 v[32:33], v26
	s_waitcnt lgkmcnt(1)
	v_mfma_f32_16x16x16_bf16 a[0:3], v[24:25], v[20:21], 0
	ds_read2st64_b64 v[28:31], v18 offset0:2 offset1:4
	v_mfma_f32_16x16x16_bf16 a[4:7], v[24:25], v[22:23], 0
	ds_read2st64_b64 v[24:27], v19 offset0:2 offset1:4
	s_waitcnt lgkmcnt(0)
	v_mfma_f32_16x16x16_bf16 a[0:3], v[32:33], v[24:25], a[0:3]
	v_mfma_f32_16x16x16_bf16 a[4:7], v[32:33], v[28:29], a[4:7]
	v_or_b32_e32 v32, 64, v0
	v_xor_b32_e32 v32, v38, v32
	v_xor_b32_e32 v33, 0x440, v32
	v_cndmask_b32_e32 v32, v33, v32, vcc
	v_or_b32_e32 v32, v32, v41
	v_xad_u32 v43, v32, v35, v36
	v_add_u32_e32 v32, v37, v43
	ds_read_b64 v[32:33], v32
	v_or_b32_e32 v0, 0x60, v0
	v_xor_b32_e32 v0, v38, v0
	v_xor_b32_e32 v38, 0x440, v0
	v_cndmask_b32_e32 v0, v38, v0, vcc
	v_or_b32_e32 v0, v0, v41
	v_xad_u32 v0, v0, v35, v36
	v_add_u32_e32 v35, v37, v0
	ds_read_b64 v[36:37], v35
	s_waitcnt lgkmcnt(1)
	v_mfma_f32_16x16x16_bf16 a[0:3], v[32:33], v[26:27], a[0:3]
	v_exp_f32_e32 v35, s16
	v_mfma_f32_16x16x16_bf16 a[4:7], v[32:33], v[30:31], a[4:7]
	ds_read_b64 v[32:33], v19 offset:3072
	ds_read_b64 v[38:39], v18 offset:3072
	;; [unrolled: 1-line block ×3, first 2 shown]
	s_waitcnt lgkmcnt(0)
	v_mfma_f32_16x16x16_bf16 a[8:11], v[18:19], v[20:21], 0
	ds_read_b64 v[20:21], v42 offset:16384
	v_mfma_f32_16x16x16_bf16 a[0:3], v[36:37], v[32:33], a[0:3]
	v_mfma_f32_16x16x16_bf16 a[12:15], v[18:19], v[22:23], 0
	ds_read_b64 v[22:23], v43 offset:16384
	s_nop 4
	v_accvgpr_read_b32 v18, a0
	v_fma_f32 v18, v2, v35, v18
	v_accvgpr_read_b32 v2, a1
	v_fma_f32 v19, v3, v35, v2
	v_accvgpr_read_b32 v2, a2
	s_waitcnt lgkmcnt(1)
	v_mfma_f32_16x16x16_bf16 a[8:11], v[20:21], v[24:25], a[8:11]
	v_mfma_f32_16x16x16_bf16 a[12:15], v[20:21], v[28:29], a[12:15]
	v_fma_f32 v20, v4, v35, v2
	ds_read_b64 v[2:3], v0 offset:16384
	v_accvgpr_read_b32 v21, a3
	s_waitcnt lgkmcnt(1)
	v_mfma_f32_16x16x16_bf16 a[0:3], v[22:23], v[26:27], a[8:11]
	v_fmac_f32_e32 v21, v5, v35
	v_mfma_f32_16x16x16_bf16 a[4:7], v[36:37], v[38:39], a[4:7]
	v_mfma_f32_16x16x16_bf16 a[8:11], v[22:23], v[30:31], a[12:15]
	s_waitcnt lgkmcnt(0)
	v_mfma_f32_16x16x16_bf16 a[0:3], v[2:3], v[32:33], a[0:3]
	s_nop 3
	v_accvgpr_read_b32 v0, a4
	v_fma_f32 v26, v10, v35, v0
	v_accvgpr_read_b32 v0, a5
	v_fma_f32 v27, v11, v35, v0
	v_accvgpr_read_b32 v0, a6
	v_accvgpr_read_b32 v29, a7
	v_mfma_f32_16x16x16_bf16 a[4:7], v[2:3], v[38:39], a[8:11]
	v_fma_f32 v28, v12, v35, v0
	v_accvgpr_read_b32 v0, a0
	v_fma_f32 v22, v6, v35, v0
	v_accvgpr_read_b32 v0, a1
	;; [unrolled: 2-line block ×5, first 2 shown]
	v_accvgpr_read_b32 v25, a3
	v_fma_f32 v31, v15, v35, v0
	v_accvgpr_read_b32 v0, a6
	v_accvgpr_read_b32 v33, a7
	v_fmac_f32_e32 v29, v13, v35
	v_fmac_f32_e32 v25, v9, v35
	v_fma_f32 v32, v16, v35, v0
	v_fmac_f32_e32 v33, v17, v35
	v_mov_b64_e32 v[2:3], v[18:19]
	v_mov_b64_e32 v[4:5], v[20:21]
	;; [unrolled: 1-line block ×8, first 2 shown]
	v_mov_b32_e32 v18, v34
.LBB422_86:
	s_mul_i32 s0, s33, s35
	s_mul_hi_u32 s1, s33, s34
	s_add_i32 s0, s1, s0
	s_mul_i32 s1, s48, s34
	s_add_i32 s1, s0, s1
	s_mul_i32 s0, s33, s34
	s_add_u32 s0, s0, s49
	s_addc_u32 s1, s1, s9
	s_lshl_b64 s[0:1], s[0:1], 16
	s_add_u32 s0, s24, s0
	v_lshlrev_b32_e32 v18, 7, v18
	s_addc_u32 s1, s25, s1
	v_ashrrev_i32_e32 v19, 31, v18
	v_lshl_add_u64 v[20:21], v[18:19], 2, s[0:1]
	v_lshlrev_b32_e32 v0, 2, v1
	v_mov_b32_e32 v1, 0
	v_lshl_add_u64 v[20:21], v[20:21], 0, v[0:1]
	global_store_dwordx4 v[20:21], v[2:5], off
	global_store_dwordx4 v[20:21], v[6:9], off offset:256
	s_nop 0
	v_or_b32_e32 v2, 0x800, v18
	v_ashrrev_i32_e32 v3, 31, v2
	v_lshl_add_u64 v[2:3], v[2:3], 2, s[0:1]
	v_lshl_add_u64 v[0:1], v[2:3], 0, v[0:1]
	global_store_dwordx4 v[0:1], v[10:13], off
	global_store_dwordx4 v[0:1], v[14:17], off offset:256
	s_endpgm
	.section	.rodata,"a",@progbits
	.p2align	6, 0x0
	.amdhsa_kernel _ZN12_GLOBAL__N_139chunk_gated_delta_rule_fwd_h_hip_kernelILi32ELb0ELb1ELb0ELb1ELb1ELb0ELb1ELb0EEEvPK12hip_bfloat16S3_S3_PKfS5_PKvPS1_S8_PvPKiSB_iiiiilll
		.amdhsa_group_segment_fixed_size 49152
		.amdhsa_private_segment_fixed_size 0
		.amdhsa_kernarg_size 136
		.amdhsa_user_sgpr_count 2
		.amdhsa_user_sgpr_dispatch_ptr 0
		.amdhsa_user_sgpr_queue_ptr 0
		.amdhsa_user_sgpr_kernarg_segment_ptr 1
		.amdhsa_user_sgpr_dispatch_id 0
		.amdhsa_user_sgpr_kernarg_preload_length 0
		.amdhsa_user_sgpr_kernarg_preload_offset 0
		.amdhsa_user_sgpr_private_segment_size 0
		.amdhsa_uses_dynamic_stack 0
		.amdhsa_enable_private_segment 0
		.amdhsa_system_sgpr_workgroup_id_x 1
		.amdhsa_system_sgpr_workgroup_id_y 1
		.amdhsa_system_sgpr_workgroup_id_z 0
		.amdhsa_system_sgpr_workgroup_info 0
		.amdhsa_system_vgpr_workitem_id 0
		.amdhsa_next_free_vgpr 148
		.amdhsa_next_free_sgpr 64
		.amdhsa_accum_offset 132
		.amdhsa_reserve_vcc 1
		.amdhsa_float_round_mode_32 0
		.amdhsa_float_round_mode_16_64 0
		.amdhsa_float_denorm_mode_32 3
		.amdhsa_float_denorm_mode_16_64 3
		.amdhsa_dx10_clamp 1
		.amdhsa_ieee_mode 1
		.amdhsa_fp16_overflow 0
		.amdhsa_tg_split 0
		.amdhsa_exception_fp_ieee_invalid_op 0
		.amdhsa_exception_fp_denorm_src 0
		.amdhsa_exception_fp_ieee_div_zero 0
		.amdhsa_exception_fp_ieee_overflow 0
		.amdhsa_exception_fp_ieee_underflow 0
		.amdhsa_exception_fp_ieee_inexact 0
		.amdhsa_exception_int_div_zero 0
	.end_amdhsa_kernel
	.section	.text._ZN12_GLOBAL__N_139chunk_gated_delta_rule_fwd_h_hip_kernelILi32ELb0ELb1ELb0ELb1ELb1ELb0ELb1ELb0EEEvPK12hip_bfloat16S3_S3_PKfS5_PKvPS1_S8_PvPKiSB_iiiiilll,"axG",@progbits,_ZN12_GLOBAL__N_139chunk_gated_delta_rule_fwd_h_hip_kernelILi32ELb0ELb1ELb0ELb1ELb1ELb0ELb1ELb0EEEvPK12hip_bfloat16S3_S3_PKfS5_PKvPS1_S8_PvPKiSB_iiiiilll,comdat
.Lfunc_end422:
	.size	_ZN12_GLOBAL__N_139chunk_gated_delta_rule_fwd_h_hip_kernelILi32ELb0ELb1ELb0ELb1ELb1ELb0ELb1ELb0EEEvPK12hip_bfloat16S3_S3_PKfS5_PKvPS1_S8_PvPKiSB_iiiiilll, .Lfunc_end422-_ZN12_GLOBAL__N_139chunk_gated_delta_rule_fwd_h_hip_kernelILi32ELb0ELb1ELb0ELb1ELb1ELb0ELb1ELb0EEEvPK12hip_bfloat16S3_S3_PKfS5_PKvPS1_S8_PvPKiSB_iiiiilll
                                        ; -- End function
	.section	.AMDGPU.csdata,"",@progbits
; Kernel info:
; codeLenInByte = 9264
; NumSgprs: 70
; NumVgprs: 130
; NumAgprs: 16
; TotalNumVgprs: 148
; ScratchSize: 0
; MemoryBound: 0
; FloatMode: 240
; IeeeMode: 1
; LDSByteSize: 49152 bytes/workgroup (compile time only)
; SGPRBlocks: 8
; VGPRBlocks: 18
; NumSGPRsForWavesPerEU: 70
; NumVGPRsForWavesPerEU: 148
; AccumOffset: 132
; Occupancy: 1
; WaveLimiterHint : 1
; COMPUTE_PGM_RSRC2:SCRATCH_EN: 0
; COMPUTE_PGM_RSRC2:USER_SGPR: 2
; COMPUTE_PGM_RSRC2:TRAP_HANDLER: 0
; COMPUTE_PGM_RSRC2:TGID_X_EN: 1
; COMPUTE_PGM_RSRC2:TGID_Y_EN: 1
; COMPUTE_PGM_RSRC2:TGID_Z_EN: 0
; COMPUTE_PGM_RSRC2:TIDIG_COMP_CNT: 0
; COMPUTE_PGM_RSRC3_GFX90A:ACCUM_OFFSET: 32
; COMPUTE_PGM_RSRC3_GFX90A:TG_SPLIT: 0
	.section	.text._ZN12_GLOBAL__N_139chunk_gated_delta_rule_fwd_h_hip_kernelILi32ELb0ELb0ELb1ELb1ELb1ELb0ELb1ELb0EEEvPK12hip_bfloat16S3_S3_PKfS5_PKvPS1_S8_PvPKiSB_iiiiilll,"axG",@progbits,_ZN12_GLOBAL__N_139chunk_gated_delta_rule_fwd_h_hip_kernelILi32ELb0ELb0ELb1ELb1ELb1ELb0ELb1ELb0EEEvPK12hip_bfloat16S3_S3_PKfS5_PKvPS1_S8_PvPKiSB_iiiiilll,comdat
	.globl	_ZN12_GLOBAL__N_139chunk_gated_delta_rule_fwd_h_hip_kernelILi32ELb0ELb0ELb1ELb1ELb1ELb0ELb1ELb0EEEvPK12hip_bfloat16S3_S3_PKfS5_PKvPS1_S8_PvPKiSB_iiiiilll ; -- Begin function _ZN12_GLOBAL__N_139chunk_gated_delta_rule_fwd_h_hip_kernelILi32ELb0ELb0ELb1ELb1ELb1ELb0ELb1ELb0EEEvPK12hip_bfloat16S3_S3_PKfS5_PKvPS1_S8_PvPKiSB_iiiiilll
	.p2align	8
	.type	_ZN12_GLOBAL__N_139chunk_gated_delta_rule_fwd_h_hip_kernelILi32ELb0ELb0ELb1ELb1ELb1ELb0ELb1ELb0EEEvPK12hip_bfloat16S3_S3_PKfS5_PKvPS1_S8_PvPKiSB_iiiiilll,@function
_ZN12_GLOBAL__N_139chunk_gated_delta_rule_fwd_h_hip_kernelILi32ELb0ELb0ELb1ELb1ELb1ELb0ELb1ELb0EEEvPK12hip_bfloat16S3_S3_PKfS5_PKvPS1_S8_PvPKiSB_iiiiilll: ; @_ZN12_GLOBAL__N_139chunk_gated_delta_rule_fwd_h_hip_kernelILi32ELb0ELb0ELb1ELb1ELb1ELb0ELb1ELb0EEEvPK12hip_bfloat16S3_S3_PKfS5_PKvPS1_S8_PvPKiSB_iiiiilll
; %bb.0:
	s_load_dwordx4 s[16:19], s[0:1], 0x5c
	s_load_dwordx4 s[20:23], s[0:1], 0x70
	s_abs_i32 s25, s3
	s_ashr_i32 s24, s3, 31
	s_load_dwordx4 s[12:15], s[0:1], 0x30
	s_load_dwordx4 s[28:31], s[0:1], 0x48
	s_waitcnt lgkmcnt(0)
	s_abs_i32 s34, s17
	v_cvt_f32_u32_e32 v1, s34
	s_sub_i32 s26, 0, s34
	s_ashr_i32 s35, s17, 31
	s_xor_b32 s24, s24, s35
	v_rcp_iflag_f32_e32 v1, v1
	s_load_dwordx8 s[4:11], s[0:1], 0x0
	v_lshrrev_b32_e32 v44, 6, v0
	v_bfe_u32 v45, v0, 4, 2
	v_mul_f32_e32 v1, 0x4f7ffffe, v1
	v_cvt_u32_f32_e32 v1, v1
	v_lshlrev_b32_e32 v2, 2, v45
	v_and_b32_e32 v43, 63, v0
	v_and_b32_e32 v42, 15, v0
	v_readfirstlane_b32 s27, v1
	s_mul_i32 s26, s26, s27
	s_mul_hi_u32 s26, s27, s26
	s_add_i32 s27, s27, s26
	s_mul_hi_u32 s26, s25, s27
	s_mul_i32 s27, s26, s34
	s_sub_i32 s25, s25, s27
	s_add_i32 s33, s26, 1
	s_sub_i32 s27, s25, s34
	s_cmp_ge_u32 s25, s34
	s_cselect_b32 s26, s33, s26
	s_cselect_b32 s25, s27, s25
	s_add_i32 s27, s26, 1
	s_cmp_ge_u32 s25, s34
	s_cselect_b32 s25, s27, s26
	s_xor_b32 s25, s25, s24
	s_sub_i32 s24, s25, s24
	s_mul_i32 s25, s24, s17
	s_sub_i32 s33, s3, s25
	s_ashr_i32 s25, s24, 31
	s_lshl_b64 s[26:27], s[24:25], 2
	s_add_u32 s28, s28, s26
	s_addc_u32 s29, s29, s27
	s_add_u32 s26, s30, s26
	s_addc_u32 s27, s31, s27
	s_abs_i32 s3, s18
	v_cvt_f32_u32_e32 v1, s3
	s_load_dwordx2 s[38:39], s[28:29], 0x0
	s_sub_i32 s29, 0, s3
	s_load_dword s46, s[26:27], 0x0
	v_rcp_iflag_f32_e32 v1, v1
	v_mov_b32_e32 v3, 0
	s_waitcnt lgkmcnt(0)
	s_sub_i32 s47, s39, s38
	s_ashr_i32 s28, s47, 31
	v_mul_f32_e32 v1, 0x4f7ffffe, v1
	v_cvt_u32_f32_e32 v1, v1
	s_lshr_b32 s28, s28, 26
	s_add_i32 s28, s47, s28
	s_ashr_i32 s45, s28, 6
	v_readfirstlane_b32 s30, v1
	s_mul_i32 s29, s29, s30
	s_mul_hi_u32 s29, s30, s29
	s_add_i32 s30, s30, s29
	s_mul_hi_u32 s29, s34, s30
	s_mul_i32 s30, s29, s3
	s_ashr_i32 s28, s18, 31
	s_sub_i32 s30, s34, s30
	s_xor_b32 s28, s35, s28
	s_add_i32 s31, s29, 1
	s_sub_i32 s34, s30, s3
	s_cmp_ge_u32 s30, s3
	s_cselect_b32 s29, s31, s29
	s_cselect_b32 s30, s34, s30
	s_add_i32 s31, s29, 1
	s_cmp_ge_u32 s30, s3
	s_cselect_b32 s3, s31, s29
	s_xor_b32 s3, s3, s28
	s_sub_i32 s3, s3, s28
	s_abs_i32 s28, s3
	v_cvt_f32_u32_e32 v1, s28
	s_load_dwordx2 s[34:35], s[0:1], 0x80
	s_xor_b32 s0, s33, s3
	s_sub_i32 s3, 0, s28
	v_rcp_iflag_f32_e32 v1, v1
	s_abs_i32 s1, s33
	s_ashr_i32 s0, s0, 31
	s_mul_hi_i32 s48, s33, s16
	v_mul_f32_e32 v1, 0x4f7ffffe, v1
	v_cvt_u32_f32_e32 v1, v1
	s_mul_i32 s49, s33, s16
	v_lshrrev_b32_e32 v47, 3, v43
	v_lshlrev_b32_e32 v46, 3, v0
	v_readfirstlane_b32 s26, v1
	s_mul_i32 s3, s3, s26
	s_mul_hi_u32 s3, s26, s3
	s_add_i32 s26, s26, s3
	s_mul_hi_u32 s3, s1, s26
	s_mul_i32 s26, s3, s28
	s_sub_i32 s1, s1, s26
	s_add_i32 s26, s3, 1
	s_sub_i32 s27, s1, s28
	s_cmp_ge_u32 s1, s28
	s_cselect_b32 s3, s26, s3
	s_cselect_b32 s1, s27, s1
	s_add_i32 s26, s3, 1
	s_cmp_ge_u32 s1, s28
	s_cselect_b32 s1, s26, s3
	s_xor_b32 s1, s1, s0
	v_lshlrev_b32_e32 v1, 4, v44
	s_sub_i32 s50, s1, s0
	v_or_b32_e32 v48, v2, v1
	s_lshl_b32 s36, s2, 5
	v_or_b32_e32 v49, 64, v48
	s_cmp_lt_i32 s47, 64
	s_mul_i32 s42, s24, s21
	s_mul_hi_u32 s43, s24, s20
	s_mul_i32 s44, s25, s20
	s_mul_i32 s20, s24, s20
	v_mov_b32_e32 v66, 0
	v_mov_b32_e32 v64, 0
	;; [unrolled: 1-line block ×15, first 2 shown]
	s_cbranch_scc1 .LBB423_18
; %bb.1:
	s_ashr_i32 s53, s33, 31
	s_ashr_i32 s1, s38, 31
	s_add_u32 s0, s49, s38
	s_addc_u32 s1, s48, s1
	s_lshl_b64 s[0:1], s[0:1], 8
	v_and_b32_e32 v51, 56, v46
	s_add_u32 s0, s6, s0
	v_lshl_or_b32 v50, v44, 3, v47
	v_lshlrev_b32_e32 v3, 1, v51
	s_addc_u32 s1, s7, s1
	v_lshl_or_b32 v52, v50, 8, v3
	s_and_b32 s1, s1, 0xffff
	s_mov_b32 s3, 0x20000
	s_movk_i32 s2, 0x4000
	s_movk_i32 s21, 0x80
	v_or_b32_e32 v53, 0x2000, v52
	buffer_load_dwordx4 v[4:7], v52, s[0:3], 0 offen
	buffer_load_dwordx4 v[8:11], v52, s[0:3], s21 offen
	;; [unrolled: 1-line block ×4, first 2 shown]
	v_lshlrev_b32_e32 v20, 3, v50
	v_and_or_b32 v22, v0, 7, v20
	v_and_b32_e32 v20, 0x78, v20
	v_lshlrev_b32_e32 v22, 4, v22
	v_xor_b32_e32 v54, v22, v20
	v_mul_lo_u32 v21, v50, s19
	v_or_b32_e32 v55, 0x1000, v54
	s_cmpk_eq_i32 s19, 0x80
	s_mov_b32 s51, s17
	s_mov_b32 s52, s38
	v_xor_b32_e32 v20, 8, v54
	v_xor_b32_e32 v22, 8, v55
	s_cselect_b64 s[0:1], -1, 0
	s_cmpk_lg_i32 s19, 0x80
	s_waitcnt vmcnt(3)
	ds_write_b64 v54, v[4:5] offset:24576
	ds_write_b64 v20, v[6:7] offset:24576
	s_waitcnt vmcnt(2)
	ds_write_b64 v54, v[8:9] offset:32768
	ds_write_b64 v20, v[10:11] offset:32768
	;; [unrolled: 3-line block ×4, first 2 shown]
	v_lshl_add_u32 v4, v21, 1, v51
	s_cbranch_scc0 .LBB423_3
; %bb.2:
	v_lshlrev_b32_e32 v6, 1, v4
	v_add_lshl_u32 v5, v4, s19, 1
	s_lshl_b32 s26, s19, 7
	v_lshl_or_b32 v3, v50, 9, v3
	s_cbranch_execz .LBB423_4
	s_branch .LBB423_5
.LBB423_3:
                                        ; implicit-def: $vgpr5
                                        ; implicit-def: $vgpr6
                                        ; implicit-def: $sgpr26
	v_lshl_or_b32 v3, v50, 9, v3
.LBB423_4:
	v_or_b32_e32 v5, 0x100, v3
	s_movk_i32 s26, 0x4000
	v_mov_b32_e32 v6, v3
.LBB423_5:
	s_mul_i32 s2, s38, s18
	s_ashr_i32 s54, s50, 31
	s_mul_hi_i32 s3, s38, s18
	s_add_u32 s2, s2, s50
	s_addc_u32 s3, s3, s54
	s_lshl_b64 s[2:3], s[2:3], 8
	s_add_u32 s24, s4, s2
	s_addc_u32 s2, s5, s3
	s_and_b32 s25, s2, 0xffff
	s_mov_b32 s27, 0x20000
	s_movk_i32 s55, 0x80
	buffer_load_dwordx4 v[8:11], v6, s[24:27], 0 offen
	buffer_load_dwordx4 v[12:15], v6, s[24:27], s55 offen
	;; [unrolled: 1-line block ×4, first 2 shown]
	v_and_b32_e32 v5, 6, v0
	v_lshlrev_b32_e32 v24, 6, v48
	v_or_b32_e32 v26, 16, v42
	v_xor_b32_e32 v27, v50, v5
	v_and_b32_e32 v6, 1, v0
	s_mul_i32 s2, s33, s23
	s_mul_hi_u32 s3, s33, s22
	v_lshl_or_b32 v30, v42, 3, v24
	v_lshl_or_b32 v24, v26, 3, v24
	v_lshlrev_b32_e32 v27, 2, v27
	s_add_i32 s21, s43, s42
	v_lshlrev_b32_e32 v7, 2, v42
	s_mul_i32 s24, s53, s22
	v_or_b32_e32 v58, 0xa000, v24
	v_or_b32_e32 v59, 0xb000, v24
	v_xor_b32_e32 v24, 0x440, v27
	v_cmp_eq_u32_e32 vcc, 0, v6
	s_add_i32 s2, s3, s2
	s_add_i32 s21, s21, s44
	v_xor_b32_e32 v28, v48, v7
	v_xor_b32_e32 v29, v49, v7
	v_cndmask_b32_e32 v6, v24, v27, vcc
	s_add_i32 s3, s2, s24
	s_lshl_b64 s[24:25], s[20:21], 2
	s_mov_b32 s56, 0x1000504
	v_lshlrev_b32_e32 v25, 8, v42
	v_lshlrev_b32_e32 v26, 8, v26
	;; [unrolled: 1-line block ×4, first 2 shown]
	v_lshl_or_b32 v5, v5, 10, v6
	s_mul_i32 s2, s33, s22
	s_add_u32 s21, s10, s24
	s_mov_b32 s57, 0x3020706
	v_or_b32_e32 v56, 0xa000, v30
	v_or_b32_e32 v57, 0xb000, v30
	;; [unrolled: 1-line block ×5, first 2 shown]
	v_xor_b32_e32 v6, 8, v5
	v_xor_b32_e32 v25, 24, v5
	;; [unrolled: 1-line block ×4, first 2 shown]
	s_addc_u32 s24, s11, s25
	s_lshl_b64 s[2:3], s[2:3], 2
	v_or_b32_e32 v62, v26, v28
	v_xor_b32_e32 v24, 16, v5
	v_xor_b32_e32 v26, 32, v5
	;; [unrolled: 1-line block ×3, first 2 shown]
	v_add_u32_e32 v6, 0x80, v6
	v_add_u32_e32 v25, 0x80, v25
	;; [unrolled: 1-line block ×4, first 2 shown]
	s_add_u32 s2, s21, s2
	s_addc_u32 s3, s24, s3
	s_movk_i32 s24, 0xf8
	s_ashr_i32 s37, s36, 31
	s_lshl_b32 s30, s19, 7
	s_movk_i32 s28, 0x100
	v_mov_b32_e32 v35, 0
	v_lshlrev_b32_e32 v34, 4, v42
	v_cmp_gt_u32_e32 vcc, s28, v0
	s_mov_b32 s58, 0
	s_movk_i32 s21, 0x1000
	s_movk_i32 s26, 0x4000
	v_add_u32_e32 v93, v1, v2
	v_mov_b32_e32 v76, v35
	v_mov_b32_e32 v75, v35
	;; [unrolled: 1-line block ×13, first 2 shown]
	s_waitcnt vmcnt(1)
	v_perm_b32 v30, v8, v16, s56
	s_waitcnt vmcnt(0)
	v_perm_b32 v31, v12, v20, s56
	v_perm_b32 v8, v8, v16, s57
	;; [unrolled: 1-line block ×15, first 2 shown]
	ds_write2st64_b32 v5, v30, v31 offset0:32 offset1:64
	ds_write2st64_b32 v6, v8, v12 offset0:32 offset1:64
	;; [unrolled: 1-line block ×8, first 2 shown]
	v_or_b32_e32 v5, v1, v42
	v_lshlrev_b32_e32 v5, 3, v5
	v_lshrrev_b32_e32 v8, 5, v43
	v_and_or_b32 v8, v5, s24, v8
	v_lshlrev_b32_e32 v8, 4, v8
	v_lshlrev_b32_e32 v9, 11, v44
	v_and_b32_e32 v5, 0x78, v5
	v_or_b32_e32 v13, 32, v8
	v_and_b32_e32 v6, 0x1000, v9
	v_lshrrev_b32_e32 v11, 1, v0
	v_xor_b32_e32 v13, v13, v5
	v_and_b32_e32 v12, 8, v11
	v_or_b32_e32 v13, v13, v6
	v_xor_b32_e32 v10, v8, v5
	v_xor_b32_e32 v78, v13, v12
	v_or_b32_e32 v13, 64, v8
	v_or_b32_e32 v8, 0x60, v8
	v_xor_b32_e32 v13, v13, v5
	v_xor_b32_e32 v5, v8, v5
	v_or_b32_e32 v10, v10, v6
	v_or_b32_e32 v13, v13, v6
	;; [unrolled: 1-line block ×3, first 2 shown]
	s_lshl_b64 s[24:25], s[36:37], 8
	v_xor_b32_e32 v70, v10, v12
	v_xor_b32_e32 v80, v13, v12
	;; [unrolled: 1-line block ×3, first 2 shown]
	v_lshlrev_b32_e32 v12, 1, v4
	v_add_lshl_u32 v13, v4, s19, 1
	s_add_u32 s24, s12, s24
	v_lshlrev_b32_e32 v4, 1, v42
	v_lshrrev_b32_e32 v15, 4, v0
	s_addc_u32 s25, s13, s25
	v_or_b32_e32 v5, 1, v4
	v_mov_b32_e32 v19, 0x4000
	v_mov_b32_e32 v20, 0x2000
	v_xor_b32_e32 v16, v15, v4
	v_xor_b32_e32 v17, v5, v15
	v_lshl_add_u64 v[4:5], s[24:25], 0, v[34:35]
	v_lshlrev_b32_e32 v34, 8, v15
	v_cndmask_b32_e32 v19, v19, v20, vcc
	v_lshlrev_b32_e32 v20, 3, v44
	v_and_b32_e32 v11, 24, v11
	v_lshl_or_b32 v84, v16, 3, v34
	v_and_b32_e32 v16, 8, v0
	v_xor_b32_e32 v21, v20, v11
	v_or_b32_e32 v22, 0x440, v21
	v_cmp_eq_u32_e32 vcc, 0, v16
	v_and_b32_e32 v15, 7, v0
	v_lshlrev_b32_e32 v10, 7, v45
	v_cndmask_b32_e32 v16, v22, v21, vcc
	v_lshl_or_b32 v85, v17, 3, v34
	v_lshlrev_b32_e32 v17, 3, v15
	v_lshlrev_b32_e32 v15, 7, v15
	;; [unrolled: 1-line block ×3, first 2 shown]
	v_or_b32_e32 v16, v16, v9
	v_or_b32_e32 v7, v10, v7
	v_xad_u32 v86, v16, v17, v15
	v_and_or_b32 v10, v18, 60, v10
	v_mov_b32_e32 v16, 0xb000
	v_lshl_or_b32 v87, v10, 1, v16
	v_or_b32_e32 v10, 32, v11
	v_xor_b32_e32 v10, v20, v10
	v_or_b32_e32 v16, 0x440, v10
	v_cndmask_b32_e32 v10, v16, v10, vcc
	v_or_b32_e32 v10, v10, v9
	v_xad_u32 v88, v10, v17, v15
	v_or_b32_e32 v10, 64, v11
	v_xor_b32_e32 v10, v20, v10
	v_xor_b32_e32 v16, 0x440, v10
	v_cndmask_b32_e32 v10, v16, v10, vcc
	v_or_b32_e32 v10, v10, v9
	v_xad_u32 v89, v10, v17, v15
	v_or_b32_e32 v10, 0x60, v11
	v_xor_b32_e32 v10, v20, v10
	v_xor_b32_e32 v11, 0x440, v10
	v_lshlrev_b32_e32 v7, 1, v7
	v_or_b32_e32 v6, s36, v42
	v_cndmask_b32_e32 v10, v11, v10, vcc
	v_or_b32_e32 v74, 0xa000, v7
	v_or_b32_e32 v79, 0xa080, v7
	;; [unrolled: 1-line block ×4, first 2 shown]
	v_ashrrev_i32_e32 v7, 31, v6
	v_or_b32_e32 v9, v10, v9
	v_lshlrev_b32_e32 v8, 7, v48
	v_or_b32_e32 v14, 0x100, v3
	v_xad_u32 v90, v9, v17, v15
	v_lshlrev_b64 v[6:7], 1, v[6:7]
	v_cndmask_b32_e64 v91, v12, v3, s[0:1]
	v_cndmask_b32_e64 v92, v13, v14, s[0:1]
	v_lshl_add_u64 v[36:37], s[8:9], 0, v[6:7]
	v_lshl_add_u64 v[38:39], s[14:15], 0, v[6:7]
	v_lshl_add_u64 v[40:41], v[4:5], 0, v[34:35]
	s_mov_b32 s37, 0x7060302
	v_lshlrev_b32_e32 v34, 1, v8
	v_add_u32_e32 v94, v19, v86
	v_add_u32_e32 v95, v19, v88
	;; [unrolled: 1-line block ×4, first 2 shown]
	v_mov_b32_e32 v64, v35
	v_mov_b32_e32 v66, v35
	;; [unrolled: 1-line block ×3, first 2 shown]
	s_waitcnt lgkmcnt(0)
	s_barrier
.LBB423_6:                              ; =>This Inner Loop Header: Depth=1
	s_add_i32 s59, s58, 1
	s_cmp_lt_i32 s59, s45
	s_mov_b64 s[28:29], 0
	s_cselect_b64 s[40:41], -1, 0
	s_cmp_ge_i32 s59, s45
	s_mov_b64 s[24:25], 0
	s_cbranch_scc1 .LBB423_8
; %bb.7:                                ;   in Loop: Header=BB423_6 Depth=1
	s_add_i32 s0, s52, 64
	s_ashr_i32 s1, s0, 31
	s_add_u32 s0, s49, s0
	s_addc_u32 s1, s48, s1
	s_lshl_b64 s[0:1], s[0:1], 8
	s_add_u32 s24, s6, s0
	s_addc_u32 s25, s7, s1
.LBB423_8:                              ;   in Loop: Header=BB423_6 Depth=1
	v_cndmask_b32_e64 v2, 0, 1, s[40:41]
	v_cmp_ne_u32_e64 s[0:1], 1, v2
	s_andn2_b64 vcc, exec, s[40:41]
	s_cbranch_vccnz .LBB423_10
; %bb.9:                                ;   in Loop: Header=BB423_6 Depth=1
	s_add_i32 s28, s52, 64
	s_mul_hi_i32 s29, s28, s18
	s_mul_i32 s28, s28, s18
	s_add_u32 s28, s28, s50
	s_addc_u32 s29, s29, s54
	s_lshl_b64 s[28:29], s[28:29], 8
	s_add_u32 s28, s4, s28
	s_addc_u32 s29, s5, s29
.LBB423_10:                             ;   in Loop: Header=BB423_6 Depth=1
	v_perm_b32 v3, v100, v77, s37
	v_perm_b32 v2, v75, v76, s37
	;; [unrolled: 1-line block ×4, first 2 shown]
	ds_write_b64 v56, v[2:3]
	ds_write_b64 v57, v[4:5]
	;; [unrolled: 1-line block ×4, first 2 shown]
	v_perm_b32 v3, v101, v69, s37
	v_perm_b32 v2, v67, v68, s37
	;; [unrolled: 1-line block ×4, first 2 shown]
	ds_write_b64 v58, v[2:3]
	ds_write_b64 v59, v[4:5]
	;; [unrolled: 1-line block ×4, first 2 shown]
	s_waitcnt lgkmcnt(0)
	s_barrier
	ds_read_b64 v[6:7], v70 offset:24576
	ds_read2_b64 v[2:5], v74 offset1:16
	ds_read_b64 v[10:11], v79 offset:3072
	ds_read_b64 v[12:13], v74 offset:3072
	;; [unrolled: 1-line block ×3, first 2 shown]
	s_waitcnt lgkmcnt(3)
	v_mfma_f32_16x16x16_bf16 a[0:3], v[6:7], v[2:3], 0
	s_add_i32 s31, s52, 63
	s_ashr_i32 s40, s31, 31
	s_mul_i32 s41, s31, s35
	v_mfma_f32_16x16x16_bf16 a[4:7], v[6:7], v[4:5], 0
	ds_read2st64_b64 v[2:5], v74 offset0:2 offset1:4
	s_mul_hi_u32 s60, s31, s34
	s_add_i32 s41, s60, s41
	s_waitcnt lgkmcnt(0)
	v_mfma_f32_16x16x16_bf16 a[0:3], v[14:15], v[2:3], a[0:3]
	ds_read2st64_b64 v[6:9], v79 offset0:2 offset1:4
	ds_read_b64 v[2:3], v80 offset:24576
	s_mul_i32 s40, s40, s34
	s_add_i32 s41, s41, s40
	s_waitcnt lgkmcnt(1)
	v_mfma_f32_16x16x16_bf16 a[4:7], v[14:15], v[6:7], a[4:7]
	ds_read_b64 v[6:7], v81 offset:24576
	s_mul_i32 s40, s31, s34
	s_lshl_b64 s[40:41], s[40:41], 2
	s_waitcnt lgkmcnt(1)
	v_mfma_f32_16x16x16_bf16 a[0:3], v[2:3], v[4:5], a[0:3]
	s_add_u32 s40, s2, s40
	s_addc_u32 s41, s3, s41
	s_and_b64 vcc, exec, s[0:1]
	v_mfma_f32_16x16x16_bf16 a[8:11], v[2:3], v[8:9], a[4:7]
	v_mov_b32_e32 v104, 0
	v_mov_b32_e32 v103, 0
	;; [unrolled: 1-line block ×3, first 2 shown]
	s_waitcnt lgkmcnt(0)
	v_mfma_f32_16x16x16_bf16 a[4:7], v[6:7], v[12:13], a[0:3]
	v_mov_b32_e32 v2, 0
	v_mov_b32_e32 v3, 0
	;; [unrolled: 1-line block ×3, first 2 shown]
	v_mfma_f32_16x16x16_bf16 a[0:3], v[6:7], v[10:11], a[8:11]
	v_mov_b32_e32 v5, 0
	v_mov_b32_e32 v6, 0
	;; [unrolled: 1-line block ×13, first 2 shown]
	s_cbranch_vccnz .LBB423_12
; %bb.11:                               ;   in Loop: Header=BB423_6 Depth=1
	s_and_b32 s25, s25, 0xffff
	buffer_load_dwordx4 v[14:17], v52, s[24:27], 0 offen
	buffer_load_dwordx4 v[10:13], v52, s[24:27], s55 offen
	;; [unrolled: 1-line block ×4, first 2 shown]
	v_mov_b32_e32 v103, v54
	v_mov_b32_e32 v102, v55
.LBB423_12:                             ;   in Loop: Header=BB423_6 Depth=1
	s_waitcnt vmcnt(3)
	ds_read_b64 v[26:27], v70 offset:32768
	s_waitcnt vmcnt(2)
	ds_read2_b64 v[18:21], v82 offset1:16
	ds_read_b64 v[28:29], v78 offset:32768
	ds_read_b64 v[30:31], v80 offset:32768
	;; [unrolled: 1-line block ×3, first 2 shown]
	ds_read2st64_b64 v[22:25], v82 offset0:2 offset1:4
	v_add_u32_e32 v105, s52, v93
	s_waitcnt lgkmcnt(4)
	v_mfma_f32_16x16x16_bf16 a[4:7], v[26:27], v[18:19], a[4:7]
	v_ashrrev_i32_e32 v18, 31, v105
	v_mfma_f32_16x16x16_bf16 a[0:3], v[26:27], v[20:21], a[0:3]
	v_mul_lo_u32 v20, v105, s35
	v_mul_lo_u32 v21, v18, s34
	v_mad_u64_u32 v[18:19], s[24:25], v105, s34, 0
	v_add3_u32 v19, v19, v20, v21
	v_add_u32_e32 v20, 1, v105
	v_ashrrev_i32_e32 v21, 31, v20
	s_waitcnt lgkmcnt(0)
	v_mfma_f32_16x16x16_bf16 a[4:7], v[28:29], v[22:23], a[4:7]
	v_mul_lo_u32 v22, v21, s34
	v_mul_lo_u32 v23, v20, s35
	v_mad_u64_u32 v[20:21], s[24:25], v20, s34, 0
	v_add3_u32 v21, v21, v23, v22
	v_add_u32_e32 v22, 2, v105
	v_ashrrev_i32_e32 v23, 31, v22
	v_mul_lo_u32 v26, v23, s34
	v_mul_lo_u32 v27, v22, s35
	v_mad_u64_u32 v[22:23], s[24:25], v22, s34, 0
	v_add3_u32 v23, v23, v27, v26
	v_add_u32_e32 v26, 3, v105
	v_ashrrev_i32_e32 v27, 31, v26
	v_mul_lo_u32 v105, v27, s34
	v_mul_lo_u32 v106, v26, s35
	v_mad_u64_u32 v[26:27], s[24:25], v26, s34, 0
	s_ashr_i32 s25, s52, 31
	v_add3_u32 v27, v27, v106, v105
	s_add_u32 s24, s49, s52
	v_lshl_add_u64 v[18:19], v[18:19], 2, s[2:3]
	v_lshl_add_u64 v[26:27], v[26:27], 2, s[2:3]
	s_addc_u32 s25, s48, s25
	v_lshl_add_u64 v[20:21], v[20:21], 2, s[2:3]
	v_lshl_add_u64 v[22:23], v[22:23], 2, s[2:3]
	global_load_dword v105, v[18:19], off
	global_load_dword v106, v[20:21], off
	;; [unrolled: 1-line block ×3, first 2 shown]
	s_nop 0
	global_load_dword v27, v[26:27], off
	s_lshl_b64 s[60:61], s[24:25], 8
	v_lshl_add_u64 v[18:19], v[36:37], 0, s[60:61]
	v_lshl_add_u64 v[22:23], v[18:19], 0, v[34:35]
	global_load_ushort v108, v[22:23], off offset:256
	global_load_ushort v109, v[22:23], off
	global_load_ushort v110, v[22:23], off offset:768
	global_load_ushort v111, v[22:23], off offset:512
	ds_read2st64_b64 v[18:21], v83 offset0:2 offset1:4
	global_load_ushort v112, v[22:23], off offset:800
	global_load_ushort v113, v[22:23], off offset:544
	;; [unrolled: 1-line block ×4, first 2 shown]
	s_waitcnt lgkmcnt(0)
	v_mfma_f32_16x16x16_bf16 a[0:3], v[28:29], v[18:19], a[0:3]
	s_and_b64 vcc, exec, s[0:1]
	s_waitcnt vmcnt(7)
	v_lshlrev_b32_e32 v29, 16, v108
	v_mfma_f32_16x16x16_bf16 a[4:7], v[30:31], v[24:25], a[4:7]
	s_waitcnt vmcnt(6)
	v_lshlrev_b32_e32 v28, 16, v109
	v_mfma_f32_16x16x16_bf16 a[0:3], v[30:31], v[20:21], a[0:3]
	ds_read_b64 v[18:19], v82 offset:3072
	ds_read_b64 v[20:21], v83 offset:3072
	s_load_dword s24, s[40:41], 0x0
	s_waitcnt vmcnt(5)
	v_lshlrev_b32_e32 v31, 16, v110
	s_waitcnt lgkmcnt(0)
	v_mfma_f32_16x16x16_bf16 a[4:7], v[32:33], v[18:19], a[4:7]
	v_lshl_add_u64 v[18:19], v[38:39], 0, s[60:61]
	v_sub_f32_e32 v26, s24, v105
	v_sub_f32_e32 v30, s24, v106
	v_mfma_f32_16x16x16_bf16 a[0:3], v[32:33], v[20:21], a[0:3]
	v_sub_f32_e32 v32, s24, v107
	v_sub_f32_e32 v33, s24, v27
	v_exp_f32_e32 v26, v26
	v_exp_f32_e32 v27, v30
	;; [unrolled: 1-line block ×4, first 2 shown]
	v_accvgpr_read_b32 v25, a5
	v_accvgpr_read_b32 v21, a7
	;; [unrolled: 1-line block ×4, first 2 shown]
	s_waitcnt vmcnt(4)
	v_lshlrev_b32_e32 v30, 16, v111
	v_lshl_add_u64 v[18:19], v[18:19], 0, v[34:35]
	v_pk_add_f32 v[24:25], v[28:29], v[24:25] neg_lo:[0,1] neg_hi:[0,1]
	v_pk_add_f32 v[20:21], v[30:31], v[20:21] neg_lo:[0,1] neg_hi:[0,1]
	global_store_short_d16_hi v[18:19], v24, off
	global_store_short_d16_hi v[18:19], v25, off offset:256
	global_store_short_d16_hi v[18:19], v20, off offset:512
	global_store_short_d16_hi v[18:19], v21, off offset:768
	v_pk_mul_f32 v[24:25], v[26:27], v[24:25]
	v_pk_mul_f32 v[20:21], v[32:33], v[20:21]
	v_accvgpr_read_b32 v29, a1
	v_perm_b32 v24, v25, v24, s37
	v_perm_b32 v25, v21, v20, s37
	s_waitcnt vmcnt(5)
	v_lshlrev_b32_e32 v21, 16, v114
	s_waitcnt vmcnt(4)
	v_lshlrev_b32_e32 v20, 16, v115
	v_accvgpr_read_b32 v28, a0
	v_accvgpr_read_b32 v23, a3
	;; [unrolled: 1-line block ×3, first 2 shown]
	v_pk_add_f32 v[20:21], v[20:21], v[28:29] neg_lo:[0,1] neg_hi:[0,1]
	v_lshlrev_b32_e32 v29, 16, v112
	v_lshlrev_b32_e32 v28, 16, v113
	v_pk_add_f32 v[22:23], v[28:29], v[22:23] neg_lo:[0,1] neg_hi:[0,1]
	global_store_short_d16_hi v[18:19], v20, off offset:32
	global_store_short_d16_hi v[18:19], v21, off offset:288
	;; [unrolled: 1-line block ×4, first 2 shown]
	v_pk_mul_f32 v[18:19], v[26:27], v[20:21]
	v_pk_mul_f32 v[20:21], v[32:33], v[22:23]
	v_mov_b32_e32 v105, 0
	v_perm_b32 v21, v21, v20, s37
	v_perm_b32 v20, v19, v18, s37
	ds_write2_b64 v57, v[24:25], v[20:21] offset1:16
	v_mov_b32_e32 v18, 0
	v_mov_b32_e32 v19, 0
	;; [unrolled: 1-line block ×16, first 2 shown]
	s_cbranch_vccnz .LBB423_14
; %bb.13:                               ;   in Loop: Header=BB423_6 Depth=1
	s_and_b32 s29, s29, 0xffff
	s_mov_b32 s31, s27
	buffer_load_dwordx4 v[30:33], v91, s[28:31], 0 offen
	buffer_load_dwordx4 v[22:25], v91, s[28:31], s55 offen
	;; [unrolled: 1-line block ×4, first 2 shown]
	v_mov_b32_e32 v104, v51
	v_mov_b32_e32 v105, v50
.LBB423_14:                             ;   in Loop: Header=BB423_6 Depth=1
	s_waitcnt lgkmcnt(0)
	s_barrier
	ds_read_b64 v[110:111], v94
	ds_read_b64 v[118:119], v87
	;; [unrolled: 1-line block ×5, first 2 shown]
	ds_read_b64 v[124:125], v88 offset:16384
	ds_read_b64 v[126:127], v86 offset:16384
	ds_read2_b64 v[106:109], v82 offset0:16 offset1:128
	s_waitcnt lgkmcnt(6)
	v_mfma_f32_16x16x16_bf16 a[0:3], v[110:111], v[118:119], 0
	ds_read_b64 v[128:129], v83 offset:3072
	ds_read_b64 v[130:131], v90 offset:16384
	s_add_i32 s25, s46, s58
	s_waitcnt lgkmcnt(2)
	v_mfma_f32_16x16x16_bf16 a[4:7], v[110:111], v[106:107], 0
	ds_read2st64_b64 v[110:113], v83 offset0:2 offset1:4
	s_mul_hi_i32 s29, s25, s51
	s_mul_i32 s25, s25, s51
	v_mfma_f32_16x16x16_bf16 a[0:3], v[114:115], v[108:109], a[0:3]
	s_add_u32 s28, s25, s33
	s_addc_u32 s29, s29, s53
	s_lshl_b64 s[28:29], s[28:29], 15
	s_waitcnt lgkmcnt(0)
	v_mfma_f32_16x16x16_bf16 a[4:7], v[114:115], v[110:111], a[4:7]
	ds_read2st64_b64 v[114:117], v82 offset0:4 offset1:6
	s_waitcnt lgkmcnt(0)
	v_mfma_f32_16x16x16_bf16 a[0:3], v[120:121], v[114:115], a[0:3]
	v_mfma_f32_16x16x16_bf16 a[8:11], v[120:121], v[112:113], a[4:7]
	;; [unrolled: 1-line block ×5, first 2 shown]
	ds_read2st64_b64 v[118:121], v85 offset1:8
	v_mfma_f32_16x16x16_bf16 a[12:15], v[126:127], v[106:107], 0
	ds_read_b64 v[126:127], v89 offset:16384
	v_mfma_f32_16x16x16_bf16 a[8:11], v[124:125], v[108:109], a[8:11]
	ds_read2st64_b64 v[106:109], v84 offset1:8
	s_waitcnt lgkmcnt(0)
	v_mov_b32_e32 v122, v106
	v_mfma_f32_16x16x16_bf16 a[12:15], v[124:125], v[110:111], a[12:15]
	v_lshl_add_u64 v[110:111], v[40:41], 0, s[28:29]
	v_add_co_u32_e32 v106, vcc, s21, v110
	v_mfma_f32_16x16x16_bf16 a[8:11], v[126:127], v[114:115], a[8:11]
	v_mov_b32_e32 v123, v107
	v_addc_co_u32_e32 v107, vcc, 0, v111, vcc
	v_mfma_f32_16x16x16_bf16 a[16:19], v[126:127], v[112:113], a[12:15]
	v_mov_b32_e32 v124, v118
	v_mov_b32_e32 v125, v119
	;; [unrolled: 1-line block ×3, first 2 shown]
	v_mfma_f32_16x16x16_bf16 a[12:15], v[130:131], v[116:117], a[8:11]
	v_mov_b32_e32 v119, v109
	s_and_b64 vcc, exec, s[0:1]
	global_store_dwordx4 v[110:111], v[122:125], off
	v_mfma_f32_16x16x16_bf16 a[8:11], v[130:131], v[128:129], a[16:19]
	global_store_dwordx4 v[106:107], v[118:121], off
	s_cbranch_vccnz .LBB423_16
; %bb.15:                               ;   in Loop: Header=BB423_6 Depth=1
	v_lshrrev_b32_e32 v106, 3, v104
	v_and_b32_e32 v106, 6, v106
	v_xor_b32_e32 v105, v106, v105
	v_lshlrev_b32_e32 v105, 2, v105
	v_and_b32_e32 v104, 8, v104
	v_xor_b32_e32 v107, 0x440, v105
	v_cmp_eq_u32_e32 vcc, 0, v104
	s_barrier
	s_nop 0
	v_cndmask_b32_e32 v104, v107, v105, vcc
	v_lshl_or_b32 v104, v106, 10, v104
	s_waitcnt vmcnt(3)
	v_perm_b32 v105, v30, v26, s56
	s_waitcnt vmcnt(2)
	v_perm_b32 v106, v22, v18, s56
	ds_write2st64_b32 v104, v105, v106 offset0:32 offset1:64
	v_xor_b32_e32 v105, 8, v104
	v_perm_b32 v26, v30, v26, s57
	v_perm_b32 v18, v22, v18, s57
	v_add_u32_e32 v22, 0x80, v105
	ds_write2st64_b32 v22, v26, v18 offset0:32 offset1:64
	v_xor_b32_e32 v18, 16, v104
	v_perm_b32 v22, v31, v27, s56
	v_perm_b32 v26, v23, v19, s56
	ds_write2st64_b32 v18, v22, v26 offset0:33 offset1:65
	v_xor_b32_e32 v18, 24, v104
	v_perm_b32 v22, v31, v27, s57
	v_perm_b32 v19, v23, v19, s57
	v_add_u32_e32 v18, 0x80, v18
	ds_write2st64_b32 v18, v22, v19 offset0:33 offset1:65
	v_xor_b32_e32 v18, 32, v104
	v_perm_b32 v19, v32, v28, s56
	;; [unrolled: 9-line block ×3, first 2 shown]
	v_perm_b32 v20, v25, v21, s56
	ds_write2st64_b32 v18, v19, v20 offset0:35 offset1:67
	v_xor_b32_e32 v18, 56, v104
	v_perm_b32 v19, v33, v29, s57
	v_perm_b32 v20, v25, v21, s57
	v_add_u32_e32 v18, 0x80, v18
	ds_write2st64_b32 v18, v19, v20 offset0:35 offset1:67
	ds_write_b64 v103, v[14:15] offset:24576
	v_xor_b32_e32 v14, 8, v103
	ds_write_b64 v14, v[16:17] offset:24576
	ds_write_b64 v103, v[10:11] offset:32768
	;; [unrolled: 1-line block ×4, first 2 shown]
	v_xor_b32_e32 v6, 8, v102
	ds_write_b64 v6, v[8:9] offset:24576
	ds_write_b64 v102, v[2:3] offset:32768
	;; [unrolled: 1-line block ×3, first 2 shown]
.LBB423_16:                             ;   in Loop: Header=BB423_6 Depth=1
	v_exp_f32_e32 v2, s24
	v_accvgpr_read_b32 v3, a4
	v_accvgpr_read_b32 v4, a5
	;; [unrolled: 1-line block ×3, first 2 shown]
	v_fma_f32 v76, v76, v2, v3
	v_accvgpr_read_b32 v3, a6
	v_fma_f32 v77, v77, v2, v3
	v_accvgpr_read_b32 v3, a0
	;; [unrolled: 2-line block ×11, first 2 shown]
	v_accvgpr_read_b32 v6, a15
	v_fma_f32 v66, v66, v2, v3
	v_accvgpr_read_b32 v3, a11
	s_add_i32 s52, s52, 64
	v_fmac_f32_e32 v5, v100, v2
	v_fmac_f32_e32 v4, v101, v2
	;; [unrolled: 1-line block ×3, first 2 shown]
	s_cmp_eq_u32 s45, s59
	v_fmac_f32_e32 v3, v99, v2
	s_cbranch_scc1 .LBB423_18
; %bb.17:                               ;   in Loop: Header=BB423_6 Depth=1
	s_mov_b32 s58, s59
	v_mov_b32_e32 v100, v5
	v_mov_b32_e32 v98, v6
	v_mov_b32_e32 v101, v4
	v_mov_b32_e32 v99, v3
	s_branch .LBB423_6
.LBB423_18:
	s_lshl_b32 s0, s45, 6
	s_sub_i32 s47, s47, s0
	s_cmp_gt_i32 s47, 0
	s_cbranch_scc0 .LBB423_83
; %bb.19:
	s_add_i32 s38, s0, s38
	s_ashr_i32 s2, s38, 31
	s_cmpk_lg_i32 s19, 0x80
	s_cselect_b64 s[30:31], -1, 0
	s_and_b64 vcc, exec, s[30:31]
	s_cbranch_vccz .LBB423_21
; %bb.20:
	s_mul_i32 s1, s38, s18
	s_ashr_i32 s3, s50, 31
	s_mul_hi_i32 s0, s38, s18
	s_add_u32 s40, s1, s50
	s_addc_u32 s41, s0, s3
	s_cbranch_execz .LBB423_22
	s_branch .LBB423_23
.LBB423_21:
                                        ; implicit-def: $sgpr40_sgpr41
.LBB423_22:
	s_mul_i32 s1, s50, s16
	s_mul_hi_i32 s0, s50, s16
	s_add_u32 s40, s1, s38
	s_addc_u32 s41, s0, s2
.LBB423_23:
	s_add_i32 s3, s45, s46
	s_ashr_i32 s16, s33, 31
	s_add_u32 s0, s49, s38
	s_addc_u32 s1, s48, s2
	v_lshlrev_b32_e32 v10, 5, v48
	s_waitcnt vmcnt(4)
	v_lshlrev_b32_e32 v22, 2, v42
	s_mov_b32 s2, 0x7060302
	v_xor_b32_e32 v2, v48, v22
	v_perm_b32 v9, v5, v77, s2
	v_or_b32_e32 v5, v10, v22
	v_perm_b32 v8, v75, v76, s2
	v_perm_b32 v7, v6, v73, s2
	;; [unrolled: 1-line block ×3, first 2 shown]
	v_lshlrev_b32_e32 v5, 1, v5
	v_lshlrev_b32_e32 v12, 1, v2
	;; [unrolled: 1-line block ×3, first 2 shown]
	s_lshl_b64 s[28:29], s[0:1], 8
	v_xor_b32_e32 v11, v49, v22
	ds_write2st64_b64 v5, v[8:9], v[6:7] offset0:80 offset1:88
	v_or_b32_e32 v5, v12, v2
	s_add_u32 s0, s6, s28
	ds_write_b64 v5, v[8:9]
	v_lshlrev_b32_e32 v8, 1, v11
	s_addc_u32 s1, s7, s29
	v_or_b32_e32 v2, v8, v2
	s_mul_hi_i32 s6, s3, s17
	s_mul_i32 s3, s3, s17
	ds_write_b64 v2, v[6:7]
	v_perm_b32 v5, v4, v69, s2
	v_perm_b32 v4, v67, v68, s2
	v_perm_b32 v3, v3, v66, s2
	v_perm_b32 v2, v64, v65, s2
	v_or_b32_e32 v6, 16, v42
	s_add_u32 s2, s3, s33
	s_waitcnt vmcnt(2)
	v_lshlrev_b32_e32 v19, 2, v6
	s_addc_u32 s3, s6, s16
	v_or_b32_e32 v7, v10, v19
	s_ashr_i32 s37, s36, 31
	s_lshl_b64 s[2:3], s[2:3], 15
	v_lshlrev_b32_e32 v7, 1, v7
	v_lshlrev_b32_e32 v6, 8, v6
	s_add_u32 s6, s12, s2
	ds_write2st64_b64 v7, v[4:5], v[2:3] offset0:80 offset1:88
	v_or_b32_e32 v7, v12, v6
	s_addc_u32 s7, s13, s3
	s_lshl_b64 s[2:3], s[36:37], 8
	ds_write_b64 v7, v[4:5]
	v_or_b32_e32 v4, v8, v6
	s_add_u32 s2, s6, s2
	ds_write_b64 v4, v[2:3]
	v_lshrrev_b32_e32 v2, 4, v0
	s_addc_u32 s3, s7, s3
	v_lshlrev_b32_e32 v3, 1, v42
	v_lshlrev_b32_e32 v10, 4, v42
	v_mov_b32_e32 v11, 0
	v_or_b32_e32 v4, 1, v3
	v_xor_b32_e32 v3, v2, v3
	v_lshl_add_u64 v[12:13], s[2:3], 0, v[10:11]
	v_lshlrev_b32_e32 v10, 8, v2
	v_xor_b32_e32 v6, v4, v2
	v_lshl_or_b32 v2, v3, 3, v10
	s_waitcnt lgkmcnt(0)
	s_barrier
	ds_read2st64_b64 v[2:5], v2 offset1:8
	v_lshl_or_b32 v6, v6, 3, v10
	ds_read2st64_b64 v[6:9], v6 offset1:8
	v_lshl_add_u64 v[14:15], v[12:13], 0, v[10:11]
	s_movk_i32 s2, 0x1000
	s_waitcnt lgkmcnt(1)
	v_mov_b32_e32 v10, v2
	v_add_co_u32_e32 v2, vcc, s2, v14
	s_cmp_lg_u32 s47, 64
	v_mov_b32_e32 v11, v3
	v_addc_co_u32_e32 v3, vcc, 0, v15, vcc
	s_cselect_b64 s[6:7], -1, 0
	v_lshl_or_b32 v23, v44, 3, v47
	s_waitcnt lgkmcnt(0)
	v_mov_b32_e32 v12, v6
	v_mov_b32_e32 v13, v7
	;; [unrolled: 1-line block ×4, first 2 shown]
	s_mov_b32 s24, 0
	v_or_b32_e32 v20, 32, v23
	v_and_b32_e32 v18, 56, v46
	s_and_b64 vcc, exec, s[6:7]
	global_store_dwordx4 v[14:15], v[10:13], off
	global_store_dwordx4 v[2:3], v[6:9], off
	s_cbranch_vccz .LBB423_29
; %bb.24:
	s_mov_b32 s25, s24
	s_mov_b32 s26, s24
	;; [unrolled: 1-line block ×3, first 2 shown]
	v_mov_b64_e32 v[6:7], s[24:25]
	v_mov_b64_e32 v[8:9], s[26:27]
	;; [unrolled: 1-line block ×3, first 2 shown]
	v_cmp_gt_i32_e32 vcc, s47, v23
	v_mov_b64_e32 v[4:5], v[8:9]
	s_and_saveexec_b64 s[2:3], vcc
	s_cbranch_execz .LBB423_26
; %bb.25:
	v_lshlrev_b32_e32 v2, 8, v23
	v_mov_b32_e32 v3, 0
	v_lshl_add_u64 v[4:5], s[0:1], 0, v[2:3]
	v_lshlrev_b32_e32 v2, 1, v18
	v_lshl_add_u64 v[10:11], v[4:5], 0, v[2:3]
	global_load_dwordx4 v[6:9], v[10:11], off
	global_load_dwordx4 v[2:5], v[10:11], off offset:128
.LBB423_26:
	s_or_b64 exec, exec, s[2:3]
	s_mov_b32 s25, s24
	s_mov_b32 s26, s24
	;; [unrolled: 1-line block ×3, first 2 shown]
	v_mov_b64_e32 v[14:15], s[24:25]
	v_mov_b64_e32 v[16:17], s[26:27]
	;; [unrolled: 1-line block ×3, first 2 shown]
	v_cmp_gt_i32_e32 vcc, s47, v20
	v_lshlrev_b32_e32 v21, 7, v20
	v_mov_b64_e32 v[12:13], v[16:17]
	s_and_saveexec_b64 s[2:3], vcc
	s_cbranch_execz .LBB423_28
; %bb.27:
	v_lshlrev_b32_e32 v10, 1, v21
	v_mov_b32_e32 v11, 0
	v_lshl_add_u64 v[12:13], s[0:1], 0, v[10:11]
	v_lshlrev_b32_e32 v10, 1, v18
	v_lshl_add_u64 v[24:25], v[12:13], 0, v[10:11]
	global_load_dwordx4 v[14:17], v[24:25], off
	global_load_dwordx4 v[10:13], v[24:25], off offset:128
.LBB423_28:
	s_or_b64 exec, exec, s[2:3]
	v_lshrrev_b32_e32 v24, 3, v18
	v_lshlrev_b32_e32 v25, 3, v23
	v_or_b32_e32 v24, v25, v24
	v_lshlrev_b32_e32 v24, 4, v24
	v_and_b32_e32 v25, 0x78, v25
	v_xor_b32_e32 v24, v24, v25
	s_branch .LBB423_31
.LBB423_29:
                                        ; implicit-def: $vgpr24
                                        ; implicit-def: $vgpr21
                                        ; implicit-def: $vgpr6_vgpr7_vgpr8_vgpr9
                                        ; implicit-def: $vgpr2_vgpr3_vgpr4_vgpr5
                                        ; implicit-def: $vgpr14_vgpr15_vgpr16_vgpr17
                                        ; implicit-def: $vgpr10_vgpr11_vgpr12_vgpr13
	s_cbranch_execz .LBB423_31
; %bb.30:
	s_waitcnt vmcnt(0)
	v_lshlrev_b32_e32 v2, 1, v18
	v_lshl_or_b32 v21, v23, 8, v2
	s_and_b32 s1, s1, 0xffff
	s_mov_b32 s3, 0x20000
	s_movk_i32 s2, 0x4000
	v_lshl_or_b32 v24, v20, 8, v2
	s_movk_i32 s12, 0x80
	buffer_load_dwordx4 v[6:9], v21, s[0:3], 0 offen
	buffer_load_dwordx4 v[2:5], v21, s[0:3], s12 offen
	;; [unrolled: 1-line block ×4, first 2 shown]
	v_lshrrev_b32_e32 v21, 3, v18
	v_lshlrev_b32_e32 v24, 3, v23
	v_or_b32_e32 v21, v24, v21
	v_lshlrev_b32_e32 v21, 4, v21
	v_and_b32_e32 v24, 0x78, v24
	v_xor_b32_e32 v24, v21, v24
	v_lshlrev_b32_e32 v21, 7, v20
.LBB423_31:
	s_lshl_b64 s[0:1], s[40:41], 8
	s_add_u32 s4, s4, s0
	s_movk_i32 s0, 0x1000
	v_and_or_b32 v20, v21, s0, v24
	s_waitcnt vmcnt(1)
	ds_write_b64 v24, v[6:7] offset:24576
	v_xor_b32_e32 v6, 8, v24
	ds_write_b64 v6, v[8:9] offset:24576
	s_waitcnt vmcnt(0)
	ds_write_b64 v24, v[2:3] offset:32768
	ds_write_b64 v6, v[4:5] offset:32768
	;; [unrolled: 1-line block ×3, first 2 shown]
	v_xor_b32_e32 v2, 8, v20
	ds_write_b64 v2, v[16:17] offset:24576
	ds_write_b64 v20, v[10:11] offset:32768
	;; [unrolled: 1-line block ×3, first 2 shown]
	v_or_b32_e32 v2, v1, v42
	v_lshlrev_b32_e32 v3, 11, v44
	v_lshlrev_b32_e32 v2, 3, v2
	v_and_b32_e32 v6, 0x1000, v3
	v_lshrrev_b32_e32 v3, 5, v43
	s_movk_i32 s13, 0xf8
	v_and_or_b32 v3, v2, s13, v3
	v_lshlrev_b32_e32 v7, 4, v3
	v_and_b32_e32 v8, 0x78, v2
	v_or_b32_e32 v10, 32, v7
	v_lshrrev_b32_e32 v3, 1, v43
	v_xor_b32_e32 v10, v10, v8
	v_xor_b32_e32 v2, v7, v8
	v_and_b32_e32 v9, 8, v3
	v_or_b32_e32 v10, v10, v6
	v_or_b32_e32 v2, v2, v6
	v_xor_b32_e32 v26, v10, v9
	v_or_b32_e32 v10, 64, v7
	v_xor_b32_e32 v25, v2, v9
	v_xor_b32_e32 v10, v10, v8
	s_waitcnt lgkmcnt(0)
	s_barrier
	v_or_b32_e32 v12, v10, v6
	ds_read_b64 v[10:11], v25 offset:24576
	v_lshl_or_b32 v20, v45, 7, v22
	v_lshlrev_b32_e32 v24, 1, v20
	v_add_u32_e32 v2, 0xa000, v24
	ds_read2_b64 v[2:5], v2 offset1:16
	v_or_b32_e32 v7, 0x60, v7
	v_xor_b32_e32 v7, v7, v8
	s_waitcnt lgkmcnt(0)
	v_mfma_f32_16x16x16_bf16 a[0:3], v[10:11], v[2:3], 0
	v_or_b32_e32 v2, 64, v20
	v_or_b32_e32 v6, v7, v6
	v_lshlrev_b32_e32 v29, 1, v2
	v_xor_b32_e32 v27, v12, v9
	v_xor_b32_e32 v28, v6, v9
	ds_read_b64 v[12:13], v26 offset:24576
	ds_read_b64 v[14:15], v27 offset:24576
	;; [unrolled: 1-line block ×3, first 2 shown]
	v_mfma_f32_16x16x16_bf16 a[4:7], v[10:11], v[4:5], 0
	ds_read2st64_b64 v[2:5], v29 offset0:82 offset1:84
	ds_read2st64_b64 v[6:9], v24 offset0:82 offset1:84
	s_addc_u32 s5, s5, s1
	s_add_i32 s2, s39, -1
	s_add_i32 s0, s43, s42
	s_add_i32 s21, s0, s44
	s_mul_i32 s0, s33, s23
	s_mul_hi_u32 s1, s33, s22
	s_ashr_i32 s3, s2, 31
	s_mul_i32 s12, s2, s35
	s_mul_hi_u32 s13, s2, s34
	s_add_i32 s0, s1, s0
	s_mul_i32 s1, s16, s22
	s_add_i32 s12, s13, s12
	s_mul_i32 s3, s3, s34
	s_waitcnt lgkmcnt(1)
	v_mfma_f32_16x16x16_bf16 a[4:7], v[12:13], v[2:3], a[4:7]
	s_add_i32 s1, s0, s1
	s_add_i32 s3, s12, s3
	s_lshl_b64 s[12:13], s[20:21], 2
	s_waitcnt lgkmcnt(0)
	v_mfma_f32_16x16x16_bf16 a[0:3], v[12:13], v[6:7], a[0:3]
	s_mul_i32 s0, s33, s22
	s_add_u32 s10, s10, s12
	s_addc_u32 s11, s11, s13
	s_lshl_b64 s[0:1], s[0:1], 2
	s_mul_i32 s2, s2, s34
	s_add_u32 s10, s10, s0
	ds_read_b64 v[2:3], v24 offset:44032
	v_mfma_f32_16x16x16_bf16 a[4:7], v[14:15], v[4:5], a[4:7]
	ds_read_b64 v[4:5], v29 offset:44032
	s_addc_u32 s11, s11, s1
	s_lshl_b64 s[0:1], s[2:3], 2
	v_mfma_f32_16x16x16_bf16 a[0:3], v[14:15], v[8:9], a[0:3]
	s_add_u32 s0, s10, s0
	s_addc_u32 s1, s11, s1
	s_load_dword s12, s[0:1], 0x0
	s_waitcnt lgkmcnt(0)
	v_mfma_f32_16x16x16_bf16 a[0:3], v[16:17], v[2:3], a[0:3]
	s_and_b64 vcc, exec, s[30:31]
	v_mfma_f32_16x16x16_bf16 a[4:7], v[16:17], v[4:5], a[4:7]
	s_cbranch_vccz .LBB423_42
; %bb.32:
	v_lshlrev_b32_e32 v20, 1, v23
	s_and_b64 vcc, exec, s[6:7]
	s_cbranch_vccz .LBB423_43
; %bb.33:
	v_cmp_gt_i32_e32 vcc, s47, v20
	v_mov_b32_e32 v6, 0
	v_mov_b32_e32 v2, 0
	;; [unrolled: 1-line block ×5, first 2 shown]
	s_and_saveexec_b64 s[0:1], vcc
	s_cbranch_execz .LBB423_35
; %bb.34:
	v_mad_i64_i32 v[2:3], s[2:3], s19, v20, 0
	v_lshl_add_u64 v[2:3], v[2:3], 1, s[4:5]
	v_lshlrev_b32_e32 v4, 1, v18
	v_mov_b32_e32 v5, 0
	v_lshl_add_u64 v[2:3], v[2:3], 0, v[4:5]
	global_load_dwordx4 v[2:5], v[2:3], off
.LBB423_35:
	s_or_b64 exec, exec, s[0:1]
	v_or_b32_e32 v21, 1, v20
	v_cmp_gt_i32_e64 s[0:1], s47, v21
	v_mov_b32_e32 v7, 0
	v_mov_b32_e32 v8, 0
	;; [unrolled: 1-line block ×3, first 2 shown]
	s_and_saveexec_b64 s[2:3], s[0:1]
	s_cbranch_execz .LBB423_37
; %bb.36:
	v_mad_i64_i32 v[6:7], s[16:17], s19, v21, 0
	v_lshl_add_u64 v[6:7], v[6:7], 1, s[4:5]
	v_lshlrev_b32_e32 v8, 1, v18
	v_mov_b32_e32 v9, 0
	v_lshl_add_u64 v[6:7], v[6:7], 0, v[8:9]
	global_load_dwordx4 v[6:9], v[6:7], off
.LBB423_37:
	s_or_b64 exec, exec, s[2:3]
	v_mov_b32_e32 v17, 0
	v_mov_b32_e32 v10, 0
	;; [unrolled: 1-line block ×5, first 2 shown]
	s_and_saveexec_b64 s[2:3], vcc
	s_cbranch_execz .LBB423_39
; %bb.38:
	v_mad_i64_i32 v[10:11], s[16:17], s19, v20, 0
	v_lshl_add_u64 v[10:11], v[10:11], 1, s[4:5]
	v_lshlrev_b32_e32 v12, 1, v18
	v_mov_b32_e32 v13, 0
	v_lshl_add_u64 v[10:11], v[10:11], 0, v[12:13]
	global_load_dwordx4 v[10:13], v[10:11], off offset:128
.LBB423_39:
	s_or_b64 exec, exec, s[2:3]
	v_mov_b32_e32 v16, 0
	v_mov_b32_e32 v15, 0
	;; [unrolled: 1-line block ×3, first 2 shown]
	s_and_saveexec_b64 s[2:3], s[0:1]
	s_cbranch_execz .LBB423_41
; %bb.40:
	v_mad_i64_i32 v[14:15], s[0:1], s19, v21, 0
	v_lshl_add_u64 v[14:15], v[14:15], 1, s[4:5]
	v_lshlrev_b32_e32 v16, 1, v18
	v_mov_b32_e32 v17, 0
	v_lshl_add_u64 v[14:15], v[14:15], 0, v[16:17]
	global_load_dwordx4 v[14:17], v[14:15], off offset:128
.LBB423_41:
	s_or_b64 exec, exec, s[2:3]
	s_branch .LBB423_45
.LBB423_42:
                                        ; implicit-def: $vgpr5
                                        ; implicit-def: $vgpr9
                                        ; implicit-def: $vgpr13
                                        ; implicit-def: $vgpr17
	v_lshrrev_b32_e32 v30, 2, v43
	s_branch .LBB423_46
.LBB423_43:
                                        ; implicit-def: $vgpr5
                                        ; implicit-def: $vgpr9
                                        ; implicit-def: $vgpr13
                                        ; implicit-def: $vgpr17
	s_cbranch_execz .LBB423_45
; %bb.44:
	s_waitcnt vmcnt(0)
	v_mad_u64_u32 v[2:3], s[0:1], v20, s19, v[18:19]
	v_lshlrev_b32_e32 v20, 1, v2
	s_lshl_b32 s2, s19, 7
	s_and_b32 s1, s5, 0xffff
	s_mov_b32 s3, 0x20000
	s_mov_b32 s0, s4
	v_add_lshl_u32 v21, v2, s19, 1
	s_movk_i32 s13, 0x80
	buffer_load_dwordx4 v[2:5], v20, s[0:3], 0 offen
	buffer_load_dwordx4 v[10:13], v20, s[0:3], s13 offen
	;; [unrolled: 1-line block ×4, first 2 shown]
.LBB423_45:
	v_lshrrev_b32_e32 v30, 2, v43
	s_cbranch_execnz .LBB423_58
.LBB423_46:
	s_and_b64 vcc, exec, s[6:7]
	s_cbranch_vccz .LBB423_56
; %bb.47:
	s_waitcnt vmcnt(0)
	v_lshlrev_b32_e32 v7, 1, v23
	v_cmp_gt_i32_e32 vcc, s47, v7
	v_mov_b32_e32 v6, 0
	v_lshlrev_b32_e32 v14, 9, v23
	v_mov_b32_e32 v2, 0
	v_mov_b32_e32 v3, 0
	;; [unrolled: 1-line block ×4, first 2 shown]
	s_and_saveexec_b64 s[0:1], vcc
	s_cbranch_execz .LBB423_49
; %bb.48:
	v_mov_b32_e32 v15, 0
	v_lshl_add_u64 v[2:3], s[4:5], 0, v[14:15]
	v_lshlrev_b32_e32 v4, 1, v18
	v_mov_b32_e32 v5, v15
	v_lshl_add_u64 v[2:3], v[2:3], 0, v[4:5]
	global_load_dwordx4 v[2:5], v[2:3], off
.LBB423_49:
	s_or_b64 exec, exec, s[0:1]
	v_or_b32_e32 v7, 1, v7
	v_cmp_gt_i32_e64 s[0:1], s47, v7
	v_lshlrev_b32_e32 v20, 8, v7
	v_mov_b32_e32 v7, 0
	v_mov_b32_e32 v8, 0
	;; [unrolled: 1-line block ×3, first 2 shown]
	s_and_saveexec_b64 s[2:3], s[0:1]
	s_cbranch_execz .LBB423_51
; %bb.50:
	v_mov_b32_e32 v21, 0
	v_lshl_add_u64 v[6:7], s[4:5], 0, v[20:21]
	v_lshlrev_b32_e32 v8, 1, v18
	v_mov_b32_e32 v9, v21
	v_lshl_add_u64 v[6:7], v[6:7], 0, v[8:9]
	global_load_dwordx4 v[6:9], v[6:7], off
.LBB423_51:
	s_or_b64 exec, exec, s[2:3]
	v_mov_b32_e32 v17, 0
	v_mov_b32_e32 v10, 0
	v_mov_b32_e32 v11, 0
	v_mov_b32_e32 v12, 0
	v_mov_b32_e32 v13, 0
	s_and_saveexec_b64 s[2:3], vcc
	s_cbranch_execz .LBB423_53
; %bb.52:
	v_mov_b32_e32 v15, 0
	v_lshl_add_u64 v[10:11], s[4:5], 0, v[14:15]
	v_lshlrev_b32_e32 v14, 1, v18
	v_lshl_add_u64 v[10:11], v[10:11], 0, v[14:15]
	global_load_dwordx4 v[10:13], v[10:11], off offset:128
.LBB423_53:
	s_or_b64 exec, exec, s[2:3]
	v_mov_b32_e32 v16, 0
	v_mov_b32_e32 v15, 0
	;; [unrolled: 1-line block ×3, first 2 shown]
	s_and_saveexec_b64 s[2:3], s[0:1]
	s_cbranch_execz .LBB423_55
; %bb.54:
	v_mov_b32_e32 v21, 0
	v_lshl_add_u64 v[14:15], s[4:5], 0, v[20:21]
	v_lshlrev_b32_e32 v20, 1, v18
	v_lshl_add_u64 v[14:15], v[14:15], 0, v[20:21]
	global_load_dwordx4 v[14:17], v[14:15], off offset:128
.LBB423_55:
	s_or_b64 exec, exec, s[2:3]
	s_branch .LBB423_58
.LBB423_56:
                                        ; implicit-def: $vgpr5
                                        ; implicit-def: $vgpr9
                                        ; implicit-def: $vgpr13
                                        ; implicit-def: $vgpr17
	s_cbranch_execz .LBB423_58
; %bb.57:
	s_waitcnt vmcnt(0)
	v_lshlrev_b32_e32 v2, 1, v18
	v_lshl_or_b32 v18, v23, 9, v2
	s_and_b32 s5, s5, 0xffff
	s_mov_b32 s7, 0x20000
	s_movk_i32 s6, 0x4000
	s_movk_i32 s0, 0x80
	buffer_load_dwordx4 v[2:5], v18, s[4:7], 0 offen
	buffer_load_dwordx4 v[6:9], v18, s[4:7], 0 offen offset:256
	buffer_load_dwordx4 v[10:13], v18, s[4:7], s0 offen
	buffer_load_dwordx4 v[14:17], v18, s[4:7], s0 offen offset:256
.LBB423_58:
	ds_read_b64 v[20:21], v25 offset:32768
	v_add_u32_e32 v18, 0xb000, v24
	ds_read2_b64 v[32:35], v18 offset1:16
	ds_read_b64 v[40:41], v26 offset:32768
	ds_read_b64 v[26:27], v27 offset:32768
	;; [unrolled: 1-line block ×3, first 2 shown]
	v_and_b32_e32 v18, 6, v0
	v_xor_b32_e32 v23, v23, v18
	v_lshlrev_b32_e32 v23, 2, v23
	v_and_b32_e32 v0, 1, v0
	v_xor_b32_e32 v28, 0x440, v23
	v_cmp_eq_u32_e32 vcc, 0, v0
	s_waitcnt lgkmcnt(3)
	v_mfma_f32_16x16x16_bf16 a[0:3], v[20:21], v[32:33], a[0:3]
	s_mov_b32 s0, 0x1000504
	v_cndmask_b32_e32 v0, v28, v23, vcc
	v_lshl_or_b32 v0, v18, 10, v0
	v_mfma_f32_16x16x16_bf16 a[4:7], v[20:21], v[34:35], a[4:7]
	ds_read2st64_b64 v[32:35], v24 offset0:90 offset1:92
	ds_read2st64_b64 v[36:39], v29 offset0:90 offset1:92
	ds_read_b64 v[20:21], v24 offset:48128
	ds_read_b64 v[24:25], v29 offset:48128
	s_waitcnt vmcnt(0)
	v_perm_b32 v18, v2, v6, s0
	s_waitcnt lgkmcnt(3)
	v_mfma_f32_16x16x16_bf16 a[0:3], v[40:41], v[32:33], a[0:3]
	s_mov_b32 s1, 0x3020706
	v_perm_b32 v2, v2, v6, s1
	v_perm_b32 v6, v10, v14, s1
	s_waitcnt lgkmcnt(2)
	v_mfma_f32_16x16x16_bf16 a[4:7], v[40:41], v[36:37], a[4:7]
	v_mfma_f32_16x16x16_bf16 a[0:3], v[26:27], v[34:35], a[0:3]
	;; [unrolled: 1-line block ×3, first 2 shown]
	s_waitcnt lgkmcnt(1)
	v_mfma_f32_16x16x16_bf16 a[4:7], v[44:45], v[20:21], a[0:3]
	v_perm_b32 v20, v10, v14, s0
	ds_write2st64_b32 v0, v18, v20 offset0:32 offset1:64
	v_xor_b32_e32 v18, 8, v0
	v_add_u32_e32 v10, 0x80, v18
	ds_write2st64_b32 v10, v2, v6 offset0:32 offset1:64
	v_xor_b32_e32 v2, 16, v0
	v_perm_b32 v6, v3, v7, s0
	v_perm_b32 v10, v11, v15, s0
	ds_write2st64_b32 v2, v6, v10 offset0:33 offset1:65
	v_xor_b32_e32 v2, 24, v0
	v_perm_b32 v3, v3, v7, s1
	v_perm_b32 v6, v11, v15, s1
	v_add_u32_e32 v2, 0x80, v2
	ds_write2st64_b32 v2, v3, v6 offset0:33 offset1:65
	v_xor_b32_e32 v2, 32, v0
	v_perm_b32 v3, v4, v8, s0
	v_perm_b32 v6, v12, v16, s0
	s_waitcnt lgkmcnt(4)
	v_mfma_f32_16x16x16_bf16 a[0:3], v[44:45], v[24:25], a[8:11]
	ds_write2st64_b32 v2, v3, v6 offset0:34 offset1:66
	v_xor_b32_e32 v2, 40, v0
	v_perm_b32 v3, v4, v8, s1
	v_perm_b32 v4, v12, v16, s1
	v_add_u32_e32 v2, 0x80, v2
	ds_write2st64_b32 v2, v3, v4 offset0:34 offset1:66
	v_xor_b32_e32 v2, 48, v0
	v_perm_b32 v3, v5, v9, s0
	v_perm_b32 v4, v13, v17, s0
	v_xor_b32_e32 v0, 56, v0
	v_and_or_b32 v21, v30, 12, v1
	ds_write2st64_b32 v2, v3, v4 offset0:35 offset1:67
	v_perm_b32 v2, v5, v9, s1
	v_perm_b32 v3, v13, v17, s1
	v_add_u32_e32 v0, 0x80, v0
	v_cmp_gt_i32_e32 vcc, s47, v21
	v_mov_b32_e32 v16, 0
	v_mov_b32_e32 v18, 0
	ds_write2st64_b32 v0, v2, v3 offset0:35 offset1:67
	s_and_saveexec_b64 s[0:1], vcc
	s_cbranch_execz .LBB423_60
; %bb.59:
	v_add_u32_e32 v0, s38, v21
	v_ashrrev_i32_e32 v1, 31, v0
	v_mul_lo_u32 v2, v1, s34
	v_mul_lo_u32 v3, v0, s35
	v_mad_u64_u32 v[0:1], s[2:3], v0, s34, 0
	v_add3_u32 v1, v1, v3, v2
	v_lshl_add_u64 v[0:1], v[0:1], 2, s[10:11]
	global_load_dword v0, v[0:1], off
	s_waitcnt vmcnt(0)
	v_sub_f32_e32 v0, s12, v0
	v_exp_f32_e32 v18, v0
.LBB423_60:
	s_or_b64 exec, exec, s[0:1]
	v_or_b32_e32 v10, 1, v21
	v_cmp_gt_i32_e64 s[2:3], s47, v10
	s_and_saveexec_b64 s[0:1], s[2:3]
	s_cbranch_execz .LBB423_62
; %bb.61:
	v_add_u32_e32 v0, s38, v10
	v_ashrrev_i32_e32 v1, 31, v0
	v_mul_lo_u32 v2, v1, s34
	v_mul_lo_u32 v3, v0, s35
	v_mad_u64_u32 v[0:1], s[4:5], v0, s34, 0
	v_add3_u32 v1, v1, v3, v2
	v_lshl_add_u64 v[0:1], v[0:1], 2, s[10:11]
	global_load_dword v0, v[0:1], off
	s_waitcnt vmcnt(0)
	v_sub_f32_e32 v0, s12, v0
	v_exp_f32_e32 v16, v0
.LBB423_62:
	s_or_b64 exec, exec, s[0:1]
	v_or_b32_e32 v12, 2, v21
	v_cmp_gt_i32_e64 s[0:1], s47, v12
	v_mov_b32_e32 v17, 0
	v_mov_b32_e32 v20, 0
	s_and_saveexec_b64 s[4:5], s[0:1]
	s_cbranch_execz .LBB423_64
; %bb.63:
	v_add_u32_e32 v0, s38, v12
	v_ashrrev_i32_e32 v1, 31, v0
	v_mul_lo_u32 v2, v1, s34
	v_mul_lo_u32 v3, v0, s35
	v_mad_u64_u32 v[0:1], s[6:7], v0, s34, 0
	v_add3_u32 v1, v1, v3, v2
	v_lshl_add_u64 v[0:1], v[0:1], 2, s[10:11]
	global_load_dword v0, v[0:1], off
	s_waitcnt vmcnt(0)
	v_sub_f32_e32 v0, s12, v0
	v_exp_f32_e32 v20, v0
.LBB423_64:
	s_or_b64 exec, exec, s[4:5]
	v_or_b32_e32 v14, 3, v21
	v_cmp_gt_i32_e64 s[4:5], s47, v14
	s_and_saveexec_b64 s[6:7], s[4:5]
	s_cbranch_execz .LBB423_66
; %bb.65:
	v_add_u32_e32 v0, s38, v14
	v_ashrrev_i32_e32 v1, 31, v0
	v_mul_lo_u32 v2, v1, s34
	v_mul_lo_u32 v3, v0, s35
	v_mad_u64_u32 v[0:1], s[16:17], v0, s34, 0
	v_add3_u32 v1, v1, v3, v2
	v_lshl_add_u64 v[0:1], v[0:1], 2, s[10:11]
	global_load_dword v0, v[0:1], off
	s_waitcnt vmcnt(0)
	v_sub_f32_e32 v0, s12, v0
	v_exp_f32_e32 v17, v0
.LBB423_66:
	s_or_b64 exec, exec, s[6:7]
	s_add_u32 s6, s8, s28
	v_or_b32_e32 v4, s36, v42
	s_addc_u32 s7, s9, s29
	s_add_u32 s8, s14, s28
	v_ashrrev_i32_e32 v5, 31, v4
	v_accvgpr_read_b32 v0, a4
	s_addc_u32 s9, s15, s29
	v_lshlrev_b64 v[4:5], 1, v[4:5]
	v_accvgpr_read_b32 v1, a5
	v_accvgpr_read_b32 v2, a6
	;; [unrolled: 1-line block ×3, first 2 shown]
	v_lshl_add_u64 v[6:7], s[6:7], 0, v[4:5]
	v_lshl_add_u64 v[4:5], s[8:9], 0, v[4:5]
	v_mov_b32_e32 v11, 0
	v_lshlrev_b32_e32 v8, 8, v21
	v_mov_b32_e32 v9, 0
	s_and_saveexec_b64 s[6:7], vcc
	s_cbranch_execz .LBB423_68
; %bb.67:
	v_mov_b32_e32 v9, 0
	v_lshl_add_u64 v[24:25], v[6:7], 0, v[8:9]
	global_load_ushort v13, v[24:25], off
	v_lshl_add_u64 v[24:25], v[4:5], 0, v[8:9]
	s_waitcnt vmcnt(0)
	v_lshlrev_b32_e32 v9, 16, v13
	v_sub_f32_e32 v0, v9, v0
	global_store_short_d16_hi v[24:25], v0, off
	v_mul_f32_e32 v0, v18, v0
	v_lshrrev_b32_e32 v9, 16, v0
.LBB423_68:
	s_or_b64 exec, exec, s[6:7]
	v_lshlrev_b32_e32 v10, 8, v10
	s_and_saveexec_b64 s[6:7], s[2:3]
	s_cbranch_execz .LBB423_70
; %bb.69:
	v_mov_b32_e32 v11, 0
	v_lshl_add_u64 v[24:25], v[6:7], 0, v[10:11]
	global_load_ushort v0, v[24:25], off
	v_lshl_add_u64 v[24:25], v[4:5], 0, v[10:11]
	s_waitcnt vmcnt(0)
	v_lshlrev_b32_e32 v0, 16, v0
	v_sub_f32_e32 v0, v0, v1
	global_store_short_d16_hi v[24:25], v0, off
	v_mul_f32_e32 v0, v16, v0
	v_lshrrev_b32_e32 v11, 16, v0
.LBB423_70:
	s_or_b64 exec, exec, s[6:7]
	v_mov_b32_e32 v15, 0
	v_lshlrev_b32_e32 v12, 8, v12
	v_mov_b32_e32 v13, 0
	s_and_saveexec_b64 s[6:7], s[0:1]
	s_cbranch_execz .LBB423_72
; %bb.71:
	v_mov_b32_e32 v13, 0
	v_lshl_add_u64 v[0:1], v[6:7], 0, v[12:13]
	global_load_ushort v23, v[0:1], off
	v_lshl_add_u64 v[0:1], v[4:5], 0, v[12:13]
	s_waitcnt vmcnt(0)
	v_lshlrev_b32_e32 v13, 16, v23
	v_sub_f32_e32 v2, v13, v2
	global_store_short_d16_hi v[0:1], v2, off
	v_mul_f32_e32 v0, v20, v2
	v_lshrrev_b32_e32 v13, 16, v0
.LBB423_72:
	s_or_b64 exec, exec, s[6:7]
	v_lshlrev_b32_e32 v14, 8, v14
	s_and_saveexec_b64 s[6:7], s[4:5]
	s_cbranch_execz .LBB423_74
; %bb.73:
	v_mov_b32_e32 v15, 0
	v_lshl_add_u64 v[0:1], v[6:7], 0, v[14:15]
	global_load_ushort v2, v[0:1], off
	v_lshl_add_u64 v[0:1], v[4:5], 0, v[14:15]
	s_waitcnt vmcnt(0)
	v_lshlrev_b32_e32 v2, 16, v2
	v_sub_f32_e32 v2, v2, v3
	global_store_short_d16_hi v[0:1], v2, off
	v_mul_f32_e32 v0, v17, v2
	v_lshrrev_b32_e32 v15, 16, v0
.LBB423_74:
	s_or_b64 exec, exec, s[6:7]
	v_lshlrev_b32_e32 v21, 5, v21
	s_mov_b32 s6, 0x5040100
	v_perm_b32 v24, v11, v9, s6
	v_or_b32_e32 v9, v21, v22
	v_accvgpr_read_b32 v0, a0
	v_perm_b32 v25, v15, v13, s6
	v_lshlrev_b32_e32 v9, 1, v9
	v_accvgpr_read_b32 v1, a1
	v_accvgpr_read_b32 v2, a2
	;; [unrolled: 1-line block ×3, first 2 shown]
	ds_write_b64 v9, v[24:25] offset:45056
	v_mov_b32_e32 v11, 0
	v_mov_b32_e32 v9, 0
	s_and_saveexec_b64 s[6:7], vcc
	s_cbranch_execz .LBB423_76
; %bb.75:
	v_mov_b32_e32 v9, 0
	v_lshl_add_u64 v[22:23], v[6:7], 0, v[8:9]
	global_load_ushort v13, v[22:23], off offset:32
	v_lshl_add_u64 v[8:9], v[4:5], 0, v[8:9]
	s_waitcnt vmcnt(0)
	v_lshlrev_b32_e32 v13, 16, v13
	v_sub_f32_e32 v0, v13, v0
	global_store_short_d16_hi v[8:9], v0, off offset:32
	v_mul_f32_e32 v0, v18, v0
	v_lshrrev_b32_e32 v9, 16, v0
.LBB423_76:
	s_or_b64 exec, exec, s[6:7]
	s_and_saveexec_b64 s[6:7], s[2:3]
	s_cbranch_execz .LBB423_78
; %bb.77:
	v_mov_b32_e32 v11, 0
	v_lshl_add_u64 v[22:23], v[6:7], 0, v[10:11]
	global_load_ushort v0, v[22:23], off offset:32
	v_lshl_add_u64 v[10:11], v[4:5], 0, v[10:11]
	s_waitcnt vmcnt(0)
	v_lshlrev_b32_e32 v0, 16, v0
	v_sub_f32_e32 v0, v0, v1
	global_store_short_d16_hi v[10:11], v0, off offset:32
	v_mul_f32_e32 v0, v16, v0
	v_lshrrev_b32_e32 v11, 16, v0
.LBB423_78:
	s_or_b64 exec, exec, s[6:7]
	v_mov_b32_e32 v0, 0
	v_mov_b32_e32 v1, 0
	s_and_saveexec_b64 s[2:3], s[0:1]
	s_cbranch_execz .LBB423_80
; %bb.79:
	v_mov_b32_e32 v13, 0
	v_lshl_add_u64 v[22:23], v[6:7], 0, v[12:13]
	global_load_ushort v1, v[22:23], off offset:32
	v_lshl_add_u64 v[12:13], v[4:5], 0, v[12:13]
	s_waitcnt vmcnt(0)
	v_lshlrev_b32_e32 v1, 16, v1
	v_sub_f32_e32 v1, v1, v2
	global_store_short_d16_hi v[12:13], v1, off offset:32
	v_mul_f32_e32 v1, v20, v1
	v_lshrrev_b32_e32 v1, 16, v1
.LBB423_80:
	s_or_b64 exec, exec, s[2:3]
	s_and_saveexec_b64 s[0:1], s[4:5]
	s_cbranch_execz .LBB423_82
; %bb.81:
	v_mov_b32_e32 v15, 0
	v_lshl_add_u64 v[6:7], v[6:7], 0, v[14:15]
	global_load_ushort v0, v[6:7], off offset:32
	v_lshl_add_u64 v[4:5], v[4:5], 0, v[14:15]
	s_waitcnt vmcnt(0)
	v_lshlrev_b32_e32 v0, 16, v0
	v_sub_f32_e32 v0, v0, v3
	global_store_short_d16_hi v[4:5], v0, off offset:32
	v_mul_f32_e32 v0, v17, v0
	v_lshrrev_b32_e32 v0, 16, v0
.LBB423_82:
	s_or_b64 exec, exec, s[0:1]
	s_mov_b32 s0, 0x5040100
	v_or_b32_e32 v2, v21, v19
	v_perm_b32 v1, v0, v1, s0
	v_perm_b32 v0, v11, v9, s0
	v_lshlrev_b32_e32 v2, 1, v2
	ds_write_b64 v2, v[0:1] offset:45056
	s_waitcnt lgkmcnt(0)
	s_barrier
.LBB423_83:
	s_endpgm
	.section	.rodata,"a",@progbits
	.p2align	6, 0x0
	.amdhsa_kernel _ZN12_GLOBAL__N_139chunk_gated_delta_rule_fwd_h_hip_kernelILi32ELb0ELb0ELb1ELb1ELb1ELb0ELb1ELb0EEEvPK12hip_bfloat16S3_S3_PKfS5_PKvPS1_S8_PvPKiSB_iiiiilll
		.amdhsa_group_segment_fixed_size 49152
		.amdhsa_private_segment_fixed_size 0
		.amdhsa_kernarg_size 136
		.amdhsa_user_sgpr_count 2
		.amdhsa_user_sgpr_dispatch_ptr 0
		.amdhsa_user_sgpr_queue_ptr 0
		.amdhsa_user_sgpr_kernarg_segment_ptr 1
		.amdhsa_user_sgpr_dispatch_id 0
		.amdhsa_user_sgpr_kernarg_preload_length 0
		.amdhsa_user_sgpr_kernarg_preload_offset 0
		.amdhsa_user_sgpr_private_segment_size 0
		.amdhsa_uses_dynamic_stack 0
		.amdhsa_enable_private_segment 0
		.amdhsa_system_sgpr_workgroup_id_x 1
		.amdhsa_system_sgpr_workgroup_id_y 1
		.amdhsa_system_sgpr_workgroup_id_z 0
		.amdhsa_system_sgpr_workgroup_info 0
		.amdhsa_system_vgpr_workitem_id 0
		.amdhsa_next_free_vgpr 152
		.amdhsa_next_free_sgpr 62
		.amdhsa_accum_offset 132
		.amdhsa_reserve_vcc 1
		.amdhsa_float_round_mode_32 0
		.amdhsa_float_round_mode_16_64 0
		.amdhsa_float_denorm_mode_32 3
		.amdhsa_float_denorm_mode_16_64 3
		.amdhsa_dx10_clamp 1
		.amdhsa_ieee_mode 1
		.amdhsa_fp16_overflow 0
		.amdhsa_tg_split 0
		.amdhsa_exception_fp_ieee_invalid_op 0
		.amdhsa_exception_fp_denorm_src 0
		.amdhsa_exception_fp_ieee_div_zero 0
		.amdhsa_exception_fp_ieee_overflow 0
		.amdhsa_exception_fp_ieee_underflow 0
		.amdhsa_exception_fp_ieee_inexact 0
		.amdhsa_exception_int_div_zero 0
	.end_amdhsa_kernel
	.section	.text._ZN12_GLOBAL__N_139chunk_gated_delta_rule_fwd_h_hip_kernelILi32ELb0ELb0ELb1ELb1ELb1ELb0ELb1ELb0EEEvPK12hip_bfloat16S3_S3_PKfS5_PKvPS1_S8_PvPKiSB_iiiiilll,"axG",@progbits,_ZN12_GLOBAL__N_139chunk_gated_delta_rule_fwd_h_hip_kernelILi32ELb0ELb0ELb1ELb1ELb1ELb0ELb1ELb0EEEvPK12hip_bfloat16S3_S3_PKfS5_PKvPS1_S8_PvPKiSB_iiiiilll,comdat
.Lfunc_end423:
	.size	_ZN12_GLOBAL__N_139chunk_gated_delta_rule_fwd_h_hip_kernelILi32ELb0ELb0ELb1ELb1ELb1ELb0ELb1ELb0EEEvPK12hip_bfloat16S3_S3_PKfS5_PKvPS1_S8_PvPKiSB_iiiiilll, .Lfunc_end423-_ZN12_GLOBAL__N_139chunk_gated_delta_rule_fwd_h_hip_kernelILi32ELb0ELb0ELb1ELb1ELb1ELb0ELb1ELb0EEEvPK12hip_bfloat16S3_S3_PKfS5_PKvPS1_S8_PvPKiSB_iiiiilll
                                        ; -- End function
	.section	.AMDGPU.csdata,"",@progbits
; Kernel info:
; codeLenInByte = 8528
; NumSgprs: 68
; NumVgprs: 132
; NumAgprs: 20
; TotalNumVgprs: 152
; ScratchSize: 0
; MemoryBound: 0
; FloatMode: 240
; IeeeMode: 1
; LDSByteSize: 49152 bytes/workgroup (compile time only)
; SGPRBlocks: 8
; VGPRBlocks: 18
; NumSGPRsForWavesPerEU: 68
; NumVGPRsForWavesPerEU: 152
; AccumOffset: 132
; Occupancy: 1
; WaveLimiterHint : 1
; COMPUTE_PGM_RSRC2:SCRATCH_EN: 0
; COMPUTE_PGM_RSRC2:USER_SGPR: 2
; COMPUTE_PGM_RSRC2:TRAP_HANDLER: 0
; COMPUTE_PGM_RSRC2:TGID_X_EN: 1
; COMPUTE_PGM_RSRC2:TGID_Y_EN: 1
; COMPUTE_PGM_RSRC2:TGID_Z_EN: 0
; COMPUTE_PGM_RSRC2:TIDIG_COMP_CNT: 0
; COMPUTE_PGM_RSRC3_GFX90A:ACCUM_OFFSET: 32
; COMPUTE_PGM_RSRC3_GFX90A:TG_SPLIT: 0
	.section	.text._ZN12_GLOBAL__N_139chunk_gated_delta_rule_fwd_h_hip_kernelILi32ELb0ELb0ELb0ELb1ELb1ELb0ELb1ELb0EEEvPK12hip_bfloat16S3_S3_PKfS5_PKvPS1_S8_PvPKiSB_iiiiilll,"axG",@progbits,_ZN12_GLOBAL__N_139chunk_gated_delta_rule_fwd_h_hip_kernelILi32ELb0ELb0ELb0ELb1ELb1ELb0ELb1ELb0EEEvPK12hip_bfloat16S3_S3_PKfS5_PKvPS1_S8_PvPKiSB_iiiiilll,comdat
	.globl	_ZN12_GLOBAL__N_139chunk_gated_delta_rule_fwd_h_hip_kernelILi32ELb0ELb0ELb0ELb1ELb1ELb0ELb1ELb0EEEvPK12hip_bfloat16S3_S3_PKfS5_PKvPS1_S8_PvPKiSB_iiiiilll ; -- Begin function _ZN12_GLOBAL__N_139chunk_gated_delta_rule_fwd_h_hip_kernelILi32ELb0ELb0ELb0ELb1ELb1ELb0ELb1ELb0EEEvPK12hip_bfloat16S3_S3_PKfS5_PKvPS1_S8_PvPKiSB_iiiiilll
	.p2align	8
	.type	_ZN12_GLOBAL__N_139chunk_gated_delta_rule_fwd_h_hip_kernelILi32ELb0ELb0ELb0ELb1ELb1ELb0ELb1ELb0EEEvPK12hip_bfloat16S3_S3_PKfS5_PKvPS1_S8_PvPKiSB_iiiiilll,@function
_ZN12_GLOBAL__N_139chunk_gated_delta_rule_fwd_h_hip_kernelILi32ELb0ELb0ELb0ELb1ELb1ELb0ELb1ELb0EEEvPK12hip_bfloat16S3_S3_PKfS5_PKvPS1_S8_PvPKiSB_iiiiilll: ; @_ZN12_GLOBAL__N_139chunk_gated_delta_rule_fwd_h_hip_kernelILi32ELb0ELb0ELb0ELb1ELb1ELb0ELb1ELb0EEEvPK12hip_bfloat16S3_S3_PKfS5_PKvPS1_S8_PvPKiSB_iiiiilll
; %bb.0:
	s_load_dwordx4 s[12:15], s[0:1], 0x5c
	s_load_dwordx4 s[16:19], s[0:1], 0x70
	s_abs_i32 s21, s3
	s_ashr_i32 s20, s3, 31
	s_load_dwordx2 s[36:37], s[0:1], 0x30
	s_load_dwordx4 s[24:27], s[0:1], 0x48
	s_waitcnt lgkmcnt(0)
	s_abs_i32 s28, s13
	v_cvt_f32_u32_e32 v1, s28
	s_sub_i32 s22, 0, s28
	s_ashr_i32 s29, s13, 31
	s_xor_b32 s20, s20, s29
	v_rcp_iflag_f32_e32 v1, v1
	s_load_dwordx8 s[4:11], s[0:1], 0x0
	v_lshrrev_b32_e32 v42, 6, v0
	v_bfe_u32 v43, v0, 4, 2
	v_mul_f32_e32 v1, 0x4f7ffffe, v1
	v_cvt_u32_f32_e32 v1, v1
	v_lshlrev_b32_e32 v2, 2, v43
	v_and_b32_e32 v41, 63, v0
	v_and_b32_e32 v40, 15, v0
	v_readfirstlane_b32 s23, v1
	s_mul_i32 s22, s22, s23
	s_mul_hi_u32 s22, s23, s22
	s_add_i32 s23, s23, s22
	s_mul_hi_u32 s22, s21, s23
	s_mul_i32 s23, s22, s28
	s_sub_i32 s21, s21, s23
	s_add_i32 s30, s22, 1
	s_sub_i32 s23, s21, s28
	s_cmp_ge_u32 s21, s28
	s_cselect_b32 s22, s30, s22
	s_cselect_b32 s21, s23, s21
	s_add_i32 s23, s22, 1
	s_cmp_ge_u32 s21, s28
	s_cselect_b32 s21, s23, s22
	s_xor_b32 s21, s21, s20
	s_sub_i32 s20, s21, s20
	s_mul_i32 s21, s20, s13
	s_sub_i32 s33, s3, s21
	s_ashr_i32 s21, s20, 31
	s_lshl_b64 s[22:23], s[20:21], 2
	s_add_u32 s24, s24, s22
	s_addc_u32 s25, s25, s23
	s_add_u32 s22, s26, s22
	s_addc_u32 s23, s27, s23
	s_abs_i32 s3, s14
	v_cvt_f32_u32_e32 v1, s3
	s_load_dwordx2 s[34:35], s[24:25], 0x0
	s_sub_i32 s25, 0, s3
	s_load_dword s45, s[22:23], 0x0
	v_rcp_iflag_f32_e32 v1, v1
	v_mov_b32_e32 v3, 0
	s_waitcnt lgkmcnt(0)
	s_sub_i32 s44, s35, s34
	s_ashr_i32 s24, s44, 31
	v_mul_f32_e32 v1, 0x4f7ffffe, v1
	v_cvt_u32_f32_e32 v1, v1
	s_lshr_b32 s24, s24, 26
	s_add_i32 s24, s44, s24
	s_ashr_i32 s43, s24, 6
	v_readfirstlane_b32 s26, v1
	s_mul_i32 s25, s25, s26
	s_mul_hi_u32 s25, s26, s25
	s_add_i32 s26, s26, s25
	s_mul_hi_u32 s25, s28, s26
	s_mul_i32 s26, s25, s3
	s_ashr_i32 s24, s14, 31
	s_sub_i32 s26, s28, s26
	s_xor_b32 s24, s29, s24
	s_add_i32 s27, s25, 1
	s_sub_i32 s28, s26, s3
	s_cmp_ge_u32 s26, s3
	s_cselect_b32 s25, s27, s25
	s_cselect_b32 s26, s28, s26
	s_add_i32 s27, s25, 1
	s_cmp_ge_u32 s26, s3
	s_cselect_b32 s3, s27, s25
	s_xor_b32 s3, s3, s24
	s_sub_i32 s3, s3, s24
	s_abs_i32 s24, s3
	v_cvt_f32_u32_e32 v1, s24
	s_load_dwordx2 s[28:29], s[0:1], 0x80
	s_xor_b32 s0, s33, s3
	s_sub_i32 s3, 0, s24
	v_rcp_iflag_f32_e32 v1, v1
	s_abs_i32 s1, s33
	s_ashr_i32 s0, s0, 31
	s_mul_hi_i32 s46, s33, s12
	v_mul_f32_e32 v1, 0x4f7ffffe, v1
	v_cvt_u32_f32_e32 v1, v1
	s_mul_i32 s47, s33, s12
	v_lshrrev_b32_e32 v45, 3, v41
	v_lshlrev_b32_e32 v44, 3, v0
	v_readfirstlane_b32 s22, v1
	s_mul_i32 s3, s3, s22
	s_mul_hi_u32 s3, s22, s3
	s_add_i32 s22, s22, s3
	s_mul_hi_u32 s3, s1, s22
	s_mul_i32 s22, s3, s24
	s_sub_i32 s1, s1, s22
	s_add_i32 s22, s3, 1
	s_sub_i32 s23, s1, s24
	s_cmp_ge_u32 s1, s24
	s_cselect_b32 s3, s22, s3
	s_cselect_b32 s1, s23, s1
	s_add_i32 s22, s3, 1
	s_cmp_ge_u32 s1, s24
	s_cselect_b32 s1, s22, s3
	s_xor_b32 s1, s1, s0
	v_lshlrev_b32_e32 v1, 4, v42
	s_sub_i32 s48, s1, s0
	v_or_b32_e32 v46, v2, v1
	s_lshl_b32 s30, s2, 5
	v_or_b32_e32 v47, 64, v46
	s_cmp_lt_i32 s44, 64
	s_mul_i32 s40, s20, s17
	s_mul_hi_u32 s41, s20, s16
	s_mul_i32 s42, s21, s16
	s_mul_i32 s16, s20, s16
	v_mov_b32_e32 v64, 0
	v_mov_b32_e32 v62, 0
	;; [unrolled: 1-line block ×15, first 2 shown]
	s_cbranch_scc1 .LBB424_18
; %bb.1:
	s_ashr_i32 s51, s33, 31
	s_ashr_i32 s1, s34, 31
	s_add_u32 s0, s47, s34
	s_addc_u32 s1, s46, s1
	s_lshl_b64 s[0:1], s[0:1], 8
	v_and_b32_e32 v49, 56, v44
	s_add_u32 s0, s6, s0
	v_lshl_or_b32 v48, v42, 3, v45
	v_lshlrev_b32_e32 v3, 1, v49
	s_addc_u32 s1, s7, s1
	v_lshl_or_b32 v50, v48, 8, v3
	s_and_b32 s1, s1, 0xffff
	s_mov_b32 s3, 0x20000
	s_movk_i32 s2, 0x4000
	s_movk_i32 s17, 0x80
	v_or_b32_e32 v51, 0x2000, v50
	buffer_load_dwordx4 v[4:7], v50, s[0:3], 0 offen
	buffer_load_dwordx4 v[8:11], v50, s[0:3], s17 offen
	;; [unrolled: 1-line block ×4, first 2 shown]
	v_lshlrev_b32_e32 v20, 3, v48
	v_and_or_b32 v22, v0, 7, v20
	v_and_b32_e32 v20, 0x78, v20
	v_lshlrev_b32_e32 v22, 4, v22
	v_xor_b32_e32 v52, v22, v20
	v_mul_lo_u32 v21, v48, s15
	v_or_b32_e32 v53, 0x1000, v52
	s_cmpk_eq_i32 s15, 0x80
	s_mov_b32 s49, s13
	s_mov_b32 s50, s34
	v_xor_b32_e32 v20, 8, v52
	v_xor_b32_e32 v22, 8, v53
	s_cselect_b64 s[0:1], -1, 0
	s_cmpk_lg_i32 s15, 0x80
	s_waitcnt vmcnt(3)
	ds_write_b64 v52, v[4:5] offset:24576
	ds_write_b64 v20, v[6:7] offset:24576
	s_waitcnt vmcnt(2)
	ds_write_b64 v52, v[8:9] offset:32768
	ds_write_b64 v20, v[10:11] offset:32768
	;; [unrolled: 3-line block ×4, first 2 shown]
	v_lshl_add_u32 v4, v21, 1, v49
	s_cbranch_scc0 .LBB424_3
; %bb.2:
	v_lshlrev_b32_e32 v6, 1, v4
	v_add_lshl_u32 v5, v4, s15, 1
	s_lshl_b32 s22, s15, 7
	v_lshl_or_b32 v3, v48, 9, v3
	s_cbranch_execz .LBB424_4
	s_branch .LBB424_5
.LBB424_3:
                                        ; implicit-def: $vgpr5
                                        ; implicit-def: $vgpr6
                                        ; implicit-def: $sgpr22
	v_lshl_or_b32 v3, v48, 9, v3
.LBB424_4:
	v_or_b32_e32 v5, 0x100, v3
	s_movk_i32 s22, 0x4000
	v_mov_b32_e32 v6, v3
.LBB424_5:
	s_mul_i32 s2, s34, s14
	s_ashr_i32 s52, s48, 31
	s_mul_hi_i32 s3, s34, s14
	s_add_u32 s2, s2, s48
	s_addc_u32 s3, s3, s52
	s_lshl_b64 s[2:3], s[2:3], 8
	s_add_u32 s20, s4, s2
	s_addc_u32 s2, s5, s3
	s_and_b32 s21, s2, 0xffff
	s_mov_b32 s23, 0x20000
	s_movk_i32 s53, 0x80
	buffer_load_dwordx4 v[8:11], v6, s[20:23], 0 offen
	buffer_load_dwordx4 v[12:15], v6, s[20:23], s53 offen
	;; [unrolled: 1-line block ×4, first 2 shown]
	v_and_b32_e32 v5, 6, v0
	v_lshlrev_b32_e32 v24, 6, v46
	v_or_b32_e32 v26, 16, v40
	v_xor_b32_e32 v27, v48, v5
	v_and_b32_e32 v6, 1, v0
	s_mul_i32 s2, s33, s19
	s_mul_hi_u32 s3, s33, s18
	v_lshl_or_b32 v30, v40, 3, v24
	v_lshl_or_b32 v24, v26, 3, v24
	v_lshlrev_b32_e32 v27, 2, v27
	s_add_i32 s17, s41, s40
	v_lshlrev_b32_e32 v7, 2, v40
	s_mul_i32 s20, s51, s18
	v_or_b32_e32 v56, 0xa000, v24
	v_or_b32_e32 v57, 0xb000, v24
	v_xor_b32_e32 v24, 0x440, v27
	v_cmp_eq_u32_e32 vcc, 0, v6
	s_add_i32 s2, s3, s2
	s_add_i32 s17, s17, s42
	v_xor_b32_e32 v28, v46, v7
	v_xor_b32_e32 v29, v47, v7
	v_cndmask_b32_e32 v6, v24, v27, vcc
	s_add_i32 s3, s2, s20
	s_lshl_b64 s[20:21], s[16:17], 2
	s_mov_b32 s54, 0x1000504
	v_lshlrev_b32_e32 v25, 8, v40
	v_lshlrev_b32_e32 v26, 8, v26
	;; [unrolled: 1-line block ×4, first 2 shown]
	v_lshl_or_b32 v5, v5, 10, v6
	s_mul_i32 s2, s33, s18
	s_add_u32 s17, s10, s20
	s_mov_b32 s55, 0x3020706
	v_or_b32_e32 v54, 0xa000, v30
	v_or_b32_e32 v55, 0xb000, v30
	;; [unrolled: 1-line block ×5, first 2 shown]
	v_xor_b32_e32 v6, 8, v5
	v_xor_b32_e32 v25, 24, v5
	;; [unrolled: 1-line block ×4, first 2 shown]
	s_addc_u32 s20, s11, s21
	s_lshl_b64 s[2:3], s[2:3], 2
	v_or_b32_e32 v60, v26, v28
	v_xor_b32_e32 v24, 16, v5
	v_xor_b32_e32 v26, 32, v5
	;; [unrolled: 1-line block ×3, first 2 shown]
	v_add_u32_e32 v6, 0x80, v6
	v_add_u32_e32 v25, 0x80, v25
	;; [unrolled: 1-line block ×4, first 2 shown]
	s_add_u32 s2, s17, s2
	s_addc_u32 s3, s20, s3
	s_movk_i32 s20, 0xf8
	s_ashr_i32 s31, s30, 31
	s_lshl_b32 s26, s15, 7
	s_movk_i32 s24, 0x100
	v_mov_b32_e32 v35, 0
	v_lshlrev_b32_e32 v34, 4, v40
	v_cmp_gt_u32_e32 vcc, s24, v0
	s_mov_b32 s56, 0
	s_movk_i32 s17, 0x1000
	s_movk_i32 s22, 0x4000
	v_add_u32_e32 v91, v1, v2
	v_mov_b32_e32 v73, v35
	v_mov_b32_e32 v72, v35
	;; [unrolled: 1-line block ×13, first 2 shown]
	s_waitcnt vmcnt(1)
	v_perm_b32 v30, v8, v16, s54
	s_waitcnt vmcnt(0)
	v_perm_b32 v31, v12, v20, s54
	v_perm_b32 v8, v8, v16, s55
	;; [unrolled: 1-line block ×15, first 2 shown]
	ds_write2st64_b32 v5, v30, v31 offset0:32 offset1:64
	ds_write2st64_b32 v6, v8, v12 offset0:32 offset1:64
	;; [unrolled: 1-line block ×8, first 2 shown]
	v_or_b32_e32 v5, v1, v40
	v_lshlrev_b32_e32 v5, 3, v5
	v_lshrrev_b32_e32 v8, 5, v41
	v_and_or_b32 v8, v5, s20, v8
	v_lshlrev_b32_e32 v8, 4, v8
	v_lshlrev_b32_e32 v9, 11, v42
	v_and_b32_e32 v5, 0x78, v5
	v_or_b32_e32 v13, 32, v8
	v_and_b32_e32 v6, 0x1000, v9
	v_lshrrev_b32_e32 v11, 1, v0
	v_xor_b32_e32 v13, v13, v5
	v_and_b32_e32 v12, 8, v11
	v_or_b32_e32 v13, v13, v6
	v_xor_b32_e32 v10, v8, v5
	v_xor_b32_e32 v76, v13, v12
	v_or_b32_e32 v13, 64, v8
	v_or_b32_e32 v8, 0x60, v8
	v_xor_b32_e32 v13, v13, v5
	v_xor_b32_e32 v5, v8, v5
	v_or_b32_e32 v10, v10, v6
	v_or_b32_e32 v13, v13, v6
	;; [unrolled: 1-line block ×3, first 2 shown]
	s_lshl_b64 s[20:21], s[30:31], 8
	v_xor_b32_e32 v71, v10, v12
	v_xor_b32_e32 v78, v13, v12
	;; [unrolled: 1-line block ×3, first 2 shown]
	v_lshlrev_b32_e32 v12, 1, v4
	v_add_lshl_u32 v13, v4, s15, 1
	s_add_u32 s20, s36, s20
	v_lshlrev_b32_e32 v4, 1, v40
	v_lshrrev_b32_e32 v15, 4, v0
	s_addc_u32 s21, s37, s21
	v_or_b32_e32 v5, 1, v4
	v_mov_b32_e32 v19, 0x4000
	v_mov_b32_e32 v20, 0x2000
	v_xor_b32_e32 v16, v15, v4
	v_xor_b32_e32 v17, v5, v15
	v_lshl_add_u64 v[4:5], s[20:21], 0, v[34:35]
	v_lshlrev_b32_e32 v34, 8, v15
	v_cndmask_b32_e32 v19, v19, v20, vcc
	v_lshlrev_b32_e32 v20, 3, v42
	v_and_b32_e32 v11, 24, v11
	v_lshl_or_b32 v82, v16, 3, v34
	v_and_b32_e32 v16, 8, v0
	v_xor_b32_e32 v21, v20, v11
	v_or_b32_e32 v22, 0x440, v21
	v_cmp_eq_u32_e32 vcc, 0, v16
	v_and_b32_e32 v15, 7, v0
	v_lshlrev_b32_e32 v10, 7, v43
	v_cndmask_b32_e32 v16, v22, v21, vcc
	v_lshl_or_b32 v83, v17, 3, v34
	v_lshlrev_b32_e32 v17, 3, v15
	v_lshlrev_b32_e32 v15, 7, v15
	;; [unrolled: 1-line block ×3, first 2 shown]
	v_or_b32_e32 v16, v16, v9
	v_or_b32_e32 v7, v10, v7
	v_xad_u32 v84, v16, v17, v15
	v_and_or_b32 v10, v18, 60, v10
	v_mov_b32_e32 v16, 0xb000
	v_lshl_or_b32 v85, v10, 1, v16
	v_or_b32_e32 v10, 32, v11
	v_xor_b32_e32 v10, v20, v10
	v_or_b32_e32 v16, 0x440, v10
	v_cndmask_b32_e32 v10, v16, v10, vcc
	v_or_b32_e32 v10, v10, v9
	v_xad_u32 v86, v10, v17, v15
	v_or_b32_e32 v10, 64, v11
	v_xor_b32_e32 v10, v20, v10
	v_xor_b32_e32 v16, 0x440, v10
	v_cndmask_b32_e32 v10, v16, v10, vcc
	v_or_b32_e32 v10, v10, v9
	v_xad_u32 v87, v10, v17, v15
	v_or_b32_e32 v10, 0x60, v11
	v_xor_b32_e32 v10, v20, v10
	v_xor_b32_e32 v11, 0x440, v10
	v_cndmask_b32_e32 v10, v11, v10, vcc
	v_lshlrev_b32_e32 v7, 1, v7
	v_or_b32_e32 v6, s30, v40
	v_or_b32_e32 v9, v10, v9
	;; [unrolled: 1-line block ×6, first 2 shown]
	v_lshlrev_b32_e32 v8, 7, v46
	v_ashrrev_i32_e32 v7, 31, v6
	v_or_b32_e32 v14, 0x100, v3
	v_xad_u32 v88, v9, v17, v15
	v_cndmask_b32_e64 v89, v12, v3, s[0:1]
	v_cndmask_b32_e64 v90, v13, v14, s[0:1]
	v_lshl_add_u64 v[36:37], v[6:7], 1, s[8:9]
	v_lshl_add_u64 v[38:39], v[4:5], 0, v[34:35]
	s_mov_b32 s31, 0x7060302
	v_lshlrev_b32_e32 v34, 1, v8
	v_add_u32_e32 v92, v19, v84
	v_add_u32_e32 v93, v19, v86
	;; [unrolled: 1-line block ×4, first 2 shown]
	v_mov_b32_e32 v62, v35
	v_mov_b32_e32 v64, v35
	;; [unrolled: 1-line block ×3, first 2 shown]
	s_waitcnt lgkmcnt(0)
	s_barrier
.LBB424_6:                              ; =>This Inner Loop Header: Depth=1
	s_add_i32 s57, s56, 1
	s_cmp_lt_i32 s57, s43
	s_mov_b64 s[24:25], 0
	s_cselect_b64 s[38:39], -1, 0
	s_cmp_ge_i32 s57, s43
	s_mov_b64 s[20:21], 0
	s_cbranch_scc1 .LBB424_8
; %bb.7:                                ;   in Loop: Header=BB424_6 Depth=1
	s_add_i32 s0, s50, 64
	s_ashr_i32 s1, s0, 31
	s_add_u32 s0, s47, s0
	s_addc_u32 s1, s46, s1
	s_lshl_b64 s[0:1], s[0:1], 8
	s_add_u32 s20, s6, s0
	s_addc_u32 s21, s7, s1
.LBB424_8:                              ;   in Loop: Header=BB424_6 Depth=1
	v_cndmask_b32_e64 v2, 0, 1, s[38:39]
	v_cmp_ne_u32_e64 s[0:1], 1, v2
	s_andn2_b64 vcc, exec, s[38:39]
	s_cbranch_vccnz .LBB424_10
; %bb.9:                                ;   in Loop: Header=BB424_6 Depth=1
	s_add_i32 s24, s50, 64
	s_mul_hi_i32 s25, s24, s14
	s_mul_i32 s24, s24, s14
	s_add_u32 s24, s24, s48
	s_addc_u32 s25, s25, s52
	s_lshl_b64 s[24:25], s[24:25], 8
	s_add_u32 s24, s4, s24
	s_addc_u32 s25, s5, s25
.LBB424_10:                             ;   in Loop: Header=BB424_6 Depth=1
	v_perm_b32 v3, v98, v74, s31
	v_perm_b32 v2, v72, v73, s31
	;; [unrolled: 1-line block ×4, first 2 shown]
	ds_write_b64 v54, v[2:3]
	ds_write_b64 v55, v[4:5]
	;; [unrolled: 1-line block ×4, first 2 shown]
	v_perm_b32 v3, v99, v67, s31
	v_perm_b32 v2, v65, v66, s31
	;; [unrolled: 1-line block ×4, first 2 shown]
	ds_write_b64 v56, v[2:3]
	ds_write_b64 v57, v[4:5]
	;; [unrolled: 1-line block ×4, first 2 shown]
	s_waitcnt lgkmcnt(0)
	s_barrier
	ds_read_b64 v[6:7], v71 offset:24576
	ds_read2_b64 v[2:5], v75 offset1:16
	ds_read_b64 v[10:11], v77 offset:3072
	ds_read_b64 v[12:13], v75 offset:3072
	;; [unrolled: 1-line block ×3, first 2 shown]
	s_waitcnt lgkmcnt(3)
	v_mfma_f32_16x16x16_bf16 a[0:3], v[6:7], v[2:3], 0
	s_add_i32 s27, s50, 63
	s_ashr_i32 s38, s27, 31
	s_mul_i32 s39, s27, s29
	v_mfma_f32_16x16x16_bf16 a[4:7], v[6:7], v[4:5], 0
	ds_read2st64_b64 v[2:5], v75 offset0:2 offset1:4
	s_mul_hi_u32 s58, s27, s28
	s_add_i32 s39, s58, s39
	s_waitcnt lgkmcnt(0)
	v_mfma_f32_16x16x16_bf16 a[0:3], v[14:15], v[2:3], a[0:3]
	ds_read2st64_b64 v[6:9], v77 offset0:2 offset1:4
	ds_read_b64 v[2:3], v78 offset:24576
	s_mul_i32 s38, s38, s28
	s_add_i32 s39, s39, s38
	s_waitcnt lgkmcnt(1)
	v_mfma_f32_16x16x16_bf16 a[4:7], v[14:15], v[6:7], a[4:7]
	ds_read_b64 v[6:7], v79 offset:24576
	s_mul_i32 s38, s27, s28
	s_lshl_b64 s[38:39], s[38:39], 2
	s_waitcnt lgkmcnt(1)
	v_mfma_f32_16x16x16_bf16 a[0:3], v[2:3], v[4:5], a[0:3]
	s_add_u32 s38, s2, s38
	s_addc_u32 s39, s3, s39
	s_and_b64 vcc, exec, s[0:1]
	v_mfma_f32_16x16x16_bf16 a[4:7], v[2:3], v[8:9], a[4:7]
	v_mov_b32_e32 v102, 0
	v_mov_b32_e32 v101, 0
	v_mov_b32_e32 v100, 0
	s_waitcnt lgkmcnt(0)
	v_mfma_f32_16x16x16_bf16 a[0:3], v[6:7], v[12:13], a[0:3]
	v_mov_b32_e32 v2, 0
	v_mov_b32_e32 v3, 0
	v_mov_b32_e32 v4, 0
	v_mfma_f32_16x16x16_bf16 a[4:7], v[6:7], v[10:11], a[4:7]
	v_mov_b32_e32 v5, 0
	v_mov_b32_e32 v6, 0
	;; [unrolled: 1-line block ×13, first 2 shown]
	s_cbranch_vccnz .LBB424_12
; %bb.11:                               ;   in Loop: Header=BB424_6 Depth=1
	s_and_b32 s21, s21, 0xffff
	buffer_load_dwordx4 v[14:17], v50, s[20:23], 0 offen
	buffer_load_dwordx4 v[10:13], v50, s[20:23], s53 offen
	;; [unrolled: 1-line block ×4, first 2 shown]
	v_mov_b32_e32 v101, v52
	v_mov_b32_e32 v100, v53
.LBB424_12:                             ;   in Loop: Header=BB424_6 Depth=1
	s_waitcnt vmcnt(4)
	ds_read_b64 v[22:23], v71 offset:32768
	s_waitcnt vmcnt(2)
	ds_read2_b64 v[18:21], v80 offset1:16
	ds_read_b64 v[26:27], v76 offset:32768
	ds_read_b64 v[28:29], v78 offset:32768
	ds_read_b64 v[30:31], v79 offset:32768
	v_add_u32_e32 v103, s50, v91
	s_waitcnt lgkmcnt(3)
	v_mfma_f32_16x16x16_bf16 a[0:3], v[22:23], v[18:19], a[0:3]
	v_mfma_f32_16x16x16_bf16 a[4:7], v[22:23], v[20:21], a[4:7]
	ds_read2st64_b64 v[18:21], v80 offset0:2 offset1:4
	ds_read2st64_b64 v[22:25], v81 offset0:2 offset1:4
	s_waitcnt lgkmcnt(1)
	v_mfma_f32_16x16x16_bf16 a[0:3], v[26:27], v[18:19], a[0:3]
	ds_read_b64 v[18:19], v80 offset:3072
	ds_read_b64 v[32:33], v81 offset:3072
	s_waitcnt lgkmcnt(2)
	v_mfma_f32_16x16x16_bf16 a[4:7], v[26:27], v[22:23], a[4:7]
	v_ashrrev_i32_e32 v22, 31, v103
	v_mul_lo_u32 v23, v103, s29
	v_mul_lo_u32 v22, v22, s28
	v_mfma_f32_16x16x16_bf16 a[0:3], v[28:29], v[20:21], a[0:3]
	v_mad_u64_u32 v[20:21], s[20:21], v103, s28, 0
	v_add3_u32 v21, v21, v23, v22
	v_add_u32_e32 v22, 1, v103
	v_ashrrev_i32_e32 v23, 31, v22
	v_mfma_f32_16x16x16_bf16 a[4:7], v[28:29], v[24:25], a[4:7]
	v_mul_lo_u32 v23, v23, s28
	v_mul_lo_u32 v24, v22, s29
	v_lshl_add_u64 v[20:21], v[20:21], 2, s[2:3]
	s_waitcnt lgkmcnt(1)
	v_mfma_f32_16x16x16_bf16 a[0:3], v[30:31], v[18:19], a[0:3]
	v_mad_u64_u32 v[18:19], s[20:21], v22, s28, 0
	v_add_u32_e32 v22, 2, v103
	v_add3_u32 v19, v19, v24, v23
	v_ashrrev_i32_e32 v23, 31, v22
	v_mul_lo_u32 v24, v23, s28
	v_mul_lo_u32 v25, v22, s29
	v_mad_u64_u32 v[22:23], s[20:21], v22, s28, 0
	v_add3_u32 v23, v23, v25, v24
	v_add_u32_e32 v24, 3, v103
	v_ashrrev_i32_e32 v25, 31, v24
	v_mul_lo_u32 v26, v25, s28
	v_mul_lo_u32 v27, v24, s29
	v_mad_u64_u32 v[24:25], s[20:21], v24, s28, 0
	v_add3_u32 v25, v25, v27, v26
	v_lshl_add_u64 v[24:25], v[24:25], 2, s[2:3]
	s_ashr_i32 s21, s50, 31
	v_lshl_add_u64 v[18:19], v[18:19], 2, s[2:3]
	v_lshl_add_u64 v[22:23], v[22:23], 2, s[2:3]
	global_load_dword v26, v[20:21], off
	global_load_dword v27, v[18:19], off
	;; [unrolled: 1-line block ×3, first 2 shown]
	s_nop 0
	global_load_dword v25, v[24:25], off
	s_add_u32 s20, s47, s50
	s_addc_u32 s21, s46, s21
	s_lshl_b64 s[20:21], s[20:21], 8
	v_lshl_add_u64 v[18:19], v[36:37], 0, s[20:21]
	v_lshl_add_u64 v[18:19], v[18:19], 0, v[34:35]
	global_load_ushort v29, v[18:19], off
	global_load_ushort v103, v[18:19], off offset:256
	global_load_ushort v104, v[18:19], off offset:800
	;; [unrolled: 1-line block ×7, first 2 shown]
	s_load_dword s20, s[38:39], 0x0
	s_waitcnt lgkmcnt(0)
	v_mfma_f32_16x16x16_bf16 a[4:7], v[30:31], v[32:33], a[4:7]
	v_accvgpr_read_b32 v23, a1
	v_accvgpr_read_b32 v19, a3
	;; [unrolled: 1-line block ×4, first 2 shown]
	s_and_b64 vcc, exec, s[0:1]
	s_waitcnt vmcnt(11)
	v_sub_f32_e32 v24, s20, v26
	s_waitcnt vmcnt(10)
	v_sub_f32_e32 v32, s20, v27
	;; [unrolled: 2-line block ×4, first 2 shown]
	v_exp_f32_e32 v24, v24
	v_exp_f32_e32 v25, v32
	;; [unrolled: 1-line block ×4, first 2 shown]
	s_waitcnt vmcnt(6)
	v_lshlrev_b32_e32 v27, 16, v103
	v_lshlrev_b32_e32 v26, 16, v29
	s_waitcnt vmcnt(4)
	v_lshlrev_b32_e32 v29, 16, v105
	s_waitcnt vmcnt(2)
	v_lshlrev_b32_e32 v28, 16, v107
	v_pk_add_f32 v[22:23], v[26:27], v[22:23] neg_lo:[0,1] neg_hi:[0,1]
	v_pk_add_f32 v[18:19], v[28:29], v[18:19] neg_lo:[0,1] neg_hi:[0,1]
	v_pk_mul_f32 v[22:23], v[24:25], v[22:23]
	v_pk_mul_f32 v[18:19], v[32:33], v[18:19]
	s_waitcnt vmcnt(1)
	v_lshlrev_b32_e32 v31, 16, v108
	v_perm_b32 v19, v19, v18, s31
	v_perm_b32 v18, v23, v22, s31
	v_accvgpr_read_b32 v23, a5
	s_waitcnt vmcnt(0)
	v_lshlrev_b32_e32 v30, 16, v109
	v_accvgpr_read_b32 v22, a4
	v_pk_add_f32 v[22:23], v[30:31], v[22:23] neg_lo:[0,1] neg_hi:[0,1]
	v_accvgpr_read_b32 v21, a7
	v_accvgpr_read_b32 v20, a6
	v_pk_mul_f32 v[22:23], v[24:25], v[22:23]
	v_lshlrev_b32_e32 v25, 16, v104
	v_lshlrev_b32_e32 v24, 16, v106
	v_pk_add_f32 v[20:21], v[24:25], v[20:21] neg_lo:[0,1] neg_hi:[0,1]
	v_mov_b32_e32 v103, 0
	v_pk_mul_f32 v[20:21], v[32:33], v[20:21]
	v_mov_b32_e32 v24, 0
	v_perm_b32 v21, v21, v20, s31
	v_perm_b32 v20, v23, v22, s31
	ds_write2_b64 v55, v[18:19], v[20:21] offset1:16
	v_mov_b32_e32 v18, 0
	v_mov_b32_e32 v19, 0
	;; [unrolled: 1-line block ×15, first 2 shown]
	s_cbranch_vccnz .LBB424_14
; %bb.13:                               ;   in Loop: Header=BB424_6 Depth=1
	s_and_b32 s25, s25, 0xffff
	s_mov_b32 s27, s23
	buffer_load_dwordx4 v[30:33], v89, s[24:27], 0 offen
	buffer_load_dwordx4 v[22:25], v89, s[24:27], s53 offen
	;; [unrolled: 1-line block ×4, first 2 shown]
	v_mov_b32_e32 v102, v49
	v_mov_b32_e32 v103, v48
.LBB424_14:                             ;   in Loop: Header=BB424_6 Depth=1
	s_waitcnt lgkmcnt(0)
	s_barrier
	ds_read_b64 v[108:109], v92
	ds_read_b64 v[116:117], v85
	;; [unrolled: 1-line block ×5, first 2 shown]
	ds_read_b64 v[122:123], v86 offset:16384
	ds_read_b64 v[124:125], v84 offset:16384
	ds_read2_b64 v[104:107], v80 offset0:16 offset1:128
	s_waitcnt lgkmcnt(6)
	v_mfma_f32_16x16x16_bf16 a[0:3], v[108:109], v[116:117], 0
	ds_read_b64 v[126:127], v81 offset:3072
	ds_read_b64 v[128:129], v88 offset:16384
	s_add_i32 s21, s45, s56
	s_waitcnt lgkmcnt(2)
	v_mfma_f32_16x16x16_bf16 a[4:7], v[108:109], v[104:105], 0
	ds_read2st64_b64 v[108:111], v81 offset0:2 offset1:4
	s_mul_hi_i32 s25, s21, s49
	s_mul_i32 s21, s21, s49
	v_mfma_f32_16x16x16_bf16 a[0:3], v[112:113], v[106:107], a[0:3]
	s_add_u32 s24, s21, s33
	s_addc_u32 s25, s25, s51
	s_lshl_b64 s[24:25], s[24:25], 15
	s_waitcnt lgkmcnt(0)
	v_mfma_f32_16x16x16_bf16 a[4:7], v[112:113], v[108:109], a[4:7]
	ds_read2st64_b64 v[112:115], v80 offset0:4 offset1:6
	s_waitcnt lgkmcnt(0)
	v_mfma_f32_16x16x16_bf16 a[0:3], v[118:119], v[112:113], a[0:3]
	v_mfma_f32_16x16x16_bf16 a[8:11], v[118:119], v[110:111], a[4:7]
	v_mfma_f32_16x16x16_bf16 a[4:7], v[120:121], v[114:115], a[0:3]
	v_mfma_f32_16x16x16_bf16 a[0:3], v[120:121], v[126:127], a[8:11]
	v_mfma_f32_16x16x16_bf16 a[8:11], v[124:125], v[116:117], 0
	ds_read2st64_b64 v[116:119], v83 offset1:8
	v_mfma_f32_16x16x16_bf16 a[12:15], v[124:125], v[104:105], 0
	ds_read_b64 v[124:125], v87 offset:16384
	v_mfma_f32_16x16x16_bf16 a[8:11], v[122:123], v[106:107], a[8:11]
	ds_read2st64_b64 v[104:107], v82 offset1:8
	s_waitcnt lgkmcnt(0)
	v_mov_b32_e32 v120, v104
	v_mfma_f32_16x16x16_bf16 a[12:15], v[122:123], v[108:109], a[12:15]
	v_lshl_add_u64 v[108:109], v[38:39], 0, s[24:25]
	v_add_co_u32_e32 v104, vcc, s17, v108
	v_mfma_f32_16x16x16_bf16 a[8:11], v[124:125], v[112:113], a[8:11]
	v_mov_b32_e32 v121, v105
	v_addc_co_u32_e32 v105, vcc, 0, v109, vcc
	v_mfma_f32_16x16x16_bf16 a[16:19], v[124:125], v[110:111], a[12:15]
	v_mov_b32_e32 v122, v116
	v_mov_b32_e32 v123, v117
	;; [unrolled: 1-line block ×3, first 2 shown]
	v_mfma_f32_16x16x16_bf16 a[12:15], v[128:129], v[114:115], a[8:11]
	v_mov_b32_e32 v117, v107
	s_and_b64 vcc, exec, s[0:1]
	global_store_dwordx4 v[108:109], v[120:123], off
	v_mfma_f32_16x16x16_bf16 a[8:11], v[128:129], v[126:127], a[16:19]
	global_store_dwordx4 v[104:105], v[116:119], off
	s_cbranch_vccnz .LBB424_16
; %bb.15:                               ;   in Loop: Header=BB424_6 Depth=1
	v_lshrrev_b32_e32 v104, 3, v102
	v_and_b32_e32 v104, 6, v104
	v_xor_b32_e32 v103, v104, v103
	v_lshlrev_b32_e32 v103, 2, v103
	v_and_b32_e32 v102, 8, v102
	v_xor_b32_e32 v105, 0x440, v103
	v_cmp_eq_u32_e32 vcc, 0, v102
	s_barrier
	s_nop 0
	v_cndmask_b32_e32 v102, v105, v103, vcc
	v_lshl_or_b32 v102, v104, 10, v102
	s_waitcnt vmcnt(3)
	v_perm_b32 v103, v30, v26, s54
	s_waitcnt vmcnt(2)
	v_perm_b32 v104, v22, v18, s54
	ds_write2st64_b32 v102, v103, v104 offset0:32 offset1:64
	v_xor_b32_e32 v103, 8, v102
	v_perm_b32 v26, v30, v26, s55
	v_perm_b32 v18, v22, v18, s55
	v_add_u32_e32 v22, 0x80, v103
	ds_write2st64_b32 v22, v26, v18 offset0:32 offset1:64
	v_xor_b32_e32 v18, 16, v102
	v_perm_b32 v22, v31, v27, s54
	v_perm_b32 v26, v23, v19, s54
	ds_write2st64_b32 v18, v22, v26 offset0:33 offset1:65
	v_xor_b32_e32 v18, 24, v102
	v_perm_b32 v22, v31, v27, s55
	v_perm_b32 v19, v23, v19, s55
	v_add_u32_e32 v18, 0x80, v18
	ds_write2st64_b32 v18, v22, v19 offset0:33 offset1:65
	v_xor_b32_e32 v18, 32, v102
	v_perm_b32 v19, v32, v28, s54
	;; [unrolled: 9-line block ×3, first 2 shown]
	v_perm_b32 v20, v25, v21, s54
	ds_write2st64_b32 v18, v19, v20 offset0:35 offset1:67
	v_xor_b32_e32 v18, 56, v102
	v_perm_b32 v19, v33, v29, s55
	v_perm_b32 v20, v25, v21, s55
	v_add_u32_e32 v18, 0x80, v18
	ds_write2st64_b32 v18, v19, v20 offset0:35 offset1:67
	ds_write_b64 v101, v[14:15] offset:24576
	v_xor_b32_e32 v14, 8, v101
	ds_write_b64 v14, v[16:17] offset:24576
	ds_write_b64 v101, v[10:11] offset:32768
	;; [unrolled: 1-line block ×4, first 2 shown]
	v_xor_b32_e32 v6, 8, v100
	ds_write_b64 v6, v[8:9] offset:24576
	ds_write_b64 v100, v[2:3] offset:32768
	;; [unrolled: 1-line block ×3, first 2 shown]
.LBB424_16:                             ;   in Loop: Header=BB424_6 Depth=1
	v_exp_f32_e32 v2, s20
	v_accvgpr_read_b32 v3, a4
	v_accvgpr_read_b32 v4, a5
	;; [unrolled: 1-line block ×3, first 2 shown]
	v_fma_f32 v73, v73, v2, v3
	v_accvgpr_read_b32 v3, a6
	v_fma_f32 v74, v74, v2, v3
	v_accvgpr_read_b32 v3, a0
	;; [unrolled: 2-line block ×11, first 2 shown]
	v_accvgpr_read_b32 v6, a15
	v_fma_f32 v64, v64, v2, v3
	v_accvgpr_read_b32 v3, a11
	s_add_i32 s50, s50, 64
	v_fmac_f32_e32 v5, v98, v2
	v_fmac_f32_e32 v4, v99, v2
	;; [unrolled: 1-line block ×3, first 2 shown]
	s_cmp_eq_u32 s43, s57
	v_fmac_f32_e32 v3, v97, v2
	s_cbranch_scc1 .LBB424_18
; %bb.17:                               ;   in Loop: Header=BB424_6 Depth=1
	s_mov_b32 s56, s57
	v_mov_b32_e32 v98, v5
	v_mov_b32_e32 v96, v6
	;; [unrolled: 1-line block ×4, first 2 shown]
	s_branch .LBB424_6
.LBB424_18:
	s_lshl_b32 s0, s43, 6
	s_sub_i32 s44, s44, s0
	s_cmp_gt_i32 s44, 0
	s_cbranch_scc0 .LBB424_83
; %bb.19:
	s_add_i32 s34, s0, s34
	s_ashr_i32 s2, s34, 31
	s_cmpk_lg_i32 s15, 0x80
	s_cselect_b64 s[26:27], -1, 0
	s_and_b64 vcc, exec, s[26:27]
	s_cbranch_vccz .LBB424_21
; %bb.20:
	s_mul_i32 s1, s34, s14
	s_ashr_i32 s3, s48, 31
	s_mul_hi_i32 s0, s34, s14
	s_add_u32 s38, s1, s48
	s_addc_u32 s39, s0, s3
	s_cbranch_execz .LBB424_22
	s_branch .LBB424_23
.LBB424_21:
                                        ; implicit-def: $sgpr38_sgpr39
.LBB424_22:
	s_mul_i32 s1, s48, s12
	s_mul_hi_i32 s0, s48, s12
	s_add_u32 s38, s1, s34
	s_addc_u32 s39, s0, s2
.LBB424_23:
	s_add_i32 s3, s43, s45
	s_ashr_i32 s12, s33, 31
	s_add_u32 s0, s47, s34
	s_addc_u32 s1, s46, s2
	v_lshlrev_b32_e32 v10, 5, v46
	s_waitcnt vmcnt(4)
	v_lshlrev_b32_e32 v22, 2, v40
	s_mov_b32 s2, 0x7060302
	v_xor_b32_e32 v2, v46, v22
	v_perm_b32 v9, v5, v74, s2
	v_or_b32_e32 v5, v10, v22
	v_perm_b32 v8, v72, v73, s2
	v_perm_b32 v7, v6, v70, s2
	;; [unrolled: 1-line block ×3, first 2 shown]
	v_lshlrev_b32_e32 v5, 1, v5
	v_lshlrev_b32_e32 v12, 1, v2
	v_lshlrev_b32_e32 v2, 8, v40
	s_lshl_b64 s[24:25], s[0:1], 8
	v_xor_b32_e32 v11, v47, v22
	ds_write2st64_b64 v5, v[8:9], v[6:7] offset0:80 offset1:88
	v_or_b32_e32 v5, v12, v2
	s_add_u32 s0, s6, s24
	ds_write_b64 v5, v[8:9]
	v_lshlrev_b32_e32 v8, 1, v11
	s_addc_u32 s1, s7, s25
	v_or_b32_e32 v2, v8, v2
	s_mul_hi_i32 s6, s3, s13
	s_mul_i32 s3, s3, s13
	ds_write_b64 v2, v[6:7]
	v_perm_b32 v5, v4, v67, s2
	v_perm_b32 v4, v65, v66, s2
	;; [unrolled: 1-line block ×4, first 2 shown]
	v_or_b32_e32 v6, 16, v40
	s_add_u32 s2, s3, s33
	s_waitcnt vmcnt(2)
	v_lshlrev_b32_e32 v19, 2, v6
	s_addc_u32 s3, s6, s12
	v_or_b32_e32 v7, v10, v19
	s_ashr_i32 s31, s30, 31
	s_lshl_b64 s[2:3], s[2:3], 15
	v_lshlrev_b32_e32 v7, 1, v7
	v_lshlrev_b32_e32 v6, 8, v6
	s_add_u32 s6, s36, s2
	ds_write2st64_b64 v7, v[4:5], v[2:3] offset0:80 offset1:88
	v_or_b32_e32 v7, v12, v6
	s_addc_u32 s7, s37, s3
	s_lshl_b64 s[2:3], s[30:31], 8
	ds_write_b64 v7, v[4:5]
	v_or_b32_e32 v4, v8, v6
	s_add_u32 s2, s6, s2
	ds_write_b64 v4, v[2:3]
	v_lshrrev_b32_e32 v2, 4, v0
	s_addc_u32 s3, s7, s3
	v_lshlrev_b32_e32 v3, 1, v40
	v_lshlrev_b32_e32 v10, 4, v40
	v_mov_b32_e32 v11, 0
	v_or_b32_e32 v4, 1, v3
	v_xor_b32_e32 v3, v2, v3
	v_lshl_add_u64 v[12:13], s[2:3], 0, v[10:11]
	v_lshlrev_b32_e32 v10, 8, v2
	v_xor_b32_e32 v6, v4, v2
	v_lshl_or_b32 v2, v3, 3, v10
	s_waitcnt lgkmcnt(0)
	s_barrier
	ds_read2st64_b64 v[2:5], v2 offset1:8
	v_lshl_or_b32 v6, v6, 3, v10
	ds_read2st64_b64 v[6:9], v6 offset1:8
	v_lshl_add_u64 v[14:15], v[12:13], 0, v[10:11]
	s_movk_i32 s2, 0x1000
	s_waitcnt lgkmcnt(1)
	v_mov_b32_e32 v10, v2
	v_add_co_u32_e32 v2, vcc, s2, v14
	s_cmp_lg_u32 s44, 64
	v_mov_b32_e32 v11, v3
	v_addc_co_u32_e32 v3, vcc, 0, v15, vcc
	s_cselect_b64 s[6:7], -1, 0
	v_lshl_or_b32 v23, v42, 3, v45
	s_waitcnt lgkmcnt(0)
	v_mov_b32_e32 v12, v6
	v_mov_b32_e32 v13, v7
	;; [unrolled: 1-line block ×4, first 2 shown]
	s_mov_b32 s20, 0
	v_or_b32_e32 v20, 32, v23
	v_and_b32_e32 v18, 56, v44
	s_and_b64 vcc, exec, s[6:7]
	global_store_dwordx4 v[14:15], v[10:13], off
	global_store_dwordx4 v[2:3], v[6:9], off
	s_cbranch_vccz .LBB424_29
; %bb.24:
	s_mov_b32 s21, s20
	s_mov_b32 s22, s20
	;; [unrolled: 1-line block ×3, first 2 shown]
	v_mov_b64_e32 v[6:7], s[20:21]
	v_mov_b64_e32 v[8:9], s[22:23]
	;; [unrolled: 1-line block ×3, first 2 shown]
	v_cmp_gt_i32_e32 vcc, s44, v23
	v_mov_b64_e32 v[4:5], v[8:9]
	s_and_saveexec_b64 s[2:3], vcc
	s_cbranch_execz .LBB424_26
; %bb.25:
	v_lshlrev_b32_e32 v2, 8, v23
	v_mov_b32_e32 v3, 0
	v_lshl_add_u64 v[4:5], s[0:1], 0, v[2:3]
	v_lshlrev_b32_e32 v2, 1, v18
	v_lshl_add_u64 v[10:11], v[4:5], 0, v[2:3]
	global_load_dwordx4 v[6:9], v[10:11], off
	global_load_dwordx4 v[2:5], v[10:11], off offset:128
.LBB424_26:
	s_or_b64 exec, exec, s[2:3]
	s_mov_b32 s21, s20
	s_mov_b32 s22, s20
	;; [unrolled: 1-line block ×3, first 2 shown]
	v_mov_b64_e32 v[14:15], s[20:21]
	v_mov_b64_e32 v[16:17], s[22:23]
	;; [unrolled: 1-line block ×3, first 2 shown]
	v_cmp_gt_i32_e32 vcc, s44, v20
	v_lshlrev_b32_e32 v21, 7, v20
	v_mov_b64_e32 v[12:13], v[16:17]
	s_and_saveexec_b64 s[2:3], vcc
	s_cbranch_execz .LBB424_28
; %bb.27:
	v_lshlrev_b32_e32 v10, 1, v21
	v_mov_b32_e32 v11, 0
	v_lshl_add_u64 v[12:13], s[0:1], 0, v[10:11]
	v_lshlrev_b32_e32 v10, 1, v18
	v_lshl_add_u64 v[24:25], v[12:13], 0, v[10:11]
	global_load_dwordx4 v[14:17], v[24:25], off
	global_load_dwordx4 v[10:13], v[24:25], off offset:128
.LBB424_28:
	s_or_b64 exec, exec, s[2:3]
	v_lshrrev_b32_e32 v24, 3, v18
	v_lshlrev_b32_e32 v25, 3, v23
	v_or_b32_e32 v24, v25, v24
	v_lshlrev_b32_e32 v24, 4, v24
	v_and_b32_e32 v25, 0x78, v25
	v_xor_b32_e32 v24, v24, v25
	s_branch .LBB424_31
.LBB424_29:
                                        ; implicit-def: $vgpr24
                                        ; implicit-def: $vgpr21
                                        ; implicit-def: $vgpr6_vgpr7_vgpr8_vgpr9
                                        ; implicit-def: $vgpr2_vgpr3_vgpr4_vgpr5
                                        ; implicit-def: $vgpr14_vgpr15_vgpr16_vgpr17
                                        ; implicit-def: $vgpr10_vgpr11_vgpr12_vgpr13
	s_cbranch_execz .LBB424_31
; %bb.30:
	s_waitcnt vmcnt(0)
	v_lshlrev_b32_e32 v2, 1, v18
	v_lshl_or_b32 v21, v23, 8, v2
	s_and_b32 s1, s1, 0xffff
	s_mov_b32 s3, 0x20000
	s_movk_i32 s2, 0x4000
	v_lshl_or_b32 v24, v20, 8, v2
	s_movk_i32 s13, 0x80
	buffer_load_dwordx4 v[6:9], v21, s[0:3], 0 offen
	buffer_load_dwordx4 v[2:5], v21, s[0:3], s13 offen
	;; [unrolled: 1-line block ×4, first 2 shown]
	v_lshrrev_b32_e32 v21, 3, v18
	v_lshlrev_b32_e32 v24, 3, v23
	v_or_b32_e32 v21, v24, v21
	v_lshlrev_b32_e32 v21, 4, v21
	v_and_b32_e32 v24, 0x78, v24
	v_xor_b32_e32 v24, v21, v24
	v_lshlrev_b32_e32 v21, 7, v20
.LBB424_31:
	s_lshl_b64 s[0:1], s[38:39], 8
	s_add_u32 s4, s4, s0
	s_movk_i32 s0, 0x1000
	v_and_or_b32 v20, v21, s0, v24
	s_waitcnt vmcnt(1)
	ds_write_b64 v24, v[6:7] offset:24576
	v_xor_b32_e32 v6, 8, v24
	ds_write_b64 v6, v[8:9] offset:24576
	s_waitcnt vmcnt(0)
	ds_write_b64 v24, v[2:3] offset:32768
	ds_write_b64 v6, v[4:5] offset:32768
	;; [unrolled: 1-line block ×3, first 2 shown]
	v_xor_b32_e32 v2, 8, v20
	ds_write_b64 v2, v[16:17] offset:24576
	ds_write_b64 v20, v[10:11] offset:32768
	;; [unrolled: 1-line block ×3, first 2 shown]
	v_or_b32_e32 v2, v1, v40
	v_lshlrev_b32_e32 v3, 11, v42
	v_lshlrev_b32_e32 v2, 3, v2
	v_and_b32_e32 v6, 0x1000, v3
	v_lshrrev_b32_e32 v3, 5, v41
	s_movk_i32 s13, 0xf8
	v_and_or_b32 v3, v2, s13, v3
	v_lshlrev_b32_e32 v7, 4, v3
	v_and_b32_e32 v8, 0x78, v2
	v_or_b32_e32 v10, 32, v7
	v_lshrrev_b32_e32 v3, 1, v41
	v_xor_b32_e32 v10, v10, v8
	v_xor_b32_e32 v2, v7, v8
	v_and_b32_e32 v9, 8, v3
	v_or_b32_e32 v10, v10, v6
	v_or_b32_e32 v2, v2, v6
	v_xor_b32_e32 v26, v10, v9
	v_or_b32_e32 v10, 64, v7
	v_xor_b32_e32 v25, v2, v9
	v_xor_b32_e32 v10, v10, v8
	s_waitcnt lgkmcnt(0)
	s_barrier
	v_or_b32_e32 v12, v10, v6
	ds_read_b64 v[10:11], v25 offset:24576
	v_lshl_or_b32 v20, v43, 7, v22
	v_lshlrev_b32_e32 v24, 1, v20
	v_add_u32_e32 v2, 0xa000, v24
	ds_read2_b64 v[2:5], v2 offset1:16
	v_or_b32_e32 v7, 0x60, v7
	v_xor_b32_e32 v7, v7, v8
	s_waitcnt lgkmcnt(0)
	v_mfma_f32_16x16x16_bf16 a[0:3], v[10:11], v[2:3], 0
	v_or_b32_e32 v2, 64, v20
	v_or_b32_e32 v6, v7, v6
	v_lshlrev_b32_e32 v29, 1, v2
	v_xor_b32_e32 v27, v12, v9
	v_xor_b32_e32 v28, v6, v9
	ds_read_b64 v[12:13], v26 offset:24576
	ds_read_b64 v[14:15], v27 offset:24576
	;; [unrolled: 1-line block ×3, first 2 shown]
	v_mfma_f32_16x16x16_bf16 a[4:7], v[10:11], v[4:5], 0
	ds_read2st64_b64 v[2:5], v29 offset0:82 offset1:84
	ds_read2st64_b64 v[6:9], v24 offset0:82 offset1:84
	s_addc_u32 s5, s5, s1
	s_add_i32 s0, s41, s40
	s_add_i32 s2, s35, -1
	s_add_i32 s17, s0, s42
	s_mul_i32 s0, s33, s19
	s_mul_hi_u32 s1, s33, s18
	s_add_i32 s0, s1, s0
	s_mul_i32 s1, s12, s18
	s_ashr_i32 s3, s2, 31
	s_mul_i32 s12, s2, s29
	s_mul_hi_u32 s13, s2, s28
	s_add_i32 s12, s13, s12
	s_mul_i32 s3, s3, s28
	s_waitcnt lgkmcnt(1)
	v_mfma_f32_16x16x16_bf16 a[4:7], v[12:13], v[2:3], a[4:7]
	s_add_i32 s1, s0, s1
	s_add_i32 s3, s12, s3
	s_lshl_b64 s[12:13], s[16:17], 2
	s_waitcnt lgkmcnt(0)
	v_mfma_f32_16x16x16_bf16 a[0:3], v[12:13], v[6:7], a[0:3]
	s_mul_i32 s0, s33, s18
	s_add_u32 s10, s10, s12
	s_addc_u32 s11, s11, s13
	s_lshl_b64 s[0:1], s[0:1], 2
	s_mul_i32 s2, s2, s28
	s_add_u32 s10, s10, s0
	ds_read_b64 v[2:3], v24 offset:44032
	v_mfma_f32_16x16x16_bf16 a[4:7], v[14:15], v[4:5], a[4:7]
	ds_read_b64 v[4:5], v29 offset:44032
	s_addc_u32 s11, s11, s1
	s_lshl_b64 s[0:1], s[2:3], 2
	v_mfma_f32_16x16x16_bf16 a[0:3], v[14:15], v[8:9], a[0:3]
	s_add_u32 s0, s10, s0
	s_addc_u32 s1, s11, s1
	s_load_dword s12, s[0:1], 0x0
	s_waitcnt lgkmcnt(0)
	v_mfma_f32_16x16x16_bf16 a[0:3], v[16:17], v[2:3], a[0:3]
	s_and_b64 vcc, exec, s[26:27]
	v_mfma_f32_16x16x16_bf16 a[4:7], v[16:17], v[4:5], a[4:7]
	s_cbranch_vccz .LBB424_42
; %bb.32:
	v_lshlrev_b32_e32 v20, 1, v23
	s_and_b64 vcc, exec, s[6:7]
	s_cbranch_vccz .LBB424_43
; %bb.33:
	v_cmp_gt_i32_e32 vcc, s44, v20
	v_mov_b32_e32 v6, 0
	v_mov_b32_e32 v2, 0
	;; [unrolled: 1-line block ×5, first 2 shown]
	s_and_saveexec_b64 s[0:1], vcc
	s_cbranch_execz .LBB424_35
; %bb.34:
	v_mad_i64_i32 v[2:3], s[2:3], s15, v20, 0
	v_lshl_add_u64 v[2:3], v[2:3], 1, s[4:5]
	v_lshlrev_b32_e32 v4, 1, v18
	v_mov_b32_e32 v5, 0
	v_lshl_add_u64 v[2:3], v[2:3], 0, v[4:5]
	global_load_dwordx4 v[2:5], v[2:3], off
.LBB424_35:
	s_or_b64 exec, exec, s[0:1]
	v_or_b32_e32 v21, 1, v20
	v_cmp_gt_i32_e64 s[0:1], s44, v21
	v_mov_b32_e32 v7, 0
	v_mov_b32_e32 v8, 0
	;; [unrolled: 1-line block ×3, first 2 shown]
	s_and_saveexec_b64 s[2:3], s[0:1]
	s_cbranch_execz .LBB424_37
; %bb.36:
	v_mad_i64_i32 v[6:7], s[16:17], s15, v21, 0
	v_lshl_add_u64 v[6:7], v[6:7], 1, s[4:5]
	v_lshlrev_b32_e32 v8, 1, v18
	v_mov_b32_e32 v9, 0
	v_lshl_add_u64 v[6:7], v[6:7], 0, v[8:9]
	global_load_dwordx4 v[6:9], v[6:7], off
.LBB424_37:
	s_or_b64 exec, exec, s[2:3]
	v_mov_b32_e32 v17, 0
	v_mov_b32_e32 v10, 0
	;; [unrolled: 1-line block ×5, first 2 shown]
	s_and_saveexec_b64 s[2:3], vcc
	s_cbranch_execz .LBB424_39
; %bb.38:
	v_mad_i64_i32 v[10:11], s[16:17], s15, v20, 0
	v_lshl_add_u64 v[10:11], v[10:11], 1, s[4:5]
	v_lshlrev_b32_e32 v12, 1, v18
	v_mov_b32_e32 v13, 0
	v_lshl_add_u64 v[10:11], v[10:11], 0, v[12:13]
	global_load_dwordx4 v[10:13], v[10:11], off offset:128
.LBB424_39:
	s_or_b64 exec, exec, s[2:3]
	v_mov_b32_e32 v16, 0
	v_mov_b32_e32 v15, 0
	;; [unrolled: 1-line block ×3, first 2 shown]
	s_and_saveexec_b64 s[2:3], s[0:1]
	s_cbranch_execz .LBB424_41
; %bb.40:
	v_mad_i64_i32 v[14:15], s[0:1], s15, v21, 0
	v_lshl_add_u64 v[14:15], v[14:15], 1, s[4:5]
	v_lshlrev_b32_e32 v16, 1, v18
	v_mov_b32_e32 v17, 0
	v_lshl_add_u64 v[14:15], v[14:15], 0, v[16:17]
	global_load_dwordx4 v[14:17], v[14:15], off offset:128
.LBB424_41:
	s_or_b64 exec, exec, s[2:3]
	s_branch .LBB424_45
.LBB424_42:
                                        ; implicit-def: $vgpr5
                                        ; implicit-def: $vgpr9
                                        ; implicit-def: $vgpr13
                                        ; implicit-def: $vgpr17
	v_lshrrev_b32_e32 v30, 2, v41
	s_branch .LBB424_46
.LBB424_43:
                                        ; implicit-def: $vgpr5
                                        ; implicit-def: $vgpr9
                                        ; implicit-def: $vgpr13
                                        ; implicit-def: $vgpr17
	s_cbranch_execz .LBB424_45
; %bb.44:
	s_waitcnt vmcnt(0)
	v_mad_u64_u32 v[2:3], s[0:1], v20, s15, v[18:19]
	v_lshlrev_b32_e32 v20, 1, v2
	s_lshl_b32 s2, s15, 7
	s_and_b32 s1, s5, 0xffff
	s_mov_b32 s3, 0x20000
	s_mov_b32 s0, s4
	v_add_lshl_u32 v21, v2, s15, 1
	s_movk_i32 s13, 0x80
	buffer_load_dwordx4 v[2:5], v20, s[0:3], 0 offen
	buffer_load_dwordx4 v[10:13], v20, s[0:3], s13 offen
	;; [unrolled: 1-line block ×4, first 2 shown]
.LBB424_45:
	v_lshrrev_b32_e32 v30, 2, v41
	s_cbranch_execnz .LBB424_58
.LBB424_46:
	s_and_b64 vcc, exec, s[6:7]
	s_cbranch_vccz .LBB424_56
; %bb.47:
	s_waitcnt vmcnt(0)
	v_lshlrev_b32_e32 v7, 1, v23
	v_cmp_gt_i32_e32 vcc, s44, v7
	v_mov_b32_e32 v6, 0
	v_lshlrev_b32_e32 v14, 9, v23
	v_mov_b32_e32 v2, 0
	v_mov_b32_e32 v3, 0
	;; [unrolled: 1-line block ×4, first 2 shown]
	s_and_saveexec_b64 s[0:1], vcc
	s_cbranch_execz .LBB424_49
; %bb.48:
	v_mov_b32_e32 v15, 0
	v_lshl_add_u64 v[2:3], s[4:5], 0, v[14:15]
	v_lshlrev_b32_e32 v4, 1, v18
	v_mov_b32_e32 v5, v15
	v_lshl_add_u64 v[2:3], v[2:3], 0, v[4:5]
	global_load_dwordx4 v[2:5], v[2:3], off
.LBB424_49:
	s_or_b64 exec, exec, s[0:1]
	v_or_b32_e32 v7, 1, v7
	v_cmp_gt_i32_e64 s[0:1], s44, v7
	v_lshlrev_b32_e32 v20, 8, v7
	v_mov_b32_e32 v7, 0
	v_mov_b32_e32 v8, 0
	;; [unrolled: 1-line block ×3, first 2 shown]
	s_and_saveexec_b64 s[2:3], s[0:1]
	s_cbranch_execz .LBB424_51
; %bb.50:
	v_mov_b32_e32 v21, 0
	v_lshl_add_u64 v[6:7], s[4:5], 0, v[20:21]
	v_lshlrev_b32_e32 v8, 1, v18
	v_mov_b32_e32 v9, v21
	v_lshl_add_u64 v[6:7], v[6:7], 0, v[8:9]
	global_load_dwordx4 v[6:9], v[6:7], off
.LBB424_51:
	s_or_b64 exec, exec, s[2:3]
	v_mov_b32_e32 v17, 0
	v_mov_b32_e32 v10, 0
	;; [unrolled: 1-line block ×5, first 2 shown]
	s_and_saveexec_b64 s[2:3], vcc
	s_cbranch_execz .LBB424_53
; %bb.52:
	v_mov_b32_e32 v15, 0
	v_lshl_add_u64 v[10:11], s[4:5], 0, v[14:15]
	v_lshlrev_b32_e32 v14, 1, v18
	v_lshl_add_u64 v[10:11], v[10:11], 0, v[14:15]
	global_load_dwordx4 v[10:13], v[10:11], off offset:128
.LBB424_53:
	s_or_b64 exec, exec, s[2:3]
	v_mov_b32_e32 v16, 0
	v_mov_b32_e32 v15, 0
	;; [unrolled: 1-line block ×3, first 2 shown]
	s_and_saveexec_b64 s[2:3], s[0:1]
	s_cbranch_execz .LBB424_55
; %bb.54:
	v_mov_b32_e32 v21, 0
	v_lshl_add_u64 v[14:15], s[4:5], 0, v[20:21]
	v_lshlrev_b32_e32 v20, 1, v18
	v_lshl_add_u64 v[14:15], v[14:15], 0, v[20:21]
	global_load_dwordx4 v[14:17], v[14:15], off offset:128
.LBB424_55:
	s_or_b64 exec, exec, s[2:3]
	s_branch .LBB424_58
.LBB424_56:
                                        ; implicit-def: $vgpr5
                                        ; implicit-def: $vgpr9
                                        ; implicit-def: $vgpr13
                                        ; implicit-def: $vgpr17
	s_cbranch_execz .LBB424_58
; %bb.57:
	s_waitcnt vmcnt(0)
	v_lshlrev_b32_e32 v2, 1, v18
	v_lshl_or_b32 v18, v23, 9, v2
	s_and_b32 s5, s5, 0xffff
	s_mov_b32 s7, 0x20000
	s_movk_i32 s6, 0x4000
	s_movk_i32 s0, 0x80
	buffer_load_dwordx4 v[2:5], v18, s[4:7], 0 offen
	buffer_load_dwordx4 v[6:9], v18, s[4:7], 0 offen offset:256
	buffer_load_dwordx4 v[10:13], v18, s[4:7], s0 offen
	buffer_load_dwordx4 v[14:17], v18, s[4:7], s0 offen offset:256
.LBB424_58:
	ds_read_b64 v[20:21], v25 offset:32768
	v_add_u32_e32 v18, 0xb000, v24
	ds_read2_b64 v[32:35], v18 offset1:16
	ds_read_b64 v[42:43], v26 offset:32768
	ds_read_b64 v[26:27], v27 offset:32768
	;; [unrolled: 1-line block ×3, first 2 shown]
	v_and_b32_e32 v18, 6, v0
	v_xor_b32_e32 v23, v23, v18
	v_lshlrev_b32_e32 v23, 2, v23
	v_and_b32_e32 v0, 1, v0
	v_xor_b32_e32 v28, 0x440, v23
	v_cmp_eq_u32_e32 vcc, 0, v0
	s_waitcnt lgkmcnt(3)
	v_mfma_f32_16x16x16_bf16 a[0:3], v[20:21], v[32:33], a[0:3]
	s_mov_b32 s0, 0x1000504
	v_cndmask_b32_e32 v0, v28, v23, vcc
	v_lshl_or_b32 v0, v18, 10, v0
	v_mfma_f32_16x16x16_bf16 a[4:7], v[20:21], v[34:35], a[4:7]
	ds_read2st64_b64 v[32:35], v24 offset0:90 offset1:92
	ds_read2st64_b64 v[36:39], v29 offset0:90 offset1:92
	ds_read_b64 v[20:21], v24 offset:48128
	ds_read_b64 v[24:25], v29 offset:48128
	s_waitcnt vmcnt(0)
	v_perm_b32 v18, v2, v6, s0
	s_waitcnt lgkmcnt(3)
	v_mfma_f32_16x16x16_bf16 a[0:3], v[42:43], v[32:33], a[0:3]
	s_mov_b32 s1, 0x3020706
	v_perm_b32 v2, v2, v6, s1
	v_perm_b32 v6, v10, v14, s1
	s_waitcnt lgkmcnt(2)
	v_mfma_f32_16x16x16_bf16 a[4:7], v[42:43], v[36:37], a[4:7]
	v_mfma_f32_16x16x16_bf16 a[0:3], v[26:27], v[34:35], a[0:3]
	;; [unrolled: 1-line block ×3, first 2 shown]
	s_waitcnt lgkmcnt(1)
	v_mfma_f32_16x16x16_bf16 a[4:7], v[44:45], v[20:21], a[0:3]
	v_perm_b32 v20, v10, v14, s0
	ds_write2st64_b32 v0, v18, v20 offset0:32 offset1:64
	v_xor_b32_e32 v18, 8, v0
	v_add_u32_e32 v10, 0x80, v18
	ds_write2st64_b32 v10, v2, v6 offset0:32 offset1:64
	v_xor_b32_e32 v2, 16, v0
	v_perm_b32 v6, v3, v7, s0
	v_perm_b32 v10, v11, v15, s0
	ds_write2st64_b32 v2, v6, v10 offset0:33 offset1:65
	v_xor_b32_e32 v2, 24, v0
	v_perm_b32 v3, v3, v7, s1
	v_perm_b32 v6, v11, v15, s1
	v_add_u32_e32 v2, 0x80, v2
	ds_write2st64_b32 v2, v3, v6 offset0:33 offset1:65
	v_xor_b32_e32 v2, 32, v0
	v_perm_b32 v3, v4, v8, s0
	v_perm_b32 v6, v12, v16, s0
	s_waitcnt lgkmcnt(4)
	v_mfma_f32_16x16x16_bf16 a[0:3], v[44:45], v[24:25], a[8:11]
	ds_write2st64_b32 v2, v3, v6 offset0:34 offset1:66
	v_xor_b32_e32 v2, 40, v0
	v_perm_b32 v3, v4, v8, s1
	v_perm_b32 v4, v12, v16, s1
	v_add_u32_e32 v2, 0x80, v2
	ds_write2st64_b32 v2, v3, v4 offset0:34 offset1:66
	v_xor_b32_e32 v2, 48, v0
	v_perm_b32 v3, v5, v9, s0
	v_perm_b32 v4, v13, v17, s0
	v_xor_b32_e32 v0, 56, v0
	v_and_or_b32 v18, v30, 12, v1
	ds_write2st64_b32 v2, v3, v4 offset0:35 offset1:67
	v_perm_b32 v2, v5, v9, s1
	v_perm_b32 v3, v13, v17, s1
	v_add_u32_e32 v0, 0x80, v0
	v_cmp_gt_i32_e32 vcc, s44, v18
	v_mov_b32_e32 v14, 0
	v_mov_b32_e32 v16, 0
	ds_write2st64_b32 v0, v2, v3 offset0:35 offset1:67
	s_and_saveexec_b64 s[0:1], vcc
	s_cbranch_execz .LBB424_60
; %bb.59:
	v_add_u32_e32 v0, s34, v18
	v_ashrrev_i32_e32 v1, 31, v0
	v_mul_lo_u32 v2, v1, s28
	v_mul_lo_u32 v3, v0, s29
	v_mad_u64_u32 v[0:1], s[2:3], v0, s28, 0
	v_add3_u32 v1, v1, v3, v2
	v_lshl_add_u64 v[0:1], v[0:1], 2, s[10:11]
	global_load_dword v0, v[0:1], off
	s_waitcnt vmcnt(0)
	v_sub_f32_e32 v0, s12, v0
	v_exp_f32_e32 v16, v0
.LBB424_60:
	s_or_b64 exec, exec, s[0:1]
	v_or_b32_e32 v8, 1, v18
	v_cmp_gt_i32_e64 s[0:1], s44, v8
	s_and_saveexec_b64 s[2:3], s[0:1]
	s_cbranch_execz .LBB424_62
; %bb.61:
	v_add_u32_e32 v0, s34, v8
	v_ashrrev_i32_e32 v1, 31, v0
	v_mul_lo_u32 v2, v1, s28
	v_mul_lo_u32 v3, v0, s29
	v_mad_u64_u32 v[0:1], s[4:5], v0, s28, 0
	v_add3_u32 v1, v1, v3, v2
	v_lshl_add_u64 v[0:1], v[0:1], 2, s[10:11]
	global_load_dword v0, v[0:1], off
	s_waitcnt vmcnt(0)
	v_sub_f32_e32 v0, s12, v0
	v_exp_f32_e32 v14, v0
.LBB424_62:
	s_or_b64 exec, exec, s[2:3]
	v_or_b32_e32 v10, 2, v18
	v_cmp_gt_i32_e64 s[2:3], s44, v10
	v_mov_b32_e32 v15, 0
	v_mov_b32_e32 v17, 0
	s_and_saveexec_b64 s[4:5], s[2:3]
	s_cbranch_execz .LBB424_64
; %bb.63:
	v_add_u32_e32 v0, s34, v10
	v_ashrrev_i32_e32 v1, 31, v0
	v_mul_lo_u32 v2, v1, s28
	v_mul_lo_u32 v3, v0, s29
	v_mad_u64_u32 v[0:1], s[6:7], v0, s28, 0
	v_add3_u32 v1, v1, v3, v2
	v_lshl_add_u64 v[0:1], v[0:1], 2, s[10:11]
	global_load_dword v0, v[0:1], off
	s_waitcnt vmcnt(0)
	v_sub_f32_e32 v0, s12, v0
	v_exp_f32_e32 v17, v0
.LBB424_64:
	s_or_b64 exec, exec, s[4:5]
	v_or_b32_e32 v12, 3, v18
	v_cmp_gt_i32_e64 s[4:5], s44, v12
	s_and_saveexec_b64 s[6:7], s[4:5]
	s_cbranch_execz .LBB424_66
; %bb.65:
	v_add_u32_e32 v0, s34, v12
	v_ashrrev_i32_e32 v1, 31, v0
	v_mul_lo_u32 v2, v1, s28
	v_mul_lo_u32 v3, v0, s29
	v_mad_u64_u32 v[0:1], s[14:15], v0, s28, 0
	v_add3_u32 v1, v1, v3, v2
	v_lshl_add_u64 v[0:1], v[0:1], 2, s[10:11]
	global_load_dword v0, v[0:1], off
	s_waitcnt vmcnt(0)
	v_sub_f32_e32 v0, s12, v0
	v_exp_f32_e32 v15, v0
.LBB424_66:
	s_or_b64 exec, exec, s[6:7]
	v_or_b32_e32 v4, s30, v40
	s_add_u32 s6, s8, s24
	v_accvgpr_read_b32 v0, a4
	s_addc_u32 s7, s9, s25
	v_ashrrev_i32_e32 v5, 31, v4
	v_accvgpr_read_b32 v1, a5
	v_accvgpr_read_b32 v2, a6
	;; [unrolled: 1-line block ×3, first 2 shown]
	v_lshl_add_u64 v[4:5], v[4:5], 1, s[6:7]
	v_mov_b32_e32 v9, 0
	v_lshlrev_b32_e32 v6, 8, v18
	v_mov_b32_e32 v7, 0
	s_and_saveexec_b64 s[6:7], vcc
	s_cbranch_execz .LBB424_68
; %bb.67:
	v_mov_b32_e32 v7, 0
	v_lshl_add_u64 v[20:21], v[4:5], 0, v[6:7]
	global_load_ushort v7, v[20:21], off
	s_waitcnt vmcnt(0)
	v_lshlrev_b32_e32 v7, 16, v7
	v_sub_f32_e32 v0, v7, v0
	v_mul_f32_e32 v0, v16, v0
	v_lshrrev_b32_e32 v7, 16, v0
.LBB424_68:
	s_or_b64 exec, exec, s[6:7]
	v_lshlrev_b32_e32 v8, 8, v8
	s_and_saveexec_b64 s[6:7], s[0:1]
	s_cbranch_execz .LBB424_70
; %bb.69:
	v_mov_b32_e32 v9, 0
	v_lshl_add_u64 v[20:21], v[4:5], 0, v[8:9]
	global_load_ushort v0, v[20:21], off
	s_waitcnt vmcnt(0)
	v_lshlrev_b32_e32 v0, 16, v0
	v_sub_f32_e32 v0, v0, v1
	v_mul_f32_e32 v0, v14, v0
	v_lshrrev_b32_e32 v9, 16, v0
.LBB424_70:
	s_or_b64 exec, exec, s[6:7]
	v_mov_b32_e32 v13, 0
	v_lshlrev_b32_e32 v10, 8, v10
	v_mov_b32_e32 v11, 0
	s_and_saveexec_b64 s[6:7], s[2:3]
	s_cbranch_execz .LBB424_72
; %bb.71:
	v_mov_b32_e32 v11, 0
	v_lshl_add_u64 v[0:1], v[4:5], 0, v[10:11]
	global_load_ushort v0, v[0:1], off
	s_waitcnt vmcnt(0)
	v_lshlrev_b32_e32 v0, 16, v0
	v_sub_f32_e32 v0, v0, v2
	v_mul_f32_e32 v0, v17, v0
	v_lshrrev_b32_e32 v11, 16, v0
.LBB424_72:
	s_or_b64 exec, exec, s[6:7]
	v_lshlrev_b32_e32 v12, 8, v12
	s_and_saveexec_b64 s[6:7], s[4:5]
	s_cbranch_execz .LBB424_74
; %bb.73:
	v_mov_b32_e32 v13, 0
	v_lshl_add_u64 v[0:1], v[4:5], 0, v[12:13]
	global_load_ushort v0, v[0:1], off
	s_waitcnt vmcnt(0)
	v_lshlrev_b32_e32 v0, 16, v0
	v_sub_f32_e32 v0, v0, v3
	v_mul_f32_e32 v0, v15, v0
	v_lshrrev_b32_e32 v13, 16, v0
.LBB424_74:
	s_or_b64 exec, exec, s[6:7]
	v_lshlrev_b32_e32 v18, 5, v18
	s_mov_b32 s6, 0x5040100
	v_perm_b32 v20, v9, v7, s6
	v_or_b32_e32 v7, v18, v22
	v_accvgpr_read_b32 v0, a0
	v_perm_b32 v21, v13, v11, s6
	v_lshlrev_b32_e32 v7, 1, v7
	v_accvgpr_read_b32 v1, a1
	v_accvgpr_read_b32 v2, a2
	;; [unrolled: 1-line block ×3, first 2 shown]
	ds_write_b64 v7, v[20:21] offset:45056
	v_mov_b32_e32 v9, 0
	v_mov_b32_e32 v7, 0
	s_and_saveexec_b64 s[6:7], vcc
	s_cbranch_execz .LBB424_76
; %bb.75:
	v_mov_b32_e32 v7, 0
	v_lshl_add_u64 v[6:7], v[4:5], 0, v[6:7]
	global_load_ushort v6, v[6:7], off offset:32
	s_waitcnt vmcnt(0)
	v_lshlrev_b32_e32 v6, 16, v6
	v_sub_f32_e32 v0, v6, v0
	v_mul_f32_e32 v0, v16, v0
	v_lshrrev_b32_e32 v7, 16, v0
.LBB424_76:
	s_or_b64 exec, exec, s[6:7]
	s_and_saveexec_b64 s[6:7], s[0:1]
	s_cbranch_execz .LBB424_78
; %bb.77:
	v_mov_b32_e32 v9, 0
	v_lshl_add_u64 v[8:9], v[4:5], 0, v[8:9]
	global_load_ushort v0, v[8:9], off offset:32
	s_waitcnt vmcnt(0)
	v_lshlrev_b32_e32 v0, 16, v0
	v_sub_f32_e32 v0, v0, v1
	v_mul_f32_e32 v0, v14, v0
	v_lshrrev_b32_e32 v9, 16, v0
.LBB424_78:
	s_or_b64 exec, exec, s[6:7]
	v_mov_b32_e32 v0, 0
	v_mov_b32_e32 v1, 0
	s_and_saveexec_b64 s[0:1], s[2:3]
	s_cbranch_execz .LBB424_80
; %bb.79:
	v_mov_b32_e32 v11, 0
	v_lshl_add_u64 v[10:11], v[4:5], 0, v[10:11]
	global_load_ushort v1, v[10:11], off offset:32
	s_waitcnt vmcnt(0)
	v_lshlrev_b32_e32 v1, 16, v1
	v_sub_f32_e32 v1, v1, v2
	v_mul_f32_e32 v1, v17, v1
	v_lshrrev_b32_e32 v1, 16, v1
.LBB424_80:
	s_or_b64 exec, exec, s[0:1]
	s_and_saveexec_b64 s[0:1], s[4:5]
	s_cbranch_execz .LBB424_82
; %bb.81:
	v_mov_b32_e32 v13, 0
	v_lshl_add_u64 v[4:5], v[4:5], 0, v[12:13]
	global_load_ushort v0, v[4:5], off offset:32
	s_waitcnt vmcnt(0)
	v_lshlrev_b32_e32 v0, 16, v0
	v_sub_f32_e32 v0, v0, v3
	v_mul_f32_e32 v0, v15, v0
	v_lshrrev_b32_e32 v0, 16, v0
.LBB424_82:
	s_or_b64 exec, exec, s[0:1]
	s_mov_b32 s0, 0x5040100
	v_or_b32_e32 v2, v18, v19
	v_perm_b32 v1, v0, v1, s0
	v_perm_b32 v0, v9, v7, s0
	v_lshlrev_b32_e32 v2, 1, v2
	ds_write_b64 v2, v[0:1] offset:45056
	s_waitcnt lgkmcnt(0)
	s_barrier
.LBB424_83:
	s_endpgm
	.section	.rodata,"a",@progbits
	.p2align	6, 0x0
	.amdhsa_kernel _ZN12_GLOBAL__N_139chunk_gated_delta_rule_fwd_h_hip_kernelILi32ELb0ELb0ELb0ELb1ELb1ELb0ELb1ELb0EEEvPK12hip_bfloat16S3_S3_PKfS5_PKvPS1_S8_PvPKiSB_iiiiilll
		.amdhsa_group_segment_fixed_size 49152
		.amdhsa_private_segment_fixed_size 0
		.amdhsa_kernarg_size 136
		.amdhsa_user_sgpr_count 2
		.amdhsa_user_sgpr_dispatch_ptr 0
		.amdhsa_user_sgpr_queue_ptr 0
		.amdhsa_user_sgpr_kernarg_segment_ptr 1
		.amdhsa_user_sgpr_dispatch_id 0
		.amdhsa_user_sgpr_kernarg_preload_length 0
		.amdhsa_user_sgpr_kernarg_preload_offset 0
		.amdhsa_user_sgpr_private_segment_size 0
		.amdhsa_uses_dynamic_stack 0
		.amdhsa_enable_private_segment 0
		.amdhsa_system_sgpr_workgroup_id_x 1
		.amdhsa_system_sgpr_workgroup_id_y 1
		.amdhsa_system_sgpr_workgroup_id_z 0
		.amdhsa_system_sgpr_workgroup_info 0
		.amdhsa_system_vgpr_workitem_id 0
		.amdhsa_next_free_vgpr 152
		.amdhsa_next_free_sgpr 59
		.amdhsa_accum_offset 132
		.amdhsa_reserve_vcc 1
		.amdhsa_float_round_mode_32 0
		.amdhsa_float_round_mode_16_64 0
		.amdhsa_float_denorm_mode_32 3
		.amdhsa_float_denorm_mode_16_64 3
		.amdhsa_dx10_clamp 1
		.amdhsa_ieee_mode 1
		.amdhsa_fp16_overflow 0
		.amdhsa_tg_split 0
		.amdhsa_exception_fp_ieee_invalid_op 0
		.amdhsa_exception_fp_denorm_src 0
		.amdhsa_exception_fp_ieee_div_zero 0
		.amdhsa_exception_fp_ieee_overflow 0
		.amdhsa_exception_fp_ieee_underflow 0
		.amdhsa_exception_fp_ieee_inexact 0
		.amdhsa_exception_int_div_zero 0
	.end_amdhsa_kernel
	.section	.text._ZN12_GLOBAL__N_139chunk_gated_delta_rule_fwd_h_hip_kernelILi32ELb0ELb0ELb0ELb1ELb1ELb0ELb1ELb0EEEvPK12hip_bfloat16S3_S3_PKfS5_PKvPS1_S8_PvPKiSB_iiiiilll,"axG",@progbits,_ZN12_GLOBAL__N_139chunk_gated_delta_rule_fwd_h_hip_kernelILi32ELb0ELb0ELb0ELb1ELb1ELb0ELb1ELb0EEEvPK12hip_bfloat16S3_S3_PKfS5_PKvPS1_S8_PvPKiSB_iiiiilll,comdat
.Lfunc_end424:
	.size	_ZN12_GLOBAL__N_139chunk_gated_delta_rule_fwd_h_hip_kernelILi32ELb0ELb0ELb0ELb1ELb1ELb0ELb1ELb0EEEvPK12hip_bfloat16S3_S3_PKfS5_PKvPS1_S8_PvPKiSB_iiiiilll, .Lfunc_end424-_ZN12_GLOBAL__N_139chunk_gated_delta_rule_fwd_h_hip_kernelILi32ELb0ELb0ELb0ELb1ELb1ELb0ELb1ELb0EEEvPK12hip_bfloat16S3_S3_PKfS5_PKvPS1_S8_PvPKiSB_iiiiilll
                                        ; -- End function
	.section	.AMDGPU.csdata,"",@progbits
; Kernel info:
; codeLenInByte = 8296
; NumSgprs: 65
; NumVgprs: 130
; NumAgprs: 20
; TotalNumVgprs: 152
; ScratchSize: 0
; MemoryBound: 0
; FloatMode: 240
; IeeeMode: 1
; LDSByteSize: 49152 bytes/workgroup (compile time only)
; SGPRBlocks: 8
; VGPRBlocks: 18
; NumSGPRsForWavesPerEU: 65
; NumVGPRsForWavesPerEU: 152
; AccumOffset: 132
; Occupancy: 1
; WaveLimiterHint : 1
; COMPUTE_PGM_RSRC2:SCRATCH_EN: 0
; COMPUTE_PGM_RSRC2:USER_SGPR: 2
; COMPUTE_PGM_RSRC2:TRAP_HANDLER: 0
; COMPUTE_PGM_RSRC2:TGID_X_EN: 1
; COMPUTE_PGM_RSRC2:TGID_Y_EN: 1
; COMPUTE_PGM_RSRC2:TGID_Z_EN: 0
; COMPUTE_PGM_RSRC2:TIDIG_COMP_CNT: 0
; COMPUTE_PGM_RSRC3_GFX90A:ACCUM_OFFSET: 32
; COMPUTE_PGM_RSRC3_GFX90A:TG_SPLIT: 0
	.section	.text._ZN12_GLOBAL__N_139chunk_gated_delta_rule_fwd_h_hip_kernelILi32ELb1ELb1ELb1ELb0ELb1ELb0ELb1ELb0EEEvPK12hip_bfloat16S3_S3_PKfS5_PKvPS1_S8_PvPKiSB_iiiiilll,"axG",@progbits,_ZN12_GLOBAL__N_139chunk_gated_delta_rule_fwd_h_hip_kernelILi32ELb1ELb1ELb1ELb0ELb1ELb0ELb1ELb0EEEvPK12hip_bfloat16S3_S3_PKfS5_PKvPS1_S8_PvPKiSB_iiiiilll,comdat
	.globl	_ZN12_GLOBAL__N_139chunk_gated_delta_rule_fwd_h_hip_kernelILi32ELb1ELb1ELb1ELb0ELb1ELb0ELb1ELb0EEEvPK12hip_bfloat16S3_S3_PKfS5_PKvPS1_S8_PvPKiSB_iiiiilll ; -- Begin function _ZN12_GLOBAL__N_139chunk_gated_delta_rule_fwd_h_hip_kernelILi32ELb1ELb1ELb1ELb0ELb1ELb0ELb1ELb0EEEvPK12hip_bfloat16S3_S3_PKfS5_PKvPS1_S8_PvPKiSB_iiiiilll
	.p2align	8
	.type	_ZN12_GLOBAL__N_139chunk_gated_delta_rule_fwd_h_hip_kernelILi32ELb1ELb1ELb1ELb0ELb1ELb0ELb1ELb0EEEvPK12hip_bfloat16S3_S3_PKfS5_PKvPS1_S8_PvPKiSB_iiiiilll,@function
_ZN12_GLOBAL__N_139chunk_gated_delta_rule_fwd_h_hip_kernelILi32ELb1ELb1ELb1ELb0ELb1ELb0ELb1ELb0EEEvPK12hip_bfloat16S3_S3_PKfS5_PKvPS1_S8_PvPKiSB_iiiiilll: ; @_ZN12_GLOBAL__N_139chunk_gated_delta_rule_fwd_h_hip_kernelILi32ELb1ELb1ELb1ELb0ELb1ELb0ELb1ELb0EEEvPK12hip_bfloat16S3_S3_PKfS5_PKvPS1_S8_PvPKiSB_iiiiilll
; %bb.0:
	s_load_dwordx4 s[20:23], s[0:1], 0x5c
	s_load_dwordx4 s[24:27], s[0:1], 0x70
	s_abs_i32 s6, s3
	s_ashr_i32 s5, s3, 31
	v_and_b32_e32 v68, 15, v0
	s_waitcnt lgkmcnt(0)
	s_abs_i32 s4, s21
	v_cvt_f32_u32_e32 v1, s4
	s_sub_i32 s8, 0, s4
	s_ashr_i32 s7, s21, 31
	s_xor_b32 s5, s5, s7
	v_rcp_iflag_f32_e32 v1, v1
	v_bfe_u32 v67, v0, 4, 2
	v_mov_b32_e32 v51, 0
	v_lshlrev_b32_e32 v69, 3, v0
	v_mul_f32_e32 v1, 0x4f7ffffe, v1
	v_cvt_u32_f32_e32 v1, v1
	s_nop 0
	v_readfirstlane_b32 s9, v1
	s_mul_i32 s8, s8, s9
	s_mul_hi_u32 s8, s9, s8
	s_add_i32 s9, s9, s8
	s_mul_hi_u32 s8, s6, s9
	s_mul_i32 s9, s8, s4
	s_sub_i32 s6, s6, s9
	s_add_i32 s10, s8, 1
	s_sub_i32 s9, s6, s4
	s_cmp_ge_u32 s6, s4
	s_cselect_b32 s8, s10, s8
	s_cselect_b32 s6, s9, s6
	s_add_i32 s9, s8, 1
	s_cmp_ge_u32 s6, s4
	s_cselect_b32 s6, s9, s8
	s_xor_b32 s6, s6, s5
	s_add_i32 s8, s20, 63
	s_sub_i32 s54, s6, s5
	s_ashr_i32 s9, s8, 31
	s_mul_i32 s12, s54, s21
	s_sub_i32 s52, s3, s12
	s_lshr_b32 s3, s9, 26
	s_add_i32 s8, s8, s3
	s_abs_i32 s3, s22
	v_cvt_f32_u32_e32 v1, s3
	s_ashr_i32 s53, s20, 31
	s_lshr_b32 s5, s53, 26
	s_add_i32 s5, s20, s5
	v_rcp_iflag_f32_e32 v1, v1
	s_ashr_i32 s57, s22, 31
	s_ashr_i32 s55, s5, 6
	s_xor_b32 s5, s7, s57
	v_mul_f32_e32 v1, 0x4f7ffffe, v1
	v_cvt_u32_f32_e32 v1, v1
	s_sub_i32 s6, 0, s3
	s_ashr_i32 s28, s8, 6
	s_lshl_b32 s2, s2, 5
	v_readfirstlane_b32 s7, v1
	s_mul_i32 s6, s6, s7
	s_mul_hi_u32 s6, s7, s6
	s_add_i32 s7, s7, s6
	s_mul_hi_u32 s6, s4, s7
	s_mul_i32 s7, s6, s3
	s_sub_i32 s4, s4, s7
	s_add_i32 s7, s6, 1
	s_sub_i32 s8, s4, s3
	s_cmp_ge_u32 s4, s3
	s_cselect_b32 s6, s7, s6
	s_cselect_b32 s4, s8, s4
	s_add_i32 s7, s6, 1
	s_cmp_ge_u32 s4, s3
	s_cselect_b32 s3, s7, s6
	s_xor_b32 s3, s3, s5
	s_sub_i32 s3, s3, s5
	s_abs_i32 s13, s3
	v_cvt_f32_u32_e32 v1, s13
	s_sub_i32 s15, 0, s13
	s_abs_i32 s14, s52
	s_xor_b32 s3, s52, s3
	v_rcp_iflag_f32_e32 v2, v1
	s_ashr_i32 s3, s3, 31
	s_load_dwordx8 s[4:11], s[0:1], 0x28
	v_lshrrev_b32_e32 v1, 6, v0
	v_mul_f32_e32 v2, 0x4f7ffffe, v2
	v_cvt_u32_f32_e32 v2, v2
	v_or_b32_e32 v56, s2, v68
	v_lshlrev_b32_e32 v66, 4, v1
	v_lshlrev_b32_e32 v52, 7, v56
	v_readfirstlane_b32 s16, v2
	s_mul_i32 s15, s15, s16
	s_mul_hi_u32 s15, s16, s15
	s_add_i32 s16, s16, s15
	s_mul_hi_u32 s15, s14, s16
	s_mul_i32 s16, s15, s13
	s_sub_i32 s14, s14, s16
	s_add_i32 s16, s15, 1
	s_sub_i32 s17, s14, s13
	s_cmp_ge_u32 s14, s13
	s_cselect_b32 s15, s16, s15
	s_cselect_b32 s14, s17, s14
	s_add_i32 s16, s15, 1
	s_cmp_ge_u32 s14, s13
	s_cselect_b32 s13, s16, s15
	s_xor_b32 s13, s13, s3
	s_sub_i32 s58, s13, s3
	s_ashr_i32 s3, s54, 31
	s_ashr_i32 s56, s52, 31
	s_mul_hi_i32 s13, s54, s21
	s_add_u32 s42, s12, s52
	s_addc_u32 s43, s13, s56
	s_lshl_b64 s[34:35], s[42:43], 16
	s_waitcnt lgkmcnt(0)
	s_add_u32 s4, s4, s34
	v_lshl_or_b32 v71, v67, 2, v66
	s_addc_u32 s5, s5, s35
	v_ashrrev_i32_e32 v53, 31, v52
	v_lshl_add_u64 v[2:3], v[52:53], 2, s[4:5]
	v_lshlrev_b32_e32 v50, 2, v71
	v_or_b32_e32 v54, 0x800, v52
	v_lshl_add_u64 v[10:11], v[2:3], 0, v[50:51]
	v_ashrrev_i32_e32 v55, 31, v54
	global_load_dwordx4 v[2:5], v[10:11], off
	global_load_dwordx4 v[6:9], v[10:11], off offset:256
	v_lshl_add_u64 v[10:11], v[54:55], 2, s[4:5]
	v_lshl_add_u64 v[18:19], v[10:11], 0, v[50:51]
	global_load_dwordx4 v[10:13], v[18:19], off
	global_load_dwordx4 v[14:17], v[18:19], off offset:256
	s_load_dwordx8 s[12:19], s[0:1], 0x0
	s_load_dwordx2 s[36:37], s[0:1], 0x80
	v_and_b32_e32 v51, 63, v0
	s_mul_i32 s59, s54, s28
	v_or_b32_e32 v72, 64, v71
	s_cmp_lt_i32 s20, 64
	v_lshrrev_b32_e32 v70, 3, v51
	s_mul_i32 s60, s43, s20
	s_mul_hi_u32 s61, s42, s20
	s_mul_i32 s4, s42, s20
	s_mul_i32 s33, s54, s25
	s_mul_hi_u32 s48, s54, s24
	s_mul_i32 s49, s3, s24
	s_mul_i32 s38, s54, s24
	;; [unrolled: 1-line block ×3, first 2 shown]
	s_mul_hi_u32 s50, s52, s26
	s_mul_i32 s51, s56, s26
	s_mul_i32 s40, s52, s26
	s_cbranch_scc1 .LBB425_19
; %bb.1:
	s_add_i32 s5, s61, s60
	s_lshl_b64 s[0:1], s[4:5], 8
	v_and_b32_e32 v74, 56, v69
	s_waitcnt lgkmcnt(0)
	s_add_u32 s24, s14, s0
	v_lshl_or_b32 v73, v1, 3, v70
	v_lshlrev_b32_e32 v18, 1, v74
	s_addc_u32 s0, s15, s1
	v_lshl_or_b32 v75, v73, 8, v18
	s_and_b32 s25, s0, 0xffff
	s_mov_b32 s27, 0x20000
	s_movk_i32 s26, 0x4000
	s_movk_i32 s0, 0x80
	v_or_b32_e32 v76, 0x2000, v75
	buffer_load_dwordx4 v[20:23], v75, s[24:27], 0 offen
	buffer_load_dwordx4 v[24:27], v75, s[24:27], s0 offen
	;; [unrolled: 1-line block ×4, first 2 shown]
	v_lshlrev_b32_e32 v19, 3, v73
	v_and_or_b32 v37, v0, 7, v19
	v_and_b32_e32 v19, 0x78, v19
	v_lshlrev_b32_e32 v37, 4, v37
	v_xor_b32_e32 v77, v37, v19
	v_mul_lo_u32 v36, v73, s23
	v_or_b32_e32 v78, 0x1000, v77
	v_xor_b32_e32 v19, 8, v77
	s_cmpk_eq_i32 s23, 0x80
	s_mov_b32 s62, s22
	v_xor_b32_e32 v37, 8, v78
	s_cselect_b64 s[0:1], -1, 0
	s_cmpk_lg_i32 s23, 0x80
	s_waitcnt vmcnt(3)
	ds_write_b64 v77, v[20:21] offset:24576
	ds_write_b64 v19, v[22:23] offset:24576
	s_waitcnt vmcnt(2)
	ds_write_b64 v77, v[24:25] offset:32768
	ds_write_b64 v19, v[26:27] offset:32768
	;; [unrolled: 3-line block ×4, first 2 shown]
	v_lshl_add_u32 v19, v36, 1, v74
	s_cbranch_scc0 .LBB425_3
; %bb.2:
	v_lshlrev_b32_e32 v21, 1, v19
	v_add_lshl_u32 v20, v19, s23, 1
	s_lshl_b32 s26, s23, 7
	v_lshl_or_b32 v18, v73, 9, v18
	s_cbranch_execz .LBB425_4
	s_branch .LBB425_5
.LBB425_3:
                                        ; implicit-def: $vgpr20
                                        ; implicit-def: $vgpr21
                                        ; implicit-def: $sgpr26
	v_lshl_or_b32 v18, v73, 9, v18
.LBB425_4:
	v_or_b32_e32 v20, 0x100, v18
	s_movk_i32 s26, 0x4000
	v_mov_b32_e32 v21, v18
.LBB425_5:
	s_mul_hi_u32 s24, s22, s20
	s_mul_i32 s25, s57, s20
	s_add_i32 s24, s24, s25
	s_mul_i32 s25, s22, s20
	s_mul_i32 s27, s25, s3
	s_mul_hi_u32 s28, s25, s54
	s_add_i32 s27, s28, s27
	s_mul_i32 s24, s24, s54
	s_add_i32 s27, s27, s24
	s_mul_i32 s25, s25, s54
	s_ashr_i32 s63, s58, 31
	s_add_u32 s24, s25, s58
	s_addc_u32 s25, s27, s63
	s_lshl_b64 s[24:25], s[24:25], 8
	s_add_u32 s24, s12, s24
	s_addc_u32 s25, s13, s25
	s_and_b32 s25, s25, 0xffff
	s_mov_b32 s27, 0x20000
	s_movk_i32 s64, 0x80
	buffer_load_dwordx4 v[22:25], v21, s[24:27], 0 offen
	buffer_load_dwordx4 v[26:29], v21, s[24:27], s64 offen
	;; [unrolled: 1-line block ×4, first 2 shown]
	v_and_b32_e32 v20, 6, v0
	v_lshlrev_b32_e32 v39, 6, v71
	v_or_b32_e32 v41, 16, v68
	v_xor_b32_e32 v42, v73, v20
	v_and_b32_e32 v21, 1, v0
	v_lshl_or_b32 v45, v68, 3, v39
	v_lshl_or_b32 v39, v41, 3, v39
	v_lshlrev_b32_e32 v42, 2, v42
	s_mul_i32 s3, s3, s20
	s_mul_hi_u32 s24, s54, s20
	v_lshlrev_b32_e32 v38, 2, v68
	v_or_b32_e32 v81, 0xa000, v39
	v_or_b32_e32 v82, 0xb000, v39
	v_xor_b32_e32 v39, 0x440, v42
	v_cmp_eq_u32_e32 vcc, 0, v21
	v_xor_b32_e32 v43, v71, v38
	v_xor_b32_e32 v44, v72, v38
	v_cndmask_b32_e32 v21, v39, v42, vcc
	s_add_i32 s69, s24, s3
	s_add_i32 s3, s48, s33
	s_mov_b32 s66, 0x1000504
	v_lshlrev_b32_e32 v40, 8, v68
	v_lshlrev_b32_e32 v43, 1, v43
	;; [unrolled: 1-line block ×3, first 2 shown]
	v_lshl_or_b32 v20, v20, 10, v21
	s_add_i32 s39, s3, s49
	s_add_i32 s3, s50, s43
	s_mov_b32 s67, 0x3020706
	v_or_b32_e32 v79, 0xa000, v45
	v_or_b32_e32 v80, 0xb000, v45
	;; [unrolled: 1-line block ×4, first 2 shown]
	v_xor_b32_e32 v21, 8, v20
	v_xor_b32_e32 v40, 24, v20
	;; [unrolled: 1-line block ×4, first 2 shown]
	s_add_i32 s41, s3, s51
	s_lshl_b64 s[24:25], s[38:39], 2
	v_xor_b32_e32 v39, 16, v20
	v_xor_b32_e32 v42, 32, v20
	;; [unrolled: 1-line block ×3, first 2 shown]
	v_add_u32_e32 v21, 0x80, v21
	v_add_u32_e32 v40, 0x80, v40
	;; [unrolled: 1-line block ×4, first 2 shown]
	s_add_u32 s3, s18, s24
	s_addc_u32 s26, s19, s25
	s_lshl_b64 s[24:25], s[40:41], 2
	s_add_u32 s44, s3, s24
	s_movk_i32 s3, 0xf8
	s_addc_u32 s45, s26, s25
	s_lshl_b32 s30, s23, 7
	s_movk_i32 s28, 0x100
	v_mov_b32_e32 v59, 0
	v_lshlrev_b32_e32 v58, 4, v68
	v_cmp_gt_u32_e32 vcc, s28, v0
	v_ashrrev_i32_e32 v57, 31, v56
	s_mov_b32 s65, 0
	s_mul_i32 s68, s54, s20
	s_movk_i32 s39, 0x1000
	s_movk_i32 s26, 0x4000
	s_mov_b32 s70, 0
	s_waitcnt vmcnt(1)
	v_perm_b32 v48, v22, v30, s66
	s_waitcnt vmcnt(0)
	v_perm_b32 v49, v26, v34, s66
	v_perm_b32 v22, v22, v30, s67
	;; [unrolled: 1-line block ×15, first 2 shown]
	ds_write2st64_b32 v20, v48, v49 offset0:32 offset1:64
	ds_write2st64_b32 v21, v22, v26 offset0:32 offset1:64
	;; [unrolled: 1-line block ×8, first 2 shown]
	v_lshlrev_b32_e32 v20, 8, v41
	v_or_b32_e32 v85, v20, v43
	v_or_b32_e32 v86, v20, v44
	;; [unrolled: 1-line block ×3, first 2 shown]
	v_lshlrev_b32_e32 v20, 3, v20
	v_lshrrev_b32_e32 v23, 5, v51
	v_and_or_b32 v23, v20, s3, v23
	v_lshlrev_b32_e32 v23, 4, v23
	v_lshlrev_b32_e32 v21, 11, v1
	v_and_b32_e32 v20, 0x78, v20
	v_or_b32_e32 v28, 32, v23
	v_and_b32_e32 v22, 0x1000, v21
	v_lshrrev_b32_e32 v25, 1, v0
	v_xor_b32_e32 v28, v28, v20
	v_and_b32_e32 v26, 8, v25
	v_or_b32_e32 v28, v28, v22
	v_xor_b32_e32 v24, v23, v20
	v_xor_b32_e32 v89, v28, v26
	v_or_b32_e32 v28, 64, v23
	v_or_b32_e32 v23, 0x60, v23
	s_ashr_i32 s3, s2, 31
	v_xor_b32_e32 v28, v28, v20
	v_xor_b32_e32 v20, v23, v20
	s_lshl_b64 s[24:25], s[2:3], 8
	v_or_b32_e32 v24, v24, v22
	v_or_b32_e32 v28, v28, v22
	;; [unrolled: 1-line block ×3, first 2 shown]
	s_add_u32 s24, s6, s24
	v_lshlrev_b32_e32 v22, 1, v68
	v_xor_b32_e32 v91, v28, v26
	v_lshrrev_b32_e32 v28, 4, v0
	s_addc_u32 s25, s7, s25
	v_or_b32_e32 v23, 1, v22
	v_mov_b32_e32 v32, 0x4000
	v_mov_b32_e32 v33, 0x2000
	v_xor_b32_e32 v29, v28, v22
	v_xor_b32_e32 v30, v23, v28
	v_lshl_add_u64 v[22:23], s[24:25], 0, v[58:59]
	v_lshlrev_b32_e32 v58, 8, v28
	v_cndmask_b32_e32 v32, v32, v33, vcc
	v_lshlrev_b32_e32 v33, 3, v1
	v_and_b32_e32 v25, 24, v25
	v_lshl_or_b32 v95, v29, 3, v58
	v_and_b32_e32 v29, 8, v0
	v_xor_b32_e32 v34, v33, v25
	v_or_b32_e32 v35, 0x440, v34
	v_cmp_eq_u32_e32 vcc, 0, v29
	v_and_b32_e32 v28, 7, v0
	v_xor_b32_e32 v87, v24, v26
	v_cndmask_b32_e32 v29, v35, v34, vcc
	v_lshlrev_b32_e32 v24, 7, v67
	v_lshl_or_b32 v96, v30, 3, v58
	v_lshlrev_b32_e32 v30, 3, v28
	v_lshlrev_b32_e32 v28, 7, v28
	;; [unrolled: 1-line block ×3, first 2 shown]
	v_or_b32_e32 v29, v29, v21
	v_or_b32_e32 v27, v24, v38
	v_xad_u32 v97, v29, v30, v28
	v_and_or_b32 v24, v31, 60, v24
	v_mov_b32_e32 v29, 0xb000
	v_lshl_or_b32 v98, v24, 1, v29
	v_or_b32_e32 v24, 32, v25
	v_xor_b32_e32 v24, v33, v24
	v_or_b32_e32 v29, 0x440, v24
	v_cndmask_b32_e32 v24, v29, v24, vcc
	v_or_b32_e32 v24, v24, v21
	v_xad_u32 v99, v24, v30, v28
	v_or_b32_e32 v24, 64, v25
	v_xor_b32_e32 v24, v33, v24
	v_xor_b32_e32 v29, 0x440, v24
	v_cndmask_b32_e32 v24, v29, v24, vcc
	v_or_b32_e32 v24, v24, v21
	v_xad_u32 v100, v24, v30, v28
	v_or_b32_e32 v24, 0x60, v25
	v_xor_b32_e32 v24, v33, v24
	v_xor_b32_e32 v25, 0x440, v24
	v_lshlrev_b32_e32 v27, 1, v27
	v_cndmask_b32_e32 v24, v25, v24, vcc
	v_or_b32_e32 v88, 0xa000, v27
	v_or_b32_e32 v90, 0xa080, v27
	v_xor_b32_e32 v92, v20, v26
	v_or_b32_e32 v93, 0xb000, v27
	v_or_b32_e32 v94, 0xb080, v27
	v_lshlrev_b32_e32 v26, 1, v19
	v_add_lshl_u32 v19, v19, s23, 1
	v_or_b32_e32 v27, 0x100, v18
	v_or_b32_e32 v21, v24, v21
	v_lshlrev_b32_e32 v20, 7, v71
	v_xad_u32 v101, v21, v30, v28
	v_cndmask_b32_e64 v102, v26, v18, s[0:1]
	v_cndmask_b32_e64 v103, v19, v27, s[0:1]
	v_lshlrev_b64 v[18:19], 1, v[56:57]
	v_lshl_add_u64 v[60:61], s[16:17], 0, v[18:19]
	v_lshl_add_u64 v[62:63], s[8:9], 0, v[18:19]
	;; [unrolled: 1-line block ×3, first 2 shown]
	s_mov_b32 s3, 0x7060302
	v_lshlrev_b32_e32 v58, 1, v20
	v_add_u32_e32 v57, v32, v97
	v_add_u32_e32 v104, v32, v99
	v_add_u32_e32 v105, v32, v100
	v_add_u32_e32 v106, v32, v101
	s_waitcnt lgkmcnt(0)
	s_barrier
.LBB425_6:                              ; =>This Inner Loop Header: Depth=1
	s_add_i32 s41, s70, 1
	s_cmp_lt_i32 s41, s55
	s_mov_b64 s[28:29], 0
	s_cselect_b64 s[46:47], -1, 0
	s_cmp_ge_i32 s41, s55
	s_mov_b64 s[24:25], 0
	s_cbranch_scc1 .LBB425_8
; %bb.7:                                ;   in Loop: Header=BB425_6 Depth=1
	s_add_i32 s0, s65, 64
	s_add_u32 s0, s4, s0
	s_addc_u32 s1, s5, 0
	s_lshl_b64 s[0:1], s[0:1], 8
	s_add_u32 s24, s14, s0
	s_addc_u32 s25, s15, s1
.LBB425_8:                              ;   in Loop: Header=BB425_6 Depth=1
	v_cndmask_b32_e64 v18, 0, 1, s[46:47]
	v_cmp_ne_u32_e64 s[0:1], 1, v18
	s_andn2_b64 vcc, exec, s[46:47]
	s_cbranch_vccnz .LBB425_10
; %bb.9:                                ;   in Loop: Header=BB425_6 Depth=1
	s_add_i32 s28, s65, 64
	s_add_u32 s28, s68, s28
	s_addc_u32 s29, s69, 0
	s_mul_i32 s31, s28, s57
	s_mul_hi_u32 s46, s28, s62
	s_add_i32 s31, s46, s31
	s_mul_i32 s29, s29, s62
	s_add_i32 s31, s31, s29
	s_mul_i32 s28, s28, s62
	s_add_u32 s28, s28, s58
	s_addc_u32 s29, s31, s63
	s_lshl_b64 s[28:29], s[28:29], 8
	s_add_u32 s28, s12, s28
	s_addc_u32 s29, s13, s29
.LBB425_10:                             ;   in Loop: Header=BB425_6 Depth=1
	v_perm_b32 v19, v5, v4, s3
	v_perm_b32 v18, v3, v2, s3
	;; [unrolled: 1-line block ×4, first 2 shown]
	ds_write_b64 v79, v[18:19]
	ds_write_b64 v80, v[20:21]
	;; [unrolled: 1-line block ×4, first 2 shown]
	v_perm_b32 v19, v13, v12, s3
	v_perm_b32 v18, v11, v10, s3
	;; [unrolled: 1-line block ×4, first 2 shown]
	ds_write_b64 v81, v[18:19]
	ds_write_b64 v82, v[20:21]
	;; [unrolled: 1-line block ×4, first 2 shown]
	s_waitcnt lgkmcnt(0)
	s_barrier
	ds_read_b64 v[22:23], v87 offset:24576
	ds_read2_b64 v[18:21], v88 offset1:16
	ds_read_b64 v[26:27], v90 offset:3072
	ds_read_b64 v[28:29], v88 offset:3072
	;; [unrolled: 1-line block ×3, first 2 shown]
	s_waitcnt lgkmcnt(3)
	v_mfma_f32_16x16x16_bf16 a[0:3], v[22:23], v[18:19], 0
	s_add_i32 s31, s65, 63
	s_mul_i32 s46, s31, s37
	s_mul_hi_u32 s47, s31, s36
	v_mfma_f32_16x16x16_bf16 a[4:7], v[22:23], v[20:21], 0
	ds_read2st64_b64 v[18:21], v88 offset0:2 offset1:4
	ds_read2st64_b64 v[22:25], v90 offset0:2 offset1:4
	s_add_i32 s47, s47, s46
	s_waitcnt lgkmcnt(1)
	v_mfma_f32_16x16x16_bf16 a[0:3], v[30:31], v[18:19], a[0:3]
	s_mul_i32 s46, s31, s36
	s_lshl_b64 s[46:47], s[46:47], 2
	s_add_u32 s46, s44, s46
	s_waitcnt lgkmcnt(0)
	v_mfma_f32_16x16x16_bf16 a[4:7], v[30:31], v[22:23], a[4:7]
	ds_read_b64 v[18:19], v91 offset:24576
	ds_read_b64 v[22:23], v92 offset:24576
	s_addc_u32 s47, s45, s47
	s_and_b64 vcc, exec, s[0:1]
	s_waitcnt lgkmcnt(1)
	v_mfma_f32_16x16x16_bf16 a[0:3], v[18:19], v[20:21], a[0:3]
	v_mov_b32_e32 v109, 0
	v_mov_b32_e32 v108, 0
	v_mov_b32_e32 v107, 0
	v_mfma_f32_16x16x16_bf16 a[8:11], v[18:19], v[24:25], a[4:7]
	v_mov_b32_e32 v18, 0
	v_mov_b32_e32 v19, 0
	;; [unrolled: 1-line block ×3, first 2 shown]
	s_waitcnt lgkmcnt(0)
	v_mfma_f32_16x16x16_bf16 a[4:7], v[22:23], v[28:29], a[0:3]
	v_mov_b32_e32 v21, 0
	v_mov_b32_e32 v24, 0
	;; [unrolled: 1-line block ×3, first 2 shown]
	v_mfma_f32_16x16x16_bf16 a[0:3], v[22:23], v[26:27], a[8:11]
	v_mov_b32_e32 v22, 0
	v_mov_b32_e32 v23, 0
	;; [unrolled: 1-line block ×10, first 2 shown]
	s_cbranch_vccnz .LBB425_12
; %bb.11:                               ;   in Loop: Header=BB425_6 Depth=1
	s_and_b32 s25, s25, 0xffff
	buffer_load_dwordx4 v[30:33], v75, s[24:27], 0 offen
	buffer_load_dwordx4 v[26:29], v75, s[24:27], s64 offen
	;; [unrolled: 1-line block ×4, first 2 shown]
	v_mov_b32_e32 v108, v77
	v_mov_b32_e32 v107, v78
.LBB425_12:                             ;   in Loop: Header=BB425_6 Depth=1
	ds_read_b64 v[42:43], v87 offset:32768
	ds_read2_b64 v[34:37], v93 offset1:16
	ds_read_b64 v[44:45], v89 offset:32768
	ds_read_b64 v[46:47], v91 offset:32768
	;; [unrolled: 1-line block ×3, first 2 shown]
	ds_read2st64_b64 v[38:41], v93 offset0:2 offset1:4
	v_add_u32_e32 v110, s65, v71
	s_waitcnt lgkmcnt(4)
	v_mfma_f32_16x16x16_bf16 a[4:7], v[42:43], v[34:35], a[4:7]
	v_ashrrev_i32_e32 v34, 31, v110
	v_mfma_f32_16x16x16_bf16 a[0:3], v[42:43], v[36:37], a[0:3]
	v_mul_lo_u32 v36, v110, s37
	v_mul_lo_u32 v37, v34, s36
	v_mad_u64_u32 v[34:35], s[24:25], v110, s36, 0
	v_add3_u32 v35, v35, v36, v37
	v_add_u32_e32 v36, 1, v110
	v_ashrrev_i32_e32 v37, 31, v36
	s_waitcnt lgkmcnt(0)
	v_mfma_f32_16x16x16_bf16 a[4:7], v[44:45], v[38:39], a[4:7]
	v_mul_lo_u32 v38, v37, s36
	v_mul_lo_u32 v39, v36, s37
	v_mad_u64_u32 v[36:37], s[24:25], v36, s36, 0
	v_add3_u32 v37, v37, v39, v38
	v_add_u32_e32 v38, 2, v110
	v_ashrrev_i32_e32 v39, 31, v38
	v_mul_lo_u32 v42, v39, s36
	v_mul_lo_u32 v43, v38, s37
	v_mad_u64_u32 v[38:39], s[24:25], v38, s36, 0
	v_add3_u32 v39, v39, v43, v42
	v_add_u32_e32 v42, 3, v110
	v_ashrrev_i32_e32 v43, 31, v42
	v_mul_lo_u32 v110, v43, s36
	v_mul_lo_u32 v111, v42, s37
	v_mad_u64_u32 v[42:43], s[24:25], v42, s36, 0
	s_add_u32 s24, s4, s65
	s_addc_u32 s25, s5, 0
	s_lshl_b64 s[72:73], s[24:25], 8
	v_lshl_add_u64 v[34:35], v[34:35], 2, s[44:45]
	v_add3_u32 v43, v43, v111, v110
	v_lshl_add_u64 v[110:111], v[60:61], 0, s[72:73]
	v_lshl_add_u64 v[36:37], v[36:37], 2, s[44:45]
	;; [unrolled: 1-line block ×3, first 2 shown]
	global_load_dword v112, v[34:35], off
	global_load_ushort v113, v[110:111], off offset:256
	global_load_ushort v114, v[110:111], off
	global_load_ushort v115, v[110:111], off offset:768
	v_lshl_add_u64 v[34:35], v[42:43], 2, s[44:45]
	v_lshl_add_u64 v[38:39], v[38:39], 2, s[44:45]
	global_load_dword v116, v[36:37], off
	global_load_dword v117, v[38:39], off
	;; [unrolled: 1-line block ×3, first 2 shown]
	ds_read2st64_b64 v[34:37], v94 offset0:2 offset1:4
	s_waitcnt lgkmcnt(0)
	v_mfma_f32_16x16x16_bf16 a[0:3], v[44:45], v[34:35], a[0:3]
	global_load_ushort v44, v[110:111], off offset:512
	global_load_ushort v119, v[110:111], off offset:800
	;; [unrolled: 1-line block ×4, first 2 shown]
	s_nop 0
	global_load_ushort v110, v[110:111], off offset:32
	s_and_b64 vcc, exec, s[0:1]
	v_mfma_f32_16x16x16_bf16 a[4:7], v[46:47], v[40:41], a[4:7]
	s_waitcnt vmcnt(10)
	v_lshlrev_b32_e32 v43, 16, v113
	v_mfma_f32_16x16x16_bf16 a[0:3], v[46:47], v[36:37], a[0:3]
	ds_read_b64 v[34:35], v93 offset:3072
	ds_read_b64 v[36:37], v94 offset:3072
	s_load_dword s24, s[46:47], 0x0
	s_waitcnt vmcnt(9)
	v_lshlrev_b32_e32 v42, 16, v114
	s_waitcnt lgkmcnt(0)
	v_mfma_f32_16x16x16_bf16 a[4:7], v[48:49], v[34:35], a[4:7]
	v_lshl_add_u64 v[34:35], v[62:63], 0, s[72:73]
	v_sub_f32_e32 v46, s24, v112
	s_waitcnt vmcnt(7)
	v_sub_f32_e32 v47, s24, v116
	v_mfma_f32_16x16x16_bf16 a[0:3], v[48:49], v[36:37], a[0:3]
	s_waitcnt vmcnt(6)
	v_sub_f32_e32 v48, s24, v117
	s_waitcnt vmcnt(5)
	v_sub_f32_e32 v49, s24, v118
	v_accvgpr_read_b32 v41, a5
	v_accvgpr_read_b32 v40, a4
	v_exp_f32_e32 v46, v46
	v_pk_add_f32 v[40:41], v[42:43], v[40:41] neg_lo:[0,1] neg_hi:[0,1]
	v_exp_f32_e32 v47, v47
	v_exp_f32_e32 v42, v48
	v_exp_f32_e32 v43, v49
	v_accvgpr_read_b32 v37, a7
	v_accvgpr_read_b32 v36, a6
	v_lshlrev_b32_e32 v45, 16, v115
	s_waitcnt vmcnt(4)
	v_lshlrev_b32_e32 v44, 16, v44
	v_lshl_add_u64 v[34:35], v[34:35], 0, v[58:59]
	v_pk_add_f32 v[36:37], v[44:45], v[36:37] neg_lo:[0,1] neg_hi:[0,1]
	global_store_short_d16_hi v[34:35], v40, off
	global_store_short_d16_hi v[34:35], v41, off offset:256
	global_store_short_d16_hi v[34:35], v36, off offset:512
	;; [unrolled: 1-line block ×3, first 2 shown]
	v_pk_mul_f32 v[40:41], v[46:47], v[40:41]
	v_pk_mul_f32 v[36:37], v[42:43], v[36:37]
	v_accvgpr_read_b32 v45, a1
	v_perm_b32 v40, v41, v40, s3
	v_perm_b32 v41, v37, v36, s3
	s_waitcnt vmcnt(5)
	v_lshlrev_b32_e32 v37, 16, v121
	s_waitcnt vmcnt(4)
	v_lshlrev_b32_e32 v36, 16, v110
	v_accvgpr_read_b32 v44, a0
	v_accvgpr_read_b32 v39, a3
	v_accvgpr_read_b32 v38, a2
	v_pk_add_f32 v[36:37], v[36:37], v[44:45] neg_lo:[0,1] neg_hi:[0,1]
	v_lshlrev_b32_e32 v45, 16, v119
	v_lshlrev_b32_e32 v44, 16, v120
	v_pk_add_f32 v[38:39], v[44:45], v[38:39] neg_lo:[0,1] neg_hi:[0,1]
	global_store_short_d16_hi v[34:35], v36, off offset:32
	global_store_short_d16_hi v[34:35], v37, off offset:288
	;; [unrolled: 1-line block ×4, first 2 shown]
	v_pk_mul_f32 v[34:35], v[46:47], v[36:37]
	v_pk_mul_f32 v[36:37], v[42:43], v[38:39]
	v_mov_b32_e32 v110, 0
	v_perm_b32 v37, v37, v36, s3
	v_perm_b32 v36, v35, v34, s3
	ds_write2_b64 v80, v[40:41], v[36:37] offset1:16
	v_mov_b32_e32 v34, 0
	v_mov_b32_e32 v35, 0
	;; [unrolled: 1-line block ×16, first 2 shown]
	s_cbranch_vccnz .LBB425_14
; %bb.13:                               ;   in Loop: Header=BB425_6 Depth=1
	s_and_b32 s29, s29, 0xffff
	s_mov_b32 s31, s27
	buffer_load_dwordx4 v[46:49], v102, s[28:31], 0 offen
	buffer_load_dwordx4 v[38:41], v102, s[28:31], s64 offen
	;; [unrolled: 1-line block ×4, first 2 shown]
	v_mov_b32_e32 v109, v74
	v_mov_b32_e32 v110, v73
.LBB425_14:                             ;   in Loop: Header=BB425_6 Depth=1
	s_waitcnt lgkmcnt(0)
	s_barrier
	ds_read_b64 v[116:117], v57
	ds_read_b64 v[124:125], v98
	;; [unrolled: 1-line block ×5, first 2 shown]
	ds_read_b64 v[130:131], v99 offset:16384
	ds_read_b64 v[132:133], v97 offset:16384
	ds_read2_b64 v[112:115], v93 offset0:16 offset1:128
	s_waitcnt lgkmcnt(6)
	v_mfma_f32_16x16x16_bf16 a[0:3], v[116:117], v[124:125], 0
	ds_read_b64 v[134:135], v94 offset:3072
	ds_read_b64 v[136:137], v101 offset:16384
	s_add_i32 s25, s59, s70
	s_waitcnt lgkmcnt(2)
	v_mfma_f32_16x16x16_bf16 a[4:7], v[116:117], v[112:113], 0
	ds_read2st64_b64 v[116:119], v94 offset0:2 offset1:4
	s_mul_hi_i32 s29, s25, s21
	s_mul_i32 s25, s25, s21
	v_mfma_f32_16x16x16_bf16 a[0:3], v[120:121], v[114:115], a[0:3]
	s_add_u32 s28, s25, s52
	s_addc_u32 s29, s29, s56
	s_lshl_b64 s[28:29], s[28:29], 15
	s_waitcnt lgkmcnt(0)
	v_mfma_f32_16x16x16_bf16 a[4:7], v[120:121], v[116:117], a[4:7]
	ds_read2st64_b64 v[120:123], v93 offset0:4 offset1:6
	s_waitcnt lgkmcnt(0)
	v_mfma_f32_16x16x16_bf16 a[0:3], v[126:127], v[120:121], a[0:3]
	v_mfma_f32_16x16x16_bf16 a[8:11], v[126:127], v[118:119], a[4:7]
	;; [unrolled: 1-line block ×5, first 2 shown]
	ds_read2st64_b64 v[124:127], v96 offset1:8
	v_mfma_f32_16x16x16_bf16 a[12:15], v[132:133], v[112:113], 0
	ds_read_b64 v[132:133], v100 offset:16384
	v_mfma_f32_16x16x16_bf16 a[8:11], v[130:131], v[114:115], a[8:11]
	ds_read2st64_b64 v[112:115], v95 offset1:8
	s_waitcnt lgkmcnt(0)
	v_mov_b32_e32 v128, v112
	v_mfma_f32_16x16x16_bf16 a[12:15], v[130:131], v[116:117], a[12:15]
	v_lshl_add_u64 v[116:117], v[64:65], 0, s[28:29]
	v_add_co_u32_e32 v112, vcc, s39, v116
	v_mfma_f32_16x16x16_bf16 a[8:11], v[132:133], v[120:121], a[8:11]
	v_mov_b32_e32 v129, v113
	v_addc_co_u32_e32 v113, vcc, 0, v117, vcc
	v_mfma_f32_16x16x16_bf16 a[12:15], v[132:133], v[118:119], a[12:15]
	v_mov_b32_e32 v130, v124
	v_mov_b32_e32 v131, v125
	;; [unrolled: 1-line block ×3, first 2 shown]
	v_mfma_f32_16x16x16_bf16 a[8:11], v[136:137], v[122:123], a[8:11]
	v_mov_b32_e32 v125, v115
	s_and_b64 vcc, exec, s[0:1]
	global_store_dwordx4 v[116:117], v[128:131], off
	v_mfma_f32_16x16x16_bf16 a[12:15], v[136:137], v[134:135], a[12:15]
	global_store_dwordx4 v[112:113], v[124:127], off
	s_cbranch_vccnz .LBB425_16
; %bb.15:                               ;   in Loop: Header=BB425_6 Depth=1
	v_lshrrev_b32_e32 v111, 3, v109
	v_and_b32_e32 v111, 6, v111
	v_xor_b32_e32 v110, v111, v110
	v_lshlrev_b32_e32 v110, 2, v110
	v_and_b32_e32 v109, 8, v109
	v_xor_b32_e32 v112, 0x440, v110
	v_cmp_eq_u32_e32 vcc, 0, v109
	s_barrier
	s_nop 0
	v_cndmask_b32_e32 v109, v112, v110, vcc
	v_lshl_or_b32 v109, v111, 10, v109
	s_waitcnt vmcnt(3)
	v_perm_b32 v110, v46, v42, s66
	s_waitcnt vmcnt(2)
	v_perm_b32 v111, v38, v34, s66
	ds_write2st64_b32 v109, v110, v111 offset0:32 offset1:64
	v_xor_b32_e32 v110, 8, v109
	v_perm_b32 v42, v46, v42, s67
	v_perm_b32 v34, v38, v34, s67
	v_add_u32_e32 v38, 0x80, v110
	ds_write2st64_b32 v38, v42, v34 offset0:32 offset1:64
	v_xor_b32_e32 v34, 16, v109
	v_perm_b32 v38, v47, v43, s66
	v_perm_b32 v42, v39, v35, s66
	ds_write2st64_b32 v34, v38, v42 offset0:33 offset1:65
	v_xor_b32_e32 v34, 24, v109
	v_perm_b32 v38, v47, v43, s67
	v_perm_b32 v35, v39, v35, s67
	v_add_u32_e32 v34, 0x80, v34
	ds_write2st64_b32 v34, v38, v35 offset0:33 offset1:65
	v_xor_b32_e32 v34, 32, v109
	v_perm_b32 v35, v48, v44, s66
	;; [unrolled: 9-line block ×3, first 2 shown]
	v_perm_b32 v36, v41, v37, s66
	ds_write2st64_b32 v34, v35, v36 offset0:35 offset1:67
	v_xor_b32_e32 v34, 56, v109
	v_perm_b32 v35, v49, v45, s67
	v_perm_b32 v36, v41, v37, s67
	v_add_u32_e32 v34, 0x80, v34
	ds_write2st64_b32 v34, v35, v36 offset0:35 offset1:67
	ds_write_b64 v108, v[30:31] offset:24576
	v_xor_b32_e32 v30, 8, v108
	ds_write_b64 v30, v[32:33] offset:24576
	ds_write_b64 v108, v[26:27] offset:32768
	;; [unrolled: 1-line block ×4, first 2 shown]
	v_xor_b32_e32 v22, 8, v107
	ds_write_b64 v22, v[24:25] offset:24576
	ds_write_b64 v107, v[18:19] offset:32768
	;; [unrolled: 1-line block ×3, first 2 shown]
.LBB425_16:                             ;   in Loop: Header=BB425_6 Depth=1
	s_waitcnt vmcnt(2)
	v_exp_f32_e32 v34, s24
	v_accvgpr_read_b32 v33, a7
	v_accvgpr_read_b32 v25, a3
	;; [unrolled: 1-line block ×16, first 2 shown]
	s_add_i32 s65, s65, 64
	v_fma_f32 v2, v2, v34, v30
	v_fma_f32 v3, v3, v34, v31
	v_fma_f32 v4, v4, v34, v32
	v_fmac_f32_e32 v33, v5, v34
	v_fma_f32 v10, v10, v34, v22
	v_fma_f32 v11, v11, v34, v23
	v_fma_f32 v12, v12, v34, v24
	v_fmac_f32_e32 v25, v13, v34
	;; [unrolled: 4-line block ×3, first 2 shown]
	v_fma_f32 v14, v14, v34, v18
	v_fma_f32 v15, v15, v34, v19
	;; [unrolled: 1-line block ×3, first 2 shown]
	s_cmp_eq_u32 s55, s41
	v_fmac_f32_e32 v21, v17, v34
	s_cbranch_scc1 .LBB425_18
; %bb.17:                               ;   in Loop: Header=BB425_6 Depth=1
	s_mov_b32 s70, s41
	v_mov_b32_e32 v5, v33
	v_mov_b32_e32 v9, v29
	v_mov_b32_e32 v13, v25
	v_mov_b32_e32 v17, v21
	s_branch .LBB425_6
.LBB425_18:
	v_mov_b32_e32 v5, v33
	v_mov_b32_e32 v9, v29
	;; [unrolled: 1-line block ×4, first 2 shown]
.LBB425_19:
	s_lshl_b32 s30, s55, 6
	s_sub_i32 s31, s20, s30
	s_cmp_gt_i32 s31, 0
	s_cbranch_scc0 .LBB425_84
; %bb.20:
	s_ashr_i32 s3, s30, 31
	s_cmpk_lg_i32 s23, 0x80
	s_cselect_b64 s[26:27], -1, 0
	s_and_b64 vcc, exec, s[26:27]
	s_cbranch_vccz .LBB425_22
; %bb.21:
	s_mul_i32 s1, s54, s20
	s_mul_hi_i32 s0, s54, s20
	s_add_u32 s1, s1, s30
	s_addc_u32 s0, s0, s3
	s_mul_i32 s5, s1, s57
	s_mul_hi_u32 s24, s1, s22
	s_add_i32 s5, s24, s5
	s_mul_i32 s0, s0, s22
	s_add_i32 s5, s5, s0
	s_mul_i32 s1, s1, s22
	s_ashr_i32 s0, s58, 31
	s_add_u32 s28, s1, s58
	s_addc_u32 s29, s5, s0
	s_cbranch_execz .LBB425_23
	s_branch .LBB425_24
.LBB425_22:
                                        ; implicit-def: $sgpr28_sgpr29
.LBB425_23:
	s_mul_hi_i32 s0, s54, s22
	s_mul_i32 s54, s54, s22
	s_ashr_i32 s1, s58, 31
	s_add_u32 s5, s54, s58
	s_addc_u32 s0, s0, s1
	s_mul_i32 s1, s5, s53
	s_mul_hi_u32 s22, s5, s20
	s_add_i32 s1, s22, s1
	s_mul_i32 s0, s0, s20
	s_add_i32 s1, s1, s0
	s_mul_i32 s5, s5, s20
	s_add_u32 s28, s5, s30
	s_addc_u32 s29, s1, s3
.LBB425_24:
	s_mul_i32 s0, s42, s53
	s_add_i32 s0, s61, s0
	s_add_i32 s5, s59, s55
	;; [unrolled: 1-line block ×3, first 2 shown]
	s_add_u32 s0, s4, s30
	v_lshlrev_b32_e32 v22, 5, v71
	v_lshlrev_b32_e32 v38, 2, v68
	s_addc_u32 s1, s1, s3
	s_mov_b32 s3, 0x7060302
	v_or_b32_e32 v25, v22, v38
	v_xor_b32_e32 v23, v71, v38
	s_waitcnt vmcnt(3)
	v_perm_b32 v19, v5, v4, s3
	v_perm_b32 v18, v3, v2, s3
	s_waitcnt vmcnt(2)
	v_perm_b32 v21, v9, v8, s3
	v_perm_b32 v20, v7, v6, s3
	v_lshlrev_b32_e32 v25, 1, v25
	v_xor_b32_e32 v24, v72, v38
	ds_write2st64_b64 v25, v[18:19], v[20:21] offset0:80 offset1:88
	v_lshlrev_b32_e32 v23, 1, v23
	v_lshlrev_b32_e32 v25, 8, v68
	s_lshl_b64 s[24:25], s[0:1], 8
	v_or_b32_e32 v26, v23, v25
	v_lshlrev_b32_e32 v24, 1, v24
	s_waitcnt lgkmcnt(0)
	s_add_u32 s0, s14, s24
	ds_write_b64 v26, v[18:19]
	v_or_b32_e32 v18, v24, v25
	s_addc_u32 s1, s15, s25
	ds_write_b64 v18, v[20:21]
	s_waitcnt vmcnt(1)
	v_perm_b32 v19, v13, v12, s3
	v_perm_b32 v18, v11, v10, s3
	s_waitcnt vmcnt(0)
	v_perm_b32 v21, v17, v16, s3
	v_perm_b32 v20, v15, v14, s3
	v_or_b32_e32 v25, 16, v68
	s_mul_hi_i32 s3, s5, s21
	s_mul_i32 s5, s5, s21
	v_lshlrev_b32_e32 v35, 2, v25
	s_add_u32 s4, s5, s52
	v_or_b32_e32 v22, v22, v35
	s_addc_u32 s5, s3, s56
	v_lshlrev_b32_e32 v22, 1, v22
	s_ashr_i32 s3, s2, 31
	s_lshl_b64 s[4:5], s[4:5], 15
	ds_write2st64_b64 v22, v[18:19], v[20:21] offset0:80 offset1:88
	v_lshlrev_b32_e32 v22, 8, v25
	s_add_u32 s4, s6, s4
	v_or_b32_e32 v23, v23, v22
	s_addc_u32 s5, s7, s5
	s_lshl_b64 s[2:3], s[2:3], 8
	ds_write_b64 v23, v[18:19]
	v_or_b32_e32 v18, v24, v22
	s_add_u32 s2, s4, s2
	ds_write_b64 v18, v[20:21]
	v_lshrrev_b32_e32 v18, 4, v0
	s_addc_u32 s3, s5, s3
	v_lshlrev_b32_e32 v19, 1, v68
	v_lshlrev_b32_e32 v26, 4, v68
	v_mov_b32_e32 v27, 0
	v_or_b32_e32 v20, 1, v19
	v_xor_b32_e32 v19, v18, v19
	v_lshl_add_u64 v[28:29], s[2:3], 0, v[26:27]
	v_lshlrev_b32_e32 v26, 8, v18
	v_xor_b32_e32 v22, v20, v18
	v_lshl_or_b32 v18, v19, 3, v26
	s_waitcnt lgkmcnt(0)
	s_barrier
	ds_read2st64_b64 v[18:21], v18 offset1:8
	v_lshl_or_b32 v22, v22, 3, v26
	ds_read2st64_b64 v[22:25], v22 offset1:8
	v_lshl_add_u64 v[30:31], v[28:29], 0, v[26:27]
	s_movk_i32 s2, 0x1000
	s_waitcnt lgkmcnt(1)
	v_mov_b32_e32 v26, v18
	v_add_co_u32_e32 v18, vcc, s2, v30
	s_cmp_lg_u32 s31, 64
	v_mov_b32_e32 v27, v19
	v_addc_co_u32_e32 v19, vcc, 0, v31, vcc
	s_cselect_b64 s[14:15], -1, 0
	v_lshl_or_b32 v42, v1, 3, v70
	s_waitcnt lgkmcnt(0)
	v_mov_b32_e32 v28, v22
	v_mov_b32_e32 v29, v23
	;; [unrolled: 1-line block ×4, first 2 shown]
	s_mov_b32 s4, 0
	v_or_b32_e32 v36, 32, v42
	v_and_b32_e32 v34, 56, v69
	s_and_b64 vcc, exec, s[14:15]
	global_store_dwordx4 v[30:31], v[26:29], off
	global_store_dwordx4 v[18:19], v[22:25], off
	s_cbranch_vccz .LBB425_30
; %bb.25:
	s_mov_b32 s6, s4
	s_mov_b32 s7, s4
	;; [unrolled: 1-line block ×3, first 2 shown]
	v_mov_b64_e32 v[24:25], s[6:7]
	v_mov_b64_e32 v[22:23], s[4:5]
	;; [unrolled: 1-line block ×3, first 2 shown]
	v_cmp_gt_i32_e32 vcc, s31, v42
	v_mov_b64_e32 v[20:21], v[24:25]
	s_and_saveexec_b64 s[2:3], vcc
	s_cbranch_execz .LBB425_27
; %bb.26:
	v_lshlrev_b32_e32 v18, 8, v42
	v_mov_b32_e32 v19, 0
	v_lshl_add_u64 v[20:21], s[0:1], 0, v[18:19]
	v_lshlrev_b32_e32 v18, 1, v34
	v_lshl_add_u64 v[26:27], v[20:21], 0, v[18:19]
	global_load_dwordx4 v[22:25], v[26:27], off
	global_load_dwordx4 v[18:21], v[26:27], off offset:128
.LBB425_27:
	s_or_b64 exec, exec, s[2:3]
	s_mov_b32 s6, s4
	s_mov_b32 s7, s4
	;; [unrolled: 1-line block ×3, first 2 shown]
	v_mov_b64_e32 v[32:33], s[6:7]
	v_mov_b64_e32 v[30:31], s[4:5]
	;; [unrolled: 1-line block ×3, first 2 shown]
	v_cmp_gt_i32_e32 vcc, s31, v36
	v_lshlrev_b32_e32 v37, 7, v36
	v_mov_b64_e32 v[28:29], v[32:33]
	s_and_saveexec_b64 s[2:3], vcc
	s_cbranch_execz .LBB425_29
; %bb.28:
	v_lshlrev_b32_e32 v26, 1, v37
	v_mov_b32_e32 v27, 0
	v_lshl_add_u64 v[28:29], s[0:1], 0, v[26:27]
	v_lshlrev_b32_e32 v26, 1, v34
	v_lshl_add_u64 v[40:41], v[28:29], 0, v[26:27]
	global_load_dwordx4 v[30:33], v[40:41], off
	global_load_dwordx4 v[26:29], v[40:41], off offset:128
.LBB425_29:
	s_or_b64 exec, exec, s[2:3]
	v_lshrrev_b32_e32 v39, 3, v34
	v_lshlrev_b32_e32 v40, 3, v42
	v_or_b32_e32 v39, v40, v39
	v_lshlrev_b32_e32 v39, 4, v39
	v_and_b32_e32 v40, 0x78, v40
	v_xor_b32_e32 v39, v39, v40
	s_branch .LBB425_32
.LBB425_30:
                                        ; implicit-def: $vgpr39
                                        ; implicit-def: $vgpr37
                                        ; implicit-def: $vgpr22_vgpr23_vgpr24_vgpr25
                                        ; implicit-def: $vgpr18_vgpr19_vgpr20_vgpr21
                                        ; implicit-def: $vgpr30_vgpr31_vgpr32_vgpr33
                                        ; implicit-def: $vgpr26_vgpr27_vgpr28_vgpr29
	s_cbranch_execz .LBB425_32
; %bb.31:
	s_waitcnt vmcnt(0)
	v_lshlrev_b32_e32 v18, 1, v34
	v_lshl_or_b32 v37, v42, 8, v18
	s_and_b32 s1, s1, 0xffff
	s_mov_b32 s3, 0x20000
	s_movk_i32 s2, 0x4000
	v_lshl_or_b32 v39, v36, 8, v18
	s_movk_i32 s4, 0x80
	buffer_load_dwordx4 v[22:25], v37, s[0:3], 0 offen
	buffer_load_dwordx4 v[18:21], v37, s[0:3], s4 offen
	;; [unrolled: 1-line block ×4, first 2 shown]
	v_lshrrev_b32_e32 v37, 3, v34
	v_lshlrev_b32_e32 v39, 3, v42
	v_or_b32_e32 v37, v39, v37
	v_lshlrev_b32_e32 v37, 4, v37
	v_and_b32_e32 v39, 0x78, v39
	v_xor_b32_e32 v39, v37, v39
	v_lshlrev_b32_e32 v37, 7, v36
.LBB425_32:
	s_lshl_b64 s[0:1], s[28:29], 8
	s_add_u32 s4, s12, s0
	s_movk_i32 s0, 0x1000
	v_and_or_b32 v36, v37, s0, v39
	s_waitcnt vmcnt(1)
	ds_write_b64 v39, v[22:23] offset:24576
	v_xor_b32_e32 v22, 8, v39
	ds_write_b64 v22, v[24:25] offset:24576
	s_waitcnt vmcnt(0)
	ds_write_b64 v39, v[18:19] offset:32768
	ds_write_b64 v22, v[20:21] offset:32768
	;; [unrolled: 1-line block ×3, first 2 shown]
	v_xor_b32_e32 v18, 8, v36
	ds_write_b64 v18, v[32:33] offset:24576
	ds_write_b64 v36, v[26:27] offset:32768
	;; [unrolled: 1-line block ×3, first 2 shown]
	v_or_b32_e32 v18, v66, v68
	v_lshlrev_b32_e32 v18, 3, v18
	v_lshrrev_b32_e32 v19, 5, v51
	s_movk_i32 s3, 0xf8
	v_and_or_b32 v19, v18, s3, v19
	v_lshlrev_b32_e32 v23, 4, v19
	v_lshlrev_b32_e32 v39, 11, v1
	v_and_b32_e32 v24, 0x78, v18
	v_or_b32_e32 v26, 32, v23
	v_and_b32_e32 v22, 0x1000, v39
	v_lshrrev_b32_e32 v19, 1, v51
	v_xor_b32_e32 v26, v26, v24
	v_xor_b32_e32 v18, v23, v24
	v_and_b32_e32 v25, 8, v19
	v_or_b32_e32 v26, v26, v22
	v_or_b32_e32 v18, v18, v22
	v_xor_b32_e32 v44, v26, v25
	v_or_b32_e32 v26, 64, v23
	v_xor_b32_e32 v43, v18, v25
	v_xor_b32_e32 v26, v26, v24
	s_waitcnt lgkmcnt(0)
	s_barrier
	v_or_b32_e32 v28, v26, v22
	ds_read_b64 v[26:27], v43 offset:24576
	v_lshl_or_b32 v36, v67, 7, v38
	v_lshlrev_b32_e32 v40, 1, v36
	v_add_u32_e32 v18, 0xa000, v40
	ds_read2_b64 v[18:21], v18 offset1:16
	v_or_b32_e32 v23, 0x60, v23
	v_xor_b32_e32 v23, v23, v24
	s_waitcnt lgkmcnt(0)
	v_mfma_f32_16x16x16_bf16 a[0:3], v[26:27], v[18:19], 0
	v_or_b32_e32 v18, 64, v36
	v_or_b32_e32 v22, v23, v22
	v_lshlrev_b32_e32 v41, 1, v18
	v_xor_b32_e32 v45, v28, v25
	v_xor_b32_e32 v46, v22, v25
	ds_read_b64 v[28:29], v44 offset:24576
	ds_read_b64 v[30:31], v45 offset:24576
	;; [unrolled: 1-line block ×3, first 2 shown]
	v_mfma_f32_16x16x16_bf16 a[4:7], v[26:27], v[20:21], 0
	ds_read2st64_b64 v[18:21], v41 offset0:82 offset1:84
	ds_read2st64_b64 v[22:25], v40 offset0:82 offset1:84
	s_addc_u32 s5, s13, s1
	s_add_i32 s1, s48, s33
	s_add_i32 s0, s20, -1
	s_add_i32 s39, s1, s49
	s_add_i32 s1, s50, s43
	;; [unrolled: 1-line block ×3, first 2 shown]
	s_ashr_i32 s1, s0, 31
	s_mul_i32 s2, s0, s37
	s_mul_hi_u32 s3, s0, s36
	s_add_i32 s2, s3, s2
	s_mul_i32 s1, s1, s36
	s_waitcnt lgkmcnt(1)
	v_mfma_f32_16x16x16_bf16 a[4:7], v[28:29], v[18:19], a[4:7]
	s_add_i32 s1, s2, s1
	s_lshl_b64 s[2:3], s[38:39], 2
	s_add_u32 s6, s18, s2
	s_waitcnt lgkmcnt(0)
	v_mfma_f32_16x16x16_bf16 a[0:3], v[28:29], v[22:23], a[0:3]
	s_addc_u32 s7, s19, s3
	s_lshl_b64 s[2:3], s[40:41], 2
	s_mul_i32 s0, s0, s36
	s_add_u32 s12, s6, s2
	ds_read_b64 v[18:19], v40 offset:44032
	v_mfma_f32_16x16x16_bf16 a[4:7], v[30:31], v[20:21], a[4:7]
	ds_read_b64 v[20:21], v41 offset:44032
	s_addc_u32 s13, s7, s3
	s_lshl_b64 s[0:1], s[0:1], 2
	v_mfma_f32_16x16x16_bf16 a[0:3], v[30:31], v[24:25], a[0:3]
	s_add_u32 s0, s12, s0
	s_addc_u32 s1, s13, s1
	s_load_dword s18, s[0:1], 0x0
	s_waitcnt lgkmcnt(0)
	v_mfma_f32_16x16x16_bf16 a[0:3], v[32:33], v[18:19], a[0:3]
	s_and_b64 vcc, exec, s[26:27]
	v_mfma_f32_16x16x16_bf16 a[4:7], v[32:33], v[20:21], a[4:7]
	s_cbranch_vccz .LBB425_43
; %bb.33:
	v_lshlrev_b32_e32 v36, 1, v42
	s_and_b64 vcc, exec, s[14:15]
	s_cbranch_vccz .LBB425_44
; %bb.34:
	v_cmp_gt_i32_e32 vcc, s31, v36
	v_mov_b32_e32 v22, 0
	v_mov_b32_e32 v18, 0
	;; [unrolled: 1-line block ×5, first 2 shown]
	s_and_saveexec_b64 s[0:1], vcc
	s_cbranch_execz .LBB425_36
; %bb.35:
	v_mad_i64_i32 v[18:19], s[2:3], s23, v36, 0
	v_lshl_add_u64 v[18:19], v[18:19], 1, s[4:5]
	v_lshlrev_b32_e32 v20, 1, v34
	v_mov_b32_e32 v21, 0
	v_lshl_add_u64 v[18:19], v[18:19], 0, v[20:21]
	global_load_dwordx4 v[18:21], v[18:19], off
.LBB425_36:
	s_or_b64 exec, exec, s[0:1]
	v_or_b32_e32 v37, 1, v36
	v_cmp_gt_i32_e64 s[0:1], s31, v37
	v_mov_b32_e32 v23, 0
	v_mov_b32_e32 v24, 0
	;; [unrolled: 1-line block ×3, first 2 shown]
	s_and_saveexec_b64 s[2:3], s[0:1]
	s_cbranch_execz .LBB425_38
; %bb.37:
	v_mad_i64_i32 v[22:23], s[6:7], s23, v37, 0
	v_lshl_add_u64 v[22:23], v[22:23], 1, s[4:5]
	v_lshlrev_b32_e32 v24, 1, v34
	v_mov_b32_e32 v25, 0
	v_lshl_add_u64 v[22:23], v[22:23], 0, v[24:25]
	global_load_dwordx4 v[22:25], v[22:23], off
.LBB425_38:
	s_or_b64 exec, exec, s[2:3]
	v_mov_b32_e32 v33, 0
	v_mov_b32_e32 v26, 0
	;; [unrolled: 1-line block ×5, first 2 shown]
	s_and_saveexec_b64 s[2:3], vcc
	s_cbranch_execz .LBB425_40
; %bb.39:
	v_mad_i64_i32 v[26:27], s[6:7], s23, v36, 0
	v_lshl_add_u64 v[26:27], v[26:27], 1, s[4:5]
	v_lshlrev_b32_e32 v28, 1, v34
	v_mov_b32_e32 v29, 0
	v_lshl_add_u64 v[26:27], v[26:27], 0, v[28:29]
	global_load_dwordx4 v[26:29], v[26:27], off offset:128
.LBB425_40:
	s_or_b64 exec, exec, s[2:3]
	v_mov_b32_e32 v32, 0
	v_mov_b32_e32 v31, 0
	;; [unrolled: 1-line block ×3, first 2 shown]
	s_and_saveexec_b64 s[2:3], s[0:1]
	s_cbranch_execz .LBB425_42
; %bb.41:
	v_mad_i64_i32 v[30:31], s[0:1], s23, v37, 0
	v_lshl_add_u64 v[30:31], v[30:31], 1, s[4:5]
	v_lshlrev_b32_e32 v32, 1, v34
	v_mov_b32_e32 v33, 0
	v_lshl_add_u64 v[30:31], v[30:31], 0, v[32:33]
	global_load_dwordx4 v[30:33], v[30:31], off offset:128
.LBB425_42:
	s_or_b64 exec, exec, s[2:3]
	s_branch .LBB425_46
.LBB425_43:
                                        ; implicit-def: $vgpr21
                                        ; implicit-def: $vgpr25
                                        ; implicit-def: $vgpr29
                                        ; implicit-def: $vgpr33
	v_lshrrev_b32_e32 v47, 2, v51
	s_branch .LBB425_47
.LBB425_44:
                                        ; implicit-def: $vgpr21
                                        ; implicit-def: $vgpr25
                                        ; implicit-def: $vgpr29
                                        ; implicit-def: $vgpr33
	s_cbranch_execz .LBB425_46
; %bb.45:
	s_waitcnt vmcnt(0)
	v_mad_u64_u32 v[18:19], s[0:1], v36, s23, v[34:35]
	v_lshlrev_b32_e32 v36, 1, v18
	s_lshl_b32 s2, s23, 7
	s_and_b32 s1, s5, 0xffff
	s_mov_b32 s3, 0x20000
	s_mov_b32 s0, s4
	v_add_lshl_u32 v37, v18, s23, 1
	s_movk_i32 s6, 0x80
	buffer_load_dwordx4 v[18:21], v36, s[0:3], 0 offen
	buffer_load_dwordx4 v[26:29], v36, s[0:3], s6 offen
	;; [unrolled: 1-line block ×4, first 2 shown]
.LBB425_46:
	v_lshrrev_b32_e32 v47, 2, v51
	s_cbranch_execnz .LBB425_59
.LBB425_47:
	s_and_b64 vcc, exec, s[14:15]
	s_cbranch_vccz .LBB425_57
; %bb.48:
	s_waitcnt vmcnt(0)
	v_lshlrev_b32_e32 v23, 1, v42
	v_cmp_gt_i32_e32 vcc, s31, v23
	v_mov_b32_e32 v22, 0
	v_lshlrev_b32_e32 v30, 9, v42
	v_mov_b32_e32 v18, 0
	v_mov_b32_e32 v19, 0
	;; [unrolled: 1-line block ×4, first 2 shown]
	s_and_saveexec_b64 s[0:1], vcc
	s_cbranch_execz .LBB425_50
; %bb.49:
	v_mov_b32_e32 v31, 0
	v_lshl_add_u64 v[18:19], s[4:5], 0, v[30:31]
	v_lshlrev_b32_e32 v20, 1, v34
	v_mov_b32_e32 v21, v31
	v_lshl_add_u64 v[18:19], v[18:19], 0, v[20:21]
	global_load_dwordx4 v[18:21], v[18:19], off
.LBB425_50:
	s_or_b64 exec, exec, s[0:1]
	v_or_b32_e32 v23, 1, v23
	v_cmp_gt_i32_e64 s[0:1], s31, v23
	v_lshlrev_b32_e32 v36, 8, v23
	v_mov_b32_e32 v23, 0
	v_mov_b32_e32 v24, 0
	;; [unrolled: 1-line block ×3, first 2 shown]
	s_and_saveexec_b64 s[2:3], s[0:1]
	s_cbranch_execz .LBB425_52
; %bb.51:
	v_mov_b32_e32 v37, 0
	v_lshl_add_u64 v[22:23], s[4:5], 0, v[36:37]
	v_lshlrev_b32_e32 v24, 1, v34
	v_mov_b32_e32 v25, v37
	v_lshl_add_u64 v[22:23], v[22:23], 0, v[24:25]
	global_load_dwordx4 v[22:25], v[22:23], off
.LBB425_52:
	s_or_b64 exec, exec, s[2:3]
	v_mov_b32_e32 v33, 0
	v_mov_b32_e32 v26, 0
	;; [unrolled: 1-line block ×5, first 2 shown]
	s_and_saveexec_b64 s[2:3], vcc
	s_cbranch_execz .LBB425_54
; %bb.53:
	v_mov_b32_e32 v31, 0
	v_lshl_add_u64 v[26:27], s[4:5], 0, v[30:31]
	v_lshlrev_b32_e32 v30, 1, v34
	v_lshl_add_u64 v[26:27], v[26:27], 0, v[30:31]
	global_load_dwordx4 v[26:29], v[26:27], off offset:128
.LBB425_54:
	s_or_b64 exec, exec, s[2:3]
	v_mov_b32_e32 v32, 0
	v_mov_b32_e32 v31, 0
	;; [unrolled: 1-line block ×3, first 2 shown]
	s_and_saveexec_b64 s[2:3], s[0:1]
	s_cbranch_execz .LBB425_56
; %bb.55:
	v_mov_b32_e32 v37, 0
	v_lshl_add_u64 v[30:31], s[4:5], 0, v[36:37]
	v_lshlrev_b32_e32 v36, 1, v34
	v_lshl_add_u64 v[30:31], v[30:31], 0, v[36:37]
	global_load_dwordx4 v[30:33], v[30:31], off offset:128
.LBB425_56:
	s_or_b64 exec, exec, s[2:3]
	s_branch .LBB425_59
.LBB425_57:
                                        ; implicit-def: $vgpr21
                                        ; implicit-def: $vgpr25
                                        ; implicit-def: $vgpr29
                                        ; implicit-def: $vgpr33
	s_cbranch_execz .LBB425_59
; %bb.58:
	s_waitcnt vmcnt(0)
	v_lshlrev_b32_e32 v18, 1, v34
	v_lshl_or_b32 v34, v42, 9, v18
	s_and_b32 s5, s5, 0xffff
	s_mov_b32 s7, 0x20000
	s_movk_i32 s6, 0x4000
	s_movk_i32 s0, 0x80
	buffer_load_dwordx4 v[18:21], v34, s[4:7], 0 offen
	buffer_load_dwordx4 v[22:25], v34, s[4:7], 0 offen offset:256
	buffer_load_dwordx4 v[26:29], v34, s[4:7], s0 offen
	buffer_load_dwordx4 v[30:33], v34, s[4:7], s0 offen offset:256
.LBB425_59:
	ds_read_b64 v[36:37], v43 offset:32768
	v_add_u32_e32 v34, 0xb000, v40
	ds_read2_b64 v[58:61], v34 offset1:16
	ds_read_b64 v[48:49], v44 offset:32768
	ds_read_b64 v[44:45], v45 offset:32768
	;; [unrolled: 1-line block ×3, first 2 shown]
	v_and_b32_e32 v34, 6, v0
	v_xor_b32_e32 v42, v42, v34
	v_lshlrev_b32_e32 v42, 2, v42
	v_and_b32_e32 v43, 1, v0
	v_xor_b32_e32 v46, 0x440, v42
	v_cmp_eq_u32_e32 vcc, 0, v43
	s_waitcnt lgkmcnt(3)
	v_mfma_f32_16x16x16_bf16 a[0:3], v[36:37], v[58:59], a[0:3]
	s_mov_b32 s0, 0x1000504
	v_cndmask_b32_e32 v42, v46, v42, vcc
	v_lshl_or_b32 v34, v34, 10, v42
	v_mfma_f32_16x16x16_bf16 a[4:7], v[36:37], v[60:61], a[4:7]
	ds_read2st64_b64 v[58:61], v40 offset0:90 offset1:92
	ds_read2st64_b64 v[62:65], v41 offset0:90 offset1:92
	s_waitcnt vmcnt(0)
	v_perm_b32 v42, v18, v22, s0
	s_mov_b32 s1, 0x3020706
	s_waitcnt lgkmcnt(1)
	v_mfma_f32_16x16x16_bf16 a[0:3], v[48:49], v[58:59], a[0:3]
	ds_read_b64 v[36:37], v40 offset:48128
	ds_read_b64 v[58:59], v41 offset:48128
	v_perm_b32 v18, v18, v22, s1
	v_perm_b32 v22, v26, v30, s1
	s_waitcnt lgkmcnt(2)
	v_mfma_f32_16x16x16_bf16 a[4:7], v[48:49], v[62:63], a[4:7]
	v_and_or_b32 v43, v47, 12, v66
	v_mfma_f32_16x16x16_bf16 a[0:3], v[44:45], v[60:61], a[0:3]
	v_mfma_f32_16x16x16_bf16 a[8:11], v[44:45], v[64:65], a[4:7]
	s_waitcnt lgkmcnt(1)
	v_mfma_f32_16x16x16_bf16 a[4:7], v[68:69], v[36:37], a[0:3]
	v_perm_b32 v36, v26, v30, s0
	ds_write2st64_b32 v34, v42, v36 offset0:32 offset1:64
	v_xor_b32_e32 v36, 8, v34
	v_add_u32_e32 v26, 0x80, v36
	ds_write2st64_b32 v26, v18, v22 offset0:32 offset1:64
	v_xor_b32_e32 v18, 16, v34
	v_perm_b32 v22, v19, v23, s0
	v_perm_b32 v26, v27, v31, s0
	ds_write2st64_b32 v18, v22, v26 offset0:33 offset1:65
	v_xor_b32_e32 v18, 24, v34
	v_perm_b32 v19, v19, v23, s1
	v_perm_b32 v22, v27, v31, s1
	v_add_u32_e32 v18, 0x80, v18
	ds_write2st64_b32 v18, v19, v22 offset0:33 offset1:65
	v_xor_b32_e32 v18, 32, v34
	v_perm_b32 v19, v20, v24, s0
	v_perm_b32 v22, v28, v32, s0
	ds_write2st64_b32 v18, v19, v22 offset0:34 offset1:66
	v_xor_b32_e32 v18, 40, v34
	s_waitcnt lgkmcnt(5)
	v_mfma_f32_16x16x16_bf16 a[0:3], v[68:69], v[58:59], a[8:11]
	v_perm_b32 v19, v20, v24, s1
	v_perm_b32 v20, v28, v32, s1
	v_add_u32_e32 v18, 0x80, v18
	ds_write2st64_b32 v18, v19, v20 offset0:34 offset1:66
	v_xor_b32_e32 v18, 48, v34
	v_perm_b32 v19, v21, v25, s0
	v_perm_b32 v20, v29, v33, s0
	ds_write2st64_b32 v18, v19, v20 offset0:35 offset1:67
	v_xor_b32_e32 v18, 56, v34
	v_perm_b32 v19, v21, v25, s1
	v_perm_b32 v20, v29, v33, s1
	v_add_u32_e32 v18, 0x80, v18
	v_cmp_gt_i32_e64 s[0:1], s31, v43
	v_mov_b32_e32 v36, 0
	v_mov_b32_e32 v37, 0
	ds_write2st64_b32 v18, v19, v20 offset0:35 offset1:67
	s_and_saveexec_b64 s[2:3], s[0:1]
	s_cbranch_execz .LBB425_61
; %bb.60:
	v_add_u32_e32 v18, s30, v43
	v_ashrrev_i32_e32 v19, 31, v18
	v_mul_lo_u32 v20, v19, s36
	v_mul_lo_u32 v21, v18, s37
	v_mad_u64_u32 v[18:19], s[4:5], v18, s36, 0
	v_add3_u32 v19, v19, v21, v20
	v_lshl_add_u64 v[18:19], v[18:19], 2, s[12:13]
	global_load_dword v18, v[18:19], off
	s_waitcnt vmcnt(0)
	v_sub_f32_e32 v18, s18, v18
	v_exp_f32_e32 v37, v18
.LBB425_61:
	s_or_b64 exec, exec, s[2:3]
	v_or_b32_e32 v30, 1, v43
	v_cmp_gt_i32_e64 s[4:5], s31, v30
	s_and_saveexec_b64 s[2:3], s[4:5]
	s_cbranch_execz .LBB425_63
; %bb.62:
	v_add_u32_e32 v18, s30, v30
	v_ashrrev_i32_e32 v19, 31, v18
	v_mul_lo_u32 v20, v19, s36
	v_mul_lo_u32 v21, v18, s37
	v_mad_u64_u32 v[18:19], s[6:7], v18, s36, 0
	v_add3_u32 v19, v19, v21, v20
	v_lshl_add_u64 v[18:19], v[18:19], 2, s[12:13]
	global_load_dword v18, v[18:19], off
	s_waitcnt vmcnt(0)
	v_sub_f32_e32 v18, s18, v18
	v_exp_f32_e32 v36, v18
.LBB425_63:
	s_or_b64 exec, exec, s[2:3]
	v_or_b32_e32 v28, 2, v43
	v_cmp_gt_i32_e64 s[2:3], s31, v28
	v_mov_b32_e32 v34, 0
	v_mov_b32_e32 v42, 0
	s_and_saveexec_b64 s[6:7], s[2:3]
	s_cbranch_execz .LBB425_65
; %bb.64:
	v_add_u32_e32 v18, s30, v28
	v_ashrrev_i32_e32 v19, 31, v18
	v_mul_lo_u32 v20, v19, s36
	v_mul_lo_u32 v21, v18, s37
	v_mad_u64_u32 v[18:19], s[14:15], v18, s36, 0
	v_add3_u32 v19, v19, v21, v20
	v_lshl_add_u64 v[18:19], v[18:19], 2, s[12:13]
	global_load_dword v18, v[18:19], off
	s_waitcnt vmcnt(0)
	v_sub_f32_e32 v18, s18, v18
	v_exp_f32_e32 v42, v18
.LBB425_65:
	s_or_b64 exec, exec, s[6:7]
	v_or_b32_e32 v29, 3, v43
	v_cmp_gt_i32_e32 vcc, s31, v29
	s_and_saveexec_b64 s[6:7], vcc
	s_cbranch_execz .LBB425_67
; %bb.66:
	v_add_u32_e32 v18, s30, v29
	v_ashrrev_i32_e32 v19, 31, v18
	v_mul_lo_u32 v20, v19, s36
	v_mul_lo_u32 v21, v18, s37
	v_mad_u64_u32 v[18:19], s[14:15], v18, s36, 0
	v_add3_u32 v19, v19, v21, v20
	v_lshl_add_u64 v[18:19], v[18:19], 2, s[12:13]
	global_load_dword v18, v[18:19], off
	s_waitcnt vmcnt(0)
	v_sub_f32_e32 v18, s18, v18
	v_exp_f32_e32 v34, v18
.LBB425_67:
	s_or_b64 exec, exec, s[6:7]
	s_add_u32 s6, s16, s24
	s_addc_u32 s7, s17, s25
	s_add_u32 s8, s8, s24
	v_ashrrev_i32_e32 v57, 31, v56
	v_accvgpr_read_b32 v21, a7
	s_addc_u32 s9, s9, s25
	v_lshlrev_b64 v[22:23], 1, v[56:57]
	v_accvgpr_read_b32 v20, a6
	v_accvgpr_read_b32 v19, a5
	;; [unrolled: 1-line block ×3, first 2 shown]
	v_lshl_add_u64 v[24:25], s[6:7], 0, v[22:23]
	v_lshl_add_u64 v[22:23], s[8:9], 0, v[22:23]
	v_mov_b32_e32 v31, 0
	v_lshlrev_b32_e32 v26, 8, v43
	v_mov_b32_e32 v27, 0
	s_and_saveexec_b64 s[6:7], s[0:1]
	s_cbranch_execz .LBB425_69
; %bb.68:
	v_mov_b32_e32 v27, 0
	v_lshl_add_u64 v[32:33], v[24:25], 0, v[26:27]
	global_load_ushort v44, v[32:33], off
	v_lshl_add_u64 v[32:33], v[22:23], 0, v[26:27]
	s_waitcnt vmcnt(0)
	v_lshlrev_b32_e32 v27, 16, v44
	v_sub_f32_e32 v18, v27, v18
	global_store_short_d16_hi v[32:33], v18, off
	v_mul_f32_e32 v18, v37, v18
	v_lshrrev_b32_e32 v27, 16, v18
.LBB425_69:
	s_or_b64 exec, exec, s[6:7]
	v_lshlrev_b32_e32 v30, 8, v30
	s_and_saveexec_b64 s[6:7], s[4:5]
	s_cbranch_execz .LBB425_71
; %bb.70:
	v_mov_b32_e32 v31, 0
	v_lshl_add_u64 v[32:33], v[24:25], 0, v[30:31]
	global_load_ushort v18, v[32:33], off
	v_lshl_add_u64 v[32:33], v[22:23], 0, v[30:31]
	s_waitcnt vmcnt(0)
	v_lshlrev_b32_e32 v18, 16, v18
	v_sub_f32_e32 v18, v18, v19
	global_store_short_d16_hi v[32:33], v18, off
	v_mul_f32_e32 v18, v36, v18
	v_lshrrev_b32_e32 v31, 16, v18
.LBB425_71:
	s_or_b64 exec, exec, s[6:7]
	v_mov_b32_e32 v44, 0
	v_lshlrev_b32_e32 v32, 8, v28
	v_mov_b32_e32 v33, 0
	s_and_saveexec_b64 s[6:7], s[2:3]
	s_cbranch_execz .LBB425_73
; %bb.72:
	v_mov_b32_e32 v33, 0
	v_lshl_add_u64 v[18:19], v[24:25], 0, v[32:33]
	global_load_ushort v28, v[18:19], off
	v_lshl_add_u64 v[18:19], v[22:23], 0, v[32:33]
	s_waitcnt vmcnt(0)
	v_lshlrev_b32_e32 v28, 16, v28
	v_sub_f32_e32 v20, v28, v20
	global_store_short_d16_hi v[18:19], v20, off
	v_mul_f32_e32 v18, v42, v20
	v_lshrrev_b32_e32 v33, 16, v18
.LBB425_73:
	s_or_b64 exec, exec, s[6:7]
	v_lshlrev_b32_e32 v28, 8, v29
	s_and_saveexec_b64 s[6:7], vcc
	s_cbranch_execz .LBB425_75
; %bb.74:
	v_mov_b32_e32 v29, 0
	v_lshl_add_u64 v[18:19], v[24:25], 0, v[28:29]
	global_load_ushort v20, v[18:19], off
	v_lshl_add_u64 v[18:19], v[22:23], 0, v[28:29]
	s_waitcnt vmcnt(0)
	v_lshlrev_b32_e32 v20, 16, v20
	v_sub_f32_e32 v20, v20, v21
	global_store_short_d16_hi v[18:19], v20, off
	v_mul_f32_e32 v18, v34, v20
	v_lshrrev_b32_e32 v44, 16, v18
.LBB425_75:
	s_or_b64 exec, exec, s[6:7]
	v_lshlrev_b32_e32 v43, 5, v43
	s_mov_b32 s6, 0x5040100
	v_perm_b32 v45, v44, v33, s6
	v_perm_b32 v44, v31, v27, s6
	v_or_b32_e32 v27, v43, v38
	v_accvgpr_read_b32 v21, a3
	v_lshlrev_b32_e32 v27, 1, v27
	v_accvgpr_read_b32 v20, a2
	v_accvgpr_read_b32 v19, a1
	;; [unrolled: 1-line block ×3, first 2 shown]
	ds_write_b64 v27, v[44:45] offset:45056
	v_mov_b32_e32 v31, 0
	v_mov_b32_e32 v27, 0
	s_and_saveexec_b64 s[6:7], s[0:1]
	s_cbranch_execz .LBB425_77
; %bb.76:
	v_mov_b32_e32 v27, 0
	v_lshl_add_u64 v[44:45], v[24:25], 0, v[26:27]
	global_load_ushort v29, v[44:45], off offset:32
	v_lshl_add_u64 v[26:27], v[22:23], 0, v[26:27]
	s_waitcnt vmcnt(0)
	v_lshlrev_b32_e32 v29, 16, v29
	v_sub_f32_e32 v18, v29, v18
	global_store_short_d16_hi v[26:27], v18, off offset:32
	v_mul_f32_e32 v18, v37, v18
	v_lshrrev_b32_e32 v27, 16, v18
.LBB425_77:
	s_or_b64 exec, exec, s[6:7]
	s_and_saveexec_b64 s[0:1], s[4:5]
	s_cbranch_execz .LBB425_79
; %bb.78:
	v_mov_b32_e32 v31, 0
	v_lshl_add_u64 v[44:45], v[24:25], 0, v[30:31]
	global_load_ushort v18, v[44:45], off offset:32
	v_lshl_add_u64 v[30:31], v[22:23], 0, v[30:31]
	s_waitcnt vmcnt(0)
	v_lshlrev_b32_e32 v18, 16, v18
	v_sub_f32_e32 v18, v18, v19
	global_store_short_d16_hi v[30:31], v18, off offset:32
	v_mul_f32_e32 v18, v36, v18
	v_lshrrev_b32_e32 v31, 16, v18
.LBB425_79:
	s_or_b64 exec, exec, s[0:1]
	v_mov_b32_e32 v26, 0
	v_mov_b32_e32 v30, 0
	s_and_saveexec_b64 s[0:1], s[2:3]
	s_cbranch_execz .LBB425_81
; %bb.80:
	v_mov_b32_e32 v33, 0
	v_lshl_add_u64 v[18:19], v[24:25], 0, v[32:33]
	global_load_ushort v29, v[18:19], off offset:32
	v_lshl_add_u64 v[18:19], v[22:23], 0, v[32:33]
	s_waitcnt vmcnt(0)
	v_lshlrev_b32_e32 v29, 16, v29
	v_sub_f32_e32 v20, v29, v20
	global_store_short_d16_hi v[18:19], v20, off offset:32
	v_mul_f32_e32 v18, v42, v20
	v_lshrrev_b32_e32 v30, 16, v18
.LBB425_81:
	s_or_b64 exec, exec, s[0:1]
	v_or_b32_e32 v19, 0xb000, v40
	v_or_b32_e32 v18, 0xb000, v41
	s_and_saveexec_b64 s[0:1], vcc
	s_cbranch_execz .LBB425_83
; %bb.82:
	v_mov_b32_e32 v29, 0
	v_lshl_add_u64 v[24:25], v[24:25], 0, v[28:29]
	global_load_ushort v20, v[24:25], off offset:32
	v_lshl_add_u64 v[22:23], v[22:23], 0, v[28:29]
	s_waitcnt vmcnt(0)
	v_lshlrev_b32_e32 v20, 16, v20
	v_sub_f32_e32 v20, v20, v21
	global_store_short_d16_hi v[22:23], v20, off offset:32
	v_mul_f32_e32 v20, v34, v20
	v_lshrrev_b32_e32 v26, 16, v20
.LBB425_83:
	s_or_b64 exec, exec, s[0:1]
	s_mov_b32 s0, 0x5040100
	v_or_b32_e32 v22, v43, v35
	v_perm_b32 v21, v26, v30, s0
	v_perm_b32 v20, v31, v27, s0
	v_lshlrev_b32_e32 v22, 1, v22
	s_movk_i32 s0, 0x100
	ds_write_b64 v22, v[20:21] offset:45056
	v_and_b32_e32 v20, 7, v0
	v_and_b32_e32 v21, 8, v0
	v_cmp_gt_u32_e32 vcc, s0, v0
	v_lshrrev_b32_e32 v0, 1, v0
	v_lshlrev_b32_e32 v37, 3, v1
	v_and_b32_e32 v38, 24, v0
	v_lshlrev_b32_e32 v34, 3, v20
	v_lshlrev_b32_e32 v35, 7, v20
	v_mov_b32_e32 v20, 0x4000
	v_mov_b32_e32 v22, 0x2000
	v_xor_b32_e32 v0, v37, v38
	v_cndmask_b32_e32 v36, v20, v22, vcc
	v_or_b32_e32 v1, 0x440, v0
	v_cmp_eq_u32_e32 vcc, 0, v21
	s_waitcnt lgkmcnt(0)
	s_barrier
	v_cndmask_b32_e32 v0, v1, v0, vcc
	v_or_b32_e32 v0, v0, v39
	v_xad_u32 v40, v0, v34, v35
	v_add_u32_e32 v0, v36, v40
	ds_read_b64 v[0:1], v0
	ds_read2_b64 v[20:23], v19 offset1:16
	v_or_b32_e32 v24, 32, v38
	v_xor_b32_e32 v24, v37, v24
	v_or_b32_e32 v25, 0x440, v24
	v_cndmask_b32_e32 v24, v25, v24, vcc
	s_waitcnt lgkmcnt(0)
	v_mfma_f32_16x16x16_bf16 a[0:3], v[0:1], v[20:21], 0
	v_or_b32_e32 v24, v24, v39
	v_xad_u32 v41, v24, v34, v35
	v_add_u32_e32 v24, v36, v41
	v_mfma_f32_16x16x16_bf16 a[4:7], v[0:1], v[22:23], 0
	v_or_b32_e32 v0, 64, v38
	v_xor_b32_e32 v0, v37, v0
	v_xor_b32_e32 v1, 0x440, v0
	ds_read_b64 v[32:33], v24
	v_cndmask_b32_e32 v0, v1, v0, vcc
	v_or_b32_e32 v0, v0, v39
	v_xad_u32 v42, v0, v34, v35
	v_add_u32_e32 v0, v36, v42
	ds_read_b64 v[0:1], v0
	ds_read2st64_b64 v[24:27], v19 offset0:2 offset1:4
	ds_read2st64_b64 v[28:31], v18 offset0:2 offset1:4
	s_waitcnt lgkmcnt(1)
	v_mfma_f32_16x16x16_bf16 a[0:3], v[32:33], v[24:25], a[0:3]
	s_waitcnt lgkmcnt(0)
	v_mfma_f32_16x16x16_bf16 a[4:7], v[32:33], v[28:29], a[4:7]
	v_or_b32_e32 v32, 0x60, v38
	v_xor_b32_e32 v32, v37, v32
	v_xor_b32_e32 v33, 0x440, v32
	v_cndmask_b32_e32 v32, v33, v32, vcc
	v_or_b32_e32 v32, v32, v39
	v_xad_u32 v37, v32, v34, v35
	v_add_u32_e32 v32, v36, v37
	ds_read_b64 v[32:33], v32
	v_mfma_f32_16x16x16_bf16 a[0:3], v[0:1], v[26:27], a[0:3]
	v_exp_f32_e32 v36, s18
	v_mfma_f32_16x16x16_bf16 a[4:7], v[0:1], v[30:31], a[4:7]
	ds_read_b64 v[0:1], v19 offset:3072
	ds_read_b64 v[34:35], v18 offset:3072
	;; [unrolled: 1-line block ×3, first 2 shown]
	s_waitcnt lgkmcnt(0)
	v_mfma_f32_16x16x16_bf16 a[8:11], v[18:19], v[20:21], 0
	ds_read_b64 v[20:21], v41 offset:16384
	v_mfma_f32_16x16x16_bf16 a[0:3], v[32:33], v[0:1], a[0:3]
	v_mfma_f32_16x16x16_bf16 a[12:15], v[18:19], v[22:23], 0
	ds_read_b64 v[22:23], v42 offset:16384
	s_nop 4
	v_accvgpr_read_b32 v18, a0
	v_fma_f32 v18, v2, v36, v18
	v_accvgpr_read_b32 v2, a1
	v_fma_f32 v19, v3, v36, v2
	v_accvgpr_read_b32 v2, a2
	s_waitcnt lgkmcnt(1)
	v_mfma_f32_16x16x16_bf16 a[8:11], v[20:21], v[24:25], a[8:11]
	v_mfma_f32_16x16x16_bf16 a[12:15], v[20:21], v[28:29], a[12:15]
	v_fma_f32 v20, v4, v36, v2
	ds_read_b64 v[2:3], v37 offset:16384
	v_accvgpr_read_b32 v21, a3
	s_waitcnt lgkmcnt(1)
	v_mfma_f32_16x16x16_bf16 a[0:3], v[22:23], v[26:27], a[8:11]
	v_fmac_f32_e32 v21, v5, v36
	v_mfma_f32_16x16x16_bf16 a[4:7], v[32:33], v[34:35], a[4:7]
	v_mfma_f32_16x16x16_bf16 a[8:11], v[22:23], v[30:31], a[12:15]
	s_waitcnt lgkmcnt(0)
	v_mfma_f32_16x16x16_bf16 a[0:3], v[2:3], v[0:1], a[0:3]
	s_nop 3
	v_accvgpr_read_b32 v4, a4
	v_fma_f32 v26, v10, v36, v4
	v_accvgpr_read_b32 v4, a5
	v_fma_f32 v27, v11, v36, v4
	v_accvgpr_read_b32 v4, a6
	v_accvgpr_read_b32 v29, a7
	v_mfma_f32_16x16x16_bf16 a[4:7], v[2:3], v[34:35], a[8:11]
	v_accvgpr_read_b32 v0, a0
	v_fma_f32 v22, v6, v36, v0
	v_accvgpr_read_b32 v0, a1
	v_fma_f32 v23, v7, v36, v0
	;; [unrolled: 2-line block ×3, first 2 shown]
	v_accvgpr_read_b32 v25, a3
	v_accvgpr_read_b32 v0, a4
	v_fma_f32 v30, v14, v36, v0
	v_accvgpr_read_b32 v0, a5
	v_fma_f32 v31, v15, v36, v0
	v_accvgpr_read_b32 v0, a6
	v_accvgpr_read_b32 v33, a7
	v_fma_f32 v28, v12, v36, v4
	v_fmac_f32_e32 v29, v13, v36
	v_fmac_f32_e32 v25, v9, v36
	v_fma_f32 v32, v16, v36, v0
	v_fmac_f32_e32 v33, v17, v36
	v_mov_b64_e32 v[2:3], v[18:19]
	v_mov_b64_e32 v[4:5], v[20:21]
	v_mov_b64_e32 v[6:7], v[22:23]
	v_mov_b64_e32 v[8:9], v[24:25]
	v_mov_b64_e32 v[10:11], v[26:27]
	v_mov_b64_e32 v[12:13], v[28:29]
	v_mov_b64_e32 v[14:15], v[30:31]
	v_mov_b64_e32 v[16:17], v[32:33]
.LBB425_84:
	s_add_u32 s0, s10, s34
	s_addc_u32 s1, s11, s35
	v_lshl_add_u64 v[0:1], v[52:53], 2, s[0:1]
	v_mov_b32_e32 v51, 0
	v_lshl_add_u64 v[0:1], v[0:1], 0, v[50:51]
	s_waitcnt vmcnt(3)
	global_store_dwordx4 v[0:1], v[2:5], off
	s_waitcnt vmcnt(3)
	global_store_dwordx4 v[0:1], v[6:9], off offset:256
	v_lshl_add_u64 v[0:1], v[54:55], 2, s[0:1]
	v_lshl_add_u64 v[0:1], v[0:1], 0, v[50:51]
	s_waitcnt vmcnt(3)
	global_store_dwordx4 v[0:1], v[10:13], off
	s_waitcnt vmcnt(3)
	global_store_dwordx4 v[0:1], v[14:17], off offset:256
	s_endpgm
	.section	.rodata,"a",@progbits
	.p2align	6, 0x0
	.amdhsa_kernel _ZN12_GLOBAL__N_139chunk_gated_delta_rule_fwd_h_hip_kernelILi32ELb1ELb1ELb1ELb0ELb1ELb0ELb1ELb0EEEvPK12hip_bfloat16S3_S3_PKfS5_PKvPS1_S8_PvPKiSB_iiiiilll
		.amdhsa_group_segment_fixed_size 49152
		.amdhsa_private_segment_fixed_size 0
		.amdhsa_kernarg_size 136
		.amdhsa_user_sgpr_count 2
		.amdhsa_user_sgpr_dispatch_ptr 0
		.amdhsa_user_sgpr_queue_ptr 0
		.amdhsa_user_sgpr_kernarg_segment_ptr 1
		.amdhsa_user_sgpr_dispatch_id 0
		.amdhsa_user_sgpr_kernarg_preload_length 0
		.amdhsa_user_sgpr_kernarg_preload_offset 0
		.amdhsa_user_sgpr_private_segment_size 0
		.amdhsa_uses_dynamic_stack 0
		.amdhsa_enable_private_segment 0
		.amdhsa_system_sgpr_workgroup_id_x 1
		.amdhsa_system_sgpr_workgroup_id_y 1
		.amdhsa_system_sgpr_workgroup_id_z 0
		.amdhsa_system_sgpr_workgroup_info 0
		.amdhsa_system_vgpr_workitem_id 0
		.amdhsa_next_free_vgpr 156
		.amdhsa_next_free_sgpr 74
		.amdhsa_accum_offset 140
		.amdhsa_reserve_vcc 1
		.amdhsa_float_round_mode_32 0
		.amdhsa_float_round_mode_16_64 0
		.amdhsa_float_denorm_mode_32 3
		.amdhsa_float_denorm_mode_16_64 3
		.amdhsa_dx10_clamp 1
		.amdhsa_ieee_mode 1
		.amdhsa_fp16_overflow 0
		.amdhsa_tg_split 0
		.amdhsa_exception_fp_ieee_invalid_op 0
		.amdhsa_exception_fp_denorm_src 0
		.amdhsa_exception_fp_ieee_div_zero 0
		.amdhsa_exception_fp_ieee_overflow 0
		.amdhsa_exception_fp_ieee_underflow 0
		.amdhsa_exception_fp_ieee_inexact 0
		.amdhsa_exception_int_div_zero 0
	.end_amdhsa_kernel
	.section	.text._ZN12_GLOBAL__N_139chunk_gated_delta_rule_fwd_h_hip_kernelILi32ELb1ELb1ELb1ELb0ELb1ELb0ELb1ELb0EEEvPK12hip_bfloat16S3_S3_PKfS5_PKvPS1_S8_PvPKiSB_iiiiilll,"axG",@progbits,_ZN12_GLOBAL__N_139chunk_gated_delta_rule_fwd_h_hip_kernelILi32ELb1ELb1ELb1ELb0ELb1ELb0ELb1ELb0EEEvPK12hip_bfloat16S3_S3_PKfS5_PKvPS1_S8_PvPKiSB_iiiiilll,comdat
.Lfunc_end425:
	.size	_ZN12_GLOBAL__N_139chunk_gated_delta_rule_fwd_h_hip_kernelILi32ELb1ELb1ELb1ELb0ELb1ELb0ELb1ELb0EEEvPK12hip_bfloat16S3_S3_PKfS5_PKvPS1_S8_PvPKiSB_iiiiilll, .Lfunc_end425-_ZN12_GLOBAL__N_139chunk_gated_delta_rule_fwd_h_hip_kernelILi32ELb1ELb1ELb1ELb0ELb1ELb0ELb1ELb0EEEvPK12hip_bfloat16S3_S3_PKfS5_PKvPS1_S8_PvPKiSB_iiiiilll
                                        ; -- End function
	.section	.AMDGPU.csdata,"",@progbits
; Kernel info:
; codeLenInByte = 9484
; NumSgprs: 80
; NumVgprs: 138
; NumAgprs: 16
; TotalNumVgprs: 156
; ScratchSize: 0
; MemoryBound: 0
; FloatMode: 240
; IeeeMode: 1
; LDSByteSize: 49152 bytes/workgroup (compile time only)
; SGPRBlocks: 9
; VGPRBlocks: 19
; NumSGPRsForWavesPerEU: 80
; NumVGPRsForWavesPerEU: 156
; AccumOffset: 140
; Occupancy: 1
; WaveLimiterHint : 1
; COMPUTE_PGM_RSRC2:SCRATCH_EN: 0
; COMPUTE_PGM_RSRC2:USER_SGPR: 2
; COMPUTE_PGM_RSRC2:TRAP_HANDLER: 0
; COMPUTE_PGM_RSRC2:TGID_X_EN: 1
; COMPUTE_PGM_RSRC2:TGID_Y_EN: 1
; COMPUTE_PGM_RSRC2:TGID_Z_EN: 0
; COMPUTE_PGM_RSRC2:TIDIG_COMP_CNT: 0
; COMPUTE_PGM_RSRC3_GFX90A:ACCUM_OFFSET: 34
; COMPUTE_PGM_RSRC3_GFX90A:TG_SPLIT: 0
	.section	.text._ZN12_GLOBAL__N_139chunk_gated_delta_rule_fwd_h_hip_kernelILi32ELb1ELb1ELb0ELb0ELb1ELb0ELb1ELb0EEEvPK12hip_bfloat16S3_S3_PKfS5_PKvPS1_S8_PvPKiSB_iiiiilll,"axG",@progbits,_ZN12_GLOBAL__N_139chunk_gated_delta_rule_fwd_h_hip_kernelILi32ELb1ELb1ELb0ELb0ELb1ELb0ELb1ELb0EEEvPK12hip_bfloat16S3_S3_PKfS5_PKvPS1_S8_PvPKiSB_iiiiilll,comdat
	.globl	_ZN12_GLOBAL__N_139chunk_gated_delta_rule_fwd_h_hip_kernelILi32ELb1ELb1ELb0ELb0ELb1ELb0ELb1ELb0EEEvPK12hip_bfloat16S3_S3_PKfS5_PKvPS1_S8_PvPKiSB_iiiiilll ; -- Begin function _ZN12_GLOBAL__N_139chunk_gated_delta_rule_fwd_h_hip_kernelILi32ELb1ELb1ELb0ELb0ELb1ELb0ELb1ELb0EEEvPK12hip_bfloat16S3_S3_PKfS5_PKvPS1_S8_PvPKiSB_iiiiilll
	.p2align	8
	.type	_ZN12_GLOBAL__N_139chunk_gated_delta_rule_fwd_h_hip_kernelILi32ELb1ELb1ELb0ELb0ELb1ELb0ELb1ELb0EEEvPK12hip_bfloat16S3_S3_PKfS5_PKvPS1_S8_PvPKiSB_iiiiilll,@function
_ZN12_GLOBAL__N_139chunk_gated_delta_rule_fwd_h_hip_kernelILi32ELb1ELb1ELb0ELb0ELb1ELb0ELb1ELb0EEEvPK12hip_bfloat16S3_S3_PKfS5_PKvPS1_S8_PvPKiSB_iiiiilll: ; @_ZN12_GLOBAL__N_139chunk_gated_delta_rule_fwd_h_hip_kernelILi32ELb1ELb1ELb0ELb0ELb1ELb0ELb1ELb0EEEvPK12hip_bfloat16S3_S3_PKfS5_PKvPS1_S8_PvPKiSB_iiiiilll
; %bb.0:
	s_load_dwordx4 s[12:15], s[0:1], 0x5c
	s_load_dwordx4 s[20:23], s[0:1], 0x70
	s_abs_i32 s6, s3
	s_ashr_i32 s5, s3, 31
	s_load_dwordx4 s[16:19], s[0:1], 0x28
	s_waitcnt lgkmcnt(0)
	s_abs_i32 s4, s13
	v_cvt_f32_u32_e32 v1, s4
	s_sub_i32 s8, 0, s4
	s_ashr_i32 s7, s13, 31
	s_xor_b32 s5, s5, s7
	v_rcp_iflag_f32_e32 v1, v1
	v_and_b32_e32 v66, 15, v0
	v_bfe_u32 v65, v0, 4, 2
	v_mov_b32_e32 v51, 0
	v_mul_f32_e32 v1, 0x4f7ffffe, v1
	v_cvt_u32_f32_e32 v1, v1
	v_lshlrev_b32_e32 v67, 3, v0
	v_readfirstlane_b32 s9, v1
	s_mul_i32 s8, s8, s9
	s_mul_hi_u32 s8, s9, s8
	s_add_i32 s9, s9, s8
	s_mul_hi_u32 s8, s6, s9
	s_mul_i32 s9, s8, s4
	s_sub_i32 s6, s6, s9
	s_add_i32 s10, s8, 1
	s_sub_i32 s9, s6, s4
	s_cmp_ge_u32 s6, s4
	s_cselect_b32 s8, s10, s8
	s_cselect_b32 s6, s9, s6
	s_add_i32 s9, s8, 1
	s_cmp_ge_u32 s6, s4
	s_cselect_b32 s6, s9, s8
	s_xor_b32 s6, s6, s5
	s_add_i32 s8, s12, 63
	s_sub_i32 s52, s6, s5
	s_ashr_i32 s9, s8, 31
	s_mul_i32 s5, s52, s13
	s_sub_i32 s50, s3, s5
	s_lshr_b32 s3, s9, 26
	s_add_i32 s8, s8, s3
	s_abs_i32 s3, s14
	v_cvt_f32_u32_e32 v1, s3
	s_ashr_i32 s51, s12, 31
	s_lshr_b32 s6, s51, 26
	s_add_i32 s6, s12, s6
	v_rcp_iflag_f32_e32 v1, v1
	s_ashr_i32 s55, s14, 31
	s_ashr_i32 s24, s8, 6
	;; [unrolled: 1-line block ×3, first 2 shown]
	v_mul_f32_e32 v1, 0x4f7ffffe, v1
	v_cvt_u32_f32_e32 v1, v1
	s_xor_b32 s6, s7, s55
	s_sub_i32 s7, 0, s3
	s_lshl_b32 s2, s2, 5
	v_readfirstlane_b32 s8, v1
	s_mul_i32 s7, s7, s8
	s_mul_hi_u32 s7, s8, s7
	s_add_i32 s8, s8, s7
	s_mul_hi_u32 s7, s4, s8
	s_mul_i32 s8, s7, s3
	s_sub_i32 s4, s4, s8
	s_add_i32 s8, s7, 1
	s_sub_i32 s9, s4, s3
	s_cmp_ge_u32 s4, s3
	s_cselect_b32 s7, s8, s7
	s_cselect_b32 s4, s9, s4
	s_add_i32 s8, s7, 1
	s_cmp_ge_u32 s4, s3
	s_cselect_b32 s3, s8, s7
	s_xor_b32 s3, s3, s6
	s_sub_i32 s3, s3, s6
	s_abs_i32 s4, s3
	v_cvt_f32_u32_e32 v1, s4
	s_sub_i32 s7, 0, s4
	s_abs_i32 s6, s50
	s_xor_b32 s3, s50, s3
	v_rcp_iflag_f32_e32 v2, v1
	s_ashr_i32 s3, s3, 31
	v_lshrrev_b32_e32 v1, 6, v0
	v_or_b32_e32 v56, s2, v66
	v_mul_f32_e32 v2, 0x4f7ffffe, v2
	v_cvt_u32_f32_e32 v2, v2
	v_lshlrev_b32_e32 v64, 4, v1
	v_lshlrev_b32_e32 v52, 7, v56
	v_lshl_or_b32 v69, v65, 2, v64
	v_readfirstlane_b32 s8, v2
	s_mul_i32 s7, s7, s8
	s_mul_hi_u32 s7, s8, s7
	s_add_i32 s8, s8, s7
	s_mul_hi_u32 s7, s6, s8
	s_mul_i32 s8, s7, s4
	s_sub_i32 s6, s6, s8
	s_add_i32 s8, s7, 1
	s_sub_i32 s9, s6, s4
	s_cmp_ge_u32 s6, s4
	s_cselect_b32 s7, s8, s7
	s_cselect_b32 s6, s9, s6
	s_add_i32 s8, s7, 1
	s_cmp_ge_u32 s6, s4
	s_cselect_b32 s4, s8, s7
	s_xor_b32 s4, s4, s3
	s_sub_i32 s56, s4, s3
	s_ashr_i32 s3, s52, 31
	s_ashr_i32 s54, s50, 31
	s_mul_hi_i32 s4, s52, s13
	s_add_u32 s40, s5, s50
	s_addc_u32 s41, s4, s54
	s_lshl_b64 s[28:29], s[40:41], 16
	s_add_u32 s4, s16, s28
	s_addc_u32 s5, s17, s29
	v_ashrrev_i32_e32 v53, 31, v52
	v_lshl_add_u64 v[2:3], v[52:53], 2, s[4:5]
	v_lshlrev_b32_e32 v50, 2, v69
	v_or_b32_e32 v54, 0x800, v52
	v_lshl_add_u64 v[10:11], v[2:3], 0, v[50:51]
	v_ashrrev_i32_e32 v55, 31, v54
	global_load_dwordx4 v[2:5], v[10:11], off
	global_load_dwordx4 v[6:9], v[10:11], off offset:256
	v_lshl_add_u64 v[10:11], v[54:55], 2, s[4:5]
	v_lshl_add_u64 v[18:19], v[10:11], 0, v[50:51]
	global_load_dwordx4 v[10:13], v[18:19], off
	global_load_dwordx4 v[14:17], v[18:19], off offset:256
	s_load_dwordx2 s[30:31], s[0:1], 0x40
	s_load_dwordx8 s[4:11], s[0:1], 0x0
	s_load_dwordx2 s[34:35], s[0:1], 0x80
	v_and_b32_e32 v51, 63, v0
	s_mul_i32 s57, s52, s24
	v_or_b32_e32 v70, 64, v69
	s_cmp_lt_i32 s12, 64
	v_lshrrev_b32_e32 v68, 3, v51
	s_mul_i32 s58, s41, s12
	s_mul_hi_u32 s59, s40, s12
	s_mul_i32 s16, s40, s12
	s_mul_i32 s33, s52, s21
	s_mul_hi_u32 s46, s52, s20
	s_mul_i32 s47, s3, s20
	s_mul_i32 s36, s52, s20
	;; [unrolled: 1-line block ×3, first 2 shown]
	s_mul_hi_u32 s48, s50, s22
	s_mul_i32 s49, s54, s22
	s_mul_i32 s38, s50, s22
	s_cbranch_scc1 .LBB426_19
; %bb.1:
	s_add_i32 s17, s59, s58
	s_lshl_b64 s[0:1], s[16:17], 8
	v_and_b32_e32 v72, 56, v67
	s_waitcnt lgkmcnt(0)
	s_add_u32 s20, s6, s0
	v_lshl_or_b32 v71, v1, 3, v68
	v_lshlrev_b32_e32 v18, 1, v72
	s_addc_u32 s0, s7, s1
	v_lshl_or_b32 v73, v71, 8, v18
	s_and_b32 s21, s0, 0xffff
	s_mov_b32 s23, 0x20000
	s_movk_i32 s22, 0x4000
	s_movk_i32 s0, 0x80
	v_or_b32_e32 v74, 0x2000, v73
	buffer_load_dwordx4 v[20:23], v73, s[20:23], 0 offen
	buffer_load_dwordx4 v[24:27], v73, s[20:23], s0 offen
	;; [unrolled: 1-line block ×4, first 2 shown]
	v_lshlrev_b32_e32 v19, 3, v71
	v_and_or_b32 v37, v0, 7, v19
	v_and_b32_e32 v19, 0x78, v19
	v_lshlrev_b32_e32 v37, 4, v37
	v_xor_b32_e32 v75, v37, v19
	v_mul_lo_u32 v36, v71, s15
	v_or_b32_e32 v76, 0x1000, v75
	v_xor_b32_e32 v19, 8, v75
	s_cmpk_eq_i32 s15, 0x80
	s_mov_b32 s60, s14
	v_xor_b32_e32 v37, 8, v76
	s_cselect_b64 s[0:1], -1, 0
	s_cmpk_lg_i32 s15, 0x80
	s_waitcnt vmcnt(3)
	ds_write_b64 v75, v[20:21] offset:24576
	ds_write_b64 v19, v[22:23] offset:24576
	s_waitcnt vmcnt(2)
	ds_write_b64 v75, v[24:25] offset:32768
	ds_write_b64 v19, v[26:27] offset:32768
	;; [unrolled: 3-line block ×4, first 2 shown]
	v_lshl_add_u32 v19, v36, 1, v72
	s_cbranch_scc0 .LBB426_3
; %bb.2:
	v_lshlrev_b32_e32 v21, 1, v19
	v_add_lshl_u32 v20, v19, s15, 1
	s_lshl_b32 s22, s15, 7
	v_lshl_or_b32 v18, v71, 9, v18
	s_cbranch_execz .LBB426_4
	s_branch .LBB426_5
.LBB426_3:
                                        ; implicit-def: $vgpr20
                                        ; implicit-def: $vgpr21
                                        ; implicit-def: $sgpr22
	v_lshl_or_b32 v18, v71, 9, v18
.LBB426_4:
	v_or_b32_e32 v20, 0x100, v18
	s_movk_i32 s22, 0x4000
	v_mov_b32_e32 v21, v18
.LBB426_5:
	s_mul_hi_u32 s20, s14, s12
	s_mul_i32 s21, s55, s12
	s_add_i32 s20, s20, s21
	s_mul_i32 s21, s14, s12
	s_mul_i32 s23, s21, s3
	s_mul_hi_u32 s24, s21, s52
	s_add_i32 s23, s24, s23
	s_mul_i32 s20, s20, s52
	s_add_i32 s23, s23, s20
	s_mul_i32 s21, s21, s52
	s_ashr_i32 s61, s56, 31
	s_add_u32 s20, s21, s56
	s_addc_u32 s21, s23, s61
	s_lshl_b64 s[20:21], s[20:21], 8
	s_add_u32 s20, s4, s20
	s_addc_u32 s21, s5, s21
	s_and_b32 s21, s21, 0xffff
	s_mov_b32 s23, 0x20000
	s_movk_i32 s62, 0x80
	buffer_load_dwordx4 v[22:25], v21, s[20:23], 0 offen
	buffer_load_dwordx4 v[26:29], v21, s[20:23], s62 offen
	buffer_load_dwordx4 v[30:33], v20, s[20:23], 0 offen
	buffer_load_dwordx4 v[34:37], v20, s[20:23], s62 offen
	v_and_b32_e32 v20, 6, v0
	v_lshlrev_b32_e32 v39, 6, v69
	v_or_b32_e32 v41, 16, v66
	v_xor_b32_e32 v42, v71, v20
	v_and_b32_e32 v21, 1, v0
	v_lshl_or_b32 v45, v66, 3, v39
	v_lshl_or_b32 v39, v41, 3, v39
	v_lshlrev_b32_e32 v42, 2, v42
	s_mul_i32 s3, s3, s12
	s_mul_hi_u32 s20, s52, s12
	v_lshlrev_b32_e32 v38, 2, v66
	v_or_b32_e32 v79, 0xa000, v39
	v_or_b32_e32 v80, 0xb000, v39
	v_xor_b32_e32 v39, 0x440, v42
	v_cmp_eq_u32_e32 vcc, 0, v21
	v_xor_b32_e32 v43, v69, v38
	v_xor_b32_e32 v44, v70, v38
	v_cndmask_b32_e32 v21, v39, v42, vcc
	s_add_i32 s67, s20, s3
	s_add_i32 s3, s46, s33
	s_mov_b32 s64, 0x1000504
	v_lshlrev_b32_e32 v40, 8, v66
	v_lshlrev_b32_e32 v43, 1, v43
	;; [unrolled: 1-line block ×3, first 2 shown]
	v_lshl_or_b32 v20, v20, 10, v21
	s_add_i32 s37, s3, s47
	s_add_i32 s3, s48, s41
	s_mov_b32 s65, 0x3020706
	v_or_b32_e32 v77, 0xa000, v45
	v_or_b32_e32 v78, 0xb000, v45
	;; [unrolled: 1-line block ×4, first 2 shown]
	v_xor_b32_e32 v21, 8, v20
	v_xor_b32_e32 v40, 24, v20
	;; [unrolled: 1-line block ×4, first 2 shown]
	s_add_i32 s39, s3, s49
	s_lshl_b64 s[20:21], s[36:37], 2
	v_xor_b32_e32 v39, 16, v20
	v_xor_b32_e32 v42, 32, v20
	v_xor_b32_e32 v46, 48, v20
	v_add_u32_e32 v21, 0x80, v21
	v_add_u32_e32 v40, 0x80, v40
	v_add_u32_e32 v45, 0x80, v45
	v_add_u32_e32 v47, 0x80, v47
	s_add_u32 s3, s10, s20
	s_addc_u32 s22, s11, s21
	s_lshl_b64 s[20:21], s[38:39], 2
	s_add_u32 s42, s3, s20
	s_movk_i32 s3, 0xf8
	s_addc_u32 s43, s22, s21
	s_lshl_b32 s26, s15, 7
	s_movk_i32 s24, 0x100
	v_mov_b32_e32 v59, 0
	v_lshlrev_b32_e32 v58, 4, v66
	v_cmp_gt_u32_e32 vcc, s24, v0
	v_ashrrev_i32_e32 v57, 31, v56
	s_mov_b32 s63, 0
	s_mul_i32 s66, s52, s12
	s_movk_i32 s37, 0x1000
	s_movk_i32 s22, 0x4000
	v_lshl_add_u64 v[60:61], v[56:57], 1, s[8:9]
	s_mov_b32 s68, 0
	s_waitcnt vmcnt(1)
	v_perm_b32 v48, v22, v30, s64
	s_waitcnt vmcnt(0)
	v_perm_b32 v49, v26, v34, s64
	v_perm_b32 v22, v22, v30, s65
	;; [unrolled: 1-line block ×15, first 2 shown]
	ds_write2st64_b32 v20, v48, v49 offset0:32 offset1:64
	ds_write2st64_b32 v21, v22, v26 offset0:32 offset1:64
	;; [unrolled: 1-line block ×8, first 2 shown]
	v_lshlrev_b32_e32 v20, 8, v41
	v_or_b32_e32 v83, v20, v43
	v_or_b32_e32 v84, v20, v44
	;; [unrolled: 1-line block ×3, first 2 shown]
	v_lshlrev_b32_e32 v20, 3, v20
	v_lshrrev_b32_e32 v23, 5, v51
	v_and_or_b32 v23, v20, s3, v23
	v_lshlrev_b32_e32 v23, 4, v23
	v_lshlrev_b32_e32 v21, 11, v1
	v_and_b32_e32 v20, 0x78, v20
	v_or_b32_e32 v28, 32, v23
	v_and_b32_e32 v22, 0x1000, v21
	v_lshrrev_b32_e32 v25, 1, v0
	v_xor_b32_e32 v28, v28, v20
	v_and_b32_e32 v26, 8, v25
	v_or_b32_e32 v28, v28, v22
	v_xor_b32_e32 v24, v23, v20
	v_xor_b32_e32 v87, v28, v26
	v_or_b32_e32 v28, 64, v23
	v_or_b32_e32 v23, 0x60, v23
	s_ashr_i32 s3, s2, 31
	v_xor_b32_e32 v28, v28, v20
	v_xor_b32_e32 v20, v23, v20
	s_lshl_b64 s[20:21], s[2:3], 8
	v_or_b32_e32 v24, v24, v22
	v_or_b32_e32 v28, v28, v22
	;; [unrolled: 1-line block ×3, first 2 shown]
	s_add_u32 s20, s18, s20
	v_lshlrev_b32_e32 v22, 1, v66
	v_xor_b32_e32 v89, v28, v26
	v_lshrrev_b32_e32 v28, 4, v0
	s_addc_u32 s21, s19, s21
	v_or_b32_e32 v23, 1, v22
	v_mov_b32_e32 v32, 0x4000
	v_mov_b32_e32 v33, 0x2000
	v_xor_b32_e32 v29, v28, v22
	v_xor_b32_e32 v30, v23, v28
	v_lshl_add_u64 v[22:23], s[20:21], 0, v[58:59]
	v_lshlrev_b32_e32 v58, 8, v28
	v_cndmask_b32_e32 v32, v32, v33, vcc
	v_lshlrev_b32_e32 v33, 3, v1
	v_and_b32_e32 v25, 24, v25
	v_lshl_or_b32 v93, v29, 3, v58
	v_and_b32_e32 v29, 8, v0
	v_xor_b32_e32 v34, v33, v25
	v_or_b32_e32 v35, 0x440, v34
	v_cmp_eq_u32_e32 vcc, 0, v29
	v_and_b32_e32 v28, 7, v0
	v_xor_b32_e32 v85, v24, v26
	v_cndmask_b32_e32 v29, v35, v34, vcc
	v_lshlrev_b32_e32 v24, 7, v65
	v_lshl_or_b32 v94, v30, 3, v58
	v_lshlrev_b32_e32 v30, 3, v28
	v_lshlrev_b32_e32 v28, 7, v28
	;; [unrolled: 1-line block ×3, first 2 shown]
	v_or_b32_e32 v29, v29, v21
	v_or_b32_e32 v27, v24, v38
	v_xad_u32 v95, v29, v30, v28
	v_and_or_b32 v24, v31, 60, v24
	v_mov_b32_e32 v29, 0xb000
	v_lshl_or_b32 v96, v24, 1, v29
	v_or_b32_e32 v24, 32, v25
	v_xor_b32_e32 v24, v33, v24
	v_or_b32_e32 v29, 0x440, v24
	v_cndmask_b32_e32 v24, v29, v24, vcc
	v_or_b32_e32 v24, v24, v21
	v_xad_u32 v97, v24, v30, v28
	v_or_b32_e32 v24, 64, v25
	v_xor_b32_e32 v24, v33, v24
	v_xor_b32_e32 v29, 0x440, v24
	v_cndmask_b32_e32 v24, v29, v24, vcc
	v_or_b32_e32 v24, v24, v21
	v_xad_u32 v98, v24, v30, v28
	v_or_b32_e32 v24, 0x60, v25
	v_xor_b32_e32 v24, v33, v24
	v_xor_b32_e32 v25, 0x440, v24
	v_cndmask_b32_e32 v24, v25, v24, vcc
	v_lshlrev_b32_e32 v27, 1, v27
	v_or_b32_e32 v21, v24, v21
	v_or_b32_e32 v86, 0xa000, v27
	;; [unrolled: 1-line block ×3, first 2 shown]
	v_xor_b32_e32 v90, v20, v26
	v_or_b32_e32 v91, 0xb000, v27
	v_or_b32_e32 v92, 0xb080, v27
	v_lshlrev_b32_e32 v20, 7, v69
	v_lshlrev_b32_e32 v26, 1, v19
	v_add_lshl_u32 v19, v19, s15, 1
	v_or_b32_e32 v27, 0x100, v18
	v_xad_u32 v99, v21, v30, v28
	v_cndmask_b32_e64 v100, v26, v18, s[0:1]
	v_cndmask_b32_e64 v101, v19, v27, s[0:1]
	v_lshl_add_u64 v[62:63], v[22:23], 0, v[58:59]
	s_mov_b32 s3, 0x7060302
	v_lshlrev_b32_e32 v58, 1, v20
	v_add_u32_e32 v57, v32, v95
	v_add_u32_e32 v102, v32, v97
	;; [unrolled: 1-line block ×4, first 2 shown]
	s_waitcnt lgkmcnt(0)
	s_barrier
.LBB426_6:                              ; =>This Inner Loop Header: Depth=1
	s_add_i32 s39, s68, 1
	s_cmp_lt_i32 s39, s53
	s_mov_b64 s[24:25], 0
	s_cselect_b64 s[44:45], -1, 0
	s_cmp_ge_i32 s39, s53
	s_mov_b64 s[20:21], 0
	s_cbranch_scc1 .LBB426_8
; %bb.7:                                ;   in Loop: Header=BB426_6 Depth=1
	s_add_i32 s0, s63, 64
	s_add_u32 s0, s16, s0
	s_addc_u32 s1, s17, 0
	s_lshl_b64 s[0:1], s[0:1], 8
	s_add_u32 s20, s6, s0
	s_addc_u32 s21, s7, s1
.LBB426_8:                              ;   in Loop: Header=BB426_6 Depth=1
	v_cndmask_b32_e64 v18, 0, 1, s[44:45]
	v_cmp_ne_u32_e64 s[0:1], 1, v18
	s_andn2_b64 vcc, exec, s[44:45]
	s_cbranch_vccnz .LBB426_10
; %bb.9:                                ;   in Loop: Header=BB426_6 Depth=1
	s_add_i32 s24, s63, 64
	s_add_u32 s24, s66, s24
	s_addc_u32 s25, s67, 0
	s_mul_i32 s27, s24, s55
	s_mul_hi_u32 s44, s24, s60
	s_add_i32 s27, s44, s27
	s_mul_i32 s25, s25, s60
	s_add_i32 s27, s27, s25
	s_mul_i32 s24, s24, s60
	s_add_u32 s24, s24, s56
	s_addc_u32 s25, s27, s61
	s_lshl_b64 s[24:25], s[24:25], 8
	s_add_u32 s24, s4, s24
	s_addc_u32 s25, s5, s25
.LBB426_10:                             ;   in Loop: Header=BB426_6 Depth=1
	v_perm_b32 v19, v5, v4, s3
	v_perm_b32 v18, v3, v2, s3
	;; [unrolled: 1-line block ×4, first 2 shown]
	ds_write_b64 v77, v[18:19]
	ds_write_b64 v78, v[20:21]
	;; [unrolled: 1-line block ×4, first 2 shown]
	v_perm_b32 v19, v13, v12, s3
	v_perm_b32 v18, v11, v10, s3
	;; [unrolled: 1-line block ×4, first 2 shown]
	ds_write_b64 v79, v[18:19]
	ds_write_b64 v80, v[20:21]
	;; [unrolled: 1-line block ×4, first 2 shown]
	s_waitcnt lgkmcnt(0)
	s_barrier
	ds_read_b64 v[22:23], v85 offset:24576
	ds_read2_b64 v[18:21], v86 offset1:16
	ds_read_b64 v[26:27], v88 offset:3072
	ds_read_b64 v[28:29], v86 offset:3072
	;; [unrolled: 1-line block ×3, first 2 shown]
	s_waitcnt lgkmcnt(3)
	v_mfma_f32_16x16x16_bf16 a[0:3], v[22:23], v[18:19], 0
	s_add_i32 s27, s63, 63
	s_mul_i32 s44, s27, s35
	s_mul_hi_u32 s45, s27, s34
	v_mfma_f32_16x16x16_bf16 a[4:7], v[22:23], v[20:21], 0
	ds_read2st64_b64 v[18:21], v86 offset0:2 offset1:4
	ds_read2st64_b64 v[22:25], v88 offset0:2 offset1:4
	s_add_i32 s45, s45, s44
	s_waitcnt lgkmcnt(1)
	v_mfma_f32_16x16x16_bf16 a[0:3], v[30:31], v[18:19], a[0:3]
	s_mul_i32 s44, s27, s34
	s_lshl_b64 s[44:45], s[44:45], 2
	s_add_u32 s44, s42, s44
	s_waitcnt lgkmcnt(0)
	v_mfma_f32_16x16x16_bf16 a[4:7], v[30:31], v[22:23], a[4:7]
	ds_read_b64 v[18:19], v89 offset:24576
	ds_read_b64 v[22:23], v90 offset:24576
	s_addc_u32 s45, s43, s45
	s_and_b64 vcc, exec, s[0:1]
	s_waitcnt lgkmcnt(1)
	v_mfma_f32_16x16x16_bf16 a[0:3], v[18:19], v[20:21], a[0:3]
	v_mov_b32_e32 v107, 0
	v_mov_b32_e32 v106, 0
	;; [unrolled: 1-line block ×3, first 2 shown]
	v_mfma_f32_16x16x16_bf16 a[4:7], v[18:19], v[24:25], a[4:7]
	v_mov_b32_e32 v18, 0
	v_mov_b32_e32 v19, 0
	;; [unrolled: 1-line block ×3, first 2 shown]
	s_waitcnt lgkmcnt(0)
	v_mfma_f32_16x16x16_bf16 a[0:3], v[22:23], v[28:29], a[0:3]
	v_mov_b32_e32 v21, 0
	v_mov_b32_e32 v24, 0
	;; [unrolled: 1-line block ×3, first 2 shown]
	v_mfma_f32_16x16x16_bf16 a[4:7], v[22:23], v[26:27], a[4:7]
	v_mov_b32_e32 v22, 0
	v_mov_b32_e32 v23, 0
	;; [unrolled: 1-line block ×10, first 2 shown]
	s_cbranch_vccnz .LBB426_12
; %bb.11:                               ;   in Loop: Header=BB426_6 Depth=1
	s_and_b32 s21, s21, 0xffff
	buffer_load_dwordx4 v[30:33], v73, s[20:23], 0 offen
	buffer_load_dwordx4 v[26:29], v73, s[20:23], s62 offen
	buffer_load_dwordx4 v[22:25], v74, s[20:23], 0 offen
	buffer_load_dwordx4 v[18:21], v74, s[20:23], s62 offen
	v_mov_b32_e32 v106, v75
	v_mov_b32_e32 v105, v76
.LBB426_12:                             ;   in Loop: Header=BB426_6 Depth=1
	ds_read_b64 v[38:39], v85 offset:32768
	ds_read2_b64 v[34:37], v91 offset1:16
	ds_read_b64 v[42:43], v87 offset:32768
	ds_read_b64 v[44:45], v89 offset:32768
	;; [unrolled: 1-line block ×3, first 2 shown]
	v_add_u32_e32 v108, s63, v69
	s_waitcnt lgkmcnt(3)
	v_mfma_f32_16x16x16_bf16 a[0:3], v[38:39], v[34:35], a[0:3]
	v_mfma_f32_16x16x16_bf16 a[4:7], v[38:39], v[36:37], a[4:7]
	ds_read2st64_b64 v[34:37], v91 offset0:2 offset1:4
	ds_read2st64_b64 v[38:41], v92 offset0:2 offset1:4
	s_waitcnt lgkmcnt(1)
	v_mfma_f32_16x16x16_bf16 a[0:3], v[42:43], v[34:35], a[0:3]
	ds_read_b64 v[34:35], v91 offset:3072
	ds_read_b64 v[48:49], v92 offset:3072
	s_waitcnt lgkmcnt(2)
	v_mfma_f32_16x16x16_bf16 a[4:7], v[42:43], v[38:39], a[4:7]
	v_ashrrev_i32_e32 v38, 31, v108
	v_mul_lo_u32 v39, v108, s35
	v_mul_lo_u32 v38, v38, s34
	v_mfma_f32_16x16x16_bf16 a[0:3], v[44:45], v[36:37], a[0:3]
	v_mad_u64_u32 v[36:37], s[20:21], v108, s34, 0
	v_add3_u32 v37, v37, v39, v38
	v_lshl_add_u64 v[36:37], v[36:37], 2, s[42:43]
	global_load_dword v42, v[36:37], off
	v_add_u32_e32 v36, 1, v108
	v_ashrrev_i32_e32 v37, 31, v36
	s_waitcnt lgkmcnt(1)
	v_mfma_f32_16x16x16_bf16 a[0:3], v[46:47], v[34:35], a[0:3]
	v_mul_lo_u32 v37, v37, s34
	v_mul_lo_u32 v38, v36, s35
	v_mad_u64_u32 v[34:35], s[20:21], v36, s34, 0
	v_add_u32_e32 v36, 2, v108
	v_add3_u32 v35, v35, v38, v37
	v_ashrrev_i32_e32 v37, 31, v36
	v_mul_lo_u32 v38, v37, s34
	v_mul_lo_u32 v39, v36, s35
	v_mad_u64_u32 v[36:37], s[20:21], v36, s34, 0
	v_add3_u32 v37, v37, v39, v38
	v_add_u32_e32 v38, 3, v108
	v_ashrrev_i32_e32 v39, 31, v38
	v_mfma_f32_16x16x16_bf16 a[4:7], v[44:45], v[40:41], a[4:7]
	v_mul_lo_u32 v40, v39, s34
	v_mul_lo_u32 v41, v38, s35
	v_mad_u64_u32 v[38:39], s[20:21], v38, s34, 0
	s_add_u32 s20, s16, s63
	s_addc_u32 s21, s17, 0
	s_lshl_b64 s[20:21], s[20:21], 8
	v_add3_u32 v39, v39, v41, v40
	v_lshl_add_u64 v[40:41], v[60:61], 0, s[20:21]
	v_lshl_add_u64 v[34:35], v[34:35], 2, s[42:43]
	;; [unrolled: 1-line block ×4, first 2 shown]
	global_load_ushort v44, v[40:41], off
	global_load_ushort v43, v[40:41], off offset:256
	global_load_ushort v110, v[40:41], off offset:800
	;; [unrolled: 1-line block ×7, first 2 shown]
	v_lshl_add_u64 v[38:39], v[38:39], 2, s[42:43]
	global_load_dword v113, v[34:35], off
	global_load_dword v114, v[36:37], off
	;; [unrolled: 1-line block ×3, first 2 shown]
	s_load_dword s20, s[44:45], 0x0
	s_waitcnt lgkmcnt(0)
	v_mfma_f32_16x16x16_bf16 a[4:7], v[46:47], v[48:49], a[4:7]
	v_accvgpr_read_b32 v39, a1
	v_accvgpr_read_b32 v35, a3
	v_accvgpr_read_b32 v34, a2
	v_accvgpr_read_b32 v38, a0
	s_and_b64 vcc, exec, s[0:1]
	s_waitcnt vmcnt(11)
	v_sub_f32_e32 v48, s20, v42
	v_exp_f32_e32 v48, v48
	v_accvgpr_read_b32 v41, a5
	v_accvgpr_read_b32 v40, a4
	;; [unrolled: 1-line block ×4, first 2 shown]
	s_waitcnt vmcnt(10)
	v_lshlrev_b32_e32 v42, 16, v44
	s_waitcnt vmcnt(9)
	v_lshlrev_b32_e32 v43, 16, v43
	v_pk_add_f32 v[38:39], v[42:43], v[38:39] neg_lo:[0,1] neg_hi:[0,1]
	s_waitcnt vmcnt(7)
	v_lshlrev_b32_e32 v45, 16, v45
	v_mov_b32_e32 v42, 0
	s_waitcnt vmcnt(5)
	v_lshlrev_b32_e32 v44, 16, v108
	s_waitcnt vmcnt(4)
	v_lshlrev_b32_e32 v47, 16, v109
	s_waitcnt vmcnt(2)
	v_sub_f32_e32 v49, s20, v113
	s_waitcnt vmcnt(1)
	v_sub_f32_e32 v108, s20, v114
	;; [unrolled: 2-line block ×3, first 2 shown]
	v_exp_f32_e32 v49, v49
	v_exp_f32_e32 v108, v108
	;; [unrolled: 1-line block ×3, first 2 shown]
	v_pk_add_f32 v[34:35], v[44:45], v[34:35] neg_lo:[0,1] neg_hi:[0,1]
	v_lshlrev_b32_e32 v46, 16, v112
	v_pk_mul_f32 v[38:39], v[48:49], v[38:39]
	v_pk_mul_f32 v[34:35], v[108:109], v[34:35]
	v_mov_b32_e32 v43, 0
	v_perm_b32 v35, v35, v34, s3
	v_perm_b32 v34, v39, v38, s3
	v_pk_add_f32 v[38:39], v[46:47], v[40:41] neg_lo:[0,1] neg_hi:[0,1]
	v_lshlrev_b32_e32 v41, 16, v110
	v_lshlrev_b32_e32 v40, 16, v111
	v_pk_add_f32 v[36:37], v[40:41], v[36:37] neg_lo:[0,1] neg_hi:[0,1]
	v_pk_mul_f32 v[38:39], v[48:49], v[38:39]
	v_pk_mul_f32 v[36:37], v[108:109], v[36:37]
	v_mov_b32_e32 v108, 0
	v_perm_b32 v37, v37, v36, s3
	v_perm_b32 v36, v39, v38, s3
	ds_write2_b64 v78, v[34:35], v[36:37] offset1:16
	v_mov_b32_e32 v34, 0
	v_mov_b32_e32 v35, 0
	;; [unrolled: 1-line block ×14, first 2 shown]
	s_cbranch_vccnz .LBB426_14
; %bb.13:                               ;   in Loop: Header=BB426_6 Depth=1
	s_and_b32 s25, s25, 0xffff
	s_mov_b32 s27, s23
	buffer_load_dwordx4 v[46:49], v100, s[24:27], 0 offen
	buffer_load_dwordx4 v[38:41], v100, s[24:27], s62 offen
	;; [unrolled: 1-line block ×4, first 2 shown]
	v_mov_b32_e32 v107, v72
	v_mov_b32_e32 v108, v71
.LBB426_14:                             ;   in Loop: Header=BB426_6 Depth=1
	s_waitcnt lgkmcnt(0)
	s_barrier
	ds_read_b64 v[114:115], v57
	ds_read_b64 v[122:123], v96
	;; [unrolled: 1-line block ×5, first 2 shown]
	ds_read_b64 v[128:129], v97 offset:16384
	ds_read_b64 v[130:131], v95 offset:16384
	ds_read2_b64 v[110:113], v91 offset0:16 offset1:128
	s_waitcnt lgkmcnt(6)
	v_mfma_f32_16x16x16_bf16 a[0:3], v[114:115], v[122:123], 0
	ds_read_b64 v[132:133], v92 offset:3072
	ds_read_b64 v[134:135], v99 offset:16384
	s_add_i32 s21, s57, s68
	s_waitcnt lgkmcnt(2)
	v_mfma_f32_16x16x16_bf16 a[4:7], v[114:115], v[110:111], 0
	ds_read2st64_b64 v[114:117], v92 offset0:2 offset1:4
	s_mul_hi_i32 s25, s21, s13
	s_mul_i32 s21, s21, s13
	v_mfma_f32_16x16x16_bf16 a[0:3], v[118:119], v[112:113], a[0:3]
	s_add_u32 s24, s21, s50
	s_addc_u32 s25, s25, s54
	s_lshl_b64 s[24:25], s[24:25], 15
	s_waitcnt lgkmcnt(0)
	v_mfma_f32_16x16x16_bf16 a[4:7], v[118:119], v[114:115], a[4:7]
	ds_read2st64_b64 v[118:121], v91 offset0:4 offset1:6
	s_waitcnt lgkmcnt(0)
	v_mfma_f32_16x16x16_bf16 a[0:3], v[124:125], v[118:119], a[0:3]
	v_mfma_f32_16x16x16_bf16 a[8:11], v[124:125], v[116:117], a[4:7]
	;; [unrolled: 1-line block ×5, first 2 shown]
	ds_read2st64_b64 v[122:125], v94 offset1:8
	v_mfma_f32_16x16x16_bf16 a[12:15], v[130:131], v[110:111], 0
	ds_read_b64 v[130:131], v98 offset:16384
	v_mfma_f32_16x16x16_bf16 a[8:11], v[128:129], v[112:113], a[8:11]
	ds_read2st64_b64 v[110:113], v93 offset1:8
	s_waitcnt lgkmcnt(0)
	v_mov_b32_e32 v126, v110
	v_mfma_f32_16x16x16_bf16 a[12:15], v[128:129], v[114:115], a[12:15]
	v_lshl_add_u64 v[114:115], v[62:63], 0, s[24:25]
	v_add_co_u32_e32 v110, vcc, s37, v114
	v_mfma_f32_16x16x16_bf16 a[8:11], v[130:131], v[118:119], a[8:11]
	v_mov_b32_e32 v127, v111
	v_addc_co_u32_e32 v111, vcc, 0, v115, vcc
	v_mfma_f32_16x16x16_bf16 a[12:15], v[130:131], v[116:117], a[12:15]
	v_mov_b32_e32 v128, v122
	v_mov_b32_e32 v129, v123
	;; [unrolled: 1-line block ×3, first 2 shown]
	v_mfma_f32_16x16x16_bf16 a[8:11], v[134:135], v[120:121], a[8:11]
	v_mov_b32_e32 v123, v113
	s_and_b64 vcc, exec, s[0:1]
	global_store_dwordx4 v[114:115], v[126:129], off
	v_mfma_f32_16x16x16_bf16 a[12:15], v[134:135], v[132:133], a[12:15]
	global_store_dwordx4 v[110:111], v[122:125], off
	s_cbranch_vccnz .LBB426_16
; %bb.15:                               ;   in Loop: Header=BB426_6 Depth=1
	v_lshrrev_b32_e32 v109, 3, v107
	v_and_b32_e32 v109, 6, v109
	v_xor_b32_e32 v108, v109, v108
	v_lshlrev_b32_e32 v108, 2, v108
	v_and_b32_e32 v107, 8, v107
	v_xor_b32_e32 v110, 0x440, v108
	v_cmp_eq_u32_e32 vcc, 0, v107
	s_barrier
	s_nop 0
	v_cndmask_b32_e32 v107, v110, v108, vcc
	v_lshl_or_b32 v107, v109, 10, v107
	s_waitcnt vmcnt(3)
	v_perm_b32 v108, v46, v42, s64
	s_waitcnt vmcnt(2)
	v_perm_b32 v109, v38, v34, s64
	ds_write2st64_b32 v107, v108, v109 offset0:32 offset1:64
	v_xor_b32_e32 v108, 8, v107
	v_perm_b32 v42, v46, v42, s65
	v_perm_b32 v34, v38, v34, s65
	v_add_u32_e32 v38, 0x80, v108
	ds_write2st64_b32 v38, v42, v34 offset0:32 offset1:64
	v_xor_b32_e32 v34, 16, v107
	v_perm_b32 v38, v47, v43, s64
	v_perm_b32 v42, v39, v35, s64
	ds_write2st64_b32 v34, v38, v42 offset0:33 offset1:65
	v_xor_b32_e32 v34, 24, v107
	v_perm_b32 v38, v47, v43, s65
	v_perm_b32 v35, v39, v35, s65
	v_add_u32_e32 v34, 0x80, v34
	ds_write2st64_b32 v34, v38, v35 offset0:33 offset1:65
	v_xor_b32_e32 v34, 32, v107
	v_perm_b32 v35, v48, v44, s64
	v_perm_b32 v38, v40, v36, s64
	ds_write2st64_b32 v34, v35, v38 offset0:34 offset1:66
	v_xor_b32_e32 v34, 40, v107
	v_perm_b32 v35, v48, v44, s65
	v_perm_b32 v36, v40, v36, s65
	v_add_u32_e32 v34, 0x80, v34
	ds_write2st64_b32 v34, v35, v36 offset0:34 offset1:66
	v_xor_b32_e32 v34, 48, v107
	v_perm_b32 v35, v49, v45, s64
	v_perm_b32 v36, v41, v37, s64
	ds_write2st64_b32 v34, v35, v36 offset0:35 offset1:67
	v_xor_b32_e32 v34, 56, v107
	v_perm_b32 v35, v49, v45, s65
	v_perm_b32 v36, v41, v37, s65
	v_add_u32_e32 v34, 0x80, v34
	ds_write2st64_b32 v34, v35, v36 offset0:35 offset1:67
	ds_write_b64 v106, v[30:31] offset:24576
	v_xor_b32_e32 v30, 8, v106
	ds_write_b64 v30, v[32:33] offset:24576
	ds_write_b64 v106, v[26:27] offset:32768
	ds_write_b64 v30, v[28:29] offset:32768
	ds_write_b64 v105, v[22:23] offset:24576
	v_xor_b32_e32 v22, 8, v105
	ds_write_b64 v22, v[24:25] offset:24576
	ds_write_b64 v105, v[18:19] offset:32768
	;; [unrolled: 1-line block ×3, first 2 shown]
.LBB426_16:                             ;   in Loop: Header=BB426_6 Depth=1
	s_waitcnt vmcnt(2)
	v_exp_f32_e32 v34, s20
	v_accvgpr_read_b32 v33, a7
	v_accvgpr_read_b32 v25, a3
	;; [unrolled: 1-line block ×16, first 2 shown]
	s_add_i32 s63, s63, 64
	v_fma_f32 v2, v2, v34, v30
	v_fma_f32 v3, v3, v34, v31
	v_fma_f32 v4, v4, v34, v32
	v_fmac_f32_e32 v33, v5, v34
	v_fma_f32 v10, v10, v34, v22
	v_fma_f32 v11, v11, v34, v23
	v_fma_f32 v12, v12, v34, v24
	v_fmac_f32_e32 v25, v13, v34
	;; [unrolled: 4-line block ×3, first 2 shown]
	v_fma_f32 v14, v14, v34, v18
	v_fma_f32 v15, v15, v34, v19
	;; [unrolled: 1-line block ×3, first 2 shown]
	s_cmp_eq_u32 s53, s39
	v_fmac_f32_e32 v21, v17, v34
	s_cbranch_scc1 .LBB426_18
; %bb.17:                               ;   in Loop: Header=BB426_6 Depth=1
	s_mov_b32 s68, s39
	v_mov_b32_e32 v5, v33
	v_mov_b32_e32 v9, v29
	;; [unrolled: 1-line block ×4, first 2 shown]
	s_branch .LBB426_6
.LBB426_18:
	v_mov_b32_e32 v5, v33
	v_mov_b32_e32 v9, v29
	;; [unrolled: 1-line block ×4, first 2 shown]
.LBB426_19:
	s_lshl_b32 s26, s53, 6
	s_sub_i32 s27, s12, s26
	s_cmp_gt_i32 s27, 0
	s_cbranch_scc0 .LBB426_84
; %bb.20:
	s_ashr_i32 s3, s26, 31
	s_cmpk_lg_i32 s15, 0x80
	s_cselect_b64 s[22:23], -1, 0
	s_and_b64 vcc, exec, s[22:23]
	s_cbranch_vccz .LBB426_22
; %bb.21:
	s_mul_i32 s1, s52, s12
	s_mul_hi_i32 s0, s52, s12
	s_add_u32 s1, s1, s26
	s_addc_u32 s0, s0, s3
	s_mul_i32 s17, s1, s55
	s_mul_hi_u32 s20, s1, s14
	s_add_i32 s17, s20, s17
	s_mul_i32 s0, s0, s14
	s_add_i32 s17, s17, s0
	s_mul_i32 s1, s1, s14
	s_ashr_i32 s0, s56, 31
	s_add_u32 s24, s1, s56
	s_addc_u32 s25, s17, s0
	s_cbranch_execz .LBB426_23
	s_branch .LBB426_24
.LBB426_22:
                                        ; implicit-def: $sgpr24_sgpr25
.LBB426_23:
	s_mul_hi_i32 s0, s52, s14
	s_mul_i32 s52, s52, s14
	s_ashr_i32 s1, s56, 31
	s_add_u32 s14, s52, s56
	s_addc_u32 s0, s0, s1
	s_mul_i32 s1, s14, s51
	s_mul_hi_u32 s17, s14, s12
	s_add_i32 s1, s17, s1
	s_mul_i32 s0, s0, s12
	s_add_i32 s1, s1, s0
	s_mul_i32 s14, s14, s12
	s_add_u32 s24, s14, s26
	s_addc_u32 s25, s1, s3
.LBB426_24:
	s_mul_i32 s0, s40, s51
	s_add_i32 s0, s59, s0
	s_add_i32 s14, s57, s53
	;; [unrolled: 1-line block ×3, first 2 shown]
	s_add_u32 s0, s16, s26
	v_lshlrev_b32_e32 v22, 5, v69
	v_lshlrev_b32_e32 v38, 2, v66
	s_addc_u32 s1, s1, s3
	s_mov_b32 s3, 0x7060302
	v_or_b32_e32 v25, v22, v38
	v_xor_b32_e32 v23, v69, v38
	s_waitcnt vmcnt(3)
	v_perm_b32 v19, v5, v4, s3
	v_perm_b32 v18, v3, v2, s3
	s_waitcnt vmcnt(2)
	v_perm_b32 v21, v9, v8, s3
	v_perm_b32 v20, v7, v6, s3
	v_lshlrev_b32_e32 v25, 1, v25
	v_xor_b32_e32 v24, v70, v38
	ds_write2st64_b64 v25, v[18:19], v[20:21] offset0:80 offset1:88
	v_lshlrev_b32_e32 v23, 1, v23
	v_lshlrev_b32_e32 v25, 8, v66
	s_lshl_b64 s[20:21], s[0:1], 8
	v_or_b32_e32 v26, v23, v25
	v_lshlrev_b32_e32 v24, 1, v24
	s_waitcnt lgkmcnt(0)
	s_add_u32 s0, s6, s20
	ds_write_b64 v26, v[18:19]
	v_or_b32_e32 v18, v24, v25
	s_addc_u32 s1, s7, s21
	ds_write_b64 v18, v[20:21]
	s_waitcnt vmcnt(1)
	v_perm_b32 v19, v13, v12, s3
	v_perm_b32 v18, v11, v10, s3
	s_waitcnt vmcnt(0)
	v_perm_b32 v21, v17, v16, s3
	v_perm_b32 v20, v15, v14, s3
	v_or_b32_e32 v25, 16, v66
	s_mul_hi_i32 s3, s14, s13
	s_mul_i32 s14, s14, s13
	v_lshlrev_b32_e32 v35, 2, v25
	s_add_u32 s6, s14, s50
	v_or_b32_e32 v22, v22, v35
	s_addc_u32 s7, s3, s54
	v_lshlrev_b32_e32 v22, 1, v22
	s_ashr_i32 s3, s2, 31
	s_lshl_b64 s[6:7], s[6:7], 15
	ds_write2st64_b64 v22, v[18:19], v[20:21] offset0:80 offset1:88
	v_lshlrev_b32_e32 v22, 8, v25
	s_add_u32 s6, s18, s6
	v_or_b32_e32 v23, v23, v22
	s_addc_u32 s7, s19, s7
	s_lshl_b64 s[2:3], s[2:3], 8
	ds_write_b64 v23, v[18:19]
	v_or_b32_e32 v18, v24, v22
	s_add_u32 s2, s6, s2
	ds_write_b64 v18, v[20:21]
	v_lshrrev_b32_e32 v18, 4, v0
	s_addc_u32 s3, s7, s3
	v_lshlrev_b32_e32 v19, 1, v66
	v_lshlrev_b32_e32 v26, 4, v66
	v_mov_b32_e32 v27, 0
	v_or_b32_e32 v20, 1, v19
	v_xor_b32_e32 v19, v18, v19
	v_lshl_add_u64 v[28:29], s[2:3], 0, v[26:27]
	v_lshlrev_b32_e32 v26, 8, v18
	v_xor_b32_e32 v22, v20, v18
	v_lshl_or_b32 v18, v19, 3, v26
	s_waitcnt lgkmcnt(0)
	s_barrier
	ds_read2st64_b64 v[18:21], v18 offset1:8
	v_lshl_or_b32 v22, v22, 3, v26
	ds_read2st64_b64 v[22:25], v22 offset1:8
	v_lshl_add_u64 v[30:31], v[28:29], 0, v[26:27]
	s_movk_i32 s2, 0x1000
	s_waitcnt lgkmcnt(1)
	v_mov_b32_e32 v26, v18
	v_add_co_u32_e32 v18, vcc, s2, v30
	s_cmp_lg_u32 s27, 64
	v_mov_b32_e32 v27, v19
	v_addc_co_u32_e32 v19, vcc, 0, v31, vcc
	s_cselect_b64 s[6:7], -1, 0
	v_lshl_or_b32 v42, v1, 3, v68
	s_waitcnt lgkmcnt(0)
	v_mov_b32_e32 v28, v22
	v_mov_b32_e32 v29, v23
	;; [unrolled: 1-line block ×4, first 2 shown]
	s_mov_b32 s16, 0
	v_or_b32_e32 v36, 32, v42
	v_and_b32_e32 v34, 56, v67
	s_and_b64 vcc, exec, s[6:7]
	global_store_dwordx4 v[30:31], v[26:29], off
	global_store_dwordx4 v[18:19], v[22:25], off
	s_cbranch_vccz .LBB426_30
; %bb.25:
	s_mov_b32 s18, s16
	s_mov_b32 s19, s16
	s_mov_b32 s17, s16
	v_mov_b64_e32 v[24:25], s[18:19]
	v_mov_b64_e32 v[22:23], s[16:17]
	;; [unrolled: 1-line block ×3, first 2 shown]
	v_cmp_gt_i32_e32 vcc, s27, v42
	v_mov_b64_e32 v[20:21], v[24:25]
	s_and_saveexec_b64 s[2:3], vcc
	s_cbranch_execz .LBB426_27
; %bb.26:
	v_lshlrev_b32_e32 v18, 8, v42
	v_mov_b32_e32 v19, 0
	v_lshl_add_u64 v[20:21], s[0:1], 0, v[18:19]
	v_lshlrev_b32_e32 v18, 1, v34
	v_lshl_add_u64 v[26:27], v[20:21], 0, v[18:19]
	global_load_dwordx4 v[22:25], v[26:27], off
	global_load_dwordx4 v[18:21], v[26:27], off offset:128
.LBB426_27:
	s_or_b64 exec, exec, s[2:3]
	s_mov_b32 s18, s16
	s_mov_b32 s19, s16
	;; [unrolled: 1-line block ×3, first 2 shown]
	v_mov_b64_e32 v[32:33], s[18:19]
	v_mov_b64_e32 v[30:31], s[16:17]
	v_mov_b64_e32 v[26:27], v[30:31]
	v_cmp_gt_i32_e32 vcc, s27, v36
	v_lshlrev_b32_e32 v37, 7, v36
	v_mov_b64_e32 v[28:29], v[32:33]
	s_and_saveexec_b64 s[2:3], vcc
	s_cbranch_execz .LBB426_29
; %bb.28:
	v_lshlrev_b32_e32 v26, 1, v37
	v_mov_b32_e32 v27, 0
	v_lshl_add_u64 v[28:29], s[0:1], 0, v[26:27]
	v_lshlrev_b32_e32 v26, 1, v34
	v_lshl_add_u64 v[40:41], v[28:29], 0, v[26:27]
	global_load_dwordx4 v[30:33], v[40:41], off
	global_load_dwordx4 v[26:29], v[40:41], off offset:128
.LBB426_29:
	s_or_b64 exec, exec, s[2:3]
	v_lshrrev_b32_e32 v39, 3, v34
	v_lshlrev_b32_e32 v40, 3, v42
	v_or_b32_e32 v39, v40, v39
	v_lshlrev_b32_e32 v39, 4, v39
	v_and_b32_e32 v40, 0x78, v40
	v_xor_b32_e32 v39, v39, v40
	s_branch .LBB426_32
.LBB426_30:
                                        ; implicit-def: $vgpr39
                                        ; implicit-def: $vgpr37
                                        ; implicit-def: $vgpr22_vgpr23_vgpr24_vgpr25
                                        ; implicit-def: $vgpr18_vgpr19_vgpr20_vgpr21
                                        ; implicit-def: $vgpr30_vgpr31_vgpr32_vgpr33
                                        ; implicit-def: $vgpr26_vgpr27_vgpr28_vgpr29
	s_cbranch_execz .LBB426_32
; %bb.31:
	s_waitcnt vmcnt(0)
	v_lshlrev_b32_e32 v18, 1, v34
	v_lshl_or_b32 v37, v42, 8, v18
	s_and_b32 s1, s1, 0xffff
	s_mov_b32 s3, 0x20000
	s_movk_i32 s2, 0x4000
	v_lshl_or_b32 v39, v36, 8, v18
	s_movk_i32 s13, 0x80
	buffer_load_dwordx4 v[22:25], v37, s[0:3], 0 offen
	buffer_load_dwordx4 v[18:21], v37, s[0:3], s13 offen
	;; [unrolled: 1-line block ×4, first 2 shown]
	v_lshrrev_b32_e32 v37, 3, v34
	v_lshlrev_b32_e32 v39, 3, v42
	v_or_b32_e32 v37, v39, v37
	v_lshlrev_b32_e32 v37, 4, v37
	v_and_b32_e32 v39, 0x78, v39
	v_xor_b32_e32 v39, v37, v39
	v_lshlrev_b32_e32 v37, 7, v36
.LBB426_32:
	s_lshl_b64 s[0:1], s[24:25], 8
	s_add_u32 s4, s4, s0
	s_movk_i32 s0, 0x1000
	v_and_or_b32 v36, v37, s0, v39
	s_waitcnt vmcnt(1)
	ds_write_b64 v39, v[22:23] offset:24576
	v_xor_b32_e32 v22, 8, v39
	ds_write_b64 v22, v[24:25] offset:24576
	s_waitcnt vmcnt(0)
	ds_write_b64 v39, v[18:19] offset:32768
	ds_write_b64 v22, v[20:21] offset:32768
	;; [unrolled: 1-line block ×3, first 2 shown]
	v_xor_b32_e32 v18, 8, v36
	ds_write_b64 v18, v[32:33] offset:24576
	ds_write_b64 v36, v[26:27] offset:32768
	;; [unrolled: 1-line block ×3, first 2 shown]
	v_or_b32_e32 v18, v64, v66
	v_lshlrev_b32_e32 v18, 3, v18
	v_lshrrev_b32_e32 v19, 5, v51
	s_movk_i32 s3, 0xf8
	v_and_or_b32 v19, v18, s3, v19
	v_lshlrev_b32_e32 v23, 4, v19
	v_lshlrev_b32_e32 v39, 11, v1
	v_and_b32_e32 v24, 0x78, v18
	v_or_b32_e32 v26, 32, v23
	v_and_b32_e32 v22, 0x1000, v39
	v_lshrrev_b32_e32 v19, 1, v51
	v_xor_b32_e32 v26, v26, v24
	v_xor_b32_e32 v18, v23, v24
	v_and_b32_e32 v25, 8, v19
	v_or_b32_e32 v26, v26, v22
	v_or_b32_e32 v18, v18, v22
	v_xor_b32_e32 v44, v26, v25
	v_or_b32_e32 v26, 64, v23
	v_xor_b32_e32 v43, v18, v25
	v_xor_b32_e32 v26, v26, v24
	s_waitcnt lgkmcnt(0)
	s_barrier
	v_or_b32_e32 v28, v26, v22
	ds_read_b64 v[26:27], v43 offset:24576
	v_lshl_or_b32 v36, v65, 7, v38
	v_lshlrev_b32_e32 v40, 1, v36
	v_add_u32_e32 v18, 0xa000, v40
	ds_read2_b64 v[18:21], v18 offset1:16
	v_or_b32_e32 v23, 0x60, v23
	v_xor_b32_e32 v23, v23, v24
	s_waitcnt lgkmcnt(0)
	v_mfma_f32_16x16x16_bf16 a[0:3], v[26:27], v[18:19], 0
	v_or_b32_e32 v18, 64, v36
	v_or_b32_e32 v22, v23, v22
	v_lshlrev_b32_e32 v41, 1, v18
	v_xor_b32_e32 v45, v28, v25
	v_xor_b32_e32 v46, v22, v25
	ds_read_b64 v[28:29], v44 offset:24576
	ds_read_b64 v[30:31], v45 offset:24576
	;; [unrolled: 1-line block ×3, first 2 shown]
	v_mfma_f32_16x16x16_bf16 a[4:7], v[26:27], v[20:21], 0
	ds_read2st64_b64 v[18:21], v41 offset0:82 offset1:84
	ds_read2st64_b64 v[22:25], v40 offset0:82 offset1:84
	s_addc_u32 s5, s5, s1
	s_add_i32 s1, s46, s33
	s_add_i32 s0, s12, -1
	s_add_i32 s37, s1, s47
	s_add_i32 s1, s48, s41
	;; [unrolled: 1-line block ×3, first 2 shown]
	s_ashr_i32 s1, s0, 31
	s_mul_i32 s2, s0, s35
	s_mul_hi_u32 s3, s0, s34
	s_add_i32 s2, s3, s2
	s_mul_i32 s1, s1, s34
	s_waitcnt lgkmcnt(1)
	v_mfma_f32_16x16x16_bf16 a[4:7], v[28:29], v[18:19], a[4:7]
	s_add_i32 s1, s2, s1
	s_lshl_b64 s[2:3], s[36:37], 2
	s_add_u32 s10, s10, s2
	s_waitcnt lgkmcnt(0)
	v_mfma_f32_16x16x16_bf16 a[0:3], v[28:29], v[22:23], a[0:3]
	s_addc_u32 s11, s11, s3
	s_lshl_b64 s[2:3], s[38:39], 2
	s_mul_i32 s0, s0, s34
	s_add_u32 s10, s10, s2
	ds_read_b64 v[18:19], v40 offset:44032
	v_mfma_f32_16x16x16_bf16 a[4:7], v[30:31], v[20:21], a[4:7]
	ds_read_b64 v[20:21], v41 offset:44032
	s_addc_u32 s11, s11, s3
	s_lshl_b64 s[0:1], s[0:1], 2
	v_mfma_f32_16x16x16_bf16 a[0:3], v[30:31], v[24:25], a[0:3]
	s_add_u32 s0, s10, s0
	s_addc_u32 s1, s11, s1
	s_load_dword s12, s[0:1], 0x0
	s_waitcnt lgkmcnt(0)
	v_mfma_f32_16x16x16_bf16 a[0:3], v[32:33], v[18:19], a[0:3]
	s_and_b64 vcc, exec, s[22:23]
	v_mfma_f32_16x16x16_bf16 a[4:7], v[32:33], v[20:21], a[4:7]
	s_cbranch_vccz .LBB426_43
; %bb.33:
	v_lshlrev_b32_e32 v36, 1, v42
	s_and_b64 vcc, exec, s[6:7]
	s_cbranch_vccz .LBB426_44
; %bb.34:
	v_cmp_gt_i32_e32 vcc, s27, v36
	v_mov_b32_e32 v22, 0
	v_mov_b32_e32 v18, 0
	;; [unrolled: 1-line block ×5, first 2 shown]
	s_and_saveexec_b64 s[0:1], vcc
	s_cbranch_execz .LBB426_36
; %bb.35:
	v_mad_i64_i32 v[18:19], s[2:3], s15, v36, 0
	v_lshl_add_u64 v[18:19], v[18:19], 1, s[4:5]
	v_lshlrev_b32_e32 v20, 1, v34
	v_mov_b32_e32 v21, 0
	v_lshl_add_u64 v[18:19], v[18:19], 0, v[20:21]
	global_load_dwordx4 v[18:21], v[18:19], off
.LBB426_36:
	s_or_b64 exec, exec, s[0:1]
	v_or_b32_e32 v37, 1, v36
	v_cmp_gt_i32_e64 s[0:1], s27, v37
	v_mov_b32_e32 v23, 0
	v_mov_b32_e32 v24, 0
	;; [unrolled: 1-line block ×3, first 2 shown]
	s_and_saveexec_b64 s[2:3], s[0:1]
	s_cbranch_execz .LBB426_38
; %bb.37:
	v_mad_i64_i32 v[22:23], s[16:17], s15, v37, 0
	v_lshl_add_u64 v[22:23], v[22:23], 1, s[4:5]
	v_lshlrev_b32_e32 v24, 1, v34
	v_mov_b32_e32 v25, 0
	v_lshl_add_u64 v[22:23], v[22:23], 0, v[24:25]
	global_load_dwordx4 v[22:25], v[22:23], off
.LBB426_38:
	s_or_b64 exec, exec, s[2:3]
	v_mov_b32_e32 v33, 0
	v_mov_b32_e32 v26, 0
	;; [unrolled: 1-line block ×5, first 2 shown]
	s_and_saveexec_b64 s[2:3], vcc
	s_cbranch_execz .LBB426_40
; %bb.39:
	v_mad_i64_i32 v[26:27], s[16:17], s15, v36, 0
	v_lshl_add_u64 v[26:27], v[26:27], 1, s[4:5]
	v_lshlrev_b32_e32 v28, 1, v34
	v_mov_b32_e32 v29, 0
	v_lshl_add_u64 v[26:27], v[26:27], 0, v[28:29]
	global_load_dwordx4 v[26:29], v[26:27], off offset:128
.LBB426_40:
	s_or_b64 exec, exec, s[2:3]
	v_mov_b32_e32 v32, 0
	v_mov_b32_e32 v31, 0
	;; [unrolled: 1-line block ×3, first 2 shown]
	s_and_saveexec_b64 s[2:3], s[0:1]
	s_cbranch_execz .LBB426_42
; %bb.41:
	v_mad_i64_i32 v[30:31], s[0:1], s15, v37, 0
	v_lshl_add_u64 v[30:31], v[30:31], 1, s[4:5]
	v_lshlrev_b32_e32 v32, 1, v34
	v_mov_b32_e32 v33, 0
	v_lshl_add_u64 v[30:31], v[30:31], 0, v[32:33]
	global_load_dwordx4 v[30:33], v[30:31], off offset:128
.LBB426_42:
	s_or_b64 exec, exec, s[2:3]
	s_branch .LBB426_46
.LBB426_43:
                                        ; implicit-def: $vgpr21
                                        ; implicit-def: $vgpr25
                                        ; implicit-def: $vgpr29
                                        ; implicit-def: $vgpr33
	v_lshrrev_b32_e32 v47, 2, v51
	s_branch .LBB426_47
.LBB426_44:
                                        ; implicit-def: $vgpr21
                                        ; implicit-def: $vgpr25
                                        ; implicit-def: $vgpr29
                                        ; implicit-def: $vgpr33
	s_cbranch_execz .LBB426_46
; %bb.45:
	s_waitcnt vmcnt(0)
	v_mad_u64_u32 v[18:19], s[0:1], v36, s15, v[34:35]
	v_lshlrev_b32_e32 v36, 1, v18
	s_lshl_b32 s2, s15, 7
	s_and_b32 s1, s5, 0xffff
	s_mov_b32 s3, 0x20000
	s_mov_b32 s0, s4
	v_add_lshl_u32 v37, v18, s15, 1
	s_movk_i32 s13, 0x80
	buffer_load_dwordx4 v[18:21], v36, s[0:3], 0 offen
	buffer_load_dwordx4 v[26:29], v36, s[0:3], s13 offen
	buffer_load_dwordx4 v[22:25], v37, s[0:3], 0 offen
	buffer_load_dwordx4 v[30:33], v37, s[0:3], s13 offen
.LBB426_46:
	v_lshrrev_b32_e32 v47, 2, v51
	s_cbranch_execnz .LBB426_59
.LBB426_47:
	s_and_b64 vcc, exec, s[6:7]
	s_cbranch_vccz .LBB426_57
; %bb.48:
	s_waitcnt vmcnt(0)
	v_lshlrev_b32_e32 v23, 1, v42
	v_cmp_gt_i32_e32 vcc, s27, v23
	v_mov_b32_e32 v22, 0
	v_lshlrev_b32_e32 v30, 9, v42
	v_mov_b32_e32 v18, 0
	v_mov_b32_e32 v19, 0
	v_mov_b32_e32 v20, 0
	v_mov_b32_e32 v21, 0
	s_and_saveexec_b64 s[0:1], vcc
	s_cbranch_execz .LBB426_50
; %bb.49:
	v_mov_b32_e32 v31, 0
	v_lshl_add_u64 v[18:19], s[4:5], 0, v[30:31]
	v_lshlrev_b32_e32 v20, 1, v34
	v_mov_b32_e32 v21, v31
	v_lshl_add_u64 v[18:19], v[18:19], 0, v[20:21]
	global_load_dwordx4 v[18:21], v[18:19], off
.LBB426_50:
	s_or_b64 exec, exec, s[0:1]
	v_or_b32_e32 v23, 1, v23
	v_cmp_gt_i32_e64 s[0:1], s27, v23
	v_lshlrev_b32_e32 v36, 8, v23
	v_mov_b32_e32 v23, 0
	v_mov_b32_e32 v24, 0
	;; [unrolled: 1-line block ×3, first 2 shown]
	s_and_saveexec_b64 s[2:3], s[0:1]
	s_cbranch_execz .LBB426_52
; %bb.51:
	v_mov_b32_e32 v37, 0
	v_lshl_add_u64 v[22:23], s[4:5], 0, v[36:37]
	v_lshlrev_b32_e32 v24, 1, v34
	v_mov_b32_e32 v25, v37
	v_lshl_add_u64 v[22:23], v[22:23], 0, v[24:25]
	global_load_dwordx4 v[22:25], v[22:23], off
.LBB426_52:
	s_or_b64 exec, exec, s[2:3]
	v_mov_b32_e32 v33, 0
	v_mov_b32_e32 v26, 0
	;; [unrolled: 1-line block ×5, first 2 shown]
	s_and_saveexec_b64 s[2:3], vcc
	s_cbranch_execz .LBB426_54
; %bb.53:
	v_mov_b32_e32 v31, 0
	v_lshl_add_u64 v[26:27], s[4:5], 0, v[30:31]
	v_lshlrev_b32_e32 v30, 1, v34
	v_lshl_add_u64 v[26:27], v[26:27], 0, v[30:31]
	global_load_dwordx4 v[26:29], v[26:27], off offset:128
.LBB426_54:
	s_or_b64 exec, exec, s[2:3]
	v_mov_b32_e32 v32, 0
	v_mov_b32_e32 v31, 0
	;; [unrolled: 1-line block ×3, first 2 shown]
	s_and_saveexec_b64 s[2:3], s[0:1]
	s_cbranch_execz .LBB426_56
; %bb.55:
	v_mov_b32_e32 v37, 0
	v_lshl_add_u64 v[30:31], s[4:5], 0, v[36:37]
	v_lshlrev_b32_e32 v36, 1, v34
	v_lshl_add_u64 v[30:31], v[30:31], 0, v[36:37]
	global_load_dwordx4 v[30:33], v[30:31], off offset:128
.LBB426_56:
	s_or_b64 exec, exec, s[2:3]
	s_branch .LBB426_59
.LBB426_57:
                                        ; implicit-def: $vgpr21
                                        ; implicit-def: $vgpr25
                                        ; implicit-def: $vgpr29
                                        ; implicit-def: $vgpr33
	s_cbranch_execz .LBB426_59
; %bb.58:
	s_waitcnt vmcnt(0)
	v_lshlrev_b32_e32 v18, 1, v34
	v_lshl_or_b32 v34, v42, 9, v18
	s_and_b32 s5, s5, 0xffff
	s_mov_b32 s7, 0x20000
	s_movk_i32 s6, 0x4000
	s_movk_i32 s0, 0x80
	buffer_load_dwordx4 v[18:21], v34, s[4:7], 0 offen
	buffer_load_dwordx4 v[22:25], v34, s[4:7], 0 offen offset:256
	buffer_load_dwordx4 v[26:29], v34, s[4:7], s0 offen
	buffer_load_dwordx4 v[30:33], v34, s[4:7], s0 offen offset:256
.LBB426_59:
	ds_read_b64 v[36:37], v43 offset:32768
	v_add_u32_e32 v34, 0xb000, v40
	ds_read2_b64 v[58:61], v34 offset1:16
	ds_read_b64 v[48:49], v44 offset:32768
	ds_read_b64 v[44:45], v45 offset:32768
	;; [unrolled: 1-line block ×3, first 2 shown]
	v_and_b32_e32 v34, 6, v0
	v_xor_b32_e32 v42, v42, v34
	v_lshlrev_b32_e32 v42, 2, v42
	v_and_b32_e32 v43, 1, v0
	v_xor_b32_e32 v46, 0x440, v42
	v_cmp_eq_u32_e32 vcc, 0, v43
	s_waitcnt lgkmcnt(3)
	v_mfma_f32_16x16x16_bf16 a[0:3], v[36:37], v[58:59], a[0:3]
	s_mov_b32 s0, 0x1000504
	v_cndmask_b32_e32 v42, v46, v42, vcc
	v_lshl_or_b32 v34, v34, 10, v42
	v_mfma_f32_16x16x16_bf16 a[4:7], v[36:37], v[60:61], a[4:7]
	ds_read2st64_b64 v[58:61], v40 offset0:90 offset1:92
	ds_read2st64_b64 v[66:69], v41 offset0:90 offset1:92
	s_waitcnt vmcnt(0)
	v_perm_b32 v42, v18, v22, s0
	s_mov_b32 s1, 0x3020706
	s_waitcnt lgkmcnt(1)
	v_mfma_f32_16x16x16_bf16 a[0:3], v[48:49], v[58:59], a[0:3]
	ds_read_b64 v[36:37], v40 offset:48128
	ds_read_b64 v[58:59], v41 offset:48128
	v_perm_b32 v18, v18, v22, s1
	v_perm_b32 v22, v26, v30, s1
	s_waitcnt lgkmcnt(2)
	v_mfma_f32_16x16x16_bf16 a[4:7], v[48:49], v[66:67], a[4:7]
	v_mfma_f32_16x16x16_bf16 a[0:3], v[44:45], v[60:61], a[0:3]
	;; [unrolled: 1-line block ×3, first 2 shown]
	s_waitcnt lgkmcnt(1)
	v_mfma_f32_16x16x16_bf16 a[4:7], v[62:63], v[36:37], a[0:3]
	v_perm_b32 v36, v26, v30, s0
	ds_write2st64_b32 v34, v42, v36 offset0:32 offset1:64
	v_xor_b32_e32 v36, 8, v34
	v_add_u32_e32 v26, 0x80, v36
	ds_write2st64_b32 v26, v18, v22 offset0:32 offset1:64
	v_xor_b32_e32 v18, 16, v34
	v_perm_b32 v22, v19, v23, s0
	v_perm_b32 v26, v27, v31, s0
	ds_write2st64_b32 v18, v22, v26 offset0:33 offset1:65
	v_xor_b32_e32 v18, 24, v34
	v_perm_b32 v19, v19, v23, s1
	v_perm_b32 v22, v27, v31, s1
	v_add_u32_e32 v18, 0x80, v18
	ds_write2st64_b32 v18, v19, v22 offset0:33 offset1:65
	v_xor_b32_e32 v18, 32, v34
	v_perm_b32 v19, v20, v24, s0
	v_perm_b32 v22, v28, v32, s0
	ds_write2st64_b32 v18, v19, v22 offset0:34 offset1:66
	v_xor_b32_e32 v18, 40, v34
	s_waitcnt lgkmcnt(5)
	v_mfma_f32_16x16x16_bf16 a[0:3], v[62:63], v[58:59], a[8:11]
	v_perm_b32 v19, v20, v24, s1
	v_perm_b32 v20, v28, v32, s1
	v_add_u32_e32 v18, 0x80, v18
	ds_write2st64_b32 v18, v19, v20 offset0:34 offset1:66
	v_xor_b32_e32 v18, 48, v34
	v_perm_b32 v19, v21, v25, s0
	v_perm_b32 v20, v29, v33, s0
	ds_write2st64_b32 v18, v19, v20 offset0:35 offset1:67
	v_xor_b32_e32 v18, 56, v34
	v_and_or_b32 v37, v47, 12, v64
	v_perm_b32 v19, v21, v25, s1
	v_perm_b32 v20, v29, v33, s1
	v_add_u32_e32 v18, 0x80, v18
	v_cmp_gt_i32_e32 vcc, s27, v37
	v_mov_b32_e32 v32, 0
	v_mov_b32_e32 v34, 0
	ds_write2st64_b32 v18, v19, v20 offset0:35 offset1:67
	s_and_saveexec_b64 s[0:1], vcc
	s_cbranch_execz .LBB426_61
; %bb.60:
	v_add_u32_e32 v18, s26, v37
	v_ashrrev_i32_e32 v19, 31, v18
	v_mul_lo_u32 v20, v19, s34
	v_mul_lo_u32 v21, v18, s35
	v_mad_u64_u32 v[18:19], s[2:3], v18, s34, 0
	v_add3_u32 v19, v19, v21, v20
	v_lshl_add_u64 v[18:19], v[18:19], 2, s[10:11]
	global_load_dword v18, v[18:19], off
	s_waitcnt vmcnt(0)
	v_sub_f32_e32 v18, s12, v18
	v_exp_f32_e32 v34, v18
.LBB426_61:
	s_or_b64 exec, exec, s[0:1]
	v_or_b32_e32 v26, 1, v37
	v_cmp_gt_i32_e64 s[0:1], s27, v26
	s_and_saveexec_b64 s[2:3], s[0:1]
	s_cbranch_execz .LBB426_63
; %bb.62:
	v_add_u32_e32 v18, s26, v26
	v_ashrrev_i32_e32 v19, 31, v18
	v_mul_lo_u32 v20, v19, s34
	v_mul_lo_u32 v21, v18, s35
	v_mad_u64_u32 v[18:19], s[4:5], v18, s34, 0
	v_add3_u32 v19, v19, v21, v20
	v_lshl_add_u64 v[18:19], v[18:19], 2, s[10:11]
	global_load_dword v18, v[18:19], off
	s_waitcnt vmcnt(0)
	v_sub_f32_e32 v18, s12, v18
	v_exp_f32_e32 v32, v18
.LBB426_63:
	s_or_b64 exec, exec, s[2:3]
	v_or_b32_e32 v27, 2, v37
	v_cmp_gt_i32_e64 s[2:3], s27, v27
	v_mov_b32_e32 v33, 0
	v_mov_b32_e32 v36, 0
	s_and_saveexec_b64 s[4:5], s[2:3]
	s_cbranch_execz .LBB426_65
; %bb.64:
	v_add_u32_e32 v18, s26, v27
	v_ashrrev_i32_e32 v19, 31, v18
	v_mul_lo_u32 v20, v19, s34
	v_mul_lo_u32 v21, v18, s35
	v_mad_u64_u32 v[18:19], s[6:7], v18, s34, 0
	v_add3_u32 v19, v19, v21, v20
	v_lshl_add_u64 v[18:19], v[18:19], 2, s[10:11]
	global_load_dword v18, v[18:19], off
	s_waitcnt vmcnt(0)
	v_sub_f32_e32 v18, s12, v18
	v_exp_f32_e32 v36, v18
.LBB426_65:
	s_or_b64 exec, exec, s[4:5]
	v_or_b32_e32 v42, 3, v37
	v_cmp_gt_i32_e64 s[4:5], s27, v42
	s_and_saveexec_b64 s[6:7], s[4:5]
	s_cbranch_execz .LBB426_67
; %bb.66:
	v_add_u32_e32 v18, s26, v42
	v_ashrrev_i32_e32 v19, 31, v18
	v_mul_lo_u32 v20, v19, s34
	v_mul_lo_u32 v21, v18, s35
	v_mad_u64_u32 v[18:19], s[14:15], v18, s34, 0
	v_add3_u32 v19, v19, v21, v20
	v_lshl_add_u64 v[18:19], v[18:19], 2, s[10:11]
	global_load_dword v18, v[18:19], off
	s_waitcnt vmcnt(0)
	v_sub_f32_e32 v18, s12, v18
	v_exp_f32_e32 v33, v18
.LBB426_67:
	s_or_b64 exec, exec, s[6:7]
	s_add_u32 s6, s8, s20
	v_accvgpr_read_b32 v21, a7
	s_addc_u32 s7, s9, s21
	v_ashrrev_i32_e32 v57, 31, v56
	v_accvgpr_read_b32 v20, a6
	v_accvgpr_read_b32 v19, a5
	;; [unrolled: 1-line block ×3, first 2 shown]
	v_lshl_add_u64 v[22:23], v[56:57], 1, s[6:7]
	v_mov_b32_e32 v29, 0
	v_lshlrev_b32_e32 v24, 8, v37
	v_mov_b32_e32 v25, 0
	s_and_saveexec_b64 s[6:7], vcc
	s_cbranch_execz .LBB426_69
; %bb.68:
	v_mov_b32_e32 v25, 0
	v_lshl_add_u64 v[30:31], v[22:23], 0, v[24:25]
	global_load_ushort v25, v[30:31], off
	s_waitcnt vmcnt(0)
	v_lshlrev_b32_e32 v25, 16, v25
	v_sub_f32_e32 v18, v25, v18
	v_mul_f32_e32 v18, v34, v18
	v_lshrrev_b32_e32 v25, 16, v18
.LBB426_69:
	s_or_b64 exec, exec, s[6:7]
	v_lshlrev_b32_e32 v28, 8, v26
	s_and_saveexec_b64 s[6:7], s[0:1]
	s_cbranch_execz .LBB426_71
; %bb.70:
	v_mov_b32_e32 v29, 0
	v_lshl_add_u64 v[30:31], v[22:23], 0, v[28:29]
	global_load_ushort v18, v[30:31], off
	s_waitcnt vmcnt(0)
	v_lshlrev_b32_e32 v18, 16, v18
	v_sub_f32_e32 v18, v18, v19
	v_mul_f32_e32 v18, v32, v18
	v_lshrrev_b32_e32 v29, 16, v18
.LBB426_71:
	s_or_b64 exec, exec, s[6:7]
	v_mov_b32_e32 v43, 0
	v_lshlrev_b32_e32 v30, 8, v27
	v_mov_b32_e32 v31, 0
	s_and_saveexec_b64 s[6:7], s[2:3]
	s_cbranch_execz .LBB426_73
; %bb.72:
	v_mov_b32_e32 v31, 0
	v_lshl_add_u64 v[18:19], v[22:23], 0, v[30:31]
	global_load_ushort v18, v[18:19], off
	s_waitcnt vmcnt(0)
	v_lshlrev_b32_e32 v18, 16, v18
	v_sub_f32_e32 v18, v18, v20
	v_mul_f32_e32 v18, v36, v18
	v_lshrrev_b32_e32 v31, 16, v18
.LBB426_73:
	s_or_b64 exec, exec, s[6:7]
	v_lshlrev_b32_e32 v26, 8, v42
	s_and_saveexec_b64 s[6:7], s[4:5]
	s_cbranch_execz .LBB426_75
; %bb.74:
	v_mov_b32_e32 v27, 0
	v_lshl_add_u64 v[18:19], v[22:23], 0, v[26:27]
	global_load_ushort v18, v[18:19], off
	s_waitcnt vmcnt(0)
	v_lshlrev_b32_e32 v18, 16, v18
	v_sub_f32_e32 v18, v18, v21
	v_mul_f32_e32 v18, v33, v18
	v_lshrrev_b32_e32 v43, 16, v18
.LBB426_75:
	s_or_b64 exec, exec, s[6:7]
	v_lshlrev_b32_e32 v37, 5, v37
	s_mov_b32 s6, 0x5040100
	v_perm_b32 v42, v29, v25, s6
	v_or_b32_e32 v25, v37, v38
	v_accvgpr_read_b32 v21, a3
	v_perm_b32 v43, v43, v31, s6
	v_lshlrev_b32_e32 v25, 1, v25
	v_accvgpr_read_b32 v20, a2
	v_accvgpr_read_b32 v19, a1
	;; [unrolled: 1-line block ×3, first 2 shown]
	ds_write_b64 v25, v[42:43] offset:45056
	v_mov_b32_e32 v29, 0
	v_mov_b32_e32 v25, 0
	s_and_saveexec_b64 s[6:7], vcc
	s_cbranch_execz .LBB426_77
; %bb.76:
	v_mov_b32_e32 v25, 0
	v_lshl_add_u64 v[24:25], v[22:23], 0, v[24:25]
	global_load_ushort v24, v[24:25], off offset:32
	s_waitcnt vmcnt(0)
	v_lshlrev_b32_e32 v24, 16, v24
	v_sub_f32_e32 v18, v24, v18
	v_mul_f32_e32 v18, v34, v18
	v_lshrrev_b32_e32 v25, 16, v18
.LBB426_77:
	s_or_b64 exec, exec, s[6:7]
	s_and_saveexec_b64 s[6:7], s[0:1]
	s_cbranch_execz .LBB426_79
; %bb.78:
	v_mov_b32_e32 v29, 0
	v_lshl_add_u64 v[28:29], v[22:23], 0, v[28:29]
	global_load_ushort v18, v[28:29], off offset:32
	s_waitcnt vmcnt(0)
	v_lshlrev_b32_e32 v18, 16, v18
	v_sub_f32_e32 v18, v18, v19
	v_mul_f32_e32 v18, v32, v18
	v_lshrrev_b32_e32 v29, 16, v18
.LBB426_79:
	s_or_b64 exec, exec, s[6:7]
	v_mov_b32_e32 v24, 0
	v_mov_b32_e32 v28, 0
	s_and_saveexec_b64 s[0:1], s[2:3]
	s_cbranch_execz .LBB426_81
; %bb.80:
	v_mov_b32_e32 v31, 0
	v_lshl_add_u64 v[18:19], v[22:23], 0, v[30:31]
	global_load_ushort v18, v[18:19], off offset:32
	s_waitcnt vmcnt(0)
	v_lshlrev_b32_e32 v18, 16, v18
	v_sub_f32_e32 v18, v18, v20
	v_mul_f32_e32 v18, v36, v18
	v_lshrrev_b32_e32 v28, 16, v18
.LBB426_81:
	s_or_b64 exec, exec, s[0:1]
	v_or_b32_e32 v19, 0xb000, v40
	v_or_b32_e32 v18, 0xb000, v41
	s_and_saveexec_b64 s[0:1], s[4:5]
	s_cbranch_execz .LBB426_83
; %bb.82:
	v_mov_b32_e32 v27, 0
	v_lshl_add_u64 v[22:23], v[22:23], 0, v[26:27]
	global_load_ushort v20, v[22:23], off offset:32
	s_waitcnt vmcnt(0)
	v_lshlrev_b32_e32 v20, 16, v20
	v_sub_f32_e32 v20, v20, v21
	v_mul_f32_e32 v20, v33, v20
	v_lshrrev_b32_e32 v24, 16, v20
.LBB426_83:
	s_or_b64 exec, exec, s[0:1]
	s_mov_b32 s0, 0x5040100
	v_or_b32_e32 v22, v37, v35
	v_perm_b32 v21, v24, v28, s0
	v_perm_b32 v20, v29, v25, s0
	v_lshlrev_b32_e32 v22, 1, v22
	s_movk_i32 s0, 0x100
	ds_write_b64 v22, v[20:21] offset:45056
	v_and_b32_e32 v20, 7, v0
	v_and_b32_e32 v21, 8, v0
	v_cmp_gt_u32_e32 vcc, s0, v0
	v_lshrrev_b32_e32 v0, 1, v0
	v_lshlrev_b32_e32 v37, 3, v1
	v_and_b32_e32 v38, 24, v0
	v_lshlrev_b32_e32 v34, 3, v20
	v_lshlrev_b32_e32 v35, 7, v20
	v_mov_b32_e32 v20, 0x4000
	v_mov_b32_e32 v22, 0x2000
	v_xor_b32_e32 v0, v37, v38
	v_cndmask_b32_e32 v36, v20, v22, vcc
	v_or_b32_e32 v1, 0x440, v0
	v_cmp_eq_u32_e32 vcc, 0, v21
	s_waitcnt lgkmcnt(0)
	s_barrier
	v_cndmask_b32_e32 v0, v1, v0, vcc
	v_or_b32_e32 v0, v0, v39
	v_xad_u32 v40, v0, v34, v35
	v_add_u32_e32 v0, v36, v40
	ds_read_b64 v[0:1], v0
	ds_read2_b64 v[20:23], v19 offset1:16
	v_or_b32_e32 v24, 32, v38
	v_xor_b32_e32 v24, v37, v24
	v_or_b32_e32 v25, 0x440, v24
	v_cndmask_b32_e32 v24, v25, v24, vcc
	s_waitcnt lgkmcnt(0)
	v_mfma_f32_16x16x16_bf16 a[0:3], v[0:1], v[20:21], 0
	v_or_b32_e32 v24, v24, v39
	v_xad_u32 v41, v24, v34, v35
	v_add_u32_e32 v24, v36, v41
	v_mfma_f32_16x16x16_bf16 a[4:7], v[0:1], v[22:23], 0
	v_or_b32_e32 v0, 64, v38
	v_xor_b32_e32 v0, v37, v0
	v_xor_b32_e32 v1, 0x440, v0
	ds_read_b64 v[32:33], v24
	v_cndmask_b32_e32 v0, v1, v0, vcc
	v_or_b32_e32 v0, v0, v39
	v_xad_u32 v42, v0, v34, v35
	v_add_u32_e32 v0, v36, v42
	ds_read_b64 v[0:1], v0
	ds_read2st64_b64 v[24:27], v19 offset0:2 offset1:4
	ds_read2st64_b64 v[28:31], v18 offset0:2 offset1:4
	s_waitcnt lgkmcnt(1)
	v_mfma_f32_16x16x16_bf16 a[0:3], v[32:33], v[24:25], a[0:3]
	s_waitcnt lgkmcnt(0)
	v_mfma_f32_16x16x16_bf16 a[4:7], v[32:33], v[28:29], a[4:7]
	v_or_b32_e32 v32, 0x60, v38
	v_xor_b32_e32 v32, v37, v32
	v_xor_b32_e32 v33, 0x440, v32
	v_cndmask_b32_e32 v32, v33, v32, vcc
	v_or_b32_e32 v32, v32, v39
	v_xad_u32 v37, v32, v34, v35
	v_add_u32_e32 v32, v36, v37
	ds_read_b64 v[32:33], v32
	v_mfma_f32_16x16x16_bf16 a[0:3], v[0:1], v[26:27], a[0:3]
	v_exp_f32_e32 v36, s12
	v_mfma_f32_16x16x16_bf16 a[4:7], v[0:1], v[30:31], a[4:7]
	ds_read_b64 v[0:1], v19 offset:3072
	ds_read_b64 v[34:35], v18 offset:3072
	;; [unrolled: 1-line block ×3, first 2 shown]
	s_waitcnt lgkmcnt(0)
	v_mfma_f32_16x16x16_bf16 a[8:11], v[18:19], v[20:21], 0
	ds_read_b64 v[20:21], v41 offset:16384
	v_mfma_f32_16x16x16_bf16 a[0:3], v[32:33], v[0:1], a[0:3]
	v_mfma_f32_16x16x16_bf16 a[12:15], v[18:19], v[22:23], 0
	ds_read_b64 v[22:23], v42 offset:16384
	s_nop 4
	v_accvgpr_read_b32 v18, a0
	v_fma_f32 v18, v2, v36, v18
	v_accvgpr_read_b32 v2, a1
	v_fma_f32 v19, v3, v36, v2
	v_accvgpr_read_b32 v2, a2
	s_waitcnt lgkmcnt(1)
	v_mfma_f32_16x16x16_bf16 a[8:11], v[20:21], v[24:25], a[8:11]
	v_mfma_f32_16x16x16_bf16 a[12:15], v[20:21], v[28:29], a[12:15]
	v_fma_f32 v20, v4, v36, v2
	ds_read_b64 v[2:3], v37 offset:16384
	v_accvgpr_read_b32 v21, a3
	s_waitcnt lgkmcnt(1)
	v_mfma_f32_16x16x16_bf16 a[0:3], v[22:23], v[26:27], a[8:11]
	v_fmac_f32_e32 v21, v5, v36
	v_mfma_f32_16x16x16_bf16 a[4:7], v[32:33], v[34:35], a[4:7]
	v_mfma_f32_16x16x16_bf16 a[8:11], v[22:23], v[30:31], a[12:15]
	s_waitcnt lgkmcnt(0)
	v_mfma_f32_16x16x16_bf16 a[0:3], v[2:3], v[0:1], a[0:3]
	s_nop 3
	v_accvgpr_read_b32 v4, a4
	v_fma_f32 v26, v10, v36, v4
	v_accvgpr_read_b32 v4, a5
	v_fma_f32 v27, v11, v36, v4
	v_accvgpr_read_b32 v4, a6
	v_accvgpr_read_b32 v29, a7
	v_mfma_f32_16x16x16_bf16 a[4:7], v[2:3], v[34:35], a[8:11]
	v_accvgpr_read_b32 v0, a0
	v_fma_f32 v22, v6, v36, v0
	v_accvgpr_read_b32 v0, a1
	v_fma_f32 v23, v7, v36, v0
	;; [unrolled: 2-line block ×3, first 2 shown]
	v_accvgpr_read_b32 v25, a3
	v_accvgpr_read_b32 v0, a4
	v_fma_f32 v30, v14, v36, v0
	v_accvgpr_read_b32 v0, a5
	v_fma_f32 v31, v15, v36, v0
	v_accvgpr_read_b32 v0, a6
	v_accvgpr_read_b32 v33, a7
	v_fma_f32 v28, v12, v36, v4
	v_fmac_f32_e32 v29, v13, v36
	v_fmac_f32_e32 v25, v9, v36
	v_fma_f32 v32, v16, v36, v0
	v_fmac_f32_e32 v33, v17, v36
	v_mov_b64_e32 v[2:3], v[18:19]
	v_mov_b64_e32 v[4:5], v[20:21]
	;; [unrolled: 1-line block ×8, first 2 shown]
.LBB426_84:
	s_waitcnt lgkmcnt(0)
	s_add_u32 s0, s30, s28
	s_addc_u32 s1, s31, s29
	v_lshl_add_u64 v[0:1], v[52:53], 2, s[0:1]
	v_mov_b32_e32 v51, 0
	v_lshl_add_u64 v[0:1], v[0:1], 0, v[50:51]
	s_waitcnt vmcnt(3)
	global_store_dwordx4 v[0:1], v[2:5], off
	s_waitcnt vmcnt(3)
	global_store_dwordx4 v[0:1], v[6:9], off offset:256
	v_lshl_add_u64 v[0:1], v[54:55], 2, s[0:1]
	v_lshl_add_u64 v[0:1], v[0:1], 0, v[50:51]
	s_waitcnt vmcnt(3)
	global_store_dwordx4 v[0:1], v[10:13], off
	s_waitcnt vmcnt(3)
	global_store_dwordx4 v[0:1], v[14:17], off offset:256
	s_endpgm
	.section	.rodata,"a",@progbits
	.p2align	6, 0x0
	.amdhsa_kernel _ZN12_GLOBAL__N_139chunk_gated_delta_rule_fwd_h_hip_kernelILi32ELb1ELb1ELb0ELb0ELb1ELb0ELb1ELb0EEEvPK12hip_bfloat16S3_S3_PKfS5_PKvPS1_S8_PvPKiSB_iiiiilll
		.amdhsa_group_segment_fixed_size 49152
		.amdhsa_private_segment_fixed_size 0
		.amdhsa_kernarg_size 136
		.amdhsa_user_sgpr_count 2
		.amdhsa_user_sgpr_dispatch_ptr 0
		.amdhsa_user_sgpr_queue_ptr 0
		.amdhsa_user_sgpr_kernarg_segment_ptr 1
		.amdhsa_user_sgpr_dispatch_id 0
		.amdhsa_user_sgpr_kernarg_preload_length 0
		.amdhsa_user_sgpr_kernarg_preload_offset 0
		.amdhsa_user_sgpr_private_segment_size 0
		.amdhsa_uses_dynamic_stack 0
		.amdhsa_enable_private_segment 0
		.amdhsa_system_sgpr_workgroup_id_x 1
		.amdhsa_system_sgpr_workgroup_id_y 1
		.amdhsa_system_sgpr_workgroup_id_z 0
		.amdhsa_system_sgpr_workgroup_info 0
		.amdhsa_system_vgpr_workitem_id 0
		.amdhsa_next_free_vgpr 152
		.amdhsa_next_free_sgpr 69
		.amdhsa_accum_offset 136
		.amdhsa_reserve_vcc 1
		.amdhsa_float_round_mode_32 0
		.amdhsa_float_round_mode_16_64 0
		.amdhsa_float_denorm_mode_32 3
		.amdhsa_float_denorm_mode_16_64 3
		.amdhsa_dx10_clamp 1
		.amdhsa_ieee_mode 1
		.amdhsa_fp16_overflow 0
		.amdhsa_tg_split 0
		.amdhsa_exception_fp_ieee_invalid_op 0
		.amdhsa_exception_fp_denorm_src 0
		.amdhsa_exception_fp_ieee_div_zero 0
		.amdhsa_exception_fp_ieee_overflow 0
		.amdhsa_exception_fp_ieee_underflow 0
		.amdhsa_exception_fp_ieee_inexact 0
		.amdhsa_exception_int_div_zero 0
	.end_amdhsa_kernel
	.section	.text._ZN12_GLOBAL__N_139chunk_gated_delta_rule_fwd_h_hip_kernelILi32ELb1ELb1ELb0ELb0ELb1ELb0ELb1ELb0EEEvPK12hip_bfloat16S3_S3_PKfS5_PKvPS1_S8_PvPKiSB_iiiiilll,"axG",@progbits,_ZN12_GLOBAL__N_139chunk_gated_delta_rule_fwd_h_hip_kernelILi32ELb1ELb1ELb0ELb0ELb1ELb0ELb1ELb0EEEvPK12hip_bfloat16S3_S3_PKfS5_PKvPS1_S8_PvPKiSB_iiiiilll,comdat
.Lfunc_end426:
	.size	_ZN12_GLOBAL__N_139chunk_gated_delta_rule_fwd_h_hip_kernelILi32ELb1ELb1ELb0ELb0ELb1ELb0ELb1ELb0EEEvPK12hip_bfloat16S3_S3_PKfS5_PKvPS1_S8_PvPKiSB_iiiiilll, .Lfunc_end426-_ZN12_GLOBAL__N_139chunk_gated_delta_rule_fwd_h_hip_kernelILi32ELb1ELb1ELb0ELb0ELb1ELb0ELb1ELb0EEEvPK12hip_bfloat16S3_S3_PKfS5_PKvPS1_S8_PvPKiSB_iiiiilll
                                        ; -- End function
	.section	.AMDGPU.csdata,"",@progbits
; Kernel info:
; codeLenInByte = 9244
; NumSgprs: 75
; NumVgprs: 136
; NumAgprs: 16
; TotalNumVgprs: 152
; ScratchSize: 0
; MemoryBound: 0
; FloatMode: 240
; IeeeMode: 1
; LDSByteSize: 49152 bytes/workgroup (compile time only)
; SGPRBlocks: 9
; VGPRBlocks: 18
; NumSGPRsForWavesPerEU: 75
; NumVGPRsForWavesPerEU: 152
; AccumOffset: 136
; Occupancy: 1
; WaveLimiterHint : 1
; COMPUTE_PGM_RSRC2:SCRATCH_EN: 0
; COMPUTE_PGM_RSRC2:USER_SGPR: 2
; COMPUTE_PGM_RSRC2:TRAP_HANDLER: 0
; COMPUTE_PGM_RSRC2:TGID_X_EN: 1
; COMPUTE_PGM_RSRC2:TGID_Y_EN: 1
; COMPUTE_PGM_RSRC2:TGID_Z_EN: 0
; COMPUTE_PGM_RSRC2:TIDIG_COMP_CNT: 0
; COMPUTE_PGM_RSRC3_GFX90A:ACCUM_OFFSET: 33
; COMPUTE_PGM_RSRC3_GFX90A:TG_SPLIT: 0
	.section	.text._ZN12_GLOBAL__N_139chunk_gated_delta_rule_fwd_h_hip_kernelILi32ELb1ELb0ELb1ELb0ELb1ELb0ELb1ELb0EEEvPK12hip_bfloat16S3_S3_PKfS5_PKvPS1_S8_PvPKiSB_iiiiilll,"axG",@progbits,_ZN12_GLOBAL__N_139chunk_gated_delta_rule_fwd_h_hip_kernelILi32ELb1ELb0ELb1ELb0ELb1ELb0ELb1ELb0EEEvPK12hip_bfloat16S3_S3_PKfS5_PKvPS1_S8_PvPKiSB_iiiiilll,comdat
	.globl	_ZN12_GLOBAL__N_139chunk_gated_delta_rule_fwd_h_hip_kernelILi32ELb1ELb0ELb1ELb0ELb1ELb0ELb1ELb0EEEvPK12hip_bfloat16S3_S3_PKfS5_PKvPS1_S8_PvPKiSB_iiiiilll ; -- Begin function _ZN12_GLOBAL__N_139chunk_gated_delta_rule_fwd_h_hip_kernelILi32ELb1ELb0ELb1ELb0ELb1ELb0ELb1ELb0EEEvPK12hip_bfloat16S3_S3_PKfS5_PKvPS1_S8_PvPKiSB_iiiiilll
	.p2align	8
	.type	_ZN12_GLOBAL__N_139chunk_gated_delta_rule_fwd_h_hip_kernelILi32ELb1ELb0ELb1ELb0ELb1ELb0ELb1ELb0EEEvPK12hip_bfloat16S3_S3_PKfS5_PKvPS1_S8_PvPKiSB_iiiiilll,@function
_ZN12_GLOBAL__N_139chunk_gated_delta_rule_fwd_h_hip_kernelILi32ELb1ELb0ELb1ELb0ELb1ELb0ELb1ELb0EEEvPK12hip_bfloat16S3_S3_PKfS5_PKvPS1_S8_PvPKiSB_iiiiilll: ; @_ZN12_GLOBAL__N_139chunk_gated_delta_rule_fwd_h_hip_kernelILi32ELb1ELb0ELb1ELb0ELb1ELb0ELb1ELb0EEEvPK12hip_bfloat16S3_S3_PKfS5_PKvPS1_S8_PvPKiSB_iiiiilll
; %bb.0:
	s_load_dwordx4 s[12:15], s[0:1], 0x5c
	s_load_dwordx4 s[20:23], s[0:1], 0x70
	s_abs_i32 s6, s3
	s_ashr_i32 s5, s3, 31
	s_load_dwordx4 s[16:19], s[0:1], 0x28
	s_load_dwordx2 s[28:29], s[0:1], 0x38
	s_waitcnt lgkmcnt(0)
	s_abs_i32 s4, s13
	v_cvt_f32_u32_e32 v1, s4
	s_sub_i32 s8, 0, s4
	s_ashr_i32 s7, s13, 31
	s_xor_b32 s5, s5, s7
	v_rcp_iflag_f32_e32 v1, v1
	v_and_b32_e32 v63, 15, v0
	v_lshrrev_b32_e32 v61, 6, v0
	v_bfe_u32 v62, v0, 4, 2
	v_mul_f32_e32 v1, 0x4f7ffffe, v1
	v_cvt_u32_f32_e32 v1, v1
	v_mov_b32_e32 v7, 0
	v_and_b32_e32 v60, 63, v0
	v_lshrrev_b32_e32 v65, 3, v60
	v_readfirstlane_b32 s9, v1
	s_mul_i32 s8, s8, s9
	s_mul_hi_u32 s8, s9, s8
	s_add_i32 s9, s9, s8
	s_mul_hi_u32 s8, s6, s9
	s_mul_i32 s9, s8, s4
	s_sub_i32 s6, s6, s9
	s_add_i32 s10, s8, 1
	s_sub_i32 s9, s6, s4
	s_cmp_ge_u32 s6, s4
	s_cselect_b32 s8, s10, s8
	s_cselect_b32 s6, s9, s6
	s_add_i32 s9, s8, 1
	s_cmp_ge_u32 s6, s4
	s_cselect_b32 s6, s9, s8
	s_xor_b32 s6, s6, s5
	s_add_i32 s8, s12, 63
	s_sub_i32 s50, s6, s5
	s_ashr_i32 s9, s8, 31
	s_mul_i32 s5, s50, s13
	s_sub_i32 s48, s3, s5
	s_lshr_b32 s3, s9, 26
	s_add_i32 s8, s8, s3
	s_abs_i32 s3, s14
	v_cvt_f32_u32_e32 v1, s3
	s_ashr_i32 s49, s12, 31
	s_lshr_b32 s6, s49, 26
	s_add_i32 s6, s12, s6
	v_rcp_iflag_f32_e32 v1, v1
	s_ashr_i32 s53, s14, 31
	s_ashr_i32 s24, s8, 6
	;; [unrolled: 1-line block ×3, first 2 shown]
	v_mul_f32_e32 v1, 0x4f7ffffe, v1
	v_cvt_u32_f32_e32 v1, v1
	s_xor_b32 s6, s7, s53
	s_sub_i32 s7, 0, s3
	s_lshl_b32 s2, s2, 5
	v_readfirstlane_b32 s8, v1
	s_mul_i32 s7, s7, s8
	s_mul_hi_u32 s7, s8, s7
	s_add_i32 s8, s8, s7
	s_mul_hi_u32 s7, s4, s8
	s_mul_i32 s8, s7, s3
	s_sub_i32 s4, s4, s8
	s_add_i32 s8, s7, 1
	s_sub_i32 s9, s4, s3
	s_cmp_ge_u32 s4, s3
	s_cselect_b32 s7, s8, s7
	s_cselect_b32 s4, s9, s4
	s_add_i32 s8, s7, 1
	s_cmp_ge_u32 s4, s3
	s_cselect_b32 s3, s8, s7
	s_xor_b32 s3, s3, s6
	s_sub_i32 s3, s3, s6
	s_abs_i32 s4, s3
	v_cvt_f32_u32_e32 v1, s4
	s_sub_i32 s7, 0, s4
	s_abs_i32 s6, s48
	s_xor_b32 s3, s48, s3
	v_rcp_iflag_f32_e32 v1, v1
	s_ashr_i32 s3, s3, 31
	v_or_b32_e32 v50, s2, v63
	v_lshlrev_b32_e32 v2, 7, v50
	v_mul_f32_e32 v1, 0x4f7ffffe, v1
	v_cvt_u32_f32_e32 v1, v1
	v_ashrrev_i32_e32 v3, 31, v2
	s_mul_i32 s55, s50, s24
	v_lshlrev_b32_e32 v64, 3, v0
	v_readfirstlane_b32 s8, v1
	s_mul_i32 s7, s7, s8
	s_mul_hi_u32 s7, s8, s7
	s_add_i32 s8, s8, s7
	s_mul_hi_u32 s7, s6, s8
	s_mul_i32 s8, s7, s4
	s_sub_i32 s6, s6, s8
	s_add_i32 s8, s7, 1
	s_sub_i32 s9, s6, s4
	s_cmp_ge_u32 s6, s4
	s_cselect_b32 s7, s8, s7
	s_cselect_b32 s6, s9, s6
	s_add_i32 s8, s7, 1
	s_cmp_ge_u32 s6, s4
	s_cselect_b32 s4, s8, s7
	s_xor_b32 s4, s4, s3
	s_sub_i32 s54, s4, s3
	s_ashr_i32 s3, s50, 31
	s_ashr_i32 s52, s48, 31
	s_mul_hi_i32 s4, s50, s13
	s_add_u32 s38, s5, s48
	s_addc_u32 s39, s4, s52
	s_lshl_b64 s[4:5], s[38:39], 16
	s_add_u32 s4, s16, s4
	s_addc_u32 s5, s17, s5
	v_lshlrev_b32_e32 v1, 4, v61
	v_lshl_add_u64 v[4:5], v[2:3], 2, s[4:5]
	v_or_b32_e32 v2, 0x800, v2
	v_lshl_or_b32 v66, v62, 2, v1
	v_ashrrev_i32_e32 v3, 31, v2
	v_lshlrev_b32_e32 v6, 2, v66
	v_lshl_add_u64 v[2:3], v[2:3], 2, s[4:5]
	v_lshl_add_u64 v[4:5], v[4:5], 0, v[6:7]
	;; [unrolled: 1-line block ×3, first 2 shown]
	global_load_dwordx4 v[14:17], v[4:5], off
	global_load_dwordx4 v[10:13], v[4:5], off offset:256
	global_load_dwordx4 v[6:9], v[18:19], off
	s_nop 0
	global_load_dwordx4 v[2:5], v[18:19], off offset:256
	s_load_dwordx8 s[4:11], s[0:1], 0x0
	s_load_dwordx2 s[30:31], s[0:1], 0x80
	v_or_b32_e32 v67, 64, v66
	s_cmp_lt_i32 s12, 64
	s_mul_i32 s56, s39, s12
	s_mul_hi_u32 s57, s38, s12
	s_mul_i32 s16, s38, s12
	s_mul_i32 s33, s50, s21
	s_mul_hi_u32 s44, s50, s20
	s_mul_i32 s45, s3, s20
	s_mul_i32 s34, s50, s20
	;; [unrolled: 1-line block ×3, first 2 shown]
	s_mul_hi_u32 s46, s48, s22
	s_mul_i32 s47, s52, s22
	s_mul_i32 s36, s48, s22
	s_cbranch_scc1 .LBB427_3
; %bb.1:
	s_add_i32 s17, s57, s56
	s_lshl_b64 s[0:1], s[16:17], 8
	v_and_b32_e32 v69, 56, v64
	s_waitcnt lgkmcnt(0)
	s_add_u32 s20, s6, s0
	v_lshl_or_b32 v68, v61, 3, v65
	v_lshlrev_b32_e32 v18, 1, v69
	s_addc_u32 s0, s7, s1
	v_lshl_or_b32 v70, v68, 8, v18
	s_and_b32 s21, s0, 0xffff
	s_mov_b32 s23, 0x20000
	s_movk_i32 s22, 0x4000
	s_movk_i32 s0, 0x80
	v_or_b32_e32 v71, 0x2000, v70
	buffer_load_dwordx4 v[20:23], v70, s[20:23], 0 offen
	buffer_load_dwordx4 v[24:27], v70, s[20:23], s0 offen
	;; [unrolled: 1-line block ×4, first 2 shown]
	v_lshlrev_b32_e32 v19, 3, v68
	v_and_or_b32 v37, v0, 7, v19
	v_and_b32_e32 v19, 0x78, v19
	v_lshlrev_b32_e32 v37, 4, v37
	v_xor_b32_e32 v72, v37, v19
	v_mul_lo_u32 v36, v68, s15
	v_or_b32_e32 v73, 0x1000, v72
	v_xor_b32_e32 v19, 8, v72
	s_cmpk_eq_i32 s15, 0x80
	s_mov_b32 s58, s14
	v_xor_b32_e32 v37, 8, v73
	s_cselect_b64 s[0:1], -1, 0
	s_cmpk_lg_i32 s15, 0x80
	s_waitcnt vmcnt(3)
	ds_write_b64 v72, v[20:21] offset:24576
	ds_write_b64 v19, v[22:23] offset:24576
	s_waitcnt vmcnt(2)
	ds_write_b64 v72, v[24:25] offset:32768
	ds_write_b64 v19, v[26:27] offset:32768
	;; [unrolled: 3-line block ×4, first 2 shown]
	v_lshl_add_u32 v19, v36, 1, v69
	s_cbranch_scc0 .LBB427_29
; %bb.2:
	v_lshlrev_b32_e32 v21, 1, v19
	v_add_lshl_u32 v20, v19, s15, 1
	s_lshl_b32 s22, s15, 7
	v_lshl_or_b32 v18, v68, 9, v18
	s_cbranch_execz .LBB427_30
	s_branch .LBB427_31
.LBB427_3:
	s_waitcnt vmcnt(0)
	v_mov_b32_e32 v19, v5
	v_mov_b32_e32 v18, v9
	;; [unrolled: 1-line block ×4, first 2 shown]
.LBB427_4:
	s_lshl_b32 s26, s51, 6
	s_sub_i32 s27, s12, s26
	s_cmp_gt_i32 s27, 0
	s_cbranch_scc0 .LBB427_84
; %bb.5:
	s_ashr_i32 s3, s26, 31
	s_cmpk_lg_i32 s15, 0x80
	s_cselect_b64 s[22:23], -1, 0
	s_and_b64 vcc, exec, s[22:23]
	s_cbranch_vccz .LBB427_7
; %bb.6:
	s_mul_i32 s1, s50, s12
	s_mul_hi_i32 s0, s50, s12
	s_add_u32 s1, s1, s26
	s_addc_u32 s0, s0, s3
	s_mul_i32 s17, s1, s53
	s_mul_hi_u32 s20, s1, s14
	s_add_i32 s17, s20, s17
	s_mul_i32 s0, s0, s14
	s_add_i32 s17, s17, s0
	s_mul_i32 s1, s1, s14
	s_ashr_i32 s0, s54, 31
	s_add_u32 s24, s1, s54
	s_addc_u32 s25, s17, s0
	s_cbranch_execz .LBB427_8
	s_branch .LBB427_9
.LBB427_7:
                                        ; implicit-def: $sgpr24_sgpr25
.LBB427_8:
	s_mul_hi_i32 s0, s50, s14
	s_mul_i32 s50, s50, s14
	s_ashr_i32 s1, s54, 31
	s_add_u32 s14, s50, s54
	s_addc_u32 s0, s0, s1
	s_mul_i32 s1, s14, s49
	s_mul_hi_u32 s17, s14, s12
	s_add_i32 s1, s17, s1
	s_mul_i32 s0, s0, s12
	s_add_i32 s1, s1, s0
	s_mul_i32 s14, s14, s12
	s_add_u32 s24, s14, s26
	s_addc_u32 s25, s1, s3
.LBB427_9:
	s_mul_i32 s0, s38, s49
	s_add_i32 s0, s57, s0
	s_add_i32 s14, s55, s51
	s_add_i32 s1, s0, s56
	s_add_u32 s0, s16, s26
	s_addc_u32 s1, s1, s3
	v_lshlrev_b32_e32 v21, 5, v66
	v_lshlrev_b32_e32 v22, 2, v63
	s_mov_b32 s3, 0x7060302
	v_xor_b32_e32 v5, v66, v22
	v_xor_b32_e32 v23, v67, v22
	v_perm_b32 v13, v9, v12, s3
	v_or_b32_e32 v9, v21, v22
	s_lshl_b64 s[20:21], s[0:1], 8
	v_perm_b32 v17, v20, v16, s3
	v_perm_b32 v16, v15, v14, s3
	;; [unrolled: 1-line block ×3, first 2 shown]
	v_lshlrev_b32_e32 v9, 1, v9
	v_lshlrev_b32_e32 v10, 1, v5
	;; [unrolled: 1-line block ×4, first 2 shown]
	s_waitcnt lgkmcnt(0)
	s_add_u32 s0, s6, s20
	ds_write2st64_b64 v9, v[16:17], v[12:13] offset0:80 offset1:88
	v_or_b32_e32 v9, v10, v5
	v_or_b32_e32 v5, v11, v5
	s_addc_u32 s1, s7, s21
	ds_write_b64 v9, v[16:17]
	ds_write_b64 v5, v[12:13]
	v_perm_b32 v9, v18, v8, s3
	v_perm_b32 v8, v7, v6, s3
	;; [unrolled: 1-line block ×4, first 2 shown]
	s_mul_hi_i32 s3, s14, s13
	s_mul_i32 s14, s14, s13
	s_add_u32 s6, s14, s48
	v_or_b32_e32 v2, 16, v63
	s_addc_u32 s7, s3, s52
	v_lshlrev_b32_e32 v19, 2, v2
	s_ashr_i32 s3, s2, 31
	s_lshl_b64 s[6:7], s[6:7], 15
	v_or_b32_e32 v3, v21, v19
	s_add_u32 s6, s18, s6
	v_lshlrev_b32_e32 v3, 1, v3
	v_lshlrev_b32_e32 v2, 8, v2
	s_addc_u32 s7, s19, s7
	s_lshl_b64 s[2:3], s[2:3], 8
	ds_write2st64_b64 v3, v[8:9], v[4:5] offset0:80 offset1:88
	v_or_b32_e32 v3, v10, v2
	v_or_b32_e32 v2, v11, v2
	s_add_u32 s2, s6, s2
	ds_write_b64 v3, v[8:9]
	ds_write_b64 v2, v[4:5]
	v_lshrrev_b32_e32 v2, 4, v0
	s_addc_u32 s3, s7, s3
	v_lshlrev_b32_e32 v3, 1, v63
	v_lshlrev_b32_e32 v10, 4, v63
	v_mov_b32_e32 v11, 0
	v_or_b32_e32 v4, 1, v3
	v_xor_b32_e32 v3, v2, v3
	v_lshl_add_u64 v[12:13], s[2:3], 0, v[10:11]
	v_lshlrev_b32_e32 v10, 8, v2
	v_xor_b32_e32 v6, v4, v2
	v_lshl_or_b32 v2, v3, 3, v10
	s_waitcnt lgkmcnt(0)
	s_barrier
	ds_read2st64_b64 v[2:5], v2 offset1:8
	v_lshl_or_b32 v6, v6, 3, v10
	ds_read2st64_b64 v[6:9], v6 offset1:8
	v_lshl_add_u64 v[14:15], v[12:13], 0, v[10:11]
	s_movk_i32 s2, 0x1000
	s_waitcnt lgkmcnt(1)
	v_mov_b32_e32 v10, v2
	v_add_co_u32_e32 v2, vcc, s2, v14
	s_cmp_lg_u32 s27, 64
	v_mov_b32_e32 v11, v3
	v_addc_co_u32_e32 v3, vcc, 0, v15, vcc
	s_cselect_b64 s[6:7], -1, 0
	v_lshl_or_b32 v23, v61, 3, v65
	s_waitcnt lgkmcnt(0)
	v_mov_b32_e32 v12, v6
	v_mov_b32_e32 v13, v7
	;; [unrolled: 1-line block ×4, first 2 shown]
	s_mov_b32 s16, 0
	v_or_b32_e32 v20, 32, v23
	v_and_b32_e32 v18, 56, v64
	s_and_b64 vcc, exec, s[6:7]
	global_store_dwordx4 v[14:15], v[10:13], off
	global_store_dwordx4 v[2:3], v[6:9], off
	s_cbranch_vccz .LBB427_15
; %bb.10:
	s_mov_b32 s17, s16
	s_mov_b32 s18, s16
	;; [unrolled: 1-line block ×3, first 2 shown]
	v_mov_b64_e32 v[6:7], s[16:17]
	v_mov_b64_e32 v[8:9], s[18:19]
	;; [unrolled: 1-line block ×3, first 2 shown]
	v_cmp_gt_i32_e32 vcc, s27, v23
	v_mov_b64_e32 v[4:5], v[8:9]
	s_and_saveexec_b64 s[2:3], vcc
	s_cbranch_execz .LBB427_12
; %bb.11:
	v_lshlrev_b32_e32 v2, 8, v23
	v_mov_b32_e32 v3, 0
	v_lshl_add_u64 v[4:5], s[0:1], 0, v[2:3]
	v_lshlrev_b32_e32 v2, 1, v18
	v_lshl_add_u64 v[10:11], v[4:5], 0, v[2:3]
	global_load_dwordx4 v[6:9], v[10:11], off
	global_load_dwordx4 v[2:5], v[10:11], off offset:128
.LBB427_12:
	s_or_b64 exec, exec, s[2:3]
	s_mov_b32 s17, s16
	s_mov_b32 s18, s16
	;; [unrolled: 1-line block ×3, first 2 shown]
	v_mov_b64_e32 v[14:15], s[16:17]
	v_mov_b64_e32 v[16:17], s[18:19]
	;; [unrolled: 1-line block ×3, first 2 shown]
	v_cmp_gt_i32_e32 vcc, s27, v20
	v_lshlrev_b32_e32 v21, 7, v20
	v_mov_b64_e32 v[12:13], v[16:17]
	s_and_saveexec_b64 s[2:3], vcc
	s_cbranch_execz .LBB427_14
; %bb.13:
	v_lshlrev_b32_e32 v10, 1, v21
	v_mov_b32_e32 v11, 0
	v_lshl_add_u64 v[12:13], s[0:1], 0, v[10:11]
	v_lshlrev_b32_e32 v10, 1, v18
	v_lshl_add_u64 v[24:25], v[12:13], 0, v[10:11]
	global_load_dwordx4 v[14:17], v[24:25], off
	global_load_dwordx4 v[10:13], v[24:25], off offset:128
.LBB427_14:
	s_or_b64 exec, exec, s[2:3]
	v_lshrrev_b32_e32 v24, 3, v18
	v_lshlrev_b32_e32 v25, 3, v23
	v_or_b32_e32 v24, v25, v24
	v_lshlrev_b32_e32 v24, 4, v24
	v_and_b32_e32 v25, 0x78, v25
	v_xor_b32_e32 v24, v24, v25
	s_branch .LBB427_17
.LBB427_15:
                                        ; implicit-def: $vgpr24
                                        ; implicit-def: $vgpr21
                                        ; implicit-def: $vgpr6_vgpr7_vgpr8_vgpr9
                                        ; implicit-def: $vgpr2_vgpr3_vgpr4_vgpr5
                                        ; implicit-def: $vgpr14_vgpr15_vgpr16_vgpr17
                                        ; implicit-def: $vgpr10_vgpr11_vgpr12_vgpr13
	s_cbranch_execz .LBB427_17
; %bb.16:
	s_waitcnt vmcnt(0)
	v_lshlrev_b32_e32 v2, 1, v18
	v_lshl_or_b32 v21, v23, 8, v2
	s_and_b32 s1, s1, 0xffff
	s_mov_b32 s3, 0x20000
	s_movk_i32 s2, 0x4000
	v_lshl_or_b32 v24, v20, 8, v2
	s_movk_i32 s13, 0x80
	buffer_load_dwordx4 v[6:9], v21, s[0:3], 0 offen
	buffer_load_dwordx4 v[2:5], v21, s[0:3], s13 offen
	;; [unrolled: 1-line block ×4, first 2 shown]
	v_lshrrev_b32_e32 v21, 3, v18
	v_lshlrev_b32_e32 v24, 3, v23
	v_or_b32_e32 v21, v24, v21
	v_lshlrev_b32_e32 v21, 4, v21
	v_and_b32_e32 v24, 0x78, v24
	v_xor_b32_e32 v24, v21, v24
	v_lshlrev_b32_e32 v21, 7, v20
.LBB427_17:
	s_lshl_b64 s[0:1], s[24:25], 8
	s_add_u32 s4, s4, s0
	s_movk_i32 s0, 0x1000
	v_and_or_b32 v20, v21, s0, v24
	s_waitcnt vmcnt(1)
	ds_write_b64 v24, v[6:7] offset:24576
	v_xor_b32_e32 v6, 8, v24
	ds_write_b64 v6, v[8:9] offset:24576
	s_waitcnt vmcnt(0)
	ds_write_b64 v24, v[2:3] offset:32768
	ds_write_b64 v6, v[4:5] offset:32768
	;; [unrolled: 1-line block ×3, first 2 shown]
	v_xor_b32_e32 v2, 8, v20
	ds_write_b64 v2, v[16:17] offset:24576
	ds_write_b64 v20, v[10:11] offset:32768
	;; [unrolled: 1-line block ×3, first 2 shown]
	v_or_b32_e32 v2, v1, v63
	v_lshlrev_b32_e32 v3, 11, v61
	v_lshlrev_b32_e32 v2, 3, v2
	v_and_b32_e32 v6, 0x1000, v3
	v_lshrrev_b32_e32 v3, 5, v60
	s_movk_i32 s3, 0xf8
	v_and_or_b32 v3, v2, s3, v3
	v_lshlrev_b32_e32 v7, 4, v3
	v_and_b32_e32 v8, 0x78, v2
	v_or_b32_e32 v10, 32, v7
	v_lshrrev_b32_e32 v3, 1, v60
	v_xor_b32_e32 v10, v10, v8
	v_xor_b32_e32 v2, v7, v8
	v_and_b32_e32 v9, 8, v3
	v_or_b32_e32 v10, v10, v6
	v_or_b32_e32 v2, v2, v6
	v_xor_b32_e32 v26, v10, v9
	v_or_b32_e32 v10, 64, v7
	v_xor_b32_e32 v25, v2, v9
	v_xor_b32_e32 v10, v10, v8
	s_waitcnt lgkmcnt(0)
	s_barrier
	v_or_b32_e32 v12, v10, v6
	ds_read_b64 v[10:11], v25 offset:24576
	v_lshl_or_b32 v20, v62, 7, v22
	v_lshlrev_b32_e32 v24, 1, v20
	v_add_u32_e32 v2, 0xa000, v24
	ds_read2_b64 v[2:5], v2 offset1:16
	v_or_b32_e32 v7, 0x60, v7
	v_xor_b32_e32 v7, v7, v8
	s_waitcnt lgkmcnt(0)
	v_mfma_f32_16x16x16_bf16 a[0:3], v[10:11], v[2:3], 0
	v_or_b32_e32 v2, 64, v20
	v_or_b32_e32 v6, v7, v6
	v_lshlrev_b32_e32 v29, 1, v2
	v_xor_b32_e32 v27, v12, v9
	v_xor_b32_e32 v28, v6, v9
	ds_read_b64 v[12:13], v26 offset:24576
	ds_read_b64 v[14:15], v27 offset:24576
	;; [unrolled: 1-line block ×3, first 2 shown]
	v_mfma_f32_16x16x16_bf16 a[4:7], v[10:11], v[4:5], 0
	ds_read2st64_b64 v[2:5], v29 offset0:82 offset1:84
	ds_read2st64_b64 v[6:9], v24 offset0:82 offset1:84
	s_addc_u32 s5, s5, s1
	s_add_i32 s1, s44, s33
	s_add_i32 s0, s12, -1
	s_add_i32 s35, s1, s45
	s_add_i32 s1, s46, s39
	;; [unrolled: 1-line block ×3, first 2 shown]
	s_ashr_i32 s1, s0, 31
	s_mul_i32 s2, s0, s31
	s_mul_hi_u32 s3, s0, s30
	s_add_i32 s2, s3, s2
	s_mul_i32 s1, s1, s30
	s_waitcnt lgkmcnt(1)
	v_mfma_f32_16x16x16_bf16 a[4:7], v[12:13], v[2:3], a[4:7]
	s_add_i32 s1, s2, s1
	s_lshl_b64 s[2:3], s[34:35], 2
	s_add_u32 s10, s10, s2
	s_waitcnt lgkmcnt(0)
	v_mfma_f32_16x16x16_bf16 a[0:3], v[12:13], v[6:7], a[0:3]
	s_addc_u32 s11, s11, s3
	s_lshl_b64 s[2:3], s[36:37], 2
	s_mul_i32 s0, s0, s30
	s_add_u32 s10, s10, s2
	ds_read_b64 v[2:3], v24 offset:44032
	v_mfma_f32_16x16x16_bf16 a[4:7], v[14:15], v[4:5], a[4:7]
	ds_read_b64 v[4:5], v29 offset:44032
	s_addc_u32 s11, s11, s3
	s_lshl_b64 s[0:1], s[0:1], 2
	v_mfma_f32_16x16x16_bf16 a[0:3], v[14:15], v[8:9], a[0:3]
	s_add_u32 s0, s10, s0
	s_addc_u32 s1, s11, s1
	s_load_dword s12, s[0:1], 0x0
	s_waitcnt lgkmcnt(0)
	v_mfma_f32_16x16x16_bf16 a[0:3], v[16:17], v[2:3], a[0:3]
	s_and_b64 vcc, exec, s[22:23]
	v_mfma_f32_16x16x16_bf16 a[4:7], v[16:17], v[4:5], a[4:7]
	s_cbranch_vccz .LBB427_28
; %bb.18:
	v_lshlrev_b32_e32 v20, 1, v23
	s_and_b64 vcc, exec, s[6:7]
	s_cbranch_vccz .LBB427_44
; %bb.19:
	v_cmp_gt_i32_e32 vcc, s27, v20
	v_mov_b32_e32 v6, 0
	v_mov_b32_e32 v2, 0
	;; [unrolled: 1-line block ×5, first 2 shown]
	s_and_saveexec_b64 s[0:1], vcc
	s_cbranch_execz .LBB427_21
; %bb.20:
	v_mad_i64_i32 v[2:3], s[2:3], s15, v20, 0
	v_lshl_add_u64 v[2:3], v[2:3], 1, s[4:5]
	v_lshlrev_b32_e32 v4, 1, v18
	v_mov_b32_e32 v5, 0
	v_lshl_add_u64 v[2:3], v[2:3], 0, v[4:5]
	global_load_dwordx4 v[2:5], v[2:3], off
.LBB427_21:
	s_or_b64 exec, exec, s[0:1]
	v_or_b32_e32 v21, 1, v20
	v_cmp_gt_i32_e64 s[0:1], s27, v21
	v_mov_b32_e32 v7, 0
	v_mov_b32_e32 v8, 0
	;; [unrolled: 1-line block ×3, first 2 shown]
	s_and_saveexec_b64 s[2:3], s[0:1]
	s_cbranch_execz .LBB427_23
; %bb.22:
	v_mad_i64_i32 v[6:7], s[16:17], s15, v21, 0
	v_lshl_add_u64 v[6:7], v[6:7], 1, s[4:5]
	v_lshlrev_b32_e32 v8, 1, v18
	v_mov_b32_e32 v9, 0
	v_lshl_add_u64 v[6:7], v[6:7], 0, v[8:9]
	global_load_dwordx4 v[6:9], v[6:7], off
.LBB427_23:
	s_or_b64 exec, exec, s[2:3]
	v_mov_b32_e32 v17, 0
	v_mov_b32_e32 v10, 0
	v_mov_b32_e32 v11, 0
	v_mov_b32_e32 v12, 0
	v_mov_b32_e32 v13, 0
	s_and_saveexec_b64 s[2:3], vcc
	s_cbranch_execz .LBB427_25
; %bb.24:
	v_mad_i64_i32 v[10:11], s[16:17], s15, v20, 0
	v_lshl_add_u64 v[10:11], v[10:11], 1, s[4:5]
	v_lshlrev_b32_e32 v12, 1, v18
	v_mov_b32_e32 v13, 0
	v_lshl_add_u64 v[10:11], v[10:11], 0, v[12:13]
	global_load_dwordx4 v[10:13], v[10:11], off offset:128
.LBB427_25:
	s_or_b64 exec, exec, s[2:3]
	v_mov_b32_e32 v16, 0
	v_mov_b32_e32 v15, 0
	;; [unrolled: 1-line block ×3, first 2 shown]
	s_and_saveexec_b64 s[2:3], s[0:1]
	s_cbranch_execz .LBB427_27
; %bb.26:
	v_mad_i64_i32 v[14:15], s[0:1], s15, v21, 0
	v_lshl_add_u64 v[14:15], v[14:15], 1, s[4:5]
	v_lshlrev_b32_e32 v16, 1, v18
	v_mov_b32_e32 v17, 0
	v_lshl_add_u64 v[14:15], v[14:15], 0, v[16:17]
	global_load_dwordx4 v[14:17], v[14:15], off offset:128
.LBB427_27:
	s_or_b64 exec, exec, s[2:3]
	s_branch .LBB427_46
.LBB427_28:
                                        ; implicit-def: $vgpr5
                                        ; implicit-def: $vgpr9
                                        ; implicit-def: $vgpr13
                                        ; implicit-def: $vgpr17
	v_lshrrev_b32_e32 v30, 2, v60
	s_branch .LBB427_47
.LBB427_29:
                                        ; implicit-def: $vgpr20
                                        ; implicit-def: $vgpr21
                                        ; implicit-def: $sgpr22
	v_lshl_or_b32 v18, v68, 9, v18
.LBB427_30:
	v_or_b32_e32 v20, 0x100, v18
	s_movk_i32 s22, 0x4000
	v_mov_b32_e32 v21, v18
.LBB427_31:
	s_mul_hi_u32 s20, s14, s12
	s_mul_i32 s21, s53, s12
	s_add_i32 s20, s20, s21
	s_mul_i32 s21, s14, s12
	s_mul_i32 s23, s21, s3
	s_mul_hi_u32 s24, s21, s50
	s_add_i32 s23, s24, s23
	s_mul_i32 s20, s20, s50
	s_add_i32 s23, s23, s20
	s_mul_i32 s21, s21, s50
	s_ashr_i32 s59, s54, 31
	s_add_u32 s20, s21, s54
	s_addc_u32 s21, s23, s59
	s_lshl_b64 s[20:21], s[20:21], 8
	s_add_u32 s20, s4, s20
	s_addc_u32 s21, s5, s21
	s_and_b32 s21, s21, 0xffff
	s_mov_b32 s23, 0x20000
	s_movk_i32 s60, 0x80
	buffer_load_dwordx4 v[22:25], v21, s[20:23], 0 offen
	buffer_load_dwordx4 v[26:29], v21, s[20:23], s60 offen
	;; [unrolled: 1-line block ×4, first 2 shown]
	v_and_b32_e32 v20, 6, v0
	v_lshlrev_b32_e32 v39, 6, v66
	v_or_b32_e32 v41, 16, v63
	v_xor_b32_e32 v42, v68, v20
	v_and_b32_e32 v21, 1, v0
	v_lshl_or_b32 v45, v63, 3, v39
	v_lshl_or_b32 v39, v41, 3, v39
	v_lshlrev_b32_e32 v42, 2, v42
	s_mul_i32 s3, s3, s12
	s_mul_hi_u32 s20, s50, s12
	v_lshlrev_b32_e32 v38, 2, v63
	v_or_b32_e32 v76, 0xa000, v39
	v_or_b32_e32 v77, 0xb000, v39
	v_xor_b32_e32 v39, 0x440, v42
	v_cmp_eq_u32_e32 vcc, 0, v21
	v_xor_b32_e32 v43, v66, v38
	v_xor_b32_e32 v44, v67, v38
	v_cndmask_b32_e32 v21, v39, v42, vcc
	s_add_i32 s65, s20, s3
	s_add_i32 s3, s44, s33
	s_mov_b32 s62, 0x1000504
	v_lshlrev_b32_e32 v40, 8, v63
	v_lshlrev_b32_e32 v43, 1, v43
	;; [unrolled: 1-line block ×3, first 2 shown]
	v_lshl_or_b32 v20, v20, 10, v21
	s_add_i32 s35, s3, s45
	s_add_i32 s3, s46, s39
	s_mov_b32 s63, 0x3020706
	v_or_b32_e32 v74, 0xa000, v45
	v_or_b32_e32 v75, 0xb000, v45
	;; [unrolled: 1-line block ×4, first 2 shown]
	v_xor_b32_e32 v21, 8, v20
	v_xor_b32_e32 v40, 24, v20
	;; [unrolled: 1-line block ×4, first 2 shown]
	s_add_i32 s37, s3, s47
	s_lshl_b64 s[20:21], s[34:35], 2
	v_xor_b32_e32 v39, 16, v20
	v_xor_b32_e32 v42, 32, v20
	;; [unrolled: 1-line block ×3, first 2 shown]
	v_add_u32_e32 v21, 0x80, v21
	v_add_u32_e32 v40, 0x80, v40
	;; [unrolled: 1-line block ×4, first 2 shown]
	s_add_u32 s3, s10, s20
	s_addc_u32 s22, s11, s21
	s_lshl_b64 s[20:21], s[36:37], 2
	s_add_u32 s40, s3, s20
	s_movk_i32 s3, 0xf8
	s_addc_u32 s41, s22, s21
	s_lshl_b32 s26, s15, 7
	s_movk_i32 s24, 0x100
	v_mov_b32_e32 v53, 0
	v_lshlrev_b32_e32 v52, 4, v63
	v_cmp_gt_u32_e32 vcc, s24, v0
	v_ashrrev_i32_e32 v51, 31, v50
	s_mov_b32 s61, 0
	s_mul_i32 s64, s50, s12
	s_movk_i32 s35, 0x1000
	s_movk_i32 s22, 0x4000
	s_mov_b32 s66, 0
	s_waitcnt vmcnt(1)
	v_perm_b32 v48, v22, v30, s62
	s_waitcnt vmcnt(0)
	v_perm_b32 v49, v26, v34, s62
	v_perm_b32 v22, v22, v30, s63
	;; [unrolled: 1-line block ×15, first 2 shown]
	ds_write2st64_b32 v20, v48, v49 offset0:32 offset1:64
	ds_write2st64_b32 v21, v22, v26 offset0:32 offset1:64
	ds_write2st64_b32 v39, v30, v34 offset0:33 offset1:65
	ds_write2st64_b32 v40, v23, v27 offset0:33 offset1:65
	ds_write2st64_b32 v42, v31, v35 offset0:34 offset1:66
	ds_write2st64_b32 v45, v24, v28 offset0:34 offset1:66
	ds_write2st64_b32 v46, v32, v36 offset0:35 offset1:67
	ds_write2st64_b32 v47, v25, v29 offset0:35 offset1:67
	v_lshlrev_b32_e32 v20, 8, v41
	v_or_b32_e32 v80, v20, v43
	v_or_b32_e32 v81, v20, v44
	;; [unrolled: 1-line block ×3, first 2 shown]
	v_lshlrev_b32_e32 v20, 3, v20
	v_lshrrev_b32_e32 v23, 5, v60
	v_and_or_b32 v23, v20, s3, v23
	v_lshlrev_b32_e32 v23, 4, v23
	v_lshlrev_b32_e32 v21, 11, v61
	v_and_b32_e32 v20, 0x78, v20
	v_or_b32_e32 v28, 32, v23
	v_and_b32_e32 v22, 0x1000, v21
	v_lshrrev_b32_e32 v25, 1, v0
	v_xor_b32_e32 v28, v28, v20
	v_and_b32_e32 v26, 8, v25
	v_or_b32_e32 v28, v28, v22
	v_xor_b32_e32 v24, v23, v20
	v_xor_b32_e32 v84, v28, v26
	v_or_b32_e32 v28, 64, v23
	v_or_b32_e32 v23, 0x60, v23
	s_ashr_i32 s3, s2, 31
	v_xor_b32_e32 v28, v28, v20
	v_xor_b32_e32 v20, v23, v20
	s_lshl_b64 s[20:21], s[2:3], 8
	v_or_b32_e32 v24, v24, v22
	v_or_b32_e32 v28, v28, v22
	v_or_b32_e32 v20, v20, v22
	s_add_u32 s20, s18, s20
	v_lshlrev_b32_e32 v22, 1, v63
	v_xor_b32_e32 v86, v28, v26
	v_lshrrev_b32_e32 v28, 4, v0
	s_addc_u32 s21, s19, s21
	v_or_b32_e32 v23, 1, v22
	v_mov_b32_e32 v32, 0x4000
	v_mov_b32_e32 v33, 0x2000
	v_xor_b32_e32 v29, v28, v22
	v_xor_b32_e32 v30, v23, v28
	v_lshl_add_u64 v[22:23], s[20:21], 0, v[52:53]
	v_lshlrev_b32_e32 v52, 8, v28
	v_cndmask_b32_e32 v32, v32, v33, vcc
	v_lshlrev_b32_e32 v33, 3, v61
	v_and_b32_e32 v25, 24, v25
	v_lshl_or_b32 v90, v29, 3, v52
	v_and_b32_e32 v29, 8, v0
	v_xor_b32_e32 v34, v33, v25
	v_or_b32_e32 v35, 0x440, v34
	v_cmp_eq_u32_e32 vcc, 0, v29
	v_and_b32_e32 v28, 7, v0
	v_xor_b32_e32 v82, v24, v26
	v_cndmask_b32_e32 v29, v35, v34, vcc
	v_lshlrev_b32_e32 v24, 7, v62
	v_lshl_or_b32 v91, v30, 3, v52
	v_lshlrev_b32_e32 v30, 3, v28
	v_lshlrev_b32_e32 v28, 7, v28
	;; [unrolled: 1-line block ×3, first 2 shown]
	v_or_b32_e32 v29, v29, v21
	v_or_b32_e32 v27, v24, v38
	v_xad_u32 v92, v29, v30, v28
	v_and_or_b32 v24, v31, 60, v24
	v_mov_b32_e32 v29, 0xb000
	v_lshl_or_b32 v93, v24, 1, v29
	v_or_b32_e32 v24, 32, v25
	v_xor_b32_e32 v24, v33, v24
	v_or_b32_e32 v29, 0x440, v24
	v_cndmask_b32_e32 v24, v29, v24, vcc
	v_or_b32_e32 v24, v24, v21
	v_xad_u32 v94, v24, v30, v28
	v_or_b32_e32 v24, 64, v25
	v_xor_b32_e32 v24, v33, v24
	v_xor_b32_e32 v29, 0x440, v24
	v_cndmask_b32_e32 v24, v29, v24, vcc
	v_or_b32_e32 v24, v24, v21
	v_xad_u32 v95, v24, v30, v28
	v_or_b32_e32 v24, 0x60, v25
	v_xor_b32_e32 v24, v33, v24
	v_xor_b32_e32 v25, 0x440, v24
	v_lshlrev_b32_e32 v27, 1, v27
	v_cndmask_b32_e32 v24, v25, v24, vcc
	v_or_b32_e32 v83, 0xa000, v27
	v_or_b32_e32 v85, 0xa080, v27
	v_xor_b32_e32 v87, v20, v26
	v_or_b32_e32 v88, 0xb000, v27
	v_or_b32_e32 v89, 0xb080, v27
	v_lshlrev_b32_e32 v26, 1, v19
	v_add_lshl_u32 v19, v19, s15, 1
	v_or_b32_e32 v27, 0x100, v18
	v_or_b32_e32 v21, v24, v21
	v_lshlrev_b32_e32 v20, 7, v66
	v_xad_u32 v96, v21, v30, v28
	v_cndmask_b32_e64 v97, v26, v18, s[0:1]
	v_cndmask_b32_e64 v98, v19, v27, s[0:1]
	v_lshlrev_b64 v[18:19], 1, v[50:51]
	v_lshl_add_u64 v[54:55], s[8:9], 0, v[18:19]
	v_lshl_add_u64 v[56:57], s[28:29], 0, v[18:19]
	;; [unrolled: 1-line block ×3, first 2 shown]
	s_mov_b32 s3, 0x7060302
	v_lshlrev_b32_e32 v52, 1, v20
	v_add_u32_e32 v51, v32, v92
	v_add_u32_e32 v99, v32, v94
	;; [unrolled: 1-line block ×4, first 2 shown]
	s_waitcnt lgkmcnt(0)
	s_barrier
.LBB427_32:                             ; =>This Inner Loop Header: Depth=1
	s_add_i32 s37, s66, 1
	s_cmp_lt_i32 s37, s51
	s_mov_b64 s[24:25], 0
	s_cselect_b64 s[42:43], -1, 0
	s_cmp_ge_i32 s37, s51
	s_mov_b64 s[20:21], 0
	s_cbranch_scc1 .LBB427_34
; %bb.33:                               ;   in Loop: Header=BB427_32 Depth=1
	s_add_i32 s0, s61, 64
	s_add_u32 s0, s16, s0
	s_addc_u32 s1, s17, 0
	s_lshl_b64 s[0:1], s[0:1], 8
	s_add_u32 s20, s6, s0
	s_addc_u32 s21, s7, s1
.LBB427_34:                             ;   in Loop: Header=BB427_32 Depth=1
	v_cndmask_b32_e64 v18, 0, 1, s[42:43]
	v_cmp_ne_u32_e64 s[0:1], 1, v18
	s_andn2_b64 vcc, exec, s[42:43]
	s_cbranch_vccnz .LBB427_36
; %bb.35:                               ;   in Loop: Header=BB427_32 Depth=1
	s_add_i32 s24, s61, 64
	s_add_u32 s24, s64, s24
	s_addc_u32 s25, s65, 0
	s_mul_i32 s27, s24, s53
	s_mul_hi_u32 s42, s24, s58
	s_add_i32 s27, s42, s27
	s_mul_i32 s25, s25, s58
	s_add_i32 s27, s27, s25
	s_mul_i32 s24, s24, s58
	s_add_u32 s24, s24, s54
	s_addc_u32 s25, s27, s59
	s_lshl_b64 s[24:25], s[24:25], 8
	s_add_u32 s24, s4, s24
	s_addc_u32 s25, s5, s25
.LBB427_36:                             ;   in Loop: Header=BB427_32 Depth=1
	v_perm_b32 v19, v17, v16, s3
	v_perm_b32 v18, v15, v14, s3
	;; [unrolled: 1-line block ×4, first 2 shown]
	ds_write_b64 v74, v[18:19]
	ds_write_b64 v75, v[20:21]
	;; [unrolled: 1-line block ×4, first 2 shown]
	v_perm_b32 v19, v9, v8, s3
	v_perm_b32 v18, v7, v6, s3
	;; [unrolled: 1-line block ×4, first 2 shown]
	ds_write_b64 v76, v[18:19]
	ds_write_b64 v77, v[20:21]
	;; [unrolled: 1-line block ×4, first 2 shown]
	s_waitcnt lgkmcnt(0)
	s_barrier
	ds_read_b64 v[22:23], v82 offset:24576
	ds_read2_b64 v[18:21], v83 offset1:16
	ds_read_b64 v[26:27], v85 offset:3072
	ds_read_b64 v[28:29], v83 offset:3072
	ds_read_b64 v[30:31], v84 offset:24576
	s_waitcnt lgkmcnt(3)
	v_mfma_f32_16x16x16_bf16 a[0:3], v[22:23], v[18:19], 0
	s_add_i32 s27, s61, 63
	s_mul_i32 s42, s27, s31
	s_mul_hi_u32 s43, s27, s30
	v_mfma_f32_16x16x16_bf16 a[4:7], v[22:23], v[20:21], 0
	ds_read2st64_b64 v[18:21], v83 offset0:2 offset1:4
	ds_read2st64_b64 v[22:25], v85 offset0:2 offset1:4
	s_add_i32 s43, s43, s42
	s_waitcnt lgkmcnt(1)
	v_mfma_f32_16x16x16_bf16 a[0:3], v[30:31], v[18:19], a[0:3]
	s_mul_i32 s42, s27, s30
	s_lshl_b64 s[42:43], s[42:43], 2
	s_add_u32 s42, s40, s42
	s_waitcnt lgkmcnt(0)
	v_mfma_f32_16x16x16_bf16 a[4:7], v[30:31], v[22:23], a[4:7]
	ds_read_b64 v[18:19], v86 offset:24576
	ds_read_b64 v[22:23], v87 offset:24576
	s_addc_u32 s43, s41, s43
	s_and_b64 vcc, exec, s[0:1]
	s_waitcnt lgkmcnt(1)
	v_mfma_f32_16x16x16_bf16 a[0:3], v[18:19], v[20:21], a[0:3]
	v_mov_b32_e32 v104, 0
	v_mov_b32_e32 v103, 0
	v_mov_b32_e32 v102, 0
	v_mfma_f32_16x16x16_bf16 a[8:11], v[18:19], v[24:25], a[4:7]
	v_mov_b32_e32 v18, 0
	v_mov_b32_e32 v19, 0
	;; [unrolled: 1-line block ×3, first 2 shown]
	s_waitcnt lgkmcnt(0)
	v_mfma_f32_16x16x16_bf16 a[4:7], v[22:23], v[28:29], a[0:3]
	v_mov_b32_e32 v21, 0
	v_mov_b32_e32 v24, 0
	;; [unrolled: 1-line block ×3, first 2 shown]
	v_mfma_f32_16x16x16_bf16 a[0:3], v[22:23], v[26:27], a[8:11]
	v_mov_b32_e32 v22, 0
	v_mov_b32_e32 v23, 0
	;; [unrolled: 1-line block ×10, first 2 shown]
	s_cbranch_vccnz .LBB427_38
; %bb.37:                               ;   in Loop: Header=BB427_32 Depth=1
	s_and_b32 s21, s21, 0xffff
	buffer_load_dwordx4 v[30:33], v70, s[20:23], 0 offen
	buffer_load_dwordx4 v[26:29], v70, s[20:23], s60 offen
	;; [unrolled: 1-line block ×4, first 2 shown]
	v_mov_b32_e32 v103, v72
	v_mov_b32_e32 v102, v73
.LBB427_38:                             ;   in Loop: Header=BB427_32 Depth=1
	s_waitcnt vmcnt(3)
	ds_read_b64 v[42:43], v82 offset:32768
	s_waitcnt vmcnt(2)
	ds_read2_b64 v[34:37], v88 offset1:16
	ds_read_b64 v[44:45], v84 offset:32768
	ds_read_b64 v[46:47], v86 offset:32768
	;; [unrolled: 1-line block ×3, first 2 shown]
	ds_read2st64_b64 v[38:41], v88 offset0:2 offset1:4
	v_add_u32_e32 v105, s61, v66
	s_waitcnt lgkmcnt(4)
	v_mfma_f32_16x16x16_bf16 a[4:7], v[42:43], v[34:35], a[4:7]
	v_ashrrev_i32_e32 v34, 31, v105
	v_mfma_f32_16x16x16_bf16 a[0:3], v[42:43], v[36:37], a[0:3]
	v_mul_lo_u32 v36, v105, s31
	v_mul_lo_u32 v37, v34, s30
	v_mad_u64_u32 v[34:35], s[20:21], v105, s30, 0
	v_add3_u32 v35, v35, v36, v37
	v_add_u32_e32 v36, 1, v105
	v_ashrrev_i32_e32 v37, 31, v36
	s_waitcnt lgkmcnt(0)
	v_mfma_f32_16x16x16_bf16 a[4:7], v[44:45], v[38:39], a[4:7]
	v_mul_lo_u32 v38, v37, s30
	v_mul_lo_u32 v39, v36, s31
	v_mad_u64_u32 v[36:37], s[20:21], v36, s30, 0
	v_add3_u32 v37, v37, v39, v38
	v_add_u32_e32 v38, 2, v105
	v_ashrrev_i32_e32 v39, 31, v38
	v_mul_lo_u32 v42, v39, s30
	v_mul_lo_u32 v43, v38, s31
	v_mad_u64_u32 v[38:39], s[20:21], v38, s30, 0
	v_add3_u32 v39, v39, v43, v42
	v_add_u32_e32 v42, 3, v105
	v_ashrrev_i32_e32 v43, 31, v42
	v_mul_lo_u32 v105, v43, s30
	v_mul_lo_u32 v106, v42, s31
	v_mad_u64_u32 v[42:43], s[20:21], v42, s30, 0
	s_add_u32 s20, s16, s61
	s_addc_u32 s21, s17, 0
	s_lshl_b64 s[68:69], s[20:21], 8
	v_lshl_add_u64 v[34:35], v[34:35], 2, s[40:41]
	v_add3_u32 v43, v43, v106, v105
	v_lshl_add_u64 v[106:107], v[54:55], 0, s[68:69]
	v_lshl_add_u64 v[36:37], v[36:37], 2, s[40:41]
	;; [unrolled: 1-line block ×3, first 2 shown]
	global_load_dword v105, v[34:35], off
	global_load_ushort v108, v[106:107], off offset:256
	global_load_ushort v109, v[106:107], off
	global_load_ushort v110, v[106:107], off offset:768
	v_lshl_add_u64 v[34:35], v[42:43], 2, s[40:41]
	v_lshl_add_u64 v[38:39], v[38:39], 2, s[40:41]
	global_load_dword v111, v[36:37], off
	global_load_dword v112, v[38:39], off
	;; [unrolled: 1-line block ×3, first 2 shown]
	ds_read2st64_b64 v[34:37], v89 offset0:2 offset1:4
	s_waitcnt lgkmcnt(0)
	v_mfma_f32_16x16x16_bf16 a[0:3], v[44:45], v[34:35], a[0:3]
	global_load_ushort v44, v[106:107], off offset:512
	global_load_ushort v114, v[106:107], off offset:800
	;; [unrolled: 1-line block ×4, first 2 shown]
	s_nop 0
	global_load_ushort v106, v[106:107], off offset:32
	s_and_b64 vcc, exec, s[0:1]
	v_mfma_f32_16x16x16_bf16 a[4:7], v[46:47], v[40:41], a[4:7]
	s_waitcnt vmcnt(10)
	v_lshlrev_b32_e32 v43, 16, v108
	v_mfma_f32_16x16x16_bf16 a[0:3], v[46:47], v[36:37], a[0:3]
	ds_read_b64 v[34:35], v88 offset:3072
	ds_read_b64 v[36:37], v89 offset:3072
	s_load_dword s20, s[42:43], 0x0
	s_waitcnt vmcnt(9)
	v_lshlrev_b32_e32 v42, 16, v109
	s_waitcnt lgkmcnt(0)
	v_mfma_f32_16x16x16_bf16 a[4:7], v[48:49], v[34:35], a[4:7]
	v_lshl_add_u64 v[34:35], v[56:57], 0, s[68:69]
	v_sub_f32_e32 v46, s20, v105
	s_waitcnt vmcnt(7)
	v_sub_f32_e32 v47, s20, v111
	v_mfma_f32_16x16x16_bf16 a[0:3], v[48:49], v[36:37], a[0:3]
	s_waitcnt vmcnt(6)
	v_sub_f32_e32 v48, s20, v112
	s_waitcnt vmcnt(5)
	v_sub_f32_e32 v49, s20, v113
	v_accvgpr_read_b32 v41, a5
	v_accvgpr_read_b32 v40, a4
	v_exp_f32_e32 v46, v46
	v_pk_add_f32 v[40:41], v[42:43], v[40:41] neg_lo:[0,1] neg_hi:[0,1]
	v_exp_f32_e32 v47, v47
	v_exp_f32_e32 v42, v48
	;; [unrolled: 1-line block ×3, first 2 shown]
	v_accvgpr_read_b32 v37, a7
	v_accvgpr_read_b32 v36, a6
	v_lshlrev_b32_e32 v45, 16, v110
	s_waitcnt vmcnt(4)
	v_lshlrev_b32_e32 v44, 16, v44
	v_lshl_add_u64 v[34:35], v[34:35], 0, v[52:53]
	v_pk_add_f32 v[36:37], v[44:45], v[36:37] neg_lo:[0,1] neg_hi:[0,1]
	global_store_short_d16_hi v[34:35], v40, off
	global_store_short_d16_hi v[34:35], v41, off offset:256
	global_store_short_d16_hi v[34:35], v36, off offset:512
	global_store_short_d16_hi v[34:35], v37, off offset:768
	v_pk_mul_f32 v[40:41], v[46:47], v[40:41]
	v_pk_mul_f32 v[36:37], v[42:43], v[36:37]
	v_accvgpr_read_b32 v45, a1
	v_perm_b32 v40, v41, v40, s3
	v_perm_b32 v41, v37, v36, s3
	s_waitcnt vmcnt(5)
	v_lshlrev_b32_e32 v37, 16, v116
	s_waitcnt vmcnt(4)
	v_lshlrev_b32_e32 v36, 16, v106
	v_accvgpr_read_b32 v44, a0
	v_accvgpr_read_b32 v39, a3
	;; [unrolled: 1-line block ×3, first 2 shown]
	v_pk_add_f32 v[36:37], v[36:37], v[44:45] neg_lo:[0,1] neg_hi:[0,1]
	v_lshlrev_b32_e32 v45, 16, v114
	v_lshlrev_b32_e32 v44, 16, v115
	v_pk_add_f32 v[38:39], v[44:45], v[38:39] neg_lo:[0,1] neg_hi:[0,1]
	global_store_short_d16_hi v[34:35], v36, off offset:32
	global_store_short_d16_hi v[34:35], v37, off offset:288
	;; [unrolled: 1-line block ×4, first 2 shown]
	v_pk_mul_f32 v[34:35], v[46:47], v[36:37]
	v_pk_mul_f32 v[36:37], v[42:43], v[38:39]
	v_mov_b32_e32 v105, 0
	v_perm_b32 v37, v37, v36, s3
	v_perm_b32 v36, v35, v34, s3
	ds_write2_b64 v75, v[40:41], v[36:37] offset1:16
	v_mov_b32_e32 v34, 0
	v_mov_b32_e32 v35, 0
	;; [unrolled: 1-line block ×16, first 2 shown]
	s_cbranch_vccnz .LBB427_40
; %bb.39:                               ;   in Loop: Header=BB427_32 Depth=1
	s_and_b32 s25, s25, 0xffff
	s_mov_b32 s27, s23
	buffer_load_dwordx4 v[46:49], v97, s[24:27], 0 offen
	buffer_load_dwordx4 v[38:41], v97, s[24:27], s60 offen
	;; [unrolled: 1-line block ×4, first 2 shown]
	v_mov_b32_e32 v104, v69
	v_mov_b32_e32 v105, v68
.LBB427_40:                             ;   in Loop: Header=BB427_32 Depth=1
	s_waitcnt lgkmcnt(0)
	s_barrier
	ds_read_b64 v[110:111], v51
	ds_read_b64 v[118:119], v93
	;; [unrolled: 1-line block ×5, first 2 shown]
	ds_read_b64 v[124:125], v94 offset:16384
	ds_read_b64 v[126:127], v92 offset:16384
	ds_read2_b64 v[106:109], v88 offset0:16 offset1:128
	s_waitcnt lgkmcnt(6)
	v_mfma_f32_16x16x16_bf16 a[0:3], v[110:111], v[118:119], 0
	ds_read_b64 v[128:129], v89 offset:3072
	ds_read_b64 v[130:131], v96 offset:16384
	s_add_i32 s21, s55, s66
	s_waitcnt lgkmcnt(2)
	v_mfma_f32_16x16x16_bf16 a[4:7], v[110:111], v[106:107], 0
	ds_read2st64_b64 v[110:113], v89 offset0:2 offset1:4
	s_mul_hi_i32 s25, s21, s13
	s_mul_i32 s21, s21, s13
	v_mfma_f32_16x16x16_bf16 a[0:3], v[114:115], v[108:109], a[0:3]
	s_add_u32 s24, s21, s48
	s_addc_u32 s25, s25, s52
	s_lshl_b64 s[24:25], s[24:25], 15
	s_waitcnt lgkmcnt(0)
	v_mfma_f32_16x16x16_bf16 a[4:7], v[114:115], v[110:111], a[4:7]
	ds_read2st64_b64 v[114:117], v88 offset0:4 offset1:6
	s_waitcnt lgkmcnt(0)
	v_mfma_f32_16x16x16_bf16 a[0:3], v[120:121], v[114:115], a[0:3]
	v_mfma_f32_16x16x16_bf16 a[8:11], v[120:121], v[112:113], a[4:7]
	;; [unrolled: 1-line block ×5, first 2 shown]
	ds_read2st64_b64 v[118:121], v91 offset1:8
	v_mfma_f32_16x16x16_bf16 a[12:15], v[126:127], v[106:107], 0
	ds_read_b64 v[126:127], v95 offset:16384
	v_mfma_f32_16x16x16_bf16 a[8:11], v[124:125], v[108:109], a[8:11]
	ds_read2st64_b64 v[106:109], v90 offset1:8
	s_waitcnt lgkmcnt(0)
	v_mov_b32_e32 v122, v106
	v_mfma_f32_16x16x16_bf16 a[12:15], v[124:125], v[110:111], a[12:15]
	v_lshl_add_u64 v[110:111], v[58:59], 0, s[24:25]
	v_add_co_u32_e32 v106, vcc, s35, v110
	v_mfma_f32_16x16x16_bf16 a[8:11], v[126:127], v[114:115], a[8:11]
	v_mov_b32_e32 v123, v107
	v_addc_co_u32_e32 v107, vcc, 0, v111, vcc
	v_mfma_f32_16x16x16_bf16 a[16:19], v[126:127], v[112:113], a[12:15]
	v_mov_b32_e32 v124, v118
	v_mov_b32_e32 v125, v119
	;; [unrolled: 1-line block ×3, first 2 shown]
	v_mfma_f32_16x16x16_bf16 a[12:15], v[130:131], v[116:117], a[8:11]
	v_mov_b32_e32 v119, v109
	s_and_b64 vcc, exec, s[0:1]
	global_store_dwordx4 v[110:111], v[122:125], off
	v_mfma_f32_16x16x16_bf16 a[8:11], v[130:131], v[128:129], a[16:19]
	global_store_dwordx4 v[106:107], v[118:121], off
	s_cbranch_vccnz .LBB427_42
; %bb.41:                               ;   in Loop: Header=BB427_32 Depth=1
	v_lshrrev_b32_e32 v106, 3, v104
	v_and_b32_e32 v106, 6, v106
	v_xor_b32_e32 v105, v106, v105
	v_lshlrev_b32_e32 v105, 2, v105
	v_and_b32_e32 v104, 8, v104
	v_xor_b32_e32 v107, 0x440, v105
	v_cmp_eq_u32_e32 vcc, 0, v104
	s_barrier
	s_nop 0
	v_cndmask_b32_e32 v104, v107, v105, vcc
	v_lshl_or_b32 v104, v106, 10, v104
	s_waitcnt vmcnt(3)
	v_perm_b32 v105, v46, v42, s62
	s_waitcnt vmcnt(2)
	v_perm_b32 v106, v38, v34, s62
	ds_write2st64_b32 v104, v105, v106 offset0:32 offset1:64
	v_xor_b32_e32 v105, 8, v104
	v_perm_b32 v42, v46, v42, s63
	v_perm_b32 v34, v38, v34, s63
	v_add_u32_e32 v38, 0x80, v105
	ds_write2st64_b32 v38, v42, v34 offset0:32 offset1:64
	v_xor_b32_e32 v34, 16, v104
	v_perm_b32 v38, v47, v43, s62
	v_perm_b32 v42, v39, v35, s62
	ds_write2st64_b32 v34, v38, v42 offset0:33 offset1:65
	v_xor_b32_e32 v34, 24, v104
	v_perm_b32 v38, v47, v43, s63
	v_perm_b32 v35, v39, v35, s63
	v_add_u32_e32 v34, 0x80, v34
	ds_write2st64_b32 v34, v38, v35 offset0:33 offset1:65
	v_xor_b32_e32 v34, 32, v104
	v_perm_b32 v35, v48, v44, s62
	;; [unrolled: 9-line block ×3, first 2 shown]
	v_perm_b32 v36, v41, v37, s62
	ds_write2st64_b32 v34, v35, v36 offset0:35 offset1:67
	v_xor_b32_e32 v34, 56, v104
	v_perm_b32 v35, v49, v45, s63
	v_perm_b32 v36, v41, v37, s63
	v_add_u32_e32 v34, 0x80, v34
	ds_write2st64_b32 v34, v35, v36 offset0:35 offset1:67
	ds_write_b64 v103, v[30:31] offset:24576
	v_xor_b32_e32 v30, 8, v103
	ds_write_b64 v30, v[32:33] offset:24576
	ds_write_b64 v103, v[26:27] offset:32768
	;; [unrolled: 1-line block ×4, first 2 shown]
	v_xor_b32_e32 v22, 8, v102
	ds_write_b64 v22, v[24:25] offset:24576
	ds_write_b64 v102, v[18:19] offset:32768
	;; [unrolled: 1-line block ×3, first 2 shown]
.LBB427_42:                             ;   in Loop: Header=BB427_32 Depth=1
	v_exp_f32_e32 v21, s20
	v_accvgpr_read_b32 v18, a4
	v_accvgpr_read_b32 v20, a7
	;; [unrolled: 1-line block ×3, first 2 shown]
	v_fma_f32 v14, v14, v21, v18
	v_accvgpr_read_b32 v18, a6
	v_fma_f32 v16, v16, v21, v18
	v_accvgpr_read_b32 v18, a3
	v_fmac_f32_e32 v18, v9, v21
	v_accvgpr_read_b32 v9, a12
	v_fma_f32 v10, v10, v21, v9
	v_accvgpr_read_b32 v9, a13
	v_fma_f32 v11, v11, v21, v9
	;; [unrolled: 2-line block ×3, first 2 shown]
	v_accvgpr_read_b32 v9, a15
	v_fmac_f32_e32 v20, v17, v21
	v_accvgpr_read_b32 v17, a0
	v_fmac_f32_e32 v9, v13, v21
	v_accvgpr_read_b32 v13, a8
	v_fma_f32 v6, v6, v21, v17
	v_accvgpr_read_b32 v17, a1
	v_fma_f32 v2, v2, v21, v13
	;; [unrolled: 2-line block ×3, first 2 shown]
	v_fma_f32 v7, v7, v21, v17
	v_accvgpr_read_b32 v17, a2
	v_fma_f32 v3, v3, v21, v13
	v_accvgpr_read_b32 v13, a10
	v_accvgpr_read_b32 v19, a11
	s_add_i32 s61, s61, 64
	v_fma_f32 v8, v8, v21, v17
	v_fma_f32 v4, v4, v21, v13
	s_cmp_eq_u32 s51, s37
	v_fmac_f32_e32 v19, v5, v21
	s_cbranch_scc1 .LBB427_4
; %bb.43:                               ;   in Loop: Header=BB427_32 Depth=1
	s_mov_b32 s66, s37
	v_mov_b32_e32 v17, v20
	v_mov_b32_e32 v13, v9
	;; [unrolled: 1-line block ×4, first 2 shown]
	s_branch .LBB427_32
.LBB427_44:
                                        ; implicit-def: $vgpr5
                                        ; implicit-def: $vgpr9
                                        ; implicit-def: $vgpr13
                                        ; implicit-def: $vgpr17
	s_cbranch_execz .LBB427_46
; %bb.45:
	s_waitcnt vmcnt(0)
	v_mad_u64_u32 v[2:3], s[0:1], v20, s15, v[18:19]
	v_lshlrev_b32_e32 v20, 1, v2
	s_lshl_b32 s2, s15, 7
	s_and_b32 s1, s5, 0xffff
	s_mov_b32 s3, 0x20000
	s_mov_b32 s0, s4
	v_add_lshl_u32 v21, v2, s15, 1
	s_movk_i32 s13, 0x80
	buffer_load_dwordx4 v[2:5], v20, s[0:3], 0 offen
	buffer_load_dwordx4 v[10:13], v20, s[0:3], s13 offen
	;; [unrolled: 1-line block ×4, first 2 shown]
.LBB427_46:
	v_lshrrev_b32_e32 v30, 2, v60
	s_cbranch_execnz .LBB427_59
.LBB427_47:
	s_and_b64 vcc, exec, s[6:7]
	s_cbranch_vccz .LBB427_57
; %bb.48:
	s_waitcnt vmcnt(0)
	v_lshlrev_b32_e32 v7, 1, v23
	v_cmp_gt_i32_e32 vcc, s27, v7
	v_mov_b32_e32 v6, 0
	v_lshlrev_b32_e32 v14, 9, v23
	v_mov_b32_e32 v2, 0
	v_mov_b32_e32 v3, 0
	;; [unrolled: 1-line block ×4, first 2 shown]
	s_and_saveexec_b64 s[0:1], vcc
	s_cbranch_execz .LBB427_50
; %bb.49:
	v_mov_b32_e32 v15, 0
	v_lshl_add_u64 v[2:3], s[4:5], 0, v[14:15]
	v_lshlrev_b32_e32 v4, 1, v18
	v_mov_b32_e32 v5, v15
	v_lshl_add_u64 v[2:3], v[2:3], 0, v[4:5]
	global_load_dwordx4 v[2:5], v[2:3], off
.LBB427_50:
	s_or_b64 exec, exec, s[0:1]
	v_or_b32_e32 v7, 1, v7
	v_cmp_gt_i32_e64 s[0:1], s27, v7
	v_lshlrev_b32_e32 v20, 8, v7
	v_mov_b32_e32 v7, 0
	v_mov_b32_e32 v8, 0
	;; [unrolled: 1-line block ×3, first 2 shown]
	s_and_saveexec_b64 s[2:3], s[0:1]
	s_cbranch_execz .LBB427_52
; %bb.51:
	v_mov_b32_e32 v21, 0
	v_lshl_add_u64 v[6:7], s[4:5], 0, v[20:21]
	v_lshlrev_b32_e32 v8, 1, v18
	v_mov_b32_e32 v9, v21
	v_lshl_add_u64 v[6:7], v[6:7], 0, v[8:9]
	global_load_dwordx4 v[6:9], v[6:7], off
.LBB427_52:
	s_or_b64 exec, exec, s[2:3]
	v_mov_b32_e32 v17, 0
	v_mov_b32_e32 v10, 0
	;; [unrolled: 1-line block ×5, first 2 shown]
	s_and_saveexec_b64 s[2:3], vcc
	s_cbranch_execz .LBB427_54
; %bb.53:
	v_mov_b32_e32 v15, 0
	v_lshl_add_u64 v[10:11], s[4:5], 0, v[14:15]
	v_lshlrev_b32_e32 v14, 1, v18
	v_lshl_add_u64 v[10:11], v[10:11], 0, v[14:15]
	global_load_dwordx4 v[10:13], v[10:11], off offset:128
.LBB427_54:
	s_or_b64 exec, exec, s[2:3]
	v_mov_b32_e32 v16, 0
	v_mov_b32_e32 v15, 0
	;; [unrolled: 1-line block ×3, first 2 shown]
	s_and_saveexec_b64 s[2:3], s[0:1]
	s_cbranch_execz .LBB427_56
; %bb.55:
	v_mov_b32_e32 v21, 0
	v_lshl_add_u64 v[14:15], s[4:5], 0, v[20:21]
	v_lshlrev_b32_e32 v20, 1, v18
	v_lshl_add_u64 v[14:15], v[14:15], 0, v[20:21]
	global_load_dwordx4 v[14:17], v[14:15], off offset:128
.LBB427_56:
	s_or_b64 exec, exec, s[2:3]
	s_branch .LBB427_59
.LBB427_57:
                                        ; implicit-def: $vgpr5
                                        ; implicit-def: $vgpr9
                                        ; implicit-def: $vgpr13
                                        ; implicit-def: $vgpr17
	s_cbranch_execz .LBB427_59
; %bb.58:
	s_waitcnt vmcnt(0)
	v_lshlrev_b32_e32 v2, 1, v18
	v_lshl_or_b32 v18, v23, 9, v2
	s_and_b32 s5, s5, 0xffff
	s_mov_b32 s7, 0x20000
	s_movk_i32 s6, 0x4000
	s_movk_i32 s0, 0x80
	buffer_load_dwordx4 v[2:5], v18, s[4:7], 0 offen
	buffer_load_dwordx4 v[6:9], v18, s[4:7], 0 offen offset:256
	buffer_load_dwordx4 v[10:13], v18, s[4:7], s0 offen
	buffer_load_dwordx4 v[14:17], v18, s[4:7], s0 offen offset:256
.LBB427_59:
	ds_read_b64 v[20:21], v25 offset:32768
	v_add_u32_e32 v18, 0xb000, v24
	ds_read2_b64 v[32:35], v18 offset1:16
	ds_read_b64 v[40:41], v26 offset:32768
	ds_read_b64 v[26:27], v27 offset:32768
	;; [unrolled: 1-line block ×3, first 2 shown]
	v_and_b32_e32 v18, 6, v0
	v_xor_b32_e32 v23, v23, v18
	v_lshlrev_b32_e32 v23, 2, v23
	v_and_b32_e32 v0, 1, v0
	v_xor_b32_e32 v28, 0x440, v23
	v_cmp_eq_u32_e32 vcc, 0, v0
	s_waitcnt lgkmcnt(3)
	v_mfma_f32_16x16x16_bf16 a[0:3], v[20:21], v[32:33], a[0:3]
	s_mov_b32 s0, 0x1000504
	v_cndmask_b32_e32 v0, v28, v23, vcc
	v_lshl_or_b32 v0, v18, 10, v0
	v_mfma_f32_16x16x16_bf16 a[4:7], v[20:21], v[34:35], a[4:7]
	ds_read2st64_b64 v[32:35], v24 offset0:90 offset1:92
	ds_read2st64_b64 v[36:39], v29 offset0:90 offset1:92
	ds_read_b64 v[20:21], v24 offset:48128
	ds_read_b64 v[24:25], v29 offset:48128
	s_waitcnt vmcnt(0)
	v_perm_b32 v18, v2, v6, s0
	s_waitcnt lgkmcnt(3)
	v_mfma_f32_16x16x16_bf16 a[0:3], v[40:41], v[32:33], a[0:3]
	s_mov_b32 s1, 0x3020706
	v_perm_b32 v2, v2, v6, s1
	v_perm_b32 v6, v10, v14, s1
	s_waitcnt lgkmcnt(2)
	v_mfma_f32_16x16x16_bf16 a[4:7], v[40:41], v[36:37], a[4:7]
	v_mfma_f32_16x16x16_bf16 a[0:3], v[26:27], v[34:35], a[0:3]
	;; [unrolled: 1-line block ×3, first 2 shown]
	s_waitcnt lgkmcnt(1)
	v_mfma_f32_16x16x16_bf16 a[4:7], v[42:43], v[20:21], a[0:3]
	v_perm_b32 v20, v10, v14, s0
	ds_write2st64_b32 v0, v18, v20 offset0:32 offset1:64
	v_xor_b32_e32 v18, 8, v0
	v_add_u32_e32 v10, 0x80, v18
	ds_write2st64_b32 v10, v2, v6 offset0:32 offset1:64
	v_xor_b32_e32 v2, 16, v0
	v_perm_b32 v6, v3, v7, s0
	v_perm_b32 v10, v11, v15, s0
	ds_write2st64_b32 v2, v6, v10 offset0:33 offset1:65
	v_xor_b32_e32 v2, 24, v0
	v_perm_b32 v3, v3, v7, s1
	v_perm_b32 v6, v11, v15, s1
	v_add_u32_e32 v2, 0x80, v2
	ds_write2st64_b32 v2, v3, v6 offset0:33 offset1:65
	v_xor_b32_e32 v2, 32, v0
	v_perm_b32 v3, v4, v8, s0
	v_perm_b32 v6, v12, v16, s0
	s_waitcnt lgkmcnt(4)
	v_mfma_f32_16x16x16_bf16 a[0:3], v[42:43], v[24:25], a[8:11]
	ds_write2st64_b32 v2, v3, v6 offset0:34 offset1:66
	v_xor_b32_e32 v2, 40, v0
	v_perm_b32 v3, v4, v8, s1
	v_perm_b32 v4, v12, v16, s1
	v_add_u32_e32 v2, 0x80, v2
	ds_write2st64_b32 v2, v3, v4 offset0:34 offset1:66
	v_xor_b32_e32 v2, 48, v0
	v_perm_b32 v3, v5, v9, s0
	v_perm_b32 v4, v13, v17, s0
	v_xor_b32_e32 v0, 56, v0
	v_and_or_b32 v21, v30, 12, v1
	ds_write2st64_b32 v2, v3, v4 offset0:35 offset1:67
	v_perm_b32 v2, v5, v9, s1
	v_perm_b32 v3, v13, v17, s1
	v_add_u32_e32 v0, 0x80, v0
	v_cmp_gt_i32_e32 vcc, s27, v21
	v_mov_b32_e32 v16, 0
	v_mov_b32_e32 v18, 0
	ds_write2st64_b32 v0, v2, v3 offset0:35 offset1:67
	s_and_saveexec_b64 s[0:1], vcc
	s_cbranch_execz .LBB427_61
; %bb.60:
	v_add_u32_e32 v0, s26, v21
	v_ashrrev_i32_e32 v1, 31, v0
	v_mul_lo_u32 v2, v1, s30
	v_mul_lo_u32 v3, v0, s31
	v_mad_u64_u32 v[0:1], s[2:3], v0, s30, 0
	v_add3_u32 v1, v1, v3, v2
	v_lshl_add_u64 v[0:1], v[0:1], 2, s[10:11]
	global_load_dword v0, v[0:1], off
	s_waitcnt vmcnt(0)
	v_sub_f32_e32 v0, s12, v0
	v_exp_f32_e32 v18, v0
.LBB427_61:
	s_or_b64 exec, exec, s[0:1]
	v_or_b32_e32 v10, 1, v21
	v_cmp_gt_i32_e64 s[2:3], s27, v10
	s_and_saveexec_b64 s[0:1], s[2:3]
	s_cbranch_execz .LBB427_63
; %bb.62:
	v_add_u32_e32 v0, s26, v10
	v_ashrrev_i32_e32 v1, 31, v0
	v_mul_lo_u32 v2, v1, s30
	v_mul_lo_u32 v3, v0, s31
	v_mad_u64_u32 v[0:1], s[4:5], v0, s30, 0
	v_add3_u32 v1, v1, v3, v2
	v_lshl_add_u64 v[0:1], v[0:1], 2, s[10:11]
	global_load_dword v0, v[0:1], off
	s_waitcnt vmcnt(0)
	v_sub_f32_e32 v0, s12, v0
	v_exp_f32_e32 v16, v0
.LBB427_63:
	s_or_b64 exec, exec, s[0:1]
	v_or_b32_e32 v12, 2, v21
	v_cmp_gt_i32_e64 s[0:1], s27, v12
	v_mov_b32_e32 v17, 0
	v_mov_b32_e32 v20, 0
	s_and_saveexec_b64 s[4:5], s[0:1]
	s_cbranch_execz .LBB427_65
; %bb.64:
	v_add_u32_e32 v0, s26, v12
	v_ashrrev_i32_e32 v1, 31, v0
	v_mul_lo_u32 v2, v1, s30
	v_mul_lo_u32 v3, v0, s31
	v_mad_u64_u32 v[0:1], s[6:7], v0, s30, 0
	v_add3_u32 v1, v1, v3, v2
	v_lshl_add_u64 v[0:1], v[0:1], 2, s[10:11]
	global_load_dword v0, v[0:1], off
	s_waitcnt vmcnt(0)
	v_sub_f32_e32 v0, s12, v0
	v_exp_f32_e32 v20, v0
.LBB427_65:
	s_or_b64 exec, exec, s[4:5]
	v_or_b32_e32 v14, 3, v21
	v_cmp_gt_i32_e64 s[4:5], s27, v14
	s_and_saveexec_b64 s[6:7], s[4:5]
	s_cbranch_execz .LBB427_67
; %bb.66:
	v_add_u32_e32 v0, s26, v14
	v_ashrrev_i32_e32 v1, 31, v0
	v_mul_lo_u32 v2, v1, s30
	v_mul_lo_u32 v3, v0, s31
	v_mad_u64_u32 v[0:1], s[14:15], v0, s30, 0
	v_add3_u32 v1, v1, v3, v2
	v_lshl_add_u64 v[0:1], v[0:1], 2, s[10:11]
	global_load_dword v0, v[0:1], off
	s_waitcnt vmcnt(0)
	v_sub_f32_e32 v0, s12, v0
	v_exp_f32_e32 v17, v0
.LBB427_67:
	s_or_b64 exec, exec, s[6:7]
	s_add_u32 s6, s8, s20
	s_addc_u32 s7, s9, s21
	s_add_u32 s8, s28, s20
	v_ashrrev_i32_e32 v51, 31, v50
	v_accvgpr_read_b32 v0, a4
	s_addc_u32 s9, s29, s21
	v_lshlrev_b64 v[4:5], 1, v[50:51]
	v_accvgpr_read_b32 v1, a5
	v_accvgpr_read_b32 v2, a6
	v_accvgpr_read_b32 v3, a7
	v_lshl_add_u64 v[6:7], s[6:7], 0, v[4:5]
	v_lshl_add_u64 v[4:5], s[8:9], 0, v[4:5]
	v_mov_b32_e32 v11, 0
	v_lshlrev_b32_e32 v8, 8, v21
	v_mov_b32_e32 v9, 0
	s_and_saveexec_b64 s[6:7], vcc
	s_cbranch_execz .LBB427_69
; %bb.68:
	v_mov_b32_e32 v9, 0
	v_lshl_add_u64 v[24:25], v[6:7], 0, v[8:9]
	global_load_ushort v13, v[24:25], off
	v_lshl_add_u64 v[24:25], v[4:5], 0, v[8:9]
	s_waitcnt vmcnt(0)
	v_lshlrev_b32_e32 v9, 16, v13
	v_sub_f32_e32 v0, v9, v0
	global_store_short_d16_hi v[24:25], v0, off
	v_mul_f32_e32 v0, v18, v0
	v_lshrrev_b32_e32 v9, 16, v0
.LBB427_69:
	s_or_b64 exec, exec, s[6:7]
	v_lshlrev_b32_e32 v10, 8, v10
	s_and_saveexec_b64 s[6:7], s[2:3]
	s_cbranch_execz .LBB427_71
; %bb.70:
	v_mov_b32_e32 v11, 0
	v_lshl_add_u64 v[24:25], v[6:7], 0, v[10:11]
	global_load_ushort v0, v[24:25], off
	v_lshl_add_u64 v[24:25], v[4:5], 0, v[10:11]
	s_waitcnt vmcnt(0)
	v_lshlrev_b32_e32 v0, 16, v0
	v_sub_f32_e32 v0, v0, v1
	global_store_short_d16_hi v[24:25], v0, off
	v_mul_f32_e32 v0, v16, v0
	v_lshrrev_b32_e32 v11, 16, v0
.LBB427_71:
	s_or_b64 exec, exec, s[6:7]
	v_mov_b32_e32 v15, 0
	v_lshlrev_b32_e32 v12, 8, v12
	v_mov_b32_e32 v13, 0
	s_and_saveexec_b64 s[6:7], s[0:1]
	s_cbranch_execz .LBB427_73
; %bb.72:
	v_mov_b32_e32 v13, 0
	v_lshl_add_u64 v[0:1], v[6:7], 0, v[12:13]
	global_load_ushort v23, v[0:1], off
	v_lshl_add_u64 v[0:1], v[4:5], 0, v[12:13]
	s_waitcnt vmcnt(0)
	v_lshlrev_b32_e32 v13, 16, v23
	v_sub_f32_e32 v2, v13, v2
	global_store_short_d16_hi v[0:1], v2, off
	v_mul_f32_e32 v0, v20, v2
	v_lshrrev_b32_e32 v13, 16, v0
.LBB427_73:
	s_or_b64 exec, exec, s[6:7]
	v_lshlrev_b32_e32 v14, 8, v14
	s_and_saveexec_b64 s[6:7], s[4:5]
	s_cbranch_execz .LBB427_75
; %bb.74:
	v_mov_b32_e32 v15, 0
	v_lshl_add_u64 v[0:1], v[6:7], 0, v[14:15]
	global_load_ushort v2, v[0:1], off
	v_lshl_add_u64 v[0:1], v[4:5], 0, v[14:15]
	s_waitcnt vmcnt(0)
	v_lshlrev_b32_e32 v2, 16, v2
	v_sub_f32_e32 v2, v2, v3
	global_store_short_d16_hi v[0:1], v2, off
	v_mul_f32_e32 v0, v17, v2
	v_lshrrev_b32_e32 v15, 16, v0
.LBB427_75:
	s_or_b64 exec, exec, s[6:7]
	v_lshlrev_b32_e32 v21, 5, v21
	s_mov_b32 s6, 0x5040100
	v_perm_b32 v24, v11, v9, s6
	v_or_b32_e32 v9, v21, v22
	v_accvgpr_read_b32 v0, a0
	v_perm_b32 v25, v15, v13, s6
	v_lshlrev_b32_e32 v9, 1, v9
	v_accvgpr_read_b32 v1, a1
	v_accvgpr_read_b32 v2, a2
	;; [unrolled: 1-line block ×3, first 2 shown]
	ds_write_b64 v9, v[24:25] offset:45056
	v_mov_b32_e32 v11, 0
	v_mov_b32_e32 v9, 0
	s_and_saveexec_b64 s[6:7], vcc
	s_cbranch_execz .LBB427_77
; %bb.76:
	v_mov_b32_e32 v9, 0
	v_lshl_add_u64 v[22:23], v[6:7], 0, v[8:9]
	global_load_ushort v13, v[22:23], off offset:32
	v_lshl_add_u64 v[8:9], v[4:5], 0, v[8:9]
	s_waitcnt vmcnt(0)
	v_lshlrev_b32_e32 v13, 16, v13
	v_sub_f32_e32 v0, v13, v0
	global_store_short_d16_hi v[8:9], v0, off offset:32
	v_mul_f32_e32 v0, v18, v0
	v_lshrrev_b32_e32 v9, 16, v0
.LBB427_77:
	s_or_b64 exec, exec, s[6:7]
	s_and_saveexec_b64 s[6:7], s[2:3]
	s_cbranch_execz .LBB427_79
; %bb.78:
	v_mov_b32_e32 v11, 0
	v_lshl_add_u64 v[22:23], v[6:7], 0, v[10:11]
	global_load_ushort v0, v[22:23], off offset:32
	v_lshl_add_u64 v[10:11], v[4:5], 0, v[10:11]
	s_waitcnt vmcnt(0)
	v_lshlrev_b32_e32 v0, 16, v0
	v_sub_f32_e32 v0, v0, v1
	global_store_short_d16_hi v[10:11], v0, off offset:32
	v_mul_f32_e32 v0, v16, v0
	v_lshrrev_b32_e32 v11, 16, v0
.LBB427_79:
	s_or_b64 exec, exec, s[6:7]
	v_mov_b32_e32 v0, 0
	v_mov_b32_e32 v1, 0
	s_and_saveexec_b64 s[2:3], s[0:1]
	s_cbranch_execz .LBB427_81
; %bb.80:
	v_mov_b32_e32 v13, 0
	v_lshl_add_u64 v[22:23], v[6:7], 0, v[12:13]
	global_load_ushort v1, v[22:23], off offset:32
	v_lshl_add_u64 v[12:13], v[4:5], 0, v[12:13]
	s_waitcnt vmcnt(0)
	v_lshlrev_b32_e32 v1, 16, v1
	v_sub_f32_e32 v1, v1, v2
	global_store_short_d16_hi v[12:13], v1, off offset:32
	v_mul_f32_e32 v1, v20, v1
	v_lshrrev_b32_e32 v1, 16, v1
.LBB427_81:
	s_or_b64 exec, exec, s[2:3]
	s_and_saveexec_b64 s[0:1], s[4:5]
	s_cbranch_execz .LBB427_83
; %bb.82:
	v_mov_b32_e32 v15, 0
	v_lshl_add_u64 v[6:7], v[6:7], 0, v[14:15]
	global_load_ushort v0, v[6:7], off offset:32
	v_lshl_add_u64 v[4:5], v[4:5], 0, v[14:15]
	s_waitcnt vmcnt(0)
	v_lshlrev_b32_e32 v0, 16, v0
	v_sub_f32_e32 v0, v0, v3
	global_store_short_d16_hi v[4:5], v0, off offset:32
	v_mul_f32_e32 v0, v17, v0
	v_lshrrev_b32_e32 v0, 16, v0
.LBB427_83:
	s_or_b64 exec, exec, s[0:1]
	s_mov_b32 s0, 0x5040100
	v_or_b32_e32 v2, v21, v19
	v_perm_b32 v1, v0, v1, s0
	v_perm_b32 v0, v11, v9, s0
	v_lshlrev_b32_e32 v2, 1, v2
	ds_write_b64 v2, v[0:1] offset:45056
	s_waitcnt lgkmcnt(0)
	s_barrier
.LBB427_84:
	s_endpgm
	.section	.rodata,"a",@progbits
	.p2align	6, 0x0
	.amdhsa_kernel _ZN12_GLOBAL__N_139chunk_gated_delta_rule_fwd_h_hip_kernelILi32ELb1ELb0ELb1ELb0ELb1ELb0ELb1ELb0EEEvPK12hip_bfloat16S3_S3_PKfS5_PKvPS1_S8_PvPKiSB_iiiiilll
		.amdhsa_group_segment_fixed_size 49152
		.amdhsa_private_segment_fixed_size 0
		.amdhsa_kernarg_size 136
		.amdhsa_user_sgpr_count 2
		.amdhsa_user_sgpr_dispatch_ptr 0
		.amdhsa_user_sgpr_queue_ptr 0
		.amdhsa_user_sgpr_kernarg_segment_ptr 1
		.amdhsa_user_sgpr_dispatch_id 0
		.amdhsa_user_sgpr_kernarg_preload_length 0
		.amdhsa_user_sgpr_kernarg_preload_offset 0
		.amdhsa_user_sgpr_private_segment_size 0
		.amdhsa_uses_dynamic_stack 0
		.amdhsa_enable_private_segment 0
		.amdhsa_system_sgpr_workgroup_id_x 1
		.amdhsa_system_sgpr_workgroup_id_y 1
		.amdhsa_system_sgpr_workgroup_id_z 0
		.amdhsa_system_sgpr_workgroup_info 0
		.amdhsa_system_vgpr_workitem_id 0
		.amdhsa_next_free_vgpr 152
		.amdhsa_next_free_sgpr 70
		.amdhsa_accum_offset 132
		.amdhsa_reserve_vcc 1
		.amdhsa_float_round_mode_32 0
		.amdhsa_float_round_mode_16_64 0
		.amdhsa_float_denorm_mode_32 3
		.amdhsa_float_denorm_mode_16_64 3
		.amdhsa_dx10_clamp 1
		.amdhsa_ieee_mode 1
		.amdhsa_fp16_overflow 0
		.amdhsa_tg_split 0
		.amdhsa_exception_fp_ieee_invalid_op 0
		.amdhsa_exception_fp_denorm_src 0
		.amdhsa_exception_fp_ieee_div_zero 0
		.amdhsa_exception_fp_ieee_overflow 0
		.amdhsa_exception_fp_ieee_underflow 0
		.amdhsa_exception_fp_ieee_inexact 0
		.amdhsa_exception_int_div_zero 0
	.end_amdhsa_kernel
	.section	.text._ZN12_GLOBAL__N_139chunk_gated_delta_rule_fwd_h_hip_kernelILi32ELb1ELb0ELb1ELb0ELb1ELb0ELb1ELb0EEEvPK12hip_bfloat16S3_S3_PKfS5_PKvPS1_S8_PvPKiSB_iiiiilll,"axG",@progbits,_ZN12_GLOBAL__N_139chunk_gated_delta_rule_fwd_h_hip_kernelILi32ELb1ELb0ELb1ELb0ELb1ELb0ELb1ELb0EEEvPK12hip_bfloat16S3_S3_PKfS5_PKvPS1_S8_PvPKiSB_iiiiilll,comdat
.Lfunc_end427:
	.size	_ZN12_GLOBAL__N_139chunk_gated_delta_rule_fwd_h_hip_kernelILi32ELb1ELb0ELb1ELb0ELb1ELb0ELb1ELb0EEEvPK12hip_bfloat16S3_S3_PKfS5_PKvPS1_S8_PvPKiSB_iiiiilll, .Lfunc_end427-_ZN12_GLOBAL__N_139chunk_gated_delta_rule_fwd_h_hip_kernelILi32ELb1ELb0ELb1ELb0ELb1ELb0ELb1ELb0EEEvPK12hip_bfloat16S3_S3_PKfS5_PKvPS1_S8_PvPKiSB_iiiiilll
                                        ; -- End function
	.section	.AMDGPU.csdata,"",@progbits
; Kernel info:
; codeLenInByte = 8624
; NumSgprs: 76
; NumVgprs: 132
; NumAgprs: 20
; TotalNumVgprs: 152
; ScratchSize: 0
; MemoryBound: 0
; FloatMode: 240
; IeeeMode: 1
; LDSByteSize: 49152 bytes/workgroup (compile time only)
; SGPRBlocks: 9
; VGPRBlocks: 18
; NumSGPRsForWavesPerEU: 76
; NumVGPRsForWavesPerEU: 152
; AccumOffset: 132
; Occupancy: 1
; WaveLimiterHint : 1
; COMPUTE_PGM_RSRC2:SCRATCH_EN: 0
; COMPUTE_PGM_RSRC2:USER_SGPR: 2
; COMPUTE_PGM_RSRC2:TRAP_HANDLER: 0
; COMPUTE_PGM_RSRC2:TGID_X_EN: 1
; COMPUTE_PGM_RSRC2:TGID_Y_EN: 1
; COMPUTE_PGM_RSRC2:TGID_Z_EN: 0
; COMPUTE_PGM_RSRC2:TIDIG_COMP_CNT: 0
; COMPUTE_PGM_RSRC3_GFX90A:ACCUM_OFFSET: 32
; COMPUTE_PGM_RSRC3_GFX90A:TG_SPLIT: 0
	.section	.text._ZN12_GLOBAL__N_139chunk_gated_delta_rule_fwd_h_hip_kernelILi32ELb1ELb0ELb0ELb0ELb1ELb0ELb1ELb0EEEvPK12hip_bfloat16S3_S3_PKfS5_PKvPS1_S8_PvPKiSB_iiiiilll,"axG",@progbits,_ZN12_GLOBAL__N_139chunk_gated_delta_rule_fwd_h_hip_kernelILi32ELb1ELb0ELb0ELb0ELb1ELb0ELb1ELb0EEEvPK12hip_bfloat16S3_S3_PKfS5_PKvPS1_S8_PvPKiSB_iiiiilll,comdat
	.globl	_ZN12_GLOBAL__N_139chunk_gated_delta_rule_fwd_h_hip_kernelILi32ELb1ELb0ELb0ELb0ELb1ELb0ELb1ELb0EEEvPK12hip_bfloat16S3_S3_PKfS5_PKvPS1_S8_PvPKiSB_iiiiilll ; -- Begin function _ZN12_GLOBAL__N_139chunk_gated_delta_rule_fwd_h_hip_kernelILi32ELb1ELb0ELb0ELb0ELb1ELb0ELb1ELb0EEEvPK12hip_bfloat16S3_S3_PKfS5_PKvPS1_S8_PvPKiSB_iiiiilll
	.p2align	8
	.type	_ZN12_GLOBAL__N_139chunk_gated_delta_rule_fwd_h_hip_kernelILi32ELb1ELb0ELb0ELb0ELb1ELb0ELb1ELb0EEEvPK12hip_bfloat16S3_S3_PKfS5_PKvPS1_S8_PvPKiSB_iiiiilll,@function
_ZN12_GLOBAL__N_139chunk_gated_delta_rule_fwd_h_hip_kernelILi32ELb1ELb0ELb0ELb0ELb1ELb0ELb1ELb0EEEvPK12hip_bfloat16S3_S3_PKfS5_PKvPS1_S8_PvPKiSB_iiiiilll: ; @_ZN12_GLOBAL__N_139chunk_gated_delta_rule_fwd_h_hip_kernelILi32ELb1ELb0ELb0ELb0ELb1ELb0ELb1ELb0EEEvPK12hip_bfloat16S3_S3_PKfS5_PKvPS1_S8_PvPKiSB_iiiiilll
; %bb.0:
	s_load_dwordx4 s[12:15], s[0:1], 0x5c
	s_load_dwordx4 s[16:19], s[0:1], 0x28
	s_abs_i32 s6, s3
	s_ashr_i32 s5, s3, 31
	v_and_b32_e32 v61, 15, v0
	s_waitcnt lgkmcnt(0)
	s_abs_i32 s4, s13
	v_cvt_f32_u32_e32 v1, s4
	s_sub_i32 s8, 0, s4
	s_ashr_i32 s7, s13, 31
	s_xor_b32 s5, s5, s7
	v_rcp_iflag_f32_e32 v1, v1
	v_lshrrev_b32_e32 v59, 6, v0
	v_bfe_u32 v60, v0, 4, 2
	v_mov_b32_e32 v7, 0
	v_mul_f32_e32 v1, 0x4f7ffffe, v1
	v_cvt_u32_f32_e32 v1, v1
	v_and_b32_e32 v58, 63, v0
	v_lshrrev_b32_e32 v63, 3, v58
	v_lshlrev_b32_e32 v62, 3, v0
	v_readfirstlane_b32 s9, v1
	s_mul_i32 s8, s8, s9
	s_mul_hi_u32 s8, s9, s8
	s_add_i32 s9, s9, s8
	s_mul_hi_u32 s8, s6, s9
	s_mul_i32 s9, s8, s4
	s_sub_i32 s6, s6, s9
	s_add_i32 s10, s8, 1
	s_sub_i32 s9, s6, s4
	s_cmp_ge_u32 s6, s4
	s_cselect_b32 s8, s10, s8
	s_cselect_b32 s6, s9, s6
	s_add_i32 s9, s8, 1
	s_cmp_ge_u32 s6, s4
	s_cselect_b32 s6, s9, s8
	s_xor_b32 s6, s6, s5
	s_sub_i32 s48, s6, s5
	s_mul_i32 s6, s48, s13
	s_sub_i32 s46, s3, s6
	s_abs_i32 s3, s14
	v_cvt_f32_u32_e32 v1, s3
	s_add_i32 s8, s12, 63
	s_ashr_i32 s9, s8, 31
	s_lshr_b32 s5, s9, 26
	v_rcp_iflag_f32_e32 v1, v1
	s_ashr_i32 s47, s12, 31
	s_add_i32 s8, s8, s5
	s_lshr_b32 s5, s47, 26
	v_mul_f32_e32 v1, 0x4f7ffffe, v1
	v_cvt_u32_f32_e32 v1, v1
	s_add_i32 s5, s12, s5
	s_ashr_i32 s51, s14, 31
	s_ashr_i32 s24, s8, 6
	;; [unrolled: 1-line block ×3, first 2 shown]
	s_xor_b32 s5, s7, s51
	s_sub_i32 s7, 0, s3
	v_readfirstlane_b32 s8, v1
	s_mul_i32 s7, s7, s8
	s_mul_hi_u32 s7, s8, s7
	s_add_i32 s8, s8, s7
	s_mul_hi_u32 s7, s4, s8
	s_mul_i32 s8, s7, s3
	s_sub_i32 s4, s4, s8
	s_lshl_b32 s2, s2, 5
	s_add_i32 s8, s7, 1
	s_sub_i32 s9, s4, s3
	s_cmp_ge_u32 s4, s3
	s_cselect_b32 s7, s8, s7
	s_cselect_b32 s4, s9, s4
	s_add_i32 s8, s7, 1
	s_cmp_ge_u32 s4, s3
	s_cselect_b32 s3, s8, s7
	s_xor_b32 s3, s3, s5
	s_sub_i32 s3, s3, s5
	s_abs_i32 s4, s3
	v_cvt_f32_u32_e32 v1, s4
	s_sub_i32 s7, 0, s4
	s_abs_i32 s5, s46
	s_xor_b32 s3, s46, s3
	v_rcp_iflag_f32_e32 v1, v1
	s_ashr_i32 s3, s3, 31
	v_or_b32_e32 v50, s2, v61
	v_lshlrev_b32_e32 v2, 7, v50
	v_mul_f32_e32 v1, 0x4f7ffffe, v1
	v_cvt_u32_f32_e32 v1, v1
	v_ashrrev_i32_e32 v3, 31, v2
	s_mul_i32 s53, s48, s24
	v_readfirstlane_b32 s8, v1
	s_mul_i32 s7, s7, s8
	s_mul_hi_u32 s7, s8, s7
	s_add_i32 s8, s8, s7
	s_mul_hi_u32 s7, s5, s8
	s_mul_i32 s8, s7, s4
	s_sub_i32 s5, s5, s8
	s_add_i32 s8, s7, 1
	s_sub_i32 s9, s5, s4
	s_cmp_ge_u32 s5, s4
	s_cselect_b32 s7, s8, s7
	s_cselect_b32 s5, s9, s5
	s_add_i32 s8, s7, 1
	s_cmp_ge_u32 s5, s4
	s_cselect_b32 s4, s8, s7
	s_xor_b32 s4, s4, s3
	s_sub_i32 s52, s4, s3
	s_ashr_i32 s3, s48, 31
	s_ashr_i32 s50, s46, 31
	s_mul_hi_i32 s4, s48, s13
	s_add_u32 s36, s6, s46
	s_addc_u32 s37, s4, s50
	s_lshl_b64 s[4:5], s[36:37], 16
	s_add_u32 s4, s16, s4
	s_addc_u32 s5, s17, s5
	v_lshlrev_b32_e32 v1, 4, v59
	v_lshl_add_u64 v[4:5], v[2:3], 2, s[4:5]
	v_or_b32_e32 v2, 0x800, v2
	v_lshl_or_b32 v64, v60, 2, v1
	v_ashrrev_i32_e32 v3, 31, v2
	v_lshlrev_b32_e32 v6, 2, v64
	v_lshl_add_u64 v[2:3], v[2:3], 2, s[4:5]
	v_lshl_add_u64 v[4:5], v[4:5], 0, v[6:7]
	v_lshl_add_u64 v[18:19], v[2:3], 0, v[6:7]
	global_load_dwordx4 v[14:17], v[4:5], off
	global_load_dwordx4 v[10:13], v[4:5], off offset:256
	global_load_dwordx4 v[6:9], v[18:19], off
	s_nop 0
	global_load_dwordx4 v[2:5], v[18:19], off offset:256
	s_load_dwordx8 s[4:11], s[0:1], 0x0
	s_load_dwordx2 s[28:29], s[0:1], 0x80
	s_load_dwordx4 s[20:23], s[0:1], 0x70
	v_or_b32_e32 v65, 64, v64
	s_cmp_lt_i32 s12, 64
	s_mul_i32 s54, s37, s12
	s_mul_hi_u32 s55, s36, s12
	s_mul_i32 s16, s36, s12
	s_waitcnt lgkmcnt(0)
	s_mul_i32 s33, s48, s21
	s_mul_hi_u32 s42, s48, s20
	s_mul_i32 s43, s3, s20
	s_mul_i32 s30, s48, s20
	;; [unrolled: 1-line block ×3, first 2 shown]
	s_mul_hi_u32 s44, s46, s22
	s_mul_i32 s45, s50, s22
	s_mul_i32 s34, s46, s22
	s_cbranch_scc1 .LBB428_3
; %bb.1:
	s_add_i32 s17, s55, s54
	s_lshl_b64 s[0:1], s[16:17], 8
	v_and_b32_e32 v67, 56, v62
	s_add_u32 s20, s6, s0
	v_lshl_or_b32 v66, v59, 3, v63
	v_lshlrev_b32_e32 v18, 1, v67
	s_addc_u32 s0, s7, s1
	v_lshl_or_b32 v68, v66, 8, v18
	s_and_b32 s21, s0, 0xffff
	s_mov_b32 s23, 0x20000
	s_movk_i32 s22, 0x4000
	s_movk_i32 s0, 0x80
	v_or_b32_e32 v69, 0x2000, v68
	buffer_load_dwordx4 v[20:23], v68, s[20:23], 0 offen
	buffer_load_dwordx4 v[24:27], v68, s[20:23], s0 offen
	;; [unrolled: 1-line block ×4, first 2 shown]
	v_lshlrev_b32_e32 v19, 3, v66
	v_and_or_b32 v37, v0, 7, v19
	v_and_b32_e32 v19, 0x78, v19
	v_lshlrev_b32_e32 v37, 4, v37
	v_xor_b32_e32 v70, v37, v19
	v_mul_lo_u32 v36, v66, s15
	v_or_b32_e32 v71, 0x1000, v70
	v_xor_b32_e32 v19, 8, v70
	s_cmpk_eq_i32 s15, 0x80
	s_mov_b32 s56, s14
	v_xor_b32_e32 v37, 8, v71
	s_cselect_b64 s[0:1], -1, 0
	s_cmpk_lg_i32 s15, 0x80
	s_waitcnt vmcnt(3)
	ds_write_b64 v70, v[20:21] offset:24576
	ds_write_b64 v19, v[22:23] offset:24576
	s_waitcnt vmcnt(2)
	ds_write_b64 v70, v[24:25] offset:32768
	ds_write_b64 v19, v[26:27] offset:32768
	;; [unrolled: 3-line block ×4, first 2 shown]
	v_lshl_add_u32 v19, v36, 1, v67
	s_cbranch_scc0 .LBB428_29
; %bb.2:
	v_lshlrev_b32_e32 v21, 1, v19
	v_add_lshl_u32 v20, v19, s15, 1
	s_lshl_b32 s22, s15, 7
	v_lshl_or_b32 v18, v66, 9, v18
	s_cbranch_execz .LBB428_30
	s_branch .LBB428_31
.LBB428_3:
	s_waitcnt vmcnt(0)
	v_mov_b32_e32 v19, v5
	v_mov_b32_e32 v18, v9
	v_mov_b32_e32 v9, v13
	v_mov_b32_e32 v20, v17
.LBB428_4:
	s_lshl_b32 s26, s49, 6
	s_sub_i32 s27, s12, s26
	s_cmp_gt_i32 s27, 0
	s_cbranch_scc0 .LBB428_84
; %bb.5:
	s_ashr_i32 s3, s26, 31
	s_cmpk_lg_i32 s15, 0x80
	s_cselect_b64 s[22:23], -1, 0
	s_and_b64 vcc, exec, s[22:23]
	s_cbranch_vccz .LBB428_7
; %bb.6:
	s_mul_i32 s1, s48, s12
	s_mul_hi_i32 s0, s48, s12
	s_add_u32 s1, s1, s26
	s_addc_u32 s0, s0, s3
	s_mul_i32 s17, s1, s51
	s_mul_hi_u32 s20, s1, s14
	s_add_i32 s17, s20, s17
	s_mul_i32 s0, s0, s14
	s_add_i32 s17, s17, s0
	s_mul_i32 s1, s1, s14
	s_ashr_i32 s0, s52, 31
	s_add_u32 s24, s1, s52
	s_addc_u32 s25, s17, s0
	s_cbranch_execz .LBB428_8
	s_branch .LBB428_9
.LBB428_7:
                                        ; implicit-def: $sgpr24_sgpr25
.LBB428_8:
	s_mul_hi_i32 s0, s48, s14
	s_mul_i32 s48, s48, s14
	s_ashr_i32 s1, s52, 31
	s_add_u32 s14, s48, s52
	s_addc_u32 s0, s0, s1
	s_mul_i32 s1, s14, s47
	s_mul_hi_u32 s17, s14, s12
	s_add_i32 s1, s17, s1
	s_mul_i32 s0, s0, s12
	s_add_i32 s1, s1, s0
	s_mul_i32 s14, s14, s12
	s_add_u32 s24, s14, s26
	s_addc_u32 s25, s1, s3
.LBB428_9:
	s_mul_i32 s0, s36, s47
	s_add_i32 s0, s55, s0
	s_add_i32 s14, s53, s49
	;; [unrolled: 1-line block ×3, first 2 shown]
	s_add_u32 s0, s16, s26
	s_addc_u32 s1, s1, s3
	v_lshlrev_b32_e32 v21, 5, v64
	v_lshlrev_b32_e32 v22, 2, v61
	s_mov_b32 s3, 0x7060302
	v_xor_b32_e32 v5, v64, v22
	v_xor_b32_e32 v23, v65, v22
	v_perm_b32 v13, v9, v12, s3
	v_or_b32_e32 v9, v21, v22
	s_lshl_b64 s[20:21], s[0:1], 8
	v_perm_b32 v17, v20, v16, s3
	v_perm_b32 v16, v15, v14, s3
	;; [unrolled: 1-line block ×3, first 2 shown]
	v_lshlrev_b32_e32 v9, 1, v9
	v_lshlrev_b32_e32 v10, 1, v5
	;; [unrolled: 1-line block ×4, first 2 shown]
	s_add_u32 s0, s6, s20
	ds_write2st64_b64 v9, v[16:17], v[12:13] offset0:80 offset1:88
	v_or_b32_e32 v9, v10, v5
	v_or_b32_e32 v5, v11, v5
	s_addc_u32 s1, s7, s21
	ds_write_b64 v9, v[16:17]
	ds_write_b64 v5, v[12:13]
	v_perm_b32 v9, v18, v8, s3
	v_perm_b32 v8, v7, v6, s3
	;; [unrolled: 1-line block ×4, first 2 shown]
	s_mul_hi_i32 s3, s14, s13
	s_mul_i32 s14, s14, s13
	s_add_u32 s6, s14, s46
	v_or_b32_e32 v2, 16, v61
	s_addc_u32 s7, s3, s50
	v_lshlrev_b32_e32 v19, 2, v2
	s_ashr_i32 s3, s2, 31
	s_lshl_b64 s[6:7], s[6:7], 15
	v_or_b32_e32 v3, v21, v19
	s_add_u32 s6, s18, s6
	v_lshlrev_b32_e32 v3, 1, v3
	v_lshlrev_b32_e32 v2, 8, v2
	s_addc_u32 s7, s19, s7
	s_lshl_b64 s[2:3], s[2:3], 8
	ds_write2st64_b64 v3, v[8:9], v[4:5] offset0:80 offset1:88
	v_or_b32_e32 v3, v10, v2
	v_or_b32_e32 v2, v11, v2
	s_add_u32 s2, s6, s2
	ds_write_b64 v3, v[8:9]
	ds_write_b64 v2, v[4:5]
	v_lshrrev_b32_e32 v2, 4, v0
	s_addc_u32 s3, s7, s3
	v_lshlrev_b32_e32 v3, 1, v61
	v_lshlrev_b32_e32 v10, 4, v61
	v_mov_b32_e32 v11, 0
	v_or_b32_e32 v4, 1, v3
	v_xor_b32_e32 v3, v2, v3
	v_lshl_add_u64 v[12:13], s[2:3], 0, v[10:11]
	v_lshlrev_b32_e32 v10, 8, v2
	v_xor_b32_e32 v6, v4, v2
	v_lshl_or_b32 v2, v3, 3, v10
	s_waitcnt lgkmcnt(0)
	s_barrier
	ds_read2st64_b64 v[2:5], v2 offset1:8
	v_lshl_or_b32 v6, v6, 3, v10
	ds_read2st64_b64 v[6:9], v6 offset1:8
	v_lshl_add_u64 v[14:15], v[12:13], 0, v[10:11]
	s_movk_i32 s2, 0x1000
	s_waitcnt lgkmcnt(1)
	v_mov_b32_e32 v10, v2
	v_add_co_u32_e32 v2, vcc, s2, v14
	s_cmp_lg_u32 s27, 64
	v_mov_b32_e32 v11, v3
	v_addc_co_u32_e32 v3, vcc, 0, v15, vcc
	s_cselect_b64 s[6:7], -1, 0
	v_lshl_or_b32 v23, v59, 3, v63
	s_waitcnt lgkmcnt(0)
	v_mov_b32_e32 v12, v6
	v_mov_b32_e32 v13, v7
	;; [unrolled: 1-line block ×4, first 2 shown]
	s_mov_b32 s16, 0
	v_or_b32_e32 v20, 32, v23
	v_and_b32_e32 v18, 56, v62
	s_and_b64 vcc, exec, s[6:7]
	global_store_dwordx4 v[14:15], v[10:13], off
	global_store_dwordx4 v[2:3], v[6:9], off
	s_cbranch_vccz .LBB428_15
; %bb.10:
	s_mov_b32 s17, s16
	s_mov_b32 s18, s16
	;; [unrolled: 1-line block ×3, first 2 shown]
	v_mov_b64_e32 v[6:7], s[16:17]
	v_mov_b64_e32 v[8:9], s[18:19]
	;; [unrolled: 1-line block ×3, first 2 shown]
	v_cmp_gt_i32_e32 vcc, s27, v23
	v_mov_b64_e32 v[4:5], v[8:9]
	s_and_saveexec_b64 s[2:3], vcc
	s_cbranch_execz .LBB428_12
; %bb.11:
	v_lshlrev_b32_e32 v2, 8, v23
	v_mov_b32_e32 v3, 0
	v_lshl_add_u64 v[4:5], s[0:1], 0, v[2:3]
	v_lshlrev_b32_e32 v2, 1, v18
	v_lshl_add_u64 v[10:11], v[4:5], 0, v[2:3]
	global_load_dwordx4 v[6:9], v[10:11], off
	global_load_dwordx4 v[2:5], v[10:11], off offset:128
.LBB428_12:
	s_or_b64 exec, exec, s[2:3]
	s_mov_b32 s17, s16
	s_mov_b32 s18, s16
	;; [unrolled: 1-line block ×3, first 2 shown]
	v_mov_b64_e32 v[14:15], s[16:17]
	v_mov_b64_e32 v[16:17], s[18:19]
	;; [unrolled: 1-line block ×3, first 2 shown]
	v_cmp_gt_i32_e32 vcc, s27, v20
	v_lshlrev_b32_e32 v21, 7, v20
	v_mov_b64_e32 v[12:13], v[16:17]
	s_and_saveexec_b64 s[2:3], vcc
	s_cbranch_execz .LBB428_14
; %bb.13:
	v_lshlrev_b32_e32 v10, 1, v21
	v_mov_b32_e32 v11, 0
	v_lshl_add_u64 v[12:13], s[0:1], 0, v[10:11]
	v_lshlrev_b32_e32 v10, 1, v18
	v_lshl_add_u64 v[24:25], v[12:13], 0, v[10:11]
	global_load_dwordx4 v[14:17], v[24:25], off
	global_load_dwordx4 v[10:13], v[24:25], off offset:128
.LBB428_14:
	s_or_b64 exec, exec, s[2:3]
	v_lshrrev_b32_e32 v24, 3, v18
	v_lshlrev_b32_e32 v25, 3, v23
	v_or_b32_e32 v24, v25, v24
	v_lshlrev_b32_e32 v24, 4, v24
	v_and_b32_e32 v25, 0x78, v25
	v_xor_b32_e32 v24, v24, v25
	s_branch .LBB428_17
.LBB428_15:
                                        ; implicit-def: $vgpr24
                                        ; implicit-def: $vgpr21
                                        ; implicit-def: $vgpr6_vgpr7_vgpr8_vgpr9
                                        ; implicit-def: $vgpr2_vgpr3_vgpr4_vgpr5
                                        ; implicit-def: $vgpr14_vgpr15_vgpr16_vgpr17
                                        ; implicit-def: $vgpr10_vgpr11_vgpr12_vgpr13
	s_cbranch_execz .LBB428_17
; %bb.16:
	s_waitcnt vmcnt(0)
	v_lshlrev_b32_e32 v2, 1, v18
	v_lshl_or_b32 v21, v23, 8, v2
	s_and_b32 s1, s1, 0xffff
	s_mov_b32 s3, 0x20000
	s_movk_i32 s2, 0x4000
	v_lshl_or_b32 v24, v20, 8, v2
	s_movk_i32 s13, 0x80
	buffer_load_dwordx4 v[6:9], v21, s[0:3], 0 offen
	buffer_load_dwordx4 v[2:5], v21, s[0:3], s13 offen
	;; [unrolled: 1-line block ×4, first 2 shown]
	v_lshrrev_b32_e32 v21, 3, v18
	v_lshlrev_b32_e32 v24, 3, v23
	v_or_b32_e32 v21, v24, v21
	v_lshlrev_b32_e32 v21, 4, v21
	v_and_b32_e32 v24, 0x78, v24
	v_xor_b32_e32 v24, v21, v24
	v_lshlrev_b32_e32 v21, 7, v20
.LBB428_17:
	s_lshl_b64 s[0:1], s[24:25], 8
	s_add_u32 s4, s4, s0
	s_movk_i32 s0, 0x1000
	v_and_or_b32 v20, v21, s0, v24
	s_waitcnt vmcnt(1)
	ds_write_b64 v24, v[6:7] offset:24576
	v_xor_b32_e32 v6, 8, v24
	ds_write_b64 v6, v[8:9] offset:24576
	s_waitcnt vmcnt(0)
	ds_write_b64 v24, v[2:3] offset:32768
	ds_write_b64 v6, v[4:5] offset:32768
	;; [unrolled: 1-line block ×3, first 2 shown]
	v_xor_b32_e32 v2, 8, v20
	ds_write_b64 v2, v[16:17] offset:24576
	ds_write_b64 v20, v[10:11] offset:32768
	;; [unrolled: 1-line block ×3, first 2 shown]
	v_or_b32_e32 v2, v1, v61
	v_lshlrev_b32_e32 v3, 11, v59
	v_lshlrev_b32_e32 v2, 3, v2
	v_and_b32_e32 v6, 0x1000, v3
	v_lshrrev_b32_e32 v3, 5, v58
	s_movk_i32 s3, 0xf8
	v_and_or_b32 v3, v2, s3, v3
	v_lshlrev_b32_e32 v7, 4, v3
	v_and_b32_e32 v8, 0x78, v2
	v_or_b32_e32 v10, 32, v7
	v_lshrrev_b32_e32 v3, 1, v58
	v_xor_b32_e32 v10, v10, v8
	v_xor_b32_e32 v2, v7, v8
	v_and_b32_e32 v9, 8, v3
	v_or_b32_e32 v10, v10, v6
	v_or_b32_e32 v2, v2, v6
	v_xor_b32_e32 v26, v10, v9
	v_or_b32_e32 v10, 64, v7
	v_xor_b32_e32 v25, v2, v9
	v_xor_b32_e32 v10, v10, v8
	s_waitcnt lgkmcnt(0)
	s_barrier
	v_or_b32_e32 v12, v10, v6
	ds_read_b64 v[10:11], v25 offset:24576
	v_lshl_or_b32 v20, v60, 7, v22
	v_lshlrev_b32_e32 v24, 1, v20
	v_add_u32_e32 v2, 0xa000, v24
	ds_read2_b64 v[2:5], v2 offset1:16
	v_or_b32_e32 v7, 0x60, v7
	v_xor_b32_e32 v7, v7, v8
	s_waitcnt lgkmcnt(0)
	v_mfma_f32_16x16x16_bf16 a[0:3], v[10:11], v[2:3], 0
	v_or_b32_e32 v2, 64, v20
	v_or_b32_e32 v6, v7, v6
	v_lshlrev_b32_e32 v29, 1, v2
	v_xor_b32_e32 v27, v12, v9
	v_xor_b32_e32 v28, v6, v9
	ds_read_b64 v[12:13], v26 offset:24576
	ds_read_b64 v[14:15], v27 offset:24576
	;; [unrolled: 1-line block ×3, first 2 shown]
	v_mfma_f32_16x16x16_bf16 a[4:7], v[10:11], v[4:5], 0
	ds_read2st64_b64 v[2:5], v29 offset0:82 offset1:84
	ds_read2st64_b64 v[6:9], v24 offset0:82 offset1:84
	s_addc_u32 s5, s5, s1
	s_add_i32 s1, s42, s33
	s_add_i32 s0, s12, -1
	s_add_i32 s31, s1, s43
	s_add_i32 s1, s44, s37
	;; [unrolled: 1-line block ×3, first 2 shown]
	s_ashr_i32 s1, s0, 31
	s_mul_i32 s2, s0, s29
	s_mul_hi_u32 s3, s0, s28
	s_add_i32 s2, s3, s2
	s_mul_i32 s1, s1, s28
	s_waitcnt lgkmcnt(1)
	v_mfma_f32_16x16x16_bf16 a[4:7], v[12:13], v[2:3], a[4:7]
	s_add_i32 s1, s2, s1
	s_lshl_b64 s[2:3], s[30:31], 2
	s_add_u32 s10, s10, s2
	s_waitcnt lgkmcnt(0)
	v_mfma_f32_16x16x16_bf16 a[0:3], v[12:13], v[6:7], a[0:3]
	s_addc_u32 s11, s11, s3
	s_lshl_b64 s[2:3], s[34:35], 2
	s_mul_i32 s0, s0, s28
	s_add_u32 s10, s10, s2
	ds_read_b64 v[2:3], v24 offset:44032
	v_mfma_f32_16x16x16_bf16 a[4:7], v[14:15], v[4:5], a[4:7]
	ds_read_b64 v[4:5], v29 offset:44032
	s_addc_u32 s11, s11, s3
	s_lshl_b64 s[0:1], s[0:1], 2
	v_mfma_f32_16x16x16_bf16 a[0:3], v[14:15], v[8:9], a[0:3]
	s_add_u32 s0, s10, s0
	s_addc_u32 s1, s11, s1
	s_load_dword s12, s[0:1], 0x0
	s_waitcnt lgkmcnt(0)
	v_mfma_f32_16x16x16_bf16 a[0:3], v[16:17], v[2:3], a[0:3]
	s_and_b64 vcc, exec, s[22:23]
	v_mfma_f32_16x16x16_bf16 a[4:7], v[16:17], v[4:5], a[4:7]
	s_cbranch_vccz .LBB428_28
; %bb.18:
	v_lshlrev_b32_e32 v20, 1, v23
	s_and_b64 vcc, exec, s[6:7]
	s_cbranch_vccz .LBB428_44
; %bb.19:
	v_cmp_gt_i32_e32 vcc, s27, v20
	v_mov_b32_e32 v6, 0
	v_mov_b32_e32 v2, 0
	v_mov_b32_e32 v3, 0
	v_mov_b32_e32 v4, 0
	v_mov_b32_e32 v5, 0
	s_and_saveexec_b64 s[0:1], vcc
	s_cbranch_execz .LBB428_21
; %bb.20:
	v_mad_i64_i32 v[2:3], s[2:3], s15, v20, 0
	v_lshl_add_u64 v[2:3], v[2:3], 1, s[4:5]
	v_lshlrev_b32_e32 v4, 1, v18
	v_mov_b32_e32 v5, 0
	v_lshl_add_u64 v[2:3], v[2:3], 0, v[4:5]
	global_load_dwordx4 v[2:5], v[2:3], off
.LBB428_21:
	s_or_b64 exec, exec, s[0:1]
	v_or_b32_e32 v21, 1, v20
	v_cmp_gt_i32_e64 s[0:1], s27, v21
	v_mov_b32_e32 v7, 0
	v_mov_b32_e32 v8, 0
	;; [unrolled: 1-line block ×3, first 2 shown]
	s_and_saveexec_b64 s[2:3], s[0:1]
	s_cbranch_execz .LBB428_23
; %bb.22:
	v_mad_i64_i32 v[6:7], s[16:17], s15, v21, 0
	v_lshl_add_u64 v[6:7], v[6:7], 1, s[4:5]
	v_lshlrev_b32_e32 v8, 1, v18
	v_mov_b32_e32 v9, 0
	v_lshl_add_u64 v[6:7], v[6:7], 0, v[8:9]
	global_load_dwordx4 v[6:9], v[6:7], off
.LBB428_23:
	s_or_b64 exec, exec, s[2:3]
	v_mov_b32_e32 v17, 0
	v_mov_b32_e32 v10, 0
	;; [unrolled: 1-line block ×5, first 2 shown]
	s_and_saveexec_b64 s[2:3], vcc
	s_cbranch_execz .LBB428_25
; %bb.24:
	v_mad_i64_i32 v[10:11], s[16:17], s15, v20, 0
	v_lshl_add_u64 v[10:11], v[10:11], 1, s[4:5]
	v_lshlrev_b32_e32 v12, 1, v18
	v_mov_b32_e32 v13, 0
	v_lshl_add_u64 v[10:11], v[10:11], 0, v[12:13]
	global_load_dwordx4 v[10:13], v[10:11], off offset:128
.LBB428_25:
	s_or_b64 exec, exec, s[2:3]
	v_mov_b32_e32 v16, 0
	v_mov_b32_e32 v15, 0
	;; [unrolled: 1-line block ×3, first 2 shown]
	s_and_saveexec_b64 s[2:3], s[0:1]
	s_cbranch_execz .LBB428_27
; %bb.26:
	v_mad_i64_i32 v[14:15], s[0:1], s15, v21, 0
	v_lshl_add_u64 v[14:15], v[14:15], 1, s[4:5]
	v_lshlrev_b32_e32 v16, 1, v18
	v_mov_b32_e32 v17, 0
	v_lshl_add_u64 v[14:15], v[14:15], 0, v[16:17]
	global_load_dwordx4 v[14:17], v[14:15], off offset:128
.LBB428_27:
	s_or_b64 exec, exec, s[2:3]
	s_branch .LBB428_46
.LBB428_28:
                                        ; implicit-def: $vgpr5
                                        ; implicit-def: $vgpr9
                                        ; implicit-def: $vgpr13
                                        ; implicit-def: $vgpr17
	v_lshrrev_b32_e32 v30, 2, v58
	s_branch .LBB428_47
.LBB428_29:
                                        ; implicit-def: $vgpr20
                                        ; implicit-def: $vgpr21
                                        ; implicit-def: $sgpr22
	v_lshl_or_b32 v18, v66, 9, v18
.LBB428_30:
	v_or_b32_e32 v20, 0x100, v18
	s_movk_i32 s22, 0x4000
	v_mov_b32_e32 v21, v18
.LBB428_31:
	s_mul_hi_u32 s20, s14, s12
	s_mul_i32 s21, s51, s12
	s_add_i32 s20, s20, s21
	s_mul_i32 s21, s14, s12
	s_mul_i32 s23, s21, s3
	s_mul_hi_u32 s24, s21, s48
	s_add_i32 s23, s24, s23
	s_mul_i32 s20, s20, s48
	s_add_i32 s23, s23, s20
	s_mul_i32 s21, s21, s48
	s_ashr_i32 s57, s52, 31
	s_add_u32 s20, s21, s52
	s_addc_u32 s21, s23, s57
	s_lshl_b64 s[20:21], s[20:21], 8
	s_add_u32 s20, s4, s20
	s_addc_u32 s21, s5, s21
	s_and_b32 s21, s21, 0xffff
	s_mov_b32 s23, 0x20000
	s_movk_i32 s58, 0x80
	buffer_load_dwordx4 v[22:25], v21, s[20:23], 0 offen
	buffer_load_dwordx4 v[26:29], v21, s[20:23], s58 offen
	;; [unrolled: 1-line block ×4, first 2 shown]
	v_and_b32_e32 v20, 6, v0
	v_lshlrev_b32_e32 v39, 6, v64
	v_or_b32_e32 v41, 16, v61
	v_xor_b32_e32 v42, v66, v20
	v_and_b32_e32 v21, 1, v0
	v_lshl_or_b32 v45, v61, 3, v39
	v_lshl_or_b32 v39, v41, 3, v39
	v_lshlrev_b32_e32 v42, 2, v42
	s_mul_i32 s3, s3, s12
	s_mul_hi_u32 s20, s48, s12
	v_lshlrev_b32_e32 v38, 2, v61
	v_or_b32_e32 v74, 0xa000, v39
	v_or_b32_e32 v75, 0xb000, v39
	v_xor_b32_e32 v39, 0x440, v42
	v_cmp_eq_u32_e32 vcc, 0, v21
	v_xor_b32_e32 v43, v64, v38
	v_xor_b32_e32 v44, v65, v38
	v_cndmask_b32_e32 v21, v39, v42, vcc
	s_add_i32 s63, s20, s3
	s_add_i32 s3, s42, s33
	s_mov_b32 s60, 0x1000504
	v_lshlrev_b32_e32 v40, 8, v61
	v_lshlrev_b32_e32 v43, 1, v43
	;; [unrolled: 1-line block ×3, first 2 shown]
	v_lshl_or_b32 v20, v20, 10, v21
	s_add_i32 s31, s3, s43
	s_add_i32 s3, s44, s37
	s_mov_b32 s61, 0x3020706
	v_or_b32_e32 v72, 0xa000, v45
	v_or_b32_e32 v73, 0xb000, v45
	v_or_b32_e32 v76, v40, v43
	v_or_b32_e32 v77, v40, v44
	v_xor_b32_e32 v21, 8, v20
	v_xor_b32_e32 v40, 24, v20
	;; [unrolled: 1-line block ×4, first 2 shown]
	s_add_i32 s35, s3, s45
	s_lshl_b64 s[20:21], s[30:31], 2
	v_xor_b32_e32 v39, 16, v20
	v_xor_b32_e32 v42, 32, v20
	;; [unrolled: 1-line block ×3, first 2 shown]
	v_add_u32_e32 v21, 0x80, v21
	v_add_u32_e32 v40, 0x80, v40
	;; [unrolled: 1-line block ×4, first 2 shown]
	s_add_u32 s3, s10, s20
	s_addc_u32 s22, s11, s21
	s_lshl_b64 s[20:21], s[34:35], 2
	s_add_u32 s38, s3, s20
	s_movk_i32 s3, 0xf8
	s_addc_u32 s39, s22, s21
	s_lshl_b32 s26, s15, 7
	s_movk_i32 s24, 0x100
	v_mov_b32_e32 v53, 0
	v_lshlrev_b32_e32 v52, 4, v61
	v_cmp_gt_u32_e32 vcc, s24, v0
	v_ashrrev_i32_e32 v51, 31, v50
	s_mov_b32 s59, 0
	s_mul_i32 s62, s48, s12
	s_movk_i32 s31, 0x1000
	s_movk_i32 s22, 0x4000
	v_lshl_add_u64 v[54:55], v[50:51], 1, s[8:9]
	s_mov_b32 s64, 0
	s_waitcnt vmcnt(1)
	v_perm_b32 v48, v22, v30, s60
	s_waitcnt vmcnt(0)
	v_perm_b32 v49, v26, v34, s60
	v_perm_b32 v22, v22, v30, s61
	;; [unrolled: 1-line block ×15, first 2 shown]
	ds_write2st64_b32 v20, v48, v49 offset0:32 offset1:64
	ds_write2st64_b32 v21, v22, v26 offset0:32 offset1:64
	;; [unrolled: 1-line block ×8, first 2 shown]
	v_lshlrev_b32_e32 v20, 8, v41
	v_or_b32_e32 v78, v20, v43
	v_or_b32_e32 v79, v20, v44
	;; [unrolled: 1-line block ×3, first 2 shown]
	v_lshlrev_b32_e32 v20, 3, v20
	v_lshrrev_b32_e32 v23, 5, v58
	v_and_or_b32 v23, v20, s3, v23
	v_lshlrev_b32_e32 v23, 4, v23
	v_lshlrev_b32_e32 v21, 11, v59
	v_and_b32_e32 v20, 0x78, v20
	v_or_b32_e32 v28, 32, v23
	v_and_b32_e32 v22, 0x1000, v21
	v_lshrrev_b32_e32 v25, 1, v0
	v_xor_b32_e32 v28, v28, v20
	v_and_b32_e32 v26, 8, v25
	v_or_b32_e32 v28, v28, v22
	v_xor_b32_e32 v24, v23, v20
	v_xor_b32_e32 v82, v28, v26
	v_or_b32_e32 v28, 64, v23
	v_or_b32_e32 v23, 0x60, v23
	s_ashr_i32 s3, s2, 31
	v_xor_b32_e32 v28, v28, v20
	v_xor_b32_e32 v20, v23, v20
	s_lshl_b64 s[20:21], s[2:3], 8
	v_or_b32_e32 v24, v24, v22
	v_or_b32_e32 v28, v28, v22
	;; [unrolled: 1-line block ×3, first 2 shown]
	s_add_u32 s20, s18, s20
	v_lshlrev_b32_e32 v22, 1, v61
	v_xor_b32_e32 v84, v28, v26
	v_lshrrev_b32_e32 v28, 4, v0
	s_addc_u32 s21, s19, s21
	v_or_b32_e32 v23, 1, v22
	v_mov_b32_e32 v32, 0x4000
	v_mov_b32_e32 v33, 0x2000
	v_xor_b32_e32 v29, v28, v22
	v_xor_b32_e32 v30, v23, v28
	v_lshl_add_u64 v[22:23], s[20:21], 0, v[52:53]
	v_lshlrev_b32_e32 v52, 8, v28
	v_cndmask_b32_e32 v32, v32, v33, vcc
	v_lshlrev_b32_e32 v33, 3, v59
	v_and_b32_e32 v25, 24, v25
	v_lshl_or_b32 v88, v29, 3, v52
	v_and_b32_e32 v29, 8, v0
	v_xor_b32_e32 v34, v33, v25
	v_or_b32_e32 v35, 0x440, v34
	v_cmp_eq_u32_e32 vcc, 0, v29
	v_and_b32_e32 v28, 7, v0
	v_xor_b32_e32 v80, v24, v26
	v_cndmask_b32_e32 v29, v35, v34, vcc
	v_lshlrev_b32_e32 v24, 7, v60
	v_lshl_or_b32 v89, v30, 3, v52
	v_lshlrev_b32_e32 v30, 3, v28
	v_lshlrev_b32_e32 v28, 7, v28
	;; [unrolled: 1-line block ×3, first 2 shown]
	v_or_b32_e32 v29, v29, v21
	v_or_b32_e32 v27, v24, v38
	v_xad_u32 v90, v29, v30, v28
	v_and_or_b32 v24, v31, 60, v24
	v_mov_b32_e32 v29, 0xb000
	v_lshl_or_b32 v91, v24, 1, v29
	v_or_b32_e32 v24, 32, v25
	v_xor_b32_e32 v24, v33, v24
	v_or_b32_e32 v29, 0x440, v24
	v_cndmask_b32_e32 v24, v29, v24, vcc
	v_or_b32_e32 v24, v24, v21
	v_xad_u32 v92, v24, v30, v28
	v_or_b32_e32 v24, 64, v25
	v_xor_b32_e32 v24, v33, v24
	v_xor_b32_e32 v29, 0x440, v24
	v_cndmask_b32_e32 v24, v29, v24, vcc
	v_or_b32_e32 v24, v24, v21
	v_xad_u32 v93, v24, v30, v28
	v_or_b32_e32 v24, 0x60, v25
	v_xor_b32_e32 v24, v33, v24
	v_xor_b32_e32 v25, 0x440, v24
	v_cndmask_b32_e32 v24, v25, v24, vcc
	v_lshlrev_b32_e32 v27, 1, v27
	v_or_b32_e32 v21, v24, v21
	v_or_b32_e32 v81, 0xa000, v27
	;; [unrolled: 1-line block ×3, first 2 shown]
	v_xor_b32_e32 v85, v20, v26
	v_or_b32_e32 v86, 0xb000, v27
	v_or_b32_e32 v87, 0xb080, v27
	v_lshlrev_b32_e32 v20, 7, v64
	v_lshlrev_b32_e32 v26, 1, v19
	v_add_lshl_u32 v19, v19, s15, 1
	v_or_b32_e32 v27, 0x100, v18
	v_xad_u32 v94, v21, v30, v28
	v_cndmask_b32_e64 v95, v26, v18, s[0:1]
	v_cndmask_b32_e64 v96, v19, v27, s[0:1]
	v_lshl_add_u64 v[56:57], v[22:23], 0, v[52:53]
	s_mov_b32 s3, 0x7060302
	v_lshlrev_b32_e32 v52, 1, v20
	v_add_u32_e32 v51, v32, v90
	v_add_u32_e32 v97, v32, v92
	;; [unrolled: 1-line block ×4, first 2 shown]
	s_waitcnt lgkmcnt(0)
	s_barrier
.LBB428_32:                             ; =>This Inner Loop Header: Depth=1
	s_add_i32 s35, s64, 1
	s_cmp_lt_i32 s35, s49
	s_mov_b64 s[24:25], 0
	s_cselect_b64 s[40:41], -1, 0
	s_cmp_ge_i32 s35, s49
	s_mov_b64 s[20:21], 0
	s_cbranch_scc1 .LBB428_34
; %bb.33:                               ;   in Loop: Header=BB428_32 Depth=1
	s_add_i32 s0, s59, 64
	s_add_u32 s0, s16, s0
	s_addc_u32 s1, s17, 0
	s_lshl_b64 s[0:1], s[0:1], 8
	s_add_u32 s20, s6, s0
	s_addc_u32 s21, s7, s1
.LBB428_34:                             ;   in Loop: Header=BB428_32 Depth=1
	v_cndmask_b32_e64 v18, 0, 1, s[40:41]
	v_cmp_ne_u32_e64 s[0:1], 1, v18
	s_andn2_b64 vcc, exec, s[40:41]
	s_cbranch_vccnz .LBB428_36
; %bb.35:                               ;   in Loop: Header=BB428_32 Depth=1
	s_add_i32 s24, s59, 64
	s_add_u32 s24, s62, s24
	s_addc_u32 s25, s63, 0
	s_mul_i32 s27, s24, s51
	s_mul_hi_u32 s40, s24, s56
	s_add_i32 s27, s40, s27
	s_mul_i32 s25, s25, s56
	s_add_i32 s27, s27, s25
	s_mul_i32 s24, s24, s56
	s_add_u32 s24, s24, s52
	s_addc_u32 s25, s27, s57
	s_lshl_b64 s[24:25], s[24:25], 8
	s_add_u32 s24, s4, s24
	s_addc_u32 s25, s5, s25
.LBB428_36:                             ;   in Loop: Header=BB428_32 Depth=1
	v_perm_b32 v19, v17, v16, s3
	v_perm_b32 v18, v15, v14, s3
	;; [unrolled: 1-line block ×4, first 2 shown]
	ds_write_b64 v72, v[18:19]
	ds_write_b64 v73, v[20:21]
	;; [unrolled: 1-line block ×4, first 2 shown]
	v_perm_b32 v19, v9, v8, s3
	v_perm_b32 v18, v7, v6, s3
	;; [unrolled: 1-line block ×4, first 2 shown]
	ds_write_b64 v74, v[18:19]
	ds_write_b64 v75, v[20:21]
	;; [unrolled: 1-line block ×4, first 2 shown]
	s_waitcnt lgkmcnt(0)
	s_barrier
	ds_read_b64 v[22:23], v80 offset:24576
	ds_read2_b64 v[18:21], v81 offset1:16
	ds_read_b64 v[26:27], v83 offset:3072
	ds_read_b64 v[28:29], v81 offset:3072
	;; [unrolled: 1-line block ×3, first 2 shown]
	s_waitcnt lgkmcnt(3)
	v_mfma_f32_16x16x16_bf16 a[0:3], v[22:23], v[18:19], 0
	s_add_i32 s27, s59, 63
	s_mul_i32 s40, s27, s29
	s_mul_hi_u32 s41, s27, s28
	v_mfma_f32_16x16x16_bf16 a[4:7], v[22:23], v[20:21], 0
	ds_read2st64_b64 v[18:21], v81 offset0:2 offset1:4
	ds_read2st64_b64 v[22:25], v83 offset0:2 offset1:4
	s_add_i32 s41, s41, s40
	s_waitcnt lgkmcnt(1)
	v_mfma_f32_16x16x16_bf16 a[0:3], v[30:31], v[18:19], a[0:3]
	s_mul_i32 s40, s27, s28
	s_lshl_b64 s[40:41], s[40:41], 2
	s_add_u32 s40, s38, s40
	s_waitcnt lgkmcnt(0)
	v_mfma_f32_16x16x16_bf16 a[4:7], v[30:31], v[22:23], a[4:7]
	ds_read_b64 v[18:19], v84 offset:24576
	ds_read_b64 v[22:23], v85 offset:24576
	s_addc_u32 s41, s39, s41
	s_and_b64 vcc, exec, s[0:1]
	s_waitcnt lgkmcnt(1)
	v_mfma_f32_16x16x16_bf16 a[0:3], v[18:19], v[20:21], a[0:3]
	v_mov_b32_e32 v102, 0
	v_mov_b32_e32 v101, 0
	v_mov_b32_e32 v100, 0
	v_mfma_f32_16x16x16_bf16 a[4:7], v[18:19], v[24:25], a[4:7]
	v_mov_b32_e32 v18, 0
	v_mov_b32_e32 v19, 0
	;; [unrolled: 1-line block ×3, first 2 shown]
	s_waitcnt lgkmcnt(0)
	v_mfma_f32_16x16x16_bf16 a[0:3], v[22:23], v[28:29], a[0:3]
	v_mov_b32_e32 v21, 0
	v_mov_b32_e32 v24, 0
	;; [unrolled: 1-line block ×3, first 2 shown]
	v_mfma_f32_16x16x16_bf16 a[4:7], v[22:23], v[26:27], a[4:7]
	v_mov_b32_e32 v22, 0
	v_mov_b32_e32 v23, 0
	v_mov_b32_e32 v26, 0
	v_mov_b32_e32 v27, 0
	v_mov_b32_e32 v28, 0
	v_mov_b32_e32 v29, 0
	v_mov_b32_e32 v30, 0
	v_mov_b32_e32 v31, 0
	v_mov_b32_e32 v32, 0
	v_mov_b32_e32 v33, 0
	s_cbranch_vccnz .LBB428_38
; %bb.37:                               ;   in Loop: Header=BB428_32 Depth=1
	s_and_b32 s21, s21, 0xffff
	buffer_load_dwordx4 v[30:33], v68, s[20:23], 0 offen
	buffer_load_dwordx4 v[26:29], v68, s[20:23], s58 offen
	;; [unrolled: 1-line block ×4, first 2 shown]
	v_mov_b32_e32 v101, v70
	v_mov_b32_e32 v100, v71
.LBB428_38:                             ;   in Loop: Header=BB428_32 Depth=1
	s_waitcnt vmcnt(4)
	ds_read_b64 v[38:39], v80 offset:32768
	s_waitcnt vmcnt(2)
	ds_read2_b64 v[34:37], v86 offset1:16
	ds_read_b64 v[42:43], v82 offset:32768
	ds_read_b64 v[44:45], v84 offset:32768
	;; [unrolled: 1-line block ×3, first 2 shown]
	v_add_u32_e32 v103, s59, v64
	s_waitcnt lgkmcnt(3)
	v_mfma_f32_16x16x16_bf16 a[0:3], v[38:39], v[34:35], a[0:3]
	v_mfma_f32_16x16x16_bf16 a[4:7], v[38:39], v[36:37], a[4:7]
	ds_read2st64_b64 v[34:37], v86 offset0:2 offset1:4
	ds_read2st64_b64 v[38:41], v87 offset0:2 offset1:4
	s_waitcnt lgkmcnt(1)
	v_mfma_f32_16x16x16_bf16 a[0:3], v[42:43], v[34:35], a[0:3]
	ds_read_b64 v[34:35], v86 offset:3072
	ds_read_b64 v[48:49], v87 offset:3072
	s_waitcnt lgkmcnt(2)
	v_mfma_f32_16x16x16_bf16 a[4:7], v[42:43], v[38:39], a[4:7]
	v_ashrrev_i32_e32 v38, 31, v103
	v_mul_lo_u32 v39, v103, s29
	v_mul_lo_u32 v38, v38, s28
	v_mfma_f32_16x16x16_bf16 a[0:3], v[44:45], v[36:37], a[0:3]
	v_mad_u64_u32 v[36:37], s[20:21], v103, s28, 0
	v_add3_u32 v37, v37, v39, v38
	v_lshl_add_u64 v[36:37], v[36:37], 2, s[38:39]
	global_load_dword v42, v[36:37], off
	v_add_u32_e32 v36, 1, v103
	v_ashrrev_i32_e32 v37, 31, v36
	s_waitcnt lgkmcnt(1)
	v_mfma_f32_16x16x16_bf16 a[0:3], v[46:47], v[34:35], a[0:3]
	v_mul_lo_u32 v37, v37, s28
	v_mul_lo_u32 v38, v36, s29
	v_mad_u64_u32 v[34:35], s[20:21], v36, s28, 0
	v_add_u32_e32 v36, 2, v103
	v_add3_u32 v35, v35, v38, v37
	v_ashrrev_i32_e32 v37, 31, v36
	v_mul_lo_u32 v38, v37, s28
	v_mul_lo_u32 v39, v36, s29
	v_mad_u64_u32 v[36:37], s[20:21], v36, s28, 0
	v_add3_u32 v37, v37, v39, v38
	v_add_u32_e32 v38, 3, v103
	v_ashrrev_i32_e32 v39, 31, v38
	v_mfma_f32_16x16x16_bf16 a[4:7], v[44:45], v[40:41], a[4:7]
	v_mul_lo_u32 v40, v39, s28
	v_mul_lo_u32 v41, v38, s29
	v_mad_u64_u32 v[38:39], s[20:21], v38, s28, 0
	s_add_u32 s20, s16, s59
	s_addc_u32 s21, s17, 0
	s_lshl_b64 s[20:21], s[20:21], 8
	v_add3_u32 v39, v39, v41, v40
	v_lshl_add_u64 v[40:41], v[54:55], 0, s[20:21]
	v_lshl_add_u64 v[34:35], v[34:35], 2, s[38:39]
	v_lshl_add_u64 v[40:41], v[40:41], 0, v[52:53]
	v_lshl_add_u64 v[36:37], v[36:37], 2, s[38:39]
	global_load_ushort v44, v[40:41], off
	global_load_ushort v43, v[40:41], off offset:256
	global_load_ushort v103, v[40:41], off offset:800
	;; [unrolled: 1-line block ×7, first 2 shown]
	v_lshl_add_u64 v[38:39], v[38:39], 2, s[38:39]
	global_load_dword v108, v[34:35], off
	global_load_dword v109, v[36:37], off
	;; [unrolled: 1-line block ×3, first 2 shown]
	s_load_dword s20, s[40:41], 0x0
	s_waitcnt lgkmcnt(0)
	v_mfma_f32_16x16x16_bf16 a[4:7], v[46:47], v[48:49], a[4:7]
	v_accvgpr_read_b32 v39, a1
	v_accvgpr_read_b32 v35, a3
	;; [unrolled: 1-line block ×4, first 2 shown]
	s_and_b64 vcc, exec, s[0:1]
	s_waitcnt vmcnt(11)
	v_sub_f32_e32 v48, s20, v42
	v_exp_f32_e32 v48, v48
	v_accvgpr_read_b32 v41, a5
	v_accvgpr_read_b32 v40, a4
	;; [unrolled: 1-line block ×4, first 2 shown]
	s_waitcnt vmcnt(10)
	v_lshlrev_b32_e32 v42, 16, v44
	s_waitcnt vmcnt(9)
	v_lshlrev_b32_e32 v43, 16, v43
	v_pk_add_f32 v[38:39], v[42:43], v[38:39] neg_lo:[0,1] neg_hi:[0,1]
	s_waitcnt vmcnt(7)
	v_lshlrev_b32_e32 v45, 16, v45
	v_mov_b32_e32 v42, 0
	s_waitcnt vmcnt(5)
	v_lshlrev_b32_e32 v44, 16, v104
	s_waitcnt vmcnt(4)
	v_lshlrev_b32_e32 v47, 16, v105
	s_waitcnt vmcnt(2)
	v_sub_f32_e32 v49, s20, v108
	s_waitcnt vmcnt(1)
	v_sub_f32_e32 v104, s20, v109
	;; [unrolled: 2-line block ×3, first 2 shown]
	v_exp_f32_e32 v49, v49
	v_exp_f32_e32 v104, v104
	;; [unrolled: 1-line block ×3, first 2 shown]
	v_pk_add_f32 v[34:35], v[44:45], v[34:35] neg_lo:[0,1] neg_hi:[0,1]
	v_lshlrev_b32_e32 v46, 16, v107
	v_pk_mul_f32 v[38:39], v[48:49], v[38:39]
	v_pk_mul_f32 v[34:35], v[104:105], v[34:35]
	v_mov_b32_e32 v43, 0
	v_perm_b32 v35, v35, v34, s3
	v_perm_b32 v34, v39, v38, s3
	v_pk_add_f32 v[38:39], v[46:47], v[40:41] neg_lo:[0,1] neg_hi:[0,1]
	v_lshlrev_b32_e32 v41, 16, v103
	v_lshlrev_b32_e32 v40, 16, v106
	v_pk_add_f32 v[36:37], v[40:41], v[36:37] neg_lo:[0,1] neg_hi:[0,1]
	v_pk_mul_f32 v[38:39], v[48:49], v[38:39]
	v_pk_mul_f32 v[36:37], v[104:105], v[36:37]
	v_mov_b32_e32 v103, 0
	v_perm_b32 v37, v37, v36, s3
	v_perm_b32 v36, v39, v38, s3
	ds_write2_b64 v73, v[34:35], v[36:37] offset1:16
	v_mov_b32_e32 v34, 0
	v_mov_b32_e32 v35, 0
	;; [unrolled: 1-line block ×14, first 2 shown]
	s_cbranch_vccnz .LBB428_40
; %bb.39:                               ;   in Loop: Header=BB428_32 Depth=1
	s_and_b32 s25, s25, 0xffff
	s_mov_b32 s27, s23
	buffer_load_dwordx4 v[46:49], v95, s[24:27], 0 offen
	buffer_load_dwordx4 v[38:41], v95, s[24:27], s58 offen
	;; [unrolled: 1-line block ×4, first 2 shown]
	v_mov_b32_e32 v102, v67
	v_mov_b32_e32 v103, v66
.LBB428_40:                             ;   in Loop: Header=BB428_32 Depth=1
	s_waitcnt lgkmcnt(0)
	s_barrier
	ds_read_b64 v[108:109], v51
	ds_read_b64 v[116:117], v91
	;; [unrolled: 1-line block ×5, first 2 shown]
	ds_read_b64 v[122:123], v92 offset:16384
	ds_read_b64 v[124:125], v90 offset:16384
	ds_read2_b64 v[104:107], v86 offset0:16 offset1:128
	s_waitcnt lgkmcnt(6)
	v_mfma_f32_16x16x16_bf16 a[0:3], v[108:109], v[116:117], 0
	ds_read_b64 v[126:127], v87 offset:3072
	ds_read_b64 v[128:129], v94 offset:16384
	s_add_i32 s21, s53, s64
	s_waitcnt lgkmcnt(2)
	v_mfma_f32_16x16x16_bf16 a[4:7], v[108:109], v[104:105], 0
	ds_read2st64_b64 v[108:111], v87 offset0:2 offset1:4
	s_mul_hi_i32 s25, s21, s13
	s_mul_i32 s21, s21, s13
	v_mfma_f32_16x16x16_bf16 a[0:3], v[112:113], v[106:107], a[0:3]
	s_add_u32 s24, s21, s46
	s_addc_u32 s25, s25, s50
	s_lshl_b64 s[24:25], s[24:25], 15
	s_waitcnt lgkmcnt(0)
	v_mfma_f32_16x16x16_bf16 a[4:7], v[112:113], v[108:109], a[4:7]
	ds_read2st64_b64 v[112:115], v86 offset0:4 offset1:6
	s_waitcnt lgkmcnt(0)
	v_mfma_f32_16x16x16_bf16 a[0:3], v[118:119], v[112:113], a[0:3]
	v_mfma_f32_16x16x16_bf16 a[8:11], v[118:119], v[110:111], a[4:7]
	;; [unrolled: 1-line block ×5, first 2 shown]
	ds_read2st64_b64 v[116:119], v89 offset1:8
	v_mfma_f32_16x16x16_bf16 a[12:15], v[124:125], v[104:105], 0
	ds_read_b64 v[124:125], v93 offset:16384
	v_mfma_f32_16x16x16_bf16 a[8:11], v[122:123], v[106:107], a[8:11]
	ds_read2st64_b64 v[104:107], v88 offset1:8
	s_waitcnt lgkmcnt(0)
	v_mov_b32_e32 v120, v104
	v_mfma_f32_16x16x16_bf16 a[12:15], v[122:123], v[108:109], a[12:15]
	v_lshl_add_u64 v[108:109], v[56:57], 0, s[24:25]
	v_add_co_u32_e32 v104, vcc, s31, v108
	v_mfma_f32_16x16x16_bf16 a[8:11], v[124:125], v[112:113], a[8:11]
	v_mov_b32_e32 v121, v105
	v_addc_co_u32_e32 v105, vcc, 0, v109, vcc
	v_mfma_f32_16x16x16_bf16 a[16:19], v[124:125], v[110:111], a[12:15]
	v_mov_b32_e32 v122, v116
	v_mov_b32_e32 v123, v117
	;; [unrolled: 1-line block ×3, first 2 shown]
	v_mfma_f32_16x16x16_bf16 a[12:15], v[128:129], v[114:115], a[8:11]
	v_mov_b32_e32 v117, v107
	s_and_b64 vcc, exec, s[0:1]
	global_store_dwordx4 v[108:109], v[120:123], off
	v_mfma_f32_16x16x16_bf16 a[8:11], v[128:129], v[126:127], a[16:19]
	global_store_dwordx4 v[104:105], v[116:119], off
	s_cbranch_vccnz .LBB428_42
; %bb.41:                               ;   in Loop: Header=BB428_32 Depth=1
	v_lshrrev_b32_e32 v104, 3, v102
	v_and_b32_e32 v104, 6, v104
	v_xor_b32_e32 v103, v104, v103
	v_lshlrev_b32_e32 v103, 2, v103
	v_and_b32_e32 v102, 8, v102
	v_xor_b32_e32 v105, 0x440, v103
	v_cmp_eq_u32_e32 vcc, 0, v102
	s_barrier
	s_nop 0
	v_cndmask_b32_e32 v102, v105, v103, vcc
	v_lshl_or_b32 v102, v104, 10, v102
	s_waitcnt vmcnt(3)
	v_perm_b32 v103, v46, v42, s60
	s_waitcnt vmcnt(2)
	v_perm_b32 v104, v38, v34, s60
	ds_write2st64_b32 v102, v103, v104 offset0:32 offset1:64
	v_xor_b32_e32 v103, 8, v102
	v_perm_b32 v42, v46, v42, s61
	v_perm_b32 v34, v38, v34, s61
	v_add_u32_e32 v38, 0x80, v103
	ds_write2st64_b32 v38, v42, v34 offset0:32 offset1:64
	v_xor_b32_e32 v34, 16, v102
	v_perm_b32 v38, v47, v43, s60
	v_perm_b32 v42, v39, v35, s60
	ds_write2st64_b32 v34, v38, v42 offset0:33 offset1:65
	v_xor_b32_e32 v34, 24, v102
	v_perm_b32 v38, v47, v43, s61
	v_perm_b32 v35, v39, v35, s61
	v_add_u32_e32 v34, 0x80, v34
	ds_write2st64_b32 v34, v38, v35 offset0:33 offset1:65
	v_xor_b32_e32 v34, 32, v102
	v_perm_b32 v35, v48, v44, s60
	;; [unrolled: 9-line block ×3, first 2 shown]
	v_perm_b32 v36, v41, v37, s60
	ds_write2st64_b32 v34, v35, v36 offset0:35 offset1:67
	v_xor_b32_e32 v34, 56, v102
	v_perm_b32 v35, v49, v45, s61
	v_perm_b32 v36, v41, v37, s61
	v_add_u32_e32 v34, 0x80, v34
	ds_write2st64_b32 v34, v35, v36 offset0:35 offset1:67
	ds_write_b64 v101, v[30:31] offset:24576
	v_xor_b32_e32 v30, 8, v101
	ds_write_b64 v30, v[32:33] offset:24576
	ds_write_b64 v101, v[26:27] offset:32768
	;; [unrolled: 1-line block ×4, first 2 shown]
	v_xor_b32_e32 v22, 8, v100
	ds_write_b64 v22, v[24:25] offset:24576
	ds_write_b64 v100, v[18:19] offset:32768
	ds_write_b64 v22, v[20:21] offset:32768
.LBB428_42:                             ;   in Loop: Header=BB428_32 Depth=1
	v_exp_f32_e32 v21, s20
	v_accvgpr_read_b32 v18, a4
	v_accvgpr_read_b32 v20, a7
	;; [unrolled: 1-line block ×3, first 2 shown]
	v_fma_f32 v14, v14, v21, v18
	v_accvgpr_read_b32 v18, a6
	v_fma_f32 v16, v16, v21, v18
	v_accvgpr_read_b32 v18, a3
	v_fmac_f32_e32 v18, v9, v21
	v_accvgpr_read_b32 v9, a12
	v_fma_f32 v10, v10, v21, v9
	v_accvgpr_read_b32 v9, a13
	v_fma_f32 v11, v11, v21, v9
	;; [unrolled: 2-line block ×3, first 2 shown]
	v_accvgpr_read_b32 v9, a15
	v_fmac_f32_e32 v20, v17, v21
	v_accvgpr_read_b32 v17, a0
	v_fmac_f32_e32 v9, v13, v21
	v_accvgpr_read_b32 v13, a8
	v_fma_f32 v6, v6, v21, v17
	v_accvgpr_read_b32 v17, a1
	v_fma_f32 v2, v2, v21, v13
	;; [unrolled: 2-line block ×3, first 2 shown]
	v_fma_f32 v7, v7, v21, v17
	v_accvgpr_read_b32 v17, a2
	v_fma_f32 v3, v3, v21, v13
	v_accvgpr_read_b32 v13, a10
	v_accvgpr_read_b32 v19, a11
	s_add_i32 s59, s59, 64
	v_fma_f32 v8, v8, v21, v17
	v_fma_f32 v4, v4, v21, v13
	s_cmp_eq_u32 s49, s35
	v_fmac_f32_e32 v19, v5, v21
	s_cbranch_scc1 .LBB428_4
; %bb.43:                               ;   in Loop: Header=BB428_32 Depth=1
	s_mov_b32 s64, s35
	v_mov_b32_e32 v17, v20
	v_mov_b32_e32 v13, v9
	;; [unrolled: 1-line block ×4, first 2 shown]
	s_branch .LBB428_32
.LBB428_44:
                                        ; implicit-def: $vgpr5
                                        ; implicit-def: $vgpr9
                                        ; implicit-def: $vgpr13
                                        ; implicit-def: $vgpr17
	s_cbranch_execz .LBB428_46
; %bb.45:
	s_waitcnt vmcnt(0)
	v_mad_u64_u32 v[2:3], s[0:1], v20, s15, v[18:19]
	v_lshlrev_b32_e32 v20, 1, v2
	s_lshl_b32 s2, s15, 7
	s_and_b32 s1, s5, 0xffff
	s_mov_b32 s3, 0x20000
	s_mov_b32 s0, s4
	v_add_lshl_u32 v21, v2, s15, 1
	s_movk_i32 s13, 0x80
	buffer_load_dwordx4 v[2:5], v20, s[0:3], 0 offen
	buffer_load_dwordx4 v[10:13], v20, s[0:3], s13 offen
	;; [unrolled: 1-line block ×4, first 2 shown]
.LBB428_46:
	v_lshrrev_b32_e32 v30, 2, v58
	s_cbranch_execnz .LBB428_59
.LBB428_47:
	s_and_b64 vcc, exec, s[6:7]
	s_cbranch_vccz .LBB428_57
; %bb.48:
	s_waitcnt vmcnt(0)
	v_lshlrev_b32_e32 v7, 1, v23
	v_cmp_gt_i32_e32 vcc, s27, v7
	v_mov_b32_e32 v6, 0
	v_lshlrev_b32_e32 v14, 9, v23
	v_mov_b32_e32 v2, 0
	v_mov_b32_e32 v3, 0
	;; [unrolled: 1-line block ×4, first 2 shown]
	s_and_saveexec_b64 s[0:1], vcc
	s_cbranch_execz .LBB428_50
; %bb.49:
	v_mov_b32_e32 v15, 0
	v_lshl_add_u64 v[2:3], s[4:5], 0, v[14:15]
	v_lshlrev_b32_e32 v4, 1, v18
	v_mov_b32_e32 v5, v15
	v_lshl_add_u64 v[2:3], v[2:3], 0, v[4:5]
	global_load_dwordx4 v[2:5], v[2:3], off
.LBB428_50:
	s_or_b64 exec, exec, s[0:1]
	v_or_b32_e32 v7, 1, v7
	v_cmp_gt_i32_e64 s[0:1], s27, v7
	v_lshlrev_b32_e32 v20, 8, v7
	v_mov_b32_e32 v7, 0
	v_mov_b32_e32 v8, 0
	;; [unrolled: 1-line block ×3, first 2 shown]
	s_and_saveexec_b64 s[2:3], s[0:1]
	s_cbranch_execz .LBB428_52
; %bb.51:
	v_mov_b32_e32 v21, 0
	v_lshl_add_u64 v[6:7], s[4:5], 0, v[20:21]
	v_lshlrev_b32_e32 v8, 1, v18
	v_mov_b32_e32 v9, v21
	v_lshl_add_u64 v[6:7], v[6:7], 0, v[8:9]
	global_load_dwordx4 v[6:9], v[6:7], off
.LBB428_52:
	s_or_b64 exec, exec, s[2:3]
	v_mov_b32_e32 v17, 0
	v_mov_b32_e32 v10, 0
	;; [unrolled: 1-line block ×5, first 2 shown]
	s_and_saveexec_b64 s[2:3], vcc
	s_cbranch_execz .LBB428_54
; %bb.53:
	v_mov_b32_e32 v15, 0
	v_lshl_add_u64 v[10:11], s[4:5], 0, v[14:15]
	v_lshlrev_b32_e32 v14, 1, v18
	v_lshl_add_u64 v[10:11], v[10:11], 0, v[14:15]
	global_load_dwordx4 v[10:13], v[10:11], off offset:128
.LBB428_54:
	s_or_b64 exec, exec, s[2:3]
	v_mov_b32_e32 v16, 0
	v_mov_b32_e32 v15, 0
	;; [unrolled: 1-line block ×3, first 2 shown]
	s_and_saveexec_b64 s[2:3], s[0:1]
	s_cbranch_execz .LBB428_56
; %bb.55:
	v_mov_b32_e32 v21, 0
	v_lshl_add_u64 v[14:15], s[4:5], 0, v[20:21]
	v_lshlrev_b32_e32 v20, 1, v18
	v_lshl_add_u64 v[14:15], v[14:15], 0, v[20:21]
	global_load_dwordx4 v[14:17], v[14:15], off offset:128
.LBB428_56:
	s_or_b64 exec, exec, s[2:3]
	s_branch .LBB428_59
.LBB428_57:
                                        ; implicit-def: $vgpr5
                                        ; implicit-def: $vgpr9
                                        ; implicit-def: $vgpr13
                                        ; implicit-def: $vgpr17
	s_cbranch_execz .LBB428_59
; %bb.58:
	s_waitcnt vmcnt(0)
	v_lshlrev_b32_e32 v2, 1, v18
	v_lshl_or_b32 v18, v23, 9, v2
	s_and_b32 s5, s5, 0xffff
	s_mov_b32 s7, 0x20000
	s_movk_i32 s6, 0x4000
	s_movk_i32 s0, 0x80
	buffer_load_dwordx4 v[2:5], v18, s[4:7], 0 offen
	buffer_load_dwordx4 v[6:9], v18, s[4:7], 0 offen offset:256
	buffer_load_dwordx4 v[10:13], v18, s[4:7], s0 offen
	buffer_load_dwordx4 v[14:17], v18, s[4:7], s0 offen offset:256
.LBB428_59:
	ds_read_b64 v[20:21], v25 offset:32768
	v_add_u32_e32 v18, 0xb000, v24
	ds_read2_b64 v[32:35], v18 offset1:16
	ds_read_b64 v[40:41], v26 offset:32768
	ds_read_b64 v[26:27], v27 offset:32768
	;; [unrolled: 1-line block ×3, first 2 shown]
	v_and_b32_e32 v18, 6, v0
	v_xor_b32_e32 v23, v23, v18
	v_lshlrev_b32_e32 v23, 2, v23
	v_and_b32_e32 v0, 1, v0
	v_xor_b32_e32 v28, 0x440, v23
	v_cmp_eq_u32_e32 vcc, 0, v0
	s_waitcnt lgkmcnt(3)
	v_mfma_f32_16x16x16_bf16 a[0:3], v[20:21], v[32:33], a[0:3]
	s_mov_b32 s0, 0x1000504
	v_cndmask_b32_e32 v0, v28, v23, vcc
	v_lshl_or_b32 v0, v18, 10, v0
	v_mfma_f32_16x16x16_bf16 a[4:7], v[20:21], v[34:35], a[4:7]
	ds_read2st64_b64 v[32:35], v24 offset0:90 offset1:92
	ds_read2st64_b64 v[36:39], v29 offset0:90 offset1:92
	ds_read_b64 v[20:21], v24 offset:48128
	ds_read_b64 v[24:25], v29 offset:48128
	s_waitcnt vmcnt(0)
	v_perm_b32 v18, v2, v6, s0
	s_waitcnt lgkmcnt(3)
	v_mfma_f32_16x16x16_bf16 a[0:3], v[40:41], v[32:33], a[0:3]
	s_mov_b32 s1, 0x3020706
	v_perm_b32 v2, v2, v6, s1
	v_perm_b32 v6, v10, v14, s1
	s_waitcnt lgkmcnt(2)
	v_mfma_f32_16x16x16_bf16 a[4:7], v[40:41], v[36:37], a[4:7]
	v_mfma_f32_16x16x16_bf16 a[0:3], v[26:27], v[34:35], a[0:3]
	;; [unrolled: 1-line block ×3, first 2 shown]
	s_waitcnt lgkmcnt(1)
	v_mfma_f32_16x16x16_bf16 a[4:7], v[42:43], v[20:21], a[0:3]
	v_perm_b32 v20, v10, v14, s0
	ds_write2st64_b32 v0, v18, v20 offset0:32 offset1:64
	v_xor_b32_e32 v18, 8, v0
	v_add_u32_e32 v10, 0x80, v18
	ds_write2st64_b32 v10, v2, v6 offset0:32 offset1:64
	v_xor_b32_e32 v2, 16, v0
	v_perm_b32 v6, v3, v7, s0
	v_perm_b32 v10, v11, v15, s0
	ds_write2st64_b32 v2, v6, v10 offset0:33 offset1:65
	v_xor_b32_e32 v2, 24, v0
	v_perm_b32 v3, v3, v7, s1
	v_perm_b32 v6, v11, v15, s1
	v_add_u32_e32 v2, 0x80, v2
	ds_write2st64_b32 v2, v3, v6 offset0:33 offset1:65
	v_xor_b32_e32 v2, 32, v0
	v_perm_b32 v3, v4, v8, s0
	v_perm_b32 v6, v12, v16, s0
	s_waitcnt lgkmcnt(4)
	v_mfma_f32_16x16x16_bf16 a[0:3], v[42:43], v[24:25], a[8:11]
	ds_write2st64_b32 v2, v3, v6 offset0:34 offset1:66
	v_xor_b32_e32 v2, 40, v0
	v_perm_b32 v3, v4, v8, s1
	v_perm_b32 v4, v12, v16, s1
	v_add_u32_e32 v2, 0x80, v2
	ds_write2st64_b32 v2, v3, v4 offset0:34 offset1:66
	v_xor_b32_e32 v2, 48, v0
	v_perm_b32 v3, v5, v9, s0
	v_perm_b32 v4, v13, v17, s0
	v_xor_b32_e32 v0, 56, v0
	v_and_or_b32 v18, v30, 12, v1
	ds_write2st64_b32 v2, v3, v4 offset0:35 offset1:67
	v_perm_b32 v2, v5, v9, s1
	v_perm_b32 v3, v13, v17, s1
	v_add_u32_e32 v0, 0x80, v0
	v_cmp_gt_i32_e32 vcc, s27, v18
	v_mov_b32_e32 v14, 0
	v_mov_b32_e32 v16, 0
	ds_write2st64_b32 v0, v2, v3 offset0:35 offset1:67
	s_and_saveexec_b64 s[0:1], vcc
	s_cbranch_execz .LBB428_61
; %bb.60:
	v_add_u32_e32 v0, s26, v18
	v_ashrrev_i32_e32 v1, 31, v0
	v_mul_lo_u32 v2, v1, s28
	v_mul_lo_u32 v3, v0, s29
	v_mad_u64_u32 v[0:1], s[2:3], v0, s28, 0
	v_add3_u32 v1, v1, v3, v2
	v_lshl_add_u64 v[0:1], v[0:1], 2, s[10:11]
	global_load_dword v0, v[0:1], off
	s_waitcnt vmcnt(0)
	v_sub_f32_e32 v0, s12, v0
	v_exp_f32_e32 v16, v0
.LBB428_61:
	s_or_b64 exec, exec, s[0:1]
	v_or_b32_e32 v8, 1, v18
	v_cmp_gt_i32_e64 s[0:1], s27, v8
	s_and_saveexec_b64 s[2:3], s[0:1]
	s_cbranch_execz .LBB428_63
; %bb.62:
	v_add_u32_e32 v0, s26, v8
	v_ashrrev_i32_e32 v1, 31, v0
	v_mul_lo_u32 v2, v1, s28
	v_mul_lo_u32 v3, v0, s29
	v_mad_u64_u32 v[0:1], s[4:5], v0, s28, 0
	v_add3_u32 v1, v1, v3, v2
	v_lshl_add_u64 v[0:1], v[0:1], 2, s[10:11]
	global_load_dword v0, v[0:1], off
	s_waitcnt vmcnt(0)
	v_sub_f32_e32 v0, s12, v0
	v_exp_f32_e32 v14, v0
.LBB428_63:
	s_or_b64 exec, exec, s[2:3]
	v_or_b32_e32 v10, 2, v18
	v_cmp_gt_i32_e64 s[2:3], s27, v10
	v_mov_b32_e32 v15, 0
	v_mov_b32_e32 v17, 0
	s_and_saveexec_b64 s[4:5], s[2:3]
	s_cbranch_execz .LBB428_65
; %bb.64:
	v_add_u32_e32 v0, s26, v10
	v_ashrrev_i32_e32 v1, 31, v0
	v_mul_lo_u32 v2, v1, s28
	v_mul_lo_u32 v3, v0, s29
	v_mad_u64_u32 v[0:1], s[6:7], v0, s28, 0
	v_add3_u32 v1, v1, v3, v2
	v_lshl_add_u64 v[0:1], v[0:1], 2, s[10:11]
	global_load_dword v0, v[0:1], off
	s_waitcnt vmcnt(0)
	v_sub_f32_e32 v0, s12, v0
	v_exp_f32_e32 v17, v0
.LBB428_65:
	s_or_b64 exec, exec, s[4:5]
	v_or_b32_e32 v12, 3, v18
	v_cmp_gt_i32_e64 s[4:5], s27, v12
	s_and_saveexec_b64 s[6:7], s[4:5]
	s_cbranch_execz .LBB428_67
; %bb.66:
	v_add_u32_e32 v0, s26, v12
	v_ashrrev_i32_e32 v1, 31, v0
	v_mul_lo_u32 v2, v1, s28
	v_mul_lo_u32 v3, v0, s29
	v_mad_u64_u32 v[0:1], s[14:15], v0, s28, 0
	v_add3_u32 v1, v1, v3, v2
	v_lshl_add_u64 v[0:1], v[0:1], 2, s[10:11]
	global_load_dword v0, v[0:1], off
	s_waitcnt vmcnt(0)
	v_sub_f32_e32 v0, s12, v0
	v_exp_f32_e32 v15, v0
.LBB428_67:
	s_or_b64 exec, exec, s[6:7]
	s_add_u32 s6, s8, s20
	v_accvgpr_read_b32 v0, a4
	s_addc_u32 s7, s9, s21
	v_ashrrev_i32_e32 v51, 31, v50
	v_accvgpr_read_b32 v1, a5
	v_accvgpr_read_b32 v2, a6
	;; [unrolled: 1-line block ×3, first 2 shown]
	v_lshl_add_u64 v[4:5], v[50:51], 1, s[6:7]
	v_mov_b32_e32 v9, 0
	v_lshlrev_b32_e32 v6, 8, v18
	v_mov_b32_e32 v7, 0
	s_and_saveexec_b64 s[6:7], vcc
	s_cbranch_execz .LBB428_69
; %bb.68:
	v_mov_b32_e32 v7, 0
	v_lshl_add_u64 v[20:21], v[4:5], 0, v[6:7]
	global_load_ushort v7, v[20:21], off
	s_waitcnt vmcnt(0)
	v_lshlrev_b32_e32 v7, 16, v7
	v_sub_f32_e32 v0, v7, v0
	v_mul_f32_e32 v0, v16, v0
	v_lshrrev_b32_e32 v7, 16, v0
.LBB428_69:
	s_or_b64 exec, exec, s[6:7]
	v_lshlrev_b32_e32 v8, 8, v8
	s_and_saveexec_b64 s[6:7], s[0:1]
	s_cbranch_execz .LBB428_71
; %bb.70:
	v_mov_b32_e32 v9, 0
	v_lshl_add_u64 v[20:21], v[4:5], 0, v[8:9]
	global_load_ushort v0, v[20:21], off
	s_waitcnt vmcnt(0)
	v_lshlrev_b32_e32 v0, 16, v0
	v_sub_f32_e32 v0, v0, v1
	v_mul_f32_e32 v0, v14, v0
	v_lshrrev_b32_e32 v9, 16, v0
.LBB428_71:
	s_or_b64 exec, exec, s[6:7]
	v_mov_b32_e32 v13, 0
	v_lshlrev_b32_e32 v10, 8, v10
	v_mov_b32_e32 v11, 0
	s_and_saveexec_b64 s[6:7], s[2:3]
	s_cbranch_execz .LBB428_73
; %bb.72:
	v_mov_b32_e32 v11, 0
	v_lshl_add_u64 v[0:1], v[4:5], 0, v[10:11]
	global_load_ushort v0, v[0:1], off
	s_waitcnt vmcnt(0)
	v_lshlrev_b32_e32 v0, 16, v0
	v_sub_f32_e32 v0, v0, v2
	v_mul_f32_e32 v0, v17, v0
	v_lshrrev_b32_e32 v11, 16, v0
.LBB428_73:
	s_or_b64 exec, exec, s[6:7]
	v_lshlrev_b32_e32 v12, 8, v12
	s_and_saveexec_b64 s[6:7], s[4:5]
	s_cbranch_execz .LBB428_75
; %bb.74:
	v_mov_b32_e32 v13, 0
	v_lshl_add_u64 v[0:1], v[4:5], 0, v[12:13]
	global_load_ushort v0, v[0:1], off
	s_waitcnt vmcnt(0)
	v_lshlrev_b32_e32 v0, 16, v0
	v_sub_f32_e32 v0, v0, v3
	v_mul_f32_e32 v0, v15, v0
	v_lshrrev_b32_e32 v13, 16, v0
.LBB428_75:
	s_or_b64 exec, exec, s[6:7]
	v_lshlrev_b32_e32 v18, 5, v18
	s_mov_b32 s6, 0x5040100
	v_perm_b32 v20, v9, v7, s6
	v_or_b32_e32 v7, v18, v22
	v_accvgpr_read_b32 v0, a0
	v_perm_b32 v21, v13, v11, s6
	v_lshlrev_b32_e32 v7, 1, v7
	v_accvgpr_read_b32 v1, a1
	v_accvgpr_read_b32 v2, a2
	v_accvgpr_read_b32 v3, a3
	ds_write_b64 v7, v[20:21] offset:45056
	v_mov_b32_e32 v9, 0
	v_mov_b32_e32 v7, 0
	s_and_saveexec_b64 s[6:7], vcc
	s_cbranch_execz .LBB428_77
; %bb.76:
	v_mov_b32_e32 v7, 0
	v_lshl_add_u64 v[6:7], v[4:5], 0, v[6:7]
	global_load_ushort v6, v[6:7], off offset:32
	s_waitcnt vmcnt(0)
	v_lshlrev_b32_e32 v6, 16, v6
	v_sub_f32_e32 v0, v6, v0
	v_mul_f32_e32 v0, v16, v0
	v_lshrrev_b32_e32 v7, 16, v0
.LBB428_77:
	s_or_b64 exec, exec, s[6:7]
	s_and_saveexec_b64 s[6:7], s[0:1]
	s_cbranch_execz .LBB428_79
; %bb.78:
	v_mov_b32_e32 v9, 0
	v_lshl_add_u64 v[8:9], v[4:5], 0, v[8:9]
	global_load_ushort v0, v[8:9], off offset:32
	s_waitcnt vmcnt(0)
	v_lshlrev_b32_e32 v0, 16, v0
	v_sub_f32_e32 v0, v0, v1
	v_mul_f32_e32 v0, v14, v0
	v_lshrrev_b32_e32 v9, 16, v0
.LBB428_79:
	s_or_b64 exec, exec, s[6:7]
	v_mov_b32_e32 v0, 0
	v_mov_b32_e32 v1, 0
	s_and_saveexec_b64 s[0:1], s[2:3]
	s_cbranch_execz .LBB428_81
; %bb.80:
	v_mov_b32_e32 v11, 0
	v_lshl_add_u64 v[10:11], v[4:5], 0, v[10:11]
	global_load_ushort v1, v[10:11], off offset:32
	s_waitcnt vmcnt(0)
	v_lshlrev_b32_e32 v1, 16, v1
	v_sub_f32_e32 v1, v1, v2
	v_mul_f32_e32 v1, v17, v1
	v_lshrrev_b32_e32 v1, 16, v1
.LBB428_81:
	s_or_b64 exec, exec, s[0:1]
	s_and_saveexec_b64 s[0:1], s[4:5]
	s_cbranch_execz .LBB428_83
; %bb.82:
	v_mov_b32_e32 v13, 0
	v_lshl_add_u64 v[4:5], v[4:5], 0, v[12:13]
	global_load_ushort v0, v[4:5], off offset:32
	s_waitcnt vmcnt(0)
	v_lshlrev_b32_e32 v0, 16, v0
	v_sub_f32_e32 v0, v0, v3
	v_mul_f32_e32 v0, v15, v0
	v_lshrrev_b32_e32 v0, 16, v0
.LBB428_83:
	s_or_b64 exec, exec, s[0:1]
	s_mov_b32 s0, 0x5040100
	v_or_b32_e32 v2, v18, v19
	v_perm_b32 v1, v0, v1, s0
	v_perm_b32 v0, v9, v7, s0
	v_lshlrev_b32_e32 v2, 1, v2
	ds_write_b64 v2, v[0:1] offset:45056
	s_waitcnt lgkmcnt(0)
	s_barrier
.LBB428_84:
	s_endpgm
	.section	.rodata,"a",@progbits
	.p2align	6, 0x0
	.amdhsa_kernel _ZN12_GLOBAL__N_139chunk_gated_delta_rule_fwd_h_hip_kernelILi32ELb1ELb0ELb0ELb0ELb1ELb0ELb1ELb0EEEvPK12hip_bfloat16S3_S3_PKfS5_PKvPS1_S8_PvPKiSB_iiiiilll
		.amdhsa_group_segment_fixed_size 49152
		.amdhsa_private_segment_fixed_size 0
		.amdhsa_kernarg_size 136
		.amdhsa_user_sgpr_count 2
		.amdhsa_user_sgpr_dispatch_ptr 0
		.amdhsa_user_sgpr_queue_ptr 0
		.amdhsa_user_sgpr_kernarg_segment_ptr 1
		.amdhsa_user_sgpr_dispatch_id 0
		.amdhsa_user_sgpr_kernarg_preload_length 0
		.amdhsa_user_sgpr_kernarg_preload_offset 0
		.amdhsa_user_sgpr_private_segment_size 0
		.amdhsa_uses_dynamic_stack 0
		.amdhsa_enable_private_segment 0
		.amdhsa_system_sgpr_workgroup_id_x 1
		.amdhsa_system_sgpr_workgroup_id_y 1
		.amdhsa_system_sgpr_workgroup_id_z 0
		.amdhsa_system_sgpr_workgroup_info 0
		.amdhsa_system_vgpr_workitem_id 0
		.amdhsa_next_free_vgpr 152
		.amdhsa_next_free_sgpr 65
		.amdhsa_accum_offset 132
		.amdhsa_reserve_vcc 1
		.amdhsa_float_round_mode_32 0
		.amdhsa_float_round_mode_16_64 0
		.amdhsa_float_denorm_mode_32 3
		.amdhsa_float_denorm_mode_16_64 3
		.amdhsa_dx10_clamp 1
		.amdhsa_ieee_mode 1
		.amdhsa_fp16_overflow 0
		.amdhsa_tg_split 0
		.amdhsa_exception_fp_ieee_invalid_op 0
		.amdhsa_exception_fp_denorm_src 0
		.amdhsa_exception_fp_ieee_div_zero 0
		.amdhsa_exception_fp_ieee_overflow 0
		.amdhsa_exception_fp_ieee_underflow 0
		.amdhsa_exception_fp_ieee_inexact 0
		.amdhsa_exception_int_div_zero 0
	.end_amdhsa_kernel
	.section	.text._ZN12_GLOBAL__N_139chunk_gated_delta_rule_fwd_h_hip_kernelILi32ELb1ELb0ELb0ELb0ELb1ELb0ELb1ELb0EEEvPK12hip_bfloat16S3_S3_PKfS5_PKvPS1_S8_PvPKiSB_iiiiilll,"axG",@progbits,_ZN12_GLOBAL__N_139chunk_gated_delta_rule_fwd_h_hip_kernelILi32ELb1ELb0ELb0ELb0ELb1ELb0ELb1ELb0EEEvPK12hip_bfloat16S3_S3_PKfS5_PKvPS1_S8_PvPKiSB_iiiiilll,comdat
.Lfunc_end428:
	.size	_ZN12_GLOBAL__N_139chunk_gated_delta_rule_fwd_h_hip_kernelILi32ELb1ELb0ELb0ELb0ELb1ELb0ELb1ELb0EEEvPK12hip_bfloat16S3_S3_PKfS5_PKvPS1_S8_PvPKiSB_iiiiilll, .Lfunc_end428-_ZN12_GLOBAL__N_139chunk_gated_delta_rule_fwd_h_hip_kernelILi32ELb1ELb0ELb0ELb0ELb1ELb0ELb1ELb0EEEvPK12hip_bfloat16S3_S3_PKfS5_PKvPS1_S8_PvPKiSB_iiiiilll
                                        ; -- End function
	.section	.AMDGPU.csdata,"",@progbits
; Kernel info:
; codeLenInByte = 8368
; NumSgprs: 71
; NumVgprs: 130
; NumAgprs: 20
; TotalNumVgprs: 152
; ScratchSize: 0
; MemoryBound: 0
; FloatMode: 240
; IeeeMode: 1
; LDSByteSize: 49152 bytes/workgroup (compile time only)
; SGPRBlocks: 8
; VGPRBlocks: 18
; NumSGPRsForWavesPerEU: 71
; NumVGPRsForWavesPerEU: 152
; AccumOffset: 132
; Occupancy: 1
; WaveLimiterHint : 1
; COMPUTE_PGM_RSRC2:SCRATCH_EN: 0
; COMPUTE_PGM_RSRC2:USER_SGPR: 2
; COMPUTE_PGM_RSRC2:TRAP_HANDLER: 0
; COMPUTE_PGM_RSRC2:TGID_X_EN: 1
; COMPUTE_PGM_RSRC2:TGID_Y_EN: 1
; COMPUTE_PGM_RSRC2:TGID_Z_EN: 0
; COMPUTE_PGM_RSRC2:TIDIG_COMP_CNT: 0
; COMPUTE_PGM_RSRC3_GFX90A:ACCUM_OFFSET: 32
; COMPUTE_PGM_RSRC3_GFX90A:TG_SPLIT: 0
	.section	.text._ZN12_GLOBAL__N_139chunk_gated_delta_rule_fwd_h_hip_kernelILi32ELb0ELb1ELb1ELb0ELb1ELb0ELb1ELb0EEEvPK12hip_bfloat16S3_S3_PKfS5_PKvPS1_S8_PvPKiSB_iiiiilll,"axG",@progbits,_ZN12_GLOBAL__N_139chunk_gated_delta_rule_fwd_h_hip_kernelILi32ELb0ELb1ELb1ELb0ELb1ELb0ELb1ELb0EEEvPK12hip_bfloat16S3_S3_PKfS5_PKvPS1_S8_PvPKiSB_iiiiilll,comdat
	.globl	_ZN12_GLOBAL__N_139chunk_gated_delta_rule_fwd_h_hip_kernelILi32ELb0ELb1ELb1ELb0ELb1ELb0ELb1ELb0EEEvPK12hip_bfloat16S3_S3_PKfS5_PKvPS1_S8_PvPKiSB_iiiiilll ; -- Begin function _ZN12_GLOBAL__N_139chunk_gated_delta_rule_fwd_h_hip_kernelILi32ELb0ELb1ELb1ELb0ELb1ELb0ELb1ELb0EEEvPK12hip_bfloat16S3_S3_PKfS5_PKvPS1_S8_PvPKiSB_iiiiilll
	.p2align	8
	.type	_ZN12_GLOBAL__N_139chunk_gated_delta_rule_fwd_h_hip_kernelILi32ELb0ELb1ELb1ELb0ELb1ELb0ELb1ELb0EEEvPK12hip_bfloat16S3_S3_PKfS5_PKvPS1_S8_PvPKiSB_iiiiilll,@function
_ZN12_GLOBAL__N_139chunk_gated_delta_rule_fwd_h_hip_kernelILi32ELb0ELb1ELb1ELb0ELb1ELb0ELb1ELb0EEEvPK12hip_bfloat16S3_S3_PKfS5_PKvPS1_S8_PvPKiSB_iiiiilll: ; @_ZN12_GLOBAL__N_139chunk_gated_delta_rule_fwd_h_hip_kernelILi32ELb0ELb1ELb1ELb0ELb1ELb0ELb1ELb0EEEvPK12hip_bfloat16S3_S3_PKfS5_PKvPS1_S8_PvPKiSB_iiiiilll
; %bb.0:
	s_load_dwordx4 s[28:31], s[0:1], 0x5c
	s_load_dwordx4 s[36:39], s[0:1], 0x70
	s_abs_i32 s6, s3
	s_ashr_i32 s5, s3, 31
	s_load_dwordx8 s[16:23], s[0:1], 0x0
	s_waitcnt lgkmcnt(0)
	s_abs_i32 s4, s29
	v_cvt_f32_u32_e32 v1, s4
	s_sub_i32 s8, 0, s4
	s_ashr_i32 s7, s29, 31
	s_xor_b32 s5, s5, s7
	v_rcp_iflag_f32_e32 v1, v1
	s_load_dwordx2 s[34:35], s[0:1], 0x40
	s_load_dwordx4 s[24:27], s[0:1], 0x30
	s_load_dwordx2 s[40:41], s[0:1], 0x80
	s_mov_b32 s0, 0
	v_mul_f32_e32 v1, 0x4f7ffffe, v1
	v_cvt_u32_f32_e32 v1, v1
	v_lshrrev_b32_e32 v58, 6, v0
	v_bfe_u32 v61, v0, 4, 2
	v_lshlrev_b32_e32 v59, 4, v58
	v_readfirstlane_b32 s9, v1
	s_mul_i32 s8, s8, s9
	s_mul_hi_u32 s8, s9, s8
	s_add_i32 s9, s9, s8
	s_mul_hi_u32 s8, s6, s9
	s_mul_i32 s9, s8, s4
	s_sub_i32 s6, s6, s9
	s_add_i32 s10, s8, 1
	s_sub_i32 s9, s6, s4
	s_cmp_ge_u32 s6, s4
	s_cselect_b32 s8, s10, s8
	s_cselect_b32 s6, s9, s6
	s_add_i32 s9, s8, 1
	s_cmp_ge_u32 s6, s4
	s_cselect_b32 s6, s9, s8
	s_xor_b32 s6, s6, s5
	s_sub_i32 s51, s6, s5
	s_abs_i32 s6, s30
	v_cvt_f32_u32_e32 v1, s6
	s_mul_i32 s49, s51, s29
	s_sub_i32 s33, s3, s49
	s_add_i32 s3, s28, 63
	v_rcp_iflag_f32_e32 v1, v1
	s_ashr_i32 s5, s3, 31
	s_lshr_b32 s5, s5, 26
	s_ashr_i32 s50, s28, 31
	v_mul_f32_e32 v1, 0x4f7ffffe, v1
	v_cvt_u32_f32_e32 v1, v1
	s_add_i32 s3, s3, s5
	s_lshr_b32 s5, s50, 26
	s_add_i32 s5, s28, s5
	s_ashr_i32 s46, s30, 31
	s_ashr_i32 s52, s5, 6
	s_xor_b32 s5, s7, s46
	s_sub_i32 s7, 0, s6
	v_readfirstlane_b32 s8, v1
	s_mul_i32 s7, s7, s8
	s_mul_hi_u32 s7, s8, s7
	s_add_i32 s8, s8, s7
	s_mul_hi_u32 s7, s4, s8
	s_mul_i32 s8, s7, s6
	s_sub_i32 s4, s4, s8
	s_ashr_i32 s3, s3, 6
	s_add_i32 s8, s7, 1
	s_sub_i32 s9, s4, s6
	s_cmp_ge_u32 s4, s6
	s_cselect_b32 s7, s8, s7
	s_cselect_b32 s4, s9, s4
	s_add_i32 s8, s7, 1
	s_cmp_ge_u32 s4, s6
	s_cselect_b32 s4, s8, s7
	s_xor_b32 s4, s4, s5
	s_sub_i32 s4, s4, s5
	s_abs_i32 s5, s4
	v_cvt_f32_u32_e32 v1, s5
	s_sub_i32 s6, 0, s5
	s_xor_b32 s1, s33, s4
	s_abs_i32 s4, s33
	v_rcp_iflag_f32_e32 v1, v1
	s_ashr_i32 s1, s1, 31
	v_lshlrev_b32_e32 v18, 2, v61
	s_mov_b32 s14, s0
	v_mul_f32_e32 v1, 0x4f7ffffe, v1
	v_cvt_u32_f32_e32 v1, v1
	s_mov_b32 s15, s0
	v_and_b32_e32 v60, 63, v0
	s_mul_i32 s55, s51, s3
	v_readfirstlane_b32 s7, v1
	s_mul_i32 s6, s6, s7
	s_mul_hi_u32 s6, s7, s6
	s_add_i32 s7, s7, s6
	s_mul_hi_u32 s6, s4, s7
	s_mul_i32 s7, s6, s5
	s_sub_i32 s4, s4, s7
	s_add_i32 s7, s6, 1
	s_sub_i32 s8, s4, s5
	s_cmp_ge_u32 s4, s5
	s_cselect_b32 s6, s7, s6
	s_cselect_b32 s4, s8, s4
	s_add_i32 s7, s6, 1
	s_cmp_ge_u32 s4, s5
	s_cselect_b32 s4, s7, s6
	s_xor_b32 s4, s4, s1
	s_sub_i32 s56, s4, s1
	v_or_b32_e32 v1, v18, v59
	s_lshl_b32 s42, s2, 5
	s_mov_b32 s1, s0
	s_mov_b32 s2, s0
	;; [unrolled: 1-line block ×13, first 2 shown]
	v_mov_b64_e32 v[16:17], s[14:15]
	v_and_b32_e32 v62, 15, v0
	v_or_b32_e32 v65, 64, v1
	s_cmp_lt_i32 s28, 64
	v_mov_b64_e32 v[14:15], s[12:13]
	v_mov_b64_e32 v[12:13], s[10:11]
	;; [unrolled: 1-line block ×7, first 2 shown]
	s_mul_hi_i32 s57, s51, s29
	v_lshrrev_b32_e32 v64, 3, v60
	v_lshlrev_b32_e32 v63, 3, v0
	s_mul_i32 s37, s51, s37
	s_mul_hi_u32 s48, s51, s36
	s_mul_i32 s12, s51, s36
	s_cbranch_scc1 .LBB429_19
; %bb.1:
	s_ashr_i32 s8, s51, 31
	s_ashr_i32 s53, s33, 31
	s_add_u32 s0, s49, s33
	s_addc_u32 s1, s57, s53
	s_mul_i32 s1, s28, s1
	s_mul_hi_u32 s2, s28, s0
	s_add_i32 s3, s2, s1
	s_mul_i32 s2, s28, s0
	s_lshl_b64 s[0:1], s[2:3], 8
	v_and_b32_e32 v9, 56, v63
	s_add_u32 s4, s18, s0
	v_lshl_or_b32 v5, v58, 3, v64
	v_lshlrev_b32_e32 v2, 1, v9
	s_addc_u32 s0, s19, s1
	v_lshl_or_b32 v13, v5, 8, v2
	s_and_b32 s5, s0, 0xffff
	s_mov_b32 s7, 0x20000
	s_movk_i32 s6, 0x4000
	s_movk_i32 s0, 0x80
	v_or_b32_e32 v17, 0x2000, v13
	buffer_load_dwordx4 v[20:23], v13, s[4:7], 0 offen
	buffer_load_dwordx4 v[24:27], v13, s[4:7], s0 offen
	;; [unrolled: 1-line block ×4, first 2 shown]
	v_lshlrev_b32_e32 v3, 3, v5
	v_and_or_b32 v6, v0, 7, v3
	v_and_b32_e32 v3, 0x78, v3
	v_lshlrev_b32_e32 v6, 4, v6
	v_xor_b32_e32 v66, v6, v3
	v_mul_lo_u32 v4, v5, s31
	v_or_b32_e32 v67, 0x1000, v66
	v_xor_b32_e32 v3, 8, v66
	s_cmpk_eq_i32 s31, 0x80
	s_mov_b32 s47, s30
	v_xor_b32_e32 v6, 8, v67
	s_cselect_b64 s[0:1], -1, 0
	s_cmpk_lg_i32 s31, 0x80
	s_waitcnt vmcnt(3)
	ds_write_b64 v66, v[20:21] offset:24576
	ds_write_b64 v3, v[22:23] offset:24576
	s_waitcnt vmcnt(2)
	ds_write_b64 v66, v[24:25] offset:32768
	ds_write_b64 v3, v[26:27] offset:32768
	;; [unrolled: 3-line block ×4, first 2 shown]
	v_lshl_add_u32 v3, v4, 1, v9
	s_cbranch_scc0 .LBB429_3
; %bb.2:
	v_lshlrev_b32_e32 v6, 1, v3
	v_add_lshl_u32 v4, v3, s31, 1
	s_lshl_b32 s6, s31, 7
	v_lshl_or_b32 v2, v5, 9, v2
	s_cbranch_execz .LBB429_4
	s_branch .LBB429_5
.LBB429_3:
                                        ; implicit-def: $vgpr4
                                        ; implicit-def: $vgpr6
                                        ; implicit-def: $sgpr6
	v_lshl_or_b32 v2, v5, 9, v2
.LBB429_4:
	v_or_b32_e32 v4, 0x100, v2
	s_movk_i32 s6, 0x4000
	v_mov_b32_e32 v6, v2
.LBB429_5:
	s_mul_hi_u32 s4, s30, s28
	s_mul_i32 s5, s46, s28
	s_add_i32 s4, s4, s5
	s_mul_i32 s5, s30, s28
	s_mul_i32 s7, s5, s8
	s_mul_hi_u32 s9, s5, s51
	s_add_i32 s7, s9, s7
	s_mul_i32 s4, s4, s51
	s_add_i32 s7, s7, s4
	s_mul_i32 s5, s5, s51
	s_ashr_i32 s54, s56, 31
	s_add_u32 s4, s5, s56
	s_addc_u32 s5, s7, s54
	s_lshl_b64 s[4:5], s[4:5], 8
	s_add_u32 s4, s16, s4
	s_addc_u32 s5, s17, s5
	s_and_b32 s5, s5, 0xffff
	s_mov_b32 s7, 0x20000
	s_movk_i32 s58, 0x80
	buffer_load_dwordx4 v[20:23], v6, s[4:7], 0 offen
	buffer_load_dwordx4 v[24:27], v6, s[4:7], s58 offen
	;; [unrolled: 1-line block ×4, first 2 shown]
	v_and_b32_e32 v4, 6, v0
	v_lshlrev_b32_e32 v8, 6, v1
	v_or_b32_e32 v11, 16, v62
	v_xor_b32_e32 v12, v5, v4
	v_and_b32_e32 v6, 1, v0
	s_mul_i32 s4, s8, s28
	s_mul_hi_u32 s5, s51, s28
	v_lshl_or_b32 v16, v62, 3, v8
	v_lshl_or_b32 v8, v11, 3, v8
	v_lshlrev_b32_e32 v12, 2, v12
	v_lshlrev_b32_e32 v7, 2, v62
	v_or_b32_e32 v70, 0xa000, v8
	v_or_b32_e32 v71, 0xb000, v8
	v_xor_b32_e32 v8, 0x440, v12
	v_cmp_eq_u32_e32 vcc, 0, v6
	s_add_i32 s63, s5, s4
	s_add_i32 s4, s48, s37
	s_mul_i32 s8, s8, s36
	v_xor_b32_e32 v14, v1, v7
	v_xor_b32_e32 v15, v65, v7
	v_cndmask_b32_e32 v6, v8, v12, vcc
	s_add_i32 s13, s4, s8
	s_mul_i32 s4, s33, s39
	s_mul_hi_u32 s5, s33, s38
	s_mov_b32 s60, 0x1000504
	v_lshlrev_b32_e32 v10, 8, v62
	v_lshlrev_b32_e32 v14, 1, v14
	;; [unrolled: 1-line block ×3, first 2 shown]
	v_lshl_or_b32 v4, v4, 10, v6
	s_add_i32 s4, s5, s4
	s_mul_i32 s5, s53, s38
	s_mov_b32 s61, 0x3020706
	v_or_b32_e32 v68, 0xa000, v16
	v_or_b32_e32 v69, 0xb000, v16
	v_or_b32_e32 v72, v10, v14
	v_or_b32_e32 v73, v10, v15
	v_xor_b32_e32 v6, 8, v4
	v_xor_b32_e32 v10, 24, v4
	;; [unrolled: 1-line block ×4, first 2 shown]
	s_add_i32 s5, s4, s5
	s_lshl_b64 s[8:9], s[12:13], 2
	v_xor_b32_e32 v8, 16, v4
	v_xor_b32_e32 v12, 32, v4
	;; [unrolled: 1-line block ×3, first 2 shown]
	v_add_u32_e32 v6, 0x80, v6
	v_add_u32_e32 v10, 0x80, v10
	;; [unrolled: 1-line block ×4, first 2 shown]
	s_mul_i32 s4, s33, s38
	s_add_u32 s6, s22, s8
	s_addc_u32 s8, s23, s9
	s_lshl_b64 s[4:5], s[4:5], 2
	s_add_u32 s14, s6, s4
	s_movk_i32 s4, 0xf8
	s_addc_u32 s15, s8, s5
	s_ashr_i32 s43, s42, 31
	s_lshl_b32 s10, s31, 7
	s_movk_i32 s8, 0x100
	v_mov_b32_e32 v51, 0
	v_lshlrev_b32_e32 v50, 4, v62
	v_cmp_gt_u32_e32 vcc, s8, v0
	s_mov_b32 s59, 0
	s_mul_i32 s62, s51, s28
	s_movk_i32 s13, 0x1000
	s_movk_i32 s6, 0x4000
	v_add_u32_e32 v93, v59, v18
	s_mov_b32 s65, 0
	v_mov_b32_e32 v99, v51
	v_mov_b32_e32 v98, v51
	;; [unrolled: 1-line block ×4, first 2 shown]
	s_waitcnt vmcnt(1)
	v_perm_b32 v37, v20, v28, s60
	s_waitcnt vmcnt(0)
	v_perm_b32 v38, v24, v32, s60
	v_perm_b32 v20, v20, v28, s61
	;; [unrolled: 1-line block ×15, first 2 shown]
	ds_write2st64_b32 v4, v37, v38 offset0:32 offset1:64
	ds_write2st64_b32 v6, v20, v24 offset0:32 offset1:64
	;; [unrolled: 1-line block ×8, first 2 shown]
	v_lshlrev_b32_e32 v4, 8, v11
	v_or_b32_e32 v74, v4, v14
	v_or_b32_e32 v75, v4, v15
	;; [unrolled: 1-line block ×3, first 2 shown]
	v_lshlrev_b32_e32 v4, 3, v4
	v_lshrrev_b32_e32 v10, 5, v60
	v_and_or_b32 v10, v4, s4, v10
	v_lshlrev_b32_e32 v8, 11, v58
	v_lshlrev_b32_e32 v10, 4, v10
	v_and_b32_e32 v4, 0x78, v4
	v_and_b32_e32 v6, 0x1000, v8
	v_xor_b32_e32 v11, v10, v4
	v_lshrrev_b32_e32 v12, 1, v0
	v_or_b32_e32 v11, v11, v6
	v_and_b32_e32 v14, 8, v12
	v_xor_b32_e32 v76, v11, v14
	v_or_b32_e32 v11, 32, v10
	v_xor_b32_e32 v11, v11, v4
	v_or_b32_e32 v11, v11, v6
	;; [unrolled: 2-line block ×4, first 2 shown]
	s_lshl_b64 s[4:5], s[42:43], 8
	v_or_b32_e32 v11, v11, v6
	v_xor_b32_e32 v4, v10, v4
	s_waitcnt lgkmcnt(0)
	s_add_u32 s4, s24, s4
	v_lshlrev_b32_e32 v10, 1, v62
	v_xor_b32_e32 v80, v11, v14
	v_lshrrev_b32_e32 v19, 4, v0
	s_addc_u32 s5, s25, s5
	v_or_b32_e32 v11, 1, v10
	v_mov_b32_e32 v23, 0x4000
	v_mov_b32_e32 v24, 0x2000
	v_xor_b32_e32 v20, v19, v10
	v_xor_b32_e32 v21, v11, v19
	v_lshl_add_u64 v[10:11], s[4:5], 0, v[50:51]
	v_lshlrev_b32_e32 v50, 8, v19
	v_cndmask_b32_e32 v23, v23, v24, vcc
	v_lshlrev_b32_e32 v24, 3, v58
	v_and_b32_e32 v12, 24, v12
	v_lshl_or_b32 v84, v20, 3, v50
	v_and_b32_e32 v20, 8, v0
	v_xor_b32_e32 v25, v24, v12
	v_or_b32_e32 v26, 0x440, v25
	v_cmp_eq_u32_e32 vcc, 0, v20
	v_and_b32_e32 v19, 7, v0
	v_lshlrev_b32_e32 v15, 7, v61
	v_cndmask_b32_e32 v20, v26, v25, vcc
	v_lshl_or_b32 v85, v21, 3, v50
	v_lshlrev_b32_e32 v21, 3, v19
	v_lshlrev_b32_e32 v19, 7, v19
	;; [unrolled: 1-line block ×3, first 2 shown]
	v_or_b32_e32 v20, v20, v8
	v_or_b32_e32 v7, v15, v7
	v_xad_u32 v86, v20, v21, v19
	v_and_or_b32 v15, v22, 60, v15
	v_mov_b32_e32 v20, 0xb000
	v_lshl_or_b32 v87, v15, 1, v20
	v_or_b32_e32 v15, 32, v12
	v_xor_b32_e32 v15, v24, v15
	v_or_b32_e32 v20, 0x440, v15
	v_cndmask_b32_e32 v15, v20, v15, vcc
	v_or_b32_e32 v15, v15, v8
	v_xad_u32 v88, v15, v21, v19
	v_or_b32_e32 v15, 64, v12
	v_xor_b32_e32 v15, v24, v15
	v_xor_b32_e32 v20, 0x440, v15
	v_cndmask_b32_e32 v15, v20, v15, vcc
	v_or_b32_e32 v12, 0x60, v12
	v_or_b32_e32 v15, v15, v8
	v_xor_b32_e32 v12, v24, v12
	v_xad_u32 v89, v15, v21, v19
	v_xor_b32_e32 v15, 0x440, v12
	v_lshlrev_b32_e32 v7, 1, v7
	v_or_b32_e32 v4, v4, v6
	v_or_b32_e32 v6, s42, v62
	v_cndmask_b32_e32 v12, v15, v12, vcc
	v_or_b32_e32 v77, 0xa000, v7
	v_or_b32_e32 v79, 0xa080, v7
	v_xor_b32_e32 v81, v4, v14
	v_or_b32_e32 v82, 0xb000, v7
	v_or_b32_e32 v83, 0xb080, v7
	v_ashrrev_i32_e32 v7, 31, v6
	v_lshlrev_b32_e32 v14, 1, v3
	v_add_lshl_u32 v3, v3, s31, 1
	v_or_b32_e32 v16, 0x100, v2
	v_or_b32_e32 v8, v12, v8
	v_lshlrev_b32_e32 v4, 7, v1
	v_xad_u32 v90, v8, v21, v19
	v_cndmask_b32_e64 v91, v14, v2, s[0:1]
	v_cndmask_b32_e64 v92, v3, v16, s[0:1]
	v_lshlrev_b64 v[2:3], 1, v[6:7]
	v_lshl_add_u64 v[52:53], s[20:21], 0, v[2:3]
	v_lshl_add_u64 v[54:55], s[26:27], 0, v[2:3]
	;; [unrolled: 1-line block ×3, first 2 shown]
	s_mov_b32 s43, 0x7060302
	v_lshlrev_b32_e32 v50, 1, v4
	v_add_u32_e32 v94, v23, v86
	v_add_u32_e32 v95, v23, v88
	;; [unrolled: 1-line block ×4, first 2 shown]
	v_mov_b32_e32 v2, v51
	v_mov_b32_e32 v3, v51
	;; [unrolled: 1-line block ×12, first 2 shown]
	s_barrier
.LBB429_6:                              ; =>This Inner Loop Header: Depth=1
	s_add_i32 s64, s65, 1
	s_cmp_lt_i32 s64, s52
	s_mov_b64 s[8:9], 0
	s_cselect_b64 s[44:45], -1, 0
	s_cmp_ge_i32 s64, s52
	s_mov_b64 s[4:5], 0
	s_cbranch_scc1 .LBB429_8
; %bb.7:                                ;   in Loop: Header=BB429_6 Depth=1
	s_add_i32 s0, s59, 64
	s_add_u32 s0, s2, s0
	s_addc_u32 s1, s3, 0
	s_lshl_b64 s[0:1], s[0:1], 8
	s_add_u32 s4, s18, s0
	s_addc_u32 s5, s19, s1
.LBB429_8:                              ;   in Loop: Header=BB429_6 Depth=1
	v_cndmask_b32_e64 v18, 0, 1, s[44:45]
	v_cmp_ne_u32_e64 s[0:1], 1, v18
	s_andn2_b64 vcc, exec, s[44:45]
	s_cbranch_vccnz .LBB429_10
; %bb.9:                                ;   in Loop: Header=BB429_6 Depth=1
	s_add_i32 s8, s59, 64
	s_add_u32 s8, s62, s8
	s_addc_u32 s9, s63, 0
	s_mul_i32 s11, s8, s46
	s_mul_hi_u32 s44, s8, s47
	s_add_i32 s11, s44, s11
	s_mul_i32 s9, s9, s47
	s_add_i32 s11, s11, s9
	s_mul_i32 s8, s8, s47
	s_add_u32 s8, s8, s56
	s_addc_u32 s9, s11, s54
	s_lshl_b64 s[8:9], s[8:9], 8
	s_add_u32 s8, s16, s8
	s_addc_u32 s9, s17, s9
.LBB429_10:                             ;   in Loop: Header=BB429_6 Depth=1
	v_perm_b32 v19, v99, v4, s43
	v_perm_b32 v18, v3, v2, s43
	;; [unrolled: 1-line block ×4, first 2 shown]
	ds_write_b64 v68, v[18:19]
	ds_write_b64 v69, v[20:21]
	;; [unrolled: 1-line block ×4, first 2 shown]
	v_perm_b32 v19, v101, v12, s43
	v_perm_b32 v18, v11, v10, s43
	;; [unrolled: 1-line block ×4, first 2 shown]
	ds_write_b64 v70, v[18:19]
	ds_write_b64 v71, v[20:21]
	;; [unrolled: 1-line block ×4, first 2 shown]
	s_waitcnt lgkmcnt(0)
	s_barrier
	ds_read_b64 v[22:23], v76 offset:24576
	ds_read2_b64 v[18:21], v77 offset1:16
	ds_read_b64 v[26:27], v79 offset:3072
	ds_read_b64 v[28:29], v77 offset:3072
	;; [unrolled: 1-line block ×3, first 2 shown]
	s_waitcnt lgkmcnt(3)
	v_mfma_f32_16x16x16_bf16 a[0:3], v[22:23], v[18:19], 0
	s_add_i32 s11, s59, 63
	s_mul_i32 s44, s11, s41
	s_mul_hi_u32 s45, s11, s40
	v_mfma_f32_16x16x16_bf16 a[4:7], v[22:23], v[20:21], 0
	ds_read2st64_b64 v[18:21], v77 offset0:2 offset1:4
	ds_read2st64_b64 v[22:25], v79 offset0:2 offset1:4
	s_add_i32 s45, s45, s44
	s_waitcnt lgkmcnt(1)
	v_mfma_f32_16x16x16_bf16 a[0:3], v[30:31], v[18:19], a[0:3]
	s_mul_i32 s44, s11, s40
	s_lshl_b64 s[44:45], s[44:45], 2
	s_add_u32 s44, s14, s44
	s_waitcnt lgkmcnt(0)
	v_mfma_f32_16x16x16_bf16 a[4:7], v[30:31], v[22:23], a[4:7]
	ds_read_b64 v[18:19], v80 offset:24576
	ds_read_b64 v[22:23], v81 offset:24576
	s_addc_u32 s45, s15, s45
	s_and_b64 vcc, exec, s[0:1]
	s_waitcnt lgkmcnt(1)
	v_mfma_f32_16x16x16_bf16 a[0:3], v[18:19], v[20:21], a[0:3]
	v_mov_b32_e32 v104, 0
	v_mov_b32_e32 v103, 0
	;; [unrolled: 1-line block ×3, first 2 shown]
	v_mfma_f32_16x16x16_bf16 a[8:11], v[18:19], v[24:25], a[4:7]
	v_mov_b32_e32 v18, 0
	v_mov_b32_e32 v19, 0
	;; [unrolled: 1-line block ×3, first 2 shown]
	s_waitcnt lgkmcnt(0)
	v_mfma_f32_16x16x16_bf16 a[4:7], v[22:23], v[28:29], a[0:3]
	v_mov_b32_e32 v21, 0
	v_mov_b32_e32 v24, 0
	;; [unrolled: 1-line block ×3, first 2 shown]
	v_mfma_f32_16x16x16_bf16 a[0:3], v[22:23], v[26:27], a[8:11]
	v_mov_b32_e32 v22, 0
	v_mov_b32_e32 v23, 0
	;; [unrolled: 1-line block ×10, first 2 shown]
	s_cbranch_vccnz .LBB429_12
; %bb.11:                               ;   in Loop: Header=BB429_6 Depth=1
	s_and_b32 s5, s5, 0xffff
	buffer_load_dwordx4 v[30:33], v13, s[4:7], 0 offen
	buffer_load_dwordx4 v[26:29], v13, s[4:7], s58 offen
	;; [unrolled: 1-line block ×4, first 2 shown]
	v_mov_b32_e32 v103, v66
	v_mov_b32_e32 v102, v67
.LBB429_12:                             ;   in Loop: Header=BB429_6 Depth=1
	ds_read_b64 v[42:43], v76 offset:32768
	ds_read2_b64 v[34:37], v82 offset1:16
	ds_read_b64 v[44:45], v78 offset:32768
	ds_read_b64 v[46:47], v80 offset:32768
	;; [unrolled: 1-line block ×3, first 2 shown]
	ds_read2st64_b64 v[38:41], v82 offset0:2 offset1:4
	v_add_u32_e32 v105, s59, v93
	s_waitcnt lgkmcnt(4)
	v_mfma_f32_16x16x16_bf16 a[4:7], v[42:43], v[34:35], a[4:7]
	v_ashrrev_i32_e32 v34, 31, v105
	v_mfma_f32_16x16x16_bf16 a[0:3], v[42:43], v[36:37], a[0:3]
	v_mul_lo_u32 v36, v105, s41
	v_mul_lo_u32 v37, v34, s40
	v_mad_u64_u32 v[34:35], s[4:5], v105, s40, 0
	v_add3_u32 v35, v35, v36, v37
	v_add_u32_e32 v36, 1, v105
	v_ashrrev_i32_e32 v37, 31, v36
	s_waitcnt lgkmcnt(0)
	v_mfma_f32_16x16x16_bf16 a[4:7], v[44:45], v[38:39], a[4:7]
	v_mul_lo_u32 v38, v37, s40
	v_mul_lo_u32 v39, v36, s41
	v_mad_u64_u32 v[36:37], s[4:5], v36, s40, 0
	v_add3_u32 v37, v37, v39, v38
	v_add_u32_e32 v38, 2, v105
	v_ashrrev_i32_e32 v39, 31, v38
	v_mul_lo_u32 v42, v39, s40
	v_mul_lo_u32 v43, v38, s41
	v_mad_u64_u32 v[38:39], s[4:5], v38, s40, 0
	v_add3_u32 v39, v39, v43, v42
	v_add_u32_e32 v42, 3, v105
	v_ashrrev_i32_e32 v43, 31, v42
	v_mul_lo_u32 v105, v43, s40
	v_mul_lo_u32 v106, v42, s41
	v_mad_u64_u32 v[42:43], s[4:5], v42, s40, 0
	s_add_u32 s4, s2, s59
	s_addc_u32 s5, s3, 0
	s_lshl_b64 s[66:67], s[4:5], 8
	v_lshl_add_u64 v[34:35], v[34:35], 2, s[14:15]
	v_add3_u32 v43, v43, v106, v105
	v_lshl_add_u64 v[106:107], v[52:53], 0, s[66:67]
	v_lshl_add_u64 v[36:37], v[36:37], 2, s[14:15]
	v_lshl_add_u64 v[106:107], v[106:107], 0, v[50:51]
	global_load_dword v105, v[34:35], off
	global_load_ushort v108, v[106:107], off offset:256
	global_load_ushort v109, v[106:107], off
	global_load_ushort v110, v[106:107], off offset:768
	v_lshl_add_u64 v[34:35], v[42:43], 2, s[14:15]
	v_lshl_add_u64 v[38:39], v[38:39], 2, s[14:15]
	global_load_dword v111, v[36:37], off
	global_load_dword v112, v[38:39], off
	;; [unrolled: 1-line block ×3, first 2 shown]
	ds_read2st64_b64 v[34:37], v83 offset0:2 offset1:4
	s_waitcnt lgkmcnt(0)
	v_mfma_f32_16x16x16_bf16 a[0:3], v[44:45], v[34:35], a[0:3]
	global_load_ushort v44, v[106:107], off offset:512
	global_load_ushort v114, v[106:107], off offset:800
	;; [unrolled: 1-line block ×4, first 2 shown]
	s_nop 0
	global_load_ushort v106, v[106:107], off offset:32
	s_and_b64 vcc, exec, s[0:1]
	v_mfma_f32_16x16x16_bf16 a[4:7], v[46:47], v[40:41], a[4:7]
	s_waitcnt vmcnt(10)
	v_lshlrev_b32_e32 v43, 16, v108
	v_mfma_f32_16x16x16_bf16 a[0:3], v[46:47], v[36:37], a[0:3]
	ds_read_b64 v[34:35], v82 offset:3072
	ds_read_b64 v[36:37], v83 offset:3072
	s_load_dword s4, s[44:45], 0x0
	s_waitcnt vmcnt(9)
	v_lshlrev_b32_e32 v42, 16, v109
	s_waitcnt lgkmcnt(0)
	v_mfma_f32_16x16x16_bf16 a[4:7], v[48:49], v[34:35], a[4:7]
	v_lshl_add_u64 v[34:35], v[54:55], 0, s[66:67]
	v_sub_f32_e32 v46, s4, v105
	s_waitcnt vmcnt(7)
	v_sub_f32_e32 v47, s4, v111
	v_mfma_f32_16x16x16_bf16 a[0:3], v[48:49], v[36:37], a[0:3]
	s_waitcnt vmcnt(6)
	v_sub_f32_e32 v48, s4, v112
	s_waitcnt vmcnt(5)
	v_sub_f32_e32 v49, s4, v113
	v_accvgpr_read_b32 v41, a5
	v_accvgpr_read_b32 v40, a4
	v_exp_f32_e32 v46, v46
	v_pk_add_f32 v[40:41], v[42:43], v[40:41] neg_lo:[0,1] neg_hi:[0,1]
	v_exp_f32_e32 v47, v47
	v_exp_f32_e32 v42, v48
	;; [unrolled: 1-line block ×3, first 2 shown]
	v_accvgpr_read_b32 v37, a7
	v_accvgpr_read_b32 v36, a6
	v_lshlrev_b32_e32 v45, 16, v110
	s_waitcnt vmcnt(4)
	v_lshlrev_b32_e32 v44, 16, v44
	v_lshl_add_u64 v[34:35], v[34:35], 0, v[50:51]
	v_pk_add_f32 v[36:37], v[44:45], v[36:37] neg_lo:[0,1] neg_hi:[0,1]
	global_store_short_d16_hi v[34:35], v40, off
	global_store_short_d16_hi v[34:35], v41, off offset:256
	global_store_short_d16_hi v[34:35], v36, off offset:512
	;; [unrolled: 1-line block ×3, first 2 shown]
	v_pk_mul_f32 v[40:41], v[46:47], v[40:41]
	v_pk_mul_f32 v[36:37], v[42:43], v[36:37]
	v_accvgpr_read_b32 v45, a1
	v_perm_b32 v40, v41, v40, s43
	v_perm_b32 v41, v37, v36, s43
	s_waitcnt vmcnt(5)
	v_lshlrev_b32_e32 v37, 16, v116
	s_waitcnt vmcnt(4)
	v_lshlrev_b32_e32 v36, 16, v106
	v_accvgpr_read_b32 v44, a0
	v_accvgpr_read_b32 v39, a3
	;; [unrolled: 1-line block ×3, first 2 shown]
	v_pk_add_f32 v[36:37], v[36:37], v[44:45] neg_lo:[0,1] neg_hi:[0,1]
	v_lshlrev_b32_e32 v45, 16, v114
	v_lshlrev_b32_e32 v44, 16, v115
	v_pk_add_f32 v[38:39], v[44:45], v[38:39] neg_lo:[0,1] neg_hi:[0,1]
	global_store_short_d16_hi v[34:35], v36, off offset:32
	global_store_short_d16_hi v[34:35], v37, off offset:288
	;; [unrolled: 1-line block ×4, first 2 shown]
	v_pk_mul_f32 v[34:35], v[46:47], v[36:37]
	v_pk_mul_f32 v[36:37], v[42:43], v[38:39]
	v_mov_b32_e32 v105, 0
	v_perm_b32 v37, v37, v36, s43
	v_perm_b32 v36, v35, v34, s43
	ds_write2_b64 v69, v[40:41], v[36:37] offset1:16
	v_mov_b32_e32 v34, 0
	v_mov_b32_e32 v35, 0
	v_mov_b32_e32 v36, 0
	v_mov_b32_e32 v37, 0
	v_mov_b32_e32 v38, 0
	v_mov_b32_e32 v39, 0
	v_mov_b32_e32 v40, 0
	v_mov_b32_e32 v41, 0
	v_mov_b32_e32 v42, 0
	v_mov_b32_e32 v43, 0
	v_mov_b32_e32 v44, 0
	v_mov_b32_e32 v45, 0
	v_mov_b32_e32 v46, 0
	v_mov_b32_e32 v47, 0
	v_mov_b32_e32 v48, 0
	v_mov_b32_e32 v49, 0
	s_cbranch_vccnz .LBB429_14
; %bb.13:                               ;   in Loop: Header=BB429_6 Depth=1
	s_and_b32 s9, s9, 0xffff
	s_mov_b32 s11, s7
	buffer_load_dwordx4 v[46:49], v91, s[8:11], 0 offen
	buffer_load_dwordx4 v[38:41], v91, s[8:11], s58 offen
	;; [unrolled: 1-line block ×4, first 2 shown]
	v_mov_b32_e32 v104, v9
	v_mov_b32_e32 v105, v5
.LBB429_14:                             ;   in Loop: Header=BB429_6 Depth=1
	s_waitcnt lgkmcnt(0)
	s_barrier
	ds_read_b64 v[110:111], v94
	ds_read_b64 v[118:119], v87
	;; [unrolled: 1-line block ×5, first 2 shown]
	ds_read_b64 v[124:125], v88 offset:16384
	ds_read_b64 v[126:127], v86 offset:16384
	ds_read2_b64 v[106:109], v82 offset0:16 offset1:128
	s_waitcnt lgkmcnt(6)
	v_mfma_f32_16x16x16_bf16 a[0:3], v[110:111], v[118:119], 0
	ds_read_b64 v[128:129], v83 offset:3072
	ds_read_b64 v[130:131], v90 offset:16384
	s_add_i32 s5, s55, s65
	s_waitcnt lgkmcnt(2)
	v_mfma_f32_16x16x16_bf16 a[4:7], v[110:111], v[106:107], 0
	ds_read2st64_b64 v[110:113], v83 offset0:2 offset1:4
	s_mul_hi_i32 s9, s5, s29
	s_mul_i32 s5, s5, s29
	v_mfma_f32_16x16x16_bf16 a[0:3], v[114:115], v[108:109], a[0:3]
	s_add_u32 s8, s5, s33
	s_addc_u32 s9, s9, s53
	s_lshl_b64 s[8:9], s[8:9], 15
	s_waitcnt lgkmcnt(0)
	v_mfma_f32_16x16x16_bf16 a[4:7], v[114:115], v[110:111], a[4:7]
	ds_read2st64_b64 v[114:117], v82 offset0:4 offset1:6
	s_waitcnt lgkmcnt(0)
	v_mfma_f32_16x16x16_bf16 a[0:3], v[120:121], v[114:115], a[0:3]
	v_mfma_f32_16x16x16_bf16 a[8:11], v[120:121], v[112:113], a[4:7]
	;; [unrolled: 1-line block ×5, first 2 shown]
	ds_read2st64_b64 v[118:121], v85 offset1:8
	v_mfma_f32_16x16x16_bf16 a[12:15], v[126:127], v[106:107], 0
	ds_read_b64 v[126:127], v89 offset:16384
	v_mfma_f32_16x16x16_bf16 a[8:11], v[124:125], v[108:109], a[8:11]
	ds_read2st64_b64 v[106:109], v84 offset1:8
	s_waitcnt lgkmcnt(0)
	v_mov_b32_e32 v122, v106
	v_mfma_f32_16x16x16_bf16 a[12:15], v[124:125], v[110:111], a[12:15]
	v_lshl_add_u64 v[110:111], v[56:57], 0, s[8:9]
	v_add_co_u32_e32 v106, vcc, s13, v110
	v_mfma_f32_16x16x16_bf16 a[8:11], v[126:127], v[114:115], a[8:11]
	v_mov_b32_e32 v123, v107
	v_addc_co_u32_e32 v107, vcc, 0, v111, vcc
	v_mfma_f32_16x16x16_bf16 a[12:15], v[126:127], v[112:113], a[12:15]
	v_mov_b32_e32 v124, v118
	v_mov_b32_e32 v125, v119
	;; [unrolled: 1-line block ×3, first 2 shown]
	v_mfma_f32_16x16x16_bf16 a[8:11], v[130:131], v[116:117], a[8:11]
	v_mov_b32_e32 v119, v109
	s_and_b64 vcc, exec, s[0:1]
	global_store_dwordx4 v[110:111], v[122:125], off
	v_mfma_f32_16x16x16_bf16 a[12:15], v[130:131], v[128:129], a[12:15]
	global_store_dwordx4 v[106:107], v[118:121], off
	s_cbranch_vccnz .LBB429_16
; %bb.15:                               ;   in Loop: Header=BB429_6 Depth=1
	v_lshrrev_b32_e32 v106, 3, v104
	v_and_b32_e32 v106, 6, v106
	v_xor_b32_e32 v105, v106, v105
	v_lshlrev_b32_e32 v105, 2, v105
	v_and_b32_e32 v104, 8, v104
	v_xor_b32_e32 v107, 0x440, v105
	v_cmp_eq_u32_e32 vcc, 0, v104
	s_barrier
	s_nop 0
	v_cndmask_b32_e32 v104, v107, v105, vcc
	v_lshl_or_b32 v104, v106, 10, v104
	s_waitcnt vmcnt(3)
	v_perm_b32 v105, v46, v42, s60
	s_waitcnt vmcnt(2)
	v_perm_b32 v106, v38, v34, s60
	ds_write2st64_b32 v104, v105, v106 offset0:32 offset1:64
	v_xor_b32_e32 v105, 8, v104
	v_perm_b32 v42, v46, v42, s61
	v_perm_b32 v34, v38, v34, s61
	v_add_u32_e32 v38, 0x80, v105
	ds_write2st64_b32 v38, v42, v34 offset0:32 offset1:64
	v_xor_b32_e32 v34, 16, v104
	v_perm_b32 v38, v47, v43, s60
	v_perm_b32 v42, v39, v35, s60
	ds_write2st64_b32 v34, v38, v42 offset0:33 offset1:65
	v_xor_b32_e32 v34, 24, v104
	v_perm_b32 v38, v47, v43, s61
	v_perm_b32 v35, v39, v35, s61
	v_add_u32_e32 v34, 0x80, v34
	ds_write2st64_b32 v34, v38, v35 offset0:33 offset1:65
	v_xor_b32_e32 v34, 32, v104
	v_perm_b32 v35, v48, v44, s60
	;; [unrolled: 9-line block ×3, first 2 shown]
	v_perm_b32 v36, v41, v37, s60
	ds_write2st64_b32 v34, v35, v36 offset0:35 offset1:67
	v_xor_b32_e32 v34, 56, v104
	v_perm_b32 v35, v49, v45, s61
	v_perm_b32 v36, v41, v37, s61
	v_add_u32_e32 v34, 0x80, v34
	ds_write2st64_b32 v34, v35, v36 offset0:35 offset1:67
	ds_write_b64 v103, v[30:31] offset:24576
	v_xor_b32_e32 v30, 8, v103
	ds_write_b64 v30, v[32:33] offset:24576
	ds_write_b64 v103, v[26:27] offset:32768
	;; [unrolled: 1-line block ×4, first 2 shown]
	v_xor_b32_e32 v22, 8, v102
	ds_write_b64 v22, v[24:25] offset:24576
	ds_write_b64 v102, v[18:19] offset:32768
	;; [unrolled: 1-line block ×3, first 2 shown]
.LBB429_16:                             ;   in Loop: Header=BB429_6 Depth=1
	s_waitcnt vmcnt(2)
	v_exp_f32_e32 v34, s4
	v_accvgpr_read_b32 v33, a7
	v_accvgpr_read_b32 v25, a3
	;; [unrolled: 1-line block ×16, first 2 shown]
	s_add_i32 s59, s59, 64
	v_fma_f32 v2, v2, v34, v30
	v_fma_f32 v3, v3, v34, v31
	v_fma_f32 v4, v4, v34, v32
	v_fmac_f32_e32 v33, v99, v34
	v_fma_f32 v10, v10, v34, v22
	v_fma_f32 v11, v11, v34, v23
	v_fma_f32 v12, v12, v34, v24
	v_fmac_f32_e32 v25, v101, v34
	;; [unrolled: 4-line block ×3, first 2 shown]
	v_fma_f32 v14, v14, v34, v18
	v_fma_f32 v15, v15, v34, v19
	;; [unrolled: 1-line block ×3, first 2 shown]
	s_cmp_eq_u32 s52, s64
	v_fmac_f32_e32 v21, v100, v34
	s_cbranch_scc1 .LBB429_18
; %bb.17:                               ;   in Loop: Header=BB429_6 Depth=1
	s_mov_b32 s65, s64
	v_mov_b32_e32 v99, v33
	v_mov_b32_e32 v98, v29
	;; [unrolled: 1-line block ×4, first 2 shown]
	s_branch .LBB429_6
.LBB429_18:
	v_mov_b32_e32 v5, v33
	v_mov_b32_e32 v9, v29
	;; [unrolled: 1-line block ×4, first 2 shown]
.LBB429_19:
	s_lshl_b32 s53, s52, 6
	s_sub_i32 s54, s28, s53
	s_cmp_gt_i32 s54, 0
	v_or_b32_e32 v34, s42, v62
	s_cbranch_scc1 .LBB429_21
; %bb.20:
	s_ashr_i32 s0, s33, 31
	s_add_u32 s8, s49, s33
	s_addc_u32 s9, s57, s0
	v_or_b32_e32 v18, s42, v62
	s_cbranch_execz .LBB429_22
	s_branch .LBB429_86
.LBB429_21:
                                        ; implicit-def: $sgpr8_sgpr9
                                        ; implicit-def: $vgpr18
.LBB429_22:
	s_ashr_i32 s13, s51, 31
	s_ashr_i32 s2, s53, 31
	s_cmpk_lg_i32 s31, 0x80
	s_cselect_b64 s[44:45], -1, 0
	s_and_b64 vcc, exec, s[44:45]
	s_cbranch_vccz .LBB429_24
; %bb.23:
	s_mul_i32 s1, s51, s28
	s_mul_hi_i32 s0, s51, s28
	s_add_u32 s1, s1, s53
	s_addc_u32 s0, s0, s2
	s_mul_i32 s3, s1, s46
	s_mul_hi_u32 s4, s1, s30
	s_add_i32 s3, s4, s3
	s_mul_i32 s0, s0, s30
	s_add_i32 s3, s3, s0
	s_mul_i32 s1, s1, s30
	s_ashr_i32 s0, s56, 31
	s_add_u32 s46, s1, s56
	s_addc_u32 s47, s3, s0
	s_cbranch_execz .LBB429_25
	s_branch .LBB429_26
.LBB429_24:
                                        ; implicit-def: $sgpr46_sgpr47
.LBB429_25:
	s_mul_hi_i32 s0, s51, s30
	s_mul_i32 s51, s51, s30
	s_ashr_i32 s1, s56, 31
	s_add_u32 s3, s51, s56
	s_addc_u32 s0, s0, s1
	s_mul_i32 s1, s3, s50
	s_mul_hi_u32 s4, s3, s28
	s_add_i32 s1, s4, s1
	s_mul_i32 s0, s0, s28
	s_add_i32 s1, s1, s0
	s_mul_i32 s3, s3, s28
	s_add_u32 s46, s3, s53
	s_addc_u32 s47, s1, s2
.LBB429_26:
	s_add_i32 s3, s55, s52
	s_ashr_i32 s30, s33, 31
	s_add_u32 s8, s49, s33
	s_addc_u32 s9, s57, s30
	s_mul_i32 s0, s8, s50
	s_mul_hi_u32 s1, s8, s28
	s_add_i32 s0, s1, s0
	s_mul_i32 s1, s9, s28
	s_add_i32 s1, s0, s1
	s_mul_i32 s0, s8, s28
	s_add_u32 s0, s0, s53
	v_lshlrev_b32_e32 v22, 5, v1
	v_lshlrev_b32_e32 v40, 2, v62
	s_addc_u32 s1, s1, s2
	s_mov_b32 s2, 0x7060302
	v_or_b32_e32 v25, v22, v40
	v_xor_b32_e32 v23, v1, v40
	v_perm_b32 v19, v5, v4, s2
	v_perm_b32 v18, v3, v2, s2
	;; [unrolled: 1-line block ×4, first 2 shown]
	v_lshlrev_b32_e32 v25, 1, v25
	s_lshl_b64 s[10:11], s[0:1], 8
	v_xor_b32_e32 v24, v65, v40
	ds_write2st64_b64 v25, v[18:19], v[20:21] offset0:80 offset1:88
	v_lshlrev_b32_e32 v23, 1, v23
	v_lshlrev_b32_e32 v25, 8, v62
	s_add_u32 s0, s18, s10
	v_or_b32_e32 v26, v23, v25
	v_lshlrev_b32_e32 v24, 1, v24
	s_addc_u32 s1, s19, s11
	ds_write_b64 v26, v[18:19]
	v_or_b32_e32 v18, v24, v25
	v_or_b32_e32 v25, 16, v62
	s_mul_hi_i32 s4, s3, s29
	s_mul_i32 s3, s3, s29
	ds_write_b64 v18, v[20:21]
	v_perm_b32 v19, v13, v12, s2
	v_perm_b32 v18, v11, v10, s2
	;; [unrolled: 1-line block ×4, first 2 shown]
	v_lshlrev_b32_e32 v37, 2, v25
	s_add_u32 s2, s3, s33
	v_or_b32_e32 v22, v22, v37
	s_addc_u32 s3, s4, s30
	v_lshlrev_b32_e32 v22, 1, v22
	s_ashr_i32 s43, s42, 31
	s_lshl_b64 s[2:3], s[2:3], 15
	ds_write2st64_b64 v22, v[18:19], v[20:21] offset0:80 offset1:88
	v_lshlrev_b32_e32 v22, 8, v25
	s_waitcnt lgkmcnt(0)
	s_add_u32 s4, s24, s2
	v_or_b32_e32 v23, v23, v22
	s_addc_u32 s5, s25, s3
	s_lshl_b64 s[2:3], s[42:43], 8
	ds_write_b64 v23, v[18:19]
	v_or_b32_e32 v18, v24, v22
	s_add_u32 s2, s4, s2
	ds_write_b64 v18, v[20:21]
	v_lshrrev_b32_e32 v18, 4, v0
	s_addc_u32 s3, s5, s3
	v_lshlrev_b32_e32 v19, 1, v62
	v_lshlrev_b32_e32 v26, 4, v62
	v_mov_b32_e32 v27, 0
	v_or_b32_e32 v20, 1, v19
	v_xor_b32_e32 v19, v18, v19
	v_lshl_add_u64 v[28:29], s[2:3], 0, v[26:27]
	v_lshlrev_b32_e32 v26, 8, v18
	v_xor_b32_e32 v22, v20, v18
	v_lshl_or_b32 v18, v19, 3, v26
	s_waitcnt lgkmcnt(0)
	s_barrier
	ds_read2st64_b64 v[18:21], v18 offset1:8
	v_lshl_or_b32 v22, v22, 3, v26
	ds_read2st64_b64 v[22:25], v22 offset1:8
	v_lshl_add_u64 v[30:31], v[28:29], 0, v[26:27]
	s_movk_i32 s2, 0x1000
	s_waitcnt lgkmcnt(1)
	v_mov_b32_e32 v26, v18
	v_add_co_u32_e32 v18, vcc, s2, v30
	s_cmp_lg_u32 s54, 64
	v_mov_b32_e32 v27, v19
	v_addc_co_u32_e32 v19, vcc, 0, v31, vcc
	s_cselect_b64 s[14:15], -1, 0
	v_lshl_or_b32 v35, v58, 3, v64
	s_waitcnt lgkmcnt(0)
	v_mov_b32_e32 v28, v22
	v_mov_b32_e32 v29, v23
	;; [unrolled: 1-line block ×4, first 2 shown]
	s_mov_b32 s4, 0
	v_or_b32_e32 v38, 32, v35
	v_and_b32_e32 v36, 56, v63
	s_and_b64 vcc, exec, s[14:15]
	global_store_dwordx4 v[30:31], v[26:29], off
	global_store_dwordx4 v[18:19], v[22:25], off
	s_cbranch_vccz .LBB429_32
; %bb.27:
	s_mov_b32 s6, s4
	s_mov_b32 s7, s4
	;; [unrolled: 1-line block ×3, first 2 shown]
	v_mov_b64_e32 v[24:25], s[6:7]
	v_mov_b64_e32 v[22:23], s[4:5]
	;; [unrolled: 1-line block ×3, first 2 shown]
	v_cmp_gt_i32_e32 vcc, s54, v35
	v_mov_b64_e32 v[20:21], v[24:25]
	s_and_saveexec_b64 s[2:3], vcc
	s_cbranch_execz .LBB429_29
; %bb.28:
	v_lshlrev_b32_e32 v18, 8, v35
	v_mov_b32_e32 v19, 0
	v_lshl_add_u64 v[20:21], s[0:1], 0, v[18:19]
	v_lshlrev_b32_e32 v18, 1, v36
	v_lshl_add_u64 v[26:27], v[20:21], 0, v[18:19]
	global_load_dwordx4 v[22:25], v[26:27], off
	global_load_dwordx4 v[18:21], v[26:27], off offset:128
.LBB429_29:
	s_or_b64 exec, exec, s[2:3]
	s_mov_b32 s6, s4
	s_mov_b32 s7, s4
	;; [unrolled: 1-line block ×3, first 2 shown]
	v_mov_b64_e32 v[32:33], s[6:7]
	v_mov_b64_e32 v[30:31], s[4:5]
	;; [unrolled: 1-line block ×3, first 2 shown]
	v_cmp_gt_i32_e32 vcc, s54, v38
	v_lshlrev_b32_e32 v39, 7, v38
	v_mov_b64_e32 v[28:29], v[32:33]
	s_and_saveexec_b64 s[2:3], vcc
	s_cbranch_execz .LBB429_31
; %bb.30:
	v_lshlrev_b32_e32 v26, 1, v39
	v_mov_b32_e32 v27, 0
	v_lshl_add_u64 v[28:29], s[0:1], 0, v[26:27]
	v_lshlrev_b32_e32 v26, 1, v36
	v_lshl_add_u64 v[42:43], v[28:29], 0, v[26:27]
	global_load_dwordx4 v[30:33], v[42:43], off
	global_load_dwordx4 v[26:29], v[42:43], off offset:128
.LBB429_31:
	s_or_b64 exec, exec, s[2:3]
	v_lshrrev_b32_e32 v41, 3, v36
	v_lshlrev_b32_e32 v42, 3, v35
	v_or_b32_e32 v41, v42, v41
	v_lshlrev_b32_e32 v41, 4, v41
	v_and_b32_e32 v42, 0x78, v42
	v_xor_b32_e32 v41, v41, v42
	s_branch .LBB429_34
.LBB429_32:
                                        ; implicit-def: $vgpr41
                                        ; implicit-def: $vgpr39
                                        ; implicit-def: $vgpr22_vgpr23_vgpr24_vgpr25
                                        ; implicit-def: $vgpr18_vgpr19_vgpr20_vgpr21
                                        ; implicit-def: $vgpr30_vgpr31_vgpr32_vgpr33
                                        ; implicit-def: $vgpr26_vgpr27_vgpr28_vgpr29
	s_cbranch_execz .LBB429_34
; %bb.33:
	s_waitcnt vmcnt(0)
	v_lshlrev_b32_e32 v18, 1, v36
	v_lshl_or_b32 v39, v35, 8, v18
	s_and_b32 s1, s1, 0xffff
	s_mov_b32 s3, 0x20000
	s_movk_i32 s2, 0x4000
	v_lshl_or_b32 v41, v38, 8, v18
	s_movk_i32 s4, 0x80
	buffer_load_dwordx4 v[22:25], v39, s[0:3], 0 offen
	buffer_load_dwordx4 v[18:21], v39, s[0:3], s4 offen
	;; [unrolled: 1-line block ×4, first 2 shown]
	v_lshrrev_b32_e32 v39, 3, v36
	v_lshlrev_b32_e32 v41, 3, v35
	v_or_b32_e32 v39, v41, v39
	v_lshlrev_b32_e32 v39, 4, v39
	v_and_b32_e32 v41, 0x78, v41
	v_xor_b32_e32 v41, v39, v41
	v_lshlrev_b32_e32 v39, 7, v38
.LBB429_34:
	s_lshl_b64 s[0:1], s[46:47], 8
	s_add_u32 s4, s16, s0
	s_movk_i32 s0, 0x1000
	v_and_or_b32 v38, v39, s0, v41
	s_waitcnt vmcnt(1)
	ds_write_b64 v41, v[22:23] offset:24576
	v_xor_b32_e32 v22, 8, v41
	ds_write_b64 v22, v[24:25] offset:24576
	s_waitcnt vmcnt(0)
	ds_write_b64 v41, v[18:19] offset:32768
	ds_write_b64 v22, v[20:21] offset:32768
	;; [unrolled: 1-line block ×3, first 2 shown]
	v_xor_b32_e32 v18, 8, v38
	ds_write_b64 v18, v[32:33] offset:24576
	ds_write_b64 v38, v[26:27] offset:32768
	;; [unrolled: 1-line block ×3, first 2 shown]
	v_or_b32_e32 v18, v59, v62
	v_lshlrev_b32_e32 v18, 3, v18
	v_lshrrev_b32_e32 v19, 5, v60
	s_movk_i32 s7, 0xf8
	v_and_or_b32 v19, v18, s7, v19
	v_lshlrev_b32_e32 v23, 4, v19
	v_lshlrev_b32_e32 v41, 11, v58
	v_and_b32_e32 v24, 0x78, v18
	v_or_b32_e32 v26, 32, v23
	v_and_b32_e32 v22, 0x1000, v41
	v_lshrrev_b32_e32 v19, 1, v60
	v_xor_b32_e32 v26, v26, v24
	v_xor_b32_e32 v18, v23, v24
	v_and_b32_e32 v25, 8, v19
	v_or_b32_e32 v26, v26, v22
	v_or_b32_e32 v18, v18, v22
	v_xor_b32_e32 v45, v26, v25
	v_or_b32_e32 v26, 64, v23
	v_xor_b32_e32 v44, v18, v25
	v_xor_b32_e32 v26, v26, v24
	s_waitcnt lgkmcnt(0)
	s_barrier
	v_or_b32_e32 v28, v26, v22
	ds_read_b64 v[26:27], v44 offset:24576
	v_lshl_or_b32 v38, v61, 7, v40
	v_lshlrev_b32_e32 v42, 1, v38
	v_add_u32_e32 v18, 0xa000, v42
	ds_read2_b64 v[18:21], v18 offset1:16
	v_or_b32_e32 v23, 0x60, v23
	v_xor_b32_e32 v23, v23, v24
	s_waitcnt lgkmcnt(0)
	v_mfma_f32_16x16x16_bf16 a[0:3], v[26:27], v[18:19], 0
	v_or_b32_e32 v18, 64, v38
	v_or_b32_e32 v22, v23, v22
	v_lshlrev_b32_e32 v43, 1, v18
	v_xor_b32_e32 v46, v28, v25
	v_xor_b32_e32 v47, v22, v25
	ds_read_b64 v[28:29], v45 offset:24576
	ds_read_b64 v[30:31], v46 offset:24576
	;; [unrolled: 1-line block ×3, first 2 shown]
	v_mfma_f32_16x16x16_bf16 a[4:7], v[26:27], v[20:21], 0
	ds_read2st64_b64 v[18:21], v43 offset0:82 offset1:84
	ds_read2st64_b64 v[22:25], v42 offset0:82 offset1:84
	s_addc_u32 s5, s17, s1
	s_add_i32 s2, s28, -1
	s_add_i32 s0, s48, s37
	s_mul_i32 s13, s13, s36
	s_add_i32 s13, s0, s13
	s_mul_i32 s0, s33, s39
	s_mul_hi_u32 s1, s33, s38
	s_ashr_i32 s3, s2, 31
	s_mul_i32 s6, s2, s41
	s_mul_hi_u32 s7, s2, s40
	s_add_i32 s0, s1, s0
	s_mul_i32 s1, s30, s38
	s_add_i32 s6, s7, s6
	s_mul_i32 s3, s3, s40
	s_waitcnt lgkmcnt(1)
	v_mfma_f32_16x16x16_bf16 a[4:7], v[28:29], v[18:19], a[4:7]
	s_add_i32 s1, s0, s1
	s_add_i32 s3, s6, s3
	s_lshl_b64 s[6:7], s[12:13], 2
	s_waitcnt lgkmcnt(0)
	v_mfma_f32_16x16x16_bf16 a[0:3], v[28:29], v[22:23], a[0:3]
	s_mul_i32 s0, s33, s38
	s_add_u32 s6, s22, s6
	s_addc_u32 s7, s23, s7
	s_lshl_b64 s[0:1], s[0:1], 2
	s_mul_i32 s2, s2, s40
	s_add_u32 s12, s6, s0
	ds_read_b64 v[18:19], v42 offset:44032
	v_mfma_f32_16x16x16_bf16 a[4:7], v[30:31], v[20:21], a[4:7]
	ds_read_b64 v[20:21], v43 offset:44032
	s_addc_u32 s13, s7, s1
	s_lshl_b64 s[0:1], s[2:3], 2
	v_mfma_f32_16x16x16_bf16 a[0:3], v[30:31], v[24:25], a[0:3]
	s_add_u32 s0, s12, s0
	s_addc_u32 s1, s13, s1
	s_load_dword s16, s[0:1], 0x0
	s_waitcnt lgkmcnt(0)
	v_mfma_f32_16x16x16_bf16 a[0:3], v[32:33], v[18:19], a[0:3]
	s_and_b64 vcc, exec, s[44:45]
	v_mfma_f32_16x16x16_bf16 a[4:7], v[32:33], v[20:21], a[4:7]
	s_cbranch_vccz .LBB429_45
; %bb.35:
	v_lshlrev_b32_e32 v38, 1, v35
	s_and_b64 vcc, exec, s[14:15]
	s_cbranch_vccz .LBB429_46
; %bb.36:
	v_cmp_gt_i32_e32 vcc, s54, v38
	v_mov_b32_e32 v22, 0
	v_mov_b32_e32 v18, 0
	;; [unrolled: 1-line block ×5, first 2 shown]
	s_and_saveexec_b64 s[0:1], vcc
	s_cbranch_execz .LBB429_38
; %bb.37:
	v_mad_i64_i32 v[18:19], s[2:3], s31, v38, 0
	v_lshl_add_u64 v[18:19], v[18:19], 1, s[4:5]
	v_lshlrev_b32_e32 v20, 1, v36
	v_mov_b32_e32 v21, 0
	v_lshl_add_u64 v[18:19], v[18:19], 0, v[20:21]
	global_load_dwordx4 v[18:21], v[18:19], off
.LBB429_38:
	s_or_b64 exec, exec, s[0:1]
	v_or_b32_e32 v39, 1, v38
	v_cmp_gt_i32_e64 s[0:1], s54, v39
	v_mov_b32_e32 v23, 0
	v_mov_b32_e32 v24, 0
	;; [unrolled: 1-line block ×3, first 2 shown]
	s_and_saveexec_b64 s[2:3], s[0:1]
	s_cbranch_execz .LBB429_40
; %bb.39:
	v_mad_i64_i32 v[22:23], s[6:7], s31, v39, 0
	v_lshl_add_u64 v[22:23], v[22:23], 1, s[4:5]
	v_lshlrev_b32_e32 v24, 1, v36
	v_mov_b32_e32 v25, 0
	v_lshl_add_u64 v[22:23], v[22:23], 0, v[24:25]
	global_load_dwordx4 v[22:25], v[22:23], off
.LBB429_40:
	s_or_b64 exec, exec, s[2:3]
	v_mov_b32_e32 v33, 0
	v_mov_b32_e32 v26, 0
	;; [unrolled: 1-line block ×5, first 2 shown]
	s_and_saveexec_b64 s[2:3], vcc
	s_cbranch_execz .LBB429_42
; %bb.41:
	v_mad_i64_i32 v[26:27], s[6:7], s31, v38, 0
	v_lshl_add_u64 v[26:27], v[26:27], 1, s[4:5]
	v_lshlrev_b32_e32 v28, 1, v36
	v_mov_b32_e32 v29, 0
	v_lshl_add_u64 v[26:27], v[26:27], 0, v[28:29]
	global_load_dwordx4 v[26:29], v[26:27], off offset:128
.LBB429_42:
	s_or_b64 exec, exec, s[2:3]
	v_mov_b32_e32 v32, 0
	v_mov_b32_e32 v31, 0
	;; [unrolled: 1-line block ×3, first 2 shown]
	s_and_saveexec_b64 s[2:3], s[0:1]
	s_cbranch_execz .LBB429_44
; %bb.43:
	v_mad_i64_i32 v[30:31], s[0:1], s31, v39, 0
	v_lshl_add_u64 v[30:31], v[30:31], 1, s[4:5]
	v_lshlrev_b32_e32 v32, 1, v36
	v_mov_b32_e32 v33, 0
	v_lshl_add_u64 v[30:31], v[30:31], 0, v[32:33]
	global_load_dwordx4 v[30:33], v[30:31], off offset:128
.LBB429_44:
	s_or_b64 exec, exec, s[2:3]
	s_branch .LBB429_48
.LBB429_45:
                                        ; implicit-def: $vgpr21
                                        ; implicit-def: $vgpr25
                                        ; implicit-def: $vgpr29
                                        ; implicit-def: $vgpr33
	v_lshrrev_b32_e32 v48, 2, v60
	s_branch .LBB429_49
.LBB429_46:
                                        ; implicit-def: $vgpr21
                                        ; implicit-def: $vgpr25
                                        ; implicit-def: $vgpr29
                                        ; implicit-def: $vgpr33
	s_cbranch_execz .LBB429_48
; %bb.47:
	s_waitcnt vmcnt(0)
	v_mad_u64_u32 v[18:19], s[0:1], v38, s31, v[36:37]
	v_lshlrev_b32_e32 v38, 1, v18
	s_lshl_b32 s2, s31, 7
	s_and_b32 s1, s5, 0xffff
	s_mov_b32 s3, 0x20000
	s_mov_b32 s0, s4
	v_add_lshl_u32 v39, v18, s31, 1
	s_movk_i32 s6, 0x80
	buffer_load_dwordx4 v[18:21], v38, s[0:3], 0 offen
	buffer_load_dwordx4 v[26:29], v38, s[0:3], s6 offen
	;; [unrolled: 1-line block ×4, first 2 shown]
.LBB429_48:
	v_lshrrev_b32_e32 v48, 2, v60
	s_cbranch_execnz .LBB429_61
.LBB429_49:
	s_and_b64 vcc, exec, s[14:15]
	s_cbranch_vccz .LBB429_59
; %bb.50:
	s_waitcnt vmcnt(0)
	v_lshlrev_b32_e32 v23, 1, v35
	v_cmp_gt_i32_e32 vcc, s54, v23
	v_mov_b32_e32 v22, 0
	v_lshlrev_b32_e32 v30, 9, v35
	v_mov_b32_e32 v18, 0
	v_mov_b32_e32 v19, 0
	;; [unrolled: 1-line block ×4, first 2 shown]
	s_and_saveexec_b64 s[0:1], vcc
	s_cbranch_execz .LBB429_52
; %bb.51:
	v_mov_b32_e32 v31, 0
	v_lshl_add_u64 v[18:19], s[4:5], 0, v[30:31]
	v_lshlrev_b32_e32 v20, 1, v36
	v_mov_b32_e32 v21, v31
	v_lshl_add_u64 v[18:19], v[18:19], 0, v[20:21]
	global_load_dwordx4 v[18:21], v[18:19], off
.LBB429_52:
	s_or_b64 exec, exec, s[0:1]
	v_or_b32_e32 v23, 1, v23
	v_cmp_gt_i32_e64 s[0:1], s54, v23
	v_lshlrev_b32_e32 v38, 8, v23
	v_mov_b32_e32 v23, 0
	v_mov_b32_e32 v24, 0
	;; [unrolled: 1-line block ×3, first 2 shown]
	s_and_saveexec_b64 s[2:3], s[0:1]
	s_cbranch_execz .LBB429_54
; %bb.53:
	v_mov_b32_e32 v39, 0
	v_lshl_add_u64 v[22:23], s[4:5], 0, v[38:39]
	v_lshlrev_b32_e32 v24, 1, v36
	v_mov_b32_e32 v25, v39
	v_lshl_add_u64 v[22:23], v[22:23], 0, v[24:25]
	global_load_dwordx4 v[22:25], v[22:23], off
.LBB429_54:
	s_or_b64 exec, exec, s[2:3]
	v_mov_b32_e32 v33, 0
	v_mov_b32_e32 v26, 0
	;; [unrolled: 1-line block ×5, first 2 shown]
	s_and_saveexec_b64 s[2:3], vcc
	s_cbranch_execz .LBB429_56
; %bb.55:
	v_mov_b32_e32 v31, 0
	v_lshl_add_u64 v[26:27], s[4:5], 0, v[30:31]
	v_lshlrev_b32_e32 v30, 1, v36
	v_lshl_add_u64 v[26:27], v[26:27], 0, v[30:31]
	global_load_dwordx4 v[26:29], v[26:27], off offset:128
.LBB429_56:
	s_or_b64 exec, exec, s[2:3]
	v_mov_b32_e32 v32, 0
	v_mov_b32_e32 v31, 0
	;; [unrolled: 1-line block ×3, first 2 shown]
	s_and_saveexec_b64 s[2:3], s[0:1]
	s_cbranch_execz .LBB429_58
; %bb.57:
	v_mov_b32_e32 v39, 0
	v_lshl_add_u64 v[30:31], s[4:5], 0, v[38:39]
	v_lshlrev_b32_e32 v38, 1, v36
	v_lshl_add_u64 v[30:31], v[30:31], 0, v[38:39]
	global_load_dwordx4 v[30:33], v[30:31], off offset:128
.LBB429_58:
	s_or_b64 exec, exec, s[2:3]
	s_branch .LBB429_61
.LBB429_59:
                                        ; implicit-def: $vgpr21
                                        ; implicit-def: $vgpr25
                                        ; implicit-def: $vgpr29
                                        ; implicit-def: $vgpr33
	s_cbranch_execz .LBB429_61
; %bb.60:
	s_waitcnt vmcnt(0)
	v_lshlrev_b32_e32 v18, 1, v36
	v_lshl_or_b32 v36, v35, 9, v18
	s_and_b32 s5, s5, 0xffff
	s_mov_b32 s7, 0x20000
	s_movk_i32 s6, 0x4000
	s_movk_i32 s0, 0x80
	buffer_load_dwordx4 v[18:21], v36, s[4:7], 0 offen
	buffer_load_dwordx4 v[22:25], v36, s[4:7], 0 offen offset:256
	buffer_load_dwordx4 v[26:29], v36, s[4:7], s0 offen
	buffer_load_dwordx4 v[30:33], v36, s[4:7], s0 offen offset:256
.LBB429_61:
	ds_read_b64 v[38:39], v44 offset:32768
	v_add_u32_e32 v36, 0xb000, v42
	ds_read2_b64 v[50:53], v36 offset1:16
	ds_read_b64 v[54:55], v45 offset:32768
	ds_read_b64 v[56:57], v46 offset:32768
	;; [unrolled: 1-line block ×3, first 2 shown]
	v_and_b32_e32 v36, 6, v0
	v_xor_b32_e32 v35, v35, v36
	v_lshlrev_b32_e32 v35, 2, v35
	v_and_b32_e32 v49, 1, v0
	v_cmp_eq_u32_e32 vcc, 0, v49
	s_mov_b32 s0, 0x1000504
	s_waitcnt lgkmcnt(3)
	v_mfma_f32_16x16x16_bf16 a[0:3], v[38:39], v[50:51], a[0:3]
	s_mov_b32 s1, 0x3020706
	v_mfma_f32_16x16x16_bf16 a[4:7], v[38:39], v[52:53], a[4:7]
	ds_read2st64_b64 v[44:47], v42 offset0:90 offset1:92
	ds_read2st64_b64 v[50:53], v43 offset0:90 offset1:92
	s_waitcnt lgkmcnt(1)
	v_mfma_f32_16x16x16_bf16 a[0:3], v[54:55], v[44:45], a[0:3]
	ds_read_b64 v[38:39], v42 offset:48128
	ds_read_b64 v[44:45], v43 offset:48128
	s_waitcnt lgkmcnt(2)
	v_mfma_f32_16x16x16_bf16 a[4:7], v[54:55], v[50:51], a[4:7]
	v_mfma_f32_16x16x16_bf16 a[0:3], v[56:57], v[46:47], a[0:3]
	v_xor_b32_e32 v46, 0x440, v35
	v_cndmask_b32_e32 v35, v46, v35, vcc
	v_lshl_or_b32 v35, v36, 10, v35
	v_mfma_f32_16x16x16_bf16 a[8:11], v[56:57], v[52:53], a[4:7]
	s_waitcnt vmcnt(0)
	v_perm_b32 v36, v18, v22, s0
	v_perm_b32 v18, v18, v22, s1
	;; [unrolled: 1-line block ×3, first 2 shown]
	s_waitcnt lgkmcnt(1)
	v_mfma_f32_16x16x16_bf16 a[4:7], v[60:61], v[38:39], a[0:3]
	v_perm_b32 v38, v26, v30, s0
	ds_write2st64_b32 v35, v36, v38 offset0:32 offset1:64
	v_xor_b32_e32 v36, 8, v35
	v_add_u32_e32 v26, 0x80, v36
	ds_write2st64_b32 v26, v18, v22 offset0:32 offset1:64
	v_xor_b32_e32 v18, 16, v35
	v_perm_b32 v22, v19, v23, s0
	v_perm_b32 v26, v27, v31, s0
	ds_write2st64_b32 v18, v22, v26 offset0:33 offset1:65
	v_xor_b32_e32 v18, 24, v35
	v_perm_b32 v19, v19, v23, s1
	v_perm_b32 v22, v27, v31, s1
	v_add_u32_e32 v18, 0x80, v18
	ds_write2st64_b32 v18, v19, v22 offset0:33 offset1:65
	v_xor_b32_e32 v18, 32, v35
	v_perm_b32 v19, v20, v24, s0
	v_perm_b32 v22, v28, v32, s0
	ds_write2st64_b32 v18, v19, v22 offset0:34 offset1:66
	v_xor_b32_e32 v18, 40, v35
	s_waitcnt lgkmcnt(5)
	v_mfma_f32_16x16x16_bf16 a[0:3], v[60:61], v[44:45], a[8:11]
	v_perm_b32 v19, v20, v24, s1
	v_perm_b32 v20, v28, v32, s1
	v_add_u32_e32 v18, 0x80, v18
	ds_write2st64_b32 v18, v19, v20 offset0:34 offset1:66
	v_xor_b32_e32 v18, 48, v35
	v_perm_b32 v19, v21, v25, s0
	v_perm_b32 v20, v29, v33, s0
	ds_write2st64_b32 v18, v19, v20 offset0:35 offset1:67
	v_xor_b32_e32 v18, 56, v35
	v_and_or_b32 v45, v48, 12, v59
	v_perm_b32 v19, v21, v25, s1
	v_perm_b32 v20, v29, v33, s1
	v_add_u32_e32 v18, 0x80, v18
	v_cmp_gt_i32_e64 s[0:1], s54, v45
	v_mov_b32_e32 v38, 0
	v_mov_b32_e32 v39, 0
	ds_write2st64_b32 v18, v19, v20 offset0:35 offset1:67
	s_and_saveexec_b64 s[2:3], s[0:1]
	s_cbranch_execz .LBB429_63
; %bb.62:
	v_add_u32_e32 v18, s53, v45
	v_ashrrev_i32_e32 v19, 31, v18
	v_mul_lo_u32 v20, v19, s40
	v_mul_lo_u32 v21, v18, s41
	v_mad_u64_u32 v[18:19], s[4:5], v18, s40, 0
	v_add3_u32 v19, v19, v21, v20
	v_lshl_add_u64 v[18:19], v[18:19], 2, s[12:13]
	global_load_dword v18, v[18:19], off
	s_waitcnt vmcnt(0)
	v_sub_f32_e32 v18, s16, v18
	v_exp_f32_e32 v39, v18
.LBB429_63:
	s_or_b64 exec, exec, s[2:3]
	v_or_b32_e32 v30, 1, v45
	v_cmp_gt_i32_e64 s[4:5], s54, v30
	s_and_saveexec_b64 s[2:3], s[4:5]
	s_cbranch_execz .LBB429_65
; %bb.64:
	v_add_u32_e32 v18, s53, v30
	v_ashrrev_i32_e32 v19, 31, v18
	v_mul_lo_u32 v20, v19, s40
	v_mul_lo_u32 v21, v18, s41
	v_mad_u64_u32 v[18:19], s[6:7], v18, s40, 0
	v_add3_u32 v19, v19, v21, v20
	v_lshl_add_u64 v[18:19], v[18:19], 2, s[12:13]
	global_load_dword v18, v[18:19], off
	s_waitcnt vmcnt(0)
	v_sub_f32_e32 v18, s16, v18
	v_exp_f32_e32 v38, v18
.LBB429_65:
	s_or_b64 exec, exec, s[2:3]
	v_or_b32_e32 v28, 2, v45
	v_cmp_gt_i32_e64 s[2:3], s54, v28
	v_mov_b32_e32 v36, 0
	v_mov_b32_e32 v44, 0
	s_and_saveexec_b64 s[6:7], s[2:3]
	s_cbranch_execz .LBB429_67
; %bb.66:
	v_add_u32_e32 v18, s53, v28
	v_ashrrev_i32_e32 v19, 31, v18
	v_mul_lo_u32 v20, v19, s40
	v_mul_lo_u32 v21, v18, s41
	v_mad_u64_u32 v[18:19], s[14:15], v18, s40, 0
	v_add3_u32 v19, v19, v21, v20
	v_lshl_add_u64 v[18:19], v[18:19], 2, s[12:13]
	global_load_dword v18, v[18:19], off
	s_waitcnt vmcnt(0)
	v_sub_f32_e32 v18, s16, v18
	v_exp_f32_e32 v44, v18
.LBB429_67:
	s_or_b64 exec, exec, s[6:7]
	v_or_b32_e32 v29, 3, v45
	v_cmp_gt_i32_e32 vcc, s54, v29
	s_and_saveexec_b64 s[6:7], vcc
	s_cbranch_execz .LBB429_69
; %bb.68:
	v_add_u32_e32 v18, s53, v29
	v_ashrrev_i32_e32 v19, 31, v18
	v_mul_lo_u32 v20, v19, s40
	v_mul_lo_u32 v21, v18, s41
	v_mad_u64_u32 v[18:19], s[14:15], v18, s40, 0
	v_add3_u32 v19, v19, v21, v20
	v_lshl_add_u64 v[18:19], v[18:19], 2, s[12:13]
	global_load_dword v18, v[18:19], off
	s_waitcnt vmcnt(0)
	v_sub_f32_e32 v18, s16, v18
	v_exp_f32_e32 v36, v18
.LBB429_69:
	s_or_b64 exec, exec, s[6:7]
	s_add_u32 s6, s20, s10
	s_addc_u32 s7, s21, s11
	s_add_u32 s10, s26, s10
	v_ashrrev_i32_e32 v35, 31, v34
	v_accvgpr_read_b32 v21, a7
	s_addc_u32 s11, s27, s11
	v_lshlrev_b64 v[22:23], 1, v[34:35]
	v_accvgpr_read_b32 v20, a6
	v_accvgpr_read_b32 v19, a5
	v_accvgpr_read_b32 v18, a4
	v_lshl_add_u64 v[24:25], s[6:7], 0, v[22:23]
	v_lshl_add_u64 v[22:23], s[10:11], 0, v[22:23]
	v_mov_b32_e32 v31, 0
	v_lshlrev_b32_e32 v26, 8, v45
	v_mov_b32_e32 v27, 0
	s_and_saveexec_b64 s[6:7], s[0:1]
	s_cbranch_execz .LBB429_71
; %bb.70:
	v_mov_b32_e32 v27, 0
	v_lshl_add_u64 v[32:33], v[24:25], 0, v[26:27]
	global_load_ushort v35, v[32:33], off
	v_lshl_add_u64 v[32:33], v[22:23], 0, v[26:27]
	s_waitcnt vmcnt(0)
	v_lshlrev_b32_e32 v27, 16, v35
	v_sub_f32_e32 v18, v27, v18
	global_store_short_d16_hi v[32:33], v18, off
	v_mul_f32_e32 v18, v39, v18
	v_lshrrev_b32_e32 v27, 16, v18
.LBB429_71:
	s_or_b64 exec, exec, s[6:7]
	v_lshlrev_b32_e32 v30, 8, v30
	s_and_saveexec_b64 s[6:7], s[4:5]
	s_cbranch_execz .LBB429_73
; %bb.72:
	v_mov_b32_e32 v31, 0
	v_lshl_add_u64 v[32:33], v[24:25], 0, v[30:31]
	global_load_ushort v18, v[32:33], off
	v_lshl_add_u64 v[32:33], v[22:23], 0, v[30:31]
	s_waitcnt vmcnt(0)
	v_lshlrev_b32_e32 v18, 16, v18
	v_sub_f32_e32 v18, v18, v19
	global_store_short_d16_hi v[32:33], v18, off
	v_mul_f32_e32 v18, v38, v18
	v_lshrrev_b32_e32 v31, 16, v18
.LBB429_73:
	s_or_b64 exec, exec, s[6:7]
	v_mov_b32_e32 v46, 0
	v_lshlrev_b32_e32 v32, 8, v28
	v_mov_b32_e32 v33, 0
	s_and_saveexec_b64 s[6:7], s[2:3]
	s_cbranch_execz .LBB429_75
; %bb.74:
	v_mov_b32_e32 v33, 0
	v_lshl_add_u64 v[18:19], v[24:25], 0, v[32:33]
	global_load_ushort v28, v[18:19], off
	v_lshl_add_u64 v[18:19], v[22:23], 0, v[32:33]
	s_waitcnt vmcnt(0)
	v_lshlrev_b32_e32 v28, 16, v28
	v_sub_f32_e32 v20, v28, v20
	global_store_short_d16_hi v[18:19], v20, off
	v_mul_f32_e32 v18, v44, v20
	v_lshrrev_b32_e32 v33, 16, v18
.LBB429_75:
	s_or_b64 exec, exec, s[6:7]
	v_lshlrev_b32_e32 v28, 8, v29
	s_and_saveexec_b64 s[6:7], vcc
	s_cbranch_execz .LBB429_77
; %bb.76:
	v_mov_b32_e32 v29, 0
	v_lshl_add_u64 v[18:19], v[24:25], 0, v[28:29]
	global_load_ushort v20, v[18:19], off
	v_lshl_add_u64 v[18:19], v[22:23], 0, v[28:29]
	s_waitcnt vmcnt(0)
	v_lshlrev_b32_e32 v20, 16, v20
	v_sub_f32_e32 v20, v20, v21
	global_store_short_d16_hi v[18:19], v20, off
	v_mul_f32_e32 v18, v36, v20
	v_lshrrev_b32_e32 v46, 16, v18
.LBB429_77:
	s_or_b64 exec, exec, s[6:7]
	v_lshlrev_b32_e32 v35, 5, v45
	s_mov_b32 s6, 0x5040100
	v_perm_b32 v47, v46, v33, s6
	v_perm_b32 v46, v31, v27, s6
	v_or_b32_e32 v27, v35, v40
	v_accvgpr_read_b32 v21, a3
	v_lshlrev_b32_e32 v27, 1, v27
	v_accvgpr_read_b32 v20, a2
	v_accvgpr_read_b32 v19, a1
	;; [unrolled: 1-line block ×3, first 2 shown]
	ds_write_b64 v27, v[46:47] offset:45056
	v_mov_b32_e32 v31, 0
	v_mov_b32_e32 v27, 0
	s_and_saveexec_b64 s[6:7], s[0:1]
	s_cbranch_execz .LBB429_79
; %bb.78:
	v_mov_b32_e32 v27, 0
	v_lshl_add_u64 v[46:47], v[24:25], 0, v[26:27]
	global_load_ushort v29, v[46:47], off offset:32
	v_lshl_add_u64 v[26:27], v[22:23], 0, v[26:27]
	s_waitcnt vmcnt(0)
	v_lshlrev_b32_e32 v29, 16, v29
	v_sub_f32_e32 v18, v29, v18
	global_store_short_d16_hi v[26:27], v18, off offset:32
	v_mul_f32_e32 v18, v39, v18
	v_lshrrev_b32_e32 v27, 16, v18
.LBB429_79:
	s_or_b64 exec, exec, s[6:7]
	s_and_saveexec_b64 s[0:1], s[4:5]
	s_cbranch_execz .LBB429_81
; %bb.80:
	v_mov_b32_e32 v31, 0
	v_lshl_add_u64 v[46:47], v[24:25], 0, v[30:31]
	global_load_ushort v18, v[46:47], off offset:32
	v_lshl_add_u64 v[30:31], v[22:23], 0, v[30:31]
	s_waitcnt vmcnt(0)
	v_lshlrev_b32_e32 v18, 16, v18
	v_sub_f32_e32 v18, v18, v19
	global_store_short_d16_hi v[30:31], v18, off offset:32
	v_mul_f32_e32 v18, v38, v18
	v_lshrrev_b32_e32 v31, 16, v18
.LBB429_81:
	s_or_b64 exec, exec, s[0:1]
	v_mov_b32_e32 v26, 0
	v_mov_b32_e32 v30, 0
	s_and_saveexec_b64 s[0:1], s[2:3]
	s_cbranch_execz .LBB429_83
; %bb.82:
	v_mov_b32_e32 v33, 0
	v_lshl_add_u64 v[18:19], v[24:25], 0, v[32:33]
	global_load_ushort v29, v[18:19], off offset:32
	v_lshl_add_u64 v[18:19], v[22:23], 0, v[32:33]
	s_waitcnt vmcnt(0)
	v_lshlrev_b32_e32 v29, 16, v29
	v_sub_f32_e32 v20, v29, v20
	global_store_short_d16_hi v[18:19], v20, off offset:32
	v_mul_f32_e32 v18, v44, v20
	v_lshrrev_b32_e32 v30, 16, v18
.LBB429_83:
	s_or_b64 exec, exec, s[0:1]
	v_or_b32_e32 v19, 0xb000, v42
	v_or_b32_e32 v18, 0xb000, v43
	s_and_saveexec_b64 s[0:1], vcc
	s_cbranch_execz .LBB429_85
; %bb.84:
	v_mov_b32_e32 v29, 0
	v_lshl_add_u64 v[24:25], v[24:25], 0, v[28:29]
	global_load_ushort v20, v[24:25], off offset:32
	v_lshl_add_u64 v[22:23], v[22:23], 0, v[28:29]
	s_waitcnt vmcnt(0)
	v_lshlrev_b32_e32 v20, 16, v20
	v_sub_f32_e32 v20, v20, v21
	global_store_short_d16_hi v[22:23], v20, off offset:32
	v_mul_f32_e32 v20, v36, v20
	v_lshrrev_b32_e32 v26, 16, v20
.LBB429_85:
	s_or_b64 exec, exec, s[0:1]
	s_mov_b32 s0, 0x5040100
	v_or_b32_e32 v22, v35, v37
	v_perm_b32 v21, v26, v30, s0
	v_perm_b32 v20, v31, v27, s0
	v_lshlrev_b32_e32 v22, 1, v22
	s_movk_i32 s0, 0x100
	ds_write_b64 v22, v[20:21] offset:45056
	v_and_b32_e32 v20, 7, v0
	v_and_b32_e32 v21, 8, v0
	v_cmp_gt_u32_e32 vcc, s0, v0
	v_lshrrev_b32_e32 v0, 1, v0
	v_lshlrev_b32_e32 v35, 3, v20
	v_lshlrev_b32_e32 v36, 7, v20
	v_mov_b32_e32 v20, 0x4000
	v_mov_b32_e32 v22, 0x2000
	v_lshlrev_b32_e32 v38, 3, v58
	v_and_b32_e32 v0, 24, v0
	v_cndmask_b32_e32 v37, v20, v22, vcc
	v_xor_b32_e32 v20, v38, v0
	v_or_b32_e32 v26, 32, v0
	v_or_b32_e32 v22, 0x440, v20
	v_cmp_eq_u32_e32 vcc, 0, v21
	v_xor_b32_e32 v26, v38, v26
	v_or_b32_e32 v27, 0x440, v26
	v_cndmask_b32_e32 v20, v22, v20, vcc
	v_or_b32_e32 v20, v20, v41
	v_cndmask_b32_e32 v26, v27, v26, vcc
	v_xad_u32 v40, v20, v35, v36
	v_or_b32_e32 v26, v26, v41
	v_add_u32_e32 v20, v37, v40
	v_xad_u32 v42, v26, v35, v36
	s_waitcnt lgkmcnt(0)
	s_barrier
	ds_read_b64 v[24:25], v20
	ds_read2_b64 v[20:23], v19 offset1:16
	v_add_u32_e32 v26, v37, v42
	ds_read_b64 v[32:33], v26
	s_waitcnt lgkmcnt(1)
	v_mfma_f32_16x16x16_bf16 a[0:3], v[24:25], v[20:21], 0
	ds_read2st64_b64 v[28:31], v18 offset0:2 offset1:4
	v_mfma_f32_16x16x16_bf16 a[4:7], v[24:25], v[22:23], 0
	ds_read2st64_b64 v[24:27], v19 offset0:2 offset1:4
	s_waitcnt lgkmcnt(0)
	v_mfma_f32_16x16x16_bf16 a[0:3], v[32:33], v[24:25], a[0:3]
	v_mfma_f32_16x16x16_bf16 a[4:7], v[32:33], v[28:29], a[4:7]
	v_or_b32_e32 v32, 64, v0
	v_xor_b32_e32 v32, v38, v32
	v_xor_b32_e32 v33, 0x440, v32
	v_cndmask_b32_e32 v32, v33, v32, vcc
	v_or_b32_e32 v32, v32, v41
	v_xad_u32 v43, v32, v35, v36
	v_add_u32_e32 v32, v37, v43
	ds_read_b64 v[32:33], v32
	v_or_b32_e32 v0, 0x60, v0
	v_xor_b32_e32 v0, v38, v0
	v_xor_b32_e32 v38, 0x440, v0
	v_cndmask_b32_e32 v0, v38, v0, vcc
	v_or_b32_e32 v0, v0, v41
	v_xad_u32 v0, v0, v35, v36
	v_add_u32_e32 v35, v37, v0
	ds_read_b64 v[36:37], v35
	s_waitcnt lgkmcnt(1)
	v_mfma_f32_16x16x16_bf16 a[0:3], v[32:33], v[26:27], a[0:3]
	v_exp_f32_e32 v35, s16
	v_mfma_f32_16x16x16_bf16 a[4:7], v[32:33], v[30:31], a[4:7]
	ds_read_b64 v[32:33], v19 offset:3072
	ds_read_b64 v[38:39], v18 offset:3072
	;; [unrolled: 1-line block ×3, first 2 shown]
	s_waitcnt lgkmcnt(0)
	v_mfma_f32_16x16x16_bf16 a[8:11], v[18:19], v[20:21], 0
	ds_read_b64 v[20:21], v42 offset:16384
	v_mfma_f32_16x16x16_bf16 a[0:3], v[36:37], v[32:33], a[0:3]
	v_mfma_f32_16x16x16_bf16 a[12:15], v[18:19], v[22:23], 0
	ds_read_b64 v[22:23], v43 offset:16384
	s_nop 4
	v_accvgpr_read_b32 v18, a0
	v_fma_f32 v18, v2, v35, v18
	v_accvgpr_read_b32 v2, a1
	v_fma_f32 v19, v3, v35, v2
	v_accvgpr_read_b32 v2, a2
	s_waitcnt lgkmcnt(1)
	v_mfma_f32_16x16x16_bf16 a[8:11], v[20:21], v[24:25], a[8:11]
	v_mfma_f32_16x16x16_bf16 a[12:15], v[20:21], v[28:29], a[12:15]
	v_fma_f32 v20, v4, v35, v2
	ds_read_b64 v[2:3], v0 offset:16384
	v_accvgpr_read_b32 v21, a3
	s_waitcnt lgkmcnt(1)
	v_mfma_f32_16x16x16_bf16 a[0:3], v[22:23], v[26:27], a[8:11]
	v_fmac_f32_e32 v21, v5, v35
	v_mfma_f32_16x16x16_bf16 a[4:7], v[36:37], v[38:39], a[4:7]
	v_mfma_f32_16x16x16_bf16 a[8:11], v[22:23], v[30:31], a[12:15]
	s_waitcnt lgkmcnt(0)
	v_mfma_f32_16x16x16_bf16 a[0:3], v[2:3], v[32:33], a[0:3]
	s_nop 3
	v_accvgpr_read_b32 v0, a4
	v_fma_f32 v26, v10, v35, v0
	v_accvgpr_read_b32 v0, a5
	v_fma_f32 v27, v11, v35, v0
	v_accvgpr_read_b32 v0, a6
	v_accvgpr_read_b32 v29, a7
	v_mfma_f32_16x16x16_bf16 a[4:7], v[2:3], v[38:39], a[8:11]
	v_fma_f32 v28, v12, v35, v0
	v_accvgpr_read_b32 v0, a0
	v_fma_f32 v22, v6, v35, v0
	v_accvgpr_read_b32 v0, a1
	;; [unrolled: 2-line block ×5, first 2 shown]
	v_accvgpr_read_b32 v25, a3
	v_fma_f32 v31, v15, v35, v0
	v_accvgpr_read_b32 v0, a6
	v_accvgpr_read_b32 v33, a7
	v_fmac_f32_e32 v29, v13, v35
	v_fmac_f32_e32 v25, v9, v35
	v_fma_f32 v32, v16, v35, v0
	v_fmac_f32_e32 v33, v17, v35
	v_mov_b64_e32 v[2:3], v[18:19]
	v_mov_b64_e32 v[4:5], v[20:21]
	;; [unrolled: 1-line block ×8, first 2 shown]
	v_mov_b32_e32 v18, v34
.LBB429_86:
	s_lshl_b64 s[0:1], s[8:9], 16
	s_waitcnt lgkmcnt(0)
	s_add_u32 s0, s34, s0
	v_lshlrev_b32_e32 v18, 7, v18
	s_addc_u32 s1, s35, s1
	v_ashrrev_i32_e32 v19, 31, v18
	v_lshl_add_u64 v[20:21], v[18:19], 2, s[0:1]
	v_lshlrev_b32_e32 v0, 2, v1
	v_mov_b32_e32 v1, 0
	v_lshl_add_u64 v[20:21], v[20:21], 0, v[0:1]
	global_store_dwordx4 v[20:21], v[2:5], off
	global_store_dwordx4 v[20:21], v[6:9], off offset:256
	s_nop 0
	v_or_b32_e32 v2, 0x800, v18
	v_ashrrev_i32_e32 v3, 31, v2
	v_lshl_add_u64 v[2:3], v[2:3], 2, s[0:1]
	v_lshl_add_u64 v[0:1], v[2:3], 0, v[0:1]
	global_store_dwordx4 v[0:1], v[10:13], off
	global_store_dwordx4 v[0:1], v[14:17], off offset:256
	s_endpgm
	.section	.rodata,"a",@progbits
	.p2align	6, 0x0
	.amdhsa_kernel _ZN12_GLOBAL__N_139chunk_gated_delta_rule_fwd_h_hip_kernelILi32ELb0ELb1ELb1ELb0ELb1ELb0ELb1ELb0EEEvPK12hip_bfloat16S3_S3_PKfS5_PKvPS1_S8_PvPKiSB_iiiiilll
		.amdhsa_group_segment_fixed_size 49152
		.amdhsa_private_segment_fixed_size 0
		.amdhsa_kernarg_size 136
		.amdhsa_user_sgpr_count 2
		.amdhsa_user_sgpr_dispatch_ptr 0
		.amdhsa_user_sgpr_queue_ptr 0
		.amdhsa_user_sgpr_kernarg_segment_ptr 1
		.amdhsa_user_sgpr_dispatch_id 0
		.amdhsa_user_sgpr_kernarg_preload_length 0
		.amdhsa_user_sgpr_kernarg_preload_offset 0
		.amdhsa_user_sgpr_private_segment_size 0
		.amdhsa_uses_dynamic_stack 0
		.amdhsa_enable_private_segment 0
		.amdhsa_system_sgpr_workgroup_id_x 1
		.amdhsa_system_sgpr_workgroup_id_y 1
		.amdhsa_system_sgpr_workgroup_id_z 0
		.amdhsa_system_sgpr_workgroup_info 0
		.amdhsa_system_vgpr_workitem_id 0
		.amdhsa_next_free_vgpr 148
		.amdhsa_next_free_sgpr 68
		.amdhsa_accum_offset 132
		.amdhsa_reserve_vcc 1
		.amdhsa_float_round_mode_32 0
		.amdhsa_float_round_mode_16_64 0
		.amdhsa_float_denorm_mode_32 3
		.amdhsa_float_denorm_mode_16_64 3
		.amdhsa_dx10_clamp 1
		.amdhsa_ieee_mode 1
		.amdhsa_fp16_overflow 0
		.amdhsa_tg_split 0
		.amdhsa_exception_fp_ieee_invalid_op 0
		.amdhsa_exception_fp_denorm_src 0
		.amdhsa_exception_fp_ieee_div_zero 0
		.amdhsa_exception_fp_ieee_overflow 0
		.amdhsa_exception_fp_ieee_underflow 0
		.amdhsa_exception_fp_ieee_inexact 0
		.amdhsa_exception_int_div_zero 0
	.end_amdhsa_kernel
	.section	.text._ZN12_GLOBAL__N_139chunk_gated_delta_rule_fwd_h_hip_kernelILi32ELb0ELb1ELb1ELb0ELb1ELb0ELb1ELb0EEEvPK12hip_bfloat16S3_S3_PKfS5_PKvPS1_S8_PvPKiSB_iiiiilll,"axG",@progbits,_ZN12_GLOBAL__N_139chunk_gated_delta_rule_fwd_h_hip_kernelILi32ELb0ELb1ELb1ELb0ELb1ELb0ELb1ELb0EEEvPK12hip_bfloat16S3_S3_PKfS5_PKvPS1_S8_PvPKiSB_iiiiilll,comdat
.Lfunc_end429:
	.size	_ZN12_GLOBAL__N_139chunk_gated_delta_rule_fwd_h_hip_kernelILi32ELb0ELb1ELb1ELb0ELb1ELb0ELb1ELb0EEEvPK12hip_bfloat16S3_S3_PKfS5_PKvPS1_S8_PvPKiSB_iiiiilll, .Lfunc_end429-_ZN12_GLOBAL__N_139chunk_gated_delta_rule_fwd_h_hip_kernelILi32ELb0ELb1ELb1ELb0ELb1ELb0ELb1ELb0EEEvPK12hip_bfloat16S3_S3_PKfS5_PKvPS1_S8_PvPKiSB_iiiiilll
                                        ; -- End function
	.section	.AMDGPU.csdata,"",@progbits
; Kernel info:
; codeLenInByte = 9624
; NumSgprs: 74
; NumVgprs: 132
; NumAgprs: 16
; TotalNumVgprs: 148
; ScratchSize: 0
; MemoryBound: 0
; FloatMode: 240
; IeeeMode: 1
; LDSByteSize: 49152 bytes/workgroup (compile time only)
; SGPRBlocks: 9
; VGPRBlocks: 18
; NumSGPRsForWavesPerEU: 74
; NumVGPRsForWavesPerEU: 148
; AccumOffset: 132
; Occupancy: 1
; WaveLimiterHint : 1
; COMPUTE_PGM_RSRC2:SCRATCH_EN: 0
; COMPUTE_PGM_RSRC2:USER_SGPR: 2
; COMPUTE_PGM_RSRC2:TRAP_HANDLER: 0
; COMPUTE_PGM_RSRC2:TGID_X_EN: 1
; COMPUTE_PGM_RSRC2:TGID_Y_EN: 1
; COMPUTE_PGM_RSRC2:TGID_Z_EN: 0
; COMPUTE_PGM_RSRC2:TIDIG_COMP_CNT: 0
; COMPUTE_PGM_RSRC3_GFX90A:ACCUM_OFFSET: 32
; COMPUTE_PGM_RSRC3_GFX90A:TG_SPLIT: 0
	.section	.text._ZN12_GLOBAL__N_139chunk_gated_delta_rule_fwd_h_hip_kernelILi32ELb0ELb1ELb0ELb0ELb1ELb0ELb1ELb0EEEvPK12hip_bfloat16S3_S3_PKfS5_PKvPS1_S8_PvPKiSB_iiiiilll,"axG",@progbits,_ZN12_GLOBAL__N_139chunk_gated_delta_rule_fwd_h_hip_kernelILi32ELb0ELb1ELb0ELb0ELb1ELb0ELb1ELb0EEEvPK12hip_bfloat16S3_S3_PKfS5_PKvPS1_S8_PvPKiSB_iiiiilll,comdat
	.globl	_ZN12_GLOBAL__N_139chunk_gated_delta_rule_fwd_h_hip_kernelILi32ELb0ELb1ELb0ELb0ELb1ELb0ELb1ELb0EEEvPK12hip_bfloat16S3_S3_PKfS5_PKvPS1_S8_PvPKiSB_iiiiilll ; -- Begin function _ZN12_GLOBAL__N_139chunk_gated_delta_rule_fwd_h_hip_kernelILi32ELb0ELb1ELb0ELb0ELb1ELb0ELb1ELb0EEEvPK12hip_bfloat16S3_S3_PKfS5_PKvPS1_S8_PvPKiSB_iiiiilll
	.p2align	8
	.type	_ZN12_GLOBAL__N_139chunk_gated_delta_rule_fwd_h_hip_kernelILi32ELb0ELb1ELb0ELb0ELb1ELb0ELb1ELb0EEEvPK12hip_bfloat16S3_S3_PKfS5_PKvPS1_S8_PvPKiSB_iiiiilll,@function
_ZN12_GLOBAL__N_139chunk_gated_delta_rule_fwd_h_hip_kernelILi32ELb0ELb1ELb0ELb0ELb1ELb0ELb1ELb0EEEvPK12hip_bfloat16S3_S3_PKfS5_PKvPS1_S8_PvPKiSB_iiiiilll: ; @_ZN12_GLOBAL__N_139chunk_gated_delta_rule_fwd_h_hip_kernelILi32ELb0ELb1ELb0ELb0ELb1ELb0ELb1ELb0EEEvPK12hip_bfloat16S3_S3_PKfS5_PKvPS1_S8_PvPKiSB_iiiiilll
; %bb.0:
	s_load_dwordx4 s[24:27], s[0:1], 0x5c
	s_load_dwordx4 s[28:31], s[0:1], 0x70
	s_abs_i32 s6, s3
	s_ashr_i32 s5, s3, 31
	s_load_dwordx8 s[16:23], s[0:1], 0x0
	s_waitcnt lgkmcnt(0)
	s_abs_i32 s4, s25
	v_cvt_f32_u32_e32 v1, s4
	s_sub_i32 s8, 0, s4
	s_ashr_i32 s7, s25, 31
	s_xor_b32 s5, s5, s7
	v_rcp_iflag_f32_e32 v1, v1
	s_load_dwordx2 s[34:35], s[0:1], 0x40
	s_load_dwordx2 s[38:39], s[0:1], 0x30
	;; [unrolled: 1-line block ×3, first 2 shown]
	s_mov_b32 s0, 0
	v_mul_f32_e32 v1, 0x4f7ffffe, v1
	v_cvt_u32_f32_e32 v1, v1
	v_lshrrev_b32_e32 v56, 6, v0
	v_bfe_u32 v59, v0, 4, 2
	v_lshlrev_b32_e32 v57, 4, v56
	v_readfirstlane_b32 s9, v1
	s_mul_i32 s8, s8, s9
	s_mul_hi_u32 s8, s9, s8
	s_add_i32 s9, s9, s8
	s_mul_hi_u32 s8, s6, s9
	s_mul_i32 s9, s8, s4
	s_sub_i32 s6, s6, s9
	s_add_i32 s10, s8, 1
	s_sub_i32 s9, s6, s4
	s_cmp_ge_u32 s6, s4
	s_cselect_b32 s8, s10, s8
	s_cselect_b32 s6, s9, s6
	s_add_i32 s9, s8, 1
	s_cmp_ge_u32 s6, s4
	s_cselect_b32 s6, s9, s8
	s_xor_b32 s6, s6, s5
	s_sub_i32 s49, s6, s5
	s_abs_i32 s6, s26
	v_cvt_f32_u32_e32 v1, s6
	s_mul_i32 s47, s49, s25
	s_sub_i32 s33, s3, s47
	s_add_i32 s3, s24, 63
	v_rcp_iflag_f32_e32 v1, v1
	s_ashr_i32 s5, s3, 31
	s_lshr_b32 s5, s5, 26
	s_ashr_i32 s48, s24, 31
	v_mul_f32_e32 v1, 0x4f7ffffe, v1
	v_cvt_u32_f32_e32 v1, v1
	s_add_i32 s3, s3, s5
	s_lshr_b32 s5, s48, 26
	s_add_i32 s5, s24, s5
	s_ashr_i32 s44, s26, 31
	s_ashr_i32 s51, s5, 6
	s_xor_b32 s5, s7, s44
	s_sub_i32 s7, 0, s6
	v_readfirstlane_b32 s8, v1
	s_mul_i32 s7, s7, s8
	s_mul_hi_u32 s7, s8, s7
	s_add_i32 s8, s8, s7
	s_mul_hi_u32 s7, s4, s8
	s_mul_i32 s8, s7, s6
	s_sub_i32 s4, s4, s8
	s_ashr_i32 s3, s3, 6
	s_add_i32 s8, s7, 1
	s_sub_i32 s9, s4, s6
	s_cmp_ge_u32 s4, s6
	s_cselect_b32 s7, s8, s7
	s_cselect_b32 s4, s9, s4
	s_add_i32 s8, s7, 1
	s_cmp_ge_u32 s4, s6
	s_cselect_b32 s4, s8, s7
	s_xor_b32 s4, s4, s5
	s_sub_i32 s4, s4, s5
	s_abs_i32 s5, s4
	v_cvt_f32_u32_e32 v1, s5
	s_sub_i32 s6, 0, s5
	s_xor_b32 s1, s33, s4
	s_abs_i32 s4, s33
	v_rcp_iflag_f32_e32 v1, v1
	s_ashr_i32 s1, s1, 31
	v_lshlrev_b32_e32 v18, 2, v59
	s_mov_b32 s14, s0
	v_mul_f32_e32 v1, 0x4f7ffffe, v1
	v_cvt_u32_f32_e32 v1, v1
	s_mov_b32 s15, s0
	v_and_b32_e32 v58, 63, v0
	s_mul_i32 s53, s49, s3
	v_readfirstlane_b32 s7, v1
	s_mul_i32 s6, s6, s7
	s_mul_hi_u32 s6, s7, s6
	s_add_i32 s7, s7, s6
	s_mul_hi_u32 s6, s4, s7
	s_mul_i32 s7, s6, s5
	s_sub_i32 s4, s4, s7
	s_add_i32 s7, s6, 1
	s_sub_i32 s8, s4, s5
	s_cmp_ge_u32 s4, s5
	s_cselect_b32 s6, s7, s6
	s_cselect_b32 s4, s8, s4
	s_add_i32 s7, s6, 1
	s_cmp_ge_u32 s4, s5
	s_cselect_b32 s4, s7, s6
	s_xor_b32 s4, s4, s1
	s_sub_i32 s54, s4, s1
	v_or_b32_e32 v1, v18, v57
	s_lshl_b32 s40, s2, 5
	s_mov_b32 s1, s0
	s_mov_b32 s2, s0
	;; [unrolled: 1-line block ×13, first 2 shown]
	v_mov_b64_e32 v[16:17], s[14:15]
	v_and_b32_e32 v60, 15, v0
	v_or_b32_e32 v63, 64, v1
	s_cmp_lt_i32 s24, 64
	v_mov_b64_e32 v[14:15], s[12:13]
	v_mov_b64_e32 v[12:13], s[10:11]
	;; [unrolled: 1-line block ×7, first 2 shown]
	s_mul_hi_i32 s55, s49, s25
	v_lshrrev_b32_e32 v62, 3, v58
	v_lshlrev_b32_e32 v61, 3, v0
	s_mul_i32 s29, s49, s29
	s_mul_hi_u32 s46, s49, s28
	s_mul_i32 s12, s49, s28
	s_cbranch_scc1 .LBB430_19
; %bb.1:
	s_ashr_i32 s8, s49, 31
	s_ashr_i32 s50, s33, 31
	s_add_u32 s0, s47, s33
	s_addc_u32 s1, s55, s50
	s_mul_i32 s1, s24, s1
	s_mul_hi_u32 s2, s24, s0
	s_add_i32 s3, s2, s1
	s_mul_i32 s2, s24, s0
	s_lshl_b64 s[0:1], s[2:3], 8
	v_and_b32_e32 v9, 56, v61
	s_add_u32 s4, s18, s0
	v_lshl_or_b32 v5, v56, 3, v62
	v_lshlrev_b32_e32 v2, 1, v9
	s_addc_u32 s0, s19, s1
	v_lshl_or_b32 v13, v5, 8, v2
	s_and_b32 s5, s0, 0xffff
	s_mov_b32 s7, 0x20000
	s_movk_i32 s6, 0x4000
	s_movk_i32 s0, 0x80
	v_or_b32_e32 v17, 0x2000, v13
	buffer_load_dwordx4 v[20:23], v13, s[4:7], 0 offen
	buffer_load_dwordx4 v[24:27], v13, s[4:7], s0 offen
	;; [unrolled: 1-line block ×4, first 2 shown]
	v_lshlrev_b32_e32 v3, 3, v5
	v_and_or_b32 v6, v0, 7, v3
	v_and_b32_e32 v3, 0x78, v3
	v_lshlrev_b32_e32 v6, 4, v6
	v_xor_b32_e32 v64, v6, v3
	v_mul_lo_u32 v4, v5, s27
	v_or_b32_e32 v65, 0x1000, v64
	v_xor_b32_e32 v3, 8, v64
	s_cmpk_eq_i32 s27, 0x80
	s_mov_b32 s45, s26
	v_xor_b32_e32 v6, 8, v65
	s_cselect_b64 s[0:1], -1, 0
	s_cmpk_lg_i32 s27, 0x80
	s_waitcnt vmcnt(3)
	ds_write_b64 v64, v[20:21] offset:24576
	ds_write_b64 v3, v[22:23] offset:24576
	s_waitcnt vmcnt(2)
	ds_write_b64 v64, v[24:25] offset:32768
	ds_write_b64 v3, v[26:27] offset:32768
	;; [unrolled: 3-line block ×4, first 2 shown]
	v_lshl_add_u32 v3, v4, 1, v9
	s_cbranch_scc0 .LBB430_3
; %bb.2:
	v_lshlrev_b32_e32 v6, 1, v3
	v_add_lshl_u32 v4, v3, s27, 1
	s_lshl_b32 s6, s27, 7
	v_lshl_or_b32 v2, v5, 9, v2
	s_cbranch_execz .LBB430_4
	s_branch .LBB430_5
.LBB430_3:
                                        ; implicit-def: $vgpr4
                                        ; implicit-def: $vgpr6
                                        ; implicit-def: $sgpr6
	v_lshl_or_b32 v2, v5, 9, v2
.LBB430_4:
	v_or_b32_e32 v4, 0x100, v2
	s_movk_i32 s6, 0x4000
	v_mov_b32_e32 v6, v2
.LBB430_5:
	s_mul_hi_u32 s4, s26, s24
	s_mul_i32 s5, s44, s24
	s_add_i32 s4, s4, s5
	s_mul_i32 s5, s26, s24
	s_mul_i32 s7, s5, s8
	s_mul_hi_u32 s9, s5, s49
	s_add_i32 s7, s9, s7
	s_mul_i32 s4, s4, s49
	s_add_i32 s7, s7, s4
	s_mul_i32 s5, s5, s49
	s_ashr_i32 s52, s54, 31
	s_add_u32 s4, s5, s54
	s_addc_u32 s5, s7, s52
	s_lshl_b64 s[4:5], s[4:5], 8
	s_add_u32 s4, s16, s4
	s_addc_u32 s5, s17, s5
	s_and_b32 s5, s5, 0xffff
	s_mov_b32 s7, 0x20000
	s_movk_i32 s56, 0x80
	buffer_load_dwordx4 v[20:23], v6, s[4:7], 0 offen
	buffer_load_dwordx4 v[24:27], v6, s[4:7], s56 offen
	;; [unrolled: 1-line block ×4, first 2 shown]
	v_and_b32_e32 v4, 6, v0
	v_lshlrev_b32_e32 v8, 6, v1
	v_or_b32_e32 v11, 16, v60
	v_xor_b32_e32 v12, v5, v4
	v_and_b32_e32 v6, 1, v0
	s_mul_i32 s4, s8, s24
	s_mul_hi_u32 s5, s49, s24
	v_lshl_or_b32 v16, v60, 3, v8
	v_lshl_or_b32 v8, v11, 3, v8
	v_lshlrev_b32_e32 v12, 2, v12
	v_lshlrev_b32_e32 v7, 2, v60
	v_or_b32_e32 v68, 0xa000, v8
	v_or_b32_e32 v69, 0xb000, v8
	v_xor_b32_e32 v8, 0x440, v12
	v_cmp_eq_u32_e32 vcc, 0, v6
	s_add_i32 s61, s5, s4
	s_add_i32 s4, s46, s29
	s_mul_i32 s8, s8, s28
	v_xor_b32_e32 v14, v1, v7
	v_xor_b32_e32 v15, v63, v7
	v_cndmask_b32_e32 v6, v8, v12, vcc
	s_add_i32 s13, s4, s8
	s_mul_i32 s4, s33, s31
	s_mul_hi_u32 s5, s33, s30
	s_mov_b32 s58, 0x1000504
	v_lshlrev_b32_e32 v10, 8, v60
	v_lshlrev_b32_e32 v14, 1, v14
	;; [unrolled: 1-line block ×3, first 2 shown]
	v_lshl_or_b32 v4, v4, 10, v6
	s_add_i32 s4, s5, s4
	s_mul_i32 s5, s50, s30
	s_mov_b32 s59, 0x3020706
	v_or_b32_e32 v66, 0xa000, v16
	v_or_b32_e32 v67, 0xb000, v16
	;; [unrolled: 1-line block ×4, first 2 shown]
	v_xor_b32_e32 v6, 8, v4
	v_xor_b32_e32 v10, 24, v4
	;; [unrolled: 1-line block ×4, first 2 shown]
	s_add_i32 s5, s4, s5
	s_lshl_b64 s[8:9], s[12:13], 2
	v_xor_b32_e32 v8, 16, v4
	v_xor_b32_e32 v12, 32, v4
	;; [unrolled: 1-line block ×3, first 2 shown]
	v_add_u32_e32 v6, 0x80, v6
	v_add_u32_e32 v10, 0x80, v10
	v_add_u32_e32 v16, 0x80, v16
	v_add_u32_e32 v36, 0x80, v36
	s_mul_i32 s4, s33, s30
	s_add_u32 s6, s22, s8
	s_addc_u32 s8, s23, s9
	s_lshl_b64 s[4:5], s[4:5], 2
	s_add_u32 s14, s6, s4
	s_movk_i32 s4, 0xf8
	s_addc_u32 s15, s8, s5
	s_ashr_i32 s41, s40, 31
	s_lshl_b32 s10, s27, 7
	s_movk_i32 s8, 0x100
	v_mov_b32_e32 v51, 0
	v_lshlrev_b32_e32 v50, 4, v60
	v_cmp_gt_u32_e32 vcc, s8, v0
	s_mov_b32 s57, 0
	s_mul_i32 s60, s49, s24
	s_movk_i32 s13, 0x1000
	s_movk_i32 s6, 0x4000
	v_add_u32_e32 v91, v57, v18
	s_mov_b32 s63, 0
	v_mov_b32_e32 v97, v51
	v_mov_b32_e32 v96, v51
	;; [unrolled: 1-line block ×4, first 2 shown]
	s_waitcnt vmcnt(1)
	v_perm_b32 v37, v20, v28, s58
	s_waitcnt vmcnt(0)
	v_perm_b32 v38, v24, v32, s58
	v_perm_b32 v20, v20, v28, s59
	;; [unrolled: 1-line block ×15, first 2 shown]
	ds_write2st64_b32 v4, v37, v38 offset0:32 offset1:64
	ds_write2st64_b32 v6, v20, v24 offset0:32 offset1:64
	;; [unrolled: 1-line block ×8, first 2 shown]
	v_lshlrev_b32_e32 v4, 8, v11
	v_or_b32_e32 v72, v4, v14
	v_or_b32_e32 v73, v4, v15
	;; [unrolled: 1-line block ×3, first 2 shown]
	v_lshlrev_b32_e32 v4, 3, v4
	v_lshrrev_b32_e32 v10, 5, v58
	v_and_or_b32 v10, v4, s4, v10
	v_lshlrev_b32_e32 v8, 11, v56
	v_lshlrev_b32_e32 v10, 4, v10
	v_and_b32_e32 v4, 0x78, v4
	v_and_b32_e32 v6, 0x1000, v8
	v_xor_b32_e32 v11, v10, v4
	v_lshrrev_b32_e32 v12, 1, v0
	v_or_b32_e32 v11, v11, v6
	v_and_b32_e32 v14, 8, v12
	v_xor_b32_e32 v74, v11, v14
	v_or_b32_e32 v11, 32, v10
	v_xor_b32_e32 v11, v11, v4
	v_or_b32_e32 v11, v11, v6
	;; [unrolled: 2-line block ×4, first 2 shown]
	s_lshl_b64 s[4:5], s[40:41], 8
	v_or_b32_e32 v11, v11, v6
	v_xor_b32_e32 v4, v10, v4
	s_waitcnt lgkmcnt(0)
	s_add_u32 s4, s38, s4
	v_lshlrev_b32_e32 v10, 1, v60
	v_xor_b32_e32 v78, v11, v14
	v_lshrrev_b32_e32 v19, 4, v0
	s_addc_u32 s5, s39, s5
	v_or_b32_e32 v11, 1, v10
	v_mov_b32_e32 v23, 0x4000
	v_mov_b32_e32 v24, 0x2000
	v_xor_b32_e32 v20, v19, v10
	v_xor_b32_e32 v21, v11, v19
	v_lshl_add_u64 v[10:11], s[4:5], 0, v[50:51]
	v_lshlrev_b32_e32 v50, 8, v19
	v_cndmask_b32_e32 v23, v23, v24, vcc
	v_lshlrev_b32_e32 v24, 3, v56
	v_and_b32_e32 v12, 24, v12
	v_lshl_or_b32 v82, v20, 3, v50
	v_and_b32_e32 v20, 8, v0
	v_xor_b32_e32 v25, v24, v12
	v_or_b32_e32 v26, 0x440, v25
	v_cmp_eq_u32_e32 vcc, 0, v20
	v_and_b32_e32 v19, 7, v0
	v_lshlrev_b32_e32 v15, 7, v59
	v_cndmask_b32_e32 v20, v26, v25, vcc
	v_lshl_or_b32 v83, v21, 3, v50
	v_lshlrev_b32_e32 v21, 3, v19
	v_lshlrev_b32_e32 v19, 7, v19
	;; [unrolled: 1-line block ×3, first 2 shown]
	v_or_b32_e32 v20, v20, v8
	v_or_b32_e32 v7, v15, v7
	v_xad_u32 v84, v20, v21, v19
	v_and_or_b32 v15, v22, 60, v15
	v_mov_b32_e32 v20, 0xb000
	v_lshl_or_b32 v85, v15, 1, v20
	v_or_b32_e32 v15, 32, v12
	v_xor_b32_e32 v15, v24, v15
	v_or_b32_e32 v20, 0x440, v15
	v_cndmask_b32_e32 v15, v20, v15, vcc
	v_or_b32_e32 v15, v15, v8
	v_xad_u32 v86, v15, v21, v19
	v_or_b32_e32 v15, 64, v12
	v_xor_b32_e32 v15, v24, v15
	v_xor_b32_e32 v20, 0x440, v15
	v_cndmask_b32_e32 v15, v20, v15, vcc
	v_or_b32_e32 v12, 0x60, v12
	v_or_b32_e32 v15, v15, v8
	v_xor_b32_e32 v12, v24, v12
	v_xad_u32 v87, v15, v21, v19
	v_xor_b32_e32 v15, 0x440, v12
	v_cndmask_b32_e32 v12, v15, v12, vcc
	v_lshlrev_b32_e32 v7, 1, v7
	v_or_b32_e32 v4, v4, v6
	v_or_b32_e32 v6, s40, v60
	;; [unrolled: 1-line block ×5, first 2 shown]
	v_xor_b32_e32 v79, v4, v14
	v_or_b32_e32 v80, 0xb000, v7
	v_or_b32_e32 v81, 0xb080, v7
	v_lshlrev_b32_e32 v4, 7, v1
	v_ashrrev_i32_e32 v7, 31, v6
	v_lshlrev_b32_e32 v14, 1, v3
	v_add_lshl_u32 v3, v3, s27, 1
	v_or_b32_e32 v16, 0x100, v2
	v_xad_u32 v88, v8, v21, v19
	v_cndmask_b32_e64 v89, v14, v2, s[0:1]
	v_cndmask_b32_e64 v90, v3, v16, s[0:1]
	v_lshl_add_u64 v[52:53], v[6:7], 1, s[20:21]
	v_lshl_add_u64 v[54:55], v[10:11], 0, v[50:51]
	s_mov_b32 s41, 0x7060302
	v_lshlrev_b32_e32 v50, 1, v4
	v_add_u32_e32 v92, v23, v84
	v_add_u32_e32 v93, v23, v86
	;; [unrolled: 1-line block ×4, first 2 shown]
	v_mov_b32_e32 v2, v51
	v_mov_b32_e32 v3, v51
	;; [unrolled: 1-line block ×12, first 2 shown]
	s_barrier
.LBB430_6:                              ; =>This Inner Loop Header: Depth=1
	s_add_i32 s62, s63, 1
	s_cmp_lt_i32 s62, s51
	s_mov_b64 s[8:9], 0
	s_cselect_b64 s[42:43], -1, 0
	s_cmp_ge_i32 s62, s51
	s_mov_b64 s[4:5], 0
	s_cbranch_scc1 .LBB430_8
; %bb.7:                                ;   in Loop: Header=BB430_6 Depth=1
	s_add_i32 s0, s57, 64
	s_add_u32 s0, s2, s0
	s_addc_u32 s1, s3, 0
	s_lshl_b64 s[0:1], s[0:1], 8
	s_add_u32 s4, s18, s0
	s_addc_u32 s5, s19, s1
.LBB430_8:                              ;   in Loop: Header=BB430_6 Depth=1
	v_cndmask_b32_e64 v18, 0, 1, s[42:43]
	v_cmp_ne_u32_e64 s[0:1], 1, v18
	s_andn2_b64 vcc, exec, s[42:43]
	s_cbranch_vccnz .LBB430_10
; %bb.9:                                ;   in Loop: Header=BB430_6 Depth=1
	s_add_i32 s8, s57, 64
	s_add_u32 s8, s60, s8
	s_addc_u32 s9, s61, 0
	s_mul_i32 s11, s8, s44
	s_mul_hi_u32 s42, s8, s45
	s_add_i32 s11, s42, s11
	s_mul_i32 s9, s9, s45
	s_add_i32 s11, s11, s9
	s_mul_i32 s8, s8, s45
	s_add_u32 s8, s8, s54
	s_addc_u32 s9, s11, s52
	s_lshl_b64 s[8:9], s[8:9], 8
	s_add_u32 s8, s16, s8
	s_addc_u32 s9, s17, s9
.LBB430_10:                             ;   in Loop: Header=BB430_6 Depth=1
	v_perm_b32 v19, v97, v4, s41
	v_perm_b32 v18, v3, v2, s41
	;; [unrolled: 1-line block ×4, first 2 shown]
	ds_write_b64 v66, v[18:19]
	ds_write_b64 v67, v[20:21]
	;; [unrolled: 1-line block ×4, first 2 shown]
	v_perm_b32 v19, v99, v12, s41
	v_perm_b32 v18, v11, v10, s41
	v_perm_b32 v21, v98, v16, s41
	v_perm_b32 v20, v15, v14, s41
	ds_write_b64 v68, v[18:19]
	ds_write_b64 v69, v[20:21]
	ds_write_b64 v72, v[18:19]
	ds_write_b64 v73, v[20:21]
	s_waitcnt lgkmcnt(0)
	s_barrier
	ds_read_b64 v[22:23], v74 offset:24576
	ds_read2_b64 v[18:21], v75 offset1:16
	ds_read_b64 v[26:27], v77 offset:3072
	ds_read_b64 v[28:29], v75 offset:3072
	;; [unrolled: 1-line block ×3, first 2 shown]
	s_waitcnt lgkmcnt(3)
	v_mfma_f32_16x16x16_bf16 a[0:3], v[22:23], v[18:19], 0
	s_add_i32 s11, s57, 63
	s_mul_i32 s42, s11, s37
	s_mul_hi_u32 s43, s11, s36
	v_mfma_f32_16x16x16_bf16 a[4:7], v[22:23], v[20:21], 0
	ds_read2st64_b64 v[18:21], v75 offset0:2 offset1:4
	ds_read2st64_b64 v[22:25], v77 offset0:2 offset1:4
	s_add_i32 s43, s43, s42
	s_waitcnt lgkmcnt(1)
	v_mfma_f32_16x16x16_bf16 a[0:3], v[30:31], v[18:19], a[0:3]
	s_mul_i32 s42, s11, s36
	s_lshl_b64 s[42:43], s[42:43], 2
	s_add_u32 s42, s14, s42
	s_waitcnt lgkmcnt(0)
	v_mfma_f32_16x16x16_bf16 a[4:7], v[30:31], v[22:23], a[4:7]
	ds_read_b64 v[18:19], v78 offset:24576
	ds_read_b64 v[22:23], v79 offset:24576
	s_addc_u32 s43, s15, s43
	s_and_b64 vcc, exec, s[0:1]
	s_waitcnt lgkmcnt(1)
	v_mfma_f32_16x16x16_bf16 a[0:3], v[18:19], v[20:21], a[0:3]
	v_mov_b32_e32 v102, 0
	v_mov_b32_e32 v101, 0
	;; [unrolled: 1-line block ×3, first 2 shown]
	v_mfma_f32_16x16x16_bf16 a[4:7], v[18:19], v[24:25], a[4:7]
	v_mov_b32_e32 v18, 0
	v_mov_b32_e32 v19, 0
	;; [unrolled: 1-line block ×3, first 2 shown]
	s_waitcnt lgkmcnt(0)
	v_mfma_f32_16x16x16_bf16 a[0:3], v[22:23], v[28:29], a[0:3]
	v_mov_b32_e32 v21, 0
	v_mov_b32_e32 v24, 0
	;; [unrolled: 1-line block ×3, first 2 shown]
	v_mfma_f32_16x16x16_bf16 a[4:7], v[22:23], v[26:27], a[4:7]
	v_mov_b32_e32 v22, 0
	v_mov_b32_e32 v23, 0
	;; [unrolled: 1-line block ×10, first 2 shown]
	s_cbranch_vccnz .LBB430_12
; %bb.11:                               ;   in Loop: Header=BB430_6 Depth=1
	s_and_b32 s5, s5, 0xffff
	buffer_load_dwordx4 v[30:33], v13, s[4:7], 0 offen
	buffer_load_dwordx4 v[26:29], v13, s[4:7], s56 offen
	;; [unrolled: 1-line block ×4, first 2 shown]
	v_mov_b32_e32 v101, v64
	v_mov_b32_e32 v100, v65
.LBB430_12:                             ;   in Loop: Header=BB430_6 Depth=1
	ds_read_b64 v[38:39], v74 offset:32768
	ds_read2_b64 v[34:37], v80 offset1:16
	ds_read_b64 v[42:43], v76 offset:32768
	ds_read_b64 v[44:45], v78 offset:32768
	;; [unrolled: 1-line block ×3, first 2 shown]
	v_add_u32_e32 v103, s57, v91
	s_waitcnt lgkmcnt(3)
	v_mfma_f32_16x16x16_bf16 a[0:3], v[38:39], v[34:35], a[0:3]
	v_mfma_f32_16x16x16_bf16 a[4:7], v[38:39], v[36:37], a[4:7]
	ds_read2st64_b64 v[34:37], v80 offset0:2 offset1:4
	ds_read2st64_b64 v[38:41], v81 offset0:2 offset1:4
	s_waitcnt lgkmcnt(1)
	v_mfma_f32_16x16x16_bf16 a[0:3], v[42:43], v[34:35], a[0:3]
	ds_read_b64 v[34:35], v80 offset:3072
	ds_read_b64 v[48:49], v81 offset:3072
	s_waitcnt lgkmcnt(2)
	v_mfma_f32_16x16x16_bf16 a[4:7], v[42:43], v[38:39], a[4:7]
	v_ashrrev_i32_e32 v38, 31, v103
	v_mul_lo_u32 v39, v103, s37
	v_mul_lo_u32 v38, v38, s36
	v_mfma_f32_16x16x16_bf16 a[0:3], v[44:45], v[36:37], a[0:3]
	v_mad_u64_u32 v[36:37], s[4:5], v103, s36, 0
	v_add3_u32 v37, v37, v39, v38
	v_lshl_add_u64 v[36:37], v[36:37], 2, s[14:15]
	global_load_dword v42, v[36:37], off
	v_add_u32_e32 v36, 1, v103
	v_ashrrev_i32_e32 v37, 31, v36
	s_waitcnt lgkmcnt(1)
	v_mfma_f32_16x16x16_bf16 a[0:3], v[46:47], v[34:35], a[0:3]
	v_mul_lo_u32 v37, v37, s36
	v_mul_lo_u32 v38, v36, s37
	v_mad_u64_u32 v[34:35], s[4:5], v36, s36, 0
	v_add_u32_e32 v36, 2, v103
	v_add3_u32 v35, v35, v38, v37
	v_ashrrev_i32_e32 v37, 31, v36
	v_mul_lo_u32 v38, v37, s36
	v_mul_lo_u32 v39, v36, s37
	v_mad_u64_u32 v[36:37], s[4:5], v36, s36, 0
	v_add3_u32 v37, v37, v39, v38
	v_add_u32_e32 v38, 3, v103
	v_ashrrev_i32_e32 v39, 31, v38
	v_mfma_f32_16x16x16_bf16 a[4:7], v[44:45], v[40:41], a[4:7]
	v_mul_lo_u32 v40, v39, s36
	v_mul_lo_u32 v41, v38, s37
	v_mad_u64_u32 v[38:39], s[4:5], v38, s36, 0
	s_add_u32 s4, s2, s57
	s_addc_u32 s5, s3, 0
	s_lshl_b64 s[4:5], s[4:5], 8
	v_add3_u32 v39, v39, v41, v40
	v_lshl_add_u64 v[40:41], v[52:53], 0, s[4:5]
	v_lshl_add_u64 v[34:35], v[34:35], 2, s[14:15]
	;; [unrolled: 1-line block ×4, first 2 shown]
	global_load_ushort v44, v[40:41], off
	global_load_ushort v43, v[40:41], off offset:256
	global_load_ushort v103, v[40:41], off offset:800
	;; [unrolled: 1-line block ×7, first 2 shown]
	v_lshl_add_u64 v[38:39], v[38:39], 2, s[14:15]
	global_load_dword v108, v[34:35], off
	global_load_dword v109, v[36:37], off
	;; [unrolled: 1-line block ×3, first 2 shown]
	s_load_dword s4, s[42:43], 0x0
	s_waitcnt lgkmcnt(0)
	v_mfma_f32_16x16x16_bf16 a[4:7], v[46:47], v[48:49], a[4:7]
	v_accvgpr_read_b32 v39, a1
	v_accvgpr_read_b32 v35, a3
	;; [unrolled: 1-line block ×4, first 2 shown]
	s_and_b64 vcc, exec, s[0:1]
	s_waitcnt vmcnt(11)
	v_sub_f32_e32 v48, s4, v42
	v_exp_f32_e32 v48, v48
	v_accvgpr_read_b32 v41, a5
	v_accvgpr_read_b32 v40, a4
	;; [unrolled: 1-line block ×4, first 2 shown]
	s_waitcnt vmcnt(10)
	v_lshlrev_b32_e32 v42, 16, v44
	s_waitcnt vmcnt(9)
	v_lshlrev_b32_e32 v43, 16, v43
	v_pk_add_f32 v[38:39], v[42:43], v[38:39] neg_lo:[0,1] neg_hi:[0,1]
	s_waitcnt vmcnt(7)
	v_lshlrev_b32_e32 v45, 16, v45
	v_mov_b32_e32 v42, 0
	s_waitcnt vmcnt(5)
	v_lshlrev_b32_e32 v44, 16, v104
	s_waitcnt vmcnt(4)
	v_lshlrev_b32_e32 v47, 16, v105
	s_waitcnt vmcnt(2)
	v_sub_f32_e32 v49, s4, v108
	s_waitcnt vmcnt(1)
	v_sub_f32_e32 v104, s4, v109
	;; [unrolled: 2-line block ×3, first 2 shown]
	v_exp_f32_e32 v49, v49
	v_exp_f32_e32 v104, v104
	;; [unrolled: 1-line block ×3, first 2 shown]
	v_pk_add_f32 v[34:35], v[44:45], v[34:35] neg_lo:[0,1] neg_hi:[0,1]
	v_lshlrev_b32_e32 v46, 16, v107
	v_pk_mul_f32 v[38:39], v[48:49], v[38:39]
	v_pk_mul_f32 v[34:35], v[104:105], v[34:35]
	v_mov_b32_e32 v43, 0
	v_perm_b32 v35, v35, v34, s41
	v_perm_b32 v34, v39, v38, s41
	v_pk_add_f32 v[38:39], v[46:47], v[40:41] neg_lo:[0,1] neg_hi:[0,1]
	v_lshlrev_b32_e32 v41, 16, v103
	v_lshlrev_b32_e32 v40, 16, v106
	v_pk_add_f32 v[36:37], v[40:41], v[36:37] neg_lo:[0,1] neg_hi:[0,1]
	v_pk_mul_f32 v[38:39], v[48:49], v[38:39]
	v_pk_mul_f32 v[36:37], v[104:105], v[36:37]
	v_mov_b32_e32 v103, 0
	v_perm_b32 v37, v37, v36, s41
	v_perm_b32 v36, v39, v38, s41
	ds_write2_b64 v67, v[34:35], v[36:37] offset1:16
	v_mov_b32_e32 v34, 0
	v_mov_b32_e32 v35, 0
	;; [unrolled: 1-line block ×14, first 2 shown]
	s_cbranch_vccnz .LBB430_14
; %bb.13:                               ;   in Loop: Header=BB430_6 Depth=1
	s_and_b32 s9, s9, 0xffff
	s_mov_b32 s11, s7
	buffer_load_dwordx4 v[46:49], v89, s[8:11], 0 offen
	buffer_load_dwordx4 v[38:41], v89, s[8:11], s56 offen
	;; [unrolled: 1-line block ×4, first 2 shown]
	v_mov_b32_e32 v102, v9
	v_mov_b32_e32 v103, v5
.LBB430_14:                             ;   in Loop: Header=BB430_6 Depth=1
	s_waitcnt lgkmcnt(0)
	s_barrier
	ds_read_b64 v[108:109], v92
	ds_read_b64 v[116:117], v85
	;; [unrolled: 1-line block ×5, first 2 shown]
	ds_read_b64 v[122:123], v86 offset:16384
	ds_read_b64 v[124:125], v84 offset:16384
	ds_read2_b64 v[104:107], v80 offset0:16 offset1:128
	s_waitcnt lgkmcnt(6)
	v_mfma_f32_16x16x16_bf16 a[0:3], v[108:109], v[116:117], 0
	ds_read_b64 v[126:127], v81 offset:3072
	ds_read_b64 v[128:129], v88 offset:16384
	s_add_i32 s5, s53, s63
	s_waitcnt lgkmcnt(2)
	v_mfma_f32_16x16x16_bf16 a[4:7], v[108:109], v[104:105], 0
	ds_read2st64_b64 v[108:111], v81 offset0:2 offset1:4
	s_mul_hi_i32 s9, s5, s25
	s_mul_i32 s5, s5, s25
	v_mfma_f32_16x16x16_bf16 a[0:3], v[112:113], v[106:107], a[0:3]
	s_add_u32 s8, s5, s33
	s_addc_u32 s9, s9, s50
	s_lshl_b64 s[8:9], s[8:9], 15
	s_waitcnt lgkmcnt(0)
	v_mfma_f32_16x16x16_bf16 a[4:7], v[112:113], v[108:109], a[4:7]
	ds_read2st64_b64 v[112:115], v80 offset0:4 offset1:6
	s_waitcnt lgkmcnt(0)
	v_mfma_f32_16x16x16_bf16 a[0:3], v[118:119], v[112:113], a[0:3]
	v_mfma_f32_16x16x16_bf16 a[8:11], v[118:119], v[110:111], a[4:7]
	;; [unrolled: 1-line block ×5, first 2 shown]
	ds_read2st64_b64 v[116:119], v83 offset1:8
	v_mfma_f32_16x16x16_bf16 a[12:15], v[124:125], v[104:105], 0
	ds_read_b64 v[124:125], v87 offset:16384
	v_mfma_f32_16x16x16_bf16 a[8:11], v[122:123], v[106:107], a[8:11]
	ds_read2st64_b64 v[104:107], v82 offset1:8
	s_waitcnt lgkmcnt(0)
	v_mov_b32_e32 v120, v104
	v_mfma_f32_16x16x16_bf16 a[12:15], v[122:123], v[108:109], a[12:15]
	v_lshl_add_u64 v[108:109], v[54:55], 0, s[8:9]
	v_add_co_u32_e32 v104, vcc, s13, v108
	v_mfma_f32_16x16x16_bf16 a[8:11], v[124:125], v[112:113], a[8:11]
	v_mov_b32_e32 v121, v105
	v_addc_co_u32_e32 v105, vcc, 0, v109, vcc
	v_mfma_f32_16x16x16_bf16 a[12:15], v[124:125], v[110:111], a[12:15]
	v_mov_b32_e32 v122, v116
	v_mov_b32_e32 v123, v117
	;; [unrolled: 1-line block ×3, first 2 shown]
	v_mfma_f32_16x16x16_bf16 a[8:11], v[128:129], v[114:115], a[8:11]
	v_mov_b32_e32 v117, v107
	s_and_b64 vcc, exec, s[0:1]
	global_store_dwordx4 v[108:109], v[120:123], off
	v_mfma_f32_16x16x16_bf16 a[12:15], v[128:129], v[126:127], a[12:15]
	global_store_dwordx4 v[104:105], v[116:119], off
	s_cbranch_vccnz .LBB430_16
; %bb.15:                               ;   in Loop: Header=BB430_6 Depth=1
	v_lshrrev_b32_e32 v104, 3, v102
	v_and_b32_e32 v104, 6, v104
	v_xor_b32_e32 v103, v104, v103
	v_lshlrev_b32_e32 v103, 2, v103
	v_and_b32_e32 v102, 8, v102
	v_xor_b32_e32 v105, 0x440, v103
	v_cmp_eq_u32_e32 vcc, 0, v102
	s_barrier
	s_nop 0
	v_cndmask_b32_e32 v102, v105, v103, vcc
	v_lshl_or_b32 v102, v104, 10, v102
	s_waitcnt vmcnt(3)
	v_perm_b32 v103, v46, v42, s58
	s_waitcnt vmcnt(2)
	v_perm_b32 v104, v38, v34, s58
	ds_write2st64_b32 v102, v103, v104 offset0:32 offset1:64
	v_xor_b32_e32 v103, 8, v102
	v_perm_b32 v42, v46, v42, s59
	v_perm_b32 v34, v38, v34, s59
	v_add_u32_e32 v38, 0x80, v103
	ds_write2st64_b32 v38, v42, v34 offset0:32 offset1:64
	v_xor_b32_e32 v34, 16, v102
	v_perm_b32 v38, v47, v43, s58
	v_perm_b32 v42, v39, v35, s58
	ds_write2st64_b32 v34, v38, v42 offset0:33 offset1:65
	v_xor_b32_e32 v34, 24, v102
	v_perm_b32 v38, v47, v43, s59
	v_perm_b32 v35, v39, v35, s59
	v_add_u32_e32 v34, 0x80, v34
	ds_write2st64_b32 v34, v38, v35 offset0:33 offset1:65
	v_xor_b32_e32 v34, 32, v102
	v_perm_b32 v35, v48, v44, s58
	;; [unrolled: 9-line block ×3, first 2 shown]
	v_perm_b32 v36, v41, v37, s58
	ds_write2st64_b32 v34, v35, v36 offset0:35 offset1:67
	v_xor_b32_e32 v34, 56, v102
	v_perm_b32 v35, v49, v45, s59
	v_perm_b32 v36, v41, v37, s59
	v_add_u32_e32 v34, 0x80, v34
	ds_write2st64_b32 v34, v35, v36 offset0:35 offset1:67
	ds_write_b64 v101, v[30:31] offset:24576
	v_xor_b32_e32 v30, 8, v101
	ds_write_b64 v30, v[32:33] offset:24576
	ds_write_b64 v101, v[26:27] offset:32768
	;; [unrolled: 1-line block ×4, first 2 shown]
	v_xor_b32_e32 v22, 8, v100
	ds_write_b64 v22, v[24:25] offset:24576
	ds_write_b64 v100, v[18:19] offset:32768
	;; [unrolled: 1-line block ×3, first 2 shown]
.LBB430_16:                             ;   in Loop: Header=BB430_6 Depth=1
	s_waitcnt vmcnt(2)
	v_exp_f32_e32 v34, s4
	v_accvgpr_read_b32 v33, a7
	v_accvgpr_read_b32 v25, a3
	;; [unrolled: 1-line block ×16, first 2 shown]
	s_add_i32 s57, s57, 64
	v_fma_f32 v2, v2, v34, v30
	v_fma_f32 v3, v3, v34, v31
	v_fma_f32 v4, v4, v34, v32
	v_fmac_f32_e32 v33, v97, v34
	v_fma_f32 v10, v10, v34, v22
	v_fma_f32 v11, v11, v34, v23
	v_fma_f32 v12, v12, v34, v24
	v_fmac_f32_e32 v25, v99, v34
	;; [unrolled: 4-line block ×3, first 2 shown]
	v_fma_f32 v14, v14, v34, v18
	v_fma_f32 v15, v15, v34, v19
	;; [unrolled: 1-line block ×3, first 2 shown]
	s_cmp_eq_u32 s51, s62
	v_fmac_f32_e32 v21, v98, v34
	s_cbranch_scc1 .LBB430_18
; %bb.17:                               ;   in Loop: Header=BB430_6 Depth=1
	s_mov_b32 s63, s62
	v_mov_b32_e32 v97, v33
	v_mov_b32_e32 v96, v29
	;; [unrolled: 1-line block ×4, first 2 shown]
	s_branch .LBB430_6
.LBB430_18:
	v_mov_b32_e32 v5, v33
	v_mov_b32_e32 v9, v29
	;; [unrolled: 1-line block ×4, first 2 shown]
.LBB430_19:
	s_lshl_b32 s50, s51, 6
	s_sub_i32 s52, s24, s50
	s_cmp_gt_i32 s52, 0
	v_or_b32_e32 v34, s40, v60
	s_cbranch_scc1 .LBB430_21
; %bb.20:
	s_ashr_i32 s0, s33, 31
	s_add_u32 s8, s47, s33
	s_addc_u32 s9, s55, s0
	v_or_b32_e32 v18, s40, v60
	s_cbranch_execz .LBB430_22
	s_branch .LBB430_86
.LBB430_21:
                                        ; implicit-def: $sgpr8_sgpr9
                                        ; implicit-def: $vgpr18
.LBB430_22:
	s_ashr_i32 s13, s49, 31
	s_ashr_i32 s2, s50, 31
	s_cmpk_lg_i32 s27, 0x80
	s_cselect_b64 s[42:43], -1, 0
	s_and_b64 vcc, exec, s[42:43]
	s_cbranch_vccz .LBB430_24
; %bb.23:
	s_mul_i32 s1, s49, s24
	s_mul_hi_i32 s0, s49, s24
	s_add_u32 s1, s1, s50
	s_addc_u32 s0, s0, s2
	s_mul_i32 s3, s1, s44
	s_mul_hi_u32 s4, s1, s26
	s_add_i32 s3, s4, s3
	s_mul_i32 s0, s0, s26
	s_add_i32 s3, s3, s0
	s_mul_i32 s1, s1, s26
	s_ashr_i32 s0, s54, 31
	s_add_u32 s44, s1, s54
	s_addc_u32 s45, s3, s0
	s_cbranch_execz .LBB430_25
	s_branch .LBB430_26
.LBB430_24:
                                        ; implicit-def: $sgpr44_sgpr45
.LBB430_25:
	s_mul_hi_i32 s0, s49, s26
	s_mul_i32 s49, s49, s26
	s_ashr_i32 s1, s54, 31
	s_add_u32 s3, s49, s54
	s_addc_u32 s0, s0, s1
	s_mul_i32 s1, s3, s48
	s_mul_hi_u32 s4, s3, s24
	s_add_i32 s1, s4, s1
	s_mul_i32 s0, s0, s24
	s_add_i32 s1, s1, s0
	s_mul_i32 s3, s3, s24
	s_add_u32 s44, s3, s50
	s_addc_u32 s45, s1, s2
.LBB430_26:
	s_add_i32 s3, s53, s51
	s_ashr_i32 s26, s33, 31
	s_add_u32 s8, s47, s33
	s_addc_u32 s9, s55, s26
	s_mul_i32 s0, s8, s48
	s_mul_hi_u32 s1, s8, s24
	s_add_i32 s0, s1, s0
	s_mul_i32 s1, s9, s24
	s_add_i32 s1, s0, s1
	s_mul_i32 s0, s8, s24
	s_add_u32 s0, s0, s50
	v_lshlrev_b32_e32 v22, 5, v1
	v_lshlrev_b32_e32 v40, 2, v60
	s_addc_u32 s1, s1, s2
	s_mov_b32 s2, 0x7060302
	v_or_b32_e32 v25, v22, v40
	v_xor_b32_e32 v23, v1, v40
	v_perm_b32 v19, v5, v4, s2
	v_perm_b32 v18, v3, v2, s2
	;; [unrolled: 1-line block ×4, first 2 shown]
	v_lshlrev_b32_e32 v25, 1, v25
	s_lshl_b64 s[10:11], s[0:1], 8
	v_xor_b32_e32 v24, v63, v40
	ds_write2st64_b64 v25, v[18:19], v[20:21] offset0:80 offset1:88
	v_lshlrev_b32_e32 v23, 1, v23
	v_lshlrev_b32_e32 v25, 8, v60
	s_add_u32 s0, s18, s10
	v_or_b32_e32 v26, v23, v25
	v_lshlrev_b32_e32 v24, 1, v24
	s_addc_u32 s1, s19, s11
	ds_write_b64 v26, v[18:19]
	v_or_b32_e32 v18, v24, v25
	v_or_b32_e32 v25, 16, v60
	s_mul_hi_i32 s4, s3, s25
	s_mul_i32 s3, s3, s25
	ds_write_b64 v18, v[20:21]
	v_perm_b32 v19, v13, v12, s2
	v_perm_b32 v18, v11, v10, s2
	v_perm_b32 v21, v17, v16, s2
	v_perm_b32 v20, v15, v14, s2
	v_lshlrev_b32_e32 v37, 2, v25
	s_add_u32 s2, s3, s33
	v_or_b32_e32 v22, v22, v37
	s_addc_u32 s3, s4, s26
	v_lshlrev_b32_e32 v22, 1, v22
	s_ashr_i32 s41, s40, 31
	s_lshl_b64 s[2:3], s[2:3], 15
	ds_write2st64_b64 v22, v[18:19], v[20:21] offset0:80 offset1:88
	v_lshlrev_b32_e32 v22, 8, v25
	s_waitcnt lgkmcnt(0)
	s_add_u32 s4, s38, s2
	v_or_b32_e32 v23, v23, v22
	s_addc_u32 s5, s39, s3
	s_lshl_b64 s[2:3], s[40:41], 8
	ds_write_b64 v23, v[18:19]
	v_or_b32_e32 v18, v24, v22
	s_add_u32 s2, s4, s2
	ds_write_b64 v18, v[20:21]
	v_lshrrev_b32_e32 v18, 4, v0
	s_addc_u32 s3, s5, s3
	v_lshlrev_b32_e32 v19, 1, v60
	v_lshlrev_b32_e32 v26, 4, v60
	v_mov_b32_e32 v27, 0
	v_or_b32_e32 v20, 1, v19
	v_xor_b32_e32 v19, v18, v19
	v_lshl_add_u64 v[28:29], s[2:3], 0, v[26:27]
	v_lshlrev_b32_e32 v26, 8, v18
	v_xor_b32_e32 v22, v20, v18
	v_lshl_or_b32 v18, v19, 3, v26
	s_waitcnt lgkmcnt(0)
	s_barrier
	ds_read2st64_b64 v[18:21], v18 offset1:8
	v_lshl_or_b32 v22, v22, 3, v26
	ds_read2st64_b64 v[22:25], v22 offset1:8
	v_lshl_add_u64 v[30:31], v[28:29], 0, v[26:27]
	s_movk_i32 s2, 0x1000
	s_waitcnt lgkmcnt(1)
	v_mov_b32_e32 v26, v18
	v_add_co_u32_e32 v18, vcc, s2, v30
	s_cmp_lg_u32 s52, 64
	v_mov_b32_e32 v27, v19
	v_addc_co_u32_e32 v19, vcc, 0, v31, vcc
	s_cselect_b64 s[14:15], -1, 0
	v_lshl_or_b32 v35, v56, 3, v62
	s_waitcnt lgkmcnt(0)
	v_mov_b32_e32 v28, v22
	v_mov_b32_e32 v29, v23
	;; [unrolled: 1-line block ×4, first 2 shown]
	s_mov_b32 s4, 0
	v_or_b32_e32 v38, 32, v35
	v_and_b32_e32 v36, 56, v61
	s_and_b64 vcc, exec, s[14:15]
	global_store_dwordx4 v[30:31], v[26:29], off
	global_store_dwordx4 v[18:19], v[22:25], off
	s_cbranch_vccz .LBB430_32
; %bb.27:
	s_mov_b32 s6, s4
	s_mov_b32 s7, s4
	;; [unrolled: 1-line block ×3, first 2 shown]
	v_mov_b64_e32 v[24:25], s[6:7]
	v_mov_b64_e32 v[22:23], s[4:5]
	;; [unrolled: 1-line block ×3, first 2 shown]
	v_cmp_gt_i32_e32 vcc, s52, v35
	v_mov_b64_e32 v[20:21], v[24:25]
	s_and_saveexec_b64 s[2:3], vcc
	s_cbranch_execz .LBB430_29
; %bb.28:
	v_lshlrev_b32_e32 v18, 8, v35
	v_mov_b32_e32 v19, 0
	v_lshl_add_u64 v[20:21], s[0:1], 0, v[18:19]
	v_lshlrev_b32_e32 v18, 1, v36
	v_lshl_add_u64 v[26:27], v[20:21], 0, v[18:19]
	global_load_dwordx4 v[22:25], v[26:27], off
	global_load_dwordx4 v[18:21], v[26:27], off offset:128
.LBB430_29:
	s_or_b64 exec, exec, s[2:3]
	s_mov_b32 s6, s4
	s_mov_b32 s7, s4
	;; [unrolled: 1-line block ×3, first 2 shown]
	v_mov_b64_e32 v[32:33], s[6:7]
	v_mov_b64_e32 v[30:31], s[4:5]
	;; [unrolled: 1-line block ×3, first 2 shown]
	v_cmp_gt_i32_e32 vcc, s52, v38
	v_lshlrev_b32_e32 v39, 7, v38
	v_mov_b64_e32 v[28:29], v[32:33]
	s_and_saveexec_b64 s[2:3], vcc
	s_cbranch_execz .LBB430_31
; %bb.30:
	v_lshlrev_b32_e32 v26, 1, v39
	v_mov_b32_e32 v27, 0
	v_lshl_add_u64 v[28:29], s[0:1], 0, v[26:27]
	v_lshlrev_b32_e32 v26, 1, v36
	v_lshl_add_u64 v[42:43], v[28:29], 0, v[26:27]
	global_load_dwordx4 v[30:33], v[42:43], off
	global_load_dwordx4 v[26:29], v[42:43], off offset:128
.LBB430_31:
	s_or_b64 exec, exec, s[2:3]
	v_lshrrev_b32_e32 v41, 3, v36
	v_lshlrev_b32_e32 v42, 3, v35
	v_or_b32_e32 v41, v42, v41
	v_lshlrev_b32_e32 v41, 4, v41
	v_and_b32_e32 v42, 0x78, v42
	v_xor_b32_e32 v41, v41, v42
	s_branch .LBB430_34
.LBB430_32:
                                        ; implicit-def: $vgpr41
                                        ; implicit-def: $vgpr39
                                        ; implicit-def: $vgpr22_vgpr23_vgpr24_vgpr25
                                        ; implicit-def: $vgpr18_vgpr19_vgpr20_vgpr21
                                        ; implicit-def: $vgpr30_vgpr31_vgpr32_vgpr33
                                        ; implicit-def: $vgpr26_vgpr27_vgpr28_vgpr29
	s_cbranch_execz .LBB430_34
; %bb.33:
	s_waitcnt vmcnt(0)
	v_lshlrev_b32_e32 v18, 1, v36
	v_lshl_or_b32 v39, v35, 8, v18
	s_and_b32 s1, s1, 0xffff
	s_mov_b32 s3, 0x20000
	s_movk_i32 s2, 0x4000
	v_lshl_or_b32 v41, v38, 8, v18
	s_movk_i32 s4, 0x80
	buffer_load_dwordx4 v[22:25], v39, s[0:3], 0 offen
	buffer_load_dwordx4 v[18:21], v39, s[0:3], s4 offen
	;; [unrolled: 1-line block ×4, first 2 shown]
	v_lshrrev_b32_e32 v39, 3, v36
	v_lshlrev_b32_e32 v41, 3, v35
	v_or_b32_e32 v39, v41, v39
	v_lshlrev_b32_e32 v39, 4, v39
	v_and_b32_e32 v41, 0x78, v41
	v_xor_b32_e32 v41, v39, v41
	v_lshlrev_b32_e32 v39, 7, v38
.LBB430_34:
	s_lshl_b64 s[0:1], s[44:45], 8
	s_add_u32 s4, s16, s0
	s_movk_i32 s0, 0x1000
	v_and_or_b32 v38, v39, s0, v41
	s_waitcnt vmcnt(1)
	ds_write_b64 v41, v[22:23] offset:24576
	v_xor_b32_e32 v22, 8, v41
	ds_write_b64 v22, v[24:25] offset:24576
	s_waitcnt vmcnt(0)
	ds_write_b64 v41, v[18:19] offset:32768
	ds_write_b64 v22, v[20:21] offset:32768
	;; [unrolled: 1-line block ×3, first 2 shown]
	v_xor_b32_e32 v18, 8, v38
	ds_write_b64 v18, v[32:33] offset:24576
	ds_write_b64 v38, v[26:27] offset:32768
	;; [unrolled: 1-line block ×3, first 2 shown]
	v_or_b32_e32 v18, v57, v60
	v_lshlrev_b32_e32 v18, 3, v18
	v_lshrrev_b32_e32 v19, 5, v58
	s_movk_i32 s7, 0xf8
	v_and_or_b32 v19, v18, s7, v19
	v_lshlrev_b32_e32 v23, 4, v19
	v_lshlrev_b32_e32 v41, 11, v56
	v_and_b32_e32 v24, 0x78, v18
	v_or_b32_e32 v26, 32, v23
	v_and_b32_e32 v22, 0x1000, v41
	v_lshrrev_b32_e32 v19, 1, v58
	v_xor_b32_e32 v26, v26, v24
	v_xor_b32_e32 v18, v23, v24
	v_and_b32_e32 v25, 8, v19
	v_or_b32_e32 v26, v26, v22
	v_or_b32_e32 v18, v18, v22
	v_xor_b32_e32 v45, v26, v25
	v_or_b32_e32 v26, 64, v23
	v_xor_b32_e32 v44, v18, v25
	v_xor_b32_e32 v26, v26, v24
	s_waitcnt lgkmcnt(0)
	s_barrier
	v_or_b32_e32 v28, v26, v22
	ds_read_b64 v[26:27], v44 offset:24576
	v_lshl_or_b32 v38, v59, 7, v40
	v_lshlrev_b32_e32 v42, 1, v38
	v_add_u32_e32 v18, 0xa000, v42
	ds_read2_b64 v[18:21], v18 offset1:16
	v_or_b32_e32 v23, 0x60, v23
	v_xor_b32_e32 v23, v23, v24
	s_waitcnt lgkmcnt(0)
	v_mfma_f32_16x16x16_bf16 a[0:3], v[26:27], v[18:19], 0
	v_or_b32_e32 v18, 64, v38
	v_or_b32_e32 v22, v23, v22
	v_lshlrev_b32_e32 v43, 1, v18
	v_xor_b32_e32 v46, v28, v25
	v_xor_b32_e32 v47, v22, v25
	ds_read_b64 v[28:29], v45 offset:24576
	ds_read_b64 v[30:31], v46 offset:24576
	;; [unrolled: 1-line block ×3, first 2 shown]
	v_mfma_f32_16x16x16_bf16 a[4:7], v[26:27], v[20:21], 0
	ds_read2st64_b64 v[18:21], v43 offset0:82 offset1:84
	ds_read2st64_b64 v[22:25], v42 offset0:82 offset1:84
	s_addc_u32 s5, s17, s1
	s_add_i32 s2, s24, -1
	s_add_i32 s0, s46, s29
	s_mul_i32 s13, s13, s28
	s_add_i32 s13, s0, s13
	s_mul_i32 s0, s33, s31
	s_mul_hi_u32 s1, s33, s30
	s_ashr_i32 s3, s2, 31
	s_mul_i32 s6, s2, s37
	s_mul_hi_u32 s7, s2, s36
	s_add_i32 s0, s1, s0
	s_mul_i32 s1, s26, s30
	s_add_i32 s6, s7, s6
	s_mul_i32 s3, s3, s36
	s_waitcnt lgkmcnt(1)
	v_mfma_f32_16x16x16_bf16 a[4:7], v[28:29], v[18:19], a[4:7]
	s_add_i32 s1, s0, s1
	s_add_i32 s3, s6, s3
	s_lshl_b64 s[6:7], s[12:13], 2
	s_waitcnt lgkmcnt(0)
	v_mfma_f32_16x16x16_bf16 a[0:3], v[28:29], v[22:23], a[0:3]
	s_mul_i32 s0, s33, s30
	s_add_u32 s6, s22, s6
	s_addc_u32 s7, s23, s7
	s_lshl_b64 s[0:1], s[0:1], 2
	s_mul_i32 s2, s2, s36
	s_add_u32 s12, s6, s0
	ds_read_b64 v[18:19], v42 offset:44032
	v_mfma_f32_16x16x16_bf16 a[4:7], v[30:31], v[20:21], a[4:7]
	ds_read_b64 v[20:21], v43 offset:44032
	s_addc_u32 s13, s7, s1
	s_lshl_b64 s[0:1], s[2:3], 2
	v_mfma_f32_16x16x16_bf16 a[0:3], v[30:31], v[24:25], a[0:3]
	s_add_u32 s0, s12, s0
	s_addc_u32 s1, s13, s1
	s_load_dword s16, s[0:1], 0x0
	s_waitcnt lgkmcnt(0)
	v_mfma_f32_16x16x16_bf16 a[0:3], v[32:33], v[18:19], a[0:3]
	s_and_b64 vcc, exec, s[42:43]
	v_mfma_f32_16x16x16_bf16 a[4:7], v[32:33], v[20:21], a[4:7]
	s_cbranch_vccz .LBB430_45
; %bb.35:
	v_lshlrev_b32_e32 v38, 1, v35
	s_and_b64 vcc, exec, s[14:15]
	s_cbranch_vccz .LBB430_46
; %bb.36:
	v_cmp_gt_i32_e32 vcc, s52, v38
	v_mov_b32_e32 v22, 0
	v_mov_b32_e32 v18, 0
	;; [unrolled: 1-line block ×5, first 2 shown]
	s_and_saveexec_b64 s[0:1], vcc
	s_cbranch_execz .LBB430_38
; %bb.37:
	v_mad_i64_i32 v[18:19], s[2:3], s27, v38, 0
	v_lshl_add_u64 v[18:19], v[18:19], 1, s[4:5]
	v_lshlrev_b32_e32 v20, 1, v36
	v_mov_b32_e32 v21, 0
	v_lshl_add_u64 v[18:19], v[18:19], 0, v[20:21]
	global_load_dwordx4 v[18:21], v[18:19], off
.LBB430_38:
	s_or_b64 exec, exec, s[0:1]
	v_or_b32_e32 v39, 1, v38
	v_cmp_gt_i32_e64 s[0:1], s52, v39
	v_mov_b32_e32 v23, 0
	v_mov_b32_e32 v24, 0
	;; [unrolled: 1-line block ×3, first 2 shown]
	s_and_saveexec_b64 s[2:3], s[0:1]
	s_cbranch_execz .LBB430_40
; %bb.39:
	v_mad_i64_i32 v[22:23], s[6:7], s27, v39, 0
	v_lshl_add_u64 v[22:23], v[22:23], 1, s[4:5]
	v_lshlrev_b32_e32 v24, 1, v36
	v_mov_b32_e32 v25, 0
	v_lshl_add_u64 v[22:23], v[22:23], 0, v[24:25]
	global_load_dwordx4 v[22:25], v[22:23], off
.LBB430_40:
	s_or_b64 exec, exec, s[2:3]
	v_mov_b32_e32 v33, 0
	v_mov_b32_e32 v26, 0
	;; [unrolled: 1-line block ×5, first 2 shown]
	s_and_saveexec_b64 s[2:3], vcc
	s_cbranch_execz .LBB430_42
; %bb.41:
	v_mad_i64_i32 v[26:27], s[6:7], s27, v38, 0
	v_lshl_add_u64 v[26:27], v[26:27], 1, s[4:5]
	v_lshlrev_b32_e32 v28, 1, v36
	v_mov_b32_e32 v29, 0
	v_lshl_add_u64 v[26:27], v[26:27], 0, v[28:29]
	global_load_dwordx4 v[26:29], v[26:27], off offset:128
.LBB430_42:
	s_or_b64 exec, exec, s[2:3]
	v_mov_b32_e32 v32, 0
	v_mov_b32_e32 v31, 0
	;; [unrolled: 1-line block ×3, first 2 shown]
	s_and_saveexec_b64 s[2:3], s[0:1]
	s_cbranch_execz .LBB430_44
; %bb.43:
	v_mad_i64_i32 v[30:31], s[0:1], s27, v39, 0
	v_lshl_add_u64 v[30:31], v[30:31], 1, s[4:5]
	v_lshlrev_b32_e32 v32, 1, v36
	v_mov_b32_e32 v33, 0
	v_lshl_add_u64 v[30:31], v[30:31], 0, v[32:33]
	global_load_dwordx4 v[30:33], v[30:31], off offset:128
.LBB430_44:
	s_or_b64 exec, exec, s[2:3]
	s_branch .LBB430_48
.LBB430_45:
                                        ; implicit-def: $vgpr21
                                        ; implicit-def: $vgpr25
                                        ; implicit-def: $vgpr29
                                        ; implicit-def: $vgpr33
	v_lshrrev_b32_e32 v48, 2, v58
	s_branch .LBB430_49
.LBB430_46:
                                        ; implicit-def: $vgpr21
                                        ; implicit-def: $vgpr25
                                        ; implicit-def: $vgpr29
                                        ; implicit-def: $vgpr33
	s_cbranch_execz .LBB430_48
; %bb.47:
	s_waitcnt vmcnt(0)
	v_mad_u64_u32 v[18:19], s[0:1], v38, s27, v[36:37]
	v_lshlrev_b32_e32 v38, 1, v18
	s_lshl_b32 s2, s27, 7
	s_and_b32 s1, s5, 0xffff
	s_mov_b32 s3, 0x20000
	s_mov_b32 s0, s4
	v_add_lshl_u32 v39, v18, s27, 1
	s_movk_i32 s6, 0x80
	buffer_load_dwordx4 v[18:21], v38, s[0:3], 0 offen
	buffer_load_dwordx4 v[26:29], v38, s[0:3], s6 offen
	;; [unrolled: 1-line block ×4, first 2 shown]
.LBB430_48:
	v_lshrrev_b32_e32 v48, 2, v58
	s_cbranch_execnz .LBB430_61
.LBB430_49:
	s_and_b64 vcc, exec, s[14:15]
	s_cbranch_vccz .LBB430_59
; %bb.50:
	s_waitcnt vmcnt(0)
	v_lshlrev_b32_e32 v23, 1, v35
	v_cmp_gt_i32_e32 vcc, s52, v23
	v_mov_b32_e32 v22, 0
	v_lshlrev_b32_e32 v30, 9, v35
	v_mov_b32_e32 v18, 0
	v_mov_b32_e32 v19, 0
	;; [unrolled: 1-line block ×4, first 2 shown]
	s_and_saveexec_b64 s[0:1], vcc
	s_cbranch_execz .LBB430_52
; %bb.51:
	v_mov_b32_e32 v31, 0
	v_lshl_add_u64 v[18:19], s[4:5], 0, v[30:31]
	v_lshlrev_b32_e32 v20, 1, v36
	v_mov_b32_e32 v21, v31
	v_lshl_add_u64 v[18:19], v[18:19], 0, v[20:21]
	global_load_dwordx4 v[18:21], v[18:19], off
.LBB430_52:
	s_or_b64 exec, exec, s[0:1]
	v_or_b32_e32 v23, 1, v23
	v_cmp_gt_i32_e64 s[0:1], s52, v23
	v_lshlrev_b32_e32 v38, 8, v23
	v_mov_b32_e32 v23, 0
	v_mov_b32_e32 v24, 0
	v_mov_b32_e32 v25, 0
	s_and_saveexec_b64 s[2:3], s[0:1]
	s_cbranch_execz .LBB430_54
; %bb.53:
	v_mov_b32_e32 v39, 0
	v_lshl_add_u64 v[22:23], s[4:5], 0, v[38:39]
	v_lshlrev_b32_e32 v24, 1, v36
	v_mov_b32_e32 v25, v39
	v_lshl_add_u64 v[22:23], v[22:23], 0, v[24:25]
	global_load_dwordx4 v[22:25], v[22:23], off
.LBB430_54:
	s_or_b64 exec, exec, s[2:3]
	v_mov_b32_e32 v33, 0
	v_mov_b32_e32 v26, 0
	;; [unrolled: 1-line block ×5, first 2 shown]
	s_and_saveexec_b64 s[2:3], vcc
	s_cbranch_execz .LBB430_56
; %bb.55:
	v_mov_b32_e32 v31, 0
	v_lshl_add_u64 v[26:27], s[4:5], 0, v[30:31]
	v_lshlrev_b32_e32 v30, 1, v36
	v_lshl_add_u64 v[26:27], v[26:27], 0, v[30:31]
	global_load_dwordx4 v[26:29], v[26:27], off offset:128
.LBB430_56:
	s_or_b64 exec, exec, s[2:3]
	v_mov_b32_e32 v32, 0
	v_mov_b32_e32 v31, 0
	;; [unrolled: 1-line block ×3, first 2 shown]
	s_and_saveexec_b64 s[2:3], s[0:1]
	s_cbranch_execz .LBB430_58
; %bb.57:
	v_mov_b32_e32 v39, 0
	v_lshl_add_u64 v[30:31], s[4:5], 0, v[38:39]
	v_lshlrev_b32_e32 v38, 1, v36
	v_lshl_add_u64 v[30:31], v[30:31], 0, v[38:39]
	global_load_dwordx4 v[30:33], v[30:31], off offset:128
.LBB430_58:
	s_or_b64 exec, exec, s[2:3]
	s_branch .LBB430_61
.LBB430_59:
                                        ; implicit-def: $vgpr21
                                        ; implicit-def: $vgpr25
                                        ; implicit-def: $vgpr29
                                        ; implicit-def: $vgpr33
	s_cbranch_execz .LBB430_61
; %bb.60:
	s_waitcnt vmcnt(0)
	v_lshlrev_b32_e32 v18, 1, v36
	v_lshl_or_b32 v36, v35, 9, v18
	s_and_b32 s5, s5, 0xffff
	s_mov_b32 s7, 0x20000
	s_movk_i32 s6, 0x4000
	s_movk_i32 s0, 0x80
	buffer_load_dwordx4 v[18:21], v36, s[4:7], 0 offen
	buffer_load_dwordx4 v[22:25], v36, s[4:7], 0 offen offset:256
	buffer_load_dwordx4 v[26:29], v36, s[4:7], s0 offen
	buffer_load_dwordx4 v[30:33], v36, s[4:7], s0 offen offset:256
.LBB430_61:
	ds_read_b64 v[38:39], v44 offset:32768
	v_add_u32_e32 v36, 0xb000, v42
	ds_read2_b64 v[50:53], v36 offset1:16
	ds_read_b64 v[54:55], v45 offset:32768
	ds_read_b64 v[58:59], v46 offset:32768
	;; [unrolled: 1-line block ×3, first 2 shown]
	v_and_b32_e32 v36, 6, v0
	v_xor_b32_e32 v35, v35, v36
	v_lshlrev_b32_e32 v35, 2, v35
	v_and_b32_e32 v49, 1, v0
	v_cmp_eq_u32_e32 vcc, 0, v49
	s_mov_b32 s0, 0x1000504
	s_waitcnt lgkmcnt(3)
	v_mfma_f32_16x16x16_bf16 a[0:3], v[38:39], v[50:51], a[0:3]
	s_mov_b32 s1, 0x3020706
	v_mfma_f32_16x16x16_bf16 a[4:7], v[38:39], v[52:53], a[4:7]
	ds_read2st64_b64 v[44:47], v42 offset0:90 offset1:92
	ds_read2st64_b64 v[50:53], v43 offset0:90 offset1:92
	s_waitcnt lgkmcnt(1)
	v_mfma_f32_16x16x16_bf16 a[0:3], v[54:55], v[44:45], a[0:3]
	ds_read_b64 v[38:39], v42 offset:48128
	ds_read_b64 v[44:45], v43 offset:48128
	s_waitcnt lgkmcnt(2)
	v_mfma_f32_16x16x16_bf16 a[4:7], v[54:55], v[50:51], a[4:7]
	v_mfma_f32_16x16x16_bf16 a[0:3], v[58:59], v[46:47], a[0:3]
	v_xor_b32_e32 v46, 0x440, v35
	v_cndmask_b32_e32 v35, v46, v35, vcc
	v_lshl_or_b32 v35, v36, 10, v35
	v_mfma_f32_16x16x16_bf16 a[8:11], v[58:59], v[52:53], a[4:7]
	s_waitcnt vmcnt(0)
	v_perm_b32 v36, v18, v22, s0
	v_perm_b32 v18, v18, v22, s1
	;; [unrolled: 1-line block ×3, first 2 shown]
	s_waitcnt lgkmcnt(1)
	v_mfma_f32_16x16x16_bf16 a[4:7], v[60:61], v[38:39], a[0:3]
	v_perm_b32 v38, v26, v30, s0
	ds_write2st64_b32 v35, v36, v38 offset0:32 offset1:64
	v_xor_b32_e32 v36, 8, v35
	v_add_u32_e32 v26, 0x80, v36
	ds_write2st64_b32 v26, v18, v22 offset0:32 offset1:64
	v_xor_b32_e32 v18, 16, v35
	v_perm_b32 v22, v19, v23, s0
	v_perm_b32 v26, v27, v31, s0
	ds_write2st64_b32 v18, v22, v26 offset0:33 offset1:65
	v_xor_b32_e32 v18, 24, v35
	v_perm_b32 v19, v19, v23, s1
	v_perm_b32 v22, v27, v31, s1
	v_add_u32_e32 v18, 0x80, v18
	ds_write2st64_b32 v18, v19, v22 offset0:33 offset1:65
	v_xor_b32_e32 v18, 32, v35
	v_perm_b32 v19, v20, v24, s0
	v_perm_b32 v22, v28, v32, s0
	ds_write2st64_b32 v18, v19, v22 offset0:34 offset1:66
	v_xor_b32_e32 v18, 40, v35
	s_waitcnt lgkmcnt(5)
	v_mfma_f32_16x16x16_bf16 a[0:3], v[60:61], v[44:45], a[8:11]
	v_perm_b32 v19, v20, v24, s1
	v_perm_b32 v20, v28, v32, s1
	v_add_u32_e32 v18, 0x80, v18
	ds_write2st64_b32 v18, v19, v20 offset0:34 offset1:66
	v_xor_b32_e32 v18, 48, v35
	v_perm_b32 v19, v21, v25, s0
	v_perm_b32 v20, v29, v33, s0
	ds_write2st64_b32 v18, v19, v20 offset0:35 offset1:67
	v_xor_b32_e32 v18, 56, v35
	v_and_or_b32 v39, v48, 12, v57
	v_perm_b32 v19, v21, v25, s1
	v_perm_b32 v20, v29, v33, s1
	v_add_u32_e32 v18, 0x80, v18
	v_cmp_gt_i32_e32 vcc, s52, v39
	v_mov_b32_e32 v32, 0
	v_mov_b32_e32 v36, 0
	ds_write2st64_b32 v18, v19, v20 offset0:35 offset1:67
	s_and_saveexec_b64 s[0:1], vcc
	s_cbranch_execz .LBB430_63
; %bb.62:
	v_add_u32_e32 v18, s50, v39
	v_ashrrev_i32_e32 v19, 31, v18
	v_mul_lo_u32 v20, v19, s36
	v_mul_lo_u32 v21, v18, s37
	v_mad_u64_u32 v[18:19], s[2:3], v18, s36, 0
	v_add3_u32 v19, v19, v21, v20
	v_lshl_add_u64 v[18:19], v[18:19], 2, s[12:13]
	global_load_dword v18, v[18:19], off
	s_waitcnt vmcnt(0)
	v_sub_f32_e32 v18, s16, v18
	v_exp_f32_e32 v36, v18
.LBB430_63:
	s_or_b64 exec, exec, s[0:1]
	v_or_b32_e32 v26, 1, v39
	v_cmp_gt_i32_e64 s[0:1], s52, v26
	s_and_saveexec_b64 s[2:3], s[0:1]
	s_cbranch_execz .LBB430_65
; %bb.64:
	v_add_u32_e32 v18, s50, v26
	v_ashrrev_i32_e32 v19, 31, v18
	v_mul_lo_u32 v20, v19, s36
	v_mul_lo_u32 v21, v18, s37
	v_mad_u64_u32 v[18:19], s[4:5], v18, s36, 0
	v_add3_u32 v19, v19, v21, v20
	v_lshl_add_u64 v[18:19], v[18:19], 2, s[12:13]
	global_load_dword v18, v[18:19], off
	s_waitcnt vmcnt(0)
	v_sub_f32_e32 v18, s16, v18
	v_exp_f32_e32 v32, v18
.LBB430_65:
	s_or_b64 exec, exec, s[2:3]
	v_or_b32_e32 v27, 2, v39
	v_cmp_gt_i32_e64 s[2:3], s52, v27
	v_mov_b32_e32 v33, 0
	v_mov_b32_e32 v38, 0
	s_and_saveexec_b64 s[4:5], s[2:3]
	s_cbranch_execz .LBB430_67
; %bb.66:
	v_add_u32_e32 v18, s50, v27
	v_ashrrev_i32_e32 v19, 31, v18
	v_mul_lo_u32 v20, v19, s36
	v_mul_lo_u32 v21, v18, s37
	v_mad_u64_u32 v[18:19], s[6:7], v18, s36, 0
	v_add3_u32 v19, v19, v21, v20
	v_lshl_add_u64 v[18:19], v[18:19], 2, s[12:13]
	global_load_dword v18, v[18:19], off
	s_waitcnt vmcnt(0)
	v_sub_f32_e32 v18, s16, v18
	v_exp_f32_e32 v38, v18
.LBB430_67:
	s_or_b64 exec, exec, s[4:5]
	v_or_b32_e32 v44, 3, v39
	v_cmp_gt_i32_e64 s[4:5], s52, v44
	s_and_saveexec_b64 s[6:7], s[4:5]
	s_cbranch_execz .LBB430_69
; %bb.68:
	v_add_u32_e32 v18, s50, v44
	v_ashrrev_i32_e32 v19, 31, v18
	v_mul_lo_u32 v20, v19, s36
	v_mul_lo_u32 v21, v18, s37
	v_mad_u64_u32 v[18:19], s[14:15], v18, s36, 0
	v_add3_u32 v19, v19, v21, v20
	v_lshl_add_u64 v[18:19], v[18:19], 2, s[12:13]
	global_load_dword v18, v[18:19], off
	s_waitcnt vmcnt(0)
	v_sub_f32_e32 v18, s16, v18
	v_exp_f32_e32 v33, v18
.LBB430_69:
	s_or_b64 exec, exec, s[6:7]
	s_add_u32 s6, s20, s10
	v_accvgpr_read_b32 v21, a7
	s_addc_u32 s7, s21, s11
	v_ashrrev_i32_e32 v35, 31, v34
	v_accvgpr_read_b32 v20, a6
	v_accvgpr_read_b32 v19, a5
	v_accvgpr_read_b32 v18, a4
	v_lshl_add_u64 v[22:23], v[34:35], 1, s[6:7]
	v_mov_b32_e32 v29, 0
	v_lshlrev_b32_e32 v24, 8, v39
	v_mov_b32_e32 v25, 0
	s_and_saveexec_b64 s[6:7], vcc
	s_cbranch_execz .LBB430_71
; %bb.70:
	v_mov_b32_e32 v25, 0
	v_lshl_add_u64 v[30:31], v[22:23], 0, v[24:25]
	global_load_ushort v25, v[30:31], off
	s_waitcnt vmcnt(0)
	v_lshlrev_b32_e32 v25, 16, v25
	v_sub_f32_e32 v18, v25, v18
	v_mul_f32_e32 v18, v36, v18
	v_lshrrev_b32_e32 v25, 16, v18
.LBB430_71:
	s_or_b64 exec, exec, s[6:7]
	v_lshlrev_b32_e32 v28, 8, v26
	s_and_saveexec_b64 s[6:7], s[0:1]
	s_cbranch_execz .LBB430_73
; %bb.72:
	v_mov_b32_e32 v29, 0
	v_lshl_add_u64 v[30:31], v[22:23], 0, v[28:29]
	global_load_ushort v18, v[30:31], off
	s_waitcnt vmcnt(0)
	v_lshlrev_b32_e32 v18, 16, v18
	v_sub_f32_e32 v18, v18, v19
	v_mul_f32_e32 v18, v32, v18
	v_lshrrev_b32_e32 v29, 16, v18
.LBB430_73:
	s_or_b64 exec, exec, s[6:7]
	v_mov_b32_e32 v45, 0
	v_lshlrev_b32_e32 v30, 8, v27
	v_mov_b32_e32 v31, 0
	s_and_saveexec_b64 s[6:7], s[2:3]
	s_cbranch_execz .LBB430_75
; %bb.74:
	v_mov_b32_e32 v31, 0
	v_lshl_add_u64 v[18:19], v[22:23], 0, v[30:31]
	global_load_ushort v18, v[18:19], off
	s_waitcnt vmcnt(0)
	v_lshlrev_b32_e32 v18, 16, v18
	v_sub_f32_e32 v18, v18, v20
	v_mul_f32_e32 v18, v38, v18
	v_lshrrev_b32_e32 v31, 16, v18
.LBB430_75:
	s_or_b64 exec, exec, s[6:7]
	v_lshlrev_b32_e32 v26, 8, v44
	s_and_saveexec_b64 s[6:7], s[4:5]
	s_cbranch_execz .LBB430_77
; %bb.76:
	v_mov_b32_e32 v27, 0
	v_lshl_add_u64 v[18:19], v[22:23], 0, v[26:27]
	global_load_ushort v18, v[18:19], off
	s_waitcnt vmcnt(0)
	v_lshlrev_b32_e32 v18, 16, v18
	v_sub_f32_e32 v18, v18, v21
	v_mul_f32_e32 v18, v33, v18
	v_lshrrev_b32_e32 v45, 16, v18
.LBB430_77:
	s_or_b64 exec, exec, s[6:7]
	v_lshlrev_b32_e32 v35, 5, v39
	s_mov_b32 s6, 0x5040100
	v_perm_b32 v44, v29, v25, s6
	v_or_b32_e32 v25, v35, v40
	v_accvgpr_read_b32 v21, a3
	v_perm_b32 v45, v45, v31, s6
	v_lshlrev_b32_e32 v25, 1, v25
	v_accvgpr_read_b32 v20, a2
	v_accvgpr_read_b32 v19, a1
	;; [unrolled: 1-line block ×3, first 2 shown]
	ds_write_b64 v25, v[44:45] offset:45056
	v_mov_b32_e32 v29, 0
	v_mov_b32_e32 v25, 0
	s_and_saveexec_b64 s[6:7], vcc
	s_cbranch_execz .LBB430_79
; %bb.78:
	v_mov_b32_e32 v25, 0
	v_lshl_add_u64 v[24:25], v[22:23], 0, v[24:25]
	global_load_ushort v24, v[24:25], off offset:32
	s_waitcnt vmcnt(0)
	v_lshlrev_b32_e32 v24, 16, v24
	v_sub_f32_e32 v18, v24, v18
	v_mul_f32_e32 v18, v36, v18
	v_lshrrev_b32_e32 v25, 16, v18
.LBB430_79:
	s_or_b64 exec, exec, s[6:7]
	s_and_saveexec_b64 s[6:7], s[0:1]
	s_cbranch_execz .LBB430_81
; %bb.80:
	v_mov_b32_e32 v29, 0
	v_lshl_add_u64 v[28:29], v[22:23], 0, v[28:29]
	global_load_ushort v18, v[28:29], off offset:32
	s_waitcnt vmcnt(0)
	v_lshlrev_b32_e32 v18, 16, v18
	v_sub_f32_e32 v18, v18, v19
	v_mul_f32_e32 v18, v32, v18
	v_lshrrev_b32_e32 v29, 16, v18
.LBB430_81:
	s_or_b64 exec, exec, s[6:7]
	v_mov_b32_e32 v24, 0
	v_mov_b32_e32 v28, 0
	s_and_saveexec_b64 s[0:1], s[2:3]
	s_cbranch_execz .LBB430_83
; %bb.82:
	v_mov_b32_e32 v31, 0
	v_lshl_add_u64 v[18:19], v[22:23], 0, v[30:31]
	global_load_ushort v18, v[18:19], off offset:32
	s_waitcnt vmcnt(0)
	v_lshlrev_b32_e32 v18, 16, v18
	v_sub_f32_e32 v18, v18, v20
	v_mul_f32_e32 v18, v38, v18
	v_lshrrev_b32_e32 v28, 16, v18
.LBB430_83:
	s_or_b64 exec, exec, s[0:1]
	v_or_b32_e32 v19, 0xb000, v42
	v_or_b32_e32 v18, 0xb000, v43
	s_and_saveexec_b64 s[0:1], s[4:5]
	s_cbranch_execz .LBB430_85
; %bb.84:
	v_mov_b32_e32 v27, 0
	v_lshl_add_u64 v[22:23], v[22:23], 0, v[26:27]
	global_load_ushort v20, v[22:23], off offset:32
	s_waitcnt vmcnt(0)
	v_lshlrev_b32_e32 v20, 16, v20
	v_sub_f32_e32 v20, v20, v21
	v_mul_f32_e32 v20, v33, v20
	v_lshrrev_b32_e32 v24, 16, v20
.LBB430_85:
	s_or_b64 exec, exec, s[0:1]
	s_mov_b32 s0, 0x5040100
	v_or_b32_e32 v22, v35, v37
	v_perm_b32 v21, v24, v28, s0
	v_perm_b32 v20, v29, v25, s0
	v_lshlrev_b32_e32 v22, 1, v22
	s_movk_i32 s0, 0x100
	ds_write_b64 v22, v[20:21] offset:45056
	v_and_b32_e32 v20, 7, v0
	v_and_b32_e32 v21, 8, v0
	v_cmp_gt_u32_e32 vcc, s0, v0
	v_lshrrev_b32_e32 v0, 1, v0
	v_lshlrev_b32_e32 v35, 3, v20
	v_lshlrev_b32_e32 v36, 7, v20
	v_mov_b32_e32 v20, 0x4000
	v_mov_b32_e32 v22, 0x2000
	v_lshlrev_b32_e32 v38, 3, v56
	v_and_b32_e32 v0, 24, v0
	v_cndmask_b32_e32 v37, v20, v22, vcc
	v_xor_b32_e32 v20, v38, v0
	v_or_b32_e32 v26, 32, v0
	v_or_b32_e32 v22, 0x440, v20
	v_cmp_eq_u32_e32 vcc, 0, v21
	v_xor_b32_e32 v26, v38, v26
	v_or_b32_e32 v27, 0x440, v26
	v_cndmask_b32_e32 v20, v22, v20, vcc
	v_or_b32_e32 v20, v20, v41
	v_cndmask_b32_e32 v26, v27, v26, vcc
	v_xad_u32 v40, v20, v35, v36
	v_or_b32_e32 v26, v26, v41
	v_add_u32_e32 v20, v37, v40
	v_xad_u32 v42, v26, v35, v36
	s_waitcnt lgkmcnt(0)
	s_barrier
	ds_read_b64 v[24:25], v20
	ds_read2_b64 v[20:23], v19 offset1:16
	v_add_u32_e32 v26, v37, v42
	ds_read_b64 v[32:33], v26
	s_waitcnt lgkmcnt(1)
	v_mfma_f32_16x16x16_bf16 a[0:3], v[24:25], v[20:21], 0
	ds_read2st64_b64 v[28:31], v18 offset0:2 offset1:4
	v_mfma_f32_16x16x16_bf16 a[4:7], v[24:25], v[22:23], 0
	ds_read2st64_b64 v[24:27], v19 offset0:2 offset1:4
	s_waitcnt lgkmcnt(0)
	v_mfma_f32_16x16x16_bf16 a[0:3], v[32:33], v[24:25], a[0:3]
	v_mfma_f32_16x16x16_bf16 a[4:7], v[32:33], v[28:29], a[4:7]
	v_or_b32_e32 v32, 64, v0
	v_xor_b32_e32 v32, v38, v32
	v_xor_b32_e32 v33, 0x440, v32
	v_cndmask_b32_e32 v32, v33, v32, vcc
	v_or_b32_e32 v32, v32, v41
	v_xad_u32 v43, v32, v35, v36
	v_add_u32_e32 v32, v37, v43
	ds_read_b64 v[32:33], v32
	v_or_b32_e32 v0, 0x60, v0
	v_xor_b32_e32 v0, v38, v0
	v_xor_b32_e32 v38, 0x440, v0
	v_cndmask_b32_e32 v0, v38, v0, vcc
	v_or_b32_e32 v0, v0, v41
	v_xad_u32 v0, v0, v35, v36
	v_add_u32_e32 v35, v37, v0
	ds_read_b64 v[36:37], v35
	s_waitcnt lgkmcnt(1)
	v_mfma_f32_16x16x16_bf16 a[0:3], v[32:33], v[26:27], a[0:3]
	v_exp_f32_e32 v35, s16
	v_mfma_f32_16x16x16_bf16 a[4:7], v[32:33], v[30:31], a[4:7]
	ds_read_b64 v[32:33], v19 offset:3072
	ds_read_b64 v[38:39], v18 offset:3072
	;; [unrolled: 1-line block ×3, first 2 shown]
	s_waitcnt lgkmcnt(0)
	v_mfma_f32_16x16x16_bf16 a[8:11], v[18:19], v[20:21], 0
	ds_read_b64 v[20:21], v42 offset:16384
	v_mfma_f32_16x16x16_bf16 a[0:3], v[36:37], v[32:33], a[0:3]
	v_mfma_f32_16x16x16_bf16 a[12:15], v[18:19], v[22:23], 0
	ds_read_b64 v[22:23], v43 offset:16384
	s_nop 4
	v_accvgpr_read_b32 v18, a0
	v_fma_f32 v18, v2, v35, v18
	v_accvgpr_read_b32 v2, a1
	v_fma_f32 v19, v3, v35, v2
	v_accvgpr_read_b32 v2, a2
	s_waitcnt lgkmcnt(1)
	v_mfma_f32_16x16x16_bf16 a[8:11], v[20:21], v[24:25], a[8:11]
	v_mfma_f32_16x16x16_bf16 a[12:15], v[20:21], v[28:29], a[12:15]
	v_fma_f32 v20, v4, v35, v2
	ds_read_b64 v[2:3], v0 offset:16384
	v_accvgpr_read_b32 v21, a3
	s_waitcnt lgkmcnt(1)
	v_mfma_f32_16x16x16_bf16 a[0:3], v[22:23], v[26:27], a[8:11]
	v_fmac_f32_e32 v21, v5, v35
	v_mfma_f32_16x16x16_bf16 a[4:7], v[36:37], v[38:39], a[4:7]
	v_mfma_f32_16x16x16_bf16 a[8:11], v[22:23], v[30:31], a[12:15]
	s_waitcnt lgkmcnt(0)
	v_mfma_f32_16x16x16_bf16 a[0:3], v[2:3], v[32:33], a[0:3]
	s_nop 3
	v_accvgpr_read_b32 v0, a4
	v_fma_f32 v26, v10, v35, v0
	v_accvgpr_read_b32 v0, a5
	v_fma_f32 v27, v11, v35, v0
	v_accvgpr_read_b32 v0, a6
	v_accvgpr_read_b32 v29, a7
	v_mfma_f32_16x16x16_bf16 a[4:7], v[2:3], v[38:39], a[8:11]
	v_fma_f32 v28, v12, v35, v0
	v_accvgpr_read_b32 v0, a0
	v_fma_f32 v22, v6, v35, v0
	v_accvgpr_read_b32 v0, a1
	;; [unrolled: 2-line block ×5, first 2 shown]
	v_accvgpr_read_b32 v25, a3
	v_fma_f32 v31, v15, v35, v0
	v_accvgpr_read_b32 v0, a6
	v_accvgpr_read_b32 v33, a7
	v_fmac_f32_e32 v29, v13, v35
	v_fmac_f32_e32 v25, v9, v35
	v_fma_f32 v32, v16, v35, v0
	v_fmac_f32_e32 v33, v17, v35
	v_mov_b64_e32 v[2:3], v[18:19]
	v_mov_b64_e32 v[4:5], v[20:21]
	;; [unrolled: 1-line block ×8, first 2 shown]
	v_mov_b32_e32 v18, v34
.LBB430_86:
	s_lshl_b64 s[0:1], s[8:9], 16
	s_waitcnt lgkmcnt(0)
	s_add_u32 s0, s34, s0
	v_lshlrev_b32_e32 v18, 7, v18
	s_addc_u32 s1, s35, s1
	v_ashrrev_i32_e32 v19, 31, v18
	v_lshl_add_u64 v[20:21], v[18:19], 2, s[0:1]
	v_lshlrev_b32_e32 v0, 2, v1
	v_mov_b32_e32 v1, 0
	v_lshl_add_u64 v[20:21], v[20:21], 0, v[0:1]
	global_store_dwordx4 v[20:21], v[2:5], off
	global_store_dwordx4 v[20:21], v[6:9], off offset:256
	s_nop 0
	v_or_b32_e32 v2, 0x800, v18
	v_ashrrev_i32_e32 v3, 31, v2
	v_lshl_add_u64 v[2:3], v[2:3], 2, s[0:1]
	v_lshl_add_u64 v[0:1], v[2:3], 0, v[0:1]
	global_store_dwordx4 v[0:1], v[10:13], off
	global_store_dwordx4 v[0:1], v[14:17], off offset:256
	s_endpgm
	.section	.rodata,"a",@progbits
	.p2align	6, 0x0
	.amdhsa_kernel _ZN12_GLOBAL__N_139chunk_gated_delta_rule_fwd_h_hip_kernelILi32ELb0ELb1ELb0ELb0ELb1ELb0ELb1ELb0EEEvPK12hip_bfloat16S3_S3_PKfS5_PKvPS1_S8_PvPKiSB_iiiiilll
		.amdhsa_group_segment_fixed_size 49152
		.amdhsa_private_segment_fixed_size 0
		.amdhsa_kernarg_size 136
		.amdhsa_user_sgpr_count 2
		.amdhsa_user_sgpr_dispatch_ptr 0
		.amdhsa_user_sgpr_queue_ptr 0
		.amdhsa_user_sgpr_kernarg_segment_ptr 1
		.amdhsa_user_sgpr_dispatch_id 0
		.amdhsa_user_sgpr_kernarg_preload_length 0
		.amdhsa_user_sgpr_kernarg_preload_offset 0
		.amdhsa_user_sgpr_private_segment_size 0
		.amdhsa_uses_dynamic_stack 0
		.amdhsa_enable_private_segment 0
		.amdhsa_system_sgpr_workgroup_id_x 1
		.amdhsa_system_sgpr_workgroup_id_y 1
		.amdhsa_system_sgpr_workgroup_id_z 0
		.amdhsa_system_sgpr_workgroup_info 0
		.amdhsa_system_vgpr_workitem_id 0
		.amdhsa_next_free_vgpr 148
		.amdhsa_next_free_sgpr 64
		.amdhsa_accum_offset 132
		.amdhsa_reserve_vcc 1
		.amdhsa_float_round_mode_32 0
		.amdhsa_float_round_mode_16_64 0
		.amdhsa_float_denorm_mode_32 3
		.amdhsa_float_denorm_mode_16_64 3
		.amdhsa_dx10_clamp 1
		.amdhsa_ieee_mode 1
		.amdhsa_fp16_overflow 0
		.amdhsa_tg_split 0
		.amdhsa_exception_fp_ieee_invalid_op 0
		.amdhsa_exception_fp_denorm_src 0
		.amdhsa_exception_fp_ieee_div_zero 0
		.amdhsa_exception_fp_ieee_overflow 0
		.amdhsa_exception_fp_ieee_underflow 0
		.amdhsa_exception_fp_ieee_inexact 0
		.amdhsa_exception_int_div_zero 0
	.end_amdhsa_kernel
	.section	.text._ZN12_GLOBAL__N_139chunk_gated_delta_rule_fwd_h_hip_kernelILi32ELb0ELb1ELb0ELb0ELb1ELb0ELb1ELb0EEEvPK12hip_bfloat16S3_S3_PKfS5_PKvPS1_S8_PvPKiSB_iiiiilll,"axG",@progbits,_ZN12_GLOBAL__N_139chunk_gated_delta_rule_fwd_h_hip_kernelILi32ELb0ELb1ELb0ELb0ELb1ELb0ELb1ELb0EEEvPK12hip_bfloat16S3_S3_PKfS5_PKvPS1_S8_PvPKiSB_iiiiilll,comdat
.Lfunc_end430:
	.size	_ZN12_GLOBAL__N_139chunk_gated_delta_rule_fwd_h_hip_kernelILi32ELb0ELb1ELb0ELb0ELb1ELb0ELb1ELb0EEEvPK12hip_bfloat16S3_S3_PKfS5_PKvPS1_S8_PvPKiSB_iiiiilll, .Lfunc_end430-_ZN12_GLOBAL__N_139chunk_gated_delta_rule_fwd_h_hip_kernelILi32ELb0ELb1ELb0ELb0ELb1ELb0ELb1ELb0EEEvPK12hip_bfloat16S3_S3_PKfS5_PKvPS1_S8_PvPKiSB_iiiiilll
                                        ; -- End function
	.section	.AMDGPU.csdata,"",@progbits
; Kernel info:
; codeLenInByte = 9380
; NumSgprs: 70
; NumVgprs: 130
; NumAgprs: 16
; TotalNumVgprs: 148
; ScratchSize: 0
; MemoryBound: 0
; FloatMode: 240
; IeeeMode: 1
; LDSByteSize: 49152 bytes/workgroup (compile time only)
; SGPRBlocks: 8
; VGPRBlocks: 18
; NumSGPRsForWavesPerEU: 70
; NumVGPRsForWavesPerEU: 148
; AccumOffset: 132
; Occupancy: 1
; WaveLimiterHint : 1
; COMPUTE_PGM_RSRC2:SCRATCH_EN: 0
; COMPUTE_PGM_RSRC2:USER_SGPR: 2
; COMPUTE_PGM_RSRC2:TRAP_HANDLER: 0
; COMPUTE_PGM_RSRC2:TGID_X_EN: 1
; COMPUTE_PGM_RSRC2:TGID_Y_EN: 1
; COMPUTE_PGM_RSRC2:TGID_Z_EN: 0
; COMPUTE_PGM_RSRC2:TIDIG_COMP_CNT: 0
; COMPUTE_PGM_RSRC3_GFX90A:ACCUM_OFFSET: 32
; COMPUTE_PGM_RSRC3_GFX90A:TG_SPLIT: 0
	.section	.text._ZN12_GLOBAL__N_139chunk_gated_delta_rule_fwd_h_hip_kernelILi32ELb0ELb0ELb1ELb0ELb1ELb0ELb1ELb0EEEvPK12hip_bfloat16S3_S3_PKfS5_PKvPS1_S8_PvPKiSB_iiiiilll,"axG",@progbits,_ZN12_GLOBAL__N_139chunk_gated_delta_rule_fwd_h_hip_kernelILi32ELb0ELb0ELb1ELb0ELb1ELb0ELb1ELb0EEEvPK12hip_bfloat16S3_S3_PKfS5_PKvPS1_S8_PvPKiSB_iiiiilll,comdat
	.globl	_ZN12_GLOBAL__N_139chunk_gated_delta_rule_fwd_h_hip_kernelILi32ELb0ELb0ELb1ELb0ELb1ELb0ELb1ELb0EEEvPK12hip_bfloat16S3_S3_PKfS5_PKvPS1_S8_PvPKiSB_iiiiilll ; -- Begin function _ZN12_GLOBAL__N_139chunk_gated_delta_rule_fwd_h_hip_kernelILi32ELb0ELb0ELb1ELb0ELb1ELb0ELb1ELb0EEEvPK12hip_bfloat16S3_S3_PKfS5_PKvPS1_S8_PvPKiSB_iiiiilll
	.p2align	8
	.type	_ZN12_GLOBAL__N_139chunk_gated_delta_rule_fwd_h_hip_kernelILi32ELb0ELb0ELb1ELb0ELb1ELb0ELb1ELb0EEEvPK12hip_bfloat16S3_S3_PKfS5_PKvPS1_S8_PvPKiSB_iiiiilll,@function
_ZN12_GLOBAL__N_139chunk_gated_delta_rule_fwd_h_hip_kernelILi32ELb0ELb0ELb1ELb0ELb1ELb0ELb1ELb0EEEvPK12hip_bfloat16S3_S3_PKfS5_PKvPS1_S8_PvPKiSB_iiiiilll: ; @_ZN12_GLOBAL__N_139chunk_gated_delta_rule_fwd_h_hip_kernelILi32ELb0ELb0ELb1ELb0ELb1ELb0ELb1ELb0EEEvPK12hip_bfloat16S3_S3_PKfS5_PKvPS1_S8_PvPKiSB_iiiiilll
; %bb.0:
	s_load_dwordx4 s[16:19], s[0:1], 0x5c
	s_load_dwordx4 s[12:15], s[0:1], 0x30
	s_abs_i32 s22, s3
	s_ashr_i32 s21, s3, 31
	s_load_dwordx8 s[4:11], s[0:1], 0x0
	s_waitcnt lgkmcnt(0)
	s_abs_i32 s20, s17
	v_cvt_f32_u32_e32 v1, s20
	s_sub_i32 s24, 0, s20
	s_ashr_i32 s23, s17, 31
	s_xor_b32 s21, s21, s23
	v_rcp_iflag_f32_e32 v1, v1
	v_lshrrev_b32_e32 v44, 6, v0
	v_bfe_u32 v45, v0, 4, 2
	v_lshlrev_b32_e32 v2, 2, v45
	v_mul_f32_e32 v1, 0x4f7ffffe, v1
	v_cvt_u32_f32_e32 v1, v1
	v_and_b32_e32 v43, 63, v0
	v_and_b32_e32 v42, 15, v0
	v_mov_b32_e32 v3, 0
	v_readfirstlane_b32 s25, v1
	s_mul_i32 s24, s24, s25
	s_mul_hi_u32 s24, s25, s24
	s_add_i32 s25, s25, s24
	s_mul_hi_u32 s24, s22, s25
	s_mul_i32 s25, s24, s20
	s_sub_i32 s22, s22, s25
	s_add_i32 s26, s24, 1
	s_sub_i32 s25, s22, s20
	s_cmp_ge_u32 s22, s20
	s_cselect_b32 s24, s26, s24
	s_cselect_b32 s22, s25, s22
	s_add_i32 s25, s24, 1
	s_cmp_ge_u32 s22, s20
	s_cselect_b32 s22, s25, s24
	s_xor_b32 s22, s22, s21
	s_sub_i32 s47, s22, s21
	s_abs_i32 s21, s18
	v_cvt_f32_u32_e32 v1, s21
	s_add_i32 s24, s16, 63
	s_mul_i32 s45, s47, s17
	s_sub_i32 s33, s3, s45
	v_rcp_iflag_f32_e32 v1, v1
	s_ashr_i32 s3, s24, 31
	s_ashr_i32 s46, s16, 31
	s_lshr_b32 s3, s3, 26
	v_mul_f32_e32 v1, 0x4f7ffffe, v1
	v_cvt_u32_f32_e32 v1, v1
	s_lshr_b32 s22, s46, 26
	s_add_i32 s24, s24, s3
	s_add_i32 s22, s16, s22
	s_ashr_i32 s49, s18, 31
	s_ashr_i32 s3, s24, 6
	;; [unrolled: 1-line block ×3, first 2 shown]
	s_xor_b32 s22, s23, s49
	s_sub_i32 s23, 0, s21
	v_readfirstlane_b32 s24, v1
	s_mul_i32 s23, s23, s24
	s_mul_hi_u32 s23, s24, s23
	s_add_i32 s24, s24, s23
	s_mul_hi_u32 s23, s20, s24
	s_mul_i32 s24, s23, s21
	s_sub_i32 s20, s20, s24
	s_add_i32 s24, s23, 1
	s_sub_i32 s25, s20, s21
	s_cmp_ge_u32 s20, s21
	s_cselect_b32 s23, s24, s23
	s_cselect_b32 s20, s25, s20
	s_add_i32 s24, s23, 1
	s_cmp_ge_u32 s20, s21
	s_cselect_b32 s20, s24, s23
	s_xor_b32 s20, s20, s22
	s_sub_i32 s24, s20, s22
	s_abs_i32 s25, s24
	v_cvt_f32_u32_e32 v1, s25
	s_load_dwordx2 s[34:35], s[0:1], 0x80
	s_load_dwordx4 s[20:23], s[0:1], 0x70
	s_xor_b32 s0, s33, s24
	s_sub_i32 s24, 0, s25
	v_rcp_iflag_f32_e32 v1, v1
	s_abs_i32 s1, s33
	s_ashr_i32 s0, s0, 31
	s_mul_i32 s50, s47, s3
	v_mul_f32_e32 v1, 0x4f7ffffe, v1
	v_cvt_u32_f32_e32 v1, v1
	s_mul_hi_i32 s51, s47, s17
	v_lshrrev_b32_e32 v47, 3, v43
	v_lshlrev_b32_e32 v46, 3, v0
	v_readfirstlane_b32 s26, v1
	s_mul_i32 s24, s24, s26
	s_mul_hi_u32 s24, s26, s24
	s_add_i32 s26, s26, s24
	s_mul_hi_u32 s24, s1, s26
	s_mul_i32 s26, s24, s25
	s_sub_i32 s1, s1, s26
	s_add_i32 s26, s24, 1
	s_sub_i32 s27, s1, s25
	s_cmp_ge_u32 s1, s25
	s_cselect_b32 s24, s26, s24
	s_cselect_b32 s1, s27, s1
	s_add_i32 s26, s24, 1
	s_cmp_ge_u32 s1, s25
	s_cselect_b32 s1, s26, s24
	s_xor_b32 s1, s1, s0
	v_lshlrev_b32_e32 v1, 4, v44
	s_sub_i32 s52, s1, s0
	v_or_b32_e32 v48, v2, v1
	s_lshl_b32 s36, s2, 5
	v_or_b32_e32 v49, 64, v48
	s_cmp_lt_i32 s16, 64
	s_waitcnt lgkmcnt(0)
	s_mul_i32 s21, s47, s21
	s_mul_hi_u32 s44, s47, s20
	s_mul_i32 s38, s47, s20
	v_mov_b32_e32 v64, 0
	v_mov_b32_e32 v62, 0
	;; [unrolled: 1-line block ×15, first 2 shown]
	s_cbranch_scc1 .LBB431_18
; %bb.1:
	s_ashr_i32 s28, s47, 31
	s_ashr_i32 s54, s33, 31
	s_add_u32 s0, s45, s33
	s_addc_u32 s1, s51, s54
	s_mul_i32 s1, s16, s1
	s_mul_hi_u32 s2, s16, s0
	s_add_i32 s3, s2, s1
	s_mul_i32 s2, s16, s0
	s_lshl_b64 s[0:1], s[2:3], 8
	v_and_b32_e32 v51, 56, v46
	s_add_u32 s24, s6, s0
	v_lshl_or_b32 v50, v44, 3, v47
	v_lshlrev_b32_e32 v3, 1, v51
	s_addc_u32 s0, s7, s1
	v_lshl_or_b32 v52, v50, 8, v3
	s_and_b32 s25, s0, 0xffff
	s_mov_b32 s27, 0x20000
	s_movk_i32 s26, 0x4000
	s_movk_i32 s0, 0x80
	v_or_b32_e32 v53, 0x2000, v52
	buffer_load_dwordx4 v[4:7], v52, s[24:27], 0 offen
	buffer_load_dwordx4 v[8:11], v52, s[24:27], s0 offen
	;; [unrolled: 1-line block ×4, first 2 shown]
	v_lshlrev_b32_e32 v20, 3, v50
	v_and_or_b32 v22, v0, 7, v20
	v_and_b32_e32 v20, 0x78, v20
	v_lshlrev_b32_e32 v22, 4, v22
	v_xor_b32_e32 v54, v22, v20
	v_mul_lo_u32 v21, v50, s19
	v_or_b32_e32 v55, 0x1000, v54
	s_cmpk_eq_i32 s19, 0x80
	s_mov_b32 s53, s18
	v_xor_b32_e32 v20, 8, v54
	v_xor_b32_e32 v22, 8, v55
	s_cselect_b64 s[0:1], -1, 0
	s_cmpk_lg_i32 s19, 0x80
	s_waitcnt vmcnt(3)
	ds_write_b64 v54, v[4:5] offset:24576
	ds_write_b64 v20, v[6:7] offset:24576
	s_waitcnt vmcnt(2)
	ds_write_b64 v54, v[8:9] offset:32768
	ds_write_b64 v20, v[10:11] offset:32768
	;; [unrolled: 3-line block ×4, first 2 shown]
	v_lshl_add_u32 v4, v21, 1, v51
	s_cbranch_scc0 .LBB431_3
; %bb.2:
	v_lshlrev_b32_e32 v6, 1, v4
	v_add_lshl_u32 v5, v4, s19, 1
	s_lshl_b32 s26, s19, 7
	v_lshl_or_b32 v3, v50, 9, v3
	s_cbranch_execz .LBB431_4
	s_branch .LBB431_5
.LBB431_3:
                                        ; implicit-def: $vgpr5
                                        ; implicit-def: $vgpr6
                                        ; implicit-def: $sgpr26
	v_lshl_or_b32 v3, v50, 9, v3
.LBB431_4:
	v_or_b32_e32 v5, 0x100, v3
	s_movk_i32 s26, 0x4000
	v_mov_b32_e32 v6, v3
.LBB431_5:
	s_mul_hi_u32 s24, s18, s16
	s_mul_i32 s25, s49, s16
	s_add_i32 s24, s24, s25
	s_mul_i32 s25, s18, s16
	s_mul_i32 s27, s25, s28
	s_mul_hi_u32 s29, s25, s47
	s_add_i32 s27, s29, s27
	s_mul_i32 s24, s24, s47
	s_add_i32 s27, s27, s24
	s_mul_i32 s25, s25, s47
	s_ashr_i32 s55, s52, 31
	s_add_u32 s24, s25, s52
	s_addc_u32 s25, s27, s55
	s_lshl_b64 s[24:25], s[24:25], 8
	s_add_u32 s24, s4, s24
	s_addc_u32 s25, s5, s25
	s_and_b32 s25, s25, 0xffff
	s_mov_b32 s27, 0x20000
	s_movk_i32 s56, 0x80
	buffer_load_dwordx4 v[8:11], v6, s[24:27], 0 offen
	buffer_load_dwordx4 v[12:15], v6, s[24:27], s56 offen
	;; [unrolled: 1-line block ×4, first 2 shown]
	v_and_b32_e32 v5, 6, v0
	v_lshlrev_b32_e32 v24, 6, v48
	v_or_b32_e32 v26, 16, v42
	v_xor_b32_e32 v27, v50, v5
	v_and_b32_e32 v6, 1, v0
	s_mul_i32 s24, s28, s16
	s_mul_hi_u32 s25, s47, s16
	v_lshl_or_b32 v30, v42, 3, v24
	v_lshl_or_b32 v24, v26, 3, v24
	v_lshlrev_b32_e32 v27, 2, v27
	v_lshlrev_b32_e32 v7, 2, v42
	v_or_b32_e32 v58, 0xa000, v24
	v_or_b32_e32 v59, 0xb000, v24
	v_xor_b32_e32 v24, 0x440, v27
	v_cmp_eq_u32_e32 vcc, 0, v6
	s_add_i32 s61, s25, s24
	s_add_i32 s24, s44, s21
	s_mul_i32 s28, s28, s20
	v_xor_b32_e32 v28, v48, v7
	v_xor_b32_e32 v29, v49, v7
	v_cndmask_b32_e32 v6, v24, v27, vcc
	s_add_i32 s39, s24, s28
	s_mul_i32 s24, s33, s23
	s_mul_hi_u32 s25, s33, s22
	s_mov_b32 s58, 0x1000504
	v_lshlrev_b32_e32 v25, 8, v42
	v_lshlrev_b32_e32 v28, 1, v28
	;; [unrolled: 1-line block ×3, first 2 shown]
	v_lshl_or_b32 v5, v5, 10, v6
	s_add_i32 s24, s25, s24
	s_mul_i32 s25, s54, s22
	s_mov_b32 s59, 0x3020706
	v_or_b32_e32 v56, 0xa000, v30
	v_or_b32_e32 v57, 0xb000, v30
	;; [unrolled: 1-line block ×4, first 2 shown]
	v_xor_b32_e32 v6, 8, v5
	v_xor_b32_e32 v25, 24, v5
	v_xor_b32_e32 v30, 40, v5
	v_xor_b32_e32 v32, 56, v5
	s_add_i32 s25, s24, s25
	s_lshl_b64 s[28:29], s[38:39], 2
	v_xor_b32_e32 v24, 16, v5
	v_xor_b32_e32 v27, 32, v5
	;; [unrolled: 1-line block ×3, first 2 shown]
	v_add_u32_e32 v6, 0x80, v6
	v_add_u32_e32 v25, 0x80, v25
	;; [unrolled: 1-line block ×4, first 2 shown]
	s_mul_i32 s24, s33, s22
	s_add_u32 s26, s10, s28
	s_addc_u32 s28, s11, s29
	s_lshl_b64 s[24:25], s[24:25], 2
	s_add_u32 s40, s26, s24
	s_movk_i32 s24, 0xf8
	s_addc_u32 s41, s28, s25
	s_ashr_i32 s37, s36, 31
	s_lshl_b32 s30, s19, 7
	s_movk_i32 s28, 0x100
	v_mov_b32_e32 v35, 0
	v_cmp_gt_u32_e32 vcc, s28, v0
	s_mov_b32 s57, 0
	s_mul_i32 s60, s47, s16
	s_movk_i32 s39, 0x1000
	s_movk_i32 s26, 0x4000
	v_add_u32_e32 v93, v1, v2
	s_mov_b32 s63, 0
	v_mov_b32_e32 v74, v35
	v_mov_b32_e32 v73, v35
	;; [unrolled: 1-line block ×11, first 2 shown]
	s_waitcnt vmcnt(1)
	v_perm_b32 v33, v8, v16, s58
	s_waitcnt vmcnt(0)
	v_perm_b32 v34, v12, v20, s58
	v_perm_b32 v8, v8, v16, s59
	;; [unrolled: 1-line block ×15, first 2 shown]
	ds_write2st64_b32 v5, v33, v34 offset0:32 offset1:64
	ds_write2st64_b32 v6, v8, v12 offset0:32 offset1:64
	;; [unrolled: 1-line block ×8, first 2 shown]
	v_lshlrev_b32_e32 v5, 8, v26
	v_or_b32_e32 v68, v5, v28
	v_or_b32_e32 v69, v5, v29
	;; [unrolled: 1-line block ×3, first 2 shown]
	v_lshlrev_b32_e32 v5, 3, v5
	v_lshrrev_b32_e32 v8, 5, v43
	v_and_or_b32 v8, v5, s24, v8
	v_lshlrev_b32_e32 v8, 4, v8
	v_lshlrev_b32_e32 v9, 11, v44
	v_and_b32_e32 v5, 0x78, v5
	v_or_b32_e32 v13, 32, v8
	v_and_b32_e32 v6, 0x1000, v9
	v_lshrrev_b32_e32 v11, 1, v0
	v_xor_b32_e32 v13, v13, v5
	v_and_b32_e32 v12, 8, v11
	v_or_b32_e32 v13, v13, v6
	v_xor_b32_e32 v10, v8, v5
	v_xor_b32_e32 v78, v13, v12
	v_or_b32_e32 v13, 64, v8
	v_or_b32_e32 v8, 0x60, v8
	v_xor_b32_e32 v13, v13, v5
	v_xor_b32_e32 v5, v8, v5
	v_or_b32_e32 v10, v10, v6
	v_or_b32_e32 v13, v13, v6
	;; [unrolled: 1-line block ×3, first 2 shown]
	s_lshl_b64 s[24:25], s[36:37], 8
	v_xor_b32_e32 v76, v10, v12
	v_xor_b32_e32 v80, v13, v12
	;; [unrolled: 1-line block ×3, first 2 shown]
	v_lshlrev_b32_e32 v12, 1, v4
	v_add_lshl_u32 v13, v4, s19, 1
	s_add_u32 s24, s12, s24
	v_lshlrev_b32_e32 v4, 1, v42
	v_lshrrev_b32_e32 v15, 4, v0
	s_addc_u32 s25, s13, s25
	v_or_b32_e32 v5, 1, v4
	v_lshlrev_b32_e32 v34, 4, v42
	v_mov_b32_e32 v19, 0x4000
	v_mov_b32_e32 v20, 0x2000
	v_xor_b32_e32 v16, v15, v4
	v_xor_b32_e32 v17, v5, v15
	v_lshl_add_u64 v[4:5], s[24:25], 0, v[34:35]
	v_lshlrev_b32_e32 v34, 8, v15
	v_cndmask_b32_e32 v19, v19, v20, vcc
	v_lshlrev_b32_e32 v20, 3, v44
	v_and_b32_e32 v11, 24, v11
	v_lshl_or_b32 v84, v16, 3, v34
	v_and_b32_e32 v16, 8, v0
	v_xor_b32_e32 v21, v20, v11
	v_or_b32_e32 v22, 0x440, v21
	v_cmp_eq_u32_e32 vcc, 0, v16
	v_and_b32_e32 v15, 7, v0
	v_lshlrev_b32_e32 v10, 7, v45
	v_cndmask_b32_e32 v16, v22, v21, vcc
	v_lshl_or_b32 v85, v17, 3, v34
	v_lshlrev_b32_e32 v17, 3, v15
	v_lshlrev_b32_e32 v15, 7, v15
	;; [unrolled: 1-line block ×3, first 2 shown]
	v_or_b32_e32 v16, v16, v9
	v_or_b32_e32 v7, v10, v7
	v_xad_u32 v86, v16, v17, v15
	v_and_or_b32 v10, v18, 60, v10
	v_mov_b32_e32 v16, 0xb000
	v_lshl_or_b32 v87, v10, 1, v16
	v_or_b32_e32 v10, 32, v11
	v_xor_b32_e32 v10, v20, v10
	v_or_b32_e32 v16, 0x440, v10
	v_cndmask_b32_e32 v10, v16, v10, vcc
	v_or_b32_e32 v10, v10, v9
	v_xad_u32 v88, v10, v17, v15
	v_or_b32_e32 v10, 64, v11
	v_xor_b32_e32 v10, v20, v10
	v_xor_b32_e32 v16, 0x440, v10
	v_cndmask_b32_e32 v10, v16, v10, vcc
	v_or_b32_e32 v10, v10, v9
	v_xad_u32 v89, v10, v17, v15
	v_or_b32_e32 v10, 0x60, v11
	v_xor_b32_e32 v10, v20, v10
	v_xor_b32_e32 v11, 0x440, v10
	v_lshlrev_b32_e32 v7, 1, v7
	v_or_b32_e32 v6, s36, v42
	v_cndmask_b32_e32 v10, v11, v10, vcc
	v_or_b32_e32 v77, 0xa000, v7
	v_or_b32_e32 v79, 0xa080, v7
	;; [unrolled: 1-line block ×4, first 2 shown]
	v_ashrrev_i32_e32 v7, 31, v6
	v_or_b32_e32 v9, v10, v9
	v_lshlrev_b32_e32 v8, 7, v48
	v_or_b32_e32 v14, 0x100, v3
	v_xad_u32 v90, v9, v17, v15
	v_lshlrev_b64 v[6:7], 1, v[6:7]
	v_cndmask_b32_e64 v91, v12, v3, s[0:1]
	v_cndmask_b32_e64 v92, v13, v14, s[0:1]
	v_lshl_add_u64 v[36:37], s[8:9], 0, v[6:7]
	v_lshl_add_u64 v[38:39], s[14:15], 0, v[6:7]
	;; [unrolled: 1-line block ×3, first 2 shown]
	s_mov_b32 s37, 0x7060302
	v_lshlrev_b32_e32 v34, 1, v8
	v_add_u32_e32 v94, v19, v86
	v_add_u32_e32 v95, v19, v88
	;; [unrolled: 1-line block ×4, first 2 shown]
	v_mov_b32_e32 v101, v35
	v_mov_b32_e32 v63, v35
	;; [unrolled: 1-line block ×5, first 2 shown]
	s_waitcnt lgkmcnt(0)
	s_barrier
.LBB431_6:                              ; =>This Inner Loop Header: Depth=1
	s_add_i32 s62, s63, 1
	s_cmp_lt_i32 s62, s48
	s_mov_b64 s[28:29], 0
	s_cselect_b64 s[42:43], -1, 0
	s_cmp_ge_i32 s62, s48
	s_mov_b64 s[24:25], 0
	s_cbranch_scc1 .LBB431_8
; %bb.7:                                ;   in Loop: Header=BB431_6 Depth=1
	s_add_i32 s0, s57, 64
	s_add_u32 s0, s2, s0
	s_addc_u32 s1, s3, 0
	s_lshl_b64 s[0:1], s[0:1], 8
	s_add_u32 s24, s6, s0
	s_addc_u32 s25, s7, s1
.LBB431_8:                              ;   in Loop: Header=BB431_6 Depth=1
	v_cndmask_b32_e64 v2, 0, 1, s[42:43]
	v_cmp_ne_u32_e64 s[0:1], 1, v2
	s_andn2_b64 vcc, exec, s[42:43]
	s_cbranch_vccnz .LBB431_10
; %bb.9:                                ;   in Loop: Header=BB431_6 Depth=1
	s_add_i32 s28, s57, 64
	s_add_u32 s28, s60, s28
	s_addc_u32 s29, s61, 0
	s_mul_i32 s31, s28, s49
	s_mul_hi_u32 s42, s28, s53
	s_add_i32 s31, s42, s31
	s_mul_i32 s29, s29, s53
	s_add_i32 s31, s31, s29
	s_mul_i32 s28, s28, s53
	s_add_u32 s28, s28, s52
	s_addc_u32 s29, s31, s55
	s_lshl_b64 s[28:29], s[28:29], 8
	s_add_u32 s28, s4, s28
	s_addc_u32 s29, s5, s29
.LBB431_10:                             ;   in Loop: Header=BB431_6 Depth=1
	v_perm_b32 v3, v100, v75, s37
	v_perm_b32 v2, v73, v74, s37
	;; [unrolled: 1-line block ×4, first 2 shown]
	ds_write_b64 v56, v[2:3]
	ds_write_b64 v57, v[4:5]
	;; [unrolled: 1-line block ×4, first 2 shown]
	v_perm_b32 v3, v101, v67, s37
	v_perm_b32 v2, v65, v66, s37
	;; [unrolled: 1-line block ×4, first 2 shown]
	ds_write_b64 v58, v[2:3]
	ds_write_b64 v59, v[4:5]
	ds_write_b64 v68, v[2:3]
	ds_write_b64 v69, v[4:5]
	s_waitcnt lgkmcnt(0)
	s_barrier
	ds_read_b64 v[6:7], v76 offset:24576
	ds_read2_b64 v[2:5], v77 offset1:16
	ds_read_b64 v[10:11], v79 offset:3072
	ds_read_b64 v[12:13], v77 offset:3072
	;; [unrolled: 1-line block ×3, first 2 shown]
	s_waitcnt lgkmcnt(3)
	v_mfma_f32_16x16x16_bf16 a[0:3], v[6:7], v[2:3], 0
	s_add_i32 s31, s57, 63
	s_mul_i32 s42, s31, s35
	s_mul_hi_u32 s43, s31, s34
	v_mfma_f32_16x16x16_bf16 a[4:7], v[6:7], v[4:5], 0
	ds_read2st64_b64 v[2:5], v77 offset0:2 offset1:4
	ds_read2st64_b64 v[6:9], v79 offset0:2 offset1:4
	s_add_i32 s43, s43, s42
	s_waitcnt lgkmcnt(1)
	v_mfma_f32_16x16x16_bf16 a[0:3], v[14:15], v[2:3], a[0:3]
	s_mul_i32 s42, s31, s34
	s_lshl_b64 s[42:43], s[42:43], 2
	s_add_u32 s42, s40, s42
	s_waitcnt lgkmcnt(0)
	v_mfma_f32_16x16x16_bf16 a[4:7], v[14:15], v[6:7], a[4:7]
	ds_read_b64 v[2:3], v80 offset:24576
	ds_read_b64 v[6:7], v81 offset:24576
	s_addc_u32 s43, s41, s43
	s_and_b64 vcc, exec, s[0:1]
	s_waitcnt lgkmcnt(1)
	v_mfma_f32_16x16x16_bf16 a[0:3], v[2:3], v[4:5], a[0:3]
	v_mov_b32_e32 v104, 0
	v_mov_b32_e32 v103, 0
	;; [unrolled: 1-line block ×3, first 2 shown]
	v_mfma_f32_16x16x16_bf16 a[8:11], v[2:3], v[8:9], a[4:7]
	v_mov_b32_e32 v2, 0
	v_mov_b32_e32 v3, 0
	;; [unrolled: 1-line block ×3, first 2 shown]
	s_waitcnt lgkmcnt(0)
	v_mfma_f32_16x16x16_bf16 a[4:7], v[6:7], v[12:13], a[0:3]
	v_mov_b32_e32 v5, 0
	v_mov_b32_e32 v8, 0
	;; [unrolled: 1-line block ×3, first 2 shown]
	v_mfma_f32_16x16x16_bf16 a[0:3], v[6:7], v[10:11], a[8:11]
	v_mov_b32_e32 v6, 0
	v_mov_b32_e32 v7, 0
	;; [unrolled: 1-line block ×10, first 2 shown]
	s_cbranch_vccnz .LBB431_12
; %bb.11:                               ;   in Loop: Header=BB431_6 Depth=1
	s_and_b32 s25, s25, 0xffff
	buffer_load_dwordx4 v[14:17], v52, s[24:27], 0 offen
	buffer_load_dwordx4 v[10:13], v52, s[24:27], s56 offen
	;; [unrolled: 1-line block ×4, first 2 shown]
	v_mov_b32_e32 v103, v54
	v_mov_b32_e32 v102, v55
.LBB431_12:                             ;   in Loop: Header=BB431_6 Depth=1
	s_waitcnt vmcnt(3)
	ds_read_b64 v[26:27], v76 offset:32768
	s_waitcnt vmcnt(2)
	ds_read2_b64 v[18:21], v82 offset1:16
	ds_read_b64 v[28:29], v78 offset:32768
	ds_read_b64 v[30:31], v80 offset:32768
	;; [unrolled: 1-line block ×3, first 2 shown]
	ds_read2st64_b64 v[22:25], v82 offset0:2 offset1:4
	v_add_u32_e32 v105, s57, v93
	s_waitcnt lgkmcnt(4)
	v_mfma_f32_16x16x16_bf16 a[4:7], v[26:27], v[18:19], a[4:7]
	v_ashrrev_i32_e32 v18, 31, v105
	v_mfma_f32_16x16x16_bf16 a[0:3], v[26:27], v[20:21], a[0:3]
	v_mul_lo_u32 v20, v105, s35
	v_mul_lo_u32 v21, v18, s34
	v_mad_u64_u32 v[18:19], s[24:25], v105, s34, 0
	v_add3_u32 v19, v19, v20, v21
	v_add_u32_e32 v20, 1, v105
	v_ashrrev_i32_e32 v21, 31, v20
	s_waitcnt lgkmcnt(0)
	v_mfma_f32_16x16x16_bf16 a[4:7], v[28:29], v[22:23], a[4:7]
	v_mul_lo_u32 v22, v21, s34
	v_mul_lo_u32 v23, v20, s35
	v_mad_u64_u32 v[20:21], s[24:25], v20, s34, 0
	v_add3_u32 v21, v21, v23, v22
	v_add_u32_e32 v22, 2, v105
	v_ashrrev_i32_e32 v23, 31, v22
	v_mul_lo_u32 v26, v23, s34
	v_mul_lo_u32 v27, v22, s35
	v_mad_u64_u32 v[22:23], s[24:25], v22, s34, 0
	v_add3_u32 v23, v23, v27, v26
	v_add_u32_e32 v26, 3, v105
	v_ashrrev_i32_e32 v27, 31, v26
	v_mul_lo_u32 v105, v27, s34
	v_mul_lo_u32 v106, v26, s35
	v_mad_u64_u32 v[26:27], s[24:25], v26, s34, 0
	s_add_u32 s24, s2, s57
	s_addc_u32 s25, s3, 0
	s_lshl_b64 s[64:65], s[24:25], 8
	v_lshl_add_u64 v[18:19], v[18:19], 2, s[40:41]
	v_add3_u32 v27, v27, v106, v105
	v_lshl_add_u64 v[106:107], v[36:37], 0, s[64:65]
	v_lshl_add_u64 v[20:21], v[20:21], 2, s[40:41]
	;; [unrolled: 1-line block ×3, first 2 shown]
	global_load_dword v105, v[18:19], off
	global_load_ushort v108, v[106:107], off offset:256
	global_load_ushort v109, v[106:107], off
	global_load_ushort v110, v[106:107], off offset:768
	v_lshl_add_u64 v[18:19], v[26:27], 2, s[40:41]
	v_lshl_add_u64 v[22:23], v[22:23], 2, s[40:41]
	global_load_dword v111, v[20:21], off
	global_load_dword v112, v[22:23], off
	;; [unrolled: 1-line block ×3, first 2 shown]
	ds_read2st64_b64 v[18:21], v83 offset0:2 offset1:4
	s_waitcnt lgkmcnt(0)
	v_mfma_f32_16x16x16_bf16 a[0:3], v[28:29], v[18:19], a[0:3]
	global_load_ushort v28, v[106:107], off offset:512
	global_load_ushort v114, v[106:107], off offset:800
	;; [unrolled: 1-line block ×4, first 2 shown]
	s_nop 0
	global_load_ushort v106, v[106:107], off offset:32
	s_and_b64 vcc, exec, s[0:1]
	v_mfma_f32_16x16x16_bf16 a[4:7], v[30:31], v[24:25], a[4:7]
	s_waitcnt vmcnt(10)
	v_lshlrev_b32_e32 v27, 16, v108
	v_mfma_f32_16x16x16_bf16 a[0:3], v[30:31], v[20:21], a[0:3]
	ds_read_b64 v[18:19], v82 offset:3072
	ds_read_b64 v[20:21], v83 offset:3072
	s_load_dword s24, s[42:43], 0x0
	s_waitcnt vmcnt(9)
	v_lshlrev_b32_e32 v26, 16, v109
	s_waitcnt lgkmcnt(0)
	v_mfma_f32_16x16x16_bf16 a[4:7], v[32:33], v[18:19], a[4:7]
	v_lshl_add_u64 v[18:19], v[38:39], 0, s[64:65]
	v_sub_f32_e32 v30, s24, v105
	s_waitcnt vmcnt(7)
	v_sub_f32_e32 v31, s24, v111
	v_mfma_f32_16x16x16_bf16 a[0:3], v[32:33], v[20:21], a[0:3]
	s_waitcnt vmcnt(6)
	v_sub_f32_e32 v32, s24, v112
	s_waitcnt vmcnt(5)
	v_sub_f32_e32 v33, s24, v113
	v_accvgpr_read_b32 v25, a5
	v_accvgpr_read_b32 v24, a4
	v_exp_f32_e32 v30, v30
	v_pk_add_f32 v[24:25], v[26:27], v[24:25] neg_lo:[0,1] neg_hi:[0,1]
	v_exp_f32_e32 v31, v31
	v_exp_f32_e32 v26, v32
	v_exp_f32_e32 v27, v33
	v_accvgpr_read_b32 v21, a7
	v_accvgpr_read_b32 v20, a6
	v_lshlrev_b32_e32 v29, 16, v110
	s_waitcnt vmcnt(4)
	v_lshlrev_b32_e32 v28, 16, v28
	v_lshl_add_u64 v[18:19], v[18:19], 0, v[34:35]
	v_pk_add_f32 v[20:21], v[28:29], v[20:21] neg_lo:[0,1] neg_hi:[0,1]
	global_store_short_d16_hi v[18:19], v24, off
	global_store_short_d16_hi v[18:19], v25, off offset:256
	global_store_short_d16_hi v[18:19], v20, off offset:512
	;; [unrolled: 1-line block ×3, first 2 shown]
	v_pk_mul_f32 v[24:25], v[30:31], v[24:25]
	v_pk_mul_f32 v[20:21], v[26:27], v[20:21]
	v_accvgpr_read_b32 v29, a1
	v_perm_b32 v24, v25, v24, s37
	v_perm_b32 v25, v21, v20, s37
	s_waitcnt vmcnt(5)
	v_lshlrev_b32_e32 v21, 16, v116
	s_waitcnt vmcnt(4)
	v_lshlrev_b32_e32 v20, 16, v106
	v_accvgpr_read_b32 v28, a0
	v_accvgpr_read_b32 v23, a3
	;; [unrolled: 1-line block ×3, first 2 shown]
	v_pk_add_f32 v[20:21], v[20:21], v[28:29] neg_lo:[0,1] neg_hi:[0,1]
	v_lshlrev_b32_e32 v29, 16, v114
	v_lshlrev_b32_e32 v28, 16, v115
	v_pk_add_f32 v[22:23], v[28:29], v[22:23] neg_lo:[0,1] neg_hi:[0,1]
	global_store_short_d16_hi v[18:19], v20, off offset:32
	global_store_short_d16_hi v[18:19], v21, off offset:288
	;; [unrolled: 1-line block ×4, first 2 shown]
	v_pk_mul_f32 v[18:19], v[30:31], v[20:21]
	v_pk_mul_f32 v[20:21], v[26:27], v[22:23]
	v_mov_b32_e32 v105, 0
	v_perm_b32 v21, v21, v20, s37
	v_perm_b32 v20, v19, v18, s37
	ds_write2_b64 v57, v[24:25], v[20:21] offset1:16
	v_mov_b32_e32 v18, 0
	v_mov_b32_e32 v19, 0
	;; [unrolled: 1-line block ×16, first 2 shown]
	s_cbranch_vccnz .LBB431_14
; %bb.13:                               ;   in Loop: Header=BB431_6 Depth=1
	s_and_b32 s29, s29, 0xffff
	s_mov_b32 s31, s27
	buffer_load_dwordx4 v[30:33], v91, s[28:31], 0 offen
	buffer_load_dwordx4 v[22:25], v91, s[28:31], s56 offen
	;; [unrolled: 1-line block ×4, first 2 shown]
	v_mov_b32_e32 v104, v51
	v_mov_b32_e32 v105, v50
.LBB431_14:                             ;   in Loop: Header=BB431_6 Depth=1
	s_waitcnt lgkmcnt(0)
	s_barrier
	ds_read_b64 v[110:111], v94
	ds_read_b64 v[118:119], v87
	;; [unrolled: 1-line block ×5, first 2 shown]
	ds_read_b64 v[124:125], v88 offset:16384
	ds_read_b64 v[126:127], v86 offset:16384
	ds_read2_b64 v[106:109], v82 offset0:16 offset1:128
	s_waitcnt lgkmcnt(6)
	v_mfma_f32_16x16x16_bf16 a[0:3], v[110:111], v[118:119], 0
	ds_read_b64 v[128:129], v83 offset:3072
	ds_read_b64 v[130:131], v90 offset:16384
	s_add_i32 s25, s50, s63
	s_waitcnt lgkmcnt(2)
	v_mfma_f32_16x16x16_bf16 a[4:7], v[110:111], v[106:107], 0
	ds_read2st64_b64 v[110:113], v83 offset0:2 offset1:4
	s_mul_hi_i32 s29, s25, s17
	s_mul_i32 s25, s25, s17
	v_mfma_f32_16x16x16_bf16 a[0:3], v[114:115], v[108:109], a[0:3]
	s_add_u32 s28, s25, s33
	s_addc_u32 s29, s29, s54
	s_lshl_b64 s[28:29], s[28:29], 15
	s_waitcnt lgkmcnt(0)
	v_mfma_f32_16x16x16_bf16 a[4:7], v[114:115], v[110:111], a[4:7]
	ds_read2st64_b64 v[114:117], v82 offset0:4 offset1:6
	s_waitcnt lgkmcnt(0)
	v_mfma_f32_16x16x16_bf16 a[0:3], v[120:121], v[114:115], a[0:3]
	v_mfma_f32_16x16x16_bf16 a[8:11], v[120:121], v[112:113], a[4:7]
	;; [unrolled: 1-line block ×5, first 2 shown]
	ds_read2st64_b64 v[118:121], v85 offset1:8
	v_mfma_f32_16x16x16_bf16 a[12:15], v[126:127], v[106:107], 0
	ds_read_b64 v[126:127], v89 offset:16384
	v_mfma_f32_16x16x16_bf16 a[8:11], v[124:125], v[108:109], a[8:11]
	ds_read2st64_b64 v[106:109], v84 offset1:8
	s_waitcnt lgkmcnt(0)
	v_mov_b32_e32 v122, v106
	v_mfma_f32_16x16x16_bf16 a[12:15], v[124:125], v[110:111], a[12:15]
	v_lshl_add_u64 v[110:111], v[40:41], 0, s[28:29]
	v_add_co_u32_e32 v106, vcc, s39, v110
	v_mfma_f32_16x16x16_bf16 a[8:11], v[126:127], v[114:115], a[8:11]
	v_mov_b32_e32 v123, v107
	v_addc_co_u32_e32 v107, vcc, 0, v111, vcc
	v_mfma_f32_16x16x16_bf16 a[16:19], v[126:127], v[112:113], a[12:15]
	v_mov_b32_e32 v124, v118
	v_mov_b32_e32 v125, v119
	v_mov_b32_e32 v118, v108
	v_mfma_f32_16x16x16_bf16 a[12:15], v[130:131], v[116:117], a[8:11]
	v_mov_b32_e32 v119, v109
	s_and_b64 vcc, exec, s[0:1]
	global_store_dwordx4 v[110:111], v[122:125], off
	v_mfma_f32_16x16x16_bf16 a[8:11], v[130:131], v[128:129], a[16:19]
	global_store_dwordx4 v[106:107], v[118:121], off
	s_cbranch_vccnz .LBB431_16
; %bb.15:                               ;   in Loop: Header=BB431_6 Depth=1
	v_lshrrev_b32_e32 v106, 3, v104
	v_and_b32_e32 v106, 6, v106
	v_xor_b32_e32 v105, v106, v105
	v_lshlrev_b32_e32 v105, 2, v105
	v_and_b32_e32 v104, 8, v104
	v_xor_b32_e32 v107, 0x440, v105
	v_cmp_eq_u32_e32 vcc, 0, v104
	s_barrier
	s_nop 0
	v_cndmask_b32_e32 v104, v107, v105, vcc
	v_lshl_or_b32 v104, v106, 10, v104
	s_waitcnt vmcnt(3)
	v_perm_b32 v105, v30, v26, s58
	s_waitcnt vmcnt(2)
	v_perm_b32 v106, v22, v18, s58
	ds_write2st64_b32 v104, v105, v106 offset0:32 offset1:64
	v_xor_b32_e32 v105, 8, v104
	v_perm_b32 v26, v30, v26, s59
	v_perm_b32 v18, v22, v18, s59
	v_add_u32_e32 v22, 0x80, v105
	ds_write2st64_b32 v22, v26, v18 offset0:32 offset1:64
	v_xor_b32_e32 v18, 16, v104
	v_perm_b32 v22, v31, v27, s58
	v_perm_b32 v26, v23, v19, s58
	ds_write2st64_b32 v18, v22, v26 offset0:33 offset1:65
	v_xor_b32_e32 v18, 24, v104
	v_perm_b32 v22, v31, v27, s59
	v_perm_b32 v19, v23, v19, s59
	v_add_u32_e32 v18, 0x80, v18
	ds_write2st64_b32 v18, v22, v19 offset0:33 offset1:65
	v_xor_b32_e32 v18, 32, v104
	v_perm_b32 v19, v32, v28, s58
	;; [unrolled: 9-line block ×3, first 2 shown]
	v_perm_b32 v20, v25, v21, s58
	ds_write2st64_b32 v18, v19, v20 offset0:35 offset1:67
	v_xor_b32_e32 v18, 56, v104
	v_perm_b32 v19, v33, v29, s59
	v_perm_b32 v20, v25, v21, s59
	v_add_u32_e32 v18, 0x80, v18
	ds_write2st64_b32 v18, v19, v20 offset0:35 offset1:67
	ds_write_b64 v103, v[14:15] offset:24576
	v_xor_b32_e32 v14, 8, v103
	ds_write_b64 v14, v[16:17] offset:24576
	ds_write_b64 v103, v[10:11] offset:32768
	;; [unrolled: 1-line block ×4, first 2 shown]
	v_xor_b32_e32 v6, 8, v102
	ds_write_b64 v6, v[8:9] offset:24576
	ds_write_b64 v102, v[2:3] offset:32768
	;; [unrolled: 1-line block ×3, first 2 shown]
.LBB431_16:                             ;   in Loop: Header=BB431_6 Depth=1
	v_exp_f32_e32 v2, s24
	v_accvgpr_read_b32 v3, a4
	v_accvgpr_read_b32 v4, a5
	v_accvgpr_read_b32 v5, a7
	v_fma_f32 v74, v74, v2, v3
	v_accvgpr_read_b32 v3, a6
	v_fma_f32 v75, v75, v2, v3
	v_accvgpr_read_b32 v3, a0
	;; [unrolled: 2-line block ×11, first 2 shown]
	v_accvgpr_read_b32 v6, a15
	v_fma_f32 v64, v64, v2, v3
	v_accvgpr_read_b32 v3, a11
	s_add_i32 s57, s57, 64
	v_fmac_f32_e32 v5, v100, v2
	v_fmac_f32_e32 v4, v101, v2
	;; [unrolled: 1-line block ×3, first 2 shown]
	s_cmp_eq_u32 s48, s62
	v_fmac_f32_e32 v3, v99, v2
	s_cbranch_scc1 .LBB431_18
; %bb.17:                               ;   in Loop: Header=BB431_6 Depth=1
	s_mov_b32 s63, s62
	v_mov_b32_e32 v100, v5
	v_mov_b32_e32 v98, v6
	;; [unrolled: 1-line block ×4, first 2 shown]
	s_branch .LBB431_6
.LBB431_18:
	s_lshl_b32 s42, s48, 6
	s_sub_i32 s43, s16, s42
	s_cmp_gt_i32 s43, 0
	s_cbranch_scc0 .LBB431_83
; %bb.19:
	s_ashr_i32 s39, s47, 31
	s_ashr_i32 s2, s42, 31
	s_cmpk_lg_i32 s19, 0x80
	s_cselect_b64 s[30:31], -1, 0
	s_and_b64 vcc, exec, s[30:31]
	s_cbranch_vccz .LBB431_21
; %bb.20:
	s_mul_i32 s1, s47, s16
	s_mul_hi_i32 s0, s47, s16
	s_add_u32 s1, s1, s42
	s_addc_u32 s0, s0, s2
	s_mul_i32 s3, s1, s49
	s_mul_hi_u32 s24, s1, s18
	s_add_i32 s3, s24, s3
	s_mul_i32 s0, s0, s18
	s_add_i32 s3, s3, s0
	s_mul_i32 s1, s1, s18
	s_ashr_i32 s0, s52, 31
	s_add_u32 s40, s1, s52
	s_addc_u32 s41, s3, s0
	s_cbranch_execz .LBB431_22
	s_branch .LBB431_23
.LBB431_21:
                                        ; implicit-def: $sgpr40_sgpr41
.LBB431_22:
	s_mul_hi_i32 s0, s47, s18
	s_mul_i32 s47, s47, s18
	s_ashr_i32 s1, s52, 31
	s_add_u32 s3, s47, s52
	s_addc_u32 s0, s0, s1
	s_mul_i32 s1, s3, s46
	s_mul_hi_u32 s18, s3, s16
	s_add_i32 s1, s18, s1
	s_mul_i32 s0, s0, s16
	s_add_i32 s1, s1, s0
	s_mul_i32 s3, s3, s16
	s_add_u32 s40, s3, s42
	s_addc_u32 s41, s1, s2
.LBB431_23:
	s_add_i32 s3, s50, s48
	s_ashr_i32 s18, s33, 31
	s_add_u32 s0, s45, s33
	s_addc_u32 s1, s51, s18
	s_mul_i32 s24, s0, s46
	s_mul_hi_u32 s25, s0, s16
	s_add_i32 s24, s25, s24
	s_mul_i32 s1, s1, s16
	s_add_i32 s24, s24, s1
	s_mul_i32 s0, s0, s16
	s_add_u32 s0, s0, s42
	s_addc_u32 s1, s24, s2
	v_lshlrev_b32_e32 v10, 5, v48
	s_waitcnt vmcnt(4)
	v_lshlrev_b32_e32 v22, 2, v42
	s_mov_b32 s2, 0x7060302
	v_xor_b32_e32 v2, v48, v22
	v_perm_b32 v9, v5, v75, s2
	v_or_b32_e32 v5, v10, v22
	v_perm_b32 v8, v73, v74, s2
	v_perm_b32 v7, v6, v72, s2
	;; [unrolled: 1-line block ×3, first 2 shown]
	v_lshlrev_b32_e32 v5, 1, v5
	v_lshlrev_b32_e32 v12, 1, v2
	;; [unrolled: 1-line block ×3, first 2 shown]
	s_lshl_b64 s[28:29], s[0:1], 8
	v_xor_b32_e32 v11, v49, v22
	ds_write2st64_b64 v5, v[8:9], v[6:7] offset0:80 offset1:88
	v_or_b32_e32 v5, v12, v2
	s_add_u32 s0, s6, s28
	ds_write_b64 v5, v[8:9]
	v_lshlrev_b32_e32 v8, 1, v11
	s_addc_u32 s1, s7, s29
	v_or_b32_e32 v2, v8, v2
	s_mul_hi_i32 s6, s3, s17
	s_mul_i32 s3, s3, s17
	ds_write_b64 v2, v[6:7]
	v_perm_b32 v5, v4, v67, s2
	v_perm_b32 v4, v65, v66, s2
	;; [unrolled: 1-line block ×4, first 2 shown]
	v_or_b32_e32 v6, 16, v42
	s_add_u32 s2, s3, s33
	s_waitcnt vmcnt(2)
	v_lshlrev_b32_e32 v19, 2, v6
	s_addc_u32 s3, s6, s18
	v_or_b32_e32 v7, v10, v19
	s_ashr_i32 s37, s36, 31
	s_lshl_b64 s[2:3], s[2:3], 15
	v_lshlrev_b32_e32 v7, 1, v7
	v_lshlrev_b32_e32 v6, 8, v6
	s_add_u32 s6, s12, s2
	ds_write2st64_b64 v7, v[4:5], v[2:3] offset0:80 offset1:88
	v_or_b32_e32 v7, v12, v6
	s_addc_u32 s7, s13, s3
	s_lshl_b64 s[2:3], s[36:37], 8
	ds_write_b64 v7, v[4:5]
	v_or_b32_e32 v4, v8, v6
	s_add_u32 s2, s6, s2
	ds_write_b64 v4, v[2:3]
	v_lshrrev_b32_e32 v2, 4, v0
	s_addc_u32 s3, s7, s3
	v_lshlrev_b32_e32 v3, 1, v42
	v_lshlrev_b32_e32 v10, 4, v42
	v_mov_b32_e32 v11, 0
	v_or_b32_e32 v4, 1, v3
	v_xor_b32_e32 v3, v2, v3
	v_lshl_add_u64 v[12:13], s[2:3], 0, v[10:11]
	v_lshlrev_b32_e32 v10, 8, v2
	v_xor_b32_e32 v6, v4, v2
	v_lshl_or_b32 v2, v3, 3, v10
	s_waitcnt lgkmcnt(0)
	s_barrier
	ds_read2st64_b64 v[2:5], v2 offset1:8
	v_lshl_or_b32 v6, v6, 3, v10
	ds_read2st64_b64 v[6:9], v6 offset1:8
	v_lshl_add_u64 v[14:15], v[12:13], 0, v[10:11]
	s_movk_i32 s2, 0x1000
	s_waitcnt lgkmcnt(1)
	v_mov_b32_e32 v10, v2
	v_add_co_u32_e32 v2, vcc, s2, v14
	s_cmp_lg_u32 s43, 64
	v_mov_b32_e32 v11, v3
	v_addc_co_u32_e32 v3, vcc, 0, v15, vcc
	s_cselect_b64 s[6:7], -1, 0
	v_lshl_or_b32 v23, v44, 3, v47
	s_waitcnt lgkmcnt(0)
	v_mov_b32_e32 v12, v6
	v_mov_b32_e32 v13, v7
	v_mov_b32_e32 v6, v4
	v_mov_b32_e32 v7, v5
	s_mov_b32 s24, 0
	v_or_b32_e32 v20, 32, v23
	v_and_b32_e32 v18, 56, v46
	s_and_b64 vcc, exec, s[6:7]
	global_store_dwordx4 v[14:15], v[10:13], off
	global_store_dwordx4 v[2:3], v[6:9], off
	s_cbranch_vccz .LBB431_29
; %bb.24:
	s_mov_b32 s25, s24
	s_mov_b32 s26, s24
	;; [unrolled: 1-line block ×3, first 2 shown]
	v_mov_b64_e32 v[6:7], s[24:25]
	v_mov_b64_e32 v[8:9], s[26:27]
	;; [unrolled: 1-line block ×3, first 2 shown]
	v_cmp_gt_i32_e32 vcc, s43, v23
	v_mov_b64_e32 v[4:5], v[8:9]
	s_and_saveexec_b64 s[2:3], vcc
	s_cbranch_execz .LBB431_26
; %bb.25:
	v_lshlrev_b32_e32 v2, 8, v23
	v_mov_b32_e32 v3, 0
	v_lshl_add_u64 v[4:5], s[0:1], 0, v[2:3]
	v_lshlrev_b32_e32 v2, 1, v18
	v_lshl_add_u64 v[10:11], v[4:5], 0, v[2:3]
	global_load_dwordx4 v[6:9], v[10:11], off
	global_load_dwordx4 v[2:5], v[10:11], off offset:128
.LBB431_26:
	s_or_b64 exec, exec, s[2:3]
	s_mov_b32 s25, s24
	s_mov_b32 s26, s24
	;; [unrolled: 1-line block ×3, first 2 shown]
	v_mov_b64_e32 v[14:15], s[24:25]
	v_mov_b64_e32 v[16:17], s[26:27]
	;; [unrolled: 1-line block ×3, first 2 shown]
	v_cmp_gt_i32_e32 vcc, s43, v20
	v_lshlrev_b32_e32 v21, 7, v20
	v_mov_b64_e32 v[12:13], v[16:17]
	s_and_saveexec_b64 s[2:3], vcc
	s_cbranch_execz .LBB431_28
; %bb.27:
	v_lshlrev_b32_e32 v10, 1, v21
	v_mov_b32_e32 v11, 0
	v_lshl_add_u64 v[12:13], s[0:1], 0, v[10:11]
	v_lshlrev_b32_e32 v10, 1, v18
	v_lshl_add_u64 v[24:25], v[12:13], 0, v[10:11]
	global_load_dwordx4 v[14:17], v[24:25], off
	global_load_dwordx4 v[10:13], v[24:25], off offset:128
.LBB431_28:
	s_or_b64 exec, exec, s[2:3]
	v_lshrrev_b32_e32 v24, 3, v18
	v_lshlrev_b32_e32 v25, 3, v23
	v_or_b32_e32 v24, v25, v24
	v_lshlrev_b32_e32 v24, 4, v24
	v_and_b32_e32 v25, 0x78, v25
	v_xor_b32_e32 v24, v24, v25
	s_branch .LBB431_31
.LBB431_29:
                                        ; implicit-def: $vgpr24
                                        ; implicit-def: $vgpr21
                                        ; implicit-def: $vgpr6_vgpr7_vgpr8_vgpr9
                                        ; implicit-def: $vgpr2_vgpr3_vgpr4_vgpr5
                                        ; implicit-def: $vgpr14_vgpr15_vgpr16_vgpr17
                                        ; implicit-def: $vgpr10_vgpr11_vgpr12_vgpr13
	s_cbranch_execz .LBB431_31
; %bb.30:
	s_waitcnt vmcnt(0)
	v_lshlrev_b32_e32 v2, 1, v18
	v_lshl_or_b32 v21, v23, 8, v2
	s_and_b32 s1, s1, 0xffff
	s_mov_b32 s3, 0x20000
	s_movk_i32 s2, 0x4000
	v_lshl_or_b32 v24, v20, 8, v2
	s_movk_i32 s12, 0x80
	buffer_load_dwordx4 v[6:9], v21, s[0:3], 0 offen
	buffer_load_dwordx4 v[2:5], v21, s[0:3], s12 offen
	;; [unrolled: 1-line block ×4, first 2 shown]
	v_lshrrev_b32_e32 v21, 3, v18
	v_lshlrev_b32_e32 v24, 3, v23
	v_or_b32_e32 v21, v24, v21
	v_lshlrev_b32_e32 v21, 4, v21
	v_and_b32_e32 v24, 0x78, v24
	v_xor_b32_e32 v24, v21, v24
	v_lshlrev_b32_e32 v21, 7, v20
.LBB431_31:
	s_lshl_b64 s[0:1], s[40:41], 8
	s_add_u32 s4, s4, s0
	s_movk_i32 s0, 0x1000
	v_and_or_b32 v20, v21, s0, v24
	s_waitcnt vmcnt(1)
	ds_write_b64 v24, v[6:7] offset:24576
	v_xor_b32_e32 v6, 8, v24
	ds_write_b64 v6, v[8:9] offset:24576
	s_waitcnt vmcnt(0)
	ds_write_b64 v24, v[2:3] offset:32768
	ds_write_b64 v6, v[4:5] offset:32768
	;; [unrolled: 1-line block ×3, first 2 shown]
	v_xor_b32_e32 v2, 8, v20
	ds_write_b64 v2, v[16:17] offset:24576
	ds_write_b64 v20, v[10:11] offset:32768
	;; [unrolled: 1-line block ×3, first 2 shown]
	v_or_b32_e32 v2, v1, v42
	v_lshlrev_b32_e32 v3, 11, v44
	v_lshlrev_b32_e32 v2, 3, v2
	v_and_b32_e32 v6, 0x1000, v3
	v_lshrrev_b32_e32 v3, 5, v43
	s_movk_i32 s13, 0xf8
	v_and_or_b32 v3, v2, s13, v3
	v_lshlrev_b32_e32 v7, 4, v3
	v_and_b32_e32 v8, 0x78, v2
	v_or_b32_e32 v10, 32, v7
	v_lshrrev_b32_e32 v3, 1, v43
	v_xor_b32_e32 v10, v10, v8
	v_xor_b32_e32 v2, v7, v8
	v_and_b32_e32 v9, 8, v3
	v_or_b32_e32 v10, v10, v6
	v_or_b32_e32 v2, v2, v6
	v_xor_b32_e32 v26, v10, v9
	v_or_b32_e32 v10, 64, v7
	v_xor_b32_e32 v25, v2, v9
	v_xor_b32_e32 v10, v10, v8
	s_waitcnt lgkmcnt(0)
	s_barrier
	v_or_b32_e32 v12, v10, v6
	ds_read_b64 v[10:11], v25 offset:24576
	v_lshl_or_b32 v20, v45, 7, v22
	v_lshlrev_b32_e32 v24, 1, v20
	v_add_u32_e32 v2, 0xa000, v24
	ds_read2_b64 v[2:5], v2 offset1:16
	v_or_b32_e32 v7, 0x60, v7
	v_xor_b32_e32 v7, v7, v8
	s_waitcnt lgkmcnt(0)
	v_mfma_f32_16x16x16_bf16 a[0:3], v[10:11], v[2:3], 0
	v_or_b32_e32 v2, 64, v20
	v_or_b32_e32 v6, v7, v6
	v_lshlrev_b32_e32 v29, 1, v2
	v_xor_b32_e32 v27, v12, v9
	v_xor_b32_e32 v28, v6, v9
	ds_read_b64 v[12:13], v26 offset:24576
	ds_read_b64 v[14:15], v27 offset:24576
	;; [unrolled: 1-line block ×3, first 2 shown]
	v_mfma_f32_16x16x16_bf16 a[4:7], v[10:11], v[4:5], 0
	ds_read2st64_b64 v[2:5], v29 offset0:82 offset1:84
	ds_read2st64_b64 v[6:9], v24 offset0:82 offset1:84
	s_addc_u32 s5, s5, s1
	s_add_i32 s2, s16, -1
	s_add_i32 s0, s44, s21
	s_mul_i32 s39, s39, s20
	s_add_i32 s39, s0, s39
	s_mul_i32 s0, s33, s23
	s_mul_hi_u32 s1, s33, s22
	s_ashr_i32 s3, s2, 31
	s_mul_i32 s12, s2, s35
	s_mul_hi_u32 s13, s2, s34
	s_add_i32 s0, s1, s0
	s_mul_i32 s1, s18, s22
	s_add_i32 s12, s13, s12
	s_mul_i32 s3, s3, s34
	s_waitcnt lgkmcnt(1)
	v_mfma_f32_16x16x16_bf16 a[4:7], v[12:13], v[2:3], a[4:7]
	s_add_i32 s1, s0, s1
	s_add_i32 s3, s12, s3
	s_lshl_b64 s[12:13], s[38:39], 2
	s_waitcnt lgkmcnt(0)
	v_mfma_f32_16x16x16_bf16 a[0:3], v[12:13], v[6:7], a[0:3]
	s_mul_i32 s0, s33, s22
	s_add_u32 s10, s10, s12
	s_addc_u32 s11, s11, s13
	s_lshl_b64 s[0:1], s[0:1], 2
	s_mul_i32 s2, s2, s34
	s_add_u32 s10, s10, s0
	ds_read_b64 v[2:3], v24 offset:44032
	v_mfma_f32_16x16x16_bf16 a[4:7], v[14:15], v[4:5], a[4:7]
	ds_read_b64 v[4:5], v29 offset:44032
	s_addc_u32 s11, s11, s1
	s_lshl_b64 s[0:1], s[2:3], 2
	v_mfma_f32_16x16x16_bf16 a[0:3], v[14:15], v[8:9], a[0:3]
	s_add_u32 s0, s10, s0
	s_addc_u32 s1, s11, s1
	s_load_dword s12, s[0:1], 0x0
	s_waitcnt lgkmcnt(0)
	v_mfma_f32_16x16x16_bf16 a[0:3], v[16:17], v[2:3], a[0:3]
	s_and_b64 vcc, exec, s[30:31]
	v_mfma_f32_16x16x16_bf16 a[4:7], v[16:17], v[4:5], a[4:7]
	s_cbranch_vccz .LBB431_42
; %bb.32:
	v_lshlrev_b32_e32 v20, 1, v23
	s_and_b64 vcc, exec, s[6:7]
	s_cbranch_vccz .LBB431_43
; %bb.33:
	v_cmp_gt_i32_e32 vcc, s43, v20
	v_mov_b32_e32 v6, 0
	v_mov_b32_e32 v2, 0
	;; [unrolled: 1-line block ×5, first 2 shown]
	s_and_saveexec_b64 s[0:1], vcc
	s_cbranch_execz .LBB431_35
; %bb.34:
	v_mad_i64_i32 v[2:3], s[2:3], s19, v20, 0
	v_lshl_add_u64 v[2:3], v[2:3], 1, s[4:5]
	v_lshlrev_b32_e32 v4, 1, v18
	v_mov_b32_e32 v5, 0
	v_lshl_add_u64 v[2:3], v[2:3], 0, v[4:5]
	global_load_dwordx4 v[2:5], v[2:3], off
.LBB431_35:
	s_or_b64 exec, exec, s[0:1]
	v_or_b32_e32 v21, 1, v20
	v_cmp_gt_i32_e64 s[0:1], s43, v21
	v_mov_b32_e32 v7, 0
	v_mov_b32_e32 v8, 0
	;; [unrolled: 1-line block ×3, first 2 shown]
	s_and_saveexec_b64 s[2:3], s[0:1]
	s_cbranch_execz .LBB431_37
; %bb.36:
	v_mad_i64_i32 v[6:7], s[16:17], s19, v21, 0
	v_lshl_add_u64 v[6:7], v[6:7], 1, s[4:5]
	v_lshlrev_b32_e32 v8, 1, v18
	v_mov_b32_e32 v9, 0
	v_lshl_add_u64 v[6:7], v[6:7], 0, v[8:9]
	global_load_dwordx4 v[6:9], v[6:7], off
.LBB431_37:
	s_or_b64 exec, exec, s[2:3]
	v_mov_b32_e32 v17, 0
	v_mov_b32_e32 v10, 0
	v_mov_b32_e32 v11, 0
	v_mov_b32_e32 v12, 0
	v_mov_b32_e32 v13, 0
	s_and_saveexec_b64 s[2:3], vcc
	s_cbranch_execz .LBB431_39
; %bb.38:
	v_mad_i64_i32 v[10:11], s[16:17], s19, v20, 0
	v_lshl_add_u64 v[10:11], v[10:11], 1, s[4:5]
	v_lshlrev_b32_e32 v12, 1, v18
	v_mov_b32_e32 v13, 0
	v_lshl_add_u64 v[10:11], v[10:11], 0, v[12:13]
	global_load_dwordx4 v[10:13], v[10:11], off offset:128
.LBB431_39:
	s_or_b64 exec, exec, s[2:3]
	v_mov_b32_e32 v16, 0
	v_mov_b32_e32 v15, 0
	;; [unrolled: 1-line block ×3, first 2 shown]
	s_and_saveexec_b64 s[2:3], s[0:1]
	s_cbranch_execz .LBB431_41
; %bb.40:
	v_mad_i64_i32 v[14:15], s[0:1], s19, v21, 0
	v_lshl_add_u64 v[14:15], v[14:15], 1, s[4:5]
	v_lshlrev_b32_e32 v16, 1, v18
	v_mov_b32_e32 v17, 0
	v_lshl_add_u64 v[14:15], v[14:15], 0, v[16:17]
	global_load_dwordx4 v[14:17], v[14:15], off offset:128
.LBB431_41:
	s_or_b64 exec, exec, s[2:3]
	s_branch .LBB431_45
.LBB431_42:
                                        ; implicit-def: $vgpr5
                                        ; implicit-def: $vgpr9
                                        ; implicit-def: $vgpr13
                                        ; implicit-def: $vgpr17
	v_lshrrev_b32_e32 v30, 2, v43
	s_branch .LBB431_46
.LBB431_43:
                                        ; implicit-def: $vgpr5
                                        ; implicit-def: $vgpr9
                                        ; implicit-def: $vgpr13
                                        ; implicit-def: $vgpr17
	s_cbranch_execz .LBB431_45
; %bb.44:
	s_waitcnt vmcnt(0)
	v_mad_u64_u32 v[2:3], s[0:1], v20, s19, v[18:19]
	v_lshlrev_b32_e32 v20, 1, v2
	s_lshl_b32 s2, s19, 7
	s_and_b32 s1, s5, 0xffff
	s_mov_b32 s3, 0x20000
	s_mov_b32 s0, s4
	v_add_lshl_u32 v21, v2, s19, 1
	s_movk_i32 s13, 0x80
	buffer_load_dwordx4 v[2:5], v20, s[0:3], 0 offen
	buffer_load_dwordx4 v[10:13], v20, s[0:3], s13 offen
	;; [unrolled: 1-line block ×4, first 2 shown]
.LBB431_45:
	v_lshrrev_b32_e32 v30, 2, v43
	s_cbranch_execnz .LBB431_58
.LBB431_46:
	s_and_b64 vcc, exec, s[6:7]
	s_cbranch_vccz .LBB431_56
; %bb.47:
	s_waitcnt vmcnt(0)
	v_lshlrev_b32_e32 v7, 1, v23
	v_cmp_gt_i32_e32 vcc, s43, v7
	v_mov_b32_e32 v6, 0
	v_lshlrev_b32_e32 v14, 9, v23
	v_mov_b32_e32 v2, 0
	v_mov_b32_e32 v3, 0
	v_mov_b32_e32 v4, 0
	v_mov_b32_e32 v5, 0
	s_and_saveexec_b64 s[0:1], vcc
	s_cbranch_execz .LBB431_49
; %bb.48:
	v_mov_b32_e32 v15, 0
	v_lshl_add_u64 v[2:3], s[4:5], 0, v[14:15]
	v_lshlrev_b32_e32 v4, 1, v18
	v_mov_b32_e32 v5, v15
	v_lshl_add_u64 v[2:3], v[2:3], 0, v[4:5]
	global_load_dwordx4 v[2:5], v[2:3], off
.LBB431_49:
	s_or_b64 exec, exec, s[0:1]
	v_or_b32_e32 v7, 1, v7
	v_cmp_gt_i32_e64 s[0:1], s43, v7
	v_lshlrev_b32_e32 v20, 8, v7
	v_mov_b32_e32 v7, 0
	v_mov_b32_e32 v8, 0
	v_mov_b32_e32 v9, 0
	s_and_saveexec_b64 s[2:3], s[0:1]
	s_cbranch_execz .LBB431_51
; %bb.50:
	v_mov_b32_e32 v21, 0
	v_lshl_add_u64 v[6:7], s[4:5], 0, v[20:21]
	v_lshlrev_b32_e32 v8, 1, v18
	v_mov_b32_e32 v9, v21
	v_lshl_add_u64 v[6:7], v[6:7], 0, v[8:9]
	global_load_dwordx4 v[6:9], v[6:7], off
.LBB431_51:
	s_or_b64 exec, exec, s[2:3]
	v_mov_b32_e32 v17, 0
	v_mov_b32_e32 v10, 0
	;; [unrolled: 1-line block ×5, first 2 shown]
	s_and_saveexec_b64 s[2:3], vcc
	s_cbranch_execz .LBB431_53
; %bb.52:
	v_mov_b32_e32 v15, 0
	v_lshl_add_u64 v[10:11], s[4:5], 0, v[14:15]
	v_lshlrev_b32_e32 v14, 1, v18
	v_lshl_add_u64 v[10:11], v[10:11], 0, v[14:15]
	global_load_dwordx4 v[10:13], v[10:11], off offset:128
.LBB431_53:
	s_or_b64 exec, exec, s[2:3]
	v_mov_b32_e32 v16, 0
	v_mov_b32_e32 v15, 0
	;; [unrolled: 1-line block ×3, first 2 shown]
	s_and_saveexec_b64 s[2:3], s[0:1]
	s_cbranch_execz .LBB431_55
; %bb.54:
	v_mov_b32_e32 v21, 0
	v_lshl_add_u64 v[14:15], s[4:5], 0, v[20:21]
	v_lshlrev_b32_e32 v20, 1, v18
	v_lshl_add_u64 v[14:15], v[14:15], 0, v[20:21]
	global_load_dwordx4 v[14:17], v[14:15], off offset:128
.LBB431_55:
	s_or_b64 exec, exec, s[2:3]
	s_branch .LBB431_58
.LBB431_56:
                                        ; implicit-def: $vgpr5
                                        ; implicit-def: $vgpr9
                                        ; implicit-def: $vgpr13
                                        ; implicit-def: $vgpr17
	s_cbranch_execz .LBB431_58
; %bb.57:
	s_waitcnt vmcnt(0)
	v_lshlrev_b32_e32 v2, 1, v18
	v_lshl_or_b32 v18, v23, 9, v2
	s_and_b32 s5, s5, 0xffff
	s_mov_b32 s7, 0x20000
	s_movk_i32 s6, 0x4000
	s_movk_i32 s0, 0x80
	buffer_load_dwordx4 v[2:5], v18, s[4:7], 0 offen
	buffer_load_dwordx4 v[6:9], v18, s[4:7], 0 offen offset:256
	buffer_load_dwordx4 v[10:13], v18, s[4:7], s0 offen
	buffer_load_dwordx4 v[14:17], v18, s[4:7], s0 offen offset:256
.LBB431_58:
	ds_read_b64 v[20:21], v25 offset:32768
	v_add_u32_e32 v18, 0xb000, v24
	ds_read2_b64 v[32:35], v18 offset1:16
	ds_read_b64 v[40:41], v26 offset:32768
	ds_read_b64 v[26:27], v27 offset:32768
	;; [unrolled: 1-line block ×3, first 2 shown]
	v_and_b32_e32 v18, 6, v0
	v_xor_b32_e32 v23, v23, v18
	v_lshlrev_b32_e32 v23, 2, v23
	v_and_b32_e32 v0, 1, v0
	v_xor_b32_e32 v28, 0x440, v23
	v_cmp_eq_u32_e32 vcc, 0, v0
	s_waitcnt lgkmcnt(3)
	v_mfma_f32_16x16x16_bf16 a[0:3], v[20:21], v[32:33], a[0:3]
	s_mov_b32 s0, 0x1000504
	v_cndmask_b32_e32 v0, v28, v23, vcc
	v_lshl_or_b32 v0, v18, 10, v0
	v_mfma_f32_16x16x16_bf16 a[4:7], v[20:21], v[34:35], a[4:7]
	ds_read2st64_b64 v[32:35], v24 offset0:90 offset1:92
	ds_read2st64_b64 v[36:39], v29 offset0:90 offset1:92
	ds_read_b64 v[20:21], v24 offset:48128
	ds_read_b64 v[24:25], v29 offset:48128
	s_waitcnt vmcnt(0)
	v_perm_b32 v18, v2, v6, s0
	s_waitcnt lgkmcnt(3)
	v_mfma_f32_16x16x16_bf16 a[0:3], v[40:41], v[32:33], a[0:3]
	s_mov_b32 s1, 0x3020706
	v_perm_b32 v2, v2, v6, s1
	v_perm_b32 v6, v10, v14, s1
	s_waitcnt lgkmcnt(2)
	v_mfma_f32_16x16x16_bf16 a[4:7], v[40:41], v[36:37], a[4:7]
	v_mfma_f32_16x16x16_bf16 a[0:3], v[26:27], v[34:35], a[0:3]
	v_mfma_f32_16x16x16_bf16 a[8:11], v[26:27], v[38:39], a[4:7]
	s_waitcnt lgkmcnt(1)
	v_mfma_f32_16x16x16_bf16 a[4:7], v[44:45], v[20:21], a[0:3]
	v_perm_b32 v20, v10, v14, s0
	ds_write2st64_b32 v0, v18, v20 offset0:32 offset1:64
	v_xor_b32_e32 v18, 8, v0
	v_add_u32_e32 v10, 0x80, v18
	ds_write2st64_b32 v10, v2, v6 offset0:32 offset1:64
	v_xor_b32_e32 v2, 16, v0
	v_perm_b32 v6, v3, v7, s0
	v_perm_b32 v10, v11, v15, s0
	ds_write2st64_b32 v2, v6, v10 offset0:33 offset1:65
	v_xor_b32_e32 v2, 24, v0
	v_perm_b32 v3, v3, v7, s1
	v_perm_b32 v6, v11, v15, s1
	v_add_u32_e32 v2, 0x80, v2
	ds_write2st64_b32 v2, v3, v6 offset0:33 offset1:65
	v_xor_b32_e32 v2, 32, v0
	v_perm_b32 v3, v4, v8, s0
	v_perm_b32 v6, v12, v16, s0
	s_waitcnt lgkmcnt(4)
	v_mfma_f32_16x16x16_bf16 a[0:3], v[44:45], v[24:25], a[8:11]
	ds_write2st64_b32 v2, v3, v6 offset0:34 offset1:66
	v_xor_b32_e32 v2, 40, v0
	v_perm_b32 v3, v4, v8, s1
	v_perm_b32 v4, v12, v16, s1
	v_add_u32_e32 v2, 0x80, v2
	ds_write2st64_b32 v2, v3, v4 offset0:34 offset1:66
	v_xor_b32_e32 v2, 48, v0
	v_perm_b32 v3, v5, v9, s0
	v_perm_b32 v4, v13, v17, s0
	v_xor_b32_e32 v0, 56, v0
	v_and_or_b32 v21, v30, 12, v1
	ds_write2st64_b32 v2, v3, v4 offset0:35 offset1:67
	v_perm_b32 v2, v5, v9, s1
	v_perm_b32 v3, v13, v17, s1
	v_add_u32_e32 v0, 0x80, v0
	v_cmp_gt_i32_e32 vcc, s43, v21
	v_mov_b32_e32 v16, 0
	v_mov_b32_e32 v18, 0
	ds_write2st64_b32 v0, v2, v3 offset0:35 offset1:67
	s_and_saveexec_b64 s[0:1], vcc
	s_cbranch_execz .LBB431_60
; %bb.59:
	v_add_u32_e32 v0, s42, v21
	v_ashrrev_i32_e32 v1, 31, v0
	v_mul_lo_u32 v2, v1, s34
	v_mul_lo_u32 v3, v0, s35
	v_mad_u64_u32 v[0:1], s[2:3], v0, s34, 0
	v_add3_u32 v1, v1, v3, v2
	v_lshl_add_u64 v[0:1], v[0:1], 2, s[10:11]
	global_load_dword v0, v[0:1], off
	s_waitcnt vmcnt(0)
	v_sub_f32_e32 v0, s12, v0
	v_exp_f32_e32 v18, v0
.LBB431_60:
	s_or_b64 exec, exec, s[0:1]
	v_or_b32_e32 v10, 1, v21
	v_cmp_gt_i32_e64 s[2:3], s43, v10
	s_and_saveexec_b64 s[0:1], s[2:3]
	s_cbranch_execz .LBB431_62
; %bb.61:
	v_add_u32_e32 v0, s42, v10
	v_ashrrev_i32_e32 v1, 31, v0
	v_mul_lo_u32 v2, v1, s34
	v_mul_lo_u32 v3, v0, s35
	v_mad_u64_u32 v[0:1], s[4:5], v0, s34, 0
	v_add3_u32 v1, v1, v3, v2
	v_lshl_add_u64 v[0:1], v[0:1], 2, s[10:11]
	global_load_dword v0, v[0:1], off
	s_waitcnt vmcnt(0)
	v_sub_f32_e32 v0, s12, v0
	v_exp_f32_e32 v16, v0
.LBB431_62:
	s_or_b64 exec, exec, s[0:1]
	v_or_b32_e32 v12, 2, v21
	v_cmp_gt_i32_e64 s[0:1], s43, v12
	v_mov_b32_e32 v17, 0
	v_mov_b32_e32 v20, 0
	s_and_saveexec_b64 s[4:5], s[0:1]
	s_cbranch_execz .LBB431_64
; %bb.63:
	v_add_u32_e32 v0, s42, v12
	v_ashrrev_i32_e32 v1, 31, v0
	v_mul_lo_u32 v2, v1, s34
	v_mul_lo_u32 v3, v0, s35
	v_mad_u64_u32 v[0:1], s[6:7], v0, s34, 0
	v_add3_u32 v1, v1, v3, v2
	v_lshl_add_u64 v[0:1], v[0:1], 2, s[10:11]
	global_load_dword v0, v[0:1], off
	s_waitcnt vmcnt(0)
	v_sub_f32_e32 v0, s12, v0
	v_exp_f32_e32 v20, v0
.LBB431_64:
	s_or_b64 exec, exec, s[4:5]
	v_or_b32_e32 v14, 3, v21
	v_cmp_gt_i32_e64 s[4:5], s43, v14
	s_and_saveexec_b64 s[6:7], s[4:5]
	s_cbranch_execz .LBB431_66
; %bb.65:
	v_add_u32_e32 v0, s42, v14
	v_ashrrev_i32_e32 v1, 31, v0
	v_mul_lo_u32 v2, v1, s34
	v_mul_lo_u32 v3, v0, s35
	v_mad_u64_u32 v[0:1], s[16:17], v0, s34, 0
	v_add3_u32 v1, v1, v3, v2
	v_lshl_add_u64 v[0:1], v[0:1], 2, s[10:11]
	global_load_dword v0, v[0:1], off
	s_waitcnt vmcnt(0)
	v_sub_f32_e32 v0, s12, v0
	v_exp_f32_e32 v17, v0
.LBB431_66:
	s_or_b64 exec, exec, s[6:7]
	s_add_u32 s6, s8, s28
	v_or_b32_e32 v4, s36, v42
	s_addc_u32 s7, s9, s29
	s_add_u32 s8, s14, s28
	v_ashrrev_i32_e32 v5, 31, v4
	v_accvgpr_read_b32 v0, a4
	s_addc_u32 s9, s15, s29
	v_lshlrev_b64 v[4:5], 1, v[4:5]
	v_accvgpr_read_b32 v1, a5
	v_accvgpr_read_b32 v2, a6
	;; [unrolled: 1-line block ×3, first 2 shown]
	v_lshl_add_u64 v[6:7], s[6:7], 0, v[4:5]
	v_lshl_add_u64 v[4:5], s[8:9], 0, v[4:5]
	v_mov_b32_e32 v11, 0
	v_lshlrev_b32_e32 v8, 8, v21
	v_mov_b32_e32 v9, 0
	s_and_saveexec_b64 s[6:7], vcc
	s_cbranch_execz .LBB431_68
; %bb.67:
	v_mov_b32_e32 v9, 0
	v_lshl_add_u64 v[24:25], v[6:7], 0, v[8:9]
	global_load_ushort v13, v[24:25], off
	v_lshl_add_u64 v[24:25], v[4:5], 0, v[8:9]
	s_waitcnt vmcnt(0)
	v_lshlrev_b32_e32 v9, 16, v13
	v_sub_f32_e32 v0, v9, v0
	global_store_short_d16_hi v[24:25], v0, off
	v_mul_f32_e32 v0, v18, v0
	v_lshrrev_b32_e32 v9, 16, v0
.LBB431_68:
	s_or_b64 exec, exec, s[6:7]
	v_lshlrev_b32_e32 v10, 8, v10
	s_and_saveexec_b64 s[6:7], s[2:3]
	s_cbranch_execz .LBB431_70
; %bb.69:
	v_mov_b32_e32 v11, 0
	v_lshl_add_u64 v[24:25], v[6:7], 0, v[10:11]
	global_load_ushort v0, v[24:25], off
	v_lshl_add_u64 v[24:25], v[4:5], 0, v[10:11]
	s_waitcnt vmcnt(0)
	v_lshlrev_b32_e32 v0, 16, v0
	v_sub_f32_e32 v0, v0, v1
	global_store_short_d16_hi v[24:25], v0, off
	v_mul_f32_e32 v0, v16, v0
	v_lshrrev_b32_e32 v11, 16, v0
.LBB431_70:
	s_or_b64 exec, exec, s[6:7]
	v_mov_b32_e32 v15, 0
	v_lshlrev_b32_e32 v12, 8, v12
	v_mov_b32_e32 v13, 0
	s_and_saveexec_b64 s[6:7], s[0:1]
	s_cbranch_execz .LBB431_72
; %bb.71:
	v_mov_b32_e32 v13, 0
	v_lshl_add_u64 v[0:1], v[6:7], 0, v[12:13]
	global_load_ushort v23, v[0:1], off
	v_lshl_add_u64 v[0:1], v[4:5], 0, v[12:13]
	s_waitcnt vmcnt(0)
	v_lshlrev_b32_e32 v13, 16, v23
	v_sub_f32_e32 v2, v13, v2
	global_store_short_d16_hi v[0:1], v2, off
	v_mul_f32_e32 v0, v20, v2
	v_lshrrev_b32_e32 v13, 16, v0
.LBB431_72:
	s_or_b64 exec, exec, s[6:7]
	v_lshlrev_b32_e32 v14, 8, v14
	s_and_saveexec_b64 s[6:7], s[4:5]
	s_cbranch_execz .LBB431_74
; %bb.73:
	v_mov_b32_e32 v15, 0
	v_lshl_add_u64 v[0:1], v[6:7], 0, v[14:15]
	global_load_ushort v2, v[0:1], off
	v_lshl_add_u64 v[0:1], v[4:5], 0, v[14:15]
	s_waitcnt vmcnt(0)
	v_lshlrev_b32_e32 v2, 16, v2
	v_sub_f32_e32 v2, v2, v3
	global_store_short_d16_hi v[0:1], v2, off
	v_mul_f32_e32 v0, v17, v2
	v_lshrrev_b32_e32 v15, 16, v0
.LBB431_74:
	s_or_b64 exec, exec, s[6:7]
	v_lshlrev_b32_e32 v21, 5, v21
	s_mov_b32 s6, 0x5040100
	v_perm_b32 v24, v11, v9, s6
	v_or_b32_e32 v9, v21, v22
	v_accvgpr_read_b32 v0, a0
	v_perm_b32 v25, v15, v13, s6
	v_lshlrev_b32_e32 v9, 1, v9
	v_accvgpr_read_b32 v1, a1
	v_accvgpr_read_b32 v2, a2
	;; [unrolled: 1-line block ×3, first 2 shown]
	ds_write_b64 v9, v[24:25] offset:45056
	v_mov_b32_e32 v11, 0
	v_mov_b32_e32 v9, 0
	s_and_saveexec_b64 s[6:7], vcc
	s_cbranch_execz .LBB431_76
; %bb.75:
	v_mov_b32_e32 v9, 0
	v_lshl_add_u64 v[22:23], v[6:7], 0, v[8:9]
	global_load_ushort v13, v[22:23], off offset:32
	v_lshl_add_u64 v[8:9], v[4:5], 0, v[8:9]
	s_waitcnt vmcnt(0)
	v_lshlrev_b32_e32 v13, 16, v13
	v_sub_f32_e32 v0, v13, v0
	global_store_short_d16_hi v[8:9], v0, off offset:32
	v_mul_f32_e32 v0, v18, v0
	v_lshrrev_b32_e32 v9, 16, v0
.LBB431_76:
	s_or_b64 exec, exec, s[6:7]
	s_and_saveexec_b64 s[6:7], s[2:3]
	s_cbranch_execz .LBB431_78
; %bb.77:
	v_mov_b32_e32 v11, 0
	v_lshl_add_u64 v[22:23], v[6:7], 0, v[10:11]
	global_load_ushort v0, v[22:23], off offset:32
	v_lshl_add_u64 v[10:11], v[4:5], 0, v[10:11]
	s_waitcnt vmcnt(0)
	v_lshlrev_b32_e32 v0, 16, v0
	v_sub_f32_e32 v0, v0, v1
	global_store_short_d16_hi v[10:11], v0, off offset:32
	v_mul_f32_e32 v0, v16, v0
	v_lshrrev_b32_e32 v11, 16, v0
.LBB431_78:
	s_or_b64 exec, exec, s[6:7]
	v_mov_b32_e32 v0, 0
	v_mov_b32_e32 v1, 0
	s_and_saveexec_b64 s[2:3], s[0:1]
	s_cbranch_execz .LBB431_80
; %bb.79:
	v_mov_b32_e32 v13, 0
	v_lshl_add_u64 v[22:23], v[6:7], 0, v[12:13]
	global_load_ushort v1, v[22:23], off offset:32
	v_lshl_add_u64 v[12:13], v[4:5], 0, v[12:13]
	s_waitcnt vmcnt(0)
	v_lshlrev_b32_e32 v1, 16, v1
	v_sub_f32_e32 v1, v1, v2
	global_store_short_d16_hi v[12:13], v1, off offset:32
	v_mul_f32_e32 v1, v20, v1
	v_lshrrev_b32_e32 v1, 16, v1
.LBB431_80:
	s_or_b64 exec, exec, s[2:3]
	s_and_saveexec_b64 s[0:1], s[4:5]
	s_cbranch_execz .LBB431_82
; %bb.81:
	v_mov_b32_e32 v15, 0
	v_lshl_add_u64 v[6:7], v[6:7], 0, v[14:15]
	global_load_ushort v0, v[6:7], off offset:32
	v_lshl_add_u64 v[4:5], v[4:5], 0, v[14:15]
	s_waitcnt vmcnt(0)
	v_lshlrev_b32_e32 v0, 16, v0
	v_sub_f32_e32 v0, v0, v3
	global_store_short_d16_hi v[4:5], v0, off offset:32
	v_mul_f32_e32 v0, v17, v0
	v_lshrrev_b32_e32 v0, 16, v0
.LBB431_82:
	s_or_b64 exec, exec, s[0:1]
	s_mov_b32 s0, 0x5040100
	v_or_b32_e32 v2, v21, v19
	v_perm_b32 v1, v0, v1, s0
	v_perm_b32 v0, v11, v9, s0
	v_lshlrev_b32_e32 v2, 1, v2
	ds_write_b64 v2, v[0:1] offset:45056
	s_waitcnt lgkmcnt(0)
	s_barrier
.LBB431_83:
	s_endpgm
	.section	.rodata,"a",@progbits
	.p2align	6, 0x0
	.amdhsa_kernel _ZN12_GLOBAL__N_139chunk_gated_delta_rule_fwd_h_hip_kernelILi32ELb0ELb0ELb1ELb0ELb1ELb0ELb1ELb0EEEvPK12hip_bfloat16S3_S3_PKfS5_PKvPS1_S8_PvPKiSB_iiiiilll
		.amdhsa_group_segment_fixed_size 49152
		.amdhsa_private_segment_fixed_size 0
		.amdhsa_kernarg_size 136
		.amdhsa_user_sgpr_count 2
		.amdhsa_user_sgpr_dispatch_ptr 0
		.amdhsa_user_sgpr_queue_ptr 0
		.amdhsa_user_sgpr_kernarg_segment_ptr 1
		.amdhsa_user_sgpr_dispatch_id 0
		.amdhsa_user_sgpr_kernarg_preload_length 0
		.amdhsa_user_sgpr_kernarg_preload_offset 0
		.amdhsa_user_sgpr_private_segment_size 0
		.amdhsa_uses_dynamic_stack 0
		.amdhsa_enable_private_segment 0
		.amdhsa_system_sgpr_workgroup_id_x 1
		.amdhsa_system_sgpr_workgroup_id_y 1
		.amdhsa_system_sgpr_workgroup_id_z 0
		.amdhsa_system_sgpr_workgroup_info 0
		.amdhsa_system_vgpr_workitem_id 0
		.amdhsa_next_free_vgpr 152
		.amdhsa_next_free_sgpr 66
		.amdhsa_accum_offset 132
		.amdhsa_reserve_vcc 1
		.amdhsa_float_round_mode_32 0
		.amdhsa_float_round_mode_16_64 0
		.amdhsa_float_denorm_mode_32 3
		.amdhsa_float_denorm_mode_16_64 3
		.amdhsa_dx10_clamp 1
		.amdhsa_ieee_mode 1
		.amdhsa_fp16_overflow 0
		.amdhsa_tg_split 0
		.amdhsa_exception_fp_ieee_invalid_op 0
		.amdhsa_exception_fp_denorm_src 0
		.amdhsa_exception_fp_ieee_div_zero 0
		.amdhsa_exception_fp_ieee_overflow 0
		.amdhsa_exception_fp_ieee_underflow 0
		.amdhsa_exception_fp_ieee_inexact 0
		.amdhsa_exception_int_div_zero 0
	.end_amdhsa_kernel
	.section	.text._ZN12_GLOBAL__N_139chunk_gated_delta_rule_fwd_h_hip_kernelILi32ELb0ELb0ELb1ELb0ELb1ELb0ELb1ELb0EEEvPK12hip_bfloat16S3_S3_PKfS5_PKvPS1_S8_PvPKiSB_iiiiilll,"axG",@progbits,_ZN12_GLOBAL__N_139chunk_gated_delta_rule_fwd_h_hip_kernelILi32ELb0ELb0ELb1ELb0ELb1ELb0ELb1ELb0EEEvPK12hip_bfloat16S3_S3_PKfS5_PKvPS1_S8_PvPKiSB_iiiiilll,comdat
.Lfunc_end431:
	.size	_ZN12_GLOBAL__N_139chunk_gated_delta_rule_fwd_h_hip_kernelILi32ELb0ELb0ELb1ELb0ELb1ELb0ELb1ELb0EEEvPK12hip_bfloat16S3_S3_PKfS5_PKvPS1_S8_PvPKiSB_iiiiilll, .Lfunc_end431-_ZN12_GLOBAL__N_139chunk_gated_delta_rule_fwd_h_hip_kernelILi32ELb0ELb0ELb1ELb0ELb1ELb0ELb1ELb0EEEvPK12hip_bfloat16S3_S3_PKfS5_PKvPS1_S8_PvPKiSB_iiiiilll
                                        ; -- End function
	.section	.AMDGPU.csdata,"",@progbits
; Kernel info:
; codeLenInByte = 8676
; NumSgprs: 72
; NumVgprs: 132
; NumAgprs: 20
; TotalNumVgprs: 152
; ScratchSize: 0
; MemoryBound: 0
; FloatMode: 240
; IeeeMode: 1
; LDSByteSize: 49152 bytes/workgroup (compile time only)
; SGPRBlocks: 8
; VGPRBlocks: 18
; NumSGPRsForWavesPerEU: 72
; NumVGPRsForWavesPerEU: 152
; AccumOffset: 132
; Occupancy: 1
; WaveLimiterHint : 1
; COMPUTE_PGM_RSRC2:SCRATCH_EN: 0
; COMPUTE_PGM_RSRC2:USER_SGPR: 2
; COMPUTE_PGM_RSRC2:TRAP_HANDLER: 0
; COMPUTE_PGM_RSRC2:TGID_X_EN: 1
; COMPUTE_PGM_RSRC2:TGID_Y_EN: 1
; COMPUTE_PGM_RSRC2:TGID_Z_EN: 0
; COMPUTE_PGM_RSRC2:TIDIG_COMP_CNT: 0
; COMPUTE_PGM_RSRC3_GFX90A:ACCUM_OFFSET: 32
; COMPUTE_PGM_RSRC3_GFX90A:TG_SPLIT: 0
	.section	.text._ZN12_GLOBAL__N_139chunk_gated_delta_rule_fwd_h_hip_kernelILi32ELb0ELb0ELb0ELb0ELb1ELb0ELb1ELb0EEEvPK12hip_bfloat16S3_S3_PKfS5_PKvPS1_S8_PvPKiSB_iiiiilll,"axG",@progbits,_ZN12_GLOBAL__N_139chunk_gated_delta_rule_fwd_h_hip_kernelILi32ELb0ELb0ELb0ELb0ELb1ELb0ELb1ELb0EEEvPK12hip_bfloat16S3_S3_PKfS5_PKvPS1_S8_PvPKiSB_iiiiilll,comdat
	.globl	_ZN12_GLOBAL__N_139chunk_gated_delta_rule_fwd_h_hip_kernelILi32ELb0ELb0ELb0ELb0ELb1ELb0ELb1ELb0EEEvPK12hip_bfloat16S3_S3_PKfS5_PKvPS1_S8_PvPKiSB_iiiiilll ; -- Begin function _ZN12_GLOBAL__N_139chunk_gated_delta_rule_fwd_h_hip_kernelILi32ELb0ELb0ELb0ELb0ELb1ELb0ELb1ELb0EEEvPK12hip_bfloat16S3_S3_PKfS5_PKvPS1_S8_PvPKiSB_iiiiilll
	.p2align	8
	.type	_ZN12_GLOBAL__N_139chunk_gated_delta_rule_fwd_h_hip_kernelILi32ELb0ELb0ELb0ELb0ELb1ELb0ELb1ELb0EEEvPK12hip_bfloat16S3_S3_PKfS5_PKvPS1_S8_PvPKiSB_iiiiilll,@function
_ZN12_GLOBAL__N_139chunk_gated_delta_rule_fwd_h_hip_kernelILi32ELb0ELb0ELb0ELb0ELb1ELb0ELb1ELb0EEEvPK12hip_bfloat16S3_S3_PKfS5_PKvPS1_S8_PvPKiSB_iiiiilll: ; @_ZN12_GLOBAL__N_139chunk_gated_delta_rule_fwd_h_hip_kernelILi32ELb0ELb0ELb0ELb0ELb1ELb0ELb1ELb0EEEvPK12hip_bfloat16S3_S3_PKfS5_PKvPS1_S8_PvPKiSB_iiiiilll
; %bb.0:
	s_load_dwordx4 s[12:15], s[0:1], 0x5c
	s_load_dwordx2 s[36:37], s[0:1], 0x30
	s_abs_i32 s18, s3
	s_ashr_i32 s17, s3, 31
	s_load_dwordx8 s[4:11], s[0:1], 0x0
	s_waitcnt lgkmcnt(0)
	s_abs_i32 s16, s13
	v_cvt_f32_u32_e32 v1, s16
	s_sub_i32 s20, 0, s16
	s_ashr_i32 s19, s13, 31
	s_xor_b32 s17, s17, s19
	v_rcp_iflag_f32_e32 v1, v1
	v_lshrrev_b32_e32 v42, 6, v0
	v_bfe_u32 v43, v0, 4, 2
	v_lshlrev_b32_e32 v2, 2, v43
	v_mul_f32_e32 v1, 0x4f7ffffe, v1
	v_cvt_u32_f32_e32 v1, v1
	v_and_b32_e32 v41, 63, v0
	v_and_b32_e32 v40, 15, v0
	v_mov_b32_e32 v3, 0
	v_readfirstlane_b32 s21, v1
	s_mul_i32 s20, s20, s21
	s_mul_hi_u32 s20, s21, s20
	s_add_i32 s21, s21, s20
	s_mul_hi_u32 s20, s18, s21
	s_mul_i32 s21, s20, s16
	s_sub_i32 s18, s18, s21
	s_add_i32 s22, s20, 1
	s_sub_i32 s21, s18, s16
	s_cmp_ge_u32 s18, s16
	s_cselect_b32 s20, s22, s20
	s_cselect_b32 s18, s21, s18
	s_add_i32 s21, s20, 1
	s_cmp_ge_u32 s18, s16
	s_cselect_b32 s18, s21, s20
	s_xor_b32 s18, s18, s17
	s_sub_i32 s45, s18, s17
	s_abs_i32 s17, s14
	v_cvt_f32_u32_e32 v1, s17
	s_add_i32 s20, s12, 63
	s_mul_i32 s43, s45, s13
	s_sub_i32 s33, s3, s43
	v_rcp_iflag_f32_e32 v1, v1
	s_ashr_i32 s3, s20, 31
	s_ashr_i32 s44, s12, 31
	s_lshr_b32 s3, s3, 26
	v_mul_f32_e32 v1, 0x4f7ffffe, v1
	v_cvt_u32_f32_e32 v1, v1
	s_lshr_b32 s18, s44, 26
	s_add_i32 s20, s20, s3
	s_add_i32 s18, s12, s18
	s_ashr_i32 s47, s14, 31
	s_ashr_i32 s3, s20, 6
	;; [unrolled: 1-line block ×3, first 2 shown]
	s_xor_b32 s18, s19, s47
	s_sub_i32 s19, 0, s17
	v_readfirstlane_b32 s20, v1
	s_mul_i32 s19, s19, s20
	s_mul_hi_u32 s19, s20, s19
	s_add_i32 s20, s20, s19
	s_mul_hi_u32 s19, s16, s20
	s_mul_i32 s20, s19, s17
	s_sub_i32 s16, s16, s20
	s_add_i32 s20, s19, 1
	s_sub_i32 s21, s16, s17
	s_cmp_ge_u32 s16, s17
	s_cselect_b32 s19, s20, s19
	s_cselect_b32 s16, s21, s16
	s_add_i32 s20, s19, 1
	s_cmp_ge_u32 s16, s17
	s_cselect_b32 s16, s20, s19
	s_xor_b32 s16, s16, s18
	s_sub_i32 s20, s16, s18
	s_abs_i32 s21, s20
	v_cvt_f32_u32_e32 v1, s21
	s_load_dwordx2 s[28:29], s[0:1], 0x80
	s_load_dwordx4 s[16:19], s[0:1], 0x70
	s_xor_b32 s0, s33, s20
	s_sub_i32 s20, 0, s21
	v_rcp_iflag_f32_e32 v1, v1
	s_abs_i32 s1, s33
	s_ashr_i32 s0, s0, 31
	s_mul_i32 s48, s45, s3
	v_mul_f32_e32 v1, 0x4f7ffffe, v1
	v_cvt_u32_f32_e32 v1, v1
	s_mul_hi_i32 s49, s45, s13
	v_lshrrev_b32_e32 v45, 3, v41
	v_lshlrev_b32_e32 v44, 3, v0
	v_readfirstlane_b32 s22, v1
	s_mul_i32 s20, s20, s22
	s_mul_hi_u32 s20, s22, s20
	s_add_i32 s22, s22, s20
	s_mul_hi_u32 s20, s1, s22
	s_mul_i32 s22, s20, s21
	s_sub_i32 s1, s1, s22
	s_add_i32 s22, s20, 1
	s_sub_i32 s23, s1, s21
	s_cmp_ge_u32 s1, s21
	s_cselect_b32 s20, s22, s20
	s_cselect_b32 s1, s23, s1
	s_add_i32 s22, s20, 1
	s_cmp_ge_u32 s1, s21
	s_cselect_b32 s1, s22, s20
	s_xor_b32 s1, s1, s0
	v_lshlrev_b32_e32 v1, 4, v42
	s_sub_i32 s50, s1, s0
	v_or_b32_e32 v46, v2, v1
	s_lshl_b32 s30, s2, 5
	v_or_b32_e32 v47, 64, v46
	s_cmp_lt_i32 s12, 64
	s_waitcnt lgkmcnt(0)
	s_mul_i32 s17, s45, s17
	s_mul_hi_u32 s42, s45, s16
	s_mul_i32 s34, s45, s16
	v_mov_b32_e32 v62, 0
	v_mov_b32_e32 v60, 0
	;; [unrolled: 1-line block ×15, first 2 shown]
	s_cbranch_scc1 .LBB432_18
; %bb.1:
	s_ashr_i32 s24, s45, 31
	s_ashr_i32 s52, s33, 31
	s_add_u32 s0, s43, s33
	s_addc_u32 s1, s49, s52
	s_mul_i32 s1, s12, s1
	s_mul_hi_u32 s2, s12, s0
	s_add_i32 s3, s2, s1
	s_mul_i32 s2, s12, s0
	s_lshl_b64 s[0:1], s[2:3], 8
	v_and_b32_e32 v49, 56, v44
	s_add_u32 s20, s6, s0
	v_lshl_or_b32 v48, v42, 3, v45
	v_lshlrev_b32_e32 v3, 1, v49
	s_addc_u32 s0, s7, s1
	v_lshl_or_b32 v50, v48, 8, v3
	s_and_b32 s21, s0, 0xffff
	s_mov_b32 s23, 0x20000
	s_movk_i32 s22, 0x4000
	s_movk_i32 s0, 0x80
	v_or_b32_e32 v51, 0x2000, v50
	buffer_load_dwordx4 v[4:7], v50, s[20:23], 0 offen
	buffer_load_dwordx4 v[8:11], v50, s[20:23], s0 offen
	;; [unrolled: 1-line block ×4, first 2 shown]
	v_lshlrev_b32_e32 v20, 3, v48
	v_and_or_b32 v22, v0, 7, v20
	v_and_b32_e32 v20, 0x78, v20
	v_lshlrev_b32_e32 v22, 4, v22
	v_xor_b32_e32 v52, v22, v20
	v_mul_lo_u32 v21, v48, s15
	v_or_b32_e32 v53, 0x1000, v52
	s_cmpk_eq_i32 s15, 0x80
	s_mov_b32 s51, s14
	v_xor_b32_e32 v20, 8, v52
	v_xor_b32_e32 v22, 8, v53
	s_cselect_b64 s[0:1], -1, 0
	s_cmpk_lg_i32 s15, 0x80
	s_waitcnt vmcnt(3)
	ds_write_b64 v52, v[4:5] offset:24576
	ds_write_b64 v20, v[6:7] offset:24576
	s_waitcnt vmcnt(2)
	ds_write_b64 v52, v[8:9] offset:32768
	ds_write_b64 v20, v[10:11] offset:32768
	;; [unrolled: 3-line block ×4, first 2 shown]
	v_lshl_add_u32 v4, v21, 1, v49
	s_cbranch_scc0 .LBB432_3
; %bb.2:
	v_lshlrev_b32_e32 v6, 1, v4
	v_add_lshl_u32 v5, v4, s15, 1
	s_lshl_b32 s22, s15, 7
	v_lshl_or_b32 v3, v48, 9, v3
	s_cbranch_execz .LBB432_4
	s_branch .LBB432_5
.LBB432_3:
                                        ; implicit-def: $vgpr5
                                        ; implicit-def: $vgpr6
                                        ; implicit-def: $sgpr22
	v_lshl_or_b32 v3, v48, 9, v3
.LBB432_4:
	v_or_b32_e32 v5, 0x100, v3
	s_movk_i32 s22, 0x4000
	v_mov_b32_e32 v6, v3
.LBB432_5:
	s_mul_hi_u32 s20, s14, s12
	s_mul_i32 s21, s47, s12
	s_add_i32 s20, s20, s21
	s_mul_i32 s21, s14, s12
	s_mul_i32 s23, s21, s24
	s_mul_hi_u32 s25, s21, s45
	s_add_i32 s23, s25, s23
	s_mul_i32 s20, s20, s45
	s_add_i32 s23, s23, s20
	s_mul_i32 s21, s21, s45
	s_ashr_i32 s53, s50, 31
	s_add_u32 s20, s21, s50
	s_addc_u32 s21, s23, s53
	s_lshl_b64 s[20:21], s[20:21], 8
	s_add_u32 s20, s4, s20
	s_addc_u32 s21, s5, s21
	s_and_b32 s21, s21, 0xffff
	s_mov_b32 s23, 0x20000
	s_movk_i32 s54, 0x80
	buffer_load_dwordx4 v[8:11], v6, s[20:23], 0 offen
	buffer_load_dwordx4 v[12:15], v6, s[20:23], s54 offen
	;; [unrolled: 1-line block ×4, first 2 shown]
	v_and_b32_e32 v5, 6, v0
	v_lshlrev_b32_e32 v24, 6, v46
	v_or_b32_e32 v26, 16, v40
	v_xor_b32_e32 v27, v48, v5
	v_and_b32_e32 v6, 1, v0
	s_mul_i32 s20, s24, s12
	s_mul_hi_u32 s21, s45, s12
	v_lshl_or_b32 v30, v40, 3, v24
	v_lshl_or_b32 v24, v26, 3, v24
	v_lshlrev_b32_e32 v27, 2, v27
	v_lshlrev_b32_e32 v7, 2, v40
	v_or_b32_e32 v56, 0xa000, v24
	v_or_b32_e32 v57, 0xb000, v24
	v_xor_b32_e32 v24, 0x440, v27
	v_cmp_eq_u32_e32 vcc, 0, v6
	s_add_i32 s59, s21, s20
	s_add_i32 s20, s42, s17
	s_mul_i32 s24, s24, s16
	v_xor_b32_e32 v28, v46, v7
	v_xor_b32_e32 v29, v47, v7
	v_cndmask_b32_e32 v6, v24, v27, vcc
	s_add_i32 s35, s20, s24
	s_mul_i32 s20, s33, s19
	s_mul_hi_u32 s21, s33, s18
	s_mov_b32 s56, 0x1000504
	v_lshlrev_b32_e32 v25, 8, v40
	v_lshlrev_b32_e32 v28, 1, v28
	;; [unrolled: 1-line block ×3, first 2 shown]
	v_lshl_or_b32 v5, v5, 10, v6
	s_add_i32 s20, s21, s20
	s_mul_i32 s21, s52, s18
	s_mov_b32 s57, 0x3020706
	v_or_b32_e32 v54, 0xa000, v30
	v_or_b32_e32 v55, 0xb000, v30
	;; [unrolled: 1-line block ×4, first 2 shown]
	v_xor_b32_e32 v6, 8, v5
	v_xor_b32_e32 v25, 24, v5
	;; [unrolled: 1-line block ×4, first 2 shown]
	s_add_i32 s21, s20, s21
	s_lshl_b64 s[24:25], s[34:35], 2
	v_xor_b32_e32 v24, 16, v5
	v_xor_b32_e32 v27, 32, v5
	;; [unrolled: 1-line block ×3, first 2 shown]
	v_add_u32_e32 v6, 0x80, v6
	v_add_u32_e32 v25, 0x80, v25
	;; [unrolled: 1-line block ×4, first 2 shown]
	s_mul_i32 s20, s33, s18
	s_add_u32 s22, s10, s24
	s_addc_u32 s24, s11, s25
	s_lshl_b64 s[20:21], s[20:21], 2
	s_add_u32 s38, s22, s20
	s_movk_i32 s20, 0xf8
	s_addc_u32 s39, s24, s21
	s_ashr_i32 s31, s30, 31
	s_lshl_b32 s26, s15, 7
	s_movk_i32 s24, 0x100
	v_mov_b32_e32 v35, 0
	v_cmp_gt_u32_e32 vcc, s24, v0
	s_mov_b32 s55, 0
	s_mul_i32 s58, s45, s12
	s_movk_i32 s35, 0x1000
	s_movk_i32 s22, 0x4000
	v_add_u32_e32 v91, v1, v2
	s_mov_b32 s61, 0
	v_mov_b32_e32 v72, v35
	v_mov_b32_e32 v71, v35
	;; [unrolled: 1-line block ×11, first 2 shown]
	s_waitcnt vmcnt(1)
	v_perm_b32 v33, v8, v16, s56
	s_waitcnt vmcnt(0)
	v_perm_b32 v34, v12, v20, s56
	v_perm_b32 v8, v8, v16, s57
	;; [unrolled: 1-line block ×15, first 2 shown]
	ds_write2st64_b32 v5, v33, v34 offset0:32 offset1:64
	ds_write2st64_b32 v6, v8, v12 offset0:32 offset1:64
	;; [unrolled: 1-line block ×8, first 2 shown]
	v_lshlrev_b32_e32 v5, 8, v26
	v_or_b32_e32 v66, v5, v28
	v_or_b32_e32 v67, v5, v29
	;; [unrolled: 1-line block ×3, first 2 shown]
	v_lshlrev_b32_e32 v5, 3, v5
	v_lshrrev_b32_e32 v8, 5, v41
	v_and_or_b32 v8, v5, s20, v8
	v_lshlrev_b32_e32 v8, 4, v8
	v_lshlrev_b32_e32 v9, 11, v42
	v_and_b32_e32 v5, 0x78, v5
	v_or_b32_e32 v13, 32, v8
	v_and_b32_e32 v6, 0x1000, v9
	v_lshrrev_b32_e32 v11, 1, v0
	v_xor_b32_e32 v13, v13, v5
	v_and_b32_e32 v12, 8, v11
	v_or_b32_e32 v13, v13, v6
	v_xor_b32_e32 v10, v8, v5
	v_xor_b32_e32 v76, v13, v12
	v_or_b32_e32 v13, 64, v8
	v_or_b32_e32 v8, 0x60, v8
	v_xor_b32_e32 v13, v13, v5
	v_xor_b32_e32 v5, v8, v5
	v_or_b32_e32 v10, v10, v6
	v_or_b32_e32 v13, v13, v6
	;; [unrolled: 1-line block ×3, first 2 shown]
	s_lshl_b64 s[20:21], s[30:31], 8
	v_xor_b32_e32 v74, v10, v12
	v_xor_b32_e32 v78, v13, v12
	;; [unrolled: 1-line block ×3, first 2 shown]
	v_lshlrev_b32_e32 v12, 1, v4
	v_add_lshl_u32 v13, v4, s15, 1
	s_add_u32 s20, s36, s20
	v_lshlrev_b32_e32 v4, 1, v40
	v_lshrrev_b32_e32 v15, 4, v0
	s_addc_u32 s21, s37, s21
	v_or_b32_e32 v5, 1, v4
	v_lshlrev_b32_e32 v34, 4, v40
	v_mov_b32_e32 v19, 0x4000
	v_mov_b32_e32 v20, 0x2000
	v_xor_b32_e32 v16, v15, v4
	v_xor_b32_e32 v17, v5, v15
	v_lshl_add_u64 v[4:5], s[20:21], 0, v[34:35]
	v_lshlrev_b32_e32 v34, 8, v15
	v_cndmask_b32_e32 v19, v19, v20, vcc
	v_lshlrev_b32_e32 v20, 3, v42
	v_and_b32_e32 v11, 24, v11
	v_lshl_or_b32 v82, v16, 3, v34
	v_and_b32_e32 v16, 8, v0
	v_xor_b32_e32 v21, v20, v11
	v_or_b32_e32 v22, 0x440, v21
	v_cmp_eq_u32_e32 vcc, 0, v16
	v_and_b32_e32 v15, 7, v0
	v_lshlrev_b32_e32 v10, 7, v43
	v_cndmask_b32_e32 v16, v22, v21, vcc
	v_lshl_or_b32 v83, v17, 3, v34
	v_lshlrev_b32_e32 v17, 3, v15
	v_lshlrev_b32_e32 v15, 7, v15
	v_lshlrev_b32_e32 v18, 2, v0
	v_or_b32_e32 v16, v16, v9
	v_or_b32_e32 v7, v10, v7
	v_xad_u32 v84, v16, v17, v15
	v_and_or_b32 v10, v18, 60, v10
	v_mov_b32_e32 v16, 0xb000
	v_lshl_or_b32 v85, v10, 1, v16
	v_or_b32_e32 v10, 32, v11
	v_xor_b32_e32 v10, v20, v10
	v_or_b32_e32 v16, 0x440, v10
	v_cndmask_b32_e32 v10, v16, v10, vcc
	v_or_b32_e32 v10, v10, v9
	v_xad_u32 v86, v10, v17, v15
	v_or_b32_e32 v10, 64, v11
	v_xor_b32_e32 v10, v20, v10
	v_xor_b32_e32 v16, 0x440, v10
	v_cndmask_b32_e32 v10, v16, v10, vcc
	v_or_b32_e32 v10, v10, v9
	v_xad_u32 v87, v10, v17, v15
	v_or_b32_e32 v10, 0x60, v11
	v_xor_b32_e32 v10, v20, v10
	v_xor_b32_e32 v11, 0x440, v10
	v_cndmask_b32_e32 v10, v11, v10, vcc
	v_lshlrev_b32_e32 v7, 1, v7
	v_or_b32_e32 v6, s30, v40
	v_or_b32_e32 v9, v10, v9
	;; [unrolled: 1-line block ×6, first 2 shown]
	v_lshlrev_b32_e32 v8, 7, v46
	v_ashrrev_i32_e32 v7, 31, v6
	v_or_b32_e32 v14, 0x100, v3
	v_xad_u32 v88, v9, v17, v15
	v_cndmask_b32_e64 v89, v12, v3, s[0:1]
	v_cndmask_b32_e64 v90, v13, v14, s[0:1]
	v_lshl_add_u64 v[36:37], v[6:7], 1, s[8:9]
	v_lshl_add_u64 v[38:39], v[4:5], 0, v[34:35]
	s_mov_b32 s31, 0x7060302
	v_lshlrev_b32_e32 v34, 1, v8
	v_add_u32_e32 v92, v19, v84
	v_add_u32_e32 v93, v19, v86
	;; [unrolled: 1-line block ×4, first 2 shown]
	v_mov_b32_e32 v99, v35
	v_mov_b32_e32 v61, v35
	;; [unrolled: 1-line block ×5, first 2 shown]
	s_waitcnt lgkmcnt(0)
	s_barrier
.LBB432_6:                              ; =>This Inner Loop Header: Depth=1
	s_add_i32 s60, s61, 1
	s_cmp_lt_i32 s60, s46
	s_mov_b64 s[24:25], 0
	s_cselect_b64 s[40:41], -1, 0
	s_cmp_ge_i32 s60, s46
	s_mov_b64 s[20:21], 0
	s_cbranch_scc1 .LBB432_8
; %bb.7:                                ;   in Loop: Header=BB432_6 Depth=1
	s_add_i32 s0, s55, 64
	s_add_u32 s0, s2, s0
	s_addc_u32 s1, s3, 0
	s_lshl_b64 s[0:1], s[0:1], 8
	s_add_u32 s20, s6, s0
	s_addc_u32 s21, s7, s1
.LBB432_8:                              ;   in Loop: Header=BB432_6 Depth=1
	v_cndmask_b32_e64 v2, 0, 1, s[40:41]
	v_cmp_ne_u32_e64 s[0:1], 1, v2
	s_andn2_b64 vcc, exec, s[40:41]
	s_cbranch_vccnz .LBB432_10
; %bb.9:                                ;   in Loop: Header=BB432_6 Depth=1
	s_add_i32 s24, s55, 64
	s_add_u32 s24, s58, s24
	s_addc_u32 s25, s59, 0
	s_mul_i32 s27, s24, s47
	s_mul_hi_u32 s40, s24, s51
	s_add_i32 s27, s40, s27
	s_mul_i32 s25, s25, s51
	s_add_i32 s27, s27, s25
	s_mul_i32 s24, s24, s51
	s_add_u32 s24, s24, s50
	s_addc_u32 s25, s27, s53
	s_lshl_b64 s[24:25], s[24:25], 8
	s_add_u32 s24, s4, s24
	s_addc_u32 s25, s5, s25
.LBB432_10:                             ;   in Loop: Header=BB432_6 Depth=1
	v_perm_b32 v3, v98, v73, s31
	v_perm_b32 v2, v71, v72, s31
	;; [unrolled: 1-line block ×4, first 2 shown]
	ds_write_b64 v54, v[2:3]
	ds_write_b64 v55, v[4:5]
	;; [unrolled: 1-line block ×4, first 2 shown]
	v_perm_b32 v3, v99, v65, s31
	v_perm_b32 v2, v63, v64, s31
	;; [unrolled: 1-line block ×4, first 2 shown]
	ds_write_b64 v56, v[2:3]
	ds_write_b64 v57, v[4:5]
	;; [unrolled: 1-line block ×4, first 2 shown]
	s_waitcnt lgkmcnt(0)
	s_barrier
	ds_read_b64 v[6:7], v74 offset:24576
	ds_read2_b64 v[2:5], v75 offset1:16
	ds_read_b64 v[10:11], v77 offset:3072
	ds_read_b64 v[12:13], v75 offset:3072
	;; [unrolled: 1-line block ×3, first 2 shown]
	s_waitcnt lgkmcnt(3)
	v_mfma_f32_16x16x16_bf16 a[0:3], v[6:7], v[2:3], 0
	s_add_i32 s27, s55, 63
	s_mul_i32 s40, s27, s29
	s_mul_hi_u32 s41, s27, s28
	v_mfma_f32_16x16x16_bf16 a[4:7], v[6:7], v[4:5], 0
	ds_read2st64_b64 v[2:5], v75 offset0:2 offset1:4
	ds_read2st64_b64 v[6:9], v77 offset0:2 offset1:4
	s_add_i32 s41, s41, s40
	s_waitcnt lgkmcnt(1)
	v_mfma_f32_16x16x16_bf16 a[0:3], v[14:15], v[2:3], a[0:3]
	s_mul_i32 s40, s27, s28
	s_lshl_b64 s[40:41], s[40:41], 2
	s_add_u32 s40, s38, s40
	s_waitcnt lgkmcnt(0)
	v_mfma_f32_16x16x16_bf16 a[4:7], v[14:15], v[6:7], a[4:7]
	ds_read_b64 v[2:3], v78 offset:24576
	ds_read_b64 v[6:7], v79 offset:24576
	s_addc_u32 s41, s39, s41
	s_and_b64 vcc, exec, s[0:1]
	s_waitcnt lgkmcnt(1)
	v_mfma_f32_16x16x16_bf16 a[0:3], v[2:3], v[4:5], a[0:3]
	v_mov_b32_e32 v102, 0
	v_mov_b32_e32 v101, 0
	;; [unrolled: 1-line block ×3, first 2 shown]
	v_mfma_f32_16x16x16_bf16 a[4:7], v[2:3], v[8:9], a[4:7]
	v_mov_b32_e32 v2, 0
	v_mov_b32_e32 v3, 0
	;; [unrolled: 1-line block ×3, first 2 shown]
	s_waitcnt lgkmcnt(0)
	v_mfma_f32_16x16x16_bf16 a[0:3], v[6:7], v[12:13], a[0:3]
	v_mov_b32_e32 v5, 0
	v_mov_b32_e32 v8, 0
	;; [unrolled: 1-line block ×3, first 2 shown]
	v_mfma_f32_16x16x16_bf16 a[4:7], v[6:7], v[10:11], a[4:7]
	v_mov_b32_e32 v6, 0
	v_mov_b32_e32 v7, 0
	;; [unrolled: 1-line block ×10, first 2 shown]
	s_cbranch_vccnz .LBB432_12
; %bb.11:                               ;   in Loop: Header=BB432_6 Depth=1
	s_and_b32 s21, s21, 0xffff
	buffer_load_dwordx4 v[14:17], v50, s[20:23], 0 offen
	buffer_load_dwordx4 v[10:13], v50, s[20:23], s54 offen
	buffer_load_dwordx4 v[6:9], v51, s[20:23], 0 offen
	buffer_load_dwordx4 v[2:5], v51, s[20:23], s54 offen
	v_mov_b32_e32 v101, v52
	v_mov_b32_e32 v100, v53
.LBB432_12:                             ;   in Loop: Header=BB432_6 Depth=1
	s_waitcnt vmcnt(4)
	ds_read_b64 v[22:23], v74 offset:32768
	s_waitcnt vmcnt(2)
	ds_read2_b64 v[18:21], v80 offset1:16
	ds_read_b64 v[26:27], v76 offset:32768
	ds_read_b64 v[28:29], v78 offset:32768
	;; [unrolled: 1-line block ×3, first 2 shown]
	v_add_u32_e32 v103, s55, v91
	s_waitcnt lgkmcnt(3)
	v_mfma_f32_16x16x16_bf16 a[0:3], v[22:23], v[18:19], a[0:3]
	v_mfma_f32_16x16x16_bf16 a[4:7], v[22:23], v[20:21], a[4:7]
	ds_read2st64_b64 v[18:21], v80 offset0:2 offset1:4
	ds_read2st64_b64 v[22:25], v81 offset0:2 offset1:4
	s_waitcnt lgkmcnt(1)
	v_mfma_f32_16x16x16_bf16 a[0:3], v[26:27], v[18:19], a[0:3]
	ds_read_b64 v[18:19], v80 offset:3072
	ds_read_b64 v[32:33], v81 offset:3072
	s_waitcnt lgkmcnt(2)
	v_mfma_f32_16x16x16_bf16 a[4:7], v[26:27], v[22:23], a[4:7]
	v_ashrrev_i32_e32 v22, 31, v103
	v_mul_lo_u32 v23, v103, s29
	v_mul_lo_u32 v22, v22, s28
	v_mfma_f32_16x16x16_bf16 a[0:3], v[28:29], v[20:21], a[0:3]
	v_mad_u64_u32 v[20:21], s[20:21], v103, s28, 0
	v_add3_u32 v21, v21, v23, v22
	v_lshl_add_u64 v[20:21], v[20:21], 2, s[38:39]
	global_load_dword v26, v[20:21], off
	v_add_u32_e32 v20, 1, v103
	v_ashrrev_i32_e32 v21, 31, v20
	s_waitcnt lgkmcnt(1)
	v_mfma_f32_16x16x16_bf16 a[0:3], v[30:31], v[18:19], a[0:3]
	v_mul_lo_u32 v21, v21, s28
	v_mul_lo_u32 v22, v20, s29
	v_mad_u64_u32 v[18:19], s[20:21], v20, s28, 0
	v_add_u32_e32 v20, 2, v103
	v_add3_u32 v19, v19, v22, v21
	v_ashrrev_i32_e32 v21, 31, v20
	v_mul_lo_u32 v22, v21, s28
	v_mul_lo_u32 v23, v20, s29
	v_mad_u64_u32 v[20:21], s[20:21], v20, s28, 0
	v_add3_u32 v21, v21, v23, v22
	v_add_u32_e32 v22, 3, v103
	v_ashrrev_i32_e32 v23, 31, v22
	v_mfma_f32_16x16x16_bf16 a[4:7], v[28:29], v[24:25], a[4:7]
	v_mul_lo_u32 v24, v23, s28
	v_mul_lo_u32 v25, v22, s29
	v_mad_u64_u32 v[22:23], s[20:21], v22, s28, 0
	s_add_u32 s20, s2, s55
	s_addc_u32 s21, s3, 0
	s_lshl_b64 s[20:21], s[20:21], 8
	v_add3_u32 v23, v23, v25, v24
	v_lshl_add_u64 v[24:25], v[36:37], 0, s[20:21]
	v_lshl_add_u64 v[18:19], v[18:19], 2, s[38:39]
	v_lshl_add_u64 v[24:25], v[24:25], 0, v[34:35]
	v_lshl_add_u64 v[20:21], v[20:21], 2, s[38:39]
	global_load_ushort v28, v[24:25], off
	global_load_ushort v27, v[24:25], off offset:256
	global_load_ushort v103, v[24:25], off offset:800
	;; [unrolled: 1-line block ×7, first 2 shown]
	v_lshl_add_u64 v[22:23], v[22:23], 2, s[38:39]
	global_load_dword v108, v[18:19], off
	global_load_dword v109, v[20:21], off
	;; [unrolled: 1-line block ×3, first 2 shown]
	s_load_dword s20, s[40:41], 0x0
	s_waitcnt lgkmcnt(0)
	v_mfma_f32_16x16x16_bf16 a[4:7], v[30:31], v[32:33], a[4:7]
	v_accvgpr_read_b32 v23, a1
	v_accvgpr_read_b32 v19, a3
	;; [unrolled: 1-line block ×4, first 2 shown]
	s_and_b64 vcc, exec, s[0:1]
	s_waitcnt vmcnt(11)
	v_sub_f32_e32 v32, s20, v26
	v_exp_f32_e32 v32, v32
	v_accvgpr_read_b32 v25, a5
	v_accvgpr_read_b32 v24, a4
	;; [unrolled: 1-line block ×4, first 2 shown]
	s_waitcnt vmcnt(10)
	v_lshlrev_b32_e32 v26, 16, v28
	s_waitcnt vmcnt(9)
	v_lshlrev_b32_e32 v27, 16, v27
	v_pk_add_f32 v[22:23], v[26:27], v[22:23] neg_lo:[0,1] neg_hi:[0,1]
	s_waitcnt vmcnt(7)
	v_lshlrev_b32_e32 v29, 16, v29
	v_mov_b32_e32 v26, 0
	s_waitcnt vmcnt(5)
	v_lshlrev_b32_e32 v28, 16, v104
	s_waitcnt vmcnt(4)
	v_lshlrev_b32_e32 v31, 16, v105
	s_waitcnt vmcnt(2)
	v_sub_f32_e32 v33, s20, v108
	s_waitcnt vmcnt(1)
	v_sub_f32_e32 v104, s20, v109
	;; [unrolled: 2-line block ×3, first 2 shown]
	v_exp_f32_e32 v33, v33
	v_exp_f32_e32 v104, v104
	;; [unrolled: 1-line block ×3, first 2 shown]
	v_pk_add_f32 v[18:19], v[28:29], v[18:19] neg_lo:[0,1] neg_hi:[0,1]
	v_lshlrev_b32_e32 v30, 16, v107
	v_pk_mul_f32 v[22:23], v[32:33], v[22:23]
	v_pk_mul_f32 v[18:19], v[104:105], v[18:19]
	v_mov_b32_e32 v27, 0
	v_perm_b32 v19, v19, v18, s31
	v_perm_b32 v18, v23, v22, s31
	v_pk_add_f32 v[22:23], v[30:31], v[24:25] neg_lo:[0,1] neg_hi:[0,1]
	v_lshlrev_b32_e32 v25, 16, v103
	v_lshlrev_b32_e32 v24, 16, v106
	v_pk_add_f32 v[20:21], v[24:25], v[20:21] neg_lo:[0,1] neg_hi:[0,1]
	v_pk_mul_f32 v[22:23], v[32:33], v[22:23]
	v_pk_mul_f32 v[20:21], v[104:105], v[20:21]
	v_mov_b32_e32 v103, 0
	v_perm_b32 v21, v21, v20, s31
	v_perm_b32 v20, v23, v22, s31
	ds_write2_b64 v55, v[18:19], v[20:21] offset1:16
	v_mov_b32_e32 v18, 0
	v_mov_b32_e32 v19, 0
	;; [unrolled: 1-line block ×14, first 2 shown]
	s_cbranch_vccnz .LBB432_14
; %bb.13:                               ;   in Loop: Header=BB432_6 Depth=1
	s_and_b32 s25, s25, 0xffff
	s_mov_b32 s27, s23
	buffer_load_dwordx4 v[30:33], v89, s[24:27], 0 offen
	buffer_load_dwordx4 v[22:25], v89, s[24:27], s54 offen
	;; [unrolled: 1-line block ×4, first 2 shown]
	v_mov_b32_e32 v102, v49
	v_mov_b32_e32 v103, v48
.LBB432_14:                             ;   in Loop: Header=BB432_6 Depth=1
	s_waitcnt lgkmcnt(0)
	s_barrier
	ds_read_b64 v[108:109], v92
	ds_read_b64 v[116:117], v85
	;; [unrolled: 1-line block ×5, first 2 shown]
	ds_read_b64 v[122:123], v86 offset:16384
	ds_read_b64 v[124:125], v84 offset:16384
	ds_read2_b64 v[104:107], v80 offset0:16 offset1:128
	s_waitcnt lgkmcnt(6)
	v_mfma_f32_16x16x16_bf16 a[0:3], v[108:109], v[116:117], 0
	ds_read_b64 v[126:127], v81 offset:3072
	ds_read_b64 v[128:129], v88 offset:16384
	s_add_i32 s21, s48, s61
	s_waitcnt lgkmcnt(2)
	v_mfma_f32_16x16x16_bf16 a[4:7], v[108:109], v[104:105], 0
	ds_read2st64_b64 v[108:111], v81 offset0:2 offset1:4
	s_mul_hi_i32 s25, s21, s13
	s_mul_i32 s21, s21, s13
	v_mfma_f32_16x16x16_bf16 a[0:3], v[112:113], v[106:107], a[0:3]
	s_add_u32 s24, s21, s33
	s_addc_u32 s25, s25, s52
	s_lshl_b64 s[24:25], s[24:25], 15
	s_waitcnt lgkmcnt(0)
	v_mfma_f32_16x16x16_bf16 a[4:7], v[112:113], v[108:109], a[4:7]
	ds_read2st64_b64 v[112:115], v80 offset0:4 offset1:6
	s_waitcnt lgkmcnt(0)
	v_mfma_f32_16x16x16_bf16 a[0:3], v[118:119], v[112:113], a[0:3]
	v_mfma_f32_16x16x16_bf16 a[8:11], v[118:119], v[110:111], a[4:7]
	;; [unrolled: 1-line block ×5, first 2 shown]
	ds_read2st64_b64 v[116:119], v83 offset1:8
	v_mfma_f32_16x16x16_bf16 a[12:15], v[124:125], v[104:105], 0
	ds_read_b64 v[124:125], v87 offset:16384
	v_mfma_f32_16x16x16_bf16 a[8:11], v[122:123], v[106:107], a[8:11]
	ds_read2st64_b64 v[104:107], v82 offset1:8
	s_waitcnt lgkmcnt(0)
	v_mov_b32_e32 v120, v104
	v_mfma_f32_16x16x16_bf16 a[12:15], v[122:123], v[108:109], a[12:15]
	v_lshl_add_u64 v[108:109], v[38:39], 0, s[24:25]
	v_add_co_u32_e32 v104, vcc, s35, v108
	v_mfma_f32_16x16x16_bf16 a[8:11], v[124:125], v[112:113], a[8:11]
	v_mov_b32_e32 v121, v105
	v_addc_co_u32_e32 v105, vcc, 0, v109, vcc
	v_mfma_f32_16x16x16_bf16 a[16:19], v[124:125], v[110:111], a[12:15]
	v_mov_b32_e32 v122, v116
	v_mov_b32_e32 v123, v117
	;; [unrolled: 1-line block ×3, first 2 shown]
	v_mfma_f32_16x16x16_bf16 a[12:15], v[128:129], v[114:115], a[8:11]
	v_mov_b32_e32 v117, v107
	s_and_b64 vcc, exec, s[0:1]
	global_store_dwordx4 v[108:109], v[120:123], off
	v_mfma_f32_16x16x16_bf16 a[8:11], v[128:129], v[126:127], a[16:19]
	global_store_dwordx4 v[104:105], v[116:119], off
	s_cbranch_vccnz .LBB432_16
; %bb.15:                               ;   in Loop: Header=BB432_6 Depth=1
	v_lshrrev_b32_e32 v104, 3, v102
	v_and_b32_e32 v104, 6, v104
	v_xor_b32_e32 v103, v104, v103
	v_lshlrev_b32_e32 v103, 2, v103
	v_and_b32_e32 v102, 8, v102
	v_xor_b32_e32 v105, 0x440, v103
	v_cmp_eq_u32_e32 vcc, 0, v102
	s_barrier
	s_nop 0
	v_cndmask_b32_e32 v102, v105, v103, vcc
	v_lshl_or_b32 v102, v104, 10, v102
	s_waitcnt vmcnt(3)
	v_perm_b32 v103, v30, v26, s56
	s_waitcnt vmcnt(2)
	v_perm_b32 v104, v22, v18, s56
	ds_write2st64_b32 v102, v103, v104 offset0:32 offset1:64
	v_xor_b32_e32 v103, 8, v102
	v_perm_b32 v26, v30, v26, s57
	v_perm_b32 v18, v22, v18, s57
	v_add_u32_e32 v22, 0x80, v103
	ds_write2st64_b32 v22, v26, v18 offset0:32 offset1:64
	v_xor_b32_e32 v18, 16, v102
	v_perm_b32 v22, v31, v27, s56
	v_perm_b32 v26, v23, v19, s56
	ds_write2st64_b32 v18, v22, v26 offset0:33 offset1:65
	v_xor_b32_e32 v18, 24, v102
	v_perm_b32 v22, v31, v27, s57
	v_perm_b32 v19, v23, v19, s57
	v_add_u32_e32 v18, 0x80, v18
	ds_write2st64_b32 v18, v22, v19 offset0:33 offset1:65
	v_xor_b32_e32 v18, 32, v102
	v_perm_b32 v19, v32, v28, s56
	;; [unrolled: 9-line block ×3, first 2 shown]
	v_perm_b32 v20, v25, v21, s56
	ds_write2st64_b32 v18, v19, v20 offset0:35 offset1:67
	v_xor_b32_e32 v18, 56, v102
	v_perm_b32 v19, v33, v29, s57
	v_perm_b32 v20, v25, v21, s57
	v_add_u32_e32 v18, 0x80, v18
	ds_write2st64_b32 v18, v19, v20 offset0:35 offset1:67
	ds_write_b64 v101, v[14:15] offset:24576
	v_xor_b32_e32 v14, 8, v101
	ds_write_b64 v14, v[16:17] offset:24576
	ds_write_b64 v101, v[10:11] offset:32768
	;; [unrolled: 1-line block ×4, first 2 shown]
	v_xor_b32_e32 v6, 8, v100
	ds_write_b64 v6, v[8:9] offset:24576
	ds_write_b64 v100, v[2:3] offset:32768
	;; [unrolled: 1-line block ×3, first 2 shown]
.LBB432_16:                             ;   in Loop: Header=BB432_6 Depth=1
	v_exp_f32_e32 v2, s20
	v_accvgpr_read_b32 v3, a4
	v_accvgpr_read_b32 v4, a5
	;; [unrolled: 1-line block ×3, first 2 shown]
	v_fma_f32 v72, v72, v2, v3
	v_accvgpr_read_b32 v3, a6
	v_fma_f32 v73, v73, v2, v3
	v_accvgpr_read_b32 v3, a0
	;; [unrolled: 2-line block ×11, first 2 shown]
	v_accvgpr_read_b32 v6, a15
	v_fma_f32 v62, v62, v2, v3
	v_accvgpr_read_b32 v3, a11
	s_add_i32 s55, s55, 64
	v_fmac_f32_e32 v5, v98, v2
	v_fmac_f32_e32 v4, v99, v2
	;; [unrolled: 1-line block ×3, first 2 shown]
	s_cmp_eq_u32 s46, s60
	v_fmac_f32_e32 v3, v97, v2
	s_cbranch_scc1 .LBB432_18
; %bb.17:                               ;   in Loop: Header=BB432_6 Depth=1
	s_mov_b32 s61, s60
	v_mov_b32_e32 v98, v5
	v_mov_b32_e32 v96, v6
	;; [unrolled: 1-line block ×4, first 2 shown]
	s_branch .LBB432_6
.LBB432_18:
	s_lshl_b32 s40, s46, 6
	s_sub_i32 s41, s12, s40
	s_cmp_gt_i32 s41, 0
	s_cbranch_scc0 .LBB432_83
; %bb.19:
	s_ashr_i32 s35, s45, 31
	s_ashr_i32 s2, s40, 31
	s_cmpk_lg_i32 s15, 0x80
	s_cselect_b64 s[26:27], -1, 0
	s_and_b64 vcc, exec, s[26:27]
	s_cbranch_vccz .LBB432_21
; %bb.20:
	s_mul_i32 s1, s45, s12
	s_mul_hi_i32 s0, s45, s12
	s_add_u32 s1, s1, s40
	s_addc_u32 s0, s0, s2
	s_mul_i32 s3, s1, s47
	s_mul_hi_u32 s20, s1, s14
	s_add_i32 s3, s20, s3
	s_mul_i32 s0, s0, s14
	s_add_i32 s3, s3, s0
	s_mul_i32 s1, s1, s14
	s_ashr_i32 s0, s50, 31
	s_add_u32 s38, s1, s50
	s_addc_u32 s39, s3, s0
	s_cbranch_execz .LBB432_22
	s_branch .LBB432_23
.LBB432_21:
                                        ; implicit-def: $sgpr38_sgpr39
.LBB432_22:
	s_mul_hi_i32 s0, s45, s14
	s_mul_i32 s45, s45, s14
	s_ashr_i32 s1, s50, 31
	s_add_u32 s3, s45, s50
	s_addc_u32 s0, s0, s1
	s_mul_i32 s1, s3, s44
	s_mul_hi_u32 s14, s3, s12
	s_add_i32 s1, s14, s1
	s_mul_i32 s0, s0, s12
	s_add_i32 s1, s1, s0
	s_mul_i32 s3, s3, s12
	s_add_u32 s38, s3, s40
	s_addc_u32 s39, s1, s2
.LBB432_23:
	s_add_i32 s3, s48, s46
	s_ashr_i32 s14, s33, 31
	s_add_u32 s0, s43, s33
	s_addc_u32 s1, s49, s14
	s_mul_i32 s20, s0, s44
	s_mul_hi_u32 s21, s0, s12
	s_add_i32 s20, s21, s20
	s_mul_i32 s1, s1, s12
	s_add_i32 s20, s20, s1
	s_mul_i32 s0, s0, s12
	s_add_u32 s0, s0, s40
	s_addc_u32 s1, s20, s2
	v_lshlrev_b32_e32 v10, 5, v46
	s_waitcnt vmcnt(4)
	v_lshlrev_b32_e32 v22, 2, v40
	s_mov_b32 s2, 0x7060302
	v_xor_b32_e32 v2, v46, v22
	v_perm_b32 v9, v5, v73, s2
	v_or_b32_e32 v5, v10, v22
	v_perm_b32 v8, v71, v72, s2
	v_perm_b32 v7, v6, v70, s2
	;; [unrolled: 1-line block ×3, first 2 shown]
	v_lshlrev_b32_e32 v5, 1, v5
	v_lshlrev_b32_e32 v12, 1, v2
	;; [unrolled: 1-line block ×3, first 2 shown]
	s_lshl_b64 s[24:25], s[0:1], 8
	v_xor_b32_e32 v11, v47, v22
	ds_write2st64_b64 v5, v[8:9], v[6:7] offset0:80 offset1:88
	v_or_b32_e32 v5, v12, v2
	s_add_u32 s0, s6, s24
	ds_write_b64 v5, v[8:9]
	v_lshlrev_b32_e32 v8, 1, v11
	s_addc_u32 s1, s7, s25
	v_or_b32_e32 v2, v8, v2
	s_mul_hi_i32 s6, s3, s13
	s_mul_i32 s3, s3, s13
	ds_write_b64 v2, v[6:7]
	v_perm_b32 v5, v4, v65, s2
	v_perm_b32 v4, v63, v64, s2
	;; [unrolled: 1-line block ×4, first 2 shown]
	v_or_b32_e32 v6, 16, v40
	s_add_u32 s2, s3, s33
	s_waitcnt vmcnt(2)
	v_lshlrev_b32_e32 v19, 2, v6
	s_addc_u32 s3, s6, s14
	v_or_b32_e32 v7, v10, v19
	s_ashr_i32 s31, s30, 31
	s_lshl_b64 s[2:3], s[2:3], 15
	v_lshlrev_b32_e32 v7, 1, v7
	v_lshlrev_b32_e32 v6, 8, v6
	s_add_u32 s6, s36, s2
	ds_write2st64_b64 v7, v[4:5], v[2:3] offset0:80 offset1:88
	v_or_b32_e32 v7, v12, v6
	s_addc_u32 s7, s37, s3
	s_lshl_b64 s[2:3], s[30:31], 8
	ds_write_b64 v7, v[4:5]
	v_or_b32_e32 v4, v8, v6
	s_add_u32 s2, s6, s2
	ds_write_b64 v4, v[2:3]
	v_lshrrev_b32_e32 v2, 4, v0
	s_addc_u32 s3, s7, s3
	v_lshlrev_b32_e32 v3, 1, v40
	v_lshlrev_b32_e32 v10, 4, v40
	v_mov_b32_e32 v11, 0
	v_or_b32_e32 v4, 1, v3
	v_xor_b32_e32 v3, v2, v3
	v_lshl_add_u64 v[12:13], s[2:3], 0, v[10:11]
	v_lshlrev_b32_e32 v10, 8, v2
	v_xor_b32_e32 v6, v4, v2
	v_lshl_or_b32 v2, v3, 3, v10
	s_waitcnt lgkmcnt(0)
	s_barrier
	ds_read2st64_b64 v[2:5], v2 offset1:8
	v_lshl_or_b32 v6, v6, 3, v10
	ds_read2st64_b64 v[6:9], v6 offset1:8
	v_lshl_add_u64 v[14:15], v[12:13], 0, v[10:11]
	s_movk_i32 s2, 0x1000
	s_waitcnt lgkmcnt(1)
	v_mov_b32_e32 v10, v2
	v_add_co_u32_e32 v2, vcc, s2, v14
	s_cmp_lg_u32 s41, 64
	v_mov_b32_e32 v11, v3
	v_addc_co_u32_e32 v3, vcc, 0, v15, vcc
	s_cselect_b64 s[6:7], -1, 0
	v_lshl_or_b32 v23, v42, 3, v45
	s_waitcnt lgkmcnt(0)
	v_mov_b32_e32 v12, v6
	v_mov_b32_e32 v13, v7
	;; [unrolled: 1-line block ×4, first 2 shown]
	s_mov_b32 s20, 0
	v_or_b32_e32 v20, 32, v23
	v_and_b32_e32 v18, 56, v44
	s_and_b64 vcc, exec, s[6:7]
	global_store_dwordx4 v[14:15], v[10:13], off
	global_store_dwordx4 v[2:3], v[6:9], off
	s_cbranch_vccz .LBB432_29
; %bb.24:
	s_mov_b32 s21, s20
	s_mov_b32 s22, s20
	;; [unrolled: 1-line block ×3, first 2 shown]
	v_mov_b64_e32 v[6:7], s[20:21]
	v_mov_b64_e32 v[8:9], s[22:23]
	;; [unrolled: 1-line block ×3, first 2 shown]
	v_cmp_gt_i32_e32 vcc, s41, v23
	v_mov_b64_e32 v[4:5], v[8:9]
	s_and_saveexec_b64 s[2:3], vcc
	s_cbranch_execz .LBB432_26
; %bb.25:
	v_lshlrev_b32_e32 v2, 8, v23
	v_mov_b32_e32 v3, 0
	v_lshl_add_u64 v[4:5], s[0:1], 0, v[2:3]
	v_lshlrev_b32_e32 v2, 1, v18
	v_lshl_add_u64 v[10:11], v[4:5], 0, v[2:3]
	global_load_dwordx4 v[6:9], v[10:11], off
	global_load_dwordx4 v[2:5], v[10:11], off offset:128
.LBB432_26:
	s_or_b64 exec, exec, s[2:3]
	s_mov_b32 s21, s20
	s_mov_b32 s22, s20
	;; [unrolled: 1-line block ×3, first 2 shown]
	v_mov_b64_e32 v[14:15], s[20:21]
	v_mov_b64_e32 v[16:17], s[22:23]
	;; [unrolled: 1-line block ×3, first 2 shown]
	v_cmp_gt_i32_e32 vcc, s41, v20
	v_lshlrev_b32_e32 v21, 7, v20
	v_mov_b64_e32 v[12:13], v[16:17]
	s_and_saveexec_b64 s[2:3], vcc
	s_cbranch_execz .LBB432_28
; %bb.27:
	v_lshlrev_b32_e32 v10, 1, v21
	v_mov_b32_e32 v11, 0
	v_lshl_add_u64 v[12:13], s[0:1], 0, v[10:11]
	v_lshlrev_b32_e32 v10, 1, v18
	v_lshl_add_u64 v[24:25], v[12:13], 0, v[10:11]
	global_load_dwordx4 v[14:17], v[24:25], off
	global_load_dwordx4 v[10:13], v[24:25], off offset:128
.LBB432_28:
	s_or_b64 exec, exec, s[2:3]
	v_lshrrev_b32_e32 v24, 3, v18
	v_lshlrev_b32_e32 v25, 3, v23
	v_or_b32_e32 v24, v25, v24
	v_lshlrev_b32_e32 v24, 4, v24
	v_and_b32_e32 v25, 0x78, v25
	v_xor_b32_e32 v24, v24, v25
	s_branch .LBB432_31
.LBB432_29:
                                        ; implicit-def: $vgpr24
                                        ; implicit-def: $vgpr21
                                        ; implicit-def: $vgpr6_vgpr7_vgpr8_vgpr9
                                        ; implicit-def: $vgpr2_vgpr3_vgpr4_vgpr5
                                        ; implicit-def: $vgpr14_vgpr15_vgpr16_vgpr17
                                        ; implicit-def: $vgpr10_vgpr11_vgpr12_vgpr13
	s_cbranch_execz .LBB432_31
; %bb.30:
	s_waitcnt vmcnt(0)
	v_lshlrev_b32_e32 v2, 1, v18
	v_lshl_or_b32 v21, v23, 8, v2
	s_and_b32 s1, s1, 0xffff
	s_mov_b32 s3, 0x20000
	s_movk_i32 s2, 0x4000
	v_lshl_or_b32 v24, v20, 8, v2
	s_movk_i32 s13, 0x80
	buffer_load_dwordx4 v[6:9], v21, s[0:3], 0 offen
	buffer_load_dwordx4 v[2:5], v21, s[0:3], s13 offen
	;; [unrolled: 1-line block ×4, first 2 shown]
	v_lshrrev_b32_e32 v21, 3, v18
	v_lshlrev_b32_e32 v24, 3, v23
	v_or_b32_e32 v21, v24, v21
	v_lshlrev_b32_e32 v21, 4, v21
	v_and_b32_e32 v24, 0x78, v24
	v_xor_b32_e32 v24, v21, v24
	v_lshlrev_b32_e32 v21, 7, v20
.LBB432_31:
	s_lshl_b64 s[0:1], s[38:39], 8
	s_add_u32 s4, s4, s0
	s_movk_i32 s0, 0x1000
	v_and_or_b32 v20, v21, s0, v24
	s_waitcnt vmcnt(1)
	ds_write_b64 v24, v[6:7] offset:24576
	v_xor_b32_e32 v6, 8, v24
	ds_write_b64 v6, v[8:9] offset:24576
	s_waitcnt vmcnt(0)
	ds_write_b64 v24, v[2:3] offset:32768
	ds_write_b64 v6, v[4:5] offset:32768
	;; [unrolled: 1-line block ×3, first 2 shown]
	v_xor_b32_e32 v2, 8, v20
	ds_write_b64 v2, v[16:17] offset:24576
	ds_write_b64 v20, v[10:11] offset:32768
	;; [unrolled: 1-line block ×3, first 2 shown]
	v_or_b32_e32 v2, v1, v40
	v_lshlrev_b32_e32 v3, 11, v42
	v_lshlrev_b32_e32 v2, 3, v2
	v_and_b32_e32 v6, 0x1000, v3
	v_lshrrev_b32_e32 v3, 5, v41
	s_movk_i32 s13, 0xf8
	v_and_or_b32 v3, v2, s13, v3
	v_lshlrev_b32_e32 v7, 4, v3
	v_and_b32_e32 v8, 0x78, v2
	v_or_b32_e32 v10, 32, v7
	v_lshrrev_b32_e32 v3, 1, v41
	v_xor_b32_e32 v10, v10, v8
	v_xor_b32_e32 v2, v7, v8
	v_and_b32_e32 v9, 8, v3
	v_or_b32_e32 v10, v10, v6
	v_or_b32_e32 v2, v2, v6
	v_xor_b32_e32 v26, v10, v9
	v_or_b32_e32 v10, 64, v7
	v_xor_b32_e32 v25, v2, v9
	v_xor_b32_e32 v10, v10, v8
	s_waitcnt lgkmcnt(0)
	s_barrier
	v_or_b32_e32 v12, v10, v6
	ds_read_b64 v[10:11], v25 offset:24576
	v_lshl_or_b32 v20, v43, 7, v22
	v_lshlrev_b32_e32 v24, 1, v20
	v_add_u32_e32 v2, 0xa000, v24
	ds_read2_b64 v[2:5], v2 offset1:16
	v_or_b32_e32 v7, 0x60, v7
	v_xor_b32_e32 v7, v7, v8
	s_waitcnt lgkmcnt(0)
	v_mfma_f32_16x16x16_bf16 a[0:3], v[10:11], v[2:3], 0
	v_or_b32_e32 v2, 64, v20
	v_or_b32_e32 v6, v7, v6
	v_lshlrev_b32_e32 v29, 1, v2
	v_xor_b32_e32 v27, v12, v9
	v_xor_b32_e32 v28, v6, v9
	ds_read_b64 v[12:13], v26 offset:24576
	ds_read_b64 v[14:15], v27 offset:24576
	ds_read_b64 v[16:17], v28 offset:24576
	v_mfma_f32_16x16x16_bf16 a[4:7], v[10:11], v[4:5], 0
	ds_read2st64_b64 v[2:5], v29 offset0:82 offset1:84
	ds_read2st64_b64 v[6:9], v24 offset0:82 offset1:84
	s_addc_u32 s5, s5, s1
	s_add_i32 s2, s12, -1
	s_add_i32 s0, s42, s17
	s_mul_i32 s35, s35, s16
	s_add_i32 s35, s0, s35
	s_mul_i32 s0, s33, s19
	s_mul_hi_u32 s1, s33, s18
	s_ashr_i32 s3, s2, 31
	s_mul_i32 s12, s2, s29
	s_mul_hi_u32 s13, s2, s28
	s_add_i32 s0, s1, s0
	s_mul_i32 s1, s14, s18
	s_add_i32 s12, s13, s12
	s_mul_i32 s3, s3, s28
	s_waitcnt lgkmcnt(1)
	v_mfma_f32_16x16x16_bf16 a[4:7], v[12:13], v[2:3], a[4:7]
	s_add_i32 s1, s0, s1
	s_add_i32 s3, s12, s3
	s_lshl_b64 s[12:13], s[34:35], 2
	s_waitcnt lgkmcnt(0)
	v_mfma_f32_16x16x16_bf16 a[0:3], v[12:13], v[6:7], a[0:3]
	s_mul_i32 s0, s33, s18
	s_add_u32 s10, s10, s12
	s_addc_u32 s11, s11, s13
	s_lshl_b64 s[0:1], s[0:1], 2
	s_mul_i32 s2, s2, s28
	s_add_u32 s10, s10, s0
	ds_read_b64 v[2:3], v24 offset:44032
	v_mfma_f32_16x16x16_bf16 a[4:7], v[14:15], v[4:5], a[4:7]
	ds_read_b64 v[4:5], v29 offset:44032
	s_addc_u32 s11, s11, s1
	s_lshl_b64 s[0:1], s[2:3], 2
	v_mfma_f32_16x16x16_bf16 a[0:3], v[14:15], v[8:9], a[0:3]
	s_add_u32 s0, s10, s0
	s_addc_u32 s1, s11, s1
	s_load_dword s12, s[0:1], 0x0
	s_waitcnt lgkmcnt(0)
	v_mfma_f32_16x16x16_bf16 a[0:3], v[16:17], v[2:3], a[0:3]
	s_and_b64 vcc, exec, s[26:27]
	v_mfma_f32_16x16x16_bf16 a[4:7], v[16:17], v[4:5], a[4:7]
	s_cbranch_vccz .LBB432_42
; %bb.32:
	v_lshlrev_b32_e32 v20, 1, v23
	s_and_b64 vcc, exec, s[6:7]
	s_cbranch_vccz .LBB432_43
; %bb.33:
	v_cmp_gt_i32_e32 vcc, s41, v20
	v_mov_b32_e32 v6, 0
	v_mov_b32_e32 v2, 0
	;; [unrolled: 1-line block ×5, first 2 shown]
	s_and_saveexec_b64 s[0:1], vcc
	s_cbranch_execz .LBB432_35
; %bb.34:
	v_mad_i64_i32 v[2:3], s[2:3], s15, v20, 0
	v_lshl_add_u64 v[2:3], v[2:3], 1, s[4:5]
	v_lshlrev_b32_e32 v4, 1, v18
	v_mov_b32_e32 v5, 0
	v_lshl_add_u64 v[2:3], v[2:3], 0, v[4:5]
	global_load_dwordx4 v[2:5], v[2:3], off
.LBB432_35:
	s_or_b64 exec, exec, s[0:1]
	v_or_b32_e32 v21, 1, v20
	v_cmp_gt_i32_e64 s[0:1], s41, v21
	v_mov_b32_e32 v7, 0
	v_mov_b32_e32 v8, 0
	;; [unrolled: 1-line block ×3, first 2 shown]
	s_and_saveexec_b64 s[2:3], s[0:1]
	s_cbranch_execz .LBB432_37
; %bb.36:
	v_mad_i64_i32 v[6:7], s[16:17], s15, v21, 0
	v_lshl_add_u64 v[6:7], v[6:7], 1, s[4:5]
	v_lshlrev_b32_e32 v8, 1, v18
	v_mov_b32_e32 v9, 0
	v_lshl_add_u64 v[6:7], v[6:7], 0, v[8:9]
	global_load_dwordx4 v[6:9], v[6:7], off
.LBB432_37:
	s_or_b64 exec, exec, s[2:3]
	v_mov_b32_e32 v17, 0
	v_mov_b32_e32 v10, 0
	;; [unrolled: 1-line block ×5, first 2 shown]
	s_and_saveexec_b64 s[2:3], vcc
	s_cbranch_execz .LBB432_39
; %bb.38:
	v_mad_i64_i32 v[10:11], s[16:17], s15, v20, 0
	v_lshl_add_u64 v[10:11], v[10:11], 1, s[4:5]
	v_lshlrev_b32_e32 v12, 1, v18
	v_mov_b32_e32 v13, 0
	v_lshl_add_u64 v[10:11], v[10:11], 0, v[12:13]
	global_load_dwordx4 v[10:13], v[10:11], off offset:128
.LBB432_39:
	s_or_b64 exec, exec, s[2:3]
	v_mov_b32_e32 v16, 0
	v_mov_b32_e32 v15, 0
	;; [unrolled: 1-line block ×3, first 2 shown]
	s_and_saveexec_b64 s[2:3], s[0:1]
	s_cbranch_execz .LBB432_41
; %bb.40:
	v_mad_i64_i32 v[14:15], s[0:1], s15, v21, 0
	v_lshl_add_u64 v[14:15], v[14:15], 1, s[4:5]
	v_lshlrev_b32_e32 v16, 1, v18
	v_mov_b32_e32 v17, 0
	v_lshl_add_u64 v[14:15], v[14:15], 0, v[16:17]
	global_load_dwordx4 v[14:17], v[14:15], off offset:128
.LBB432_41:
	s_or_b64 exec, exec, s[2:3]
	s_branch .LBB432_45
.LBB432_42:
                                        ; implicit-def: $vgpr5
                                        ; implicit-def: $vgpr9
                                        ; implicit-def: $vgpr13
                                        ; implicit-def: $vgpr17
	v_lshrrev_b32_e32 v30, 2, v41
	s_branch .LBB432_46
.LBB432_43:
                                        ; implicit-def: $vgpr5
                                        ; implicit-def: $vgpr9
                                        ; implicit-def: $vgpr13
                                        ; implicit-def: $vgpr17
	s_cbranch_execz .LBB432_45
; %bb.44:
	s_waitcnt vmcnt(0)
	v_mad_u64_u32 v[2:3], s[0:1], v20, s15, v[18:19]
	v_lshlrev_b32_e32 v20, 1, v2
	s_lshl_b32 s2, s15, 7
	s_and_b32 s1, s5, 0xffff
	s_mov_b32 s3, 0x20000
	s_mov_b32 s0, s4
	v_add_lshl_u32 v21, v2, s15, 1
	s_movk_i32 s13, 0x80
	buffer_load_dwordx4 v[2:5], v20, s[0:3], 0 offen
	buffer_load_dwordx4 v[10:13], v20, s[0:3], s13 offen
	;; [unrolled: 1-line block ×4, first 2 shown]
.LBB432_45:
	v_lshrrev_b32_e32 v30, 2, v41
	s_cbranch_execnz .LBB432_58
.LBB432_46:
	s_and_b64 vcc, exec, s[6:7]
	s_cbranch_vccz .LBB432_56
; %bb.47:
	s_waitcnt vmcnt(0)
	v_lshlrev_b32_e32 v7, 1, v23
	v_cmp_gt_i32_e32 vcc, s41, v7
	v_mov_b32_e32 v6, 0
	v_lshlrev_b32_e32 v14, 9, v23
	v_mov_b32_e32 v2, 0
	v_mov_b32_e32 v3, 0
	;; [unrolled: 1-line block ×4, first 2 shown]
	s_and_saveexec_b64 s[0:1], vcc
	s_cbranch_execz .LBB432_49
; %bb.48:
	v_mov_b32_e32 v15, 0
	v_lshl_add_u64 v[2:3], s[4:5], 0, v[14:15]
	v_lshlrev_b32_e32 v4, 1, v18
	v_mov_b32_e32 v5, v15
	v_lshl_add_u64 v[2:3], v[2:3], 0, v[4:5]
	global_load_dwordx4 v[2:5], v[2:3], off
.LBB432_49:
	s_or_b64 exec, exec, s[0:1]
	v_or_b32_e32 v7, 1, v7
	v_cmp_gt_i32_e64 s[0:1], s41, v7
	v_lshlrev_b32_e32 v20, 8, v7
	v_mov_b32_e32 v7, 0
	v_mov_b32_e32 v8, 0
	v_mov_b32_e32 v9, 0
	s_and_saveexec_b64 s[2:3], s[0:1]
	s_cbranch_execz .LBB432_51
; %bb.50:
	v_mov_b32_e32 v21, 0
	v_lshl_add_u64 v[6:7], s[4:5], 0, v[20:21]
	v_lshlrev_b32_e32 v8, 1, v18
	v_mov_b32_e32 v9, v21
	v_lshl_add_u64 v[6:7], v[6:7], 0, v[8:9]
	global_load_dwordx4 v[6:9], v[6:7], off
.LBB432_51:
	s_or_b64 exec, exec, s[2:3]
	v_mov_b32_e32 v17, 0
	v_mov_b32_e32 v10, 0
	;; [unrolled: 1-line block ×5, first 2 shown]
	s_and_saveexec_b64 s[2:3], vcc
	s_cbranch_execz .LBB432_53
; %bb.52:
	v_mov_b32_e32 v15, 0
	v_lshl_add_u64 v[10:11], s[4:5], 0, v[14:15]
	v_lshlrev_b32_e32 v14, 1, v18
	v_lshl_add_u64 v[10:11], v[10:11], 0, v[14:15]
	global_load_dwordx4 v[10:13], v[10:11], off offset:128
.LBB432_53:
	s_or_b64 exec, exec, s[2:3]
	v_mov_b32_e32 v16, 0
	v_mov_b32_e32 v15, 0
	v_mov_b32_e32 v14, 0
	s_and_saveexec_b64 s[2:3], s[0:1]
	s_cbranch_execz .LBB432_55
; %bb.54:
	v_mov_b32_e32 v21, 0
	v_lshl_add_u64 v[14:15], s[4:5], 0, v[20:21]
	v_lshlrev_b32_e32 v20, 1, v18
	v_lshl_add_u64 v[14:15], v[14:15], 0, v[20:21]
	global_load_dwordx4 v[14:17], v[14:15], off offset:128
.LBB432_55:
	s_or_b64 exec, exec, s[2:3]
	s_branch .LBB432_58
.LBB432_56:
                                        ; implicit-def: $vgpr5
                                        ; implicit-def: $vgpr9
                                        ; implicit-def: $vgpr13
                                        ; implicit-def: $vgpr17
	s_cbranch_execz .LBB432_58
; %bb.57:
	s_waitcnt vmcnt(0)
	v_lshlrev_b32_e32 v2, 1, v18
	v_lshl_or_b32 v18, v23, 9, v2
	s_and_b32 s5, s5, 0xffff
	s_mov_b32 s7, 0x20000
	s_movk_i32 s6, 0x4000
	s_movk_i32 s0, 0x80
	buffer_load_dwordx4 v[2:5], v18, s[4:7], 0 offen
	buffer_load_dwordx4 v[6:9], v18, s[4:7], 0 offen offset:256
	buffer_load_dwordx4 v[10:13], v18, s[4:7], s0 offen
	buffer_load_dwordx4 v[14:17], v18, s[4:7], s0 offen offset:256
.LBB432_58:
	ds_read_b64 v[20:21], v25 offset:32768
	v_add_u32_e32 v18, 0xb000, v24
	ds_read2_b64 v[32:35], v18 offset1:16
	ds_read_b64 v[42:43], v26 offset:32768
	ds_read_b64 v[26:27], v27 offset:32768
	;; [unrolled: 1-line block ×3, first 2 shown]
	v_and_b32_e32 v18, 6, v0
	v_xor_b32_e32 v23, v23, v18
	v_lshlrev_b32_e32 v23, 2, v23
	v_and_b32_e32 v0, 1, v0
	v_xor_b32_e32 v28, 0x440, v23
	v_cmp_eq_u32_e32 vcc, 0, v0
	s_waitcnt lgkmcnt(3)
	v_mfma_f32_16x16x16_bf16 a[0:3], v[20:21], v[32:33], a[0:3]
	s_mov_b32 s0, 0x1000504
	v_cndmask_b32_e32 v0, v28, v23, vcc
	v_lshl_or_b32 v0, v18, 10, v0
	v_mfma_f32_16x16x16_bf16 a[4:7], v[20:21], v[34:35], a[4:7]
	ds_read2st64_b64 v[32:35], v24 offset0:90 offset1:92
	ds_read2st64_b64 v[36:39], v29 offset0:90 offset1:92
	ds_read_b64 v[20:21], v24 offset:48128
	ds_read_b64 v[24:25], v29 offset:48128
	s_waitcnt vmcnt(0)
	v_perm_b32 v18, v2, v6, s0
	s_waitcnt lgkmcnt(3)
	v_mfma_f32_16x16x16_bf16 a[0:3], v[42:43], v[32:33], a[0:3]
	s_mov_b32 s1, 0x3020706
	v_perm_b32 v2, v2, v6, s1
	v_perm_b32 v6, v10, v14, s1
	s_waitcnt lgkmcnt(2)
	v_mfma_f32_16x16x16_bf16 a[4:7], v[42:43], v[36:37], a[4:7]
	v_mfma_f32_16x16x16_bf16 a[0:3], v[26:27], v[34:35], a[0:3]
	;; [unrolled: 1-line block ×3, first 2 shown]
	s_waitcnt lgkmcnt(1)
	v_mfma_f32_16x16x16_bf16 a[4:7], v[44:45], v[20:21], a[0:3]
	v_perm_b32 v20, v10, v14, s0
	ds_write2st64_b32 v0, v18, v20 offset0:32 offset1:64
	v_xor_b32_e32 v18, 8, v0
	v_add_u32_e32 v10, 0x80, v18
	ds_write2st64_b32 v10, v2, v6 offset0:32 offset1:64
	v_xor_b32_e32 v2, 16, v0
	v_perm_b32 v6, v3, v7, s0
	v_perm_b32 v10, v11, v15, s0
	ds_write2st64_b32 v2, v6, v10 offset0:33 offset1:65
	v_xor_b32_e32 v2, 24, v0
	v_perm_b32 v3, v3, v7, s1
	v_perm_b32 v6, v11, v15, s1
	v_add_u32_e32 v2, 0x80, v2
	ds_write2st64_b32 v2, v3, v6 offset0:33 offset1:65
	v_xor_b32_e32 v2, 32, v0
	v_perm_b32 v3, v4, v8, s0
	v_perm_b32 v6, v12, v16, s0
	s_waitcnt lgkmcnt(4)
	v_mfma_f32_16x16x16_bf16 a[0:3], v[44:45], v[24:25], a[8:11]
	ds_write2st64_b32 v2, v3, v6 offset0:34 offset1:66
	v_xor_b32_e32 v2, 40, v0
	v_perm_b32 v3, v4, v8, s1
	v_perm_b32 v4, v12, v16, s1
	v_add_u32_e32 v2, 0x80, v2
	ds_write2st64_b32 v2, v3, v4 offset0:34 offset1:66
	v_xor_b32_e32 v2, 48, v0
	v_perm_b32 v3, v5, v9, s0
	v_perm_b32 v4, v13, v17, s0
	v_xor_b32_e32 v0, 56, v0
	v_and_or_b32 v18, v30, 12, v1
	ds_write2st64_b32 v2, v3, v4 offset0:35 offset1:67
	v_perm_b32 v2, v5, v9, s1
	v_perm_b32 v3, v13, v17, s1
	v_add_u32_e32 v0, 0x80, v0
	v_cmp_gt_i32_e32 vcc, s41, v18
	v_mov_b32_e32 v14, 0
	v_mov_b32_e32 v16, 0
	ds_write2st64_b32 v0, v2, v3 offset0:35 offset1:67
	s_and_saveexec_b64 s[0:1], vcc
	s_cbranch_execz .LBB432_60
; %bb.59:
	v_add_u32_e32 v0, s40, v18
	v_ashrrev_i32_e32 v1, 31, v0
	v_mul_lo_u32 v2, v1, s28
	v_mul_lo_u32 v3, v0, s29
	v_mad_u64_u32 v[0:1], s[2:3], v0, s28, 0
	v_add3_u32 v1, v1, v3, v2
	v_lshl_add_u64 v[0:1], v[0:1], 2, s[10:11]
	global_load_dword v0, v[0:1], off
	s_waitcnt vmcnt(0)
	v_sub_f32_e32 v0, s12, v0
	v_exp_f32_e32 v16, v0
.LBB432_60:
	s_or_b64 exec, exec, s[0:1]
	v_or_b32_e32 v8, 1, v18
	v_cmp_gt_i32_e64 s[0:1], s41, v8
	s_and_saveexec_b64 s[2:3], s[0:1]
	s_cbranch_execz .LBB432_62
; %bb.61:
	v_add_u32_e32 v0, s40, v8
	v_ashrrev_i32_e32 v1, 31, v0
	v_mul_lo_u32 v2, v1, s28
	v_mul_lo_u32 v3, v0, s29
	v_mad_u64_u32 v[0:1], s[4:5], v0, s28, 0
	v_add3_u32 v1, v1, v3, v2
	v_lshl_add_u64 v[0:1], v[0:1], 2, s[10:11]
	global_load_dword v0, v[0:1], off
	s_waitcnt vmcnt(0)
	v_sub_f32_e32 v0, s12, v0
	v_exp_f32_e32 v14, v0
.LBB432_62:
	s_or_b64 exec, exec, s[2:3]
	v_or_b32_e32 v10, 2, v18
	v_cmp_gt_i32_e64 s[2:3], s41, v10
	v_mov_b32_e32 v15, 0
	v_mov_b32_e32 v17, 0
	s_and_saveexec_b64 s[4:5], s[2:3]
	s_cbranch_execz .LBB432_64
; %bb.63:
	v_add_u32_e32 v0, s40, v10
	v_ashrrev_i32_e32 v1, 31, v0
	v_mul_lo_u32 v2, v1, s28
	v_mul_lo_u32 v3, v0, s29
	v_mad_u64_u32 v[0:1], s[6:7], v0, s28, 0
	v_add3_u32 v1, v1, v3, v2
	v_lshl_add_u64 v[0:1], v[0:1], 2, s[10:11]
	global_load_dword v0, v[0:1], off
	s_waitcnt vmcnt(0)
	v_sub_f32_e32 v0, s12, v0
	v_exp_f32_e32 v17, v0
.LBB432_64:
	s_or_b64 exec, exec, s[4:5]
	v_or_b32_e32 v12, 3, v18
	v_cmp_gt_i32_e64 s[4:5], s41, v12
	s_and_saveexec_b64 s[6:7], s[4:5]
	s_cbranch_execz .LBB432_66
; %bb.65:
	v_add_u32_e32 v0, s40, v12
	v_ashrrev_i32_e32 v1, 31, v0
	v_mul_lo_u32 v2, v1, s28
	v_mul_lo_u32 v3, v0, s29
	v_mad_u64_u32 v[0:1], s[14:15], v0, s28, 0
	v_add3_u32 v1, v1, v3, v2
	v_lshl_add_u64 v[0:1], v[0:1], 2, s[10:11]
	global_load_dword v0, v[0:1], off
	s_waitcnt vmcnt(0)
	v_sub_f32_e32 v0, s12, v0
	v_exp_f32_e32 v15, v0
.LBB432_66:
	s_or_b64 exec, exec, s[6:7]
	v_or_b32_e32 v4, s30, v40
	s_add_u32 s6, s8, s24
	v_accvgpr_read_b32 v0, a4
	s_addc_u32 s7, s9, s25
	v_ashrrev_i32_e32 v5, 31, v4
	v_accvgpr_read_b32 v1, a5
	v_accvgpr_read_b32 v2, a6
	;; [unrolled: 1-line block ×3, first 2 shown]
	v_lshl_add_u64 v[4:5], v[4:5], 1, s[6:7]
	v_mov_b32_e32 v9, 0
	v_lshlrev_b32_e32 v6, 8, v18
	v_mov_b32_e32 v7, 0
	s_and_saveexec_b64 s[6:7], vcc
	s_cbranch_execz .LBB432_68
; %bb.67:
	v_mov_b32_e32 v7, 0
	v_lshl_add_u64 v[20:21], v[4:5], 0, v[6:7]
	global_load_ushort v7, v[20:21], off
	s_waitcnt vmcnt(0)
	v_lshlrev_b32_e32 v7, 16, v7
	v_sub_f32_e32 v0, v7, v0
	v_mul_f32_e32 v0, v16, v0
	v_lshrrev_b32_e32 v7, 16, v0
.LBB432_68:
	s_or_b64 exec, exec, s[6:7]
	v_lshlrev_b32_e32 v8, 8, v8
	s_and_saveexec_b64 s[6:7], s[0:1]
	s_cbranch_execz .LBB432_70
; %bb.69:
	v_mov_b32_e32 v9, 0
	v_lshl_add_u64 v[20:21], v[4:5], 0, v[8:9]
	global_load_ushort v0, v[20:21], off
	s_waitcnt vmcnt(0)
	v_lshlrev_b32_e32 v0, 16, v0
	v_sub_f32_e32 v0, v0, v1
	v_mul_f32_e32 v0, v14, v0
	v_lshrrev_b32_e32 v9, 16, v0
.LBB432_70:
	s_or_b64 exec, exec, s[6:7]
	v_mov_b32_e32 v13, 0
	v_lshlrev_b32_e32 v10, 8, v10
	v_mov_b32_e32 v11, 0
	s_and_saveexec_b64 s[6:7], s[2:3]
	s_cbranch_execz .LBB432_72
; %bb.71:
	v_mov_b32_e32 v11, 0
	v_lshl_add_u64 v[0:1], v[4:5], 0, v[10:11]
	global_load_ushort v0, v[0:1], off
	s_waitcnt vmcnt(0)
	v_lshlrev_b32_e32 v0, 16, v0
	v_sub_f32_e32 v0, v0, v2
	v_mul_f32_e32 v0, v17, v0
	v_lshrrev_b32_e32 v11, 16, v0
.LBB432_72:
	s_or_b64 exec, exec, s[6:7]
	v_lshlrev_b32_e32 v12, 8, v12
	s_and_saveexec_b64 s[6:7], s[4:5]
	s_cbranch_execz .LBB432_74
; %bb.73:
	v_mov_b32_e32 v13, 0
	v_lshl_add_u64 v[0:1], v[4:5], 0, v[12:13]
	global_load_ushort v0, v[0:1], off
	s_waitcnt vmcnt(0)
	v_lshlrev_b32_e32 v0, 16, v0
	v_sub_f32_e32 v0, v0, v3
	v_mul_f32_e32 v0, v15, v0
	v_lshrrev_b32_e32 v13, 16, v0
.LBB432_74:
	s_or_b64 exec, exec, s[6:7]
	v_lshlrev_b32_e32 v18, 5, v18
	s_mov_b32 s6, 0x5040100
	v_perm_b32 v20, v9, v7, s6
	v_or_b32_e32 v7, v18, v22
	v_accvgpr_read_b32 v0, a0
	v_perm_b32 v21, v13, v11, s6
	v_lshlrev_b32_e32 v7, 1, v7
	v_accvgpr_read_b32 v1, a1
	v_accvgpr_read_b32 v2, a2
	;; [unrolled: 1-line block ×3, first 2 shown]
	ds_write_b64 v7, v[20:21] offset:45056
	v_mov_b32_e32 v9, 0
	v_mov_b32_e32 v7, 0
	s_and_saveexec_b64 s[6:7], vcc
	s_cbranch_execz .LBB432_76
; %bb.75:
	v_mov_b32_e32 v7, 0
	v_lshl_add_u64 v[6:7], v[4:5], 0, v[6:7]
	global_load_ushort v6, v[6:7], off offset:32
	s_waitcnt vmcnt(0)
	v_lshlrev_b32_e32 v6, 16, v6
	v_sub_f32_e32 v0, v6, v0
	v_mul_f32_e32 v0, v16, v0
	v_lshrrev_b32_e32 v7, 16, v0
.LBB432_76:
	s_or_b64 exec, exec, s[6:7]
	s_and_saveexec_b64 s[6:7], s[0:1]
	s_cbranch_execz .LBB432_78
; %bb.77:
	v_mov_b32_e32 v9, 0
	v_lshl_add_u64 v[8:9], v[4:5], 0, v[8:9]
	global_load_ushort v0, v[8:9], off offset:32
	s_waitcnt vmcnt(0)
	v_lshlrev_b32_e32 v0, 16, v0
	v_sub_f32_e32 v0, v0, v1
	v_mul_f32_e32 v0, v14, v0
	v_lshrrev_b32_e32 v9, 16, v0
.LBB432_78:
	s_or_b64 exec, exec, s[6:7]
	v_mov_b32_e32 v0, 0
	v_mov_b32_e32 v1, 0
	s_and_saveexec_b64 s[0:1], s[2:3]
	s_cbranch_execz .LBB432_80
; %bb.79:
	v_mov_b32_e32 v11, 0
	v_lshl_add_u64 v[10:11], v[4:5], 0, v[10:11]
	global_load_ushort v1, v[10:11], off offset:32
	s_waitcnt vmcnt(0)
	v_lshlrev_b32_e32 v1, 16, v1
	v_sub_f32_e32 v1, v1, v2
	v_mul_f32_e32 v1, v17, v1
	v_lshrrev_b32_e32 v1, 16, v1
.LBB432_80:
	s_or_b64 exec, exec, s[0:1]
	s_and_saveexec_b64 s[0:1], s[4:5]
	s_cbranch_execz .LBB432_82
; %bb.81:
	v_mov_b32_e32 v13, 0
	v_lshl_add_u64 v[4:5], v[4:5], 0, v[12:13]
	global_load_ushort v0, v[4:5], off offset:32
	s_waitcnt vmcnt(0)
	v_lshlrev_b32_e32 v0, 16, v0
	v_sub_f32_e32 v0, v0, v3
	v_mul_f32_e32 v0, v15, v0
	v_lshrrev_b32_e32 v0, 16, v0
.LBB432_82:
	s_or_b64 exec, exec, s[0:1]
	s_mov_b32 s0, 0x5040100
	v_or_b32_e32 v2, v18, v19
	v_perm_b32 v1, v0, v1, s0
	v_perm_b32 v0, v9, v7, s0
	v_lshlrev_b32_e32 v2, 1, v2
	ds_write_b64 v2, v[0:1] offset:45056
	s_waitcnt lgkmcnt(0)
	s_barrier
.LBB432_83:
	s_endpgm
	.section	.rodata,"a",@progbits
	.p2align	6, 0x0
	.amdhsa_kernel _ZN12_GLOBAL__N_139chunk_gated_delta_rule_fwd_h_hip_kernelILi32ELb0ELb0ELb0ELb0ELb1ELb0ELb1ELb0EEEvPK12hip_bfloat16S3_S3_PKfS5_PKvPS1_S8_PvPKiSB_iiiiilll
		.amdhsa_group_segment_fixed_size 49152
		.amdhsa_private_segment_fixed_size 0
		.amdhsa_kernarg_size 136
		.amdhsa_user_sgpr_count 2
		.amdhsa_user_sgpr_dispatch_ptr 0
		.amdhsa_user_sgpr_queue_ptr 0
		.amdhsa_user_sgpr_kernarg_segment_ptr 1
		.amdhsa_user_sgpr_dispatch_id 0
		.amdhsa_user_sgpr_kernarg_preload_length 0
		.amdhsa_user_sgpr_kernarg_preload_offset 0
		.amdhsa_user_sgpr_private_segment_size 0
		.amdhsa_uses_dynamic_stack 0
		.amdhsa_enable_private_segment 0
		.amdhsa_system_sgpr_workgroup_id_x 1
		.amdhsa_system_sgpr_workgroup_id_y 1
		.amdhsa_system_sgpr_workgroup_id_z 0
		.amdhsa_system_sgpr_workgroup_info 0
		.amdhsa_system_vgpr_workitem_id 0
		.amdhsa_next_free_vgpr 152
		.amdhsa_next_free_sgpr 62
		.amdhsa_accum_offset 132
		.amdhsa_reserve_vcc 1
		.amdhsa_float_round_mode_32 0
		.amdhsa_float_round_mode_16_64 0
		.amdhsa_float_denorm_mode_32 3
		.amdhsa_float_denorm_mode_16_64 3
		.amdhsa_dx10_clamp 1
		.amdhsa_ieee_mode 1
		.amdhsa_fp16_overflow 0
		.amdhsa_tg_split 0
		.amdhsa_exception_fp_ieee_invalid_op 0
		.amdhsa_exception_fp_denorm_src 0
		.amdhsa_exception_fp_ieee_div_zero 0
		.amdhsa_exception_fp_ieee_overflow 0
		.amdhsa_exception_fp_ieee_underflow 0
		.amdhsa_exception_fp_ieee_inexact 0
		.amdhsa_exception_int_div_zero 0
	.end_amdhsa_kernel
	.section	.text._ZN12_GLOBAL__N_139chunk_gated_delta_rule_fwd_h_hip_kernelILi32ELb0ELb0ELb0ELb0ELb1ELb0ELb1ELb0EEEvPK12hip_bfloat16S3_S3_PKfS5_PKvPS1_S8_PvPKiSB_iiiiilll,"axG",@progbits,_ZN12_GLOBAL__N_139chunk_gated_delta_rule_fwd_h_hip_kernelILi32ELb0ELb0ELb0ELb0ELb1ELb0ELb1ELb0EEEvPK12hip_bfloat16S3_S3_PKfS5_PKvPS1_S8_PvPKiSB_iiiiilll,comdat
.Lfunc_end432:
	.size	_ZN12_GLOBAL__N_139chunk_gated_delta_rule_fwd_h_hip_kernelILi32ELb0ELb0ELb0ELb0ELb1ELb0ELb1ELb0EEEvPK12hip_bfloat16S3_S3_PKfS5_PKvPS1_S8_PvPKiSB_iiiiilll, .Lfunc_end432-_ZN12_GLOBAL__N_139chunk_gated_delta_rule_fwd_h_hip_kernelILi32ELb0ELb0ELb0ELb0ELb1ELb0ELb1ELb0EEEvPK12hip_bfloat16S3_S3_PKfS5_PKvPS1_S8_PvPKiSB_iiiiilll
                                        ; -- End function
	.section	.AMDGPU.csdata,"",@progbits
; Kernel info:
; codeLenInByte = 8432
; NumSgprs: 68
; NumVgprs: 130
; NumAgprs: 20
; TotalNumVgprs: 152
; ScratchSize: 0
; MemoryBound: 0
; FloatMode: 240
; IeeeMode: 1
; LDSByteSize: 49152 bytes/workgroup (compile time only)
; SGPRBlocks: 8
; VGPRBlocks: 18
; NumSGPRsForWavesPerEU: 68
; NumVGPRsForWavesPerEU: 152
; AccumOffset: 132
; Occupancy: 1
; WaveLimiterHint : 1
; COMPUTE_PGM_RSRC2:SCRATCH_EN: 0
; COMPUTE_PGM_RSRC2:USER_SGPR: 2
; COMPUTE_PGM_RSRC2:TRAP_HANDLER: 0
; COMPUTE_PGM_RSRC2:TGID_X_EN: 1
; COMPUTE_PGM_RSRC2:TGID_Y_EN: 1
; COMPUTE_PGM_RSRC2:TGID_Z_EN: 0
; COMPUTE_PGM_RSRC2:TIDIG_COMP_CNT: 0
; COMPUTE_PGM_RSRC3_GFX90A:ACCUM_OFFSET: 32
; COMPUTE_PGM_RSRC3_GFX90A:TG_SPLIT: 0
	.section	.text._ZN12_GLOBAL__N_139chunk_gated_delta_rule_fwd_h_hip_kernelILi32ELb1ELb1ELb1ELb1ELb1ELb0ELb0ELb0EEEvPK12hip_bfloat16S3_S3_PKfS5_PKvPS1_S8_PvPKiSB_iiiiilll,"axG",@progbits,_ZN12_GLOBAL__N_139chunk_gated_delta_rule_fwd_h_hip_kernelILi32ELb1ELb1ELb1ELb1ELb1ELb0ELb0ELb0EEEvPK12hip_bfloat16S3_S3_PKfS5_PKvPS1_S8_PvPKiSB_iiiiilll,comdat
	.globl	_ZN12_GLOBAL__N_139chunk_gated_delta_rule_fwd_h_hip_kernelILi32ELb1ELb1ELb1ELb1ELb1ELb0ELb0ELb0EEEvPK12hip_bfloat16S3_S3_PKfS5_PKvPS1_S8_PvPKiSB_iiiiilll ; -- Begin function _ZN12_GLOBAL__N_139chunk_gated_delta_rule_fwd_h_hip_kernelILi32ELb1ELb1ELb1ELb1ELb1ELb0ELb0ELb0EEEvPK12hip_bfloat16S3_S3_PKfS5_PKvPS1_S8_PvPKiSB_iiiiilll
	.p2align	8
	.type	_ZN12_GLOBAL__N_139chunk_gated_delta_rule_fwd_h_hip_kernelILi32ELb1ELb1ELb1ELb1ELb1ELb0ELb0ELb0EEEvPK12hip_bfloat16S3_S3_PKfS5_PKvPS1_S8_PvPKiSB_iiiiilll,@function
_ZN12_GLOBAL__N_139chunk_gated_delta_rule_fwd_h_hip_kernelILi32ELb1ELb1ELb1ELb1ELb1ELb0ELb0ELb0EEEvPK12hip_bfloat16S3_S3_PKfS5_PKvPS1_S8_PvPKiSB_iiiiilll: ; @_ZN12_GLOBAL__N_139chunk_gated_delta_rule_fwd_h_hip_kernelILi32ELb1ELb1ELb1ELb1ELb1ELb0ELb0ELb0EEEvPK12hip_bfloat16S3_S3_PKfS5_PKvPS1_S8_PvPKiSB_iiiiilll
; %bb.0:
	s_load_dwordx4 s[20:23], s[0:1], 0x5c
	s_load_dwordx4 s[4:7], s[0:1], 0x48
	s_abs_i32 s9, s3
	s_ashr_i32 s8, s3, 31
	v_and_b32_e32 v68, 15, v0
	s_waitcnt lgkmcnt(0)
	s_abs_i32 s10, s21
	v_cvt_f32_u32_e32 v1, s10
	s_sub_i32 s12, 0, s10
	s_ashr_i32 s11, s21, 31
	s_xor_b32 s8, s8, s11
	v_rcp_iflag_f32_e32 v1, v1
	v_bfe_u32 v67, v0, 4, 2
	v_mov_b32_e32 v51, 0
	v_lshlrev_b32_e32 v69, 3, v0
	v_mul_f32_e32 v1, 0x4f7ffffe, v1
	v_cvt_u32_f32_e32 v1, v1
	s_nop 0
	v_readfirstlane_b32 s13, v1
	s_mul_i32 s12, s12, s13
	s_mul_hi_u32 s12, s13, s12
	s_add_i32 s13, s13, s12
	s_mul_hi_u32 s12, s9, s13
	s_mul_i32 s13, s12, s10
	s_sub_i32 s9, s9, s13
	s_add_i32 s14, s12, 1
	s_sub_i32 s13, s9, s10
	s_cmp_ge_u32 s9, s10
	s_cselect_b32 s12, s14, s12
	s_cselect_b32 s9, s13, s9
	s_add_i32 s13, s12, 1
	s_cmp_ge_u32 s9, s10
	s_cselect_b32 s9, s13, s12
	s_xor_b32 s9, s9, s8
	s_sub_i32 s24, s9, s8
	s_mul_i32 s12, s24, s21
	s_ashr_i32 s25, s24, 31
	s_sub_i32 s51, s3, s12
	s_lshl_b64 s[8:9], s[24:25], 2
	s_add_u32 s4, s4, s8
	s_addc_u32 s5, s5, s9
	s_add_u32 s26, s6, s8
	s_addc_u32 s27, s7, s9
	s_abs_i32 s3, s22
	v_cvt_f32_u32_e32 v1, s3
	s_load_dwordx2 s[38:39], s[4:5], 0x0
	s_sub_i32 s5, 0, s3
	s_lshl_b32 s2, s2, 5
	v_rcp_iflag_f32_e32 v1, v1
	v_or_b32_e32 v56, s2, v68
	s_waitcnt lgkmcnt(0)
	s_sub_i32 s54, s39, s38
	s_ashr_i32 s4, s54, 31
	v_mul_f32_e32 v1, 0x4f7ffffe, v1
	v_cvt_u32_f32_e32 v1, v1
	s_lshr_b32 s4, s4, 26
	s_add_i32 s4, s54, s4
	s_ashr_i32 s52, s4, 6
	v_readfirstlane_b32 s6, v1
	s_mul_i32 s5, s5, s6
	s_mul_hi_u32 s5, s6, s5
	s_add_i32 s6, s6, s5
	s_mul_hi_u32 s5, s10, s6
	s_mul_i32 s6, s5, s3
	s_ashr_i32 s4, s22, 31
	s_sub_i32 s6, s10, s6
	s_xor_b32 s4, s11, s4
	s_add_i32 s7, s5, 1
	s_sub_i32 s8, s6, s3
	s_cmp_ge_u32 s6, s3
	s_cselect_b32 s5, s7, s5
	s_cselect_b32 s6, s8, s6
	s_add_i32 s7, s5, 1
	s_cmp_ge_u32 s6, s3
	s_cselect_b32 s3, s7, s5
	s_xor_b32 s3, s3, s4
	s_sub_i32 s3, s3, s4
	s_abs_i32 s13, s3
	v_cvt_f32_u32_e32 v1, s13
	s_sub_i32 s15, 0, s13
	s_abs_i32 s14, s51
	s_xor_b32 s3, s51, s3
	v_rcp_iflag_f32_e32 v2, v1
	s_ashr_i32 s3, s3, 31
	s_load_dwordx8 s[4:11], s[0:1], 0x28
	v_lshrrev_b32_e32 v1, 6, v0
	v_mul_f32_e32 v2, 0x4f7ffffe, v2
	v_cvt_u32_f32_e32 v2, v2
	v_lshlrev_b32_e32 v66, 4, v1
	v_lshlrev_b32_e32 v52, 7, v56
	v_lshl_or_b32 v71, v67, 2, v66
	v_readfirstlane_b32 s16, v2
	s_mul_i32 s15, s15, s16
	s_mul_hi_u32 s15, s16, s15
	s_add_i32 s16, s16, s15
	s_mul_hi_u32 s15, s14, s16
	s_mul_i32 s16, s15, s13
	s_sub_i32 s14, s14, s16
	s_add_i32 s16, s15, 1
	s_sub_i32 s17, s14, s13
	s_cmp_ge_u32 s14, s13
	s_cselect_b32 s15, s16, s15
	s_cselect_b32 s14, s17, s14
	s_add_i32 s16, s15, 1
	s_cmp_ge_u32 s14, s13
	s_cselect_b32 s13, s16, s15
	s_xor_b32 s13, s13, s3
	s_sub_i32 s55, s13, s3
	s_ashr_i32 s53, s51, 31
	s_mul_hi_i32 s3, s24, s21
	s_add_u32 s12, s12, s51
	s_addc_u32 s13, s3, s53
	s_lshl_b64 s[34:35], s[12:13], 16
	s_waitcnt lgkmcnt(0)
	s_add_u32 s4, s4, s34
	s_addc_u32 s5, s5, s35
	v_ashrrev_i32_e32 v53, 31, v52
	v_lshl_add_u64 v[2:3], v[52:53], 2, s[4:5]
	v_lshlrev_b32_e32 v50, 2, v71
	v_or_b32_e32 v54, 0x800, v52
	v_lshl_add_u64 v[10:11], v[2:3], 0, v[50:51]
	v_ashrrev_i32_e32 v55, 31, v54
	global_load_dwordx4 v[2:5], v[10:11], off
	global_load_dwordx4 v[6:9], v[10:11], off offset:256
	v_lshl_add_u64 v[10:11], v[54:55], 2, s[4:5]
	v_lshl_add_u64 v[18:19], v[10:11], 0, v[50:51]
	global_load_dwordx4 v[10:13], v[18:19], off
	global_load_dwordx4 v[14:17], v[18:19], off offset:256
	s_load_dwordx8 s[12:19], s[0:1], 0x0
	s_load_dwordx2 s[36:37], s[0:1], 0x80
	s_load_dwordx4 s[28:31], s[0:1], 0x70
	s_load_dword s56, s[26:27], 0x0
	v_and_b32_e32 v51, 63, v0
	v_or_b32_e32 v72, 64, v71
	s_cmp_lt_i32 s54, 64
	s_mul_hi_i32 s57, s51, s20
	s_mul_i32 s58, s51, s20
	v_lshrrev_b32_e32 v70, 3, v51
	s_waitcnt lgkmcnt(0)
	s_mul_i32 s33, s24, s29
	s_mul_hi_u32 s47, s24, s28
	s_mul_i32 s48, s25, s28
	s_mul_i32 s40, s24, s28
	;; [unrolled: 1-line block ×3, first 2 shown]
	s_mul_hi_u32 s49, s51, s30
	s_mul_i32 s50, s53, s30
	s_mul_i32 s42, s51, s30
	s_cbranch_scc1 .LBB433_19
; %bb.1:
	s_ashr_i32 s1, s38, 31
	s_add_u32 s0, s58, s38
	s_addc_u32 s1, s57, s1
	s_lshl_b64 s[0:1], s[0:1], 8
	v_and_b32_e32 v74, 56, v69
	s_add_u32 s24, s14, s0
	v_lshl_or_b32 v73, v1, 3, v70
	v_lshlrev_b32_e32 v18, 1, v74
	s_addc_u32 s0, s15, s1
	v_lshl_or_b32 v75, v73, 8, v18
	s_and_b32 s25, s0, 0xffff
	s_mov_b32 s27, 0x20000
	s_movk_i32 s26, 0x4000
	s_movk_i32 s0, 0x80
	v_or_b32_e32 v76, 0x2000, v75
	buffer_load_dwordx4 v[20:23], v75, s[24:27], 0 offen
	buffer_load_dwordx4 v[24:27], v75, s[24:27], s0 offen
	;; [unrolled: 1-line block ×4, first 2 shown]
	v_lshlrev_b32_e32 v19, 3, v73
	v_and_or_b32 v37, v0, 7, v19
	v_and_b32_e32 v19, 0x78, v19
	v_lshlrev_b32_e32 v37, 4, v37
	v_xor_b32_e32 v77, v37, v19
	v_mul_lo_u32 v36, v73, s23
	v_or_b32_e32 v78, 0x1000, v77
	v_xor_b32_e32 v19, 8, v77
	s_cmpk_eq_i32 s23, 0x80
	s_mov_b32 s59, s38
	v_xor_b32_e32 v37, 8, v78
	s_cselect_b64 s[0:1], -1, 0
	s_cmpk_lg_i32 s23, 0x80
	s_waitcnt vmcnt(3)
	ds_write_b64 v77, v[20:21] offset:24576
	ds_write_b64 v19, v[22:23] offset:24576
	s_waitcnt vmcnt(2)
	ds_write_b64 v77, v[24:25] offset:32768
	ds_write_b64 v19, v[26:27] offset:32768
	;; [unrolled: 3-line block ×4, first 2 shown]
	v_lshl_add_u32 v19, v36, 1, v74
	s_cbranch_scc0 .LBB433_3
; %bb.2:
	v_lshlrev_b32_e32 v21, 1, v19
	v_add_lshl_u32 v20, v19, s23, 1
	s_lshl_b32 s26, s23, 7
	v_lshl_or_b32 v18, v73, 9, v18
	s_cbranch_execz .LBB433_4
	s_branch .LBB433_5
.LBB433_3:
                                        ; implicit-def: $vgpr20
                                        ; implicit-def: $vgpr21
                                        ; implicit-def: $sgpr26
	v_lshl_or_b32 v18, v73, 9, v18
.LBB433_4:
	v_or_b32_e32 v20, 0x100, v18
	s_movk_i32 s26, 0x4000
	v_mov_b32_e32 v21, v18
.LBB433_5:
	s_mul_i32 s4, s38, s22
	s_ashr_i32 s60, s55, 31
	s_mul_hi_i32 s3, s38, s22
	s_add_u32 s4, s4, s55
	s_addc_u32 s5, s3, s60
	s_lshl_b64 s[4:5], s[4:5], 8
	s_add_u32 s24, s12, s4
	s_addc_u32 s3, s13, s5
	s_and_b32 s25, s3, 0xffff
	s_movk_i32 s61, 0x80
	buffer_load_dwordx4 v[22:25], v21, s[24:27], 0 offen
	buffer_load_dwordx4 v[26:29], v21, s[24:27], s61 offen
	;; [unrolled: 1-line block ×4, first 2 shown]
	v_and_b32_e32 v20, 6, v0
	v_lshlrev_b32_e32 v39, 6, v71
	v_or_b32_e32 v41, 16, v68
	v_xor_b32_e32 v42, v73, v20
	v_and_b32_e32 v21, 1, v0
	v_lshl_or_b32 v45, v68, 3, v39
	v_lshl_or_b32 v39, v41, 3, v39
	v_lshlrev_b32_e32 v42, 2, v42
	v_lshlrev_b32_e32 v38, 2, v68
	v_or_b32_e32 v81, 0xa000, v39
	v_or_b32_e32 v82, 0xb000, v39
	v_xor_b32_e32 v39, 0x440, v42
	v_cmp_eq_u32_e32 vcc, 0, v21
	s_add_i32 s3, s47, s33
	v_xor_b32_e32 v43, v71, v38
	v_xor_b32_e32 v44, v72, v38
	v_cndmask_b32_e32 v21, v39, v42, vcc
	s_add_i32 s4, s49, s46
	s_add_i32 s41, s3, s48
	s_mov_b32 s62, 0x1000504
	v_lshlrev_b32_e32 v40, 8, v68
	v_lshlrev_b32_e32 v41, 8, v41
	;; [unrolled: 1-line block ×4, first 2 shown]
	v_lshl_or_b32 v20, v20, 10, v21
	s_add_i32 s43, s4, s50
	s_lshl_b64 s[4:5], s[40:41], 2
	s_mov_b32 s63, 0x3020706
	v_or_b32_e32 v79, 0xa000, v45
	v_or_b32_e32 v80, 0xb000, v45
	;; [unrolled: 1-line block ×5, first 2 shown]
	v_xor_b32_e32 v21, 8, v20
	v_xor_b32_e32 v40, 24, v20
	;; [unrolled: 1-line block ×4, first 2 shown]
	s_add_u32 s3, s18, s4
	v_or_b32_e32 v85, v41, v43
	v_xor_b32_e32 v39, 16, v20
	v_xor_b32_e32 v41, 32, v20
	;; [unrolled: 1-line block ×3, first 2 shown]
	v_add_u32_e32 v21, 0x80, v21
	v_add_u32_e32 v40, 0x80, v40
	;; [unrolled: 1-line block ×4, first 2 shown]
	s_addc_u32 s24, s19, s5
	s_lshl_b64 s[4:5], s[42:43], 2
	s_add_u32 s4, s3, s4
	s_movk_i32 s3, 0xf8
	s_addc_u32 s5, s24, s5
	s_lshl_b32 s30, s23, 7
	s_movk_i32 s28, 0x100
	v_mov_b32_e32 v59, 0
	v_lshlrev_b32_e32 v58, 4, v68
	v_cmp_gt_u32_e32 vcc, s28, v0
	v_ashrrev_i32_e32 v57, 31, v56
	s_mov_b32 s64, 0
	s_movk_i32 s41, 0x1000
	s_movk_i32 s26, 0x4000
	s_waitcnt vmcnt(1)
	v_perm_b32 v45, v22, v30, s62
	s_waitcnt vmcnt(0)
	v_perm_b32 v46, v26, v34, s62
	v_perm_b32 v22, v22, v30, s63
	;; [unrolled: 1-line block ×15, first 2 shown]
	ds_write2st64_b32 v20, v45, v46 offset0:32 offset1:64
	ds_write2st64_b32 v21, v22, v26 offset0:32 offset1:64
	;; [unrolled: 1-line block ×8, first 2 shown]
	v_or_b32_e32 v20, v66, v68
	v_lshlrev_b32_e32 v20, 3, v20
	v_lshrrev_b32_e32 v23, 5, v51
	v_and_or_b32 v23, v20, s3, v23
	v_lshlrev_b32_e32 v23, 4, v23
	v_lshlrev_b32_e32 v21, 11, v1
	v_and_b32_e32 v20, 0x78, v20
	v_or_b32_e32 v28, 32, v23
	v_and_b32_e32 v22, 0x1000, v21
	v_lshrrev_b32_e32 v25, 1, v0
	v_xor_b32_e32 v28, v28, v20
	v_and_b32_e32 v26, 8, v25
	v_or_b32_e32 v28, v28, v22
	v_xor_b32_e32 v24, v23, v20
	v_xor_b32_e32 v89, v28, v26
	v_or_b32_e32 v28, 64, v23
	v_or_b32_e32 v23, 0x60, v23
	s_ashr_i32 s3, s2, 31
	v_xor_b32_e32 v28, v28, v20
	v_xor_b32_e32 v20, v23, v20
	s_lshl_b64 s[24:25], s[2:3], 8
	v_or_b32_e32 v24, v24, v22
	v_or_b32_e32 v28, v28, v22
	;; [unrolled: 1-line block ×3, first 2 shown]
	s_add_u32 s24, s6, s24
	v_lshlrev_b32_e32 v22, 1, v68
	v_xor_b32_e32 v91, v28, v26
	v_lshrrev_b32_e32 v28, 4, v0
	s_addc_u32 s25, s7, s25
	v_or_b32_e32 v23, 1, v22
	v_mov_b32_e32 v32, 0x4000
	v_mov_b32_e32 v33, 0x2000
	v_xor_b32_e32 v29, v28, v22
	v_xor_b32_e32 v30, v23, v28
	v_lshl_add_u64 v[22:23], s[24:25], 0, v[58:59]
	v_lshlrev_b32_e32 v58, 8, v28
	v_cndmask_b32_e32 v32, v32, v33, vcc
	v_lshlrev_b32_e32 v33, 3, v1
	v_and_b32_e32 v25, 24, v25
	v_lshl_or_b32 v95, v29, 3, v58
	v_and_b32_e32 v29, 8, v0
	v_xor_b32_e32 v34, v33, v25
	v_or_b32_e32 v35, 0x440, v34
	v_cmp_eq_u32_e32 vcc, 0, v29
	v_and_b32_e32 v28, 7, v0
	v_xor_b32_e32 v87, v24, v26
	v_cndmask_b32_e32 v29, v35, v34, vcc
	v_lshlrev_b32_e32 v24, 7, v67
	v_lshl_or_b32 v96, v30, 3, v58
	v_lshlrev_b32_e32 v30, 3, v28
	v_lshlrev_b32_e32 v28, 7, v28
	;; [unrolled: 1-line block ×3, first 2 shown]
	v_or_b32_e32 v29, v29, v21
	v_or_b32_e32 v27, v24, v38
	v_xad_u32 v97, v29, v30, v28
	v_and_or_b32 v24, v31, 60, v24
	v_mov_b32_e32 v29, 0xb000
	v_lshl_or_b32 v98, v24, 1, v29
	v_or_b32_e32 v24, 32, v25
	v_xor_b32_e32 v24, v33, v24
	v_or_b32_e32 v29, 0x440, v24
	v_cndmask_b32_e32 v24, v29, v24, vcc
	v_or_b32_e32 v24, v24, v21
	v_xad_u32 v99, v24, v30, v28
	v_or_b32_e32 v24, 64, v25
	v_xor_b32_e32 v24, v33, v24
	v_xor_b32_e32 v29, 0x440, v24
	v_cndmask_b32_e32 v24, v29, v24, vcc
	v_or_b32_e32 v24, v24, v21
	v_xad_u32 v100, v24, v30, v28
	v_or_b32_e32 v24, 0x60, v25
	v_xor_b32_e32 v24, v33, v24
	v_xor_b32_e32 v25, 0x440, v24
	v_lshlrev_b32_e32 v27, 1, v27
	v_cndmask_b32_e32 v24, v25, v24, vcc
	v_or_b32_e32 v88, 0xa000, v27
	v_or_b32_e32 v90, 0xa080, v27
	v_xor_b32_e32 v92, v20, v26
	v_or_b32_e32 v93, 0xb000, v27
	v_or_b32_e32 v94, 0xb080, v27
	v_lshlrev_b32_e32 v26, 1, v19
	v_add_lshl_u32 v19, v19, s23, 1
	v_or_b32_e32 v27, 0x100, v18
	v_or_b32_e32 v21, v24, v21
	v_lshlrev_b32_e32 v20, 7, v71
	v_xad_u32 v101, v21, v30, v28
	v_cndmask_b32_e64 v102, v26, v18, s[0:1]
	v_cndmask_b32_e64 v103, v19, v27, s[0:1]
	v_lshlrev_b64 v[18:19], 1, v[56:57]
	v_lshl_add_u64 v[60:61], s[16:17], 0, v[18:19]
	v_lshl_add_u64 v[62:63], s[8:9], 0, v[18:19]
	;; [unrolled: 1-line block ×3, first 2 shown]
	s_mov_b32 s3, 0x7060302
	v_lshlrev_b32_e32 v58, 1, v20
	v_add_u32_e32 v57, v32, v97
	v_add_u32_e32 v104, v32, v99
	;; [unrolled: 1-line block ×4, first 2 shown]
	s_waitcnt lgkmcnt(0)
	s_barrier
.LBB433_6:                              ; =>This Inner Loop Header: Depth=1
	s_add_i32 s43, s64, 1
	s_cmp_lt_i32 s43, s52
	s_mov_b64 s[28:29], 0
	s_cselect_b64 s[44:45], -1, 0
	s_cmp_ge_i32 s43, s52
	s_mov_b64 s[24:25], 0
	s_cbranch_scc1 .LBB433_8
; %bb.7:                                ;   in Loop: Header=BB433_6 Depth=1
	s_add_i32 s0, s59, 64
	s_ashr_i32 s1, s0, 31
	s_add_u32 s0, s58, s0
	s_addc_u32 s1, s57, s1
	s_lshl_b64 s[0:1], s[0:1], 8
	s_add_u32 s24, s14, s0
	s_addc_u32 s25, s15, s1
.LBB433_8:                              ;   in Loop: Header=BB433_6 Depth=1
	v_cndmask_b32_e64 v18, 0, 1, s[44:45]
	v_cmp_ne_u32_e64 s[0:1], 1, v18
	s_andn2_b64 vcc, exec, s[44:45]
	s_cbranch_vccnz .LBB433_10
; %bb.9:                                ;   in Loop: Header=BB433_6 Depth=1
	s_add_i32 s28, s59, 64
	s_mul_hi_i32 s29, s28, s22
	s_mul_i32 s28, s28, s22
	s_add_u32 s28, s28, s55
	s_addc_u32 s29, s29, s60
	s_lshl_b64 s[28:29], s[28:29], 8
	s_add_u32 s28, s12, s28
	s_addc_u32 s29, s13, s29
.LBB433_10:                             ;   in Loop: Header=BB433_6 Depth=1
	v_perm_b32 v19, v5, v4, s3
	v_perm_b32 v18, v3, v2, s3
	;; [unrolled: 1-line block ×4, first 2 shown]
	ds_write_b64 v79, v[18:19]
	ds_write_b64 v80, v[20:21]
	;; [unrolled: 1-line block ×4, first 2 shown]
	v_perm_b32 v19, v13, v12, s3
	v_perm_b32 v18, v11, v10, s3
	;; [unrolled: 1-line block ×4, first 2 shown]
	ds_write_b64 v81, v[18:19]
	ds_write_b64 v82, v[20:21]
	;; [unrolled: 1-line block ×4, first 2 shown]
	s_waitcnt lgkmcnt(0)
	s_barrier
	ds_read_b64 v[22:23], v87 offset:24576
	ds_read2_b64 v[18:21], v88 offset1:16
	ds_read_b64 v[26:27], v90 offset:3072
	ds_read_b64 v[28:29], v88 offset:3072
	;; [unrolled: 1-line block ×3, first 2 shown]
	s_waitcnt lgkmcnt(3)
	v_mfma_f32_16x16x16_bf16 a[0:3], v[22:23], v[18:19], 0
	s_add_i32 s31, s59, 63
	s_ashr_i32 s44, s31, 31
	s_mul_i32 s45, s31, s37
	v_mfma_f32_16x16x16_bf16 a[4:7], v[22:23], v[20:21], 0
	ds_read2st64_b64 v[18:21], v88 offset0:2 offset1:4
	s_mul_hi_u32 s65, s31, s36
	s_add_i32 s45, s65, s45
	s_waitcnt lgkmcnt(0)
	v_mfma_f32_16x16x16_bf16 a[0:3], v[30:31], v[18:19], a[0:3]
	ds_read2st64_b64 v[22:25], v90 offset0:2 offset1:4
	ds_read_b64 v[18:19], v91 offset:24576
	s_mul_i32 s44, s44, s36
	s_add_i32 s45, s45, s44
	s_waitcnt lgkmcnt(1)
	v_mfma_f32_16x16x16_bf16 a[4:7], v[30:31], v[22:23], a[4:7]
	ds_read_b64 v[22:23], v92 offset:24576
	s_mul_i32 s44, s31, s36
	s_lshl_b64 s[44:45], s[44:45], 2
	s_waitcnt lgkmcnt(1)
	v_mfma_f32_16x16x16_bf16 a[0:3], v[18:19], v[20:21], a[0:3]
	s_add_u32 s44, s4, s44
	s_addc_u32 s45, s5, s45
	s_and_b64 vcc, exec, s[0:1]
	v_mfma_f32_16x16x16_bf16 a[8:11], v[18:19], v[24:25], a[4:7]
	v_mov_b32_e32 v109, 0
	v_mov_b32_e32 v108, 0
	;; [unrolled: 1-line block ×3, first 2 shown]
	s_waitcnt lgkmcnt(0)
	v_mfma_f32_16x16x16_bf16 a[4:7], v[22:23], v[28:29], a[0:3]
	v_mov_b32_e32 v18, 0
	v_mov_b32_e32 v19, 0
	;; [unrolled: 1-line block ×3, first 2 shown]
	v_mfma_f32_16x16x16_bf16 a[0:3], v[22:23], v[26:27], a[8:11]
	v_mov_b32_e32 v21, 0
	v_mov_b32_e32 v22, 0
	;; [unrolled: 1-line block ×13, first 2 shown]
	s_cbranch_vccnz .LBB433_12
; %bb.11:                               ;   in Loop: Header=BB433_6 Depth=1
	s_and_b32 s25, s25, 0xffff
	buffer_load_dwordx4 v[30:33], v75, s[24:27], 0 offen
	buffer_load_dwordx4 v[26:29], v75, s[24:27], s61 offen
	;; [unrolled: 1-line block ×4, first 2 shown]
	v_mov_b32_e32 v108, v77
	v_mov_b32_e32 v107, v78
.LBB433_12:                             ;   in Loop: Header=BB433_6 Depth=1
	ds_read_b64 v[42:43], v87 offset:32768
	ds_read2_b64 v[34:37], v93 offset1:16
	ds_read_b64 v[44:45], v89 offset:32768
	ds_read_b64 v[46:47], v91 offset:32768
	;; [unrolled: 1-line block ×3, first 2 shown]
	ds_read2st64_b64 v[38:41], v93 offset0:2 offset1:4
	v_add_u32_e32 v110, s59, v71
	s_waitcnt lgkmcnt(4)
	v_mfma_f32_16x16x16_bf16 a[4:7], v[42:43], v[34:35], a[4:7]
	v_ashrrev_i32_e32 v34, 31, v110
	v_mfma_f32_16x16x16_bf16 a[0:3], v[42:43], v[36:37], a[0:3]
	v_mul_lo_u32 v36, v110, s37
	v_mul_lo_u32 v37, v34, s36
	v_mad_u64_u32 v[34:35], s[24:25], v110, s36, 0
	v_add3_u32 v35, v35, v36, v37
	v_add_u32_e32 v36, 1, v110
	v_ashrrev_i32_e32 v37, 31, v36
	s_waitcnt lgkmcnt(0)
	v_mfma_f32_16x16x16_bf16 a[4:7], v[44:45], v[38:39], a[4:7]
	v_mul_lo_u32 v38, v37, s36
	v_mul_lo_u32 v39, v36, s37
	v_mad_u64_u32 v[36:37], s[24:25], v36, s36, 0
	v_add3_u32 v37, v37, v39, v38
	v_add_u32_e32 v38, 2, v110
	v_ashrrev_i32_e32 v39, 31, v38
	v_mul_lo_u32 v42, v39, s36
	v_mul_lo_u32 v43, v38, s37
	v_mad_u64_u32 v[38:39], s[24:25], v38, s36, 0
	v_add3_u32 v39, v39, v43, v42
	v_add_u32_e32 v42, 3, v110
	v_ashrrev_i32_e32 v43, 31, v42
	v_mul_lo_u32 v110, v43, s36
	v_mul_lo_u32 v111, v42, s37
	v_mad_u64_u32 v[42:43], s[24:25], v42, s36, 0
	s_ashr_i32 s25, s59, 31
	v_add3_u32 v43, v43, v111, v110
	s_add_u32 s24, s58, s59
	v_lshl_add_u64 v[34:35], v[34:35], 2, s[4:5]
	v_lshl_add_u64 v[42:43], v[42:43], 2, s[4:5]
	s_addc_u32 s25, s57, s25
	v_lshl_add_u64 v[36:37], v[36:37], 2, s[4:5]
	v_lshl_add_u64 v[38:39], v[38:39], 2, s[4:5]
	global_load_dword v110, v[34:35], off
	global_load_dword v111, v[36:37], off
	global_load_dword v112, v[38:39], off
	s_nop 0
	global_load_dword v43, v[42:43], off
	s_lshl_b64 s[66:67], s[24:25], 8
	v_lshl_add_u64 v[34:35], v[60:61], 0, s[66:67]
	v_lshl_add_u64 v[38:39], v[34:35], 0, v[58:59]
	global_load_ushort v113, v[38:39], off offset:256
	global_load_ushort v114, v[38:39], off
	global_load_ushort v115, v[38:39], off offset:768
	global_load_ushort v116, v[38:39], off offset:512
	ds_read2st64_b64 v[34:37], v94 offset0:2 offset1:4
	global_load_ushort v117, v[38:39], off offset:800
	global_load_ushort v118, v[38:39], off offset:544
	;; [unrolled: 1-line block ×4, first 2 shown]
	s_waitcnt lgkmcnt(0)
	v_mfma_f32_16x16x16_bf16 a[0:3], v[44:45], v[34:35], a[0:3]
	s_and_b64 vcc, exec, s[0:1]
	s_waitcnt vmcnt(7)
	v_lshlrev_b32_e32 v45, 16, v113
	v_mfma_f32_16x16x16_bf16 a[4:7], v[46:47], v[40:41], a[4:7]
	s_waitcnt vmcnt(6)
	v_lshlrev_b32_e32 v44, 16, v114
	v_mfma_f32_16x16x16_bf16 a[0:3], v[46:47], v[36:37], a[0:3]
	ds_read_b64 v[34:35], v93 offset:3072
	ds_read_b64 v[36:37], v94 offset:3072
	s_load_dword s24, s[44:45], 0x0
	s_waitcnt vmcnt(5)
	v_lshlrev_b32_e32 v47, 16, v115
	s_waitcnt lgkmcnt(0)
	v_mfma_f32_16x16x16_bf16 a[4:7], v[48:49], v[34:35], a[4:7]
	v_lshl_add_u64 v[34:35], v[62:63], 0, s[66:67]
	v_sub_f32_e32 v42, s24, v110
	v_sub_f32_e32 v46, s24, v111
	v_mfma_f32_16x16x16_bf16 a[0:3], v[48:49], v[36:37], a[0:3]
	v_sub_f32_e32 v48, s24, v112
	v_sub_f32_e32 v49, s24, v43
	v_exp_f32_e32 v42, v42
	v_exp_f32_e32 v43, v46
	;; [unrolled: 1-line block ×4, first 2 shown]
	v_accvgpr_read_b32 v41, a5
	v_accvgpr_read_b32 v37, a7
	;; [unrolled: 1-line block ×4, first 2 shown]
	s_waitcnt vmcnt(4)
	v_lshlrev_b32_e32 v46, 16, v116
	v_lshl_add_u64 v[34:35], v[34:35], 0, v[58:59]
	v_pk_add_f32 v[40:41], v[44:45], v[40:41] neg_lo:[0,1] neg_hi:[0,1]
	v_pk_add_f32 v[36:37], v[46:47], v[36:37] neg_lo:[0,1] neg_hi:[0,1]
	global_store_short_d16_hi v[34:35], v40, off
	global_store_short_d16_hi v[34:35], v41, off offset:256
	global_store_short_d16_hi v[34:35], v36, off offset:512
	;; [unrolled: 1-line block ×3, first 2 shown]
	v_pk_mul_f32 v[40:41], v[42:43], v[40:41]
	v_pk_mul_f32 v[36:37], v[48:49], v[36:37]
	v_accvgpr_read_b32 v45, a1
	v_perm_b32 v40, v41, v40, s3
	v_perm_b32 v41, v37, v36, s3
	s_waitcnt vmcnt(5)
	v_lshlrev_b32_e32 v37, 16, v119
	s_waitcnt vmcnt(4)
	v_lshlrev_b32_e32 v36, 16, v120
	v_accvgpr_read_b32 v44, a0
	v_accvgpr_read_b32 v39, a3
	;; [unrolled: 1-line block ×3, first 2 shown]
	v_pk_add_f32 v[36:37], v[36:37], v[44:45] neg_lo:[0,1] neg_hi:[0,1]
	v_lshlrev_b32_e32 v45, 16, v117
	v_lshlrev_b32_e32 v44, 16, v118
	v_pk_add_f32 v[38:39], v[44:45], v[38:39] neg_lo:[0,1] neg_hi:[0,1]
	global_store_short_d16_hi v[34:35], v36, off offset:32
	global_store_short_d16_hi v[34:35], v37, off offset:288
	;; [unrolled: 1-line block ×4, first 2 shown]
	v_pk_mul_f32 v[34:35], v[42:43], v[36:37]
	v_pk_mul_f32 v[36:37], v[48:49], v[38:39]
	v_mov_b32_e32 v110, 0
	v_perm_b32 v37, v37, v36, s3
	v_perm_b32 v36, v35, v34, s3
	ds_write2_b64 v80, v[40:41], v[36:37] offset1:16
	v_mov_b32_e32 v34, 0
	v_mov_b32_e32 v35, 0
	v_mov_b32_e32 v36, 0
	v_mov_b32_e32 v37, 0
	v_mov_b32_e32 v38, 0
	v_mov_b32_e32 v39, 0
	v_mov_b32_e32 v40, 0
	v_mov_b32_e32 v41, 0
	v_mov_b32_e32 v42, 0
	v_mov_b32_e32 v43, 0
	v_mov_b32_e32 v44, 0
	v_mov_b32_e32 v45, 0
	v_mov_b32_e32 v46, 0
	v_mov_b32_e32 v47, 0
	v_mov_b32_e32 v48, 0
	v_mov_b32_e32 v49, 0
	s_cbranch_vccnz .LBB433_14
; %bb.13:                               ;   in Loop: Header=BB433_6 Depth=1
	s_and_b32 s29, s29, 0xffff
	s_mov_b32 s31, s27
	buffer_load_dwordx4 v[46:49], v102, s[28:31], 0 offen
	buffer_load_dwordx4 v[38:41], v102, s[28:31], s61 offen
	;; [unrolled: 1-line block ×4, first 2 shown]
	v_mov_b32_e32 v109, v74
	v_mov_b32_e32 v110, v73
.LBB433_14:                             ;   in Loop: Header=BB433_6 Depth=1
	s_waitcnt lgkmcnt(0)
	s_barrier
	ds_read_b64 v[116:117], v57
	ds_read_b64 v[124:125], v98
	ds_read_b64 v[120:121], v104
	ds_read_b64 v[126:127], v105
	ds_read_b64 v[128:129], v106
	ds_read_b64 v[130:131], v99 offset:16384
	ds_read_b64 v[132:133], v97 offset:16384
	ds_read2_b64 v[112:115], v93 offset0:16 offset1:128
	s_waitcnt lgkmcnt(6)
	v_mfma_f32_16x16x16_bf16 a[0:3], v[116:117], v[124:125], 0
	ds_read_b64 v[134:135], v94 offset:3072
	ds_read_b64 v[136:137], v101 offset:16384
	s_add_i32 s25, s56, s64
	s_waitcnt lgkmcnt(2)
	v_mfma_f32_16x16x16_bf16 a[4:7], v[116:117], v[112:113], 0
	ds_read2st64_b64 v[116:119], v94 offset0:2 offset1:4
	s_mul_hi_i32 s29, s25, s21
	s_mul_i32 s25, s25, s21
	v_mfma_f32_16x16x16_bf16 a[0:3], v[120:121], v[114:115], a[0:3]
	s_add_u32 s28, s25, s51
	s_addc_u32 s29, s29, s53
	s_lshl_b64 s[28:29], s[28:29], 15
	s_waitcnt lgkmcnt(0)
	v_mfma_f32_16x16x16_bf16 a[4:7], v[120:121], v[116:117], a[4:7]
	ds_read2st64_b64 v[120:123], v93 offset0:4 offset1:6
	s_waitcnt lgkmcnt(0)
	v_mfma_f32_16x16x16_bf16 a[0:3], v[126:127], v[120:121], a[0:3]
	v_mfma_f32_16x16x16_bf16 a[8:11], v[126:127], v[118:119], a[4:7]
	;; [unrolled: 1-line block ×5, first 2 shown]
	ds_read2st64_b64 v[124:127], v96 offset1:8
	v_mfma_f32_16x16x16_bf16 a[12:15], v[132:133], v[112:113], 0
	ds_read_b64 v[132:133], v100 offset:16384
	v_mfma_f32_16x16x16_bf16 a[8:11], v[130:131], v[114:115], a[8:11]
	ds_read2st64_b64 v[112:115], v95 offset1:8
	s_waitcnt lgkmcnt(0)
	v_mov_b32_e32 v128, v112
	v_mfma_f32_16x16x16_bf16 a[12:15], v[130:131], v[116:117], a[12:15]
	v_lshl_add_u64 v[116:117], v[64:65], 0, s[28:29]
	v_add_co_u32_e32 v112, vcc, s41, v116
	v_mfma_f32_16x16x16_bf16 a[8:11], v[132:133], v[120:121], a[8:11]
	v_mov_b32_e32 v129, v113
	v_addc_co_u32_e32 v113, vcc, 0, v117, vcc
	v_mfma_f32_16x16x16_bf16 a[12:15], v[132:133], v[118:119], a[12:15]
	v_mov_b32_e32 v130, v124
	v_mov_b32_e32 v131, v125
	;; [unrolled: 1-line block ×3, first 2 shown]
	v_mfma_f32_16x16x16_bf16 a[8:11], v[136:137], v[122:123], a[8:11]
	v_mov_b32_e32 v125, v115
	s_and_b64 vcc, exec, s[0:1]
	global_store_dwordx4 v[116:117], v[128:131], off
	v_mfma_f32_16x16x16_bf16 a[12:15], v[136:137], v[134:135], a[12:15]
	global_store_dwordx4 v[112:113], v[124:127], off
	s_cbranch_vccnz .LBB433_16
; %bb.15:                               ;   in Loop: Header=BB433_6 Depth=1
	v_lshrrev_b32_e32 v111, 3, v109
	v_and_b32_e32 v111, 6, v111
	v_xor_b32_e32 v110, v111, v110
	v_lshlrev_b32_e32 v110, 2, v110
	v_and_b32_e32 v109, 8, v109
	v_xor_b32_e32 v112, 0x440, v110
	v_cmp_eq_u32_e32 vcc, 0, v109
	s_barrier
	s_nop 0
	v_cndmask_b32_e32 v109, v112, v110, vcc
	v_lshl_or_b32 v109, v111, 10, v109
	s_waitcnt vmcnt(3)
	v_perm_b32 v110, v46, v42, s62
	s_waitcnt vmcnt(2)
	v_perm_b32 v111, v38, v34, s62
	ds_write2st64_b32 v109, v110, v111 offset0:32 offset1:64
	v_xor_b32_e32 v110, 8, v109
	v_perm_b32 v42, v46, v42, s63
	v_perm_b32 v34, v38, v34, s63
	v_add_u32_e32 v38, 0x80, v110
	ds_write2st64_b32 v38, v42, v34 offset0:32 offset1:64
	v_xor_b32_e32 v34, 16, v109
	v_perm_b32 v38, v47, v43, s62
	v_perm_b32 v42, v39, v35, s62
	ds_write2st64_b32 v34, v38, v42 offset0:33 offset1:65
	v_xor_b32_e32 v34, 24, v109
	v_perm_b32 v38, v47, v43, s63
	v_perm_b32 v35, v39, v35, s63
	v_add_u32_e32 v34, 0x80, v34
	ds_write2st64_b32 v34, v38, v35 offset0:33 offset1:65
	v_xor_b32_e32 v34, 32, v109
	v_perm_b32 v35, v48, v44, s62
	v_perm_b32 v38, v40, v36, s62
	ds_write2st64_b32 v34, v35, v38 offset0:34 offset1:66
	v_xor_b32_e32 v34, 40, v109
	v_perm_b32 v35, v48, v44, s63
	v_perm_b32 v36, v40, v36, s63
	v_add_u32_e32 v34, 0x80, v34
	ds_write2st64_b32 v34, v35, v36 offset0:34 offset1:66
	v_xor_b32_e32 v34, 48, v109
	v_perm_b32 v35, v49, v45, s62
	v_perm_b32 v36, v41, v37, s62
	ds_write2st64_b32 v34, v35, v36 offset0:35 offset1:67
	v_xor_b32_e32 v34, 56, v109
	v_perm_b32 v35, v49, v45, s63
	v_perm_b32 v36, v41, v37, s63
	v_add_u32_e32 v34, 0x80, v34
	ds_write2st64_b32 v34, v35, v36 offset0:35 offset1:67
	ds_write_b64 v108, v[30:31] offset:24576
	v_xor_b32_e32 v30, 8, v108
	ds_write_b64 v30, v[32:33] offset:24576
	ds_write_b64 v108, v[26:27] offset:32768
	;; [unrolled: 1-line block ×4, first 2 shown]
	v_xor_b32_e32 v22, 8, v107
	ds_write_b64 v22, v[24:25] offset:24576
	ds_write_b64 v107, v[18:19] offset:32768
	ds_write_b64 v22, v[20:21] offset:32768
.LBB433_16:                             ;   in Loop: Header=BB433_6 Depth=1
	s_waitcnt vmcnt(2)
	v_exp_f32_e32 v34, s24
	v_accvgpr_read_b32 v33, a7
	v_accvgpr_read_b32 v25, a3
	;; [unrolled: 1-line block ×16, first 2 shown]
	s_add_i32 s59, s59, 64
	v_fma_f32 v2, v2, v34, v30
	v_fma_f32 v3, v3, v34, v31
	v_fma_f32 v4, v4, v34, v32
	v_fmac_f32_e32 v33, v5, v34
	v_fma_f32 v10, v10, v34, v22
	v_fma_f32 v11, v11, v34, v23
	v_fma_f32 v12, v12, v34, v24
	v_fmac_f32_e32 v25, v13, v34
	;; [unrolled: 4-line block ×3, first 2 shown]
	v_fma_f32 v14, v14, v34, v18
	v_fma_f32 v15, v15, v34, v19
	;; [unrolled: 1-line block ×3, first 2 shown]
	s_cmp_eq_u32 s52, s43
	v_fmac_f32_e32 v21, v17, v34
	s_cbranch_scc1 .LBB433_18
; %bb.17:                               ;   in Loop: Header=BB433_6 Depth=1
	s_mov_b32 s64, s43
	v_mov_b32_e32 v5, v33
	v_mov_b32_e32 v9, v29
	;; [unrolled: 1-line block ×4, first 2 shown]
	s_branch .LBB433_6
.LBB433_18:
	v_mov_b32_e32 v5, v33
	v_mov_b32_e32 v9, v29
	;; [unrolled: 1-line block ×4, first 2 shown]
.LBB433_19:
	s_lshl_b32 s30, s52, 6
	s_sub_i32 s31, s54, s30
	s_cmp_gt_i32 s31, 0
	s_cbranch_scc0 .LBB433_84
; %bb.20:
	s_add_i32 s30, s30, s38
	s_ashr_i32 s3, s30, 31
	s_cmpk_lg_i32 s23, 0x80
	s_cselect_b64 s[26:27], -1, 0
	s_and_b64 vcc, exec, s[26:27]
	s_cbranch_vccz .LBB433_22
; %bb.21:
	s_mul_i32 s1, s30, s22
	s_ashr_i32 s4, s55, 31
	s_mul_hi_i32 s0, s30, s22
	s_add_u32 s28, s1, s55
	s_addc_u32 s29, s0, s4
	s_cbranch_execz .LBB433_23
	s_branch .LBB433_24
.LBB433_22:
                                        ; implicit-def: $sgpr28_sgpr29
.LBB433_23:
	s_mul_i32 s1, s55, s20
	s_mul_hi_i32 s0, s55, s20
	s_add_u32 s28, s1, s30
	s_addc_u32 s29, s0, s3
.LBB433_24:
	s_add_i32 s4, s52, s56
	s_add_u32 s0, s58, s30
	v_lshlrev_b32_e32 v22, 5, v71
	v_lshlrev_b32_e32 v38, 2, v68
	s_addc_u32 s1, s57, s3
	s_mov_b32 s3, 0x7060302
	v_or_b32_e32 v25, v22, v38
	v_xor_b32_e32 v23, v71, v38
	s_waitcnt vmcnt(3)
	v_perm_b32 v19, v5, v4, s3
	v_perm_b32 v18, v3, v2, s3
	s_waitcnt vmcnt(2)
	v_perm_b32 v21, v9, v8, s3
	v_perm_b32 v20, v7, v6, s3
	v_lshlrev_b32_e32 v25, 1, v25
	v_xor_b32_e32 v24, v72, v38
	ds_write2st64_b64 v25, v[18:19], v[20:21] offset0:80 offset1:88
	v_lshlrev_b32_e32 v23, 1, v23
	v_lshlrev_b32_e32 v25, 8, v68
	s_lshl_b64 s[24:25], s[0:1], 8
	v_or_b32_e32 v26, v23, v25
	v_lshlrev_b32_e32 v24, 1, v24
	s_add_u32 s0, s14, s24
	ds_write_b64 v26, v[18:19]
	v_or_b32_e32 v18, v24, v25
	s_addc_u32 s1, s15, s25
	ds_write_b64 v18, v[20:21]
	s_waitcnt vmcnt(1)
	v_perm_b32 v19, v13, v12, s3
	v_perm_b32 v18, v11, v10, s3
	s_waitcnt vmcnt(0)
	v_perm_b32 v21, v17, v16, s3
	v_perm_b32 v20, v15, v14, s3
	v_or_b32_e32 v25, 16, v68
	s_mul_hi_i32 s3, s4, s21
	s_mul_i32 s4, s4, s21
	v_lshlrev_b32_e32 v35, 2, v25
	s_add_u32 s4, s4, s51
	v_or_b32_e32 v22, v22, v35
	s_addc_u32 s5, s3, s53
	v_lshlrev_b32_e32 v22, 1, v22
	s_ashr_i32 s3, s2, 31
	s_lshl_b64 s[4:5], s[4:5], 15
	ds_write2st64_b64 v22, v[18:19], v[20:21] offset0:80 offset1:88
	v_lshlrev_b32_e32 v22, 8, v25
	s_add_u32 s4, s6, s4
	v_or_b32_e32 v23, v23, v22
	s_addc_u32 s5, s7, s5
	s_lshl_b64 s[2:3], s[2:3], 8
	ds_write_b64 v23, v[18:19]
	v_or_b32_e32 v18, v24, v22
	s_add_u32 s2, s4, s2
	ds_write_b64 v18, v[20:21]
	v_lshrrev_b32_e32 v18, 4, v0
	s_addc_u32 s3, s5, s3
	v_lshlrev_b32_e32 v19, 1, v68
	v_lshlrev_b32_e32 v26, 4, v68
	v_mov_b32_e32 v27, 0
	v_or_b32_e32 v20, 1, v19
	v_xor_b32_e32 v19, v18, v19
	v_lshl_add_u64 v[28:29], s[2:3], 0, v[26:27]
	v_lshlrev_b32_e32 v26, 8, v18
	v_xor_b32_e32 v22, v20, v18
	v_lshl_or_b32 v18, v19, 3, v26
	s_waitcnt lgkmcnt(0)
	s_barrier
	ds_read2st64_b64 v[18:21], v18 offset1:8
	v_lshl_or_b32 v22, v22, 3, v26
	ds_read2st64_b64 v[22:25], v22 offset1:8
	v_lshl_add_u64 v[30:31], v[28:29], 0, v[26:27]
	s_movk_i32 s2, 0x1000
	s_waitcnt lgkmcnt(1)
	v_mov_b32_e32 v26, v18
	v_add_co_u32_e32 v18, vcc, s2, v30
	s_cmp_lg_u32 s31, 64
	v_mov_b32_e32 v27, v19
	v_addc_co_u32_e32 v19, vcc, 0, v31, vcc
	s_cselect_b64 s[14:15], -1, 0
	v_lshl_or_b32 v42, v1, 3, v70
	s_waitcnt lgkmcnt(0)
	v_mov_b32_e32 v28, v22
	v_mov_b32_e32 v29, v23
	;; [unrolled: 1-line block ×4, first 2 shown]
	s_mov_b32 s4, 0
	v_or_b32_e32 v36, 32, v42
	v_and_b32_e32 v34, 56, v69
	s_and_b64 vcc, exec, s[14:15]
	global_store_dwordx4 v[30:31], v[26:29], off
	global_store_dwordx4 v[18:19], v[22:25], off
	s_cbranch_vccz .LBB433_30
; %bb.25:
	s_mov_b32 s6, s4
	s_mov_b32 s7, s4
	s_mov_b32 s5, s4
	v_mov_b64_e32 v[24:25], s[6:7]
	v_mov_b64_e32 v[22:23], s[4:5]
	;; [unrolled: 1-line block ×3, first 2 shown]
	v_cmp_gt_i32_e32 vcc, s31, v42
	v_mov_b64_e32 v[20:21], v[24:25]
	s_and_saveexec_b64 s[2:3], vcc
	s_cbranch_execz .LBB433_27
; %bb.26:
	v_lshlrev_b32_e32 v18, 8, v42
	v_mov_b32_e32 v19, 0
	v_lshl_add_u64 v[20:21], s[0:1], 0, v[18:19]
	v_lshlrev_b32_e32 v18, 1, v34
	v_lshl_add_u64 v[26:27], v[20:21], 0, v[18:19]
	global_load_dwordx4 v[22:25], v[26:27], off
	global_load_dwordx4 v[18:21], v[26:27], off offset:128
.LBB433_27:
	s_or_b64 exec, exec, s[2:3]
	s_mov_b32 s6, s4
	s_mov_b32 s7, s4
	;; [unrolled: 1-line block ×3, first 2 shown]
	v_mov_b64_e32 v[32:33], s[6:7]
	v_mov_b64_e32 v[30:31], s[4:5]
	;; [unrolled: 1-line block ×3, first 2 shown]
	v_cmp_gt_i32_e32 vcc, s31, v36
	v_lshlrev_b32_e32 v37, 7, v36
	v_mov_b64_e32 v[28:29], v[32:33]
	s_and_saveexec_b64 s[2:3], vcc
	s_cbranch_execz .LBB433_29
; %bb.28:
	v_lshlrev_b32_e32 v26, 1, v37
	v_mov_b32_e32 v27, 0
	v_lshl_add_u64 v[28:29], s[0:1], 0, v[26:27]
	v_lshlrev_b32_e32 v26, 1, v34
	v_lshl_add_u64 v[40:41], v[28:29], 0, v[26:27]
	global_load_dwordx4 v[30:33], v[40:41], off
	global_load_dwordx4 v[26:29], v[40:41], off offset:128
.LBB433_29:
	s_or_b64 exec, exec, s[2:3]
	v_lshrrev_b32_e32 v39, 3, v34
	v_lshlrev_b32_e32 v40, 3, v42
	v_or_b32_e32 v39, v40, v39
	v_lshlrev_b32_e32 v39, 4, v39
	v_and_b32_e32 v40, 0x78, v40
	v_xor_b32_e32 v39, v39, v40
	s_branch .LBB433_32
.LBB433_30:
                                        ; implicit-def: $vgpr39
                                        ; implicit-def: $vgpr37
                                        ; implicit-def: $vgpr22_vgpr23_vgpr24_vgpr25
                                        ; implicit-def: $vgpr18_vgpr19_vgpr20_vgpr21
                                        ; implicit-def: $vgpr30_vgpr31_vgpr32_vgpr33
                                        ; implicit-def: $vgpr26_vgpr27_vgpr28_vgpr29
	s_cbranch_execz .LBB433_32
; %bb.31:
	s_waitcnt vmcnt(0)
	v_lshlrev_b32_e32 v18, 1, v34
	v_lshl_or_b32 v37, v42, 8, v18
	s_and_b32 s1, s1, 0xffff
	s_mov_b32 s3, 0x20000
	s_movk_i32 s2, 0x4000
	v_lshl_or_b32 v39, v36, 8, v18
	s_movk_i32 s4, 0x80
	buffer_load_dwordx4 v[22:25], v37, s[0:3], 0 offen
	buffer_load_dwordx4 v[18:21], v37, s[0:3], s4 offen
	;; [unrolled: 1-line block ×4, first 2 shown]
	v_lshrrev_b32_e32 v37, 3, v34
	v_lshlrev_b32_e32 v39, 3, v42
	v_or_b32_e32 v37, v39, v37
	v_lshlrev_b32_e32 v37, 4, v37
	v_and_b32_e32 v39, 0x78, v39
	v_xor_b32_e32 v39, v37, v39
	v_lshlrev_b32_e32 v37, 7, v36
.LBB433_32:
	s_lshl_b64 s[0:1], s[28:29], 8
	s_add_u32 s4, s12, s0
	s_movk_i32 s0, 0x1000
	v_and_or_b32 v36, v37, s0, v39
	s_waitcnt vmcnt(1)
	ds_write_b64 v39, v[22:23] offset:24576
	v_xor_b32_e32 v22, 8, v39
	ds_write_b64 v22, v[24:25] offset:24576
	s_waitcnt vmcnt(0)
	ds_write_b64 v39, v[18:19] offset:32768
	ds_write_b64 v22, v[20:21] offset:32768
	;; [unrolled: 1-line block ×3, first 2 shown]
	v_xor_b32_e32 v18, 8, v36
	ds_write_b64 v18, v[32:33] offset:24576
	ds_write_b64 v36, v[26:27] offset:32768
	;; [unrolled: 1-line block ×3, first 2 shown]
	v_or_b32_e32 v18, v66, v68
	v_lshlrev_b32_e32 v18, 3, v18
	v_lshrrev_b32_e32 v19, 5, v51
	s_movk_i32 s3, 0xf8
	v_and_or_b32 v19, v18, s3, v19
	v_lshlrev_b32_e32 v23, 4, v19
	v_lshlrev_b32_e32 v39, 11, v1
	v_and_b32_e32 v24, 0x78, v18
	v_or_b32_e32 v26, 32, v23
	v_and_b32_e32 v22, 0x1000, v39
	v_lshrrev_b32_e32 v19, 1, v51
	v_xor_b32_e32 v26, v26, v24
	v_xor_b32_e32 v18, v23, v24
	v_and_b32_e32 v25, 8, v19
	v_or_b32_e32 v26, v26, v22
	v_or_b32_e32 v18, v18, v22
	v_xor_b32_e32 v44, v26, v25
	v_or_b32_e32 v26, 64, v23
	v_xor_b32_e32 v43, v18, v25
	v_xor_b32_e32 v26, v26, v24
	s_waitcnt lgkmcnt(0)
	s_barrier
	v_or_b32_e32 v28, v26, v22
	ds_read_b64 v[26:27], v43 offset:24576
	v_lshl_or_b32 v36, v67, 7, v38
	v_lshlrev_b32_e32 v40, 1, v36
	v_add_u32_e32 v18, 0xa000, v40
	ds_read2_b64 v[18:21], v18 offset1:16
	v_or_b32_e32 v23, 0x60, v23
	v_xor_b32_e32 v23, v23, v24
	s_waitcnt lgkmcnt(0)
	v_mfma_f32_16x16x16_bf16 a[0:3], v[26:27], v[18:19], 0
	v_or_b32_e32 v18, 64, v36
	v_or_b32_e32 v22, v23, v22
	v_lshlrev_b32_e32 v41, 1, v18
	v_xor_b32_e32 v45, v28, v25
	v_xor_b32_e32 v46, v22, v25
	ds_read_b64 v[28:29], v44 offset:24576
	ds_read_b64 v[30:31], v45 offset:24576
	ds_read_b64 v[32:33], v46 offset:24576
	v_mfma_f32_16x16x16_bf16 a[4:7], v[26:27], v[20:21], 0
	ds_read2st64_b64 v[18:21], v41 offset0:82 offset1:84
	ds_read2st64_b64 v[22:25], v40 offset0:82 offset1:84
	s_addc_u32 s5, s13, s1
	s_add_i32 s1, s47, s33
	s_add_i32 s0, s39, -1
	s_add_i32 s41, s1, s48
	s_add_i32 s1, s49, s46
	;; [unrolled: 1-line block ×3, first 2 shown]
	s_ashr_i32 s1, s0, 31
	s_mul_i32 s2, s0, s37
	s_mul_hi_u32 s3, s0, s36
	s_add_i32 s2, s3, s2
	s_mul_i32 s1, s1, s36
	s_waitcnt lgkmcnt(1)
	v_mfma_f32_16x16x16_bf16 a[4:7], v[28:29], v[18:19], a[4:7]
	s_add_i32 s1, s2, s1
	s_lshl_b64 s[2:3], s[40:41], 2
	s_add_u32 s6, s18, s2
	s_waitcnt lgkmcnt(0)
	v_mfma_f32_16x16x16_bf16 a[0:3], v[28:29], v[22:23], a[0:3]
	s_addc_u32 s7, s19, s3
	s_lshl_b64 s[2:3], s[42:43], 2
	s_mul_i32 s0, s0, s36
	s_add_u32 s12, s6, s2
	ds_read_b64 v[18:19], v40 offset:44032
	v_mfma_f32_16x16x16_bf16 a[4:7], v[30:31], v[20:21], a[4:7]
	ds_read_b64 v[20:21], v41 offset:44032
	s_addc_u32 s13, s7, s3
	s_lshl_b64 s[0:1], s[0:1], 2
	v_mfma_f32_16x16x16_bf16 a[0:3], v[30:31], v[24:25], a[0:3]
	s_add_u32 s0, s12, s0
	s_addc_u32 s1, s13, s1
	s_load_dword s18, s[0:1], 0x0
	s_waitcnt lgkmcnt(0)
	v_mfma_f32_16x16x16_bf16 a[0:3], v[32:33], v[18:19], a[0:3]
	s_and_b64 vcc, exec, s[26:27]
	v_mfma_f32_16x16x16_bf16 a[4:7], v[32:33], v[20:21], a[4:7]
	s_cbranch_vccz .LBB433_43
; %bb.33:
	v_lshlrev_b32_e32 v36, 1, v42
	s_and_b64 vcc, exec, s[14:15]
	s_cbranch_vccz .LBB433_44
; %bb.34:
	v_cmp_gt_i32_e32 vcc, s31, v36
	v_mov_b32_e32 v22, 0
	v_mov_b32_e32 v18, 0
	;; [unrolled: 1-line block ×5, first 2 shown]
	s_and_saveexec_b64 s[0:1], vcc
	s_cbranch_execz .LBB433_36
; %bb.35:
	v_mad_i64_i32 v[18:19], s[2:3], s23, v36, 0
	v_lshl_add_u64 v[18:19], v[18:19], 1, s[4:5]
	v_lshlrev_b32_e32 v20, 1, v34
	v_mov_b32_e32 v21, 0
	v_lshl_add_u64 v[18:19], v[18:19], 0, v[20:21]
	global_load_dwordx4 v[18:21], v[18:19], off
.LBB433_36:
	s_or_b64 exec, exec, s[0:1]
	v_or_b32_e32 v37, 1, v36
	v_cmp_gt_i32_e64 s[0:1], s31, v37
	v_mov_b32_e32 v23, 0
	v_mov_b32_e32 v24, 0
	;; [unrolled: 1-line block ×3, first 2 shown]
	s_and_saveexec_b64 s[2:3], s[0:1]
	s_cbranch_execz .LBB433_38
; %bb.37:
	v_mad_i64_i32 v[22:23], s[6:7], s23, v37, 0
	v_lshl_add_u64 v[22:23], v[22:23], 1, s[4:5]
	v_lshlrev_b32_e32 v24, 1, v34
	v_mov_b32_e32 v25, 0
	v_lshl_add_u64 v[22:23], v[22:23], 0, v[24:25]
	global_load_dwordx4 v[22:25], v[22:23], off
.LBB433_38:
	s_or_b64 exec, exec, s[2:3]
	v_mov_b32_e32 v33, 0
	v_mov_b32_e32 v26, 0
	;; [unrolled: 1-line block ×5, first 2 shown]
	s_and_saveexec_b64 s[2:3], vcc
	s_cbranch_execz .LBB433_40
; %bb.39:
	v_mad_i64_i32 v[26:27], s[6:7], s23, v36, 0
	v_lshl_add_u64 v[26:27], v[26:27], 1, s[4:5]
	v_lshlrev_b32_e32 v28, 1, v34
	v_mov_b32_e32 v29, 0
	v_lshl_add_u64 v[26:27], v[26:27], 0, v[28:29]
	global_load_dwordx4 v[26:29], v[26:27], off offset:128
.LBB433_40:
	s_or_b64 exec, exec, s[2:3]
	v_mov_b32_e32 v32, 0
	v_mov_b32_e32 v31, 0
	;; [unrolled: 1-line block ×3, first 2 shown]
	s_and_saveexec_b64 s[2:3], s[0:1]
	s_cbranch_execz .LBB433_42
; %bb.41:
	v_mad_i64_i32 v[30:31], s[0:1], s23, v37, 0
	v_lshl_add_u64 v[30:31], v[30:31], 1, s[4:5]
	v_lshlrev_b32_e32 v32, 1, v34
	v_mov_b32_e32 v33, 0
	v_lshl_add_u64 v[30:31], v[30:31], 0, v[32:33]
	global_load_dwordx4 v[30:33], v[30:31], off offset:128
.LBB433_42:
	s_or_b64 exec, exec, s[2:3]
	s_branch .LBB433_46
.LBB433_43:
                                        ; implicit-def: $vgpr21
                                        ; implicit-def: $vgpr25
                                        ; implicit-def: $vgpr29
                                        ; implicit-def: $vgpr33
	v_lshrrev_b32_e32 v47, 2, v51
	s_branch .LBB433_47
.LBB433_44:
                                        ; implicit-def: $vgpr21
                                        ; implicit-def: $vgpr25
                                        ; implicit-def: $vgpr29
                                        ; implicit-def: $vgpr33
	s_cbranch_execz .LBB433_46
; %bb.45:
	s_waitcnt vmcnt(0)
	v_mad_u64_u32 v[18:19], s[0:1], v36, s23, v[34:35]
	v_lshlrev_b32_e32 v36, 1, v18
	s_lshl_b32 s2, s23, 7
	s_and_b32 s1, s5, 0xffff
	s_mov_b32 s3, 0x20000
	s_mov_b32 s0, s4
	v_add_lshl_u32 v37, v18, s23, 1
	s_movk_i32 s6, 0x80
	buffer_load_dwordx4 v[18:21], v36, s[0:3], 0 offen
	buffer_load_dwordx4 v[26:29], v36, s[0:3], s6 offen
	;; [unrolled: 1-line block ×4, first 2 shown]
.LBB433_46:
	v_lshrrev_b32_e32 v47, 2, v51
	s_cbranch_execnz .LBB433_59
.LBB433_47:
	s_and_b64 vcc, exec, s[14:15]
	s_cbranch_vccz .LBB433_57
; %bb.48:
	s_waitcnt vmcnt(0)
	v_lshlrev_b32_e32 v23, 1, v42
	v_cmp_gt_i32_e32 vcc, s31, v23
	v_mov_b32_e32 v22, 0
	v_lshlrev_b32_e32 v30, 9, v42
	v_mov_b32_e32 v18, 0
	v_mov_b32_e32 v19, 0
	;; [unrolled: 1-line block ×4, first 2 shown]
	s_and_saveexec_b64 s[0:1], vcc
	s_cbranch_execz .LBB433_50
; %bb.49:
	v_mov_b32_e32 v31, 0
	v_lshl_add_u64 v[18:19], s[4:5], 0, v[30:31]
	v_lshlrev_b32_e32 v20, 1, v34
	v_mov_b32_e32 v21, v31
	v_lshl_add_u64 v[18:19], v[18:19], 0, v[20:21]
	global_load_dwordx4 v[18:21], v[18:19], off
.LBB433_50:
	s_or_b64 exec, exec, s[0:1]
	v_or_b32_e32 v23, 1, v23
	v_cmp_gt_i32_e64 s[0:1], s31, v23
	v_lshlrev_b32_e32 v36, 8, v23
	v_mov_b32_e32 v23, 0
	v_mov_b32_e32 v24, 0
	;; [unrolled: 1-line block ×3, first 2 shown]
	s_and_saveexec_b64 s[2:3], s[0:1]
	s_cbranch_execz .LBB433_52
; %bb.51:
	v_mov_b32_e32 v37, 0
	v_lshl_add_u64 v[22:23], s[4:5], 0, v[36:37]
	v_lshlrev_b32_e32 v24, 1, v34
	v_mov_b32_e32 v25, v37
	v_lshl_add_u64 v[22:23], v[22:23], 0, v[24:25]
	global_load_dwordx4 v[22:25], v[22:23], off
.LBB433_52:
	s_or_b64 exec, exec, s[2:3]
	v_mov_b32_e32 v33, 0
	v_mov_b32_e32 v26, 0
	;; [unrolled: 1-line block ×5, first 2 shown]
	s_and_saveexec_b64 s[2:3], vcc
	s_cbranch_execz .LBB433_54
; %bb.53:
	v_mov_b32_e32 v31, 0
	v_lshl_add_u64 v[26:27], s[4:5], 0, v[30:31]
	v_lshlrev_b32_e32 v30, 1, v34
	v_lshl_add_u64 v[26:27], v[26:27], 0, v[30:31]
	global_load_dwordx4 v[26:29], v[26:27], off offset:128
.LBB433_54:
	s_or_b64 exec, exec, s[2:3]
	v_mov_b32_e32 v32, 0
	v_mov_b32_e32 v31, 0
	;; [unrolled: 1-line block ×3, first 2 shown]
	s_and_saveexec_b64 s[2:3], s[0:1]
	s_cbranch_execz .LBB433_56
; %bb.55:
	v_mov_b32_e32 v37, 0
	v_lshl_add_u64 v[30:31], s[4:5], 0, v[36:37]
	v_lshlrev_b32_e32 v36, 1, v34
	v_lshl_add_u64 v[30:31], v[30:31], 0, v[36:37]
	global_load_dwordx4 v[30:33], v[30:31], off offset:128
.LBB433_56:
	s_or_b64 exec, exec, s[2:3]
	s_branch .LBB433_59
.LBB433_57:
                                        ; implicit-def: $vgpr21
                                        ; implicit-def: $vgpr25
                                        ; implicit-def: $vgpr29
                                        ; implicit-def: $vgpr33
	s_cbranch_execz .LBB433_59
; %bb.58:
	s_waitcnt vmcnt(0)
	v_lshlrev_b32_e32 v18, 1, v34
	v_lshl_or_b32 v34, v42, 9, v18
	s_and_b32 s5, s5, 0xffff
	s_mov_b32 s7, 0x20000
	s_movk_i32 s6, 0x4000
	s_movk_i32 s0, 0x80
	buffer_load_dwordx4 v[18:21], v34, s[4:7], 0 offen
	buffer_load_dwordx4 v[22:25], v34, s[4:7], 0 offen offset:256
	buffer_load_dwordx4 v[26:29], v34, s[4:7], s0 offen
	buffer_load_dwordx4 v[30:33], v34, s[4:7], s0 offen offset:256
.LBB433_59:
	ds_read_b64 v[36:37], v43 offset:32768
	v_add_u32_e32 v34, 0xb000, v40
	ds_read2_b64 v[58:61], v34 offset1:16
	ds_read_b64 v[48:49], v44 offset:32768
	ds_read_b64 v[44:45], v45 offset:32768
	;; [unrolled: 1-line block ×3, first 2 shown]
	v_and_b32_e32 v34, 6, v0
	v_xor_b32_e32 v42, v42, v34
	v_lshlrev_b32_e32 v42, 2, v42
	v_and_b32_e32 v43, 1, v0
	v_xor_b32_e32 v46, 0x440, v42
	v_cmp_eq_u32_e32 vcc, 0, v43
	s_waitcnt lgkmcnt(3)
	v_mfma_f32_16x16x16_bf16 a[0:3], v[36:37], v[58:59], a[0:3]
	s_mov_b32 s0, 0x1000504
	v_cndmask_b32_e32 v42, v46, v42, vcc
	v_lshl_or_b32 v34, v34, 10, v42
	v_mfma_f32_16x16x16_bf16 a[4:7], v[36:37], v[60:61], a[4:7]
	ds_read2st64_b64 v[58:61], v40 offset0:90 offset1:92
	ds_read2st64_b64 v[62:65], v41 offset0:90 offset1:92
	s_waitcnt vmcnt(0)
	v_perm_b32 v42, v18, v22, s0
	s_mov_b32 s1, 0x3020706
	s_waitcnt lgkmcnt(1)
	v_mfma_f32_16x16x16_bf16 a[0:3], v[48:49], v[58:59], a[0:3]
	ds_read_b64 v[36:37], v40 offset:48128
	ds_read_b64 v[58:59], v41 offset:48128
	v_perm_b32 v18, v18, v22, s1
	v_perm_b32 v22, v26, v30, s1
	s_waitcnt lgkmcnt(2)
	v_mfma_f32_16x16x16_bf16 a[4:7], v[48:49], v[62:63], a[4:7]
	v_and_or_b32 v43, v47, 12, v66
	v_mfma_f32_16x16x16_bf16 a[0:3], v[44:45], v[60:61], a[0:3]
	v_mfma_f32_16x16x16_bf16 a[8:11], v[44:45], v[64:65], a[4:7]
	s_waitcnt lgkmcnt(1)
	v_mfma_f32_16x16x16_bf16 a[4:7], v[68:69], v[36:37], a[0:3]
	v_perm_b32 v36, v26, v30, s0
	ds_write2st64_b32 v34, v42, v36 offset0:32 offset1:64
	v_xor_b32_e32 v36, 8, v34
	v_add_u32_e32 v26, 0x80, v36
	ds_write2st64_b32 v26, v18, v22 offset0:32 offset1:64
	v_xor_b32_e32 v18, 16, v34
	v_perm_b32 v22, v19, v23, s0
	v_perm_b32 v26, v27, v31, s0
	ds_write2st64_b32 v18, v22, v26 offset0:33 offset1:65
	v_xor_b32_e32 v18, 24, v34
	v_perm_b32 v19, v19, v23, s1
	v_perm_b32 v22, v27, v31, s1
	v_add_u32_e32 v18, 0x80, v18
	ds_write2st64_b32 v18, v19, v22 offset0:33 offset1:65
	v_xor_b32_e32 v18, 32, v34
	v_perm_b32 v19, v20, v24, s0
	v_perm_b32 v22, v28, v32, s0
	ds_write2st64_b32 v18, v19, v22 offset0:34 offset1:66
	v_xor_b32_e32 v18, 40, v34
	s_waitcnt lgkmcnt(5)
	v_mfma_f32_16x16x16_bf16 a[0:3], v[68:69], v[58:59], a[8:11]
	v_perm_b32 v19, v20, v24, s1
	v_perm_b32 v20, v28, v32, s1
	v_add_u32_e32 v18, 0x80, v18
	ds_write2st64_b32 v18, v19, v20 offset0:34 offset1:66
	v_xor_b32_e32 v18, 48, v34
	v_perm_b32 v19, v21, v25, s0
	v_perm_b32 v20, v29, v33, s0
	ds_write2st64_b32 v18, v19, v20 offset0:35 offset1:67
	v_xor_b32_e32 v18, 56, v34
	v_perm_b32 v19, v21, v25, s1
	v_perm_b32 v20, v29, v33, s1
	v_add_u32_e32 v18, 0x80, v18
	v_cmp_gt_i32_e64 s[0:1], s31, v43
	v_mov_b32_e32 v36, 0
	v_mov_b32_e32 v37, 0
	ds_write2st64_b32 v18, v19, v20 offset0:35 offset1:67
	s_and_saveexec_b64 s[2:3], s[0:1]
	s_cbranch_execz .LBB433_61
; %bb.60:
	v_add_u32_e32 v18, s30, v43
	v_ashrrev_i32_e32 v19, 31, v18
	v_mul_lo_u32 v20, v19, s36
	v_mul_lo_u32 v21, v18, s37
	v_mad_u64_u32 v[18:19], s[4:5], v18, s36, 0
	v_add3_u32 v19, v19, v21, v20
	v_lshl_add_u64 v[18:19], v[18:19], 2, s[12:13]
	global_load_dword v18, v[18:19], off
	s_waitcnt vmcnt(0)
	v_sub_f32_e32 v18, s18, v18
	v_exp_f32_e32 v37, v18
.LBB433_61:
	s_or_b64 exec, exec, s[2:3]
	v_or_b32_e32 v30, 1, v43
	v_cmp_gt_i32_e64 s[4:5], s31, v30
	s_and_saveexec_b64 s[2:3], s[4:5]
	s_cbranch_execz .LBB433_63
; %bb.62:
	v_add_u32_e32 v18, s30, v30
	v_ashrrev_i32_e32 v19, 31, v18
	v_mul_lo_u32 v20, v19, s36
	v_mul_lo_u32 v21, v18, s37
	v_mad_u64_u32 v[18:19], s[6:7], v18, s36, 0
	v_add3_u32 v19, v19, v21, v20
	v_lshl_add_u64 v[18:19], v[18:19], 2, s[12:13]
	global_load_dword v18, v[18:19], off
	s_waitcnt vmcnt(0)
	v_sub_f32_e32 v18, s18, v18
	v_exp_f32_e32 v36, v18
.LBB433_63:
	s_or_b64 exec, exec, s[2:3]
	v_or_b32_e32 v28, 2, v43
	v_cmp_gt_i32_e64 s[2:3], s31, v28
	v_mov_b32_e32 v34, 0
	v_mov_b32_e32 v42, 0
	s_and_saveexec_b64 s[6:7], s[2:3]
	s_cbranch_execz .LBB433_65
; %bb.64:
	v_add_u32_e32 v18, s30, v28
	v_ashrrev_i32_e32 v19, 31, v18
	v_mul_lo_u32 v20, v19, s36
	v_mul_lo_u32 v21, v18, s37
	v_mad_u64_u32 v[18:19], s[14:15], v18, s36, 0
	v_add3_u32 v19, v19, v21, v20
	v_lshl_add_u64 v[18:19], v[18:19], 2, s[12:13]
	global_load_dword v18, v[18:19], off
	s_waitcnt vmcnt(0)
	v_sub_f32_e32 v18, s18, v18
	v_exp_f32_e32 v42, v18
.LBB433_65:
	s_or_b64 exec, exec, s[6:7]
	v_or_b32_e32 v29, 3, v43
	v_cmp_gt_i32_e32 vcc, s31, v29
	s_and_saveexec_b64 s[6:7], vcc
	s_cbranch_execz .LBB433_67
; %bb.66:
	v_add_u32_e32 v18, s30, v29
	v_ashrrev_i32_e32 v19, 31, v18
	v_mul_lo_u32 v20, v19, s36
	v_mul_lo_u32 v21, v18, s37
	v_mad_u64_u32 v[18:19], s[14:15], v18, s36, 0
	v_add3_u32 v19, v19, v21, v20
	v_lshl_add_u64 v[18:19], v[18:19], 2, s[12:13]
	global_load_dword v18, v[18:19], off
	s_waitcnt vmcnt(0)
	v_sub_f32_e32 v18, s18, v18
	v_exp_f32_e32 v34, v18
.LBB433_67:
	s_or_b64 exec, exec, s[6:7]
	s_add_u32 s6, s16, s24
	s_addc_u32 s7, s17, s25
	s_add_u32 s8, s8, s24
	v_ashrrev_i32_e32 v57, 31, v56
	v_accvgpr_read_b32 v21, a7
	s_addc_u32 s9, s9, s25
	v_lshlrev_b64 v[22:23], 1, v[56:57]
	v_accvgpr_read_b32 v20, a6
	v_accvgpr_read_b32 v19, a5
	;; [unrolled: 1-line block ×3, first 2 shown]
	v_lshl_add_u64 v[24:25], s[6:7], 0, v[22:23]
	v_lshl_add_u64 v[22:23], s[8:9], 0, v[22:23]
	v_mov_b32_e32 v31, 0
	v_lshlrev_b32_e32 v26, 8, v43
	v_mov_b32_e32 v27, 0
	s_and_saveexec_b64 s[6:7], s[0:1]
	s_cbranch_execz .LBB433_69
; %bb.68:
	v_mov_b32_e32 v27, 0
	v_lshl_add_u64 v[32:33], v[24:25], 0, v[26:27]
	global_load_ushort v44, v[32:33], off
	v_lshl_add_u64 v[32:33], v[22:23], 0, v[26:27]
	s_waitcnt vmcnt(0)
	v_lshlrev_b32_e32 v27, 16, v44
	v_sub_f32_e32 v18, v27, v18
	global_store_short_d16_hi v[32:33], v18, off
	v_mul_f32_e32 v18, v37, v18
	v_lshrrev_b32_e32 v27, 16, v18
.LBB433_69:
	s_or_b64 exec, exec, s[6:7]
	v_lshlrev_b32_e32 v30, 8, v30
	s_and_saveexec_b64 s[6:7], s[4:5]
	s_cbranch_execz .LBB433_71
; %bb.70:
	v_mov_b32_e32 v31, 0
	v_lshl_add_u64 v[32:33], v[24:25], 0, v[30:31]
	global_load_ushort v18, v[32:33], off
	v_lshl_add_u64 v[32:33], v[22:23], 0, v[30:31]
	s_waitcnt vmcnt(0)
	v_lshlrev_b32_e32 v18, 16, v18
	v_sub_f32_e32 v18, v18, v19
	global_store_short_d16_hi v[32:33], v18, off
	v_mul_f32_e32 v18, v36, v18
	v_lshrrev_b32_e32 v31, 16, v18
.LBB433_71:
	s_or_b64 exec, exec, s[6:7]
	v_mov_b32_e32 v44, 0
	v_lshlrev_b32_e32 v32, 8, v28
	v_mov_b32_e32 v33, 0
	s_and_saveexec_b64 s[6:7], s[2:3]
	s_cbranch_execz .LBB433_73
; %bb.72:
	v_mov_b32_e32 v33, 0
	v_lshl_add_u64 v[18:19], v[24:25], 0, v[32:33]
	global_load_ushort v28, v[18:19], off
	v_lshl_add_u64 v[18:19], v[22:23], 0, v[32:33]
	s_waitcnt vmcnt(0)
	v_lshlrev_b32_e32 v28, 16, v28
	v_sub_f32_e32 v20, v28, v20
	global_store_short_d16_hi v[18:19], v20, off
	v_mul_f32_e32 v18, v42, v20
	v_lshrrev_b32_e32 v33, 16, v18
.LBB433_73:
	s_or_b64 exec, exec, s[6:7]
	v_lshlrev_b32_e32 v28, 8, v29
	s_and_saveexec_b64 s[6:7], vcc
	s_cbranch_execz .LBB433_75
; %bb.74:
	v_mov_b32_e32 v29, 0
	v_lshl_add_u64 v[18:19], v[24:25], 0, v[28:29]
	global_load_ushort v20, v[18:19], off
	v_lshl_add_u64 v[18:19], v[22:23], 0, v[28:29]
	s_waitcnt vmcnt(0)
	v_lshlrev_b32_e32 v20, 16, v20
	v_sub_f32_e32 v20, v20, v21
	global_store_short_d16_hi v[18:19], v20, off
	v_mul_f32_e32 v18, v34, v20
	v_lshrrev_b32_e32 v44, 16, v18
.LBB433_75:
	s_or_b64 exec, exec, s[6:7]
	v_lshlrev_b32_e32 v43, 5, v43
	s_mov_b32 s6, 0x5040100
	v_perm_b32 v45, v44, v33, s6
	v_perm_b32 v44, v31, v27, s6
	v_or_b32_e32 v27, v43, v38
	v_accvgpr_read_b32 v21, a3
	v_lshlrev_b32_e32 v27, 1, v27
	v_accvgpr_read_b32 v20, a2
	v_accvgpr_read_b32 v19, a1
	;; [unrolled: 1-line block ×3, first 2 shown]
	ds_write_b64 v27, v[44:45] offset:45056
	v_mov_b32_e32 v31, 0
	v_mov_b32_e32 v27, 0
	s_and_saveexec_b64 s[6:7], s[0:1]
	s_cbranch_execz .LBB433_77
; %bb.76:
	v_mov_b32_e32 v27, 0
	v_lshl_add_u64 v[44:45], v[24:25], 0, v[26:27]
	global_load_ushort v29, v[44:45], off offset:32
	v_lshl_add_u64 v[26:27], v[22:23], 0, v[26:27]
	s_waitcnt vmcnt(0)
	v_lshlrev_b32_e32 v29, 16, v29
	v_sub_f32_e32 v18, v29, v18
	global_store_short_d16_hi v[26:27], v18, off offset:32
	v_mul_f32_e32 v18, v37, v18
	v_lshrrev_b32_e32 v27, 16, v18
.LBB433_77:
	s_or_b64 exec, exec, s[6:7]
	s_and_saveexec_b64 s[0:1], s[4:5]
	s_cbranch_execz .LBB433_79
; %bb.78:
	v_mov_b32_e32 v31, 0
	v_lshl_add_u64 v[44:45], v[24:25], 0, v[30:31]
	global_load_ushort v18, v[44:45], off offset:32
	v_lshl_add_u64 v[30:31], v[22:23], 0, v[30:31]
	s_waitcnt vmcnt(0)
	v_lshlrev_b32_e32 v18, 16, v18
	v_sub_f32_e32 v18, v18, v19
	global_store_short_d16_hi v[30:31], v18, off offset:32
	v_mul_f32_e32 v18, v36, v18
	v_lshrrev_b32_e32 v31, 16, v18
.LBB433_79:
	s_or_b64 exec, exec, s[0:1]
	v_mov_b32_e32 v26, 0
	v_mov_b32_e32 v30, 0
	s_and_saveexec_b64 s[0:1], s[2:3]
	s_cbranch_execz .LBB433_81
; %bb.80:
	v_mov_b32_e32 v33, 0
	v_lshl_add_u64 v[18:19], v[24:25], 0, v[32:33]
	global_load_ushort v29, v[18:19], off offset:32
	v_lshl_add_u64 v[18:19], v[22:23], 0, v[32:33]
	s_waitcnt vmcnt(0)
	v_lshlrev_b32_e32 v29, 16, v29
	v_sub_f32_e32 v20, v29, v20
	global_store_short_d16_hi v[18:19], v20, off offset:32
	v_mul_f32_e32 v18, v42, v20
	v_lshrrev_b32_e32 v30, 16, v18
.LBB433_81:
	s_or_b64 exec, exec, s[0:1]
	v_or_b32_e32 v19, 0xb000, v40
	v_or_b32_e32 v18, 0xb000, v41
	s_and_saveexec_b64 s[0:1], vcc
	s_cbranch_execz .LBB433_83
; %bb.82:
	v_mov_b32_e32 v29, 0
	v_lshl_add_u64 v[24:25], v[24:25], 0, v[28:29]
	global_load_ushort v20, v[24:25], off offset:32
	v_lshl_add_u64 v[22:23], v[22:23], 0, v[28:29]
	s_waitcnt vmcnt(0)
	v_lshlrev_b32_e32 v20, 16, v20
	v_sub_f32_e32 v20, v20, v21
	global_store_short_d16_hi v[22:23], v20, off offset:32
	v_mul_f32_e32 v20, v34, v20
	v_lshrrev_b32_e32 v26, 16, v20
.LBB433_83:
	s_or_b64 exec, exec, s[0:1]
	s_mov_b32 s0, 0x5040100
	v_or_b32_e32 v22, v43, v35
	v_perm_b32 v21, v26, v30, s0
	v_perm_b32 v20, v31, v27, s0
	v_lshlrev_b32_e32 v22, 1, v22
	s_movk_i32 s0, 0x100
	ds_write_b64 v22, v[20:21] offset:45056
	v_and_b32_e32 v20, 7, v0
	v_and_b32_e32 v21, 8, v0
	v_cmp_gt_u32_e32 vcc, s0, v0
	v_lshrrev_b32_e32 v0, 1, v0
	v_lshlrev_b32_e32 v37, 3, v1
	v_and_b32_e32 v38, 24, v0
	v_lshlrev_b32_e32 v34, 3, v20
	v_lshlrev_b32_e32 v35, 7, v20
	v_mov_b32_e32 v20, 0x4000
	v_mov_b32_e32 v22, 0x2000
	v_xor_b32_e32 v0, v37, v38
	v_cndmask_b32_e32 v36, v20, v22, vcc
	v_or_b32_e32 v1, 0x440, v0
	v_cmp_eq_u32_e32 vcc, 0, v21
	s_waitcnt lgkmcnt(0)
	s_barrier
	v_cndmask_b32_e32 v0, v1, v0, vcc
	v_or_b32_e32 v0, v0, v39
	v_xad_u32 v40, v0, v34, v35
	v_add_u32_e32 v0, v36, v40
	ds_read_b64 v[0:1], v0
	ds_read2_b64 v[20:23], v19 offset1:16
	v_or_b32_e32 v24, 32, v38
	v_xor_b32_e32 v24, v37, v24
	v_or_b32_e32 v25, 0x440, v24
	v_cndmask_b32_e32 v24, v25, v24, vcc
	s_waitcnt lgkmcnt(0)
	v_mfma_f32_16x16x16_bf16 a[0:3], v[0:1], v[20:21], 0
	v_or_b32_e32 v24, v24, v39
	v_xad_u32 v41, v24, v34, v35
	v_add_u32_e32 v24, v36, v41
	v_mfma_f32_16x16x16_bf16 a[4:7], v[0:1], v[22:23], 0
	v_or_b32_e32 v0, 64, v38
	v_xor_b32_e32 v0, v37, v0
	v_xor_b32_e32 v1, 0x440, v0
	ds_read_b64 v[32:33], v24
	v_cndmask_b32_e32 v0, v1, v0, vcc
	v_or_b32_e32 v0, v0, v39
	v_xad_u32 v42, v0, v34, v35
	v_add_u32_e32 v0, v36, v42
	ds_read_b64 v[0:1], v0
	ds_read2st64_b64 v[24:27], v19 offset0:2 offset1:4
	ds_read2st64_b64 v[28:31], v18 offset0:2 offset1:4
	s_waitcnt lgkmcnt(1)
	v_mfma_f32_16x16x16_bf16 a[0:3], v[32:33], v[24:25], a[0:3]
	s_waitcnt lgkmcnt(0)
	v_mfma_f32_16x16x16_bf16 a[4:7], v[32:33], v[28:29], a[4:7]
	v_or_b32_e32 v32, 0x60, v38
	v_xor_b32_e32 v32, v37, v32
	v_xor_b32_e32 v33, 0x440, v32
	v_cndmask_b32_e32 v32, v33, v32, vcc
	v_or_b32_e32 v32, v32, v39
	v_xad_u32 v37, v32, v34, v35
	v_add_u32_e32 v32, v36, v37
	ds_read_b64 v[32:33], v32
	v_mfma_f32_16x16x16_bf16 a[0:3], v[0:1], v[26:27], a[0:3]
	v_exp_f32_e32 v36, s18
	v_mfma_f32_16x16x16_bf16 a[4:7], v[0:1], v[30:31], a[4:7]
	ds_read_b64 v[0:1], v19 offset:3072
	ds_read_b64 v[34:35], v18 offset:3072
	;; [unrolled: 1-line block ×3, first 2 shown]
	s_waitcnt lgkmcnt(0)
	v_mfma_f32_16x16x16_bf16 a[8:11], v[18:19], v[20:21], 0
	ds_read_b64 v[20:21], v41 offset:16384
	v_mfma_f32_16x16x16_bf16 a[0:3], v[32:33], v[0:1], a[0:3]
	v_mfma_f32_16x16x16_bf16 a[12:15], v[18:19], v[22:23], 0
	ds_read_b64 v[22:23], v42 offset:16384
	s_nop 4
	v_accvgpr_read_b32 v18, a0
	v_fma_f32 v18, v2, v36, v18
	v_accvgpr_read_b32 v2, a1
	v_fma_f32 v19, v3, v36, v2
	v_accvgpr_read_b32 v2, a2
	s_waitcnt lgkmcnt(1)
	v_mfma_f32_16x16x16_bf16 a[8:11], v[20:21], v[24:25], a[8:11]
	v_mfma_f32_16x16x16_bf16 a[12:15], v[20:21], v[28:29], a[12:15]
	v_fma_f32 v20, v4, v36, v2
	ds_read_b64 v[2:3], v37 offset:16384
	v_accvgpr_read_b32 v21, a3
	s_waitcnt lgkmcnt(1)
	v_mfma_f32_16x16x16_bf16 a[0:3], v[22:23], v[26:27], a[8:11]
	v_fmac_f32_e32 v21, v5, v36
	v_mfma_f32_16x16x16_bf16 a[4:7], v[32:33], v[34:35], a[4:7]
	v_mfma_f32_16x16x16_bf16 a[8:11], v[22:23], v[30:31], a[12:15]
	s_waitcnt lgkmcnt(0)
	v_mfma_f32_16x16x16_bf16 a[0:3], v[2:3], v[0:1], a[0:3]
	s_nop 3
	v_accvgpr_read_b32 v4, a4
	v_fma_f32 v26, v10, v36, v4
	v_accvgpr_read_b32 v4, a5
	v_fma_f32 v27, v11, v36, v4
	v_accvgpr_read_b32 v4, a6
	v_accvgpr_read_b32 v29, a7
	v_mfma_f32_16x16x16_bf16 a[4:7], v[2:3], v[34:35], a[8:11]
	v_accvgpr_read_b32 v0, a0
	v_fma_f32 v22, v6, v36, v0
	v_accvgpr_read_b32 v0, a1
	v_fma_f32 v23, v7, v36, v0
	;; [unrolled: 2-line block ×3, first 2 shown]
	v_accvgpr_read_b32 v25, a3
	v_accvgpr_read_b32 v0, a4
	v_fma_f32 v30, v14, v36, v0
	v_accvgpr_read_b32 v0, a5
	v_fma_f32 v31, v15, v36, v0
	v_accvgpr_read_b32 v0, a6
	v_accvgpr_read_b32 v33, a7
	v_fma_f32 v28, v12, v36, v4
	v_fmac_f32_e32 v29, v13, v36
	v_fmac_f32_e32 v25, v9, v36
	v_fma_f32 v32, v16, v36, v0
	v_fmac_f32_e32 v33, v17, v36
	v_mov_b64_e32 v[2:3], v[18:19]
	v_mov_b64_e32 v[4:5], v[20:21]
	;; [unrolled: 1-line block ×8, first 2 shown]
.LBB433_84:
	s_add_u32 s0, s10, s34
	s_addc_u32 s1, s11, s35
	v_lshl_add_u64 v[0:1], v[52:53], 2, s[0:1]
	v_mov_b32_e32 v51, 0
	v_lshl_add_u64 v[0:1], v[0:1], 0, v[50:51]
	s_waitcnt vmcnt(3)
	global_store_dwordx4 v[0:1], v[2:5], off
	s_waitcnt vmcnt(3)
	global_store_dwordx4 v[0:1], v[6:9], off offset:256
	v_lshl_add_u64 v[0:1], v[54:55], 2, s[0:1]
	v_lshl_add_u64 v[0:1], v[0:1], 0, v[50:51]
	s_waitcnt vmcnt(3)
	global_store_dwordx4 v[0:1], v[10:13], off
	s_waitcnt vmcnt(3)
	global_store_dwordx4 v[0:1], v[14:17], off offset:256
	s_endpgm
	.section	.rodata,"a",@progbits
	.p2align	6, 0x0
	.amdhsa_kernel _ZN12_GLOBAL__N_139chunk_gated_delta_rule_fwd_h_hip_kernelILi32ELb1ELb1ELb1ELb1ELb1ELb0ELb0ELb0EEEvPK12hip_bfloat16S3_S3_PKfS5_PKvPS1_S8_PvPKiSB_iiiiilll
		.amdhsa_group_segment_fixed_size 49152
		.amdhsa_private_segment_fixed_size 0
		.amdhsa_kernarg_size 136
		.amdhsa_user_sgpr_count 2
		.amdhsa_user_sgpr_dispatch_ptr 0
		.amdhsa_user_sgpr_queue_ptr 0
		.amdhsa_user_sgpr_kernarg_segment_ptr 1
		.amdhsa_user_sgpr_dispatch_id 0
		.amdhsa_user_sgpr_kernarg_preload_length 0
		.amdhsa_user_sgpr_kernarg_preload_offset 0
		.amdhsa_user_sgpr_private_segment_size 0
		.amdhsa_uses_dynamic_stack 0
		.amdhsa_enable_private_segment 0
		.amdhsa_system_sgpr_workgroup_id_x 1
		.amdhsa_system_sgpr_workgroup_id_y 1
		.amdhsa_system_sgpr_workgroup_id_z 0
		.amdhsa_system_sgpr_workgroup_info 0
		.amdhsa_system_vgpr_workitem_id 0
		.amdhsa_next_free_vgpr 156
		.amdhsa_next_free_sgpr 68
		.amdhsa_accum_offset 140
		.amdhsa_reserve_vcc 1
		.amdhsa_float_round_mode_32 0
		.amdhsa_float_round_mode_16_64 0
		.amdhsa_float_denorm_mode_32 3
		.amdhsa_float_denorm_mode_16_64 3
		.amdhsa_dx10_clamp 1
		.amdhsa_ieee_mode 1
		.amdhsa_fp16_overflow 0
		.amdhsa_tg_split 0
		.amdhsa_exception_fp_ieee_invalid_op 0
		.amdhsa_exception_fp_denorm_src 0
		.amdhsa_exception_fp_ieee_div_zero 0
		.amdhsa_exception_fp_ieee_overflow 0
		.amdhsa_exception_fp_ieee_underflow 0
		.amdhsa_exception_fp_ieee_inexact 0
		.amdhsa_exception_int_div_zero 0
	.end_amdhsa_kernel
	.section	.text._ZN12_GLOBAL__N_139chunk_gated_delta_rule_fwd_h_hip_kernelILi32ELb1ELb1ELb1ELb1ELb1ELb0ELb0ELb0EEEvPK12hip_bfloat16S3_S3_PKfS5_PKvPS1_S8_PvPKiSB_iiiiilll,"axG",@progbits,_ZN12_GLOBAL__N_139chunk_gated_delta_rule_fwd_h_hip_kernelILi32ELb1ELb1ELb1ELb1ELb1ELb0ELb0ELb0EEEvPK12hip_bfloat16S3_S3_PKfS5_PKvPS1_S8_PvPKiSB_iiiiilll,comdat
.Lfunc_end433:
	.size	_ZN12_GLOBAL__N_139chunk_gated_delta_rule_fwd_h_hip_kernelILi32ELb1ELb1ELb1ELb1ELb1ELb0ELb0ELb0EEEvPK12hip_bfloat16S3_S3_PKfS5_PKvPS1_S8_PvPKiSB_iiiiilll, .Lfunc_end433-_ZN12_GLOBAL__N_139chunk_gated_delta_rule_fwd_h_hip_kernelILi32ELb1ELb1ELb1ELb1ELb1ELb0ELb0ELb0EEEvPK12hip_bfloat16S3_S3_PKfS5_PKvPS1_S8_PvPKiSB_iiiiilll
                                        ; -- End function
	.section	.AMDGPU.csdata,"",@progbits
; Kernel info:
; codeLenInByte = 9364
; NumSgprs: 74
; NumVgprs: 138
; NumAgprs: 16
; TotalNumVgprs: 156
; ScratchSize: 0
; MemoryBound: 0
; FloatMode: 240
; IeeeMode: 1
; LDSByteSize: 49152 bytes/workgroup (compile time only)
; SGPRBlocks: 9
; VGPRBlocks: 19
; NumSGPRsForWavesPerEU: 74
; NumVGPRsForWavesPerEU: 156
; AccumOffset: 140
; Occupancy: 1
; WaveLimiterHint : 1
; COMPUTE_PGM_RSRC2:SCRATCH_EN: 0
; COMPUTE_PGM_RSRC2:USER_SGPR: 2
; COMPUTE_PGM_RSRC2:TRAP_HANDLER: 0
; COMPUTE_PGM_RSRC2:TGID_X_EN: 1
; COMPUTE_PGM_RSRC2:TGID_Y_EN: 1
; COMPUTE_PGM_RSRC2:TGID_Z_EN: 0
; COMPUTE_PGM_RSRC2:TIDIG_COMP_CNT: 0
; COMPUTE_PGM_RSRC3_GFX90A:ACCUM_OFFSET: 34
; COMPUTE_PGM_RSRC3_GFX90A:TG_SPLIT: 0
	.section	.text._ZN12_GLOBAL__N_139chunk_gated_delta_rule_fwd_h_hip_kernelILi32ELb1ELb1ELb0ELb1ELb1ELb0ELb0ELb0EEEvPK12hip_bfloat16S3_S3_PKfS5_PKvPS1_S8_PvPKiSB_iiiiilll,"axG",@progbits,_ZN12_GLOBAL__N_139chunk_gated_delta_rule_fwd_h_hip_kernelILi32ELb1ELb1ELb0ELb1ELb1ELb0ELb0ELb0EEEvPK12hip_bfloat16S3_S3_PKfS5_PKvPS1_S8_PvPKiSB_iiiiilll,comdat
	.globl	_ZN12_GLOBAL__N_139chunk_gated_delta_rule_fwd_h_hip_kernelILi32ELb1ELb1ELb0ELb1ELb1ELb0ELb0ELb0EEEvPK12hip_bfloat16S3_S3_PKfS5_PKvPS1_S8_PvPKiSB_iiiiilll ; -- Begin function _ZN12_GLOBAL__N_139chunk_gated_delta_rule_fwd_h_hip_kernelILi32ELb1ELb1ELb0ELb1ELb1ELb0ELb0ELb0EEEvPK12hip_bfloat16S3_S3_PKfS5_PKvPS1_S8_PvPKiSB_iiiiilll
	.p2align	8
	.type	_ZN12_GLOBAL__N_139chunk_gated_delta_rule_fwd_h_hip_kernelILi32ELb1ELb1ELb0ELb1ELb1ELb0ELb0ELb0EEEvPK12hip_bfloat16S3_S3_PKfS5_PKvPS1_S8_PvPKiSB_iiiiilll,@function
_ZN12_GLOBAL__N_139chunk_gated_delta_rule_fwd_h_hip_kernelILi32ELb1ELb1ELb0ELb1ELb1ELb0ELb0ELb0EEEvPK12hip_bfloat16S3_S3_PKfS5_PKvPS1_S8_PvPKiSB_iiiiilll: ; @_ZN12_GLOBAL__N_139chunk_gated_delta_rule_fwd_h_hip_kernelILi32ELb1ELb1ELb0ELb1ELb1ELb0ELb0ELb0EEEvPK12hip_bfloat16S3_S3_PKfS5_PKvPS1_S8_PvPKiSB_iiiiilll
; %bb.0:
	s_load_dwordx4 s[16:19], s[0:1], 0x5c
	s_load_dwordx2 s[4:5], s[0:1], 0x50
	s_abs_i32 s7, s3
	s_ashr_i32 s6, s3, 31
	s_load_dwordx4 s[12:15], s[0:1], 0x40
	s_load_dwordx4 s[20:23], s[0:1], 0x28
	s_waitcnt lgkmcnt(0)
	s_abs_i32 s10, s17
	v_cvt_f32_u32_e32 v1, s10
	s_sub_i32 s8, 0, s10
	s_ashr_i32 s11, s17, 31
	s_xor_b32 s6, s6, s11
	v_rcp_iflag_f32_e32 v1, v1
	v_and_b32_e32 v66, 15, v0
	v_bfe_u32 v65, v0, 4, 2
	v_mov_b32_e32 v51, 0
	v_mul_f32_e32 v1, 0x4f7ffffe, v1
	v_cvt_u32_f32_e32 v1, v1
	v_lshlrev_b32_e32 v67, 3, v0
	v_readfirstlane_b32 s9, v1
	s_mul_i32 s8, s8, s9
	s_mul_hi_u32 s8, s9, s8
	s_add_i32 s9, s9, s8
	s_mul_hi_u32 s8, s7, s9
	s_mul_i32 s9, s8, s10
	s_sub_i32 s7, s7, s9
	s_add_i32 s24, s8, 1
	s_sub_i32 s9, s7, s10
	s_cmp_ge_u32 s7, s10
	s_cselect_b32 s8, s24, s8
	s_cselect_b32 s7, s9, s7
	s_add_i32 s9, s8, 1
	s_cmp_ge_u32 s7, s10
	s_cselect_b32 s7, s9, s8
	s_xor_b32 s7, s7, s6
	s_sub_i32 s24, s7, s6
	s_mul_i32 s28, s24, s17
	s_ashr_i32 s25, s24, 31
	s_sub_i32 s49, s3, s28
	s_lshl_b64 s[6:7], s[24:25], 2
	s_add_u32 s8, s14, s6
	s_addc_u32 s9, s15, s7
	s_add_u32 s26, s4, s6
	s_addc_u32 s27, s5, s7
	s_abs_i32 s3, s18
	v_cvt_f32_u32_e32 v1, s3
	s_load_dwordx2 s[36:37], s[8:9], 0x0
	s_sub_i32 s5, 0, s3
	s_lshl_b32 s2, s2, 5
	v_rcp_iflag_f32_e32 v1, v1
	v_or_b32_e32 v56, s2, v66
	s_waitcnt lgkmcnt(0)
	s_sub_i32 s52, s37, s36
	s_ashr_i32 s4, s52, 31
	v_mul_f32_e32 v1, 0x4f7ffffe, v1
	v_cvt_u32_f32_e32 v1, v1
	s_lshr_b32 s4, s4, 26
	s_add_i32 s4, s52, s4
	s_ashr_i32 s50, s4, 6
	v_readfirstlane_b32 s6, v1
	s_mul_i32 s5, s5, s6
	s_mul_hi_u32 s5, s6, s5
	s_add_i32 s6, s6, s5
	s_mul_hi_u32 s5, s10, s6
	s_mul_i32 s6, s5, s3
	s_ashr_i32 s4, s18, 31
	s_sub_i32 s6, s10, s6
	s_xor_b32 s4, s11, s4
	s_add_i32 s7, s5, 1
	s_sub_i32 s8, s6, s3
	s_cmp_ge_u32 s6, s3
	s_cselect_b32 s5, s7, s5
	s_cselect_b32 s6, s8, s6
	s_add_i32 s7, s5, 1
	s_cmp_ge_u32 s6, s3
	s_cselect_b32 s3, s7, s5
	s_xor_b32 s3, s3, s4
	s_sub_i32 s3, s3, s4
	s_abs_i32 s4, s3
	v_cvt_f32_u32_e32 v1, s4
	s_sub_i32 s6, 0, s4
	s_abs_i32 s5, s49
	s_xor_b32 s3, s49, s3
	v_rcp_iflag_f32_e32 v2, v1
	s_ashr_i32 s3, s3, 31
	v_lshrrev_b32_e32 v1, 6, v0
	v_lshlrev_b32_e32 v64, 4, v1
	v_mul_f32_e32 v2, 0x4f7ffffe, v2
	v_cvt_u32_f32_e32 v2, v2
	v_lshlrev_b32_e32 v52, 7, v56
	v_lshl_or_b32 v69, v65, 2, v64
	v_ashrrev_i32_e32 v53, 31, v52
	v_readfirstlane_b32 s7, v2
	s_mul_i32 s6, s6, s7
	s_mul_hi_u32 s6, s7, s6
	s_add_i32 s7, s7, s6
	s_mul_hi_u32 s6, s5, s7
	s_mul_i32 s7, s6, s4
	s_sub_i32 s5, s5, s7
	s_add_i32 s7, s6, 1
	s_sub_i32 s8, s5, s4
	s_cmp_ge_u32 s5, s4
	s_cselect_b32 s6, s7, s6
	s_cselect_b32 s5, s8, s5
	s_add_i32 s7, s6, 1
	s_cmp_ge_u32 s5, s4
	s_cselect_b32 s4, s7, s6
	s_xor_b32 s4, s4, s3
	s_sub_i32 s53, s4, s3
	s_ashr_i32 s51, s49, 31
	s_mul_hi_i32 s3, s24, s17
	s_add_u32 s4, s28, s49
	s_addc_u32 s5, s3, s51
	s_lshl_b64 s[14:15], s[4:5], 16
	s_add_u32 s4, s20, s14
	s_addc_u32 s5, s21, s15
	v_lshl_add_u64 v[2:3], v[52:53], 2, s[4:5]
	v_lshlrev_b32_e32 v50, 2, v69
	v_or_b32_e32 v54, 0x800, v52
	v_lshl_add_u64 v[10:11], v[2:3], 0, v[50:51]
	v_ashrrev_i32_e32 v55, 31, v54
	global_load_dwordx4 v[2:5], v[10:11], off
	global_load_dwordx4 v[6:9], v[10:11], off offset:256
	v_lshl_add_u64 v[10:11], v[54:55], 2, s[4:5]
	v_lshl_add_u64 v[18:19], v[10:11], 0, v[50:51]
	global_load_dwordx4 v[10:13], v[18:19], off
	global_load_dwordx4 v[14:17], v[18:19], off offset:256
	s_load_dwordx8 s[4:11], s[0:1], 0x0
	s_load_dwordx2 s[34:35], s[0:1], 0x80
	s_load_dwordx4 s[28:31], s[0:1], 0x70
	s_load_dword s54, s[26:27], 0x0
	v_and_b32_e32 v51, 63, v0
	v_or_b32_e32 v70, 64, v69
	s_cmp_lt_i32 s52, 64
	s_mul_hi_i32 s55, s49, s16
	s_mul_i32 s56, s49, s16
	v_lshrrev_b32_e32 v68, 3, v51
	s_waitcnt lgkmcnt(0)
	s_mul_i32 s33, s24, s29
	s_mul_hi_u32 s45, s24, s28
	s_mul_i32 s46, s25, s28
	s_mul_i32 s38, s24, s28
	s_mul_i32 s44, s49, s31
	s_mul_hi_u32 s47, s49, s30
	s_mul_i32 s48, s51, s30
	s_mul_i32 s40, s49, s30
	s_cbranch_scc1 .LBB434_19
; %bb.1:
	s_ashr_i32 s1, s36, 31
	s_add_u32 s0, s56, s36
	s_addc_u32 s1, s55, s1
	s_lshl_b64 s[0:1], s[0:1], 8
	v_and_b32_e32 v72, 56, v67
	s_add_u32 s24, s6, s0
	v_lshl_or_b32 v71, v1, 3, v68
	v_lshlrev_b32_e32 v18, 1, v72
	s_addc_u32 s0, s7, s1
	v_lshl_or_b32 v73, v71, 8, v18
	s_and_b32 s25, s0, 0xffff
	s_mov_b32 s27, 0x20000
	s_movk_i32 s26, 0x4000
	s_movk_i32 s0, 0x80
	v_or_b32_e32 v74, 0x2000, v73
	buffer_load_dwordx4 v[20:23], v73, s[24:27], 0 offen
	buffer_load_dwordx4 v[24:27], v73, s[24:27], s0 offen
	;; [unrolled: 1-line block ×4, first 2 shown]
	v_lshlrev_b32_e32 v19, 3, v71
	v_and_or_b32 v37, v0, 7, v19
	v_and_b32_e32 v19, 0x78, v19
	v_lshlrev_b32_e32 v37, 4, v37
	v_xor_b32_e32 v75, v37, v19
	v_mul_lo_u32 v36, v71, s19
	v_or_b32_e32 v76, 0x1000, v75
	v_xor_b32_e32 v19, 8, v75
	s_cmpk_eq_i32 s19, 0x80
	s_mov_b32 s57, s36
	v_xor_b32_e32 v37, 8, v76
	s_cselect_b64 s[0:1], -1, 0
	s_cmpk_lg_i32 s19, 0x80
	s_waitcnt vmcnt(3)
	ds_write_b64 v75, v[20:21] offset:24576
	ds_write_b64 v19, v[22:23] offset:24576
	s_waitcnt vmcnt(2)
	ds_write_b64 v75, v[24:25] offset:32768
	ds_write_b64 v19, v[26:27] offset:32768
	;; [unrolled: 3-line block ×4, first 2 shown]
	v_lshl_add_u32 v19, v36, 1, v72
	s_cbranch_scc0 .LBB434_3
; %bb.2:
	v_lshlrev_b32_e32 v21, 1, v19
	v_add_lshl_u32 v20, v19, s19, 1
	s_lshl_b32 s26, s19, 7
	v_lshl_or_b32 v18, v71, 9, v18
	s_cbranch_execz .LBB434_4
	s_branch .LBB434_5
.LBB434_3:
                                        ; implicit-def: $vgpr20
                                        ; implicit-def: $vgpr21
                                        ; implicit-def: $sgpr26
	v_lshl_or_b32 v18, v71, 9, v18
.LBB434_4:
	v_or_b32_e32 v20, 0x100, v18
	s_movk_i32 s26, 0x4000
	v_mov_b32_e32 v21, v18
.LBB434_5:
	s_mul_i32 s20, s36, s18
	s_ashr_i32 s58, s53, 31
	s_mul_hi_i32 s3, s36, s18
	s_add_u32 s20, s20, s53
	s_addc_u32 s21, s3, s58
	s_lshl_b64 s[20:21], s[20:21], 8
	s_add_u32 s24, s4, s20
	s_addc_u32 s3, s5, s21
	s_and_b32 s25, s3, 0xffff
	s_movk_i32 s59, 0x80
	buffer_load_dwordx4 v[22:25], v21, s[24:27], 0 offen
	buffer_load_dwordx4 v[26:29], v21, s[24:27], s59 offen
	;; [unrolled: 1-line block ×4, first 2 shown]
	v_and_b32_e32 v20, 6, v0
	v_lshlrev_b32_e32 v39, 6, v69
	v_or_b32_e32 v41, 16, v66
	v_xor_b32_e32 v42, v71, v20
	v_and_b32_e32 v21, 1, v0
	v_lshl_or_b32 v45, v66, 3, v39
	v_lshl_or_b32 v39, v41, 3, v39
	v_lshlrev_b32_e32 v42, 2, v42
	v_lshlrev_b32_e32 v38, 2, v66
	v_or_b32_e32 v79, 0xa000, v39
	v_or_b32_e32 v80, 0xb000, v39
	v_xor_b32_e32 v39, 0x440, v42
	v_cmp_eq_u32_e32 vcc, 0, v21
	s_add_i32 s3, s45, s33
	v_xor_b32_e32 v43, v69, v38
	v_xor_b32_e32 v44, v70, v38
	v_cndmask_b32_e32 v21, v39, v42, vcc
	s_add_i32 s20, s47, s44
	s_add_i32 s39, s3, s46
	s_mov_b32 s60, 0x1000504
	v_lshlrev_b32_e32 v40, 8, v66
	v_lshlrev_b32_e32 v41, 8, v41
	;; [unrolled: 1-line block ×4, first 2 shown]
	v_lshl_or_b32 v20, v20, 10, v21
	s_add_i32 s41, s20, s48
	s_lshl_b64 s[20:21], s[38:39], 2
	s_mov_b32 s61, 0x3020706
	v_or_b32_e32 v77, 0xa000, v45
	v_or_b32_e32 v78, 0xb000, v45
	;; [unrolled: 1-line block ×5, first 2 shown]
	v_xor_b32_e32 v21, 8, v20
	v_xor_b32_e32 v40, 24, v20
	;; [unrolled: 1-line block ×4, first 2 shown]
	s_add_u32 s3, s10, s20
	v_or_b32_e32 v83, v41, v43
	v_xor_b32_e32 v39, 16, v20
	v_xor_b32_e32 v41, 32, v20
	v_xor_b32_e32 v43, 48, v20
	v_add_u32_e32 v21, 0x80, v21
	v_add_u32_e32 v40, 0x80, v40
	;; [unrolled: 1-line block ×4, first 2 shown]
	s_addc_u32 s24, s11, s21
	s_lshl_b64 s[20:21], s[40:41], 2
	s_add_u32 s20, s3, s20
	s_movk_i32 s3, 0xf8
	s_addc_u32 s21, s24, s21
	s_lshl_b32 s30, s19, 7
	s_movk_i32 s28, 0x100
	v_mov_b32_e32 v59, 0
	v_lshlrev_b32_e32 v58, 4, v66
	v_cmp_gt_u32_e32 vcc, s28, v0
	v_ashrrev_i32_e32 v57, 31, v56
	s_mov_b32 s62, 0
	s_movk_i32 s39, 0x1000
	s_movk_i32 s26, 0x4000
	v_lshl_add_u64 v[60:61], v[56:57], 1, s[8:9]
	s_waitcnt vmcnt(1)
	v_perm_b32 v45, v22, v30, s60
	s_waitcnt vmcnt(0)
	v_perm_b32 v46, v26, v34, s60
	v_perm_b32 v22, v22, v30, s61
	;; [unrolled: 1-line block ×15, first 2 shown]
	ds_write2st64_b32 v20, v45, v46 offset0:32 offset1:64
	ds_write2st64_b32 v21, v22, v26 offset0:32 offset1:64
	;; [unrolled: 1-line block ×8, first 2 shown]
	v_or_b32_e32 v20, v64, v66
	v_lshlrev_b32_e32 v20, 3, v20
	v_lshrrev_b32_e32 v23, 5, v51
	v_and_or_b32 v23, v20, s3, v23
	v_lshlrev_b32_e32 v23, 4, v23
	v_lshlrev_b32_e32 v21, 11, v1
	v_and_b32_e32 v20, 0x78, v20
	v_or_b32_e32 v28, 32, v23
	v_and_b32_e32 v22, 0x1000, v21
	v_lshrrev_b32_e32 v25, 1, v0
	v_xor_b32_e32 v28, v28, v20
	v_and_b32_e32 v26, 8, v25
	v_or_b32_e32 v28, v28, v22
	v_xor_b32_e32 v24, v23, v20
	v_xor_b32_e32 v87, v28, v26
	v_or_b32_e32 v28, 64, v23
	v_or_b32_e32 v23, 0x60, v23
	s_ashr_i32 s3, s2, 31
	v_xor_b32_e32 v28, v28, v20
	v_xor_b32_e32 v20, v23, v20
	s_lshl_b64 s[24:25], s[2:3], 8
	v_or_b32_e32 v24, v24, v22
	v_or_b32_e32 v28, v28, v22
	;; [unrolled: 1-line block ×3, first 2 shown]
	s_add_u32 s24, s22, s24
	v_lshlrev_b32_e32 v22, 1, v66
	v_xor_b32_e32 v89, v28, v26
	v_lshrrev_b32_e32 v28, 4, v0
	s_addc_u32 s25, s23, s25
	v_or_b32_e32 v23, 1, v22
	v_mov_b32_e32 v32, 0x4000
	v_mov_b32_e32 v33, 0x2000
	v_xor_b32_e32 v29, v28, v22
	v_xor_b32_e32 v30, v23, v28
	v_lshl_add_u64 v[22:23], s[24:25], 0, v[58:59]
	v_lshlrev_b32_e32 v58, 8, v28
	v_cndmask_b32_e32 v32, v32, v33, vcc
	v_lshlrev_b32_e32 v33, 3, v1
	v_and_b32_e32 v25, 24, v25
	v_lshl_or_b32 v93, v29, 3, v58
	v_and_b32_e32 v29, 8, v0
	v_xor_b32_e32 v34, v33, v25
	v_or_b32_e32 v35, 0x440, v34
	v_cmp_eq_u32_e32 vcc, 0, v29
	v_and_b32_e32 v28, 7, v0
	v_xor_b32_e32 v85, v24, v26
	v_cndmask_b32_e32 v29, v35, v34, vcc
	v_lshlrev_b32_e32 v24, 7, v65
	v_lshl_or_b32 v94, v30, 3, v58
	v_lshlrev_b32_e32 v30, 3, v28
	v_lshlrev_b32_e32 v28, 7, v28
	;; [unrolled: 1-line block ×3, first 2 shown]
	v_or_b32_e32 v29, v29, v21
	v_or_b32_e32 v27, v24, v38
	v_xad_u32 v95, v29, v30, v28
	v_and_or_b32 v24, v31, 60, v24
	v_mov_b32_e32 v29, 0xb000
	v_lshl_or_b32 v96, v24, 1, v29
	v_or_b32_e32 v24, 32, v25
	v_xor_b32_e32 v24, v33, v24
	v_or_b32_e32 v29, 0x440, v24
	v_cndmask_b32_e32 v24, v29, v24, vcc
	v_or_b32_e32 v24, v24, v21
	v_xad_u32 v97, v24, v30, v28
	v_or_b32_e32 v24, 64, v25
	v_xor_b32_e32 v24, v33, v24
	v_xor_b32_e32 v29, 0x440, v24
	v_cndmask_b32_e32 v24, v29, v24, vcc
	v_or_b32_e32 v24, v24, v21
	v_xad_u32 v98, v24, v30, v28
	v_or_b32_e32 v24, 0x60, v25
	v_xor_b32_e32 v24, v33, v24
	v_xor_b32_e32 v25, 0x440, v24
	v_cndmask_b32_e32 v24, v25, v24, vcc
	v_lshlrev_b32_e32 v27, 1, v27
	v_or_b32_e32 v21, v24, v21
	v_or_b32_e32 v86, 0xa000, v27
	;; [unrolled: 1-line block ×3, first 2 shown]
	v_xor_b32_e32 v90, v20, v26
	v_or_b32_e32 v91, 0xb000, v27
	v_or_b32_e32 v92, 0xb080, v27
	v_lshlrev_b32_e32 v20, 7, v69
	v_lshlrev_b32_e32 v26, 1, v19
	v_add_lshl_u32 v19, v19, s19, 1
	v_or_b32_e32 v27, 0x100, v18
	v_xad_u32 v99, v21, v30, v28
	v_cndmask_b32_e64 v100, v26, v18, s[0:1]
	v_cndmask_b32_e64 v101, v19, v27, s[0:1]
	v_lshl_add_u64 v[62:63], v[22:23], 0, v[58:59]
	s_mov_b32 s3, 0x7060302
	v_lshlrev_b32_e32 v58, 1, v20
	v_add_u32_e32 v57, v32, v95
	v_add_u32_e32 v102, v32, v97
	;; [unrolled: 1-line block ×4, first 2 shown]
	s_waitcnt lgkmcnt(0)
	s_barrier
.LBB434_6:                              ; =>This Inner Loop Header: Depth=1
	s_add_i32 s41, s62, 1
	s_cmp_lt_i32 s41, s50
	s_mov_b64 s[28:29], 0
	s_cselect_b64 s[42:43], -1, 0
	s_cmp_ge_i32 s41, s50
	s_mov_b64 s[24:25], 0
	s_cbranch_scc1 .LBB434_8
; %bb.7:                                ;   in Loop: Header=BB434_6 Depth=1
	s_add_i32 s0, s57, 64
	s_ashr_i32 s1, s0, 31
	s_add_u32 s0, s56, s0
	s_addc_u32 s1, s55, s1
	s_lshl_b64 s[0:1], s[0:1], 8
	s_add_u32 s24, s6, s0
	s_addc_u32 s25, s7, s1
.LBB434_8:                              ;   in Loop: Header=BB434_6 Depth=1
	v_cndmask_b32_e64 v18, 0, 1, s[42:43]
	v_cmp_ne_u32_e64 s[0:1], 1, v18
	s_andn2_b64 vcc, exec, s[42:43]
	s_cbranch_vccnz .LBB434_10
; %bb.9:                                ;   in Loop: Header=BB434_6 Depth=1
	s_add_i32 s28, s57, 64
	s_mul_hi_i32 s29, s28, s18
	s_mul_i32 s28, s28, s18
	s_add_u32 s28, s28, s53
	s_addc_u32 s29, s29, s58
	s_lshl_b64 s[28:29], s[28:29], 8
	s_add_u32 s28, s4, s28
	s_addc_u32 s29, s5, s29
.LBB434_10:                             ;   in Loop: Header=BB434_6 Depth=1
	v_perm_b32 v19, v5, v4, s3
	v_perm_b32 v18, v3, v2, s3
	;; [unrolled: 1-line block ×4, first 2 shown]
	ds_write_b64 v77, v[18:19]
	ds_write_b64 v78, v[20:21]
	;; [unrolled: 1-line block ×4, first 2 shown]
	v_perm_b32 v19, v13, v12, s3
	v_perm_b32 v18, v11, v10, s3
	;; [unrolled: 1-line block ×4, first 2 shown]
	ds_write_b64 v79, v[18:19]
	ds_write_b64 v80, v[20:21]
	;; [unrolled: 1-line block ×4, first 2 shown]
	s_waitcnt lgkmcnt(0)
	s_barrier
	ds_read_b64 v[22:23], v85 offset:24576
	ds_read2_b64 v[18:21], v86 offset1:16
	ds_read_b64 v[26:27], v88 offset:3072
	ds_read_b64 v[28:29], v86 offset:3072
	;; [unrolled: 1-line block ×3, first 2 shown]
	s_waitcnt lgkmcnt(3)
	v_mfma_f32_16x16x16_bf16 a[0:3], v[22:23], v[18:19], 0
	s_add_i32 s31, s57, 63
	s_ashr_i32 s42, s31, 31
	s_mul_i32 s43, s31, s35
	v_mfma_f32_16x16x16_bf16 a[4:7], v[22:23], v[20:21], 0
	ds_read2st64_b64 v[18:21], v86 offset0:2 offset1:4
	s_mul_hi_u32 s63, s31, s34
	s_add_i32 s43, s63, s43
	s_waitcnt lgkmcnt(0)
	v_mfma_f32_16x16x16_bf16 a[0:3], v[30:31], v[18:19], a[0:3]
	ds_read2st64_b64 v[22:25], v88 offset0:2 offset1:4
	ds_read_b64 v[18:19], v89 offset:24576
	s_mul_i32 s42, s42, s34
	s_add_i32 s43, s43, s42
	s_waitcnt lgkmcnt(1)
	v_mfma_f32_16x16x16_bf16 a[4:7], v[30:31], v[22:23], a[4:7]
	ds_read_b64 v[22:23], v90 offset:24576
	s_mul_i32 s42, s31, s34
	s_lshl_b64 s[42:43], s[42:43], 2
	s_waitcnt lgkmcnt(1)
	v_mfma_f32_16x16x16_bf16 a[0:3], v[18:19], v[20:21], a[0:3]
	s_add_u32 s42, s20, s42
	s_addc_u32 s43, s21, s43
	s_and_b64 vcc, exec, s[0:1]
	v_mfma_f32_16x16x16_bf16 a[4:7], v[18:19], v[24:25], a[4:7]
	v_mov_b32_e32 v107, 0
	v_mov_b32_e32 v106, 0
	;; [unrolled: 1-line block ×3, first 2 shown]
	s_waitcnt lgkmcnt(0)
	v_mfma_f32_16x16x16_bf16 a[0:3], v[22:23], v[28:29], a[0:3]
	v_mov_b32_e32 v18, 0
	v_mov_b32_e32 v19, 0
	;; [unrolled: 1-line block ×3, first 2 shown]
	v_mfma_f32_16x16x16_bf16 a[4:7], v[22:23], v[26:27], a[4:7]
	v_mov_b32_e32 v21, 0
	v_mov_b32_e32 v22, 0
	;; [unrolled: 1-line block ×13, first 2 shown]
	s_cbranch_vccnz .LBB434_12
; %bb.11:                               ;   in Loop: Header=BB434_6 Depth=1
	s_and_b32 s25, s25, 0xffff
	buffer_load_dwordx4 v[30:33], v73, s[24:27], 0 offen
	buffer_load_dwordx4 v[26:29], v73, s[24:27], s59 offen
	;; [unrolled: 1-line block ×4, first 2 shown]
	v_mov_b32_e32 v106, v75
	v_mov_b32_e32 v105, v76
.LBB434_12:                             ;   in Loop: Header=BB434_6 Depth=1
	ds_read_b64 v[38:39], v85 offset:32768
	ds_read2_b64 v[34:37], v91 offset1:16
	ds_read_b64 v[42:43], v87 offset:32768
	ds_read_b64 v[44:45], v89 offset:32768
	;; [unrolled: 1-line block ×3, first 2 shown]
	v_add_u32_e32 v108, s57, v69
	s_waitcnt lgkmcnt(3)
	v_mfma_f32_16x16x16_bf16 a[0:3], v[38:39], v[34:35], a[0:3]
	v_mfma_f32_16x16x16_bf16 a[4:7], v[38:39], v[36:37], a[4:7]
	ds_read2st64_b64 v[34:37], v91 offset0:2 offset1:4
	ds_read2st64_b64 v[38:41], v92 offset0:2 offset1:4
	s_waitcnt lgkmcnt(1)
	v_mfma_f32_16x16x16_bf16 a[0:3], v[42:43], v[34:35], a[0:3]
	ds_read_b64 v[34:35], v91 offset:3072
	ds_read_b64 v[48:49], v92 offset:3072
	s_waitcnt lgkmcnt(2)
	v_mfma_f32_16x16x16_bf16 a[4:7], v[42:43], v[38:39], a[4:7]
	v_ashrrev_i32_e32 v38, 31, v108
	v_mul_lo_u32 v39, v108, s35
	v_mul_lo_u32 v38, v38, s34
	v_mfma_f32_16x16x16_bf16 a[0:3], v[44:45], v[36:37], a[0:3]
	v_mad_u64_u32 v[36:37], s[24:25], v108, s34, 0
	v_add3_u32 v37, v37, v39, v38
	v_add_u32_e32 v38, 1, v108
	v_ashrrev_i32_e32 v39, 31, v38
	v_mfma_f32_16x16x16_bf16 a[4:7], v[44:45], v[40:41], a[4:7]
	v_mul_lo_u32 v39, v39, s34
	v_mul_lo_u32 v40, v38, s35
	v_lshl_add_u64 v[36:37], v[36:37], 2, s[20:21]
	s_waitcnt lgkmcnt(1)
	v_mfma_f32_16x16x16_bf16 a[0:3], v[46:47], v[34:35], a[0:3]
	v_mad_u64_u32 v[34:35], s[24:25], v38, s34, 0
	v_add_u32_e32 v38, 2, v108
	v_add3_u32 v35, v35, v40, v39
	v_ashrrev_i32_e32 v39, 31, v38
	v_mul_lo_u32 v40, v39, s34
	v_mul_lo_u32 v41, v38, s35
	v_mad_u64_u32 v[38:39], s[24:25], v38, s34, 0
	v_add3_u32 v39, v39, v41, v40
	v_add_u32_e32 v40, 3, v108
	v_ashrrev_i32_e32 v41, 31, v40
	v_mul_lo_u32 v42, v41, s34
	v_mul_lo_u32 v43, v40, s35
	v_mad_u64_u32 v[40:41], s[24:25], v40, s34, 0
	v_add3_u32 v41, v41, v43, v42
	v_lshl_add_u64 v[40:41], v[40:41], 2, s[20:21]
	s_ashr_i32 s25, s57, 31
	v_lshl_add_u64 v[34:35], v[34:35], 2, s[20:21]
	v_lshl_add_u64 v[38:39], v[38:39], 2, s[20:21]
	global_load_dword v42, v[36:37], off
	global_load_dword v43, v[34:35], off
	;; [unrolled: 1-line block ×3, first 2 shown]
	s_nop 0
	global_load_dword v41, v[40:41], off
	s_add_u32 s24, s56, s57
	s_addc_u32 s25, s55, s25
	s_lshl_b64 s[24:25], s[24:25], 8
	v_lshl_add_u64 v[34:35], v[60:61], 0, s[24:25]
	v_lshl_add_u64 v[34:35], v[34:35], 0, v[58:59]
	global_load_ushort v45, v[34:35], off
	global_load_ushort v108, v[34:35], off offset:256
	global_load_ushort v109, v[34:35], off offset:800
	;; [unrolled: 1-line block ×7, first 2 shown]
	s_load_dword s24, s[42:43], 0x0
	s_waitcnt lgkmcnt(0)
	v_mfma_f32_16x16x16_bf16 a[4:7], v[46:47], v[48:49], a[4:7]
	v_accvgpr_read_b32 v39, a1
	v_accvgpr_read_b32 v35, a3
	;; [unrolled: 1-line block ×4, first 2 shown]
	s_and_b64 vcc, exec, s[0:1]
	s_waitcnt vmcnt(11)
	v_sub_f32_e32 v40, s24, v42
	s_waitcnt vmcnt(10)
	v_sub_f32_e32 v48, s24, v43
	;; [unrolled: 2-line block ×4, first 2 shown]
	v_exp_f32_e32 v40, v40
	v_exp_f32_e32 v41, v48
	;; [unrolled: 1-line block ×4, first 2 shown]
	s_waitcnt vmcnt(6)
	v_lshlrev_b32_e32 v43, 16, v108
	v_lshlrev_b32_e32 v42, 16, v45
	s_waitcnt vmcnt(4)
	v_lshlrev_b32_e32 v45, 16, v110
	s_waitcnt vmcnt(2)
	v_lshlrev_b32_e32 v44, 16, v112
	v_pk_add_f32 v[38:39], v[42:43], v[38:39] neg_lo:[0,1] neg_hi:[0,1]
	v_pk_add_f32 v[34:35], v[44:45], v[34:35] neg_lo:[0,1] neg_hi:[0,1]
	v_pk_mul_f32 v[38:39], v[40:41], v[38:39]
	v_pk_mul_f32 v[34:35], v[48:49], v[34:35]
	s_waitcnt vmcnt(1)
	v_lshlrev_b32_e32 v47, 16, v113
	v_perm_b32 v35, v35, v34, s3
	v_perm_b32 v34, v39, v38, s3
	v_accvgpr_read_b32 v39, a5
	s_waitcnt vmcnt(0)
	v_lshlrev_b32_e32 v46, 16, v114
	v_accvgpr_read_b32 v38, a4
	v_pk_add_f32 v[38:39], v[46:47], v[38:39] neg_lo:[0,1] neg_hi:[0,1]
	v_accvgpr_read_b32 v37, a7
	v_accvgpr_read_b32 v36, a6
	v_pk_mul_f32 v[38:39], v[40:41], v[38:39]
	v_lshlrev_b32_e32 v41, 16, v109
	v_lshlrev_b32_e32 v40, 16, v111
	v_pk_add_f32 v[36:37], v[40:41], v[36:37] neg_lo:[0,1] neg_hi:[0,1]
	v_mov_b32_e32 v108, 0
	v_pk_mul_f32 v[36:37], v[48:49], v[36:37]
	v_mov_b32_e32 v40, 0
	v_perm_b32 v37, v37, v36, s3
	v_perm_b32 v36, v39, v38, s3
	ds_write2_b64 v78, v[34:35], v[36:37] offset1:16
	v_mov_b32_e32 v34, 0
	v_mov_b32_e32 v35, 0
	;; [unrolled: 1-line block ×15, first 2 shown]
	s_cbranch_vccnz .LBB434_14
; %bb.13:                               ;   in Loop: Header=BB434_6 Depth=1
	s_and_b32 s29, s29, 0xffff
	s_mov_b32 s31, s27
	buffer_load_dwordx4 v[46:49], v100, s[28:31], 0 offen
	buffer_load_dwordx4 v[38:41], v100, s[28:31], s59 offen
	;; [unrolled: 1-line block ×4, first 2 shown]
	v_mov_b32_e32 v107, v72
	v_mov_b32_e32 v108, v71
.LBB434_14:                             ;   in Loop: Header=BB434_6 Depth=1
	s_waitcnt lgkmcnt(0)
	s_barrier
	ds_read_b64 v[114:115], v57
	ds_read_b64 v[122:123], v96
	;; [unrolled: 1-line block ×5, first 2 shown]
	ds_read_b64 v[128:129], v97 offset:16384
	ds_read_b64 v[130:131], v95 offset:16384
	ds_read2_b64 v[110:113], v91 offset0:16 offset1:128
	s_waitcnt lgkmcnt(6)
	v_mfma_f32_16x16x16_bf16 a[0:3], v[114:115], v[122:123], 0
	ds_read_b64 v[132:133], v92 offset:3072
	ds_read_b64 v[134:135], v99 offset:16384
	s_add_i32 s25, s54, s62
	s_waitcnt lgkmcnt(2)
	v_mfma_f32_16x16x16_bf16 a[4:7], v[114:115], v[110:111], 0
	ds_read2st64_b64 v[114:117], v92 offset0:2 offset1:4
	s_mul_hi_i32 s29, s25, s17
	s_mul_i32 s25, s25, s17
	v_mfma_f32_16x16x16_bf16 a[0:3], v[118:119], v[112:113], a[0:3]
	s_add_u32 s28, s25, s49
	s_addc_u32 s29, s29, s51
	s_lshl_b64 s[28:29], s[28:29], 15
	s_waitcnt lgkmcnt(0)
	v_mfma_f32_16x16x16_bf16 a[4:7], v[118:119], v[114:115], a[4:7]
	ds_read2st64_b64 v[118:121], v91 offset0:4 offset1:6
	s_waitcnt lgkmcnt(0)
	v_mfma_f32_16x16x16_bf16 a[0:3], v[124:125], v[118:119], a[0:3]
	v_mfma_f32_16x16x16_bf16 a[8:11], v[124:125], v[116:117], a[4:7]
	;; [unrolled: 1-line block ×5, first 2 shown]
	ds_read2st64_b64 v[122:125], v94 offset1:8
	v_mfma_f32_16x16x16_bf16 a[12:15], v[130:131], v[110:111], 0
	ds_read_b64 v[130:131], v98 offset:16384
	v_mfma_f32_16x16x16_bf16 a[8:11], v[128:129], v[112:113], a[8:11]
	ds_read2st64_b64 v[110:113], v93 offset1:8
	s_waitcnt lgkmcnt(0)
	v_mov_b32_e32 v126, v110
	v_mfma_f32_16x16x16_bf16 a[12:15], v[128:129], v[114:115], a[12:15]
	v_lshl_add_u64 v[114:115], v[62:63], 0, s[28:29]
	v_add_co_u32_e32 v110, vcc, s39, v114
	v_mfma_f32_16x16x16_bf16 a[8:11], v[130:131], v[118:119], a[8:11]
	v_mov_b32_e32 v127, v111
	v_addc_co_u32_e32 v111, vcc, 0, v115, vcc
	v_mfma_f32_16x16x16_bf16 a[12:15], v[130:131], v[116:117], a[12:15]
	v_mov_b32_e32 v128, v122
	v_mov_b32_e32 v129, v123
	;; [unrolled: 1-line block ×3, first 2 shown]
	v_mfma_f32_16x16x16_bf16 a[8:11], v[134:135], v[120:121], a[8:11]
	v_mov_b32_e32 v123, v113
	s_and_b64 vcc, exec, s[0:1]
	global_store_dwordx4 v[114:115], v[126:129], off
	v_mfma_f32_16x16x16_bf16 a[12:15], v[134:135], v[132:133], a[12:15]
	global_store_dwordx4 v[110:111], v[122:125], off
	s_cbranch_vccnz .LBB434_16
; %bb.15:                               ;   in Loop: Header=BB434_6 Depth=1
	v_lshrrev_b32_e32 v109, 3, v107
	v_and_b32_e32 v109, 6, v109
	v_xor_b32_e32 v108, v109, v108
	v_lshlrev_b32_e32 v108, 2, v108
	v_and_b32_e32 v107, 8, v107
	v_xor_b32_e32 v110, 0x440, v108
	v_cmp_eq_u32_e32 vcc, 0, v107
	s_barrier
	s_nop 0
	v_cndmask_b32_e32 v107, v110, v108, vcc
	v_lshl_or_b32 v107, v109, 10, v107
	s_waitcnt vmcnt(3)
	v_perm_b32 v108, v46, v42, s60
	s_waitcnt vmcnt(2)
	v_perm_b32 v109, v38, v34, s60
	ds_write2st64_b32 v107, v108, v109 offset0:32 offset1:64
	v_xor_b32_e32 v108, 8, v107
	v_perm_b32 v42, v46, v42, s61
	v_perm_b32 v34, v38, v34, s61
	v_add_u32_e32 v38, 0x80, v108
	ds_write2st64_b32 v38, v42, v34 offset0:32 offset1:64
	v_xor_b32_e32 v34, 16, v107
	v_perm_b32 v38, v47, v43, s60
	v_perm_b32 v42, v39, v35, s60
	ds_write2st64_b32 v34, v38, v42 offset0:33 offset1:65
	v_xor_b32_e32 v34, 24, v107
	v_perm_b32 v38, v47, v43, s61
	v_perm_b32 v35, v39, v35, s61
	v_add_u32_e32 v34, 0x80, v34
	ds_write2st64_b32 v34, v38, v35 offset0:33 offset1:65
	v_xor_b32_e32 v34, 32, v107
	v_perm_b32 v35, v48, v44, s60
	;; [unrolled: 9-line block ×3, first 2 shown]
	v_perm_b32 v36, v41, v37, s60
	ds_write2st64_b32 v34, v35, v36 offset0:35 offset1:67
	v_xor_b32_e32 v34, 56, v107
	v_perm_b32 v35, v49, v45, s61
	v_perm_b32 v36, v41, v37, s61
	v_add_u32_e32 v34, 0x80, v34
	ds_write2st64_b32 v34, v35, v36 offset0:35 offset1:67
	ds_write_b64 v106, v[30:31] offset:24576
	v_xor_b32_e32 v30, 8, v106
	ds_write_b64 v30, v[32:33] offset:24576
	ds_write_b64 v106, v[26:27] offset:32768
	;; [unrolled: 1-line block ×4, first 2 shown]
	v_xor_b32_e32 v22, 8, v105
	ds_write_b64 v22, v[24:25] offset:24576
	ds_write_b64 v105, v[18:19] offset:32768
	ds_write_b64 v22, v[20:21] offset:32768
.LBB434_16:                             ;   in Loop: Header=BB434_6 Depth=1
	s_waitcnt vmcnt(2)
	v_exp_f32_e32 v34, s24
	v_accvgpr_read_b32 v33, a7
	v_accvgpr_read_b32 v25, a3
	;; [unrolled: 1-line block ×16, first 2 shown]
	s_add_i32 s57, s57, 64
	v_fma_f32 v2, v2, v34, v30
	v_fma_f32 v3, v3, v34, v31
	v_fma_f32 v4, v4, v34, v32
	v_fmac_f32_e32 v33, v5, v34
	v_fma_f32 v10, v10, v34, v22
	v_fma_f32 v11, v11, v34, v23
	v_fma_f32 v12, v12, v34, v24
	v_fmac_f32_e32 v25, v13, v34
	;; [unrolled: 4-line block ×3, first 2 shown]
	v_fma_f32 v14, v14, v34, v18
	v_fma_f32 v15, v15, v34, v19
	;; [unrolled: 1-line block ×3, first 2 shown]
	s_cmp_eq_u32 s50, s41
	v_fmac_f32_e32 v21, v17, v34
	s_cbranch_scc1 .LBB434_18
; %bb.17:                               ;   in Loop: Header=BB434_6 Depth=1
	s_mov_b32 s62, s41
	v_mov_b32_e32 v5, v33
	v_mov_b32_e32 v9, v29
	;; [unrolled: 1-line block ×4, first 2 shown]
	s_branch .LBB434_6
.LBB434_18:
	v_mov_b32_e32 v5, v33
	v_mov_b32_e32 v9, v29
	;; [unrolled: 1-line block ×4, first 2 shown]
.LBB434_19:
	s_lshl_b32 s30, s50, 6
	s_sub_i32 s31, s52, s30
	s_cmp_gt_i32 s31, 0
	s_cbranch_scc0 .LBB434_84
; %bb.20:
	s_add_i32 s30, s30, s36
	s_ashr_i32 s3, s30, 31
	s_cmpk_lg_i32 s19, 0x80
	s_cselect_b64 s[26:27], -1, 0
	s_and_b64 vcc, exec, s[26:27]
	s_cbranch_vccz .LBB434_22
; %bb.21:
	s_mul_hi_i32 s0, s30, s18
	s_mul_i32 s1, s30, s18
	s_ashr_i32 s18, s53, 31
	s_add_u32 s28, s1, s53
	s_addc_u32 s29, s0, s18
	s_cbranch_execz .LBB434_23
	s_branch .LBB434_24
.LBB434_22:
                                        ; implicit-def: $sgpr28_sgpr29
.LBB434_23:
	s_mul_i32 s1, s53, s16
	s_mul_hi_i32 s0, s53, s16
	s_add_u32 s28, s1, s30
	s_addc_u32 s29, s0, s3
.LBB434_24:
	s_add_i32 s16, s50, s54
	s_add_u32 s0, s56, s30
	v_lshlrev_b32_e32 v22, 5, v69
	v_lshlrev_b32_e32 v38, 2, v66
	s_addc_u32 s1, s55, s3
	s_mov_b32 s3, 0x7060302
	v_or_b32_e32 v25, v22, v38
	v_xor_b32_e32 v23, v69, v38
	s_waitcnt vmcnt(3)
	v_perm_b32 v19, v5, v4, s3
	v_perm_b32 v18, v3, v2, s3
	s_waitcnt vmcnt(2)
	v_perm_b32 v21, v9, v8, s3
	v_perm_b32 v20, v7, v6, s3
	v_lshlrev_b32_e32 v25, 1, v25
	v_xor_b32_e32 v24, v70, v38
	ds_write2st64_b64 v25, v[18:19], v[20:21] offset0:80 offset1:88
	v_lshlrev_b32_e32 v23, 1, v23
	v_lshlrev_b32_e32 v25, 8, v66
	s_lshl_b64 s[24:25], s[0:1], 8
	v_or_b32_e32 v26, v23, v25
	v_lshlrev_b32_e32 v24, 1, v24
	s_add_u32 s0, s6, s24
	ds_write_b64 v26, v[18:19]
	v_or_b32_e32 v18, v24, v25
	s_addc_u32 s1, s7, s25
	ds_write_b64 v18, v[20:21]
	s_waitcnt vmcnt(1)
	v_perm_b32 v19, v13, v12, s3
	v_perm_b32 v18, v11, v10, s3
	s_waitcnt vmcnt(0)
	v_perm_b32 v21, v17, v16, s3
	v_perm_b32 v20, v15, v14, s3
	v_or_b32_e32 v25, 16, v66
	s_mul_hi_i32 s3, s16, s17
	s_mul_i32 s16, s16, s17
	v_lshlrev_b32_e32 v35, 2, v25
	s_add_u32 s6, s16, s49
	v_or_b32_e32 v22, v22, v35
	s_addc_u32 s7, s3, s51
	v_lshlrev_b32_e32 v22, 1, v22
	s_ashr_i32 s3, s2, 31
	s_lshl_b64 s[6:7], s[6:7], 15
	ds_write2st64_b64 v22, v[18:19], v[20:21] offset0:80 offset1:88
	v_lshlrev_b32_e32 v22, 8, v25
	s_add_u32 s6, s22, s6
	v_or_b32_e32 v23, v23, v22
	s_addc_u32 s7, s23, s7
	s_lshl_b64 s[2:3], s[2:3], 8
	ds_write_b64 v23, v[18:19]
	v_or_b32_e32 v18, v24, v22
	s_add_u32 s2, s6, s2
	ds_write_b64 v18, v[20:21]
	v_lshrrev_b32_e32 v18, 4, v0
	s_addc_u32 s3, s7, s3
	v_lshlrev_b32_e32 v19, 1, v66
	v_lshlrev_b32_e32 v26, 4, v66
	v_mov_b32_e32 v27, 0
	v_or_b32_e32 v20, 1, v19
	v_xor_b32_e32 v19, v18, v19
	v_lshl_add_u64 v[28:29], s[2:3], 0, v[26:27]
	v_lshlrev_b32_e32 v26, 8, v18
	v_xor_b32_e32 v22, v20, v18
	v_lshl_or_b32 v18, v19, 3, v26
	s_waitcnt lgkmcnt(0)
	s_barrier
	ds_read2st64_b64 v[18:21], v18 offset1:8
	v_lshl_or_b32 v22, v22, 3, v26
	ds_read2st64_b64 v[22:25], v22 offset1:8
	v_lshl_add_u64 v[30:31], v[28:29], 0, v[26:27]
	s_movk_i32 s2, 0x1000
	s_waitcnt lgkmcnt(1)
	v_mov_b32_e32 v26, v18
	v_add_co_u32_e32 v18, vcc, s2, v30
	s_cmp_lg_u32 s31, 64
	v_mov_b32_e32 v27, v19
	v_addc_co_u32_e32 v19, vcc, 0, v31, vcc
	s_cselect_b64 s[6:7], -1, 0
	v_lshl_or_b32 v42, v1, 3, v68
	s_waitcnt lgkmcnt(0)
	v_mov_b32_e32 v28, v22
	v_mov_b32_e32 v29, v23
	;; [unrolled: 1-line block ×4, first 2 shown]
	s_mov_b32 s20, 0
	v_or_b32_e32 v36, 32, v42
	v_and_b32_e32 v34, 56, v67
	s_and_b64 vcc, exec, s[6:7]
	global_store_dwordx4 v[30:31], v[26:29], off
	global_store_dwordx4 v[18:19], v[22:25], off
	s_cbranch_vccz .LBB434_30
; %bb.25:
	s_mov_b32 s22, s20
	s_mov_b32 s23, s20
	;; [unrolled: 1-line block ×3, first 2 shown]
	v_mov_b64_e32 v[24:25], s[22:23]
	v_mov_b64_e32 v[22:23], s[20:21]
	;; [unrolled: 1-line block ×3, first 2 shown]
	v_cmp_gt_i32_e32 vcc, s31, v42
	v_mov_b64_e32 v[20:21], v[24:25]
	s_and_saveexec_b64 s[2:3], vcc
	s_cbranch_execz .LBB434_27
; %bb.26:
	v_lshlrev_b32_e32 v18, 8, v42
	v_mov_b32_e32 v19, 0
	v_lshl_add_u64 v[20:21], s[0:1], 0, v[18:19]
	v_lshlrev_b32_e32 v18, 1, v34
	v_lshl_add_u64 v[26:27], v[20:21], 0, v[18:19]
	global_load_dwordx4 v[22:25], v[26:27], off
	global_load_dwordx4 v[18:21], v[26:27], off offset:128
.LBB434_27:
	s_or_b64 exec, exec, s[2:3]
	s_mov_b32 s22, s20
	s_mov_b32 s23, s20
	;; [unrolled: 1-line block ×3, first 2 shown]
	v_mov_b64_e32 v[32:33], s[22:23]
	v_mov_b64_e32 v[30:31], s[20:21]
	;; [unrolled: 1-line block ×3, first 2 shown]
	v_cmp_gt_i32_e32 vcc, s31, v36
	v_lshlrev_b32_e32 v37, 7, v36
	v_mov_b64_e32 v[28:29], v[32:33]
	s_and_saveexec_b64 s[2:3], vcc
	s_cbranch_execz .LBB434_29
; %bb.28:
	v_lshlrev_b32_e32 v26, 1, v37
	v_mov_b32_e32 v27, 0
	v_lshl_add_u64 v[28:29], s[0:1], 0, v[26:27]
	v_lshlrev_b32_e32 v26, 1, v34
	v_lshl_add_u64 v[40:41], v[28:29], 0, v[26:27]
	global_load_dwordx4 v[30:33], v[40:41], off
	global_load_dwordx4 v[26:29], v[40:41], off offset:128
.LBB434_29:
	s_or_b64 exec, exec, s[2:3]
	v_lshrrev_b32_e32 v39, 3, v34
	v_lshlrev_b32_e32 v40, 3, v42
	v_or_b32_e32 v39, v40, v39
	v_lshlrev_b32_e32 v39, 4, v39
	v_and_b32_e32 v40, 0x78, v40
	v_xor_b32_e32 v39, v39, v40
	s_branch .LBB434_32
.LBB434_30:
                                        ; implicit-def: $vgpr39
                                        ; implicit-def: $vgpr37
                                        ; implicit-def: $vgpr22_vgpr23_vgpr24_vgpr25
                                        ; implicit-def: $vgpr18_vgpr19_vgpr20_vgpr21
                                        ; implicit-def: $vgpr30_vgpr31_vgpr32_vgpr33
                                        ; implicit-def: $vgpr26_vgpr27_vgpr28_vgpr29
	s_cbranch_execz .LBB434_32
; %bb.31:
	s_waitcnt vmcnt(0)
	v_lshlrev_b32_e32 v18, 1, v34
	v_lshl_or_b32 v37, v42, 8, v18
	s_and_b32 s1, s1, 0xffff
	s_mov_b32 s3, 0x20000
	s_movk_i32 s2, 0x4000
	v_lshl_or_b32 v39, v36, 8, v18
	s_movk_i32 s16, 0x80
	buffer_load_dwordx4 v[22:25], v37, s[0:3], 0 offen
	buffer_load_dwordx4 v[18:21], v37, s[0:3], s16 offen
	;; [unrolled: 1-line block ×4, first 2 shown]
	v_lshrrev_b32_e32 v37, 3, v34
	v_lshlrev_b32_e32 v39, 3, v42
	v_or_b32_e32 v37, v39, v37
	v_lshlrev_b32_e32 v37, 4, v37
	v_and_b32_e32 v39, 0x78, v39
	v_xor_b32_e32 v39, v37, v39
	v_lshlrev_b32_e32 v37, 7, v36
.LBB434_32:
	s_lshl_b64 s[0:1], s[28:29], 8
	s_add_u32 s4, s4, s0
	s_movk_i32 s0, 0x1000
	v_and_or_b32 v36, v37, s0, v39
	s_waitcnt vmcnt(1)
	ds_write_b64 v39, v[22:23] offset:24576
	v_xor_b32_e32 v22, 8, v39
	ds_write_b64 v22, v[24:25] offset:24576
	s_waitcnt vmcnt(0)
	ds_write_b64 v39, v[18:19] offset:32768
	ds_write_b64 v22, v[20:21] offset:32768
	;; [unrolled: 1-line block ×3, first 2 shown]
	v_xor_b32_e32 v18, 8, v36
	ds_write_b64 v18, v[32:33] offset:24576
	ds_write_b64 v36, v[26:27] offset:32768
	;; [unrolled: 1-line block ×3, first 2 shown]
	v_or_b32_e32 v18, v64, v66
	v_lshlrev_b32_e32 v18, 3, v18
	v_lshrrev_b32_e32 v19, 5, v51
	s_movk_i32 s3, 0xf8
	v_and_or_b32 v19, v18, s3, v19
	v_lshlrev_b32_e32 v23, 4, v19
	v_lshlrev_b32_e32 v39, 11, v1
	v_and_b32_e32 v24, 0x78, v18
	v_or_b32_e32 v26, 32, v23
	v_and_b32_e32 v22, 0x1000, v39
	v_lshrrev_b32_e32 v19, 1, v51
	v_xor_b32_e32 v26, v26, v24
	v_xor_b32_e32 v18, v23, v24
	v_and_b32_e32 v25, 8, v19
	v_or_b32_e32 v26, v26, v22
	v_or_b32_e32 v18, v18, v22
	v_xor_b32_e32 v44, v26, v25
	v_or_b32_e32 v26, 64, v23
	v_xor_b32_e32 v43, v18, v25
	v_xor_b32_e32 v26, v26, v24
	s_waitcnt lgkmcnt(0)
	s_barrier
	v_or_b32_e32 v28, v26, v22
	ds_read_b64 v[26:27], v43 offset:24576
	v_lshl_or_b32 v36, v65, 7, v38
	v_lshlrev_b32_e32 v40, 1, v36
	v_add_u32_e32 v18, 0xa000, v40
	ds_read2_b64 v[18:21], v18 offset1:16
	v_or_b32_e32 v23, 0x60, v23
	v_xor_b32_e32 v23, v23, v24
	s_waitcnt lgkmcnt(0)
	v_mfma_f32_16x16x16_bf16 a[0:3], v[26:27], v[18:19], 0
	v_or_b32_e32 v18, 64, v36
	v_or_b32_e32 v22, v23, v22
	v_lshlrev_b32_e32 v41, 1, v18
	v_xor_b32_e32 v45, v28, v25
	v_xor_b32_e32 v46, v22, v25
	ds_read_b64 v[28:29], v44 offset:24576
	ds_read_b64 v[30:31], v45 offset:24576
	;; [unrolled: 1-line block ×3, first 2 shown]
	v_mfma_f32_16x16x16_bf16 a[4:7], v[26:27], v[20:21], 0
	ds_read2st64_b64 v[18:21], v41 offset0:82 offset1:84
	ds_read2st64_b64 v[22:25], v40 offset0:82 offset1:84
	s_addc_u32 s5, s5, s1
	s_add_i32 s1, s45, s33
	s_add_i32 s0, s37, -1
	s_add_i32 s39, s1, s46
	s_add_i32 s1, s47, s44
	s_add_i32 s41, s1, s48
	s_ashr_i32 s1, s0, 31
	s_mul_i32 s2, s0, s35
	s_mul_hi_u32 s3, s0, s34
	s_add_i32 s2, s3, s2
	s_mul_i32 s1, s1, s34
	s_waitcnt lgkmcnt(1)
	v_mfma_f32_16x16x16_bf16 a[4:7], v[28:29], v[18:19], a[4:7]
	s_add_i32 s1, s2, s1
	s_lshl_b64 s[2:3], s[38:39], 2
	s_add_u32 s10, s10, s2
	s_waitcnt lgkmcnt(0)
	v_mfma_f32_16x16x16_bf16 a[0:3], v[28:29], v[22:23], a[0:3]
	s_addc_u32 s11, s11, s3
	s_lshl_b64 s[2:3], s[40:41], 2
	s_mul_i32 s0, s0, s34
	s_add_u32 s10, s10, s2
	ds_read_b64 v[18:19], v40 offset:44032
	v_mfma_f32_16x16x16_bf16 a[4:7], v[30:31], v[20:21], a[4:7]
	ds_read_b64 v[20:21], v41 offset:44032
	s_addc_u32 s11, s11, s3
	s_lshl_b64 s[0:1], s[0:1], 2
	v_mfma_f32_16x16x16_bf16 a[0:3], v[30:31], v[24:25], a[0:3]
	s_add_u32 s0, s10, s0
	s_addc_u32 s1, s11, s1
	s_load_dword s16, s[0:1], 0x0
	s_waitcnt lgkmcnt(0)
	v_mfma_f32_16x16x16_bf16 a[0:3], v[32:33], v[18:19], a[0:3]
	s_and_b64 vcc, exec, s[26:27]
	v_mfma_f32_16x16x16_bf16 a[4:7], v[32:33], v[20:21], a[4:7]
	s_cbranch_vccz .LBB434_43
; %bb.33:
	v_lshlrev_b32_e32 v36, 1, v42
	s_and_b64 vcc, exec, s[6:7]
	s_cbranch_vccz .LBB434_44
; %bb.34:
	v_cmp_gt_i32_e32 vcc, s31, v36
	v_mov_b32_e32 v22, 0
	v_mov_b32_e32 v18, 0
	;; [unrolled: 1-line block ×5, first 2 shown]
	s_and_saveexec_b64 s[0:1], vcc
	s_cbranch_execz .LBB434_36
; %bb.35:
	v_mad_i64_i32 v[18:19], s[2:3], s19, v36, 0
	v_lshl_add_u64 v[18:19], v[18:19], 1, s[4:5]
	v_lshlrev_b32_e32 v20, 1, v34
	v_mov_b32_e32 v21, 0
	v_lshl_add_u64 v[18:19], v[18:19], 0, v[20:21]
	global_load_dwordx4 v[18:21], v[18:19], off
.LBB434_36:
	s_or_b64 exec, exec, s[0:1]
	v_or_b32_e32 v37, 1, v36
	v_cmp_gt_i32_e64 s[0:1], s31, v37
	v_mov_b32_e32 v23, 0
	v_mov_b32_e32 v24, 0
	;; [unrolled: 1-line block ×3, first 2 shown]
	s_and_saveexec_b64 s[2:3], s[0:1]
	s_cbranch_execz .LBB434_38
; %bb.37:
	v_mad_i64_i32 v[22:23], s[20:21], s19, v37, 0
	v_lshl_add_u64 v[22:23], v[22:23], 1, s[4:5]
	v_lshlrev_b32_e32 v24, 1, v34
	v_mov_b32_e32 v25, 0
	v_lshl_add_u64 v[22:23], v[22:23], 0, v[24:25]
	global_load_dwordx4 v[22:25], v[22:23], off
.LBB434_38:
	s_or_b64 exec, exec, s[2:3]
	v_mov_b32_e32 v33, 0
	v_mov_b32_e32 v26, 0
	;; [unrolled: 1-line block ×5, first 2 shown]
	s_and_saveexec_b64 s[2:3], vcc
	s_cbranch_execz .LBB434_40
; %bb.39:
	v_mad_i64_i32 v[26:27], s[20:21], s19, v36, 0
	v_lshl_add_u64 v[26:27], v[26:27], 1, s[4:5]
	v_lshlrev_b32_e32 v28, 1, v34
	v_mov_b32_e32 v29, 0
	v_lshl_add_u64 v[26:27], v[26:27], 0, v[28:29]
	global_load_dwordx4 v[26:29], v[26:27], off offset:128
.LBB434_40:
	s_or_b64 exec, exec, s[2:3]
	v_mov_b32_e32 v32, 0
	v_mov_b32_e32 v31, 0
	;; [unrolled: 1-line block ×3, first 2 shown]
	s_and_saveexec_b64 s[2:3], s[0:1]
	s_cbranch_execz .LBB434_42
; %bb.41:
	v_mad_i64_i32 v[30:31], s[0:1], s19, v37, 0
	v_lshl_add_u64 v[30:31], v[30:31], 1, s[4:5]
	v_lshlrev_b32_e32 v32, 1, v34
	v_mov_b32_e32 v33, 0
	v_lshl_add_u64 v[30:31], v[30:31], 0, v[32:33]
	global_load_dwordx4 v[30:33], v[30:31], off offset:128
.LBB434_42:
	s_or_b64 exec, exec, s[2:3]
	s_branch .LBB434_46
.LBB434_43:
                                        ; implicit-def: $vgpr21
                                        ; implicit-def: $vgpr25
                                        ; implicit-def: $vgpr29
                                        ; implicit-def: $vgpr33
	v_lshrrev_b32_e32 v47, 2, v51
	s_branch .LBB434_47
.LBB434_44:
                                        ; implicit-def: $vgpr21
                                        ; implicit-def: $vgpr25
                                        ; implicit-def: $vgpr29
                                        ; implicit-def: $vgpr33
	s_cbranch_execz .LBB434_46
; %bb.45:
	s_waitcnt vmcnt(0)
	v_mad_u64_u32 v[18:19], s[0:1], v36, s19, v[34:35]
	v_lshlrev_b32_e32 v36, 1, v18
	s_lshl_b32 s2, s19, 7
	s_and_b32 s1, s5, 0xffff
	s_mov_b32 s3, 0x20000
	s_mov_b32 s0, s4
	v_add_lshl_u32 v37, v18, s19, 1
	s_movk_i32 s17, 0x80
	buffer_load_dwordx4 v[18:21], v36, s[0:3], 0 offen
	buffer_load_dwordx4 v[26:29], v36, s[0:3], s17 offen
	;; [unrolled: 1-line block ×4, first 2 shown]
.LBB434_46:
	v_lshrrev_b32_e32 v47, 2, v51
	s_cbranch_execnz .LBB434_59
.LBB434_47:
	s_and_b64 vcc, exec, s[6:7]
	s_cbranch_vccz .LBB434_57
; %bb.48:
	s_waitcnt vmcnt(0)
	v_lshlrev_b32_e32 v23, 1, v42
	v_cmp_gt_i32_e32 vcc, s31, v23
	v_mov_b32_e32 v22, 0
	v_lshlrev_b32_e32 v30, 9, v42
	v_mov_b32_e32 v18, 0
	v_mov_b32_e32 v19, 0
	;; [unrolled: 1-line block ×4, first 2 shown]
	s_and_saveexec_b64 s[0:1], vcc
	s_cbranch_execz .LBB434_50
; %bb.49:
	v_mov_b32_e32 v31, 0
	v_lshl_add_u64 v[18:19], s[4:5], 0, v[30:31]
	v_lshlrev_b32_e32 v20, 1, v34
	v_mov_b32_e32 v21, v31
	v_lshl_add_u64 v[18:19], v[18:19], 0, v[20:21]
	global_load_dwordx4 v[18:21], v[18:19], off
.LBB434_50:
	s_or_b64 exec, exec, s[0:1]
	v_or_b32_e32 v23, 1, v23
	v_cmp_gt_i32_e64 s[0:1], s31, v23
	v_lshlrev_b32_e32 v36, 8, v23
	v_mov_b32_e32 v23, 0
	v_mov_b32_e32 v24, 0
	v_mov_b32_e32 v25, 0
	s_and_saveexec_b64 s[2:3], s[0:1]
	s_cbranch_execz .LBB434_52
; %bb.51:
	v_mov_b32_e32 v37, 0
	v_lshl_add_u64 v[22:23], s[4:5], 0, v[36:37]
	v_lshlrev_b32_e32 v24, 1, v34
	v_mov_b32_e32 v25, v37
	v_lshl_add_u64 v[22:23], v[22:23], 0, v[24:25]
	global_load_dwordx4 v[22:25], v[22:23], off
.LBB434_52:
	s_or_b64 exec, exec, s[2:3]
	v_mov_b32_e32 v33, 0
	v_mov_b32_e32 v26, 0
	;; [unrolled: 1-line block ×5, first 2 shown]
	s_and_saveexec_b64 s[2:3], vcc
	s_cbranch_execz .LBB434_54
; %bb.53:
	v_mov_b32_e32 v31, 0
	v_lshl_add_u64 v[26:27], s[4:5], 0, v[30:31]
	v_lshlrev_b32_e32 v30, 1, v34
	v_lshl_add_u64 v[26:27], v[26:27], 0, v[30:31]
	global_load_dwordx4 v[26:29], v[26:27], off offset:128
.LBB434_54:
	s_or_b64 exec, exec, s[2:3]
	v_mov_b32_e32 v32, 0
	v_mov_b32_e32 v31, 0
	;; [unrolled: 1-line block ×3, first 2 shown]
	s_and_saveexec_b64 s[2:3], s[0:1]
	s_cbranch_execz .LBB434_56
; %bb.55:
	v_mov_b32_e32 v37, 0
	v_lshl_add_u64 v[30:31], s[4:5], 0, v[36:37]
	v_lshlrev_b32_e32 v36, 1, v34
	v_lshl_add_u64 v[30:31], v[30:31], 0, v[36:37]
	global_load_dwordx4 v[30:33], v[30:31], off offset:128
.LBB434_56:
	s_or_b64 exec, exec, s[2:3]
	s_branch .LBB434_59
.LBB434_57:
                                        ; implicit-def: $vgpr21
                                        ; implicit-def: $vgpr25
                                        ; implicit-def: $vgpr29
                                        ; implicit-def: $vgpr33
	s_cbranch_execz .LBB434_59
; %bb.58:
	s_waitcnt vmcnt(0)
	v_lshlrev_b32_e32 v18, 1, v34
	v_lshl_or_b32 v34, v42, 9, v18
	s_and_b32 s5, s5, 0xffff
	s_mov_b32 s7, 0x20000
	s_movk_i32 s6, 0x4000
	s_movk_i32 s0, 0x80
	buffer_load_dwordx4 v[18:21], v34, s[4:7], 0 offen
	buffer_load_dwordx4 v[22:25], v34, s[4:7], 0 offen offset:256
	buffer_load_dwordx4 v[26:29], v34, s[4:7], s0 offen
	buffer_load_dwordx4 v[30:33], v34, s[4:7], s0 offen offset:256
.LBB434_59:
	ds_read_b64 v[36:37], v43 offset:32768
	v_add_u32_e32 v34, 0xb000, v40
	ds_read2_b64 v[58:61], v34 offset1:16
	ds_read_b64 v[48:49], v44 offset:32768
	ds_read_b64 v[44:45], v45 offset:32768
	;; [unrolled: 1-line block ×3, first 2 shown]
	v_and_b32_e32 v34, 6, v0
	v_xor_b32_e32 v42, v42, v34
	v_lshlrev_b32_e32 v42, 2, v42
	v_and_b32_e32 v43, 1, v0
	v_xor_b32_e32 v46, 0x440, v42
	v_cmp_eq_u32_e32 vcc, 0, v43
	s_waitcnt lgkmcnt(3)
	v_mfma_f32_16x16x16_bf16 a[0:3], v[36:37], v[58:59], a[0:3]
	s_mov_b32 s0, 0x1000504
	v_cndmask_b32_e32 v42, v46, v42, vcc
	v_lshl_or_b32 v34, v34, 10, v42
	v_mfma_f32_16x16x16_bf16 a[4:7], v[36:37], v[60:61], a[4:7]
	ds_read2st64_b64 v[58:61], v40 offset0:90 offset1:92
	ds_read2st64_b64 v[66:69], v41 offset0:90 offset1:92
	s_waitcnt vmcnt(0)
	v_perm_b32 v42, v18, v22, s0
	s_mov_b32 s1, 0x3020706
	s_waitcnt lgkmcnt(1)
	v_mfma_f32_16x16x16_bf16 a[0:3], v[48:49], v[58:59], a[0:3]
	ds_read_b64 v[36:37], v40 offset:48128
	ds_read_b64 v[58:59], v41 offset:48128
	v_perm_b32 v18, v18, v22, s1
	v_perm_b32 v22, v26, v30, s1
	s_waitcnt lgkmcnt(2)
	v_mfma_f32_16x16x16_bf16 a[4:7], v[48:49], v[66:67], a[4:7]
	v_mfma_f32_16x16x16_bf16 a[0:3], v[44:45], v[60:61], a[0:3]
	;; [unrolled: 1-line block ×3, first 2 shown]
	s_waitcnt lgkmcnt(1)
	v_mfma_f32_16x16x16_bf16 a[4:7], v[62:63], v[36:37], a[0:3]
	v_perm_b32 v36, v26, v30, s0
	ds_write2st64_b32 v34, v42, v36 offset0:32 offset1:64
	v_xor_b32_e32 v36, 8, v34
	v_add_u32_e32 v26, 0x80, v36
	ds_write2st64_b32 v26, v18, v22 offset0:32 offset1:64
	v_xor_b32_e32 v18, 16, v34
	v_perm_b32 v22, v19, v23, s0
	v_perm_b32 v26, v27, v31, s0
	ds_write2st64_b32 v18, v22, v26 offset0:33 offset1:65
	v_xor_b32_e32 v18, 24, v34
	v_perm_b32 v19, v19, v23, s1
	v_perm_b32 v22, v27, v31, s1
	v_add_u32_e32 v18, 0x80, v18
	ds_write2st64_b32 v18, v19, v22 offset0:33 offset1:65
	v_xor_b32_e32 v18, 32, v34
	v_perm_b32 v19, v20, v24, s0
	v_perm_b32 v22, v28, v32, s0
	ds_write2st64_b32 v18, v19, v22 offset0:34 offset1:66
	v_xor_b32_e32 v18, 40, v34
	s_waitcnt lgkmcnt(5)
	v_mfma_f32_16x16x16_bf16 a[0:3], v[62:63], v[58:59], a[8:11]
	v_perm_b32 v19, v20, v24, s1
	v_perm_b32 v20, v28, v32, s1
	v_add_u32_e32 v18, 0x80, v18
	ds_write2st64_b32 v18, v19, v20 offset0:34 offset1:66
	v_xor_b32_e32 v18, 48, v34
	v_perm_b32 v19, v21, v25, s0
	v_perm_b32 v20, v29, v33, s0
	ds_write2st64_b32 v18, v19, v20 offset0:35 offset1:67
	v_xor_b32_e32 v18, 56, v34
	v_and_or_b32 v37, v47, 12, v64
	v_perm_b32 v19, v21, v25, s1
	v_perm_b32 v20, v29, v33, s1
	v_add_u32_e32 v18, 0x80, v18
	v_cmp_gt_i32_e32 vcc, s31, v37
	v_mov_b32_e32 v32, 0
	v_mov_b32_e32 v34, 0
	ds_write2st64_b32 v18, v19, v20 offset0:35 offset1:67
	s_and_saveexec_b64 s[0:1], vcc
	s_cbranch_execz .LBB434_61
; %bb.60:
	v_add_u32_e32 v18, s30, v37
	v_ashrrev_i32_e32 v19, 31, v18
	v_mul_lo_u32 v20, v19, s34
	v_mul_lo_u32 v21, v18, s35
	v_mad_u64_u32 v[18:19], s[2:3], v18, s34, 0
	v_add3_u32 v19, v19, v21, v20
	v_lshl_add_u64 v[18:19], v[18:19], 2, s[10:11]
	global_load_dword v18, v[18:19], off
	s_waitcnt vmcnt(0)
	v_sub_f32_e32 v18, s16, v18
	v_exp_f32_e32 v34, v18
.LBB434_61:
	s_or_b64 exec, exec, s[0:1]
	v_or_b32_e32 v26, 1, v37
	v_cmp_gt_i32_e64 s[0:1], s31, v26
	s_and_saveexec_b64 s[2:3], s[0:1]
	s_cbranch_execz .LBB434_63
; %bb.62:
	v_add_u32_e32 v18, s30, v26
	v_ashrrev_i32_e32 v19, 31, v18
	v_mul_lo_u32 v20, v19, s34
	v_mul_lo_u32 v21, v18, s35
	v_mad_u64_u32 v[18:19], s[4:5], v18, s34, 0
	v_add3_u32 v19, v19, v21, v20
	v_lshl_add_u64 v[18:19], v[18:19], 2, s[10:11]
	global_load_dword v18, v[18:19], off
	s_waitcnt vmcnt(0)
	v_sub_f32_e32 v18, s16, v18
	v_exp_f32_e32 v32, v18
.LBB434_63:
	s_or_b64 exec, exec, s[2:3]
	v_or_b32_e32 v27, 2, v37
	v_cmp_gt_i32_e64 s[2:3], s31, v27
	v_mov_b32_e32 v33, 0
	v_mov_b32_e32 v36, 0
	s_and_saveexec_b64 s[4:5], s[2:3]
	s_cbranch_execz .LBB434_65
; %bb.64:
	v_add_u32_e32 v18, s30, v27
	v_ashrrev_i32_e32 v19, 31, v18
	v_mul_lo_u32 v20, v19, s34
	v_mul_lo_u32 v21, v18, s35
	v_mad_u64_u32 v[18:19], s[6:7], v18, s34, 0
	v_add3_u32 v19, v19, v21, v20
	v_lshl_add_u64 v[18:19], v[18:19], 2, s[10:11]
	global_load_dword v18, v[18:19], off
	s_waitcnt vmcnt(0)
	v_sub_f32_e32 v18, s16, v18
	v_exp_f32_e32 v36, v18
.LBB434_65:
	s_or_b64 exec, exec, s[4:5]
	v_or_b32_e32 v42, 3, v37
	v_cmp_gt_i32_e64 s[4:5], s31, v42
	s_and_saveexec_b64 s[6:7], s[4:5]
	s_cbranch_execz .LBB434_67
; %bb.66:
	v_add_u32_e32 v18, s30, v42
	v_ashrrev_i32_e32 v19, 31, v18
	v_mul_lo_u32 v20, v19, s34
	v_mul_lo_u32 v21, v18, s35
	v_mad_u64_u32 v[18:19], s[18:19], v18, s34, 0
	v_add3_u32 v19, v19, v21, v20
	v_lshl_add_u64 v[18:19], v[18:19], 2, s[10:11]
	global_load_dword v18, v[18:19], off
	s_waitcnt vmcnt(0)
	v_sub_f32_e32 v18, s16, v18
	v_exp_f32_e32 v33, v18
.LBB434_67:
	s_or_b64 exec, exec, s[6:7]
	s_add_u32 s6, s8, s24
	v_accvgpr_read_b32 v21, a7
	s_addc_u32 s7, s9, s25
	v_ashrrev_i32_e32 v57, 31, v56
	v_accvgpr_read_b32 v20, a6
	v_accvgpr_read_b32 v19, a5
	;; [unrolled: 1-line block ×3, first 2 shown]
	v_lshl_add_u64 v[22:23], v[56:57], 1, s[6:7]
	v_mov_b32_e32 v29, 0
	v_lshlrev_b32_e32 v24, 8, v37
	v_mov_b32_e32 v25, 0
	s_and_saveexec_b64 s[6:7], vcc
	s_cbranch_execz .LBB434_69
; %bb.68:
	v_mov_b32_e32 v25, 0
	v_lshl_add_u64 v[30:31], v[22:23], 0, v[24:25]
	global_load_ushort v25, v[30:31], off
	s_waitcnt vmcnt(0)
	v_lshlrev_b32_e32 v25, 16, v25
	v_sub_f32_e32 v18, v25, v18
	v_mul_f32_e32 v18, v34, v18
	v_lshrrev_b32_e32 v25, 16, v18
.LBB434_69:
	s_or_b64 exec, exec, s[6:7]
	v_lshlrev_b32_e32 v28, 8, v26
	s_and_saveexec_b64 s[6:7], s[0:1]
	s_cbranch_execz .LBB434_71
; %bb.70:
	v_mov_b32_e32 v29, 0
	v_lshl_add_u64 v[30:31], v[22:23], 0, v[28:29]
	global_load_ushort v18, v[30:31], off
	s_waitcnt vmcnt(0)
	v_lshlrev_b32_e32 v18, 16, v18
	v_sub_f32_e32 v18, v18, v19
	v_mul_f32_e32 v18, v32, v18
	v_lshrrev_b32_e32 v29, 16, v18
.LBB434_71:
	s_or_b64 exec, exec, s[6:7]
	v_mov_b32_e32 v43, 0
	v_lshlrev_b32_e32 v30, 8, v27
	v_mov_b32_e32 v31, 0
	s_and_saveexec_b64 s[6:7], s[2:3]
	s_cbranch_execz .LBB434_73
; %bb.72:
	v_mov_b32_e32 v31, 0
	v_lshl_add_u64 v[18:19], v[22:23], 0, v[30:31]
	global_load_ushort v18, v[18:19], off
	s_waitcnt vmcnt(0)
	v_lshlrev_b32_e32 v18, 16, v18
	v_sub_f32_e32 v18, v18, v20
	v_mul_f32_e32 v18, v36, v18
	v_lshrrev_b32_e32 v31, 16, v18
.LBB434_73:
	s_or_b64 exec, exec, s[6:7]
	v_lshlrev_b32_e32 v26, 8, v42
	s_and_saveexec_b64 s[6:7], s[4:5]
	s_cbranch_execz .LBB434_75
; %bb.74:
	v_mov_b32_e32 v27, 0
	v_lshl_add_u64 v[18:19], v[22:23], 0, v[26:27]
	global_load_ushort v18, v[18:19], off
	s_waitcnt vmcnt(0)
	v_lshlrev_b32_e32 v18, 16, v18
	v_sub_f32_e32 v18, v18, v21
	v_mul_f32_e32 v18, v33, v18
	v_lshrrev_b32_e32 v43, 16, v18
.LBB434_75:
	s_or_b64 exec, exec, s[6:7]
	v_lshlrev_b32_e32 v37, 5, v37
	s_mov_b32 s6, 0x5040100
	v_perm_b32 v42, v29, v25, s6
	v_or_b32_e32 v25, v37, v38
	v_accvgpr_read_b32 v21, a3
	v_perm_b32 v43, v43, v31, s6
	v_lshlrev_b32_e32 v25, 1, v25
	v_accvgpr_read_b32 v20, a2
	v_accvgpr_read_b32 v19, a1
	;; [unrolled: 1-line block ×3, first 2 shown]
	ds_write_b64 v25, v[42:43] offset:45056
	v_mov_b32_e32 v29, 0
	v_mov_b32_e32 v25, 0
	s_and_saveexec_b64 s[6:7], vcc
	s_cbranch_execz .LBB434_77
; %bb.76:
	v_mov_b32_e32 v25, 0
	v_lshl_add_u64 v[24:25], v[22:23], 0, v[24:25]
	global_load_ushort v24, v[24:25], off offset:32
	s_waitcnt vmcnt(0)
	v_lshlrev_b32_e32 v24, 16, v24
	v_sub_f32_e32 v18, v24, v18
	v_mul_f32_e32 v18, v34, v18
	v_lshrrev_b32_e32 v25, 16, v18
.LBB434_77:
	s_or_b64 exec, exec, s[6:7]
	s_and_saveexec_b64 s[6:7], s[0:1]
	s_cbranch_execz .LBB434_79
; %bb.78:
	v_mov_b32_e32 v29, 0
	v_lshl_add_u64 v[28:29], v[22:23], 0, v[28:29]
	global_load_ushort v18, v[28:29], off offset:32
	s_waitcnt vmcnt(0)
	v_lshlrev_b32_e32 v18, 16, v18
	v_sub_f32_e32 v18, v18, v19
	v_mul_f32_e32 v18, v32, v18
	v_lshrrev_b32_e32 v29, 16, v18
.LBB434_79:
	s_or_b64 exec, exec, s[6:7]
	v_mov_b32_e32 v24, 0
	v_mov_b32_e32 v28, 0
	s_and_saveexec_b64 s[0:1], s[2:3]
	s_cbranch_execz .LBB434_81
; %bb.80:
	v_mov_b32_e32 v31, 0
	v_lshl_add_u64 v[18:19], v[22:23], 0, v[30:31]
	global_load_ushort v18, v[18:19], off offset:32
	s_waitcnt vmcnt(0)
	v_lshlrev_b32_e32 v18, 16, v18
	v_sub_f32_e32 v18, v18, v20
	v_mul_f32_e32 v18, v36, v18
	v_lshrrev_b32_e32 v28, 16, v18
.LBB434_81:
	s_or_b64 exec, exec, s[0:1]
	v_or_b32_e32 v19, 0xb000, v40
	v_or_b32_e32 v18, 0xb000, v41
	s_and_saveexec_b64 s[0:1], s[4:5]
	s_cbranch_execz .LBB434_83
; %bb.82:
	v_mov_b32_e32 v27, 0
	v_lshl_add_u64 v[22:23], v[22:23], 0, v[26:27]
	global_load_ushort v20, v[22:23], off offset:32
	s_waitcnt vmcnt(0)
	v_lshlrev_b32_e32 v20, 16, v20
	v_sub_f32_e32 v20, v20, v21
	v_mul_f32_e32 v20, v33, v20
	v_lshrrev_b32_e32 v24, 16, v20
.LBB434_83:
	s_or_b64 exec, exec, s[0:1]
	s_mov_b32 s0, 0x5040100
	v_or_b32_e32 v22, v37, v35
	v_perm_b32 v21, v24, v28, s0
	v_perm_b32 v20, v29, v25, s0
	v_lshlrev_b32_e32 v22, 1, v22
	s_movk_i32 s0, 0x100
	ds_write_b64 v22, v[20:21] offset:45056
	v_and_b32_e32 v20, 7, v0
	v_and_b32_e32 v21, 8, v0
	v_cmp_gt_u32_e32 vcc, s0, v0
	v_lshrrev_b32_e32 v0, 1, v0
	v_lshlrev_b32_e32 v37, 3, v1
	v_and_b32_e32 v38, 24, v0
	v_lshlrev_b32_e32 v34, 3, v20
	v_lshlrev_b32_e32 v35, 7, v20
	v_mov_b32_e32 v20, 0x4000
	v_mov_b32_e32 v22, 0x2000
	v_xor_b32_e32 v0, v37, v38
	v_cndmask_b32_e32 v36, v20, v22, vcc
	v_or_b32_e32 v1, 0x440, v0
	v_cmp_eq_u32_e32 vcc, 0, v21
	s_waitcnt lgkmcnt(0)
	s_barrier
	v_cndmask_b32_e32 v0, v1, v0, vcc
	v_or_b32_e32 v0, v0, v39
	v_xad_u32 v40, v0, v34, v35
	v_add_u32_e32 v0, v36, v40
	ds_read_b64 v[0:1], v0
	ds_read2_b64 v[20:23], v19 offset1:16
	v_or_b32_e32 v24, 32, v38
	v_xor_b32_e32 v24, v37, v24
	v_or_b32_e32 v25, 0x440, v24
	v_cndmask_b32_e32 v24, v25, v24, vcc
	s_waitcnt lgkmcnt(0)
	v_mfma_f32_16x16x16_bf16 a[0:3], v[0:1], v[20:21], 0
	v_or_b32_e32 v24, v24, v39
	v_xad_u32 v41, v24, v34, v35
	v_add_u32_e32 v24, v36, v41
	v_mfma_f32_16x16x16_bf16 a[4:7], v[0:1], v[22:23], 0
	v_or_b32_e32 v0, 64, v38
	v_xor_b32_e32 v0, v37, v0
	v_xor_b32_e32 v1, 0x440, v0
	ds_read_b64 v[32:33], v24
	v_cndmask_b32_e32 v0, v1, v0, vcc
	v_or_b32_e32 v0, v0, v39
	v_xad_u32 v42, v0, v34, v35
	v_add_u32_e32 v0, v36, v42
	ds_read_b64 v[0:1], v0
	ds_read2st64_b64 v[24:27], v19 offset0:2 offset1:4
	ds_read2st64_b64 v[28:31], v18 offset0:2 offset1:4
	s_waitcnt lgkmcnt(1)
	v_mfma_f32_16x16x16_bf16 a[0:3], v[32:33], v[24:25], a[0:3]
	s_waitcnt lgkmcnt(0)
	v_mfma_f32_16x16x16_bf16 a[4:7], v[32:33], v[28:29], a[4:7]
	v_or_b32_e32 v32, 0x60, v38
	v_xor_b32_e32 v32, v37, v32
	v_xor_b32_e32 v33, 0x440, v32
	v_cndmask_b32_e32 v32, v33, v32, vcc
	v_or_b32_e32 v32, v32, v39
	v_xad_u32 v37, v32, v34, v35
	v_add_u32_e32 v32, v36, v37
	ds_read_b64 v[32:33], v32
	v_mfma_f32_16x16x16_bf16 a[0:3], v[0:1], v[26:27], a[0:3]
	v_exp_f32_e32 v36, s16
	v_mfma_f32_16x16x16_bf16 a[4:7], v[0:1], v[30:31], a[4:7]
	ds_read_b64 v[0:1], v19 offset:3072
	ds_read_b64 v[34:35], v18 offset:3072
	;; [unrolled: 1-line block ×3, first 2 shown]
	s_waitcnt lgkmcnt(0)
	v_mfma_f32_16x16x16_bf16 a[8:11], v[18:19], v[20:21], 0
	ds_read_b64 v[20:21], v41 offset:16384
	v_mfma_f32_16x16x16_bf16 a[0:3], v[32:33], v[0:1], a[0:3]
	v_mfma_f32_16x16x16_bf16 a[12:15], v[18:19], v[22:23], 0
	ds_read_b64 v[22:23], v42 offset:16384
	s_nop 4
	v_accvgpr_read_b32 v18, a0
	v_fma_f32 v18, v2, v36, v18
	v_accvgpr_read_b32 v2, a1
	v_fma_f32 v19, v3, v36, v2
	v_accvgpr_read_b32 v2, a2
	s_waitcnt lgkmcnt(1)
	v_mfma_f32_16x16x16_bf16 a[8:11], v[20:21], v[24:25], a[8:11]
	v_mfma_f32_16x16x16_bf16 a[12:15], v[20:21], v[28:29], a[12:15]
	v_fma_f32 v20, v4, v36, v2
	ds_read_b64 v[2:3], v37 offset:16384
	v_accvgpr_read_b32 v21, a3
	s_waitcnt lgkmcnt(1)
	v_mfma_f32_16x16x16_bf16 a[0:3], v[22:23], v[26:27], a[8:11]
	v_fmac_f32_e32 v21, v5, v36
	v_mfma_f32_16x16x16_bf16 a[4:7], v[32:33], v[34:35], a[4:7]
	v_mfma_f32_16x16x16_bf16 a[8:11], v[22:23], v[30:31], a[12:15]
	s_waitcnt lgkmcnt(0)
	v_mfma_f32_16x16x16_bf16 a[0:3], v[2:3], v[0:1], a[0:3]
	s_nop 3
	v_accvgpr_read_b32 v4, a4
	v_fma_f32 v26, v10, v36, v4
	v_accvgpr_read_b32 v4, a5
	v_fma_f32 v27, v11, v36, v4
	v_accvgpr_read_b32 v4, a6
	v_accvgpr_read_b32 v29, a7
	v_mfma_f32_16x16x16_bf16 a[4:7], v[2:3], v[34:35], a[8:11]
	v_accvgpr_read_b32 v0, a0
	v_fma_f32 v22, v6, v36, v0
	v_accvgpr_read_b32 v0, a1
	v_fma_f32 v23, v7, v36, v0
	;; [unrolled: 2-line block ×3, first 2 shown]
	v_accvgpr_read_b32 v25, a3
	v_accvgpr_read_b32 v0, a4
	v_fma_f32 v30, v14, v36, v0
	v_accvgpr_read_b32 v0, a5
	v_fma_f32 v31, v15, v36, v0
	v_accvgpr_read_b32 v0, a6
	v_accvgpr_read_b32 v33, a7
	v_fma_f32 v28, v12, v36, v4
	v_fmac_f32_e32 v29, v13, v36
	v_fmac_f32_e32 v25, v9, v36
	v_fma_f32 v32, v16, v36, v0
	v_fmac_f32_e32 v33, v17, v36
	v_mov_b64_e32 v[2:3], v[18:19]
	v_mov_b64_e32 v[4:5], v[20:21]
	;; [unrolled: 1-line block ×8, first 2 shown]
.LBB434_84:
	s_add_u32 s0, s12, s14
	s_addc_u32 s1, s13, s15
	v_lshl_add_u64 v[0:1], v[52:53], 2, s[0:1]
	v_mov_b32_e32 v51, 0
	v_lshl_add_u64 v[0:1], v[0:1], 0, v[50:51]
	s_waitcnt vmcnt(3)
	global_store_dwordx4 v[0:1], v[2:5], off
	s_waitcnt vmcnt(3)
	global_store_dwordx4 v[0:1], v[6:9], off offset:256
	v_lshl_add_u64 v[0:1], v[54:55], 2, s[0:1]
	v_lshl_add_u64 v[0:1], v[0:1], 0, v[50:51]
	s_waitcnt vmcnt(3)
	global_store_dwordx4 v[0:1], v[10:13], off
	s_waitcnt vmcnt(3)
	global_store_dwordx4 v[0:1], v[14:17], off offset:256
	s_endpgm
	.section	.rodata,"a",@progbits
	.p2align	6, 0x0
	.amdhsa_kernel _ZN12_GLOBAL__N_139chunk_gated_delta_rule_fwd_h_hip_kernelILi32ELb1ELb1ELb0ELb1ELb1ELb0ELb0ELb0EEEvPK12hip_bfloat16S3_S3_PKfS5_PKvPS1_S8_PvPKiSB_iiiiilll
		.amdhsa_group_segment_fixed_size 49152
		.amdhsa_private_segment_fixed_size 0
		.amdhsa_kernarg_size 136
		.amdhsa_user_sgpr_count 2
		.amdhsa_user_sgpr_dispatch_ptr 0
		.amdhsa_user_sgpr_queue_ptr 0
		.amdhsa_user_sgpr_kernarg_segment_ptr 1
		.amdhsa_user_sgpr_dispatch_id 0
		.amdhsa_user_sgpr_kernarg_preload_length 0
		.amdhsa_user_sgpr_kernarg_preload_offset 0
		.amdhsa_user_sgpr_private_segment_size 0
		.amdhsa_uses_dynamic_stack 0
		.amdhsa_enable_private_segment 0
		.amdhsa_system_sgpr_workgroup_id_x 1
		.amdhsa_system_sgpr_workgroup_id_y 1
		.amdhsa_system_sgpr_workgroup_id_z 0
		.amdhsa_system_sgpr_workgroup_info 0
		.amdhsa_system_vgpr_workitem_id 0
		.amdhsa_next_free_vgpr 152
		.amdhsa_next_free_sgpr 64
		.amdhsa_accum_offset 136
		.amdhsa_reserve_vcc 1
		.amdhsa_float_round_mode_32 0
		.amdhsa_float_round_mode_16_64 0
		.amdhsa_float_denorm_mode_32 3
		.amdhsa_float_denorm_mode_16_64 3
		.amdhsa_dx10_clamp 1
		.amdhsa_ieee_mode 1
		.amdhsa_fp16_overflow 0
		.amdhsa_tg_split 0
		.amdhsa_exception_fp_ieee_invalid_op 0
		.amdhsa_exception_fp_denorm_src 0
		.amdhsa_exception_fp_ieee_div_zero 0
		.amdhsa_exception_fp_ieee_overflow 0
		.amdhsa_exception_fp_ieee_underflow 0
		.amdhsa_exception_fp_ieee_inexact 0
		.amdhsa_exception_int_div_zero 0
	.end_amdhsa_kernel
	.section	.text._ZN12_GLOBAL__N_139chunk_gated_delta_rule_fwd_h_hip_kernelILi32ELb1ELb1ELb0ELb1ELb1ELb0ELb0ELb0EEEvPK12hip_bfloat16S3_S3_PKfS5_PKvPS1_S8_PvPKiSB_iiiiilll,"axG",@progbits,_ZN12_GLOBAL__N_139chunk_gated_delta_rule_fwd_h_hip_kernelILi32ELb1ELb1ELb0ELb1ELb1ELb0ELb0ELb0EEEvPK12hip_bfloat16S3_S3_PKfS5_PKvPS1_S8_PvPKiSB_iiiiilll,comdat
.Lfunc_end434:
	.size	_ZN12_GLOBAL__N_139chunk_gated_delta_rule_fwd_h_hip_kernelILi32ELb1ELb1ELb0ELb1ELb1ELb0ELb0ELb0EEEvPK12hip_bfloat16S3_S3_PKfS5_PKvPS1_S8_PvPKiSB_iiiiilll, .Lfunc_end434-_ZN12_GLOBAL__N_139chunk_gated_delta_rule_fwd_h_hip_kernelILi32ELb1ELb1ELb0ELb1ELb1ELb0ELb0ELb0EEEvPK12hip_bfloat16S3_S3_PKfS5_PKvPS1_S8_PvPKiSB_iiiiilll
                                        ; -- End function
	.section	.AMDGPU.csdata,"",@progbits
; Kernel info:
; codeLenInByte = 9132
; NumSgprs: 70
; NumVgprs: 136
; NumAgprs: 16
; TotalNumVgprs: 152
; ScratchSize: 0
; MemoryBound: 0
; FloatMode: 240
; IeeeMode: 1
; LDSByteSize: 49152 bytes/workgroup (compile time only)
; SGPRBlocks: 8
; VGPRBlocks: 18
; NumSGPRsForWavesPerEU: 70
; NumVGPRsForWavesPerEU: 152
; AccumOffset: 136
; Occupancy: 1
; WaveLimiterHint : 1
; COMPUTE_PGM_RSRC2:SCRATCH_EN: 0
; COMPUTE_PGM_RSRC2:USER_SGPR: 2
; COMPUTE_PGM_RSRC2:TRAP_HANDLER: 0
; COMPUTE_PGM_RSRC2:TGID_X_EN: 1
; COMPUTE_PGM_RSRC2:TGID_Y_EN: 1
; COMPUTE_PGM_RSRC2:TGID_Z_EN: 0
; COMPUTE_PGM_RSRC2:TIDIG_COMP_CNT: 0
; COMPUTE_PGM_RSRC3_GFX90A:ACCUM_OFFSET: 33
; COMPUTE_PGM_RSRC3_GFX90A:TG_SPLIT: 0
	.section	.text._ZN12_GLOBAL__N_139chunk_gated_delta_rule_fwd_h_hip_kernelILi32ELb1ELb0ELb1ELb1ELb1ELb0ELb0ELb0EEEvPK12hip_bfloat16S3_S3_PKfS5_PKvPS1_S8_PvPKiSB_iiiiilll,"axG",@progbits,_ZN12_GLOBAL__N_139chunk_gated_delta_rule_fwd_h_hip_kernelILi32ELb1ELb0ELb1ELb1ELb1ELb0ELb0ELb0EEEvPK12hip_bfloat16S3_S3_PKfS5_PKvPS1_S8_PvPKiSB_iiiiilll,comdat
	.globl	_ZN12_GLOBAL__N_139chunk_gated_delta_rule_fwd_h_hip_kernelILi32ELb1ELb0ELb1ELb1ELb1ELb0ELb0ELb0EEEvPK12hip_bfloat16S3_S3_PKfS5_PKvPS1_S8_PvPKiSB_iiiiilll ; -- Begin function _ZN12_GLOBAL__N_139chunk_gated_delta_rule_fwd_h_hip_kernelILi32ELb1ELb0ELb1ELb1ELb1ELb0ELb0ELb0EEEvPK12hip_bfloat16S3_S3_PKfS5_PKvPS1_S8_PvPKiSB_iiiiilll
	.p2align	8
	.type	_ZN12_GLOBAL__N_139chunk_gated_delta_rule_fwd_h_hip_kernelILi32ELb1ELb0ELb1ELb1ELb1ELb0ELb0ELb0EEEvPK12hip_bfloat16S3_S3_PKfS5_PKvPS1_S8_PvPKiSB_iiiiilll,@function
_ZN12_GLOBAL__N_139chunk_gated_delta_rule_fwd_h_hip_kernelILi32ELb1ELb0ELb1ELb1ELb1ELb0ELb0ELb0EEEvPK12hip_bfloat16S3_S3_PKfS5_PKvPS1_S8_PvPKiSB_iiiiilll: ; @_ZN12_GLOBAL__N_139chunk_gated_delta_rule_fwd_h_hip_kernelILi32ELb1ELb0ELb1ELb1ELb1ELb0ELb0ELb0EEEvPK12hip_bfloat16S3_S3_PKfS5_PKvPS1_S8_PvPKiSB_iiiiilll
; %bb.0:
	s_load_dwordx4 s[12:15], s[0:1], 0x5c
	s_load_dwordx4 s[4:7], s[0:1], 0x48
	s_abs_i32 s9, s3
	s_ashr_i32 s8, s3, 31
	v_and_b32_e32 v63, 15, v0
	s_waitcnt lgkmcnt(0)
	s_abs_i32 s10, s13
	v_cvt_f32_u32_e32 v1, s10
	s_sub_i32 s16, 0, s10
	s_ashr_i32 s11, s13, 31
	s_xor_b32 s8, s8, s11
	v_rcp_iflag_f32_e32 v1, v1
	v_lshrrev_b32_e32 v61, 6, v0
	v_bfe_u32 v62, v0, 4, 2
	v_mov_b32_e32 v7, 0
	v_mul_f32_e32 v1, 0x4f7ffffe, v1
	v_cvt_u32_f32_e32 v1, v1
	v_and_b32_e32 v60, 63, v0
	v_lshrrev_b32_e32 v65, 3, v60
	v_lshlrev_b32_e32 v64, 3, v0
	v_readfirstlane_b32 s17, v1
	s_mul_i32 s16, s16, s17
	s_mul_hi_u32 s16, s17, s16
	s_add_i32 s17, s17, s16
	s_mul_hi_u32 s16, s9, s17
	s_mul_i32 s17, s16, s10
	s_sub_i32 s9, s9, s17
	s_add_i32 s18, s16, 1
	s_sub_i32 s17, s9, s10
	s_cmp_ge_u32 s9, s10
	s_cselect_b32 s16, s18, s16
	s_cselect_b32 s9, s17, s9
	s_add_i32 s17, s16, 1
	s_cmp_ge_u32 s9, s10
	s_cselect_b32 s9, s17, s16
	s_xor_b32 s9, s9, s8
	s_sub_i32 s20, s9, s8
	s_mul_i32 s24, s20, s13
	s_ashr_i32 s21, s20, 31
	s_sub_i32 s47, s3, s24
	s_lshl_b64 s[8:9], s[20:21], 2
	s_add_u32 s4, s4, s8
	s_addc_u32 s5, s5, s9
	s_add_u32 s22, s6, s8
	s_addc_u32 s23, s7, s9
	s_abs_i32 s3, s14
	v_cvt_f32_u32_e32 v1, s3
	s_load_dwordx2 s[34:35], s[4:5], 0x0
	s_sub_i32 s5, 0, s3
	s_lshl_b32 s2, s2, 5
	v_rcp_iflag_f32_e32 v1, v1
	s_load_dwordx4 s[16:19], s[0:1], 0x28
	s_load_dwordx2 s[28:29], s[0:1], 0x38
	s_waitcnt lgkmcnt(0)
	s_sub_i32 s50, s35, s34
	s_ashr_i32 s4, s50, 31
	v_mul_f32_e32 v1, 0x4f7ffffe, v1
	v_cvt_u32_f32_e32 v1, v1
	s_lshr_b32 s4, s4, 26
	s_add_i32 s4, s50, s4
	s_ashr_i32 s48, s4, 6
	v_readfirstlane_b32 s6, v1
	s_mul_i32 s5, s5, s6
	s_mul_hi_u32 s5, s6, s5
	s_add_i32 s6, s6, s5
	s_mul_hi_u32 s5, s10, s6
	s_mul_i32 s6, s5, s3
	s_ashr_i32 s4, s14, 31
	s_sub_i32 s6, s10, s6
	s_xor_b32 s4, s11, s4
	s_add_i32 s7, s5, 1
	s_sub_i32 s8, s6, s3
	s_cmp_ge_u32 s6, s3
	s_cselect_b32 s5, s7, s5
	s_cselect_b32 s6, s8, s6
	s_add_i32 s7, s5, 1
	s_cmp_ge_u32 s6, s3
	s_cselect_b32 s3, s7, s5
	s_xor_b32 s3, s3, s4
	s_sub_i32 s3, s3, s4
	s_abs_i32 s4, s3
	v_cvt_f32_u32_e32 v1, s4
	s_sub_i32 s6, 0, s4
	s_abs_i32 s5, s47
	s_xor_b32 s3, s47, s3
	v_rcp_iflag_f32_e32 v1, v1
	s_ashr_i32 s3, s3, 31
	v_or_b32_e32 v50, s2, v63
	v_lshlrev_b32_e32 v2, 7, v50
	v_mul_f32_e32 v1, 0x4f7ffffe, v1
	v_cvt_u32_f32_e32 v1, v1
	v_ashrrev_i32_e32 v3, 31, v2
	s_mul_hi_i32 s53, s47, s12
	s_mul_i32 s54, s47, s12
	v_readfirstlane_b32 s7, v1
	s_mul_i32 s6, s6, s7
	s_mul_hi_u32 s6, s7, s6
	s_add_i32 s7, s7, s6
	s_mul_hi_u32 s6, s5, s7
	s_mul_i32 s7, s6, s4
	s_sub_i32 s5, s5, s7
	s_add_i32 s7, s6, 1
	s_sub_i32 s8, s5, s4
	s_cmp_ge_u32 s5, s4
	s_cselect_b32 s6, s7, s6
	s_cselect_b32 s5, s8, s5
	s_add_i32 s7, s6, 1
	s_cmp_ge_u32 s5, s4
	s_cselect_b32 s4, s7, s6
	s_xor_b32 s4, s4, s3
	s_sub_i32 s51, s4, s3
	s_ashr_i32 s49, s47, 31
	s_mul_hi_i32 s3, s20, s13
	s_add_u32 s4, s24, s47
	s_addc_u32 s5, s3, s49
	s_lshl_b64 s[4:5], s[4:5], 16
	s_add_u32 s4, s16, s4
	s_addc_u32 s5, s17, s5
	v_lshlrev_b32_e32 v1, 4, v61
	v_lshl_add_u64 v[4:5], v[2:3], 2, s[4:5]
	v_or_b32_e32 v2, 0x800, v2
	v_lshl_or_b32 v66, v62, 2, v1
	v_ashrrev_i32_e32 v3, 31, v2
	v_lshlrev_b32_e32 v6, 2, v66
	v_lshl_add_u64 v[2:3], v[2:3], 2, s[4:5]
	v_lshl_add_u64 v[4:5], v[4:5], 0, v[6:7]
	;; [unrolled: 1-line block ×3, first 2 shown]
	global_load_dwordx4 v[14:17], v[4:5], off
	global_load_dwordx4 v[10:13], v[4:5], off offset:256
	global_load_dwordx4 v[6:9], v[18:19], off
	s_nop 0
	global_load_dwordx4 v[2:5], v[18:19], off offset:256
	s_load_dwordx8 s[4:11], s[0:1], 0x0
	s_load_dwordx2 s[30:31], s[0:1], 0x80
	s_load_dwordx4 s[24:27], s[0:1], 0x70
	s_load_dword s52, s[22:23], 0x0
	v_or_b32_e32 v67, 64, v66
	s_cmp_lt_i32 s50, 64
	s_waitcnt lgkmcnt(0)
	s_mul_i32 s33, s20, s25
	s_mul_hi_u32 s43, s20, s24
	s_mul_i32 s44, s21, s24
	s_mul_i32 s36, s20, s24
	;; [unrolled: 1-line block ×3, first 2 shown]
	s_mul_hi_u32 s45, s47, s26
	s_mul_i32 s46, s49, s26
	s_mul_i32 s38, s47, s26
	s_cbranch_scc1 .LBB435_3
; %bb.1:
	s_ashr_i32 s1, s34, 31
	s_add_u32 s0, s54, s34
	s_addc_u32 s1, s53, s1
	s_lshl_b64 s[0:1], s[0:1], 8
	v_and_b32_e32 v69, 56, v64
	s_add_u32 s20, s6, s0
	v_lshl_or_b32 v68, v61, 3, v65
	v_lshlrev_b32_e32 v18, 1, v69
	s_addc_u32 s0, s7, s1
	v_lshl_or_b32 v70, v68, 8, v18
	s_and_b32 s21, s0, 0xffff
	s_mov_b32 s23, 0x20000
	s_movk_i32 s22, 0x4000
	s_movk_i32 s0, 0x80
	v_or_b32_e32 v71, 0x2000, v70
	buffer_load_dwordx4 v[20:23], v70, s[20:23], 0 offen
	buffer_load_dwordx4 v[24:27], v70, s[20:23], s0 offen
	;; [unrolled: 1-line block ×4, first 2 shown]
	v_lshlrev_b32_e32 v19, 3, v68
	v_and_or_b32 v37, v0, 7, v19
	v_and_b32_e32 v19, 0x78, v19
	v_lshlrev_b32_e32 v37, 4, v37
	v_xor_b32_e32 v72, v37, v19
	v_mul_lo_u32 v36, v68, s15
	v_or_b32_e32 v73, 0x1000, v72
	v_xor_b32_e32 v19, 8, v72
	s_cmpk_eq_i32 s15, 0x80
	s_mov_b32 s55, s34
	v_xor_b32_e32 v37, 8, v73
	s_cselect_b64 s[0:1], -1, 0
	s_cmpk_lg_i32 s15, 0x80
	s_waitcnt vmcnt(3)
	ds_write_b64 v72, v[20:21] offset:24576
	ds_write_b64 v19, v[22:23] offset:24576
	s_waitcnt vmcnt(2)
	ds_write_b64 v72, v[24:25] offset:32768
	ds_write_b64 v19, v[26:27] offset:32768
	;; [unrolled: 3-line block ×4, first 2 shown]
	v_lshl_add_u32 v19, v36, 1, v69
	s_cbranch_scc0 .LBB435_29
; %bb.2:
	v_lshlrev_b32_e32 v21, 1, v19
	v_add_lshl_u32 v20, v19, s15, 1
	s_lshl_b32 s22, s15, 7
	v_lshl_or_b32 v18, v68, 9, v18
	s_cbranch_execz .LBB435_30
	s_branch .LBB435_31
.LBB435_3:
	s_waitcnt vmcnt(0)
	v_mov_b32_e32 v19, v5
	v_mov_b32_e32 v18, v9
	;; [unrolled: 1-line block ×4, first 2 shown]
.LBB435_4:
	s_lshl_b32 s26, s48, 6
	s_sub_i32 s27, s50, s26
	s_cmp_gt_i32 s27, 0
	s_cbranch_scc0 .LBB435_84
; %bb.5:
	s_add_i32 s26, s26, s34
	s_ashr_i32 s3, s26, 31
	s_cmpk_lg_i32 s15, 0x80
	s_cselect_b64 s[22:23], -1, 0
	s_and_b64 vcc, exec, s[22:23]
	s_cbranch_vccz .LBB435_7
; %bb.6:
	s_mul_hi_i32 s0, s26, s14
	s_mul_i32 s1, s26, s14
	s_ashr_i32 s14, s51, 31
	s_add_u32 s24, s1, s51
	s_addc_u32 s25, s0, s14
	s_cbranch_execz .LBB435_8
	s_branch .LBB435_9
.LBB435_7:
                                        ; implicit-def: $sgpr24_sgpr25
.LBB435_8:
	s_mul_i32 s1, s51, s12
	s_mul_hi_i32 s0, s51, s12
	s_add_u32 s24, s1, s26
	s_addc_u32 s25, s0, s3
.LBB435_9:
	s_add_i32 s12, s48, s52
	s_add_u32 s0, s54, s26
	s_addc_u32 s1, s53, s3
	v_lshlrev_b32_e32 v21, 5, v66
	v_lshlrev_b32_e32 v22, 2, v63
	s_mov_b32 s3, 0x7060302
	v_xor_b32_e32 v5, v66, v22
	v_xor_b32_e32 v23, v67, v22
	v_perm_b32 v13, v9, v12, s3
	v_or_b32_e32 v9, v21, v22
	s_lshl_b64 s[20:21], s[0:1], 8
	v_perm_b32 v17, v20, v16, s3
	v_perm_b32 v16, v15, v14, s3
	;; [unrolled: 1-line block ×3, first 2 shown]
	v_lshlrev_b32_e32 v9, 1, v9
	v_lshlrev_b32_e32 v10, 1, v5
	;; [unrolled: 1-line block ×4, first 2 shown]
	s_add_u32 s0, s6, s20
	ds_write2st64_b64 v9, v[16:17], v[12:13] offset0:80 offset1:88
	v_or_b32_e32 v9, v10, v5
	v_or_b32_e32 v5, v11, v5
	s_addc_u32 s1, s7, s21
	ds_write_b64 v9, v[16:17]
	ds_write_b64 v5, v[12:13]
	v_perm_b32 v9, v18, v8, s3
	v_perm_b32 v8, v7, v6, s3
	;; [unrolled: 1-line block ×4, first 2 shown]
	s_mul_hi_i32 s3, s12, s13
	s_mul_i32 s12, s12, s13
	s_add_u32 s6, s12, s47
	v_or_b32_e32 v2, 16, v63
	s_addc_u32 s7, s3, s49
	v_lshlrev_b32_e32 v19, 2, v2
	s_ashr_i32 s3, s2, 31
	s_lshl_b64 s[6:7], s[6:7], 15
	v_or_b32_e32 v3, v21, v19
	s_add_u32 s6, s18, s6
	v_lshlrev_b32_e32 v3, 1, v3
	v_lshlrev_b32_e32 v2, 8, v2
	s_addc_u32 s7, s19, s7
	s_lshl_b64 s[2:3], s[2:3], 8
	ds_write2st64_b64 v3, v[8:9], v[4:5] offset0:80 offset1:88
	v_or_b32_e32 v3, v10, v2
	v_or_b32_e32 v2, v11, v2
	s_add_u32 s2, s6, s2
	ds_write_b64 v3, v[8:9]
	ds_write_b64 v2, v[4:5]
	v_lshrrev_b32_e32 v2, 4, v0
	s_addc_u32 s3, s7, s3
	v_lshlrev_b32_e32 v3, 1, v63
	v_lshlrev_b32_e32 v10, 4, v63
	v_mov_b32_e32 v11, 0
	v_or_b32_e32 v4, 1, v3
	v_xor_b32_e32 v3, v2, v3
	v_lshl_add_u64 v[12:13], s[2:3], 0, v[10:11]
	v_lshlrev_b32_e32 v10, 8, v2
	v_xor_b32_e32 v6, v4, v2
	v_lshl_or_b32 v2, v3, 3, v10
	s_waitcnt lgkmcnt(0)
	s_barrier
	ds_read2st64_b64 v[2:5], v2 offset1:8
	v_lshl_or_b32 v6, v6, 3, v10
	ds_read2st64_b64 v[6:9], v6 offset1:8
	v_lshl_add_u64 v[14:15], v[12:13], 0, v[10:11]
	s_movk_i32 s2, 0x1000
	s_waitcnt lgkmcnt(1)
	v_mov_b32_e32 v10, v2
	v_add_co_u32_e32 v2, vcc, s2, v14
	s_cmp_lg_u32 s27, 64
	v_mov_b32_e32 v11, v3
	v_addc_co_u32_e32 v3, vcc, 0, v15, vcc
	s_cselect_b64 s[6:7], -1, 0
	v_lshl_or_b32 v23, v61, 3, v65
	s_waitcnt lgkmcnt(0)
	v_mov_b32_e32 v12, v6
	v_mov_b32_e32 v13, v7
	v_mov_b32_e32 v6, v4
	v_mov_b32_e32 v7, v5
	s_mov_b32 s16, 0
	v_or_b32_e32 v20, 32, v23
	v_and_b32_e32 v18, 56, v64
	s_and_b64 vcc, exec, s[6:7]
	global_store_dwordx4 v[14:15], v[10:13], off
	global_store_dwordx4 v[2:3], v[6:9], off
	s_cbranch_vccz .LBB435_15
; %bb.10:
	s_mov_b32 s17, s16
	s_mov_b32 s18, s16
	;; [unrolled: 1-line block ×3, first 2 shown]
	v_mov_b64_e32 v[6:7], s[16:17]
	v_mov_b64_e32 v[8:9], s[18:19]
	;; [unrolled: 1-line block ×3, first 2 shown]
	v_cmp_gt_i32_e32 vcc, s27, v23
	v_mov_b64_e32 v[4:5], v[8:9]
	s_and_saveexec_b64 s[2:3], vcc
	s_cbranch_execz .LBB435_12
; %bb.11:
	v_lshlrev_b32_e32 v2, 8, v23
	v_mov_b32_e32 v3, 0
	v_lshl_add_u64 v[4:5], s[0:1], 0, v[2:3]
	v_lshlrev_b32_e32 v2, 1, v18
	v_lshl_add_u64 v[10:11], v[4:5], 0, v[2:3]
	global_load_dwordx4 v[6:9], v[10:11], off
	global_load_dwordx4 v[2:5], v[10:11], off offset:128
.LBB435_12:
	s_or_b64 exec, exec, s[2:3]
	s_mov_b32 s17, s16
	s_mov_b32 s18, s16
	;; [unrolled: 1-line block ×3, first 2 shown]
	v_mov_b64_e32 v[14:15], s[16:17]
	v_mov_b64_e32 v[16:17], s[18:19]
	;; [unrolled: 1-line block ×3, first 2 shown]
	v_cmp_gt_i32_e32 vcc, s27, v20
	v_lshlrev_b32_e32 v21, 7, v20
	v_mov_b64_e32 v[12:13], v[16:17]
	s_and_saveexec_b64 s[2:3], vcc
	s_cbranch_execz .LBB435_14
; %bb.13:
	v_lshlrev_b32_e32 v10, 1, v21
	v_mov_b32_e32 v11, 0
	v_lshl_add_u64 v[12:13], s[0:1], 0, v[10:11]
	v_lshlrev_b32_e32 v10, 1, v18
	v_lshl_add_u64 v[24:25], v[12:13], 0, v[10:11]
	global_load_dwordx4 v[14:17], v[24:25], off
	global_load_dwordx4 v[10:13], v[24:25], off offset:128
.LBB435_14:
	s_or_b64 exec, exec, s[2:3]
	v_lshrrev_b32_e32 v24, 3, v18
	v_lshlrev_b32_e32 v25, 3, v23
	v_or_b32_e32 v24, v25, v24
	v_lshlrev_b32_e32 v24, 4, v24
	v_and_b32_e32 v25, 0x78, v25
	v_xor_b32_e32 v24, v24, v25
	s_branch .LBB435_17
.LBB435_15:
                                        ; implicit-def: $vgpr24
                                        ; implicit-def: $vgpr21
                                        ; implicit-def: $vgpr6_vgpr7_vgpr8_vgpr9
                                        ; implicit-def: $vgpr2_vgpr3_vgpr4_vgpr5
                                        ; implicit-def: $vgpr14_vgpr15_vgpr16_vgpr17
                                        ; implicit-def: $vgpr10_vgpr11_vgpr12_vgpr13
	s_cbranch_execz .LBB435_17
; %bb.16:
	s_waitcnt vmcnt(0)
	v_lshlrev_b32_e32 v2, 1, v18
	v_lshl_or_b32 v21, v23, 8, v2
	s_and_b32 s1, s1, 0xffff
	s_mov_b32 s3, 0x20000
	s_movk_i32 s2, 0x4000
	v_lshl_or_b32 v24, v20, 8, v2
	s_movk_i32 s12, 0x80
	buffer_load_dwordx4 v[6:9], v21, s[0:3], 0 offen
	buffer_load_dwordx4 v[2:5], v21, s[0:3], s12 offen
	;; [unrolled: 1-line block ×4, first 2 shown]
	v_lshrrev_b32_e32 v21, 3, v18
	v_lshlrev_b32_e32 v24, 3, v23
	v_or_b32_e32 v21, v24, v21
	v_lshlrev_b32_e32 v21, 4, v21
	v_and_b32_e32 v24, 0x78, v24
	v_xor_b32_e32 v24, v21, v24
	v_lshlrev_b32_e32 v21, 7, v20
.LBB435_17:
	s_lshl_b64 s[0:1], s[24:25], 8
	s_add_u32 s4, s4, s0
	s_movk_i32 s0, 0x1000
	v_and_or_b32 v20, v21, s0, v24
	s_waitcnt vmcnt(1)
	ds_write_b64 v24, v[6:7] offset:24576
	v_xor_b32_e32 v6, 8, v24
	ds_write_b64 v6, v[8:9] offset:24576
	s_waitcnt vmcnt(0)
	ds_write_b64 v24, v[2:3] offset:32768
	ds_write_b64 v6, v[4:5] offset:32768
	;; [unrolled: 1-line block ×3, first 2 shown]
	v_xor_b32_e32 v2, 8, v20
	ds_write_b64 v2, v[16:17] offset:24576
	ds_write_b64 v20, v[10:11] offset:32768
	;; [unrolled: 1-line block ×3, first 2 shown]
	v_or_b32_e32 v2, v1, v63
	v_lshlrev_b32_e32 v3, 11, v61
	v_lshlrev_b32_e32 v2, 3, v2
	v_and_b32_e32 v6, 0x1000, v3
	v_lshrrev_b32_e32 v3, 5, v60
	s_movk_i32 s3, 0xf8
	v_and_or_b32 v3, v2, s3, v3
	v_lshlrev_b32_e32 v7, 4, v3
	v_and_b32_e32 v8, 0x78, v2
	v_or_b32_e32 v10, 32, v7
	v_lshrrev_b32_e32 v3, 1, v60
	v_xor_b32_e32 v10, v10, v8
	v_xor_b32_e32 v2, v7, v8
	v_and_b32_e32 v9, 8, v3
	v_or_b32_e32 v10, v10, v6
	v_or_b32_e32 v2, v2, v6
	v_xor_b32_e32 v26, v10, v9
	v_or_b32_e32 v10, 64, v7
	v_xor_b32_e32 v25, v2, v9
	v_xor_b32_e32 v10, v10, v8
	s_waitcnt lgkmcnt(0)
	s_barrier
	v_or_b32_e32 v12, v10, v6
	ds_read_b64 v[10:11], v25 offset:24576
	v_lshl_or_b32 v20, v62, 7, v22
	v_lshlrev_b32_e32 v24, 1, v20
	v_add_u32_e32 v2, 0xa000, v24
	ds_read2_b64 v[2:5], v2 offset1:16
	v_or_b32_e32 v7, 0x60, v7
	v_xor_b32_e32 v7, v7, v8
	s_waitcnt lgkmcnt(0)
	v_mfma_f32_16x16x16_bf16 a[0:3], v[10:11], v[2:3], 0
	v_or_b32_e32 v2, 64, v20
	v_or_b32_e32 v6, v7, v6
	v_lshlrev_b32_e32 v29, 1, v2
	v_xor_b32_e32 v27, v12, v9
	v_xor_b32_e32 v28, v6, v9
	ds_read_b64 v[12:13], v26 offset:24576
	ds_read_b64 v[14:15], v27 offset:24576
	;; [unrolled: 1-line block ×3, first 2 shown]
	v_mfma_f32_16x16x16_bf16 a[4:7], v[10:11], v[4:5], 0
	ds_read2st64_b64 v[2:5], v29 offset0:82 offset1:84
	ds_read2st64_b64 v[6:9], v24 offset0:82 offset1:84
	s_addc_u32 s5, s5, s1
	s_add_i32 s1, s43, s33
	s_add_i32 s0, s35, -1
	s_add_i32 s37, s1, s44
	s_add_i32 s1, s45, s42
	;; [unrolled: 1-line block ×3, first 2 shown]
	s_ashr_i32 s1, s0, 31
	s_mul_i32 s2, s0, s31
	s_mul_hi_u32 s3, s0, s30
	s_add_i32 s2, s3, s2
	s_mul_i32 s1, s1, s30
	s_waitcnt lgkmcnt(1)
	v_mfma_f32_16x16x16_bf16 a[4:7], v[12:13], v[2:3], a[4:7]
	s_add_i32 s1, s2, s1
	s_lshl_b64 s[2:3], s[36:37], 2
	s_add_u32 s10, s10, s2
	s_waitcnt lgkmcnt(0)
	v_mfma_f32_16x16x16_bf16 a[0:3], v[12:13], v[6:7], a[0:3]
	s_addc_u32 s11, s11, s3
	s_lshl_b64 s[2:3], s[38:39], 2
	s_mul_i32 s0, s0, s30
	s_add_u32 s10, s10, s2
	ds_read_b64 v[2:3], v24 offset:44032
	v_mfma_f32_16x16x16_bf16 a[4:7], v[14:15], v[4:5], a[4:7]
	ds_read_b64 v[4:5], v29 offset:44032
	s_addc_u32 s11, s11, s3
	s_lshl_b64 s[0:1], s[0:1], 2
	v_mfma_f32_16x16x16_bf16 a[0:3], v[14:15], v[8:9], a[0:3]
	s_add_u32 s0, s10, s0
	s_addc_u32 s1, s11, s1
	s_load_dword s12, s[0:1], 0x0
	s_waitcnt lgkmcnt(0)
	v_mfma_f32_16x16x16_bf16 a[0:3], v[16:17], v[2:3], a[0:3]
	s_and_b64 vcc, exec, s[22:23]
	v_mfma_f32_16x16x16_bf16 a[4:7], v[16:17], v[4:5], a[4:7]
	s_cbranch_vccz .LBB435_28
; %bb.18:
	v_lshlrev_b32_e32 v20, 1, v23
	s_and_b64 vcc, exec, s[6:7]
	s_cbranch_vccz .LBB435_44
; %bb.19:
	v_cmp_gt_i32_e32 vcc, s27, v20
	v_mov_b32_e32 v6, 0
	v_mov_b32_e32 v2, 0
	;; [unrolled: 1-line block ×5, first 2 shown]
	s_and_saveexec_b64 s[0:1], vcc
	s_cbranch_execz .LBB435_21
; %bb.20:
	v_mad_i64_i32 v[2:3], s[2:3], s15, v20, 0
	v_lshl_add_u64 v[2:3], v[2:3], 1, s[4:5]
	v_lshlrev_b32_e32 v4, 1, v18
	v_mov_b32_e32 v5, 0
	v_lshl_add_u64 v[2:3], v[2:3], 0, v[4:5]
	global_load_dwordx4 v[2:5], v[2:3], off
.LBB435_21:
	s_or_b64 exec, exec, s[0:1]
	v_or_b32_e32 v21, 1, v20
	v_cmp_gt_i32_e64 s[0:1], s27, v21
	v_mov_b32_e32 v7, 0
	v_mov_b32_e32 v8, 0
	;; [unrolled: 1-line block ×3, first 2 shown]
	s_and_saveexec_b64 s[2:3], s[0:1]
	s_cbranch_execz .LBB435_23
; %bb.22:
	v_mad_i64_i32 v[6:7], s[16:17], s15, v21, 0
	v_lshl_add_u64 v[6:7], v[6:7], 1, s[4:5]
	v_lshlrev_b32_e32 v8, 1, v18
	v_mov_b32_e32 v9, 0
	v_lshl_add_u64 v[6:7], v[6:7], 0, v[8:9]
	global_load_dwordx4 v[6:9], v[6:7], off
.LBB435_23:
	s_or_b64 exec, exec, s[2:3]
	v_mov_b32_e32 v17, 0
	v_mov_b32_e32 v10, 0
	v_mov_b32_e32 v11, 0
	v_mov_b32_e32 v12, 0
	v_mov_b32_e32 v13, 0
	s_and_saveexec_b64 s[2:3], vcc
	s_cbranch_execz .LBB435_25
; %bb.24:
	v_mad_i64_i32 v[10:11], s[16:17], s15, v20, 0
	v_lshl_add_u64 v[10:11], v[10:11], 1, s[4:5]
	v_lshlrev_b32_e32 v12, 1, v18
	v_mov_b32_e32 v13, 0
	v_lshl_add_u64 v[10:11], v[10:11], 0, v[12:13]
	global_load_dwordx4 v[10:13], v[10:11], off offset:128
.LBB435_25:
	s_or_b64 exec, exec, s[2:3]
	v_mov_b32_e32 v16, 0
	v_mov_b32_e32 v15, 0
	;; [unrolled: 1-line block ×3, first 2 shown]
	s_and_saveexec_b64 s[2:3], s[0:1]
	s_cbranch_execz .LBB435_27
; %bb.26:
	v_mad_i64_i32 v[14:15], s[0:1], s15, v21, 0
	v_lshl_add_u64 v[14:15], v[14:15], 1, s[4:5]
	v_lshlrev_b32_e32 v16, 1, v18
	v_mov_b32_e32 v17, 0
	v_lshl_add_u64 v[14:15], v[14:15], 0, v[16:17]
	global_load_dwordx4 v[14:17], v[14:15], off offset:128
.LBB435_27:
	s_or_b64 exec, exec, s[2:3]
	s_branch .LBB435_46
.LBB435_28:
                                        ; implicit-def: $vgpr5
                                        ; implicit-def: $vgpr9
                                        ; implicit-def: $vgpr13
                                        ; implicit-def: $vgpr17
	v_lshrrev_b32_e32 v30, 2, v60
	s_branch .LBB435_47
.LBB435_29:
                                        ; implicit-def: $vgpr20
                                        ; implicit-def: $vgpr21
                                        ; implicit-def: $sgpr22
	v_lshl_or_b32 v18, v68, 9, v18
.LBB435_30:
	v_or_b32_e32 v20, 0x100, v18
	s_movk_i32 s22, 0x4000
	v_mov_b32_e32 v21, v18
.LBB435_31:
	s_mul_i32 s16, s34, s14
	s_ashr_i32 s56, s51, 31
	s_mul_hi_i32 s3, s34, s14
	s_add_u32 s16, s16, s51
	s_addc_u32 s17, s3, s56
	s_lshl_b64 s[16:17], s[16:17], 8
	s_add_u32 s20, s4, s16
	s_addc_u32 s3, s5, s17
	s_and_b32 s21, s3, 0xffff
	s_movk_i32 s57, 0x80
	buffer_load_dwordx4 v[22:25], v21, s[20:23], 0 offen
	buffer_load_dwordx4 v[26:29], v21, s[20:23], s57 offen
	;; [unrolled: 1-line block ×4, first 2 shown]
	v_and_b32_e32 v20, 6, v0
	v_lshlrev_b32_e32 v39, 6, v66
	v_or_b32_e32 v41, 16, v63
	v_xor_b32_e32 v42, v68, v20
	v_and_b32_e32 v21, 1, v0
	v_lshl_or_b32 v45, v63, 3, v39
	v_lshl_or_b32 v39, v41, 3, v39
	v_lshlrev_b32_e32 v42, 2, v42
	v_lshlrev_b32_e32 v38, 2, v63
	v_or_b32_e32 v76, 0xa000, v39
	v_or_b32_e32 v77, 0xb000, v39
	v_xor_b32_e32 v39, 0x440, v42
	v_cmp_eq_u32_e32 vcc, 0, v21
	s_add_i32 s3, s43, s33
	v_xor_b32_e32 v43, v66, v38
	v_xor_b32_e32 v44, v67, v38
	v_cndmask_b32_e32 v21, v39, v42, vcc
	s_add_i32 s16, s45, s42
	s_add_i32 s37, s3, s44
	s_mov_b32 s58, 0x1000504
	v_lshlrev_b32_e32 v40, 8, v63
	v_lshlrev_b32_e32 v41, 8, v41
	;; [unrolled: 1-line block ×4, first 2 shown]
	v_lshl_or_b32 v20, v20, 10, v21
	s_add_i32 s39, s16, s46
	s_lshl_b64 s[16:17], s[36:37], 2
	s_mov_b32 s59, 0x3020706
	v_or_b32_e32 v74, 0xa000, v45
	v_or_b32_e32 v75, 0xb000, v45
	;; [unrolled: 1-line block ×5, first 2 shown]
	v_xor_b32_e32 v21, 8, v20
	v_xor_b32_e32 v40, 24, v20
	;; [unrolled: 1-line block ×4, first 2 shown]
	s_add_u32 s3, s10, s16
	v_or_b32_e32 v80, v41, v43
	v_xor_b32_e32 v39, 16, v20
	v_xor_b32_e32 v41, 32, v20
	;; [unrolled: 1-line block ×3, first 2 shown]
	v_add_u32_e32 v21, 0x80, v21
	v_add_u32_e32 v40, 0x80, v40
	;; [unrolled: 1-line block ×4, first 2 shown]
	s_addc_u32 s20, s11, s17
	s_lshl_b64 s[16:17], s[38:39], 2
	s_add_u32 s16, s3, s16
	s_movk_i32 s3, 0xf8
	s_addc_u32 s17, s20, s17
	s_lshl_b32 s26, s15, 7
	s_movk_i32 s24, 0x100
	v_mov_b32_e32 v53, 0
	v_lshlrev_b32_e32 v52, 4, v63
	v_cmp_gt_u32_e32 vcc, s24, v0
	v_ashrrev_i32_e32 v51, 31, v50
	s_mov_b32 s60, 0
	s_movk_i32 s37, 0x1000
	s_movk_i32 s22, 0x4000
	s_waitcnt vmcnt(1)
	v_perm_b32 v45, v22, v30, s58
	s_waitcnt vmcnt(0)
	v_perm_b32 v46, v26, v34, s58
	v_perm_b32 v22, v22, v30, s59
	;; [unrolled: 1-line block ×15, first 2 shown]
	ds_write2st64_b32 v20, v45, v46 offset0:32 offset1:64
	ds_write2st64_b32 v21, v22, v26 offset0:32 offset1:64
	;; [unrolled: 1-line block ×8, first 2 shown]
	v_or_b32_e32 v20, v1, v63
	v_lshlrev_b32_e32 v20, 3, v20
	v_lshrrev_b32_e32 v23, 5, v60
	v_and_or_b32 v23, v20, s3, v23
	v_lshlrev_b32_e32 v23, 4, v23
	v_lshlrev_b32_e32 v21, 11, v61
	v_and_b32_e32 v20, 0x78, v20
	v_or_b32_e32 v28, 32, v23
	v_and_b32_e32 v22, 0x1000, v21
	v_lshrrev_b32_e32 v25, 1, v0
	v_xor_b32_e32 v28, v28, v20
	v_and_b32_e32 v26, 8, v25
	v_or_b32_e32 v28, v28, v22
	v_xor_b32_e32 v24, v23, v20
	v_xor_b32_e32 v84, v28, v26
	v_or_b32_e32 v28, 64, v23
	v_or_b32_e32 v23, 0x60, v23
	s_ashr_i32 s3, s2, 31
	v_xor_b32_e32 v28, v28, v20
	v_xor_b32_e32 v20, v23, v20
	s_lshl_b64 s[20:21], s[2:3], 8
	v_or_b32_e32 v24, v24, v22
	v_or_b32_e32 v28, v28, v22
	;; [unrolled: 1-line block ×3, first 2 shown]
	s_add_u32 s20, s18, s20
	v_lshlrev_b32_e32 v22, 1, v63
	v_xor_b32_e32 v86, v28, v26
	v_lshrrev_b32_e32 v28, 4, v0
	s_addc_u32 s21, s19, s21
	v_or_b32_e32 v23, 1, v22
	v_mov_b32_e32 v32, 0x4000
	v_mov_b32_e32 v33, 0x2000
	v_xor_b32_e32 v29, v28, v22
	v_xor_b32_e32 v30, v23, v28
	v_lshl_add_u64 v[22:23], s[20:21], 0, v[52:53]
	v_lshlrev_b32_e32 v52, 8, v28
	v_cndmask_b32_e32 v32, v32, v33, vcc
	v_lshlrev_b32_e32 v33, 3, v61
	v_and_b32_e32 v25, 24, v25
	v_lshl_or_b32 v90, v29, 3, v52
	v_and_b32_e32 v29, 8, v0
	v_xor_b32_e32 v34, v33, v25
	v_or_b32_e32 v35, 0x440, v34
	v_cmp_eq_u32_e32 vcc, 0, v29
	v_and_b32_e32 v28, 7, v0
	v_xor_b32_e32 v82, v24, v26
	v_cndmask_b32_e32 v29, v35, v34, vcc
	v_lshlrev_b32_e32 v24, 7, v62
	v_lshl_or_b32 v91, v30, 3, v52
	v_lshlrev_b32_e32 v30, 3, v28
	v_lshlrev_b32_e32 v28, 7, v28
	;; [unrolled: 1-line block ×3, first 2 shown]
	v_or_b32_e32 v29, v29, v21
	v_or_b32_e32 v27, v24, v38
	v_xad_u32 v92, v29, v30, v28
	v_and_or_b32 v24, v31, 60, v24
	v_mov_b32_e32 v29, 0xb000
	v_lshl_or_b32 v93, v24, 1, v29
	v_or_b32_e32 v24, 32, v25
	v_xor_b32_e32 v24, v33, v24
	v_or_b32_e32 v29, 0x440, v24
	v_cndmask_b32_e32 v24, v29, v24, vcc
	v_or_b32_e32 v24, v24, v21
	v_xad_u32 v94, v24, v30, v28
	v_or_b32_e32 v24, 64, v25
	v_xor_b32_e32 v24, v33, v24
	v_xor_b32_e32 v29, 0x440, v24
	v_cndmask_b32_e32 v24, v29, v24, vcc
	v_or_b32_e32 v24, v24, v21
	v_xad_u32 v95, v24, v30, v28
	v_or_b32_e32 v24, 0x60, v25
	v_xor_b32_e32 v24, v33, v24
	v_xor_b32_e32 v25, 0x440, v24
	v_lshlrev_b32_e32 v27, 1, v27
	v_cndmask_b32_e32 v24, v25, v24, vcc
	v_or_b32_e32 v83, 0xa000, v27
	v_or_b32_e32 v85, 0xa080, v27
	v_xor_b32_e32 v87, v20, v26
	v_or_b32_e32 v88, 0xb000, v27
	v_or_b32_e32 v89, 0xb080, v27
	v_lshlrev_b32_e32 v26, 1, v19
	v_add_lshl_u32 v19, v19, s15, 1
	v_or_b32_e32 v27, 0x100, v18
	v_or_b32_e32 v21, v24, v21
	v_lshlrev_b32_e32 v20, 7, v66
	v_xad_u32 v96, v21, v30, v28
	v_cndmask_b32_e64 v97, v26, v18, s[0:1]
	v_cndmask_b32_e64 v98, v19, v27, s[0:1]
	v_lshlrev_b64 v[18:19], 1, v[50:51]
	v_lshl_add_u64 v[54:55], s[8:9], 0, v[18:19]
	v_lshl_add_u64 v[56:57], s[28:29], 0, v[18:19]
	;; [unrolled: 1-line block ×3, first 2 shown]
	s_mov_b32 s3, 0x7060302
	v_lshlrev_b32_e32 v52, 1, v20
	v_add_u32_e32 v51, v32, v92
	v_add_u32_e32 v99, v32, v94
	v_add_u32_e32 v100, v32, v95
	v_add_u32_e32 v101, v32, v96
	s_waitcnt lgkmcnt(0)
	s_barrier
.LBB435_32:                             ; =>This Inner Loop Header: Depth=1
	s_add_i32 s39, s60, 1
	s_cmp_lt_i32 s39, s48
	s_mov_b64 s[24:25], 0
	s_cselect_b64 s[40:41], -1, 0
	s_cmp_ge_i32 s39, s48
	s_mov_b64 s[20:21], 0
	s_cbranch_scc1 .LBB435_34
; %bb.33:                               ;   in Loop: Header=BB435_32 Depth=1
	s_add_i32 s0, s55, 64
	s_ashr_i32 s1, s0, 31
	s_add_u32 s0, s54, s0
	s_addc_u32 s1, s53, s1
	s_lshl_b64 s[0:1], s[0:1], 8
	s_add_u32 s20, s6, s0
	s_addc_u32 s21, s7, s1
.LBB435_34:                             ;   in Loop: Header=BB435_32 Depth=1
	v_cndmask_b32_e64 v18, 0, 1, s[40:41]
	v_cmp_ne_u32_e64 s[0:1], 1, v18
	s_andn2_b64 vcc, exec, s[40:41]
	s_cbranch_vccnz .LBB435_36
; %bb.35:                               ;   in Loop: Header=BB435_32 Depth=1
	s_add_i32 s24, s55, 64
	s_mul_hi_i32 s25, s24, s14
	s_mul_i32 s24, s24, s14
	s_add_u32 s24, s24, s51
	s_addc_u32 s25, s25, s56
	s_lshl_b64 s[24:25], s[24:25], 8
	s_add_u32 s24, s4, s24
	s_addc_u32 s25, s5, s25
.LBB435_36:                             ;   in Loop: Header=BB435_32 Depth=1
	v_perm_b32 v19, v17, v16, s3
	v_perm_b32 v18, v15, v14, s3
	;; [unrolled: 1-line block ×4, first 2 shown]
	ds_write_b64 v74, v[18:19]
	ds_write_b64 v75, v[20:21]
	;; [unrolled: 1-line block ×4, first 2 shown]
	v_perm_b32 v19, v9, v8, s3
	v_perm_b32 v18, v7, v6, s3
	;; [unrolled: 1-line block ×4, first 2 shown]
	ds_write_b64 v76, v[18:19]
	ds_write_b64 v77, v[20:21]
	;; [unrolled: 1-line block ×4, first 2 shown]
	s_waitcnt lgkmcnt(0)
	s_barrier
	ds_read_b64 v[22:23], v82 offset:24576
	ds_read2_b64 v[18:21], v83 offset1:16
	ds_read_b64 v[26:27], v85 offset:3072
	ds_read_b64 v[28:29], v83 offset:3072
	;; [unrolled: 1-line block ×3, first 2 shown]
	s_waitcnt lgkmcnt(3)
	v_mfma_f32_16x16x16_bf16 a[0:3], v[22:23], v[18:19], 0
	s_add_i32 s27, s55, 63
	s_ashr_i32 s40, s27, 31
	s_mul_i32 s41, s27, s31
	v_mfma_f32_16x16x16_bf16 a[4:7], v[22:23], v[20:21], 0
	ds_read2st64_b64 v[18:21], v83 offset0:2 offset1:4
	s_mul_hi_u32 s61, s27, s30
	s_add_i32 s41, s61, s41
	s_waitcnt lgkmcnt(0)
	v_mfma_f32_16x16x16_bf16 a[0:3], v[30:31], v[18:19], a[0:3]
	ds_read2st64_b64 v[22:25], v85 offset0:2 offset1:4
	ds_read_b64 v[18:19], v86 offset:24576
	s_mul_i32 s40, s40, s30
	s_add_i32 s41, s41, s40
	s_waitcnt lgkmcnt(1)
	v_mfma_f32_16x16x16_bf16 a[4:7], v[30:31], v[22:23], a[4:7]
	ds_read_b64 v[22:23], v87 offset:24576
	s_mul_i32 s40, s27, s30
	s_lshl_b64 s[40:41], s[40:41], 2
	s_waitcnt lgkmcnt(1)
	v_mfma_f32_16x16x16_bf16 a[0:3], v[18:19], v[20:21], a[0:3]
	s_add_u32 s40, s16, s40
	s_addc_u32 s41, s17, s41
	s_and_b64 vcc, exec, s[0:1]
	v_mfma_f32_16x16x16_bf16 a[8:11], v[18:19], v[24:25], a[4:7]
	v_mov_b32_e32 v104, 0
	v_mov_b32_e32 v103, 0
	;; [unrolled: 1-line block ×3, first 2 shown]
	s_waitcnt lgkmcnt(0)
	v_mfma_f32_16x16x16_bf16 a[4:7], v[22:23], v[28:29], a[0:3]
	v_mov_b32_e32 v18, 0
	v_mov_b32_e32 v19, 0
	v_mov_b32_e32 v20, 0
	v_mfma_f32_16x16x16_bf16 a[0:3], v[22:23], v[26:27], a[8:11]
	v_mov_b32_e32 v21, 0
	v_mov_b32_e32 v22, 0
	;; [unrolled: 1-line block ×13, first 2 shown]
	s_cbranch_vccnz .LBB435_38
; %bb.37:                               ;   in Loop: Header=BB435_32 Depth=1
	s_and_b32 s21, s21, 0xffff
	buffer_load_dwordx4 v[30:33], v70, s[20:23], 0 offen
	buffer_load_dwordx4 v[26:29], v70, s[20:23], s57 offen
	;; [unrolled: 1-line block ×4, first 2 shown]
	v_mov_b32_e32 v103, v72
	v_mov_b32_e32 v102, v73
.LBB435_38:                             ;   in Loop: Header=BB435_32 Depth=1
	s_waitcnt vmcnt(3)
	ds_read_b64 v[42:43], v82 offset:32768
	s_waitcnt vmcnt(2)
	ds_read2_b64 v[34:37], v88 offset1:16
	ds_read_b64 v[44:45], v84 offset:32768
	ds_read_b64 v[46:47], v86 offset:32768
	;; [unrolled: 1-line block ×3, first 2 shown]
	ds_read2st64_b64 v[38:41], v88 offset0:2 offset1:4
	v_add_u32_e32 v105, s55, v66
	s_waitcnt lgkmcnt(4)
	v_mfma_f32_16x16x16_bf16 a[4:7], v[42:43], v[34:35], a[4:7]
	v_ashrrev_i32_e32 v34, 31, v105
	v_mfma_f32_16x16x16_bf16 a[0:3], v[42:43], v[36:37], a[0:3]
	v_mul_lo_u32 v36, v105, s31
	v_mul_lo_u32 v37, v34, s30
	v_mad_u64_u32 v[34:35], s[20:21], v105, s30, 0
	v_add3_u32 v35, v35, v36, v37
	v_add_u32_e32 v36, 1, v105
	v_ashrrev_i32_e32 v37, 31, v36
	s_waitcnt lgkmcnt(0)
	v_mfma_f32_16x16x16_bf16 a[4:7], v[44:45], v[38:39], a[4:7]
	v_mul_lo_u32 v38, v37, s30
	v_mul_lo_u32 v39, v36, s31
	v_mad_u64_u32 v[36:37], s[20:21], v36, s30, 0
	v_add3_u32 v37, v37, v39, v38
	v_add_u32_e32 v38, 2, v105
	v_ashrrev_i32_e32 v39, 31, v38
	v_mul_lo_u32 v42, v39, s30
	v_mul_lo_u32 v43, v38, s31
	v_mad_u64_u32 v[38:39], s[20:21], v38, s30, 0
	v_add3_u32 v39, v39, v43, v42
	v_add_u32_e32 v42, 3, v105
	v_ashrrev_i32_e32 v43, 31, v42
	v_mul_lo_u32 v105, v43, s30
	v_mul_lo_u32 v106, v42, s31
	v_mad_u64_u32 v[42:43], s[20:21], v42, s30, 0
	s_ashr_i32 s21, s55, 31
	v_add3_u32 v43, v43, v106, v105
	s_add_u32 s20, s54, s55
	v_lshl_add_u64 v[34:35], v[34:35], 2, s[16:17]
	v_lshl_add_u64 v[42:43], v[42:43], 2, s[16:17]
	s_addc_u32 s21, s53, s21
	v_lshl_add_u64 v[36:37], v[36:37], 2, s[16:17]
	v_lshl_add_u64 v[38:39], v[38:39], 2, s[16:17]
	global_load_dword v105, v[34:35], off
	global_load_dword v106, v[36:37], off
	;; [unrolled: 1-line block ×3, first 2 shown]
	s_nop 0
	global_load_dword v43, v[42:43], off
	s_lshl_b64 s[62:63], s[20:21], 8
	v_lshl_add_u64 v[34:35], v[54:55], 0, s[62:63]
	v_lshl_add_u64 v[38:39], v[34:35], 0, v[52:53]
	global_load_ushort v108, v[38:39], off offset:256
	global_load_ushort v109, v[38:39], off
	global_load_ushort v110, v[38:39], off offset:768
	global_load_ushort v111, v[38:39], off offset:512
	ds_read2st64_b64 v[34:37], v89 offset0:2 offset1:4
	global_load_ushort v112, v[38:39], off offset:800
	global_load_ushort v113, v[38:39], off offset:544
	;; [unrolled: 1-line block ×4, first 2 shown]
	s_waitcnt lgkmcnt(0)
	v_mfma_f32_16x16x16_bf16 a[0:3], v[44:45], v[34:35], a[0:3]
	s_and_b64 vcc, exec, s[0:1]
	s_waitcnt vmcnt(7)
	v_lshlrev_b32_e32 v45, 16, v108
	v_mfma_f32_16x16x16_bf16 a[4:7], v[46:47], v[40:41], a[4:7]
	s_waitcnt vmcnt(6)
	v_lshlrev_b32_e32 v44, 16, v109
	v_mfma_f32_16x16x16_bf16 a[0:3], v[46:47], v[36:37], a[0:3]
	ds_read_b64 v[34:35], v88 offset:3072
	ds_read_b64 v[36:37], v89 offset:3072
	s_load_dword s20, s[40:41], 0x0
	s_waitcnt vmcnt(5)
	v_lshlrev_b32_e32 v47, 16, v110
	s_waitcnt lgkmcnt(0)
	v_mfma_f32_16x16x16_bf16 a[4:7], v[48:49], v[34:35], a[4:7]
	v_lshl_add_u64 v[34:35], v[56:57], 0, s[62:63]
	v_sub_f32_e32 v42, s20, v105
	v_sub_f32_e32 v46, s20, v106
	v_mfma_f32_16x16x16_bf16 a[0:3], v[48:49], v[36:37], a[0:3]
	v_sub_f32_e32 v48, s20, v107
	v_sub_f32_e32 v49, s20, v43
	v_exp_f32_e32 v42, v42
	v_exp_f32_e32 v43, v46
	;; [unrolled: 1-line block ×4, first 2 shown]
	v_accvgpr_read_b32 v41, a5
	v_accvgpr_read_b32 v37, a7
	;; [unrolled: 1-line block ×4, first 2 shown]
	s_waitcnt vmcnt(4)
	v_lshlrev_b32_e32 v46, 16, v111
	v_lshl_add_u64 v[34:35], v[34:35], 0, v[52:53]
	v_pk_add_f32 v[40:41], v[44:45], v[40:41] neg_lo:[0,1] neg_hi:[0,1]
	v_pk_add_f32 v[36:37], v[46:47], v[36:37] neg_lo:[0,1] neg_hi:[0,1]
	global_store_short_d16_hi v[34:35], v40, off
	global_store_short_d16_hi v[34:35], v41, off offset:256
	global_store_short_d16_hi v[34:35], v36, off offset:512
	;; [unrolled: 1-line block ×3, first 2 shown]
	v_pk_mul_f32 v[40:41], v[42:43], v[40:41]
	v_pk_mul_f32 v[36:37], v[48:49], v[36:37]
	v_accvgpr_read_b32 v45, a1
	v_perm_b32 v40, v41, v40, s3
	v_perm_b32 v41, v37, v36, s3
	s_waitcnt vmcnt(5)
	v_lshlrev_b32_e32 v37, 16, v114
	s_waitcnt vmcnt(4)
	v_lshlrev_b32_e32 v36, 16, v115
	v_accvgpr_read_b32 v44, a0
	v_accvgpr_read_b32 v39, a3
	;; [unrolled: 1-line block ×3, first 2 shown]
	v_pk_add_f32 v[36:37], v[36:37], v[44:45] neg_lo:[0,1] neg_hi:[0,1]
	v_lshlrev_b32_e32 v45, 16, v112
	v_lshlrev_b32_e32 v44, 16, v113
	v_pk_add_f32 v[38:39], v[44:45], v[38:39] neg_lo:[0,1] neg_hi:[0,1]
	global_store_short_d16_hi v[34:35], v36, off offset:32
	global_store_short_d16_hi v[34:35], v37, off offset:288
	;; [unrolled: 1-line block ×4, first 2 shown]
	v_pk_mul_f32 v[34:35], v[42:43], v[36:37]
	v_pk_mul_f32 v[36:37], v[48:49], v[38:39]
	v_mov_b32_e32 v105, 0
	v_perm_b32 v37, v37, v36, s3
	v_perm_b32 v36, v35, v34, s3
	ds_write2_b64 v75, v[40:41], v[36:37] offset1:16
	v_mov_b32_e32 v34, 0
	v_mov_b32_e32 v35, 0
	;; [unrolled: 1-line block ×16, first 2 shown]
	s_cbranch_vccnz .LBB435_40
; %bb.39:                               ;   in Loop: Header=BB435_32 Depth=1
	s_and_b32 s25, s25, 0xffff
	s_mov_b32 s27, s23
	buffer_load_dwordx4 v[46:49], v97, s[24:27], 0 offen
	buffer_load_dwordx4 v[38:41], v97, s[24:27], s57 offen
	buffer_load_dwordx4 v[42:45], v98, s[24:27], 0 offen
	buffer_load_dwordx4 v[34:37], v98, s[24:27], s57 offen
	v_mov_b32_e32 v104, v69
	v_mov_b32_e32 v105, v68
.LBB435_40:                             ;   in Loop: Header=BB435_32 Depth=1
	s_waitcnt lgkmcnt(0)
	s_barrier
	ds_read_b64 v[110:111], v51
	ds_read_b64 v[118:119], v93
	;; [unrolled: 1-line block ×5, first 2 shown]
	ds_read_b64 v[124:125], v94 offset:16384
	ds_read_b64 v[126:127], v92 offset:16384
	ds_read2_b64 v[106:109], v88 offset0:16 offset1:128
	s_waitcnt lgkmcnt(6)
	v_mfma_f32_16x16x16_bf16 a[0:3], v[110:111], v[118:119], 0
	ds_read_b64 v[128:129], v89 offset:3072
	ds_read_b64 v[130:131], v96 offset:16384
	s_add_i32 s21, s52, s60
	s_waitcnt lgkmcnt(2)
	v_mfma_f32_16x16x16_bf16 a[4:7], v[110:111], v[106:107], 0
	ds_read2st64_b64 v[110:113], v89 offset0:2 offset1:4
	s_mul_hi_i32 s25, s21, s13
	s_mul_i32 s21, s21, s13
	v_mfma_f32_16x16x16_bf16 a[0:3], v[114:115], v[108:109], a[0:3]
	s_add_u32 s24, s21, s47
	s_addc_u32 s25, s25, s49
	s_lshl_b64 s[24:25], s[24:25], 15
	s_waitcnt lgkmcnt(0)
	v_mfma_f32_16x16x16_bf16 a[4:7], v[114:115], v[110:111], a[4:7]
	ds_read2st64_b64 v[114:117], v88 offset0:4 offset1:6
	s_waitcnt lgkmcnt(0)
	v_mfma_f32_16x16x16_bf16 a[0:3], v[120:121], v[114:115], a[0:3]
	v_mfma_f32_16x16x16_bf16 a[8:11], v[120:121], v[112:113], a[4:7]
	v_mfma_f32_16x16x16_bf16 a[4:7], v[122:123], v[116:117], a[0:3]
	v_mfma_f32_16x16x16_bf16 a[0:3], v[122:123], v[128:129], a[8:11]
	v_mfma_f32_16x16x16_bf16 a[8:11], v[126:127], v[118:119], 0
	ds_read2st64_b64 v[118:121], v91 offset1:8
	v_mfma_f32_16x16x16_bf16 a[12:15], v[126:127], v[106:107], 0
	ds_read_b64 v[126:127], v95 offset:16384
	v_mfma_f32_16x16x16_bf16 a[8:11], v[124:125], v[108:109], a[8:11]
	ds_read2st64_b64 v[106:109], v90 offset1:8
	s_waitcnt lgkmcnt(0)
	v_mov_b32_e32 v122, v106
	v_mfma_f32_16x16x16_bf16 a[12:15], v[124:125], v[110:111], a[12:15]
	v_lshl_add_u64 v[110:111], v[58:59], 0, s[24:25]
	v_add_co_u32_e32 v106, vcc, s37, v110
	v_mfma_f32_16x16x16_bf16 a[8:11], v[126:127], v[114:115], a[8:11]
	v_mov_b32_e32 v123, v107
	v_addc_co_u32_e32 v107, vcc, 0, v111, vcc
	v_mfma_f32_16x16x16_bf16 a[16:19], v[126:127], v[112:113], a[12:15]
	v_mov_b32_e32 v124, v118
	v_mov_b32_e32 v125, v119
	;; [unrolled: 1-line block ×3, first 2 shown]
	v_mfma_f32_16x16x16_bf16 a[12:15], v[130:131], v[116:117], a[8:11]
	v_mov_b32_e32 v119, v109
	s_and_b64 vcc, exec, s[0:1]
	global_store_dwordx4 v[110:111], v[122:125], off
	v_mfma_f32_16x16x16_bf16 a[8:11], v[130:131], v[128:129], a[16:19]
	global_store_dwordx4 v[106:107], v[118:121], off
	s_cbranch_vccnz .LBB435_42
; %bb.41:                               ;   in Loop: Header=BB435_32 Depth=1
	v_lshrrev_b32_e32 v106, 3, v104
	v_and_b32_e32 v106, 6, v106
	v_xor_b32_e32 v105, v106, v105
	v_lshlrev_b32_e32 v105, 2, v105
	v_and_b32_e32 v104, 8, v104
	v_xor_b32_e32 v107, 0x440, v105
	v_cmp_eq_u32_e32 vcc, 0, v104
	s_barrier
	s_nop 0
	v_cndmask_b32_e32 v104, v107, v105, vcc
	v_lshl_or_b32 v104, v106, 10, v104
	s_waitcnt vmcnt(3)
	v_perm_b32 v105, v46, v42, s58
	s_waitcnt vmcnt(2)
	v_perm_b32 v106, v38, v34, s58
	ds_write2st64_b32 v104, v105, v106 offset0:32 offset1:64
	v_xor_b32_e32 v105, 8, v104
	v_perm_b32 v42, v46, v42, s59
	v_perm_b32 v34, v38, v34, s59
	v_add_u32_e32 v38, 0x80, v105
	ds_write2st64_b32 v38, v42, v34 offset0:32 offset1:64
	v_xor_b32_e32 v34, 16, v104
	v_perm_b32 v38, v47, v43, s58
	v_perm_b32 v42, v39, v35, s58
	ds_write2st64_b32 v34, v38, v42 offset0:33 offset1:65
	v_xor_b32_e32 v34, 24, v104
	v_perm_b32 v38, v47, v43, s59
	v_perm_b32 v35, v39, v35, s59
	v_add_u32_e32 v34, 0x80, v34
	ds_write2st64_b32 v34, v38, v35 offset0:33 offset1:65
	v_xor_b32_e32 v34, 32, v104
	v_perm_b32 v35, v48, v44, s58
	;; [unrolled: 9-line block ×3, first 2 shown]
	v_perm_b32 v36, v41, v37, s58
	ds_write2st64_b32 v34, v35, v36 offset0:35 offset1:67
	v_xor_b32_e32 v34, 56, v104
	v_perm_b32 v35, v49, v45, s59
	v_perm_b32 v36, v41, v37, s59
	v_add_u32_e32 v34, 0x80, v34
	ds_write2st64_b32 v34, v35, v36 offset0:35 offset1:67
	ds_write_b64 v103, v[30:31] offset:24576
	v_xor_b32_e32 v30, 8, v103
	ds_write_b64 v30, v[32:33] offset:24576
	ds_write_b64 v103, v[26:27] offset:32768
	;; [unrolled: 1-line block ×4, first 2 shown]
	v_xor_b32_e32 v22, 8, v102
	ds_write_b64 v22, v[24:25] offset:24576
	ds_write_b64 v102, v[18:19] offset:32768
	;; [unrolled: 1-line block ×3, first 2 shown]
.LBB435_42:                             ;   in Loop: Header=BB435_32 Depth=1
	v_exp_f32_e32 v21, s20
	v_accvgpr_read_b32 v18, a4
	v_accvgpr_read_b32 v20, a7
	;; [unrolled: 1-line block ×3, first 2 shown]
	v_fma_f32 v14, v14, v21, v18
	v_accvgpr_read_b32 v18, a6
	v_fma_f32 v16, v16, v21, v18
	v_accvgpr_read_b32 v18, a3
	v_fmac_f32_e32 v18, v9, v21
	v_accvgpr_read_b32 v9, a12
	v_fma_f32 v10, v10, v21, v9
	v_accvgpr_read_b32 v9, a13
	v_fma_f32 v11, v11, v21, v9
	;; [unrolled: 2-line block ×3, first 2 shown]
	v_accvgpr_read_b32 v9, a15
	v_fmac_f32_e32 v20, v17, v21
	v_accvgpr_read_b32 v17, a0
	v_fmac_f32_e32 v9, v13, v21
	v_accvgpr_read_b32 v13, a8
	v_fma_f32 v6, v6, v21, v17
	v_accvgpr_read_b32 v17, a1
	v_fma_f32 v2, v2, v21, v13
	;; [unrolled: 2-line block ×3, first 2 shown]
	v_fma_f32 v7, v7, v21, v17
	v_accvgpr_read_b32 v17, a2
	v_fma_f32 v3, v3, v21, v13
	v_accvgpr_read_b32 v13, a10
	v_accvgpr_read_b32 v19, a11
	s_add_i32 s55, s55, 64
	v_fma_f32 v8, v8, v21, v17
	v_fma_f32 v4, v4, v21, v13
	s_cmp_eq_u32 s48, s39
	v_fmac_f32_e32 v19, v5, v21
	s_cbranch_scc1 .LBB435_4
; %bb.43:                               ;   in Loop: Header=BB435_32 Depth=1
	s_mov_b32 s60, s39
	v_mov_b32_e32 v17, v20
	v_mov_b32_e32 v13, v9
	;; [unrolled: 1-line block ×4, first 2 shown]
	s_branch .LBB435_32
.LBB435_44:
                                        ; implicit-def: $vgpr5
                                        ; implicit-def: $vgpr9
                                        ; implicit-def: $vgpr13
                                        ; implicit-def: $vgpr17
	s_cbranch_execz .LBB435_46
; %bb.45:
	s_waitcnt vmcnt(0)
	v_mad_u64_u32 v[2:3], s[0:1], v20, s15, v[18:19]
	v_lshlrev_b32_e32 v20, 1, v2
	s_lshl_b32 s2, s15, 7
	s_and_b32 s1, s5, 0xffff
	s_mov_b32 s3, 0x20000
	s_mov_b32 s0, s4
	v_add_lshl_u32 v21, v2, s15, 1
	s_movk_i32 s13, 0x80
	buffer_load_dwordx4 v[2:5], v20, s[0:3], 0 offen
	buffer_load_dwordx4 v[10:13], v20, s[0:3], s13 offen
	;; [unrolled: 1-line block ×4, first 2 shown]
.LBB435_46:
	v_lshrrev_b32_e32 v30, 2, v60
	s_cbranch_execnz .LBB435_59
.LBB435_47:
	s_and_b64 vcc, exec, s[6:7]
	s_cbranch_vccz .LBB435_57
; %bb.48:
	s_waitcnt vmcnt(0)
	v_lshlrev_b32_e32 v7, 1, v23
	v_cmp_gt_i32_e32 vcc, s27, v7
	v_mov_b32_e32 v6, 0
	v_lshlrev_b32_e32 v14, 9, v23
	v_mov_b32_e32 v2, 0
	v_mov_b32_e32 v3, 0
	;; [unrolled: 1-line block ×4, first 2 shown]
	s_and_saveexec_b64 s[0:1], vcc
	s_cbranch_execz .LBB435_50
; %bb.49:
	v_mov_b32_e32 v15, 0
	v_lshl_add_u64 v[2:3], s[4:5], 0, v[14:15]
	v_lshlrev_b32_e32 v4, 1, v18
	v_mov_b32_e32 v5, v15
	v_lshl_add_u64 v[2:3], v[2:3], 0, v[4:5]
	global_load_dwordx4 v[2:5], v[2:3], off
.LBB435_50:
	s_or_b64 exec, exec, s[0:1]
	v_or_b32_e32 v7, 1, v7
	v_cmp_gt_i32_e64 s[0:1], s27, v7
	v_lshlrev_b32_e32 v20, 8, v7
	v_mov_b32_e32 v7, 0
	v_mov_b32_e32 v8, 0
	;; [unrolled: 1-line block ×3, first 2 shown]
	s_and_saveexec_b64 s[2:3], s[0:1]
	s_cbranch_execz .LBB435_52
; %bb.51:
	v_mov_b32_e32 v21, 0
	v_lshl_add_u64 v[6:7], s[4:5], 0, v[20:21]
	v_lshlrev_b32_e32 v8, 1, v18
	v_mov_b32_e32 v9, v21
	v_lshl_add_u64 v[6:7], v[6:7], 0, v[8:9]
	global_load_dwordx4 v[6:9], v[6:7], off
.LBB435_52:
	s_or_b64 exec, exec, s[2:3]
	v_mov_b32_e32 v17, 0
	v_mov_b32_e32 v10, 0
	;; [unrolled: 1-line block ×5, first 2 shown]
	s_and_saveexec_b64 s[2:3], vcc
	s_cbranch_execz .LBB435_54
; %bb.53:
	v_mov_b32_e32 v15, 0
	v_lshl_add_u64 v[10:11], s[4:5], 0, v[14:15]
	v_lshlrev_b32_e32 v14, 1, v18
	v_lshl_add_u64 v[10:11], v[10:11], 0, v[14:15]
	global_load_dwordx4 v[10:13], v[10:11], off offset:128
.LBB435_54:
	s_or_b64 exec, exec, s[2:3]
	v_mov_b32_e32 v16, 0
	v_mov_b32_e32 v15, 0
	;; [unrolled: 1-line block ×3, first 2 shown]
	s_and_saveexec_b64 s[2:3], s[0:1]
	s_cbranch_execz .LBB435_56
; %bb.55:
	v_mov_b32_e32 v21, 0
	v_lshl_add_u64 v[14:15], s[4:5], 0, v[20:21]
	v_lshlrev_b32_e32 v20, 1, v18
	v_lshl_add_u64 v[14:15], v[14:15], 0, v[20:21]
	global_load_dwordx4 v[14:17], v[14:15], off offset:128
.LBB435_56:
	s_or_b64 exec, exec, s[2:3]
	s_branch .LBB435_59
.LBB435_57:
                                        ; implicit-def: $vgpr5
                                        ; implicit-def: $vgpr9
                                        ; implicit-def: $vgpr13
                                        ; implicit-def: $vgpr17
	s_cbranch_execz .LBB435_59
; %bb.58:
	s_waitcnt vmcnt(0)
	v_lshlrev_b32_e32 v2, 1, v18
	v_lshl_or_b32 v18, v23, 9, v2
	s_and_b32 s5, s5, 0xffff
	s_mov_b32 s7, 0x20000
	s_movk_i32 s6, 0x4000
	s_movk_i32 s0, 0x80
	buffer_load_dwordx4 v[2:5], v18, s[4:7], 0 offen
	buffer_load_dwordx4 v[6:9], v18, s[4:7], 0 offen offset:256
	buffer_load_dwordx4 v[10:13], v18, s[4:7], s0 offen
	buffer_load_dwordx4 v[14:17], v18, s[4:7], s0 offen offset:256
.LBB435_59:
	ds_read_b64 v[20:21], v25 offset:32768
	v_add_u32_e32 v18, 0xb000, v24
	ds_read2_b64 v[32:35], v18 offset1:16
	ds_read_b64 v[40:41], v26 offset:32768
	ds_read_b64 v[26:27], v27 offset:32768
	;; [unrolled: 1-line block ×3, first 2 shown]
	v_and_b32_e32 v18, 6, v0
	v_xor_b32_e32 v23, v23, v18
	v_lshlrev_b32_e32 v23, 2, v23
	v_and_b32_e32 v0, 1, v0
	v_xor_b32_e32 v28, 0x440, v23
	v_cmp_eq_u32_e32 vcc, 0, v0
	s_waitcnt lgkmcnt(3)
	v_mfma_f32_16x16x16_bf16 a[0:3], v[20:21], v[32:33], a[0:3]
	s_mov_b32 s0, 0x1000504
	v_cndmask_b32_e32 v0, v28, v23, vcc
	v_lshl_or_b32 v0, v18, 10, v0
	v_mfma_f32_16x16x16_bf16 a[4:7], v[20:21], v[34:35], a[4:7]
	ds_read2st64_b64 v[32:35], v24 offset0:90 offset1:92
	ds_read2st64_b64 v[36:39], v29 offset0:90 offset1:92
	ds_read_b64 v[20:21], v24 offset:48128
	ds_read_b64 v[24:25], v29 offset:48128
	s_waitcnt vmcnt(0)
	v_perm_b32 v18, v2, v6, s0
	s_waitcnt lgkmcnt(3)
	v_mfma_f32_16x16x16_bf16 a[0:3], v[40:41], v[32:33], a[0:3]
	s_mov_b32 s1, 0x3020706
	v_perm_b32 v2, v2, v6, s1
	v_perm_b32 v6, v10, v14, s1
	s_waitcnt lgkmcnt(2)
	v_mfma_f32_16x16x16_bf16 a[4:7], v[40:41], v[36:37], a[4:7]
	v_mfma_f32_16x16x16_bf16 a[0:3], v[26:27], v[34:35], a[0:3]
	;; [unrolled: 1-line block ×3, first 2 shown]
	s_waitcnt lgkmcnt(1)
	v_mfma_f32_16x16x16_bf16 a[4:7], v[42:43], v[20:21], a[0:3]
	v_perm_b32 v20, v10, v14, s0
	ds_write2st64_b32 v0, v18, v20 offset0:32 offset1:64
	v_xor_b32_e32 v18, 8, v0
	v_add_u32_e32 v10, 0x80, v18
	ds_write2st64_b32 v10, v2, v6 offset0:32 offset1:64
	v_xor_b32_e32 v2, 16, v0
	v_perm_b32 v6, v3, v7, s0
	v_perm_b32 v10, v11, v15, s0
	ds_write2st64_b32 v2, v6, v10 offset0:33 offset1:65
	v_xor_b32_e32 v2, 24, v0
	v_perm_b32 v3, v3, v7, s1
	v_perm_b32 v6, v11, v15, s1
	v_add_u32_e32 v2, 0x80, v2
	ds_write2st64_b32 v2, v3, v6 offset0:33 offset1:65
	v_xor_b32_e32 v2, 32, v0
	v_perm_b32 v3, v4, v8, s0
	v_perm_b32 v6, v12, v16, s0
	s_waitcnt lgkmcnt(4)
	v_mfma_f32_16x16x16_bf16 a[0:3], v[42:43], v[24:25], a[8:11]
	ds_write2st64_b32 v2, v3, v6 offset0:34 offset1:66
	v_xor_b32_e32 v2, 40, v0
	v_perm_b32 v3, v4, v8, s1
	v_perm_b32 v4, v12, v16, s1
	v_add_u32_e32 v2, 0x80, v2
	ds_write2st64_b32 v2, v3, v4 offset0:34 offset1:66
	v_xor_b32_e32 v2, 48, v0
	v_perm_b32 v3, v5, v9, s0
	v_perm_b32 v4, v13, v17, s0
	v_xor_b32_e32 v0, 56, v0
	v_and_or_b32 v21, v30, 12, v1
	ds_write2st64_b32 v2, v3, v4 offset0:35 offset1:67
	v_perm_b32 v2, v5, v9, s1
	v_perm_b32 v3, v13, v17, s1
	v_add_u32_e32 v0, 0x80, v0
	v_cmp_gt_i32_e32 vcc, s27, v21
	v_mov_b32_e32 v16, 0
	v_mov_b32_e32 v18, 0
	ds_write2st64_b32 v0, v2, v3 offset0:35 offset1:67
	s_and_saveexec_b64 s[0:1], vcc
	s_cbranch_execz .LBB435_61
; %bb.60:
	v_add_u32_e32 v0, s26, v21
	v_ashrrev_i32_e32 v1, 31, v0
	v_mul_lo_u32 v2, v1, s30
	v_mul_lo_u32 v3, v0, s31
	v_mad_u64_u32 v[0:1], s[2:3], v0, s30, 0
	v_add3_u32 v1, v1, v3, v2
	v_lshl_add_u64 v[0:1], v[0:1], 2, s[10:11]
	global_load_dword v0, v[0:1], off
	s_waitcnt vmcnt(0)
	v_sub_f32_e32 v0, s12, v0
	v_exp_f32_e32 v18, v0
.LBB435_61:
	s_or_b64 exec, exec, s[0:1]
	v_or_b32_e32 v10, 1, v21
	v_cmp_gt_i32_e64 s[2:3], s27, v10
	s_and_saveexec_b64 s[0:1], s[2:3]
	s_cbranch_execz .LBB435_63
; %bb.62:
	v_add_u32_e32 v0, s26, v10
	v_ashrrev_i32_e32 v1, 31, v0
	v_mul_lo_u32 v2, v1, s30
	v_mul_lo_u32 v3, v0, s31
	v_mad_u64_u32 v[0:1], s[4:5], v0, s30, 0
	v_add3_u32 v1, v1, v3, v2
	v_lshl_add_u64 v[0:1], v[0:1], 2, s[10:11]
	global_load_dword v0, v[0:1], off
	s_waitcnt vmcnt(0)
	v_sub_f32_e32 v0, s12, v0
	v_exp_f32_e32 v16, v0
.LBB435_63:
	s_or_b64 exec, exec, s[0:1]
	v_or_b32_e32 v12, 2, v21
	v_cmp_gt_i32_e64 s[0:1], s27, v12
	v_mov_b32_e32 v17, 0
	v_mov_b32_e32 v20, 0
	s_and_saveexec_b64 s[4:5], s[0:1]
	s_cbranch_execz .LBB435_65
; %bb.64:
	v_add_u32_e32 v0, s26, v12
	v_ashrrev_i32_e32 v1, 31, v0
	v_mul_lo_u32 v2, v1, s30
	v_mul_lo_u32 v3, v0, s31
	v_mad_u64_u32 v[0:1], s[6:7], v0, s30, 0
	v_add3_u32 v1, v1, v3, v2
	v_lshl_add_u64 v[0:1], v[0:1], 2, s[10:11]
	global_load_dword v0, v[0:1], off
	s_waitcnt vmcnt(0)
	v_sub_f32_e32 v0, s12, v0
	v_exp_f32_e32 v20, v0
.LBB435_65:
	s_or_b64 exec, exec, s[4:5]
	v_or_b32_e32 v14, 3, v21
	v_cmp_gt_i32_e64 s[4:5], s27, v14
	s_and_saveexec_b64 s[6:7], s[4:5]
	s_cbranch_execz .LBB435_67
; %bb.66:
	v_add_u32_e32 v0, s26, v14
	v_ashrrev_i32_e32 v1, 31, v0
	v_mul_lo_u32 v2, v1, s30
	v_mul_lo_u32 v3, v0, s31
	v_mad_u64_u32 v[0:1], s[14:15], v0, s30, 0
	v_add3_u32 v1, v1, v3, v2
	v_lshl_add_u64 v[0:1], v[0:1], 2, s[10:11]
	global_load_dword v0, v[0:1], off
	s_waitcnt vmcnt(0)
	v_sub_f32_e32 v0, s12, v0
	v_exp_f32_e32 v17, v0
.LBB435_67:
	s_or_b64 exec, exec, s[6:7]
	s_add_u32 s6, s8, s20
	s_addc_u32 s7, s9, s21
	s_add_u32 s8, s28, s20
	v_ashrrev_i32_e32 v51, 31, v50
	v_accvgpr_read_b32 v0, a4
	s_addc_u32 s9, s29, s21
	v_lshlrev_b64 v[4:5], 1, v[50:51]
	v_accvgpr_read_b32 v1, a5
	v_accvgpr_read_b32 v2, a6
	;; [unrolled: 1-line block ×3, first 2 shown]
	v_lshl_add_u64 v[6:7], s[6:7], 0, v[4:5]
	v_lshl_add_u64 v[4:5], s[8:9], 0, v[4:5]
	v_mov_b32_e32 v11, 0
	v_lshlrev_b32_e32 v8, 8, v21
	v_mov_b32_e32 v9, 0
	s_and_saveexec_b64 s[6:7], vcc
	s_cbranch_execz .LBB435_69
; %bb.68:
	v_mov_b32_e32 v9, 0
	v_lshl_add_u64 v[24:25], v[6:7], 0, v[8:9]
	global_load_ushort v13, v[24:25], off
	v_lshl_add_u64 v[24:25], v[4:5], 0, v[8:9]
	s_waitcnt vmcnt(0)
	v_lshlrev_b32_e32 v9, 16, v13
	v_sub_f32_e32 v0, v9, v0
	global_store_short_d16_hi v[24:25], v0, off
	v_mul_f32_e32 v0, v18, v0
	v_lshrrev_b32_e32 v9, 16, v0
.LBB435_69:
	s_or_b64 exec, exec, s[6:7]
	v_lshlrev_b32_e32 v10, 8, v10
	s_and_saveexec_b64 s[6:7], s[2:3]
	s_cbranch_execz .LBB435_71
; %bb.70:
	v_mov_b32_e32 v11, 0
	v_lshl_add_u64 v[24:25], v[6:7], 0, v[10:11]
	global_load_ushort v0, v[24:25], off
	v_lshl_add_u64 v[24:25], v[4:5], 0, v[10:11]
	s_waitcnt vmcnt(0)
	v_lshlrev_b32_e32 v0, 16, v0
	v_sub_f32_e32 v0, v0, v1
	global_store_short_d16_hi v[24:25], v0, off
	v_mul_f32_e32 v0, v16, v0
	v_lshrrev_b32_e32 v11, 16, v0
.LBB435_71:
	s_or_b64 exec, exec, s[6:7]
	v_mov_b32_e32 v15, 0
	v_lshlrev_b32_e32 v12, 8, v12
	v_mov_b32_e32 v13, 0
	s_and_saveexec_b64 s[6:7], s[0:1]
	s_cbranch_execz .LBB435_73
; %bb.72:
	v_mov_b32_e32 v13, 0
	v_lshl_add_u64 v[0:1], v[6:7], 0, v[12:13]
	global_load_ushort v23, v[0:1], off
	v_lshl_add_u64 v[0:1], v[4:5], 0, v[12:13]
	s_waitcnt vmcnt(0)
	v_lshlrev_b32_e32 v13, 16, v23
	v_sub_f32_e32 v2, v13, v2
	global_store_short_d16_hi v[0:1], v2, off
	v_mul_f32_e32 v0, v20, v2
	v_lshrrev_b32_e32 v13, 16, v0
.LBB435_73:
	s_or_b64 exec, exec, s[6:7]
	v_lshlrev_b32_e32 v14, 8, v14
	s_and_saveexec_b64 s[6:7], s[4:5]
	s_cbranch_execz .LBB435_75
; %bb.74:
	v_mov_b32_e32 v15, 0
	v_lshl_add_u64 v[0:1], v[6:7], 0, v[14:15]
	global_load_ushort v2, v[0:1], off
	v_lshl_add_u64 v[0:1], v[4:5], 0, v[14:15]
	s_waitcnt vmcnt(0)
	v_lshlrev_b32_e32 v2, 16, v2
	v_sub_f32_e32 v2, v2, v3
	global_store_short_d16_hi v[0:1], v2, off
	v_mul_f32_e32 v0, v17, v2
	v_lshrrev_b32_e32 v15, 16, v0
.LBB435_75:
	s_or_b64 exec, exec, s[6:7]
	v_lshlrev_b32_e32 v21, 5, v21
	s_mov_b32 s6, 0x5040100
	v_perm_b32 v24, v11, v9, s6
	v_or_b32_e32 v9, v21, v22
	v_accvgpr_read_b32 v0, a0
	v_perm_b32 v25, v15, v13, s6
	v_lshlrev_b32_e32 v9, 1, v9
	v_accvgpr_read_b32 v1, a1
	v_accvgpr_read_b32 v2, a2
	v_accvgpr_read_b32 v3, a3
	ds_write_b64 v9, v[24:25] offset:45056
	v_mov_b32_e32 v11, 0
	v_mov_b32_e32 v9, 0
	s_and_saveexec_b64 s[6:7], vcc
	s_cbranch_execz .LBB435_77
; %bb.76:
	v_mov_b32_e32 v9, 0
	v_lshl_add_u64 v[22:23], v[6:7], 0, v[8:9]
	global_load_ushort v13, v[22:23], off offset:32
	v_lshl_add_u64 v[8:9], v[4:5], 0, v[8:9]
	s_waitcnt vmcnt(0)
	v_lshlrev_b32_e32 v13, 16, v13
	v_sub_f32_e32 v0, v13, v0
	global_store_short_d16_hi v[8:9], v0, off offset:32
	v_mul_f32_e32 v0, v18, v0
	v_lshrrev_b32_e32 v9, 16, v0
.LBB435_77:
	s_or_b64 exec, exec, s[6:7]
	s_and_saveexec_b64 s[6:7], s[2:3]
	s_cbranch_execz .LBB435_79
; %bb.78:
	v_mov_b32_e32 v11, 0
	v_lshl_add_u64 v[22:23], v[6:7], 0, v[10:11]
	global_load_ushort v0, v[22:23], off offset:32
	v_lshl_add_u64 v[10:11], v[4:5], 0, v[10:11]
	s_waitcnt vmcnt(0)
	v_lshlrev_b32_e32 v0, 16, v0
	v_sub_f32_e32 v0, v0, v1
	global_store_short_d16_hi v[10:11], v0, off offset:32
	v_mul_f32_e32 v0, v16, v0
	v_lshrrev_b32_e32 v11, 16, v0
.LBB435_79:
	s_or_b64 exec, exec, s[6:7]
	v_mov_b32_e32 v0, 0
	v_mov_b32_e32 v1, 0
	s_and_saveexec_b64 s[2:3], s[0:1]
	s_cbranch_execz .LBB435_81
; %bb.80:
	v_mov_b32_e32 v13, 0
	v_lshl_add_u64 v[22:23], v[6:7], 0, v[12:13]
	global_load_ushort v1, v[22:23], off offset:32
	v_lshl_add_u64 v[12:13], v[4:5], 0, v[12:13]
	s_waitcnt vmcnt(0)
	v_lshlrev_b32_e32 v1, 16, v1
	v_sub_f32_e32 v1, v1, v2
	global_store_short_d16_hi v[12:13], v1, off offset:32
	v_mul_f32_e32 v1, v20, v1
	v_lshrrev_b32_e32 v1, 16, v1
.LBB435_81:
	s_or_b64 exec, exec, s[2:3]
	s_and_saveexec_b64 s[0:1], s[4:5]
	s_cbranch_execz .LBB435_83
; %bb.82:
	v_mov_b32_e32 v15, 0
	v_lshl_add_u64 v[6:7], v[6:7], 0, v[14:15]
	global_load_ushort v0, v[6:7], off offset:32
	v_lshl_add_u64 v[4:5], v[4:5], 0, v[14:15]
	s_waitcnt vmcnt(0)
	v_lshlrev_b32_e32 v0, 16, v0
	v_sub_f32_e32 v0, v0, v3
	global_store_short_d16_hi v[4:5], v0, off offset:32
	v_mul_f32_e32 v0, v17, v0
	v_lshrrev_b32_e32 v0, 16, v0
.LBB435_83:
	s_or_b64 exec, exec, s[0:1]
	s_mov_b32 s0, 0x5040100
	v_or_b32_e32 v2, v21, v19
	v_perm_b32 v1, v0, v1, s0
	v_perm_b32 v0, v11, v9, s0
	v_lshlrev_b32_e32 v2, 1, v2
	ds_write_b64 v2, v[0:1] offset:45056
	s_waitcnt lgkmcnt(0)
	s_barrier
.LBB435_84:
	s_endpgm
	.section	.rodata,"a",@progbits
	.p2align	6, 0x0
	.amdhsa_kernel _ZN12_GLOBAL__N_139chunk_gated_delta_rule_fwd_h_hip_kernelILi32ELb1ELb0ELb1ELb1ELb1ELb0ELb0ELb0EEEvPK12hip_bfloat16S3_S3_PKfS5_PKvPS1_S8_PvPKiSB_iiiiilll
		.amdhsa_group_segment_fixed_size 49152
		.amdhsa_private_segment_fixed_size 0
		.amdhsa_kernarg_size 136
		.amdhsa_user_sgpr_count 2
		.amdhsa_user_sgpr_dispatch_ptr 0
		.amdhsa_user_sgpr_queue_ptr 0
		.amdhsa_user_sgpr_kernarg_segment_ptr 1
		.amdhsa_user_sgpr_dispatch_id 0
		.amdhsa_user_sgpr_kernarg_preload_length 0
		.amdhsa_user_sgpr_kernarg_preload_offset 0
		.amdhsa_user_sgpr_private_segment_size 0
		.amdhsa_uses_dynamic_stack 0
		.amdhsa_enable_private_segment 0
		.amdhsa_system_sgpr_workgroup_id_x 1
		.amdhsa_system_sgpr_workgroup_id_y 1
		.amdhsa_system_sgpr_workgroup_id_z 0
		.amdhsa_system_sgpr_workgroup_info 0
		.amdhsa_system_vgpr_workitem_id 0
		.amdhsa_next_free_vgpr 152
		.amdhsa_next_free_sgpr 64
		.amdhsa_accum_offset 132
		.amdhsa_reserve_vcc 1
		.amdhsa_float_round_mode_32 0
		.amdhsa_float_round_mode_16_64 0
		.amdhsa_float_denorm_mode_32 3
		.amdhsa_float_denorm_mode_16_64 3
		.amdhsa_dx10_clamp 1
		.amdhsa_ieee_mode 1
		.amdhsa_fp16_overflow 0
		.amdhsa_tg_split 0
		.amdhsa_exception_fp_ieee_invalid_op 0
		.amdhsa_exception_fp_denorm_src 0
		.amdhsa_exception_fp_ieee_div_zero 0
		.amdhsa_exception_fp_ieee_overflow 0
		.amdhsa_exception_fp_ieee_underflow 0
		.amdhsa_exception_fp_ieee_inexact 0
		.amdhsa_exception_int_div_zero 0
	.end_amdhsa_kernel
	.section	.text._ZN12_GLOBAL__N_139chunk_gated_delta_rule_fwd_h_hip_kernelILi32ELb1ELb0ELb1ELb1ELb1ELb0ELb0ELb0EEEvPK12hip_bfloat16S3_S3_PKfS5_PKvPS1_S8_PvPKiSB_iiiiilll,"axG",@progbits,_ZN12_GLOBAL__N_139chunk_gated_delta_rule_fwd_h_hip_kernelILi32ELb1ELb0ELb1ELb1ELb1ELb0ELb0ELb0EEEvPK12hip_bfloat16S3_S3_PKfS5_PKvPS1_S8_PvPKiSB_iiiiilll,comdat
.Lfunc_end435:
	.size	_ZN12_GLOBAL__N_139chunk_gated_delta_rule_fwd_h_hip_kernelILi32ELb1ELb0ELb1ELb1ELb1ELb0ELb0ELb0EEEvPK12hip_bfloat16S3_S3_PKfS5_PKvPS1_S8_PvPKiSB_iiiiilll, .Lfunc_end435-_ZN12_GLOBAL__N_139chunk_gated_delta_rule_fwd_h_hip_kernelILi32ELb1ELb0ELb1ELb1ELb1ELb0ELb0ELb0EEEvPK12hip_bfloat16S3_S3_PKfS5_PKvPS1_S8_PvPKiSB_iiiiilll
                                        ; -- End function
	.section	.AMDGPU.csdata,"",@progbits
; Kernel info:
; codeLenInByte = 8504
; NumSgprs: 70
; NumVgprs: 132
; NumAgprs: 20
; TotalNumVgprs: 152
; ScratchSize: 0
; MemoryBound: 0
; FloatMode: 240
; IeeeMode: 1
; LDSByteSize: 49152 bytes/workgroup (compile time only)
; SGPRBlocks: 8
; VGPRBlocks: 18
; NumSGPRsForWavesPerEU: 70
; NumVGPRsForWavesPerEU: 152
; AccumOffset: 132
; Occupancy: 1
; WaveLimiterHint : 1
; COMPUTE_PGM_RSRC2:SCRATCH_EN: 0
; COMPUTE_PGM_RSRC2:USER_SGPR: 2
; COMPUTE_PGM_RSRC2:TRAP_HANDLER: 0
; COMPUTE_PGM_RSRC2:TGID_X_EN: 1
; COMPUTE_PGM_RSRC2:TGID_Y_EN: 1
; COMPUTE_PGM_RSRC2:TGID_Z_EN: 0
; COMPUTE_PGM_RSRC2:TIDIG_COMP_CNT: 0
; COMPUTE_PGM_RSRC3_GFX90A:ACCUM_OFFSET: 32
; COMPUTE_PGM_RSRC3_GFX90A:TG_SPLIT: 0
	.section	.text._ZN12_GLOBAL__N_139chunk_gated_delta_rule_fwd_h_hip_kernelILi32ELb1ELb0ELb0ELb1ELb1ELb0ELb0ELb0EEEvPK12hip_bfloat16S3_S3_PKfS5_PKvPS1_S8_PvPKiSB_iiiiilll,"axG",@progbits,_ZN12_GLOBAL__N_139chunk_gated_delta_rule_fwd_h_hip_kernelILi32ELb1ELb0ELb0ELb1ELb1ELb0ELb0ELb0EEEvPK12hip_bfloat16S3_S3_PKfS5_PKvPS1_S8_PvPKiSB_iiiiilll,comdat
	.globl	_ZN12_GLOBAL__N_139chunk_gated_delta_rule_fwd_h_hip_kernelILi32ELb1ELb0ELb0ELb1ELb1ELb0ELb0ELb0EEEvPK12hip_bfloat16S3_S3_PKfS5_PKvPS1_S8_PvPKiSB_iiiiilll ; -- Begin function _ZN12_GLOBAL__N_139chunk_gated_delta_rule_fwd_h_hip_kernelILi32ELb1ELb0ELb0ELb1ELb1ELb0ELb0ELb0EEEvPK12hip_bfloat16S3_S3_PKfS5_PKvPS1_S8_PvPKiSB_iiiiilll
	.p2align	8
	.type	_ZN12_GLOBAL__N_139chunk_gated_delta_rule_fwd_h_hip_kernelILi32ELb1ELb0ELb0ELb1ELb1ELb0ELb0ELb0EEEvPK12hip_bfloat16S3_S3_PKfS5_PKvPS1_S8_PvPKiSB_iiiiilll,@function
_ZN12_GLOBAL__N_139chunk_gated_delta_rule_fwd_h_hip_kernelILi32ELb1ELb0ELb0ELb1ELb1ELb0ELb0ELb0EEEvPK12hip_bfloat16S3_S3_PKfS5_PKvPS1_S8_PvPKiSB_iiiiilll: ; @_ZN12_GLOBAL__N_139chunk_gated_delta_rule_fwd_h_hip_kernelILi32ELb1ELb0ELb0ELb1ELb1ELb0ELb0ELb0EEEvPK12hip_bfloat16S3_S3_PKfS5_PKvPS1_S8_PvPKiSB_iiiiilll
; %bb.0:
	s_load_dwordx4 s[12:15], s[0:1], 0x5c
	s_load_dwordx4 s[20:23], s[0:1], 0x70
	s_abs_i32 s9, s3
	s_ashr_i32 s8, s3, 31
	s_load_dwordx4 s[4:7], s[0:1], 0x48
	s_waitcnt lgkmcnt(0)
	s_abs_i32 s10, s13
	v_cvt_f32_u32_e32 v1, s10
	s_sub_i32 s16, 0, s10
	s_ashr_i32 s11, s13, 31
	s_xor_b32 s8, s8, s11
	v_rcp_iflag_f32_e32 v1, v1
	v_and_b32_e32 v61, 15, v0
	v_lshrrev_b32_e32 v59, 6, v0
	v_bfe_u32 v60, v0, 4, 2
	v_mul_f32_e32 v1, 0x4f7ffffe, v1
	v_cvt_u32_f32_e32 v1, v1
	v_mov_b32_e32 v7, 0
	v_and_b32_e32 v58, 63, v0
	v_lshrrev_b32_e32 v63, 3, v58
	v_readfirstlane_b32 s17, v1
	s_mul_i32 s16, s16, s17
	s_mul_hi_u32 s16, s17, s16
	s_add_i32 s17, s17, s16
	s_mul_hi_u32 s16, s9, s17
	s_mul_i32 s17, s16, s10
	s_sub_i32 s9, s9, s17
	s_add_i32 s18, s16, 1
	s_sub_i32 s17, s9, s10
	s_cmp_ge_u32 s9, s10
	s_cselect_b32 s16, s18, s16
	s_cselect_b32 s9, s17, s9
	s_add_i32 s17, s16, 1
	s_cmp_ge_u32 s9, s10
	s_cselect_b32 s9, s17, s16
	s_load_dwordx4 s[16:19], s[0:1], 0x28
	s_xor_b32 s9, s9, s8
	s_sub_i32 s24, s9, s8
	s_mul_i32 s28, s24, s13
	s_ashr_i32 s25, s24, 31
	s_sub_i32 s45, s3, s28
	s_lshl_b64 s[8:9], s[24:25], 2
	s_add_u32 s4, s4, s8
	s_addc_u32 s5, s5, s9
	s_add_u32 s26, s6, s8
	s_addc_u32 s27, s7, s9
	s_abs_i32 s3, s14
	v_cvt_f32_u32_e32 v1, s3
	s_load_dwordx2 s[30:31], s[4:5], 0x0
	s_sub_i32 s5, 0, s3
	s_lshl_b32 s2, s2, 5
	v_rcp_iflag_f32_e32 v1, v1
	v_or_b32_e32 v50, s2, v61
	s_waitcnt lgkmcnt(0)
	s_sub_i32 s48, s31, s30
	s_ashr_i32 s4, s48, 31
	v_mul_f32_e32 v1, 0x4f7ffffe, v1
	v_cvt_u32_f32_e32 v1, v1
	s_lshr_b32 s4, s4, 26
	s_add_i32 s4, s48, s4
	s_ashr_i32 s46, s4, 6
	v_readfirstlane_b32 s6, v1
	s_mul_i32 s5, s5, s6
	s_mul_hi_u32 s5, s6, s5
	s_add_i32 s6, s6, s5
	s_mul_hi_u32 s5, s10, s6
	s_mul_i32 s6, s5, s3
	s_ashr_i32 s4, s14, 31
	s_sub_i32 s6, s10, s6
	s_xor_b32 s4, s11, s4
	s_add_i32 s7, s5, 1
	s_sub_i32 s8, s6, s3
	s_cmp_ge_u32 s6, s3
	s_cselect_b32 s5, s7, s5
	s_cselect_b32 s6, s8, s6
	s_add_i32 s7, s5, 1
	s_cmp_ge_u32 s6, s3
	s_cselect_b32 s3, s7, s5
	s_xor_b32 s3, s3, s4
	s_sub_i32 s3, s3, s4
	s_abs_i32 s4, s3
	v_cvt_f32_u32_e32 v1, s4
	s_sub_i32 s6, 0, s4
	s_abs_i32 s5, s45
	s_xor_b32 s3, s45, s3
	v_rcp_iflag_f32_e32 v1, v1
	s_ashr_i32 s3, s3, 31
	v_lshlrev_b32_e32 v2, 7, v50
	v_ashrrev_i32_e32 v3, 31, v2
	v_mul_f32_e32 v1, 0x4f7ffffe, v1
	v_cvt_u32_f32_e32 v1, v1
	s_mul_hi_i32 s51, s45, s12
	s_mul_i32 s52, s45, s12
	v_lshlrev_b32_e32 v62, 3, v0
	v_readfirstlane_b32 s7, v1
	s_mul_i32 s6, s6, s7
	s_mul_hi_u32 s6, s7, s6
	s_add_i32 s7, s7, s6
	s_mul_hi_u32 s6, s5, s7
	s_mul_i32 s7, s6, s4
	s_sub_i32 s5, s5, s7
	s_add_i32 s7, s6, 1
	s_sub_i32 s8, s5, s4
	s_cmp_ge_u32 s5, s4
	s_cselect_b32 s6, s7, s6
	s_cselect_b32 s5, s8, s5
	s_add_i32 s7, s6, 1
	s_cmp_ge_u32 s5, s4
	s_cselect_b32 s4, s7, s6
	s_xor_b32 s4, s4, s3
	s_sub_i32 s49, s4, s3
	s_ashr_i32 s47, s45, 31
	s_mul_hi_i32 s3, s24, s13
	s_add_u32 s4, s28, s45
	s_addc_u32 s5, s3, s47
	s_lshl_b64 s[4:5], s[4:5], 16
	s_add_u32 s4, s16, s4
	s_addc_u32 s5, s17, s5
	v_lshlrev_b32_e32 v1, 4, v59
	v_lshl_add_u64 v[4:5], v[2:3], 2, s[4:5]
	v_or_b32_e32 v2, 0x800, v2
	v_lshl_or_b32 v64, v60, 2, v1
	v_ashrrev_i32_e32 v3, 31, v2
	v_lshlrev_b32_e32 v6, 2, v64
	v_lshl_add_u64 v[2:3], v[2:3], 2, s[4:5]
	v_lshl_add_u64 v[4:5], v[4:5], 0, v[6:7]
	;; [unrolled: 1-line block ×3, first 2 shown]
	global_load_dwordx4 v[14:17], v[4:5], off
	global_load_dwordx4 v[10:13], v[4:5], off offset:256
	global_load_dwordx4 v[6:9], v[18:19], off
	s_nop 0
	global_load_dwordx4 v[2:5], v[18:19], off offset:256
	s_load_dwordx8 s[4:11], s[0:1], 0x0
	s_load_dwordx2 s[28:29], s[0:1], 0x80
	s_load_dword s50, s[26:27], 0x0
	v_or_b32_e32 v65, 64, v64
	s_cmp_lt_i32 s48, 64
	s_mul_i32 s33, s24, s21
	s_mul_hi_u32 s41, s24, s20
	s_mul_i32 s42, s25, s20
	s_mul_i32 s34, s24, s20
	;; [unrolled: 1-line block ×3, first 2 shown]
	s_mul_hi_u32 s43, s45, s22
	s_mul_i32 s44, s47, s22
	s_mul_i32 s36, s45, s22
	s_cbranch_scc1 .LBB436_3
; %bb.1:
	s_ashr_i32 s1, s30, 31
	s_add_u32 s0, s52, s30
	s_addc_u32 s1, s51, s1
	s_lshl_b64 s[0:1], s[0:1], 8
	v_and_b32_e32 v67, 56, v62
	s_waitcnt lgkmcnt(0)
	s_add_u32 s20, s6, s0
	v_lshl_or_b32 v66, v59, 3, v63
	v_lshlrev_b32_e32 v18, 1, v67
	s_addc_u32 s0, s7, s1
	v_lshl_or_b32 v68, v66, 8, v18
	s_and_b32 s21, s0, 0xffff
	s_mov_b32 s23, 0x20000
	s_movk_i32 s22, 0x4000
	s_movk_i32 s0, 0x80
	v_or_b32_e32 v69, 0x2000, v68
	buffer_load_dwordx4 v[20:23], v68, s[20:23], 0 offen
	buffer_load_dwordx4 v[24:27], v68, s[20:23], s0 offen
	;; [unrolled: 1-line block ×4, first 2 shown]
	v_lshlrev_b32_e32 v19, 3, v66
	v_and_or_b32 v37, v0, 7, v19
	v_and_b32_e32 v19, 0x78, v19
	v_lshlrev_b32_e32 v37, 4, v37
	v_xor_b32_e32 v70, v37, v19
	v_mul_lo_u32 v36, v66, s15
	v_or_b32_e32 v71, 0x1000, v70
	v_xor_b32_e32 v19, 8, v70
	s_cmpk_eq_i32 s15, 0x80
	s_mov_b32 s53, s30
	v_xor_b32_e32 v37, 8, v71
	s_cselect_b64 s[0:1], -1, 0
	s_cmpk_lg_i32 s15, 0x80
	s_waitcnt vmcnt(3)
	ds_write_b64 v70, v[20:21] offset:24576
	ds_write_b64 v19, v[22:23] offset:24576
	s_waitcnt vmcnt(2)
	ds_write_b64 v70, v[24:25] offset:32768
	ds_write_b64 v19, v[26:27] offset:32768
	;; [unrolled: 3-line block ×4, first 2 shown]
	v_lshl_add_u32 v19, v36, 1, v67
	s_cbranch_scc0 .LBB436_29
; %bb.2:
	v_lshlrev_b32_e32 v21, 1, v19
	v_add_lshl_u32 v20, v19, s15, 1
	s_lshl_b32 s22, s15, 7
	v_lshl_or_b32 v18, v66, 9, v18
	s_cbranch_execz .LBB436_30
	s_branch .LBB436_31
.LBB436_3:
	s_waitcnt vmcnt(0)
	v_mov_b32_e32 v19, v5
	v_mov_b32_e32 v18, v9
	;; [unrolled: 1-line block ×4, first 2 shown]
.LBB436_4:
	s_lshl_b32 s26, s46, 6
	s_sub_i32 s27, s48, s26
	s_cmp_gt_i32 s27, 0
	s_cbranch_scc0 .LBB436_84
; %bb.5:
	s_add_i32 s26, s26, s30
	s_ashr_i32 s3, s26, 31
	s_cmpk_lg_i32 s15, 0x80
	s_cselect_b64 s[22:23], -1, 0
	s_and_b64 vcc, exec, s[22:23]
	s_cbranch_vccz .LBB436_7
; %bb.6:
	s_mul_hi_i32 s0, s26, s14
	s_mul_i32 s1, s26, s14
	s_ashr_i32 s14, s49, 31
	s_add_u32 s24, s1, s49
	s_addc_u32 s25, s0, s14
	s_cbranch_execz .LBB436_8
	s_branch .LBB436_9
.LBB436_7:
                                        ; implicit-def: $sgpr24_sgpr25
.LBB436_8:
	s_mul_i32 s1, s49, s12
	s_mul_hi_i32 s0, s49, s12
	s_add_u32 s24, s1, s26
	s_addc_u32 s25, s0, s3
.LBB436_9:
	s_waitcnt lgkmcnt(0)
	s_add_i32 s12, s46, s50
	s_add_u32 s0, s52, s26
	s_addc_u32 s1, s51, s3
	v_lshlrev_b32_e32 v21, 5, v64
	v_lshlrev_b32_e32 v22, 2, v61
	s_mov_b32 s3, 0x7060302
	v_xor_b32_e32 v5, v64, v22
	v_xor_b32_e32 v23, v65, v22
	v_perm_b32 v13, v9, v12, s3
	v_or_b32_e32 v9, v21, v22
	s_lshl_b64 s[20:21], s[0:1], 8
	v_perm_b32 v17, v20, v16, s3
	v_perm_b32 v16, v15, v14, s3
	v_perm_b32 v12, v11, v10, s3
	v_lshlrev_b32_e32 v9, 1, v9
	v_lshlrev_b32_e32 v10, 1, v5
	v_lshlrev_b32_e32 v5, 8, v61
	v_lshlrev_b32_e32 v11, 1, v23
	s_add_u32 s0, s6, s20
	ds_write2st64_b64 v9, v[16:17], v[12:13] offset0:80 offset1:88
	v_or_b32_e32 v9, v10, v5
	v_or_b32_e32 v5, v11, v5
	s_addc_u32 s1, s7, s21
	ds_write_b64 v9, v[16:17]
	ds_write_b64 v5, v[12:13]
	v_perm_b32 v9, v18, v8, s3
	v_perm_b32 v8, v7, v6, s3
	;; [unrolled: 1-line block ×4, first 2 shown]
	s_mul_hi_i32 s3, s12, s13
	s_mul_i32 s12, s12, s13
	s_add_u32 s6, s12, s45
	v_or_b32_e32 v2, 16, v61
	s_addc_u32 s7, s3, s47
	v_lshlrev_b32_e32 v19, 2, v2
	s_ashr_i32 s3, s2, 31
	s_lshl_b64 s[6:7], s[6:7], 15
	v_or_b32_e32 v3, v21, v19
	s_add_u32 s6, s18, s6
	v_lshlrev_b32_e32 v3, 1, v3
	v_lshlrev_b32_e32 v2, 8, v2
	s_addc_u32 s7, s19, s7
	s_lshl_b64 s[2:3], s[2:3], 8
	ds_write2st64_b64 v3, v[8:9], v[4:5] offset0:80 offset1:88
	v_or_b32_e32 v3, v10, v2
	v_or_b32_e32 v2, v11, v2
	s_add_u32 s2, s6, s2
	ds_write_b64 v3, v[8:9]
	ds_write_b64 v2, v[4:5]
	v_lshrrev_b32_e32 v2, 4, v0
	s_addc_u32 s3, s7, s3
	v_lshlrev_b32_e32 v3, 1, v61
	v_lshlrev_b32_e32 v10, 4, v61
	v_mov_b32_e32 v11, 0
	v_or_b32_e32 v4, 1, v3
	v_xor_b32_e32 v3, v2, v3
	v_lshl_add_u64 v[12:13], s[2:3], 0, v[10:11]
	v_lshlrev_b32_e32 v10, 8, v2
	v_xor_b32_e32 v6, v4, v2
	v_lshl_or_b32 v2, v3, 3, v10
	s_waitcnt lgkmcnt(0)
	s_barrier
	ds_read2st64_b64 v[2:5], v2 offset1:8
	v_lshl_or_b32 v6, v6, 3, v10
	ds_read2st64_b64 v[6:9], v6 offset1:8
	v_lshl_add_u64 v[14:15], v[12:13], 0, v[10:11]
	s_movk_i32 s2, 0x1000
	s_waitcnt lgkmcnt(1)
	v_mov_b32_e32 v10, v2
	v_add_co_u32_e32 v2, vcc, s2, v14
	s_cmp_lg_u32 s27, 64
	v_mov_b32_e32 v11, v3
	v_addc_co_u32_e32 v3, vcc, 0, v15, vcc
	s_cselect_b64 s[6:7], -1, 0
	v_lshl_or_b32 v23, v59, 3, v63
	s_waitcnt lgkmcnt(0)
	v_mov_b32_e32 v12, v6
	v_mov_b32_e32 v13, v7
	;; [unrolled: 1-line block ×4, first 2 shown]
	s_mov_b32 s16, 0
	v_or_b32_e32 v20, 32, v23
	v_and_b32_e32 v18, 56, v62
	s_and_b64 vcc, exec, s[6:7]
	global_store_dwordx4 v[14:15], v[10:13], off
	global_store_dwordx4 v[2:3], v[6:9], off
	s_cbranch_vccz .LBB436_15
; %bb.10:
	s_mov_b32 s17, s16
	s_mov_b32 s18, s16
	;; [unrolled: 1-line block ×3, first 2 shown]
	v_mov_b64_e32 v[6:7], s[16:17]
	v_mov_b64_e32 v[8:9], s[18:19]
	;; [unrolled: 1-line block ×3, first 2 shown]
	v_cmp_gt_i32_e32 vcc, s27, v23
	v_mov_b64_e32 v[4:5], v[8:9]
	s_and_saveexec_b64 s[2:3], vcc
	s_cbranch_execz .LBB436_12
; %bb.11:
	v_lshlrev_b32_e32 v2, 8, v23
	v_mov_b32_e32 v3, 0
	v_lshl_add_u64 v[4:5], s[0:1], 0, v[2:3]
	v_lshlrev_b32_e32 v2, 1, v18
	v_lshl_add_u64 v[10:11], v[4:5], 0, v[2:3]
	global_load_dwordx4 v[6:9], v[10:11], off
	global_load_dwordx4 v[2:5], v[10:11], off offset:128
.LBB436_12:
	s_or_b64 exec, exec, s[2:3]
	s_mov_b32 s17, s16
	s_mov_b32 s18, s16
	;; [unrolled: 1-line block ×3, first 2 shown]
	v_mov_b64_e32 v[14:15], s[16:17]
	v_mov_b64_e32 v[16:17], s[18:19]
	;; [unrolled: 1-line block ×3, first 2 shown]
	v_cmp_gt_i32_e32 vcc, s27, v20
	v_lshlrev_b32_e32 v21, 7, v20
	v_mov_b64_e32 v[12:13], v[16:17]
	s_and_saveexec_b64 s[2:3], vcc
	s_cbranch_execz .LBB436_14
; %bb.13:
	v_lshlrev_b32_e32 v10, 1, v21
	v_mov_b32_e32 v11, 0
	v_lshl_add_u64 v[12:13], s[0:1], 0, v[10:11]
	v_lshlrev_b32_e32 v10, 1, v18
	v_lshl_add_u64 v[24:25], v[12:13], 0, v[10:11]
	global_load_dwordx4 v[14:17], v[24:25], off
	global_load_dwordx4 v[10:13], v[24:25], off offset:128
.LBB436_14:
	s_or_b64 exec, exec, s[2:3]
	v_lshrrev_b32_e32 v24, 3, v18
	v_lshlrev_b32_e32 v25, 3, v23
	v_or_b32_e32 v24, v25, v24
	v_lshlrev_b32_e32 v24, 4, v24
	v_and_b32_e32 v25, 0x78, v25
	v_xor_b32_e32 v24, v24, v25
	s_branch .LBB436_17
.LBB436_15:
                                        ; implicit-def: $vgpr24
                                        ; implicit-def: $vgpr21
                                        ; implicit-def: $vgpr6_vgpr7_vgpr8_vgpr9
                                        ; implicit-def: $vgpr2_vgpr3_vgpr4_vgpr5
                                        ; implicit-def: $vgpr14_vgpr15_vgpr16_vgpr17
                                        ; implicit-def: $vgpr10_vgpr11_vgpr12_vgpr13
	s_cbranch_execz .LBB436_17
; %bb.16:
	s_waitcnt vmcnt(0)
	v_lshlrev_b32_e32 v2, 1, v18
	v_lshl_or_b32 v21, v23, 8, v2
	s_and_b32 s1, s1, 0xffff
	s_mov_b32 s3, 0x20000
	s_movk_i32 s2, 0x4000
	v_lshl_or_b32 v24, v20, 8, v2
	s_movk_i32 s12, 0x80
	buffer_load_dwordx4 v[6:9], v21, s[0:3], 0 offen
	buffer_load_dwordx4 v[2:5], v21, s[0:3], s12 offen
	;; [unrolled: 1-line block ×4, first 2 shown]
	v_lshrrev_b32_e32 v21, 3, v18
	v_lshlrev_b32_e32 v24, 3, v23
	v_or_b32_e32 v21, v24, v21
	v_lshlrev_b32_e32 v21, 4, v21
	v_and_b32_e32 v24, 0x78, v24
	v_xor_b32_e32 v24, v21, v24
	v_lshlrev_b32_e32 v21, 7, v20
.LBB436_17:
	s_lshl_b64 s[0:1], s[24:25], 8
	s_add_u32 s4, s4, s0
	s_movk_i32 s0, 0x1000
	v_and_or_b32 v20, v21, s0, v24
	s_waitcnt vmcnt(1)
	ds_write_b64 v24, v[6:7] offset:24576
	v_xor_b32_e32 v6, 8, v24
	ds_write_b64 v6, v[8:9] offset:24576
	s_waitcnt vmcnt(0)
	ds_write_b64 v24, v[2:3] offset:32768
	ds_write_b64 v6, v[4:5] offset:32768
	;; [unrolled: 1-line block ×3, first 2 shown]
	v_xor_b32_e32 v2, 8, v20
	ds_write_b64 v2, v[16:17] offset:24576
	ds_write_b64 v20, v[10:11] offset:32768
	;; [unrolled: 1-line block ×3, first 2 shown]
	v_or_b32_e32 v2, v1, v61
	v_lshlrev_b32_e32 v3, 11, v59
	v_lshlrev_b32_e32 v2, 3, v2
	v_and_b32_e32 v6, 0x1000, v3
	v_lshrrev_b32_e32 v3, 5, v58
	s_movk_i32 s3, 0xf8
	v_and_or_b32 v3, v2, s3, v3
	v_lshlrev_b32_e32 v7, 4, v3
	v_and_b32_e32 v8, 0x78, v2
	v_or_b32_e32 v10, 32, v7
	v_lshrrev_b32_e32 v3, 1, v58
	v_xor_b32_e32 v10, v10, v8
	v_xor_b32_e32 v2, v7, v8
	v_and_b32_e32 v9, 8, v3
	v_or_b32_e32 v10, v10, v6
	v_or_b32_e32 v2, v2, v6
	v_xor_b32_e32 v26, v10, v9
	v_or_b32_e32 v10, 64, v7
	v_xor_b32_e32 v25, v2, v9
	v_xor_b32_e32 v10, v10, v8
	s_waitcnt lgkmcnt(0)
	s_barrier
	v_or_b32_e32 v12, v10, v6
	ds_read_b64 v[10:11], v25 offset:24576
	v_lshl_or_b32 v20, v60, 7, v22
	v_lshlrev_b32_e32 v24, 1, v20
	v_add_u32_e32 v2, 0xa000, v24
	ds_read2_b64 v[2:5], v2 offset1:16
	v_or_b32_e32 v7, 0x60, v7
	v_xor_b32_e32 v7, v7, v8
	s_waitcnt lgkmcnt(0)
	v_mfma_f32_16x16x16_bf16 a[0:3], v[10:11], v[2:3], 0
	v_or_b32_e32 v2, 64, v20
	v_or_b32_e32 v6, v7, v6
	v_lshlrev_b32_e32 v29, 1, v2
	v_xor_b32_e32 v27, v12, v9
	v_xor_b32_e32 v28, v6, v9
	ds_read_b64 v[12:13], v26 offset:24576
	ds_read_b64 v[14:15], v27 offset:24576
	;; [unrolled: 1-line block ×3, first 2 shown]
	v_mfma_f32_16x16x16_bf16 a[4:7], v[10:11], v[4:5], 0
	ds_read2st64_b64 v[2:5], v29 offset0:82 offset1:84
	ds_read2st64_b64 v[6:9], v24 offset0:82 offset1:84
	s_addc_u32 s5, s5, s1
	s_add_i32 s1, s41, s33
	s_add_i32 s0, s31, -1
	s_add_i32 s35, s1, s42
	s_add_i32 s1, s43, s40
	;; [unrolled: 1-line block ×3, first 2 shown]
	s_ashr_i32 s1, s0, 31
	s_mul_i32 s2, s0, s29
	s_mul_hi_u32 s3, s0, s28
	s_add_i32 s2, s3, s2
	s_mul_i32 s1, s1, s28
	s_waitcnt lgkmcnt(1)
	v_mfma_f32_16x16x16_bf16 a[4:7], v[12:13], v[2:3], a[4:7]
	s_add_i32 s1, s2, s1
	s_lshl_b64 s[2:3], s[34:35], 2
	s_add_u32 s10, s10, s2
	s_waitcnt lgkmcnt(0)
	v_mfma_f32_16x16x16_bf16 a[0:3], v[12:13], v[6:7], a[0:3]
	s_addc_u32 s11, s11, s3
	s_lshl_b64 s[2:3], s[36:37], 2
	s_mul_i32 s0, s0, s28
	s_add_u32 s10, s10, s2
	ds_read_b64 v[2:3], v24 offset:44032
	v_mfma_f32_16x16x16_bf16 a[4:7], v[14:15], v[4:5], a[4:7]
	ds_read_b64 v[4:5], v29 offset:44032
	s_addc_u32 s11, s11, s3
	s_lshl_b64 s[0:1], s[0:1], 2
	v_mfma_f32_16x16x16_bf16 a[0:3], v[14:15], v[8:9], a[0:3]
	s_add_u32 s0, s10, s0
	s_addc_u32 s1, s11, s1
	s_load_dword s12, s[0:1], 0x0
	s_waitcnt lgkmcnt(0)
	v_mfma_f32_16x16x16_bf16 a[0:3], v[16:17], v[2:3], a[0:3]
	s_and_b64 vcc, exec, s[22:23]
	v_mfma_f32_16x16x16_bf16 a[4:7], v[16:17], v[4:5], a[4:7]
	s_cbranch_vccz .LBB436_28
; %bb.18:
	v_lshlrev_b32_e32 v20, 1, v23
	s_and_b64 vcc, exec, s[6:7]
	s_cbranch_vccz .LBB436_44
; %bb.19:
	v_cmp_gt_i32_e32 vcc, s27, v20
	v_mov_b32_e32 v6, 0
	v_mov_b32_e32 v2, 0
	;; [unrolled: 1-line block ×5, first 2 shown]
	s_and_saveexec_b64 s[0:1], vcc
	s_cbranch_execz .LBB436_21
; %bb.20:
	v_mad_i64_i32 v[2:3], s[2:3], s15, v20, 0
	v_lshl_add_u64 v[2:3], v[2:3], 1, s[4:5]
	v_lshlrev_b32_e32 v4, 1, v18
	v_mov_b32_e32 v5, 0
	v_lshl_add_u64 v[2:3], v[2:3], 0, v[4:5]
	global_load_dwordx4 v[2:5], v[2:3], off
.LBB436_21:
	s_or_b64 exec, exec, s[0:1]
	v_or_b32_e32 v21, 1, v20
	v_cmp_gt_i32_e64 s[0:1], s27, v21
	v_mov_b32_e32 v7, 0
	v_mov_b32_e32 v8, 0
	;; [unrolled: 1-line block ×3, first 2 shown]
	s_and_saveexec_b64 s[2:3], s[0:1]
	s_cbranch_execz .LBB436_23
; %bb.22:
	v_mad_i64_i32 v[6:7], s[16:17], s15, v21, 0
	v_lshl_add_u64 v[6:7], v[6:7], 1, s[4:5]
	v_lshlrev_b32_e32 v8, 1, v18
	v_mov_b32_e32 v9, 0
	v_lshl_add_u64 v[6:7], v[6:7], 0, v[8:9]
	global_load_dwordx4 v[6:9], v[6:7], off
.LBB436_23:
	s_or_b64 exec, exec, s[2:3]
	v_mov_b32_e32 v17, 0
	v_mov_b32_e32 v10, 0
	;; [unrolled: 1-line block ×5, first 2 shown]
	s_and_saveexec_b64 s[2:3], vcc
	s_cbranch_execz .LBB436_25
; %bb.24:
	v_mad_i64_i32 v[10:11], s[16:17], s15, v20, 0
	v_lshl_add_u64 v[10:11], v[10:11], 1, s[4:5]
	v_lshlrev_b32_e32 v12, 1, v18
	v_mov_b32_e32 v13, 0
	v_lshl_add_u64 v[10:11], v[10:11], 0, v[12:13]
	global_load_dwordx4 v[10:13], v[10:11], off offset:128
.LBB436_25:
	s_or_b64 exec, exec, s[2:3]
	v_mov_b32_e32 v16, 0
	v_mov_b32_e32 v15, 0
	;; [unrolled: 1-line block ×3, first 2 shown]
	s_and_saveexec_b64 s[2:3], s[0:1]
	s_cbranch_execz .LBB436_27
; %bb.26:
	v_mad_i64_i32 v[14:15], s[0:1], s15, v21, 0
	v_lshl_add_u64 v[14:15], v[14:15], 1, s[4:5]
	v_lshlrev_b32_e32 v16, 1, v18
	v_mov_b32_e32 v17, 0
	v_lshl_add_u64 v[14:15], v[14:15], 0, v[16:17]
	global_load_dwordx4 v[14:17], v[14:15], off offset:128
.LBB436_27:
	s_or_b64 exec, exec, s[2:3]
	s_branch .LBB436_46
.LBB436_28:
                                        ; implicit-def: $vgpr5
                                        ; implicit-def: $vgpr9
                                        ; implicit-def: $vgpr13
                                        ; implicit-def: $vgpr17
	v_lshrrev_b32_e32 v30, 2, v58
	s_branch .LBB436_47
.LBB436_29:
                                        ; implicit-def: $vgpr20
                                        ; implicit-def: $vgpr21
                                        ; implicit-def: $sgpr22
	v_lshl_or_b32 v18, v66, 9, v18
.LBB436_30:
	v_or_b32_e32 v20, 0x100, v18
	s_movk_i32 s22, 0x4000
	v_mov_b32_e32 v21, v18
.LBB436_31:
	s_mul_i32 s16, s30, s14
	s_ashr_i32 s54, s49, 31
	s_mul_hi_i32 s3, s30, s14
	s_add_u32 s16, s16, s49
	s_addc_u32 s17, s3, s54
	s_lshl_b64 s[16:17], s[16:17], 8
	s_add_u32 s20, s4, s16
	s_addc_u32 s3, s5, s17
	s_and_b32 s21, s3, 0xffff
	s_movk_i32 s55, 0x80
	buffer_load_dwordx4 v[22:25], v21, s[20:23], 0 offen
	buffer_load_dwordx4 v[26:29], v21, s[20:23], s55 offen
	;; [unrolled: 1-line block ×4, first 2 shown]
	v_and_b32_e32 v20, 6, v0
	v_lshlrev_b32_e32 v39, 6, v64
	v_or_b32_e32 v41, 16, v61
	v_xor_b32_e32 v42, v66, v20
	v_and_b32_e32 v21, 1, v0
	v_lshl_or_b32 v45, v61, 3, v39
	v_lshl_or_b32 v39, v41, 3, v39
	v_lshlrev_b32_e32 v42, 2, v42
	v_lshlrev_b32_e32 v38, 2, v61
	v_or_b32_e32 v74, 0xa000, v39
	v_or_b32_e32 v75, 0xb000, v39
	v_xor_b32_e32 v39, 0x440, v42
	v_cmp_eq_u32_e32 vcc, 0, v21
	s_add_i32 s3, s41, s33
	v_xor_b32_e32 v43, v64, v38
	v_xor_b32_e32 v44, v65, v38
	v_cndmask_b32_e32 v21, v39, v42, vcc
	s_add_i32 s16, s43, s40
	s_add_i32 s35, s3, s42
	s_mov_b32 s56, 0x1000504
	v_lshlrev_b32_e32 v40, 8, v61
	v_lshlrev_b32_e32 v41, 8, v41
	;; [unrolled: 1-line block ×4, first 2 shown]
	v_lshl_or_b32 v20, v20, 10, v21
	s_add_i32 s37, s16, s44
	s_lshl_b64 s[16:17], s[34:35], 2
	s_mov_b32 s57, 0x3020706
	v_or_b32_e32 v72, 0xa000, v45
	v_or_b32_e32 v73, 0xb000, v45
	;; [unrolled: 1-line block ×5, first 2 shown]
	v_xor_b32_e32 v21, 8, v20
	v_xor_b32_e32 v40, 24, v20
	;; [unrolled: 1-line block ×4, first 2 shown]
	s_add_u32 s3, s10, s16
	v_or_b32_e32 v78, v41, v43
	v_xor_b32_e32 v39, 16, v20
	v_xor_b32_e32 v41, 32, v20
	;; [unrolled: 1-line block ×3, first 2 shown]
	v_add_u32_e32 v21, 0x80, v21
	v_add_u32_e32 v40, 0x80, v40
	;; [unrolled: 1-line block ×4, first 2 shown]
	s_addc_u32 s20, s11, s17
	s_lshl_b64 s[16:17], s[36:37], 2
	s_add_u32 s16, s3, s16
	s_movk_i32 s3, 0xf8
	s_addc_u32 s17, s20, s17
	s_lshl_b32 s26, s15, 7
	s_movk_i32 s24, 0x100
	v_mov_b32_e32 v53, 0
	v_lshlrev_b32_e32 v52, 4, v61
	v_cmp_gt_u32_e32 vcc, s24, v0
	v_ashrrev_i32_e32 v51, 31, v50
	s_mov_b32 s58, 0
	s_movk_i32 s35, 0x1000
	s_movk_i32 s22, 0x4000
	v_lshl_add_u64 v[54:55], v[50:51], 1, s[8:9]
	s_waitcnt vmcnt(1)
	v_perm_b32 v45, v22, v30, s56
	s_waitcnt vmcnt(0)
	v_perm_b32 v46, v26, v34, s56
	v_perm_b32 v22, v22, v30, s57
	;; [unrolled: 1-line block ×15, first 2 shown]
	ds_write2st64_b32 v20, v45, v46 offset0:32 offset1:64
	ds_write2st64_b32 v21, v22, v26 offset0:32 offset1:64
	;; [unrolled: 1-line block ×8, first 2 shown]
	v_or_b32_e32 v20, v1, v61
	v_lshlrev_b32_e32 v20, 3, v20
	v_lshrrev_b32_e32 v23, 5, v58
	v_and_or_b32 v23, v20, s3, v23
	v_lshlrev_b32_e32 v23, 4, v23
	v_lshlrev_b32_e32 v21, 11, v59
	v_and_b32_e32 v20, 0x78, v20
	v_or_b32_e32 v28, 32, v23
	v_and_b32_e32 v22, 0x1000, v21
	v_lshrrev_b32_e32 v25, 1, v0
	v_xor_b32_e32 v28, v28, v20
	v_and_b32_e32 v26, 8, v25
	v_or_b32_e32 v28, v28, v22
	v_xor_b32_e32 v24, v23, v20
	v_xor_b32_e32 v82, v28, v26
	v_or_b32_e32 v28, 64, v23
	v_or_b32_e32 v23, 0x60, v23
	s_ashr_i32 s3, s2, 31
	v_xor_b32_e32 v28, v28, v20
	v_xor_b32_e32 v20, v23, v20
	s_lshl_b64 s[20:21], s[2:3], 8
	v_or_b32_e32 v24, v24, v22
	v_or_b32_e32 v28, v28, v22
	;; [unrolled: 1-line block ×3, first 2 shown]
	s_add_u32 s20, s18, s20
	v_lshlrev_b32_e32 v22, 1, v61
	v_xor_b32_e32 v84, v28, v26
	v_lshrrev_b32_e32 v28, 4, v0
	s_addc_u32 s21, s19, s21
	v_or_b32_e32 v23, 1, v22
	v_mov_b32_e32 v32, 0x4000
	v_mov_b32_e32 v33, 0x2000
	v_xor_b32_e32 v29, v28, v22
	v_xor_b32_e32 v30, v23, v28
	v_lshl_add_u64 v[22:23], s[20:21], 0, v[52:53]
	v_lshlrev_b32_e32 v52, 8, v28
	v_cndmask_b32_e32 v32, v32, v33, vcc
	v_lshlrev_b32_e32 v33, 3, v59
	v_and_b32_e32 v25, 24, v25
	v_lshl_or_b32 v88, v29, 3, v52
	v_and_b32_e32 v29, 8, v0
	v_xor_b32_e32 v34, v33, v25
	v_or_b32_e32 v35, 0x440, v34
	v_cmp_eq_u32_e32 vcc, 0, v29
	v_and_b32_e32 v28, 7, v0
	v_xor_b32_e32 v80, v24, v26
	v_cndmask_b32_e32 v29, v35, v34, vcc
	v_lshlrev_b32_e32 v24, 7, v60
	v_lshl_or_b32 v89, v30, 3, v52
	v_lshlrev_b32_e32 v30, 3, v28
	v_lshlrev_b32_e32 v28, 7, v28
	;; [unrolled: 1-line block ×3, first 2 shown]
	v_or_b32_e32 v29, v29, v21
	v_or_b32_e32 v27, v24, v38
	v_xad_u32 v90, v29, v30, v28
	v_and_or_b32 v24, v31, 60, v24
	v_mov_b32_e32 v29, 0xb000
	v_lshl_or_b32 v91, v24, 1, v29
	v_or_b32_e32 v24, 32, v25
	v_xor_b32_e32 v24, v33, v24
	v_or_b32_e32 v29, 0x440, v24
	v_cndmask_b32_e32 v24, v29, v24, vcc
	v_or_b32_e32 v24, v24, v21
	v_xad_u32 v92, v24, v30, v28
	v_or_b32_e32 v24, 64, v25
	v_xor_b32_e32 v24, v33, v24
	v_xor_b32_e32 v29, 0x440, v24
	v_cndmask_b32_e32 v24, v29, v24, vcc
	v_or_b32_e32 v24, v24, v21
	v_xad_u32 v93, v24, v30, v28
	v_or_b32_e32 v24, 0x60, v25
	v_xor_b32_e32 v24, v33, v24
	v_xor_b32_e32 v25, 0x440, v24
	v_cndmask_b32_e32 v24, v25, v24, vcc
	v_lshlrev_b32_e32 v27, 1, v27
	v_or_b32_e32 v21, v24, v21
	v_or_b32_e32 v81, 0xa000, v27
	;; [unrolled: 1-line block ×3, first 2 shown]
	v_xor_b32_e32 v85, v20, v26
	v_or_b32_e32 v86, 0xb000, v27
	v_or_b32_e32 v87, 0xb080, v27
	v_lshlrev_b32_e32 v20, 7, v64
	v_lshlrev_b32_e32 v26, 1, v19
	v_add_lshl_u32 v19, v19, s15, 1
	v_or_b32_e32 v27, 0x100, v18
	v_xad_u32 v94, v21, v30, v28
	v_cndmask_b32_e64 v95, v26, v18, s[0:1]
	v_cndmask_b32_e64 v96, v19, v27, s[0:1]
	v_lshl_add_u64 v[56:57], v[22:23], 0, v[52:53]
	s_mov_b32 s3, 0x7060302
	v_lshlrev_b32_e32 v52, 1, v20
	v_add_u32_e32 v51, v32, v90
	v_add_u32_e32 v97, v32, v92
	;; [unrolled: 1-line block ×4, first 2 shown]
	s_waitcnt lgkmcnt(0)
	s_barrier
.LBB436_32:                             ; =>This Inner Loop Header: Depth=1
	s_add_i32 s37, s58, 1
	s_cmp_lt_i32 s37, s46
	s_mov_b64 s[24:25], 0
	s_cselect_b64 s[38:39], -1, 0
	s_cmp_ge_i32 s37, s46
	s_mov_b64 s[20:21], 0
	s_cbranch_scc1 .LBB436_34
; %bb.33:                               ;   in Loop: Header=BB436_32 Depth=1
	s_add_i32 s0, s53, 64
	s_ashr_i32 s1, s0, 31
	s_add_u32 s0, s52, s0
	s_addc_u32 s1, s51, s1
	s_lshl_b64 s[0:1], s[0:1], 8
	s_add_u32 s20, s6, s0
	s_addc_u32 s21, s7, s1
.LBB436_34:                             ;   in Loop: Header=BB436_32 Depth=1
	v_cndmask_b32_e64 v18, 0, 1, s[38:39]
	v_cmp_ne_u32_e64 s[0:1], 1, v18
	s_andn2_b64 vcc, exec, s[38:39]
	s_cbranch_vccnz .LBB436_36
; %bb.35:                               ;   in Loop: Header=BB436_32 Depth=1
	s_add_i32 s24, s53, 64
	s_mul_hi_i32 s25, s24, s14
	s_mul_i32 s24, s24, s14
	s_add_u32 s24, s24, s49
	s_addc_u32 s25, s25, s54
	s_lshl_b64 s[24:25], s[24:25], 8
	s_add_u32 s24, s4, s24
	s_addc_u32 s25, s5, s25
.LBB436_36:                             ;   in Loop: Header=BB436_32 Depth=1
	v_perm_b32 v19, v17, v16, s3
	v_perm_b32 v18, v15, v14, s3
	;; [unrolled: 1-line block ×4, first 2 shown]
	ds_write_b64 v72, v[18:19]
	ds_write_b64 v73, v[20:21]
	;; [unrolled: 1-line block ×4, first 2 shown]
	v_perm_b32 v19, v9, v8, s3
	v_perm_b32 v18, v7, v6, s3
	;; [unrolled: 1-line block ×4, first 2 shown]
	ds_write_b64 v74, v[18:19]
	ds_write_b64 v75, v[20:21]
	;; [unrolled: 1-line block ×4, first 2 shown]
	s_waitcnt lgkmcnt(0)
	s_barrier
	ds_read_b64 v[22:23], v80 offset:24576
	ds_read2_b64 v[18:21], v81 offset1:16
	ds_read_b64 v[26:27], v83 offset:3072
	ds_read_b64 v[28:29], v81 offset:3072
	;; [unrolled: 1-line block ×3, first 2 shown]
	s_waitcnt lgkmcnt(3)
	v_mfma_f32_16x16x16_bf16 a[0:3], v[22:23], v[18:19], 0
	s_add_i32 s27, s53, 63
	s_ashr_i32 s38, s27, 31
	s_mul_i32 s39, s27, s29
	v_mfma_f32_16x16x16_bf16 a[4:7], v[22:23], v[20:21], 0
	ds_read2st64_b64 v[18:21], v81 offset0:2 offset1:4
	s_mul_hi_u32 s59, s27, s28
	s_add_i32 s39, s59, s39
	s_waitcnt lgkmcnt(0)
	v_mfma_f32_16x16x16_bf16 a[0:3], v[30:31], v[18:19], a[0:3]
	ds_read2st64_b64 v[22:25], v83 offset0:2 offset1:4
	ds_read_b64 v[18:19], v84 offset:24576
	s_mul_i32 s38, s38, s28
	s_add_i32 s39, s39, s38
	s_waitcnt lgkmcnt(1)
	v_mfma_f32_16x16x16_bf16 a[4:7], v[30:31], v[22:23], a[4:7]
	ds_read_b64 v[22:23], v85 offset:24576
	s_mul_i32 s38, s27, s28
	s_lshl_b64 s[38:39], s[38:39], 2
	s_waitcnt lgkmcnt(1)
	v_mfma_f32_16x16x16_bf16 a[0:3], v[18:19], v[20:21], a[0:3]
	s_add_u32 s38, s16, s38
	s_addc_u32 s39, s17, s39
	s_and_b64 vcc, exec, s[0:1]
	v_mfma_f32_16x16x16_bf16 a[4:7], v[18:19], v[24:25], a[4:7]
	v_mov_b32_e32 v102, 0
	v_mov_b32_e32 v101, 0
	;; [unrolled: 1-line block ×3, first 2 shown]
	s_waitcnt lgkmcnt(0)
	v_mfma_f32_16x16x16_bf16 a[0:3], v[22:23], v[28:29], a[0:3]
	v_mov_b32_e32 v18, 0
	v_mov_b32_e32 v19, 0
	;; [unrolled: 1-line block ×3, first 2 shown]
	v_mfma_f32_16x16x16_bf16 a[4:7], v[22:23], v[26:27], a[4:7]
	v_mov_b32_e32 v21, 0
	v_mov_b32_e32 v22, 0
	;; [unrolled: 1-line block ×13, first 2 shown]
	s_cbranch_vccnz .LBB436_38
; %bb.37:                               ;   in Loop: Header=BB436_32 Depth=1
	s_and_b32 s21, s21, 0xffff
	buffer_load_dwordx4 v[30:33], v68, s[20:23], 0 offen
	buffer_load_dwordx4 v[26:29], v68, s[20:23], s55 offen
	;; [unrolled: 1-line block ×4, first 2 shown]
	v_mov_b32_e32 v101, v70
	v_mov_b32_e32 v100, v71
.LBB436_38:                             ;   in Loop: Header=BB436_32 Depth=1
	s_waitcnt vmcnt(4)
	ds_read_b64 v[38:39], v80 offset:32768
	s_waitcnt vmcnt(2)
	ds_read2_b64 v[34:37], v86 offset1:16
	ds_read_b64 v[42:43], v82 offset:32768
	ds_read_b64 v[44:45], v84 offset:32768
	;; [unrolled: 1-line block ×3, first 2 shown]
	v_add_u32_e32 v103, s53, v64
	s_waitcnt lgkmcnt(3)
	v_mfma_f32_16x16x16_bf16 a[0:3], v[38:39], v[34:35], a[0:3]
	v_mfma_f32_16x16x16_bf16 a[4:7], v[38:39], v[36:37], a[4:7]
	ds_read2st64_b64 v[34:37], v86 offset0:2 offset1:4
	ds_read2st64_b64 v[38:41], v87 offset0:2 offset1:4
	s_waitcnt lgkmcnt(1)
	v_mfma_f32_16x16x16_bf16 a[0:3], v[42:43], v[34:35], a[0:3]
	ds_read_b64 v[34:35], v86 offset:3072
	ds_read_b64 v[48:49], v87 offset:3072
	s_waitcnt lgkmcnt(2)
	v_mfma_f32_16x16x16_bf16 a[4:7], v[42:43], v[38:39], a[4:7]
	v_ashrrev_i32_e32 v38, 31, v103
	v_mul_lo_u32 v39, v103, s29
	v_mul_lo_u32 v38, v38, s28
	v_mfma_f32_16x16x16_bf16 a[0:3], v[44:45], v[36:37], a[0:3]
	v_mad_u64_u32 v[36:37], s[20:21], v103, s28, 0
	v_add3_u32 v37, v37, v39, v38
	v_add_u32_e32 v38, 1, v103
	v_ashrrev_i32_e32 v39, 31, v38
	v_mfma_f32_16x16x16_bf16 a[4:7], v[44:45], v[40:41], a[4:7]
	v_mul_lo_u32 v39, v39, s28
	v_mul_lo_u32 v40, v38, s29
	v_lshl_add_u64 v[36:37], v[36:37], 2, s[16:17]
	s_waitcnt lgkmcnt(1)
	v_mfma_f32_16x16x16_bf16 a[0:3], v[46:47], v[34:35], a[0:3]
	v_mad_u64_u32 v[34:35], s[20:21], v38, s28, 0
	v_add_u32_e32 v38, 2, v103
	v_add3_u32 v35, v35, v40, v39
	v_ashrrev_i32_e32 v39, 31, v38
	v_mul_lo_u32 v40, v39, s28
	v_mul_lo_u32 v41, v38, s29
	v_mad_u64_u32 v[38:39], s[20:21], v38, s28, 0
	v_add3_u32 v39, v39, v41, v40
	v_add_u32_e32 v40, 3, v103
	v_ashrrev_i32_e32 v41, 31, v40
	v_mul_lo_u32 v42, v41, s28
	v_mul_lo_u32 v43, v40, s29
	v_mad_u64_u32 v[40:41], s[20:21], v40, s28, 0
	v_add3_u32 v41, v41, v43, v42
	v_lshl_add_u64 v[40:41], v[40:41], 2, s[16:17]
	s_ashr_i32 s21, s53, 31
	v_lshl_add_u64 v[34:35], v[34:35], 2, s[16:17]
	v_lshl_add_u64 v[38:39], v[38:39], 2, s[16:17]
	global_load_dword v42, v[36:37], off
	global_load_dword v43, v[34:35], off
	;; [unrolled: 1-line block ×3, first 2 shown]
	s_nop 0
	global_load_dword v41, v[40:41], off
	s_add_u32 s20, s52, s53
	s_addc_u32 s21, s51, s21
	s_lshl_b64 s[20:21], s[20:21], 8
	v_lshl_add_u64 v[34:35], v[54:55], 0, s[20:21]
	v_lshl_add_u64 v[34:35], v[34:35], 0, v[52:53]
	global_load_ushort v45, v[34:35], off
	global_load_ushort v103, v[34:35], off offset:256
	global_load_ushort v104, v[34:35], off offset:800
	global_load_ushort v105, v[34:35], off offset:768
	global_load_ushort v106, v[34:35], off offset:544
	global_load_ushort v107, v[34:35], off offset:512
	global_load_ushort v108, v[34:35], off offset:288
	global_load_ushort v109, v[34:35], off offset:32
	s_load_dword s20, s[38:39], 0x0
	s_waitcnt lgkmcnt(0)
	v_mfma_f32_16x16x16_bf16 a[4:7], v[46:47], v[48:49], a[4:7]
	v_accvgpr_read_b32 v39, a1
	v_accvgpr_read_b32 v35, a3
	;; [unrolled: 1-line block ×4, first 2 shown]
	s_and_b64 vcc, exec, s[0:1]
	s_waitcnt vmcnt(11)
	v_sub_f32_e32 v40, s20, v42
	s_waitcnt vmcnt(10)
	v_sub_f32_e32 v48, s20, v43
	;; [unrolled: 2-line block ×4, first 2 shown]
	v_exp_f32_e32 v40, v40
	v_exp_f32_e32 v41, v48
	v_exp_f32_e32 v48, v49
	v_exp_f32_e32 v49, v110
	s_waitcnt vmcnt(6)
	v_lshlrev_b32_e32 v43, 16, v103
	v_lshlrev_b32_e32 v42, 16, v45
	s_waitcnt vmcnt(4)
	v_lshlrev_b32_e32 v45, 16, v105
	s_waitcnt vmcnt(2)
	v_lshlrev_b32_e32 v44, 16, v107
	v_pk_add_f32 v[38:39], v[42:43], v[38:39] neg_lo:[0,1] neg_hi:[0,1]
	v_pk_add_f32 v[34:35], v[44:45], v[34:35] neg_lo:[0,1] neg_hi:[0,1]
	v_pk_mul_f32 v[38:39], v[40:41], v[38:39]
	v_pk_mul_f32 v[34:35], v[48:49], v[34:35]
	s_waitcnt vmcnt(1)
	v_lshlrev_b32_e32 v47, 16, v108
	v_perm_b32 v35, v35, v34, s3
	v_perm_b32 v34, v39, v38, s3
	v_accvgpr_read_b32 v39, a5
	s_waitcnt vmcnt(0)
	v_lshlrev_b32_e32 v46, 16, v109
	v_accvgpr_read_b32 v38, a4
	v_pk_add_f32 v[38:39], v[46:47], v[38:39] neg_lo:[0,1] neg_hi:[0,1]
	v_accvgpr_read_b32 v37, a7
	v_accvgpr_read_b32 v36, a6
	v_pk_mul_f32 v[38:39], v[40:41], v[38:39]
	v_lshlrev_b32_e32 v41, 16, v104
	v_lshlrev_b32_e32 v40, 16, v106
	v_pk_add_f32 v[36:37], v[40:41], v[36:37] neg_lo:[0,1] neg_hi:[0,1]
	v_mov_b32_e32 v103, 0
	v_pk_mul_f32 v[36:37], v[48:49], v[36:37]
	v_mov_b32_e32 v40, 0
	v_perm_b32 v37, v37, v36, s3
	v_perm_b32 v36, v39, v38, s3
	ds_write2_b64 v73, v[34:35], v[36:37] offset1:16
	v_mov_b32_e32 v34, 0
	v_mov_b32_e32 v35, 0
	;; [unrolled: 1-line block ×15, first 2 shown]
	s_cbranch_vccnz .LBB436_40
; %bb.39:                               ;   in Loop: Header=BB436_32 Depth=1
	s_and_b32 s25, s25, 0xffff
	s_mov_b32 s27, s23
	buffer_load_dwordx4 v[46:49], v95, s[24:27], 0 offen
	buffer_load_dwordx4 v[38:41], v95, s[24:27], s55 offen
	;; [unrolled: 1-line block ×4, first 2 shown]
	v_mov_b32_e32 v102, v67
	v_mov_b32_e32 v103, v66
.LBB436_40:                             ;   in Loop: Header=BB436_32 Depth=1
	s_waitcnt lgkmcnt(0)
	s_barrier
	ds_read_b64 v[108:109], v51
	ds_read_b64 v[116:117], v91
	;; [unrolled: 1-line block ×5, first 2 shown]
	ds_read_b64 v[122:123], v92 offset:16384
	ds_read_b64 v[124:125], v90 offset:16384
	ds_read2_b64 v[104:107], v86 offset0:16 offset1:128
	s_waitcnt lgkmcnt(6)
	v_mfma_f32_16x16x16_bf16 a[0:3], v[108:109], v[116:117], 0
	ds_read_b64 v[126:127], v87 offset:3072
	ds_read_b64 v[128:129], v94 offset:16384
	s_add_i32 s21, s50, s58
	s_waitcnt lgkmcnt(2)
	v_mfma_f32_16x16x16_bf16 a[4:7], v[108:109], v[104:105], 0
	ds_read2st64_b64 v[108:111], v87 offset0:2 offset1:4
	s_mul_hi_i32 s25, s21, s13
	s_mul_i32 s21, s21, s13
	v_mfma_f32_16x16x16_bf16 a[0:3], v[112:113], v[106:107], a[0:3]
	s_add_u32 s24, s21, s45
	s_addc_u32 s25, s25, s47
	s_lshl_b64 s[24:25], s[24:25], 15
	s_waitcnt lgkmcnt(0)
	v_mfma_f32_16x16x16_bf16 a[4:7], v[112:113], v[108:109], a[4:7]
	ds_read2st64_b64 v[112:115], v86 offset0:4 offset1:6
	s_waitcnt lgkmcnt(0)
	v_mfma_f32_16x16x16_bf16 a[0:3], v[118:119], v[112:113], a[0:3]
	v_mfma_f32_16x16x16_bf16 a[8:11], v[118:119], v[110:111], a[4:7]
	;; [unrolled: 1-line block ×5, first 2 shown]
	ds_read2st64_b64 v[116:119], v89 offset1:8
	v_mfma_f32_16x16x16_bf16 a[12:15], v[124:125], v[104:105], 0
	ds_read_b64 v[124:125], v93 offset:16384
	v_mfma_f32_16x16x16_bf16 a[8:11], v[122:123], v[106:107], a[8:11]
	ds_read2st64_b64 v[104:107], v88 offset1:8
	s_waitcnt lgkmcnt(0)
	v_mov_b32_e32 v120, v104
	v_mfma_f32_16x16x16_bf16 a[12:15], v[122:123], v[108:109], a[12:15]
	v_lshl_add_u64 v[108:109], v[56:57], 0, s[24:25]
	v_add_co_u32_e32 v104, vcc, s35, v108
	v_mfma_f32_16x16x16_bf16 a[8:11], v[124:125], v[112:113], a[8:11]
	v_mov_b32_e32 v121, v105
	v_addc_co_u32_e32 v105, vcc, 0, v109, vcc
	v_mfma_f32_16x16x16_bf16 a[16:19], v[124:125], v[110:111], a[12:15]
	v_mov_b32_e32 v122, v116
	v_mov_b32_e32 v123, v117
	v_mov_b32_e32 v116, v106
	v_mfma_f32_16x16x16_bf16 a[12:15], v[128:129], v[114:115], a[8:11]
	v_mov_b32_e32 v117, v107
	s_and_b64 vcc, exec, s[0:1]
	global_store_dwordx4 v[108:109], v[120:123], off
	v_mfma_f32_16x16x16_bf16 a[8:11], v[128:129], v[126:127], a[16:19]
	global_store_dwordx4 v[104:105], v[116:119], off
	s_cbranch_vccnz .LBB436_42
; %bb.41:                               ;   in Loop: Header=BB436_32 Depth=1
	v_lshrrev_b32_e32 v104, 3, v102
	v_and_b32_e32 v104, 6, v104
	v_xor_b32_e32 v103, v104, v103
	v_lshlrev_b32_e32 v103, 2, v103
	v_and_b32_e32 v102, 8, v102
	v_xor_b32_e32 v105, 0x440, v103
	v_cmp_eq_u32_e32 vcc, 0, v102
	s_barrier
	s_nop 0
	v_cndmask_b32_e32 v102, v105, v103, vcc
	v_lshl_or_b32 v102, v104, 10, v102
	s_waitcnt vmcnt(3)
	v_perm_b32 v103, v46, v42, s56
	s_waitcnt vmcnt(2)
	v_perm_b32 v104, v38, v34, s56
	ds_write2st64_b32 v102, v103, v104 offset0:32 offset1:64
	v_xor_b32_e32 v103, 8, v102
	v_perm_b32 v42, v46, v42, s57
	v_perm_b32 v34, v38, v34, s57
	v_add_u32_e32 v38, 0x80, v103
	ds_write2st64_b32 v38, v42, v34 offset0:32 offset1:64
	v_xor_b32_e32 v34, 16, v102
	v_perm_b32 v38, v47, v43, s56
	v_perm_b32 v42, v39, v35, s56
	ds_write2st64_b32 v34, v38, v42 offset0:33 offset1:65
	v_xor_b32_e32 v34, 24, v102
	v_perm_b32 v38, v47, v43, s57
	v_perm_b32 v35, v39, v35, s57
	v_add_u32_e32 v34, 0x80, v34
	ds_write2st64_b32 v34, v38, v35 offset0:33 offset1:65
	v_xor_b32_e32 v34, 32, v102
	v_perm_b32 v35, v48, v44, s56
	v_perm_b32 v38, v40, v36, s56
	ds_write2st64_b32 v34, v35, v38 offset0:34 offset1:66
	v_xor_b32_e32 v34, 40, v102
	v_perm_b32 v35, v48, v44, s57
	v_perm_b32 v36, v40, v36, s57
	v_add_u32_e32 v34, 0x80, v34
	ds_write2st64_b32 v34, v35, v36 offset0:34 offset1:66
	v_xor_b32_e32 v34, 48, v102
	v_perm_b32 v35, v49, v45, s56
	v_perm_b32 v36, v41, v37, s56
	ds_write2st64_b32 v34, v35, v36 offset0:35 offset1:67
	v_xor_b32_e32 v34, 56, v102
	v_perm_b32 v35, v49, v45, s57
	v_perm_b32 v36, v41, v37, s57
	v_add_u32_e32 v34, 0x80, v34
	ds_write2st64_b32 v34, v35, v36 offset0:35 offset1:67
	ds_write_b64 v101, v[30:31] offset:24576
	v_xor_b32_e32 v30, 8, v101
	ds_write_b64 v30, v[32:33] offset:24576
	ds_write_b64 v101, v[26:27] offset:32768
	;; [unrolled: 1-line block ×4, first 2 shown]
	v_xor_b32_e32 v22, 8, v100
	ds_write_b64 v22, v[24:25] offset:24576
	ds_write_b64 v100, v[18:19] offset:32768
	ds_write_b64 v22, v[20:21] offset:32768
.LBB436_42:                             ;   in Loop: Header=BB436_32 Depth=1
	v_exp_f32_e32 v21, s20
	v_accvgpr_read_b32 v18, a4
	v_accvgpr_read_b32 v20, a7
	;; [unrolled: 1-line block ×3, first 2 shown]
	v_fma_f32 v14, v14, v21, v18
	v_accvgpr_read_b32 v18, a6
	v_fma_f32 v16, v16, v21, v18
	v_accvgpr_read_b32 v18, a3
	v_fmac_f32_e32 v18, v9, v21
	v_accvgpr_read_b32 v9, a12
	v_fma_f32 v10, v10, v21, v9
	v_accvgpr_read_b32 v9, a13
	v_fma_f32 v11, v11, v21, v9
	;; [unrolled: 2-line block ×3, first 2 shown]
	v_accvgpr_read_b32 v9, a15
	v_fmac_f32_e32 v20, v17, v21
	v_accvgpr_read_b32 v17, a0
	v_fmac_f32_e32 v9, v13, v21
	v_accvgpr_read_b32 v13, a8
	v_fma_f32 v6, v6, v21, v17
	v_accvgpr_read_b32 v17, a1
	v_fma_f32 v2, v2, v21, v13
	;; [unrolled: 2-line block ×3, first 2 shown]
	v_fma_f32 v7, v7, v21, v17
	v_accvgpr_read_b32 v17, a2
	v_fma_f32 v3, v3, v21, v13
	v_accvgpr_read_b32 v13, a10
	v_accvgpr_read_b32 v19, a11
	s_add_i32 s53, s53, 64
	v_fma_f32 v8, v8, v21, v17
	v_fma_f32 v4, v4, v21, v13
	s_cmp_eq_u32 s46, s37
	v_fmac_f32_e32 v19, v5, v21
	s_cbranch_scc1 .LBB436_4
; %bb.43:                               ;   in Loop: Header=BB436_32 Depth=1
	s_mov_b32 s58, s37
	v_mov_b32_e32 v17, v20
	v_mov_b32_e32 v13, v9
	;; [unrolled: 1-line block ×4, first 2 shown]
	s_branch .LBB436_32
.LBB436_44:
                                        ; implicit-def: $vgpr5
                                        ; implicit-def: $vgpr9
                                        ; implicit-def: $vgpr13
                                        ; implicit-def: $vgpr17
	s_cbranch_execz .LBB436_46
; %bb.45:
	s_waitcnt vmcnt(0)
	v_mad_u64_u32 v[2:3], s[0:1], v20, s15, v[18:19]
	v_lshlrev_b32_e32 v20, 1, v2
	s_lshl_b32 s2, s15, 7
	s_and_b32 s1, s5, 0xffff
	s_mov_b32 s3, 0x20000
	s_mov_b32 s0, s4
	v_add_lshl_u32 v21, v2, s15, 1
	s_movk_i32 s13, 0x80
	buffer_load_dwordx4 v[2:5], v20, s[0:3], 0 offen
	buffer_load_dwordx4 v[10:13], v20, s[0:3], s13 offen
	;; [unrolled: 1-line block ×4, first 2 shown]
.LBB436_46:
	v_lshrrev_b32_e32 v30, 2, v58
	s_cbranch_execnz .LBB436_59
.LBB436_47:
	s_and_b64 vcc, exec, s[6:7]
	s_cbranch_vccz .LBB436_57
; %bb.48:
	s_waitcnt vmcnt(0)
	v_lshlrev_b32_e32 v7, 1, v23
	v_cmp_gt_i32_e32 vcc, s27, v7
	v_mov_b32_e32 v6, 0
	v_lshlrev_b32_e32 v14, 9, v23
	v_mov_b32_e32 v2, 0
	v_mov_b32_e32 v3, 0
	;; [unrolled: 1-line block ×4, first 2 shown]
	s_and_saveexec_b64 s[0:1], vcc
	s_cbranch_execz .LBB436_50
; %bb.49:
	v_mov_b32_e32 v15, 0
	v_lshl_add_u64 v[2:3], s[4:5], 0, v[14:15]
	v_lshlrev_b32_e32 v4, 1, v18
	v_mov_b32_e32 v5, v15
	v_lshl_add_u64 v[2:3], v[2:3], 0, v[4:5]
	global_load_dwordx4 v[2:5], v[2:3], off
.LBB436_50:
	s_or_b64 exec, exec, s[0:1]
	v_or_b32_e32 v7, 1, v7
	v_cmp_gt_i32_e64 s[0:1], s27, v7
	v_lshlrev_b32_e32 v20, 8, v7
	v_mov_b32_e32 v7, 0
	v_mov_b32_e32 v8, 0
	;; [unrolled: 1-line block ×3, first 2 shown]
	s_and_saveexec_b64 s[2:3], s[0:1]
	s_cbranch_execz .LBB436_52
; %bb.51:
	v_mov_b32_e32 v21, 0
	v_lshl_add_u64 v[6:7], s[4:5], 0, v[20:21]
	v_lshlrev_b32_e32 v8, 1, v18
	v_mov_b32_e32 v9, v21
	v_lshl_add_u64 v[6:7], v[6:7], 0, v[8:9]
	global_load_dwordx4 v[6:9], v[6:7], off
.LBB436_52:
	s_or_b64 exec, exec, s[2:3]
	v_mov_b32_e32 v17, 0
	v_mov_b32_e32 v10, 0
	;; [unrolled: 1-line block ×5, first 2 shown]
	s_and_saveexec_b64 s[2:3], vcc
	s_cbranch_execz .LBB436_54
; %bb.53:
	v_mov_b32_e32 v15, 0
	v_lshl_add_u64 v[10:11], s[4:5], 0, v[14:15]
	v_lshlrev_b32_e32 v14, 1, v18
	v_lshl_add_u64 v[10:11], v[10:11], 0, v[14:15]
	global_load_dwordx4 v[10:13], v[10:11], off offset:128
.LBB436_54:
	s_or_b64 exec, exec, s[2:3]
	v_mov_b32_e32 v16, 0
	v_mov_b32_e32 v15, 0
	;; [unrolled: 1-line block ×3, first 2 shown]
	s_and_saveexec_b64 s[2:3], s[0:1]
	s_cbranch_execz .LBB436_56
; %bb.55:
	v_mov_b32_e32 v21, 0
	v_lshl_add_u64 v[14:15], s[4:5], 0, v[20:21]
	v_lshlrev_b32_e32 v20, 1, v18
	v_lshl_add_u64 v[14:15], v[14:15], 0, v[20:21]
	global_load_dwordx4 v[14:17], v[14:15], off offset:128
.LBB436_56:
	s_or_b64 exec, exec, s[2:3]
	s_branch .LBB436_59
.LBB436_57:
                                        ; implicit-def: $vgpr5
                                        ; implicit-def: $vgpr9
                                        ; implicit-def: $vgpr13
                                        ; implicit-def: $vgpr17
	s_cbranch_execz .LBB436_59
; %bb.58:
	s_waitcnt vmcnt(0)
	v_lshlrev_b32_e32 v2, 1, v18
	v_lshl_or_b32 v18, v23, 9, v2
	s_and_b32 s5, s5, 0xffff
	s_mov_b32 s7, 0x20000
	s_movk_i32 s6, 0x4000
	s_movk_i32 s0, 0x80
	buffer_load_dwordx4 v[2:5], v18, s[4:7], 0 offen
	buffer_load_dwordx4 v[6:9], v18, s[4:7], 0 offen offset:256
	buffer_load_dwordx4 v[10:13], v18, s[4:7], s0 offen
	buffer_load_dwordx4 v[14:17], v18, s[4:7], s0 offen offset:256
.LBB436_59:
	ds_read_b64 v[20:21], v25 offset:32768
	v_add_u32_e32 v18, 0xb000, v24
	ds_read2_b64 v[32:35], v18 offset1:16
	ds_read_b64 v[40:41], v26 offset:32768
	ds_read_b64 v[26:27], v27 offset:32768
	;; [unrolled: 1-line block ×3, first 2 shown]
	v_and_b32_e32 v18, 6, v0
	v_xor_b32_e32 v23, v23, v18
	v_lshlrev_b32_e32 v23, 2, v23
	v_and_b32_e32 v0, 1, v0
	v_xor_b32_e32 v28, 0x440, v23
	v_cmp_eq_u32_e32 vcc, 0, v0
	s_waitcnt lgkmcnt(3)
	v_mfma_f32_16x16x16_bf16 a[0:3], v[20:21], v[32:33], a[0:3]
	s_mov_b32 s0, 0x1000504
	v_cndmask_b32_e32 v0, v28, v23, vcc
	v_lshl_or_b32 v0, v18, 10, v0
	v_mfma_f32_16x16x16_bf16 a[4:7], v[20:21], v[34:35], a[4:7]
	ds_read2st64_b64 v[32:35], v24 offset0:90 offset1:92
	ds_read2st64_b64 v[36:39], v29 offset0:90 offset1:92
	ds_read_b64 v[20:21], v24 offset:48128
	ds_read_b64 v[24:25], v29 offset:48128
	s_waitcnt vmcnt(0)
	v_perm_b32 v18, v2, v6, s0
	s_waitcnt lgkmcnt(3)
	v_mfma_f32_16x16x16_bf16 a[0:3], v[40:41], v[32:33], a[0:3]
	s_mov_b32 s1, 0x3020706
	v_perm_b32 v2, v2, v6, s1
	v_perm_b32 v6, v10, v14, s1
	s_waitcnt lgkmcnt(2)
	v_mfma_f32_16x16x16_bf16 a[4:7], v[40:41], v[36:37], a[4:7]
	v_mfma_f32_16x16x16_bf16 a[0:3], v[26:27], v[34:35], a[0:3]
	;; [unrolled: 1-line block ×3, first 2 shown]
	s_waitcnt lgkmcnt(1)
	v_mfma_f32_16x16x16_bf16 a[4:7], v[42:43], v[20:21], a[0:3]
	v_perm_b32 v20, v10, v14, s0
	ds_write2st64_b32 v0, v18, v20 offset0:32 offset1:64
	v_xor_b32_e32 v18, 8, v0
	v_add_u32_e32 v10, 0x80, v18
	ds_write2st64_b32 v10, v2, v6 offset0:32 offset1:64
	v_xor_b32_e32 v2, 16, v0
	v_perm_b32 v6, v3, v7, s0
	v_perm_b32 v10, v11, v15, s0
	ds_write2st64_b32 v2, v6, v10 offset0:33 offset1:65
	v_xor_b32_e32 v2, 24, v0
	v_perm_b32 v3, v3, v7, s1
	v_perm_b32 v6, v11, v15, s1
	v_add_u32_e32 v2, 0x80, v2
	ds_write2st64_b32 v2, v3, v6 offset0:33 offset1:65
	v_xor_b32_e32 v2, 32, v0
	v_perm_b32 v3, v4, v8, s0
	v_perm_b32 v6, v12, v16, s0
	s_waitcnt lgkmcnt(4)
	v_mfma_f32_16x16x16_bf16 a[0:3], v[42:43], v[24:25], a[8:11]
	ds_write2st64_b32 v2, v3, v6 offset0:34 offset1:66
	v_xor_b32_e32 v2, 40, v0
	v_perm_b32 v3, v4, v8, s1
	v_perm_b32 v4, v12, v16, s1
	v_add_u32_e32 v2, 0x80, v2
	ds_write2st64_b32 v2, v3, v4 offset0:34 offset1:66
	v_xor_b32_e32 v2, 48, v0
	v_perm_b32 v3, v5, v9, s0
	v_perm_b32 v4, v13, v17, s0
	v_xor_b32_e32 v0, 56, v0
	v_and_or_b32 v18, v30, 12, v1
	ds_write2st64_b32 v2, v3, v4 offset0:35 offset1:67
	v_perm_b32 v2, v5, v9, s1
	v_perm_b32 v3, v13, v17, s1
	v_add_u32_e32 v0, 0x80, v0
	v_cmp_gt_i32_e32 vcc, s27, v18
	v_mov_b32_e32 v14, 0
	v_mov_b32_e32 v16, 0
	ds_write2st64_b32 v0, v2, v3 offset0:35 offset1:67
	s_and_saveexec_b64 s[0:1], vcc
	s_cbranch_execz .LBB436_61
; %bb.60:
	v_add_u32_e32 v0, s26, v18
	v_ashrrev_i32_e32 v1, 31, v0
	v_mul_lo_u32 v2, v1, s28
	v_mul_lo_u32 v3, v0, s29
	v_mad_u64_u32 v[0:1], s[2:3], v0, s28, 0
	v_add3_u32 v1, v1, v3, v2
	v_lshl_add_u64 v[0:1], v[0:1], 2, s[10:11]
	global_load_dword v0, v[0:1], off
	s_waitcnt vmcnt(0)
	v_sub_f32_e32 v0, s12, v0
	v_exp_f32_e32 v16, v0
.LBB436_61:
	s_or_b64 exec, exec, s[0:1]
	v_or_b32_e32 v8, 1, v18
	v_cmp_gt_i32_e64 s[0:1], s27, v8
	s_and_saveexec_b64 s[2:3], s[0:1]
	s_cbranch_execz .LBB436_63
; %bb.62:
	v_add_u32_e32 v0, s26, v8
	v_ashrrev_i32_e32 v1, 31, v0
	v_mul_lo_u32 v2, v1, s28
	v_mul_lo_u32 v3, v0, s29
	v_mad_u64_u32 v[0:1], s[4:5], v0, s28, 0
	v_add3_u32 v1, v1, v3, v2
	v_lshl_add_u64 v[0:1], v[0:1], 2, s[10:11]
	global_load_dword v0, v[0:1], off
	s_waitcnt vmcnt(0)
	v_sub_f32_e32 v0, s12, v0
	v_exp_f32_e32 v14, v0
.LBB436_63:
	s_or_b64 exec, exec, s[2:3]
	v_or_b32_e32 v10, 2, v18
	v_cmp_gt_i32_e64 s[2:3], s27, v10
	v_mov_b32_e32 v15, 0
	v_mov_b32_e32 v17, 0
	s_and_saveexec_b64 s[4:5], s[2:3]
	s_cbranch_execz .LBB436_65
; %bb.64:
	v_add_u32_e32 v0, s26, v10
	v_ashrrev_i32_e32 v1, 31, v0
	v_mul_lo_u32 v2, v1, s28
	v_mul_lo_u32 v3, v0, s29
	v_mad_u64_u32 v[0:1], s[6:7], v0, s28, 0
	v_add3_u32 v1, v1, v3, v2
	v_lshl_add_u64 v[0:1], v[0:1], 2, s[10:11]
	global_load_dword v0, v[0:1], off
	s_waitcnt vmcnt(0)
	v_sub_f32_e32 v0, s12, v0
	v_exp_f32_e32 v17, v0
.LBB436_65:
	s_or_b64 exec, exec, s[4:5]
	v_or_b32_e32 v12, 3, v18
	v_cmp_gt_i32_e64 s[4:5], s27, v12
	s_and_saveexec_b64 s[6:7], s[4:5]
	s_cbranch_execz .LBB436_67
; %bb.66:
	v_add_u32_e32 v0, s26, v12
	v_ashrrev_i32_e32 v1, 31, v0
	v_mul_lo_u32 v2, v1, s28
	v_mul_lo_u32 v3, v0, s29
	v_mad_u64_u32 v[0:1], s[14:15], v0, s28, 0
	v_add3_u32 v1, v1, v3, v2
	v_lshl_add_u64 v[0:1], v[0:1], 2, s[10:11]
	global_load_dword v0, v[0:1], off
	s_waitcnt vmcnt(0)
	v_sub_f32_e32 v0, s12, v0
	v_exp_f32_e32 v15, v0
.LBB436_67:
	s_or_b64 exec, exec, s[6:7]
	s_add_u32 s6, s8, s20
	v_accvgpr_read_b32 v0, a4
	s_addc_u32 s7, s9, s21
	v_ashrrev_i32_e32 v51, 31, v50
	v_accvgpr_read_b32 v1, a5
	v_accvgpr_read_b32 v2, a6
	;; [unrolled: 1-line block ×3, first 2 shown]
	v_lshl_add_u64 v[4:5], v[50:51], 1, s[6:7]
	v_mov_b32_e32 v9, 0
	v_lshlrev_b32_e32 v6, 8, v18
	v_mov_b32_e32 v7, 0
	s_and_saveexec_b64 s[6:7], vcc
	s_cbranch_execz .LBB436_69
; %bb.68:
	v_mov_b32_e32 v7, 0
	v_lshl_add_u64 v[20:21], v[4:5], 0, v[6:7]
	global_load_ushort v7, v[20:21], off
	s_waitcnt vmcnt(0)
	v_lshlrev_b32_e32 v7, 16, v7
	v_sub_f32_e32 v0, v7, v0
	v_mul_f32_e32 v0, v16, v0
	v_lshrrev_b32_e32 v7, 16, v0
.LBB436_69:
	s_or_b64 exec, exec, s[6:7]
	v_lshlrev_b32_e32 v8, 8, v8
	s_and_saveexec_b64 s[6:7], s[0:1]
	s_cbranch_execz .LBB436_71
; %bb.70:
	v_mov_b32_e32 v9, 0
	v_lshl_add_u64 v[20:21], v[4:5], 0, v[8:9]
	global_load_ushort v0, v[20:21], off
	s_waitcnt vmcnt(0)
	v_lshlrev_b32_e32 v0, 16, v0
	v_sub_f32_e32 v0, v0, v1
	v_mul_f32_e32 v0, v14, v0
	v_lshrrev_b32_e32 v9, 16, v0
.LBB436_71:
	s_or_b64 exec, exec, s[6:7]
	v_mov_b32_e32 v13, 0
	v_lshlrev_b32_e32 v10, 8, v10
	v_mov_b32_e32 v11, 0
	s_and_saveexec_b64 s[6:7], s[2:3]
	s_cbranch_execz .LBB436_73
; %bb.72:
	v_mov_b32_e32 v11, 0
	v_lshl_add_u64 v[0:1], v[4:5], 0, v[10:11]
	global_load_ushort v0, v[0:1], off
	s_waitcnt vmcnt(0)
	v_lshlrev_b32_e32 v0, 16, v0
	v_sub_f32_e32 v0, v0, v2
	v_mul_f32_e32 v0, v17, v0
	v_lshrrev_b32_e32 v11, 16, v0
.LBB436_73:
	s_or_b64 exec, exec, s[6:7]
	v_lshlrev_b32_e32 v12, 8, v12
	s_and_saveexec_b64 s[6:7], s[4:5]
	s_cbranch_execz .LBB436_75
; %bb.74:
	v_mov_b32_e32 v13, 0
	v_lshl_add_u64 v[0:1], v[4:5], 0, v[12:13]
	global_load_ushort v0, v[0:1], off
	s_waitcnt vmcnt(0)
	v_lshlrev_b32_e32 v0, 16, v0
	v_sub_f32_e32 v0, v0, v3
	v_mul_f32_e32 v0, v15, v0
	v_lshrrev_b32_e32 v13, 16, v0
.LBB436_75:
	s_or_b64 exec, exec, s[6:7]
	v_lshlrev_b32_e32 v18, 5, v18
	s_mov_b32 s6, 0x5040100
	v_perm_b32 v20, v9, v7, s6
	v_or_b32_e32 v7, v18, v22
	v_accvgpr_read_b32 v0, a0
	v_perm_b32 v21, v13, v11, s6
	v_lshlrev_b32_e32 v7, 1, v7
	v_accvgpr_read_b32 v1, a1
	v_accvgpr_read_b32 v2, a2
	;; [unrolled: 1-line block ×3, first 2 shown]
	ds_write_b64 v7, v[20:21] offset:45056
	v_mov_b32_e32 v9, 0
	v_mov_b32_e32 v7, 0
	s_and_saveexec_b64 s[6:7], vcc
	s_cbranch_execz .LBB436_77
; %bb.76:
	v_mov_b32_e32 v7, 0
	v_lshl_add_u64 v[6:7], v[4:5], 0, v[6:7]
	global_load_ushort v6, v[6:7], off offset:32
	s_waitcnt vmcnt(0)
	v_lshlrev_b32_e32 v6, 16, v6
	v_sub_f32_e32 v0, v6, v0
	v_mul_f32_e32 v0, v16, v0
	v_lshrrev_b32_e32 v7, 16, v0
.LBB436_77:
	s_or_b64 exec, exec, s[6:7]
	s_and_saveexec_b64 s[6:7], s[0:1]
	s_cbranch_execz .LBB436_79
; %bb.78:
	v_mov_b32_e32 v9, 0
	v_lshl_add_u64 v[8:9], v[4:5], 0, v[8:9]
	global_load_ushort v0, v[8:9], off offset:32
	s_waitcnt vmcnt(0)
	v_lshlrev_b32_e32 v0, 16, v0
	v_sub_f32_e32 v0, v0, v1
	v_mul_f32_e32 v0, v14, v0
	v_lshrrev_b32_e32 v9, 16, v0
.LBB436_79:
	s_or_b64 exec, exec, s[6:7]
	v_mov_b32_e32 v0, 0
	v_mov_b32_e32 v1, 0
	s_and_saveexec_b64 s[0:1], s[2:3]
	s_cbranch_execz .LBB436_81
; %bb.80:
	v_mov_b32_e32 v11, 0
	v_lshl_add_u64 v[10:11], v[4:5], 0, v[10:11]
	global_load_ushort v1, v[10:11], off offset:32
	s_waitcnt vmcnt(0)
	v_lshlrev_b32_e32 v1, 16, v1
	v_sub_f32_e32 v1, v1, v2
	v_mul_f32_e32 v1, v17, v1
	v_lshrrev_b32_e32 v1, 16, v1
.LBB436_81:
	s_or_b64 exec, exec, s[0:1]
	s_and_saveexec_b64 s[0:1], s[4:5]
	s_cbranch_execz .LBB436_83
; %bb.82:
	v_mov_b32_e32 v13, 0
	v_lshl_add_u64 v[4:5], v[4:5], 0, v[12:13]
	global_load_ushort v0, v[4:5], off offset:32
	s_waitcnt vmcnt(0)
	v_lshlrev_b32_e32 v0, 16, v0
	v_sub_f32_e32 v0, v0, v3
	v_mul_f32_e32 v0, v15, v0
	v_lshrrev_b32_e32 v0, 16, v0
.LBB436_83:
	s_or_b64 exec, exec, s[0:1]
	s_mov_b32 s0, 0x5040100
	v_or_b32_e32 v2, v18, v19
	v_perm_b32 v1, v0, v1, s0
	v_perm_b32 v0, v9, v7, s0
	v_lshlrev_b32_e32 v2, 1, v2
	ds_write_b64 v2, v[0:1] offset:45056
	s_waitcnt lgkmcnt(0)
	s_barrier
.LBB436_84:
	s_endpgm
	.section	.rodata,"a",@progbits
	.p2align	6, 0x0
	.amdhsa_kernel _ZN12_GLOBAL__N_139chunk_gated_delta_rule_fwd_h_hip_kernelILi32ELb1ELb0ELb0ELb1ELb1ELb0ELb0ELb0EEEvPK12hip_bfloat16S3_S3_PKfS5_PKvPS1_S8_PvPKiSB_iiiiilll
		.amdhsa_group_segment_fixed_size 49152
		.amdhsa_private_segment_fixed_size 0
		.amdhsa_kernarg_size 136
		.amdhsa_user_sgpr_count 2
		.amdhsa_user_sgpr_dispatch_ptr 0
		.amdhsa_user_sgpr_queue_ptr 0
		.amdhsa_user_sgpr_kernarg_segment_ptr 1
		.amdhsa_user_sgpr_dispatch_id 0
		.amdhsa_user_sgpr_kernarg_preload_length 0
		.amdhsa_user_sgpr_kernarg_preload_offset 0
		.amdhsa_user_sgpr_private_segment_size 0
		.amdhsa_uses_dynamic_stack 0
		.amdhsa_enable_private_segment 0
		.amdhsa_system_sgpr_workgroup_id_x 1
		.amdhsa_system_sgpr_workgroup_id_y 1
		.amdhsa_system_sgpr_workgroup_id_z 0
		.amdhsa_system_sgpr_workgroup_info 0
		.amdhsa_system_vgpr_workitem_id 0
		.amdhsa_next_free_vgpr 152
		.amdhsa_next_free_sgpr 60
		.amdhsa_accum_offset 132
		.amdhsa_reserve_vcc 1
		.amdhsa_float_round_mode_32 0
		.amdhsa_float_round_mode_16_64 0
		.amdhsa_float_denorm_mode_32 3
		.amdhsa_float_denorm_mode_16_64 3
		.amdhsa_dx10_clamp 1
		.amdhsa_ieee_mode 1
		.amdhsa_fp16_overflow 0
		.amdhsa_tg_split 0
		.amdhsa_exception_fp_ieee_invalid_op 0
		.amdhsa_exception_fp_denorm_src 0
		.amdhsa_exception_fp_ieee_div_zero 0
		.amdhsa_exception_fp_ieee_overflow 0
		.amdhsa_exception_fp_ieee_underflow 0
		.amdhsa_exception_fp_ieee_inexact 0
		.amdhsa_exception_int_div_zero 0
	.end_amdhsa_kernel
	.section	.text._ZN12_GLOBAL__N_139chunk_gated_delta_rule_fwd_h_hip_kernelILi32ELb1ELb0ELb0ELb1ELb1ELb0ELb0ELb0EEEvPK12hip_bfloat16S3_S3_PKfS5_PKvPS1_S8_PvPKiSB_iiiiilll,"axG",@progbits,_ZN12_GLOBAL__N_139chunk_gated_delta_rule_fwd_h_hip_kernelILi32ELb1ELb0ELb0ELb1ELb1ELb0ELb0ELb0EEEvPK12hip_bfloat16S3_S3_PKfS5_PKvPS1_S8_PvPKiSB_iiiiilll,comdat
.Lfunc_end436:
	.size	_ZN12_GLOBAL__N_139chunk_gated_delta_rule_fwd_h_hip_kernelILi32ELb1ELb0ELb0ELb1ELb1ELb0ELb0ELb0EEEvPK12hip_bfloat16S3_S3_PKfS5_PKvPS1_S8_PvPKiSB_iiiiilll, .Lfunc_end436-_ZN12_GLOBAL__N_139chunk_gated_delta_rule_fwd_h_hip_kernelILi32ELb1ELb0ELb0ELb1ELb1ELb0ELb0ELb0EEEvPK12hip_bfloat16S3_S3_PKfS5_PKvPS1_S8_PvPKiSB_iiiiilll
                                        ; -- End function
	.section	.AMDGPU.csdata,"",@progbits
; Kernel info:
; codeLenInByte = 8268
; NumSgprs: 66
; NumVgprs: 130
; NumAgprs: 20
; TotalNumVgprs: 152
; ScratchSize: 0
; MemoryBound: 0
; FloatMode: 240
; IeeeMode: 1
; LDSByteSize: 49152 bytes/workgroup (compile time only)
; SGPRBlocks: 8
; VGPRBlocks: 18
; NumSGPRsForWavesPerEU: 66
; NumVGPRsForWavesPerEU: 152
; AccumOffset: 132
; Occupancy: 1
; WaveLimiterHint : 1
; COMPUTE_PGM_RSRC2:SCRATCH_EN: 0
; COMPUTE_PGM_RSRC2:USER_SGPR: 2
; COMPUTE_PGM_RSRC2:TRAP_HANDLER: 0
; COMPUTE_PGM_RSRC2:TGID_X_EN: 1
; COMPUTE_PGM_RSRC2:TGID_Y_EN: 1
; COMPUTE_PGM_RSRC2:TGID_Z_EN: 0
; COMPUTE_PGM_RSRC2:TIDIG_COMP_CNT: 0
; COMPUTE_PGM_RSRC3_GFX90A:ACCUM_OFFSET: 32
; COMPUTE_PGM_RSRC3_GFX90A:TG_SPLIT: 0
	.section	.text._ZN12_GLOBAL__N_139chunk_gated_delta_rule_fwd_h_hip_kernelILi32ELb0ELb1ELb1ELb1ELb1ELb0ELb0ELb0EEEvPK12hip_bfloat16S3_S3_PKfS5_PKvPS1_S8_PvPKiSB_iiiiilll,"axG",@progbits,_ZN12_GLOBAL__N_139chunk_gated_delta_rule_fwd_h_hip_kernelILi32ELb0ELb1ELb1ELb1ELb1ELb0ELb0ELb0EEEvPK12hip_bfloat16S3_S3_PKfS5_PKvPS1_S8_PvPKiSB_iiiiilll,comdat
	.globl	_ZN12_GLOBAL__N_139chunk_gated_delta_rule_fwd_h_hip_kernelILi32ELb0ELb1ELb1ELb1ELb1ELb0ELb0ELb0EEEvPK12hip_bfloat16S3_S3_PKfS5_PKvPS1_S8_PvPKiSB_iiiiilll ; -- Begin function _ZN12_GLOBAL__N_139chunk_gated_delta_rule_fwd_h_hip_kernelILi32ELb0ELb1ELb1ELb1ELb1ELb0ELb0ELb0EEEvPK12hip_bfloat16S3_S3_PKfS5_PKvPS1_S8_PvPKiSB_iiiiilll
	.p2align	8
	.type	_ZN12_GLOBAL__N_139chunk_gated_delta_rule_fwd_h_hip_kernelILi32ELb0ELb1ELb1ELb1ELb1ELb0ELb0ELb0EEEvPK12hip_bfloat16S3_S3_PKfS5_PKvPS1_S8_PvPKiSB_iiiiilll,@function
_ZN12_GLOBAL__N_139chunk_gated_delta_rule_fwd_h_hip_kernelILi32ELb0ELb1ELb1ELb1ELb1ELb0ELb0ELb0EEEvPK12hip_bfloat16S3_S3_PKfS5_PKvPS1_S8_PvPKiSB_iiiiilll: ; @_ZN12_GLOBAL__N_139chunk_gated_delta_rule_fwd_h_hip_kernelILi32ELb0ELb1ELb1ELb1ELb1ELb0ELb0ELb0EEEvPK12hip_bfloat16S3_S3_PKfS5_PKvPS1_S8_PvPKiSB_iiiiilll
; %bb.0:
	s_load_dwordx4 s[36:39], s[0:1], 0x5c
	s_abs_i32 s7, s3
	s_ashr_i32 s6, s3, 31
	s_load_dwordx2 s[4:5], s[0:1], 0x50
	s_load_dwordx8 s[16:23], s[0:1], 0x30
	s_load_dwordx8 s[24:31], s[0:1], 0x0
	v_lshrrev_b32_e32 v58, 6, v0
	s_waitcnt lgkmcnt(0)
	s_abs_i32 s10, s37
	v_cvt_f32_u32_e32 v1, s10
	s_sub_i32 s8, 0, s10
	s_ashr_i32 s50, s37, 31
	s_xor_b32 s6, s6, s50
	v_rcp_iflag_f32_e32 v1, v1
	v_bfe_u32 v61, v0, 4, 2
	v_lshlrev_b32_e32 v59, 4, v58
	v_lshlrev_b32_e32 v18, 2, v61
	v_mul_f32_e32 v1, 0x4f7ffffe, v1
	v_cvt_u32_f32_e32 v1, v1
	v_and_b32_e32 v60, 63, v0
	s_mov_b32 s33, s37
	v_and_b32_e32 v62, 15, v0
	v_readfirstlane_b32 s9, v1
	s_mul_i32 s8, s8, s9
	s_mul_hi_u32 s8, s9, s8
	s_add_i32 s9, s9, s8
	s_mul_hi_u32 s8, s7, s9
	s_mul_i32 s9, s8, s10
	s_sub_i32 s7, s7, s9
	s_add_i32 s11, s8, 1
	s_sub_i32 s9, s7, s10
	s_cmp_ge_u32 s7, s10
	s_cselect_b32 s8, s11, s8
	s_cselect_b32 s7, s9, s7
	s_add_i32 s9, s8, 1
	s_cmp_ge_u32 s7, s10
	s_cselect_b32 s7, s9, s8
	s_xor_b32 s7, s7, s6
	s_sub_i32 s34, s7, s6
	s_mul_i32 s6, s34, s37
	s_ashr_i32 s35, s34, 31
	s_sub_i32 s51, s3, s6
	s_lshl_b64 s[6:7], s[34:35], 2
	s_add_u32 s8, s22, s6
	s_addc_u32 s9, s23, s7
	s_add_u32 s4, s4, s6
	s_addc_u32 s5, s5, s7
	s_abs_i32 s3, s38
	v_cvt_f32_u32_e32 v1, s3
	s_load_dwordx2 s[44:45], s[8:9], 0x0
	s_load_dwordx2 s[22:23], s[0:1], 0x80
	s_load_dwordx4 s[40:43], s[0:1], 0x70
	s_sub_i32 s1, 0, s3
	v_rcp_iflag_f32_e32 v1, v1
	s_load_dword s57, s[4:5], 0x0
	s_waitcnt lgkmcnt(0)
	s_sub_i32 s48, s45, s44
	s_ashr_i32 s0, s48, 31
	v_mul_f32_e32 v1, 0x4f7ffffe, v1
	v_cvt_u32_f32_e32 v1, v1
	s_lshr_b32 s0, s0, 26
	s_add_i32 s0, s48, s0
	s_ashr_i32 s55, s0, 6
	v_readfirstlane_b32 s6, v1
	s_mul_i32 s1, s1, s6
	s_mul_hi_u32 s1, s6, s1
	s_add_i32 s6, s6, s1
	s_mul_hi_u32 s1, s10, s6
	s_mul_i32 s6, s1, s3
	s_ashr_i32 s0, s38, 31
	s_sub_i32 s6, s10, s6
	s_xor_b32 s0, s50, s0
	s_add_i32 s7, s1, 1
	s_sub_i32 s8, s6, s3
	s_cmp_ge_u32 s6, s3
	s_cselect_b32 s1, s7, s1
	s_cselect_b32 s6, s8, s6
	s_add_i32 s7, s1, 1
	s_cmp_ge_u32 s6, s3
	s_cselect_b32 s1, s7, s1
	s_xor_b32 s1, s1, s0
	s_sub_i32 s1, s1, s0
	s_abs_i32 s3, s1
	v_cvt_f32_u32_e32 v1, s3
	s_sub_i32 s5, 0, s3
	s_abs_i32 s4, s51
	s_xor_b32 s1, s51, s1
	v_rcp_iflag_f32_e32 v1, v1
	s_ashr_i32 s1, s1, 31
	s_mov_b32 s0, 0
	s_mov_b32 s14, s0
	v_mul_f32_e32 v1, 0x4f7ffffe, v1
	v_cvt_u32_f32_e32 v1, v1
	s_mov_b32 s15, s0
	s_mov_b32 s8, s0
	;; [unrolled: 1-line block ×3, first 2 shown]
	v_readfirstlane_b32 s6, v1
	s_mul_i32 s5, s5, s6
	s_mul_hi_u32 s5, s6, s5
	s_add_i32 s6, s6, s5
	s_mul_hi_u32 s5, s4, s6
	s_mul_i32 s6, s5, s3
	s_sub_i32 s4, s4, s6
	s_add_i32 s6, s5, 1
	s_sub_i32 s7, s4, s3
	s_cmp_ge_u32 s4, s3
	s_cselect_b32 s5, s6, s5
	s_cselect_b32 s4, s7, s4
	s_add_i32 s6, s5, 1
	s_cmp_ge_u32 s4, s3
	s_cselect_b32 s3, s6, s5
	s_xor_b32 s3, s3, s1
	s_sub_i32 s58, s3, s1
	v_or_b32_e32 v1, v18, v59
	s_lshl_b32 s46, s2, 5
	s_mov_b32 s1, s0
	s_mov_b32 s2, s0
	;; [unrolled: 1-line block ×11, first 2 shown]
	v_mov_b64_e32 v[16:17], s[14:15]
	v_or_b32_e32 v65, 64, v1
	s_cmp_lt_i32 s48, 64
	v_mov_b64_e32 v[14:15], s[12:13]
	v_mov_b64_e32 v[12:13], s[10:11]
	;; [unrolled: 1-line block ×7, first 2 shown]
	s_mul_hi_i32 s59, s51, s36
	s_mul_i32 s60, s51, s36
	v_lshrrev_b32_e32 v64, 3, v60
	v_lshlrev_b32_e32 v63, 3, v0
	s_mul_i32 s52, s34, s41
	s_mul_hi_u32 s53, s34, s40
	s_mul_i32 s54, s35, s40
	s_mul_i32 s12, s34, s40
	s_cbranch_scc1 .LBB437_19
; %bb.1:
	s_ashr_i32 s40, s51, 31
	s_ashr_i32 s1, s44, 31
	s_add_u32 s0, s60, s44
	s_addc_u32 s1, s59, s1
	s_lshl_b64 s[0:1], s[0:1], 8
	v_and_b32_e32 v9, 56, v63
	s_add_u32 s0, s26, s0
	v_lshl_or_b32 v5, v58, 3, v64
	v_lshlrev_b32_e32 v2, 1, v9
	s_addc_u32 s1, s27, s1
	v_lshl_or_b32 v13, v5, 8, v2
	s_and_b32 s1, s1, 0xffff
	s_mov_b32 s3, 0x20000
	s_movk_i32 s2, 0x4000
	s_movk_i32 s4, 0x80
	v_or_b32_e32 v17, 0x2000, v13
	buffer_load_dwordx4 v[20:23], v13, s[0:3], 0 offen
	buffer_load_dwordx4 v[24:27], v13, s[0:3], s4 offen
	;; [unrolled: 1-line block ×4, first 2 shown]
	v_lshlrev_b32_e32 v3, 3, v5
	v_and_or_b32 v6, v0, 7, v3
	v_and_b32_e32 v3, 0x78, v3
	v_lshlrev_b32_e32 v6, 4, v6
	v_xor_b32_e32 v66, v6, v3
	v_mul_lo_u32 v4, v5, s39
	v_or_b32_e32 v67, 0x1000, v66
	v_xor_b32_e32 v3, 8, v66
	s_cmpk_eq_i32 s39, 0x80
	s_mov_b32 s49, s44
	v_xor_b32_e32 v6, 8, v67
	s_cselect_b64 s[0:1], -1, 0
	s_cmpk_lg_i32 s39, 0x80
	s_waitcnt vmcnt(3)
	ds_write_b64 v66, v[20:21] offset:24576
	ds_write_b64 v3, v[22:23] offset:24576
	s_waitcnt vmcnt(2)
	ds_write_b64 v66, v[24:25] offset:32768
	ds_write_b64 v3, v[26:27] offset:32768
	;; [unrolled: 3-line block ×4, first 2 shown]
	v_lshl_add_u32 v3, v4, 1, v9
	s_cbranch_scc0 .LBB437_3
; %bb.2:
	v_lshlrev_b32_e32 v6, 1, v3
	v_add_lshl_u32 v4, v3, s39, 1
	s_lshl_b32 s6, s39, 7
	v_lshl_or_b32 v2, v5, 9, v2
	s_cbranch_execz .LBB437_4
	s_branch .LBB437_5
.LBB437_3:
                                        ; implicit-def: $vgpr4
                                        ; implicit-def: $vgpr6
                                        ; implicit-def: $sgpr6
	v_lshl_or_b32 v2, v5, 9, v2
.LBB437_4:
	v_or_b32_e32 v4, 0x100, v2
	s_movk_i32 s6, 0x4000
	v_mov_b32_e32 v6, v2
.LBB437_5:
	s_mul_i32 s2, s44, s38
	s_ashr_i32 s41, s58, 31
	s_mul_hi_i32 s3, s44, s38
	s_add_u32 s2, s2, s58
	s_addc_u32 s3, s3, s41
	s_lshl_b64 s[2:3], s[2:3], 8
	s_add_u32 s4, s24, s2
	s_addc_u32 s2, s25, s3
	s_and_b32 s5, s2, 0xffff
	s_mov_b32 s7, 0x20000
	s_movk_i32 s56, 0x80
	buffer_load_dwordx4 v[20:23], v6, s[4:7], 0 offen
	buffer_load_dwordx4 v[24:27], v6, s[4:7], s56 offen
	;; [unrolled: 1-line block ×4, first 2 shown]
	v_and_b32_e32 v4, 6, v0
	v_lshlrev_b32_e32 v8, 6, v1
	v_or_b32_e32 v11, 16, v62
	v_xor_b32_e32 v12, v5, v4
	v_and_b32_e32 v6, 1, v0
	v_lshl_or_b32 v16, v62, 3, v8
	v_lshl_or_b32 v8, v11, 3, v8
	v_lshlrev_b32_e32 v12, 2, v12
	v_lshlrev_b32_e32 v7, 2, v62
	s_mul_i32 s2, s51, s43
	s_mul_hi_u32 s3, s51, s42
	v_or_b32_e32 v70, 0xa000, v8
	v_or_b32_e32 v71, 0xb000, v8
	v_xor_b32_e32 v8, 0x440, v12
	v_cmp_eq_u32_e32 vcc, 0, v6
	s_add_i32 s5, s53, s52
	s_mul_i32 s4, s40, s42
	v_xor_b32_e32 v14, v1, v7
	v_xor_b32_e32 v15, v65, v7
	v_cndmask_b32_e32 v6, v8, v12, vcc
	s_add_i32 s2, s3, s2
	s_add_i32 s13, s5, s54
	s_mov_b32 s61, 0x1000504
	v_lshlrev_b32_e32 v10, 8, v62
	v_lshlrev_b32_e32 v11, 8, v11
	;; [unrolled: 1-line block ×4, first 2 shown]
	v_lshl_or_b32 v4, v4, 10, v6
	s_add_i32 s3, s2, s4
	s_lshl_b64 s[4:5], s[12:13], 2
	s_mov_b32 s62, 0x3020706
	v_or_b32_e32 v68, 0xa000, v16
	v_or_b32_e32 v69, 0xb000, v16
	;; [unrolled: 1-line block ×5, first 2 shown]
	v_xor_b32_e32 v6, 8, v4
	v_xor_b32_e32 v10, 24, v4
	;; [unrolled: 1-line block ×4, first 2 shown]
	s_mul_i32 s2, s51, s42
	s_add_u32 s4, s30, s4
	v_or_b32_e32 v74, v11, v14
	v_xor_b32_e32 v8, 16, v4
	v_xor_b32_e32 v11, 32, v4
	;; [unrolled: 1-line block ×3, first 2 shown]
	v_add_u32_e32 v6, 0x80, v6
	v_add_u32_e32 v10, 0x80, v10
	;; [unrolled: 1-line block ×4, first 2 shown]
	s_addc_u32 s5, s31, s5
	s_lshl_b64 s[2:3], s[2:3], 2
	s_add_u32 s2, s4, s2
	s_movk_i32 s4, 0xf8
	s_addc_u32 s3, s5, s3
	s_ashr_i32 s47, s46, 31
	s_lshl_b32 s10, s39, 7
	s_movk_i32 s8, 0x100
	v_mov_b32_e32 v51, 0
	v_lshlrev_b32_e32 v50, 4, v62
	v_cmp_gt_u32_e32 vcc, s8, v0
	s_mov_b32 s63, 0
	s_movk_i32 s13, 0x1000
	s_movk_i32 s6, 0x4000
	v_add_u32_e32 v93, v59, v18
	v_mov_b32_e32 v99, v51
	v_mov_b32_e32 v98, v51
	;; [unrolled: 1-line block ×4, first 2 shown]
	s_waitcnt vmcnt(1)
	v_perm_b32 v16, v20, v28, s61
	s_waitcnt vmcnt(0)
	v_perm_b32 v19, v24, v32, s61
	v_perm_b32 v20, v20, v28, s62
	;; [unrolled: 1-line block ×15, first 2 shown]
	ds_write2st64_b32 v4, v16, v19 offset0:32 offset1:64
	ds_write2st64_b32 v6, v20, v24 offset0:32 offset1:64
	;; [unrolled: 1-line block ×8, first 2 shown]
	v_or_b32_e32 v4, v59, v62
	v_lshlrev_b32_e32 v4, 3, v4
	v_lshrrev_b32_e32 v10, 5, v60
	v_and_or_b32 v10, v4, s4, v10
	v_lshlrev_b32_e32 v8, 11, v58
	v_lshlrev_b32_e32 v10, 4, v10
	v_and_b32_e32 v4, 0x78, v4
	v_and_b32_e32 v6, 0x1000, v8
	v_xor_b32_e32 v11, v10, v4
	v_lshrrev_b32_e32 v12, 1, v0
	v_or_b32_e32 v11, v11, v6
	v_and_b32_e32 v14, 8, v12
	v_xor_b32_e32 v76, v11, v14
	v_or_b32_e32 v11, 32, v10
	v_xor_b32_e32 v11, v11, v4
	v_or_b32_e32 v11, v11, v6
	;; [unrolled: 2-line block ×4, first 2 shown]
	s_lshl_b64 s[4:5], s[46:47], 8
	v_or_b32_e32 v11, v11, v6
	v_xor_b32_e32 v4, v10, v4
	s_add_u32 s4, s16, s4
	v_lshlrev_b32_e32 v10, 1, v62
	v_xor_b32_e32 v80, v11, v14
	v_lshrrev_b32_e32 v19, 4, v0
	s_addc_u32 s5, s17, s5
	v_or_b32_e32 v11, 1, v10
	v_mov_b32_e32 v23, 0x4000
	v_mov_b32_e32 v24, 0x2000
	v_xor_b32_e32 v20, v19, v10
	v_xor_b32_e32 v21, v11, v19
	v_lshl_add_u64 v[10:11], s[4:5], 0, v[50:51]
	v_lshlrev_b32_e32 v50, 8, v19
	v_cndmask_b32_e32 v23, v23, v24, vcc
	v_lshlrev_b32_e32 v24, 3, v58
	v_and_b32_e32 v12, 24, v12
	v_lshl_or_b32 v84, v20, 3, v50
	v_and_b32_e32 v20, 8, v0
	v_xor_b32_e32 v25, v24, v12
	v_or_b32_e32 v26, 0x440, v25
	v_cmp_eq_u32_e32 vcc, 0, v20
	v_and_b32_e32 v19, 7, v0
	v_lshlrev_b32_e32 v15, 7, v61
	v_cndmask_b32_e32 v20, v26, v25, vcc
	v_lshl_or_b32 v85, v21, 3, v50
	v_lshlrev_b32_e32 v21, 3, v19
	v_lshlrev_b32_e32 v19, 7, v19
	;; [unrolled: 1-line block ×3, first 2 shown]
	v_or_b32_e32 v20, v20, v8
	v_or_b32_e32 v7, v15, v7
	v_xad_u32 v86, v20, v21, v19
	v_and_or_b32 v15, v22, 60, v15
	v_mov_b32_e32 v20, 0xb000
	v_lshl_or_b32 v87, v15, 1, v20
	v_or_b32_e32 v15, 32, v12
	v_xor_b32_e32 v15, v24, v15
	v_or_b32_e32 v20, 0x440, v15
	v_cndmask_b32_e32 v15, v20, v15, vcc
	v_or_b32_e32 v15, v15, v8
	v_xad_u32 v88, v15, v21, v19
	v_or_b32_e32 v15, 64, v12
	v_xor_b32_e32 v15, v24, v15
	v_xor_b32_e32 v20, 0x440, v15
	v_cndmask_b32_e32 v15, v20, v15, vcc
	v_or_b32_e32 v12, 0x60, v12
	v_or_b32_e32 v15, v15, v8
	v_xor_b32_e32 v12, v24, v12
	v_xad_u32 v89, v15, v21, v19
	v_xor_b32_e32 v15, 0x440, v12
	v_lshlrev_b32_e32 v7, 1, v7
	v_or_b32_e32 v4, v4, v6
	v_or_b32_e32 v6, s46, v62
	v_cndmask_b32_e32 v12, v15, v12, vcc
	v_or_b32_e32 v77, 0xa000, v7
	v_or_b32_e32 v79, 0xa080, v7
	v_xor_b32_e32 v81, v4, v14
	v_or_b32_e32 v82, 0xb000, v7
	v_or_b32_e32 v83, 0xb080, v7
	v_ashrrev_i32_e32 v7, 31, v6
	v_lshlrev_b32_e32 v14, 1, v3
	v_add_lshl_u32 v3, v3, s39, 1
	v_or_b32_e32 v16, 0x100, v2
	v_or_b32_e32 v8, v12, v8
	v_lshlrev_b32_e32 v4, 7, v1
	v_xad_u32 v90, v8, v21, v19
	v_cndmask_b32_e64 v91, v14, v2, s[0:1]
	v_cndmask_b32_e64 v92, v3, v16, s[0:1]
	v_lshlrev_b64 v[2:3], 1, v[6:7]
	v_lshl_add_u64 v[52:53], s[28:29], 0, v[2:3]
	v_lshl_add_u64 v[54:55], s[18:19], 0, v[2:3]
	;; [unrolled: 1-line block ×3, first 2 shown]
	s_mov_b32 s47, 0x7060302
	v_lshlrev_b32_e32 v50, 1, v4
	v_add_u32_e32 v94, v23, v86
	v_add_u32_e32 v95, v23, v88
	;; [unrolled: 1-line block ×4, first 2 shown]
	v_mov_b32_e32 v2, v51
	v_mov_b32_e32 v3, v51
	;; [unrolled: 1-line block ×12, first 2 shown]
	s_waitcnt lgkmcnt(0)
	s_barrier
.LBB437_6:                              ; =>This Inner Loop Header: Depth=1
	s_add_i32 s64, s63, 1
	s_cmp_lt_i32 s64, s55
	s_mov_b64 s[8:9], 0
	s_cselect_b64 s[14:15], -1, 0
	s_cmp_ge_i32 s64, s55
	s_mov_b64 s[4:5], 0
	s_cbranch_scc1 .LBB437_8
; %bb.7:                                ;   in Loop: Header=BB437_6 Depth=1
	s_add_i32 s0, s49, 64
	s_ashr_i32 s1, s0, 31
	s_add_u32 s0, s60, s0
	s_addc_u32 s1, s59, s1
	s_lshl_b64 s[0:1], s[0:1], 8
	s_add_u32 s4, s26, s0
	s_addc_u32 s5, s27, s1
.LBB437_8:                              ;   in Loop: Header=BB437_6 Depth=1
	v_cndmask_b32_e64 v18, 0, 1, s[14:15]
	v_cmp_ne_u32_e64 s[0:1], 1, v18
	s_andn2_b64 vcc, exec, s[14:15]
	s_cbranch_vccnz .LBB437_10
; %bb.9:                                ;   in Loop: Header=BB437_6 Depth=1
	s_add_i32 s8, s49, 64
	s_mul_hi_i32 s9, s8, s38
	s_mul_i32 s8, s8, s38
	s_add_u32 s8, s8, s58
	s_addc_u32 s9, s9, s41
	s_lshl_b64 s[8:9], s[8:9], 8
	s_add_u32 s8, s24, s8
	s_addc_u32 s9, s25, s9
.LBB437_10:                             ;   in Loop: Header=BB437_6 Depth=1
	v_perm_b32 v19, v99, v4, s47
	v_perm_b32 v18, v3, v2, s47
	;; [unrolled: 1-line block ×4, first 2 shown]
	ds_write_b64 v68, v[18:19]
	ds_write_b64 v69, v[20:21]
	;; [unrolled: 1-line block ×4, first 2 shown]
	v_perm_b32 v19, v101, v12, s47
	v_perm_b32 v18, v11, v10, s47
	;; [unrolled: 1-line block ×4, first 2 shown]
	ds_write_b64 v70, v[18:19]
	ds_write_b64 v71, v[20:21]
	;; [unrolled: 1-line block ×4, first 2 shown]
	s_waitcnt lgkmcnt(0)
	s_barrier
	ds_read_b64 v[22:23], v76 offset:24576
	ds_read2_b64 v[18:21], v77 offset1:16
	ds_read_b64 v[26:27], v79 offset:3072
	ds_read_b64 v[28:29], v77 offset:3072
	;; [unrolled: 1-line block ×3, first 2 shown]
	s_waitcnt lgkmcnt(3)
	v_mfma_f32_16x16x16_bf16 a[0:3], v[22:23], v[18:19], 0
	s_add_i32 s11, s49, 63
	s_ashr_i32 s14, s11, 31
	s_mul_i32 s15, s11, s23
	v_mfma_f32_16x16x16_bf16 a[4:7], v[22:23], v[20:21], 0
	ds_read2st64_b64 v[18:21], v77 offset0:2 offset1:4
	s_mul_hi_u32 s65, s11, s22
	s_add_i32 s15, s65, s15
	s_waitcnt lgkmcnt(0)
	v_mfma_f32_16x16x16_bf16 a[0:3], v[30:31], v[18:19], a[0:3]
	ds_read2st64_b64 v[22:25], v79 offset0:2 offset1:4
	ds_read_b64 v[18:19], v80 offset:24576
	s_mul_i32 s14, s14, s22
	s_add_i32 s15, s15, s14
	s_waitcnt lgkmcnt(1)
	v_mfma_f32_16x16x16_bf16 a[4:7], v[30:31], v[22:23], a[4:7]
	ds_read_b64 v[22:23], v81 offset:24576
	s_mul_i32 s14, s11, s22
	s_lshl_b64 s[14:15], s[14:15], 2
	s_waitcnt lgkmcnt(1)
	v_mfma_f32_16x16x16_bf16 a[0:3], v[18:19], v[20:21], a[0:3]
	s_add_u32 s14, s2, s14
	s_addc_u32 s15, s3, s15
	s_and_b64 vcc, exec, s[0:1]
	v_mfma_f32_16x16x16_bf16 a[8:11], v[18:19], v[24:25], a[4:7]
	v_mov_b32_e32 v104, 0
	v_mov_b32_e32 v103, 0
	;; [unrolled: 1-line block ×3, first 2 shown]
	s_waitcnt lgkmcnt(0)
	v_mfma_f32_16x16x16_bf16 a[4:7], v[22:23], v[28:29], a[0:3]
	v_mov_b32_e32 v18, 0
	v_mov_b32_e32 v19, 0
	;; [unrolled: 1-line block ×3, first 2 shown]
	v_mfma_f32_16x16x16_bf16 a[0:3], v[22:23], v[26:27], a[8:11]
	v_mov_b32_e32 v21, 0
	v_mov_b32_e32 v22, 0
	;; [unrolled: 1-line block ×13, first 2 shown]
	s_cbranch_vccnz .LBB437_12
; %bb.11:                               ;   in Loop: Header=BB437_6 Depth=1
	s_and_b32 s5, s5, 0xffff
	buffer_load_dwordx4 v[30:33], v13, s[4:7], 0 offen
	buffer_load_dwordx4 v[26:29], v13, s[4:7], s56 offen
	;; [unrolled: 1-line block ×4, first 2 shown]
	v_mov_b32_e32 v103, v66
	v_mov_b32_e32 v102, v67
.LBB437_12:                             ;   in Loop: Header=BB437_6 Depth=1
	ds_read_b64 v[42:43], v76 offset:32768
	ds_read2_b64 v[34:37], v82 offset1:16
	ds_read_b64 v[44:45], v78 offset:32768
	ds_read_b64 v[46:47], v80 offset:32768
	ds_read_b64 v[48:49], v81 offset:32768
	ds_read2st64_b64 v[38:41], v82 offset0:2 offset1:4
	v_add_u32_e32 v105, s49, v93
	s_waitcnt lgkmcnt(4)
	v_mfma_f32_16x16x16_bf16 a[4:7], v[42:43], v[34:35], a[4:7]
	v_ashrrev_i32_e32 v34, 31, v105
	v_mfma_f32_16x16x16_bf16 a[0:3], v[42:43], v[36:37], a[0:3]
	v_mul_lo_u32 v36, v105, s23
	v_mul_lo_u32 v37, v34, s22
	v_mad_u64_u32 v[34:35], s[4:5], v105, s22, 0
	v_add3_u32 v35, v35, v36, v37
	v_add_u32_e32 v36, 1, v105
	v_ashrrev_i32_e32 v37, 31, v36
	s_waitcnt lgkmcnt(0)
	v_mfma_f32_16x16x16_bf16 a[4:7], v[44:45], v[38:39], a[4:7]
	v_mul_lo_u32 v38, v37, s22
	v_mul_lo_u32 v39, v36, s23
	v_mad_u64_u32 v[36:37], s[4:5], v36, s22, 0
	v_add3_u32 v37, v37, v39, v38
	v_add_u32_e32 v38, 2, v105
	v_ashrrev_i32_e32 v39, 31, v38
	v_mul_lo_u32 v42, v39, s22
	v_mul_lo_u32 v43, v38, s23
	v_mad_u64_u32 v[38:39], s[4:5], v38, s22, 0
	v_add3_u32 v39, v39, v43, v42
	v_add_u32_e32 v42, 3, v105
	v_ashrrev_i32_e32 v43, 31, v42
	v_mul_lo_u32 v105, v43, s22
	v_mul_lo_u32 v106, v42, s23
	v_mad_u64_u32 v[42:43], s[4:5], v42, s22, 0
	s_ashr_i32 s5, s49, 31
	v_add3_u32 v43, v43, v106, v105
	s_add_u32 s4, s60, s49
	v_lshl_add_u64 v[34:35], v[34:35], 2, s[2:3]
	v_lshl_add_u64 v[42:43], v[42:43], 2, s[2:3]
	s_addc_u32 s5, s59, s5
	v_lshl_add_u64 v[36:37], v[36:37], 2, s[2:3]
	v_lshl_add_u64 v[38:39], v[38:39], 2, s[2:3]
	global_load_dword v105, v[34:35], off
	global_load_dword v106, v[36:37], off
	;; [unrolled: 1-line block ×3, first 2 shown]
	s_nop 0
	global_load_dword v43, v[42:43], off
	s_lshl_b64 s[66:67], s[4:5], 8
	v_lshl_add_u64 v[34:35], v[52:53], 0, s[66:67]
	v_lshl_add_u64 v[38:39], v[34:35], 0, v[50:51]
	global_load_ushort v108, v[38:39], off offset:256
	global_load_ushort v109, v[38:39], off
	global_load_ushort v110, v[38:39], off offset:768
	global_load_ushort v111, v[38:39], off offset:512
	ds_read2st64_b64 v[34:37], v83 offset0:2 offset1:4
	global_load_ushort v112, v[38:39], off offset:800
	global_load_ushort v113, v[38:39], off offset:544
	;; [unrolled: 1-line block ×4, first 2 shown]
	s_waitcnt lgkmcnt(0)
	v_mfma_f32_16x16x16_bf16 a[0:3], v[44:45], v[34:35], a[0:3]
	s_and_b64 vcc, exec, s[0:1]
	s_waitcnt vmcnt(7)
	v_lshlrev_b32_e32 v45, 16, v108
	v_mfma_f32_16x16x16_bf16 a[4:7], v[46:47], v[40:41], a[4:7]
	s_waitcnt vmcnt(6)
	v_lshlrev_b32_e32 v44, 16, v109
	v_mfma_f32_16x16x16_bf16 a[0:3], v[46:47], v[36:37], a[0:3]
	ds_read_b64 v[34:35], v82 offset:3072
	ds_read_b64 v[36:37], v83 offset:3072
	s_load_dword s4, s[14:15], 0x0
	s_waitcnt vmcnt(5)
	v_lshlrev_b32_e32 v47, 16, v110
	s_waitcnt lgkmcnt(0)
	v_mfma_f32_16x16x16_bf16 a[4:7], v[48:49], v[34:35], a[4:7]
	v_lshl_add_u64 v[34:35], v[54:55], 0, s[66:67]
	v_sub_f32_e32 v42, s4, v105
	v_sub_f32_e32 v46, s4, v106
	v_mfma_f32_16x16x16_bf16 a[0:3], v[48:49], v[36:37], a[0:3]
	v_sub_f32_e32 v48, s4, v107
	v_sub_f32_e32 v49, s4, v43
	v_exp_f32_e32 v42, v42
	v_exp_f32_e32 v43, v46
	;; [unrolled: 1-line block ×4, first 2 shown]
	v_accvgpr_read_b32 v41, a5
	v_accvgpr_read_b32 v37, a7
	;; [unrolled: 1-line block ×4, first 2 shown]
	s_waitcnt vmcnt(4)
	v_lshlrev_b32_e32 v46, 16, v111
	v_lshl_add_u64 v[34:35], v[34:35], 0, v[50:51]
	v_pk_add_f32 v[40:41], v[44:45], v[40:41] neg_lo:[0,1] neg_hi:[0,1]
	v_pk_add_f32 v[36:37], v[46:47], v[36:37] neg_lo:[0,1] neg_hi:[0,1]
	global_store_short_d16_hi v[34:35], v40, off
	global_store_short_d16_hi v[34:35], v41, off offset:256
	global_store_short_d16_hi v[34:35], v36, off offset:512
	;; [unrolled: 1-line block ×3, first 2 shown]
	v_pk_mul_f32 v[40:41], v[42:43], v[40:41]
	v_pk_mul_f32 v[36:37], v[48:49], v[36:37]
	v_accvgpr_read_b32 v45, a1
	v_perm_b32 v40, v41, v40, s47
	v_perm_b32 v41, v37, v36, s47
	s_waitcnt vmcnt(5)
	v_lshlrev_b32_e32 v37, 16, v114
	s_waitcnt vmcnt(4)
	v_lshlrev_b32_e32 v36, 16, v115
	v_accvgpr_read_b32 v44, a0
	v_accvgpr_read_b32 v39, a3
	;; [unrolled: 1-line block ×3, first 2 shown]
	v_pk_add_f32 v[36:37], v[36:37], v[44:45] neg_lo:[0,1] neg_hi:[0,1]
	v_lshlrev_b32_e32 v45, 16, v112
	v_lshlrev_b32_e32 v44, 16, v113
	v_pk_add_f32 v[38:39], v[44:45], v[38:39] neg_lo:[0,1] neg_hi:[0,1]
	global_store_short_d16_hi v[34:35], v36, off offset:32
	global_store_short_d16_hi v[34:35], v37, off offset:288
	global_store_short_d16_hi v[34:35], v38, off offset:544
	global_store_short_d16_hi v[34:35], v39, off offset:800
	v_pk_mul_f32 v[34:35], v[42:43], v[36:37]
	v_pk_mul_f32 v[36:37], v[48:49], v[38:39]
	v_mov_b32_e32 v105, 0
	v_perm_b32 v37, v37, v36, s47
	v_perm_b32 v36, v35, v34, s47
	ds_write2_b64 v69, v[40:41], v[36:37] offset1:16
	v_mov_b32_e32 v34, 0
	v_mov_b32_e32 v35, 0
	;; [unrolled: 1-line block ×16, first 2 shown]
	s_cbranch_vccnz .LBB437_14
; %bb.13:                               ;   in Loop: Header=BB437_6 Depth=1
	s_and_b32 s9, s9, 0xffff
	s_mov_b32 s11, s7
	buffer_load_dwordx4 v[46:49], v91, s[8:11], 0 offen
	buffer_load_dwordx4 v[38:41], v91, s[8:11], s56 offen
	;; [unrolled: 1-line block ×4, first 2 shown]
	v_mov_b32_e32 v104, v9
	v_mov_b32_e32 v105, v5
.LBB437_14:                             ;   in Loop: Header=BB437_6 Depth=1
	s_waitcnt lgkmcnt(0)
	s_barrier
	ds_read_b64 v[110:111], v94
	ds_read_b64 v[118:119], v87
	;; [unrolled: 1-line block ×5, first 2 shown]
	ds_read_b64 v[124:125], v88 offset:16384
	ds_read_b64 v[126:127], v86 offset:16384
	ds_read2_b64 v[106:109], v82 offset0:16 offset1:128
	s_waitcnt lgkmcnt(6)
	v_mfma_f32_16x16x16_bf16 a[0:3], v[110:111], v[118:119], 0
	ds_read_b64 v[128:129], v83 offset:3072
	ds_read_b64 v[130:131], v90 offset:16384
	s_add_i32 s5, s57, s63
	s_waitcnt lgkmcnt(2)
	v_mfma_f32_16x16x16_bf16 a[4:7], v[110:111], v[106:107], 0
	ds_read2st64_b64 v[110:113], v83 offset0:2 offset1:4
	s_mul_hi_i32 s9, s5, s33
	s_mul_i32 s5, s5, s33
	v_mfma_f32_16x16x16_bf16 a[0:3], v[114:115], v[108:109], a[0:3]
	s_add_u32 s8, s5, s51
	s_addc_u32 s9, s9, s40
	s_lshl_b64 s[8:9], s[8:9], 15
	s_waitcnt lgkmcnt(0)
	v_mfma_f32_16x16x16_bf16 a[4:7], v[114:115], v[110:111], a[4:7]
	ds_read2st64_b64 v[114:117], v82 offset0:4 offset1:6
	s_waitcnt lgkmcnt(0)
	v_mfma_f32_16x16x16_bf16 a[0:3], v[120:121], v[114:115], a[0:3]
	v_mfma_f32_16x16x16_bf16 a[8:11], v[120:121], v[112:113], a[4:7]
	;; [unrolled: 1-line block ×5, first 2 shown]
	ds_read2st64_b64 v[118:121], v85 offset1:8
	v_mfma_f32_16x16x16_bf16 a[12:15], v[126:127], v[106:107], 0
	ds_read_b64 v[126:127], v89 offset:16384
	v_mfma_f32_16x16x16_bf16 a[8:11], v[124:125], v[108:109], a[8:11]
	ds_read2st64_b64 v[106:109], v84 offset1:8
	s_waitcnt lgkmcnt(0)
	v_mov_b32_e32 v122, v106
	v_mfma_f32_16x16x16_bf16 a[12:15], v[124:125], v[110:111], a[12:15]
	v_lshl_add_u64 v[110:111], v[56:57], 0, s[8:9]
	v_add_co_u32_e32 v106, vcc, s13, v110
	v_mfma_f32_16x16x16_bf16 a[8:11], v[126:127], v[114:115], a[8:11]
	v_mov_b32_e32 v123, v107
	v_addc_co_u32_e32 v107, vcc, 0, v111, vcc
	v_mfma_f32_16x16x16_bf16 a[12:15], v[126:127], v[112:113], a[12:15]
	v_mov_b32_e32 v124, v118
	v_mov_b32_e32 v125, v119
	;; [unrolled: 1-line block ×3, first 2 shown]
	v_mfma_f32_16x16x16_bf16 a[8:11], v[130:131], v[116:117], a[8:11]
	v_mov_b32_e32 v119, v109
	s_and_b64 vcc, exec, s[0:1]
	global_store_dwordx4 v[110:111], v[122:125], off
	v_mfma_f32_16x16x16_bf16 a[12:15], v[130:131], v[128:129], a[12:15]
	global_store_dwordx4 v[106:107], v[118:121], off
	s_cbranch_vccnz .LBB437_16
; %bb.15:                               ;   in Loop: Header=BB437_6 Depth=1
	v_lshrrev_b32_e32 v106, 3, v104
	v_and_b32_e32 v106, 6, v106
	v_xor_b32_e32 v105, v106, v105
	v_lshlrev_b32_e32 v105, 2, v105
	v_and_b32_e32 v104, 8, v104
	v_xor_b32_e32 v107, 0x440, v105
	v_cmp_eq_u32_e32 vcc, 0, v104
	s_barrier
	s_nop 0
	v_cndmask_b32_e32 v104, v107, v105, vcc
	v_lshl_or_b32 v104, v106, 10, v104
	s_waitcnt vmcnt(3)
	v_perm_b32 v105, v46, v42, s61
	s_waitcnt vmcnt(2)
	v_perm_b32 v106, v38, v34, s61
	ds_write2st64_b32 v104, v105, v106 offset0:32 offset1:64
	v_xor_b32_e32 v105, 8, v104
	v_perm_b32 v42, v46, v42, s62
	v_perm_b32 v34, v38, v34, s62
	v_add_u32_e32 v38, 0x80, v105
	ds_write2st64_b32 v38, v42, v34 offset0:32 offset1:64
	v_xor_b32_e32 v34, 16, v104
	v_perm_b32 v38, v47, v43, s61
	v_perm_b32 v42, v39, v35, s61
	ds_write2st64_b32 v34, v38, v42 offset0:33 offset1:65
	v_xor_b32_e32 v34, 24, v104
	v_perm_b32 v38, v47, v43, s62
	v_perm_b32 v35, v39, v35, s62
	v_add_u32_e32 v34, 0x80, v34
	ds_write2st64_b32 v34, v38, v35 offset0:33 offset1:65
	v_xor_b32_e32 v34, 32, v104
	v_perm_b32 v35, v48, v44, s61
	;; [unrolled: 9-line block ×3, first 2 shown]
	v_perm_b32 v36, v41, v37, s61
	ds_write2st64_b32 v34, v35, v36 offset0:35 offset1:67
	v_xor_b32_e32 v34, 56, v104
	v_perm_b32 v35, v49, v45, s62
	v_perm_b32 v36, v41, v37, s62
	v_add_u32_e32 v34, 0x80, v34
	ds_write2st64_b32 v34, v35, v36 offset0:35 offset1:67
	ds_write_b64 v103, v[30:31] offset:24576
	v_xor_b32_e32 v30, 8, v103
	ds_write_b64 v30, v[32:33] offset:24576
	ds_write_b64 v103, v[26:27] offset:32768
	;; [unrolled: 1-line block ×4, first 2 shown]
	v_xor_b32_e32 v22, 8, v102
	ds_write_b64 v22, v[24:25] offset:24576
	ds_write_b64 v102, v[18:19] offset:32768
	;; [unrolled: 1-line block ×3, first 2 shown]
.LBB437_16:                             ;   in Loop: Header=BB437_6 Depth=1
	s_waitcnt vmcnt(2)
	v_exp_f32_e32 v34, s4
	v_accvgpr_read_b32 v33, a7
	v_accvgpr_read_b32 v25, a3
	;; [unrolled: 1-line block ×16, first 2 shown]
	s_add_i32 s49, s49, 64
	v_fma_f32 v2, v2, v34, v30
	v_fma_f32 v3, v3, v34, v31
	v_fma_f32 v4, v4, v34, v32
	v_fmac_f32_e32 v33, v99, v34
	v_fma_f32 v10, v10, v34, v22
	v_fma_f32 v11, v11, v34, v23
	v_fma_f32 v12, v12, v34, v24
	v_fmac_f32_e32 v25, v101, v34
	;; [unrolled: 4-line block ×3, first 2 shown]
	v_fma_f32 v14, v14, v34, v18
	v_fma_f32 v15, v15, v34, v19
	;; [unrolled: 1-line block ×3, first 2 shown]
	s_cmp_eq_u32 s55, s64
	v_fmac_f32_e32 v21, v100, v34
	s_cbranch_scc1 .LBB437_18
; %bb.17:                               ;   in Loop: Header=BB437_6 Depth=1
	s_mov_b32 s63, s64
	v_mov_b32_e32 v99, v33
	v_mov_b32_e32 v98, v29
	;; [unrolled: 1-line block ×4, first 2 shown]
	s_branch .LBB437_6
.LBB437_18:
	v_mov_b32_e32 v5, v33
	v_mov_b32_e32 v9, v29
	;; [unrolled: 1-line block ×4, first 2 shown]
.LBB437_19:
	s_lshl_b32 s2, s55, 6
	s_sub_i32 s56, s48, s2
	s_cmp_gt_i32 s56, 0
	v_or_b32_e32 v34, s46, v62
	s_cbranch_scc1 .LBB437_21
; %bb.20:
	s_ashr_i32 s9, s51, 31
	v_or_b32_e32 v18, s46, v62
	s_cbranch_execz .LBB437_22
	s_branch .LBB437_86
.LBB437_21:
                                        ; implicit-def: $vgpr18
                                        ; implicit-def: $sgpr8_sgpr9
.LBB437_22:
	s_add_i32 s8, s2, s44
	s_ashr_i32 s2, s8, 31
	s_cmpk_lg_i32 s39, 0x80
	s_cselect_b64 s[40:41], -1, 0
	s_and_b64 vcc, exec, s[40:41]
	s_cbranch_vccz .LBB437_24
; %bb.23:
	s_mul_i32 s1, s8, s38
	s_ashr_i32 s3, s58, 31
	s_mul_hi_i32 s0, s8, s38
	s_add_u32 s48, s1, s58
	s_addc_u32 s49, s0, s3
	s_cbranch_execz .LBB437_25
	s_branch .LBB437_26
.LBB437_24:
                                        ; implicit-def: $sgpr48_sgpr49
.LBB437_25:
	s_mul_i32 s1, s58, s36
	s_mul_hi_i32 s0, s58, s36
	s_add_u32 s48, s1, s8
	s_addc_u32 s49, s0, s2
.LBB437_26:
	s_add_i32 s3, s55, s57
	s_ashr_i32 s9, s51, 31
	s_add_u32 s0, s60, s8
	v_lshlrev_b32_e32 v22, 5, v1
	v_lshlrev_b32_e32 v40, 2, v62
	s_addc_u32 s1, s59, s2
	s_mov_b32 s2, 0x7060302
	v_or_b32_e32 v25, v22, v40
	v_xor_b32_e32 v23, v1, v40
	v_perm_b32 v19, v5, v4, s2
	v_perm_b32 v18, v3, v2, s2
	;; [unrolled: 1-line block ×4, first 2 shown]
	v_lshlrev_b32_e32 v25, 1, v25
	s_lshl_b64 s[10:11], s[0:1], 8
	v_xor_b32_e32 v24, v65, v40
	ds_write2st64_b64 v25, v[18:19], v[20:21] offset0:80 offset1:88
	v_lshlrev_b32_e32 v23, 1, v23
	v_lshlrev_b32_e32 v25, 8, v62
	s_add_u32 s0, s26, s10
	v_or_b32_e32 v26, v23, v25
	v_lshlrev_b32_e32 v24, 1, v24
	s_addc_u32 s1, s27, s11
	ds_write_b64 v26, v[18:19]
	v_or_b32_e32 v18, v24, v25
	v_or_b32_e32 v25, 16, v62
	s_mul_hi_i32 s4, s3, s37
	s_mul_i32 s3, s3, s37
	ds_write_b64 v18, v[20:21]
	v_perm_b32 v19, v13, v12, s2
	v_perm_b32 v18, v11, v10, s2
	;; [unrolled: 1-line block ×4, first 2 shown]
	v_lshlrev_b32_e32 v37, 2, v25
	s_add_u32 s2, s3, s51
	v_or_b32_e32 v22, v22, v37
	s_addc_u32 s3, s4, s9
	v_lshlrev_b32_e32 v22, 1, v22
	s_ashr_i32 s47, s46, 31
	s_lshl_b64 s[2:3], s[2:3], 15
	ds_write2st64_b64 v22, v[18:19], v[20:21] offset0:80 offset1:88
	v_lshlrev_b32_e32 v22, 8, v25
	s_add_u32 s4, s16, s2
	v_or_b32_e32 v23, v23, v22
	s_addc_u32 s5, s17, s3
	s_lshl_b64 s[2:3], s[46:47], 8
	ds_write_b64 v23, v[18:19]
	v_or_b32_e32 v18, v24, v22
	s_add_u32 s2, s4, s2
	ds_write_b64 v18, v[20:21]
	v_lshrrev_b32_e32 v18, 4, v0
	s_addc_u32 s3, s5, s3
	v_lshlrev_b32_e32 v19, 1, v62
	v_lshlrev_b32_e32 v26, 4, v62
	v_mov_b32_e32 v27, 0
	v_or_b32_e32 v20, 1, v19
	v_xor_b32_e32 v19, v18, v19
	v_lshl_add_u64 v[28:29], s[2:3], 0, v[26:27]
	v_lshlrev_b32_e32 v26, 8, v18
	v_xor_b32_e32 v22, v20, v18
	v_lshl_or_b32 v18, v19, 3, v26
	s_waitcnt lgkmcnt(0)
	s_barrier
	ds_read2st64_b64 v[18:21], v18 offset1:8
	v_lshl_or_b32 v22, v22, 3, v26
	ds_read2st64_b64 v[22:25], v22 offset1:8
	v_lshl_add_u64 v[30:31], v[28:29], 0, v[26:27]
	s_movk_i32 s2, 0x1000
	s_waitcnt lgkmcnt(1)
	v_mov_b32_e32 v26, v18
	v_add_co_u32_e32 v18, vcc, s2, v30
	s_cmp_lg_u32 s56, 64
	v_mov_b32_e32 v27, v19
	v_addc_co_u32_e32 v19, vcc, 0, v31, vcc
	s_cselect_b64 s[14:15], -1, 0
	v_lshl_or_b32 v35, v58, 3, v64
	s_waitcnt lgkmcnt(0)
	v_mov_b32_e32 v28, v22
	v_mov_b32_e32 v29, v23
	;; [unrolled: 1-line block ×4, first 2 shown]
	s_mov_b32 s4, 0
	v_or_b32_e32 v38, 32, v35
	v_and_b32_e32 v36, 56, v63
	s_and_b64 vcc, exec, s[14:15]
	global_store_dwordx4 v[30:31], v[26:29], off
	global_store_dwordx4 v[18:19], v[22:25], off
	s_cbranch_vccz .LBB437_32
; %bb.27:
	s_mov_b32 s6, s4
	s_mov_b32 s7, s4
	;; [unrolled: 1-line block ×3, first 2 shown]
	v_mov_b64_e32 v[24:25], s[6:7]
	v_mov_b64_e32 v[22:23], s[4:5]
	;; [unrolled: 1-line block ×3, first 2 shown]
	v_cmp_gt_i32_e32 vcc, s56, v35
	v_mov_b64_e32 v[20:21], v[24:25]
	s_and_saveexec_b64 s[2:3], vcc
	s_cbranch_execz .LBB437_29
; %bb.28:
	v_lshlrev_b32_e32 v18, 8, v35
	v_mov_b32_e32 v19, 0
	v_lshl_add_u64 v[20:21], s[0:1], 0, v[18:19]
	v_lshlrev_b32_e32 v18, 1, v36
	v_lshl_add_u64 v[26:27], v[20:21], 0, v[18:19]
	global_load_dwordx4 v[22:25], v[26:27], off
	global_load_dwordx4 v[18:21], v[26:27], off offset:128
.LBB437_29:
	s_or_b64 exec, exec, s[2:3]
	s_mov_b32 s6, s4
	s_mov_b32 s7, s4
	;; [unrolled: 1-line block ×3, first 2 shown]
	v_mov_b64_e32 v[32:33], s[6:7]
	v_mov_b64_e32 v[30:31], s[4:5]
	v_mov_b64_e32 v[26:27], v[30:31]
	v_cmp_gt_i32_e32 vcc, s56, v38
	v_lshlrev_b32_e32 v39, 7, v38
	v_mov_b64_e32 v[28:29], v[32:33]
	s_and_saveexec_b64 s[2:3], vcc
	s_cbranch_execz .LBB437_31
; %bb.30:
	v_lshlrev_b32_e32 v26, 1, v39
	v_mov_b32_e32 v27, 0
	v_lshl_add_u64 v[28:29], s[0:1], 0, v[26:27]
	v_lshlrev_b32_e32 v26, 1, v36
	v_lshl_add_u64 v[42:43], v[28:29], 0, v[26:27]
	global_load_dwordx4 v[30:33], v[42:43], off
	global_load_dwordx4 v[26:29], v[42:43], off offset:128
.LBB437_31:
	s_or_b64 exec, exec, s[2:3]
	v_lshrrev_b32_e32 v41, 3, v36
	v_lshlrev_b32_e32 v42, 3, v35
	v_or_b32_e32 v41, v42, v41
	v_lshlrev_b32_e32 v41, 4, v41
	v_and_b32_e32 v42, 0x78, v42
	v_xor_b32_e32 v41, v41, v42
	s_branch .LBB437_34
.LBB437_32:
                                        ; implicit-def: $vgpr41
                                        ; implicit-def: $vgpr39
                                        ; implicit-def: $vgpr22_vgpr23_vgpr24_vgpr25
                                        ; implicit-def: $vgpr18_vgpr19_vgpr20_vgpr21
                                        ; implicit-def: $vgpr30_vgpr31_vgpr32_vgpr33
                                        ; implicit-def: $vgpr26_vgpr27_vgpr28_vgpr29
	s_cbranch_execz .LBB437_34
; %bb.33:
	s_waitcnt vmcnt(0)
	v_lshlrev_b32_e32 v18, 1, v36
	v_lshl_or_b32 v39, v35, 8, v18
	s_and_b32 s1, s1, 0xffff
	s_mov_b32 s3, 0x20000
	s_movk_i32 s2, 0x4000
	v_lshl_or_b32 v41, v38, 8, v18
	s_movk_i32 s4, 0x80
	buffer_load_dwordx4 v[22:25], v39, s[0:3], 0 offen
	buffer_load_dwordx4 v[18:21], v39, s[0:3], s4 offen
	;; [unrolled: 1-line block ×4, first 2 shown]
	v_lshrrev_b32_e32 v39, 3, v36
	v_lshlrev_b32_e32 v41, 3, v35
	v_or_b32_e32 v39, v41, v39
	v_lshlrev_b32_e32 v39, 4, v39
	v_and_b32_e32 v41, 0x78, v41
	v_xor_b32_e32 v41, v39, v41
	v_lshlrev_b32_e32 v39, 7, v38
.LBB437_34:
	s_lshl_b64 s[0:1], s[48:49], 8
	s_add_u32 s4, s24, s0
	s_movk_i32 s0, 0x1000
	v_and_or_b32 v38, v39, s0, v41
	s_waitcnt vmcnt(1)
	ds_write_b64 v41, v[22:23] offset:24576
	v_xor_b32_e32 v22, 8, v41
	ds_write_b64 v22, v[24:25] offset:24576
	s_waitcnt vmcnt(0)
	ds_write_b64 v41, v[18:19] offset:32768
	ds_write_b64 v22, v[20:21] offset:32768
	;; [unrolled: 1-line block ×3, first 2 shown]
	v_xor_b32_e32 v18, 8, v38
	ds_write_b64 v18, v[32:33] offset:24576
	ds_write_b64 v38, v[26:27] offset:32768
	;; [unrolled: 1-line block ×3, first 2 shown]
	v_or_b32_e32 v18, v59, v62
	v_lshlrev_b32_e32 v18, 3, v18
	v_lshrrev_b32_e32 v19, 5, v60
	s_movk_i32 s7, 0xf8
	v_and_or_b32 v19, v18, s7, v19
	v_lshlrev_b32_e32 v23, 4, v19
	v_lshlrev_b32_e32 v41, 11, v58
	v_and_b32_e32 v24, 0x78, v18
	v_or_b32_e32 v26, 32, v23
	v_and_b32_e32 v22, 0x1000, v41
	v_lshrrev_b32_e32 v19, 1, v60
	v_xor_b32_e32 v26, v26, v24
	v_xor_b32_e32 v18, v23, v24
	v_and_b32_e32 v25, 8, v19
	v_or_b32_e32 v26, v26, v22
	v_or_b32_e32 v18, v18, v22
	v_xor_b32_e32 v45, v26, v25
	v_or_b32_e32 v26, 64, v23
	v_xor_b32_e32 v44, v18, v25
	v_xor_b32_e32 v26, v26, v24
	s_waitcnt lgkmcnt(0)
	s_barrier
	v_or_b32_e32 v28, v26, v22
	ds_read_b64 v[26:27], v44 offset:24576
	v_lshl_or_b32 v38, v61, 7, v40
	v_lshlrev_b32_e32 v42, 1, v38
	v_add_u32_e32 v18, 0xa000, v42
	ds_read2_b64 v[18:21], v18 offset1:16
	v_or_b32_e32 v23, 0x60, v23
	v_xor_b32_e32 v23, v23, v24
	s_waitcnt lgkmcnt(0)
	v_mfma_f32_16x16x16_bf16 a[0:3], v[26:27], v[18:19], 0
	v_or_b32_e32 v18, 64, v38
	v_or_b32_e32 v22, v23, v22
	v_lshlrev_b32_e32 v43, 1, v18
	v_xor_b32_e32 v46, v28, v25
	v_xor_b32_e32 v47, v22, v25
	ds_read_b64 v[28:29], v45 offset:24576
	ds_read_b64 v[30:31], v46 offset:24576
	;; [unrolled: 1-line block ×3, first 2 shown]
	v_mfma_f32_16x16x16_bf16 a[4:7], v[26:27], v[20:21], 0
	ds_read2st64_b64 v[18:21], v43 offset0:82 offset1:84
	ds_read2st64_b64 v[22:25], v42 offset0:82 offset1:84
	s_addc_u32 s5, s25, s1
	s_add_i32 s2, s45, -1
	s_add_i32 s0, s53, s52
	s_add_i32 s13, s0, s54
	s_mul_i32 s0, s51, s43
	s_mul_hi_u32 s1, s51, s42
	s_ashr_i32 s3, s2, 31
	s_mul_i32 s6, s2, s23
	s_mul_hi_u32 s7, s2, s22
	s_add_i32 s0, s1, s0
	s_mul_i32 s1, s9, s42
	s_add_i32 s6, s7, s6
	s_mul_i32 s3, s3, s22
	s_waitcnt lgkmcnt(1)
	v_mfma_f32_16x16x16_bf16 a[4:7], v[28:29], v[18:19], a[4:7]
	s_add_i32 s1, s0, s1
	s_add_i32 s3, s6, s3
	s_lshl_b64 s[6:7], s[12:13], 2
	s_waitcnt lgkmcnt(0)
	v_mfma_f32_16x16x16_bf16 a[0:3], v[28:29], v[22:23], a[0:3]
	s_mul_i32 s0, s51, s42
	s_add_u32 s6, s30, s6
	s_addc_u32 s7, s31, s7
	s_lshl_b64 s[0:1], s[0:1], 2
	s_mul_i32 s2, s2, s22
	s_add_u32 s12, s6, s0
	ds_read_b64 v[18:19], v42 offset:44032
	v_mfma_f32_16x16x16_bf16 a[4:7], v[30:31], v[20:21], a[4:7]
	ds_read_b64 v[20:21], v43 offset:44032
	s_addc_u32 s13, s7, s1
	s_lshl_b64 s[0:1], s[2:3], 2
	v_mfma_f32_16x16x16_bf16 a[0:3], v[30:31], v[24:25], a[0:3]
	s_add_u32 s0, s12, s0
	s_addc_u32 s1, s13, s1
	s_load_dword s16, s[0:1], 0x0
	s_waitcnt lgkmcnt(0)
	v_mfma_f32_16x16x16_bf16 a[0:3], v[32:33], v[18:19], a[0:3]
	s_and_b64 vcc, exec, s[40:41]
	v_mfma_f32_16x16x16_bf16 a[4:7], v[32:33], v[20:21], a[4:7]
	s_cbranch_vccz .LBB437_45
; %bb.35:
	v_lshlrev_b32_e32 v38, 1, v35
	s_and_b64 vcc, exec, s[14:15]
	s_cbranch_vccz .LBB437_46
; %bb.36:
	v_cmp_gt_i32_e32 vcc, s56, v38
	v_mov_b32_e32 v22, 0
	v_mov_b32_e32 v18, 0
	;; [unrolled: 1-line block ×5, first 2 shown]
	s_and_saveexec_b64 s[0:1], vcc
	s_cbranch_execz .LBB437_38
; %bb.37:
	v_mad_i64_i32 v[18:19], s[2:3], s39, v38, 0
	v_lshl_add_u64 v[18:19], v[18:19], 1, s[4:5]
	v_lshlrev_b32_e32 v20, 1, v36
	v_mov_b32_e32 v21, 0
	v_lshl_add_u64 v[18:19], v[18:19], 0, v[20:21]
	global_load_dwordx4 v[18:21], v[18:19], off
.LBB437_38:
	s_or_b64 exec, exec, s[0:1]
	v_or_b32_e32 v39, 1, v38
	v_cmp_gt_i32_e64 s[0:1], s56, v39
	v_mov_b32_e32 v23, 0
	v_mov_b32_e32 v24, 0
	;; [unrolled: 1-line block ×3, first 2 shown]
	s_and_saveexec_b64 s[2:3], s[0:1]
	s_cbranch_execz .LBB437_40
; %bb.39:
	v_mad_i64_i32 v[22:23], s[6:7], s39, v39, 0
	v_lshl_add_u64 v[22:23], v[22:23], 1, s[4:5]
	v_lshlrev_b32_e32 v24, 1, v36
	v_mov_b32_e32 v25, 0
	v_lshl_add_u64 v[22:23], v[22:23], 0, v[24:25]
	global_load_dwordx4 v[22:25], v[22:23], off
.LBB437_40:
	s_or_b64 exec, exec, s[2:3]
	v_mov_b32_e32 v33, 0
	v_mov_b32_e32 v26, 0
	;; [unrolled: 1-line block ×5, first 2 shown]
	s_and_saveexec_b64 s[2:3], vcc
	s_cbranch_execz .LBB437_42
; %bb.41:
	v_mad_i64_i32 v[26:27], s[6:7], s39, v38, 0
	v_lshl_add_u64 v[26:27], v[26:27], 1, s[4:5]
	v_lshlrev_b32_e32 v28, 1, v36
	v_mov_b32_e32 v29, 0
	v_lshl_add_u64 v[26:27], v[26:27], 0, v[28:29]
	global_load_dwordx4 v[26:29], v[26:27], off offset:128
.LBB437_42:
	s_or_b64 exec, exec, s[2:3]
	v_mov_b32_e32 v32, 0
	v_mov_b32_e32 v31, 0
	;; [unrolled: 1-line block ×3, first 2 shown]
	s_and_saveexec_b64 s[2:3], s[0:1]
	s_cbranch_execz .LBB437_44
; %bb.43:
	v_mad_i64_i32 v[30:31], s[0:1], s39, v39, 0
	v_lshl_add_u64 v[30:31], v[30:31], 1, s[4:5]
	v_lshlrev_b32_e32 v32, 1, v36
	v_mov_b32_e32 v33, 0
	v_lshl_add_u64 v[30:31], v[30:31], 0, v[32:33]
	global_load_dwordx4 v[30:33], v[30:31], off offset:128
.LBB437_44:
	s_or_b64 exec, exec, s[2:3]
	s_branch .LBB437_48
.LBB437_45:
                                        ; implicit-def: $vgpr21
                                        ; implicit-def: $vgpr25
                                        ; implicit-def: $vgpr29
                                        ; implicit-def: $vgpr33
	v_lshrrev_b32_e32 v48, 2, v60
	s_branch .LBB437_49
.LBB437_46:
                                        ; implicit-def: $vgpr21
                                        ; implicit-def: $vgpr25
                                        ; implicit-def: $vgpr29
                                        ; implicit-def: $vgpr33
	s_cbranch_execz .LBB437_48
; %bb.47:
	s_waitcnt vmcnt(0)
	v_mad_u64_u32 v[18:19], s[0:1], v38, s39, v[36:37]
	v_lshlrev_b32_e32 v38, 1, v18
	s_lshl_b32 s2, s39, 7
	s_and_b32 s1, s5, 0xffff
	s_mov_b32 s3, 0x20000
	s_mov_b32 s0, s4
	v_add_lshl_u32 v39, v18, s39, 1
	s_movk_i32 s6, 0x80
	buffer_load_dwordx4 v[18:21], v38, s[0:3], 0 offen
	buffer_load_dwordx4 v[26:29], v38, s[0:3], s6 offen
	;; [unrolled: 1-line block ×4, first 2 shown]
.LBB437_48:
	v_lshrrev_b32_e32 v48, 2, v60
	s_cbranch_execnz .LBB437_61
.LBB437_49:
	s_and_b64 vcc, exec, s[14:15]
	s_cbranch_vccz .LBB437_59
; %bb.50:
	s_waitcnt vmcnt(0)
	v_lshlrev_b32_e32 v23, 1, v35
	v_cmp_gt_i32_e32 vcc, s56, v23
	v_mov_b32_e32 v22, 0
	v_lshlrev_b32_e32 v30, 9, v35
	v_mov_b32_e32 v18, 0
	v_mov_b32_e32 v19, 0
	;; [unrolled: 1-line block ×4, first 2 shown]
	s_and_saveexec_b64 s[0:1], vcc
	s_cbranch_execz .LBB437_52
; %bb.51:
	v_mov_b32_e32 v31, 0
	v_lshl_add_u64 v[18:19], s[4:5], 0, v[30:31]
	v_lshlrev_b32_e32 v20, 1, v36
	v_mov_b32_e32 v21, v31
	v_lshl_add_u64 v[18:19], v[18:19], 0, v[20:21]
	global_load_dwordx4 v[18:21], v[18:19], off
.LBB437_52:
	s_or_b64 exec, exec, s[0:1]
	v_or_b32_e32 v23, 1, v23
	v_cmp_gt_i32_e64 s[0:1], s56, v23
	v_lshlrev_b32_e32 v38, 8, v23
	v_mov_b32_e32 v23, 0
	v_mov_b32_e32 v24, 0
	;; [unrolled: 1-line block ×3, first 2 shown]
	s_and_saveexec_b64 s[2:3], s[0:1]
	s_cbranch_execz .LBB437_54
; %bb.53:
	v_mov_b32_e32 v39, 0
	v_lshl_add_u64 v[22:23], s[4:5], 0, v[38:39]
	v_lshlrev_b32_e32 v24, 1, v36
	v_mov_b32_e32 v25, v39
	v_lshl_add_u64 v[22:23], v[22:23], 0, v[24:25]
	global_load_dwordx4 v[22:25], v[22:23], off
.LBB437_54:
	s_or_b64 exec, exec, s[2:3]
	v_mov_b32_e32 v33, 0
	v_mov_b32_e32 v26, 0
	;; [unrolled: 1-line block ×5, first 2 shown]
	s_and_saveexec_b64 s[2:3], vcc
	s_cbranch_execz .LBB437_56
; %bb.55:
	v_mov_b32_e32 v31, 0
	v_lshl_add_u64 v[26:27], s[4:5], 0, v[30:31]
	v_lshlrev_b32_e32 v30, 1, v36
	v_lshl_add_u64 v[26:27], v[26:27], 0, v[30:31]
	global_load_dwordx4 v[26:29], v[26:27], off offset:128
.LBB437_56:
	s_or_b64 exec, exec, s[2:3]
	v_mov_b32_e32 v32, 0
	v_mov_b32_e32 v31, 0
	;; [unrolled: 1-line block ×3, first 2 shown]
	s_and_saveexec_b64 s[2:3], s[0:1]
	s_cbranch_execz .LBB437_58
; %bb.57:
	v_mov_b32_e32 v39, 0
	v_lshl_add_u64 v[30:31], s[4:5], 0, v[38:39]
	v_lshlrev_b32_e32 v38, 1, v36
	v_lshl_add_u64 v[30:31], v[30:31], 0, v[38:39]
	global_load_dwordx4 v[30:33], v[30:31], off offset:128
.LBB437_58:
	s_or_b64 exec, exec, s[2:3]
	s_branch .LBB437_61
.LBB437_59:
                                        ; implicit-def: $vgpr21
                                        ; implicit-def: $vgpr25
                                        ; implicit-def: $vgpr29
                                        ; implicit-def: $vgpr33
	s_cbranch_execz .LBB437_61
; %bb.60:
	s_waitcnt vmcnt(0)
	v_lshlrev_b32_e32 v18, 1, v36
	v_lshl_or_b32 v36, v35, 9, v18
	s_and_b32 s5, s5, 0xffff
	s_mov_b32 s7, 0x20000
	s_movk_i32 s6, 0x4000
	s_movk_i32 s0, 0x80
	buffer_load_dwordx4 v[18:21], v36, s[4:7], 0 offen
	buffer_load_dwordx4 v[22:25], v36, s[4:7], 0 offen offset:256
	buffer_load_dwordx4 v[26:29], v36, s[4:7], s0 offen
	buffer_load_dwordx4 v[30:33], v36, s[4:7], s0 offen offset:256
.LBB437_61:
	ds_read_b64 v[38:39], v44 offset:32768
	v_add_u32_e32 v36, 0xb000, v42
	ds_read2_b64 v[50:53], v36 offset1:16
	ds_read_b64 v[54:55], v45 offset:32768
	ds_read_b64 v[56:57], v46 offset:32768
	;; [unrolled: 1-line block ×3, first 2 shown]
	v_and_b32_e32 v36, 6, v0
	v_xor_b32_e32 v35, v35, v36
	v_lshlrev_b32_e32 v35, 2, v35
	v_and_b32_e32 v49, 1, v0
	v_cmp_eq_u32_e32 vcc, 0, v49
	s_mov_b32 s0, 0x1000504
	s_waitcnt lgkmcnt(3)
	v_mfma_f32_16x16x16_bf16 a[0:3], v[38:39], v[50:51], a[0:3]
	s_mov_b32 s1, 0x3020706
	v_mfma_f32_16x16x16_bf16 a[4:7], v[38:39], v[52:53], a[4:7]
	ds_read2st64_b64 v[44:47], v42 offset0:90 offset1:92
	ds_read2st64_b64 v[50:53], v43 offset0:90 offset1:92
	s_waitcnt lgkmcnt(1)
	v_mfma_f32_16x16x16_bf16 a[0:3], v[54:55], v[44:45], a[0:3]
	ds_read_b64 v[38:39], v42 offset:48128
	ds_read_b64 v[44:45], v43 offset:48128
	s_waitcnt lgkmcnt(2)
	v_mfma_f32_16x16x16_bf16 a[4:7], v[54:55], v[50:51], a[4:7]
	v_mfma_f32_16x16x16_bf16 a[0:3], v[56:57], v[46:47], a[0:3]
	v_xor_b32_e32 v46, 0x440, v35
	v_cndmask_b32_e32 v35, v46, v35, vcc
	v_lshl_or_b32 v35, v36, 10, v35
	v_mfma_f32_16x16x16_bf16 a[8:11], v[56:57], v[52:53], a[4:7]
	s_waitcnt vmcnt(0)
	v_perm_b32 v36, v18, v22, s0
	v_perm_b32 v18, v18, v22, s1
	;; [unrolled: 1-line block ×3, first 2 shown]
	s_waitcnt lgkmcnt(1)
	v_mfma_f32_16x16x16_bf16 a[4:7], v[60:61], v[38:39], a[0:3]
	v_perm_b32 v38, v26, v30, s0
	ds_write2st64_b32 v35, v36, v38 offset0:32 offset1:64
	v_xor_b32_e32 v36, 8, v35
	v_add_u32_e32 v26, 0x80, v36
	ds_write2st64_b32 v26, v18, v22 offset0:32 offset1:64
	v_xor_b32_e32 v18, 16, v35
	v_perm_b32 v22, v19, v23, s0
	v_perm_b32 v26, v27, v31, s0
	ds_write2st64_b32 v18, v22, v26 offset0:33 offset1:65
	v_xor_b32_e32 v18, 24, v35
	v_perm_b32 v19, v19, v23, s1
	v_perm_b32 v22, v27, v31, s1
	v_add_u32_e32 v18, 0x80, v18
	ds_write2st64_b32 v18, v19, v22 offset0:33 offset1:65
	v_xor_b32_e32 v18, 32, v35
	v_perm_b32 v19, v20, v24, s0
	v_perm_b32 v22, v28, v32, s0
	ds_write2st64_b32 v18, v19, v22 offset0:34 offset1:66
	v_xor_b32_e32 v18, 40, v35
	s_waitcnt lgkmcnt(5)
	v_mfma_f32_16x16x16_bf16 a[0:3], v[60:61], v[44:45], a[8:11]
	v_perm_b32 v19, v20, v24, s1
	v_perm_b32 v20, v28, v32, s1
	v_add_u32_e32 v18, 0x80, v18
	ds_write2st64_b32 v18, v19, v20 offset0:34 offset1:66
	v_xor_b32_e32 v18, 48, v35
	v_perm_b32 v19, v21, v25, s0
	v_perm_b32 v20, v29, v33, s0
	ds_write2st64_b32 v18, v19, v20 offset0:35 offset1:67
	v_xor_b32_e32 v18, 56, v35
	v_and_or_b32 v45, v48, 12, v59
	v_perm_b32 v19, v21, v25, s1
	v_perm_b32 v20, v29, v33, s1
	v_add_u32_e32 v18, 0x80, v18
	v_cmp_gt_i32_e64 s[0:1], s56, v45
	v_mov_b32_e32 v38, 0
	v_mov_b32_e32 v39, 0
	ds_write2st64_b32 v18, v19, v20 offset0:35 offset1:67
	s_and_saveexec_b64 s[2:3], s[0:1]
	s_cbranch_execz .LBB437_63
; %bb.62:
	v_add_u32_e32 v18, s8, v45
	v_ashrrev_i32_e32 v19, 31, v18
	v_mul_lo_u32 v20, v19, s22
	v_mul_lo_u32 v21, v18, s23
	v_mad_u64_u32 v[18:19], s[4:5], v18, s22, 0
	v_add3_u32 v19, v19, v21, v20
	v_lshl_add_u64 v[18:19], v[18:19], 2, s[12:13]
	global_load_dword v18, v[18:19], off
	s_waitcnt vmcnt(0)
	v_sub_f32_e32 v18, s16, v18
	v_exp_f32_e32 v39, v18
.LBB437_63:
	s_or_b64 exec, exec, s[2:3]
	v_or_b32_e32 v30, 1, v45
	v_cmp_gt_i32_e64 s[4:5], s56, v30
	s_and_saveexec_b64 s[2:3], s[4:5]
	s_cbranch_execz .LBB437_65
; %bb.64:
	v_add_u32_e32 v18, s8, v30
	v_ashrrev_i32_e32 v19, 31, v18
	v_mul_lo_u32 v20, v19, s22
	v_mul_lo_u32 v21, v18, s23
	v_mad_u64_u32 v[18:19], s[6:7], v18, s22, 0
	v_add3_u32 v19, v19, v21, v20
	v_lshl_add_u64 v[18:19], v[18:19], 2, s[12:13]
	global_load_dword v18, v[18:19], off
	s_waitcnt vmcnt(0)
	v_sub_f32_e32 v18, s16, v18
	v_exp_f32_e32 v38, v18
.LBB437_65:
	s_or_b64 exec, exec, s[2:3]
	v_or_b32_e32 v28, 2, v45
	v_cmp_gt_i32_e64 s[2:3], s56, v28
	v_mov_b32_e32 v36, 0
	v_mov_b32_e32 v44, 0
	s_and_saveexec_b64 s[6:7], s[2:3]
	s_cbranch_execz .LBB437_67
; %bb.66:
	v_add_u32_e32 v18, s8, v28
	v_ashrrev_i32_e32 v19, 31, v18
	v_mul_lo_u32 v20, v19, s22
	v_mul_lo_u32 v21, v18, s23
	v_mad_u64_u32 v[18:19], s[14:15], v18, s22, 0
	v_add3_u32 v19, v19, v21, v20
	v_lshl_add_u64 v[18:19], v[18:19], 2, s[12:13]
	global_load_dword v18, v[18:19], off
	s_waitcnt vmcnt(0)
	v_sub_f32_e32 v18, s16, v18
	v_exp_f32_e32 v44, v18
.LBB437_67:
	s_or_b64 exec, exec, s[6:7]
	v_or_b32_e32 v29, 3, v45
	v_cmp_gt_i32_e32 vcc, s56, v29
	s_and_saveexec_b64 s[6:7], vcc
	s_cbranch_execz .LBB437_69
; %bb.68:
	v_add_u32_e32 v18, s8, v29
	v_ashrrev_i32_e32 v19, 31, v18
	v_mul_lo_u32 v20, v19, s22
	v_mul_lo_u32 v21, v18, s23
	v_mad_u64_u32 v[18:19], s[14:15], v18, s22, 0
	v_add3_u32 v19, v19, v21, v20
	v_lshl_add_u64 v[18:19], v[18:19], 2, s[12:13]
	global_load_dword v18, v[18:19], off
	s_waitcnt vmcnt(0)
	v_sub_f32_e32 v18, s16, v18
	v_exp_f32_e32 v36, v18
.LBB437_69:
	s_or_b64 exec, exec, s[6:7]
	s_add_u32 s6, s28, s10
	s_addc_u32 s7, s29, s11
	s_add_u32 s10, s18, s10
	v_ashrrev_i32_e32 v35, 31, v34
	v_accvgpr_read_b32 v21, a7
	s_addc_u32 s11, s19, s11
	v_lshlrev_b64 v[22:23], 1, v[34:35]
	v_accvgpr_read_b32 v20, a6
	v_accvgpr_read_b32 v19, a5
	;; [unrolled: 1-line block ×3, first 2 shown]
	v_lshl_add_u64 v[24:25], s[6:7], 0, v[22:23]
	v_lshl_add_u64 v[22:23], s[10:11], 0, v[22:23]
	v_mov_b32_e32 v31, 0
	v_lshlrev_b32_e32 v26, 8, v45
	v_mov_b32_e32 v27, 0
	s_and_saveexec_b64 s[6:7], s[0:1]
	s_cbranch_execz .LBB437_71
; %bb.70:
	v_mov_b32_e32 v27, 0
	v_lshl_add_u64 v[32:33], v[24:25], 0, v[26:27]
	global_load_ushort v35, v[32:33], off
	v_lshl_add_u64 v[32:33], v[22:23], 0, v[26:27]
	s_waitcnt vmcnt(0)
	v_lshlrev_b32_e32 v27, 16, v35
	v_sub_f32_e32 v18, v27, v18
	global_store_short_d16_hi v[32:33], v18, off
	v_mul_f32_e32 v18, v39, v18
	v_lshrrev_b32_e32 v27, 16, v18
.LBB437_71:
	s_or_b64 exec, exec, s[6:7]
	v_lshlrev_b32_e32 v30, 8, v30
	s_and_saveexec_b64 s[6:7], s[4:5]
	s_cbranch_execz .LBB437_73
; %bb.72:
	v_mov_b32_e32 v31, 0
	v_lshl_add_u64 v[32:33], v[24:25], 0, v[30:31]
	global_load_ushort v18, v[32:33], off
	v_lshl_add_u64 v[32:33], v[22:23], 0, v[30:31]
	s_waitcnt vmcnt(0)
	v_lshlrev_b32_e32 v18, 16, v18
	v_sub_f32_e32 v18, v18, v19
	global_store_short_d16_hi v[32:33], v18, off
	v_mul_f32_e32 v18, v38, v18
	v_lshrrev_b32_e32 v31, 16, v18
.LBB437_73:
	s_or_b64 exec, exec, s[6:7]
	v_mov_b32_e32 v46, 0
	v_lshlrev_b32_e32 v32, 8, v28
	v_mov_b32_e32 v33, 0
	s_and_saveexec_b64 s[6:7], s[2:3]
	s_cbranch_execz .LBB437_75
; %bb.74:
	v_mov_b32_e32 v33, 0
	v_lshl_add_u64 v[18:19], v[24:25], 0, v[32:33]
	global_load_ushort v28, v[18:19], off
	v_lshl_add_u64 v[18:19], v[22:23], 0, v[32:33]
	s_waitcnt vmcnt(0)
	v_lshlrev_b32_e32 v28, 16, v28
	v_sub_f32_e32 v20, v28, v20
	global_store_short_d16_hi v[18:19], v20, off
	v_mul_f32_e32 v18, v44, v20
	v_lshrrev_b32_e32 v33, 16, v18
.LBB437_75:
	s_or_b64 exec, exec, s[6:7]
	v_lshlrev_b32_e32 v28, 8, v29
	s_and_saveexec_b64 s[6:7], vcc
	s_cbranch_execz .LBB437_77
; %bb.76:
	v_mov_b32_e32 v29, 0
	v_lshl_add_u64 v[18:19], v[24:25], 0, v[28:29]
	global_load_ushort v20, v[18:19], off
	v_lshl_add_u64 v[18:19], v[22:23], 0, v[28:29]
	s_waitcnt vmcnt(0)
	v_lshlrev_b32_e32 v20, 16, v20
	v_sub_f32_e32 v20, v20, v21
	global_store_short_d16_hi v[18:19], v20, off
	v_mul_f32_e32 v18, v36, v20
	v_lshrrev_b32_e32 v46, 16, v18
.LBB437_77:
	s_or_b64 exec, exec, s[6:7]
	v_lshlrev_b32_e32 v35, 5, v45
	s_mov_b32 s6, 0x5040100
	v_perm_b32 v47, v46, v33, s6
	v_perm_b32 v46, v31, v27, s6
	v_or_b32_e32 v27, v35, v40
	v_accvgpr_read_b32 v21, a3
	v_lshlrev_b32_e32 v27, 1, v27
	v_accvgpr_read_b32 v20, a2
	v_accvgpr_read_b32 v19, a1
	;; [unrolled: 1-line block ×3, first 2 shown]
	ds_write_b64 v27, v[46:47] offset:45056
	v_mov_b32_e32 v31, 0
	v_mov_b32_e32 v27, 0
	s_and_saveexec_b64 s[6:7], s[0:1]
	s_cbranch_execz .LBB437_79
; %bb.78:
	v_mov_b32_e32 v27, 0
	v_lshl_add_u64 v[46:47], v[24:25], 0, v[26:27]
	global_load_ushort v29, v[46:47], off offset:32
	v_lshl_add_u64 v[26:27], v[22:23], 0, v[26:27]
	s_waitcnt vmcnt(0)
	v_lshlrev_b32_e32 v29, 16, v29
	v_sub_f32_e32 v18, v29, v18
	global_store_short_d16_hi v[26:27], v18, off offset:32
	v_mul_f32_e32 v18, v39, v18
	v_lshrrev_b32_e32 v27, 16, v18
.LBB437_79:
	s_or_b64 exec, exec, s[6:7]
	s_and_saveexec_b64 s[0:1], s[4:5]
	s_cbranch_execz .LBB437_81
; %bb.80:
	v_mov_b32_e32 v31, 0
	v_lshl_add_u64 v[46:47], v[24:25], 0, v[30:31]
	global_load_ushort v18, v[46:47], off offset:32
	v_lshl_add_u64 v[30:31], v[22:23], 0, v[30:31]
	s_waitcnt vmcnt(0)
	v_lshlrev_b32_e32 v18, 16, v18
	v_sub_f32_e32 v18, v18, v19
	global_store_short_d16_hi v[30:31], v18, off offset:32
	v_mul_f32_e32 v18, v38, v18
	v_lshrrev_b32_e32 v31, 16, v18
.LBB437_81:
	s_or_b64 exec, exec, s[0:1]
	v_mov_b32_e32 v26, 0
	v_mov_b32_e32 v30, 0
	s_and_saveexec_b64 s[0:1], s[2:3]
	s_cbranch_execz .LBB437_83
; %bb.82:
	v_mov_b32_e32 v33, 0
	v_lshl_add_u64 v[18:19], v[24:25], 0, v[32:33]
	global_load_ushort v29, v[18:19], off offset:32
	v_lshl_add_u64 v[18:19], v[22:23], 0, v[32:33]
	s_waitcnt vmcnt(0)
	v_lshlrev_b32_e32 v29, 16, v29
	v_sub_f32_e32 v20, v29, v20
	global_store_short_d16_hi v[18:19], v20, off offset:32
	v_mul_f32_e32 v18, v44, v20
	v_lshrrev_b32_e32 v30, 16, v18
.LBB437_83:
	s_or_b64 exec, exec, s[0:1]
	v_or_b32_e32 v19, 0xb000, v42
	v_or_b32_e32 v18, 0xb000, v43
	s_and_saveexec_b64 s[0:1], vcc
	s_cbranch_execz .LBB437_85
; %bb.84:
	v_mov_b32_e32 v29, 0
	v_lshl_add_u64 v[24:25], v[24:25], 0, v[28:29]
	global_load_ushort v20, v[24:25], off offset:32
	v_lshl_add_u64 v[22:23], v[22:23], 0, v[28:29]
	s_waitcnt vmcnt(0)
	v_lshlrev_b32_e32 v20, 16, v20
	v_sub_f32_e32 v20, v20, v21
	global_store_short_d16_hi v[22:23], v20, off offset:32
	v_mul_f32_e32 v20, v36, v20
	v_lshrrev_b32_e32 v26, 16, v20
.LBB437_85:
	s_or_b64 exec, exec, s[0:1]
	s_mov_b32 s0, 0x5040100
	v_or_b32_e32 v22, v35, v37
	v_perm_b32 v21, v26, v30, s0
	v_perm_b32 v20, v31, v27, s0
	v_lshlrev_b32_e32 v22, 1, v22
	s_movk_i32 s0, 0x100
	ds_write_b64 v22, v[20:21] offset:45056
	v_and_b32_e32 v20, 7, v0
	v_and_b32_e32 v21, 8, v0
	v_cmp_gt_u32_e32 vcc, s0, v0
	v_lshrrev_b32_e32 v0, 1, v0
	v_lshlrev_b32_e32 v35, 3, v20
	v_lshlrev_b32_e32 v36, 7, v20
	v_mov_b32_e32 v20, 0x4000
	v_mov_b32_e32 v22, 0x2000
	v_lshlrev_b32_e32 v38, 3, v58
	v_and_b32_e32 v0, 24, v0
	v_cndmask_b32_e32 v37, v20, v22, vcc
	v_xor_b32_e32 v20, v38, v0
	v_or_b32_e32 v26, 32, v0
	v_or_b32_e32 v22, 0x440, v20
	v_cmp_eq_u32_e32 vcc, 0, v21
	v_xor_b32_e32 v26, v38, v26
	v_or_b32_e32 v27, 0x440, v26
	v_cndmask_b32_e32 v20, v22, v20, vcc
	v_or_b32_e32 v20, v20, v41
	v_cndmask_b32_e32 v26, v27, v26, vcc
	v_xad_u32 v40, v20, v35, v36
	v_or_b32_e32 v26, v26, v41
	v_add_u32_e32 v20, v37, v40
	v_xad_u32 v42, v26, v35, v36
	s_waitcnt lgkmcnt(0)
	s_barrier
	ds_read_b64 v[24:25], v20
	ds_read2_b64 v[20:23], v19 offset1:16
	v_add_u32_e32 v26, v37, v42
	ds_read_b64 v[32:33], v26
	s_waitcnt lgkmcnt(1)
	v_mfma_f32_16x16x16_bf16 a[0:3], v[24:25], v[20:21], 0
	ds_read2st64_b64 v[28:31], v18 offset0:2 offset1:4
	v_mfma_f32_16x16x16_bf16 a[4:7], v[24:25], v[22:23], 0
	ds_read2st64_b64 v[24:27], v19 offset0:2 offset1:4
	s_waitcnt lgkmcnt(0)
	v_mfma_f32_16x16x16_bf16 a[0:3], v[32:33], v[24:25], a[0:3]
	v_mfma_f32_16x16x16_bf16 a[4:7], v[32:33], v[28:29], a[4:7]
	v_or_b32_e32 v32, 64, v0
	v_xor_b32_e32 v32, v38, v32
	v_xor_b32_e32 v33, 0x440, v32
	v_cndmask_b32_e32 v32, v33, v32, vcc
	v_or_b32_e32 v32, v32, v41
	v_xad_u32 v43, v32, v35, v36
	v_add_u32_e32 v32, v37, v43
	ds_read_b64 v[32:33], v32
	v_or_b32_e32 v0, 0x60, v0
	v_xor_b32_e32 v0, v38, v0
	v_xor_b32_e32 v38, 0x440, v0
	v_cndmask_b32_e32 v0, v38, v0, vcc
	v_or_b32_e32 v0, v0, v41
	v_xad_u32 v0, v0, v35, v36
	v_add_u32_e32 v35, v37, v0
	ds_read_b64 v[36:37], v35
	s_waitcnt lgkmcnt(1)
	v_mfma_f32_16x16x16_bf16 a[0:3], v[32:33], v[26:27], a[0:3]
	v_exp_f32_e32 v35, s16
	v_mfma_f32_16x16x16_bf16 a[4:7], v[32:33], v[30:31], a[4:7]
	ds_read_b64 v[32:33], v19 offset:3072
	ds_read_b64 v[38:39], v18 offset:3072
	;; [unrolled: 1-line block ×3, first 2 shown]
	s_waitcnt lgkmcnt(0)
	v_mfma_f32_16x16x16_bf16 a[8:11], v[18:19], v[20:21], 0
	ds_read_b64 v[20:21], v42 offset:16384
	v_mfma_f32_16x16x16_bf16 a[0:3], v[36:37], v[32:33], a[0:3]
	v_mfma_f32_16x16x16_bf16 a[12:15], v[18:19], v[22:23], 0
	ds_read_b64 v[22:23], v43 offset:16384
	s_nop 4
	v_accvgpr_read_b32 v18, a0
	v_fma_f32 v18, v2, v35, v18
	v_accvgpr_read_b32 v2, a1
	v_fma_f32 v19, v3, v35, v2
	v_accvgpr_read_b32 v2, a2
	s_waitcnt lgkmcnt(1)
	v_mfma_f32_16x16x16_bf16 a[8:11], v[20:21], v[24:25], a[8:11]
	v_mfma_f32_16x16x16_bf16 a[12:15], v[20:21], v[28:29], a[12:15]
	v_fma_f32 v20, v4, v35, v2
	ds_read_b64 v[2:3], v0 offset:16384
	v_accvgpr_read_b32 v21, a3
	s_waitcnt lgkmcnt(1)
	v_mfma_f32_16x16x16_bf16 a[0:3], v[22:23], v[26:27], a[8:11]
	v_fmac_f32_e32 v21, v5, v35
	v_mfma_f32_16x16x16_bf16 a[4:7], v[36:37], v[38:39], a[4:7]
	v_mfma_f32_16x16x16_bf16 a[8:11], v[22:23], v[30:31], a[12:15]
	s_waitcnt lgkmcnt(0)
	v_mfma_f32_16x16x16_bf16 a[0:3], v[2:3], v[32:33], a[0:3]
	s_nop 3
	v_accvgpr_read_b32 v0, a4
	v_fma_f32 v26, v10, v35, v0
	v_accvgpr_read_b32 v0, a5
	v_fma_f32 v27, v11, v35, v0
	v_accvgpr_read_b32 v0, a6
	v_accvgpr_read_b32 v29, a7
	v_mfma_f32_16x16x16_bf16 a[4:7], v[2:3], v[38:39], a[8:11]
	v_fma_f32 v28, v12, v35, v0
	v_accvgpr_read_b32 v0, a0
	v_fma_f32 v22, v6, v35, v0
	v_accvgpr_read_b32 v0, a1
	;; [unrolled: 2-line block ×5, first 2 shown]
	v_accvgpr_read_b32 v25, a3
	v_fma_f32 v31, v15, v35, v0
	v_accvgpr_read_b32 v0, a6
	v_accvgpr_read_b32 v33, a7
	v_fmac_f32_e32 v29, v13, v35
	v_fmac_f32_e32 v25, v9, v35
	v_fma_f32 v32, v16, v35, v0
	v_fmac_f32_e32 v33, v17, v35
	v_mov_b64_e32 v[2:3], v[18:19]
	v_mov_b64_e32 v[4:5], v[20:21]
	;; [unrolled: 1-line block ×8, first 2 shown]
	v_mov_b32_e32 v18, v34
.LBB437_86:
	s_mul_i32 s0, s33, s35
	s_mul_hi_u32 s1, s33, s34
	s_add_i32 s0, s1, s0
	s_mul_i32 s1, s50, s34
	s_add_i32 s1, s0, s1
	s_mul_i32 s0, s33, s34
	s_add_u32 s0, s0, s51
	s_addc_u32 s1, s1, s9
	s_lshl_b64 s[0:1], s[0:1], 16
	s_add_u32 s0, s20, s0
	v_lshlrev_b32_e32 v18, 7, v18
	s_addc_u32 s1, s21, s1
	v_ashrrev_i32_e32 v19, 31, v18
	v_lshl_add_u64 v[20:21], v[18:19], 2, s[0:1]
	v_lshlrev_b32_e32 v0, 2, v1
	v_mov_b32_e32 v1, 0
	v_lshl_add_u64 v[20:21], v[20:21], 0, v[0:1]
	global_store_dwordx4 v[20:21], v[2:5], off
	global_store_dwordx4 v[20:21], v[6:9], off offset:256
	s_nop 0
	v_or_b32_e32 v2, 0x800, v18
	v_ashrrev_i32_e32 v3, 31, v2
	v_lshl_add_u64 v[2:3], v[2:3], 2, s[0:1]
	v_lshl_add_u64 v[0:1], v[2:3], 0, v[0:1]
	global_store_dwordx4 v[0:1], v[10:13], off
	global_store_dwordx4 v[0:1], v[14:17], off offset:256
	s_endpgm
	.section	.rodata,"a",@progbits
	.p2align	6, 0x0
	.amdhsa_kernel _ZN12_GLOBAL__N_139chunk_gated_delta_rule_fwd_h_hip_kernelILi32ELb0ELb1ELb1ELb1ELb1ELb0ELb0ELb0EEEvPK12hip_bfloat16S3_S3_PKfS5_PKvPS1_S8_PvPKiSB_iiiiilll
		.amdhsa_group_segment_fixed_size 49152
		.amdhsa_private_segment_fixed_size 0
		.amdhsa_kernarg_size 136
		.amdhsa_user_sgpr_count 2
		.amdhsa_user_sgpr_dispatch_ptr 0
		.amdhsa_user_sgpr_queue_ptr 0
		.amdhsa_user_sgpr_kernarg_segment_ptr 1
		.amdhsa_user_sgpr_dispatch_id 0
		.amdhsa_user_sgpr_kernarg_preload_length 0
		.amdhsa_user_sgpr_kernarg_preload_offset 0
		.amdhsa_user_sgpr_private_segment_size 0
		.amdhsa_uses_dynamic_stack 0
		.amdhsa_enable_private_segment 0
		.amdhsa_system_sgpr_workgroup_id_x 1
		.amdhsa_system_sgpr_workgroup_id_y 1
		.amdhsa_system_sgpr_workgroup_id_z 0
		.amdhsa_system_sgpr_workgroup_info 0
		.amdhsa_system_vgpr_workitem_id 0
		.amdhsa_next_free_vgpr 148
		.amdhsa_next_free_sgpr 68
		.amdhsa_accum_offset 132
		.amdhsa_reserve_vcc 1
		.amdhsa_float_round_mode_32 0
		.amdhsa_float_round_mode_16_64 0
		.amdhsa_float_denorm_mode_32 3
		.amdhsa_float_denorm_mode_16_64 3
		.amdhsa_dx10_clamp 1
		.amdhsa_ieee_mode 1
		.amdhsa_fp16_overflow 0
		.amdhsa_tg_split 0
		.amdhsa_exception_fp_ieee_invalid_op 0
		.amdhsa_exception_fp_denorm_src 0
		.amdhsa_exception_fp_ieee_div_zero 0
		.amdhsa_exception_fp_ieee_overflow 0
		.amdhsa_exception_fp_ieee_underflow 0
		.amdhsa_exception_fp_ieee_inexact 0
		.amdhsa_exception_int_div_zero 0
	.end_amdhsa_kernel
	.section	.text._ZN12_GLOBAL__N_139chunk_gated_delta_rule_fwd_h_hip_kernelILi32ELb0ELb1ELb1ELb1ELb1ELb0ELb0ELb0EEEvPK12hip_bfloat16S3_S3_PKfS5_PKvPS1_S8_PvPKiSB_iiiiilll,"axG",@progbits,_ZN12_GLOBAL__N_139chunk_gated_delta_rule_fwd_h_hip_kernelILi32ELb0ELb1ELb1ELb1ELb1ELb0ELb0ELb0EEEvPK12hip_bfloat16S3_S3_PKfS5_PKvPS1_S8_PvPKiSB_iiiiilll,comdat
.Lfunc_end437:
	.size	_ZN12_GLOBAL__N_139chunk_gated_delta_rule_fwd_h_hip_kernelILi32ELb0ELb1ELb1ELb1ELb1ELb0ELb0ELb0EEEvPK12hip_bfloat16S3_S3_PKfS5_PKvPS1_S8_PvPKiSB_iiiiilll, .Lfunc_end437-_ZN12_GLOBAL__N_139chunk_gated_delta_rule_fwd_h_hip_kernelILi32ELb0ELb1ELb1ELb1ELb1ELb0ELb0ELb0EEEvPK12hip_bfloat16S3_S3_PKfS5_PKvPS1_S8_PvPKiSB_iiiiilll
                                        ; -- End function
	.section	.AMDGPU.csdata,"",@progbits
; Kernel info:
; codeLenInByte = 9488
; NumSgprs: 74
; NumVgprs: 132
; NumAgprs: 16
; TotalNumVgprs: 148
; ScratchSize: 0
; MemoryBound: 0
; FloatMode: 240
; IeeeMode: 1
; LDSByteSize: 49152 bytes/workgroup (compile time only)
; SGPRBlocks: 9
; VGPRBlocks: 18
; NumSGPRsForWavesPerEU: 74
; NumVGPRsForWavesPerEU: 148
; AccumOffset: 132
; Occupancy: 1
; WaveLimiterHint : 1
; COMPUTE_PGM_RSRC2:SCRATCH_EN: 0
; COMPUTE_PGM_RSRC2:USER_SGPR: 2
; COMPUTE_PGM_RSRC2:TRAP_HANDLER: 0
; COMPUTE_PGM_RSRC2:TGID_X_EN: 1
; COMPUTE_PGM_RSRC2:TGID_Y_EN: 1
; COMPUTE_PGM_RSRC2:TGID_Z_EN: 0
; COMPUTE_PGM_RSRC2:TIDIG_COMP_CNT: 0
; COMPUTE_PGM_RSRC3_GFX90A:ACCUM_OFFSET: 32
; COMPUTE_PGM_RSRC3_GFX90A:TG_SPLIT: 0
	.section	.text._ZN12_GLOBAL__N_139chunk_gated_delta_rule_fwd_h_hip_kernelILi32ELb0ELb1ELb0ELb1ELb1ELb0ELb0ELb0EEEvPK12hip_bfloat16S3_S3_PKfS5_PKvPS1_S8_PvPKiSB_iiiiilll,"axG",@progbits,_ZN12_GLOBAL__N_139chunk_gated_delta_rule_fwd_h_hip_kernelILi32ELb0ELb1ELb0ELb1ELb1ELb0ELb0ELb0EEEvPK12hip_bfloat16S3_S3_PKfS5_PKvPS1_S8_PvPKiSB_iiiiilll,comdat
	.globl	_ZN12_GLOBAL__N_139chunk_gated_delta_rule_fwd_h_hip_kernelILi32ELb0ELb1ELb0ELb1ELb1ELb0ELb0ELb0EEEvPK12hip_bfloat16S3_S3_PKfS5_PKvPS1_S8_PvPKiSB_iiiiilll ; -- Begin function _ZN12_GLOBAL__N_139chunk_gated_delta_rule_fwd_h_hip_kernelILi32ELb0ELb1ELb0ELb1ELb1ELb0ELb0ELb0EEEvPK12hip_bfloat16S3_S3_PKfS5_PKvPS1_S8_PvPKiSB_iiiiilll
	.p2align	8
	.type	_ZN12_GLOBAL__N_139chunk_gated_delta_rule_fwd_h_hip_kernelILi32ELb0ELb1ELb0ELb1ELb1ELb0ELb0ELb0EEEvPK12hip_bfloat16S3_S3_PKfS5_PKvPS1_S8_PvPKiSB_iiiiilll,@function
_ZN12_GLOBAL__N_139chunk_gated_delta_rule_fwd_h_hip_kernelILi32ELb0ELb1ELb0ELb1ELb1ELb0ELb0ELb0EEEvPK12hip_bfloat16S3_S3_PKfS5_PKvPS1_S8_PvPKiSB_iiiiilll: ; @_ZN12_GLOBAL__N_139chunk_gated_delta_rule_fwd_h_hip_kernelILi32ELb0ELb1ELb0ELb1ELb1ELb0ELb0ELb0EEEvPK12hip_bfloat16S3_S3_PKfS5_PKvPS1_S8_PvPKiSB_iiiiilll
; %bb.0:
	s_load_dwordx4 s[28:31], s[0:1], 0x5c
	s_load_dwordx2 s[4:5], s[0:1], 0x50
	s_abs_i32 s7, s3
	s_ashr_i32 s6, s3, 31
	s_load_dwordx8 s[16:23], s[0:1], 0x0
	s_load_dwordx4 s[24:27], s[0:1], 0x40
	s_load_dwordx2 s[42:43], s[0:1], 0x30
	s_waitcnt lgkmcnt(0)
	s_abs_i32 s10, s29
	v_cvt_f32_u32_e32 v1, s10
	s_sub_i32 s8, 0, s10
	s_ashr_i32 s48, s29, 31
	s_xor_b32 s6, s6, s48
	v_rcp_iflag_f32_e32 v1, v1
	v_lshrrev_b32_e32 v56, 6, v0
	v_bfe_u32 v59, v0, 4, 2
	v_lshlrev_b32_e32 v57, 4, v56
	v_mul_f32_e32 v1, 0x4f7ffffe, v1
	v_cvt_u32_f32_e32 v1, v1
	v_lshlrev_b32_e32 v18, 2, v59
	v_and_b32_e32 v58, 63, v0
	s_mov_b32 s33, s29
	v_readfirstlane_b32 s9, v1
	s_mul_i32 s8, s8, s9
	s_mul_hi_u32 s8, s9, s8
	s_add_i32 s9, s9, s8
	s_mul_hi_u32 s8, s7, s9
	s_mul_i32 s9, s8, s10
	s_sub_i32 s7, s7, s9
	s_add_i32 s9, s8, 1
	s_sub_i32 s11, s7, s10
	s_cmp_ge_u32 s7, s10
	s_cselect_b32 s8, s9, s8
	s_cselect_b32 s7, s11, s7
	s_add_i32 s9, s8, 1
	s_cmp_ge_u32 s7, s10
	s_cselect_b32 s7, s9, s8
	s_xor_b32 s7, s7, s6
	s_sub_i32 s34, s7, s6
	s_mul_i32 s6, s34, s29
	s_ashr_i32 s35, s34, 31
	s_sub_i32 s49, s3, s6
	s_lshl_b64 s[6:7], s[34:35], 2
	s_add_u32 s8, s26, s6
	s_addc_u32 s9, s27, s7
	s_add_u32 s4, s4, s6
	s_addc_u32 s5, s5, s7
	s_abs_i32 s3, s30
	v_cvt_f32_u32_e32 v1, s3
	s_load_dwordx2 s[40:41], s[8:9], 0x0
	s_load_dwordx2 s[26:27], s[0:1], 0x80
	s_load_dwordx4 s[36:39], s[0:1], 0x70
	s_sub_i32 s1, 0, s3
	v_rcp_iflag_f32_e32 v1, v1
	s_load_dword s55, s[4:5], 0x0
	s_waitcnt lgkmcnt(0)
	s_sub_i32 s46, s41, s40
	s_ashr_i32 s0, s46, 31
	v_mul_f32_e32 v1, 0x4f7ffffe, v1
	v_cvt_u32_f32_e32 v1, v1
	s_lshr_b32 s0, s0, 26
	s_add_i32 s0, s46, s0
	s_ashr_i32 s53, s0, 6
	v_readfirstlane_b32 s6, v1
	s_mul_i32 s1, s1, s6
	s_mul_hi_u32 s1, s6, s1
	s_add_i32 s6, s6, s1
	s_mul_hi_u32 s1, s10, s6
	s_mul_i32 s6, s1, s3
	s_ashr_i32 s0, s30, 31
	s_sub_i32 s6, s10, s6
	s_xor_b32 s0, s48, s0
	s_add_i32 s7, s1, 1
	s_sub_i32 s8, s6, s3
	s_cmp_ge_u32 s6, s3
	s_cselect_b32 s1, s7, s1
	s_cselect_b32 s6, s8, s6
	s_add_i32 s7, s1, 1
	s_cmp_ge_u32 s6, s3
	s_cselect_b32 s1, s7, s1
	s_xor_b32 s1, s1, s0
	s_sub_i32 s1, s1, s0
	s_abs_i32 s3, s1
	v_cvt_f32_u32_e32 v1, s3
	s_sub_i32 s5, 0, s3
	s_abs_i32 s4, s49
	s_xor_b32 s1, s49, s1
	v_rcp_iflag_f32_e32 v1, v1
	s_ashr_i32 s1, s1, 31
	s_mov_b32 s0, 0
	s_mov_b32 s14, s0
	v_mul_f32_e32 v1, 0x4f7ffffe, v1
	v_cvt_u32_f32_e32 v1, v1
	s_mov_b32 s15, s0
	s_mov_b32 s8, s0
	;; [unrolled: 1-line block ×3, first 2 shown]
	v_readfirstlane_b32 s6, v1
	s_mul_i32 s5, s5, s6
	s_mul_hi_u32 s5, s6, s5
	s_add_i32 s6, s6, s5
	s_mul_hi_u32 s5, s4, s6
	s_mul_i32 s6, s5, s3
	s_sub_i32 s4, s4, s6
	s_add_i32 s6, s5, 1
	s_sub_i32 s7, s4, s3
	s_cmp_ge_u32 s4, s3
	s_cselect_b32 s5, s6, s5
	s_cselect_b32 s4, s7, s4
	s_add_i32 s6, s5, 1
	s_cmp_ge_u32 s4, s3
	s_cselect_b32 s3, s6, s5
	s_xor_b32 s3, s3, s1
	s_sub_i32 s56, s3, s1
	v_or_b32_e32 v1, v18, v57
	s_lshl_b32 s44, s2, 5
	s_mov_b32 s1, s0
	s_mov_b32 s2, s0
	;; [unrolled: 1-line block ×11, first 2 shown]
	v_mov_b64_e32 v[16:17], s[14:15]
	v_and_b32_e32 v60, 15, v0
	v_or_b32_e32 v63, 64, v1
	s_cmp_lt_i32 s46, 64
	v_mov_b64_e32 v[14:15], s[12:13]
	v_mov_b64_e32 v[12:13], s[10:11]
	;; [unrolled: 1-line block ×7, first 2 shown]
	s_mul_hi_i32 s57, s49, s28
	s_mul_i32 s58, s49, s28
	v_lshrrev_b32_e32 v62, 3, v58
	v_lshlrev_b32_e32 v61, 3, v0
	s_mul_i32 s50, s34, s37
	s_mul_hi_u32 s51, s34, s36
	s_mul_i32 s52, s35, s36
	s_mul_i32 s12, s34, s36
	s_cbranch_scc1 .LBB438_19
; %bb.1:
	s_ashr_i32 s36, s49, 31
	s_ashr_i32 s1, s40, 31
	s_add_u32 s0, s58, s40
	s_addc_u32 s1, s57, s1
	s_lshl_b64 s[0:1], s[0:1], 8
	v_and_b32_e32 v9, 56, v61
	s_add_u32 s0, s18, s0
	v_lshl_or_b32 v5, v56, 3, v62
	v_lshlrev_b32_e32 v2, 1, v9
	s_addc_u32 s1, s19, s1
	v_lshl_or_b32 v13, v5, 8, v2
	s_and_b32 s1, s1, 0xffff
	s_mov_b32 s3, 0x20000
	s_movk_i32 s2, 0x4000
	s_movk_i32 s4, 0x80
	v_or_b32_e32 v17, 0x2000, v13
	buffer_load_dwordx4 v[20:23], v13, s[0:3], 0 offen
	buffer_load_dwordx4 v[24:27], v13, s[0:3], s4 offen
	;; [unrolled: 1-line block ×4, first 2 shown]
	v_lshlrev_b32_e32 v3, 3, v5
	v_and_or_b32 v6, v0, 7, v3
	v_and_b32_e32 v3, 0x78, v3
	v_lshlrev_b32_e32 v6, 4, v6
	v_xor_b32_e32 v64, v6, v3
	v_mul_lo_u32 v4, v5, s31
	v_or_b32_e32 v65, 0x1000, v64
	v_xor_b32_e32 v3, 8, v64
	s_cmpk_eq_i32 s31, 0x80
	s_mov_b32 s47, s40
	v_xor_b32_e32 v6, 8, v65
	s_cselect_b64 s[0:1], -1, 0
	s_cmpk_lg_i32 s31, 0x80
	s_waitcnt vmcnt(3)
	ds_write_b64 v64, v[20:21] offset:24576
	ds_write_b64 v3, v[22:23] offset:24576
	s_waitcnt vmcnt(2)
	ds_write_b64 v64, v[24:25] offset:32768
	ds_write_b64 v3, v[26:27] offset:32768
	;; [unrolled: 3-line block ×4, first 2 shown]
	v_lshl_add_u32 v3, v4, 1, v9
	s_cbranch_scc0 .LBB438_3
; %bb.2:
	v_lshlrev_b32_e32 v6, 1, v3
	v_add_lshl_u32 v4, v3, s31, 1
	s_lshl_b32 s6, s31, 7
	v_lshl_or_b32 v2, v5, 9, v2
	s_cbranch_execz .LBB438_4
	s_branch .LBB438_5
.LBB438_3:
                                        ; implicit-def: $vgpr4
                                        ; implicit-def: $vgpr6
                                        ; implicit-def: $sgpr6
	v_lshl_or_b32 v2, v5, 9, v2
.LBB438_4:
	v_or_b32_e32 v4, 0x100, v2
	s_movk_i32 s6, 0x4000
	v_mov_b32_e32 v6, v2
.LBB438_5:
	s_mul_i32 s2, s40, s30
	s_ashr_i32 s37, s56, 31
	s_mul_hi_i32 s3, s40, s30
	s_add_u32 s2, s2, s56
	s_addc_u32 s3, s3, s37
	s_lshl_b64 s[2:3], s[2:3], 8
	s_add_u32 s4, s16, s2
	s_addc_u32 s2, s17, s3
	s_and_b32 s5, s2, 0xffff
	s_mov_b32 s7, 0x20000
	s_movk_i32 s54, 0x80
	buffer_load_dwordx4 v[20:23], v6, s[4:7], 0 offen
	buffer_load_dwordx4 v[24:27], v6, s[4:7], s54 offen
	;; [unrolled: 1-line block ×4, first 2 shown]
	v_and_b32_e32 v4, 6, v0
	v_lshlrev_b32_e32 v8, 6, v1
	v_or_b32_e32 v11, 16, v60
	v_xor_b32_e32 v12, v5, v4
	v_and_b32_e32 v6, 1, v0
	v_lshl_or_b32 v16, v60, 3, v8
	v_lshl_or_b32 v8, v11, 3, v8
	v_lshlrev_b32_e32 v12, 2, v12
	v_lshlrev_b32_e32 v7, 2, v60
	s_mul_i32 s2, s49, s39
	s_mul_hi_u32 s3, s49, s38
	v_or_b32_e32 v68, 0xa000, v8
	v_or_b32_e32 v69, 0xb000, v8
	v_xor_b32_e32 v8, 0x440, v12
	v_cmp_eq_u32_e32 vcc, 0, v6
	s_add_i32 s5, s51, s50
	s_mul_i32 s4, s36, s38
	v_xor_b32_e32 v14, v1, v7
	v_xor_b32_e32 v15, v63, v7
	v_cndmask_b32_e32 v6, v8, v12, vcc
	s_add_i32 s2, s3, s2
	s_add_i32 s13, s5, s52
	s_mov_b32 s59, 0x1000504
	v_lshlrev_b32_e32 v10, 8, v60
	v_lshlrev_b32_e32 v11, 8, v11
	;; [unrolled: 1-line block ×4, first 2 shown]
	v_lshl_or_b32 v4, v4, 10, v6
	s_add_i32 s3, s2, s4
	s_lshl_b64 s[4:5], s[12:13], 2
	s_mov_b32 s60, 0x3020706
	v_or_b32_e32 v66, 0xa000, v16
	v_or_b32_e32 v67, 0xb000, v16
	v_or_b32_e32 v70, v10, v14
	v_or_b32_e32 v71, v10, v15
	v_or_b32_e32 v73, v11, v15
	v_xor_b32_e32 v6, 8, v4
	v_xor_b32_e32 v10, 24, v4
	;; [unrolled: 1-line block ×4, first 2 shown]
	s_mul_i32 s2, s49, s38
	s_add_u32 s4, s22, s4
	v_or_b32_e32 v72, v11, v14
	v_xor_b32_e32 v8, 16, v4
	v_xor_b32_e32 v11, 32, v4
	;; [unrolled: 1-line block ×3, first 2 shown]
	v_add_u32_e32 v6, 0x80, v6
	v_add_u32_e32 v10, 0x80, v10
	;; [unrolled: 1-line block ×4, first 2 shown]
	s_addc_u32 s5, s23, s5
	s_lshl_b64 s[2:3], s[2:3], 2
	s_add_u32 s2, s4, s2
	s_movk_i32 s4, 0xf8
	s_addc_u32 s3, s5, s3
	s_ashr_i32 s45, s44, 31
	s_lshl_b32 s10, s31, 7
	s_movk_i32 s8, 0x100
	v_mov_b32_e32 v51, 0
	v_lshlrev_b32_e32 v50, 4, v60
	v_cmp_gt_u32_e32 vcc, s8, v0
	s_mov_b32 s61, 0
	s_movk_i32 s13, 0x1000
	s_movk_i32 s6, 0x4000
	v_add_u32_e32 v91, v57, v18
	v_mov_b32_e32 v97, v51
	v_mov_b32_e32 v96, v51
	v_mov_b32_e32 v99, v51
	v_mov_b32_e32 v98, v51
	s_waitcnt vmcnt(1)
	v_perm_b32 v16, v20, v28, s59
	s_waitcnt vmcnt(0)
	v_perm_b32 v19, v24, v32, s59
	v_perm_b32 v20, v20, v28, s60
	;; [unrolled: 1-line block ×15, first 2 shown]
	ds_write2st64_b32 v4, v16, v19 offset0:32 offset1:64
	ds_write2st64_b32 v6, v20, v24 offset0:32 offset1:64
	;; [unrolled: 1-line block ×8, first 2 shown]
	v_or_b32_e32 v4, v57, v60
	v_lshlrev_b32_e32 v4, 3, v4
	v_lshrrev_b32_e32 v10, 5, v58
	v_and_or_b32 v10, v4, s4, v10
	v_lshlrev_b32_e32 v8, 11, v56
	v_lshlrev_b32_e32 v10, 4, v10
	v_and_b32_e32 v4, 0x78, v4
	v_and_b32_e32 v6, 0x1000, v8
	v_xor_b32_e32 v11, v10, v4
	v_lshrrev_b32_e32 v12, 1, v0
	v_or_b32_e32 v11, v11, v6
	v_and_b32_e32 v14, 8, v12
	v_xor_b32_e32 v74, v11, v14
	v_or_b32_e32 v11, 32, v10
	v_xor_b32_e32 v11, v11, v4
	v_or_b32_e32 v11, v11, v6
	v_xor_b32_e32 v76, v11, v14
	v_or_b32_e32 v11, 64, v10
	v_xor_b32_e32 v11, v11, v4
	v_or_b32_e32 v10, 0x60, v10
	s_lshl_b64 s[4:5], s[44:45], 8
	v_or_b32_e32 v11, v11, v6
	v_xor_b32_e32 v4, v10, v4
	s_add_u32 s4, s42, s4
	v_lshlrev_b32_e32 v10, 1, v60
	v_xor_b32_e32 v78, v11, v14
	v_lshrrev_b32_e32 v19, 4, v0
	s_addc_u32 s5, s43, s5
	v_or_b32_e32 v11, 1, v10
	v_mov_b32_e32 v23, 0x4000
	v_mov_b32_e32 v24, 0x2000
	v_xor_b32_e32 v20, v19, v10
	v_xor_b32_e32 v21, v11, v19
	v_lshl_add_u64 v[10:11], s[4:5], 0, v[50:51]
	v_lshlrev_b32_e32 v50, 8, v19
	v_cndmask_b32_e32 v23, v23, v24, vcc
	v_lshlrev_b32_e32 v24, 3, v56
	v_and_b32_e32 v12, 24, v12
	v_lshl_or_b32 v82, v20, 3, v50
	v_and_b32_e32 v20, 8, v0
	v_xor_b32_e32 v25, v24, v12
	v_or_b32_e32 v26, 0x440, v25
	v_cmp_eq_u32_e32 vcc, 0, v20
	v_and_b32_e32 v19, 7, v0
	v_lshlrev_b32_e32 v15, 7, v59
	v_cndmask_b32_e32 v20, v26, v25, vcc
	v_lshl_or_b32 v83, v21, 3, v50
	v_lshlrev_b32_e32 v21, 3, v19
	v_lshlrev_b32_e32 v19, 7, v19
	;; [unrolled: 1-line block ×3, first 2 shown]
	v_or_b32_e32 v20, v20, v8
	v_or_b32_e32 v7, v15, v7
	v_xad_u32 v84, v20, v21, v19
	v_and_or_b32 v15, v22, 60, v15
	v_mov_b32_e32 v20, 0xb000
	v_lshl_or_b32 v85, v15, 1, v20
	v_or_b32_e32 v15, 32, v12
	v_xor_b32_e32 v15, v24, v15
	v_or_b32_e32 v20, 0x440, v15
	v_cndmask_b32_e32 v15, v20, v15, vcc
	v_or_b32_e32 v15, v15, v8
	v_xad_u32 v86, v15, v21, v19
	v_or_b32_e32 v15, 64, v12
	v_xor_b32_e32 v15, v24, v15
	v_xor_b32_e32 v20, 0x440, v15
	v_cndmask_b32_e32 v15, v20, v15, vcc
	v_or_b32_e32 v12, 0x60, v12
	v_or_b32_e32 v15, v15, v8
	v_xor_b32_e32 v12, v24, v12
	v_xad_u32 v87, v15, v21, v19
	v_xor_b32_e32 v15, 0x440, v12
	v_cndmask_b32_e32 v12, v15, v12, vcc
	v_lshlrev_b32_e32 v7, 1, v7
	v_or_b32_e32 v4, v4, v6
	v_or_b32_e32 v6, s44, v60
	;; [unrolled: 1-line block ×5, first 2 shown]
	v_xor_b32_e32 v79, v4, v14
	v_or_b32_e32 v80, 0xb000, v7
	v_or_b32_e32 v81, 0xb080, v7
	v_lshlrev_b32_e32 v4, 7, v1
	v_ashrrev_i32_e32 v7, 31, v6
	v_lshlrev_b32_e32 v14, 1, v3
	v_add_lshl_u32 v3, v3, s31, 1
	v_or_b32_e32 v16, 0x100, v2
	v_xad_u32 v88, v8, v21, v19
	v_cndmask_b32_e64 v89, v14, v2, s[0:1]
	v_cndmask_b32_e64 v90, v3, v16, s[0:1]
	v_lshl_add_u64 v[52:53], v[6:7], 1, s[20:21]
	v_lshl_add_u64 v[54:55], v[10:11], 0, v[50:51]
	s_mov_b32 s45, 0x7060302
	v_lshlrev_b32_e32 v50, 1, v4
	v_add_u32_e32 v92, v23, v84
	v_add_u32_e32 v93, v23, v86
	;; [unrolled: 1-line block ×4, first 2 shown]
	v_mov_b32_e32 v2, v51
	v_mov_b32_e32 v3, v51
	;; [unrolled: 1-line block ×12, first 2 shown]
	s_waitcnt lgkmcnt(0)
	s_barrier
.LBB438_6:                              ; =>This Inner Loop Header: Depth=1
	s_add_i32 s62, s61, 1
	s_cmp_lt_i32 s62, s53
	s_mov_b64 s[8:9], 0
	s_cselect_b64 s[14:15], -1, 0
	s_cmp_ge_i32 s62, s53
	s_mov_b64 s[4:5], 0
	s_cbranch_scc1 .LBB438_8
; %bb.7:                                ;   in Loop: Header=BB438_6 Depth=1
	s_add_i32 s0, s47, 64
	s_ashr_i32 s1, s0, 31
	s_add_u32 s0, s58, s0
	s_addc_u32 s1, s57, s1
	s_lshl_b64 s[0:1], s[0:1], 8
	s_add_u32 s4, s18, s0
	s_addc_u32 s5, s19, s1
.LBB438_8:                              ;   in Loop: Header=BB438_6 Depth=1
	v_cndmask_b32_e64 v18, 0, 1, s[14:15]
	v_cmp_ne_u32_e64 s[0:1], 1, v18
	s_andn2_b64 vcc, exec, s[14:15]
	s_cbranch_vccnz .LBB438_10
; %bb.9:                                ;   in Loop: Header=BB438_6 Depth=1
	s_add_i32 s8, s47, 64
	s_mul_hi_i32 s9, s8, s30
	s_mul_i32 s8, s8, s30
	s_add_u32 s8, s8, s56
	s_addc_u32 s9, s9, s37
	s_lshl_b64 s[8:9], s[8:9], 8
	s_add_u32 s8, s16, s8
	s_addc_u32 s9, s17, s9
.LBB438_10:                             ;   in Loop: Header=BB438_6 Depth=1
	v_perm_b32 v19, v97, v4, s45
	v_perm_b32 v18, v3, v2, s45
	;; [unrolled: 1-line block ×4, first 2 shown]
	ds_write_b64 v66, v[18:19]
	ds_write_b64 v67, v[20:21]
	;; [unrolled: 1-line block ×4, first 2 shown]
	v_perm_b32 v19, v99, v12, s45
	v_perm_b32 v18, v11, v10, s45
	;; [unrolled: 1-line block ×4, first 2 shown]
	ds_write_b64 v68, v[18:19]
	ds_write_b64 v69, v[20:21]
	;; [unrolled: 1-line block ×4, first 2 shown]
	s_waitcnt lgkmcnt(0)
	s_barrier
	ds_read_b64 v[22:23], v74 offset:24576
	ds_read2_b64 v[18:21], v75 offset1:16
	ds_read_b64 v[26:27], v77 offset:3072
	ds_read_b64 v[28:29], v75 offset:3072
	;; [unrolled: 1-line block ×3, first 2 shown]
	s_waitcnt lgkmcnt(3)
	v_mfma_f32_16x16x16_bf16 a[0:3], v[22:23], v[18:19], 0
	s_add_i32 s11, s47, 63
	s_ashr_i32 s14, s11, 31
	s_mul_i32 s15, s11, s27
	v_mfma_f32_16x16x16_bf16 a[4:7], v[22:23], v[20:21], 0
	ds_read2st64_b64 v[18:21], v75 offset0:2 offset1:4
	s_mul_hi_u32 s63, s11, s26
	s_add_i32 s15, s63, s15
	s_waitcnt lgkmcnt(0)
	v_mfma_f32_16x16x16_bf16 a[0:3], v[30:31], v[18:19], a[0:3]
	ds_read2st64_b64 v[22:25], v77 offset0:2 offset1:4
	ds_read_b64 v[18:19], v78 offset:24576
	s_mul_i32 s14, s14, s26
	s_add_i32 s15, s15, s14
	s_waitcnt lgkmcnt(1)
	v_mfma_f32_16x16x16_bf16 a[4:7], v[30:31], v[22:23], a[4:7]
	ds_read_b64 v[22:23], v79 offset:24576
	s_mul_i32 s14, s11, s26
	s_lshl_b64 s[14:15], s[14:15], 2
	s_waitcnt lgkmcnt(1)
	v_mfma_f32_16x16x16_bf16 a[0:3], v[18:19], v[20:21], a[0:3]
	s_add_u32 s14, s2, s14
	s_addc_u32 s15, s3, s15
	s_and_b64 vcc, exec, s[0:1]
	v_mfma_f32_16x16x16_bf16 a[4:7], v[18:19], v[24:25], a[4:7]
	v_mov_b32_e32 v102, 0
	v_mov_b32_e32 v101, 0
	;; [unrolled: 1-line block ×3, first 2 shown]
	s_waitcnt lgkmcnt(0)
	v_mfma_f32_16x16x16_bf16 a[0:3], v[22:23], v[28:29], a[0:3]
	v_mov_b32_e32 v18, 0
	v_mov_b32_e32 v19, 0
	;; [unrolled: 1-line block ×3, first 2 shown]
	v_mfma_f32_16x16x16_bf16 a[4:7], v[22:23], v[26:27], a[4:7]
	v_mov_b32_e32 v21, 0
	v_mov_b32_e32 v22, 0
	v_mov_b32_e32 v23, 0
	v_mov_b32_e32 v24, 0
	v_mov_b32_e32 v25, 0
	v_mov_b32_e32 v26, 0
	v_mov_b32_e32 v27, 0
	v_mov_b32_e32 v28, 0
	v_mov_b32_e32 v29, 0
	v_mov_b32_e32 v30, 0
	v_mov_b32_e32 v31, 0
	v_mov_b32_e32 v32, 0
	v_mov_b32_e32 v33, 0
	s_cbranch_vccnz .LBB438_12
; %bb.11:                               ;   in Loop: Header=BB438_6 Depth=1
	s_and_b32 s5, s5, 0xffff
	buffer_load_dwordx4 v[30:33], v13, s[4:7], 0 offen
	buffer_load_dwordx4 v[26:29], v13, s[4:7], s54 offen
	;; [unrolled: 1-line block ×4, first 2 shown]
	v_mov_b32_e32 v101, v64
	v_mov_b32_e32 v100, v65
.LBB438_12:                             ;   in Loop: Header=BB438_6 Depth=1
	ds_read_b64 v[38:39], v74 offset:32768
	ds_read2_b64 v[34:37], v80 offset1:16
	ds_read_b64 v[42:43], v76 offset:32768
	ds_read_b64 v[44:45], v78 offset:32768
	;; [unrolled: 1-line block ×3, first 2 shown]
	v_add_u32_e32 v103, s47, v91
	s_waitcnt lgkmcnt(3)
	v_mfma_f32_16x16x16_bf16 a[0:3], v[38:39], v[34:35], a[0:3]
	v_mfma_f32_16x16x16_bf16 a[4:7], v[38:39], v[36:37], a[4:7]
	ds_read2st64_b64 v[34:37], v80 offset0:2 offset1:4
	ds_read2st64_b64 v[38:41], v81 offset0:2 offset1:4
	s_waitcnt lgkmcnt(1)
	v_mfma_f32_16x16x16_bf16 a[0:3], v[42:43], v[34:35], a[0:3]
	ds_read_b64 v[34:35], v80 offset:3072
	ds_read_b64 v[48:49], v81 offset:3072
	s_waitcnt lgkmcnt(2)
	v_mfma_f32_16x16x16_bf16 a[4:7], v[42:43], v[38:39], a[4:7]
	v_ashrrev_i32_e32 v38, 31, v103
	v_mul_lo_u32 v39, v103, s27
	v_mul_lo_u32 v38, v38, s26
	v_mfma_f32_16x16x16_bf16 a[0:3], v[44:45], v[36:37], a[0:3]
	v_mad_u64_u32 v[36:37], s[4:5], v103, s26, 0
	v_add3_u32 v37, v37, v39, v38
	v_add_u32_e32 v38, 1, v103
	v_ashrrev_i32_e32 v39, 31, v38
	v_mfma_f32_16x16x16_bf16 a[4:7], v[44:45], v[40:41], a[4:7]
	v_mul_lo_u32 v39, v39, s26
	v_mul_lo_u32 v40, v38, s27
	v_lshl_add_u64 v[36:37], v[36:37], 2, s[2:3]
	s_waitcnt lgkmcnt(1)
	v_mfma_f32_16x16x16_bf16 a[0:3], v[46:47], v[34:35], a[0:3]
	v_mad_u64_u32 v[34:35], s[4:5], v38, s26, 0
	v_add_u32_e32 v38, 2, v103
	v_add3_u32 v35, v35, v40, v39
	v_ashrrev_i32_e32 v39, 31, v38
	v_mul_lo_u32 v40, v39, s26
	v_mul_lo_u32 v41, v38, s27
	v_mad_u64_u32 v[38:39], s[4:5], v38, s26, 0
	v_add3_u32 v39, v39, v41, v40
	v_add_u32_e32 v40, 3, v103
	v_ashrrev_i32_e32 v41, 31, v40
	v_mul_lo_u32 v42, v41, s26
	v_mul_lo_u32 v43, v40, s27
	v_mad_u64_u32 v[40:41], s[4:5], v40, s26, 0
	v_add3_u32 v41, v41, v43, v42
	v_lshl_add_u64 v[40:41], v[40:41], 2, s[2:3]
	s_ashr_i32 s5, s47, 31
	v_lshl_add_u64 v[34:35], v[34:35], 2, s[2:3]
	v_lshl_add_u64 v[38:39], v[38:39], 2, s[2:3]
	global_load_dword v42, v[36:37], off
	global_load_dword v43, v[34:35], off
	;; [unrolled: 1-line block ×3, first 2 shown]
	s_nop 0
	global_load_dword v41, v[40:41], off
	s_add_u32 s4, s58, s47
	s_addc_u32 s5, s57, s5
	s_lshl_b64 s[4:5], s[4:5], 8
	v_lshl_add_u64 v[34:35], v[52:53], 0, s[4:5]
	v_lshl_add_u64 v[34:35], v[34:35], 0, v[50:51]
	global_load_ushort v45, v[34:35], off
	global_load_ushort v103, v[34:35], off offset:256
	global_load_ushort v104, v[34:35], off offset:800
	;; [unrolled: 1-line block ×7, first 2 shown]
	s_load_dword s4, s[14:15], 0x0
	s_waitcnt lgkmcnt(0)
	v_mfma_f32_16x16x16_bf16 a[4:7], v[46:47], v[48:49], a[4:7]
	v_accvgpr_read_b32 v39, a1
	v_accvgpr_read_b32 v35, a3
	;; [unrolled: 1-line block ×4, first 2 shown]
	s_and_b64 vcc, exec, s[0:1]
	s_waitcnt vmcnt(11)
	v_sub_f32_e32 v40, s4, v42
	s_waitcnt vmcnt(10)
	v_sub_f32_e32 v48, s4, v43
	;; [unrolled: 2-line block ×4, first 2 shown]
	v_exp_f32_e32 v40, v40
	v_exp_f32_e32 v41, v48
	;; [unrolled: 1-line block ×4, first 2 shown]
	s_waitcnt vmcnt(6)
	v_lshlrev_b32_e32 v43, 16, v103
	v_lshlrev_b32_e32 v42, 16, v45
	s_waitcnt vmcnt(4)
	v_lshlrev_b32_e32 v45, 16, v105
	s_waitcnt vmcnt(2)
	v_lshlrev_b32_e32 v44, 16, v107
	v_pk_add_f32 v[38:39], v[42:43], v[38:39] neg_lo:[0,1] neg_hi:[0,1]
	v_pk_add_f32 v[34:35], v[44:45], v[34:35] neg_lo:[0,1] neg_hi:[0,1]
	v_pk_mul_f32 v[38:39], v[40:41], v[38:39]
	v_pk_mul_f32 v[34:35], v[48:49], v[34:35]
	s_waitcnt vmcnt(1)
	v_lshlrev_b32_e32 v47, 16, v108
	v_perm_b32 v35, v35, v34, s45
	v_perm_b32 v34, v39, v38, s45
	v_accvgpr_read_b32 v39, a5
	s_waitcnt vmcnt(0)
	v_lshlrev_b32_e32 v46, 16, v109
	v_accvgpr_read_b32 v38, a4
	v_pk_add_f32 v[38:39], v[46:47], v[38:39] neg_lo:[0,1] neg_hi:[0,1]
	v_accvgpr_read_b32 v37, a7
	v_accvgpr_read_b32 v36, a6
	v_pk_mul_f32 v[38:39], v[40:41], v[38:39]
	v_lshlrev_b32_e32 v41, 16, v104
	v_lshlrev_b32_e32 v40, 16, v106
	v_pk_add_f32 v[36:37], v[40:41], v[36:37] neg_lo:[0,1] neg_hi:[0,1]
	v_mov_b32_e32 v103, 0
	v_pk_mul_f32 v[36:37], v[48:49], v[36:37]
	v_mov_b32_e32 v40, 0
	v_perm_b32 v37, v37, v36, s45
	v_perm_b32 v36, v39, v38, s45
	ds_write2_b64 v67, v[34:35], v[36:37] offset1:16
	v_mov_b32_e32 v34, 0
	v_mov_b32_e32 v35, 0
	;; [unrolled: 1-line block ×15, first 2 shown]
	s_cbranch_vccnz .LBB438_14
; %bb.13:                               ;   in Loop: Header=BB438_6 Depth=1
	s_and_b32 s9, s9, 0xffff
	s_mov_b32 s11, s7
	buffer_load_dwordx4 v[46:49], v89, s[8:11], 0 offen
	buffer_load_dwordx4 v[38:41], v89, s[8:11], s54 offen
	;; [unrolled: 1-line block ×4, first 2 shown]
	v_mov_b32_e32 v102, v9
	v_mov_b32_e32 v103, v5
.LBB438_14:                             ;   in Loop: Header=BB438_6 Depth=1
	s_waitcnt lgkmcnt(0)
	s_barrier
	ds_read_b64 v[108:109], v92
	ds_read_b64 v[116:117], v85
	;; [unrolled: 1-line block ×5, first 2 shown]
	ds_read_b64 v[122:123], v86 offset:16384
	ds_read_b64 v[124:125], v84 offset:16384
	ds_read2_b64 v[104:107], v80 offset0:16 offset1:128
	s_waitcnt lgkmcnt(6)
	v_mfma_f32_16x16x16_bf16 a[0:3], v[108:109], v[116:117], 0
	ds_read_b64 v[126:127], v81 offset:3072
	ds_read_b64 v[128:129], v88 offset:16384
	s_add_i32 s5, s55, s61
	s_waitcnt lgkmcnt(2)
	v_mfma_f32_16x16x16_bf16 a[4:7], v[108:109], v[104:105], 0
	ds_read2st64_b64 v[108:111], v81 offset0:2 offset1:4
	s_mul_hi_i32 s9, s5, s33
	s_mul_i32 s5, s5, s33
	v_mfma_f32_16x16x16_bf16 a[0:3], v[112:113], v[106:107], a[0:3]
	s_add_u32 s8, s5, s49
	s_addc_u32 s9, s9, s36
	s_lshl_b64 s[8:9], s[8:9], 15
	s_waitcnt lgkmcnt(0)
	v_mfma_f32_16x16x16_bf16 a[4:7], v[112:113], v[108:109], a[4:7]
	ds_read2st64_b64 v[112:115], v80 offset0:4 offset1:6
	s_waitcnt lgkmcnt(0)
	v_mfma_f32_16x16x16_bf16 a[0:3], v[118:119], v[112:113], a[0:3]
	v_mfma_f32_16x16x16_bf16 a[8:11], v[118:119], v[110:111], a[4:7]
	;; [unrolled: 1-line block ×5, first 2 shown]
	ds_read2st64_b64 v[116:119], v83 offset1:8
	v_mfma_f32_16x16x16_bf16 a[12:15], v[124:125], v[104:105], 0
	ds_read_b64 v[124:125], v87 offset:16384
	v_mfma_f32_16x16x16_bf16 a[8:11], v[122:123], v[106:107], a[8:11]
	ds_read2st64_b64 v[104:107], v82 offset1:8
	s_waitcnt lgkmcnt(0)
	v_mov_b32_e32 v120, v104
	v_mfma_f32_16x16x16_bf16 a[12:15], v[122:123], v[108:109], a[12:15]
	v_lshl_add_u64 v[108:109], v[54:55], 0, s[8:9]
	v_add_co_u32_e32 v104, vcc, s13, v108
	v_mfma_f32_16x16x16_bf16 a[8:11], v[124:125], v[112:113], a[8:11]
	v_mov_b32_e32 v121, v105
	v_addc_co_u32_e32 v105, vcc, 0, v109, vcc
	v_mfma_f32_16x16x16_bf16 a[12:15], v[124:125], v[110:111], a[12:15]
	v_mov_b32_e32 v122, v116
	v_mov_b32_e32 v123, v117
	;; [unrolled: 1-line block ×3, first 2 shown]
	v_mfma_f32_16x16x16_bf16 a[8:11], v[128:129], v[114:115], a[8:11]
	v_mov_b32_e32 v117, v107
	s_and_b64 vcc, exec, s[0:1]
	global_store_dwordx4 v[108:109], v[120:123], off
	v_mfma_f32_16x16x16_bf16 a[12:15], v[128:129], v[126:127], a[12:15]
	global_store_dwordx4 v[104:105], v[116:119], off
	s_cbranch_vccnz .LBB438_16
; %bb.15:                               ;   in Loop: Header=BB438_6 Depth=1
	v_lshrrev_b32_e32 v104, 3, v102
	v_and_b32_e32 v104, 6, v104
	v_xor_b32_e32 v103, v104, v103
	v_lshlrev_b32_e32 v103, 2, v103
	v_and_b32_e32 v102, 8, v102
	v_xor_b32_e32 v105, 0x440, v103
	v_cmp_eq_u32_e32 vcc, 0, v102
	s_barrier
	s_nop 0
	v_cndmask_b32_e32 v102, v105, v103, vcc
	v_lshl_or_b32 v102, v104, 10, v102
	s_waitcnt vmcnt(3)
	v_perm_b32 v103, v46, v42, s59
	s_waitcnt vmcnt(2)
	v_perm_b32 v104, v38, v34, s59
	ds_write2st64_b32 v102, v103, v104 offset0:32 offset1:64
	v_xor_b32_e32 v103, 8, v102
	v_perm_b32 v42, v46, v42, s60
	v_perm_b32 v34, v38, v34, s60
	v_add_u32_e32 v38, 0x80, v103
	ds_write2st64_b32 v38, v42, v34 offset0:32 offset1:64
	v_xor_b32_e32 v34, 16, v102
	v_perm_b32 v38, v47, v43, s59
	v_perm_b32 v42, v39, v35, s59
	ds_write2st64_b32 v34, v38, v42 offset0:33 offset1:65
	v_xor_b32_e32 v34, 24, v102
	v_perm_b32 v38, v47, v43, s60
	v_perm_b32 v35, v39, v35, s60
	v_add_u32_e32 v34, 0x80, v34
	ds_write2st64_b32 v34, v38, v35 offset0:33 offset1:65
	v_xor_b32_e32 v34, 32, v102
	v_perm_b32 v35, v48, v44, s59
	;; [unrolled: 9-line block ×3, first 2 shown]
	v_perm_b32 v36, v41, v37, s59
	ds_write2st64_b32 v34, v35, v36 offset0:35 offset1:67
	v_xor_b32_e32 v34, 56, v102
	v_perm_b32 v35, v49, v45, s60
	v_perm_b32 v36, v41, v37, s60
	v_add_u32_e32 v34, 0x80, v34
	ds_write2st64_b32 v34, v35, v36 offset0:35 offset1:67
	ds_write_b64 v101, v[30:31] offset:24576
	v_xor_b32_e32 v30, 8, v101
	ds_write_b64 v30, v[32:33] offset:24576
	ds_write_b64 v101, v[26:27] offset:32768
	;; [unrolled: 1-line block ×4, first 2 shown]
	v_xor_b32_e32 v22, 8, v100
	ds_write_b64 v22, v[24:25] offset:24576
	ds_write_b64 v100, v[18:19] offset:32768
	ds_write_b64 v22, v[20:21] offset:32768
.LBB438_16:                             ;   in Loop: Header=BB438_6 Depth=1
	s_waitcnt vmcnt(2)
	v_exp_f32_e32 v34, s4
	v_accvgpr_read_b32 v33, a7
	v_accvgpr_read_b32 v25, a3
	;; [unrolled: 1-line block ×16, first 2 shown]
	s_add_i32 s47, s47, 64
	v_fma_f32 v2, v2, v34, v30
	v_fma_f32 v3, v3, v34, v31
	v_fma_f32 v4, v4, v34, v32
	v_fmac_f32_e32 v33, v97, v34
	v_fma_f32 v10, v10, v34, v22
	v_fma_f32 v11, v11, v34, v23
	v_fma_f32 v12, v12, v34, v24
	v_fmac_f32_e32 v25, v99, v34
	;; [unrolled: 4-line block ×3, first 2 shown]
	v_fma_f32 v14, v14, v34, v18
	v_fma_f32 v15, v15, v34, v19
	;; [unrolled: 1-line block ×3, first 2 shown]
	s_cmp_eq_u32 s53, s62
	v_fmac_f32_e32 v21, v98, v34
	s_cbranch_scc1 .LBB438_18
; %bb.17:                               ;   in Loop: Header=BB438_6 Depth=1
	s_mov_b32 s61, s62
	v_mov_b32_e32 v97, v33
	v_mov_b32_e32 v96, v29
	;; [unrolled: 1-line block ×4, first 2 shown]
	s_branch .LBB438_6
.LBB438_18:
	v_mov_b32_e32 v5, v33
	v_mov_b32_e32 v9, v29
	v_mov_b32_e32 v13, v25
	v_mov_b32_e32 v17, v21
.LBB438_19:
	s_lshl_b32 s2, s53, 6
	s_sub_i32 s54, s46, s2
	s_cmp_gt_i32 s54, 0
	v_or_b32_e32 v34, s44, v60
	s_cbranch_scc1 .LBB438_21
; %bb.20:
	s_ashr_i32 s9, s49, 31
	v_or_b32_e32 v18, s44, v60
	s_cbranch_execz .LBB438_22
	s_branch .LBB438_86
.LBB438_21:
                                        ; implicit-def: $vgpr18
                                        ; implicit-def: $sgpr8_sgpr9
.LBB438_22:
	s_add_i32 s8, s2, s40
	s_ashr_i32 s2, s8, 31
	s_cmpk_lg_i32 s31, 0x80
	s_cselect_b64 s[36:37], -1, 0
	s_and_b64 vcc, exec, s[36:37]
	s_cbranch_vccz .LBB438_24
; %bb.23:
	s_mul_i32 s1, s8, s30
	s_ashr_i32 s3, s56, 31
	s_mul_hi_i32 s0, s8, s30
	s_add_u32 s46, s1, s56
	s_addc_u32 s47, s0, s3
	s_cbranch_execz .LBB438_25
	s_branch .LBB438_26
.LBB438_24:
                                        ; implicit-def: $sgpr46_sgpr47
.LBB438_25:
	s_mul_i32 s1, s56, s28
	s_mul_hi_i32 s0, s56, s28
	s_add_u32 s46, s1, s8
	s_addc_u32 s47, s0, s2
.LBB438_26:
	s_add_i32 s3, s53, s55
	s_ashr_i32 s9, s49, 31
	s_add_u32 s0, s58, s8
	v_lshlrev_b32_e32 v22, 5, v1
	v_lshlrev_b32_e32 v40, 2, v60
	s_addc_u32 s1, s57, s2
	s_mov_b32 s2, 0x7060302
	v_or_b32_e32 v25, v22, v40
	v_xor_b32_e32 v23, v1, v40
	v_perm_b32 v19, v5, v4, s2
	v_perm_b32 v18, v3, v2, s2
	;; [unrolled: 1-line block ×4, first 2 shown]
	v_lshlrev_b32_e32 v25, 1, v25
	s_lshl_b64 s[10:11], s[0:1], 8
	v_xor_b32_e32 v24, v63, v40
	ds_write2st64_b64 v25, v[18:19], v[20:21] offset0:80 offset1:88
	v_lshlrev_b32_e32 v23, 1, v23
	v_lshlrev_b32_e32 v25, 8, v60
	s_add_u32 s0, s18, s10
	v_or_b32_e32 v26, v23, v25
	v_lshlrev_b32_e32 v24, 1, v24
	s_addc_u32 s1, s19, s11
	ds_write_b64 v26, v[18:19]
	v_or_b32_e32 v18, v24, v25
	v_or_b32_e32 v25, 16, v60
	s_mul_hi_i32 s4, s3, s29
	s_mul_i32 s3, s3, s29
	ds_write_b64 v18, v[20:21]
	v_perm_b32 v19, v13, v12, s2
	v_perm_b32 v18, v11, v10, s2
	;; [unrolled: 1-line block ×4, first 2 shown]
	v_lshlrev_b32_e32 v37, 2, v25
	s_add_u32 s2, s3, s49
	v_or_b32_e32 v22, v22, v37
	s_addc_u32 s3, s4, s9
	v_lshlrev_b32_e32 v22, 1, v22
	s_ashr_i32 s45, s44, 31
	s_lshl_b64 s[2:3], s[2:3], 15
	ds_write2st64_b64 v22, v[18:19], v[20:21] offset0:80 offset1:88
	v_lshlrev_b32_e32 v22, 8, v25
	s_add_u32 s4, s42, s2
	v_or_b32_e32 v23, v23, v22
	s_addc_u32 s5, s43, s3
	s_lshl_b64 s[2:3], s[44:45], 8
	ds_write_b64 v23, v[18:19]
	v_or_b32_e32 v18, v24, v22
	s_add_u32 s2, s4, s2
	ds_write_b64 v18, v[20:21]
	v_lshrrev_b32_e32 v18, 4, v0
	s_addc_u32 s3, s5, s3
	v_lshlrev_b32_e32 v19, 1, v60
	v_lshlrev_b32_e32 v26, 4, v60
	v_mov_b32_e32 v27, 0
	v_or_b32_e32 v20, 1, v19
	v_xor_b32_e32 v19, v18, v19
	v_lshl_add_u64 v[28:29], s[2:3], 0, v[26:27]
	v_lshlrev_b32_e32 v26, 8, v18
	v_xor_b32_e32 v22, v20, v18
	v_lshl_or_b32 v18, v19, 3, v26
	s_waitcnt lgkmcnt(0)
	s_barrier
	ds_read2st64_b64 v[18:21], v18 offset1:8
	v_lshl_or_b32 v22, v22, 3, v26
	ds_read2st64_b64 v[22:25], v22 offset1:8
	v_lshl_add_u64 v[30:31], v[28:29], 0, v[26:27]
	s_movk_i32 s2, 0x1000
	s_waitcnt lgkmcnt(1)
	v_mov_b32_e32 v26, v18
	v_add_co_u32_e32 v18, vcc, s2, v30
	s_cmp_lg_u32 s54, 64
	v_mov_b32_e32 v27, v19
	v_addc_co_u32_e32 v19, vcc, 0, v31, vcc
	s_cselect_b64 s[14:15], -1, 0
	v_lshl_or_b32 v35, v56, 3, v62
	s_waitcnt lgkmcnt(0)
	v_mov_b32_e32 v28, v22
	v_mov_b32_e32 v29, v23
	;; [unrolled: 1-line block ×4, first 2 shown]
	s_mov_b32 s4, 0
	v_or_b32_e32 v38, 32, v35
	v_and_b32_e32 v36, 56, v61
	s_and_b64 vcc, exec, s[14:15]
	global_store_dwordx4 v[30:31], v[26:29], off
	global_store_dwordx4 v[18:19], v[22:25], off
	s_cbranch_vccz .LBB438_32
; %bb.27:
	s_mov_b32 s6, s4
	s_mov_b32 s7, s4
	;; [unrolled: 1-line block ×3, first 2 shown]
	v_mov_b64_e32 v[24:25], s[6:7]
	v_mov_b64_e32 v[22:23], s[4:5]
	;; [unrolled: 1-line block ×3, first 2 shown]
	v_cmp_gt_i32_e32 vcc, s54, v35
	v_mov_b64_e32 v[20:21], v[24:25]
	s_and_saveexec_b64 s[2:3], vcc
	s_cbranch_execz .LBB438_29
; %bb.28:
	v_lshlrev_b32_e32 v18, 8, v35
	v_mov_b32_e32 v19, 0
	v_lshl_add_u64 v[20:21], s[0:1], 0, v[18:19]
	v_lshlrev_b32_e32 v18, 1, v36
	v_lshl_add_u64 v[26:27], v[20:21], 0, v[18:19]
	global_load_dwordx4 v[22:25], v[26:27], off
	global_load_dwordx4 v[18:21], v[26:27], off offset:128
.LBB438_29:
	s_or_b64 exec, exec, s[2:3]
	s_mov_b32 s6, s4
	s_mov_b32 s7, s4
	;; [unrolled: 1-line block ×3, first 2 shown]
	v_mov_b64_e32 v[32:33], s[6:7]
	v_mov_b64_e32 v[30:31], s[4:5]
	;; [unrolled: 1-line block ×3, first 2 shown]
	v_cmp_gt_i32_e32 vcc, s54, v38
	v_lshlrev_b32_e32 v39, 7, v38
	v_mov_b64_e32 v[28:29], v[32:33]
	s_and_saveexec_b64 s[2:3], vcc
	s_cbranch_execz .LBB438_31
; %bb.30:
	v_lshlrev_b32_e32 v26, 1, v39
	v_mov_b32_e32 v27, 0
	v_lshl_add_u64 v[28:29], s[0:1], 0, v[26:27]
	v_lshlrev_b32_e32 v26, 1, v36
	v_lshl_add_u64 v[42:43], v[28:29], 0, v[26:27]
	global_load_dwordx4 v[30:33], v[42:43], off
	global_load_dwordx4 v[26:29], v[42:43], off offset:128
.LBB438_31:
	s_or_b64 exec, exec, s[2:3]
	v_lshrrev_b32_e32 v41, 3, v36
	v_lshlrev_b32_e32 v42, 3, v35
	v_or_b32_e32 v41, v42, v41
	v_lshlrev_b32_e32 v41, 4, v41
	v_and_b32_e32 v42, 0x78, v42
	v_xor_b32_e32 v41, v41, v42
	s_branch .LBB438_34
.LBB438_32:
                                        ; implicit-def: $vgpr41
                                        ; implicit-def: $vgpr39
                                        ; implicit-def: $vgpr22_vgpr23_vgpr24_vgpr25
                                        ; implicit-def: $vgpr18_vgpr19_vgpr20_vgpr21
                                        ; implicit-def: $vgpr30_vgpr31_vgpr32_vgpr33
                                        ; implicit-def: $vgpr26_vgpr27_vgpr28_vgpr29
	s_cbranch_execz .LBB438_34
; %bb.33:
	s_waitcnt vmcnt(0)
	v_lshlrev_b32_e32 v18, 1, v36
	v_lshl_or_b32 v39, v35, 8, v18
	s_and_b32 s1, s1, 0xffff
	s_mov_b32 s3, 0x20000
	s_movk_i32 s2, 0x4000
	v_lshl_or_b32 v41, v38, 8, v18
	s_movk_i32 s4, 0x80
	buffer_load_dwordx4 v[22:25], v39, s[0:3], 0 offen
	buffer_load_dwordx4 v[18:21], v39, s[0:3], s4 offen
	;; [unrolled: 1-line block ×4, first 2 shown]
	v_lshrrev_b32_e32 v39, 3, v36
	v_lshlrev_b32_e32 v41, 3, v35
	v_or_b32_e32 v39, v41, v39
	v_lshlrev_b32_e32 v39, 4, v39
	v_and_b32_e32 v41, 0x78, v41
	v_xor_b32_e32 v41, v39, v41
	v_lshlrev_b32_e32 v39, 7, v38
.LBB438_34:
	s_lshl_b64 s[0:1], s[46:47], 8
	s_add_u32 s4, s16, s0
	s_movk_i32 s0, 0x1000
	v_and_or_b32 v38, v39, s0, v41
	s_waitcnt vmcnt(1)
	ds_write_b64 v41, v[22:23] offset:24576
	v_xor_b32_e32 v22, 8, v41
	ds_write_b64 v22, v[24:25] offset:24576
	s_waitcnt vmcnt(0)
	ds_write_b64 v41, v[18:19] offset:32768
	ds_write_b64 v22, v[20:21] offset:32768
	;; [unrolled: 1-line block ×3, first 2 shown]
	v_xor_b32_e32 v18, 8, v38
	ds_write_b64 v18, v[32:33] offset:24576
	ds_write_b64 v38, v[26:27] offset:32768
	ds_write_b64 v18, v[28:29] offset:32768
	v_or_b32_e32 v18, v57, v60
	v_lshlrev_b32_e32 v18, 3, v18
	v_lshrrev_b32_e32 v19, 5, v58
	s_movk_i32 s7, 0xf8
	v_and_or_b32 v19, v18, s7, v19
	v_lshlrev_b32_e32 v23, 4, v19
	v_lshlrev_b32_e32 v41, 11, v56
	v_and_b32_e32 v24, 0x78, v18
	v_or_b32_e32 v26, 32, v23
	v_and_b32_e32 v22, 0x1000, v41
	v_lshrrev_b32_e32 v19, 1, v58
	v_xor_b32_e32 v26, v26, v24
	v_xor_b32_e32 v18, v23, v24
	v_and_b32_e32 v25, 8, v19
	v_or_b32_e32 v26, v26, v22
	v_or_b32_e32 v18, v18, v22
	v_xor_b32_e32 v45, v26, v25
	v_or_b32_e32 v26, 64, v23
	v_xor_b32_e32 v44, v18, v25
	v_xor_b32_e32 v26, v26, v24
	s_waitcnt lgkmcnt(0)
	s_barrier
	v_or_b32_e32 v28, v26, v22
	ds_read_b64 v[26:27], v44 offset:24576
	v_lshl_or_b32 v38, v59, 7, v40
	v_lshlrev_b32_e32 v42, 1, v38
	v_add_u32_e32 v18, 0xa000, v42
	ds_read2_b64 v[18:21], v18 offset1:16
	v_or_b32_e32 v23, 0x60, v23
	v_xor_b32_e32 v23, v23, v24
	s_waitcnt lgkmcnt(0)
	v_mfma_f32_16x16x16_bf16 a[0:3], v[26:27], v[18:19], 0
	v_or_b32_e32 v18, 64, v38
	v_or_b32_e32 v22, v23, v22
	v_lshlrev_b32_e32 v43, 1, v18
	v_xor_b32_e32 v46, v28, v25
	v_xor_b32_e32 v47, v22, v25
	ds_read_b64 v[28:29], v45 offset:24576
	ds_read_b64 v[30:31], v46 offset:24576
	;; [unrolled: 1-line block ×3, first 2 shown]
	v_mfma_f32_16x16x16_bf16 a[4:7], v[26:27], v[20:21], 0
	ds_read2st64_b64 v[18:21], v43 offset0:82 offset1:84
	ds_read2st64_b64 v[22:25], v42 offset0:82 offset1:84
	s_addc_u32 s5, s17, s1
	s_add_i32 s2, s41, -1
	s_add_i32 s0, s51, s50
	s_add_i32 s13, s0, s52
	s_mul_i32 s0, s49, s39
	s_mul_hi_u32 s1, s49, s38
	s_ashr_i32 s3, s2, 31
	s_mul_i32 s6, s2, s27
	s_mul_hi_u32 s7, s2, s26
	s_add_i32 s0, s1, s0
	s_mul_i32 s1, s9, s38
	s_add_i32 s6, s7, s6
	s_mul_i32 s3, s3, s26
	s_waitcnt lgkmcnt(1)
	v_mfma_f32_16x16x16_bf16 a[4:7], v[28:29], v[18:19], a[4:7]
	s_add_i32 s1, s0, s1
	s_add_i32 s3, s6, s3
	s_lshl_b64 s[6:7], s[12:13], 2
	s_waitcnt lgkmcnt(0)
	v_mfma_f32_16x16x16_bf16 a[0:3], v[28:29], v[22:23], a[0:3]
	s_mul_i32 s0, s49, s38
	s_add_u32 s6, s22, s6
	s_addc_u32 s7, s23, s7
	s_lshl_b64 s[0:1], s[0:1], 2
	s_mul_i32 s2, s2, s26
	s_add_u32 s12, s6, s0
	ds_read_b64 v[18:19], v42 offset:44032
	v_mfma_f32_16x16x16_bf16 a[4:7], v[30:31], v[20:21], a[4:7]
	ds_read_b64 v[20:21], v43 offset:44032
	s_addc_u32 s13, s7, s1
	s_lshl_b64 s[0:1], s[2:3], 2
	v_mfma_f32_16x16x16_bf16 a[0:3], v[30:31], v[24:25], a[0:3]
	s_add_u32 s0, s12, s0
	s_addc_u32 s1, s13, s1
	s_load_dword s16, s[0:1], 0x0
	s_waitcnt lgkmcnt(0)
	v_mfma_f32_16x16x16_bf16 a[0:3], v[32:33], v[18:19], a[0:3]
	s_and_b64 vcc, exec, s[36:37]
	v_mfma_f32_16x16x16_bf16 a[4:7], v[32:33], v[20:21], a[4:7]
	s_cbranch_vccz .LBB438_45
; %bb.35:
	v_lshlrev_b32_e32 v38, 1, v35
	s_and_b64 vcc, exec, s[14:15]
	s_cbranch_vccz .LBB438_46
; %bb.36:
	v_cmp_gt_i32_e32 vcc, s54, v38
	v_mov_b32_e32 v22, 0
	v_mov_b32_e32 v18, 0
	;; [unrolled: 1-line block ×5, first 2 shown]
	s_and_saveexec_b64 s[0:1], vcc
	s_cbranch_execz .LBB438_38
; %bb.37:
	v_mad_i64_i32 v[18:19], s[2:3], s31, v38, 0
	v_lshl_add_u64 v[18:19], v[18:19], 1, s[4:5]
	v_lshlrev_b32_e32 v20, 1, v36
	v_mov_b32_e32 v21, 0
	v_lshl_add_u64 v[18:19], v[18:19], 0, v[20:21]
	global_load_dwordx4 v[18:21], v[18:19], off
.LBB438_38:
	s_or_b64 exec, exec, s[0:1]
	v_or_b32_e32 v39, 1, v38
	v_cmp_gt_i32_e64 s[0:1], s54, v39
	v_mov_b32_e32 v23, 0
	v_mov_b32_e32 v24, 0
	;; [unrolled: 1-line block ×3, first 2 shown]
	s_and_saveexec_b64 s[2:3], s[0:1]
	s_cbranch_execz .LBB438_40
; %bb.39:
	v_mad_i64_i32 v[22:23], s[6:7], s31, v39, 0
	v_lshl_add_u64 v[22:23], v[22:23], 1, s[4:5]
	v_lshlrev_b32_e32 v24, 1, v36
	v_mov_b32_e32 v25, 0
	v_lshl_add_u64 v[22:23], v[22:23], 0, v[24:25]
	global_load_dwordx4 v[22:25], v[22:23], off
.LBB438_40:
	s_or_b64 exec, exec, s[2:3]
	v_mov_b32_e32 v33, 0
	v_mov_b32_e32 v26, 0
	v_mov_b32_e32 v27, 0
	v_mov_b32_e32 v28, 0
	v_mov_b32_e32 v29, 0
	s_and_saveexec_b64 s[2:3], vcc
	s_cbranch_execz .LBB438_42
; %bb.41:
	v_mad_i64_i32 v[26:27], s[6:7], s31, v38, 0
	v_lshl_add_u64 v[26:27], v[26:27], 1, s[4:5]
	v_lshlrev_b32_e32 v28, 1, v36
	v_mov_b32_e32 v29, 0
	v_lshl_add_u64 v[26:27], v[26:27], 0, v[28:29]
	global_load_dwordx4 v[26:29], v[26:27], off offset:128
.LBB438_42:
	s_or_b64 exec, exec, s[2:3]
	v_mov_b32_e32 v32, 0
	v_mov_b32_e32 v31, 0
	;; [unrolled: 1-line block ×3, first 2 shown]
	s_and_saveexec_b64 s[2:3], s[0:1]
	s_cbranch_execz .LBB438_44
; %bb.43:
	v_mad_i64_i32 v[30:31], s[0:1], s31, v39, 0
	v_lshl_add_u64 v[30:31], v[30:31], 1, s[4:5]
	v_lshlrev_b32_e32 v32, 1, v36
	v_mov_b32_e32 v33, 0
	v_lshl_add_u64 v[30:31], v[30:31], 0, v[32:33]
	global_load_dwordx4 v[30:33], v[30:31], off offset:128
.LBB438_44:
	s_or_b64 exec, exec, s[2:3]
	s_branch .LBB438_48
.LBB438_45:
                                        ; implicit-def: $vgpr21
                                        ; implicit-def: $vgpr25
                                        ; implicit-def: $vgpr29
                                        ; implicit-def: $vgpr33
	v_lshrrev_b32_e32 v48, 2, v58
	s_branch .LBB438_49
.LBB438_46:
                                        ; implicit-def: $vgpr21
                                        ; implicit-def: $vgpr25
                                        ; implicit-def: $vgpr29
                                        ; implicit-def: $vgpr33
	s_cbranch_execz .LBB438_48
; %bb.47:
	s_waitcnt vmcnt(0)
	v_mad_u64_u32 v[18:19], s[0:1], v38, s31, v[36:37]
	v_lshlrev_b32_e32 v38, 1, v18
	s_lshl_b32 s2, s31, 7
	s_and_b32 s1, s5, 0xffff
	s_mov_b32 s3, 0x20000
	s_mov_b32 s0, s4
	v_add_lshl_u32 v39, v18, s31, 1
	s_movk_i32 s6, 0x80
	buffer_load_dwordx4 v[18:21], v38, s[0:3], 0 offen
	buffer_load_dwordx4 v[26:29], v38, s[0:3], s6 offen
	;; [unrolled: 1-line block ×4, first 2 shown]
.LBB438_48:
	v_lshrrev_b32_e32 v48, 2, v58
	s_cbranch_execnz .LBB438_61
.LBB438_49:
	s_and_b64 vcc, exec, s[14:15]
	s_cbranch_vccz .LBB438_59
; %bb.50:
	s_waitcnt vmcnt(0)
	v_lshlrev_b32_e32 v23, 1, v35
	v_cmp_gt_i32_e32 vcc, s54, v23
	v_mov_b32_e32 v22, 0
	v_lshlrev_b32_e32 v30, 9, v35
	v_mov_b32_e32 v18, 0
	v_mov_b32_e32 v19, 0
	;; [unrolled: 1-line block ×4, first 2 shown]
	s_and_saveexec_b64 s[0:1], vcc
	s_cbranch_execz .LBB438_52
; %bb.51:
	v_mov_b32_e32 v31, 0
	v_lshl_add_u64 v[18:19], s[4:5], 0, v[30:31]
	v_lshlrev_b32_e32 v20, 1, v36
	v_mov_b32_e32 v21, v31
	v_lshl_add_u64 v[18:19], v[18:19], 0, v[20:21]
	global_load_dwordx4 v[18:21], v[18:19], off
.LBB438_52:
	s_or_b64 exec, exec, s[0:1]
	v_or_b32_e32 v23, 1, v23
	v_cmp_gt_i32_e64 s[0:1], s54, v23
	v_lshlrev_b32_e32 v38, 8, v23
	v_mov_b32_e32 v23, 0
	v_mov_b32_e32 v24, 0
	;; [unrolled: 1-line block ×3, first 2 shown]
	s_and_saveexec_b64 s[2:3], s[0:1]
	s_cbranch_execz .LBB438_54
; %bb.53:
	v_mov_b32_e32 v39, 0
	v_lshl_add_u64 v[22:23], s[4:5], 0, v[38:39]
	v_lshlrev_b32_e32 v24, 1, v36
	v_mov_b32_e32 v25, v39
	v_lshl_add_u64 v[22:23], v[22:23], 0, v[24:25]
	global_load_dwordx4 v[22:25], v[22:23], off
.LBB438_54:
	s_or_b64 exec, exec, s[2:3]
	v_mov_b32_e32 v33, 0
	v_mov_b32_e32 v26, 0
	;; [unrolled: 1-line block ×5, first 2 shown]
	s_and_saveexec_b64 s[2:3], vcc
	s_cbranch_execz .LBB438_56
; %bb.55:
	v_mov_b32_e32 v31, 0
	v_lshl_add_u64 v[26:27], s[4:5], 0, v[30:31]
	v_lshlrev_b32_e32 v30, 1, v36
	v_lshl_add_u64 v[26:27], v[26:27], 0, v[30:31]
	global_load_dwordx4 v[26:29], v[26:27], off offset:128
.LBB438_56:
	s_or_b64 exec, exec, s[2:3]
	v_mov_b32_e32 v32, 0
	v_mov_b32_e32 v31, 0
	;; [unrolled: 1-line block ×3, first 2 shown]
	s_and_saveexec_b64 s[2:3], s[0:1]
	s_cbranch_execz .LBB438_58
; %bb.57:
	v_mov_b32_e32 v39, 0
	v_lshl_add_u64 v[30:31], s[4:5], 0, v[38:39]
	v_lshlrev_b32_e32 v38, 1, v36
	v_lshl_add_u64 v[30:31], v[30:31], 0, v[38:39]
	global_load_dwordx4 v[30:33], v[30:31], off offset:128
.LBB438_58:
	s_or_b64 exec, exec, s[2:3]
	s_branch .LBB438_61
.LBB438_59:
                                        ; implicit-def: $vgpr21
                                        ; implicit-def: $vgpr25
                                        ; implicit-def: $vgpr29
                                        ; implicit-def: $vgpr33
	s_cbranch_execz .LBB438_61
; %bb.60:
	s_waitcnt vmcnt(0)
	v_lshlrev_b32_e32 v18, 1, v36
	v_lshl_or_b32 v36, v35, 9, v18
	s_and_b32 s5, s5, 0xffff
	s_mov_b32 s7, 0x20000
	s_movk_i32 s6, 0x4000
	s_movk_i32 s0, 0x80
	buffer_load_dwordx4 v[18:21], v36, s[4:7], 0 offen
	buffer_load_dwordx4 v[22:25], v36, s[4:7], 0 offen offset:256
	buffer_load_dwordx4 v[26:29], v36, s[4:7], s0 offen
	buffer_load_dwordx4 v[30:33], v36, s[4:7], s0 offen offset:256
.LBB438_61:
	ds_read_b64 v[38:39], v44 offset:32768
	v_add_u32_e32 v36, 0xb000, v42
	ds_read2_b64 v[50:53], v36 offset1:16
	ds_read_b64 v[54:55], v45 offset:32768
	ds_read_b64 v[58:59], v46 offset:32768
	;; [unrolled: 1-line block ×3, first 2 shown]
	v_and_b32_e32 v36, 6, v0
	v_xor_b32_e32 v35, v35, v36
	v_lshlrev_b32_e32 v35, 2, v35
	v_and_b32_e32 v49, 1, v0
	v_cmp_eq_u32_e32 vcc, 0, v49
	s_mov_b32 s0, 0x1000504
	s_waitcnt lgkmcnt(3)
	v_mfma_f32_16x16x16_bf16 a[0:3], v[38:39], v[50:51], a[0:3]
	s_mov_b32 s1, 0x3020706
	v_mfma_f32_16x16x16_bf16 a[4:7], v[38:39], v[52:53], a[4:7]
	ds_read2st64_b64 v[44:47], v42 offset0:90 offset1:92
	ds_read2st64_b64 v[50:53], v43 offset0:90 offset1:92
	s_waitcnt lgkmcnt(1)
	v_mfma_f32_16x16x16_bf16 a[0:3], v[54:55], v[44:45], a[0:3]
	ds_read_b64 v[38:39], v42 offset:48128
	ds_read_b64 v[44:45], v43 offset:48128
	s_waitcnt lgkmcnt(2)
	v_mfma_f32_16x16x16_bf16 a[4:7], v[54:55], v[50:51], a[4:7]
	v_mfma_f32_16x16x16_bf16 a[0:3], v[58:59], v[46:47], a[0:3]
	v_xor_b32_e32 v46, 0x440, v35
	v_cndmask_b32_e32 v35, v46, v35, vcc
	v_lshl_or_b32 v35, v36, 10, v35
	v_mfma_f32_16x16x16_bf16 a[8:11], v[58:59], v[52:53], a[4:7]
	s_waitcnt vmcnt(0)
	v_perm_b32 v36, v18, v22, s0
	v_perm_b32 v18, v18, v22, s1
	v_perm_b32 v22, v26, v30, s1
	s_waitcnt lgkmcnt(1)
	v_mfma_f32_16x16x16_bf16 a[4:7], v[60:61], v[38:39], a[0:3]
	v_perm_b32 v38, v26, v30, s0
	ds_write2st64_b32 v35, v36, v38 offset0:32 offset1:64
	v_xor_b32_e32 v36, 8, v35
	v_add_u32_e32 v26, 0x80, v36
	ds_write2st64_b32 v26, v18, v22 offset0:32 offset1:64
	v_xor_b32_e32 v18, 16, v35
	v_perm_b32 v22, v19, v23, s0
	v_perm_b32 v26, v27, v31, s0
	ds_write2st64_b32 v18, v22, v26 offset0:33 offset1:65
	v_xor_b32_e32 v18, 24, v35
	v_perm_b32 v19, v19, v23, s1
	v_perm_b32 v22, v27, v31, s1
	v_add_u32_e32 v18, 0x80, v18
	ds_write2st64_b32 v18, v19, v22 offset0:33 offset1:65
	v_xor_b32_e32 v18, 32, v35
	v_perm_b32 v19, v20, v24, s0
	v_perm_b32 v22, v28, v32, s0
	ds_write2st64_b32 v18, v19, v22 offset0:34 offset1:66
	v_xor_b32_e32 v18, 40, v35
	s_waitcnt lgkmcnt(5)
	v_mfma_f32_16x16x16_bf16 a[0:3], v[60:61], v[44:45], a[8:11]
	v_perm_b32 v19, v20, v24, s1
	v_perm_b32 v20, v28, v32, s1
	v_add_u32_e32 v18, 0x80, v18
	ds_write2st64_b32 v18, v19, v20 offset0:34 offset1:66
	v_xor_b32_e32 v18, 48, v35
	v_perm_b32 v19, v21, v25, s0
	v_perm_b32 v20, v29, v33, s0
	ds_write2st64_b32 v18, v19, v20 offset0:35 offset1:67
	v_xor_b32_e32 v18, 56, v35
	v_and_or_b32 v39, v48, 12, v57
	v_perm_b32 v19, v21, v25, s1
	v_perm_b32 v20, v29, v33, s1
	v_add_u32_e32 v18, 0x80, v18
	v_cmp_gt_i32_e32 vcc, s54, v39
	v_mov_b32_e32 v32, 0
	v_mov_b32_e32 v36, 0
	ds_write2st64_b32 v18, v19, v20 offset0:35 offset1:67
	s_and_saveexec_b64 s[0:1], vcc
	s_cbranch_execz .LBB438_63
; %bb.62:
	v_add_u32_e32 v18, s8, v39
	v_ashrrev_i32_e32 v19, 31, v18
	v_mul_lo_u32 v20, v19, s26
	v_mul_lo_u32 v21, v18, s27
	v_mad_u64_u32 v[18:19], s[2:3], v18, s26, 0
	v_add3_u32 v19, v19, v21, v20
	v_lshl_add_u64 v[18:19], v[18:19], 2, s[12:13]
	global_load_dword v18, v[18:19], off
	s_waitcnt vmcnt(0)
	v_sub_f32_e32 v18, s16, v18
	v_exp_f32_e32 v36, v18
.LBB438_63:
	s_or_b64 exec, exec, s[0:1]
	v_or_b32_e32 v26, 1, v39
	v_cmp_gt_i32_e64 s[0:1], s54, v26
	s_and_saveexec_b64 s[2:3], s[0:1]
	s_cbranch_execz .LBB438_65
; %bb.64:
	v_add_u32_e32 v18, s8, v26
	v_ashrrev_i32_e32 v19, 31, v18
	v_mul_lo_u32 v20, v19, s26
	v_mul_lo_u32 v21, v18, s27
	v_mad_u64_u32 v[18:19], s[4:5], v18, s26, 0
	v_add3_u32 v19, v19, v21, v20
	v_lshl_add_u64 v[18:19], v[18:19], 2, s[12:13]
	global_load_dword v18, v[18:19], off
	s_waitcnt vmcnt(0)
	v_sub_f32_e32 v18, s16, v18
	v_exp_f32_e32 v32, v18
.LBB438_65:
	s_or_b64 exec, exec, s[2:3]
	v_or_b32_e32 v27, 2, v39
	v_cmp_gt_i32_e64 s[2:3], s54, v27
	v_mov_b32_e32 v33, 0
	v_mov_b32_e32 v38, 0
	s_and_saveexec_b64 s[4:5], s[2:3]
	s_cbranch_execz .LBB438_67
; %bb.66:
	v_add_u32_e32 v18, s8, v27
	v_ashrrev_i32_e32 v19, 31, v18
	v_mul_lo_u32 v20, v19, s26
	v_mul_lo_u32 v21, v18, s27
	v_mad_u64_u32 v[18:19], s[6:7], v18, s26, 0
	v_add3_u32 v19, v19, v21, v20
	v_lshl_add_u64 v[18:19], v[18:19], 2, s[12:13]
	global_load_dword v18, v[18:19], off
	s_waitcnt vmcnt(0)
	v_sub_f32_e32 v18, s16, v18
	v_exp_f32_e32 v38, v18
.LBB438_67:
	s_or_b64 exec, exec, s[4:5]
	v_or_b32_e32 v44, 3, v39
	v_cmp_gt_i32_e64 s[4:5], s54, v44
	s_and_saveexec_b64 s[6:7], s[4:5]
	s_cbranch_execz .LBB438_69
; %bb.68:
	v_add_u32_e32 v18, s8, v44
	v_ashrrev_i32_e32 v19, 31, v18
	v_mul_lo_u32 v20, v19, s26
	v_mul_lo_u32 v21, v18, s27
	v_mad_u64_u32 v[18:19], s[14:15], v18, s26, 0
	v_add3_u32 v19, v19, v21, v20
	v_lshl_add_u64 v[18:19], v[18:19], 2, s[12:13]
	global_load_dword v18, v[18:19], off
	s_waitcnt vmcnt(0)
	v_sub_f32_e32 v18, s16, v18
	v_exp_f32_e32 v33, v18
.LBB438_69:
	s_or_b64 exec, exec, s[6:7]
	s_add_u32 s6, s20, s10
	v_accvgpr_read_b32 v21, a7
	s_addc_u32 s7, s21, s11
	v_ashrrev_i32_e32 v35, 31, v34
	v_accvgpr_read_b32 v20, a6
	v_accvgpr_read_b32 v19, a5
	;; [unrolled: 1-line block ×3, first 2 shown]
	v_lshl_add_u64 v[22:23], v[34:35], 1, s[6:7]
	v_mov_b32_e32 v29, 0
	v_lshlrev_b32_e32 v24, 8, v39
	v_mov_b32_e32 v25, 0
	s_and_saveexec_b64 s[6:7], vcc
	s_cbranch_execz .LBB438_71
; %bb.70:
	v_mov_b32_e32 v25, 0
	v_lshl_add_u64 v[30:31], v[22:23], 0, v[24:25]
	global_load_ushort v25, v[30:31], off
	s_waitcnt vmcnt(0)
	v_lshlrev_b32_e32 v25, 16, v25
	v_sub_f32_e32 v18, v25, v18
	v_mul_f32_e32 v18, v36, v18
	v_lshrrev_b32_e32 v25, 16, v18
.LBB438_71:
	s_or_b64 exec, exec, s[6:7]
	v_lshlrev_b32_e32 v28, 8, v26
	s_and_saveexec_b64 s[6:7], s[0:1]
	s_cbranch_execz .LBB438_73
; %bb.72:
	v_mov_b32_e32 v29, 0
	v_lshl_add_u64 v[30:31], v[22:23], 0, v[28:29]
	global_load_ushort v18, v[30:31], off
	s_waitcnt vmcnt(0)
	v_lshlrev_b32_e32 v18, 16, v18
	v_sub_f32_e32 v18, v18, v19
	v_mul_f32_e32 v18, v32, v18
	v_lshrrev_b32_e32 v29, 16, v18
.LBB438_73:
	s_or_b64 exec, exec, s[6:7]
	v_mov_b32_e32 v45, 0
	v_lshlrev_b32_e32 v30, 8, v27
	v_mov_b32_e32 v31, 0
	s_and_saveexec_b64 s[6:7], s[2:3]
	s_cbranch_execz .LBB438_75
; %bb.74:
	v_mov_b32_e32 v31, 0
	v_lshl_add_u64 v[18:19], v[22:23], 0, v[30:31]
	global_load_ushort v18, v[18:19], off
	s_waitcnt vmcnt(0)
	v_lshlrev_b32_e32 v18, 16, v18
	v_sub_f32_e32 v18, v18, v20
	v_mul_f32_e32 v18, v38, v18
	v_lshrrev_b32_e32 v31, 16, v18
.LBB438_75:
	s_or_b64 exec, exec, s[6:7]
	v_lshlrev_b32_e32 v26, 8, v44
	s_and_saveexec_b64 s[6:7], s[4:5]
	s_cbranch_execz .LBB438_77
; %bb.76:
	v_mov_b32_e32 v27, 0
	v_lshl_add_u64 v[18:19], v[22:23], 0, v[26:27]
	global_load_ushort v18, v[18:19], off
	s_waitcnt vmcnt(0)
	v_lshlrev_b32_e32 v18, 16, v18
	v_sub_f32_e32 v18, v18, v21
	v_mul_f32_e32 v18, v33, v18
	v_lshrrev_b32_e32 v45, 16, v18
.LBB438_77:
	s_or_b64 exec, exec, s[6:7]
	v_lshlrev_b32_e32 v35, 5, v39
	s_mov_b32 s6, 0x5040100
	v_perm_b32 v44, v29, v25, s6
	v_or_b32_e32 v25, v35, v40
	v_accvgpr_read_b32 v21, a3
	v_perm_b32 v45, v45, v31, s6
	v_lshlrev_b32_e32 v25, 1, v25
	v_accvgpr_read_b32 v20, a2
	v_accvgpr_read_b32 v19, a1
	;; [unrolled: 1-line block ×3, first 2 shown]
	ds_write_b64 v25, v[44:45] offset:45056
	v_mov_b32_e32 v29, 0
	v_mov_b32_e32 v25, 0
	s_and_saveexec_b64 s[6:7], vcc
	s_cbranch_execz .LBB438_79
; %bb.78:
	v_mov_b32_e32 v25, 0
	v_lshl_add_u64 v[24:25], v[22:23], 0, v[24:25]
	global_load_ushort v24, v[24:25], off offset:32
	s_waitcnt vmcnt(0)
	v_lshlrev_b32_e32 v24, 16, v24
	v_sub_f32_e32 v18, v24, v18
	v_mul_f32_e32 v18, v36, v18
	v_lshrrev_b32_e32 v25, 16, v18
.LBB438_79:
	s_or_b64 exec, exec, s[6:7]
	s_and_saveexec_b64 s[6:7], s[0:1]
	s_cbranch_execz .LBB438_81
; %bb.80:
	v_mov_b32_e32 v29, 0
	v_lshl_add_u64 v[28:29], v[22:23], 0, v[28:29]
	global_load_ushort v18, v[28:29], off offset:32
	s_waitcnt vmcnt(0)
	v_lshlrev_b32_e32 v18, 16, v18
	v_sub_f32_e32 v18, v18, v19
	v_mul_f32_e32 v18, v32, v18
	v_lshrrev_b32_e32 v29, 16, v18
.LBB438_81:
	s_or_b64 exec, exec, s[6:7]
	v_mov_b32_e32 v24, 0
	v_mov_b32_e32 v28, 0
	s_and_saveexec_b64 s[0:1], s[2:3]
	s_cbranch_execz .LBB438_83
; %bb.82:
	v_mov_b32_e32 v31, 0
	v_lshl_add_u64 v[18:19], v[22:23], 0, v[30:31]
	global_load_ushort v18, v[18:19], off offset:32
	s_waitcnt vmcnt(0)
	v_lshlrev_b32_e32 v18, 16, v18
	v_sub_f32_e32 v18, v18, v20
	v_mul_f32_e32 v18, v38, v18
	v_lshrrev_b32_e32 v28, 16, v18
.LBB438_83:
	s_or_b64 exec, exec, s[0:1]
	v_or_b32_e32 v19, 0xb000, v42
	v_or_b32_e32 v18, 0xb000, v43
	s_and_saveexec_b64 s[0:1], s[4:5]
	s_cbranch_execz .LBB438_85
; %bb.84:
	v_mov_b32_e32 v27, 0
	v_lshl_add_u64 v[22:23], v[22:23], 0, v[26:27]
	global_load_ushort v20, v[22:23], off offset:32
	s_waitcnt vmcnt(0)
	v_lshlrev_b32_e32 v20, 16, v20
	v_sub_f32_e32 v20, v20, v21
	v_mul_f32_e32 v20, v33, v20
	v_lshrrev_b32_e32 v24, 16, v20
.LBB438_85:
	s_or_b64 exec, exec, s[0:1]
	s_mov_b32 s0, 0x5040100
	v_or_b32_e32 v22, v35, v37
	v_perm_b32 v21, v24, v28, s0
	v_perm_b32 v20, v29, v25, s0
	v_lshlrev_b32_e32 v22, 1, v22
	s_movk_i32 s0, 0x100
	ds_write_b64 v22, v[20:21] offset:45056
	v_and_b32_e32 v20, 7, v0
	v_and_b32_e32 v21, 8, v0
	v_cmp_gt_u32_e32 vcc, s0, v0
	v_lshrrev_b32_e32 v0, 1, v0
	v_lshlrev_b32_e32 v35, 3, v20
	v_lshlrev_b32_e32 v36, 7, v20
	v_mov_b32_e32 v20, 0x4000
	v_mov_b32_e32 v22, 0x2000
	v_lshlrev_b32_e32 v38, 3, v56
	v_and_b32_e32 v0, 24, v0
	v_cndmask_b32_e32 v37, v20, v22, vcc
	v_xor_b32_e32 v20, v38, v0
	v_or_b32_e32 v26, 32, v0
	v_or_b32_e32 v22, 0x440, v20
	v_cmp_eq_u32_e32 vcc, 0, v21
	v_xor_b32_e32 v26, v38, v26
	v_or_b32_e32 v27, 0x440, v26
	v_cndmask_b32_e32 v20, v22, v20, vcc
	v_or_b32_e32 v20, v20, v41
	v_cndmask_b32_e32 v26, v27, v26, vcc
	v_xad_u32 v40, v20, v35, v36
	v_or_b32_e32 v26, v26, v41
	v_add_u32_e32 v20, v37, v40
	v_xad_u32 v42, v26, v35, v36
	s_waitcnt lgkmcnt(0)
	s_barrier
	ds_read_b64 v[24:25], v20
	ds_read2_b64 v[20:23], v19 offset1:16
	v_add_u32_e32 v26, v37, v42
	ds_read_b64 v[32:33], v26
	s_waitcnt lgkmcnt(1)
	v_mfma_f32_16x16x16_bf16 a[0:3], v[24:25], v[20:21], 0
	ds_read2st64_b64 v[28:31], v18 offset0:2 offset1:4
	v_mfma_f32_16x16x16_bf16 a[4:7], v[24:25], v[22:23], 0
	ds_read2st64_b64 v[24:27], v19 offset0:2 offset1:4
	s_waitcnt lgkmcnt(0)
	v_mfma_f32_16x16x16_bf16 a[0:3], v[32:33], v[24:25], a[0:3]
	v_mfma_f32_16x16x16_bf16 a[4:7], v[32:33], v[28:29], a[4:7]
	v_or_b32_e32 v32, 64, v0
	v_xor_b32_e32 v32, v38, v32
	v_xor_b32_e32 v33, 0x440, v32
	v_cndmask_b32_e32 v32, v33, v32, vcc
	v_or_b32_e32 v32, v32, v41
	v_xad_u32 v43, v32, v35, v36
	v_add_u32_e32 v32, v37, v43
	ds_read_b64 v[32:33], v32
	v_or_b32_e32 v0, 0x60, v0
	v_xor_b32_e32 v0, v38, v0
	v_xor_b32_e32 v38, 0x440, v0
	v_cndmask_b32_e32 v0, v38, v0, vcc
	v_or_b32_e32 v0, v0, v41
	v_xad_u32 v0, v0, v35, v36
	v_add_u32_e32 v35, v37, v0
	ds_read_b64 v[36:37], v35
	s_waitcnt lgkmcnt(1)
	v_mfma_f32_16x16x16_bf16 a[0:3], v[32:33], v[26:27], a[0:3]
	v_exp_f32_e32 v35, s16
	v_mfma_f32_16x16x16_bf16 a[4:7], v[32:33], v[30:31], a[4:7]
	ds_read_b64 v[32:33], v19 offset:3072
	ds_read_b64 v[38:39], v18 offset:3072
	;; [unrolled: 1-line block ×3, first 2 shown]
	s_waitcnt lgkmcnt(0)
	v_mfma_f32_16x16x16_bf16 a[8:11], v[18:19], v[20:21], 0
	ds_read_b64 v[20:21], v42 offset:16384
	v_mfma_f32_16x16x16_bf16 a[0:3], v[36:37], v[32:33], a[0:3]
	v_mfma_f32_16x16x16_bf16 a[12:15], v[18:19], v[22:23], 0
	ds_read_b64 v[22:23], v43 offset:16384
	s_nop 4
	v_accvgpr_read_b32 v18, a0
	v_fma_f32 v18, v2, v35, v18
	v_accvgpr_read_b32 v2, a1
	v_fma_f32 v19, v3, v35, v2
	v_accvgpr_read_b32 v2, a2
	s_waitcnt lgkmcnt(1)
	v_mfma_f32_16x16x16_bf16 a[8:11], v[20:21], v[24:25], a[8:11]
	v_mfma_f32_16x16x16_bf16 a[12:15], v[20:21], v[28:29], a[12:15]
	v_fma_f32 v20, v4, v35, v2
	ds_read_b64 v[2:3], v0 offset:16384
	v_accvgpr_read_b32 v21, a3
	s_waitcnt lgkmcnt(1)
	v_mfma_f32_16x16x16_bf16 a[0:3], v[22:23], v[26:27], a[8:11]
	v_fmac_f32_e32 v21, v5, v35
	v_mfma_f32_16x16x16_bf16 a[4:7], v[36:37], v[38:39], a[4:7]
	v_mfma_f32_16x16x16_bf16 a[8:11], v[22:23], v[30:31], a[12:15]
	s_waitcnt lgkmcnt(0)
	v_mfma_f32_16x16x16_bf16 a[0:3], v[2:3], v[32:33], a[0:3]
	s_nop 3
	v_accvgpr_read_b32 v0, a4
	v_fma_f32 v26, v10, v35, v0
	v_accvgpr_read_b32 v0, a5
	v_fma_f32 v27, v11, v35, v0
	v_accvgpr_read_b32 v0, a6
	v_accvgpr_read_b32 v29, a7
	v_mfma_f32_16x16x16_bf16 a[4:7], v[2:3], v[38:39], a[8:11]
	v_fma_f32 v28, v12, v35, v0
	v_accvgpr_read_b32 v0, a0
	v_fma_f32 v22, v6, v35, v0
	v_accvgpr_read_b32 v0, a1
	;; [unrolled: 2-line block ×5, first 2 shown]
	v_accvgpr_read_b32 v25, a3
	v_fma_f32 v31, v15, v35, v0
	v_accvgpr_read_b32 v0, a6
	v_accvgpr_read_b32 v33, a7
	v_fmac_f32_e32 v29, v13, v35
	v_fmac_f32_e32 v25, v9, v35
	v_fma_f32 v32, v16, v35, v0
	v_fmac_f32_e32 v33, v17, v35
	v_mov_b64_e32 v[2:3], v[18:19]
	v_mov_b64_e32 v[4:5], v[20:21]
	;; [unrolled: 1-line block ×8, first 2 shown]
	v_mov_b32_e32 v18, v34
.LBB438_86:
	s_mul_i32 s0, s33, s35
	s_mul_hi_u32 s1, s33, s34
	s_add_i32 s0, s1, s0
	s_mul_i32 s1, s48, s34
	s_add_i32 s1, s0, s1
	s_mul_i32 s0, s33, s34
	s_add_u32 s0, s0, s49
	s_addc_u32 s1, s1, s9
	s_lshl_b64 s[0:1], s[0:1], 16
	s_add_u32 s0, s24, s0
	v_lshlrev_b32_e32 v18, 7, v18
	s_addc_u32 s1, s25, s1
	v_ashrrev_i32_e32 v19, 31, v18
	v_lshl_add_u64 v[20:21], v[18:19], 2, s[0:1]
	v_lshlrev_b32_e32 v0, 2, v1
	v_mov_b32_e32 v1, 0
	v_lshl_add_u64 v[20:21], v[20:21], 0, v[0:1]
	global_store_dwordx4 v[20:21], v[2:5], off
	global_store_dwordx4 v[20:21], v[6:9], off offset:256
	s_nop 0
	v_or_b32_e32 v2, 0x800, v18
	v_ashrrev_i32_e32 v3, 31, v2
	v_lshl_add_u64 v[2:3], v[2:3], 2, s[0:1]
	v_lshl_add_u64 v[0:1], v[2:3], 0, v[0:1]
	global_store_dwordx4 v[0:1], v[10:13], off
	global_store_dwordx4 v[0:1], v[14:17], off offset:256
	s_endpgm
	.section	.rodata,"a",@progbits
	.p2align	6, 0x0
	.amdhsa_kernel _ZN12_GLOBAL__N_139chunk_gated_delta_rule_fwd_h_hip_kernelILi32ELb0ELb1ELb0ELb1ELb1ELb0ELb0ELb0EEEvPK12hip_bfloat16S3_S3_PKfS5_PKvPS1_S8_PvPKiSB_iiiiilll
		.amdhsa_group_segment_fixed_size 49152
		.amdhsa_private_segment_fixed_size 0
		.amdhsa_kernarg_size 136
		.amdhsa_user_sgpr_count 2
		.amdhsa_user_sgpr_dispatch_ptr 0
		.amdhsa_user_sgpr_queue_ptr 0
		.amdhsa_user_sgpr_kernarg_segment_ptr 1
		.amdhsa_user_sgpr_dispatch_id 0
		.amdhsa_user_sgpr_kernarg_preload_length 0
		.amdhsa_user_sgpr_kernarg_preload_offset 0
		.amdhsa_user_sgpr_private_segment_size 0
		.amdhsa_uses_dynamic_stack 0
		.amdhsa_enable_private_segment 0
		.amdhsa_system_sgpr_workgroup_id_x 1
		.amdhsa_system_sgpr_workgroup_id_y 1
		.amdhsa_system_sgpr_workgroup_id_z 0
		.amdhsa_system_sgpr_workgroup_info 0
		.amdhsa_system_vgpr_workitem_id 0
		.amdhsa_next_free_vgpr 148
		.amdhsa_next_free_sgpr 64
		.amdhsa_accum_offset 132
		.amdhsa_reserve_vcc 1
		.amdhsa_float_round_mode_32 0
		.amdhsa_float_round_mode_16_64 0
		.amdhsa_float_denorm_mode_32 3
		.amdhsa_float_denorm_mode_16_64 3
		.amdhsa_dx10_clamp 1
		.amdhsa_ieee_mode 1
		.amdhsa_fp16_overflow 0
		.amdhsa_tg_split 0
		.amdhsa_exception_fp_ieee_invalid_op 0
		.amdhsa_exception_fp_denorm_src 0
		.amdhsa_exception_fp_ieee_div_zero 0
		.amdhsa_exception_fp_ieee_overflow 0
		.amdhsa_exception_fp_ieee_underflow 0
		.amdhsa_exception_fp_ieee_inexact 0
		.amdhsa_exception_int_div_zero 0
	.end_amdhsa_kernel
	.section	.text._ZN12_GLOBAL__N_139chunk_gated_delta_rule_fwd_h_hip_kernelILi32ELb0ELb1ELb0ELb1ELb1ELb0ELb0ELb0EEEvPK12hip_bfloat16S3_S3_PKfS5_PKvPS1_S8_PvPKiSB_iiiiilll,"axG",@progbits,_ZN12_GLOBAL__N_139chunk_gated_delta_rule_fwd_h_hip_kernelILi32ELb0ELb1ELb0ELb1ELb1ELb0ELb0ELb0EEEvPK12hip_bfloat16S3_S3_PKfS5_PKvPS1_S8_PvPKiSB_iiiiilll,comdat
.Lfunc_end438:
	.size	_ZN12_GLOBAL__N_139chunk_gated_delta_rule_fwd_h_hip_kernelILi32ELb0ELb1ELb0ELb1ELb1ELb0ELb0ELb0EEEvPK12hip_bfloat16S3_S3_PKfS5_PKvPS1_S8_PvPKiSB_iiiiilll, .Lfunc_end438-_ZN12_GLOBAL__N_139chunk_gated_delta_rule_fwd_h_hip_kernelILi32ELb0ELb1ELb0ELb1ELb1ELb0ELb0ELb0EEEvPK12hip_bfloat16S3_S3_PKfS5_PKvPS1_S8_PvPKiSB_iiiiilll
                                        ; -- End function
	.section	.AMDGPU.csdata,"",@progbits
; Kernel info:
; codeLenInByte = 9264
; NumSgprs: 70
; NumVgprs: 130
; NumAgprs: 16
; TotalNumVgprs: 148
; ScratchSize: 0
; MemoryBound: 0
; FloatMode: 240
; IeeeMode: 1
; LDSByteSize: 49152 bytes/workgroup (compile time only)
; SGPRBlocks: 8
; VGPRBlocks: 18
; NumSGPRsForWavesPerEU: 70
; NumVGPRsForWavesPerEU: 148
; AccumOffset: 132
; Occupancy: 1
; WaveLimiterHint : 1
; COMPUTE_PGM_RSRC2:SCRATCH_EN: 0
; COMPUTE_PGM_RSRC2:USER_SGPR: 2
; COMPUTE_PGM_RSRC2:TRAP_HANDLER: 0
; COMPUTE_PGM_RSRC2:TGID_X_EN: 1
; COMPUTE_PGM_RSRC2:TGID_Y_EN: 1
; COMPUTE_PGM_RSRC2:TGID_Z_EN: 0
; COMPUTE_PGM_RSRC2:TIDIG_COMP_CNT: 0
; COMPUTE_PGM_RSRC3_GFX90A:ACCUM_OFFSET: 32
; COMPUTE_PGM_RSRC3_GFX90A:TG_SPLIT: 0
	.section	.text._ZN12_GLOBAL__N_139chunk_gated_delta_rule_fwd_h_hip_kernelILi32ELb0ELb0ELb1ELb1ELb1ELb0ELb0ELb0EEEvPK12hip_bfloat16S3_S3_PKfS5_PKvPS1_S8_PvPKiSB_iiiiilll,"axG",@progbits,_ZN12_GLOBAL__N_139chunk_gated_delta_rule_fwd_h_hip_kernelILi32ELb0ELb0ELb1ELb1ELb1ELb0ELb0ELb0EEEvPK12hip_bfloat16S3_S3_PKfS5_PKvPS1_S8_PvPKiSB_iiiiilll,comdat
	.globl	_ZN12_GLOBAL__N_139chunk_gated_delta_rule_fwd_h_hip_kernelILi32ELb0ELb0ELb1ELb1ELb1ELb0ELb0ELb0EEEvPK12hip_bfloat16S3_S3_PKfS5_PKvPS1_S8_PvPKiSB_iiiiilll ; -- Begin function _ZN12_GLOBAL__N_139chunk_gated_delta_rule_fwd_h_hip_kernelILi32ELb0ELb0ELb1ELb1ELb1ELb0ELb0ELb0EEEvPK12hip_bfloat16S3_S3_PKfS5_PKvPS1_S8_PvPKiSB_iiiiilll
	.p2align	8
	.type	_ZN12_GLOBAL__N_139chunk_gated_delta_rule_fwd_h_hip_kernelILi32ELb0ELb0ELb1ELb1ELb1ELb0ELb0ELb0EEEvPK12hip_bfloat16S3_S3_PKfS5_PKvPS1_S8_PvPKiSB_iiiiilll,@function
_ZN12_GLOBAL__N_139chunk_gated_delta_rule_fwd_h_hip_kernelILi32ELb0ELb0ELb1ELb1ELb1ELb0ELb0ELb0EEEvPK12hip_bfloat16S3_S3_PKfS5_PKvPS1_S8_PvPKiSB_iiiiilll: ; @_ZN12_GLOBAL__N_139chunk_gated_delta_rule_fwd_h_hip_kernelILi32ELb0ELb0ELb1ELb1ELb1ELb0ELb0ELb0EEEvPK12hip_bfloat16S3_S3_PKfS5_PKvPS1_S8_PvPKiSB_iiiiilll
; %bb.0:
	s_load_dwordx4 s[16:19], s[0:1], 0x5c
	s_load_dwordx4 s[20:23], s[0:1], 0x70
	s_abs_i32 s25, s3
	s_ashr_i32 s24, s3, 31
	s_load_dwordx4 s[12:15], s[0:1], 0x30
	s_load_dwordx4 s[28:31], s[0:1], 0x48
	s_waitcnt lgkmcnt(0)
	s_abs_i32 s34, s17
	v_cvt_f32_u32_e32 v1, s34
	s_sub_i32 s26, 0, s34
	s_ashr_i32 s35, s17, 31
	s_xor_b32 s24, s24, s35
	v_rcp_iflag_f32_e32 v1, v1
	s_load_dwordx8 s[4:11], s[0:1], 0x0
	v_lshrrev_b32_e32 v44, 6, v0
	v_bfe_u32 v45, v0, 4, 2
	v_mul_f32_e32 v1, 0x4f7ffffe, v1
	v_cvt_u32_f32_e32 v1, v1
	v_lshlrev_b32_e32 v2, 2, v45
	v_and_b32_e32 v43, 63, v0
	v_and_b32_e32 v42, 15, v0
	v_readfirstlane_b32 s27, v1
	s_mul_i32 s26, s26, s27
	s_mul_hi_u32 s26, s27, s26
	s_add_i32 s27, s27, s26
	s_mul_hi_u32 s26, s25, s27
	s_mul_i32 s27, s26, s34
	s_sub_i32 s25, s25, s27
	s_add_i32 s33, s26, 1
	s_sub_i32 s27, s25, s34
	s_cmp_ge_u32 s25, s34
	s_cselect_b32 s26, s33, s26
	s_cselect_b32 s25, s27, s25
	s_add_i32 s27, s26, 1
	s_cmp_ge_u32 s25, s34
	s_cselect_b32 s25, s27, s26
	s_xor_b32 s25, s25, s24
	s_sub_i32 s24, s25, s24
	s_mul_i32 s25, s24, s17
	s_sub_i32 s33, s3, s25
	s_ashr_i32 s25, s24, 31
	s_lshl_b64 s[26:27], s[24:25], 2
	s_add_u32 s28, s28, s26
	s_addc_u32 s29, s29, s27
	s_add_u32 s26, s30, s26
	s_addc_u32 s27, s31, s27
	s_abs_i32 s3, s18
	v_cvt_f32_u32_e32 v1, s3
	s_load_dwordx2 s[38:39], s[28:29], 0x0
	s_sub_i32 s29, 0, s3
	s_load_dword s46, s[26:27], 0x0
	v_rcp_iflag_f32_e32 v1, v1
	v_mov_b32_e32 v3, 0
	s_waitcnt lgkmcnt(0)
	s_sub_i32 s47, s39, s38
	s_ashr_i32 s28, s47, 31
	v_mul_f32_e32 v1, 0x4f7ffffe, v1
	v_cvt_u32_f32_e32 v1, v1
	s_lshr_b32 s28, s28, 26
	s_add_i32 s28, s47, s28
	s_ashr_i32 s45, s28, 6
	v_readfirstlane_b32 s30, v1
	s_mul_i32 s29, s29, s30
	s_mul_hi_u32 s29, s30, s29
	s_add_i32 s30, s30, s29
	s_mul_hi_u32 s29, s34, s30
	s_mul_i32 s30, s29, s3
	s_ashr_i32 s28, s18, 31
	s_sub_i32 s30, s34, s30
	s_xor_b32 s28, s35, s28
	s_add_i32 s31, s29, 1
	s_sub_i32 s34, s30, s3
	s_cmp_ge_u32 s30, s3
	s_cselect_b32 s29, s31, s29
	s_cselect_b32 s30, s34, s30
	s_add_i32 s31, s29, 1
	s_cmp_ge_u32 s30, s3
	s_cselect_b32 s3, s31, s29
	s_xor_b32 s3, s3, s28
	s_sub_i32 s3, s3, s28
	s_abs_i32 s28, s3
	v_cvt_f32_u32_e32 v1, s28
	s_load_dwordx2 s[34:35], s[0:1], 0x80
	s_xor_b32 s0, s33, s3
	s_sub_i32 s3, 0, s28
	v_rcp_iflag_f32_e32 v1, v1
	s_abs_i32 s1, s33
	s_ashr_i32 s0, s0, 31
	s_mul_hi_i32 s48, s33, s16
	v_mul_f32_e32 v1, 0x4f7ffffe, v1
	v_cvt_u32_f32_e32 v1, v1
	s_mul_i32 s49, s33, s16
	v_lshrrev_b32_e32 v47, 3, v43
	v_lshlrev_b32_e32 v46, 3, v0
	v_readfirstlane_b32 s26, v1
	s_mul_i32 s3, s3, s26
	s_mul_hi_u32 s3, s26, s3
	s_add_i32 s26, s26, s3
	s_mul_hi_u32 s3, s1, s26
	s_mul_i32 s26, s3, s28
	s_sub_i32 s1, s1, s26
	s_add_i32 s26, s3, 1
	s_sub_i32 s27, s1, s28
	s_cmp_ge_u32 s1, s28
	s_cselect_b32 s3, s26, s3
	s_cselect_b32 s1, s27, s1
	s_add_i32 s26, s3, 1
	s_cmp_ge_u32 s1, s28
	s_cselect_b32 s1, s26, s3
	s_xor_b32 s1, s1, s0
	v_lshlrev_b32_e32 v1, 4, v44
	s_sub_i32 s50, s1, s0
	v_or_b32_e32 v48, v2, v1
	s_lshl_b32 s36, s2, 5
	v_or_b32_e32 v49, 64, v48
	s_cmp_lt_i32 s47, 64
	s_mul_i32 s42, s24, s21
	s_mul_hi_u32 s43, s24, s20
	s_mul_i32 s44, s25, s20
	s_mul_i32 s20, s24, s20
	v_mov_b32_e32 v66, 0
	v_mov_b32_e32 v64, 0
	;; [unrolled: 1-line block ×15, first 2 shown]
	s_cbranch_scc1 .LBB439_18
; %bb.1:
	s_ashr_i32 s53, s33, 31
	s_ashr_i32 s1, s38, 31
	s_add_u32 s0, s49, s38
	s_addc_u32 s1, s48, s1
	s_lshl_b64 s[0:1], s[0:1], 8
	v_and_b32_e32 v51, 56, v46
	s_add_u32 s0, s6, s0
	v_lshl_or_b32 v50, v44, 3, v47
	v_lshlrev_b32_e32 v3, 1, v51
	s_addc_u32 s1, s7, s1
	v_lshl_or_b32 v52, v50, 8, v3
	s_and_b32 s1, s1, 0xffff
	s_mov_b32 s3, 0x20000
	s_movk_i32 s2, 0x4000
	s_movk_i32 s21, 0x80
	v_or_b32_e32 v53, 0x2000, v52
	buffer_load_dwordx4 v[4:7], v52, s[0:3], 0 offen
	buffer_load_dwordx4 v[8:11], v52, s[0:3], s21 offen
	;; [unrolled: 1-line block ×4, first 2 shown]
	v_lshlrev_b32_e32 v20, 3, v50
	v_and_or_b32 v22, v0, 7, v20
	v_and_b32_e32 v20, 0x78, v20
	v_lshlrev_b32_e32 v22, 4, v22
	v_xor_b32_e32 v54, v22, v20
	v_mul_lo_u32 v21, v50, s19
	v_or_b32_e32 v55, 0x1000, v54
	s_cmpk_eq_i32 s19, 0x80
	s_mov_b32 s51, s17
	s_mov_b32 s52, s38
	v_xor_b32_e32 v20, 8, v54
	v_xor_b32_e32 v22, 8, v55
	s_cselect_b64 s[0:1], -1, 0
	s_cmpk_lg_i32 s19, 0x80
	s_waitcnt vmcnt(3)
	ds_write_b64 v54, v[4:5] offset:24576
	ds_write_b64 v20, v[6:7] offset:24576
	s_waitcnt vmcnt(2)
	ds_write_b64 v54, v[8:9] offset:32768
	ds_write_b64 v20, v[10:11] offset:32768
	;; [unrolled: 3-line block ×4, first 2 shown]
	v_lshl_add_u32 v4, v21, 1, v51
	s_cbranch_scc0 .LBB439_3
; %bb.2:
	v_lshlrev_b32_e32 v6, 1, v4
	v_add_lshl_u32 v5, v4, s19, 1
	s_lshl_b32 s26, s19, 7
	v_lshl_or_b32 v3, v50, 9, v3
	s_cbranch_execz .LBB439_4
	s_branch .LBB439_5
.LBB439_3:
                                        ; implicit-def: $vgpr5
                                        ; implicit-def: $vgpr6
                                        ; implicit-def: $sgpr26
	v_lshl_or_b32 v3, v50, 9, v3
.LBB439_4:
	v_or_b32_e32 v5, 0x100, v3
	s_movk_i32 s26, 0x4000
	v_mov_b32_e32 v6, v3
.LBB439_5:
	s_mul_i32 s2, s38, s18
	s_ashr_i32 s54, s50, 31
	s_mul_hi_i32 s3, s38, s18
	s_add_u32 s2, s2, s50
	s_addc_u32 s3, s3, s54
	s_lshl_b64 s[2:3], s[2:3], 8
	s_add_u32 s24, s4, s2
	s_addc_u32 s2, s5, s3
	s_and_b32 s25, s2, 0xffff
	s_mov_b32 s27, 0x20000
	s_movk_i32 s55, 0x80
	buffer_load_dwordx4 v[8:11], v6, s[24:27], 0 offen
	buffer_load_dwordx4 v[12:15], v6, s[24:27], s55 offen
	;; [unrolled: 1-line block ×4, first 2 shown]
	v_and_b32_e32 v5, 6, v0
	v_lshlrev_b32_e32 v24, 6, v48
	v_or_b32_e32 v26, 16, v42
	v_xor_b32_e32 v27, v50, v5
	v_and_b32_e32 v6, 1, v0
	s_mul_i32 s2, s33, s23
	s_mul_hi_u32 s3, s33, s22
	v_lshl_or_b32 v30, v42, 3, v24
	v_lshl_or_b32 v24, v26, 3, v24
	v_lshlrev_b32_e32 v27, 2, v27
	s_add_i32 s21, s43, s42
	v_lshlrev_b32_e32 v7, 2, v42
	s_mul_i32 s24, s53, s22
	v_or_b32_e32 v58, 0xa000, v24
	v_or_b32_e32 v59, 0xb000, v24
	v_xor_b32_e32 v24, 0x440, v27
	v_cmp_eq_u32_e32 vcc, 0, v6
	s_add_i32 s2, s3, s2
	s_add_i32 s21, s21, s44
	v_xor_b32_e32 v28, v48, v7
	v_xor_b32_e32 v29, v49, v7
	v_cndmask_b32_e32 v6, v24, v27, vcc
	s_add_i32 s3, s2, s24
	s_lshl_b64 s[24:25], s[20:21], 2
	s_mov_b32 s56, 0x1000504
	v_lshlrev_b32_e32 v25, 8, v42
	v_lshlrev_b32_e32 v26, 8, v26
	;; [unrolled: 1-line block ×4, first 2 shown]
	v_lshl_or_b32 v5, v5, 10, v6
	s_mul_i32 s2, s33, s22
	s_add_u32 s21, s10, s24
	s_mov_b32 s57, 0x3020706
	v_or_b32_e32 v56, 0xa000, v30
	v_or_b32_e32 v57, 0xb000, v30
	;; [unrolled: 1-line block ×5, first 2 shown]
	v_xor_b32_e32 v6, 8, v5
	v_xor_b32_e32 v25, 24, v5
	;; [unrolled: 1-line block ×4, first 2 shown]
	s_addc_u32 s24, s11, s25
	s_lshl_b64 s[2:3], s[2:3], 2
	v_or_b32_e32 v62, v26, v28
	v_xor_b32_e32 v24, 16, v5
	v_xor_b32_e32 v26, 32, v5
	;; [unrolled: 1-line block ×3, first 2 shown]
	v_add_u32_e32 v6, 0x80, v6
	v_add_u32_e32 v25, 0x80, v25
	;; [unrolled: 1-line block ×4, first 2 shown]
	s_add_u32 s2, s21, s2
	s_addc_u32 s3, s24, s3
	s_movk_i32 s24, 0xf8
	s_ashr_i32 s37, s36, 31
	s_lshl_b32 s30, s19, 7
	s_movk_i32 s28, 0x100
	v_mov_b32_e32 v35, 0
	v_lshlrev_b32_e32 v34, 4, v42
	v_cmp_gt_u32_e32 vcc, s28, v0
	s_mov_b32 s58, 0
	s_movk_i32 s21, 0x1000
	s_movk_i32 s26, 0x4000
	v_add_u32_e32 v93, v1, v2
	v_mov_b32_e32 v76, v35
	v_mov_b32_e32 v75, v35
	;; [unrolled: 1-line block ×13, first 2 shown]
	s_waitcnt vmcnt(1)
	v_perm_b32 v30, v8, v16, s56
	s_waitcnt vmcnt(0)
	v_perm_b32 v31, v12, v20, s56
	v_perm_b32 v8, v8, v16, s57
	;; [unrolled: 1-line block ×15, first 2 shown]
	ds_write2st64_b32 v5, v30, v31 offset0:32 offset1:64
	ds_write2st64_b32 v6, v8, v12 offset0:32 offset1:64
	;; [unrolled: 1-line block ×8, first 2 shown]
	v_or_b32_e32 v5, v1, v42
	v_lshlrev_b32_e32 v5, 3, v5
	v_lshrrev_b32_e32 v8, 5, v43
	v_and_or_b32 v8, v5, s24, v8
	v_lshlrev_b32_e32 v8, 4, v8
	v_lshlrev_b32_e32 v9, 11, v44
	v_and_b32_e32 v5, 0x78, v5
	v_or_b32_e32 v13, 32, v8
	v_and_b32_e32 v6, 0x1000, v9
	v_lshrrev_b32_e32 v11, 1, v0
	v_xor_b32_e32 v13, v13, v5
	v_and_b32_e32 v12, 8, v11
	v_or_b32_e32 v13, v13, v6
	v_xor_b32_e32 v10, v8, v5
	v_xor_b32_e32 v78, v13, v12
	v_or_b32_e32 v13, 64, v8
	v_or_b32_e32 v8, 0x60, v8
	v_xor_b32_e32 v13, v13, v5
	v_xor_b32_e32 v5, v8, v5
	v_or_b32_e32 v10, v10, v6
	v_or_b32_e32 v13, v13, v6
	;; [unrolled: 1-line block ×3, first 2 shown]
	s_lshl_b64 s[24:25], s[36:37], 8
	v_xor_b32_e32 v70, v10, v12
	v_xor_b32_e32 v80, v13, v12
	;; [unrolled: 1-line block ×3, first 2 shown]
	v_lshlrev_b32_e32 v12, 1, v4
	v_add_lshl_u32 v13, v4, s19, 1
	s_add_u32 s24, s12, s24
	v_lshlrev_b32_e32 v4, 1, v42
	v_lshrrev_b32_e32 v15, 4, v0
	s_addc_u32 s25, s13, s25
	v_or_b32_e32 v5, 1, v4
	v_mov_b32_e32 v19, 0x4000
	v_mov_b32_e32 v20, 0x2000
	v_xor_b32_e32 v16, v15, v4
	v_xor_b32_e32 v17, v5, v15
	v_lshl_add_u64 v[4:5], s[24:25], 0, v[34:35]
	v_lshlrev_b32_e32 v34, 8, v15
	v_cndmask_b32_e32 v19, v19, v20, vcc
	v_lshlrev_b32_e32 v20, 3, v44
	v_and_b32_e32 v11, 24, v11
	v_lshl_or_b32 v84, v16, 3, v34
	v_and_b32_e32 v16, 8, v0
	v_xor_b32_e32 v21, v20, v11
	v_or_b32_e32 v22, 0x440, v21
	v_cmp_eq_u32_e32 vcc, 0, v16
	v_and_b32_e32 v15, 7, v0
	v_lshlrev_b32_e32 v10, 7, v45
	v_cndmask_b32_e32 v16, v22, v21, vcc
	v_lshl_or_b32 v85, v17, 3, v34
	v_lshlrev_b32_e32 v17, 3, v15
	v_lshlrev_b32_e32 v15, 7, v15
	v_lshlrev_b32_e32 v18, 2, v0
	v_or_b32_e32 v16, v16, v9
	v_or_b32_e32 v7, v10, v7
	v_xad_u32 v86, v16, v17, v15
	v_and_or_b32 v10, v18, 60, v10
	v_mov_b32_e32 v16, 0xb000
	v_lshl_or_b32 v87, v10, 1, v16
	v_or_b32_e32 v10, 32, v11
	v_xor_b32_e32 v10, v20, v10
	v_or_b32_e32 v16, 0x440, v10
	v_cndmask_b32_e32 v10, v16, v10, vcc
	v_or_b32_e32 v10, v10, v9
	v_xad_u32 v88, v10, v17, v15
	v_or_b32_e32 v10, 64, v11
	v_xor_b32_e32 v10, v20, v10
	v_xor_b32_e32 v16, 0x440, v10
	v_cndmask_b32_e32 v10, v16, v10, vcc
	v_or_b32_e32 v10, v10, v9
	v_xad_u32 v89, v10, v17, v15
	v_or_b32_e32 v10, 0x60, v11
	v_xor_b32_e32 v10, v20, v10
	v_xor_b32_e32 v11, 0x440, v10
	v_lshlrev_b32_e32 v7, 1, v7
	v_or_b32_e32 v6, s36, v42
	v_cndmask_b32_e32 v10, v11, v10, vcc
	v_or_b32_e32 v74, 0xa000, v7
	v_or_b32_e32 v79, 0xa080, v7
	;; [unrolled: 1-line block ×4, first 2 shown]
	v_ashrrev_i32_e32 v7, 31, v6
	v_or_b32_e32 v9, v10, v9
	v_lshlrev_b32_e32 v8, 7, v48
	v_or_b32_e32 v14, 0x100, v3
	v_xad_u32 v90, v9, v17, v15
	v_lshlrev_b64 v[6:7], 1, v[6:7]
	v_cndmask_b32_e64 v91, v12, v3, s[0:1]
	v_cndmask_b32_e64 v92, v13, v14, s[0:1]
	v_lshl_add_u64 v[36:37], s[8:9], 0, v[6:7]
	v_lshl_add_u64 v[38:39], s[14:15], 0, v[6:7]
	;; [unrolled: 1-line block ×3, first 2 shown]
	s_mov_b32 s37, 0x7060302
	v_lshlrev_b32_e32 v34, 1, v8
	v_add_u32_e32 v94, v19, v86
	v_add_u32_e32 v95, v19, v88
	;; [unrolled: 1-line block ×4, first 2 shown]
	v_mov_b32_e32 v64, v35
	v_mov_b32_e32 v66, v35
	;; [unrolled: 1-line block ×3, first 2 shown]
	s_waitcnt lgkmcnt(0)
	s_barrier
.LBB439_6:                              ; =>This Inner Loop Header: Depth=1
	s_add_i32 s59, s58, 1
	s_cmp_lt_i32 s59, s45
	s_mov_b64 s[28:29], 0
	s_cselect_b64 s[40:41], -1, 0
	s_cmp_ge_i32 s59, s45
	s_mov_b64 s[24:25], 0
	s_cbranch_scc1 .LBB439_8
; %bb.7:                                ;   in Loop: Header=BB439_6 Depth=1
	s_add_i32 s0, s52, 64
	s_ashr_i32 s1, s0, 31
	s_add_u32 s0, s49, s0
	s_addc_u32 s1, s48, s1
	s_lshl_b64 s[0:1], s[0:1], 8
	s_add_u32 s24, s6, s0
	s_addc_u32 s25, s7, s1
.LBB439_8:                              ;   in Loop: Header=BB439_6 Depth=1
	v_cndmask_b32_e64 v2, 0, 1, s[40:41]
	v_cmp_ne_u32_e64 s[0:1], 1, v2
	s_andn2_b64 vcc, exec, s[40:41]
	s_cbranch_vccnz .LBB439_10
; %bb.9:                                ;   in Loop: Header=BB439_6 Depth=1
	s_add_i32 s28, s52, 64
	s_mul_hi_i32 s29, s28, s18
	s_mul_i32 s28, s28, s18
	s_add_u32 s28, s28, s50
	s_addc_u32 s29, s29, s54
	s_lshl_b64 s[28:29], s[28:29], 8
	s_add_u32 s28, s4, s28
	s_addc_u32 s29, s5, s29
.LBB439_10:                             ;   in Loop: Header=BB439_6 Depth=1
	v_perm_b32 v3, v100, v77, s37
	v_perm_b32 v2, v75, v76, s37
	;; [unrolled: 1-line block ×4, first 2 shown]
	ds_write_b64 v56, v[2:3]
	ds_write_b64 v57, v[4:5]
	;; [unrolled: 1-line block ×4, first 2 shown]
	v_perm_b32 v3, v101, v69, s37
	v_perm_b32 v2, v67, v68, s37
	;; [unrolled: 1-line block ×4, first 2 shown]
	ds_write_b64 v58, v[2:3]
	ds_write_b64 v59, v[4:5]
	ds_write_b64 v62, v[2:3]
	ds_write_b64 v63, v[4:5]
	s_waitcnt lgkmcnt(0)
	s_barrier
	ds_read_b64 v[6:7], v70 offset:24576
	ds_read2_b64 v[2:5], v74 offset1:16
	ds_read_b64 v[10:11], v79 offset:3072
	ds_read_b64 v[12:13], v74 offset:3072
	;; [unrolled: 1-line block ×3, first 2 shown]
	s_waitcnt lgkmcnt(3)
	v_mfma_f32_16x16x16_bf16 a[0:3], v[6:7], v[2:3], 0
	s_add_i32 s31, s52, 63
	s_ashr_i32 s40, s31, 31
	s_mul_i32 s41, s31, s35
	v_mfma_f32_16x16x16_bf16 a[4:7], v[6:7], v[4:5], 0
	ds_read2st64_b64 v[2:5], v74 offset0:2 offset1:4
	s_mul_hi_u32 s60, s31, s34
	s_add_i32 s41, s60, s41
	s_waitcnt lgkmcnt(0)
	v_mfma_f32_16x16x16_bf16 a[0:3], v[14:15], v[2:3], a[0:3]
	ds_read2st64_b64 v[6:9], v79 offset0:2 offset1:4
	ds_read_b64 v[2:3], v80 offset:24576
	s_mul_i32 s40, s40, s34
	s_add_i32 s41, s41, s40
	s_waitcnt lgkmcnt(1)
	v_mfma_f32_16x16x16_bf16 a[4:7], v[14:15], v[6:7], a[4:7]
	ds_read_b64 v[6:7], v81 offset:24576
	s_mul_i32 s40, s31, s34
	s_lshl_b64 s[40:41], s[40:41], 2
	s_waitcnt lgkmcnt(1)
	v_mfma_f32_16x16x16_bf16 a[0:3], v[2:3], v[4:5], a[0:3]
	s_add_u32 s40, s2, s40
	s_addc_u32 s41, s3, s41
	s_and_b64 vcc, exec, s[0:1]
	v_mfma_f32_16x16x16_bf16 a[8:11], v[2:3], v[8:9], a[4:7]
	v_mov_b32_e32 v104, 0
	v_mov_b32_e32 v103, 0
	;; [unrolled: 1-line block ×3, first 2 shown]
	s_waitcnt lgkmcnt(0)
	v_mfma_f32_16x16x16_bf16 a[4:7], v[6:7], v[12:13], a[0:3]
	v_mov_b32_e32 v2, 0
	v_mov_b32_e32 v3, 0
	;; [unrolled: 1-line block ×3, first 2 shown]
	v_mfma_f32_16x16x16_bf16 a[0:3], v[6:7], v[10:11], a[8:11]
	v_mov_b32_e32 v5, 0
	v_mov_b32_e32 v6, 0
	;; [unrolled: 1-line block ×13, first 2 shown]
	s_cbranch_vccnz .LBB439_12
; %bb.11:                               ;   in Loop: Header=BB439_6 Depth=1
	s_and_b32 s25, s25, 0xffff
	buffer_load_dwordx4 v[14:17], v52, s[24:27], 0 offen
	buffer_load_dwordx4 v[10:13], v52, s[24:27], s55 offen
	;; [unrolled: 1-line block ×4, first 2 shown]
	v_mov_b32_e32 v103, v54
	v_mov_b32_e32 v102, v55
.LBB439_12:                             ;   in Loop: Header=BB439_6 Depth=1
	s_waitcnt vmcnt(3)
	ds_read_b64 v[26:27], v70 offset:32768
	s_waitcnt vmcnt(2)
	ds_read2_b64 v[18:21], v82 offset1:16
	ds_read_b64 v[28:29], v78 offset:32768
	ds_read_b64 v[30:31], v80 offset:32768
	;; [unrolled: 1-line block ×3, first 2 shown]
	ds_read2st64_b64 v[22:25], v82 offset0:2 offset1:4
	v_add_u32_e32 v105, s52, v93
	s_waitcnt lgkmcnt(4)
	v_mfma_f32_16x16x16_bf16 a[4:7], v[26:27], v[18:19], a[4:7]
	v_ashrrev_i32_e32 v18, 31, v105
	v_mfma_f32_16x16x16_bf16 a[0:3], v[26:27], v[20:21], a[0:3]
	v_mul_lo_u32 v20, v105, s35
	v_mul_lo_u32 v21, v18, s34
	v_mad_u64_u32 v[18:19], s[24:25], v105, s34, 0
	v_add3_u32 v19, v19, v20, v21
	v_add_u32_e32 v20, 1, v105
	v_ashrrev_i32_e32 v21, 31, v20
	s_waitcnt lgkmcnt(0)
	v_mfma_f32_16x16x16_bf16 a[4:7], v[28:29], v[22:23], a[4:7]
	v_mul_lo_u32 v22, v21, s34
	v_mul_lo_u32 v23, v20, s35
	v_mad_u64_u32 v[20:21], s[24:25], v20, s34, 0
	v_add3_u32 v21, v21, v23, v22
	v_add_u32_e32 v22, 2, v105
	v_ashrrev_i32_e32 v23, 31, v22
	v_mul_lo_u32 v26, v23, s34
	v_mul_lo_u32 v27, v22, s35
	v_mad_u64_u32 v[22:23], s[24:25], v22, s34, 0
	v_add3_u32 v23, v23, v27, v26
	v_add_u32_e32 v26, 3, v105
	v_ashrrev_i32_e32 v27, 31, v26
	v_mul_lo_u32 v105, v27, s34
	v_mul_lo_u32 v106, v26, s35
	v_mad_u64_u32 v[26:27], s[24:25], v26, s34, 0
	s_ashr_i32 s25, s52, 31
	v_add3_u32 v27, v27, v106, v105
	s_add_u32 s24, s49, s52
	v_lshl_add_u64 v[18:19], v[18:19], 2, s[2:3]
	v_lshl_add_u64 v[26:27], v[26:27], 2, s[2:3]
	s_addc_u32 s25, s48, s25
	v_lshl_add_u64 v[20:21], v[20:21], 2, s[2:3]
	v_lshl_add_u64 v[22:23], v[22:23], 2, s[2:3]
	global_load_dword v105, v[18:19], off
	global_load_dword v106, v[20:21], off
	;; [unrolled: 1-line block ×3, first 2 shown]
	s_nop 0
	global_load_dword v27, v[26:27], off
	s_lshl_b64 s[60:61], s[24:25], 8
	v_lshl_add_u64 v[18:19], v[36:37], 0, s[60:61]
	v_lshl_add_u64 v[22:23], v[18:19], 0, v[34:35]
	global_load_ushort v108, v[22:23], off offset:256
	global_load_ushort v109, v[22:23], off
	global_load_ushort v110, v[22:23], off offset:768
	global_load_ushort v111, v[22:23], off offset:512
	ds_read2st64_b64 v[18:21], v83 offset0:2 offset1:4
	global_load_ushort v112, v[22:23], off offset:800
	global_load_ushort v113, v[22:23], off offset:544
	;; [unrolled: 1-line block ×4, first 2 shown]
	s_waitcnt lgkmcnt(0)
	v_mfma_f32_16x16x16_bf16 a[0:3], v[28:29], v[18:19], a[0:3]
	s_and_b64 vcc, exec, s[0:1]
	s_waitcnt vmcnt(7)
	v_lshlrev_b32_e32 v29, 16, v108
	v_mfma_f32_16x16x16_bf16 a[4:7], v[30:31], v[24:25], a[4:7]
	s_waitcnt vmcnt(6)
	v_lshlrev_b32_e32 v28, 16, v109
	v_mfma_f32_16x16x16_bf16 a[0:3], v[30:31], v[20:21], a[0:3]
	ds_read_b64 v[18:19], v82 offset:3072
	ds_read_b64 v[20:21], v83 offset:3072
	s_load_dword s24, s[40:41], 0x0
	s_waitcnt vmcnt(5)
	v_lshlrev_b32_e32 v31, 16, v110
	s_waitcnt lgkmcnt(0)
	v_mfma_f32_16x16x16_bf16 a[4:7], v[32:33], v[18:19], a[4:7]
	v_lshl_add_u64 v[18:19], v[38:39], 0, s[60:61]
	v_sub_f32_e32 v26, s24, v105
	v_sub_f32_e32 v30, s24, v106
	v_mfma_f32_16x16x16_bf16 a[0:3], v[32:33], v[20:21], a[0:3]
	v_sub_f32_e32 v32, s24, v107
	v_sub_f32_e32 v33, s24, v27
	v_exp_f32_e32 v26, v26
	v_exp_f32_e32 v27, v30
	;; [unrolled: 1-line block ×4, first 2 shown]
	v_accvgpr_read_b32 v25, a5
	v_accvgpr_read_b32 v21, a7
	;; [unrolled: 1-line block ×4, first 2 shown]
	s_waitcnt vmcnt(4)
	v_lshlrev_b32_e32 v30, 16, v111
	v_lshl_add_u64 v[18:19], v[18:19], 0, v[34:35]
	v_pk_add_f32 v[24:25], v[28:29], v[24:25] neg_lo:[0,1] neg_hi:[0,1]
	v_pk_add_f32 v[20:21], v[30:31], v[20:21] neg_lo:[0,1] neg_hi:[0,1]
	global_store_short_d16_hi v[18:19], v24, off
	global_store_short_d16_hi v[18:19], v25, off offset:256
	global_store_short_d16_hi v[18:19], v20, off offset:512
	global_store_short_d16_hi v[18:19], v21, off offset:768
	v_pk_mul_f32 v[24:25], v[26:27], v[24:25]
	v_pk_mul_f32 v[20:21], v[32:33], v[20:21]
	v_accvgpr_read_b32 v29, a1
	v_perm_b32 v24, v25, v24, s37
	v_perm_b32 v25, v21, v20, s37
	s_waitcnt vmcnt(5)
	v_lshlrev_b32_e32 v21, 16, v114
	s_waitcnt vmcnt(4)
	v_lshlrev_b32_e32 v20, 16, v115
	v_accvgpr_read_b32 v28, a0
	v_accvgpr_read_b32 v23, a3
	;; [unrolled: 1-line block ×3, first 2 shown]
	v_pk_add_f32 v[20:21], v[20:21], v[28:29] neg_lo:[0,1] neg_hi:[0,1]
	v_lshlrev_b32_e32 v29, 16, v112
	v_lshlrev_b32_e32 v28, 16, v113
	v_pk_add_f32 v[22:23], v[28:29], v[22:23] neg_lo:[0,1] neg_hi:[0,1]
	global_store_short_d16_hi v[18:19], v20, off offset:32
	global_store_short_d16_hi v[18:19], v21, off offset:288
	;; [unrolled: 1-line block ×4, first 2 shown]
	v_pk_mul_f32 v[18:19], v[26:27], v[20:21]
	v_pk_mul_f32 v[20:21], v[32:33], v[22:23]
	v_mov_b32_e32 v105, 0
	v_perm_b32 v21, v21, v20, s37
	v_perm_b32 v20, v19, v18, s37
	ds_write2_b64 v57, v[24:25], v[20:21] offset1:16
	v_mov_b32_e32 v18, 0
	v_mov_b32_e32 v19, 0
	;; [unrolled: 1-line block ×16, first 2 shown]
	s_cbranch_vccnz .LBB439_14
; %bb.13:                               ;   in Loop: Header=BB439_6 Depth=1
	s_and_b32 s29, s29, 0xffff
	s_mov_b32 s31, s27
	buffer_load_dwordx4 v[30:33], v91, s[28:31], 0 offen
	buffer_load_dwordx4 v[22:25], v91, s[28:31], s55 offen
	;; [unrolled: 1-line block ×4, first 2 shown]
	v_mov_b32_e32 v104, v51
	v_mov_b32_e32 v105, v50
.LBB439_14:                             ;   in Loop: Header=BB439_6 Depth=1
	s_waitcnt lgkmcnt(0)
	s_barrier
	ds_read_b64 v[110:111], v94
	ds_read_b64 v[118:119], v87
	;; [unrolled: 1-line block ×5, first 2 shown]
	ds_read_b64 v[124:125], v88 offset:16384
	ds_read_b64 v[126:127], v86 offset:16384
	ds_read2_b64 v[106:109], v82 offset0:16 offset1:128
	s_waitcnt lgkmcnt(6)
	v_mfma_f32_16x16x16_bf16 a[0:3], v[110:111], v[118:119], 0
	ds_read_b64 v[128:129], v83 offset:3072
	ds_read_b64 v[130:131], v90 offset:16384
	s_add_i32 s25, s46, s58
	s_waitcnt lgkmcnt(2)
	v_mfma_f32_16x16x16_bf16 a[4:7], v[110:111], v[106:107], 0
	ds_read2st64_b64 v[110:113], v83 offset0:2 offset1:4
	s_mul_hi_i32 s29, s25, s51
	s_mul_i32 s25, s25, s51
	v_mfma_f32_16x16x16_bf16 a[0:3], v[114:115], v[108:109], a[0:3]
	s_add_u32 s28, s25, s33
	s_addc_u32 s29, s29, s53
	s_lshl_b64 s[28:29], s[28:29], 15
	s_waitcnt lgkmcnt(0)
	v_mfma_f32_16x16x16_bf16 a[4:7], v[114:115], v[110:111], a[4:7]
	ds_read2st64_b64 v[114:117], v82 offset0:4 offset1:6
	s_waitcnt lgkmcnt(0)
	v_mfma_f32_16x16x16_bf16 a[0:3], v[120:121], v[114:115], a[0:3]
	v_mfma_f32_16x16x16_bf16 a[8:11], v[120:121], v[112:113], a[4:7]
	;; [unrolled: 1-line block ×5, first 2 shown]
	ds_read2st64_b64 v[118:121], v85 offset1:8
	v_mfma_f32_16x16x16_bf16 a[12:15], v[126:127], v[106:107], 0
	ds_read_b64 v[126:127], v89 offset:16384
	v_mfma_f32_16x16x16_bf16 a[8:11], v[124:125], v[108:109], a[8:11]
	ds_read2st64_b64 v[106:109], v84 offset1:8
	s_waitcnt lgkmcnt(0)
	v_mov_b32_e32 v122, v106
	v_mfma_f32_16x16x16_bf16 a[12:15], v[124:125], v[110:111], a[12:15]
	v_lshl_add_u64 v[110:111], v[40:41], 0, s[28:29]
	v_add_co_u32_e32 v106, vcc, s21, v110
	v_mfma_f32_16x16x16_bf16 a[8:11], v[126:127], v[114:115], a[8:11]
	v_mov_b32_e32 v123, v107
	v_addc_co_u32_e32 v107, vcc, 0, v111, vcc
	v_mfma_f32_16x16x16_bf16 a[16:19], v[126:127], v[112:113], a[12:15]
	v_mov_b32_e32 v124, v118
	v_mov_b32_e32 v125, v119
	;; [unrolled: 1-line block ×3, first 2 shown]
	v_mfma_f32_16x16x16_bf16 a[12:15], v[130:131], v[116:117], a[8:11]
	v_mov_b32_e32 v119, v109
	s_and_b64 vcc, exec, s[0:1]
	global_store_dwordx4 v[110:111], v[122:125], off
	v_mfma_f32_16x16x16_bf16 a[8:11], v[130:131], v[128:129], a[16:19]
	global_store_dwordx4 v[106:107], v[118:121], off
	s_cbranch_vccnz .LBB439_16
; %bb.15:                               ;   in Loop: Header=BB439_6 Depth=1
	v_lshrrev_b32_e32 v106, 3, v104
	v_and_b32_e32 v106, 6, v106
	v_xor_b32_e32 v105, v106, v105
	v_lshlrev_b32_e32 v105, 2, v105
	v_and_b32_e32 v104, 8, v104
	v_xor_b32_e32 v107, 0x440, v105
	v_cmp_eq_u32_e32 vcc, 0, v104
	s_barrier
	s_nop 0
	v_cndmask_b32_e32 v104, v107, v105, vcc
	v_lshl_or_b32 v104, v106, 10, v104
	s_waitcnt vmcnt(3)
	v_perm_b32 v105, v30, v26, s56
	s_waitcnt vmcnt(2)
	v_perm_b32 v106, v22, v18, s56
	ds_write2st64_b32 v104, v105, v106 offset0:32 offset1:64
	v_xor_b32_e32 v105, 8, v104
	v_perm_b32 v26, v30, v26, s57
	v_perm_b32 v18, v22, v18, s57
	v_add_u32_e32 v22, 0x80, v105
	ds_write2st64_b32 v22, v26, v18 offset0:32 offset1:64
	v_xor_b32_e32 v18, 16, v104
	v_perm_b32 v22, v31, v27, s56
	v_perm_b32 v26, v23, v19, s56
	ds_write2st64_b32 v18, v22, v26 offset0:33 offset1:65
	v_xor_b32_e32 v18, 24, v104
	v_perm_b32 v22, v31, v27, s57
	v_perm_b32 v19, v23, v19, s57
	v_add_u32_e32 v18, 0x80, v18
	ds_write2st64_b32 v18, v22, v19 offset0:33 offset1:65
	v_xor_b32_e32 v18, 32, v104
	v_perm_b32 v19, v32, v28, s56
	;; [unrolled: 9-line block ×3, first 2 shown]
	v_perm_b32 v20, v25, v21, s56
	ds_write2st64_b32 v18, v19, v20 offset0:35 offset1:67
	v_xor_b32_e32 v18, 56, v104
	v_perm_b32 v19, v33, v29, s57
	v_perm_b32 v20, v25, v21, s57
	v_add_u32_e32 v18, 0x80, v18
	ds_write2st64_b32 v18, v19, v20 offset0:35 offset1:67
	ds_write_b64 v103, v[14:15] offset:24576
	v_xor_b32_e32 v14, 8, v103
	ds_write_b64 v14, v[16:17] offset:24576
	ds_write_b64 v103, v[10:11] offset:32768
	;; [unrolled: 1-line block ×4, first 2 shown]
	v_xor_b32_e32 v6, 8, v102
	ds_write_b64 v6, v[8:9] offset:24576
	ds_write_b64 v102, v[2:3] offset:32768
	;; [unrolled: 1-line block ×3, first 2 shown]
.LBB439_16:                             ;   in Loop: Header=BB439_6 Depth=1
	v_exp_f32_e32 v2, s24
	v_accvgpr_read_b32 v3, a4
	v_accvgpr_read_b32 v4, a5
	;; [unrolled: 1-line block ×3, first 2 shown]
	v_fma_f32 v76, v76, v2, v3
	v_accvgpr_read_b32 v3, a6
	v_fma_f32 v77, v77, v2, v3
	v_accvgpr_read_b32 v3, a0
	;; [unrolled: 2-line block ×11, first 2 shown]
	v_accvgpr_read_b32 v6, a15
	v_fma_f32 v66, v66, v2, v3
	v_accvgpr_read_b32 v3, a11
	s_add_i32 s52, s52, 64
	v_fmac_f32_e32 v5, v100, v2
	v_fmac_f32_e32 v4, v101, v2
	;; [unrolled: 1-line block ×3, first 2 shown]
	s_cmp_eq_u32 s45, s59
	v_fmac_f32_e32 v3, v99, v2
	s_cbranch_scc1 .LBB439_18
; %bb.17:                               ;   in Loop: Header=BB439_6 Depth=1
	s_mov_b32 s58, s59
	v_mov_b32_e32 v100, v5
	v_mov_b32_e32 v98, v6
	;; [unrolled: 1-line block ×4, first 2 shown]
	s_branch .LBB439_6
.LBB439_18:
	s_lshl_b32 s0, s45, 6
	s_sub_i32 s47, s47, s0
	s_cmp_gt_i32 s47, 0
	s_cbranch_scc0 .LBB439_83
; %bb.19:
	s_add_i32 s38, s0, s38
	s_ashr_i32 s2, s38, 31
	s_cmpk_lg_i32 s19, 0x80
	s_cselect_b64 s[30:31], -1, 0
	s_and_b64 vcc, exec, s[30:31]
	s_cbranch_vccz .LBB439_21
; %bb.20:
	s_mul_i32 s1, s38, s18
	s_ashr_i32 s3, s50, 31
	s_mul_hi_i32 s0, s38, s18
	s_add_u32 s40, s1, s50
	s_addc_u32 s41, s0, s3
	s_cbranch_execz .LBB439_22
	s_branch .LBB439_23
.LBB439_21:
                                        ; implicit-def: $sgpr40_sgpr41
.LBB439_22:
	s_mul_i32 s1, s50, s16
	s_mul_hi_i32 s0, s50, s16
	s_add_u32 s40, s1, s38
	s_addc_u32 s41, s0, s2
.LBB439_23:
	s_add_i32 s3, s45, s46
	s_ashr_i32 s16, s33, 31
	s_add_u32 s0, s49, s38
	s_addc_u32 s1, s48, s2
	v_lshlrev_b32_e32 v10, 5, v48
	s_waitcnt vmcnt(4)
	v_lshlrev_b32_e32 v22, 2, v42
	s_mov_b32 s2, 0x7060302
	v_xor_b32_e32 v2, v48, v22
	v_perm_b32 v9, v5, v77, s2
	v_or_b32_e32 v5, v10, v22
	v_perm_b32 v8, v75, v76, s2
	v_perm_b32 v7, v6, v73, s2
	;; [unrolled: 1-line block ×3, first 2 shown]
	v_lshlrev_b32_e32 v5, 1, v5
	v_lshlrev_b32_e32 v12, 1, v2
	;; [unrolled: 1-line block ×3, first 2 shown]
	s_lshl_b64 s[28:29], s[0:1], 8
	v_xor_b32_e32 v11, v49, v22
	ds_write2st64_b64 v5, v[8:9], v[6:7] offset0:80 offset1:88
	v_or_b32_e32 v5, v12, v2
	s_add_u32 s0, s6, s28
	ds_write_b64 v5, v[8:9]
	v_lshlrev_b32_e32 v8, 1, v11
	s_addc_u32 s1, s7, s29
	v_or_b32_e32 v2, v8, v2
	s_mul_hi_i32 s6, s3, s17
	s_mul_i32 s3, s3, s17
	ds_write_b64 v2, v[6:7]
	v_perm_b32 v5, v4, v69, s2
	v_perm_b32 v4, v67, v68, s2
	;; [unrolled: 1-line block ×4, first 2 shown]
	v_or_b32_e32 v6, 16, v42
	s_add_u32 s2, s3, s33
	s_waitcnt vmcnt(2)
	v_lshlrev_b32_e32 v19, 2, v6
	s_addc_u32 s3, s6, s16
	v_or_b32_e32 v7, v10, v19
	s_ashr_i32 s37, s36, 31
	s_lshl_b64 s[2:3], s[2:3], 15
	v_lshlrev_b32_e32 v7, 1, v7
	v_lshlrev_b32_e32 v6, 8, v6
	s_add_u32 s6, s12, s2
	ds_write2st64_b64 v7, v[4:5], v[2:3] offset0:80 offset1:88
	v_or_b32_e32 v7, v12, v6
	s_addc_u32 s7, s13, s3
	s_lshl_b64 s[2:3], s[36:37], 8
	ds_write_b64 v7, v[4:5]
	v_or_b32_e32 v4, v8, v6
	s_add_u32 s2, s6, s2
	ds_write_b64 v4, v[2:3]
	v_lshrrev_b32_e32 v2, 4, v0
	s_addc_u32 s3, s7, s3
	v_lshlrev_b32_e32 v3, 1, v42
	v_lshlrev_b32_e32 v10, 4, v42
	v_mov_b32_e32 v11, 0
	v_or_b32_e32 v4, 1, v3
	v_xor_b32_e32 v3, v2, v3
	v_lshl_add_u64 v[12:13], s[2:3], 0, v[10:11]
	v_lshlrev_b32_e32 v10, 8, v2
	v_xor_b32_e32 v6, v4, v2
	v_lshl_or_b32 v2, v3, 3, v10
	s_waitcnt lgkmcnt(0)
	s_barrier
	ds_read2st64_b64 v[2:5], v2 offset1:8
	v_lshl_or_b32 v6, v6, 3, v10
	ds_read2st64_b64 v[6:9], v6 offset1:8
	v_lshl_add_u64 v[14:15], v[12:13], 0, v[10:11]
	s_movk_i32 s2, 0x1000
	s_waitcnt lgkmcnt(1)
	v_mov_b32_e32 v10, v2
	v_add_co_u32_e32 v2, vcc, s2, v14
	s_cmp_lg_u32 s47, 64
	v_mov_b32_e32 v11, v3
	v_addc_co_u32_e32 v3, vcc, 0, v15, vcc
	s_cselect_b64 s[6:7], -1, 0
	v_lshl_or_b32 v23, v44, 3, v47
	s_waitcnt lgkmcnt(0)
	v_mov_b32_e32 v12, v6
	v_mov_b32_e32 v13, v7
	;; [unrolled: 1-line block ×4, first 2 shown]
	s_mov_b32 s24, 0
	v_or_b32_e32 v20, 32, v23
	v_and_b32_e32 v18, 56, v46
	s_and_b64 vcc, exec, s[6:7]
	global_store_dwordx4 v[14:15], v[10:13], off
	global_store_dwordx4 v[2:3], v[6:9], off
	s_cbranch_vccz .LBB439_29
; %bb.24:
	s_mov_b32 s25, s24
	s_mov_b32 s26, s24
	;; [unrolled: 1-line block ×3, first 2 shown]
	v_mov_b64_e32 v[6:7], s[24:25]
	v_mov_b64_e32 v[8:9], s[26:27]
	;; [unrolled: 1-line block ×3, first 2 shown]
	v_cmp_gt_i32_e32 vcc, s47, v23
	v_mov_b64_e32 v[4:5], v[8:9]
	s_and_saveexec_b64 s[2:3], vcc
	s_cbranch_execz .LBB439_26
; %bb.25:
	v_lshlrev_b32_e32 v2, 8, v23
	v_mov_b32_e32 v3, 0
	v_lshl_add_u64 v[4:5], s[0:1], 0, v[2:3]
	v_lshlrev_b32_e32 v2, 1, v18
	v_lshl_add_u64 v[10:11], v[4:5], 0, v[2:3]
	global_load_dwordx4 v[6:9], v[10:11], off
	global_load_dwordx4 v[2:5], v[10:11], off offset:128
.LBB439_26:
	s_or_b64 exec, exec, s[2:3]
	s_mov_b32 s25, s24
	s_mov_b32 s26, s24
	;; [unrolled: 1-line block ×3, first 2 shown]
	v_mov_b64_e32 v[14:15], s[24:25]
	v_mov_b64_e32 v[16:17], s[26:27]
	;; [unrolled: 1-line block ×3, first 2 shown]
	v_cmp_gt_i32_e32 vcc, s47, v20
	v_lshlrev_b32_e32 v21, 7, v20
	v_mov_b64_e32 v[12:13], v[16:17]
	s_and_saveexec_b64 s[2:3], vcc
	s_cbranch_execz .LBB439_28
; %bb.27:
	v_lshlrev_b32_e32 v10, 1, v21
	v_mov_b32_e32 v11, 0
	v_lshl_add_u64 v[12:13], s[0:1], 0, v[10:11]
	v_lshlrev_b32_e32 v10, 1, v18
	v_lshl_add_u64 v[24:25], v[12:13], 0, v[10:11]
	global_load_dwordx4 v[14:17], v[24:25], off
	global_load_dwordx4 v[10:13], v[24:25], off offset:128
.LBB439_28:
	s_or_b64 exec, exec, s[2:3]
	v_lshrrev_b32_e32 v24, 3, v18
	v_lshlrev_b32_e32 v25, 3, v23
	v_or_b32_e32 v24, v25, v24
	v_lshlrev_b32_e32 v24, 4, v24
	v_and_b32_e32 v25, 0x78, v25
	v_xor_b32_e32 v24, v24, v25
	s_branch .LBB439_31
.LBB439_29:
                                        ; implicit-def: $vgpr24
                                        ; implicit-def: $vgpr21
                                        ; implicit-def: $vgpr6_vgpr7_vgpr8_vgpr9
                                        ; implicit-def: $vgpr2_vgpr3_vgpr4_vgpr5
                                        ; implicit-def: $vgpr14_vgpr15_vgpr16_vgpr17
                                        ; implicit-def: $vgpr10_vgpr11_vgpr12_vgpr13
	s_cbranch_execz .LBB439_31
; %bb.30:
	s_waitcnt vmcnt(0)
	v_lshlrev_b32_e32 v2, 1, v18
	v_lshl_or_b32 v21, v23, 8, v2
	s_and_b32 s1, s1, 0xffff
	s_mov_b32 s3, 0x20000
	s_movk_i32 s2, 0x4000
	v_lshl_or_b32 v24, v20, 8, v2
	s_movk_i32 s12, 0x80
	buffer_load_dwordx4 v[6:9], v21, s[0:3], 0 offen
	buffer_load_dwordx4 v[2:5], v21, s[0:3], s12 offen
	;; [unrolled: 1-line block ×4, first 2 shown]
	v_lshrrev_b32_e32 v21, 3, v18
	v_lshlrev_b32_e32 v24, 3, v23
	v_or_b32_e32 v21, v24, v21
	v_lshlrev_b32_e32 v21, 4, v21
	v_and_b32_e32 v24, 0x78, v24
	v_xor_b32_e32 v24, v21, v24
	v_lshlrev_b32_e32 v21, 7, v20
.LBB439_31:
	s_lshl_b64 s[0:1], s[40:41], 8
	s_add_u32 s4, s4, s0
	s_movk_i32 s0, 0x1000
	v_and_or_b32 v20, v21, s0, v24
	s_waitcnt vmcnt(1)
	ds_write_b64 v24, v[6:7] offset:24576
	v_xor_b32_e32 v6, 8, v24
	ds_write_b64 v6, v[8:9] offset:24576
	s_waitcnt vmcnt(0)
	ds_write_b64 v24, v[2:3] offset:32768
	ds_write_b64 v6, v[4:5] offset:32768
	;; [unrolled: 1-line block ×3, first 2 shown]
	v_xor_b32_e32 v2, 8, v20
	ds_write_b64 v2, v[16:17] offset:24576
	ds_write_b64 v20, v[10:11] offset:32768
	;; [unrolled: 1-line block ×3, first 2 shown]
	v_or_b32_e32 v2, v1, v42
	v_lshlrev_b32_e32 v3, 11, v44
	v_lshlrev_b32_e32 v2, 3, v2
	v_and_b32_e32 v6, 0x1000, v3
	v_lshrrev_b32_e32 v3, 5, v43
	s_movk_i32 s13, 0xf8
	v_and_or_b32 v3, v2, s13, v3
	v_lshlrev_b32_e32 v7, 4, v3
	v_and_b32_e32 v8, 0x78, v2
	v_or_b32_e32 v10, 32, v7
	v_lshrrev_b32_e32 v3, 1, v43
	v_xor_b32_e32 v10, v10, v8
	v_xor_b32_e32 v2, v7, v8
	v_and_b32_e32 v9, 8, v3
	v_or_b32_e32 v10, v10, v6
	v_or_b32_e32 v2, v2, v6
	v_xor_b32_e32 v26, v10, v9
	v_or_b32_e32 v10, 64, v7
	v_xor_b32_e32 v25, v2, v9
	v_xor_b32_e32 v10, v10, v8
	s_waitcnt lgkmcnt(0)
	s_barrier
	v_or_b32_e32 v12, v10, v6
	ds_read_b64 v[10:11], v25 offset:24576
	v_lshl_or_b32 v20, v45, 7, v22
	v_lshlrev_b32_e32 v24, 1, v20
	v_add_u32_e32 v2, 0xa000, v24
	ds_read2_b64 v[2:5], v2 offset1:16
	v_or_b32_e32 v7, 0x60, v7
	v_xor_b32_e32 v7, v7, v8
	s_waitcnt lgkmcnt(0)
	v_mfma_f32_16x16x16_bf16 a[0:3], v[10:11], v[2:3], 0
	v_or_b32_e32 v2, 64, v20
	v_or_b32_e32 v6, v7, v6
	v_lshlrev_b32_e32 v29, 1, v2
	v_xor_b32_e32 v27, v12, v9
	v_xor_b32_e32 v28, v6, v9
	ds_read_b64 v[12:13], v26 offset:24576
	ds_read_b64 v[14:15], v27 offset:24576
	;; [unrolled: 1-line block ×3, first 2 shown]
	v_mfma_f32_16x16x16_bf16 a[4:7], v[10:11], v[4:5], 0
	ds_read2st64_b64 v[2:5], v29 offset0:82 offset1:84
	ds_read2st64_b64 v[6:9], v24 offset0:82 offset1:84
	s_addc_u32 s5, s5, s1
	s_add_i32 s2, s39, -1
	s_add_i32 s0, s43, s42
	s_add_i32 s21, s0, s44
	s_mul_i32 s0, s33, s23
	s_mul_hi_u32 s1, s33, s22
	s_ashr_i32 s3, s2, 31
	s_mul_i32 s12, s2, s35
	s_mul_hi_u32 s13, s2, s34
	s_add_i32 s0, s1, s0
	s_mul_i32 s1, s16, s22
	s_add_i32 s12, s13, s12
	s_mul_i32 s3, s3, s34
	s_waitcnt lgkmcnt(1)
	v_mfma_f32_16x16x16_bf16 a[4:7], v[12:13], v[2:3], a[4:7]
	s_add_i32 s1, s0, s1
	s_add_i32 s3, s12, s3
	s_lshl_b64 s[12:13], s[20:21], 2
	s_waitcnt lgkmcnt(0)
	v_mfma_f32_16x16x16_bf16 a[0:3], v[12:13], v[6:7], a[0:3]
	s_mul_i32 s0, s33, s22
	s_add_u32 s10, s10, s12
	s_addc_u32 s11, s11, s13
	s_lshl_b64 s[0:1], s[0:1], 2
	s_mul_i32 s2, s2, s34
	s_add_u32 s10, s10, s0
	ds_read_b64 v[2:3], v24 offset:44032
	v_mfma_f32_16x16x16_bf16 a[4:7], v[14:15], v[4:5], a[4:7]
	ds_read_b64 v[4:5], v29 offset:44032
	s_addc_u32 s11, s11, s1
	s_lshl_b64 s[0:1], s[2:3], 2
	v_mfma_f32_16x16x16_bf16 a[0:3], v[14:15], v[8:9], a[0:3]
	s_add_u32 s0, s10, s0
	s_addc_u32 s1, s11, s1
	s_load_dword s12, s[0:1], 0x0
	s_waitcnt lgkmcnt(0)
	v_mfma_f32_16x16x16_bf16 a[0:3], v[16:17], v[2:3], a[0:3]
	s_and_b64 vcc, exec, s[30:31]
	v_mfma_f32_16x16x16_bf16 a[4:7], v[16:17], v[4:5], a[4:7]
	s_cbranch_vccz .LBB439_42
; %bb.32:
	v_lshlrev_b32_e32 v20, 1, v23
	s_and_b64 vcc, exec, s[6:7]
	s_cbranch_vccz .LBB439_43
; %bb.33:
	v_cmp_gt_i32_e32 vcc, s47, v20
	v_mov_b32_e32 v6, 0
	v_mov_b32_e32 v2, 0
	v_mov_b32_e32 v3, 0
	v_mov_b32_e32 v4, 0
	v_mov_b32_e32 v5, 0
	s_and_saveexec_b64 s[0:1], vcc
	s_cbranch_execz .LBB439_35
; %bb.34:
	v_mad_i64_i32 v[2:3], s[2:3], s19, v20, 0
	v_lshl_add_u64 v[2:3], v[2:3], 1, s[4:5]
	v_lshlrev_b32_e32 v4, 1, v18
	v_mov_b32_e32 v5, 0
	v_lshl_add_u64 v[2:3], v[2:3], 0, v[4:5]
	global_load_dwordx4 v[2:5], v[2:3], off
.LBB439_35:
	s_or_b64 exec, exec, s[0:1]
	v_or_b32_e32 v21, 1, v20
	v_cmp_gt_i32_e64 s[0:1], s47, v21
	v_mov_b32_e32 v7, 0
	v_mov_b32_e32 v8, 0
	;; [unrolled: 1-line block ×3, first 2 shown]
	s_and_saveexec_b64 s[2:3], s[0:1]
	s_cbranch_execz .LBB439_37
; %bb.36:
	v_mad_i64_i32 v[6:7], s[16:17], s19, v21, 0
	v_lshl_add_u64 v[6:7], v[6:7], 1, s[4:5]
	v_lshlrev_b32_e32 v8, 1, v18
	v_mov_b32_e32 v9, 0
	v_lshl_add_u64 v[6:7], v[6:7], 0, v[8:9]
	global_load_dwordx4 v[6:9], v[6:7], off
.LBB439_37:
	s_or_b64 exec, exec, s[2:3]
	v_mov_b32_e32 v17, 0
	v_mov_b32_e32 v10, 0
	;; [unrolled: 1-line block ×5, first 2 shown]
	s_and_saveexec_b64 s[2:3], vcc
	s_cbranch_execz .LBB439_39
; %bb.38:
	v_mad_i64_i32 v[10:11], s[16:17], s19, v20, 0
	v_lshl_add_u64 v[10:11], v[10:11], 1, s[4:5]
	v_lshlrev_b32_e32 v12, 1, v18
	v_mov_b32_e32 v13, 0
	v_lshl_add_u64 v[10:11], v[10:11], 0, v[12:13]
	global_load_dwordx4 v[10:13], v[10:11], off offset:128
.LBB439_39:
	s_or_b64 exec, exec, s[2:3]
	v_mov_b32_e32 v16, 0
	v_mov_b32_e32 v15, 0
	v_mov_b32_e32 v14, 0
	s_and_saveexec_b64 s[2:3], s[0:1]
	s_cbranch_execz .LBB439_41
; %bb.40:
	v_mad_i64_i32 v[14:15], s[0:1], s19, v21, 0
	v_lshl_add_u64 v[14:15], v[14:15], 1, s[4:5]
	v_lshlrev_b32_e32 v16, 1, v18
	v_mov_b32_e32 v17, 0
	v_lshl_add_u64 v[14:15], v[14:15], 0, v[16:17]
	global_load_dwordx4 v[14:17], v[14:15], off offset:128
.LBB439_41:
	s_or_b64 exec, exec, s[2:3]
	s_branch .LBB439_45
.LBB439_42:
                                        ; implicit-def: $vgpr5
                                        ; implicit-def: $vgpr9
                                        ; implicit-def: $vgpr13
                                        ; implicit-def: $vgpr17
	v_lshrrev_b32_e32 v30, 2, v43
	s_branch .LBB439_46
.LBB439_43:
                                        ; implicit-def: $vgpr5
                                        ; implicit-def: $vgpr9
                                        ; implicit-def: $vgpr13
                                        ; implicit-def: $vgpr17
	s_cbranch_execz .LBB439_45
; %bb.44:
	s_waitcnt vmcnt(0)
	v_mad_u64_u32 v[2:3], s[0:1], v20, s19, v[18:19]
	v_lshlrev_b32_e32 v20, 1, v2
	s_lshl_b32 s2, s19, 7
	s_and_b32 s1, s5, 0xffff
	s_mov_b32 s3, 0x20000
	s_mov_b32 s0, s4
	v_add_lshl_u32 v21, v2, s19, 1
	s_movk_i32 s13, 0x80
	buffer_load_dwordx4 v[2:5], v20, s[0:3], 0 offen
	buffer_load_dwordx4 v[10:13], v20, s[0:3], s13 offen
	;; [unrolled: 1-line block ×4, first 2 shown]
.LBB439_45:
	v_lshrrev_b32_e32 v30, 2, v43
	s_cbranch_execnz .LBB439_58
.LBB439_46:
	s_and_b64 vcc, exec, s[6:7]
	s_cbranch_vccz .LBB439_56
; %bb.47:
	s_waitcnt vmcnt(0)
	v_lshlrev_b32_e32 v7, 1, v23
	v_cmp_gt_i32_e32 vcc, s47, v7
	v_mov_b32_e32 v6, 0
	v_lshlrev_b32_e32 v14, 9, v23
	v_mov_b32_e32 v2, 0
	v_mov_b32_e32 v3, 0
	;; [unrolled: 1-line block ×4, first 2 shown]
	s_and_saveexec_b64 s[0:1], vcc
	s_cbranch_execz .LBB439_49
; %bb.48:
	v_mov_b32_e32 v15, 0
	v_lshl_add_u64 v[2:3], s[4:5], 0, v[14:15]
	v_lshlrev_b32_e32 v4, 1, v18
	v_mov_b32_e32 v5, v15
	v_lshl_add_u64 v[2:3], v[2:3], 0, v[4:5]
	global_load_dwordx4 v[2:5], v[2:3], off
.LBB439_49:
	s_or_b64 exec, exec, s[0:1]
	v_or_b32_e32 v7, 1, v7
	v_cmp_gt_i32_e64 s[0:1], s47, v7
	v_lshlrev_b32_e32 v20, 8, v7
	v_mov_b32_e32 v7, 0
	v_mov_b32_e32 v8, 0
	;; [unrolled: 1-line block ×3, first 2 shown]
	s_and_saveexec_b64 s[2:3], s[0:1]
	s_cbranch_execz .LBB439_51
; %bb.50:
	v_mov_b32_e32 v21, 0
	v_lshl_add_u64 v[6:7], s[4:5], 0, v[20:21]
	v_lshlrev_b32_e32 v8, 1, v18
	v_mov_b32_e32 v9, v21
	v_lshl_add_u64 v[6:7], v[6:7], 0, v[8:9]
	global_load_dwordx4 v[6:9], v[6:7], off
.LBB439_51:
	s_or_b64 exec, exec, s[2:3]
	v_mov_b32_e32 v17, 0
	v_mov_b32_e32 v10, 0
	;; [unrolled: 1-line block ×5, first 2 shown]
	s_and_saveexec_b64 s[2:3], vcc
	s_cbranch_execz .LBB439_53
; %bb.52:
	v_mov_b32_e32 v15, 0
	v_lshl_add_u64 v[10:11], s[4:5], 0, v[14:15]
	v_lshlrev_b32_e32 v14, 1, v18
	v_lshl_add_u64 v[10:11], v[10:11], 0, v[14:15]
	global_load_dwordx4 v[10:13], v[10:11], off offset:128
.LBB439_53:
	s_or_b64 exec, exec, s[2:3]
	v_mov_b32_e32 v16, 0
	v_mov_b32_e32 v15, 0
	;; [unrolled: 1-line block ×3, first 2 shown]
	s_and_saveexec_b64 s[2:3], s[0:1]
	s_cbranch_execz .LBB439_55
; %bb.54:
	v_mov_b32_e32 v21, 0
	v_lshl_add_u64 v[14:15], s[4:5], 0, v[20:21]
	v_lshlrev_b32_e32 v20, 1, v18
	v_lshl_add_u64 v[14:15], v[14:15], 0, v[20:21]
	global_load_dwordx4 v[14:17], v[14:15], off offset:128
.LBB439_55:
	s_or_b64 exec, exec, s[2:3]
	s_branch .LBB439_58
.LBB439_56:
                                        ; implicit-def: $vgpr5
                                        ; implicit-def: $vgpr9
                                        ; implicit-def: $vgpr13
                                        ; implicit-def: $vgpr17
	s_cbranch_execz .LBB439_58
; %bb.57:
	s_waitcnt vmcnt(0)
	v_lshlrev_b32_e32 v2, 1, v18
	v_lshl_or_b32 v18, v23, 9, v2
	s_and_b32 s5, s5, 0xffff
	s_mov_b32 s7, 0x20000
	s_movk_i32 s6, 0x4000
	s_movk_i32 s0, 0x80
	buffer_load_dwordx4 v[2:5], v18, s[4:7], 0 offen
	buffer_load_dwordx4 v[6:9], v18, s[4:7], 0 offen offset:256
	buffer_load_dwordx4 v[10:13], v18, s[4:7], s0 offen
	buffer_load_dwordx4 v[14:17], v18, s[4:7], s0 offen offset:256
.LBB439_58:
	ds_read_b64 v[20:21], v25 offset:32768
	v_add_u32_e32 v18, 0xb000, v24
	ds_read2_b64 v[32:35], v18 offset1:16
	ds_read_b64 v[40:41], v26 offset:32768
	ds_read_b64 v[26:27], v27 offset:32768
	;; [unrolled: 1-line block ×3, first 2 shown]
	v_and_b32_e32 v18, 6, v0
	v_xor_b32_e32 v23, v23, v18
	v_lshlrev_b32_e32 v23, 2, v23
	v_and_b32_e32 v0, 1, v0
	v_xor_b32_e32 v28, 0x440, v23
	v_cmp_eq_u32_e32 vcc, 0, v0
	s_waitcnt lgkmcnt(3)
	v_mfma_f32_16x16x16_bf16 a[0:3], v[20:21], v[32:33], a[0:3]
	s_mov_b32 s0, 0x1000504
	v_cndmask_b32_e32 v0, v28, v23, vcc
	v_lshl_or_b32 v0, v18, 10, v0
	v_mfma_f32_16x16x16_bf16 a[4:7], v[20:21], v[34:35], a[4:7]
	ds_read2st64_b64 v[32:35], v24 offset0:90 offset1:92
	ds_read2st64_b64 v[36:39], v29 offset0:90 offset1:92
	ds_read_b64 v[20:21], v24 offset:48128
	ds_read_b64 v[24:25], v29 offset:48128
	s_waitcnt vmcnt(0)
	v_perm_b32 v18, v2, v6, s0
	s_waitcnt lgkmcnt(3)
	v_mfma_f32_16x16x16_bf16 a[0:3], v[40:41], v[32:33], a[0:3]
	s_mov_b32 s1, 0x3020706
	v_perm_b32 v2, v2, v6, s1
	v_perm_b32 v6, v10, v14, s1
	s_waitcnt lgkmcnt(2)
	v_mfma_f32_16x16x16_bf16 a[4:7], v[40:41], v[36:37], a[4:7]
	v_mfma_f32_16x16x16_bf16 a[0:3], v[26:27], v[34:35], a[0:3]
	;; [unrolled: 1-line block ×3, first 2 shown]
	s_waitcnt lgkmcnt(1)
	v_mfma_f32_16x16x16_bf16 a[4:7], v[44:45], v[20:21], a[0:3]
	v_perm_b32 v20, v10, v14, s0
	ds_write2st64_b32 v0, v18, v20 offset0:32 offset1:64
	v_xor_b32_e32 v18, 8, v0
	v_add_u32_e32 v10, 0x80, v18
	ds_write2st64_b32 v10, v2, v6 offset0:32 offset1:64
	v_xor_b32_e32 v2, 16, v0
	v_perm_b32 v6, v3, v7, s0
	v_perm_b32 v10, v11, v15, s0
	ds_write2st64_b32 v2, v6, v10 offset0:33 offset1:65
	v_xor_b32_e32 v2, 24, v0
	v_perm_b32 v3, v3, v7, s1
	v_perm_b32 v6, v11, v15, s1
	v_add_u32_e32 v2, 0x80, v2
	ds_write2st64_b32 v2, v3, v6 offset0:33 offset1:65
	v_xor_b32_e32 v2, 32, v0
	v_perm_b32 v3, v4, v8, s0
	v_perm_b32 v6, v12, v16, s0
	s_waitcnt lgkmcnt(4)
	v_mfma_f32_16x16x16_bf16 a[0:3], v[44:45], v[24:25], a[8:11]
	ds_write2st64_b32 v2, v3, v6 offset0:34 offset1:66
	v_xor_b32_e32 v2, 40, v0
	v_perm_b32 v3, v4, v8, s1
	v_perm_b32 v4, v12, v16, s1
	v_add_u32_e32 v2, 0x80, v2
	ds_write2st64_b32 v2, v3, v4 offset0:34 offset1:66
	v_xor_b32_e32 v2, 48, v0
	v_perm_b32 v3, v5, v9, s0
	v_perm_b32 v4, v13, v17, s0
	v_xor_b32_e32 v0, 56, v0
	v_and_or_b32 v21, v30, 12, v1
	ds_write2st64_b32 v2, v3, v4 offset0:35 offset1:67
	v_perm_b32 v2, v5, v9, s1
	v_perm_b32 v3, v13, v17, s1
	v_add_u32_e32 v0, 0x80, v0
	v_cmp_gt_i32_e32 vcc, s47, v21
	v_mov_b32_e32 v16, 0
	v_mov_b32_e32 v18, 0
	ds_write2st64_b32 v0, v2, v3 offset0:35 offset1:67
	s_and_saveexec_b64 s[0:1], vcc
	s_cbranch_execz .LBB439_60
; %bb.59:
	v_add_u32_e32 v0, s38, v21
	v_ashrrev_i32_e32 v1, 31, v0
	v_mul_lo_u32 v2, v1, s34
	v_mul_lo_u32 v3, v0, s35
	v_mad_u64_u32 v[0:1], s[2:3], v0, s34, 0
	v_add3_u32 v1, v1, v3, v2
	v_lshl_add_u64 v[0:1], v[0:1], 2, s[10:11]
	global_load_dword v0, v[0:1], off
	s_waitcnt vmcnt(0)
	v_sub_f32_e32 v0, s12, v0
	v_exp_f32_e32 v18, v0
.LBB439_60:
	s_or_b64 exec, exec, s[0:1]
	v_or_b32_e32 v10, 1, v21
	v_cmp_gt_i32_e64 s[2:3], s47, v10
	s_and_saveexec_b64 s[0:1], s[2:3]
	s_cbranch_execz .LBB439_62
; %bb.61:
	v_add_u32_e32 v0, s38, v10
	v_ashrrev_i32_e32 v1, 31, v0
	v_mul_lo_u32 v2, v1, s34
	v_mul_lo_u32 v3, v0, s35
	v_mad_u64_u32 v[0:1], s[4:5], v0, s34, 0
	v_add3_u32 v1, v1, v3, v2
	v_lshl_add_u64 v[0:1], v[0:1], 2, s[10:11]
	global_load_dword v0, v[0:1], off
	s_waitcnt vmcnt(0)
	v_sub_f32_e32 v0, s12, v0
	v_exp_f32_e32 v16, v0
.LBB439_62:
	s_or_b64 exec, exec, s[0:1]
	v_or_b32_e32 v12, 2, v21
	v_cmp_gt_i32_e64 s[0:1], s47, v12
	v_mov_b32_e32 v17, 0
	v_mov_b32_e32 v20, 0
	s_and_saveexec_b64 s[4:5], s[0:1]
	s_cbranch_execz .LBB439_64
; %bb.63:
	v_add_u32_e32 v0, s38, v12
	v_ashrrev_i32_e32 v1, 31, v0
	v_mul_lo_u32 v2, v1, s34
	v_mul_lo_u32 v3, v0, s35
	v_mad_u64_u32 v[0:1], s[6:7], v0, s34, 0
	v_add3_u32 v1, v1, v3, v2
	v_lshl_add_u64 v[0:1], v[0:1], 2, s[10:11]
	global_load_dword v0, v[0:1], off
	s_waitcnt vmcnt(0)
	v_sub_f32_e32 v0, s12, v0
	v_exp_f32_e32 v20, v0
.LBB439_64:
	s_or_b64 exec, exec, s[4:5]
	v_or_b32_e32 v14, 3, v21
	v_cmp_gt_i32_e64 s[4:5], s47, v14
	s_and_saveexec_b64 s[6:7], s[4:5]
	s_cbranch_execz .LBB439_66
; %bb.65:
	v_add_u32_e32 v0, s38, v14
	v_ashrrev_i32_e32 v1, 31, v0
	v_mul_lo_u32 v2, v1, s34
	v_mul_lo_u32 v3, v0, s35
	v_mad_u64_u32 v[0:1], s[16:17], v0, s34, 0
	v_add3_u32 v1, v1, v3, v2
	v_lshl_add_u64 v[0:1], v[0:1], 2, s[10:11]
	global_load_dword v0, v[0:1], off
	s_waitcnt vmcnt(0)
	v_sub_f32_e32 v0, s12, v0
	v_exp_f32_e32 v17, v0
.LBB439_66:
	s_or_b64 exec, exec, s[6:7]
	s_add_u32 s6, s8, s28
	v_or_b32_e32 v4, s36, v42
	s_addc_u32 s7, s9, s29
	s_add_u32 s8, s14, s28
	v_ashrrev_i32_e32 v5, 31, v4
	v_accvgpr_read_b32 v0, a4
	s_addc_u32 s9, s15, s29
	v_lshlrev_b64 v[4:5], 1, v[4:5]
	v_accvgpr_read_b32 v1, a5
	v_accvgpr_read_b32 v2, a6
	;; [unrolled: 1-line block ×3, first 2 shown]
	v_lshl_add_u64 v[6:7], s[6:7], 0, v[4:5]
	v_lshl_add_u64 v[4:5], s[8:9], 0, v[4:5]
	v_mov_b32_e32 v11, 0
	v_lshlrev_b32_e32 v8, 8, v21
	v_mov_b32_e32 v9, 0
	s_and_saveexec_b64 s[6:7], vcc
	s_cbranch_execz .LBB439_68
; %bb.67:
	v_mov_b32_e32 v9, 0
	v_lshl_add_u64 v[24:25], v[6:7], 0, v[8:9]
	global_load_ushort v13, v[24:25], off
	v_lshl_add_u64 v[24:25], v[4:5], 0, v[8:9]
	s_waitcnt vmcnt(0)
	v_lshlrev_b32_e32 v9, 16, v13
	v_sub_f32_e32 v0, v9, v0
	global_store_short_d16_hi v[24:25], v0, off
	v_mul_f32_e32 v0, v18, v0
	v_lshrrev_b32_e32 v9, 16, v0
.LBB439_68:
	s_or_b64 exec, exec, s[6:7]
	v_lshlrev_b32_e32 v10, 8, v10
	s_and_saveexec_b64 s[6:7], s[2:3]
	s_cbranch_execz .LBB439_70
; %bb.69:
	v_mov_b32_e32 v11, 0
	v_lshl_add_u64 v[24:25], v[6:7], 0, v[10:11]
	global_load_ushort v0, v[24:25], off
	v_lshl_add_u64 v[24:25], v[4:5], 0, v[10:11]
	s_waitcnt vmcnt(0)
	v_lshlrev_b32_e32 v0, 16, v0
	v_sub_f32_e32 v0, v0, v1
	global_store_short_d16_hi v[24:25], v0, off
	v_mul_f32_e32 v0, v16, v0
	v_lshrrev_b32_e32 v11, 16, v0
.LBB439_70:
	s_or_b64 exec, exec, s[6:7]
	v_mov_b32_e32 v15, 0
	v_lshlrev_b32_e32 v12, 8, v12
	v_mov_b32_e32 v13, 0
	s_and_saveexec_b64 s[6:7], s[0:1]
	s_cbranch_execz .LBB439_72
; %bb.71:
	v_mov_b32_e32 v13, 0
	v_lshl_add_u64 v[0:1], v[6:7], 0, v[12:13]
	global_load_ushort v23, v[0:1], off
	v_lshl_add_u64 v[0:1], v[4:5], 0, v[12:13]
	s_waitcnt vmcnt(0)
	v_lshlrev_b32_e32 v13, 16, v23
	v_sub_f32_e32 v2, v13, v2
	global_store_short_d16_hi v[0:1], v2, off
	v_mul_f32_e32 v0, v20, v2
	v_lshrrev_b32_e32 v13, 16, v0
.LBB439_72:
	s_or_b64 exec, exec, s[6:7]
	v_lshlrev_b32_e32 v14, 8, v14
	s_and_saveexec_b64 s[6:7], s[4:5]
	s_cbranch_execz .LBB439_74
; %bb.73:
	v_mov_b32_e32 v15, 0
	v_lshl_add_u64 v[0:1], v[6:7], 0, v[14:15]
	global_load_ushort v2, v[0:1], off
	v_lshl_add_u64 v[0:1], v[4:5], 0, v[14:15]
	s_waitcnt vmcnt(0)
	v_lshlrev_b32_e32 v2, 16, v2
	v_sub_f32_e32 v2, v2, v3
	global_store_short_d16_hi v[0:1], v2, off
	v_mul_f32_e32 v0, v17, v2
	v_lshrrev_b32_e32 v15, 16, v0
.LBB439_74:
	s_or_b64 exec, exec, s[6:7]
	v_lshlrev_b32_e32 v21, 5, v21
	s_mov_b32 s6, 0x5040100
	v_perm_b32 v24, v11, v9, s6
	v_or_b32_e32 v9, v21, v22
	v_accvgpr_read_b32 v0, a0
	v_perm_b32 v25, v15, v13, s6
	v_lshlrev_b32_e32 v9, 1, v9
	v_accvgpr_read_b32 v1, a1
	v_accvgpr_read_b32 v2, a2
	;; [unrolled: 1-line block ×3, first 2 shown]
	ds_write_b64 v9, v[24:25] offset:45056
	v_mov_b32_e32 v11, 0
	v_mov_b32_e32 v9, 0
	s_and_saveexec_b64 s[6:7], vcc
	s_cbranch_execz .LBB439_76
; %bb.75:
	v_mov_b32_e32 v9, 0
	v_lshl_add_u64 v[22:23], v[6:7], 0, v[8:9]
	global_load_ushort v13, v[22:23], off offset:32
	v_lshl_add_u64 v[8:9], v[4:5], 0, v[8:9]
	s_waitcnt vmcnt(0)
	v_lshlrev_b32_e32 v13, 16, v13
	v_sub_f32_e32 v0, v13, v0
	global_store_short_d16_hi v[8:9], v0, off offset:32
	v_mul_f32_e32 v0, v18, v0
	v_lshrrev_b32_e32 v9, 16, v0
.LBB439_76:
	s_or_b64 exec, exec, s[6:7]
	s_and_saveexec_b64 s[6:7], s[2:3]
	s_cbranch_execz .LBB439_78
; %bb.77:
	v_mov_b32_e32 v11, 0
	v_lshl_add_u64 v[22:23], v[6:7], 0, v[10:11]
	global_load_ushort v0, v[22:23], off offset:32
	v_lshl_add_u64 v[10:11], v[4:5], 0, v[10:11]
	s_waitcnt vmcnt(0)
	v_lshlrev_b32_e32 v0, 16, v0
	v_sub_f32_e32 v0, v0, v1
	global_store_short_d16_hi v[10:11], v0, off offset:32
	v_mul_f32_e32 v0, v16, v0
	v_lshrrev_b32_e32 v11, 16, v0
.LBB439_78:
	s_or_b64 exec, exec, s[6:7]
	v_mov_b32_e32 v0, 0
	v_mov_b32_e32 v1, 0
	s_and_saveexec_b64 s[2:3], s[0:1]
	s_cbranch_execz .LBB439_80
; %bb.79:
	v_mov_b32_e32 v13, 0
	v_lshl_add_u64 v[22:23], v[6:7], 0, v[12:13]
	global_load_ushort v1, v[22:23], off offset:32
	v_lshl_add_u64 v[12:13], v[4:5], 0, v[12:13]
	s_waitcnt vmcnt(0)
	v_lshlrev_b32_e32 v1, 16, v1
	v_sub_f32_e32 v1, v1, v2
	global_store_short_d16_hi v[12:13], v1, off offset:32
	v_mul_f32_e32 v1, v20, v1
	v_lshrrev_b32_e32 v1, 16, v1
.LBB439_80:
	s_or_b64 exec, exec, s[2:3]
	s_and_saveexec_b64 s[0:1], s[4:5]
	s_cbranch_execz .LBB439_82
; %bb.81:
	v_mov_b32_e32 v15, 0
	v_lshl_add_u64 v[6:7], v[6:7], 0, v[14:15]
	global_load_ushort v0, v[6:7], off offset:32
	v_lshl_add_u64 v[4:5], v[4:5], 0, v[14:15]
	s_waitcnt vmcnt(0)
	v_lshlrev_b32_e32 v0, 16, v0
	v_sub_f32_e32 v0, v0, v3
	global_store_short_d16_hi v[4:5], v0, off offset:32
	v_mul_f32_e32 v0, v17, v0
	v_lshrrev_b32_e32 v0, 16, v0
.LBB439_82:
	s_or_b64 exec, exec, s[0:1]
	s_mov_b32 s0, 0x5040100
	v_or_b32_e32 v2, v21, v19
	v_perm_b32 v1, v0, v1, s0
	v_perm_b32 v0, v11, v9, s0
	v_lshlrev_b32_e32 v2, 1, v2
	ds_write_b64 v2, v[0:1] offset:45056
	s_waitcnt lgkmcnt(0)
	s_barrier
.LBB439_83:
	s_endpgm
	.section	.rodata,"a",@progbits
	.p2align	6, 0x0
	.amdhsa_kernel _ZN12_GLOBAL__N_139chunk_gated_delta_rule_fwd_h_hip_kernelILi32ELb0ELb0ELb1ELb1ELb1ELb0ELb0ELb0EEEvPK12hip_bfloat16S3_S3_PKfS5_PKvPS1_S8_PvPKiSB_iiiiilll
		.amdhsa_group_segment_fixed_size 49152
		.amdhsa_private_segment_fixed_size 0
		.amdhsa_kernarg_size 136
		.amdhsa_user_sgpr_count 2
		.amdhsa_user_sgpr_dispatch_ptr 0
		.amdhsa_user_sgpr_queue_ptr 0
		.amdhsa_user_sgpr_kernarg_segment_ptr 1
		.amdhsa_user_sgpr_dispatch_id 0
		.amdhsa_user_sgpr_kernarg_preload_length 0
		.amdhsa_user_sgpr_kernarg_preload_offset 0
		.amdhsa_user_sgpr_private_segment_size 0
		.amdhsa_uses_dynamic_stack 0
		.amdhsa_enable_private_segment 0
		.amdhsa_system_sgpr_workgroup_id_x 1
		.amdhsa_system_sgpr_workgroup_id_y 1
		.amdhsa_system_sgpr_workgroup_id_z 0
		.amdhsa_system_sgpr_workgroup_info 0
		.amdhsa_system_vgpr_workitem_id 0
		.amdhsa_next_free_vgpr 152
		.amdhsa_next_free_sgpr 62
		.amdhsa_accum_offset 132
		.amdhsa_reserve_vcc 1
		.amdhsa_float_round_mode_32 0
		.amdhsa_float_round_mode_16_64 0
		.amdhsa_float_denorm_mode_32 3
		.amdhsa_float_denorm_mode_16_64 3
		.amdhsa_dx10_clamp 1
		.amdhsa_ieee_mode 1
		.amdhsa_fp16_overflow 0
		.amdhsa_tg_split 0
		.amdhsa_exception_fp_ieee_invalid_op 0
		.amdhsa_exception_fp_denorm_src 0
		.amdhsa_exception_fp_ieee_div_zero 0
		.amdhsa_exception_fp_ieee_overflow 0
		.amdhsa_exception_fp_ieee_underflow 0
		.amdhsa_exception_fp_ieee_inexact 0
		.amdhsa_exception_int_div_zero 0
	.end_amdhsa_kernel
	.section	.text._ZN12_GLOBAL__N_139chunk_gated_delta_rule_fwd_h_hip_kernelILi32ELb0ELb0ELb1ELb1ELb1ELb0ELb0ELb0EEEvPK12hip_bfloat16S3_S3_PKfS5_PKvPS1_S8_PvPKiSB_iiiiilll,"axG",@progbits,_ZN12_GLOBAL__N_139chunk_gated_delta_rule_fwd_h_hip_kernelILi32ELb0ELb0ELb1ELb1ELb1ELb0ELb0ELb0EEEvPK12hip_bfloat16S3_S3_PKfS5_PKvPS1_S8_PvPKiSB_iiiiilll,comdat
.Lfunc_end439:
	.size	_ZN12_GLOBAL__N_139chunk_gated_delta_rule_fwd_h_hip_kernelILi32ELb0ELb0ELb1ELb1ELb1ELb0ELb0ELb0EEEvPK12hip_bfloat16S3_S3_PKfS5_PKvPS1_S8_PvPKiSB_iiiiilll, .Lfunc_end439-_ZN12_GLOBAL__N_139chunk_gated_delta_rule_fwd_h_hip_kernelILi32ELb0ELb0ELb1ELb1ELb1ELb0ELb0ELb0EEEvPK12hip_bfloat16S3_S3_PKfS5_PKvPS1_S8_PvPKiSB_iiiiilll
                                        ; -- End function
	.section	.AMDGPU.csdata,"",@progbits
; Kernel info:
; codeLenInByte = 8528
; NumSgprs: 68
; NumVgprs: 132
; NumAgprs: 20
; TotalNumVgprs: 152
; ScratchSize: 0
; MemoryBound: 0
; FloatMode: 240
; IeeeMode: 1
; LDSByteSize: 49152 bytes/workgroup (compile time only)
; SGPRBlocks: 8
; VGPRBlocks: 18
; NumSGPRsForWavesPerEU: 68
; NumVGPRsForWavesPerEU: 152
; AccumOffset: 132
; Occupancy: 1
; WaveLimiterHint : 1
; COMPUTE_PGM_RSRC2:SCRATCH_EN: 0
; COMPUTE_PGM_RSRC2:USER_SGPR: 2
; COMPUTE_PGM_RSRC2:TRAP_HANDLER: 0
; COMPUTE_PGM_RSRC2:TGID_X_EN: 1
; COMPUTE_PGM_RSRC2:TGID_Y_EN: 1
; COMPUTE_PGM_RSRC2:TGID_Z_EN: 0
; COMPUTE_PGM_RSRC2:TIDIG_COMP_CNT: 0
; COMPUTE_PGM_RSRC3_GFX90A:ACCUM_OFFSET: 32
; COMPUTE_PGM_RSRC3_GFX90A:TG_SPLIT: 0
	.section	.text._ZN12_GLOBAL__N_139chunk_gated_delta_rule_fwd_h_hip_kernelILi32ELb0ELb0ELb0ELb1ELb1ELb0ELb0ELb0EEEvPK12hip_bfloat16S3_S3_PKfS5_PKvPS1_S8_PvPKiSB_iiiiilll,"axG",@progbits,_ZN12_GLOBAL__N_139chunk_gated_delta_rule_fwd_h_hip_kernelILi32ELb0ELb0ELb0ELb1ELb1ELb0ELb0ELb0EEEvPK12hip_bfloat16S3_S3_PKfS5_PKvPS1_S8_PvPKiSB_iiiiilll,comdat
	.globl	_ZN12_GLOBAL__N_139chunk_gated_delta_rule_fwd_h_hip_kernelILi32ELb0ELb0ELb0ELb1ELb1ELb0ELb0ELb0EEEvPK12hip_bfloat16S3_S3_PKfS5_PKvPS1_S8_PvPKiSB_iiiiilll ; -- Begin function _ZN12_GLOBAL__N_139chunk_gated_delta_rule_fwd_h_hip_kernelILi32ELb0ELb0ELb0ELb1ELb1ELb0ELb0ELb0EEEvPK12hip_bfloat16S3_S3_PKfS5_PKvPS1_S8_PvPKiSB_iiiiilll
	.p2align	8
	.type	_ZN12_GLOBAL__N_139chunk_gated_delta_rule_fwd_h_hip_kernelILi32ELb0ELb0ELb0ELb1ELb1ELb0ELb0ELb0EEEvPK12hip_bfloat16S3_S3_PKfS5_PKvPS1_S8_PvPKiSB_iiiiilll,@function
_ZN12_GLOBAL__N_139chunk_gated_delta_rule_fwd_h_hip_kernelILi32ELb0ELb0ELb0ELb1ELb1ELb0ELb0ELb0EEEvPK12hip_bfloat16S3_S3_PKfS5_PKvPS1_S8_PvPKiSB_iiiiilll: ; @_ZN12_GLOBAL__N_139chunk_gated_delta_rule_fwd_h_hip_kernelILi32ELb0ELb0ELb0ELb1ELb1ELb0ELb0ELb0EEEvPK12hip_bfloat16S3_S3_PKfS5_PKvPS1_S8_PvPKiSB_iiiiilll
; %bb.0:
	s_load_dwordx4 s[12:15], s[0:1], 0x5c
	s_load_dwordx4 s[16:19], s[0:1], 0x70
	s_abs_i32 s21, s3
	s_ashr_i32 s20, s3, 31
	s_load_dwordx2 s[36:37], s[0:1], 0x30
	s_load_dwordx4 s[24:27], s[0:1], 0x48
	s_waitcnt lgkmcnt(0)
	s_abs_i32 s28, s13
	v_cvt_f32_u32_e32 v1, s28
	s_sub_i32 s22, 0, s28
	s_ashr_i32 s29, s13, 31
	s_xor_b32 s20, s20, s29
	v_rcp_iflag_f32_e32 v1, v1
	s_load_dwordx8 s[4:11], s[0:1], 0x0
	v_lshrrev_b32_e32 v42, 6, v0
	v_bfe_u32 v43, v0, 4, 2
	v_mul_f32_e32 v1, 0x4f7ffffe, v1
	v_cvt_u32_f32_e32 v1, v1
	v_lshlrev_b32_e32 v2, 2, v43
	v_and_b32_e32 v41, 63, v0
	v_and_b32_e32 v40, 15, v0
	v_readfirstlane_b32 s23, v1
	s_mul_i32 s22, s22, s23
	s_mul_hi_u32 s22, s23, s22
	s_add_i32 s23, s23, s22
	s_mul_hi_u32 s22, s21, s23
	s_mul_i32 s23, s22, s28
	s_sub_i32 s21, s21, s23
	s_add_i32 s30, s22, 1
	s_sub_i32 s23, s21, s28
	s_cmp_ge_u32 s21, s28
	s_cselect_b32 s22, s30, s22
	s_cselect_b32 s21, s23, s21
	s_add_i32 s23, s22, 1
	s_cmp_ge_u32 s21, s28
	s_cselect_b32 s21, s23, s22
	s_xor_b32 s21, s21, s20
	s_sub_i32 s20, s21, s20
	s_mul_i32 s21, s20, s13
	s_sub_i32 s33, s3, s21
	s_ashr_i32 s21, s20, 31
	s_lshl_b64 s[22:23], s[20:21], 2
	s_add_u32 s24, s24, s22
	s_addc_u32 s25, s25, s23
	s_add_u32 s22, s26, s22
	s_addc_u32 s23, s27, s23
	s_abs_i32 s3, s14
	v_cvt_f32_u32_e32 v1, s3
	s_load_dwordx2 s[34:35], s[24:25], 0x0
	s_sub_i32 s25, 0, s3
	s_load_dword s45, s[22:23], 0x0
	v_rcp_iflag_f32_e32 v1, v1
	v_mov_b32_e32 v3, 0
	s_waitcnt lgkmcnt(0)
	s_sub_i32 s44, s35, s34
	s_ashr_i32 s24, s44, 31
	v_mul_f32_e32 v1, 0x4f7ffffe, v1
	v_cvt_u32_f32_e32 v1, v1
	s_lshr_b32 s24, s24, 26
	s_add_i32 s24, s44, s24
	s_ashr_i32 s43, s24, 6
	v_readfirstlane_b32 s26, v1
	s_mul_i32 s25, s25, s26
	s_mul_hi_u32 s25, s26, s25
	s_add_i32 s26, s26, s25
	s_mul_hi_u32 s25, s28, s26
	s_mul_i32 s26, s25, s3
	s_ashr_i32 s24, s14, 31
	s_sub_i32 s26, s28, s26
	s_xor_b32 s24, s29, s24
	s_add_i32 s27, s25, 1
	s_sub_i32 s28, s26, s3
	s_cmp_ge_u32 s26, s3
	s_cselect_b32 s25, s27, s25
	s_cselect_b32 s26, s28, s26
	s_add_i32 s27, s25, 1
	s_cmp_ge_u32 s26, s3
	s_cselect_b32 s3, s27, s25
	s_xor_b32 s3, s3, s24
	s_sub_i32 s3, s3, s24
	s_abs_i32 s24, s3
	v_cvt_f32_u32_e32 v1, s24
	s_load_dwordx2 s[28:29], s[0:1], 0x80
	s_xor_b32 s0, s33, s3
	s_sub_i32 s3, 0, s24
	v_rcp_iflag_f32_e32 v1, v1
	s_abs_i32 s1, s33
	s_ashr_i32 s0, s0, 31
	s_mul_hi_i32 s46, s33, s12
	v_mul_f32_e32 v1, 0x4f7ffffe, v1
	v_cvt_u32_f32_e32 v1, v1
	s_mul_i32 s47, s33, s12
	v_lshrrev_b32_e32 v45, 3, v41
	v_lshlrev_b32_e32 v44, 3, v0
	v_readfirstlane_b32 s22, v1
	s_mul_i32 s3, s3, s22
	s_mul_hi_u32 s3, s22, s3
	s_add_i32 s22, s22, s3
	s_mul_hi_u32 s3, s1, s22
	s_mul_i32 s22, s3, s24
	s_sub_i32 s1, s1, s22
	s_add_i32 s22, s3, 1
	s_sub_i32 s23, s1, s24
	s_cmp_ge_u32 s1, s24
	s_cselect_b32 s3, s22, s3
	s_cselect_b32 s1, s23, s1
	s_add_i32 s22, s3, 1
	s_cmp_ge_u32 s1, s24
	s_cselect_b32 s1, s22, s3
	s_xor_b32 s1, s1, s0
	v_lshlrev_b32_e32 v1, 4, v42
	s_sub_i32 s48, s1, s0
	v_or_b32_e32 v46, v2, v1
	s_lshl_b32 s30, s2, 5
	v_or_b32_e32 v47, 64, v46
	s_cmp_lt_i32 s44, 64
	s_mul_i32 s40, s20, s17
	s_mul_hi_u32 s41, s20, s16
	s_mul_i32 s42, s21, s16
	s_mul_i32 s16, s20, s16
	v_mov_b32_e32 v64, 0
	v_mov_b32_e32 v62, 0
	;; [unrolled: 1-line block ×15, first 2 shown]
	s_cbranch_scc1 .LBB440_18
; %bb.1:
	s_ashr_i32 s51, s33, 31
	s_ashr_i32 s1, s34, 31
	s_add_u32 s0, s47, s34
	s_addc_u32 s1, s46, s1
	s_lshl_b64 s[0:1], s[0:1], 8
	v_and_b32_e32 v49, 56, v44
	s_add_u32 s0, s6, s0
	v_lshl_or_b32 v48, v42, 3, v45
	v_lshlrev_b32_e32 v3, 1, v49
	s_addc_u32 s1, s7, s1
	v_lshl_or_b32 v50, v48, 8, v3
	s_and_b32 s1, s1, 0xffff
	s_mov_b32 s3, 0x20000
	s_movk_i32 s2, 0x4000
	s_movk_i32 s17, 0x80
	v_or_b32_e32 v51, 0x2000, v50
	buffer_load_dwordx4 v[4:7], v50, s[0:3], 0 offen
	buffer_load_dwordx4 v[8:11], v50, s[0:3], s17 offen
	;; [unrolled: 1-line block ×4, first 2 shown]
	v_lshlrev_b32_e32 v20, 3, v48
	v_and_or_b32 v22, v0, 7, v20
	v_and_b32_e32 v20, 0x78, v20
	v_lshlrev_b32_e32 v22, 4, v22
	v_xor_b32_e32 v52, v22, v20
	v_mul_lo_u32 v21, v48, s15
	v_or_b32_e32 v53, 0x1000, v52
	s_cmpk_eq_i32 s15, 0x80
	s_mov_b32 s49, s13
	s_mov_b32 s50, s34
	v_xor_b32_e32 v20, 8, v52
	v_xor_b32_e32 v22, 8, v53
	s_cselect_b64 s[0:1], -1, 0
	s_cmpk_lg_i32 s15, 0x80
	s_waitcnt vmcnt(3)
	ds_write_b64 v52, v[4:5] offset:24576
	ds_write_b64 v20, v[6:7] offset:24576
	s_waitcnt vmcnt(2)
	ds_write_b64 v52, v[8:9] offset:32768
	ds_write_b64 v20, v[10:11] offset:32768
	;; [unrolled: 3-line block ×4, first 2 shown]
	v_lshl_add_u32 v4, v21, 1, v49
	s_cbranch_scc0 .LBB440_3
; %bb.2:
	v_lshlrev_b32_e32 v6, 1, v4
	v_add_lshl_u32 v5, v4, s15, 1
	s_lshl_b32 s22, s15, 7
	v_lshl_or_b32 v3, v48, 9, v3
	s_cbranch_execz .LBB440_4
	s_branch .LBB440_5
.LBB440_3:
                                        ; implicit-def: $vgpr5
                                        ; implicit-def: $vgpr6
                                        ; implicit-def: $sgpr22
	v_lshl_or_b32 v3, v48, 9, v3
.LBB440_4:
	v_or_b32_e32 v5, 0x100, v3
	s_movk_i32 s22, 0x4000
	v_mov_b32_e32 v6, v3
.LBB440_5:
	s_mul_i32 s2, s34, s14
	s_ashr_i32 s52, s48, 31
	s_mul_hi_i32 s3, s34, s14
	s_add_u32 s2, s2, s48
	s_addc_u32 s3, s3, s52
	s_lshl_b64 s[2:3], s[2:3], 8
	s_add_u32 s20, s4, s2
	s_addc_u32 s2, s5, s3
	s_and_b32 s21, s2, 0xffff
	s_mov_b32 s23, 0x20000
	s_movk_i32 s53, 0x80
	buffer_load_dwordx4 v[8:11], v6, s[20:23], 0 offen
	buffer_load_dwordx4 v[12:15], v6, s[20:23], s53 offen
	;; [unrolled: 1-line block ×4, first 2 shown]
	v_and_b32_e32 v5, 6, v0
	v_lshlrev_b32_e32 v24, 6, v46
	v_or_b32_e32 v26, 16, v40
	v_xor_b32_e32 v27, v48, v5
	v_and_b32_e32 v6, 1, v0
	s_mul_i32 s2, s33, s19
	s_mul_hi_u32 s3, s33, s18
	v_lshl_or_b32 v30, v40, 3, v24
	v_lshl_or_b32 v24, v26, 3, v24
	v_lshlrev_b32_e32 v27, 2, v27
	s_add_i32 s17, s41, s40
	v_lshlrev_b32_e32 v7, 2, v40
	s_mul_i32 s20, s51, s18
	v_or_b32_e32 v56, 0xa000, v24
	v_or_b32_e32 v57, 0xb000, v24
	v_xor_b32_e32 v24, 0x440, v27
	v_cmp_eq_u32_e32 vcc, 0, v6
	s_add_i32 s2, s3, s2
	s_add_i32 s17, s17, s42
	v_xor_b32_e32 v28, v46, v7
	v_xor_b32_e32 v29, v47, v7
	v_cndmask_b32_e32 v6, v24, v27, vcc
	s_add_i32 s3, s2, s20
	s_lshl_b64 s[20:21], s[16:17], 2
	s_mov_b32 s54, 0x1000504
	v_lshlrev_b32_e32 v25, 8, v40
	v_lshlrev_b32_e32 v26, 8, v26
	;; [unrolled: 1-line block ×4, first 2 shown]
	v_lshl_or_b32 v5, v5, 10, v6
	s_mul_i32 s2, s33, s18
	s_add_u32 s17, s10, s20
	s_mov_b32 s55, 0x3020706
	v_or_b32_e32 v54, 0xa000, v30
	v_or_b32_e32 v55, 0xb000, v30
	;; [unrolled: 1-line block ×5, first 2 shown]
	v_xor_b32_e32 v6, 8, v5
	v_xor_b32_e32 v25, 24, v5
	;; [unrolled: 1-line block ×4, first 2 shown]
	s_addc_u32 s20, s11, s21
	s_lshl_b64 s[2:3], s[2:3], 2
	v_or_b32_e32 v60, v26, v28
	v_xor_b32_e32 v24, 16, v5
	v_xor_b32_e32 v26, 32, v5
	;; [unrolled: 1-line block ×3, first 2 shown]
	v_add_u32_e32 v6, 0x80, v6
	v_add_u32_e32 v25, 0x80, v25
	;; [unrolled: 1-line block ×4, first 2 shown]
	s_add_u32 s2, s17, s2
	s_addc_u32 s3, s20, s3
	s_movk_i32 s20, 0xf8
	s_ashr_i32 s31, s30, 31
	s_lshl_b32 s26, s15, 7
	s_movk_i32 s24, 0x100
	v_mov_b32_e32 v35, 0
	v_lshlrev_b32_e32 v34, 4, v40
	v_cmp_gt_u32_e32 vcc, s24, v0
	s_mov_b32 s56, 0
	s_movk_i32 s17, 0x1000
	s_movk_i32 s22, 0x4000
	v_add_u32_e32 v91, v1, v2
	v_mov_b32_e32 v73, v35
	v_mov_b32_e32 v72, v35
	v_mov_b32_e32 v74, v35
	v_mov_b32_e32 v98, v35
	v_mov_b32_e32 v69, v35
	v_mov_b32_e32 v68, v35
	v_mov_b32_e32 v70, v35
	v_mov_b32_e32 v96, v35
	v_mov_b32_e32 v66, v35
	v_mov_b32_e32 v65, v35
	v_mov_b32_e32 v67, v35
	v_mov_b32_e32 v99, v35
	v_mov_b32_e32 v63, v35
	s_waitcnt vmcnt(1)
	v_perm_b32 v30, v8, v16, s54
	s_waitcnt vmcnt(0)
	v_perm_b32 v31, v12, v20, s54
	v_perm_b32 v8, v8, v16, s55
	v_perm_b32 v12, v12, v20, s55
	v_perm_b32 v16, v9, v17, s54
	v_perm_b32 v20, v13, v21, s54
	v_perm_b32 v9, v9, v17, s55
	v_perm_b32 v13, v13, v21, s55
	v_perm_b32 v17, v10, v18, s54
	v_perm_b32 v21, v14, v22, s54
	v_perm_b32 v10, v10, v18, s55
	v_perm_b32 v14, v14, v22, s55
	v_perm_b32 v18, v11, v19, s54
	v_perm_b32 v22, v15, v23, s54
	v_perm_b32 v11, v11, v19, s55
	v_perm_b32 v15, v15, v23, s55
	ds_write2st64_b32 v5, v30, v31 offset0:32 offset1:64
	ds_write2st64_b32 v6, v8, v12 offset0:32 offset1:64
	;; [unrolled: 1-line block ×8, first 2 shown]
	v_or_b32_e32 v5, v1, v40
	v_lshlrev_b32_e32 v5, 3, v5
	v_lshrrev_b32_e32 v8, 5, v41
	v_and_or_b32 v8, v5, s20, v8
	v_lshlrev_b32_e32 v8, 4, v8
	v_lshlrev_b32_e32 v9, 11, v42
	v_and_b32_e32 v5, 0x78, v5
	v_or_b32_e32 v13, 32, v8
	v_and_b32_e32 v6, 0x1000, v9
	v_lshrrev_b32_e32 v11, 1, v0
	v_xor_b32_e32 v13, v13, v5
	v_and_b32_e32 v12, 8, v11
	v_or_b32_e32 v13, v13, v6
	v_xor_b32_e32 v10, v8, v5
	v_xor_b32_e32 v76, v13, v12
	v_or_b32_e32 v13, 64, v8
	v_or_b32_e32 v8, 0x60, v8
	v_xor_b32_e32 v13, v13, v5
	v_xor_b32_e32 v5, v8, v5
	v_or_b32_e32 v10, v10, v6
	v_or_b32_e32 v13, v13, v6
	;; [unrolled: 1-line block ×3, first 2 shown]
	s_lshl_b64 s[20:21], s[30:31], 8
	v_xor_b32_e32 v71, v10, v12
	v_xor_b32_e32 v78, v13, v12
	v_xor_b32_e32 v79, v5, v12
	v_lshlrev_b32_e32 v12, 1, v4
	v_add_lshl_u32 v13, v4, s15, 1
	s_add_u32 s20, s36, s20
	v_lshlrev_b32_e32 v4, 1, v40
	v_lshrrev_b32_e32 v15, 4, v0
	s_addc_u32 s21, s37, s21
	v_or_b32_e32 v5, 1, v4
	v_mov_b32_e32 v19, 0x4000
	v_mov_b32_e32 v20, 0x2000
	v_xor_b32_e32 v16, v15, v4
	v_xor_b32_e32 v17, v5, v15
	v_lshl_add_u64 v[4:5], s[20:21], 0, v[34:35]
	v_lshlrev_b32_e32 v34, 8, v15
	v_cndmask_b32_e32 v19, v19, v20, vcc
	v_lshlrev_b32_e32 v20, 3, v42
	v_and_b32_e32 v11, 24, v11
	v_lshl_or_b32 v82, v16, 3, v34
	v_and_b32_e32 v16, 8, v0
	v_xor_b32_e32 v21, v20, v11
	v_or_b32_e32 v22, 0x440, v21
	v_cmp_eq_u32_e32 vcc, 0, v16
	v_and_b32_e32 v15, 7, v0
	v_lshlrev_b32_e32 v10, 7, v43
	v_cndmask_b32_e32 v16, v22, v21, vcc
	v_lshl_or_b32 v83, v17, 3, v34
	v_lshlrev_b32_e32 v17, 3, v15
	v_lshlrev_b32_e32 v15, 7, v15
	;; [unrolled: 1-line block ×3, first 2 shown]
	v_or_b32_e32 v16, v16, v9
	v_or_b32_e32 v7, v10, v7
	v_xad_u32 v84, v16, v17, v15
	v_and_or_b32 v10, v18, 60, v10
	v_mov_b32_e32 v16, 0xb000
	v_lshl_or_b32 v85, v10, 1, v16
	v_or_b32_e32 v10, 32, v11
	v_xor_b32_e32 v10, v20, v10
	v_or_b32_e32 v16, 0x440, v10
	v_cndmask_b32_e32 v10, v16, v10, vcc
	v_or_b32_e32 v10, v10, v9
	v_xad_u32 v86, v10, v17, v15
	v_or_b32_e32 v10, 64, v11
	v_xor_b32_e32 v10, v20, v10
	v_xor_b32_e32 v16, 0x440, v10
	v_cndmask_b32_e32 v10, v16, v10, vcc
	v_or_b32_e32 v10, v10, v9
	v_xad_u32 v87, v10, v17, v15
	v_or_b32_e32 v10, 0x60, v11
	v_xor_b32_e32 v10, v20, v10
	v_xor_b32_e32 v11, 0x440, v10
	v_cndmask_b32_e32 v10, v11, v10, vcc
	v_lshlrev_b32_e32 v7, 1, v7
	v_or_b32_e32 v6, s30, v40
	v_or_b32_e32 v9, v10, v9
	;; [unrolled: 1-line block ×6, first 2 shown]
	v_lshlrev_b32_e32 v8, 7, v46
	v_ashrrev_i32_e32 v7, 31, v6
	v_or_b32_e32 v14, 0x100, v3
	v_xad_u32 v88, v9, v17, v15
	v_cndmask_b32_e64 v89, v12, v3, s[0:1]
	v_cndmask_b32_e64 v90, v13, v14, s[0:1]
	v_lshl_add_u64 v[36:37], v[6:7], 1, s[8:9]
	v_lshl_add_u64 v[38:39], v[4:5], 0, v[34:35]
	s_mov_b32 s31, 0x7060302
	v_lshlrev_b32_e32 v34, 1, v8
	v_add_u32_e32 v92, v19, v84
	v_add_u32_e32 v93, v19, v86
	v_add_u32_e32 v94, v19, v87
	v_add_u32_e32 v95, v19, v88
	v_mov_b32_e32 v62, v35
	v_mov_b32_e32 v64, v35
	;; [unrolled: 1-line block ×3, first 2 shown]
	s_waitcnt lgkmcnt(0)
	s_barrier
.LBB440_6:                              ; =>This Inner Loop Header: Depth=1
	s_add_i32 s57, s56, 1
	s_cmp_lt_i32 s57, s43
	s_mov_b64 s[24:25], 0
	s_cselect_b64 s[38:39], -1, 0
	s_cmp_ge_i32 s57, s43
	s_mov_b64 s[20:21], 0
	s_cbranch_scc1 .LBB440_8
; %bb.7:                                ;   in Loop: Header=BB440_6 Depth=1
	s_add_i32 s0, s50, 64
	s_ashr_i32 s1, s0, 31
	s_add_u32 s0, s47, s0
	s_addc_u32 s1, s46, s1
	s_lshl_b64 s[0:1], s[0:1], 8
	s_add_u32 s20, s6, s0
	s_addc_u32 s21, s7, s1
.LBB440_8:                              ;   in Loop: Header=BB440_6 Depth=1
	v_cndmask_b32_e64 v2, 0, 1, s[38:39]
	v_cmp_ne_u32_e64 s[0:1], 1, v2
	s_andn2_b64 vcc, exec, s[38:39]
	s_cbranch_vccnz .LBB440_10
; %bb.9:                                ;   in Loop: Header=BB440_6 Depth=1
	s_add_i32 s24, s50, 64
	s_mul_hi_i32 s25, s24, s14
	s_mul_i32 s24, s24, s14
	s_add_u32 s24, s24, s48
	s_addc_u32 s25, s25, s52
	s_lshl_b64 s[24:25], s[24:25], 8
	s_add_u32 s24, s4, s24
	s_addc_u32 s25, s5, s25
.LBB440_10:                             ;   in Loop: Header=BB440_6 Depth=1
	v_perm_b32 v3, v98, v74, s31
	v_perm_b32 v2, v72, v73, s31
	;; [unrolled: 1-line block ×4, first 2 shown]
	ds_write_b64 v54, v[2:3]
	ds_write_b64 v55, v[4:5]
	;; [unrolled: 1-line block ×4, first 2 shown]
	v_perm_b32 v3, v99, v67, s31
	v_perm_b32 v2, v65, v66, s31
	;; [unrolled: 1-line block ×4, first 2 shown]
	ds_write_b64 v56, v[2:3]
	ds_write_b64 v57, v[4:5]
	;; [unrolled: 1-line block ×4, first 2 shown]
	s_waitcnt lgkmcnt(0)
	s_barrier
	ds_read_b64 v[6:7], v71 offset:24576
	ds_read2_b64 v[2:5], v75 offset1:16
	ds_read_b64 v[10:11], v77 offset:3072
	ds_read_b64 v[12:13], v75 offset:3072
	;; [unrolled: 1-line block ×3, first 2 shown]
	s_waitcnt lgkmcnt(3)
	v_mfma_f32_16x16x16_bf16 a[0:3], v[6:7], v[2:3], 0
	s_add_i32 s27, s50, 63
	s_ashr_i32 s38, s27, 31
	s_mul_i32 s39, s27, s29
	v_mfma_f32_16x16x16_bf16 a[4:7], v[6:7], v[4:5], 0
	ds_read2st64_b64 v[2:5], v75 offset0:2 offset1:4
	s_mul_hi_u32 s58, s27, s28
	s_add_i32 s39, s58, s39
	s_waitcnt lgkmcnt(0)
	v_mfma_f32_16x16x16_bf16 a[0:3], v[14:15], v[2:3], a[0:3]
	ds_read2st64_b64 v[6:9], v77 offset0:2 offset1:4
	ds_read_b64 v[2:3], v78 offset:24576
	s_mul_i32 s38, s38, s28
	s_add_i32 s39, s39, s38
	s_waitcnt lgkmcnt(1)
	v_mfma_f32_16x16x16_bf16 a[4:7], v[14:15], v[6:7], a[4:7]
	ds_read_b64 v[6:7], v79 offset:24576
	s_mul_i32 s38, s27, s28
	s_lshl_b64 s[38:39], s[38:39], 2
	s_waitcnt lgkmcnt(1)
	v_mfma_f32_16x16x16_bf16 a[0:3], v[2:3], v[4:5], a[0:3]
	s_add_u32 s38, s2, s38
	s_addc_u32 s39, s3, s39
	s_and_b64 vcc, exec, s[0:1]
	v_mfma_f32_16x16x16_bf16 a[4:7], v[2:3], v[8:9], a[4:7]
	v_mov_b32_e32 v102, 0
	v_mov_b32_e32 v101, 0
	;; [unrolled: 1-line block ×3, first 2 shown]
	s_waitcnt lgkmcnt(0)
	v_mfma_f32_16x16x16_bf16 a[0:3], v[6:7], v[12:13], a[0:3]
	v_mov_b32_e32 v2, 0
	v_mov_b32_e32 v3, 0
	;; [unrolled: 1-line block ×3, first 2 shown]
	v_mfma_f32_16x16x16_bf16 a[4:7], v[6:7], v[10:11], a[4:7]
	v_mov_b32_e32 v5, 0
	v_mov_b32_e32 v6, 0
	;; [unrolled: 1-line block ×13, first 2 shown]
	s_cbranch_vccnz .LBB440_12
; %bb.11:                               ;   in Loop: Header=BB440_6 Depth=1
	s_and_b32 s21, s21, 0xffff
	buffer_load_dwordx4 v[14:17], v50, s[20:23], 0 offen
	buffer_load_dwordx4 v[10:13], v50, s[20:23], s53 offen
	;; [unrolled: 1-line block ×4, first 2 shown]
	v_mov_b32_e32 v101, v52
	v_mov_b32_e32 v100, v53
.LBB440_12:                             ;   in Loop: Header=BB440_6 Depth=1
	s_waitcnt vmcnt(4)
	ds_read_b64 v[22:23], v71 offset:32768
	s_waitcnt vmcnt(2)
	ds_read2_b64 v[18:21], v80 offset1:16
	ds_read_b64 v[26:27], v76 offset:32768
	ds_read_b64 v[28:29], v78 offset:32768
	;; [unrolled: 1-line block ×3, first 2 shown]
	v_add_u32_e32 v103, s50, v91
	s_waitcnt lgkmcnt(3)
	v_mfma_f32_16x16x16_bf16 a[0:3], v[22:23], v[18:19], a[0:3]
	v_mfma_f32_16x16x16_bf16 a[4:7], v[22:23], v[20:21], a[4:7]
	ds_read2st64_b64 v[18:21], v80 offset0:2 offset1:4
	ds_read2st64_b64 v[22:25], v81 offset0:2 offset1:4
	s_waitcnt lgkmcnt(1)
	v_mfma_f32_16x16x16_bf16 a[0:3], v[26:27], v[18:19], a[0:3]
	ds_read_b64 v[18:19], v80 offset:3072
	ds_read_b64 v[32:33], v81 offset:3072
	s_waitcnt lgkmcnt(2)
	v_mfma_f32_16x16x16_bf16 a[4:7], v[26:27], v[22:23], a[4:7]
	v_ashrrev_i32_e32 v22, 31, v103
	v_mul_lo_u32 v23, v103, s29
	v_mul_lo_u32 v22, v22, s28
	v_mfma_f32_16x16x16_bf16 a[0:3], v[28:29], v[20:21], a[0:3]
	v_mad_u64_u32 v[20:21], s[20:21], v103, s28, 0
	v_add3_u32 v21, v21, v23, v22
	v_add_u32_e32 v22, 1, v103
	v_ashrrev_i32_e32 v23, 31, v22
	v_mfma_f32_16x16x16_bf16 a[4:7], v[28:29], v[24:25], a[4:7]
	v_mul_lo_u32 v23, v23, s28
	v_mul_lo_u32 v24, v22, s29
	v_lshl_add_u64 v[20:21], v[20:21], 2, s[2:3]
	s_waitcnt lgkmcnt(1)
	v_mfma_f32_16x16x16_bf16 a[0:3], v[30:31], v[18:19], a[0:3]
	v_mad_u64_u32 v[18:19], s[20:21], v22, s28, 0
	v_add_u32_e32 v22, 2, v103
	v_add3_u32 v19, v19, v24, v23
	v_ashrrev_i32_e32 v23, 31, v22
	v_mul_lo_u32 v24, v23, s28
	v_mul_lo_u32 v25, v22, s29
	v_mad_u64_u32 v[22:23], s[20:21], v22, s28, 0
	v_add3_u32 v23, v23, v25, v24
	v_add_u32_e32 v24, 3, v103
	v_ashrrev_i32_e32 v25, 31, v24
	v_mul_lo_u32 v26, v25, s28
	v_mul_lo_u32 v27, v24, s29
	v_mad_u64_u32 v[24:25], s[20:21], v24, s28, 0
	v_add3_u32 v25, v25, v27, v26
	v_lshl_add_u64 v[24:25], v[24:25], 2, s[2:3]
	s_ashr_i32 s21, s50, 31
	v_lshl_add_u64 v[18:19], v[18:19], 2, s[2:3]
	v_lshl_add_u64 v[22:23], v[22:23], 2, s[2:3]
	global_load_dword v26, v[20:21], off
	global_load_dword v27, v[18:19], off
	;; [unrolled: 1-line block ×3, first 2 shown]
	s_nop 0
	global_load_dword v25, v[24:25], off
	s_add_u32 s20, s47, s50
	s_addc_u32 s21, s46, s21
	s_lshl_b64 s[20:21], s[20:21], 8
	v_lshl_add_u64 v[18:19], v[36:37], 0, s[20:21]
	v_lshl_add_u64 v[18:19], v[18:19], 0, v[34:35]
	global_load_ushort v29, v[18:19], off
	global_load_ushort v103, v[18:19], off offset:256
	global_load_ushort v104, v[18:19], off offset:800
	;; [unrolled: 1-line block ×7, first 2 shown]
	s_load_dword s20, s[38:39], 0x0
	s_waitcnt lgkmcnt(0)
	v_mfma_f32_16x16x16_bf16 a[4:7], v[30:31], v[32:33], a[4:7]
	v_accvgpr_read_b32 v23, a1
	v_accvgpr_read_b32 v19, a3
	v_accvgpr_read_b32 v18, a2
	v_accvgpr_read_b32 v22, a0
	s_and_b64 vcc, exec, s[0:1]
	s_waitcnt vmcnt(11)
	v_sub_f32_e32 v24, s20, v26
	s_waitcnt vmcnt(10)
	v_sub_f32_e32 v32, s20, v27
	s_waitcnt vmcnt(9)
	v_sub_f32_e32 v33, s20, v28
	s_waitcnt vmcnt(8)
	v_sub_f32_e32 v110, s20, v25
	v_exp_f32_e32 v24, v24
	v_exp_f32_e32 v25, v32
	;; [unrolled: 1-line block ×4, first 2 shown]
	s_waitcnt vmcnt(6)
	v_lshlrev_b32_e32 v27, 16, v103
	v_lshlrev_b32_e32 v26, 16, v29
	s_waitcnt vmcnt(4)
	v_lshlrev_b32_e32 v29, 16, v105
	s_waitcnt vmcnt(2)
	v_lshlrev_b32_e32 v28, 16, v107
	v_pk_add_f32 v[22:23], v[26:27], v[22:23] neg_lo:[0,1] neg_hi:[0,1]
	v_pk_add_f32 v[18:19], v[28:29], v[18:19] neg_lo:[0,1] neg_hi:[0,1]
	v_pk_mul_f32 v[22:23], v[24:25], v[22:23]
	v_pk_mul_f32 v[18:19], v[32:33], v[18:19]
	s_waitcnt vmcnt(1)
	v_lshlrev_b32_e32 v31, 16, v108
	v_perm_b32 v19, v19, v18, s31
	v_perm_b32 v18, v23, v22, s31
	v_accvgpr_read_b32 v23, a5
	s_waitcnt vmcnt(0)
	v_lshlrev_b32_e32 v30, 16, v109
	v_accvgpr_read_b32 v22, a4
	v_pk_add_f32 v[22:23], v[30:31], v[22:23] neg_lo:[0,1] neg_hi:[0,1]
	v_accvgpr_read_b32 v21, a7
	v_accvgpr_read_b32 v20, a6
	v_pk_mul_f32 v[22:23], v[24:25], v[22:23]
	v_lshlrev_b32_e32 v25, 16, v104
	v_lshlrev_b32_e32 v24, 16, v106
	v_pk_add_f32 v[20:21], v[24:25], v[20:21] neg_lo:[0,1] neg_hi:[0,1]
	v_mov_b32_e32 v103, 0
	v_pk_mul_f32 v[20:21], v[32:33], v[20:21]
	v_mov_b32_e32 v24, 0
	v_perm_b32 v21, v21, v20, s31
	v_perm_b32 v20, v23, v22, s31
	ds_write2_b64 v55, v[18:19], v[20:21] offset1:16
	v_mov_b32_e32 v18, 0
	v_mov_b32_e32 v19, 0
	;; [unrolled: 1-line block ×15, first 2 shown]
	s_cbranch_vccnz .LBB440_14
; %bb.13:                               ;   in Loop: Header=BB440_6 Depth=1
	s_and_b32 s25, s25, 0xffff
	s_mov_b32 s27, s23
	buffer_load_dwordx4 v[30:33], v89, s[24:27], 0 offen
	buffer_load_dwordx4 v[22:25], v89, s[24:27], s53 offen
	;; [unrolled: 1-line block ×4, first 2 shown]
	v_mov_b32_e32 v102, v49
	v_mov_b32_e32 v103, v48
.LBB440_14:                             ;   in Loop: Header=BB440_6 Depth=1
	s_waitcnt lgkmcnt(0)
	s_barrier
	ds_read_b64 v[108:109], v92
	ds_read_b64 v[116:117], v85
	;; [unrolled: 1-line block ×5, first 2 shown]
	ds_read_b64 v[122:123], v86 offset:16384
	ds_read_b64 v[124:125], v84 offset:16384
	ds_read2_b64 v[104:107], v80 offset0:16 offset1:128
	s_waitcnt lgkmcnt(6)
	v_mfma_f32_16x16x16_bf16 a[0:3], v[108:109], v[116:117], 0
	ds_read_b64 v[126:127], v81 offset:3072
	ds_read_b64 v[128:129], v88 offset:16384
	s_add_i32 s21, s45, s56
	s_waitcnt lgkmcnt(2)
	v_mfma_f32_16x16x16_bf16 a[4:7], v[108:109], v[104:105], 0
	ds_read2st64_b64 v[108:111], v81 offset0:2 offset1:4
	s_mul_hi_i32 s25, s21, s49
	s_mul_i32 s21, s21, s49
	v_mfma_f32_16x16x16_bf16 a[0:3], v[112:113], v[106:107], a[0:3]
	s_add_u32 s24, s21, s33
	s_addc_u32 s25, s25, s51
	s_lshl_b64 s[24:25], s[24:25], 15
	s_waitcnt lgkmcnt(0)
	v_mfma_f32_16x16x16_bf16 a[4:7], v[112:113], v[108:109], a[4:7]
	ds_read2st64_b64 v[112:115], v80 offset0:4 offset1:6
	s_waitcnt lgkmcnt(0)
	v_mfma_f32_16x16x16_bf16 a[0:3], v[118:119], v[112:113], a[0:3]
	v_mfma_f32_16x16x16_bf16 a[8:11], v[118:119], v[110:111], a[4:7]
	v_mfma_f32_16x16x16_bf16 a[4:7], v[120:121], v[114:115], a[0:3]
	v_mfma_f32_16x16x16_bf16 a[0:3], v[120:121], v[126:127], a[8:11]
	v_mfma_f32_16x16x16_bf16 a[8:11], v[124:125], v[116:117], 0
	ds_read2st64_b64 v[116:119], v83 offset1:8
	v_mfma_f32_16x16x16_bf16 a[12:15], v[124:125], v[104:105], 0
	ds_read_b64 v[124:125], v87 offset:16384
	v_mfma_f32_16x16x16_bf16 a[8:11], v[122:123], v[106:107], a[8:11]
	ds_read2st64_b64 v[104:107], v82 offset1:8
	s_waitcnt lgkmcnt(0)
	v_mov_b32_e32 v120, v104
	v_mfma_f32_16x16x16_bf16 a[12:15], v[122:123], v[108:109], a[12:15]
	v_lshl_add_u64 v[108:109], v[38:39], 0, s[24:25]
	v_add_co_u32_e32 v104, vcc, s17, v108
	v_mfma_f32_16x16x16_bf16 a[8:11], v[124:125], v[112:113], a[8:11]
	v_mov_b32_e32 v121, v105
	v_addc_co_u32_e32 v105, vcc, 0, v109, vcc
	v_mfma_f32_16x16x16_bf16 a[16:19], v[124:125], v[110:111], a[12:15]
	v_mov_b32_e32 v122, v116
	v_mov_b32_e32 v123, v117
	;; [unrolled: 1-line block ×3, first 2 shown]
	v_mfma_f32_16x16x16_bf16 a[12:15], v[128:129], v[114:115], a[8:11]
	v_mov_b32_e32 v117, v107
	s_and_b64 vcc, exec, s[0:1]
	global_store_dwordx4 v[108:109], v[120:123], off
	v_mfma_f32_16x16x16_bf16 a[8:11], v[128:129], v[126:127], a[16:19]
	global_store_dwordx4 v[104:105], v[116:119], off
	s_cbranch_vccnz .LBB440_16
; %bb.15:                               ;   in Loop: Header=BB440_6 Depth=1
	v_lshrrev_b32_e32 v104, 3, v102
	v_and_b32_e32 v104, 6, v104
	v_xor_b32_e32 v103, v104, v103
	v_lshlrev_b32_e32 v103, 2, v103
	v_and_b32_e32 v102, 8, v102
	v_xor_b32_e32 v105, 0x440, v103
	v_cmp_eq_u32_e32 vcc, 0, v102
	s_barrier
	s_nop 0
	v_cndmask_b32_e32 v102, v105, v103, vcc
	v_lshl_or_b32 v102, v104, 10, v102
	s_waitcnt vmcnt(3)
	v_perm_b32 v103, v30, v26, s54
	s_waitcnt vmcnt(2)
	v_perm_b32 v104, v22, v18, s54
	ds_write2st64_b32 v102, v103, v104 offset0:32 offset1:64
	v_xor_b32_e32 v103, 8, v102
	v_perm_b32 v26, v30, v26, s55
	v_perm_b32 v18, v22, v18, s55
	v_add_u32_e32 v22, 0x80, v103
	ds_write2st64_b32 v22, v26, v18 offset0:32 offset1:64
	v_xor_b32_e32 v18, 16, v102
	v_perm_b32 v22, v31, v27, s54
	v_perm_b32 v26, v23, v19, s54
	ds_write2st64_b32 v18, v22, v26 offset0:33 offset1:65
	v_xor_b32_e32 v18, 24, v102
	v_perm_b32 v22, v31, v27, s55
	v_perm_b32 v19, v23, v19, s55
	v_add_u32_e32 v18, 0x80, v18
	ds_write2st64_b32 v18, v22, v19 offset0:33 offset1:65
	v_xor_b32_e32 v18, 32, v102
	v_perm_b32 v19, v32, v28, s54
	;; [unrolled: 9-line block ×3, first 2 shown]
	v_perm_b32 v20, v25, v21, s54
	ds_write2st64_b32 v18, v19, v20 offset0:35 offset1:67
	v_xor_b32_e32 v18, 56, v102
	v_perm_b32 v19, v33, v29, s55
	v_perm_b32 v20, v25, v21, s55
	v_add_u32_e32 v18, 0x80, v18
	ds_write2st64_b32 v18, v19, v20 offset0:35 offset1:67
	ds_write_b64 v101, v[14:15] offset:24576
	v_xor_b32_e32 v14, 8, v101
	ds_write_b64 v14, v[16:17] offset:24576
	ds_write_b64 v101, v[10:11] offset:32768
	ds_write_b64 v14, v[12:13] offset:32768
	ds_write_b64 v100, v[6:7] offset:24576
	v_xor_b32_e32 v6, 8, v100
	ds_write_b64 v6, v[8:9] offset:24576
	ds_write_b64 v100, v[2:3] offset:32768
	;; [unrolled: 1-line block ×3, first 2 shown]
.LBB440_16:                             ;   in Loop: Header=BB440_6 Depth=1
	v_exp_f32_e32 v2, s20
	v_accvgpr_read_b32 v3, a4
	v_accvgpr_read_b32 v4, a5
	;; [unrolled: 1-line block ×3, first 2 shown]
	v_fma_f32 v73, v73, v2, v3
	v_accvgpr_read_b32 v3, a6
	v_fma_f32 v74, v74, v2, v3
	v_accvgpr_read_b32 v3, a0
	;; [unrolled: 2-line block ×11, first 2 shown]
	v_accvgpr_read_b32 v6, a15
	v_fma_f32 v64, v64, v2, v3
	v_accvgpr_read_b32 v3, a11
	s_add_i32 s50, s50, 64
	v_fmac_f32_e32 v5, v98, v2
	v_fmac_f32_e32 v4, v99, v2
	;; [unrolled: 1-line block ×3, first 2 shown]
	s_cmp_eq_u32 s43, s57
	v_fmac_f32_e32 v3, v97, v2
	s_cbranch_scc1 .LBB440_18
; %bb.17:                               ;   in Loop: Header=BB440_6 Depth=1
	s_mov_b32 s56, s57
	v_mov_b32_e32 v98, v5
	v_mov_b32_e32 v96, v6
	v_mov_b32_e32 v99, v4
	v_mov_b32_e32 v97, v3
	s_branch .LBB440_6
.LBB440_18:
	s_lshl_b32 s0, s43, 6
	s_sub_i32 s44, s44, s0
	s_cmp_gt_i32 s44, 0
	s_cbranch_scc0 .LBB440_83
; %bb.19:
	s_add_i32 s34, s0, s34
	s_ashr_i32 s2, s34, 31
	s_cmpk_lg_i32 s15, 0x80
	s_cselect_b64 s[26:27], -1, 0
	s_and_b64 vcc, exec, s[26:27]
	s_cbranch_vccz .LBB440_21
; %bb.20:
	s_mul_i32 s1, s34, s14
	s_ashr_i32 s3, s48, 31
	s_mul_hi_i32 s0, s34, s14
	s_add_u32 s38, s1, s48
	s_addc_u32 s39, s0, s3
	s_cbranch_execz .LBB440_22
	s_branch .LBB440_23
.LBB440_21:
                                        ; implicit-def: $sgpr38_sgpr39
.LBB440_22:
	s_mul_i32 s1, s48, s12
	s_mul_hi_i32 s0, s48, s12
	s_add_u32 s38, s1, s34
	s_addc_u32 s39, s0, s2
.LBB440_23:
	s_add_i32 s3, s43, s45
	s_ashr_i32 s12, s33, 31
	s_add_u32 s0, s47, s34
	s_addc_u32 s1, s46, s2
	v_lshlrev_b32_e32 v10, 5, v46
	s_waitcnt vmcnt(4)
	v_lshlrev_b32_e32 v22, 2, v40
	s_mov_b32 s2, 0x7060302
	v_xor_b32_e32 v2, v46, v22
	v_perm_b32 v9, v5, v74, s2
	v_or_b32_e32 v5, v10, v22
	v_perm_b32 v8, v72, v73, s2
	v_perm_b32 v7, v6, v70, s2
	;; [unrolled: 1-line block ×3, first 2 shown]
	v_lshlrev_b32_e32 v5, 1, v5
	v_lshlrev_b32_e32 v12, 1, v2
	;; [unrolled: 1-line block ×3, first 2 shown]
	s_lshl_b64 s[24:25], s[0:1], 8
	v_xor_b32_e32 v11, v47, v22
	ds_write2st64_b64 v5, v[8:9], v[6:7] offset0:80 offset1:88
	v_or_b32_e32 v5, v12, v2
	s_add_u32 s0, s6, s24
	ds_write_b64 v5, v[8:9]
	v_lshlrev_b32_e32 v8, 1, v11
	s_addc_u32 s1, s7, s25
	v_or_b32_e32 v2, v8, v2
	s_mul_hi_i32 s6, s3, s13
	s_mul_i32 s3, s3, s13
	ds_write_b64 v2, v[6:7]
	v_perm_b32 v5, v4, v67, s2
	v_perm_b32 v4, v65, v66, s2
	;; [unrolled: 1-line block ×4, first 2 shown]
	v_or_b32_e32 v6, 16, v40
	s_add_u32 s2, s3, s33
	s_waitcnt vmcnt(2)
	v_lshlrev_b32_e32 v19, 2, v6
	s_addc_u32 s3, s6, s12
	v_or_b32_e32 v7, v10, v19
	s_ashr_i32 s31, s30, 31
	s_lshl_b64 s[2:3], s[2:3], 15
	v_lshlrev_b32_e32 v7, 1, v7
	v_lshlrev_b32_e32 v6, 8, v6
	s_add_u32 s6, s36, s2
	ds_write2st64_b64 v7, v[4:5], v[2:3] offset0:80 offset1:88
	v_or_b32_e32 v7, v12, v6
	s_addc_u32 s7, s37, s3
	s_lshl_b64 s[2:3], s[30:31], 8
	ds_write_b64 v7, v[4:5]
	v_or_b32_e32 v4, v8, v6
	s_add_u32 s2, s6, s2
	ds_write_b64 v4, v[2:3]
	v_lshrrev_b32_e32 v2, 4, v0
	s_addc_u32 s3, s7, s3
	v_lshlrev_b32_e32 v3, 1, v40
	v_lshlrev_b32_e32 v10, 4, v40
	v_mov_b32_e32 v11, 0
	v_or_b32_e32 v4, 1, v3
	v_xor_b32_e32 v3, v2, v3
	v_lshl_add_u64 v[12:13], s[2:3], 0, v[10:11]
	v_lshlrev_b32_e32 v10, 8, v2
	v_xor_b32_e32 v6, v4, v2
	v_lshl_or_b32 v2, v3, 3, v10
	s_waitcnt lgkmcnt(0)
	s_barrier
	ds_read2st64_b64 v[2:5], v2 offset1:8
	v_lshl_or_b32 v6, v6, 3, v10
	ds_read2st64_b64 v[6:9], v6 offset1:8
	v_lshl_add_u64 v[14:15], v[12:13], 0, v[10:11]
	s_movk_i32 s2, 0x1000
	s_waitcnt lgkmcnt(1)
	v_mov_b32_e32 v10, v2
	v_add_co_u32_e32 v2, vcc, s2, v14
	s_cmp_lg_u32 s44, 64
	v_mov_b32_e32 v11, v3
	v_addc_co_u32_e32 v3, vcc, 0, v15, vcc
	s_cselect_b64 s[6:7], -1, 0
	v_lshl_or_b32 v23, v42, 3, v45
	s_waitcnt lgkmcnt(0)
	v_mov_b32_e32 v12, v6
	v_mov_b32_e32 v13, v7
	;; [unrolled: 1-line block ×4, first 2 shown]
	s_mov_b32 s20, 0
	v_or_b32_e32 v20, 32, v23
	v_and_b32_e32 v18, 56, v44
	s_and_b64 vcc, exec, s[6:7]
	global_store_dwordx4 v[14:15], v[10:13], off
	global_store_dwordx4 v[2:3], v[6:9], off
	s_cbranch_vccz .LBB440_29
; %bb.24:
	s_mov_b32 s21, s20
	s_mov_b32 s22, s20
	;; [unrolled: 1-line block ×3, first 2 shown]
	v_mov_b64_e32 v[6:7], s[20:21]
	v_mov_b64_e32 v[8:9], s[22:23]
	;; [unrolled: 1-line block ×3, first 2 shown]
	v_cmp_gt_i32_e32 vcc, s44, v23
	v_mov_b64_e32 v[4:5], v[8:9]
	s_and_saveexec_b64 s[2:3], vcc
	s_cbranch_execz .LBB440_26
; %bb.25:
	v_lshlrev_b32_e32 v2, 8, v23
	v_mov_b32_e32 v3, 0
	v_lshl_add_u64 v[4:5], s[0:1], 0, v[2:3]
	v_lshlrev_b32_e32 v2, 1, v18
	v_lshl_add_u64 v[10:11], v[4:5], 0, v[2:3]
	global_load_dwordx4 v[6:9], v[10:11], off
	global_load_dwordx4 v[2:5], v[10:11], off offset:128
.LBB440_26:
	s_or_b64 exec, exec, s[2:3]
	s_mov_b32 s21, s20
	s_mov_b32 s22, s20
	;; [unrolled: 1-line block ×3, first 2 shown]
	v_mov_b64_e32 v[14:15], s[20:21]
	v_mov_b64_e32 v[16:17], s[22:23]
	;; [unrolled: 1-line block ×3, first 2 shown]
	v_cmp_gt_i32_e32 vcc, s44, v20
	v_lshlrev_b32_e32 v21, 7, v20
	v_mov_b64_e32 v[12:13], v[16:17]
	s_and_saveexec_b64 s[2:3], vcc
	s_cbranch_execz .LBB440_28
; %bb.27:
	v_lshlrev_b32_e32 v10, 1, v21
	v_mov_b32_e32 v11, 0
	v_lshl_add_u64 v[12:13], s[0:1], 0, v[10:11]
	v_lshlrev_b32_e32 v10, 1, v18
	v_lshl_add_u64 v[24:25], v[12:13], 0, v[10:11]
	global_load_dwordx4 v[14:17], v[24:25], off
	global_load_dwordx4 v[10:13], v[24:25], off offset:128
.LBB440_28:
	s_or_b64 exec, exec, s[2:3]
	v_lshrrev_b32_e32 v24, 3, v18
	v_lshlrev_b32_e32 v25, 3, v23
	v_or_b32_e32 v24, v25, v24
	v_lshlrev_b32_e32 v24, 4, v24
	v_and_b32_e32 v25, 0x78, v25
	v_xor_b32_e32 v24, v24, v25
	s_branch .LBB440_31
.LBB440_29:
                                        ; implicit-def: $vgpr24
                                        ; implicit-def: $vgpr21
                                        ; implicit-def: $vgpr6_vgpr7_vgpr8_vgpr9
                                        ; implicit-def: $vgpr2_vgpr3_vgpr4_vgpr5
                                        ; implicit-def: $vgpr14_vgpr15_vgpr16_vgpr17
                                        ; implicit-def: $vgpr10_vgpr11_vgpr12_vgpr13
	s_cbranch_execz .LBB440_31
; %bb.30:
	s_waitcnt vmcnt(0)
	v_lshlrev_b32_e32 v2, 1, v18
	v_lshl_or_b32 v21, v23, 8, v2
	s_and_b32 s1, s1, 0xffff
	s_mov_b32 s3, 0x20000
	s_movk_i32 s2, 0x4000
	v_lshl_or_b32 v24, v20, 8, v2
	s_movk_i32 s13, 0x80
	buffer_load_dwordx4 v[6:9], v21, s[0:3], 0 offen
	buffer_load_dwordx4 v[2:5], v21, s[0:3], s13 offen
	buffer_load_dwordx4 v[14:17], v24, s[0:3], 0 offen
	buffer_load_dwordx4 v[10:13], v24, s[0:3], s13 offen
	v_lshrrev_b32_e32 v21, 3, v18
	v_lshlrev_b32_e32 v24, 3, v23
	v_or_b32_e32 v21, v24, v21
	v_lshlrev_b32_e32 v21, 4, v21
	v_and_b32_e32 v24, 0x78, v24
	v_xor_b32_e32 v24, v21, v24
	v_lshlrev_b32_e32 v21, 7, v20
.LBB440_31:
	s_lshl_b64 s[0:1], s[38:39], 8
	s_add_u32 s4, s4, s0
	s_movk_i32 s0, 0x1000
	v_and_or_b32 v20, v21, s0, v24
	s_waitcnt vmcnt(1)
	ds_write_b64 v24, v[6:7] offset:24576
	v_xor_b32_e32 v6, 8, v24
	ds_write_b64 v6, v[8:9] offset:24576
	s_waitcnt vmcnt(0)
	ds_write_b64 v24, v[2:3] offset:32768
	ds_write_b64 v6, v[4:5] offset:32768
	;; [unrolled: 1-line block ×3, first 2 shown]
	v_xor_b32_e32 v2, 8, v20
	ds_write_b64 v2, v[16:17] offset:24576
	ds_write_b64 v20, v[10:11] offset:32768
	;; [unrolled: 1-line block ×3, first 2 shown]
	v_or_b32_e32 v2, v1, v40
	v_lshlrev_b32_e32 v3, 11, v42
	v_lshlrev_b32_e32 v2, 3, v2
	v_and_b32_e32 v6, 0x1000, v3
	v_lshrrev_b32_e32 v3, 5, v41
	s_movk_i32 s13, 0xf8
	v_and_or_b32 v3, v2, s13, v3
	v_lshlrev_b32_e32 v7, 4, v3
	v_and_b32_e32 v8, 0x78, v2
	v_or_b32_e32 v10, 32, v7
	v_lshrrev_b32_e32 v3, 1, v41
	v_xor_b32_e32 v10, v10, v8
	v_xor_b32_e32 v2, v7, v8
	v_and_b32_e32 v9, 8, v3
	v_or_b32_e32 v10, v10, v6
	v_or_b32_e32 v2, v2, v6
	v_xor_b32_e32 v26, v10, v9
	v_or_b32_e32 v10, 64, v7
	v_xor_b32_e32 v25, v2, v9
	v_xor_b32_e32 v10, v10, v8
	s_waitcnt lgkmcnt(0)
	s_barrier
	v_or_b32_e32 v12, v10, v6
	ds_read_b64 v[10:11], v25 offset:24576
	v_lshl_or_b32 v20, v43, 7, v22
	v_lshlrev_b32_e32 v24, 1, v20
	v_add_u32_e32 v2, 0xa000, v24
	ds_read2_b64 v[2:5], v2 offset1:16
	v_or_b32_e32 v7, 0x60, v7
	v_xor_b32_e32 v7, v7, v8
	s_waitcnt lgkmcnt(0)
	v_mfma_f32_16x16x16_bf16 a[0:3], v[10:11], v[2:3], 0
	v_or_b32_e32 v2, 64, v20
	v_or_b32_e32 v6, v7, v6
	v_lshlrev_b32_e32 v29, 1, v2
	v_xor_b32_e32 v27, v12, v9
	v_xor_b32_e32 v28, v6, v9
	ds_read_b64 v[12:13], v26 offset:24576
	ds_read_b64 v[14:15], v27 offset:24576
	ds_read_b64 v[16:17], v28 offset:24576
	v_mfma_f32_16x16x16_bf16 a[4:7], v[10:11], v[4:5], 0
	ds_read2st64_b64 v[2:5], v29 offset0:82 offset1:84
	ds_read2st64_b64 v[6:9], v24 offset0:82 offset1:84
	s_addc_u32 s5, s5, s1
	s_add_i32 s0, s41, s40
	s_add_i32 s2, s35, -1
	s_add_i32 s17, s0, s42
	s_mul_i32 s0, s33, s19
	s_mul_hi_u32 s1, s33, s18
	s_add_i32 s0, s1, s0
	s_mul_i32 s1, s12, s18
	s_ashr_i32 s3, s2, 31
	s_mul_i32 s12, s2, s29
	s_mul_hi_u32 s13, s2, s28
	s_add_i32 s12, s13, s12
	s_mul_i32 s3, s3, s28
	s_waitcnt lgkmcnt(1)
	v_mfma_f32_16x16x16_bf16 a[4:7], v[12:13], v[2:3], a[4:7]
	s_add_i32 s1, s0, s1
	s_add_i32 s3, s12, s3
	s_lshl_b64 s[12:13], s[16:17], 2
	s_waitcnt lgkmcnt(0)
	v_mfma_f32_16x16x16_bf16 a[0:3], v[12:13], v[6:7], a[0:3]
	s_mul_i32 s0, s33, s18
	s_add_u32 s10, s10, s12
	s_addc_u32 s11, s11, s13
	s_lshl_b64 s[0:1], s[0:1], 2
	s_mul_i32 s2, s2, s28
	s_add_u32 s10, s10, s0
	ds_read_b64 v[2:3], v24 offset:44032
	v_mfma_f32_16x16x16_bf16 a[4:7], v[14:15], v[4:5], a[4:7]
	ds_read_b64 v[4:5], v29 offset:44032
	s_addc_u32 s11, s11, s1
	s_lshl_b64 s[0:1], s[2:3], 2
	v_mfma_f32_16x16x16_bf16 a[0:3], v[14:15], v[8:9], a[0:3]
	s_add_u32 s0, s10, s0
	s_addc_u32 s1, s11, s1
	s_load_dword s12, s[0:1], 0x0
	s_waitcnt lgkmcnt(0)
	v_mfma_f32_16x16x16_bf16 a[0:3], v[16:17], v[2:3], a[0:3]
	s_and_b64 vcc, exec, s[26:27]
	v_mfma_f32_16x16x16_bf16 a[4:7], v[16:17], v[4:5], a[4:7]
	s_cbranch_vccz .LBB440_42
; %bb.32:
	v_lshlrev_b32_e32 v20, 1, v23
	s_and_b64 vcc, exec, s[6:7]
	s_cbranch_vccz .LBB440_43
; %bb.33:
	v_cmp_gt_i32_e32 vcc, s44, v20
	v_mov_b32_e32 v6, 0
	v_mov_b32_e32 v2, 0
	;; [unrolled: 1-line block ×5, first 2 shown]
	s_and_saveexec_b64 s[0:1], vcc
	s_cbranch_execz .LBB440_35
; %bb.34:
	v_mad_i64_i32 v[2:3], s[2:3], s15, v20, 0
	v_lshl_add_u64 v[2:3], v[2:3], 1, s[4:5]
	v_lshlrev_b32_e32 v4, 1, v18
	v_mov_b32_e32 v5, 0
	v_lshl_add_u64 v[2:3], v[2:3], 0, v[4:5]
	global_load_dwordx4 v[2:5], v[2:3], off
.LBB440_35:
	s_or_b64 exec, exec, s[0:1]
	v_or_b32_e32 v21, 1, v20
	v_cmp_gt_i32_e64 s[0:1], s44, v21
	v_mov_b32_e32 v7, 0
	v_mov_b32_e32 v8, 0
	;; [unrolled: 1-line block ×3, first 2 shown]
	s_and_saveexec_b64 s[2:3], s[0:1]
	s_cbranch_execz .LBB440_37
; %bb.36:
	v_mad_i64_i32 v[6:7], s[16:17], s15, v21, 0
	v_lshl_add_u64 v[6:7], v[6:7], 1, s[4:5]
	v_lshlrev_b32_e32 v8, 1, v18
	v_mov_b32_e32 v9, 0
	v_lshl_add_u64 v[6:7], v[6:7], 0, v[8:9]
	global_load_dwordx4 v[6:9], v[6:7], off
.LBB440_37:
	s_or_b64 exec, exec, s[2:3]
	v_mov_b32_e32 v17, 0
	v_mov_b32_e32 v10, 0
	;; [unrolled: 1-line block ×5, first 2 shown]
	s_and_saveexec_b64 s[2:3], vcc
	s_cbranch_execz .LBB440_39
; %bb.38:
	v_mad_i64_i32 v[10:11], s[16:17], s15, v20, 0
	v_lshl_add_u64 v[10:11], v[10:11], 1, s[4:5]
	v_lshlrev_b32_e32 v12, 1, v18
	v_mov_b32_e32 v13, 0
	v_lshl_add_u64 v[10:11], v[10:11], 0, v[12:13]
	global_load_dwordx4 v[10:13], v[10:11], off offset:128
.LBB440_39:
	s_or_b64 exec, exec, s[2:3]
	v_mov_b32_e32 v16, 0
	v_mov_b32_e32 v15, 0
	;; [unrolled: 1-line block ×3, first 2 shown]
	s_and_saveexec_b64 s[2:3], s[0:1]
	s_cbranch_execz .LBB440_41
; %bb.40:
	v_mad_i64_i32 v[14:15], s[0:1], s15, v21, 0
	v_lshl_add_u64 v[14:15], v[14:15], 1, s[4:5]
	v_lshlrev_b32_e32 v16, 1, v18
	v_mov_b32_e32 v17, 0
	v_lshl_add_u64 v[14:15], v[14:15], 0, v[16:17]
	global_load_dwordx4 v[14:17], v[14:15], off offset:128
.LBB440_41:
	s_or_b64 exec, exec, s[2:3]
	s_branch .LBB440_45
.LBB440_42:
                                        ; implicit-def: $vgpr5
                                        ; implicit-def: $vgpr9
                                        ; implicit-def: $vgpr13
                                        ; implicit-def: $vgpr17
	v_lshrrev_b32_e32 v30, 2, v41
	s_branch .LBB440_46
.LBB440_43:
                                        ; implicit-def: $vgpr5
                                        ; implicit-def: $vgpr9
                                        ; implicit-def: $vgpr13
                                        ; implicit-def: $vgpr17
	s_cbranch_execz .LBB440_45
; %bb.44:
	s_waitcnt vmcnt(0)
	v_mad_u64_u32 v[2:3], s[0:1], v20, s15, v[18:19]
	v_lshlrev_b32_e32 v20, 1, v2
	s_lshl_b32 s2, s15, 7
	s_and_b32 s1, s5, 0xffff
	s_mov_b32 s3, 0x20000
	s_mov_b32 s0, s4
	v_add_lshl_u32 v21, v2, s15, 1
	s_movk_i32 s13, 0x80
	buffer_load_dwordx4 v[2:5], v20, s[0:3], 0 offen
	buffer_load_dwordx4 v[10:13], v20, s[0:3], s13 offen
	;; [unrolled: 1-line block ×4, first 2 shown]
.LBB440_45:
	v_lshrrev_b32_e32 v30, 2, v41
	s_cbranch_execnz .LBB440_58
.LBB440_46:
	s_and_b64 vcc, exec, s[6:7]
	s_cbranch_vccz .LBB440_56
; %bb.47:
	s_waitcnt vmcnt(0)
	v_lshlrev_b32_e32 v7, 1, v23
	v_cmp_gt_i32_e32 vcc, s44, v7
	v_mov_b32_e32 v6, 0
	v_lshlrev_b32_e32 v14, 9, v23
	v_mov_b32_e32 v2, 0
	v_mov_b32_e32 v3, 0
	;; [unrolled: 1-line block ×4, first 2 shown]
	s_and_saveexec_b64 s[0:1], vcc
	s_cbranch_execz .LBB440_49
; %bb.48:
	v_mov_b32_e32 v15, 0
	v_lshl_add_u64 v[2:3], s[4:5], 0, v[14:15]
	v_lshlrev_b32_e32 v4, 1, v18
	v_mov_b32_e32 v5, v15
	v_lshl_add_u64 v[2:3], v[2:3], 0, v[4:5]
	global_load_dwordx4 v[2:5], v[2:3], off
.LBB440_49:
	s_or_b64 exec, exec, s[0:1]
	v_or_b32_e32 v7, 1, v7
	v_cmp_gt_i32_e64 s[0:1], s44, v7
	v_lshlrev_b32_e32 v20, 8, v7
	v_mov_b32_e32 v7, 0
	v_mov_b32_e32 v8, 0
	;; [unrolled: 1-line block ×3, first 2 shown]
	s_and_saveexec_b64 s[2:3], s[0:1]
	s_cbranch_execz .LBB440_51
; %bb.50:
	v_mov_b32_e32 v21, 0
	v_lshl_add_u64 v[6:7], s[4:5], 0, v[20:21]
	v_lshlrev_b32_e32 v8, 1, v18
	v_mov_b32_e32 v9, v21
	v_lshl_add_u64 v[6:7], v[6:7], 0, v[8:9]
	global_load_dwordx4 v[6:9], v[6:7], off
.LBB440_51:
	s_or_b64 exec, exec, s[2:3]
	v_mov_b32_e32 v17, 0
	v_mov_b32_e32 v10, 0
	;; [unrolled: 1-line block ×5, first 2 shown]
	s_and_saveexec_b64 s[2:3], vcc
	s_cbranch_execz .LBB440_53
; %bb.52:
	v_mov_b32_e32 v15, 0
	v_lshl_add_u64 v[10:11], s[4:5], 0, v[14:15]
	v_lshlrev_b32_e32 v14, 1, v18
	v_lshl_add_u64 v[10:11], v[10:11], 0, v[14:15]
	global_load_dwordx4 v[10:13], v[10:11], off offset:128
.LBB440_53:
	s_or_b64 exec, exec, s[2:3]
	v_mov_b32_e32 v16, 0
	v_mov_b32_e32 v15, 0
	;; [unrolled: 1-line block ×3, first 2 shown]
	s_and_saveexec_b64 s[2:3], s[0:1]
	s_cbranch_execz .LBB440_55
; %bb.54:
	v_mov_b32_e32 v21, 0
	v_lshl_add_u64 v[14:15], s[4:5], 0, v[20:21]
	v_lshlrev_b32_e32 v20, 1, v18
	v_lshl_add_u64 v[14:15], v[14:15], 0, v[20:21]
	global_load_dwordx4 v[14:17], v[14:15], off offset:128
.LBB440_55:
	s_or_b64 exec, exec, s[2:3]
	s_branch .LBB440_58
.LBB440_56:
                                        ; implicit-def: $vgpr5
                                        ; implicit-def: $vgpr9
                                        ; implicit-def: $vgpr13
                                        ; implicit-def: $vgpr17
	s_cbranch_execz .LBB440_58
; %bb.57:
	s_waitcnt vmcnt(0)
	v_lshlrev_b32_e32 v2, 1, v18
	v_lshl_or_b32 v18, v23, 9, v2
	s_and_b32 s5, s5, 0xffff
	s_mov_b32 s7, 0x20000
	s_movk_i32 s6, 0x4000
	s_movk_i32 s0, 0x80
	buffer_load_dwordx4 v[2:5], v18, s[4:7], 0 offen
	buffer_load_dwordx4 v[6:9], v18, s[4:7], 0 offen offset:256
	buffer_load_dwordx4 v[10:13], v18, s[4:7], s0 offen
	buffer_load_dwordx4 v[14:17], v18, s[4:7], s0 offen offset:256
.LBB440_58:
	ds_read_b64 v[20:21], v25 offset:32768
	v_add_u32_e32 v18, 0xb000, v24
	ds_read2_b64 v[32:35], v18 offset1:16
	ds_read_b64 v[42:43], v26 offset:32768
	ds_read_b64 v[26:27], v27 offset:32768
	;; [unrolled: 1-line block ×3, first 2 shown]
	v_and_b32_e32 v18, 6, v0
	v_xor_b32_e32 v23, v23, v18
	v_lshlrev_b32_e32 v23, 2, v23
	v_and_b32_e32 v0, 1, v0
	v_xor_b32_e32 v28, 0x440, v23
	v_cmp_eq_u32_e32 vcc, 0, v0
	s_waitcnt lgkmcnt(3)
	v_mfma_f32_16x16x16_bf16 a[0:3], v[20:21], v[32:33], a[0:3]
	s_mov_b32 s0, 0x1000504
	v_cndmask_b32_e32 v0, v28, v23, vcc
	v_lshl_or_b32 v0, v18, 10, v0
	v_mfma_f32_16x16x16_bf16 a[4:7], v[20:21], v[34:35], a[4:7]
	ds_read2st64_b64 v[32:35], v24 offset0:90 offset1:92
	ds_read2st64_b64 v[36:39], v29 offset0:90 offset1:92
	ds_read_b64 v[20:21], v24 offset:48128
	ds_read_b64 v[24:25], v29 offset:48128
	s_waitcnt vmcnt(0)
	v_perm_b32 v18, v2, v6, s0
	s_waitcnt lgkmcnt(3)
	v_mfma_f32_16x16x16_bf16 a[0:3], v[42:43], v[32:33], a[0:3]
	s_mov_b32 s1, 0x3020706
	v_perm_b32 v2, v2, v6, s1
	v_perm_b32 v6, v10, v14, s1
	s_waitcnt lgkmcnt(2)
	v_mfma_f32_16x16x16_bf16 a[4:7], v[42:43], v[36:37], a[4:7]
	v_mfma_f32_16x16x16_bf16 a[0:3], v[26:27], v[34:35], a[0:3]
	v_mfma_f32_16x16x16_bf16 a[8:11], v[26:27], v[38:39], a[4:7]
	s_waitcnt lgkmcnt(1)
	v_mfma_f32_16x16x16_bf16 a[4:7], v[44:45], v[20:21], a[0:3]
	v_perm_b32 v20, v10, v14, s0
	ds_write2st64_b32 v0, v18, v20 offset0:32 offset1:64
	v_xor_b32_e32 v18, 8, v0
	v_add_u32_e32 v10, 0x80, v18
	ds_write2st64_b32 v10, v2, v6 offset0:32 offset1:64
	v_xor_b32_e32 v2, 16, v0
	v_perm_b32 v6, v3, v7, s0
	v_perm_b32 v10, v11, v15, s0
	ds_write2st64_b32 v2, v6, v10 offset0:33 offset1:65
	v_xor_b32_e32 v2, 24, v0
	v_perm_b32 v3, v3, v7, s1
	v_perm_b32 v6, v11, v15, s1
	v_add_u32_e32 v2, 0x80, v2
	ds_write2st64_b32 v2, v3, v6 offset0:33 offset1:65
	v_xor_b32_e32 v2, 32, v0
	v_perm_b32 v3, v4, v8, s0
	v_perm_b32 v6, v12, v16, s0
	s_waitcnt lgkmcnt(4)
	v_mfma_f32_16x16x16_bf16 a[0:3], v[44:45], v[24:25], a[8:11]
	ds_write2st64_b32 v2, v3, v6 offset0:34 offset1:66
	v_xor_b32_e32 v2, 40, v0
	v_perm_b32 v3, v4, v8, s1
	v_perm_b32 v4, v12, v16, s1
	v_add_u32_e32 v2, 0x80, v2
	ds_write2st64_b32 v2, v3, v4 offset0:34 offset1:66
	v_xor_b32_e32 v2, 48, v0
	v_perm_b32 v3, v5, v9, s0
	v_perm_b32 v4, v13, v17, s0
	v_xor_b32_e32 v0, 56, v0
	v_and_or_b32 v18, v30, 12, v1
	ds_write2st64_b32 v2, v3, v4 offset0:35 offset1:67
	v_perm_b32 v2, v5, v9, s1
	v_perm_b32 v3, v13, v17, s1
	v_add_u32_e32 v0, 0x80, v0
	v_cmp_gt_i32_e32 vcc, s44, v18
	v_mov_b32_e32 v14, 0
	v_mov_b32_e32 v16, 0
	ds_write2st64_b32 v0, v2, v3 offset0:35 offset1:67
	s_and_saveexec_b64 s[0:1], vcc
	s_cbranch_execz .LBB440_60
; %bb.59:
	v_add_u32_e32 v0, s34, v18
	v_ashrrev_i32_e32 v1, 31, v0
	v_mul_lo_u32 v2, v1, s28
	v_mul_lo_u32 v3, v0, s29
	v_mad_u64_u32 v[0:1], s[2:3], v0, s28, 0
	v_add3_u32 v1, v1, v3, v2
	v_lshl_add_u64 v[0:1], v[0:1], 2, s[10:11]
	global_load_dword v0, v[0:1], off
	s_waitcnt vmcnt(0)
	v_sub_f32_e32 v0, s12, v0
	v_exp_f32_e32 v16, v0
.LBB440_60:
	s_or_b64 exec, exec, s[0:1]
	v_or_b32_e32 v8, 1, v18
	v_cmp_gt_i32_e64 s[0:1], s44, v8
	s_and_saveexec_b64 s[2:3], s[0:1]
	s_cbranch_execz .LBB440_62
; %bb.61:
	v_add_u32_e32 v0, s34, v8
	v_ashrrev_i32_e32 v1, 31, v0
	v_mul_lo_u32 v2, v1, s28
	v_mul_lo_u32 v3, v0, s29
	v_mad_u64_u32 v[0:1], s[4:5], v0, s28, 0
	v_add3_u32 v1, v1, v3, v2
	v_lshl_add_u64 v[0:1], v[0:1], 2, s[10:11]
	global_load_dword v0, v[0:1], off
	s_waitcnt vmcnt(0)
	v_sub_f32_e32 v0, s12, v0
	v_exp_f32_e32 v14, v0
.LBB440_62:
	s_or_b64 exec, exec, s[2:3]
	v_or_b32_e32 v10, 2, v18
	v_cmp_gt_i32_e64 s[2:3], s44, v10
	v_mov_b32_e32 v15, 0
	v_mov_b32_e32 v17, 0
	s_and_saveexec_b64 s[4:5], s[2:3]
	s_cbranch_execz .LBB440_64
; %bb.63:
	v_add_u32_e32 v0, s34, v10
	v_ashrrev_i32_e32 v1, 31, v0
	v_mul_lo_u32 v2, v1, s28
	v_mul_lo_u32 v3, v0, s29
	v_mad_u64_u32 v[0:1], s[6:7], v0, s28, 0
	v_add3_u32 v1, v1, v3, v2
	v_lshl_add_u64 v[0:1], v[0:1], 2, s[10:11]
	global_load_dword v0, v[0:1], off
	s_waitcnt vmcnt(0)
	v_sub_f32_e32 v0, s12, v0
	v_exp_f32_e32 v17, v0
.LBB440_64:
	s_or_b64 exec, exec, s[4:5]
	v_or_b32_e32 v12, 3, v18
	v_cmp_gt_i32_e64 s[4:5], s44, v12
	s_and_saveexec_b64 s[6:7], s[4:5]
	s_cbranch_execz .LBB440_66
; %bb.65:
	v_add_u32_e32 v0, s34, v12
	v_ashrrev_i32_e32 v1, 31, v0
	v_mul_lo_u32 v2, v1, s28
	v_mul_lo_u32 v3, v0, s29
	v_mad_u64_u32 v[0:1], s[14:15], v0, s28, 0
	v_add3_u32 v1, v1, v3, v2
	v_lshl_add_u64 v[0:1], v[0:1], 2, s[10:11]
	global_load_dword v0, v[0:1], off
	s_waitcnt vmcnt(0)
	v_sub_f32_e32 v0, s12, v0
	v_exp_f32_e32 v15, v0
.LBB440_66:
	s_or_b64 exec, exec, s[6:7]
	v_or_b32_e32 v4, s30, v40
	s_add_u32 s6, s8, s24
	v_accvgpr_read_b32 v0, a4
	s_addc_u32 s7, s9, s25
	v_ashrrev_i32_e32 v5, 31, v4
	v_accvgpr_read_b32 v1, a5
	v_accvgpr_read_b32 v2, a6
	;; [unrolled: 1-line block ×3, first 2 shown]
	v_lshl_add_u64 v[4:5], v[4:5], 1, s[6:7]
	v_mov_b32_e32 v9, 0
	v_lshlrev_b32_e32 v6, 8, v18
	v_mov_b32_e32 v7, 0
	s_and_saveexec_b64 s[6:7], vcc
	s_cbranch_execz .LBB440_68
; %bb.67:
	v_mov_b32_e32 v7, 0
	v_lshl_add_u64 v[20:21], v[4:5], 0, v[6:7]
	global_load_ushort v7, v[20:21], off
	s_waitcnt vmcnt(0)
	v_lshlrev_b32_e32 v7, 16, v7
	v_sub_f32_e32 v0, v7, v0
	v_mul_f32_e32 v0, v16, v0
	v_lshrrev_b32_e32 v7, 16, v0
.LBB440_68:
	s_or_b64 exec, exec, s[6:7]
	v_lshlrev_b32_e32 v8, 8, v8
	s_and_saveexec_b64 s[6:7], s[0:1]
	s_cbranch_execz .LBB440_70
; %bb.69:
	v_mov_b32_e32 v9, 0
	v_lshl_add_u64 v[20:21], v[4:5], 0, v[8:9]
	global_load_ushort v0, v[20:21], off
	s_waitcnt vmcnt(0)
	v_lshlrev_b32_e32 v0, 16, v0
	v_sub_f32_e32 v0, v0, v1
	v_mul_f32_e32 v0, v14, v0
	v_lshrrev_b32_e32 v9, 16, v0
.LBB440_70:
	s_or_b64 exec, exec, s[6:7]
	v_mov_b32_e32 v13, 0
	v_lshlrev_b32_e32 v10, 8, v10
	v_mov_b32_e32 v11, 0
	s_and_saveexec_b64 s[6:7], s[2:3]
	s_cbranch_execz .LBB440_72
; %bb.71:
	v_mov_b32_e32 v11, 0
	v_lshl_add_u64 v[0:1], v[4:5], 0, v[10:11]
	global_load_ushort v0, v[0:1], off
	s_waitcnt vmcnt(0)
	v_lshlrev_b32_e32 v0, 16, v0
	v_sub_f32_e32 v0, v0, v2
	v_mul_f32_e32 v0, v17, v0
	v_lshrrev_b32_e32 v11, 16, v0
.LBB440_72:
	s_or_b64 exec, exec, s[6:7]
	v_lshlrev_b32_e32 v12, 8, v12
	s_and_saveexec_b64 s[6:7], s[4:5]
	s_cbranch_execz .LBB440_74
; %bb.73:
	v_mov_b32_e32 v13, 0
	v_lshl_add_u64 v[0:1], v[4:5], 0, v[12:13]
	global_load_ushort v0, v[0:1], off
	s_waitcnt vmcnt(0)
	v_lshlrev_b32_e32 v0, 16, v0
	v_sub_f32_e32 v0, v0, v3
	v_mul_f32_e32 v0, v15, v0
	v_lshrrev_b32_e32 v13, 16, v0
.LBB440_74:
	s_or_b64 exec, exec, s[6:7]
	v_lshlrev_b32_e32 v18, 5, v18
	s_mov_b32 s6, 0x5040100
	v_perm_b32 v20, v9, v7, s6
	v_or_b32_e32 v7, v18, v22
	v_accvgpr_read_b32 v0, a0
	v_perm_b32 v21, v13, v11, s6
	v_lshlrev_b32_e32 v7, 1, v7
	v_accvgpr_read_b32 v1, a1
	v_accvgpr_read_b32 v2, a2
	;; [unrolled: 1-line block ×3, first 2 shown]
	ds_write_b64 v7, v[20:21] offset:45056
	v_mov_b32_e32 v9, 0
	v_mov_b32_e32 v7, 0
	s_and_saveexec_b64 s[6:7], vcc
	s_cbranch_execz .LBB440_76
; %bb.75:
	v_mov_b32_e32 v7, 0
	v_lshl_add_u64 v[6:7], v[4:5], 0, v[6:7]
	global_load_ushort v6, v[6:7], off offset:32
	s_waitcnt vmcnt(0)
	v_lshlrev_b32_e32 v6, 16, v6
	v_sub_f32_e32 v0, v6, v0
	v_mul_f32_e32 v0, v16, v0
	v_lshrrev_b32_e32 v7, 16, v0
.LBB440_76:
	s_or_b64 exec, exec, s[6:7]
	s_and_saveexec_b64 s[6:7], s[0:1]
	s_cbranch_execz .LBB440_78
; %bb.77:
	v_mov_b32_e32 v9, 0
	v_lshl_add_u64 v[8:9], v[4:5], 0, v[8:9]
	global_load_ushort v0, v[8:9], off offset:32
	s_waitcnt vmcnt(0)
	v_lshlrev_b32_e32 v0, 16, v0
	v_sub_f32_e32 v0, v0, v1
	v_mul_f32_e32 v0, v14, v0
	v_lshrrev_b32_e32 v9, 16, v0
.LBB440_78:
	s_or_b64 exec, exec, s[6:7]
	v_mov_b32_e32 v0, 0
	v_mov_b32_e32 v1, 0
	s_and_saveexec_b64 s[0:1], s[2:3]
	s_cbranch_execz .LBB440_80
; %bb.79:
	v_mov_b32_e32 v11, 0
	v_lshl_add_u64 v[10:11], v[4:5], 0, v[10:11]
	global_load_ushort v1, v[10:11], off offset:32
	s_waitcnt vmcnt(0)
	v_lshlrev_b32_e32 v1, 16, v1
	v_sub_f32_e32 v1, v1, v2
	v_mul_f32_e32 v1, v17, v1
	v_lshrrev_b32_e32 v1, 16, v1
.LBB440_80:
	s_or_b64 exec, exec, s[0:1]
	s_and_saveexec_b64 s[0:1], s[4:5]
	s_cbranch_execz .LBB440_82
; %bb.81:
	v_mov_b32_e32 v13, 0
	v_lshl_add_u64 v[4:5], v[4:5], 0, v[12:13]
	global_load_ushort v0, v[4:5], off offset:32
	s_waitcnt vmcnt(0)
	v_lshlrev_b32_e32 v0, 16, v0
	v_sub_f32_e32 v0, v0, v3
	v_mul_f32_e32 v0, v15, v0
	v_lshrrev_b32_e32 v0, 16, v0
.LBB440_82:
	s_or_b64 exec, exec, s[0:1]
	s_mov_b32 s0, 0x5040100
	v_or_b32_e32 v2, v18, v19
	v_perm_b32 v1, v0, v1, s0
	v_perm_b32 v0, v9, v7, s0
	v_lshlrev_b32_e32 v2, 1, v2
	ds_write_b64 v2, v[0:1] offset:45056
	s_waitcnt lgkmcnt(0)
	s_barrier
.LBB440_83:
	s_endpgm
	.section	.rodata,"a",@progbits
	.p2align	6, 0x0
	.amdhsa_kernel _ZN12_GLOBAL__N_139chunk_gated_delta_rule_fwd_h_hip_kernelILi32ELb0ELb0ELb0ELb1ELb1ELb0ELb0ELb0EEEvPK12hip_bfloat16S3_S3_PKfS5_PKvPS1_S8_PvPKiSB_iiiiilll
		.amdhsa_group_segment_fixed_size 49152
		.amdhsa_private_segment_fixed_size 0
		.amdhsa_kernarg_size 136
		.amdhsa_user_sgpr_count 2
		.amdhsa_user_sgpr_dispatch_ptr 0
		.amdhsa_user_sgpr_queue_ptr 0
		.amdhsa_user_sgpr_kernarg_segment_ptr 1
		.amdhsa_user_sgpr_dispatch_id 0
		.amdhsa_user_sgpr_kernarg_preload_length 0
		.amdhsa_user_sgpr_kernarg_preload_offset 0
		.amdhsa_user_sgpr_private_segment_size 0
		.amdhsa_uses_dynamic_stack 0
		.amdhsa_enable_private_segment 0
		.amdhsa_system_sgpr_workgroup_id_x 1
		.amdhsa_system_sgpr_workgroup_id_y 1
		.amdhsa_system_sgpr_workgroup_id_z 0
		.amdhsa_system_sgpr_workgroup_info 0
		.amdhsa_system_vgpr_workitem_id 0
		.amdhsa_next_free_vgpr 152
		.amdhsa_next_free_sgpr 59
		.amdhsa_accum_offset 132
		.amdhsa_reserve_vcc 1
		.amdhsa_float_round_mode_32 0
		.amdhsa_float_round_mode_16_64 0
		.amdhsa_float_denorm_mode_32 3
		.amdhsa_float_denorm_mode_16_64 3
		.amdhsa_dx10_clamp 1
		.amdhsa_ieee_mode 1
		.amdhsa_fp16_overflow 0
		.amdhsa_tg_split 0
		.amdhsa_exception_fp_ieee_invalid_op 0
		.amdhsa_exception_fp_denorm_src 0
		.amdhsa_exception_fp_ieee_div_zero 0
		.amdhsa_exception_fp_ieee_overflow 0
		.amdhsa_exception_fp_ieee_underflow 0
		.amdhsa_exception_fp_ieee_inexact 0
		.amdhsa_exception_int_div_zero 0
	.end_amdhsa_kernel
	.section	.text._ZN12_GLOBAL__N_139chunk_gated_delta_rule_fwd_h_hip_kernelILi32ELb0ELb0ELb0ELb1ELb1ELb0ELb0ELb0EEEvPK12hip_bfloat16S3_S3_PKfS5_PKvPS1_S8_PvPKiSB_iiiiilll,"axG",@progbits,_ZN12_GLOBAL__N_139chunk_gated_delta_rule_fwd_h_hip_kernelILi32ELb0ELb0ELb0ELb1ELb1ELb0ELb0ELb0EEEvPK12hip_bfloat16S3_S3_PKfS5_PKvPS1_S8_PvPKiSB_iiiiilll,comdat
.Lfunc_end440:
	.size	_ZN12_GLOBAL__N_139chunk_gated_delta_rule_fwd_h_hip_kernelILi32ELb0ELb0ELb0ELb1ELb1ELb0ELb0ELb0EEEvPK12hip_bfloat16S3_S3_PKfS5_PKvPS1_S8_PvPKiSB_iiiiilll, .Lfunc_end440-_ZN12_GLOBAL__N_139chunk_gated_delta_rule_fwd_h_hip_kernelILi32ELb0ELb0ELb0ELb1ELb1ELb0ELb0ELb0EEEvPK12hip_bfloat16S3_S3_PKfS5_PKvPS1_S8_PvPKiSB_iiiiilll
                                        ; -- End function
	.section	.AMDGPU.csdata,"",@progbits
; Kernel info:
; codeLenInByte = 8296
; NumSgprs: 65
; NumVgprs: 130
; NumAgprs: 20
; TotalNumVgprs: 152
; ScratchSize: 0
; MemoryBound: 0
; FloatMode: 240
; IeeeMode: 1
; LDSByteSize: 49152 bytes/workgroup (compile time only)
; SGPRBlocks: 8
; VGPRBlocks: 18
; NumSGPRsForWavesPerEU: 65
; NumVGPRsForWavesPerEU: 152
; AccumOffset: 132
; Occupancy: 1
; WaveLimiterHint : 1
; COMPUTE_PGM_RSRC2:SCRATCH_EN: 0
; COMPUTE_PGM_RSRC2:USER_SGPR: 2
; COMPUTE_PGM_RSRC2:TRAP_HANDLER: 0
; COMPUTE_PGM_RSRC2:TGID_X_EN: 1
; COMPUTE_PGM_RSRC2:TGID_Y_EN: 1
; COMPUTE_PGM_RSRC2:TGID_Z_EN: 0
; COMPUTE_PGM_RSRC2:TIDIG_COMP_CNT: 0
; COMPUTE_PGM_RSRC3_GFX90A:ACCUM_OFFSET: 32
; COMPUTE_PGM_RSRC3_GFX90A:TG_SPLIT: 0
	.section	.text._ZN12_GLOBAL__N_139chunk_gated_delta_rule_fwd_h_hip_kernelILi32ELb1ELb1ELb1ELb0ELb1ELb0ELb0ELb0EEEvPK12hip_bfloat16S3_S3_PKfS5_PKvPS1_S8_PvPKiSB_iiiiilll,"axG",@progbits,_ZN12_GLOBAL__N_139chunk_gated_delta_rule_fwd_h_hip_kernelILi32ELb1ELb1ELb1ELb0ELb1ELb0ELb0ELb0EEEvPK12hip_bfloat16S3_S3_PKfS5_PKvPS1_S8_PvPKiSB_iiiiilll,comdat
	.globl	_ZN12_GLOBAL__N_139chunk_gated_delta_rule_fwd_h_hip_kernelILi32ELb1ELb1ELb1ELb0ELb1ELb0ELb0ELb0EEEvPK12hip_bfloat16S3_S3_PKfS5_PKvPS1_S8_PvPKiSB_iiiiilll ; -- Begin function _ZN12_GLOBAL__N_139chunk_gated_delta_rule_fwd_h_hip_kernelILi32ELb1ELb1ELb1ELb0ELb1ELb0ELb0ELb0EEEvPK12hip_bfloat16S3_S3_PKfS5_PKvPS1_S8_PvPKiSB_iiiiilll
	.p2align	8
	.type	_ZN12_GLOBAL__N_139chunk_gated_delta_rule_fwd_h_hip_kernelILi32ELb1ELb1ELb1ELb0ELb1ELb0ELb0ELb0EEEvPK12hip_bfloat16S3_S3_PKfS5_PKvPS1_S8_PvPKiSB_iiiiilll,@function
_ZN12_GLOBAL__N_139chunk_gated_delta_rule_fwd_h_hip_kernelILi32ELb1ELb1ELb1ELb0ELb1ELb0ELb0ELb0EEEvPK12hip_bfloat16S3_S3_PKfS5_PKvPS1_S8_PvPKiSB_iiiiilll: ; @_ZN12_GLOBAL__N_139chunk_gated_delta_rule_fwd_h_hip_kernelILi32ELb1ELb1ELb1ELb0ELb1ELb0ELb0ELb0EEEvPK12hip_bfloat16S3_S3_PKfS5_PKvPS1_S8_PvPKiSB_iiiiilll
; %bb.0:
	s_load_dwordx4 s[20:23], s[0:1], 0x5c
	s_load_dwordx4 s[24:27], s[0:1], 0x70
	s_abs_i32 s6, s3
	s_ashr_i32 s5, s3, 31
	v_and_b32_e32 v68, 15, v0
	s_waitcnt lgkmcnt(0)
	s_abs_i32 s4, s21
	v_cvt_f32_u32_e32 v1, s4
	s_sub_i32 s8, 0, s4
	s_ashr_i32 s7, s21, 31
	s_xor_b32 s5, s5, s7
	v_rcp_iflag_f32_e32 v1, v1
	v_bfe_u32 v67, v0, 4, 2
	v_mov_b32_e32 v51, 0
	v_lshlrev_b32_e32 v69, 3, v0
	v_mul_f32_e32 v1, 0x4f7ffffe, v1
	v_cvt_u32_f32_e32 v1, v1
	s_nop 0
	v_readfirstlane_b32 s9, v1
	s_mul_i32 s8, s8, s9
	s_mul_hi_u32 s8, s9, s8
	s_add_i32 s9, s9, s8
	s_mul_hi_u32 s8, s6, s9
	s_mul_i32 s9, s8, s4
	s_sub_i32 s6, s6, s9
	s_add_i32 s10, s8, 1
	s_sub_i32 s9, s6, s4
	s_cmp_ge_u32 s6, s4
	s_cselect_b32 s8, s10, s8
	s_cselect_b32 s6, s9, s6
	s_add_i32 s9, s8, 1
	s_cmp_ge_u32 s6, s4
	s_cselect_b32 s6, s9, s8
	s_xor_b32 s6, s6, s5
	s_add_i32 s8, s20, 63
	s_sub_i32 s54, s6, s5
	s_ashr_i32 s9, s8, 31
	s_mul_i32 s12, s54, s21
	s_sub_i32 s52, s3, s12
	s_lshr_b32 s3, s9, 26
	s_add_i32 s8, s8, s3
	s_abs_i32 s3, s22
	v_cvt_f32_u32_e32 v1, s3
	s_ashr_i32 s53, s20, 31
	s_lshr_b32 s5, s53, 26
	s_add_i32 s5, s20, s5
	v_rcp_iflag_f32_e32 v1, v1
	s_ashr_i32 s57, s22, 31
	s_ashr_i32 s55, s5, 6
	s_xor_b32 s5, s7, s57
	v_mul_f32_e32 v1, 0x4f7ffffe, v1
	v_cvt_u32_f32_e32 v1, v1
	s_sub_i32 s6, 0, s3
	s_ashr_i32 s28, s8, 6
	s_lshl_b32 s2, s2, 5
	v_readfirstlane_b32 s7, v1
	s_mul_i32 s6, s6, s7
	s_mul_hi_u32 s6, s7, s6
	s_add_i32 s7, s7, s6
	s_mul_hi_u32 s6, s4, s7
	s_mul_i32 s7, s6, s3
	s_sub_i32 s4, s4, s7
	s_add_i32 s7, s6, 1
	s_sub_i32 s8, s4, s3
	s_cmp_ge_u32 s4, s3
	s_cselect_b32 s6, s7, s6
	s_cselect_b32 s4, s8, s4
	s_add_i32 s7, s6, 1
	s_cmp_ge_u32 s4, s3
	s_cselect_b32 s3, s7, s6
	s_xor_b32 s3, s3, s5
	s_sub_i32 s3, s3, s5
	s_abs_i32 s13, s3
	v_cvt_f32_u32_e32 v1, s13
	s_sub_i32 s15, 0, s13
	s_abs_i32 s14, s52
	s_xor_b32 s3, s52, s3
	v_rcp_iflag_f32_e32 v2, v1
	s_ashr_i32 s3, s3, 31
	s_load_dwordx8 s[4:11], s[0:1], 0x28
	v_lshrrev_b32_e32 v1, 6, v0
	v_mul_f32_e32 v2, 0x4f7ffffe, v2
	v_cvt_u32_f32_e32 v2, v2
	v_or_b32_e32 v56, s2, v68
	v_lshlrev_b32_e32 v66, 4, v1
	v_lshlrev_b32_e32 v52, 7, v56
	v_readfirstlane_b32 s16, v2
	s_mul_i32 s15, s15, s16
	s_mul_hi_u32 s15, s16, s15
	s_add_i32 s16, s16, s15
	s_mul_hi_u32 s15, s14, s16
	s_mul_i32 s16, s15, s13
	s_sub_i32 s14, s14, s16
	s_add_i32 s16, s15, 1
	s_sub_i32 s17, s14, s13
	s_cmp_ge_u32 s14, s13
	s_cselect_b32 s15, s16, s15
	s_cselect_b32 s14, s17, s14
	s_add_i32 s16, s15, 1
	s_cmp_ge_u32 s14, s13
	s_cselect_b32 s13, s16, s15
	s_xor_b32 s13, s13, s3
	s_sub_i32 s58, s13, s3
	s_ashr_i32 s3, s54, 31
	s_ashr_i32 s56, s52, 31
	s_mul_hi_i32 s13, s54, s21
	s_add_u32 s42, s12, s52
	s_addc_u32 s43, s13, s56
	s_lshl_b64 s[34:35], s[42:43], 16
	s_waitcnt lgkmcnt(0)
	s_add_u32 s4, s4, s34
	v_lshl_or_b32 v71, v67, 2, v66
	s_addc_u32 s5, s5, s35
	v_ashrrev_i32_e32 v53, 31, v52
	v_lshl_add_u64 v[2:3], v[52:53], 2, s[4:5]
	v_lshlrev_b32_e32 v50, 2, v71
	v_or_b32_e32 v54, 0x800, v52
	v_lshl_add_u64 v[10:11], v[2:3], 0, v[50:51]
	v_ashrrev_i32_e32 v55, 31, v54
	global_load_dwordx4 v[2:5], v[10:11], off
	global_load_dwordx4 v[6:9], v[10:11], off offset:256
	v_lshl_add_u64 v[10:11], v[54:55], 2, s[4:5]
	v_lshl_add_u64 v[18:19], v[10:11], 0, v[50:51]
	global_load_dwordx4 v[10:13], v[18:19], off
	global_load_dwordx4 v[14:17], v[18:19], off offset:256
	s_load_dwordx8 s[12:19], s[0:1], 0x0
	s_load_dwordx2 s[36:37], s[0:1], 0x80
	v_and_b32_e32 v51, 63, v0
	s_mul_i32 s59, s54, s28
	v_or_b32_e32 v72, 64, v71
	s_cmp_lt_i32 s20, 64
	v_lshrrev_b32_e32 v70, 3, v51
	s_mul_i32 s60, s43, s20
	s_mul_hi_u32 s61, s42, s20
	s_mul_i32 s4, s42, s20
	s_mul_i32 s33, s54, s25
	s_mul_hi_u32 s48, s54, s24
	s_mul_i32 s49, s3, s24
	s_mul_i32 s38, s54, s24
	;; [unrolled: 1-line block ×3, first 2 shown]
	s_mul_hi_u32 s50, s52, s26
	s_mul_i32 s51, s56, s26
	s_mul_i32 s40, s52, s26
	s_cbranch_scc1 .LBB441_19
; %bb.1:
	s_add_i32 s5, s61, s60
	s_lshl_b64 s[0:1], s[4:5], 8
	v_and_b32_e32 v74, 56, v69
	s_waitcnt lgkmcnt(0)
	s_add_u32 s24, s14, s0
	v_lshl_or_b32 v73, v1, 3, v70
	v_lshlrev_b32_e32 v18, 1, v74
	s_addc_u32 s0, s15, s1
	v_lshl_or_b32 v75, v73, 8, v18
	s_and_b32 s25, s0, 0xffff
	s_mov_b32 s27, 0x20000
	s_movk_i32 s26, 0x4000
	s_movk_i32 s0, 0x80
	v_or_b32_e32 v76, 0x2000, v75
	buffer_load_dwordx4 v[20:23], v75, s[24:27], 0 offen
	buffer_load_dwordx4 v[24:27], v75, s[24:27], s0 offen
	;; [unrolled: 1-line block ×4, first 2 shown]
	v_lshlrev_b32_e32 v19, 3, v73
	v_and_or_b32 v37, v0, 7, v19
	v_and_b32_e32 v19, 0x78, v19
	v_lshlrev_b32_e32 v37, 4, v37
	v_xor_b32_e32 v77, v37, v19
	v_mul_lo_u32 v36, v73, s23
	v_or_b32_e32 v78, 0x1000, v77
	v_xor_b32_e32 v19, 8, v77
	s_cmpk_eq_i32 s23, 0x80
	s_mov_b32 s62, s22
	v_xor_b32_e32 v37, 8, v78
	s_cselect_b64 s[0:1], -1, 0
	s_cmpk_lg_i32 s23, 0x80
	s_waitcnt vmcnt(3)
	ds_write_b64 v77, v[20:21] offset:24576
	ds_write_b64 v19, v[22:23] offset:24576
	s_waitcnt vmcnt(2)
	ds_write_b64 v77, v[24:25] offset:32768
	ds_write_b64 v19, v[26:27] offset:32768
	;; [unrolled: 3-line block ×4, first 2 shown]
	v_lshl_add_u32 v19, v36, 1, v74
	s_cbranch_scc0 .LBB441_3
; %bb.2:
	v_lshlrev_b32_e32 v21, 1, v19
	v_add_lshl_u32 v20, v19, s23, 1
	s_lshl_b32 s26, s23, 7
	v_lshl_or_b32 v18, v73, 9, v18
	s_cbranch_execz .LBB441_4
	s_branch .LBB441_5
.LBB441_3:
                                        ; implicit-def: $vgpr20
                                        ; implicit-def: $vgpr21
                                        ; implicit-def: $sgpr26
	v_lshl_or_b32 v18, v73, 9, v18
.LBB441_4:
	v_or_b32_e32 v20, 0x100, v18
	s_movk_i32 s26, 0x4000
	v_mov_b32_e32 v21, v18
.LBB441_5:
	s_mul_hi_u32 s24, s22, s20
	s_mul_i32 s25, s57, s20
	s_add_i32 s24, s24, s25
	s_mul_i32 s25, s22, s20
	s_mul_i32 s27, s25, s3
	s_mul_hi_u32 s28, s25, s54
	s_add_i32 s27, s28, s27
	s_mul_i32 s24, s24, s54
	s_add_i32 s27, s27, s24
	s_mul_i32 s25, s25, s54
	s_ashr_i32 s63, s58, 31
	s_add_u32 s24, s25, s58
	s_addc_u32 s25, s27, s63
	s_lshl_b64 s[24:25], s[24:25], 8
	s_add_u32 s24, s12, s24
	s_addc_u32 s25, s13, s25
	s_and_b32 s25, s25, 0xffff
	s_mov_b32 s27, 0x20000
	s_movk_i32 s64, 0x80
	buffer_load_dwordx4 v[22:25], v21, s[24:27], 0 offen
	buffer_load_dwordx4 v[26:29], v21, s[24:27], s64 offen
	;; [unrolled: 1-line block ×4, first 2 shown]
	v_and_b32_e32 v20, 6, v0
	v_lshlrev_b32_e32 v39, 6, v71
	v_or_b32_e32 v41, 16, v68
	v_xor_b32_e32 v42, v73, v20
	v_and_b32_e32 v21, 1, v0
	v_lshl_or_b32 v45, v68, 3, v39
	v_lshl_or_b32 v39, v41, 3, v39
	v_lshlrev_b32_e32 v42, 2, v42
	s_mul_i32 s3, s3, s20
	s_mul_hi_u32 s24, s54, s20
	v_lshlrev_b32_e32 v38, 2, v68
	v_or_b32_e32 v81, 0xa000, v39
	v_or_b32_e32 v82, 0xb000, v39
	v_xor_b32_e32 v39, 0x440, v42
	v_cmp_eq_u32_e32 vcc, 0, v21
	v_xor_b32_e32 v43, v71, v38
	v_xor_b32_e32 v44, v72, v38
	v_cndmask_b32_e32 v21, v39, v42, vcc
	s_add_i32 s69, s24, s3
	s_add_i32 s3, s48, s33
	s_mov_b32 s66, 0x1000504
	v_lshlrev_b32_e32 v40, 8, v68
	v_lshlrev_b32_e32 v43, 1, v43
	;; [unrolled: 1-line block ×3, first 2 shown]
	v_lshl_or_b32 v20, v20, 10, v21
	s_add_i32 s39, s3, s49
	s_add_i32 s3, s50, s43
	s_mov_b32 s67, 0x3020706
	v_or_b32_e32 v79, 0xa000, v45
	v_or_b32_e32 v80, 0xb000, v45
	v_or_b32_e32 v83, v40, v43
	v_or_b32_e32 v84, v40, v44
	v_xor_b32_e32 v21, 8, v20
	v_xor_b32_e32 v40, 24, v20
	;; [unrolled: 1-line block ×4, first 2 shown]
	s_add_i32 s41, s3, s51
	s_lshl_b64 s[24:25], s[38:39], 2
	v_xor_b32_e32 v39, 16, v20
	v_xor_b32_e32 v42, 32, v20
	;; [unrolled: 1-line block ×3, first 2 shown]
	v_add_u32_e32 v21, 0x80, v21
	v_add_u32_e32 v40, 0x80, v40
	;; [unrolled: 1-line block ×4, first 2 shown]
	s_add_u32 s3, s18, s24
	s_addc_u32 s26, s19, s25
	s_lshl_b64 s[24:25], s[40:41], 2
	s_add_u32 s44, s3, s24
	s_movk_i32 s3, 0xf8
	s_addc_u32 s45, s26, s25
	s_lshl_b32 s30, s23, 7
	s_movk_i32 s28, 0x100
	v_mov_b32_e32 v59, 0
	v_lshlrev_b32_e32 v58, 4, v68
	v_cmp_gt_u32_e32 vcc, s28, v0
	v_ashrrev_i32_e32 v57, 31, v56
	s_mov_b32 s65, 0
	s_mul_i32 s68, s54, s20
	s_movk_i32 s39, 0x1000
	s_movk_i32 s26, 0x4000
	s_mov_b32 s70, 0
	s_waitcnt vmcnt(1)
	v_perm_b32 v48, v22, v30, s66
	s_waitcnt vmcnt(0)
	v_perm_b32 v49, v26, v34, s66
	v_perm_b32 v22, v22, v30, s67
	;; [unrolled: 1-line block ×15, first 2 shown]
	ds_write2st64_b32 v20, v48, v49 offset0:32 offset1:64
	ds_write2st64_b32 v21, v22, v26 offset0:32 offset1:64
	;; [unrolled: 1-line block ×8, first 2 shown]
	v_lshlrev_b32_e32 v20, 8, v41
	v_or_b32_e32 v85, v20, v43
	v_or_b32_e32 v86, v20, v44
	;; [unrolled: 1-line block ×3, first 2 shown]
	v_lshlrev_b32_e32 v20, 3, v20
	v_lshrrev_b32_e32 v23, 5, v51
	v_and_or_b32 v23, v20, s3, v23
	v_lshlrev_b32_e32 v23, 4, v23
	v_lshlrev_b32_e32 v21, 11, v1
	v_and_b32_e32 v20, 0x78, v20
	v_or_b32_e32 v28, 32, v23
	v_and_b32_e32 v22, 0x1000, v21
	v_lshrrev_b32_e32 v25, 1, v0
	v_xor_b32_e32 v28, v28, v20
	v_and_b32_e32 v26, 8, v25
	v_or_b32_e32 v28, v28, v22
	v_xor_b32_e32 v24, v23, v20
	v_xor_b32_e32 v89, v28, v26
	v_or_b32_e32 v28, 64, v23
	v_or_b32_e32 v23, 0x60, v23
	s_ashr_i32 s3, s2, 31
	v_xor_b32_e32 v28, v28, v20
	v_xor_b32_e32 v20, v23, v20
	s_lshl_b64 s[24:25], s[2:3], 8
	v_or_b32_e32 v24, v24, v22
	v_or_b32_e32 v28, v28, v22
	;; [unrolled: 1-line block ×3, first 2 shown]
	s_add_u32 s24, s6, s24
	v_lshlrev_b32_e32 v22, 1, v68
	v_xor_b32_e32 v91, v28, v26
	v_lshrrev_b32_e32 v28, 4, v0
	s_addc_u32 s25, s7, s25
	v_or_b32_e32 v23, 1, v22
	v_mov_b32_e32 v32, 0x4000
	v_mov_b32_e32 v33, 0x2000
	v_xor_b32_e32 v29, v28, v22
	v_xor_b32_e32 v30, v23, v28
	v_lshl_add_u64 v[22:23], s[24:25], 0, v[58:59]
	v_lshlrev_b32_e32 v58, 8, v28
	v_cndmask_b32_e32 v32, v32, v33, vcc
	v_lshlrev_b32_e32 v33, 3, v1
	v_and_b32_e32 v25, 24, v25
	v_lshl_or_b32 v95, v29, 3, v58
	v_and_b32_e32 v29, 8, v0
	v_xor_b32_e32 v34, v33, v25
	v_or_b32_e32 v35, 0x440, v34
	v_cmp_eq_u32_e32 vcc, 0, v29
	v_and_b32_e32 v28, 7, v0
	v_xor_b32_e32 v87, v24, v26
	v_cndmask_b32_e32 v29, v35, v34, vcc
	v_lshlrev_b32_e32 v24, 7, v67
	v_lshl_or_b32 v96, v30, 3, v58
	v_lshlrev_b32_e32 v30, 3, v28
	v_lshlrev_b32_e32 v28, 7, v28
	;; [unrolled: 1-line block ×3, first 2 shown]
	v_or_b32_e32 v29, v29, v21
	v_or_b32_e32 v27, v24, v38
	v_xad_u32 v97, v29, v30, v28
	v_and_or_b32 v24, v31, 60, v24
	v_mov_b32_e32 v29, 0xb000
	v_lshl_or_b32 v98, v24, 1, v29
	v_or_b32_e32 v24, 32, v25
	v_xor_b32_e32 v24, v33, v24
	v_or_b32_e32 v29, 0x440, v24
	v_cndmask_b32_e32 v24, v29, v24, vcc
	v_or_b32_e32 v24, v24, v21
	v_xad_u32 v99, v24, v30, v28
	v_or_b32_e32 v24, 64, v25
	v_xor_b32_e32 v24, v33, v24
	v_xor_b32_e32 v29, 0x440, v24
	v_cndmask_b32_e32 v24, v29, v24, vcc
	v_or_b32_e32 v24, v24, v21
	v_xad_u32 v100, v24, v30, v28
	v_or_b32_e32 v24, 0x60, v25
	v_xor_b32_e32 v24, v33, v24
	v_xor_b32_e32 v25, 0x440, v24
	v_lshlrev_b32_e32 v27, 1, v27
	v_cndmask_b32_e32 v24, v25, v24, vcc
	v_or_b32_e32 v88, 0xa000, v27
	v_or_b32_e32 v90, 0xa080, v27
	v_xor_b32_e32 v92, v20, v26
	v_or_b32_e32 v93, 0xb000, v27
	v_or_b32_e32 v94, 0xb080, v27
	v_lshlrev_b32_e32 v26, 1, v19
	v_add_lshl_u32 v19, v19, s23, 1
	v_or_b32_e32 v27, 0x100, v18
	v_or_b32_e32 v21, v24, v21
	v_lshlrev_b32_e32 v20, 7, v71
	v_xad_u32 v101, v21, v30, v28
	v_cndmask_b32_e64 v102, v26, v18, s[0:1]
	v_cndmask_b32_e64 v103, v19, v27, s[0:1]
	v_lshlrev_b64 v[18:19], 1, v[56:57]
	v_lshl_add_u64 v[60:61], s[16:17], 0, v[18:19]
	v_lshl_add_u64 v[62:63], s[8:9], 0, v[18:19]
	;; [unrolled: 1-line block ×3, first 2 shown]
	s_mov_b32 s3, 0x7060302
	v_lshlrev_b32_e32 v58, 1, v20
	v_add_u32_e32 v57, v32, v97
	v_add_u32_e32 v104, v32, v99
	v_add_u32_e32 v105, v32, v100
	v_add_u32_e32 v106, v32, v101
	s_waitcnt lgkmcnt(0)
	s_barrier
.LBB441_6:                              ; =>This Inner Loop Header: Depth=1
	s_add_i32 s41, s70, 1
	s_cmp_lt_i32 s41, s55
	s_mov_b64 s[28:29], 0
	s_cselect_b64 s[46:47], -1, 0
	s_cmp_ge_i32 s41, s55
	s_mov_b64 s[24:25], 0
	s_cbranch_scc1 .LBB441_8
; %bb.7:                                ;   in Loop: Header=BB441_6 Depth=1
	s_add_i32 s0, s65, 64
	s_add_u32 s0, s4, s0
	s_addc_u32 s1, s5, 0
	s_lshl_b64 s[0:1], s[0:1], 8
	s_add_u32 s24, s14, s0
	s_addc_u32 s25, s15, s1
.LBB441_8:                              ;   in Loop: Header=BB441_6 Depth=1
	v_cndmask_b32_e64 v18, 0, 1, s[46:47]
	v_cmp_ne_u32_e64 s[0:1], 1, v18
	s_andn2_b64 vcc, exec, s[46:47]
	s_cbranch_vccnz .LBB441_10
; %bb.9:                                ;   in Loop: Header=BB441_6 Depth=1
	s_add_i32 s28, s65, 64
	s_add_u32 s28, s68, s28
	s_addc_u32 s29, s69, 0
	s_mul_i32 s31, s28, s57
	s_mul_hi_u32 s46, s28, s62
	s_add_i32 s31, s46, s31
	s_mul_i32 s29, s29, s62
	s_add_i32 s31, s31, s29
	s_mul_i32 s28, s28, s62
	s_add_u32 s28, s28, s58
	s_addc_u32 s29, s31, s63
	s_lshl_b64 s[28:29], s[28:29], 8
	s_add_u32 s28, s12, s28
	s_addc_u32 s29, s13, s29
.LBB441_10:                             ;   in Loop: Header=BB441_6 Depth=1
	v_perm_b32 v19, v5, v4, s3
	v_perm_b32 v18, v3, v2, s3
	;; [unrolled: 1-line block ×4, first 2 shown]
	ds_write_b64 v79, v[18:19]
	ds_write_b64 v80, v[20:21]
	;; [unrolled: 1-line block ×4, first 2 shown]
	v_perm_b32 v19, v13, v12, s3
	v_perm_b32 v18, v11, v10, s3
	;; [unrolled: 1-line block ×4, first 2 shown]
	ds_write_b64 v81, v[18:19]
	ds_write_b64 v82, v[20:21]
	;; [unrolled: 1-line block ×4, first 2 shown]
	s_waitcnt lgkmcnt(0)
	s_barrier
	ds_read_b64 v[22:23], v87 offset:24576
	ds_read2_b64 v[18:21], v88 offset1:16
	ds_read_b64 v[26:27], v90 offset:3072
	ds_read_b64 v[28:29], v88 offset:3072
	;; [unrolled: 1-line block ×3, first 2 shown]
	s_waitcnt lgkmcnt(3)
	v_mfma_f32_16x16x16_bf16 a[0:3], v[22:23], v[18:19], 0
	s_add_i32 s31, s65, 63
	s_mul_i32 s46, s31, s37
	s_mul_hi_u32 s47, s31, s36
	v_mfma_f32_16x16x16_bf16 a[4:7], v[22:23], v[20:21], 0
	ds_read2st64_b64 v[18:21], v88 offset0:2 offset1:4
	ds_read2st64_b64 v[22:25], v90 offset0:2 offset1:4
	s_add_i32 s47, s47, s46
	s_waitcnt lgkmcnt(1)
	v_mfma_f32_16x16x16_bf16 a[0:3], v[30:31], v[18:19], a[0:3]
	s_mul_i32 s46, s31, s36
	s_lshl_b64 s[46:47], s[46:47], 2
	s_add_u32 s46, s44, s46
	s_waitcnt lgkmcnt(0)
	v_mfma_f32_16x16x16_bf16 a[4:7], v[30:31], v[22:23], a[4:7]
	ds_read_b64 v[18:19], v91 offset:24576
	ds_read_b64 v[22:23], v92 offset:24576
	s_addc_u32 s47, s45, s47
	s_and_b64 vcc, exec, s[0:1]
	s_waitcnt lgkmcnt(1)
	v_mfma_f32_16x16x16_bf16 a[0:3], v[18:19], v[20:21], a[0:3]
	v_mov_b32_e32 v109, 0
	v_mov_b32_e32 v108, 0
	;; [unrolled: 1-line block ×3, first 2 shown]
	v_mfma_f32_16x16x16_bf16 a[8:11], v[18:19], v[24:25], a[4:7]
	v_mov_b32_e32 v18, 0
	v_mov_b32_e32 v19, 0
	;; [unrolled: 1-line block ×3, first 2 shown]
	s_waitcnt lgkmcnt(0)
	v_mfma_f32_16x16x16_bf16 a[4:7], v[22:23], v[28:29], a[0:3]
	v_mov_b32_e32 v21, 0
	v_mov_b32_e32 v24, 0
	v_mov_b32_e32 v25, 0
	v_mfma_f32_16x16x16_bf16 a[0:3], v[22:23], v[26:27], a[8:11]
	v_mov_b32_e32 v22, 0
	v_mov_b32_e32 v23, 0
	;; [unrolled: 1-line block ×10, first 2 shown]
	s_cbranch_vccnz .LBB441_12
; %bb.11:                               ;   in Loop: Header=BB441_6 Depth=1
	s_and_b32 s25, s25, 0xffff
	buffer_load_dwordx4 v[30:33], v75, s[24:27], 0 offen
	buffer_load_dwordx4 v[26:29], v75, s[24:27], s64 offen
	;; [unrolled: 1-line block ×4, first 2 shown]
	v_mov_b32_e32 v108, v77
	v_mov_b32_e32 v107, v78
.LBB441_12:                             ;   in Loop: Header=BB441_6 Depth=1
	ds_read_b64 v[42:43], v87 offset:32768
	ds_read2_b64 v[34:37], v93 offset1:16
	ds_read_b64 v[44:45], v89 offset:32768
	ds_read_b64 v[46:47], v91 offset:32768
	;; [unrolled: 1-line block ×3, first 2 shown]
	ds_read2st64_b64 v[38:41], v93 offset0:2 offset1:4
	v_add_u32_e32 v110, s65, v71
	s_waitcnt lgkmcnt(4)
	v_mfma_f32_16x16x16_bf16 a[4:7], v[42:43], v[34:35], a[4:7]
	v_ashrrev_i32_e32 v34, 31, v110
	v_mfma_f32_16x16x16_bf16 a[0:3], v[42:43], v[36:37], a[0:3]
	v_mul_lo_u32 v36, v110, s37
	v_mul_lo_u32 v37, v34, s36
	v_mad_u64_u32 v[34:35], s[24:25], v110, s36, 0
	v_add3_u32 v35, v35, v36, v37
	v_add_u32_e32 v36, 1, v110
	v_ashrrev_i32_e32 v37, 31, v36
	s_waitcnt lgkmcnt(0)
	v_mfma_f32_16x16x16_bf16 a[4:7], v[44:45], v[38:39], a[4:7]
	v_mul_lo_u32 v38, v37, s36
	v_mul_lo_u32 v39, v36, s37
	v_mad_u64_u32 v[36:37], s[24:25], v36, s36, 0
	v_add3_u32 v37, v37, v39, v38
	v_add_u32_e32 v38, 2, v110
	v_ashrrev_i32_e32 v39, 31, v38
	v_mul_lo_u32 v42, v39, s36
	v_mul_lo_u32 v43, v38, s37
	v_mad_u64_u32 v[38:39], s[24:25], v38, s36, 0
	v_add3_u32 v39, v39, v43, v42
	v_add_u32_e32 v42, 3, v110
	v_ashrrev_i32_e32 v43, 31, v42
	v_mul_lo_u32 v110, v43, s36
	v_mul_lo_u32 v111, v42, s37
	v_mad_u64_u32 v[42:43], s[24:25], v42, s36, 0
	s_add_u32 s24, s4, s65
	s_addc_u32 s25, s5, 0
	s_lshl_b64 s[72:73], s[24:25], 8
	v_lshl_add_u64 v[34:35], v[34:35], 2, s[44:45]
	v_add3_u32 v43, v43, v111, v110
	v_lshl_add_u64 v[110:111], v[60:61], 0, s[72:73]
	v_lshl_add_u64 v[36:37], v[36:37], 2, s[44:45]
	;; [unrolled: 1-line block ×3, first 2 shown]
	global_load_dword v112, v[34:35], off
	global_load_ushort v113, v[110:111], off offset:256
	global_load_ushort v114, v[110:111], off
	global_load_ushort v115, v[110:111], off offset:768
	v_lshl_add_u64 v[34:35], v[42:43], 2, s[44:45]
	v_lshl_add_u64 v[38:39], v[38:39], 2, s[44:45]
	global_load_dword v116, v[36:37], off
	global_load_dword v117, v[38:39], off
	;; [unrolled: 1-line block ×3, first 2 shown]
	ds_read2st64_b64 v[34:37], v94 offset0:2 offset1:4
	s_waitcnt lgkmcnt(0)
	v_mfma_f32_16x16x16_bf16 a[0:3], v[44:45], v[34:35], a[0:3]
	global_load_ushort v44, v[110:111], off offset:512
	global_load_ushort v119, v[110:111], off offset:800
	global_load_ushort v120, v[110:111], off offset:544
	global_load_ushort v121, v[110:111], off offset:288
	s_nop 0
	global_load_ushort v110, v[110:111], off offset:32
	s_and_b64 vcc, exec, s[0:1]
	v_mfma_f32_16x16x16_bf16 a[4:7], v[46:47], v[40:41], a[4:7]
	s_waitcnt vmcnt(10)
	v_lshlrev_b32_e32 v43, 16, v113
	v_mfma_f32_16x16x16_bf16 a[0:3], v[46:47], v[36:37], a[0:3]
	ds_read_b64 v[34:35], v93 offset:3072
	ds_read_b64 v[36:37], v94 offset:3072
	s_load_dword s24, s[46:47], 0x0
	s_waitcnt vmcnt(9)
	v_lshlrev_b32_e32 v42, 16, v114
	s_waitcnt lgkmcnt(0)
	v_mfma_f32_16x16x16_bf16 a[4:7], v[48:49], v[34:35], a[4:7]
	v_lshl_add_u64 v[34:35], v[62:63], 0, s[72:73]
	v_sub_f32_e32 v46, s24, v112
	s_waitcnt vmcnt(7)
	v_sub_f32_e32 v47, s24, v116
	v_mfma_f32_16x16x16_bf16 a[0:3], v[48:49], v[36:37], a[0:3]
	s_waitcnt vmcnt(6)
	v_sub_f32_e32 v48, s24, v117
	s_waitcnt vmcnt(5)
	v_sub_f32_e32 v49, s24, v118
	v_accvgpr_read_b32 v41, a5
	v_accvgpr_read_b32 v40, a4
	v_exp_f32_e32 v46, v46
	v_pk_add_f32 v[40:41], v[42:43], v[40:41] neg_lo:[0,1] neg_hi:[0,1]
	v_exp_f32_e32 v47, v47
	v_exp_f32_e32 v42, v48
	;; [unrolled: 1-line block ×3, first 2 shown]
	v_accvgpr_read_b32 v37, a7
	v_accvgpr_read_b32 v36, a6
	v_lshlrev_b32_e32 v45, 16, v115
	s_waitcnt vmcnt(4)
	v_lshlrev_b32_e32 v44, 16, v44
	v_lshl_add_u64 v[34:35], v[34:35], 0, v[58:59]
	v_pk_add_f32 v[36:37], v[44:45], v[36:37] neg_lo:[0,1] neg_hi:[0,1]
	global_store_short_d16_hi v[34:35], v40, off
	global_store_short_d16_hi v[34:35], v41, off offset:256
	global_store_short_d16_hi v[34:35], v36, off offset:512
	global_store_short_d16_hi v[34:35], v37, off offset:768
	v_pk_mul_f32 v[40:41], v[46:47], v[40:41]
	v_pk_mul_f32 v[36:37], v[42:43], v[36:37]
	v_accvgpr_read_b32 v45, a1
	v_perm_b32 v40, v41, v40, s3
	v_perm_b32 v41, v37, v36, s3
	s_waitcnt vmcnt(5)
	v_lshlrev_b32_e32 v37, 16, v121
	s_waitcnt vmcnt(4)
	v_lshlrev_b32_e32 v36, 16, v110
	v_accvgpr_read_b32 v44, a0
	v_accvgpr_read_b32 v39, a3
	;; [unrolled: 1-line block ×3, first 2 shown]
	v_pk_add_f32 v[36:37], v[36:37], v[44:45] neg_lo:[0,1] neg_hi:[0,1]
	v_lshlrev_b32_e32 v45, 16, v119
	v_lshlrev_b32_e32 v44, 16, v120
	v_pk_add_f32 v[38:39], v[44:45], v[38:39] neg_lo:[0,1] neg_hi:[0,1]
	global_store_short_d16_hi v[34:35], v36, off offset:32
	global_store_short_d16_hi v[34:35], v37, off offset:288
	;; [unrolled: 1-line block ×4, first 2 shown]
	v_pk_mul_f32 v[34:35], v[46:47], v[36:37]
	v_pk_mul_f32 v[36:37], v[42:43], v[38:39]
	v_mov_b32_e32 v110, 0
	v_perm_b32 v37, v37, v36, s3
	v_perm_b32 v36, v35, v34, s3
	ds_write2_b64 v80, v[40:41], v[36:37] offset1:16
	v_mov_b32_e32 v34, 0
	v_mov_b32_e32 v35, 0
	;; [unrolled: 1-line block ×16, first 2 shown]
	s_cbranch_vccnz .LBB441_14
; %bb.13:                               ;   in Loop: Header=BB441_6 Depth=1
	s_and_b32 s29, s29, 0xffff
	s_mov_b32 s31, s27
	buffer_load_dwordx4 v[46:49], v102, s[28:31], 0 offen
	buffer_load_dwordx4 v[38:41], v102, s[28:31], s64 offen
	;; [unrolled: 1-line block ×4, first 2 shown]
	v_mov_b32_e32 v109, v74
	v_mov_b32_e32 v110, v73
.LBB441_14:                             ;   in Loop: Header=BB441_6 Depth=1
	s_waitcnt lgkmcnt(0)
	s_barrier
	ds_read_b64 v[116:117], v57
	ds_read_b64 v[124:125], v98
	ds_read_b64 v[120:121], v104
	ds_read_b64 v[126:127], v105
	ds_read_b64 v[128:129], v106
	ds_read_b64 v[130:131], v99 offset:16384
	ds_read_b64 v[132:133], v97 offset:16384
	ds_read2_b64 v[112:115], v93 offset0:16 offset1:128
	s_waitcnt lgkmcnt(6)
	v_mfma_f32_16x16x16_bf16 a[0:3], v[116:117], v[124:125], 0
	ds_read_b64 v[134:135], v94 offset:3072
	ds_read_b64 v[136:137], v101 offset:16384
	s_add_i32 s25, s59, s70
	s_waitcnt lgkmcnt(2)
	v_mfma_f32_16x16x16_bf16 a[4:7], v[116:117], v[112:113], 0
	ds_read2st64_b64 v[116:119], v94 offset0:2 offset1:4
	s_mul_hi_i32 s29, s25, s21
	s_mul_i32 s25, s25, s21
	v_mfma_f32_16x16x16_bf16 a[0:3], v[120:121], v[114:115], a[0:3]
	s_add_u32 s28, s25, s52
	s_addc_u32 s29, s29, s56
	s_lshl_b64 s[28:29], s[28:29], 15
	s_waitcnt lgkmcnt(0)
	v_mfma_f32_16x16x16_bf16 a[4:7], v[120:121], v[116:117], a[4:7]
	ds_read2st64_b64 v[120:123], v93 offset0:4 offset1:6
	s_waitcnt lgkmcnt(0)
	v_mfma_f32_16x16x16_bf16 a[0:3], v[126:127], v[120:121], a[0:3]
	v_mfma_f32_16x16x16_bf16 a[8:11], v[126:127], v[118:119], a[4:7]
	;; [unrolled: 1-line block ×5, first 2 shown]
	ds_read2st64_b64 v[124:127], v96 offset1:8
	v_mfma_f32_16x16x16_bf16 a[12:15], v[132:133], v[112:113], 0
	ds_read_b64 v[132:133], v100 offset:16384
	v_mfma_f32_16x16x16_bf16 a[8:11], v[130:131], v[114:115], a[8:11]
	ds_read2st64_b64 v[112:115], v95 offset1:8
	s_waitcnt lgkmcnt(0)
	v_mov_b32_e32 v128, v112
	v_mfma_f32_16x16x16_bf16 a[12:15], v[130:131], v[116:117], a[12:15]
	v_lshl_add_u64 v[116:117], v[64:65], 0, s[28:29]
	v_add_co_u32_e32 v112, vcc, s39, v116
	v_mfma_f32_16x16x16_bf16 a[8:11], v[132:133], v[120:121], a[8:11]
	v_mov_b32_e32 v129, v113
	v_addc_co_u32_e32 v113, vcc, 0, v117, vcc
	v_mfma_f32_16x16x16_bf16 a[12:15], v[132:133], v[118:119], a[12:15]
	v_mov_b32_e32 v130, v124
	v_mov_b32_e32 v131, v125
	;; [unrolled: 1-line block ×3, first 2 shown]
	v_mfma_f32_16x16x16_bf16 a[8:11], v[136:137], v[122:123], a[8:11]
	v_mov_b32_e32 v125, v115
	s_and_b64 vcc, exec, s[0:1]
	global_store_dwordx4 v[116:117], v[128:131], off
	v_mfma_f32_16x16x16_bf16 a[12:15], v[136:137], v[134:135], a[12:15]
	global_store_dwordx4 v[112:113], v[124:127], off
	s_cbranch_vccnz .LBB441_16
; %bb.15:                               ;   in Loop: Header=BB441_6 Depth=1
	v_lshrrev_b32_e32 v111, 3, v109
	v_and_b32_e32 v111, 6, v111
	v_xor_b32_e32 v110, v111, v110
	v_lshlrev_b32_e32 v110, 2, v110
	v_and_b32_e32 v109, 8, v109
	v_xor_b32_e32 v112, 0x440, v110
	v_cmp_eq_u32_e32 vcc, 0, v109
	s_barrier
	s_nop 0
	v_cndmask_b32_e32 v109, v112, v110, vcc
	v_lshl_or_b32 v109, v111, 10, v109
	s_waitcnt vmcnt(3)
	v_perm_b32 v110, v46, v42, s66
	s_waitcnt vmcnt(2)
	v_perm_b32 v111, v38, v34, s66
	ds_write2st64_b32 v109, v110, v111 offset0:32 offset1:64
	v_xor_b32_e32 v110, 8, v109
	v_perm_b32 v42, v46, v42, s67
	v_perm_b32 v34, v38, v34, s67
	v_add_u32_e32 v38, 0x80, v110
	ds_write2st64_b32 v38, v42, v34 offset0:32 offset1:64
	v_xor_b32_e32 v34, 16, v109
	v_perm_b32 v38, v47, v43, s66
	v_perm_b32 v42, v39, v35, s66
	ds_write2st64_b32 v34, v38, v42 offset0:33 offset1:65
	v_xor_b32_e32 v34, 24, v109
	v_perm_b32 v38, v47, v43, s67
	v_perm_b32 v35, v39, v35, s67
	v_add_u32_e32 v34, 0x80, v34
	ds_write2st64_b32 v34, v38, v35 offset0:33 offset1:65
	v_xor_b32_e32 v34, 32, v109
	v_perm_b32 v35, v48, v44, s66
	;; [unrolled: 9-line block ×3, first 2 shown]
	v_perm_b32 v36, v41, v37, s66
	ds_write2st64_b32 v34, v35, v36 offset0:35 offset1:67
	v_xor_b32_e32 v34, 56, v109
	v_perm_b32 v35, v49, v45, s67
	v_perm_b32 v36, v41, v37, s67
	v_add_u32_e32 v34, 0x80, v34
	ds_write2st64_b32 v34, v35, v36 offset0:35 offset1:67
	ds_write_b64 v108, v[30:31] offset:24576
	v_xor_b32_e32 v30, 8, v108
	ds_write_b64 v30, v[32:33] offset:24576
	ds_write_b64 v108, v[26:27] offset:32768
	;; [unrolled: 1-line block ×4, first 2 shown]
	v_xor_b32_e32 v22, 8, v107
	ds_write_b64 v22, v[24:25] offset:24576
	ds_write_b64 v107, v[18:19] offset:32768
	;; [unrolled: 1-line block ×3, first 2 shown]
.LBB441_16:                             ;   in Loop: Header=BB441_6 Depth=1
	s_waitcnt vmcnt(2)
	v_exp_f32_e32 v34, s24
	v_accvgpr_read_b32 v33, a7
	v_accvgpr_read_b32 v25, a3
	;; [unrolled: 1-line block ×16, first 2 shown]
	s_add_i32 s65, s65, 64
	v_fma_f32 v2, v2, v34, v30
	v_fma_f32 v3, v3, v34, v31
	v_fma_f32 v4, v4, v34, v32
	v_fmac_f32_e32 v33, v5, v34
	v_fma_f32 v10, v10, v34, v22
	v_fma_f32 v11, v11, v34, v23
	v_fma_f32 v12, v12, v34, v24
	v_fmac_f32_e32 v25, v13, v34
	;; [unrolled: 4-line block ×3, first 2 shown]
	v_fma_f32 v14, v14, v34, v18
	v_fma_f32 v15, v15, v34, v19
	;; [unrolled: 1-line block ×3, first 2 shown]
	s_cmp_eq_u32 s55, s41
	v_fmac_f32_e32 v21, v17, v34
	s_cbranch_scc1 .LBB441_18
; %bb.17:                               ;   in Loop: Header=BB441_6 Depth=1
	s_mov_b32 s70, s41
	v_mov_b32_e32 v5, v33
	v_mov_b32_e32 v9, v29
	;; [unrolled: 1-line block ×4, first 2 shown]
	s_branch .LBB441_6
.LBB441_18:
	v_mov_b32_e32 v5, v33
	v_mov_b32_e32 v9, v29
	;; [unrolled: 1-line block ×4, first 2 shown]
.LBB441_19:
	s_lshl_b32 s30, s55, 6
	s_sub_i32 s31, s20, s30
	s_cmp_gt_i32 s31, 0
	s_cbranch_scc0 .LBB441_84
; %bb.20:
	s_ashr_i32 s3, s30, 31
	s_cmpk_lg_i32 s23, 0x80
	s_cselect_b64 s[26:27], -1, 0
	s_and_b64 vcc, exec, s[26:27]
	s_cbranch_vccz .LBB441_22
; %bb.21:
	s_mul_i32 s1, s54, s20
	s_mul_hi_i32 s0, s54, s20
	s_add_u32 s1, s1, s30
	s_addc_u32 s0, s0, s3
	s_mul_i32 s5, s1, s57
	s_mul_hi_u32 s24, s1, s22
	s_add_i32 s5, s24, s5
	s_mul_i32 s0, s0, s22
	s_add_i32 s5, s5, s0
	s_mul_i32 s1, s1, s22
	s_ashr_i32 s0, s58, 31
	s_add_u32 s28, s1, s58
	s_addc_u32 s29, s5, s0
	s_cbranch_execz .LBB441_23
	s_branch .LBB441_24
.LBB441_22:
                                        ; implicit-def: $sgpr28_sgpr29
.LBB441_23:
	s_mul_hi_i32 s0, s54, s22
	s_mul_i32 s54, s54, s22
	s_ashr_i32 s1, s58, 31
	s_add_u32 s5, s54, s58
	s_addc_u32 s0, s0, s1
	s_mul_i32 s1, s5, s53
	s_mul_hi_u32 s22, s5, s20
	s_add_i32 s1, s22, s1
	s_mul_i32 s0, s0, s20
	s_add_i32 s1, s1, s0
	s_mul_i32 s5, s5, s20
	s_add_u32 s28, s5, s30
	s_addc_u32 s29, s1, s3
.LBB441_24:
	s_mul_i32 s0, s42, s53
	s_add_i32 s0, s61, s0
	s_add_i32 s5, s59, s55
	;; [unrolled: 1-line block ×3, first 2 shown]
	s_add_u32 s0, s4, s30
	v_lshlrev_b32_e32 v22, 5, v71
	v_lshlrev_b32_e32 v38, 2, v68
	s_addc_u32 s1, s1, s3
	s_mov_b32 s3, 0x7060302
	v_or_b32_e32 v25, v22, v38
	v_xor_b32_e32 v23, v71, v38
	s_waitcnt vmcnt(3)
	v_perm_b32 v19, v5, v4, s3
	v_perm_b32 v18, v3, v2, s3
	s_waitcnt vmcnt(2)
	v_perm_b32 v21, v9, v8, s3
	v_perm_b32 v20, v7, v6, s3
	v_lshlrev_b32_e32 v25, 1, v25
	v_xor_b32_e32 v24, v72, v38
	ds_write2st64_b64 v25, v[18:19], v[20:21] offset0:80 offset1:88
	v_lshlrev_b32_e32 v23, 1, v23
	v_lshlrev_b32_e32 v25, 8, v68
	s_lshl_b64 s[24:25], s[0:1], 8
	v_or_b32_e32 v26, v23, v25
	v_lshlrev_b32_e32 v24, 1, v24
	s_waitcnt lgkmcnt(0)
	s_add_u32 s0, s14, s24
	ds_write_b64 v26, v[18:19]
	v_or_b32_e32 v18, v24, v25
	s_addc_u32 s1, s15, s25
	ds_write_b64 v18, v[20:21]
	s_waitcnt vmcnt(1)
	v_perm_b32 v19, v13, v12, s3
	v_perm_b32 v18, v11, v10, s3
	s_waitcnt vmcnt(0)
	v_perm_b32 v21, v17, v16, s3
	v_perm_b32 v20, v15, v14, s3
	v_or_b32_e32 v25, 16, v68
	s_mul_hi_i32 s3, s5, s21
	s_mul_i32 s5, s5, s21
	v_lshlrev_b32_e32 v35, 2, v25
	s_add_u32 s4, s5, s52
	v_or_b32_e32 v22, v22, v35
	s_addc_u32 s5, s3, s56
	v_lshlrev_b32_e32 v22, 1, v22
	s_ashr_i32 s3, s2, 31
	s_lshl_b64 s[4:5], s[4:5], 15
	ds_write2st64_b64 v22, v[18:19], v[20:21] offset0:80 offset1:88
	v_lshlrev_b32_e32 v22, 8, v25
	s_add_u32 s4, s6, s4
	v_or_b32_e32 v23, v23, v22
	s_addc_u32 s5, s7, s5
	s_lshl_b64 s[2:3], s[2:3], 8
	ds_write_b64 v23, v[18:19]
	v_or_b32_e32 v18, v24, v22
	s_add_u32 s2, s4, s2
	ds_write_b64 v18, v[20:21]
	v_lshrrev_b32_e32 v18, 4, v0
	s_addc_u32 s3, s5, s3
	v_lshlrev_b32_e32 v19, 1, v68
	v_lshlrev_b32_e32 v26, 4, v68
	v_mov_b32_e32 v27, 0
	v_or_b32_e32 v20, 1, v19
	v_xor_b32_e32 v19, v18, v19
	v_lshl_add_u64 v[28:29], s[2:3], 0, v[26:27]
	v_lshlrev_b32_e32 v26, 8, v18
	v_xor_b32_e32 v22, v20, v18
	v_lshl_or_b32 v18, v19, 3, v26
	s_waitcnt lgkmcnt(0)
	s_barrier
	ds_read2st64_b64 v[18:21], v18 offset1:8
	v_lshl_or_b32 v22, v22, 3, v26
	ds_read2st64_b64 v[22:25], v22 offset1:8
	v_lshl_add_u64 v[30:31], v[28:29], 0, v[26:27]
	s_movk_i32 s2, 0x1000
	s_waitcnt lgkmcnt(1)
	v_mov_b32_e32 v26, v18
	v_add_co_u32_e32 v18, vcc, s2, v30
	s_cmp_lg_u32 s31, 64
	v_mov_b32_e32 v27, v19
	v_addc_co_u32_e32 v19, vcc, 0, v31, vcc
	s_cselect_b64 s[14:15], -1, 0
	v_lshl_or_b32 v42, v1, 3, v70
	s_waitcnt lgkmcnt(0)
	v_mov_b32_e32 v28, v22
	v_mov_b32_e32 v29, v23
	;; [unrolled: 1-line block ×4, first 2 shown]
	s_mov_b32 s4, 0
	v_or_b32_e32 v36, 32, v42
	v_and_b32_e32 v34, 56, v69
	s_and_b64 vcc, exec, s[14:15]
	global_store_dwordx4 v[30:31], v[26:29], off
	global_store_dwordx4 v[18:19], v[22:25], off
	s_cbranch_vccz .LBB441_30
; %bb.25:
	s_mov_b32 s6, s4
	s_mov_b32 s7, s4
	;; [unrolled: 1-line block ×3, first 2 shown]
	v_mov_b64_e32 v[24:25], s[6:7]
	v_mov_b64_e32 v[22:23], s[4:5]
	;; [unrolled: 1-line block ×3, first 2 shown]
	v_cmp_gt_i32_e32 vcc, s31, v42
	v_mov_b64_e32 v[20:21], v[24:25]
	s_and_saveexec_b64 s[2:3], vcc
	s_cbranch_execz .LBB441_27
; %bb.26:
	v_lshlrev_b32_e32 v18, 8, v42
	v_mov_b32_e32 v19, 0
	v_lshl_add_u64 v[20:21], s[0:1], 0, v[18:19]
	v_lshlrev_b32_e32 v18, 1, v34
	v_lshl_add_u64 v[26:27], v[20:21], 0, v[18:19]
	global_load_dwordx4 v[22:25], v[26:27], off
	global_load_dwordx4 v[18:21], v[26:27], off offset:128
.LBB441_27:
	s_or_b64 exec, exec, s[2:3]
	s_mov_b32 s6, s4
	s_mov_b32 s7, s4
	;; [unrolled: 1-line block ×3, first 2 shown]
	v_mov_b64_e32 v[32:33], s[6:7]
	v_mov_b64_e32 v[30:31], s[4:5]
	;; [unrolled: 1-line block ×3, first 2 shown]
	v_cmp_gt_i32_e32 vcc, s31, v36
	v_lshlrev_b32_e32 v37, 7, v36
	v_mov_b64_e32 v[28:29], v[32:33]
	s_and_saveexec_b64 s[2:3], vcc
	s_cbranch_execz .LBB441_29
; %bb.28:
	v_lshlrev_b32_e32 v26, 1, v37
	v_mov_b32_e32 v27, 0
	v_lshl_add_u64 v[28:29], s[0:1], 0, v[26:27]
	v_lshlrev_b32_e32 v26, 1, v34
	v_lshl_add_u64 v[40:41], v[28:29], 0, v[26:27]
	global_load_dwordx4 v[30:33], v[40:41], off
	global_load_dwordx4 v[26:29], v[40:41], off offset:128
.LBB441_29:
	s_or_b64 exec, exec, s[2:3]
	v_lshrrev_b32_e32 v39, 3, v34
	v_lshlrev_b32_e32 v40, 3, v42
	v_or_b32_e32 v39, v40, v39
	v_lshlrev_b32_e32 v39, 4, v39
	v_and_b32_e32 v40, 0x78, v40
	v_xor_b32_e32 v39, v39, v40
	s_branch .LBB441_32
.LBB441_30:
                                        ; implicit-def: $vgpr39
                                        ; implicit-def: $vgpr37
                                        ; implicit-def: $vgpr22_vgpr23_vgpr24_vgpr25
                                        ; implicit-def: $vgpr18_vgpr19_vgpr20_vgpr21
                                        ; implicit-def: $vgpr30_vgpr31_vgpr32_vgpr33
                                        ; implicit-def: $vgpr26_vgpr27_vgpr28_vgpr29
	s_cbranch_execz .LBB441_32
; %bb.31:
	s_waitcnt vmcnt(0)
	v_lshlrev_b32_e32 v18, 1, v34
	v_lshl_or_b32 v37, v42, 8, v18
	s_and_b32 s1, s1, 0xffff
	s_mov_b32 s3, 0x20000
	s_movk_i32 s2, 0x4000
	v_lshl_or_b32 v39, v36, 8, v18
	s_movk_i32 s4, 0x80
	buffer_load_dwordx4 v[22:25], v37, s[0:3], 0 offen
	buffer_load_dwordx4 v[18:21], v37, s[0:3], s4 offen
	;; [unrolled: 1-line block ×4, first 2 shown]
	v_lshrrev_b32_e32 v37, 3, v34
	v_lshlrev_b32_e32 v39, 3, v42
	v_or_b32_e32 v37, v39, v37
	v_lshlrev_b32_e32 v37, 4, v37
	v_and_b32_e32 v39, 0x78, v39
	v_xor_b32_e32 v39, v37, v39
	v_lshlrev_b32_e32 v37, 7, v36
.LBB441_32:
	s_lshl_b64 s[0:1], s[28:29], 8
	s_add_u32 s4, s12, s0
	s_movk_i32 s0, 0x1000
	v_and_or_b32 v36, v37, s0, v39
	s_waitcnt vmcnt(1)
	ds_write_b64 v39, v[22:23] offset:24576
	v_xor_b32_e32 v22, 8, v39
	ds_write_b64 v22, v[24:25] offset:24576
	s_waitcnt vmcnt(0)
	ds_write_b64 v39, v[18:19] offset:32768
	ds_write_b64 v22, v[20:21] offset:32768
	;; [unrolled: 1-line block ×3, first 2 shown]
	v_xor_b32_e32 v18, 8, v36
	ds_write_b64 v18, v[32:33] offset:24576
	ds_write_b64 v36, v[26:27] offset:32768
	;; [unrolled: 1-line block ×3, first 2 shown]
	v_or_b32_e32 v18, v66, v68
	v_lshlrev_b32_e32 v18, 3, v18
	v_lshrrev_b32_e32 v19, 5, v51
	s_movk_i32 s3, 0xf8
	v_and_or_b32 v19, v18, s3, v19
	v_lshlrev_b32_e32 v23, 4, v19
	v_lshlrev_b32_e32 v39, 11, v1
	v_and_b32_e32 v24, 0x78, v18
	v_or_b32_e32 v26, 32, v23
	v_and_b32_e32 v22, 0x1000, v39
	v_lshrrev_b32_e32 v19, 1, v51
	v_xor_b32_e32 v26, v26, v24
	v_xor_b32_e32 v18, v23, v24
	v_and_b32_e32 v25, 8, v19
	v_or_b32_e32 v26, v26, v22
	v_or_b32_e32 v18, v18, v22
	v_xor_b32_e32 v44, v26, v25
	v_or_b32_e32 v26, 64, v23
	v_xor_b32_e32 v43, v18, v25
	v_xor_b32_e32 v26, v26, v24
	s_waitcnt lgkmcnt(0)
	s_barrier
	v_or_b32_e32 v28, v26, v22
	ds_read_b64 v[26:27], v43 offset:24576
	v_lshl_or_b32 v36, v67, 7, v38
	v_lshlrev_b32_e32 v40, 1, v36
	v_add_u32_e32 v18, 0xa000, v40
	ds_read2_b64 v[18:21], v18 offset1:16
	v_or_b32_e32 v23, 0x60, v23
	v_xor_b32_e32 v23, v23, v24
	s_waitcnt lgkmcnt(0)
	v_mfma_f32_16x16x16_bf16 a[0:3], v[26:27], v[18:19], 0
	v_or_b32_e32 v18, 64, v36
	v_or_b32_e32 v22, v23, v22
	v_lshlrev_b32_e32 v41, 1, v18
	v_xor_b32_e32 v45, v28, v25
	v_xor_b32_e32 v46, v22, v25
	ds_read_b64 v[28:29], v44 offset:24576
	ds_read_b64 v[30:31], v45 offset:24576
	;; [unrolled: 1-line block ×3, first 2 shown]
	v_mfma_f32_16x16x16_bf16 a[4:7], v[26:27], v[20:21], 0
	ds_read2st64_b64 v[18:21], v41 offset0:82 offset1:84
	ds_read2st64_b64 v[22:25], v40 offset0:82 offset1:84
	s_addc_u32 s5, s13, s1
	s_add_i32 s1, s48, s33
	s_add_i32 s0, s20, -1
	s_add_i32 s39, s1, s49
	s_add_i32 s1, s50, s43
	;; [unrolled: 1-line block ×3, first 2 shown]
	s_ashr_i32 s1, s0, 31
	s_mul_i32 s2, s0, s37
	s_mul_hi_u32 s3, s0, s36
	s_add_i32 s2, s3, s2
	s_mul_i32 s1, s1, s36
	s_waitcnt lgkmcnt(1)
	v_mfma_f32_16x16x16_bf16 a[4:7], v[28:29], v[18:19], a[4:7]
	s_add_i32 s1, s2, s1
	s_lshl_b64 s[2:3], s[38:39], 2
	s_add_u32 s6, s18, s2
	s_waitcnt lgkmcnt(0)
	v_mfma_f32_16x16x16_bf16 a[0:3], v[28:29], v[22:23], a[0:3]
	s_addc_u32 s7, s19, s3
	s_lshl_b64 s[2:3], s[40:41], 2
	s_mul_i32 s0, s0, s36
	s_add_u32 s12, s6, s2
	ds_read_b64 v[18:19], v40 offset:44032
	v_mfma_f32_16x16x16_bf16 a[4:7], v[30:31], v[20:21], a[4:7]
	ds_read_b64 v[20:21], v41 offset:44032
	s_addc_u32 s13, s7, s3
	s_lshl_b64 s[0:1], s[0:1], 2
	v_mfma_f32_16x16x16_bf16 a[0:3], v[30:31], v[24:25], a[0:3]
	s_add_u32 s0, s12, s0
	s_addc_u32 s1, s13, s1
	s_load_dword s18, s[0:1], 0x0
	s_waitcnt lgkmcnt(0)
	v_mfma_f32_16x16x16_bf16 a[0:3], v[32:33], v[18:19], a[0:3]
	s_and_b64 vcc, exec, s[26:27]
	v_mfma_f32_16x16x16_bf16 a[4:7], v[32:33], v[20:21], a[4:7]
	s_cbranch_vccz .LBB441_43
; %bb.33:
	v_lshlrev_b32_e32 v36, 1, v42
	s_and_b64 vcc, exec, s[14:15]
	s_cbranch_vccz .LBB441_44
; %bb.34:
	v_cmp_gt_i32_e32 vcc, s31, v36
	v_mov_b32_e32 v22, 0
	v_mov_b32_e32 v18, 0
	;; [unrolled: 1-line block ×5, first 2 shown]
	s_and_saveexec_b64 s[0:1], vcc
	s_cbranch_execz .LBB441_36
; %bb.35:
	v_mad_i64_i32 v[18:19], s[2:3], s23, v36, 0
	v_lshl_add_u64 v[18:19], v[18:19], 1, s[4:5]
	v_lshlrev_b32_e32 v20, 1, v34
	v_mov_b32_e32 v21, 0
	v_lshl_add_u64 v[18:19], v[18:19], 0, v[20:21]
	global_load_dwordx4 v[18:21], v[18:19], off
.LBB441_36:
	s_or_b64 exec, exec, s[0:1]
	v_or_b32_e32 v37, 1, v36
	v_cmp_gt_i32_e64 s[0:1], s31, v37
	v_mov_b32_e32 v23, 0
	v_mov_b32_e32 v24, 0
	v_mov_b32_e32 v25, 0
	s_and_saveexec_b64 s[2:3], s[0:1]
	s_cbranch_execz .LBB441_38
; %bb.37:
	v_mad_i64_i32 v[22:23], s[6:7], s23, v37, 0
	v_lshl_add_u64 v[22:23], v[22:23], 1, s[4:5]
	v_lshlrev_b32_e32 v24, 1, v34
	v_mov_b32_e32 v25, 0
	v_lshl_add_u64 v[22:23], v[22:23], 0, v[24:25]
	global_load_dwordx4 v[22:25], v[22:23], off
.LBB441_38:
	s_or_b64 exec, exec, s[2:3]
	v_mov_b32_e32 v33, 0
	v_mov_b32_e32 v26, 0
	;; [unrolled: 1-line block ×5, first 2 shown]
	s_and_saveexec_b64 s[2:3], vcc
	s_cbranch_execz .LBB441_40
; %bb.39:
	v_mad_i64_i32 v[26:27], s[6:7], s23, v36, 0
	v_lshl_add_u64 v[26:27], v[26:27], 1, s[4:5]
	v_lshlrev_b32_e32 v28, 1, v34
	v_mov_b32_e32 v29, 0
	v_lshl_add_u64 v[26:27], v[26:27], 0, v[28:29]
	global_load_dwordx4 v[26:29], v[26:27], off offset:128
.LBB441_40:
	s_or_b64 exec, exec, s[2:3]
	v_mov_b32_e32 v32, 0
	v_mov_b32_e32 v31, 0
	;; [unrolled: 1-line block ×3, first 2 shown]
	s_and_saveexec_b64 s[2:3], s[0:1]
	s_cbranch_execz .LBB441_42
; %bb.41:
	v_mad_i64_i32 v[30:31], s[0:1], s23, v37, 0
	v_lshl_add_u64 v[30:31], v[30:31], 1, s[4:5]
	v_lshlrev_b32_e32 v32, 1, v34
	v_mov_b32_e32 v33, 0
	v_lshl_add_u64 v[30:31], v[30:31], 0, v[32:33]
	global_load_dwordx4 v[30:33], v[30:31], off offset:128
.LBB441_42:
	s_or_b64 exec, exec, s[2:3]
	s_branch .LBB441_46
.LBB441_43:
                                        ; implicit-def: $vgpr21
                                        ; implicit-def: $vgpr25
                                        ; implicit-def: $vgpr29
                                        ; implicit-def: $vgpr33
	v_lshrrev_b32_e32 v47, 2, v51
	s_branch .LBB441_47
.LBB441_44:
                                        ; implicit-def: $vgpr21
                                        ; implicit-def: $vgpr25
                                        ; implicit-def: $vgpr29
                                        ; implicit-def: $vgpr33
	s_cbranch_execz .LBB441_46
; %bb.45:
	s_waitcnt vmcnt(0)
	v_mad_u64_u32 v[18:19], s[0:1], v36, s23, v[34:35]
	v_lshlrev_b32_e32 v36, 1, v18
	s_lshl_b32 s2, s23, 7
	s_and_b32 s1, s5, 0xffff
	s_mov_b32 s3, 0x20000
	s_mov_b32 s0, s4
	v_add_lshl_u32 v37, v18, s23, 1
	s_movk_i32 s6, 0x80
	buffer_load_dwordx4 v[18:21], v36, s[0:3], 0 offen
	buffer_load_dwordx4 v[26:29], v36, s[0:3], s6 offen
	;; [unrolled: 1-line block ×4, first 2 shown]
.LBB441_46:
	v_lshrrev_b32_e32 v47, 2, v51
	s_cbranch_execnz .LBB441_59
.LBB441_47:
	s_and_b64 vcc, exec, s[14:15]
	s_cbranch_vccz .LBB441_57
; %bb.48:
	s_waitcnt vmcnt(0)
	v_lshlrev_b32_e32 v23, 1, v42
	v_cmp_gt_i32_e32 vcc, s31, v23
	v_mov_b32_e32 v22, 0
	v_lshlrev_b32_e32 v30, 9, v42
	v_mov_b32_e32 v18, 0
	v_mov_b32_e32 v19, 0
	;; [unrolled: 1-line block ×4, first 2 shown]
	s_and_saveexec_b64 s[0:1], vcc
	s_cbranch_execz .LBB441_50
; %bb.49:
	v_mov_b32_e32 v31, 0
	v_lshl_add_u64 v[18:19], s[4:5], 0, v[30:31]
	v_lshlrev_b32_e32 v20, 1, v34
	v_mov_b32_e32 v21, v31
	v_lshl_add_u64 v[18:19], v[18:19], 0, v[20:21]
	global_load_dwordx4 v[18:21], v[18:19], off
.LBB441_50:
	s_or_b64 exec, exec, s[0:1]
	v_or_b32_e32 v23, 1, v23
	v_cmp_gt_i32_e64 s[0:1], s31, v23
	v_lshlrev_b32_e32 v36, 8, v23
	v_mov_b32_e32 v23, 0
	v_mov_b32_e32 v24, 0
	;; [unrolled: 1-line block ×3, first 2 shown]
	s_and_saveexec_b64 s[2:3], s[0:1]
	s_cbranch_execz .LBB441_52
; %bb.51:
	v_mov_b32_e32 v37, 0
	v_lshl_add_u64 v[22:23], s[4:5], 0, v[36:37]
	v_lshlrev_b32_e32 v24, 1, v34
	v_mov_b32_e32 v25, v37
	v_lshl_add_u64 v[22:23], v[22:23], 0, v[24:25]
	global_load_dwordx4 v[22:25], v[22:23], off
.LBB441_52:
	s_or_b64 exec, exec, s[2:3]
	v_mov_b32_e32 v33, 0
	v_mov_b32_e32 v26, 0
	;; [unrolled: 1-line block ×5, first 2 shown]
	s_and_saveexec_b64 s[2:3], vcc
	s_cbranch_execz .LBB441_54
; %bb.53:
	v_mov_b32_e32 v31, 0
	v_lshl_add_u64 v[26:27], s[4:5], 0, v[30:31]
	v_lshlrev_b32_e32 v30, 1, v34
	v_lshl_add_u64 v[26:27], v[26:27], 0, v[30:31]
	global_load_dwordx4 v[26:29], v[26:27], off offset:128
.LBB441_54:
	s_or_b64 exec, exec, s[2:3]
	v_mov_b32_e32 v32, 0
	v_mov_b32_e32 v31, 0
	;; [unrolled: 1-line block ×3, first 2 shown]
	s_and_saveexec_b64 s[2:3], s[0:1]
	s_cbranch_execz .LBB441_56
; %bb.55:
	v_mov_b32_e32 v37, 0
	v_lshl_add_u64 v[30:31], s[4:5], 0, v[36:37]
	v_lshlrev_b32_e32 v36, 1, v34
	v_lshl_add_u64 v[30:31], v[30:31], 0, v[36:37]
	global_load_dwordx4 v[30:33], v[30:31], off offset:128
.LBB441_56:
	s_or_b64 exec, exec, s[2:3]
	s_branch .LBB441_59
.LBB441_57:
                                        ; implicit-def: $vgpr21
                                        ; implicit-def: $vgpr25
                                        ; implicit-def: $vgpr29
                                        ; implicit-def: $vgpr33
	s_cbranch_execz .LBB441_59
; %bb.58:
	s_waitcnt vmcnt(0)
	v_lshlrev_b32_e32 v18, 1, v34
	v_lshl_or_b32 v34, v42, 9, v18
	s_and_b32 s5, s5, 0xffff
	s_mov_b32 s7, 0x20000
	s_movk_i32 s6, 0x4000
	s_movk_i32 s0, 0x80
	buffer_load_dwordx4 v[18:21], v34, s[4:7], 0 offen
	buffer_load_dwordx4 v[22:25], v34, s[4:7], 0 offen offset:256
	buffer_load_dwordx4 v[26:29], v34, s[4:7], s0 offen
	buffer_load_dwordx4 v[30:33], v34, s[4:7], s0 offen offset:256
.LBB441_59:
	ds_read_b64 v[36:37], v43 offset:32768
	v_add_u32_e32 v34, 0xb000, v40
	ds_read2_b64 v[58:61], v34 offset1:16
	ds_read_b64 v[48:49], v44 offset:32768
	ds_read_b64 v[44:45], v45 offset:32768
	;; [unrolled: 1-line block ×3, first 2 shown]
	v_and_b32_e32 v34, 6, v0
	v_xor_b32_e32 v42, v42, v34
	v_lshlrev_b32_e32 v42, 2, v42
	v_and_b32_e32 v43, 1, v0
	v_xor_b32_e32 v46, 0x440, v42
	v_cmp_eq_u32_e32 vcc, 0, v43
	s_waitcnt lgkmcnt(3)
	v_mfma_f32_16x16x16_bf16 a[0:3], v[36:37], v[58:59], a[0:3]
	s_mov_b32 s0, 0x1000504
	v_cndmask_b32_e32 v42, v46, v42, vcc
	v_lshl_or_b32 v34, v34, 10, v42
	v_mfma_f32_16x16x16_bf16 a[4:7], v[36:37], v[60:61], a[4:7]
	ds_read2st64_b64 v[58:61], v40 offset0:90 offset1:92
	ds_read2st64_b64 v[62:65], v41 offset0:90 offset1:92
	s_waitcnt vmcnt(0)
	v_perm_b32 v42, v18, v22, s0
	s_mov_b32 s1, 0x3020706
	s_waitcnt lgkmcnt(1)
	v_mfma_f32_16x16x16_bf16 a[0:3], v[48:49], v[58:59], a[0:3]
	ds_read_b64 v[36:37], v40 offset:48128
	ds_read_b64 v[58:59], v41 offset:48128
	v_perm_b32 v18, v18, v22, s1
	v_perm_b32 v22, v26, v30, s1
	s_waitcnt lgkmcnt(2)
	v_mfma_f32_16x16x16_bf16 a[4:7], v[48:49], v[62:63], a[4:7]
	v_and_or_b32 v43, v47, 12, v66
	v_mfma_f32_16x16x16_bf16 a[0:3], v[44:45], v[60:61], a[0:3]
	v_mfma_f32_16x16x16_bf16 a[8:11], v[44:45], v[64:65], a[4:7]
	s_waitcnt lgkmcnt(1)
	v_mfma_f32_16x16x16_bf16 a[4:7], v[68:69], v[36:37], a[0:3]
	v_perm_b32 v36, v26, v30, s0
	ds_write2st64_b32 v34, v42, v36 offset0:32 offset1:64
	v_xor_b32_e32 v36, 8, v34
	v_add_u32_e32 v26, 0x80, v36
	ds_write2st64_b32 v26, v18, v22 offset0:32 offset1:64
	v_xor_b32_e32 v18, 16, v34
	v_perm_b32 v22, v19, v23, s0
	v_perm_b32 v26, v27, v31, s0
	ds_write2st64_b32 v18, v22, v26 offset0:33 offset1:65
	v_xor_b32_e32 v18, 24, v34
	v_perm_b32 v19, v19, v23, s1
	v_perm_b32 v22, v27, v31, s1
	v_add_u32_e32 v18, 0x80, v18
	ds_write2st64_b32 v18, v19, v22 offset0:33 offset1:65
	v_xor_b32_e32 v18, 32, v34
	v_perm_b32 v19, v20, v24, s0
	v_perm_b32 v22, v28, v32, s0
	ds_write2st64_b32 v18, v19, v22 offset0:34 offset1:66
	v_xor_b32_e32 v18, 40, v34
	s_waitcnt lgkmcnt(5)
	v_mfma_f32_16x16x16_bf16 a[0:3], v[68:69], v[58:59], a[8:11]
	v_perm_b32 v19, v20, v24, s1
	v_perm_b32 v20, v28, v32, s1
	v_add_u32_e32 v18, 0x80, v18
	ds_write2st64_b32 v18, v19, v20 offset0:34 offset1:66
	v_xor_b32_e32 v18, 48, v34
	v_perm_b32 v19, v21, v25, s0
	v_perm_b32 v20, v29, v33, s0
	ds_write2st64_b32 v18, v19, v20 offset0:35 offset1:67
	v_xor_b32_e32 v18, 56, v34
	v_perm_b32 v19, v21, v25, s1
	v_perm_b32 v20, v29, v33, s1
	v_add_u32_e32 v18, 0x80, v18
	v_cmp_gt_i32_e64 s[0:1], s31, v43
	v_mov_b32_e32 v36, 0
	v_mov_b32_e32 v37, 0
	ds_write2st64_b32 v18, v19, v20 offset0:35 offset1:67
	s_and_saveexec_b64 s[2:3], s[0:1]
	s_cbranch_execz .LBB441_61
; %bb.60:
	v_add_u32_e32 v18, s30, v43
	v_ashrrev_i32_e32 v19, 31, v18
	v_mul_lo_u32 v20, v19, s36
	v_mul_lo_u32 v21, v18, s37
	v_mad_u64_u32 v[18:19], s[4:5], v18, s36, 0
	v_add3_u32 v19, v19, v21, v20
	v_lshl_add_u64 v[18:19], v[18:19], 2, s[12:13]
	global_load_dword v18, v[18:19], off
	s_waitcnt vmcnt(0)
	v_sub_f32_e32 v18, s18, v18
	v_exp_f32_e32 v37, v18
.LBB441_61:
	s_or_b64 exec, exec, s[2:3]
	v_or_b32_e32 v30, 1, v43
	v_cmp_gt_i32_e64 s[4:5], s31, v30
	s_and_saveexec_b64 s[2:3], s[4:5]
	s_cbranch_execz .LBB441_63
; %bb.62:
	v_add_u32_e32 v18, s30, v30
	v_ashrrev_i32_e32 v19, 31, v18
	v_mul_lo_u32 v20, v19, s36
	v_mul_lo_u32 v21, v18, s37
	v_mad_u64_u32 v[18:19], s[6:7], v18, s36, 0
	v_add3_u32 v19, v19, v21, v20
	v_lshl_add_u64 v[18:19], v[18:19], 2, s[12:13]
	global_load_dword v18, v[18:19], off
	s_waitcnt vmcnt(0)
	v_sub_f32_e32 v18, s18, v18
	v_exp_f32_e32 v36, v18
.LBB441_63:
	s_or_b64 exec, exec, s[2:3]
	v_or_b32_e32 v28, 2, v43
	v_cmp_gt_i32_e64 s[2:3], s31, v28
	v_mov_b32_e32 v34, 0
	v_mov_b32_e32 v42, 0
	s_and_saveexec_b64 s[6:7], s[2:3]
	s_cbranch_execz .LBB441_65
; %bb.64:
	v_add_u32_e32 v18, s30, v28
	v_ashrrev_i32_e32 v19, 31, v18
	v_mul_lo_u32 v20, v19, s36
	v_mul_lo_u32 v21, v18, s37
	v_mad_u64_u32 v[18:19], s[14:15], v18, s36, 0
	v_add3_u32 v19, v19, v21, v20
	v_lshl_add_u64 v[18:19], v[18:19], 2, s[12:13]
	global_load_dword v18, v[18:19], off
	s_waitcnt vmcnt(0)
	v_sub_f32_e32 v18, s18, v18
	v_exp_f32_e32 v42, v18
.LBB441_65:
	s_or_b64 exec, exec, s[6:7]
	v_or_b32_e32 v29, 3, v43
	v_cmp_gt_i32_e32 vcc, s31, v29
	s_and_saveexec_b64 s[6:7], vcc
	s_cbranch_execz .LBB441_67
; %bb.66:
	v_add_u32_e32 v18, s30, v29
	v_ashrrev_i32_e32 v19, 31, v18
	v_mul_lo_u32 v20, v19, s36
	v_mul_lo_u32 v21, v18, s37
	v_mad_u64_u32 v[18:19], s[14:15], v18, s36, 0
	v_add3_u32 v19, v19, v21, v20
	v_lshl_add_u64 v[18:19], v[18:19], 2, s[12:13]
	global_load_dword v18, v[18:19], off
	s_waitcnt vmcnt(0)
	v_sub_f32_e32 v18, s18, v18
	v_exp_f32_e32 v34, v18
.LBB441_67:
	s_or_b64 exec, exec, s[6:7]
	s_add_u32 s6, s16, s24
	s_addc_u32 s7, s17, s25
	s_add_u32 s8, s8, s24
	v_ashrrev_i32_e32 v57, 31, v56
	v_accvgpr_read_b32 v21, a7
	s_addc_u32 s9, s9, s25
	v_lshlrev_b64 v[22:23], 1, v[56:57]
	v_accvgpr_read_b32 v20, a6
	v_accvgpr_read_b32 v19, a5
	;; [unrolled: 1-line block ×3, first 2 shown]
	v_lshl_add_u64 v[24:25], s[6:7], 0, v[22:23]
	v_lshl_add_u64 v[22:23], s[8:9], 0, v[22:23]
	v_mov_b32_e32 v31, 0
	v_lshlrev_b32_e32 v26, 8, v43
	v_mov_b32_e32 v27, 0
	s_and_saveexec_b64 s[6:7], s[0:1]
	s_cbranch_execz .LBB441_69
; %bb.68:
	v_mov_b32_e32 v27, 0
	v_lshl_add_u64 v[32:33], v[24:25], 0, v[26:27]
	global_load_ushort v44, v[32:33], off
	v_lshl_add_u64 v[32:33], v[22:23], 0, v[26:27]
	s_waitcnt vmcnt(0)
	v_lshlrev_b32_e32 v27, 16, v44
	v_sub_f32_e32 v18, v27, v18
	global_store_short_d16_hi v[32:33], v18, off
	v_mul_f32_e32 v18, v37, v18
	v_lshrrev_b32_e32 v27, 16, v18
.LBB441_69:
	s_or_b64 exec, exec, s[6:7]
	v_lshlrev_b32_e32 v30, 8, v30
	s_and_saveexec_b64 s[6:7], s[4:5]
	s_cbranch_execz .LBB441_71
; %bb.70:
	v_mov_b32_e32 v31, 0
	v_lshl_add_u64 v[32:33], v[24:25], 0, v[30:31]
	global_load_ushort v18, v[32:33], off
	v_lshl_add_u64 v[32:33], v[22:23], 0, v[30:31]
	s_waitcnt vmcnt(0)
	v_lshlrev_b32_e32 v18, 16, v18
	v_sub_f32_e32 v18, v18, v19
	global_store_short_d16_hi v[32:33], v18, off
	v_mul_f32_e32 v18, v36, v18
	v_lshrrev_b32_e32 v31, 16, v18
.LBB441_71:
	s_or_b64 exec, exec, s[6:7]
	v_mov_b32_e32 v44, 0
	v_lshlrev_b32_e32 v32, 8, v28
	v_mov_b32_e32 v33, 0
	s_and_saveexec_b64 s[6:7], s[2:3]
	s_cbranch_execz .LBB441_73
; %bb.72:
	v_mov_b32_e32 v33, 0
	v_lshl_add_u64 v[18:19], v[24:25], 0, v[32:33]
	global_load_ushort v28, v[18:19], off
	v_lshl_add_u64 v[18:19], v[22:23], 0, v[32:33]
	s_waitcnt vmcnt(0)
	v_lshlrev_b32_e32 v28, 16, v28
	v_sub_f32_e32 v20, v28, v20
	global_store_short_d16_hi v[18:19], v20, off
	v_mul_f32_e32 v18, v42, v20
	v_lshrrev_b32_e32 v33, 16, v18
.LBB441_73:
	s_or_b64 exec, exec, s[6:7]
	v_lshlrev_b32_e32 v28, 8, v29
	s_and_saveexec_b64 s[6:7], vcc
	s_cbranch_execz .LBB441_75
; %bb.74:
	v_mov_b32_e32 v29, 0
	v_lshl_add_u64 v[18:19], v[24:25], 0, v[28:29]
	global_load_ushort v20, v[18:19], off
	v_lshl_add_u64 v[18:19], v[22:23], 0, v[28:29]
	s_waitcnt vmcnt(0)
	v_lshlrev_b32_e32 v20, 16, v20
	v_sub_f32_e32 v20, v20, v21
	global_store_short_d16_hi v[18:19], v20, off
	v_mul_f32_e32 v18, v34, v20
	v_lshrrev_b32_e32 v44, 16, v18
.LBB441_75:
	s_or_b64 exec, exec, s[6:7]
	v_lshlrev_b32_e32 v43, 5, v43
	s_mov_b32 s6, 0x5040100
	v_perm_b32 v45, v44, v33, s6
	v_perm_b32 v44, v31, v27, s6
	v_or_b32_e32 v27, v43, v38
	v_accvgpr_read_b32 v21, a3
	v_lshlrev_b32_e32 v27, 1, v27
	v_accvgpr_read_b32 v20, a2
	v_accvgpr_read_b32 v19, a1
	;; [unrolled: 1-line block ×3, first 2 shown]
	ds_write_b64 v27, v[44:45] offset:45056
	v_mov_b32_e32 v31, 0
	v_mov_b32_e32 v27, 0
	s_and_saveexec_b64 s[6:7], s[0:1]
	s_cbranch_execz .LBB441_77
; %bb.76:
	v_mov_b32_e32 v27, 0
	v_lshl_add_u64 v[44:45], v[24:25], 0, v[26:27]
	global_load_ushort v29, v[44:45], off offset:32
	v_lshl_add_u64 v[26:27], v[22:23], 0, v[26:27]
	s_waitcnt vmcnt(0)
	v_lshlrev_b32_e32 v29, 16, v29
	v_sub_f32_e32 v18, v29, v18
	global_store_short_d16_hi v[26:27], v18, off offset:32
	v_mul_f32_e32 v18, v37, v18
	v_lshrrev_b32_e32 v27, 16, v18
.LBB441_77:
	s_or_b64 exec, exec, s[6:7]
	s_and_saveexec_b64 s[0:1], s[4:5]
	s_cbranch_execz .LBB441_79
; %bb.78:
	v_mov_b32_e32 v31, 0
	v_lshl_add_u64 v[44:45], v[24:25], 0, v[30:31]
	global_load_ushort v18, v[44:45], off offset:32
	v_lshl_add_u64 v[30:31], v[22:23], 0, v[30:31]
	s_waitcnt vmcnt(0)
	v_lshlrev_b32_e32 v18, 16, v18
	v_sub_f32_e32 v18, v18, v19
	global_store_short_d16_hi v[30:31], v18, off offset:32
	v_mul_f32_e32 v18, v36, v18
	v_lshrrev_b32_e32 v31, 16, v18
.LBB441_79:
	s_or_b64 exec, exec, s[0:1]
	v_mov_b32_e32 v26, 0
	v_mov_b32_e32 v30, 0
	s_and_saveexec_b64 s[0:1], s[2:3]
	s_cbranch_execz .LBB441_81
; %bb.80:
	v_mov_b32_e32 v33, 0
	v_lshl_add_u64 v[18:19], v[24:25], 0, v[32:33]
	global_load_ushort v29, v[18:19], off offset:32
	v_lshl_add_u64 v[18:19], v[22:23], 0, v[32:33]
	s_waitcnt vmcnt(0)
	v_lshlrev_b32_e32 v29, 16, v29
	v_sub_f32_e32 v20, v29, v20
	global_store_short_d16_hi v[18:19], v20, off offset:32
	v_mul_f32_e32 v18, v42, v20
	v_lshrrev_b32_e32 v30, 16, v18
.LBB441_81:
	s_or_b64 exec, exec, s[0:1]
	v_or_b32_e32 v19, 0xb000, v40
	v_or_b32_e32 v18, 0xb000, v41
	s_and_saveexec_b64 s[0:1], vcc
	s_cbranch_execz .LBB441_83
; %bb.82:
	v_mov_b32_e32 v29, 0
	v_lshl_add_u64 v[24:25], v[24:25], 0, v[28:29]
	global_load_ushort v20, v[24:25], off offset:32
	v_lshl_add_u64 v[22:23], v[22:23], 0, v[28:29]
	s_waitcnt vmcnt(0)
	v_lshlrev_b32_e32 v20, 16, v20
	v_sub_f32_e32 v20, v20, v21
	global_store_short_d16_hi v[22:23], v20, off offset:32
	v_mul_f32_e32 v20, v34, v20
	v_lshrrev_b32_e32 v26, 16, v20
.LBB441_83:
	s_or_b64 exec, exec, s[0:1]
	s_mov_b32 s0, 0x5040100
	v_or_b32_e32 v22, v43, v35
	v_perm_b32 v21, v26, v30, s0
	v_perm_b32 v20, v31, v27, s0
	v_lshlrev_b32_e32 v22, 1, v22
	s_movk_i32 s0, 0x100
	ds_write_b64 v22, v[20:21] offset:45056
	v_and_b32_e32 v20, 7, v0
	v_and_b32_e32 v21, 8, v0
	v_cmp_gt_u32_e32 vcc, s0, v0
	v_lshrrev_b32_e32 v0, 1, v0
	v_lshlrev_b32_e32 v37, 3, v1
	v_and_b32_e32 v38, 24, v0
	v_lshlrev_b32_e32 v34, 3, v20
	v_lshlrev_b32_e32 v35, 7, v20
	v_mov_b32_e32 v20, 0x4000
	v_mov_b32_e32 v22, 0x2000
	v_xor_b32_e32 v0, v37, v38
	v_cndmask_b32_e32 v36, v20, v22, vcc
	v_or_b32_e32 v1, 0x440, v0
	v_cmp_eq_u32_e32 vcc, 0, v21
	s_waitcnt lgkmcnt(0)
	s_barrier
	v_cndmask_b32_e32 v0, v1, v0, vcc
	v_or_b32_e32 v0, v0, v39
	v_xad_u32 v40, v0, v34, v35
	v_add_u32_e32 v0, v36, v40
	ds_read_b64 v[0:1], v0
	ds_read2_b64 v[20:23], v19 offset1:16
	v_or_b32_e32 v24, 32, v38
	v_xor_b32_e32 v24, v37, v24
	v_or_b32_e32 v25, 0x440, v24
	v_cndmask_b32_e32 v24, v25, v24, vcc
	s_waitcnt lgkmcnt(0)
	v_mfma_f32_16x16x16_bf16 a[0:3], v[0:1], v[20:21], 0
	v_or_b32_e32 v24, v24, v39
	v_xad_u32 v41, v24, v34, v35
	v_add_u32_e32 v24, v36, v41
	v_mfma_f32_16x16x16_bf16 a[4:7], v[0:1], v[22:23], 0
	v_or_b32_e32 v0, 64, v38
	v_xor_b32_e32 v0, v37, v0
	v_xor_b32_e32 v1, 0x440, v0
	ds_read_b64 v[32:33], v24
	v_cndmask_b32_e32 v0, v1, v0, vcc
	v_or_b32_e32 v0, v0, v39
	v_xad_u32 v42, v0, v34, v35
	v_add_u32_e32 v0, v36, v42
	ds_read_b64 v[0:1], v0
	ds_read2st64_b64 v[24:27], v19 offset0:2 offset1:4
	ds_read2st64_b64 v[28:31], v18 offset0:2 offset1:4
	s_waitcnt lgkmcnt(1)
	v_mfma_f32_16x16x16_bf16 a[0:3], v[32:33], v[24:25], a[0:3]
	s_waitcnt lgkmcnt(0)
	v_mfma_f32_16x16x16_bf16 a[4:7], v[32:33], v[28:29], a[4:7]
	v_or_b32_e32 v32, 0x60, v38
	v_xor_b32_e32 v32, v37, v32
	v_xor_b32_e32 v33, 0x440, v32
	v_cndmask_b32_e32 v32, v33, v32, vcc
	v_or_b32_e32 v32, v32, v39
	v_xad_u32 v37, v32, v34, v35
	v_add_u32_e32 v32, v36, v37
	ds_read_b64 v[32:33], v32
	v_mfma_f32_16x16x16_bf16 a[0:3], v[0:1], v[26:27], a[0:3]
	v_exp_f32_e32 v36, s18
	v_mfma_f32_16x16x16_bf16 a[4:7], v[0:1], v[30:31], a[4:7]
	ds_read_b64 v[0:1], v19 offset:3072
	ds_read_b64 v[34:35], v18 offset:3072
	;; [unrolled: 1-line block ×3, first 2 shown]
	s_waitcnt lgkmcnt(0)
	v_mfma_f32_16x16x16_bf16 a[8:11], v[18:19], v[20:21], 0
	ds_read_b64 v[20:21], v41 offset:16384
	v_mfma_f32_16x16x16_bf16 a[0:3], v[32:33], v[0:1], a[0:3]
	v_mfma_f32_16x16x16_bf16 a[12:15], v[18:19], v[22:23], 0
	ds_read_b64 v[22:23], v42 offset:16384
	s_nop 4
	v_accvgpr_read_b32 v18, a0
	v_fma_f32 v18, v2, v36, v18
	v_accvgpr_read_b32 v2, a1
	v_fma_f32 v19, v3, v36, v2
	v_accvgpr_read_b32 v2, a2
	s_waitcnt lgkmcnt(1)
	v_mfma_f32_16x16x16_bf16 a[8:11], v[20:21], v[24:25], a[8:11]
	v_mfma_f32_16x16x16_bf16 a[12:15], v[20:21], v[28:29], a[12:15]
	v_fma_f32 v20, v4, v36, v2
	ds_read_b64 v[2:3], v37 offset:16384
	v_accvgpr_read_b32 v21, a3
	s_waitcnt lgkmcnt(1)
	v_mfma_f32_16x16x16_bf16 a[0:3], v[22:23], v[26:27], a[8:11]
	v_fmac_f32_e32 v21, v5, v36
	v_mfma_f32_16x16x16_bf16 a[4:7], v[32:33], v[34:35], a[4:7]
	v_mfma_f32_16x16x16_bf16 a[8:11], v[22:23], v[30:31], a[12:15]
	s_waitcnt lgkmcnt(0)
	v_mfma_f32_16x16x16_bf16 a[0:3], v[2:3], v[0:1], a[0:3]
	s_nop 3
	v_accvgpr_read_b32 v4, a4
	v_fma_f32 v26, v10, v36, v4
	v_accvgpr_read_b32 v4, a5
	v_fma_f32 v27, v11, v36, v4
	v_accvgpr_read_b32 v4, a6
	v_accvgpr_read_b32 v29, a7
	v_mfma_f32_16x16x16_bf16 a[4:7], v[2:3], v[34:35], a[8:11]
	v_accvgpr_read_b32 v0, a0
	v_fma_f32 v22, v6, v36, v0
	v_accvgpr_read_b32 v0, a1
	v_fma_f32 v23, v7, v36, v0
	;; [unrolled: 2-line block ×3, first 2 shown]
	v_accvgpr_read_b32 v25, a3
	v_accvgpr_read_b32 v0, a4
	v_fma_f32 v30, v14, v36, v0
	v_accvgpr_read_b32 v0, a5
	v_fma_f32 v31, v15, v36, v0
	v_accvgpr_read_b32 v0, a6
	v_accvgpr_read_b32 v33, a7
	v_fma_f32 v28, v12, v36, v4
	v_fmac_f32_e32 v29, v13, v36
	v_fmac_f32_e32 v25, v9, v36
	v_fma_f32 v32, v16, v36, v0
	v_fmac_f32_e32 v33, v17, v36
	v_mov_b64_e32 v[2:3], v[18:19]
	v_mov_b64_e32 v[4:5], v[20:21]
	;; [unrolled: 1-line block ×8, first 2 shown]
.LBB441_84:
	s_add_u32 s0, s10, s34
	s_addc_u32 s1, s11, s35
	v_lshl_add_u64 v[0:1], v[52:53], 2, s[0:1]
	v_mov_b32_e32 v51, 0
	v_lshl_add_u64 v[0:1], v[0:1], 0, v[50:51]
	s_waitcnt vmcnt(3)
	global_store_dwordx4 v[0:1], v[2:5], off
	s_waitcnt vmcnt(3)
	global_store_dwordx4 v[0:1], v[6:9], off offset:256
	v_lshl_add_u64 v[0:1], v[54:55], 2, s[0:1]
	v_lshl_add_u64 v[0:1], v[0:1], 0, v[50:51]
	s_waitcnt vmcnt(3)
	global_store_dwordx4 v[0:1], v[10:13], off
	s_waitcnt vmcnt(3)
	global_store_dwordx4 v[0:1], v[14:17], off offset:256
	s_endpgm
	.section	.rodata,"a",@progbits
	.p2align	6, 0x0
	.amdhsa_kernel _ZN12_GLOBAL__N_139chunk_gated_delta_rule_fwd_h_hip_kernelILi32ELb1ELb1ELb1ELb0ELb1ELb0ELb0ELb0EEEvPK12hip_bfloat16S3_S3_PKfS5_PKvPS1_S8_PvPKiSB_iiiiilll
		.amdhsa_group_segment_fixed_size 49152
		.amdhsa_private_segment_fixed_size 0
		.amdhsa_kernarg_size 136
		.amdhsa_user_sgpr_count 2
		.amdhsa_user_sgpr_dispatch_ptr 0
		.amdhsa_user_sgpr_queue_ptr 0
		.amdhsa_user_sgpr_kernarg_segment_ptr 1
		.amdhsa_user_sgpr_dispatch_id 0
		.amdhsa_user_sgpr_kernarg_preload_length 0
		.amdhsa_user_sgpr_kernarg_preload_offset 0
		.amdhsa_user_sgpr_private_segment_size 0
		.amdhsa_uses_dynamic_stack 0
		.amdhsa_enable_private_segment 0
		.amdhsa_system_sgpr_workgroup_id_x 1
		.amdhsa_system_sgpr_workgroup_id_y 1
		.amdhsa_system_sgpr_workgroup_id_z 0
		.amdhsa_system_sgpr_workgroup_info 0
		.amdhsa_system_vgpr_workitem_id 0
		.amdhsa_next_free_vgpr 156
		.amdhsa_next_free_sgpr 74
		.amdhsa_accum_offset 140
		.amdhsa_reserve_vcc 1
		.amdhsa_float_round_mode_32 0
		.amdhsa_float_round_mode_16_64 0
		.amdhsa_float_denorm_mode_32 3
		.amdhsa_float_denorm_mode_16_64 3
		.amdhsa_dx10_clamp 1
		.amdhsa_ieee_mode 1
		.amdhsa_fp16_overflow 0
		.amdhsa_tg_split 0
		.amdhsa_exception_fp_ieee_invalid_op 0
		.amdhsa_exception_fp_denorm_src 0
		.amdhsa_exception_fp_ieee_div_zero 0
		.amdhsa_exception_fp_ieee_overflow 0
		.amdhsa_exception_fp_ieee_underflow 0
		.amdhsa_exception_fp_ieee_inexact 0
		.amdhsa_exception_int_div_zero 0
	.end_amdhsa_kernel
	.section	.text._ZN12_GLOBAL__N_139chunk_gated_delta_rule_fwd_h_hip_kernelILi32ELb1ELb1ELb1ELb0ELb1ELb0ELb0ELb0EEEvPK12hip_bfloat16S3_S3_PKfS5_PKvPS1_S8_PvPKiSB_iiiiilll,"axG",@progbits,_ZN12_GLOBAL__N_139chunk_gated_delta_rule_fwd_h_hip_kernelILi32ELb1ELb1ELb1ELb0ELb1ELb0ELb0ELb0EEEvPK12hip_bfloat16S3_S3_PKfS5_PKvPS1_S8_PvPKiSB_iiiiilll,comdat
.Lfunc_end441:
	.size	_ZN12_GLOBAL__N_139chunk_gated_delta_rule_fwd_h_hip_kernelILi32ELb1ELb1ELb1ELb0ELb1ELb0ELb0ELb0EEEvPK12hip_bfloat16S3_S3_PKfS5_PKvPS1_S8_PvPKiSB_iiiiilll, .Lfunc_end441-_ZN12_GLOBAL__N_139chunk_gated_delta_rule_fwd_h_hip_kernelILi32ELb1ELb1ELb1ELb0ELb1ELb0ELb0ELb0EEEvPK12hip_bfloat16S3_S3_PKfS5_PKvPS1_S8_PvPKiSB_iiiiilll
                                        ; -- End function
	.section	.AMDGPU.csdata,"",@progbits
; Kernel info:
; codeLenInByte = 9484
; NumSgprs: 80
; NumVgprs: 138
; NumAgprs: 16
; TotalNumVgprs: 156
; ScratchSize: 0
; MemoryBound: 0
; FloatMode: 240
; IeeeMode: 1
; LDSByteSize: 49152 bytes/workgroup (compile time only)
; SGPRBlocks: 9
; VGPRBlocks: 19
; NumSGPRsForWavesPerEU: 80
; NumVGPRsForWavesPerEU: 156
; AccumOffset: 140
; Occupancy: 1
; WaveLimiterHint : 1
; COMPUTE_PGM_RSRC2:SCRATCH_EN: 0
; COMPUTE_PGM_RSRC2:USER_SGPR: 2
; COMPUTE_PGM_RSRC2:TRAP_HANDLER: 0
; COMPUTE_PGM_RSRC2:TGID_X_EN: 1
; COMPUTE_PGM_RSRC2:TGID_Y_EN: 1
; COMPUTE_PGM_RSRC2:TGID_Z_EN: 0
; COMPUTE_PGM_RSRC2:TIDIG_COMP_CNT: 0
; COMPUTE_PGM_RSRC3_GFX90A:ACCUM_OFFSET: 34
; COMPUTE_PGM_RSRC3_GFX90A:TG_SPLIT: 0
	.section	.text._ZN12_GLOBAL__N_139chunk_gated_delta_rule_fwd_h_hip_kernelILi32ELb1ELb1ELb0ELb0ELb1ELb0ELb0ELb0EEEvPK12hip_bfloat16S3_S3_PKfS5_PKvPS1_S8_PvPKiSB_iiiiilll,"axG",@progbits,_ZN12_GLOBAL__N_139chunk_gated_delta_rule_fwd_h_hip_kernelILi32ELb1ELb1ELb0ELb0ELb1ELb0ELb0ELb0EEEvPK12hip_bfloat16S3_S3_PKfS5_PKvPS1_S8_PvPKiSB_iiiiilll,comdat
	.globl	_ZN12_GLOBAL__N_139chunk_gated_delta_rule_fwd_h_hip_kernelILi32ELb1ELb1ELb0ELb0ELb1ELb0ELb0ELb0EEEvPK12hip_bfloat16S3_S3_PKfS5_PKvPS1_S8_PvPKiSB_iiiiilll ; -- Begin function _ZN12_GLOBAL__N_139chunk_gated_delta_rule_fwd_h_hip_kernelILi32ELb1ELb1ELb0ELb0ELb1ELb0ELb0ELb0EEEvPK12hip_bfloat16S3_S3_PKfS5_PKvPS1_S8_PvPKiSB_iiiiilll
	.p2align	8
	.type	_ZN12_GLOBAL__N_139chunk_gated_delta_rule_fwd_h_hip_kernelILi32ELb1ELb1ELb0ELb0ELb1ELb0ELb0ELb0EEEvPK12hip_bfloat16S3_S3_PKfS5_PKvPS1_S8_PvPKiSB_iiiiilll,@function
_ZN12_GLOBAL__N_139chunk_gated_delta_rule_fwd_h_hip_kernelILi32ELb1ELb1ELb0ELb0ELb1ELb0ELb0ELb0EEEvPK12hip_bfloat16S3_S3_PKfS5_PKvPS1_S8_PvPKiSB_iiiiilll: ; @_ZN12_GLOBAL__N_139chunk_gated_delta_rule_fwd_h_hip_kernelILi32ELb1ELb1ELb0ELb0ELb1ELb0ELb0ELb0EEEvPK12hip_bfloat16S3_S3_PKfS5_PKvPS1_S8_PvPKiSB_iiiiilll
; %bb.0:
	s_load_dwordx4 s[12:15], s[0:1], 0x5c
	s_load_dwordx4 s[20:23], s[0:1], 0x70
	s_abs_i32 s6, s3
	s_ashr_i32 s5, s3, 31
	s_load_dwordx4 s[16:19], s[0:1], 0x28
	s_waitcnt lgkmcnt(0)
	s_abs_i32 s4, s13
	v_cvt_f32_u32_e32 v1, s4
	s_sub_i32 s8, 0, s4
	s_ashr_i32 s7, s13, 31
	s_xor_b32 s5, s5, s7
	v_rcp_iflag_f32_e32 v1, v1
	v_and_b32_e32 v66, 15, v0
	v_bfe_u32 v65, v0, 4, 2
	v_mov_b32_e32 v51, 0
	v_mul_f32_e32 v1, 0x4f7ffffe, v1
	v_cvt_u32_f32_e32 v1, v1
	v_lshlrev_b32_e32 v67, 3, v0
	v_readfirstlane_b32 s9, v1
	s_mul_i32 s8, s8, s9
	s_mul_hi_u32 s8, s9, s8
	s_add_i32 s9, s9, s8
	s_mul_hi_u32 s8, s6, s9
	s_mul_i32 s9, s8, s4
	s_sub_i32 s6, s6, s9
	s_add_i32 s10, s8, 1
	s_sub_i32 s9, s6, s4
	s_cmp_ge_u32 s6, s4
	s_cselect_b32 s8, s10, s8
	s_cselect_b32 s6, s9, s6
	s_add_i32 s9, s8, 1
	s_cmp_ge_u32 s6, s4
	s_cselect_b32 s6, s9, s8
	s_xor_b32 s6, s6, s5
	s_add_i32 s8, s12, 63
	s_sub_i32 s52, s6, s5
	s_ashr_i32 s9, s8, 31
	s_mul_i32 s5, s52, s13
	s_sub_i32 s50, s3, s5
	s_lshr_b32 s3, s9, 26
	s_add_i32 s8, s8, s3
	s_abs_i32 s3, s14
	v_cvt_f32_u32_e32 v1, s3
	s_ashr_i32 s51, s12, 31
	s_lshr_b32 s6, s51, 26
	s_add_i32 s6, s12, s6
	v_rcp_iflag_f32_e32 v1, v1
	s_ashr_i32 s55, s14, 31
	s_ashr_i32 s24, s8, 6
	;; [unrolled: 1-line block ×3, first 2 shown]
	v_mul_f32_e32 v1, 0x4f7ffffe, v1
	v_cvt_u32_f32_e32 v1, v1
	s_xor_b32 s6, s7, s55
	s_sub_i32 s7, 0, s3
	s_lshl_b32 s2, s2, 5
	v_readfirstlane_b32 s8, v1
	s_mul_i32 s7, s7, s8
	s_mul_hi_u32 s7, s8, s7
	s_add_i32 s8, s8, s7
	s_mul_hi_u32 s7, s4, s8
	s_mul_i32 s8, s7, s3
	s_sub_i32 s4, s4, s8
	s_add_i32 s8, s7, 1
	s_sub_i32 s9, s4, s3
	s_cmp_ge_u32 s4, s3
	s_cselect_b32 s7, s8, s7
	s_cselect_b32 s4, s9, s4
	s_add_i32 s8, s7, 1
	s_cmp_ge_u32 s4, s3
	s_cselect_b32 s3, s8, s7
	s_xor_b32 s3, s3, s6
	s_sub_i32 s3, s3, s6
	s_abs_i32 s4, s3
	v_cvt_f32_u32_e32 v1, s4
	s_sub_i32 s7, 0, s4
	s_abs_i32 s6, s50
	s_xor_b32 s3, s50, s3
	v_rcp_iflag_f32_e32 v2, v1
	s_ashr_i32 s3, s3, 31
	v_lshrrev_b32_e32 v1, 6, v0
	v_or_b32_e32 v56, s2, v66
	v_mul_f32_e32 v2, 0x4f7ffffe, v2
	v_cvt_u32_f32_e32 v2, v2
	v_lshlrev_b32_e32 v64, 4, v1
	v_lshlrev_b32_e32 v52, 7, v56
	v_lshl_or_b32 v69, v65, 2, v64
	v_readfirstlane_b32 s8, v2
	s_mul_i32 s7, s7, s8
	s_mul_hi_u32 s7, s8, s7
	s_add_i32 s8, s8, s7
	s_mul_hi_u32 s7, s6, s8
	s_mul_i32 s8, s7, s4
	s_sub_i32 s6, s6, s8
	s_add_i32 s8, s7, 1
	s_sub_i32 s9, s6, s4
	s_cmp_ge_u32 s6, s4
	s_cselect_b32 s7, s8, s7
	s_cselect_b32 s6, s9, s6
	s_add_i32 s8, s7, 1
	s_cmp_ge_u32 s6, s4
	s_cselect_b32 s4, s8, s7
	s_xor_b32 s4, s4, s3
	s_sub_i32 s56, s4, s3
	s_ashr_i32 s3, s52, 31
	s_ashr_i32 s54, s50, 31
	s_mul_hi_i32 s4, s52, s13
	s_add_u32 s40, s5, s50
	s_addc_u32 s41, s4, s54
	s_lshl_b64 s[28:29], s[40:41], 16
	s_add_u32 s4, s16, s28
	s_addc_u32 s5, s17, s29
	v_ashrrev_i32_e32 v53, 31, v52
	v_lshl_add_u64 v[2:3], v[52:53], 2, s[4:5]
	v_lshlrev_b32_e32 v50, 2, v69
	v_or_b32_e32 v54, 0x800, v52
	v_lshl_add_u64 v[10:11], v[2:3], 0, v[50:51]
	v_ashrrev_i32_e32 v55, 31, v54
	global_load_dwordx4 v[2:5], v[10:11], off
	global_load_dwordx4 v[6:9], v[10:11], off offset:256
	v_lshl_add_u64 v[10:11], v[54:55], 2, s[4:5]
	v_lshl_add_u64 v[18:19], v[10:11], 0, v[50:51]
	global_load_dwordx4 v[10:13], v[18:19], off
	global_load_dwordx4 v[14:17], v[18:19], off offset:256
	s_load_dwordx2 s[30:31], s[0:1], 0x40
	s_load_dwordx8 s[4:11], s[0:1], 0x0
	s_load_dwordx2 s[34:35], s[0:1], 0x80
	v_and_b32_e32 v51, 63, v0
	s_mul_i32 s57, s52, s24
	v_or_b32_e32 v70, 64, v69
	s_cmp_lt_i32 s12, 64
	v_lshrrev_b32_e32 v68, 3, v51
	s_mul_i32 s58, s41, s12
	s_mul_hi_u32 s59, s40, s12
	s_mul_i32 s16, s40, s12
	s_mul_i32 s33, s52, s21
	s_mul_hi_u32 s46, s52, s20
	s_mul_i32 s47, s3, s20
	s_mul_i32 s36, s52, s20
	;; [unrolled: 1-line block ×3, first 2 shown]
	s_mul_hi_u32 s48, s50, s22
	s_mul_i32 s49, s54, s22
	s_mul_i32 s38, s50, s22
	s_cbranch_scc1 .LBB442_19
; %bb.1:
	s_add_i32 s17, s59, s58
	s_lshl_b64 s[0:1], s[16:17], 8
	v_and_b32_e32 v72, 56, v67
	s_waitcnt lgkmcnt(0)
	s_add_u32 s20, s6, s0
	v_lshl_or_b32 v71, v1, 3, v68
	v_lshlrev_b32_e32 v18, 1, v72
	s_addc_u32 s0, s7, s1
	v_lshl_or_b32 v73, v71, 8, v18
	s_and_b32 s21, s0, 0xffff
	s_mov_b32 s23, 0x20000
	s_movk_i32 s22, 0x4000
	s_movk_i32 s0, 0x80
	v_or_b32_e32 v74, 0x2000, v73
	buffer_load_dwordx4 v[20:23], v73, s[20:23], 0 offen
	buffer_load_dwordx4 v[24:27], v73, s[20:23], s0 offen
	;; [unrolled: 1-line block ×4, first 2 shown]
	v_lshlrev_b32_e32 v19, 3, v71
	v_and_or_b32 v37, v0, 7, v19
	v_and_b32_e32 v19, 0x78, v19
	v_lshlrev_b32_e32 v37, 4, v37
	v_xor_b32_e32 v75, v37, v19
	v_mul_lo_u32 v36, v71, s15
	v_or_b32_e32 v76, 0x1000, v75
	v_xor_b32_e32 v19, 8, v75
	s_cmpk_eq_i32 s15, 0x80
	s_mov_b32 s60, s14
	v_xor_b32_e32 v37, 8, v76
	s_cselect_b64 s[0:1], -1, 0
	s_cmpk_lg_i32 s15, 0x80
	s_waitcnt vmcnt(3)
	ds_write_b64 v75, v[20:21] offset:24576
	ds_write_b64 v19, v[22:23] offset:24576
	s_waitcnt vmcnt(2)
	ds_write_b64 v75, v[24:25] offset:32768
	ds_write_b64 v19, v[26:27] offset:32768
	s_waitcnt vmcnt(1)
	ds_write_b64 v75, v[28:29] offset:28672
	ds_write_b64 v37, v[30:31] offset:24576
	s_waitcnt vmcnt(0)
	ds_write_b64 v75, v[32:33] offset:36864
	ds_write_b64 v37, v[34:35] offset:32768
	v_lshl_add_u32 v19, v36, 1, v72
	s_cbranch_scc0 .LBB442_3
; %bb.2:
	v_lshlrev_b32_e32 v21, 1, v19
	v_add_lshl_u32 v20, v19, s15, 1
	s_lshl_b32 s22, s15, 7
	v_lshl_or_b32 v18, v71, 9, v18
	s_cbranch_execz .LBB442_4
	s_branch .LBB442_5
.LBB442_3:
                                        ; implicit-def: $vgpr20
                                        ; implicit-def: $vgpr21
                                        ; implicit-def: $sgpr22
	v_lshl_or_b32 v18, v71, 9, v18
.LBB442_4:
	v_or_b32_e32 v20, 0x100, v18
	s_movk_i32 s22, 0x4000
	v_mov_b32_e32 v21, v18
.LBB442_5:
	s_mul_hi_u32 s20, s14, s12
	s_mul_i32 s21, s55, s12
	s_add_i32 s20, s20, s21
	s_mul_i32 s21, s14, s12
	s_mul_i32 s23, s21, s3
	s_mul_hi_u32 s24, s21, s52
	s_add_i32 s23, s24, s23
	s_mul_i32 s20, s20, s52
	s_add_i32 s23, s23, s20
	s_mul_i32 s21, s21, s52
	s_ashr_i32 s61, s56, 31
	s_add_u32 s20, s21, s56
	s_addc_u32 s21, s23, s61
	s_lshl_b64 s[20:21], s[20:21], 8
	s_add_u32 s20, s4, s20
	s_addc_u32 s21, s5, s21
	s_and_b32 s21, s21, 0xffff
	s_mov_b32 s23, 0x20000
	s_movk_i32 s62, 0x80
	buffer_load_dwordx4 v[22:25], v21, s[20:23], 0 offen
	buffer_load_dwordx4 v[26:29], v21, s[20:23], s62 offen
	;; [unrolled: 1-line block ×4, first 2 shown]
	v_and_b32_e32 v20, 6, v0
	v_lshlrev_b32_e32 v39, 6, v69
	v_or_b32_e32 v41, 16, v66
	v_xor_b32_e32 v42, v71, v20
	v_and_b32_e32 v21, 1, v0
	v_lshl_or_b32 v45, v66, 3, v39
	v_lshl_or_b32 v39, v41, 3, v39
	v_lshlrev_b32_e32 v42, 2, v42
	s_mul_i32 s3, s3, s12
	s_mul_hi_u32 s20, s52, s12
	v_lshlrev_b32_e32 v38, 2, v66
	v_or_b32_e32 v79, 0xa000, v39
	v_or_b32_e32 v80, 0xb000, v39
	v_xor_b32_e32 v39, 0x440, v42
	v_cmp_eq_u32_e32 vcc, 0, v21
	v_xor_b32_e32 v43, v69, v38
	v_xor_b32_e32 v44, v70, v38
	v_cndmask_b32_e32 v21, v39, v42, vcc
	s_add_i32 s67, s20, s3
	s_add_i32 s3, s46, s33
	s_mov_b32 s64, 0x1000504
	v_lshlrev_b32_e32 v40, 8, v66
	v_lshlrev_b32_e32 v43, 1, v43
	;; [unrolled: 1-line block ×3, first 2 shown]
	v_lshl_or_b32 v20, v20, 10, v21
	s_add_i32 s37, s3, s47
	s_add_i32 s3, s48, s41
	s_mov_b32 s65, 0x3020706
	v_or_b32_e32 v77, 0xa000, v45
	v_or_b32_e32 v78, 0xb000, v45
	v_or_b32_e32 v81, v40, v43
	v_or_b32_e32 v82, v40, v44
	v_xor_b32_e32 v21, 8, v20
	v_xor_b32_e32 v40, 24, v20
	;; [unrolled: 1-line block ×4, first 2 shown]
	s_add_i32 s39, s3, s49
	s_lshl_b64 s[20:21], s[36:37], 2
	v_xor_b32_e32 v39, 16, v20
	v_xor_b32_e32 v42, 32, v20
	;; [unrolled: 1-line block ×3, first 2 shown]
	v_add_u32_e32 v21, 0x80, v21
	v_add_u32_e32 v40, 0x80, v40
	;; [unrolled: 1-line block ×4, first 2 shown]
	s_add_u32 s3, s10, s20
	s_addc_u32 s22, s11, s21
	s_lshl_b64 s[20:21], s[38:39], 2
	s_add_u32 s42, s3, s20
	s_movk_i32 s3, 0xf8
	s_addc_u32 s43, s22, s21
	s_lshl_b32 s26, s15, 7
	s_movk_i32 s24, 0x100
	v_mov_b32_e32 v59, 0
	v_lshlrev_b32_e32 v58, 4, v66
	v_cmp_gt_u32_e32 vcc, s24, v0
	v_ashrrev_i32_e32 v57, 31, v56
	s_mov_b32 s63, 0
	s_mul_i32 s66, s52, s12
	s_movk_i32 s37, 0x1000
	s_movk_i32 s22, 0x4000
	v_lshl_add_u64 v[60:61], v[56:57], 1, s[8:9]
	s_mov_b32 s68, 0
	s_waitcnt vmcnt(1)
	v_perm_b32 v48, v22, v30, s64
	s_waitcnt vmcnt(0)
	v_perm_b32 v49, v26, v34, s64
	v_perm_b32 v22, v22, v30, s65
	;; [unrolled: 1-line block ×15, first 2 shown]
	ds_write2st64_b32 v20, v48, v49 offset0:32 offset1:64
	ds_write2st64_b32 v21, v22, v26 offset0:32 offset1:64
	;; [unrolled: 1-line block ×8, first 2 shown]
	v_lshlrev_b32_e32 v20, 8, v41
	v_or_b32_e32 v83, v20, v43
	v_or_b32_e32 v84, v20, v44
	;; [unrolled: 1-line block ×3, first 2 shown]
	v_lshlrev_b32_e32 v20, 3, v20
	v_lshrrev_b32_e32 v23, 5, v51
	v_and_or_b32 v23, v20, s3, v23
	v_lshlrev_b32_e32 v23, 4, v23
	v_lshlrev_b32_e32 v21, 11, v1
	v_and_b32_e32 v20, 0x78, v20
	v_or_b32_e32 v28, 32, v23
	v_and_b32_e32 v22, 0x1000, v21
	v_lshrrev_b32_e32 v25, 1, v0
	v_xor_b32_e32 v28, v28, v20
	v_and_b32_e32 v26, 8, v25
	v_or_b32_e32 v28, v28, v22
	v_xor_b32_e32 v24, v23, v20
	v_xor_b32_e32 v87, v28, v26
	v_or_b32_e32 v28, 64, v23
	v_or_b32_e32 v23, 0x60, v23
	s_ashr_i32 s3, s2, 31
	v_xor_b32_e32 v28, v28, v20
	v_xor_b32_e32 v20, v23, v20
	s_lshl_b64 s[20:21], s[2:3], 8
	v_or_b32_e32 v24, v24, v22
	v_or_b32_e32 v28, v28, v22
	;; [unrolled: 1-line block ×3, first 2 shown]
	s_add_u32 s20, s18, s20
	v_lshlrev_b32_e32 v22, 1, v66
	v_xor_b32_e32 v89, v28, v26
	v_lshrrev_b32_e32 v28, 4, v0
	s_addc_u32 s21, s19, s21
	v_or_b32_e32 v23, 1, v22
	v_mov_b32_e32 v32, 0x4000
	v_mov_b32_e32 v33, 0x2000
	v_xor_b32_e32 v29, v28, v22
	v_xor_b32_e32 v30, v23, v28
	v_lshl_add_u64 v[22:23], s[20:21], 0, v[58:59]
	v_lshlrev_b32_e32 v58, 8, v28
	v_cndmask_b32_e32 v32, v32, v33, vcc
	v_lshlrev_b32_e32 v33, 3, v1
	v_and_b32_e32 v25, 24, v25
	v_lshl_or_b32 v93, v29, 3, v58
	v_and_b32_e32 v29, 8, v0
	v_xor_b32_e32 v34, v33, v25
	v_or_b32_e32 v35, 0x440, v34
	v_cmp_eq_u32_e32 vcc, 0, v29
	v_and_b32_e32 v28, 7, v0
	v_xor_b32_e32 v85, v24, v26
	v_cndmask_b32_e32 v29, v35, v34, vcc
	v_lshlrev_b32_e32 v24, 7, v65
	v_lshl_or_b32 v94, v30, 3, v58
	v_lshlrev_b32_e32 v30, 3, v28
	v_lshlrev_b32_e32 v28, 7, v28
	;; [unrolled: 1-line block ×3, first 2 shown]
	v_or_b32_e32 v29, v29, v21
	v_or_b32_e32 v27, v24, v38
	v_xad_u32 v95, v29, v30, v28
	v_and_or_b32 v24, v31, 60, v24
	v_mov_b32_e32 v29, 0xb000
	v_lshl_or_b32 v96, v24, 1, v29
	v_or_b32_e32 v24, 32, v25
	v_xor_b32_e32 v24, v33, v24
	v_or_b32_e32 v29, 0x440, v24
	v_cndmask_b32_e32 v24, v29, v24, vcc
	v_or_b32_e32 v24, v24, v21
	v_xad_u32 v97, v24, v30, v28
	v_or_b32_e32 v24, 64, v25
	v_xor_b32_e32 v24, v33, v24
	v_xor_b32_e32 v29, 0x440, v24
	v_cndmask_b32_e32 v24, v29, v24, vcc
	v_or_b32_e32 v24, v24, v21
	v_xad_u32 v98, v24, v30, v28
	v_or_b32_e32 v24, 0x60, v25
	v_xor_b32_e32 v24, v33, v24
	v_xor_b32_e32 v25, 0x440, v24
	v_cndmask_b32_e32 v24, v25, v24, vcc
	v_lshlrev_b32_e32 v27, 1, v27
	v_or_b32_e32 v21, v24, v21
	v_or_b32_e32 v86, 0xa000, v27
	;; [unrolled: 1-line block ×3, first 2 shown]
	v_xor_b32_e32 v90, v20, v26
	v_or_b32_e32 v91, 0xb000, v27
	v_or_b32_e32 v92, 0xb080, v27
	v_lshlrev_b32_e32 v20, 7, v69
	v_lshlrev_b32_e32 v26, 1, v19
	v_add_lshl_u32 v19, v19, s15, 1
	v_or_b32_e32 v27, 0x100, v18
	v_xad_u32 v99, v21, v30, v28
	v_cndmask_b32_e64 v100, v26, v18, s[0:1]
	v_cndmask_b32_e64 v101, v19, v27, s[0:1]
	v_lshl_add_u64 v[62:63], v[22:23], 0, v[58:59]
	s_mov_b32 s3, 0x7060302
	v_lshlrev_b32_e32 v58, 1, v20
	v_add_u32_e32 v57, v32, v95
	v_add_u32_e32 v102, v32, v97
	;; [unrolled: 1-line block ×4, first 2 shown]
	s_waitcnt lgkmcnt(0)
	s_barrier
.LBB442_6:                              ; =>This Inner Loop Header: Depth=1
	s_add_i32 s39, s68, 1
	s_cmp_lt_i32 s39, s53
	s_mov_b64 s[24:25], 0
	s_cselect_b64 s[44:45], -1, 0
	s_cmp_ge_i32 s39, s53
	s_mov_b64 s[20:21], 0
	s_cbranch_scc1 .LBB442_8
; %bb.7:                                ;   in Loop: Header=BB442_6 Depth=1
	s_add_i32 s0, s63, 64
	s_add_u32 s0, s16, s0
	s_addc_u32 s1, s17, 0
	s_lshl_b64 s[0:1], s[0:1], 8
	s_add_u32 s20, s6, s0
	s_addc_u32 s21, s7, s1
.LBB442_8:                              ;   in Loop: Header=BB442_6 Depth=1
	v_cndmask_b32_e64 v18, 0, 1, s[44:45]
	v_cmp_ne_u32_e64 s[0:1], 1, v18
	s_andn2_b64 vcc, exec, s[44:45]
	s_cbranch_vccnz .LBB442_10
; %bb.9:                                ;   in Loop: Header=BB442_6 Depth=1
	s_add_i32 s24, s63, 64
	s_add_u32 s24, s66, s24
	s_addc_u32 s25, s67, 0
	s_mul_i32 s27, s24, s55
	s_mul_hi_u32 s44, s24, s60
	s_add_i32 s27, s44, s27
	s_mul_i32 s25, s25, s60
	s_add_i32 s27, s27, s25
	s_mul_i32 s24, s24, s60
	s_add_u32 s24, s24, s56
	s_addc_u32 s25, s27, s61
	s_lshl_b64 s[24:25], s[24:25], 8
	s_add_u32 s24, s4, s24
	s_addc_u32 s25, s5, s25
.LBB442_10:                             ;   in Loop: Header=BB442_6 Depth=1
	v_perm_b32 v19, v5, v4, s3
	v_perm_b32 v18, v3, v2, s3
	;; [unrolled: 1-line block ×4, first 2 shown]
	ds_write_b64 v77, v[18:19]
	ds_write_b64 v78, v[20:21]
	;; [unrolled: 1-line block ×4, first 2 shown]
	v_perm_b32 v19, v13, v12, s3
	v_perm_b32 v18, v11, v10, s3
	;; [unrolled: 1-line block ×4, first 2 shown]
	ds_write_b64 v79, v[18:19]
	ds_write_b64 v80, v[20:21]
	;; [unrolled: 1-line block ×4, first 2 shown]
	s_waitcnt lgkmcnt(0)
	s_barrier
	ds_read_b64 v[22:23], v85 offset:24576
	ds_read2_b64 v[18:21], v86 offset1:16
	ds_read_b64 v[26:27], v88 offset:3072
	ds_read_b64 v[28:29], v86 offset:3072
	;; [unrolled: 1-line block ×3, first 2 shown]
	s_waitcnt lgkmcnt(3)
	v_mfma_f32_16x16x16_bf16 a[0:3], v[22:23], v[18:19], 0
	s_add_i32 s27, s63, 63
	s_mul_i32 s44, s27, s35
	s_mul_hi_u32 s45, s27, s34
	v_mfma_f32_16x16x16_bf16 a[4:7], v[22:23], v[20:21], 0
	ds_read2st64_b64 v[18:21], v86 offset0:2 offset1:4
	ds_read2st64_b64 v[22:25], v88 offset0:2 offset1:4
	s_add_i32 s45, s45, s44
	s_waitcnt lgkmcnt(1)
	v_mfma_f32_16x16x16_bf16 a[0:3], v[30:31], v[18:19], a[0:3]
	s_mul_i32 s44, s27, s34
	s_lshl_b64 s[44:45], s[44:45], 2
	s_add_u32 s44, s42, s44
	s_waitcnt lgkmcnt(0)
	v_mfma_f32_16x16x16_bf16 a[4:7], v[30:31], v[22:23], a[4:7]
	ds_read_b64 v[18:19], v89 offset:24576
	ds_read_b64 v[22:23], v90 offset:24576
	s_addc_u32 s45, s43, s45
	s_and_b64 vcc, exec, s[0:1]
	s_waitcnt lgkmcnt(1)
	v_mfma_f32_16x16x16_bf16 a[0:3], v[18:19], v[20:21], a[0:3]
	v_mov_b32_e32 v107, 0
	v_mov_b32_e32 v106, 0
	;; [unrolled: 1-line block ×3, first 2 shown]
	v_mfma_f32_16x16x16_bf16 a[4:7], v[18:19], v[24:25], a[4:7]
	v_mov_b32_e32 v18, 0
	v_mov_b32_e32 v19, 0
	;; [unrolled: 1-line block ×3, first 2 shown]
	s_waitcnt lgkmcnt(0)
	v_mfma_f32_16x16x16_bf16 a[0:3], v[22:23], v[28:29], a[0:3]
	v_mov_b32_e32 v21, 0
	v_mov_b32_e32 v24, 0
	;; [unrolled: 1-line block ×3, first 2 shown]
	v_mfma_f32_16x16x16_bf16 a[4:7], v[22:23], v[26:27], a[4:7]
	v_mov_b32_e32 v22, 0
	v_mov_b32_e32 v23, 0
	v_mov_b32_e32 v26, 0
	v_mov_b32_e32 v27, 0
	v_mov_b32_e32 v28, 0
	v_mov_b32_e32 v29, 0
	v_mov_b32_e32 v30, 0
	v_mov_b32_e32 v31, 0
	v_mov_b32_e32 v32, 0
	v_mov_b32_e32 v33, 0
	s_cbranch_vccnz .LBB442_12
; %bb.11:                               ;   in Loop: Header=BB442_6 Depth=1
	s_and_b32 s21, s21, 0xffff
	buffer_load_dwordx4 v[30:33], v73, s[20:23], 0 offen
	buffer_load_dwordx4 v[26:29], v73, s[20:23], s62 offen
	;; [unrolled: 1-line block ×4, first 2 shown]
	v_mov_b32_e32 v106, v75
	v_mov_b32_e32 v105, v76
.LBB442_12:                             ;   in Loop: Header=BB442_6 Depth=1
	ds_read_b64 v[38:39], v85 offset:32768
	ds_read2_b64 v[34:37], v91 offset1:16
	ds_read_b64 v[42:43], v87 offset:32768
	ds_read_b64 v[44:45], v89 offset:32768
	;; [unrolled: 1-line block ×3, first 2 shown]
	v_add_u32_e32 v108, s63, v69
	s_waitcnt lgkmcnt(3)
	v_mfma_f32_16x16x16_bf16 a[0:3], v[38:39], v[34:35], a[0:3]
	v_mfma_f32_16x16x16_bf16 a[4:7], v[38:39], v[36:37], a[4:7]
	ds_read2st64_b64 v[34:37], v91 offset0:2 offset1:4
	ds_read2st64_b64 v[38:41], v92 offset0:2 offset1:4
	s_waitcnt lgkmcnt(1)
	v_mfma_f32_16x16x16_bf16 a[0:3], v[42:43], v[34:35], a[0:3]
	ds_read_b64 v[34:35], v91 offset:3072
	ds_read_b64 v[48:49], v92 offset:3072
	s_waitcnt lgkmcnt(2)
	v_mfma_f32_16x16x16_bf16 a[4:7], v[42:43], v[38:39], a[4:7]
	v_ashrrev_i32_e32 v38, 31, v108
	v_mul_lo_u32 v39, v108, s35
	v_mul_lo_u32 v38, v38, s34
	v_mfma_f32_16x16x16_bf16 a[0:3], v[44:45], v[36:37], a[0:3]
	v_mad_u64_u32 v[36:37], s[20:21], v108, s34, 0
	v_add3_u32 v37, v37, v39, v38
	v_lshl_add_u64 v[36:37], v[36:37], 2, s[42:43]
	global_load_dword v42, v[36:37], off
	v_add_u32_e32 v36, 1, v108
	v_ashrrev_i32_e32 v37, 31, v36
	s_waitcnt lgkmcnt(1)
	v_mfma_f32_16x16x16_bf16 a[0:3], v[46:47], v[34:35], a[0:3]
	v_mul_lo_u32 v37, v37, s34
	v_mul_lo_u32 v38, v36, s35
	v_mad_u64_u32 v[34:35], s[20:21], v36, s34, 0
	v_add_u32_e32 v36, 2, v108
	v_add3_u32 v35, v35, v38, v37
	v_ashrrev_i32_e32 v37, 31, v36
	v_mul_lo_u32 v38, v37, s34
	v_mul_lo_u32 v39, v36, s35
	v_mad_u64_u32 v[36:37], s[20:21], v36, s34, 0
	v_add3_u32 v37, v37, v39, v38
	v_add_u32_e32 v38, 3, v108
	v_ashrrev_i32_e32 v39, 31, v38
	v_mfma_f32_16x16x16_bf16 a[4:7], v[44:45], v[40:41], a[4:7]
	v_mul_lo_u32 v40, v39, s34
	v_mul_lo_u32 v41, v38, s35
	v_mad_u64_u32 v[38:39], s[20:21], v38, s34, 0
	s_add_u32 s20, s16, s63
	s_addc_u32 s21, s17, 0
	s_lshl_b64 s[20:21], s[20:21], 8
	v_add3_u32 v39, v39, v41, v40
	v_lshl_add_u64 v[40:41], v[60:61], 0, s[20:21]
	v_lshl_add_u64 v[34:35], v[34:35], 2, s[42:43]
	;; [unrolled: 1-line block ×4, first 2 shown]
	global_load_ushort v44, v[40:41], off
	global_load_ushort v43, v[40:41], off offset:256
	global_load_ushort v110, v[40:41], off offset:800
	;; [unrolled: 1-line block ×7, first 2 shown]
	v_lshl_add_u64 v[38:39], v[38:39], 2, s[42:43]
	global_load_dword v113, v[34:35], off
	global_load_dword v114, v[36:37], off
	;; [unrolled: 1-line block ×3, first 2 shown]
	s_load_dword s20, s[44:45], 0x0
	s_waitcnt lgkmcnt(0)
	v_mfma_f32_16x16x16_bf16 a[4:7], v[46:47], v[48:49], a[4:7]
	v_accvgpr_read_b32 v39, a1
	v_accvgpr_read_b32 v35, a3
	;; [unrolled: 1-line block ×4, first 2 shown]
	s_and_b64 vcc, exec, s[0:1]
	s_waitcnt vmcnt(11)
	v_sub_f32_e32 v48, s20, v42
	v_exp_f32_e32 v48, v48
	v_accvgpr_read_b32 v41, a5
	v_accvgpr_read_b32 v40, a4
	;; [unrolled: 1-line block ×4, first 2 shown]
	s_waitcnt vmcnt(10)
	v_lshlrev_b32_e32 v42, 16, v44
	s_waitcnt vmcnt(9)
	v_lshlrev_b32_e32 v43, 16, v43
	v_pk_add_f32 v[38:39], v[42:43], v[38:39] neg_lo:[0,1] neg_hi:[0,1]
	s_waitcnt vmcnt(7)
	v_lshlrev_b32_e32 v45, 16, v45
	v_mov_b32_e32 v42, 0
	s_waitcnt vmcnt(5)
	v_lshlrev_b32_e32 v44, 16, v108
	s_waitcnt vmcnt(4)
	v_lshlrev_b32_e32 v47, 16, v109
	s_waitcnt vmcnt(2)
	v_sub_f32_e32 v49, s20, v113
	s_waitcnt vmcnt(1)
	v_sub_f32_e32 v108, s20, v114
	;; [unrolled: 2-line block ×3, first 2 shown]
	v_exp_f32_e32 v49, v49
	v_exp_f32_e32 v108, v108
	;; [unrolled: 1-line block ×3, first 2 shown]
	v_pk_add_f32 v[34:35], v[44:45], v[34:35] neg_lo:[0,1] neg_hi:[0,1]
	v_lshlrev_b32_e32 v46, 16, v112
	v_pk_mul_f32 v[38:39], v[48:49], v[38:39]
	v_pk_mul_f32 v[34:35], v[108:109], v[34:35]
	v_mov_b32_e32 v43, 0
	v_perm_b32 v35, v35, v34, s3
	v_perm_b32 v34, v39, v38, s3
	v_pk_add_f32 v[38:39], v[46:47], v[40:41] neg_lo:[0,1] neg_hi:[0,1]
	v_lshlrev_b32_e32 v41, 16, v110
	v_lshlrev_b32_e32 v40, 16, v111
	v_pk_add_f32 v[36:37], v[40:41], v[36:37] neg_lo:[0,1] neg_hi:[0,1]
	v_pk_mul_f32 v[38:39], v[48:49], v[38:39]
	v_pk_mul_f32 v[36:37], v[108:109], v[36:37]
	v_mov_b32_e32 v108, 0
	v_perm_b32 v37, v37, v36, s3
	v_perm_b32 v36, v39, v38, s3
	ds_write2_b64 v78, v[34:35], v[36:37] offset1:16
	v_mov_b32_e32 v34, 0
	v_mov_b32_e32 v35, 0
	;; [unrolled: 1-line block ×14, first 2 shown]
	s_cbranch_vccnz .LBB442_14
; %bb.13:                               ;   in Loop: Header=BB442_6 Depth=1
	s_and_b32 s25, s25, 0xffff
	s_mov_b32 s27, s23
	buffer_load_dwordx4 v[46:49], v100, s[24:27], 0 offen
	buffer_load_dwordx4 v[38:41], v100, s[24:27], s62 offen
	;; [unrolled: 1-line block ×4, first 2 shown]
	v_mov_b32_e32 v107, v72
	v_mov_b32_e32 v108, v71
.LBB442_14:                             ;   in Loop: Header=BB442_6 Depth=1
	s_waitcnt lgkmcnt(0)
	s_barrier
	ds_read_b64 v[114:115], v57
	ds_read_b64 v[122:123], v96
	;; [unrolled: 1-line block ×5, first 2 shown]
	ds_read_b64 v[128:129], v97 offset:16384
	ds_read_b64 v[130:131], v95 offset:16384
	ds_read2_b64 v[110:113], v91 offset0:16 offset1:128
	s_waitcnt lgkmcnt(6)
	v_mfma_f32_16x16x16_bf16 a[0:3], v[114:115], v[122:123], 0
	ds_read_b64 v[132:133], v92 offset:3072
	ds_read_b64 v[134:135], v99 offset:16384
	s_add_i32 s21, s57, s68
	s_waitcnt lgkmcnt(2)
	v_mfma_f32_16x16x16_bf16 a[4:7], v[114:115], v[110:111], 0
	ds_read2st64_b64 v[114:117], v92 offset0:2 offset1:4
	s_mul_hi_i32 s25, s21, s13
	s_mul_i32 s21, s21, s13
	v_mfma_f32_16x16x16_bf16 a[0:3], v[118:119], v[112:113], a[0:3]
	s_add_u32 s24, s21, s50
	s_addc_u32 s25, s25, s54
	s_lshl_b64 s[24:25], s[24:25], 15
	s_waitcnt lgkmcnt(0)
	v_mfma_f32_16x16x16_bf16 a[4:7], v[118:119], v[114:115], a[4:7]
	ds_read2st64_b64 v[118:121], v91 offset0:4 offset1:6
	s_waitcnt lgkmcnt(0)
	v_mfma_f32_16x16x16_bf16 a[0:3], v[124:125], v[118:119], a[0:3]
	v_mfma_f32_16x16x16_bf16 a[8:11], v[124:125], v[116:117], a[4:7]
	;; [unrolled: 1-line block ×5, first 2 shown]
	ds_read2st64_b64 v[122:125], v94 offset1:8
	v_mfma_f32_16x16x16_bf16 a[12:15], v[130:131], v[110:111], 0
	ds_read_b64 v[130:131], v98 offset:16384
	v_mfma_f32_16x16x16_bf16 a[8:11], v[128:129], v[112:113], a[8:11]
	ds_read2st64_b64 v[110:113], v93 offset1:8
	s_waitcnt lgkmcnt(0)
	v_mov_b32_e32 v126, v110
	v_mfma_f32_16x16x16_bf16 a[12:15], v[128:129], v[114:115], a[12:15]
	v_lshl_add_u64 v[114:115], v[62:63], 0, s[24:25]
	v_add_co_u32_e32 v110, vcc, s37, v114
	v_mfma_f32_16x16x16_bf16 a[8:11], v[130:131], v[118:119], a[8:11]
	v_mov_b32_e32 v127, v111
	v_addc_co_u32_e32 v111, vcc, 0, v115, vcc
	v_mfma_f32_16x16x16_bf16 a[12:15], v[130:131], v[116:117], a[12:15]
	v_mov_b32_e32 v128, v122
	v_mov_b32_e32 v129, v123
	;; [unrolled: 1-line block ×3, first 2 shown]
	v_mfma_f32_16x16x16_bf16 a[8:11], v[134:135], v[120:121], a[8:11]
	v_mov_b32_e32 v123, v113
	s_and_b64 vcc, exec, s[0:1]
	global_store_dwordx4 v[114:115], v[126:129], off
	v_mfma_f32_16x16x16_bf16 a[12:15], v[134:135], v[132:133], a[12:15]
	global_store_dwordx4 v[110:111], v[122:125], off
	s_cbranch_vccnz .LBB442_16
; %bb.15:                               ;   in Loop: Header=BB442_6 Depth=1
	v_lshrrev_b32_e32 v109, 3, v107
	v_and_b32_e32 v109, 6, v109
	v_xor_b32_e32 v108, v109, v108
	v_lshlrev_b32_e32 v108, 2, v108
	v_and_b32_e32 v107, 8, v107
	v_xor_b32_e32 v110, 0x440, v108
	v_cmp_eq_u32_e32 vcc, 0, v107
	s_barrier
	s_nop 0
	v_cndmask_b32_e32 v107, v110, v108, vcc
	v_lshl_or_b32 v107, v109, 10, v107
	s_waitcnt vmcnt(3)
	v_perm_b32 v108, v46, v42, s64
	s_waitcnt vmcnt(2)
	v_perm_b32 v109, v38, v34, s64
	ds_write2st64_b32 v107, v108, v109 offset0:32 offset1:64
	v_xor_b32_e32 v108, 8, v107
	v_perm_b32 v42, v46, v42, s65
	v_perm_b32 v34, v38, v34, s65
	v_add_u32_e32 v38, 0x80, v108
	ds_write2st64_b32 v38, v42, v34 offset0:32 offset1:64
	v_xor_b32_e32 v34, 16, v107
	v_perm_b32 v38, v47, v43, s64
	v_perm_b32 v42, v39, v35, s64
	ds_write2st64_b32 v34, v38, v42 offset0:33 offset1:65
	v_xor_b32_e32 v34, 24, v107
	v_perm_b32 v38, v47, v43, s65
	v_perm_b32 v35, v39, v35, s65
	v_add_u32_e32 v34, 0x80, v34
	ds_write2st64_b32 v34, v38, v35 offset0:33 offset1:65
	v_xor_b32_e32 v34, 32, v107
	v_perm_b32 v35, v48, v44, s64
	;; [unrolled: 9-line block ×3, first 2 shown]
	v_perm_b32 v36, v41, v37, s64
	ds_write2st64_b32 v34, v35, v36 offset0:35 offset1:67
	v_xor_b32_e32 v34, 56, v107
	v_perm_b32 v35, v49, v45, s65
	v_perm_b32 v36, v41, v37, s65
	v_add_u32_e32 v34, 0x80, v34
	ds_write2st64_b32 v34, v35, v36 offset0:35 offset1:67
	ds_write_b64 v106, v[30:31] offset:24576
	v_xor_b32_e32 v30, 8, v106
	ds_write_b64 v30, v[32:33] offset:24576
	ds_write_b64 v106, v[26:27] offset:32768
	;; [unrolled: 1-line block ×4, first 2 shown]
	v_xor_b32_e32 v22, 8, v105
	ds_write_b64 v22, v[24:25] offset:24576
	ds_write_b64 v105, v[18:19] offset:32768
	;; [unrolled: 1-line block ×3, first 2 shown]
.LBB442_16:                             ;   in Loop: Header=BB442_6 Depth=1
	s_waitcnt vmcnt(2)
	v_exp_f32_e32 v34, s20
	v_accvgpr_read_b32 v33, a7
	v_accvgpr_read_b32 v25, a3
	v_accvgpr_read_b32 v29, a11
	v_accvgpr_read_b32 v21, a15
	v_accvgpr_read_b32 v32, a6
	v_accvgpr_read_b32 v31, a5
	v_accvgpr_read_b32 v30, a4
	v_accvgpr_read_b32 v24, a2
	v_accvgpr_read_b32 v23, a1
	v_accvgpr_read_b32 v22, a0
	v_accvgpr_read_b32 v28, a10
	v_accvgpr_read_b32 v27, a9
	v_accvgpr_read_b32 v26, a8
	v_accvgpr_read_b32 v20, a14
	v_accvgpr_read_b32 v19, a13
	v_accvgpr_read_b32 v18, a12
	s_add_i32 s63, s63, 64
	v_fma_f32 v2, v2, v34, v30
	v_fma_f32 v3, v3, v34, v31
	v_fma_f32 v4, v4, v34, v32
	v_fmac_f32_e32 v33, v5, v34
	v_fma_f32 v10, v10, v34, v22
	v_fma_f32 v11, v11, v34, v23
	v_fma_f32 v12, v12, v34, v24
	v_fmac_f32_e32 v25, v13, v34
	v_fma_f32 v6, v6, v34, v26
	v_fma_f32 v7, v7, v34, v27
	v_fma_f32 v8, v8, v34, v28
	v_fmac_f32_e32 v29, v9, v34
	v_fma_f32 v14, v14, v34, v18
	v_fma_f32 v15, v15, v34, v19
	;; [unrolled: 1-line block ×3, first 2 shown]
	s_cmp_eq_u32 s53, s39
	v_fmac_f32_e32 v21, v17, v34
	s_cbranch_scc1 .LBB442_18
; %bb.17:                               ;   in Loop: Header=BB442_6 Depth=1
	s_mov_b32 s68, s39
	v_mov_b32_e32 v5, v33
	v_mov_b32_e32 v9, v29
	;; [unrolled: 1-line block ×4, first 2 shown]
	s_branch .LBB442_6
.LBB442_18:
	v_mov_b32_e32 v5, v33
	v_mov_b32_e32 v9, v29
	;; [unrolled: 1-line block ×4, first 2 shown]
.LBB442_19:
	s_lshl_b32 s26, s53, 6
	s_sub_i32 s27, s12, s26
	s_cmp_gt_i32 s27, 0
	s_cbranch_scc0 .LBB442_84
; %bb.20:
	s_ashr_i32 s3, s26, 31
	s_cmpk_lg_i32 s15, 0x80
	s_cselect_b64 s[22:23], -1, 0
	s_and_b64 vcc, exec, s[22:23]
	s_cbranch_vccz .LBB442_22
; %bb.21:
	s_mul_i32 s1, s52, s12
	s_mul_hi_i32 s0, s52, s12
	s_add_u32 s1, s1, s26
	s_addc_u32 s0, s0, s3
	s_mul_i32 s17, s1, s55
	s_mul_hi_u32 s20, s1, s14
	s_add_i32 s17, s20, s17
	s_mul_i32 s0, s0, s14
	s_add_i32 s17, s17, s0
	s_mul_i32 s1, s1, s14
	s_ashr_i32 s0, s56, 31
	s_add_u32 s24, s1, s56
	s_addc_u32 s25, s17, s0
	s_cbranch_execz .LBB442_23
	s_branch .LBB442_24
.LBB442_22:
                                        ; implicit-def: $sgpr24_sgpr25
.LBB442_23:
	s_mul_hi_i32 s0, s52, s14
	s_mul_i32 s52, s52, s14
	s_ashr_i32 s1, s56, 31
	s_add_u32 s14, s52, s56
	s_addc_u32 s0, s0, s1
	s_mul_i32 s1, s14, s51
	s_mul_hi_u32 s17, s14, s12
	s_add_i32 s1, s17, s1
	s_mul_i32 s0, s0, s12
	s_add_i32 s1, s1, s0
	s_mul_i32 s14, s14, s12
	s_add_u32 s24, s14, s26
	s_addc_u32 s25, s1, s3
.LBB442_24:
	s_mul_i32 s0, s40, s51
	s_add_i32 s0, s59, s0
	s_add_i32 s14, s57, s53
	;; [unrolled: 1-line block ×3, first 2 shown]
	s_add_u32 s0, s16, s26
	v_lshlrev_b32_e32 v22, 5, v69
	v_lshlrev_b32_e32 v38, 2, v66
	s_addc_u32 s1, s1, s3
	s_mov_b32 s3, 0x7060302
	v_or_b32_e32 v25, v22, v38
	v_xor_b32_e32 v23, v69, v38
	s_waitcnt vmcnt(3)
	v_perm_b32 v19, v5, v4, s3
	v_perm_b32 v18, v3, v2, s3
	s_waitcnt vmcnt(2)
	v_perm_b32 v21, v9, v8, s3
	v_perm_b32 v20, v7, v6, s3
	v_lshlrev_b32_e32 v25, 1, v25
	v_xor_b32_e32 v24, v70, v38
	ds_write2st64_b64 v25, v[18:19], v[20:21] offset0:80 offset1:88
	v_lshlrev_b32_e32 v23, 1, v23
	v_lshlrev_b32_e32 v25, 8, v66
	s_lshl_b64 s[20:21], s[0:1], 8
	v_or_b32_e32 v26, v23, v25
	v_lshlrev_b32_e32 v24, 1, v24
	s_waitcnt lgkmcnt(0)
	s_add_u32 s0, s6, s20
	ds_write_b64 v26, v[18:19]
	v_or_b32_e32 v18, v24, v25
	s_addc_u32 s1, s7, s21
	ds_write_b64 v18, v[20:21]
	s_waitcnt vmcnt(1)
	v_perm_b32 v19, v13, v12, s3
	v_perm_b32 v18, v11, v10, s3
	s_waitcnt vmcnt(0)
	v_perm_b32 v21, v17, v16, s3
	v_perm_b32 v20, v15, v14, s3
	v_or_b32_e32 v25, 16, v66
	s_mul_hi_i32 s3, s14, s13
	s_mul_i32 s14, s14, s13
	v_lshlrev_b32_e32 v35, 2, v25
	s_add_u32 s6, s14, s50
	v_or_b32_e32 v22, v22, v35
	s_addc_u32 s7, s3, s54
	v_lshlrev_b32_e32 v22, 1, v22
	s_ashr_i32 s3, s2, 31
	s_lshl_b64 s[6:7], s[6:7], 15
	ds_write2st64_b64 v22, v[18:19], v[20:21] offset0:80 offset1:88
	v_lshlrev_b32_e32 v22, 8, v25
	s_add_u32 s6, s18, s6
	v_or_b32_e32 v23, v23, v22
	s_addc_u32 s7, s19, s7
	s_lshl_b64 s[2:3], s[2:3], 8
	ds_write_b64 v23, v[18:19]
	v_or_b32_e32 v18, v24, v22
	s_add_u32 s2, s6, s2
	ds_write_b64 v18, v[20:21]
	v_lshrrev_b32_e32 v18, 4, v0
	s_addc_u32 s3, s7, s3
	v_lshlrev_b32_e32 v19, 1, v66
	v_lshlrev_b32_e32 v26, 4, v66
	v_mov_b32_e32 v27, 0
	v_or_b32_e32 v20, 1, v19
	v_xor_b32_e32 v19, v18, v19
	v_lshl_add_u64 v[28:29], s[2:3], 0, v[26:27]
	v_lshlrev_b32_e32 v26, 8, v18
	v_xor_b32_e32 v22, v20, v18
	v_lshl_or_b32 v18, v19, 3, v26
	s_waitcnt lgkmcnt(0)
	s_barrier
	ds_read2st64_b64 v[18:21], v18 offset1:8
	v_lshl_or_b32 v22, v22, 3, v26
	ds_read2st64_b64 v[22:25], v22 offset1:8
	v_lshl_add_u64 v[30:31], v[28:29], 0, v[26:27]
	s_movk_i32 s2, 0x1000
	s_waitcnt lgkmcnt(1)
	v_mov_b32_e32 v26, v18
	v_add_co_u32_e32 v18, vcc, s2, v30
	s_cmp_lg_u32 s27, 64
	v_mov_b32_e32 v27, v19
	v_addc_co_u32_e32 v19, vcc, 0, v31, vcc
	s_cselect_b64 s[6:7], -1, 0
	v_lshl_or_b32 v42, v1, 3, v68
	s_waitcnt lgkmcnt(0)
	v_mov_b32_e32 v28, v22
	v_mov_b32_e32 v29, v23
	;; [unrolled: 1-line block ×4, first 2 shown]
	s_mov_b32 s16, 0
	v_or_b32_e32 v36, 32, v42
	v_and_b32_e32 v34, 56, v67
	s_and_b64 vcc, exec, s[6:7]
	global_store_dwordx4 v[30:31], v[26:29], off
	global_store_dwordx4 v[18:19], v[22:25], off
	s_cbranch_vccz .LBB442_30
; %bb.25:
	s_mov_b32 s18, s16
	s_mov_b32 s19, s16
	;; [unrolled: 1-line block ×3, first 2 shown]
	v_mov_b64_e32 v[24:25], s[18:19]
	v_mov_b64_e32 v[22:23], s[16:17]
	;; [unrolled: 1-line block ×3, first 2 shown]
	v_cmp_gt_i32_e32 vcc, s27, v42
	v_mov_b64_e32 v[20:21], v[24:25]
	s_and_saveexec_b64 s[2:3], vcc
	s_cbranch_execz .LBB442_27
; %bb.26:
	v_lshlrev_b32_e32 v18, 8, v42
	v_mov_b32_e32 v19, 0
	v_lshl_add_u64 v[20:21], s[0:1], 0, v[18:19]
	v_lshlrev_b32_e32 v18, 1, v34
	v_lshl_add_u64 v[26:27], v[20:21], 0, v[18:19]
	global_load_dwordx4 v[22:25], v[26:27], off
	global_load_dwordx4 v[18:21], v[26:27], off offset:128
.LBB442_27:
	s_or_b64 exec, exec, s[2:3]
	s_mov_b32 s18, s16
	s_mov_b32 s19, s16
	;; [unrolled: 1-line block ×3, first 2 shown]
	v_mov_b64_e32 v[32:33], s[18:19]
	v_mov_b64_e32 v[30:31], s[16:17]
	;; [unrolled: 1-line block ×3, first 2 shown]
	v_cmp_gt_i32_e32 vcc, s27, v36
	v_lshlrev_b32_e32 v37, 7, v36
	v_mov_b64_e32 v[28:29], v[32:33]
	s_and_saveexec_b64 s[2:3], vcc
	s_cbranch_execz .LBB442_29
; %bb.28:
	v_lshlrev_b32_e32 v26, 1, v37
	v_mov_b32_e32 v27, 0
	v_lshl_add_u64 v[28:29], s[0:1], 0, v[26:27]
	v_lshlrev_b32_e32 v26, 1, v34
	v_lshl_add_u64 v[40:41], v[28:29], 0, v[26:27]
	global_load_dwordx4 v[30:33], v[40:41], off
	global_load_dwordx4 v[26:29], v[40:41], off offset:128
.LBB442_29:
	s_or_b64 exec, exec, s[2:3]
	v_lshrrev_b32_e32 v39, 3, v34
	v_lshlrev_b32_e32 v40, 3, v42
	v_or_b32_e32 v39, v40, v39
	v_lshlrev_b32_e32 v39, 4, v39
	v_and_b32_e32 v40, 0x78, v40
	v_xor_b32_e32 v39, v39, v40
	s_branch .LBB442_32
.LBB442_30:
                                        ; implicit-def: $vgpr39
                                        ; implicit-def: $vgpr37
                                        ; implicit-def: $vgpr22_vgpr23_vgpr24_vgpr25
                                        ; implicit-def: $vgpr18_vgpr19_vgpr20_vgpr21
                                        ; implicit-def: $vgpr30_vgpr31_vgpr32_vgpr33
                                        ; implicit-def: $vgpr26_vgpr27_vgpr28_vgpr29
	s_cbranch_execz .LBB442_32
; %bb.31:
	s_waitcnt vmcnt(0)
	v_lshlrev_b32_e32 v18, 1, v34
	v_lshl_or_b32 v37, v42, 8, v18
	s_and_b32 s1, s1, 0xffff
	s_mov_b32 s3, 0x20000
	s_movk_i32 s2, 0x4000
	v_lshl_or_b32 v39, v36, 8, v18
	s_movk_i32 s13, 0x80
	buffer_load_dwordx4 v[22:25], v37, s[0:3], 0 offen
	buffer_load_dwordx4 v[18:21], v37, s[0:3], s13 offen
	;; [unrolled: 1-line block ×4, first 2 shown]
	v_lshrrev_b32_e32 v37, 3, v34
	v_lshlrev_b32_e32 v39, 3, v42
	v_or_b32_e32 v37, v39, v37
	v_lshlrev_b32_e32 v37, 4, v37
	v_and_b32_e32 v39, 0x78, v39
	v_xor_b32_e32 v39, v37, v39
	v_lshlrev_b32_e32 v37, 7, v36
.LBB442_32:
	s_lshl_b64 s[0:1], s[24:25], 8
	s_add_u32 s4, s4, s0
	s_movk_i32 s0, 0x1000
	v_and_or_b32 v36, v37, s0, v39
	s_waitcnt vmcnt(1)
	ds_write_b64 v39, v[22:23] offset:24576
	v_xor_b32_e32 v22, 8, v39
	ds_write_b64 v22, v[24:25] offset:24576
	s_waitcnt vmcnt(0)
	ds_write_b64 v39, v[18:19] offset:32768
	ds_write_b64 v22, v[20:21] offset:32768
	;; [unrolled: 1-line block ×3, first 2 shown]
	v_xor_b32_e32 v18, 8, v36
	ds_write_b64 v18, v[32:33] offset:24576
	ds_write_b64 v36, v[26:27] offset:32768
	;; [unrolled: 1-line block ×3, first 2 shown]
	v_or_b32_e32 v18, v64, v66
	v_lshlrev_b32_e32 v18, 3, v18
	v_lshrrev_b32_e32 v19, 5, v51
	s_movk_i32 s3, 0xf8
	v_and_or_b32 v19, v18, s3, v19
	v_lshlrev_b32_e32 v23, 4, v19
	v_lshlrev_b32_e32 v39, 11, v1
	v_and_b32_e32 v24, 0x78, v18
	v_or_b32_e32 v26, 32, v23
	v_and_b32_e32 v22, 0x1000, v39
	v_lshrrev_b32_e32 v19, 1, v51
	v_xor_b32_e32 v26, v26, v24
	v_xor_b32_e32 v18, v23, v24
	v_and_b32_e32 v25, 8, v19
	v_or_b32_e32 v26, v26, v22
	v_or_b32_e32 v18, v18, v22
	v_xor_b32_e32 v44, v26, v25
	v_or_b32_e32 v26, 64, v23
	v_xor_b32_e32 v43, v18, v25
	v_xor_b32_e32 v26, v26, v24
	s_waitcnt lgkmcnt(0)
	s_barrier
	v_or_b32_e32 v28, v26, v22
	ds_read_b64 v[26:27], v43 offset:24576
	v_lshl_or_b32 v36, v65, 7, v38
	v_lshlrev_b32_e32 v40, 1, v36
	v_add_u32_e32 v18, 0xa000, v40
	ds_read2_b64 v[18:21], v18 offset1:16
	v_or_b32_e32 v23, 0x60, v23
	v_xor_b32_e32 v23, v23, v24
	s_waitcnt lgkmcnt(0)
	v_mfma_f32_16x16x16_bf16 a[0:3], v[26:27], v[18:19], 0
	v_or_b32_e32 v18, 64, v36
	v_or_b32_e32 v22, v23, v22
	v_lshlrev_b32_e32 v41, 1, v18
	v_xor_b32_e32 v45, v28, v25
	v_xor_b32_e32 v46, v22, v25
	ds_read_b64 v[28:29], v44 offset:24576
	ds_read_b64 v[30:31], v45 offset:24576
	;; [unrolled: 1-line block ×3, first 2 shown]
	v_mfma_f32_16x16x16_bf16 a[4:7], v[26:27], v[20:21], 0
	ds_read2st64_b64 v[18:21], v41 offset0:82 offset1:84
	ds_read2st64_b64 v[22:25], v40 offset0:82 offset1:84
	s_addc_u32 s5, s5, s1
	s_add_i32 s1, s46, s33
	s_add_i32 s0, s12, -1
	s_add_i32 s37, s1, s47
	s_add_i32 s1, s48, s41
	s_add_i32 s39, s1, s49
	s_ashr_i32 s1, s0, 31
	s_mul_i32 s2, s0, s35
	s_mul_hi_u32 s3, s0, s34
	s_add_i32 s2, s3, s2
	s_mul_i32 s1, s1, s34
	s_waitcnt lgkmcnt(1)
	v_mfma_f32_16x16x16_bf16 a[4:7], v[28:29], v[18:19], a[4:7]
	s_add_i32 s1, s2, s1
	s_lshl_b64 s[2:3], s[36:37], 2
	s_add_u32 s10, s10, s2
	s_waitcnt lgkmcnt(0)
	v_mfma_f32_16x16x16_bf16 a[0:3], v[28:29], v[22:23], a[0:3]
	s_addc_u32 s11, s11, s3
	s_lshl_b64 s[2:3], s[38:39], 2
	s_mul_i32 s0, s0, s34
	s_add_u32 s10, s10, s2
	ds_read_b64 v[18:19], v40 offset:44032
	v_mfma_f32_16x16x16_bf16 a[4:7], v[30:31], v[20:21], a[4:7]
	ds_read_b64 v[20:21], v41 offset:44032
	s_addc_u32 s11, s11, s3
	s_lshl_b64 s[0:1], s[0:1], 2
	v_mfma_f32_16x16x16_bf16 a[0:3], v[30:31], v[24:25], a[0:3]
	s_add_u32 s0, s10, s0
	s_addc_u32 s1, s11, s1
	s_load_dword s12, s[0:1], 0x0
	s_waitcnt lgkmcnt(0)
	v_mfma_f32_16x16x16_bf16 a[0:3], v[32:33], v[18:19], a[0:3]
	s_and_b64 vcc, exec, s[22:23]
	v_mfma_f32_16x16x16_bf16 a[4:7], v[32:33], v[20:21], a[4:7]
	s_cbranch_vccz .LBB442_43
; %bb.33:
	v_lshlrev_b32_e32 v36, 1, v42
	s_and_b64 vcc, exec, s[6:7]
	s_cbranch_vccz .LBB442_44
; %bb.34:
	v_cmp_gt_i32_e32 vcc, s27, v36
	v_mov_b32_e32 v22, 0
	v_mov_b32_e32 v18, 0
	;; [unrolled: 1-line block ×5, first 2 shown]
	s_and_saveexec_b64 s[0:1], vcc
	s_cbranch_execz .LBB442_36
; %bb.35:
	v_mad_i64_i32 v[18:19], s[2:3], s15, v36, 0
	v_lshl_add_u64 v[18:19], v[18:19], 1, s[4:5]
	v_lshlrev_b32_e32 v20, 1, v34
	v_mov_b32_e32 v21, 0
	v_lshl_add_u64 v[18:19], v[18:19], 0, v[20:21]
	global_load_dwordx4 v[18:21], v[18:19], off
.LBB442_36:
	s_or_b64 exec, exec, s[0:1]
	v_or_b32_e32 v37, 1, v36
	v_cmp_gt_i32_e64 s[0:1], s27, v37
	v_mov_b32_e32 v23, 0
	v_mov_b32_e32 v24, 0
	;; [unrolled: 1-line block ×3, first 2 shown]
	s_and_saveexec_b64 s[2:3], s[0:1]
	s_cbranch_execz .LBB442_38
; %bb.37:
	v_mad_i64_i32 v[22:23], s[16:17], s15, v37, 0
	v_lshl_add_u64 v[22:23], v[22:23], 1, s[4:5]
	v_lshlrev_b32_e32 v24, 1, v34
	v_mov_b32_e32 v25, 0
	v_lshl_add_u64 v[22:23], v[22:23], 0, v[24:25]
	global_load_dwordx4 v[22:25], v[22:23], off
.LBB442_38:
	s_or_b64 exec, exec, s[2:3]
	v_mov_b32_e32 v33, 0
	v_mov_b32_e32 v26, 0
	;; [unrolled: 1-line block ×5, first 2 shown]
	s_and_saveexec_b64 s[2:3], vcc
	s_cbranch_execz .LBB442_40
; %bb.39:
	v_mad_i64_i32 v[26:27], s[16:17], s15, v36, 0
	v_lshl_add_u64 v[26:27], v[26:27], 1, s[4:5]
	v_lshlrev_b32_e32 v28, 1, v34
	v_mov_b32_e32 v29, 0
	v_lshl_add_u64 v[26:27], v[26:27], 0, v[28:29]
	global_load_dwordx4 v[26:29], v[26:27], off offset:128
.LBB442_40:
	s_or_b64 exec, exec, s[2:3]
	v_mov_b32_e32 v32, 0
	v_mov_b32_e32 v31, 0
	;; [unrolled: 1-line block ×3, first 2 shown]
	s_and_saveexec_b64 s[2:3], s[0:1]
	s_cbranch_execz .LBB442_42
; %bb.41:
	v_mad_i64_i32 v[30:31], s[0:1], s15, v37, 0
	v_lshl_add_u64 v[30:31], v[30:31], 1, s[4:5]
	v_lshlrev_b32_e32 v32, 1, v34
	v_mov_b32_e32 v33, 0
	v_lshl_add_u64 v[30:31], v[30:31], 0, v[32:33]
	global_load_dwordx4 v[30:33], v[30:31], off offset:128
.LBB442_42:
	s_or_b64 exec, exec, s[2:3]
	s_branch .LBB442_46
.LBB442_43:
                                        ; implicit-def: $vgpr21
                                        ; implicit-def: $vgpr25
                                        ; implicit-def: $vgpr29
                                        ; implicit-def: $vgpr33
	v_lshrrev_b32_e32 v47, 2, v51
	s_branch .LBB442_47
.LBB442_44:
                                        ; implicit-def: $vgpr21
                                        ; implicit-def: $vgpr25
                                        ; implicit-def: $vgpr29
                                        ; implicit-def: $vgpr33
	s_cbranch_execz .LBB442_46
; %bb.45:
	s_waitcnt vmcnt(0)
	v_mad_u64_u32 v[18:19], s[0:1], v36, s15, v[34:35]
	v_lshlrev_b32_e32 v36, 1, v18
	s_lshl_b32 s2, s15, 7
	s_and_b32 s1, s5, 0xffff
	s_mov_b32 s3, 0x20000
	s_mov_b32 s0, s4
	v_add_lshl_u32 v37, v18, s15, 1
	s_movk_i32 s13, 0x80
	buffer_load_dwordx4 v[18:21], v36, s[0:3], 0 offen
	buffer_load_dwordx4 v[26:29], v36, s[0:3], s13 offen
	;; [unrolled: 1-line block ×4, first 2 shown]
.LBB442_46:
	v_lshrrev_b32_e32 v47, 2, v51
	s_cbranch_execnz .LBB442_59
.LBB442_47:
	s_and_b64 vcc, exec, s[6:7]
	s_cbranch_vccz .LBB442_57
; %bb.48:
	s_waitcnt vmcnt(0)
	v_lshlrev_b32_e32 v23, 1, v42
	v_cmp_gt_i32_e32 vcc, s27, v23
	v_mov_b32_e32 v22, 0
	v_lshlrev_b32_e32 v30, 9, v42
	v_mov_b32_e32 v18, 0
	v_mov_b32_e32 v19, 0
	v_mov_b32_e32 v20, 0
	v_mov_b32_e32 v21, 0
	s_and_saveexec_b64 s[0:1], vcc
	s_cbranch_execz .LBB442_50
; %bb.49:
	v_mov_b32_e32 v31, 0
	v_lshl_add_u64 v[18:19], s[4:5], 0, v[30:31]
	v_lshlrev_b32_e32 v20, 1, v34
	v_mov_b32_e32 v21, v31
	v_lshl_add_u64 v[18:19], v[18:19], 0, v[20:21]
	global_load_dwordx4 v[18:21], v[18:19], off
.LBB442_50:
	s_or_b64 exec, exec, s[0:1]
	v_or_b32_e32 v23, 1, v23
	v_cmp_gt_i32_e64 s[0:1], s27, v23
	v_lshlrev_b32_e32 v36, 8, v23
	v_mov_b32_e32 v23, 0
	v_mov_b32_e32 v24, 0
	;; [unrolled: 1-line block ×3, first 2 shown]
	s_and_saveexec_b64 s[2:3], s[0:1]
	s_cbranch_execz .LBB442_52
; %bb.51:
	v_mov_b32_e32 v37, 0
	v_lshl_add_u64 v[22:23], s[4:5], 0, v[36:37]
	v_lshlrev_b32_e32 v24, 1, v34
	v_mov_b32_e32 v25, v37
	v_lshl_add_u64 v[22:23], v[22:23], 0, v[24:25]
	global_load_dwordx4 v[22:25], v[22:23], off
.LBB442_52:
	s_or_b64 exec, exec, s[2:3]
	v_mov_b32_e32 v33, 0
	v_mov_b32_e32 v26, 0
	;; [unrolled: 1-line block ×5, first 2 shown]
	s_and_saveexec_b64 s[2:3], vcc
	s_cbranch_execz .LBB442_54
; %bb.53:
	v_mov_b32_e32 v31, 0
	v_lshl_add_u64 v[26:27], s[4:5], 0, v[30:31]
	v_lshlrev_b32_e32 v30, 1, v34
	v_lshl_add_u64 v[26:27], v[26:27], 0, v[30:31]
	global_load_dwordx4 v[26:29], v[26:27], off offset:128
.LBB442_54:
	s_or_b64 exec, exec, s[2:3]
	v_mov_b32_e32 v32, 0
	v_mov_b32_e32 v31, 0
	;; [unrolled: 1-line block ×3, first 2 shown]
	s_and_saveexec_b64 s[2:3], s[0:1]
	s_cbranch_execz .LBB442_56
; %bb.55:
	v_mov_b32_e32 v37, 0
	v_lshl_add_u64 v[30:31], s[4:5], 0, v[36:37]
	v_lshlrev_b32_e32 v36, 1, v34
	v_lshl_add_u64 v[30:31], v[30:31], 0, v[36:37]
	global_load_dwordx4 v[30:33], v[30:31], off offset:128
.LBB442_56:
	s_or_b64 exec, exec, s[2:3]
	s_branch .LBB442_59
.LBB442_57:
                                        ; implicit-def: $vgpr21
                                        ; implicit-def: $vgpr25
                                        ; implicit-def: $vgpr29
                                        ; implicit-def: $vgpr33
	s_cbranch_execz .LBB442_59
; %bb.58:
	s_waitcnt vmcnt(0)
	v_lshlrev_b32_e32 v18, 1, v34
	v_lshl_or_b32 v34, v42, 9, v18
	s_and_b32 s5, s5, 0xffff
	s_mov_b32 s7, 0x20000
	s_movk_i32 s6, 0x4000
	s_movk_i32 s0, 0x80
	buffer_load_dwordx4 v[18:21], v34, s[4:7], 0 offen
	buffer_load_dwordx4 v[22:25], v34, s[4:7], 0 offen offset:256
	buffer_load_dwordx4 v[26:29], v34, s[4:7], s0 offen
	buffer_load_dwordx4 v[30:33], v34, s[4:7], s0 offen offset:256
.LBB442_59:
	ds_read_b64 v[36:37], v43 offset:32768
	v_add_u32_e32 v34, 0xb000, v40
	ds_read2_b64 v[58:61], v34 offset1:16
	ds_read_b64 v[48:49], v44 offset:32768
	ds_read_b64 v[44:45], v45 offset:32768
	;; [unrolled: 1-line block ×3, first 2 shown]
	v_and_b32_e32 v34, 6, v0
	v_xor_b32_e32 v42, v42, v34
	v_lshlrev_b32_e32 v42, 2, v42
	v_and_b32_e32 v43, 1, v0
	v_xor_b32_e32 v46, 0x440, v42
	v_cmp_eq_u32_e32 vcc, 0, v43
	s_waitcnt lgkmcnt(3)
	v_mfma_f32_16x16x16_bf16 a[0:3], v[36:37], v[58:59], a[0:3]
	s_mov_b32 s0, 0x1000504
	v_cndmask_b32_e32 v42, v46, v42, vcc
	v_lshl_or_b32 v34, v34, 10, v42
	v_mfma_f32_16x16x16_bf16 a[4:7], v[36:37], v[60:61], a[4:7]
	ds_read2st64_b64 v[58:61], v40 offset0:90 offset1:92
	ds_read2st64_b64 v[66:69], v41 offset0:90 offset1:92
	s_waitcnt vmcnt(0)
	v_perm_b32 v42, v18, v22, s0
	s_mov_b32 s1, 0x3020706
	s_waitcnt lgkmcnt(1)
	v_mfma_f32_16x16x16_bf16 a[0:3], v[48:49], v[58:59], a[0:3]
	ds_read_b64 v[36:37], v40 offset:48128
	ds_read_b64 v[58:59], v41 offset:48128
	v_perm_b32 v18, v18, v22, s1
	v_perm_b32 v22, v26, v30, s1
	s_waitcnt lgkmcnt(2)
	v_mfma_f32_16x16x16_bf16 a[4:7], v[48:49], v[66:67], a[4:7]
	v_mfma_f32_16x16x16_bf16 a[0:3], v[44:45], v[60:61], a[0:3]
	;; [unrolled: 1-line block ×3, first 2 shown]
	s_waitcnt lgkmcnt(1)
	v_mfma_f32_16x16x16_bf16 a[4:7], v[62:63], v[36:37], a[0:3]
	v_perm_b32 v36, v26, v30, s0
	ds_write2st64_b32 v34, v42, v36 offset0:32 offset1:64
	v_xor_b32_e32 v36, 8, v34
	v_add_u32_e32 v26, 0x80, v36
	ds_write2st64_b32 v26, v18, v22 offset0:32 offset1:64
	v_xor_b32_e32 v18, 16, v34
	v_perm_b32 v22, v19, v23, s0
	v_perm_b32 v26, v27, v31, s0
	ds_write2st64_b32 v18, v22, v26 offset0:33 offset1:65
	v_xor_b32_e32 v18, 24, v34
	v_perm_b32 v19, v19, v23, s1
	v_perm_b32 v22, v27, v31, s1
	v_add_u32_e32 v18, 0x80, v18
	ds_write2st64_b32 v18, v19, v22 offset0:33 offset1:65
	v_xor_b32_e32 v18, 32, v34
	v_perm_b32 v19, v20, v24, s0
	v_perm_b32 v22, v28, v32, s0
	ds_write2st64_b32 v18, v19, v22 offset0:34 offset1:66
	v_xor_b32_e32 v18, 40, v34
	s_waitcnt lgkmcnt(5)
	v_mfma_f32_16x16x16_bf16 a[0:3], v[62:63], v[58:59], a[8:11]
	v_perm_b32 v19, v20, v24, s1
	v_perm_b32 v20, v28, v32, s1
	v_add_u32_e32 v18, 0x80, v18
	ds_write2st64_b32 v18, v19, v20 offset0:34 offset1:66
	v_xor_b32_e32 v18, 48, v34
	v_perm_b32 v19, v21, v25, s0
	v_perm_b32 v20, v29, v33, s0
	ds_write2st64_b32 v18, v19, v20 offset0:35 offset1:67
	v_xor_b32_e32 v18, 56, v34
	v_and_or_b32 v37, v47, 12, v64
	v_perm_b32 v19, v21, v25, s1
	v_perm_b32 v20, v29, v33, s1
	v_add_u32_e32 v18, 0x80, v18
	v_cmp_gt_i32_e32 vcc, s27, v37
	v_mov_b32_e32 v32, 0
	v_mov_b32_e32 v34, 0
	ds_write2st64_b32 v18, v19, v20 offset0:35 offset1:67
	s_and_saveexec_b64 s[0:1], vcc
	s_cbranch_execz .LBB442_61
; %bb.60:
	v_add_u32_e32 v18, s26, v37
	v_ashrrev_i32_e32 v19, 31, v18
	v_mul_lo_u32 v20, v19, s34
	v_mul_lo_u32 v21, v18, s35
	v_mad_u64_u32 v[18:19], s[2:3], v18, s34, 0
	v_add3_u32 v19, v19, v21, v20
	v_lshl_add_u64 v[18:19], v[18:19], 2, s[10:11]
	global_load_dword v18, v[18:19], off
	s_waitcnt vmcnt(0)
	v_sub_f32_e32 v18, s12, v18
	v_exp_f32_e32 v34, v18
.LBB442_61:
	s_or_b64 exec, exec, s[0:1]
	v_or_b32_e32 v26, 1, v37
	v_cmp_gt_i32_e64 s[0:1], s27, v26
	s_and_saveexec_b64 s[2:3], s[0:1]
	s_cbranch_execz .LBB442_63
; %bb.62:
	v_add_u32_e32 v18, s26, v26
	v_ashrrev_i32_e32 v19, 31, v18
	v_mul_lo_u32 v20, v19, s34
	v_mul_lo_u32 v21, v18, s35
	v_mad_u64_u32 v[18:19], s[4:5], v18, s34, 0
	v_add3_u32 v19, v19, v21, v20
	v_lshl_add_u64 v[18:19], v[18:19], 2, s[10:11]
	global_load_dword v18, v[18:19], off
	s_waitcnt vmcnt(0)
	v_sub_f32_e32 v18, s12, v18
	v_exp_f32_e32 v32, v18
.LBB442_63:
	s_or_b64 exec, exec, s[2:3]
	v_or_b32_e32 v27, 2, v37
	v_cmp_gt_i32_e64 s[2:3], s27, v27
	v_mov_b32_e32 v33, 0
	v_mov_b32_e32 v36, 0
	s_and_saveexec_b64 s[4:5], s[2:3]
	s_cbranch_execz .LBB442_65
; %bb.64:
	v_add_u32_e32 v18, s26, v27
	v_ashrrev_i32_e32 v19, 31, v18
	v_mul_lo_u32 v20, v19, s34
	v_mul_lo_u32 v21, v18, s35
	v_mad_u64_u32 v[18:19], s[6:7], v18, s34, 0
	v_add3_u32 v19, v19, v21, v20
	v_lshl_add_u64 v[18:19], v[18:19], 2, s[10:11]
	global_load_dword v18, v[18:19], off
	s_waitcnt vmcnt(0)
	v_sub_f32_e32 v18, s12, v18
	v_exp_f32_e32 v36, v18
.LBB442_65:
	s_or_b64 exec, exec, s[4:5]
	v_or_b32_e32 v42, 3, v37
	v_cmp_gt_i32_e64 s[4:5], s27, v42
	s_and_saveexec_b64 s[6:7], s[4:5]
	s_cbranch_execz .LBB442_67
; %bb.66:
	v_add_u32_e32 v18, s26, v42
	v_ashrrev_i32_e32 v19, 31, v18
	v_mul_lo_u32 v20, v19, s34
	v_mul_lo_u32 v21, v18, s35
	v_mad_u64_u32 v[18:19], s[14:15], v18, s34, 0
	v_add3_u32 v19, v19, v21, v20
	v_lshl_add_u64 v[18:19], v[18:19], 2, s[10:11]
	global_load_dword v18, v[18:19], off
	s_waitcnt vmcnt(0)
	v_sub_f32_e32 v18, s12, v18
	v_exp_f32_e32 v33, v18
.LBB442_67:
	s_or_b64 exec, exec, s[6:7]
	s_add_u32 s6, s8, s20
	v_accvgpr_read_b32 v21, a7
	s_addc_u32 s7, s9, s21
	v_ashrrev_i32_e32 v57, 31, v56
	v_accvgpr_read_b32 v20, a6
	v_accvgpr_read_b32 v19, a5
	;; [unrolled: 1-line block ×3, first 2 shown]
	v_lshl_add_u64 v[22:23], v[56:57], 1, s[6:7]
	v_mov_b32_e32 v29, 0
	v_lshlrev_b32_e32 v24, 8, v37
	v_mov_b32_e32 v25, 0
	s_and_saveexec_b64 s[6:7], vcc
	s_cbranch_execz .LBB442_69
; %bb.68:
	v_mov_b32_e32 v25, 0
	v_lshl_add_u64 v[30:31], v[22:23], 0, v[24:25]
	global_load_ushort v25, v[30:31], off
	s_waitcnt vmcnt(0)
	v_lshlrev_b32_e32 v25, 16, v25
	v_sub_f32_e32 v18, v25, v18
	v_mul_f32_e32 v18, v34, v18
	v_lshrrev_b32_e32 v25, 16, v18
.LBB442_69:
	s_or_b64 exec, exec, s[6:7]
	v_lshlrev_b32_e32 v28, 8, v26
	s_and_saveexec_b64 s[6:7], s[0:1]
	s_cbranch_execz .LBB442_71
; %bb.70:
	v_mov_b32_e32 v29, 0
	v_lshl_add_u64 v[30:31], v[22:23], 0, v[28:29]
	global_load_ushort v18, v[30:31], off
	s_waitcnt vmcnt(0)
	v_lshlrev_b32_e32 v18, 16, v18
	v_sub_f32_e32 v18, v18, v19
	v_mul_f32_e32 v18, v32, v18
	v_lshrrev_b32_e32 v29, 16, v18
.LBB442_71:
	s_or_b64 exec, exec, s[6:7]
	v_mov_b32_e32 v43, 0
	v_lshlrev_b32_e32 v30, 8, v27
	v_mov_b32_e32 v31, 0
	s_and_saveexec_b64 s[6:7], s[2:3]
	s_cbranch_execz .LBB442_73
; %bb.72:
	v_mov_b32_e32 v31, 0
	v_lshl_add_u64 v[18:19], v[22:23], 0, v[30:31]
	global_load_ushort v18, v[18:19], off
	s_waitcnt vmcnt(0)
	v_lshlrev_b32_e32 v18, 16, v18
	v_sub_f32_e32 v18, v18, v20
	v_mul_f32_e32 v18, v36, v18
	v_lshrrev_b32_e32 v31, 16, v18
.LBB442_73:
	s_or_b64 exec, exec, s[6:7]
	v_lshlrev_b32_e32 v26, 8, v42
	s_and_saveexec_b64 s[6:7], s[4:5]
	s_cbranch_execz .LBB442_75
; %bb.74:
	v_mov_b32_e32 v27, 0
	v_lshl_add_u64 v[18:19], v[22:23], 0, v[26:27]
	global_load_ushort v18, v[18:19], off
	s_waitcnt vmcnt(0)
	v_lshlrev_b32_e32 v18, 16, v18
	v_sub_f32_e32 v18, v18, v21
	v_mul_f32_e32 v18, v33, v18
	v_lshrrev_b32_e32 v43, 16, v18
.LBB442_75:
	s_or_b64 exec, exec, s[6:7]
	v_lshlrev_b32_e32 v37, 5, v37
	s_mov_b32 s6, 0x5040100
	v_perm_b32 v42, v29, v25, s6
	v_or_b32_e32 v25, v37, v38
	v_accvgpr_read_b32 v21, a3
	v_perm_b32 v43, v43, v31, s6
	v_lshlrev_b32_e32 v25, 1, v25
	v_accvgpr_read_b32 v20, a2
	v_accvgpr_read_b32 v19, a1
	;; [unrolled: 1-line block ×3, first 2 shown]
	ds_write_b64 v25, v[42:43] offset:45056
	v_mov_b32_e32 v29, 0
	v_mov_b32_e32 v25, 0
	s_and_saveexec_b64 s[6:7], vcc
	s_cbranch_execz .LBB442_77
; %bb.76:
	v_mov_b32_e32 v25, 0
	v_lshl_add_u64 v[24:25], v[22:23], 0, v[24:25]
	global_load_ushort v24, v[24:25], off offset:32
	s_waitcnt vmcnt(0)
	v_lshlrev_b32_e32 v24, 16, v24
	v_sub_f32_e32 v18, v24, v18
	v_mul_f32_e32 v18, v34, v18
	v_lshrrev_b32_e32 v25, 16, v18
.LBB442_77:
	s_or_b64 exec, exec, s[6:7]
	s_and_saveexec_b64 s[6:7], s[0:1]
	s_cbranch_execz .LBB442_79
; %bb.78:
	v_mov_b32_e32 v29, 0
	v_lshl_add_u64 v[28:29], v[22:23], 0, v[28:29]
	global_load_ushort v18, v[28:29], off offset:32
	s_waitcnt vmcnt(0)
	v_lshlrev_b32_e32 v18, 16, v18
	v_sub_f32_e32 v18, v18, v19
	v_mul_f32_e32 v18, v32, v18
	v_lshrrev_b32_e32 v29, 16, v18
.LBB442_79:
	s_or_b64 exec, exec, s[6:7]
	v_mov_b32_e32 v24, 0
	v_mov_b32_e32 v28, 0
	s_and_saveexec_b64 s[0:1], s[2:3]
	s_cbranch_execz .LBB442_81
; %bb.80:
	v_mov_b32_e32 v31, 0
	v_lshl_add_u64 v[18:19], v[22:23], 0, v[30:31]
	global_load_ushort v18, v[18:19], off offset:32
	s_waitcnt vmcnt(0)
	v_lshlrev_b32_e32 v18, 16, v18
	v_sub_f32_e32 v18, v18, v20
	v_mul_f32_e32 v18, v36, v18
	v_lshrrev_b32_e32 v28, 16, v18
.LBB442_81:
	s_or_b64 exec, exec, s[0:1]
	v_or_b32_e32 v19, 0xb000, v40
	v_or_b32_e32 v18, 0xb000, v41
	s_and_saveexec_b64 s[0:1], s[4:5]
	s_cbranch_execz .LBB442_83
; %bb.82:
	v_mov_b32_e32 v27, 0
	v_lshl_add_u64 v[22:23], v[22:23], 0, v[26:27]
	global_load_ushort v20, v[22:23], off offset:32
	s_waitcnt vmcnt(0)
	v_lshlrev_b32_e32 v20, 16, v20
	v_sub_f32_e32 v20, v20, v21
	v_mul_f32_e32 v20, v33, v20
	v_lshrrev_b32_e32 v24, 16, v20
.LBB442_83:
	s_or_b64 exec, exec, s[0:1]
	s_mov_b32 s0, 0x5040100
	v_or_b32_e32 v22, v37, v35
	v_perm_b32 v21, v24, v28, s0
	v_perm_b32 v20, v29, v25, s0
	v_lshlrev_b32_e32 v22, 1, v22
	s_movk_i32 s0, 0x100
	ds_write_b64 v22, v[20:21] offset:45056
	v_and_b32_e32 v20, 7, v0
	v_and_b32_e32 v21, 8, v0
	v_cmp_gt_u32_e32 vcc, s0, v0
	v_lshrrev_b32_e32 v0, 1, v0
	v_lshlrev_b32_e32 v37, 3, v1
	v_and_b32_e32 v38, 24, v0
	v_lshlrev_b32_e32 v34, 3, v20
	v_lshlrev_b32_e32 v35, 7, v20
	v_mov_b32_e32 v20, 0x4000
	v_mov_b32_e32 v22, 0x2000
	v_xor_b32_e32 v0, v37, v38
	v_cndmask_b32_e32 v36, v20, v22, vcc
	v_or_b32_e32 v1, 0x440, v0
	v_cmp_eq_u32_e32 vcc, 0, v21
	s_waitcnt lgkmcnt(0)
	s_barrier
	v_cndmask_b32_e32 v0, v1, v0, vcc
	v_or_b32_e32 v0, v0, v39
	v_xad_u32 v40, v0, v34, v35
	v_add_u32_e32 v0, v36, v40
	ds_read_b64 v[0:1], v0
	ds_read2_b64 v[20:23], v19 offset1:16
	v_or_b32_e32 v24, 32, v38
	v_xor_b32_e32 v24, v37, v24
	v_or_b32_e32 v25, 0x440, v24
	v_cndmask_b32_e32 v24, v25, v24, vcc
	s_waitcnt lgkmcnt(0)
	v_mfma_f32_16x16x16_bf16 a[0:3], v[0:1], v[20:21], 0
	v_or_b32_e32 v24, v24, v39
	v_xad_u32 v41, v24, v34, v35
	v_add_u32_e32 v24, v36, v41
	v_mfma_f32_16x16x16_bf16 a[4:7], v[0:1], v[22:23], 0
	v_or_b32_e32 v0, 64, v38
	v_xor_b32_e32 v0, v37, v0
	v_xor_b32_e32 v1, 0x440, v0
	ds_read_b64 v[32:33], v24
	v_cndmask_b32_e32 v0, v1, v0, vcc
	v_or_b32_e32 v0, v0, v39
	v_xad_u32 v42, v0, v34, v35
	v_add_u32_e32 v0, v36, v42
	ds_read_b64 v[0:1], v0
	ds_read2st64_b64 v[24:27], v19 offset0:2 offset1:4
	ds_read2st64_b64 v[28:31], v18 offset0:2 offset1:4
	s_waitcnt lgkmcnt(1)
	v_mfma_f32_16x16x16_bf16 a[0:3], v[32:33], v[24:25], a[0:3]
	s_waitcnt lgkmcnt(0)
	v_mfma_f32_16x16x16_bf16 a[4:7], v[32:33], v[28:29], a[4:7]
	v_or_b32_e32 v32, 0x60, v38
	v_xor_b32_e32 v32, v37, v32
	v_xor_b32_e32 v33, 0x440, v32
	v_cndmask_b32_e32 v32, v33, v32, vcc
	v_or_b32_e32 v32, v32, v39
	v_xad_u32 v37, v32, v34, v35
	v_add_u32_e32 v32, v36, v37
	ds_read_b64 v[32:33], v32
	v_mfma_f32_16x16x16_bf16 a[0:3], v[0:1], v[26:27], a[0:3]
	v_exp_f32_e32 v36, s12
	v_mfma_f32_16x16x16_bf16 a[4:7], v[0:1], v[30:31], a[4:7]
	ds_read_b64 v[0:1], v19 offset:3072
	ds_read_b64 v[34:35], v18 offset:3072
	ds_read_b64 v[18:19], v40 offset:16384
	s_waitcnt lgkmcnt(0)
	v_mfma_f32_16x16x16_bf16 a[8:11], v[18:19], v[20:21], 0
	ds_read_b64 v[20:21], v41 offset:16384
	v_mfma_f32_16x16x16_bf16 a[0:3], v[32:33], v[0:1], a[0:3]
	v_mfma_f32_16x16x16_bf16 a[12:15], v[18:19], v[22:23], 0
	ds_read_b64 v[22:23], v42 offset:16384
	s_nop 4
	v_accvgpr_read_b32 v18, a0
	v_fma_f32 v18, v2, v36, v18
	v_accvgpr_read_b32 v2, a1
	v_fma_f32 v19, v3, v36, v2
	v_accvgpr_read_b32 v2, a2
	s_waitcnt lgkmcnt(1)
	v_mfma_f32_16x16x16_bf16 a[8:11], v[20:21], v[24:25], a[8:11]
	v_mfma_f32_16x16x16_bf16 a[12:15], v[20:21], v[28:29], a[12:15]
	v_fma_f32 v20, v4, v36, v2
	ds_read_b64 v[2:3], v37 offset:16384
	v_accvgpr_read_b32 v21, a3
	s_waitcnt lgkmcnt(1)
	v_mfma_f32_16x16x16_bf16 a[0:3], v[22:23], v[26:27], a[8:11]
	v_fmac_f32_e32 v21, v5, v36
	v_mfma_f32_16x16x16_bf16 a[4:7], v[32:33], v[34:35], a[4:7]
	v_mfma_f32_16x16x16_bf16 a[8:11], v[22:23], v[30:31], a[12:15]
	s_waitcnt lgkmcnt(0)
	v_mfma_f32_16x16x16_bf16 a[0:3], v[2:3], v[0:1], a[0:3]
	s_nop 3
	v_accvgpr_read_b32 v4, a4
	v_fma_f32 v26, v10, v36, v4
	v_accvgpr_read_b32 v4, a5
	v_fma_f32 v27, v11, v36, v4
	v_accvgpr_read_b32 v4, a6
	v_accvgpr_read_b32 v29, a7
	v_mfma_f32_16x16x16_bf16 a[4:7], v[2:3], v[34:35], a[8:11]
	v_accvgpr_read_b32 v0, a0
	v_fma_f32 v22, v6, v36, v0
	v_accvgpr_read_b32 v0, a1
	v_fma_f32 v23, v7, v36, v0
	;; [unrolled: 2-line block ×3, first 2 shown]
	v_accvgpr_read_b32 v25, a3
	v_accvgpr_read_b32 v0, a4
	v_fma_f32 v30, v14, v36, v0
	v_accvgpr_read_b32 v0, a5
	v_fma_f32 v31, v15, v36, v0
	v_accvgpr_read_b32 v0, a6
	v_accvgpr_read_b32 v33, a7
	v_fma_f32 v28, v12, v36, v4
	v_fmac_f32_e32 v29, v13, v36
	v_fmac_f32_e32 v25, v9, v36
	v_fma_f32 v32, v16, v36, v0
	v_fmac_f32_e32 v33, v17, v36
	v_mov_b64_e32 v[2:3], v[18:19]
	v_mov_b64_e32 v[4:5], v[20:21]
	;; [unrolled: 1-line block ×8, first 2 shown]
.LBB442_84:
	s_waitcnt lgkmcnt(0)
	s_add_u32 s0, s30, s28
	s_addc_u32 s1, s31, s29
	v_lshl_add_u64 v[0:1], v[52:53], 2, s[0:1]
	v_mov_b32_e32 v51, 0
	v_lshl_add_u64 v[0:1], v[0:1], 0, v[50:51]
	s_waitcnt vmcnt(3)
	global_store_dwordx4 v[0:1], v[2:5], off
	s_waitcnt vmcnt(3)
	global_store_dwordx4 v[0:1], v[6:9], off offset:256
	v_lshl_add_u64 v[0:1], v[54:55], 2, s[0:1]
	v_lshl_add_u64 v[0:1], v[0:1], 0, v[50:51]
	s_waitcnt vmcnt(3)
	global_store_dwordx4 v[0:1], v[10:13], off
	s_waitcnt vmcnt(3)
	global_store_dwordx4 v[0:1], v[14:17], off offset:256
	s_endpgm
	.section	.rodata,"a",@progbits
	.p2align	6, 0x0
	.amdhsa_kernel _ZN12_GLOBAL__N_139chunk_gated_delta_rule_fwd_h_hip_kernelILi32ELb1ELb1ELb0ELb0ELb1ELb0ELb0ELb0EEEvPK12hip_bfloat16S3_S3_PKfS5_PKvPS1_S8_PvPKiSB_iiiiilll
		.amdhsa_group_segment_fixed_size 49152
		.amdhsa_private_segment_fixed_size 0
		.amdhsa_kernarg_size 136
		.amdhsa_user_sgpr_count 2
		.amdhsa_user_sgpr_dispatch_ptr 0
		.amdhsa_user_sgpr_queue_ptr 0
		.amdhsa_user_sgpr_kernarg_segment_ptr 1
		.amdhsa_user_sgpr_dispatch_id 0
		.amdhsa_user_sgpr_kernarg_preload_length 0
		.amdhsa_user_sgpr_kernarg_preload_offset 0
		.amdhsa_user_sgpr_private_segment_size 0
		.amdhsa_uses_dynamic_stack 0
		.amdhsa_enable_private_segment 0
		.amdhsa_system_sgpr_workgroup_id_x 1
		.amdhsa_system_sgpr_workgroup_id_y 1
		.amdhsa_system_sgpr_workgroup_id_z 0
		.amdhsa_system_sgpr_workgroup_info 0
		.amdhsa_system_vgpr_workitem_id 0
		.amdhsa_next_free_vgpr 152
		.amdhsa_next_free_sgpr 69
		.amdhsa_accum_offset 136
		.amdhsa_reserve_vcc 1
		.amdhsa_float_round_mode_32 0
		.amdhsa_float_round_mode_16_64 0
		.amdhsa_float_denorm_mode_32 3
		.amdhsa_float_denorm_mode_16_64 3
		.amdhsa_dx10_clamp 1
		.amdhsa_ieee_mode 1
		.amdhsa_fp16_overflow 0
		.amdhsa_tg_split 0
		.amdhsa_exception_fp_ieee_invalid_op 0
		.amdhsa_exception_fp_denorm_src 0
		.amdhsa_exception_fp_ieee_div_zero 0
		.amdhsa_exception_fp_ieee_overflow 0
		.amdhsa_exception_fp_ieee_underflow 0
		.amdhsa_exception_fp_ieee_inexact 0
		.amdhsa_exception_int_div_zero 0
	.end_amdhsa_kernel
	.section	.text._ZN12_GLOBAL__N_139chunk_gated_delta_rule_fwd_h_hip_kernelILi32ELb1ELb1ELb0ELb0ELb1ELb0ELb0ELb0EEEvPK12hip_bfloat16S3_S3_PKfS5_PKvPS1_S8_PvPKiSB_iiiiilll,"axG",@progbits,_ZN12_GLOBAL__N_139chunk_gated_delta_rule_fwd_h_hip_kernelILi32ELb1ELb1ELb0ELb0ELb1ELb0ELb0ELb0EEEvPK12hip_bfloat16S3_S3_PKfS5_PKvPS1_S8_PvPKiSB_iiiiilll,comdat
.Lfunc_end442:
	.size	_ZN12_GLOBAL__N_139chunk_gated_delta_rule_fwd_h_hip_kernelILi32ELb1ELb1ELb0ELb0ELb1ELb0ELb0ELb0EEEvPK12hip_bfloat16S3_S3_PKfS5_PKvPS1_S8_PvPKiSB_iiiiilll, .Lfunc_end442-_ZN12_GLOBAL__N_139chunk_gated_delta_rule_fwd_h_hip_kernelILi32ELb1ELb1ELb0ELb0ELb1ELb0ELb0ELb0EEEvPK12hip_bfloat16S3_S3_PKfS5_PKvPS1_S8_PvPKiSB_iiiiilll
                                        ; -- End function
	.section	.AMDGPU.csdata,"",@progbits
; Kernel info:
; codeLenInByte = 9244
; NumSgprs: 75
; NumVgprs: 136
; NumAgprs: 16
; TotalNumVgprs: 152
; ScratchSize: 0
; MemoryBound: 0
; FloatMode: 240
; IeeeMode: 1
; LDSByteSize: 49152 bytes/workgroup (compile time only)
; SGPRBlocks: 9
; VGPRBlocks: 18
; NumSGPRsForWavesPerEU: 75
; NumVGPRsForWavesPerEU: 152
; AccumOffset: 136
; Occupancy: 1
; WaveLimiterHint : 1
; COMPUTE_PGM_RSRC2:SCRATCH_EN: 0
; COMPUTE_PGM_RSRC2:USER_SGPR: 2
; COMPUTE_PGM_RSRC2:TRAP_HANDLER: 0
; COMPUTE_PGM_RSRC2:TGID_X_EN: 1
; COMPUTE_PGM_RSRC2:TGID_Y_EN: 1
; COMPUTE_PGM_RSRC2:TGID_Z_EN: 0
; COMPUTE_PGM_RSRC2:TIDIG_COMP_CNT: 0
; COMPUTE_PGM_RSRC3_GFX90A:ACCUM_OFFSET: 33
; COMPUTE_PGM_RSRC3_GFX90A:TG_SPLIT: 0
	.section	.text._ZN12_GLOBAL__N_139chunk_gated_delta_rule_fwd_h_hip_kernelILi32ELb1ELb0ELb1ELb0ELb1ELb0ELb0ELb0EEEvPK12hip_bfloat16S3_S3_PKfS5_PKvPS1_S8_PvPKiSB_iiiiilll,"axG",@progbits,_ZN12_GLOBAL__N_139chunk_gated_delta_rule_fwd_h_hip_kernelILi32ELb1ELb0ELb1ELb0ELb1ELb0ELb0ELb0EEEvPK12hip_bfloat16S3_S3_PKfS5_PKvPS1_S8_PvPKiSB_iiiiilll,comdat
	.globl	_ZN12_GLOBAL__N_139chunk_gated_delta_rule_fwd_h_hip_kernelILi32ELb1ELb0ELb1ELb0ELb1ELb0ELb0ELb0EEEvPK12hip_bfloat16S3_S3_PKfS5_PKvPS1_S8_PvPKiSB_iiiiilll ; -- Begin function _ZN12_GLOBAL__N_139chunk_gated_delta_rule_fwd_h_hip_kernelILi32ELb1ELb0ELb1ELb0ELb1ELb0ELb0ELb0EEEvPK12hip_bfloat16S3_S3_PKfS5_PKvPS1_S8_PvPKiSB_iiiiilll
	.p2align	8
	.type	_ZN12_GLOBAL__N_139chunk_gated_delta_rule_fwd_h_hip_kernelILi32ELb1ELb0ELb1ELb0ELb1ELb0ELb0ELb0EEEvPK12hip_bfloat16S3_S3_PKfS5_PKvPS1_S8_PvPKiSB_iiiiilll,@function
_ZN12_GLOBAL__N_139chunk_gated_delta_rule_fwd_h_hip_kernelILi32ELb1ELb0ELb1ELb0ELb1ELb0ELb0ELb0EEEvPK12hip_bfloat16S3_S3_PKfS5_PKvPS1_S8_PvPKiSB_iiiiilll: ; @_ZN12_GLOBAL__N_139chunk_gated_delta_rule_fwd_h_hip_kernelILi32ELb1ELb0ELb1ELb0ELb1ELb0ELb0ELb0EEEvPK12hip_bfloat16S3_S3_PKfS5_PKvPS1_S8_PvPKiSB_iiiiilll
; %bb.0:
	s_load_dwordx4 s[12:15], s[0:1], 0x5c
	s_load_dwordx4 s[20:23], s[0:1], 0x70
	s_abs_i32 s6, s3
	s_ashr_i32 s5, s3, 31
	s_load_dwordx4 s[16:19], s[0:1], 0x28
	s_load_dwordx2 s[28:29], s[0:1], 0x38
	s_waitcnt lgkmcnt(0)
	s_abs_i32 s4, s13
	v_cvt_f32_u32_e32 v1, s4
	s_sub_i32 s8, 0, s4
	s_ashr_i32 s7, s13, 31
	s_xor_b32 s5, s5, s7
	v_rcp_iflag_f32_e32 v1, v1
	v_and_b32_e32 v63, 15, v0
	v_lshrrev_b32_e32 v61, 6, v0
	v_bfe_u32 v62, v0, 4, 2
	v_mul_f32_e32 v1, 0x4f7ffffe, v1
	v_cvt_u32_f32_e32 v1, v1
	v_mov_b32_e32 v7, 0
	v_and_b32_e32 v60, 63, v0
	v_lshrrev_b32_e32 v65, 3, v60
	v_readfirstlane_b32 s9, v1
	s_mul_i32 s8, s8, s9
	s_mul_hi_u32 s8, s9, s8
	s_add_i32 s9, s9, s8
	s_mul_hi_u32 s8, s6, s9
	s_mul_i32 s9, s8, s4
	s_sub_i32 s6, s6, s9
	s_add_i32 s10, s8, 1
	s_sub_i32 s9, s6, s4
	s_cmp_ge_u32 s6, s4
	s_cselect_b32 s8, s10, s8
	s_cselect_b32 s6, s9, s6
	s_add_i32 s9, s8, 1
	s_cmp_ge_u32 s6, s4
	s_cselect_b32 s6, s9, s8
	s_xor_b32 s6, s6, s5
	s_add_i32 s8, s12, 63
	s_sub_i32 s50, s6, s5
	s_ashr_i32 s9, s8, 31
	s_mul_i32 s5, s50, s13
	s_sub_i32 s48, s3, s5
	s_lshr_b32 s3, s9, 26
	s_add_i32 s8, s8, s3
	s_abs_i32 s3, s14
	v_cvt_f32_u32_e32 v1, s3
	s_ashr_i32 s49, s12, 31
	s_lshr_b32 s6, s49, 26
	s_add_i32 s6, s12, s6
	v_rcp_iflag_f32_e32 v1, v1
	s_ashr_i32 s53, s14, 31
	s_ashr_i32 s24, s8, 6
	;; [unrolled: 1-line block ×3, first 2 shown]
	v_mul_f32_e32 v1, 0x4f7ffffe, v1
	v_cvt_u32_f32_e32 v1, v1
	s_xor_b32 s6, s7, s53
	s_sub_i32 s7, 0, s3
	s_lshl_b32 s2, s2, 5
	v_readfirstlane_b32 s8, v1
	s_mul_i32 s7, s7, s8
	s_mul_hi_u32 s7, s8, s7
	s_add_i32 s8, s8, s7
	s_mul_hi_u32 s7, s4, s8
	s_mul_i32 s8, s7, s3
	s_sub_i32 s4, s4, s8
	s_add_i32 s8, s7, 1
	s_sub_i32 s9, s4, s3
	s_cmp_ge_u32 s4, s3
	s_cselect_b32 s7, s8, s7
	s_cselect_b32 s4, s9, s4
	s_add_i32 s8, s7, 1
	s_cmp_ge_u32 s4, s3
	s_cselect_b32 s3, s8, s7
	s_xor_b32 s3, s3, s6
	s_sub_i32 s3, s3, s6
	s_abs_i32 s4, s3
	v_cvt_f32_u32_e32 v1, s4
	s_sub_i32 s7, 0, s4
	s_abs_i32 s6, s48
	s_xor_b32 s3, s48, s3
	v_rcp_iflag_f32_e32 v1, v1
	s_ashr_i32 s3, s3, 31
	v_or_b32_e32 v50, s2, v63
	v_lshlrev_b32_e32 v2, 7, v50
	v_mul_f32_e32 v1, 0x4f7ffffe, v1
	v_cvt_u32_f32_e32 v1, v1
	v_ashrrev_i32_e32 v3, 31, v2
	s_mul_i32 s55, s50, s24
	v_lshlrev_b32_e32 v64, 3, v0
	v_readfirstlane_b32 s8, v1
	s_mul_i32 s7, s7, s8
	s_mul_hi_u32 s7, s8, s7
	s_add_i32 s8, s8, s7
	s_mul_hi_u32 s7, s6, s8
	s_mul_i32 s8, s7, s4
	s_sub_i32 s6, s6, s8
	s_add_i32 s8, s7, 1
	s_sub_i32 s9, s6, s4
	s_cmp_ge_u32 s6, s4
	s_cselect_b32 s7, s8, s7
	s_cselect_b32 s6, s9, s6
	s_add_i32 s8, s7, 1
	s_cmp_ge_u32 s6, s4
	s_cselect_b32 s4, s8, s7
	s_xor_b32 s4, s4, s3
	s_sub_i32 s54, s4, s3
	s_ashr_i32 s3, s50, 31
	s_ashr_i32 s52, s48, 31
	s_mul_hi_i32 s4, s50, s13
	s_add_u32 s38, s5, s48
	s_addc_u32 s39, s4, s52
	s_lshl_b64 s[4:5], s[38:39], 16
	s_add_u32 s4, s16, s4
	s_addc_u32 s5, s17, s5
	v_lshlrev_b32_e32 v1, 4, v61
	v_lshl_add_u64 v[4:5], v[2:3], 2, s[4:5]
	v_or_b32_e32 v2, 0x800, v2
	v_lshl_or_b32 v66, v62, 2, v1
	v_ashrrev_i32_e32 v3, 31, v2
	v_lshlrev_b32_e32 v6, 2, v66
	v_lshl_add_u64 v[2:3], v[2:3], 2, s[4:5]
	v_lshl_add_u64 v[4:5], v[4:5], 0, v[6:7]
	;; [unrolled: 1-line block ×3, first 2 shown]
	global_load_dwordx4 v[14:17], v[4:5], off
	global_load_dwordx4 v[10:13], v[4:5], off offset:256
	global_load_dwordx4 v[6:9], v[18:19], off
	s_nop 0
	global_load_dwordx4 v[2:5], v[18:19], off offset:256
	s_load_dwordx8 s[4:11], s[0:1], 0x0
	s_load_dwordx2 s[30:31], s[0:1], 0x80
	v_or_b32_e32 v67, 64, v66
	s_cmp_lt_i32 s12, 64
	s_mul_i32 s56, s39, s12
	s_mul_hi_u32 s57, s38, s12
	s_mul_i32 s16, s38, s12
	s_mul_i32 s33, s50, s21
	s_mul_hi_u32 s44, s50, s20
	s_mul_i32 s45, s3, s20
	s_mul_i32 s34, s50, s20
	;; [unrolled: 1-line block ×3, first 2 shown]
	s_mul_hi_u32 s46, s48, s22
	s_mul_i32 s47, s52, s22
	s_mul_i32 s36, s48, s22
	s_cbranch_scc1 .LBB443_3
; %bb.1:
	s_add_i32 s17, s57, s56
	s_lshl_b64 s[0:1], s[16:17], 8
	v_and_b32_e32 v69, 56, v64
	s_waitcnt lgkmcnt(0)
	s_add_u32 s20, s6, s0
	v_lshl_or_b32 v68, v61, 3, v65
	v_lshlrev_b32_e32 v18, 1, v69
	s_addc_u32 s0, s7, s1
	v_lshl_or_b32 v70, v68, 8, v18
	s_and_b32 s21, s0, 0xffff
	s_mov_b32 s23, 0x20000
	s_movk_i32 s22, 0x4000
	s_movk_i32 s0, 0x80
	v_or_b32_e32 v71, 0x2000, v70
	buffer_load_dwordx4 v[20:23], v70, s[20:23], 0 offen
	buffer_load_dwordx4 v[24:27], v70, s[20:23], s0 offen
	;; [unrolled: 1-line block ×4, first 2 shown]
	v_lshlrev_b32_e32 v19, 3, v68
	v_and_or_b32 v37, v0, 7, v19
	v_and_b32_e32 v19, 0x78, v19
	v_lshlrev_b32_e32 v37, 4, v37
	v_xor_b32_e32 v72, v37, v19
	v_mul_lo_u32 v36, v68, s15
	v_or_b32_e32 v73, 0x1000, v72
	v_xor_b32_e32 v19, 8, v72
	s_cmpk_eq_i32 s15, 0x80
	s_mov_b32 s58, s14
	v_xor_b32_e32 v37, 8, v73
	s_cselect_b64 s[0:1], -1, 0
	s_cmpk_lg_i32 s15, 0x80
	s_waitcnt vmcnt(3)
	ds_write_b64 v72, v[20:21] offset:24576
	ds_write_b64 v19, v[22:23] offset:24576
	s_waitcnt vmcnt(2)
	ds_write_b64 v72, v[24:25] offset:32768
	ds_write_b64 v19, v[26:27] offset:32768
	;; [unrolled: 3-line block ×4, first 2 shown]
	v_lshl_add_u32 v19, v36, 1, v69
	s_cbranch_scc0 .LBB443_29
; %bb.2:
	v_lshlrev_b32_e32 v21, 1, v19
	v_add_lshl_u32 v20, v19, s15, 1
	s_lshl_b32 s22, s15, 7
	v_lshl_or_b32 v18, v68, 9, v18
	s_cbranch_execz .LBB443_30
	s_branch .LBB443_31
.LBB443_3:
	s_waitcnt vmcnt(0)
	v_mov_b32_e32 v19, v5
	v_mov_b32_e32 v18, v9
	v_mov_b32_e32 v9, v13
	v_mov_b32_e32 v20, v17
.LBB443_4:
	s_lshl_b32 s26, s51, 6
	s_sub_i32 s27, s12, s26
	s_cmp_gt_i32 s27, 0
	s_cbranch_scc0 .LBB443_84
; %bb.5:
	s_ashr_i32 s3, s26, 31
	s_cmpk_lg_i32 s15, 0x80
	s_cselect_b64 s[22:23], -1, 0
	s_and_b64 vcc, exec, s[22:23]
	s_cbranch_vccz .LBB443_7
; %bb.6:
	s_mul_i32 s1, s50, s12
	s_mul_hi_i32 s0, s50, s12
	s_add_u32 s1, s1, s26
	s_addc_u32 s0, s0, s3
	s_mul_i32 s17, s1, s53
	s_mul_hi_u32 s20, s1, s14
	s_add_i32 s17, s20, s17
	s_mul_i32 s0, s0, s14
	s_add_i32 s17, s17, s0
	s_mul_i32 s1, s1, s14
	s_ashr_i32 s0, s54, 31
	s_add_u32 s24, s1, s54
	s_addc_u32 s25, s17, s0
	s_cbranch_execz .LBB443_8
	s_branch .LBB443_9
.LBB443_7:
                                        ; implicit-def: $sgpr24_sgpr25
.LBB443_8:
	s_mul_hi_i32 s0, s50, s14
	s_mul_i32 s50, s50, s14
	s_ashr_i32 s1, s54, 31
	s_add_u32 s14, s50, s54
	s_addc_u32 s0, s0, s1
	s_mul_i32 s1, s14, s49
	s_mul_hi_u32 s17, s14, s12
	s_add_i32 s1, s17, s1
	s_mul_i32 s0, s0, s12
	s_add_i32 s1, s1, s0
	s_mul_i32 s14, s14, s12
	s_add_u32 s24, s14, s26
	s_addc_u32 s25, s1, s3
.LBB443_9:
	s_mul_i32 s0, s38, s49
	s_add_i32 s0, s57, s0
	s_add_i32 s14, s55, s51
	;; [unrolled: 1-line block ×3, first 2 shown]
	s_add_u32 s0, s16, s26
	s_addc_u32 s1, s1, s3
	v_lshlrev_b32_e32 v21, 5, v66
	v_lshlrev_b32_e32 v22, 2, v63
	s_mov_b32 s3, 0x7060302
	v_xor_b32_e32 v5, v66, v22
	v_xor_b32_e32 v23, v67, v22
	v_perm_b32 v13, v9, v12, s3
	v_or_b32_e32 v9, v21, v22
	s_lshl_b64 s[20:21], s[0:1], 8
	v_perm_b32 v17, v20, v16, s3
	v_perm_b32 v16, v15, v14, s3
	;; [unrolled: 1-line block ×3, first 2 shown]
	v_lshlrev_b32_e32 v9, 1, v9
	v_lshlrev_b32_e32 v10, 1, v5
	;; [unrolled: 1-line block ×4, first 2 shown]
	s_waitcnt lgkmcnt(0)
	s_add_u32 s0, s6, s20
	ds_write2st64_b64 v9, v[16:17], v[12:13] offset0:80 offset1:88
	v_or_b32_e32 v9, v10, v5
	v_or_b32_e32 v5, v11, v5
	s_addc_u32 s1, s7, s21
	ds_write_b64 v9, v[16:17]
	ds_write_b64 v5, v[12:13]
	v_perm_b32 v9, v18, v8, s3
	v_perm_b32 v8, v7, v6, s3
	;; [unrolled: 1-line block ×4, first 2 shown]
	s_mul_hi_i32 s3, s14, s13
	s_mul_i32 s14, s14, s13
	s_add_u32 s6, s14, s48
	v_or_b32_e32 v2, 16, v63
	s_addc_u32 s7, s3, s52
	v_lshlrev_b32_e32 v19, 2, v2
	s_ashr_i32 s3, s2, 31
	s_lshl_b64 s[6:7], s[6:7], 15
	v_or_b32_e32 v3, v21, v19
	s_add_u32 s6, s18, s6
	v_lshlrev_b32_e32 v3, 1, v3
	v_lshlrev_b32_e32 v2, 8, v2
	s_addc_u32 s7, s19, s7
	s_lshl_b64 s[2:3], s[2:3], 8
	ds_write2st64_b64 v3, v[8:9], v[4:5] offset0:80 offset1:88
	v_or_b32_e32 v3, v10, v2
	v_or_b32_e32 v2, v11, v2
	s_add_u32 s2, s6, s2
	ds_write_b64 v3, v[8:9]
	ds_write_b64 v2, v[4:5]
	v_lshrrev_b32_e32 v2, 4, v0
	s_addc_u32 s3, s7, s3
	v_lshlrev_b32_e32 v3, 1, v63
	v_lshlrev_b32_e32 v10, 4, v63
	v_mov_b32_e32 v11, 0
	v_or_b32_e32 v4, 1, v3
	v_xor_b32_e32 v3, v2, v3
	v_lshl_add_u64 v[12:13], s[2:3], 0, v[10:11]
	v_lshlrev_b32_e32 v10, 8, v2
	v_xor_b32_e32 v6, v4, v2
	v_lshl_or_b32 v2, v3, 3, v10
	s_waitcnt lgkmcnt(0)
	s_barrier
	ds_read2st64_b64 v[2:5], v2 offset1:8
	v_lshl_or_b32 v6, v6, 3, v10
	ds_read2st64_b64 v[6:9], v6 offset1:8
	v_lshl_add_u64 v[14:15], v[12:13], 0, v[10:11]
	s_movk_i32 s2, 0x1000
	s_waitcnt lgkmcnt(1)
	v_mov_b32_e32 v10, v2
	v_add_co_u32_e32 v2, vcc, s2, v14
	s_cmp_lg_u32 s27, 64
	v_mov_b32_e32 v11, v3
	v_addc_co_u32_e32 v3, vcc, 0, v15, vcc
	s_cselect_b64 s[6:7], -1, 0
	v_lshl_or_b32 v23, v61, 3, v65
	s_waitcnt lgkmcnt(0)
	v_mov_b32_e32 v12, v6
	v_mov_b32_e32 v13, v7
	;; [unrolled: 1-line block ×4, first 2 shown]
	s_mov_b32 s16, 0
	v_or_b32_e32 v20, 32, v23
	v_and_b32_e32 v18, 56, v64
	s_and_b64 vcc, exec, s[6:7]
	global_store_dwordx4 v[14:15], v[10:13], off
	global_store_dwordx4 v[2:3], v[6:9], off
	s_cbranch_vccz .LBB443_15
; %bb.10:
	s_mov_b32 s17, s16
	s_mov_b32 s18, s16
	;; [unrolled: 1-line block ×3, first 2 shown]
	v_mov_b64_e32 v[6:7], s[16:17]
	v_mov_b64_e32 v[8:9], s[18:19]
	;; [unrolled: 1-line block ×3, first 2 shown]
	v_cmp_gt_i32_e32 vcc, s27, v23
	v_mov_b64_e32 v[4:5], v[8:9]
	s_and_saveexec_b64 s[2:3], vcc
	s_cbranch_execz .LBB443_12
; %bb.11:
	v_lshlrev_b32_e32 v2, 8, v23
	v_mov_b32_e32 v3, 0
	v_lshl_add_u64 v[4:5], s[0:1], 0, v[2:3]
	v_lshlrev_b32_e32 v2, 1, v18
	v_lshl_add_u64 v[10:11], v[4:5], 0, v[2:3]
	global_load_dwordx4 v[6:9], v[10:11], off
	global_load_dwordx4 v[2:5], v[10:11], off offset:128
.LBB443_12:
	s_or_b64 exec, exec, s[2:3]
	s_mov_b32 s17, s16
	s_mov_b32 s18, s16
	;; [unrolled: 1-line block ×3, first 2 shown]
	v_mov_b64_e32 v[14:15], s[16:17]
	v_mov_b64_e32 v[16:17], s[18:19]
	;; [unrolled: 1-line block ×3, first 2 shown]
	v_cmp_gt_i32_e32 vcc, s27, v20
	v_lshlrev_b32_e32 v21, 7, v20
	v_mov_b64_e32 v[12:13], v[16:17]
	s_and_saveexec_b64 s[2:3], vcc
	s_cbranch_execz .LBB443_14
; %bb.13:
	v_lshlrev_b32_e32 v10, 1, v21
	v_mov_b32_e32 v11, 0
	v_lshl_add_u64 v[12:13], s[0:1], 0, v[10:11]
	v_lshlrev_b32_e32 v10, 1, v18
	v_lshl_add_u64 v[24:25], v[12:13], 0, v[10:11]
	global_load_dwordx4 v[14:17], v[24:25], off
	global_load_dwordx4 v[10:13], v[24:25], off offset:128
.LBB443_14:
	s_or_b64 exec, exec, s[2:3]
	v_lshrrev_b32_e32 v24, 3, v18
	v_lshlrev_b32_e32 v25, 3, v23
	v_or_b32_e32 v24, v25, v24
	v_lshlrev_b32_e32 v24, 4, v24
	v_and_b32_e32 v25, 0x78, v25
	v_xor_b32_e32 v24, v24, v25
	s_branch .LBB443_17
.LBB443_15:
                                        ; implicit-def: $vgpr24
                                        ; implicit-def: $vgpr21
                                        ; implicit-def: $vgpr6_vgpr7_vgpr8_vgpr9
                                        ; implicit-def: $vgpr2_vgpr3_vgpr4_vgpr5
                                        ; implicit-def: $vgpr14_vgpr15_vgpr16_vgpr17
                                        ; implicit-def: $vgpr10_vgpr11_vgpr12_vgpr13
	s_cbranch_execz .LBB443_17
; %bb.16:
	s_waitcnt vmcnt(0)
	v_lshlrev_b32_e32 v2, 1, v18
	v_lshl_or_b32 v21, v23, 8, v2
	s_and_b32 s1, s1, 0xffff
	s_mov_b32 s3, 0x20000
	s_movk_i32 s2, 0x4000
	v_lshl_or_b32 v24, v20, 8, v2
	s_movk_i32 s13, 0x80
	buffer_load_dwordx4 v[6:9], v21, s[0:3], 0 offen
	buffer_load_dwordx4 v[2:5], v21, s[0:3], s13 offen
	;; [unrolled: 1-line block ×4, first 2 shown]
	v_lshrrev_b32_e32 v21, 3, v18
	v_lshlrev_b32_e32 v24, 3, v23
	v_or_b32_e32 v21, v24, v21
	v_lshlrev_b32_e32 v21, 4, v21
	v_and_b32_e32 v24, 0x78, v24
	v_xor_b32_e32 v24, v21, v24
	v_lshlrev_b32_e32 v21, 7, v20
.LBB443_17:
	s_lshl_b64 s[0:1], s[24:25], 8
	s_add_u32 s4, s4, s0
	s_movk_i32 s0, 0x1000
	v_and_or_b32 v20, v21, s0, v24
	s_waitcnt vmcnt(1)
	ds_write_b64 v24, v[6:7] offset:24576
	v_xor_b32_e32 v6, 8, v24
	ds_write_b64 v6, v[8:9] offset:24576
	s_waitcnt vmcnt(0)
	ds_write_b64 v24, v[2:3] offset:32768
	ds_write_b64 v6, v[4:5] offset:32768
	;; [unrolled: 1-line block ×3, first 2 shown]
	v_xor_b32_e32 v2, 8, v20
	ds_write_b64 v2, v[16:17] offset:24576
	ds_write_b64 v20, v[10:11] offset:32768
	;; [unrolled: 1-line block ×3, first 2 shown]
	v_or_b32_e32 v2, v1, v63
	v_lshlrev_b32_e32 v3, 11, v61
	v_lshlrev_b32_e32 v2, 3, v2
	v_and_b32_e32 v6, 0x1000, v3
	v_lshrrev_b32_e32 v3, 5, v60
	s_movk_i32 s3, 0xf8
	v_and_or_b32 v3, v2, s3, v3
	v_lshlrev_b32_e32 v7, 4, v3
	v_and_b32_e32 v8, 0x78, v2
	v_or_b32_e32 v10, 32, v7
	v_lshrrev_b32_e32 v3, 1, v60
	v_xor_b32_e32 v10, v10, v8
	v_xor_b32_e32 v2, v7, v8
	v_and_b32_e32 v9, 8, v3
	v_or_b32_e32 v10, v10, v6
	v_or_b32_e32 v2, v2, v6
	v_xor_b32_e32 v26, v10, v9
	v_or_b32_e32 v10, 64, v7
	v_xor_b32_e32 v25, v2, v9
	v_xor_b32_e32 v10, v10, v8
	s_waitcnt lgkmcnt(0)
	s_barrier
	v_or_b32_e32 v12, v10, v6
	ds_read_b64 v[10:11], v25 offset:24576
	v_lshl_or_b32 v20, v62, 7, v22
	v_lshlrev_b32_e32 v24, 1, v20
	v_add_u32_e32 v2, 0xa000, v24
	ds_read2_b64 v[2:5], v2 offset1:16
	v_or_b32_e32 v7, 0x60, v7
	v_xor_b32_e32 v7, v7, v8
	s_waitcnt lgkmcnt(0)
	v_mfma_f32_16x16x16_bf16 a[0:3], v[10:11], v[2:3], 0
	v_or_b32_e32 v2, 64, v20
	v_or_b32_e32 v6, v7, v6
	v_lshlrev_b32_e32 v29, 1, v2
	v_xor_b32_e32 v27, v12, v9
	v_xor_b32_e32 v28, v6, v9
	ds_read_b64 v[12:13], v26 offset:24576
	ds_read_b64 v[14:15], v27 offset:24576
	;; [unrolled: 1-line block ×3, first 2 shown]
	v_mfma_f32_16x16x16_bf16 a[4:7], v[10:11], v[4:5], 0
	ds_read2st64_b64 v[2:5], v29 offset0:82 offset1:84
	ds_read2st64_b64 v[6:9], v24 offset0:82 offset1:84
	s_addc_u32 s5, s5, s1
	s_add_i32 s1, s44, s33
	s_add_i32 s0, s12, -1
	s_add_i32 s35, s1, s45
	s_add_i32 s1, s46, s39
	;; [unrolled: 1-line block ×3, first 2 shown]
	s_ashr_i32 s1, s0, 31
	s_mul_i32 s2, s0, s31
	s_mul_hi_u32 s3, s0, s30
	s_add_i32 s2, s3, s2
	s_mul_i32 s1, s1, s30
	s_waitcnt lgkmcnt(1)
	v_mfma_f32_16x16x16_bf16 a[4:7], v[12:13], v[2:3], a[4:7]
	s_add_i32 s1, s2, s1
	s_lshl_b64 s[2:3], s[34:35], 2
	s_add_u32 s10, s10, s2
	s_waitcnt lgkmcnt(0)
	v_mfma_f32_16x16x16_bf16 a[0:3], v[12:13], v[6:7], a[0:3]
	s_addc_u32 s11, s11, s3
	s_lshl_b64 s[2:3], s[36:37], 2
	s_mul_i32 s0, s0, s30
	s_add_u32 s10, s10, s2
	ds_read_b64 v[2:3], v24 offset:44032
	v_mfma_f32_16x16x16_bf16 a[4:7], v[14:15], v[4:5], a[4:7]
	ds_read_b64 v[4:5], v29 offset:44032
	s_addc_u32 s11, s11, s3
	s_lshl_b64 s[0:1], s[0:1], 2
	v_mfma_f32_16x16x16_bf16 a[0:3], v[14:15], v[8:9], a[0:3]
	s_add_u32 s0, s10, s0
	s_addc_u32 s1, s11, s1
	s_load_dword s12, s[0:1], 0x0
	s_waitcnt lgkmcnt(0)
	v_mfma_f32_16x16x16_bf16 a[0:3], v[16:17], v[2:3], a[0:3]
	s_and_b64 vcc, exec, s[22:23]
	v_mfma_f32_16x16x16_bf16 a[4:7], v[16:17], v[4:5], a[4:7]
	s_cbranch_vccz .LBB443_28
; %bb.18:
	v_lshlrev_b32_e32 v20, 1, v23
	s_and_b64 vcc, exec, s[6:7]
	s_cbranch_vccz .LBB443_44
; %bb.19:
	v_cmp_gt_i32_e32 vcc, s27, v20
	v_mov_b32_e32 v6, 0
	v_mov_b32_e32 v2, 0
	;; [unrolled: 1-line block ×5, first 2 shown]
	s_and_saveexec_b64 s[0:1], vcc
	s_cbranch_execz .LBB443_21
; %bb.20:
	v_mad_i64_i32 v[2:3], s[2:3], s15, v20, 0
	v_lshl_add_u64 v[2:3], v[2:3], 1, s[4:5]
	v_lshlrev_b32_e32 v4, 1, v18
	v_mov_b32_e32 v5, 0
	v_lshl_add_u64 v[2:3], v[2:3], 0, v[4:5]
	global_load_dwordx4 v[2:5], v[2:3], off
.LBB443_21:
	s_or_b64 exec, exec, s[0:1]
	v_or_b32_e32 v21, 1, v20
	v_cmp_gt_i32_e64 s[0:1], s27, v21
	v_mov_b32_e32 v7, 0
	v_mov_b32_e32 v8, 0
	;; [unrolled: 1-line block ×3, first 2 shown]
	s_and_saveexec_b64 s[2:3], s[0:1]
	s_cbranch_execz .LBB443_23
; %bb.22:
	v_mad_i64_i32 v[6:7], s[16:17], s15, v21, 0
	v_lshl_add_u64 v[6:7], v[6:7], 1, s[4:5]
	v_lshlrev_b32_e32 v8, 1, v18
	v_mov_b32_e32 v9, 0
	v_lshl_add_u64 v[6:7], v[6:7], 0, v[8:9]
	global_load_dwordx4 v[6:9], v[6:7], off
.LBB443_23:
	s_or_b64 exec, exec, s[2:3]
	v_mov_b32_e32 v17, 0
	v_mov_b32_e32 v10, 0
	;; [unrolled: 1-line block ×5, first 2 shown]
	s_and_saveexec_b64 s[2:3], vcc
	s_cbranch_execz .LBB443_25
; %bb.24:
	v_mad_i64_i32 v[10:11], s[16:17], s15, v20, 0
	v_lshl_add_u64 v[10:11], v[10:11], 1, s[4:5]
	v_lshlrev_b32_e32 v12, 1, v18
	v_mov_b32_e32 v13, 0
	v_lshl_add_u64 v[10:11], v[10:11], 0, v[12:13]
	global_load_dwordx4 v[10:13], v[10:11], off offset:128
.LBB443_25:
	s_or_b64 exec, exec, s[2:3]
	v_mov_b32_e32 v16, 0
	v_mov_b32_e32 v15, 0
	;; [unrolled: 1-line block ×3, first 2 shown]
	s_and_saveexec_b64 s[2:3], s[0:1]
	s_cbranch_execz .LBB443_27
; %bb.26:
	v_mad_i64_i32 v[14:15], s[0:1], s15, v21, 0
	v_lshl_add_u64 v[14:15], v[14:15], 1, s[4:5]
	v_lshlrev_b32_e32 v16, 1, v18
	v_mov_b32_e32 v17, 0
	v_lshl_add_u64 v[14:15], v[14:15], 0, v[16:17]
	global_load_dwordx4 v[14:17], v[14:15], off offset:128
.LBB443_27:
	s_or_b64 exec, exec, s[2:3]
	s_branch .LBB443_46
.LBB443_28:
                                        ; implicit-def: $vgpr5
                                        ; implicit-def: $vgpr9
                                        ; implicit-def: $vgpr13
                                        ; implicit-def: $vgpr17
	v_lshrrev_b32_e32 v30, 2, v60
	s_branch .LBB443_47
.LBB443_29:
                                        ; implicit-def: $vgpr20
                                        ; implicit-def: $vgpr21
                                        ; implicit-def: $sgpr22
	v_lshl_or_b32 v18, v68, 9, v18
.LBB443_30:
	v_or_b32_e32 v20, 0x100, v18
	s_movk_i32 s22, 0x4000
	v_mov_b32_e32 v21, v18
.LBB443_31:
	s_mul_hi_u32 s20, s14, s12
	s_mul_i32 s21, s53, s12
	s_add_i32 s20, s20, s21
	s_mul_i32 s21, s14, s12
	s_mul_i32 s23, s21, s3
	s_mul_hi_u32 s24, s21, s50
	s_add_i32 s23, s24, s23
	s_mul_i32 s20, s20, s50
	s_add_i32 s23, s23, s20
	s_mul_i32 s21, s21, s50
	s_ashr_i32 s59, s54, 31
	s_add_u32 s20, s21, s54
	s_addc_u32 s21, s23, s59
	s_lshl_b64 s[20:21], s[20:21], 8
	s_add_u32 s20, s4, s20
	s_addc_u32 s21, s5, s21
	s_and_b32 s21, s21, 0xffff
	s_mov_b32 s23, 0x20000
	s_movk_i32 s60, 0x80
	buffer_load_dwordx4 v[22:25], v21, s[20:23], 0 offen
	buffer_load_dwordx4 v[26:29], v21, s[20:23], s60 offen
	buffer_load_dwordx4 v[30:33], v20, s[20:23], 0 offen
	buffer_load_dwordx4 v[34:37], v20, s[20:23], s60 offen
	v_and_b32_e32 v20, 6, v0
	v_lshlrev_b32_e32 v39, 6, v66
	v_or_b32_e32 v41, 16, v63
	v_xor_b32_e32 v42, v68, v20
	v_and_b32_e32 v21, 1, v0
	v_lshl_or_b32 v45, v63, 3, v39
	v_lshl_or_b32 v39, v41, 3, v39
	v_lshlrev_b32_e32 v42, 2, v42
	s_mul_i32 s3, s3, s12
	s_mul_hi_u32 s20, s50, s12
	v_lshlrev_b32_e32 v38, 2, v63
	v_or_b32_e32 v76, 0xa000, v39
	v_or_b32_e32 v77, 0xb000, v39
	v_xor_b32_e32 v39, 0x440, v42
	v_cmp_eq_u32_e32 vcc, 0, v21
	v_xor_b32_e32 v43, v66, v38
	v_xor_b32_e32 v44, v67, v38
	v_cndmask_b32_e32 v21, v39, v42, vcc
	s_add_i32 s65, s20, s3
	s_add_i32 s3, s44, s33
	s_mov_b32 s62, 0x1000504
	v_lshlrev_b32_e32 v40, 8, v63
	v_lshlrev_b32_e32 v43, 1, v43
	;; [unrolled: 1-line block ×3, first 2 shown]
	v_lshl_or_b32 v20, v20, 10, v21
	s_add_i32 s35, s3, s45
	s_add_i32 s3, s46, s39
	s_mov_b32 s63, 0x3020706
	v_or_b32_e32 v74, 0xa000, v45
	v_or_b32_e32 v75, 0xb000, v45
	;; [unrolled: 1-line block ×4, first 2 shown]
	v_xor_b32_e32 v21, 8, v20
	v_xor_b32_e32 v40, 24, v20
	;; [unrolled: 1-line block ×4, first 2 shown]
	s_add_i32 s37, s3, s47
	s_lshl_b64 s[20:21], s[34:35], 2
	v_xor_b32_e32 v39, 16, v20
	v_xor_b32_e32 v42, 32, v20
	;; [unrolled: 1-line block ×3, first 2 shown]
	v_add_u32_e32 v21, 0x80, v21
	v_add_u32_e32 v40, 0x80, v40
	;; [unrolled: 1-line block ×4, first 2 shown]
	s_add_u32 s3, s10, s20
	s_addc_u32 s22, s11, s21
	s_lshl_b64 s[20:21], s[36:37], 2
	s_add_u32 s40, s3, s20
	s_movk_i32 s3, 0xf8
	s_addc_u32 s41, s22, s21
	s_lshl_b32 s26, s15, 7
	s_movk_i32 s24, 0x100
	v_mov_b32_e32 v53, 0
	v_lshlrev_b32_e32 v52, 4, v63
	v_cmp_gt_u32_e32 vcc, s24, v0
	v_ashrrev_i32_e32 v51, 31, v50
	s_mov_b32 s61, 0
	s_mul_i32 s64, s50, s12
	s_movk_i32 s35, 0x1000
	s_movk_i32 s22, 0x4000
	s_mov_b32 s66, 0
	s_waitcnt vmcnt(1)
	v_perm_b32 v48, v22, v30, s62
	s_waitcnt vmcnt(0)
	v_perm_b32 v49, v26, v34, s62
	v_perm_b32 v22, v22, v30, s63
	;; [unrolled: 1-line block ×15, first 2 shown]
	ds_write2st64_b32 v20, v48, v49 offset0:32 offset1:64
	ds_write2st64_b32 v21, v22, v26 offset0:32 offset1:64
	;; [unrolled: 1-line block ×8, first 2 shown]
	v_lshlrev_b32_e32 v20, 8, v41
	v_or_b32_e32 v80, v20, v43
	v_or_b32_e32 v81, v20, v44
	;; [unrolled: 1-line block ×3, first 2 shown]
	v_lshlrev_b32_e32 v20, 3, v20
	v_lshrrev_b32_e32 v23, 5, v60
	v_and_or_b32 v23, v20, s3, v23
	v_lshlrev_b32_e32 v23, 4, v23
	v_lshlrev_b32_e32 v21, 11, v61
	v_and_b32_e32 v20, 0x78, v20
	v_or_b32_e32 v28, 32, v23
	v_and_b32_e32 v22, 0x1000, v21
	v_lshrrev_b32_e32 v25, 1, v0
	v_xor_b32_e32 v28, v28, v20
	v_and_b32_e32 v26, 8, v25
	v_or_b32_e32 v28, v28, v22
	v_xor_b32_e32 v24, v23, v20
	v_xor_b32_e32 v84, v28, v26
	v_or_b32_e32 v28, 64, v23
	v_or_b32_e32 v23, 0x60, v23
	s_ashr_i32 s3, s2, 31
	v_xor_b32_e32 v28, v28, v20
	v_xor_b32_e32 v20, v23, v20
	s_lshl_b64 s[20:21], s[2:3], 8
	v_or_b32_e32 v24, v24, v22
	v_or_b32_e32 v28, v28, v22
	;; [unrolled: 1-line block ×3, first 2 shown]
	s_add_u32 s20, s18, s20
	v_lshlrev_b32_e32 v22, 1, v63
	v_xor_b32_e32 v86, v28, v26
	v_lshrrev_b32_e32 v28, 4, v0
	s_addc_u32 s21, s19, s21
	v_or_b32_e32 v23, 1, v22
	v_mov_b32_e32 v32, 0x4000
	v_mov_b32_e32 v33, 0x2000
	v_xor_b32_e32 v29, v28, v22
	v_xor_b32_e32 v30, v23, v28
	v_lshl_add_u64 v[22:23], s[20:21], 0, v[52:53]
	v_lshlrev_b32_e32 v52, 8, v28
	v_cndmask_b32_e32 v32, v32, v33, vcc
	v_lshlrev_b32_e32 v33, 3, v61
	v_and_b32_e32 v25, 24, v25
	v_lshl_or_b32 v90, v29, 3, v52
	v_and_b32_e32 v29, 8, v0
	v_xor_b32_e32 v34, v33, v25
	v_or_b32_e32 v35, 0x440, v34
	v_cmp_eq_u32_e32 vcc, 0, v29
	v_and_b32_e32 v28, 7, v0
	v_xor_b32_e32 v82, v24, v26
	v_cndmask_b32_e32 v29, v35, v34, vcc
	v_lshlrev_b32_e32 v24, 7, v62
	v_lshl_or_b32 v91, v30, 3, v52
	v_lshlrev_b32_e32 v30, 3, v28
	v_lshlrev_b32_e32 v28, 7, v28
	;; [unrolled: 1-line block ×3, first 2 shown]
	v_or_b32_e32 v29, v29, v21
	v_or_b32_e32 v27, v24, v38
	v_xad_u32 v92, v29, v30, v28
	v_and_or_b32 v24, v31, 60, v24
	v_mov_b32_e32 v29, 0xb000
	v_lshl_or_b32 v93, v24, 1, v29
	v_or_b32_e32 v24, 32, v25
	v_xor_b32_e32 v24, v33, v24
	v_or_b32_e32 v29, 0x440, v24
	v_cndmask_b32_e32 v24, v29, v24, vcc
	v_or_b32_e32 v24, v24, v21
	v_xad_u32 v94, v24, v30, v28
	v_or_b32_e32 v24, 64, v25
	v_xor_b32_e32 v24, v33, v24
	v_xor_b32_e32 v29, 0x440, v24
	v_cndmask_b32_e32 v24, v29, v24, vcc
	v_or_b32_e32 v24, v24, v21
	v_xad_u32 v95, v24, v30, v28
	v_or_b32_e32 v24, 0x60, v25
	v_xor_b32_e32 v24, v33, v24
	v_xor_b32_e32 v25, 0x440, v24
	v_lshlrev_b32_e32 v27, 1, v27
	v_cndmask_b32_e32 v24, v25, v24, vcc
	v_or_b32_e32 v83, 0xa000, v27
	v_or_b32_e32 v85, 0xa080, v27
	v_xor_b32_e32 v87, v20, v26
	v_or_b32_e32 v88, 0xb000, v27
	v_or_b32_e32 v89, 0xb080, v27
	v_lshlrev_b32_e32 v26, 1, v19
	v_add_lshl_u32 v19, v19, s15, 1
	v_or_b32_e32 v27, 0x100, v18
	v_or_b32_e32 v21, v24, v21
	v_lshlrev_b32_e32 v20, 7, v66
	v_xad_u32 v96, v21, v30, v28
	v_cndmask_b32_e64 v97, v26, v18, s[0:1]
	v_cndmask_b32_e64 v98, v19, v27, s[0:1]
	v_lshlrev_b64 v[18:19], 1, v[50:51]
	v_lshl_add_u64 v[54:55], s[8:9], 0, v[18:19]
	v_lshl_add_u64 v[56:57], s[28:29], 0, v[18:19]
	;; [unrolled: 1-line block ×3, first 2 shown]
	s_mov_b32 s3, 0x7060302
	v_lshlrev_b32_e32 v52, 1, v20
	v_add_u32_e32 v51, v32, v92
	v_add_u32_e32 v99, v32, v94
	;; [unrolled: 1-line block ×4, first 2 shown]
	s_waitcnt lgkmcnt(0)
	s_barrier
.LBB443_32:                             ; =>This Inner Loop Header: Depth=1
	s_add_i32 s37, s66, 1
	s_cmp_lt_i32 s37, s51
	s_mov_b64 s[24:25], 0
	s_cselect_b64 s[42:43], -1, 0
	s_cmp_ge_i32 s37, s51
	s_mov_b64 s[20:21], 0
	s_cbranch_scc1 .LBB443_34
; %bb.33:                               ;   in Loop: Header=BB443_32 Depth=1
	s_add_i32 s0, s61, 64
	s_add_u32 s0, s16, s0
	s_addc_u32 s1, s17, 0
	s_lshl_b64 s[0:1], s[0:1], 8
	s_add_u32 s20, s6, s0
	s_addc_u32 s21, s7, s1
.LBB443_34:                             ;   in Loop: Header=BB443_32 Depth=1
	v_cndmask_b32_e64 v18, 0, 1, s[42:43]
	v_cmp_ne_u32_e64 s[0:1], 1, v18
	s_andn2_b64 vcc, exec, s[42:43]
	s_cbranch_vccnz .LBB443_36
; %bb.35:                               ;   in Loop: Header=BB443_32 Depth=1
	s_add_i32 s24, s61, 64
	s_add_u32 s24, s64, s24
	s_addc_u32 s25, s65, 0
	s_mul_i32 s27, s24, s53
	s_mul_hi_u32 s42, s24, s58
	s_add_i32 s27, s42, s27
	s_mul_i32 s25, s25, s58
	s_add_i32 s27, s27, s25
	s_mul_i32 s24, s24, s58
	s_add_u32 s24, s24, s54
	s_addc_u32 s25, s27, s59
	s_lshl_b64 s[24:25], s[24:25], 8
	s_add_u32 s24, s4, s24
	s_addc_u32 s25, s5, s25
.LBB443_36:                             ;   in Loop: Header=BB443_32 Depth=1
	v_perm_b32 v19, v17, v16, s3
	v_perm_b32 v18, v15, v14, s3
	;; [unrolled: 1-line block ×4, first 2 shown]
	ds_write_b64 v74, v[18:19]
	ds_write_b64 v75, v[20:21]
	;; [unrolled: 1-line block ×4, first 2 shown]
	v_perm_b32 v19, v9, v8, s3
	v_perm_b32 v18, v7, v6, s3
	;; [unrolled: 1-line block ×4, first 2 shown]
	ds_write_b64 v76, v[18:19]
	ds_write_b64 v77, v[20:21]
	;; [unrolled: 1-line block ×4, first 2 shown]
	s_waitcnt lgkmcnt(0)
	s_barrier
	ds_read_b64 v[22:23], v82 offset:24576
	ds_read2_b64 v[18:21], v83 offset1:16
	ds_read_b64 v[26:27], v85 offset:3072
	ds_read_b64 v[28:29], v83 offset:3072
	;; [unrolled: 1-line block ×3, first 2 shown]
	s_waitcnt lgkmcnt(3)
	v_mfma_f32_16x16x16_bf16 a[0:3], v[22:23], v[18:19], 0
	s_add_i32 s27, s61, 63
	s_mul_i32 s42, s27, s31
	s_mul_hi_u32 s43, s27, s30
	v_mfma_f32_16x16x16_bf16 a[4:7], v[22:23], v[20:21], 0
	ds_read2st64_b64 v[18:21], v83 offset0:2 offset1:4
	ds_read2st64_b64 v[22:25], v85 offset0:2 offset1:4
	s_add_i32 s43, s43, s42
	s_waitcnt lgkmcnt(1)
	v_mfma_f32_16x16x16_bf16 a[0:3], v[30:31], v[18:19], a[0:3]
	s_mul_i32 s42, s27, s30
	s_lshl_b64 s[42:43], s[42:43], 2
	s_add_u32 s42, s40, s42
	s_waitcnt lgkmcnt(0)
	v_mfma_f32_16x16x16_bf16 a[4:7], v[30:31], v[22:23], a[4:7]
	ds_read_b64 v[18:19], v86 offset:24576
	ds_read_b64 v[22:23], v87 offset:24576
	s_addc_u32 s43, s41, s43
	s_and_b64 vcc, exec, s[0:1]
	s_waitcnt lgkmcnt(1)
	v_mfma_f32_16x16x16_bf16 a[0:3], v[18:19], v[20:21], a[0:3]
	v_mov_b32_e32 v104, 0
	v_mov_b32_e32 v103, 0
	;; [unrolled: 1-line block ×3, first 2 shown]
	v_mfma_f32_16x16x16_bf16 a[8:11], v[18:19], v[24:25], a[4:7]
	v_mov_b32_e32 v18, 0
	v_mov_b32_e32 v19, 0
	;; [unrolled: 1-line block ×3, first 2 shown]
	s_waitcnt lgkmcnt(0)
	v_mfma_f32_16x16x16_bf16 a[4:7], v[22:23], v[28:29], a[0:3]
	v_mov_b32_e32 v21, 0
	v_mov_b32_e32 v24, 0
	;; [unrolled: 1-line block ×3, first 2 shown]
	v_mfma_f32_16x16x16_bf16 a[0:3], v[22:23], v[26:27], a[8:11]
	v_mov_b32_e32 v22, 0
	v_mov_b32_e32 v23, 0
	;; [unrolled: 1-line block ×10, first 2 shown]
	s_cbranch_vccnz .LBB443_38
; %bb.37:                               ;   in Loop: Header=BB443_32 Depth=1
	s_and_b32 s21, s21, 0xffff
	buffer_load_dwordx4 v[30:33], v70, s[20:23], 0 offen
	buffer_load_dwordx4 v[26:29], v70, s[20:23], s60 offen
	;; [unrolled: 1-line block ×4, first 2 shown]
	v_mov_b32_e32 v103, v72
	v_mov_b32_e32 v102, v73
.LBB443_38:                             ;   in Loop: Header=BB443_32 Depth=1
	s_waitcnt vmcnt(3)
	ds_read_b64 v[42:43], v82 offset:32768
	s_waitcnt vmcnt(2)
	ds_read2_b64 v[34:37], v88 offset1:16
	ds_read_b64 v[44:45], v84 offset:32768
	ds_read_b64 v[46:47], v86 offset:32768
	;; [unrolled: 1-line block ×3, first 2 shown]
	ds_read2st64_b64 v[38:41], v88 offset0:2 offset1:4
	v_add_u32_e32 v105, s61, v66
	s_waitcnt lgkmcnt(4)
	v_mfma_f32_16x16x16_bf16 a[4:7], v[42:43], v[34:35], a[4:7]
	v_ashrrev_i32_e32 v34, 31, v105
	v_mfma_f32_16x16x16_bf16 a[0:3], v[42:43], v[36:37], a[0:3]
	v_mul_lo_u32 v36, v105, s31
	v_mul_lo_u32 v37, v34, s30
	v_mad_u64_u32 v[34:35], s[20:21], v105, s30, 0
	v_add3_u32 v35, v35, v36, v37
	v_add_u32_e32 v36, 1, v105
	v_ashrrev_i32_e32 v37, 31, v36
	s_waitcnt lgkmcnt(0)
	v_mfma_f32_16x16x16_bf16 a[4:7], v[44:45], v[38:39], a[4:7]
	v_mul_lo_u32 v38, v37, s30
	v_mul_lo_u32 v39, v36, s31
	v_mad_u64_u32 v[36:37], s[20:21], v36, s30, 0
	v_add3_u32 v37, v37, v39, v38
	v_add_u32_e32 v38, 2, v105
	v_ashrrev_i32_e32 v39, 31, v38
	v_mul_lo_u32 v42, v39, s30
	v_mul_lo_u32 v43, v38, s31
	v_mad_u64_u32 v[38:39], s[20:21], v38, s30, 0
	v_add3_u32 v39, v39, v43, v42
	v_add_u32_e32 v42, 3, v105
	v_ashrrev_i32_e32 v43, 31, v42
	v_mul_lo_u32 v105, v43, s30
	v_mul_lo_u32 v106, v42, s31
	v_mad_u64_u32 v[42:43], s[20:21], v42, s30, 0
	s_add_u32 s20, s16, s61
	s_addc_u32 s21, s17, 0
	s_lshl_b64 s[68:69], s[20:21], 8
	v_lshl_add_u64 v[34:35], v[34:35], 2, s[40:41]
	v_add3_u32 v43, v43, v106, v105
	v_lshl_add_u64 v[106:107], v[54:55], 0, s[68:69]
	v_lshl_add_u64 v[36:37], v[36:37], 2, s[40:41]
	;; [unrolled: 1-line block ×3, first 2 shown]
	global_load_dword v105, v[34:35], off
	global_load_ushort v108, v[106:107], off offset:256
	global_load_ushort v109, v[106:107], off
	global_load_ushort v110, v[106:107], off offset:768
	v_lshl_add_u64 v[34:35], v[42:43], 2, s[40:41]
	v_lshl_add_u64 v[38:39], v[38:39], 2, s[40:41]
	global_load_dword v111, v[36:37], off
	global_load_dword v112, v[38:39], off
	;; [unrolled: 1-line block ×3, first 2 shown]
	ds_read2st64_b64 v[34:37], v89 offset0:2 offset1:4
	s_waitcnt lgkmcnt(0)
	v_mfma_f32_16x16x16_bf16 a[0:3], v[44:45], v[34:35], a[0:3]
	global_load_ushort v44, v[106:107], off offset:512
	global_load_ushort v114, v[106:107], off offset:800
	;; [unrolled: 1-line block ×4, first 2 shown]
	s_nop 0
	global_load_ushort v106, v[106:107], off offset:32
	s_and_b64 vcc, exec, s[0:1]
	v_mfma_f32_16x16x16_bf16 a[4:7], v[46:47], v[40:41], a[4:7]
	s_waitcnt vmcnt(10)
	v_lshlrev_b32_e32 v43, 16, v108
	v_mfma_f32_16x16x16_bf16 a[0:3], v[46:47], v[36:37], a[0:3]
	ds_read_b64 v[34:35], v88 offset:3072
	ds_read_b64 v[36:37], v89 offset:3072
	s_load_dword s20, s[42:43], 0x0
	s_waitcnt vmcnt(9)
	v_lshlrev_b32_e32 v42, 16, v109
	s_waitcnt lgkmcnt(0)
	v_mfma_f32_16x16x16_bf16 a[4:7], v[48:49], v[34:35], a[4:7]
	v_lshl_add_u64 v[34:35], v[56:57], 0, s[68:69]
	v_sub_f32_e32 v46, s20, v105
	s_waitcnt vmcnt(7)
	v_sub_f32_e32 v47, s20, v111
	v_mfma_f32_16x16x16_bf16 a[0:3], v[48:49], v[36:37], a[0:3]
	s_waitcnt vmcnt(6)
	v_sub_f32_e32 v48, s20, v112
	s_waitcnt vmcnt(5)
	v_sub_f32_e32 v49, s20, v113
	v_accvgpr_read_b32 v41, a5
	v_accvgpr_read_b32 v40, a4
	v_exp_f32_e32 v46, v46
	v_pk_add_f32 v[40:41], v[42:43], v[40:41] neg_lo:[0,1] neg_hi:[0,1]
	v_exp_f32_e32 v47, v47
	v_exp_f32_e32 v42, v48
	;; [unrolled: 1-line block ×3, first 2 shown]
	v_accvgpr_read_b32 v37, a7
	v_accvgpr_read_b32 v36, a6
	v_lshlrev_b32_e32 v45, 16, v110
	s_waitcnt vmcnt(4)
	v_lshlrev_b32_e32 v44, 16, v44
	v_lshl_add_u64 v[34:35], v[34:35], 0, v[52:53]
	v_pk_add_f32 v[36:37], v[44:45], v[36:37] neg_lo:[0,1] neg_hi:[0,1]
	global_store_short_d16_hi v[34:35], v40, off
	global_store_short_d16_hi v[34:35], v41, off offset:256
	global_store_short_d16_hi v[34:35], v36, off offset:512
	;; [unrolled: 1-line block ×3, first 2 shown]
	v_pk_mul_f32 v[40:41], v[46:47], v[40:41]
	v_pk_mul_f32 v[36:37], v[42:43], v[36:37]
	v_accvgpr_read_b32 v45, a1
	v_perm_b32 v40, v41, v40, s3
	v_perm_b32 v41, v37, v36, s3
	s_waitcnt vmcnt(5)
	v_lshlrev_b32_e32 v37, 16, v116
	s_waitcnt vmcnt(4)
	v_lshlrev_b32_e32 v36, 16, v106
	v_accvgpr_read_b32 v44, a0
	v_accvgpr_read_b32 v39, a3
	;; [unrolled: 1-line block ×3, first 2 shown]
	v_pk_add_f32 v[36:37], v[36:37], v[44:45] neg_lo:[0,1] neg_hi:[0,1]
	v_lshlrev_b32_e32 v45, 16, v114
	v_lshlrev_b32_e32 v44, 16, v115
	v_pk_add_f32 v[38:39], v[44:45], v[38:39] neg_lo:[0,1] neg_hi:[0,1]
	global_store_short_d16_hi v[34:35], v36, off offset:32
	global_store_short_d16_hi v[34:35], v37, off offset:288
	;; [unrolled: 1-line block ×4, first 2 shown]
	v_pk_mul_f32 v[34:35], v[46:47], v[36:37]
	v_pk_mul_f32 v[36:37], v[42:43], v[38:39]
	v_mov_b32_e32 v105, 0
	v_perm_b32 v37, v37, v36, s3
	v_perm_b32 v36, v35, v34, s3
	ds_write2_b64 v75, v[40:41], v[36:37] offset1:16
	v_mov_b32_e32 v34, 0
	v_mov_b32_e32 v35, 0
	;; [unrolled: 1-line block ×16, first 2 shown]
	s_cbranch_vccnz .LBB443_40
; %bb.39:                               ;   in Loop: Header=BB443_32 Depth=1
	s_and_b32 s25, s25, 0xffff
	s_mov_b32 s27, s23
	buffer_load_dwordx4 v[46:49], v97, s[24:27], 0 offen
	buffer_load_dwordx4 v[38:41], v97, s[24:27], s60 offen
	;; [unrolled: 1-line block ×4, first 2 shown]
	v_mov_b32_e32 v104, v69
	v_mov_b32_e32 v105, v68
.LBB443_40:                             ;   in Loop: Header=BB443_32 Depth=1
	s_waitcnt lgkmcnt(0)
	s_barrier
	ds_read_b64 v[110:111], v51
	ds_read_b64 v[118:119], v93
	;; [unrolled: 1-line block ×5, first 2 shown]
	ds_read_b64 v[124:125], v94 offset:16384
	ds_read_b64 v[126:127], v92 offset:16384
	ds_read2_b64 v[106:109], v88 offset0:16 offset1:128
	s_waitcnt lgkmcnt(6)
	v_mfma_f32_16x16x16_bf16 a[0:3], v[110:111], v[118:119], 0
	ds_read_b64 v[128:129], v89 offset:3072
	ds_read_b64 v[130:131], v96 offset:16384
	s_add_i32 s21, s55, s66
	s_waitcnt lgkmcnt(2)
	v_mfma_f32_16x16x16_bf16 a[4:7], v[110:111], v[106:107], 0
	ds_read2st64_b64 v[110:113], v89 offset0:2 offset1:4
	s_mul_hi_i32 s25, s21, s13
	s_mul_i32 s21, s21, s13
	v_mfma_f32_16x16x16_bf16 a[0:3], v[114:115], v[108:109], a[0:3]
	s_add_u32 s24, s21, s48
	s_addc_u32 s25, s25, s52
	s_lshl_b64 s[24:25], s[24:25], 15
	s_waitcnt lgkmcnt(0)
	v_mfma_f32_16x16x16_bf16 a[4:7], v[114:115], v[110:111], a[4:7]
	ds_read2st64_b64 v[114:117], v88 offset0:4 offset1:6
	s_waitcnt lgkmcnt(0)
	v_mfma_f32_16x16x16_bf16 a[0:3], v[120:121], v[114:115], a[0:3]
	v_mfma_f32_16x16x16_bf16 a[8:11], v[120:121], v[112:113], a[4:7]
	;; [unrolled: 1-line block ×5, first 2 shown]
	ds_read2st64_b64 v[118:121], v91 offset1:8
	v_mfma_f32_16x16x16_bf16 a[12:15], v[126:127], v[106:107], 0
	ds_read_b64 v[126:127], v95 offset:16384
	v_mfma_f32_16x16x16_bf16 a[8:11], v[124:125], v[108:109], a[8:11]
	ds_read2st64_b64 v[106:109], v90 offset1:8
	s_waitcnt lgkmcnt(0)
	v_mov_b32_e32 v122, v106
	v_mfma_f32_16x16x16_bf16 a[12:15], v[124:125], v[110:111], a[12:15]
	v_lshl_add_u64 v[110:111], v[58:59], 0, s[24:25]
	v_add_co_u32_e32 v106, vcc, s35, v110
	v_mfma_f32_16x16x16_bf16 a[8:11], v[126:127], v[114:115], a[8:11]
	v_mov_b32_e32 v123, v107
	v_addc_co_u32_e32 v107, vcc, 0, v111, vcc
	v_mfma_f32_16x16x16_bf16 a[16:19], v[126:127], v[112:113], a[12:15]
	v_mov_b32_e32 v124, v118
	v_mov_b32_e32 v125, v119
	;; [unrolled: 1-line block ×3, first 2 shown]
	v_mfma_f32_16x16x16_bf16 a[12:15], v[130:131], v[116:117], a[8:11]
	v_mov_b32_e32 v119, v109
	s_and_b64 vcc, exec, s[0:1]
	global_store_dwordx4 v[110:111], v[122:125], off
	v_mfma_f32_16x16x16_bf16 a[8:11], v[130:131], v[128:129], a[16:19]
	global_store_dwordx4 v[106:107], v[118:121], off
	s_cbranch_vccnz .LBB443_42
; %bb.41:                               ;   in Loop: Header=BB443_32 Depth=1
	v_lshrrev_b32_e32 v106, 3, v104
	v_and_b32_e32 v106, 6, v106
	v_xor_b32_e32 v105, v106, v105
	v_lshlrev_b32_e32 v105, 2, v105
	v_and_b32_e32 v104, 8, v104
	v_xor_b32_e32 v107, 0x440, v105
	v_cmp_eq_u32_e32 vcc, 0, v104
	s_barrier
	s_nop 0
	v_cndmask_b32_e32 v104, v107, v105, vcc
	v_lshl_or_b32 v104, v106, 10, v104
	s_waitcnt vmcnt(3)
	v_perm_b32 v105, v46, v42, s62
	s_waitcnt vmcnt(2)
	v_perm_b32 v106, v38, v34, s62
	ds_write2st64_b32 v104, v105, v106 offset0:32 offset1:64
	v_xor_b32_e32 v105, 8, v104
	v_perm_b32 v42, v46, v42, s63
	v_perm_b32 v34, v38, v34, s63
	v_add_u32_e32 v38, 0x80, v105
	ds_write2st64_b32 v38, v42, v34 offset0:32 offset1:64
	v_xor_b32_e32 v34, 16, v104
	v_perm_b32 v38, v47, v43, s62
	v_perm_b32 v42, v39, v35, s62
	ds_write2st64_b32 v34, v38, v42 offset0:33 offset1:65
	v_xor_b32_e32 v34, 24, v104
	v_perm_b32 v38, v47, v43, s63
	v_perm_b32 v35, v39, v35, s63
	v_add_u32_e32 v34, 0x80, v34
	ds_write2st64_b32 v34, v38, v35 offset0:33 offset1:65
	v_xor_b32_e32 v34, 32, v104
	v_perm_b32 v35, v48, v44, s62
	;; [unrolled: 9-line block ×3, first 2 shown]
	v_perm_b32 v36, v41, v37, s62
	ds_write2st64_b32 v34, v35, v36 offset0:35 offset1:67
	v_xor_b32_e32 v34, 56, v104
	v_perm_b32 v35, v49, v45, s63
	v_perm_b32 v36, v41, v37, s63
	v_add_u32_e32 v34, 0x80, v34
	ds_write2st64_b32 v34, v35, v36 offset0:35 offset1:67
	ds_write_b64 v103, v[30:31] offset:24576
	v_xor_b32_e32 v30, 8, v103
	ds_write_b64 v30, v[32:33] offset:24576
	ds_write_b64 v103, v[26:27] offset:32768
	;; [unrolled: 1-line block ×4, first 2 shown]
	v_xor_b32_e32 v22, 8, v102
	ds_write_b64 v22, v[24:25] offset:24576
	ds_write_b64 v102, v[18:19] offset:32768
	;; [unrolled: 1-line block ×3, first 2 shown]
.LBB443_42:                             ;   in Loop: Header=BB443_32 Depth=1
	v_exp_f32_e32 v21, s20
	v_accvgpr_read_b32 v18, a4
	v_accvgpr_read_b32 v20, a7
	;; [unrolled: 1-line block ×3, first 2 shown]
	v_fma_f32 v14, v14, v21, v18
	v_accvgpr_read_b32 v18, a6
	v_fma_f32 v16, v16, v21, v18
	v_accvgpr_read_b32 v18, a3
	v_fmac_f32_e32 v18, v9, v21
	v_accvgpr_read_b32 v9, a12
	v_fma_f32 v10, v10, v21, v9
	v_accvgpr_read_b32 v9, a13
	v_fma_f32 v11, v11, v21, v9
	;; [unrolled: 2-line block ×3, first 2 shown]
	v_accvgpr_read_b32 v9, a15
	v_fmac_f32_e32 v20, v17, v21
	v_accvgpr_read_b32 v17, a0
	v_fmac_f32_e32 v9, v13, v21
	v_accvgpr_read_b32 v13, a8
	v_fma_f32 v6, v6, v21, v17
	v_accvgpr_read_b32 v17, a1
	v_fma_f32 v2, v2, v21, v13
	;; [unrolled: 2-line block ×3, first 2 shown]
	v_fma_f32 v7, v7, v21, v17
	v_accvgpr_read_b32 v17, a2
	v_fma_f32 v3, v3, v21, v13
	v_accvgpr_read_b32 v13, a10
	v_accvgpr_read_b32 v19, a11
	s_add_i32 s61, s61, 64
	v_fma_f32 v8, v8, v21, v17
	v_fma_f32 v4, v4, v21, v13
	s_cmp_eq_u32 s51, s37
	v_fmac_f32_e32 v19, v5, v21
	s_cbranch_scc1 .LBB443_4
; %bb.43:                               ;   in Loop: Header=BB443_32 Depth=1
	s_mov_b32 s66, s37
	v_mov_b32_e32 v17, v20
	v_mov_b32_e32 v13, v9
	;; [unrolled: 1-line block ×4, first 2 shown]
	s_branch .LBB443_32
.LBB443_44:
                                        ; implicit-def: $vgpr5
                                        ; implicit-def: $vgpr9
                                        ; implicit-def: $vgpr13
                                        ; implicit-def: $vgpr17
	s_cbranch_execz .LBB443_46
; %bb.45:
	s_waitcnt vmcnt(0)
	v_mad_u64_u32 v[2:3], s[0:1], v20, s15, v[18:19]
	v_lshlrev_b32_e32 v20, 1, v2
	s_lshl_b32 s2, s15, 7
	s_and_b32 s1, s5, 0xffff
	s_mov_b32 s3, 0x20000
	s_mov_b32 s0, s4
	v_add_lshl_u32 v21, v2, s15, 1
	s_movk_i32 s13, 0x80
	buffer_load_dwordx4 v[2:5], v20, s[0:3], 0 offen
	buffer_load_dwordx4 v[10:13], v20, s[0:3], s13 offen
	;; [unrolled: 1-line block ×4, first 2 shown]
.LBB443_46:
	v_lshrrev_b32_e32 v30, 2, v60
	s_cbranch_execnz .LBB443_59
.LBB443_47:
	s_and_b64 vcc, exec, s[6:7]
	s_cbranch_vccz .LBB443_57
; %bb.48:
	s_waitcnt vmcnt(0)
	v_lshlrev_b32_e32 v7, 1, v23
	v_cmp_gt_i32_e32 vcc, s27, v7
	v_mov_b32_e32 v6, 0
	v_lshlrev_b32_e32 v14, 9, v23
	v_mov_b32_e32 v2, 0
	v_mov_b32_e32 v3, 0
	;; [unrolled: 1-line block ×4, first 2 shown]
	s_and_saveexec_b64 s[0:1], vcc
	s_cbranch_execz .LBB443_50
; %bb.49:
	v_mov_b32_e32 v15, 0
	v_lshl_add_u64 v[2:3], s[4:5], 0, v[14:15]
	v_lshlrev_b32_e32 v4, 1, v18
	v_mov_b32_e32 v5, v15
	v_lshl_add_u64 v[2:3], v[2:3], 0, v[4:5]
	global_load_dwordx4 v[2:5], v[2:3], off
.LBB443_50:
	s_or_b64 exec, exec, s[0:1]
	v_or_b32_e32 v7, 1, v7
	v_cmp_gt_i32_e64 s[0:1], s27, v7
	v_lshlrev_b32_e32 v20, 8, v7
	v_mov_b32_e32 v7, 0
	v_mov_b32_e32 v8, 0
	;; [unrolled: 1-line block ×3, first 2 shown]
	s_and_saveexec_b64 s[2:3], s[0:1]
	s_cbranch_execz .LBB443_52
; %bb.51:
	v_mov_b32_e32 v21, 0
	v_lshl_add_u64 v[6:7], s[4:5], 0, v[20:21]
	v_lshlrev_b32_e32 v8, 1, v18
	v_mov_b32_e32 v9, v21
	v_lshl_add_u64 v[6:7], v[6:7], 0, v[8:9]
	global_load_dwordx4 v[6:9], v[6:7], off
.LBB443_52:
	s_or_b64 exec, exec, s[2:3]
	v_mov_b32_e32 v17, 0
	v_mov_b32_e32 v10, 0
	v_mov_b32_e32 v11, 0
	v_mov_b32_e32 v12, 0
	v_mov_b32_e32 v13, 0
	s_and_saveexec_b64 s[2:3], vcc
	s_cbranch_execz .LBB443_54
; %bb.53:
	v_mov_b32_e32 v15, 0
	v_lshl_add_u64 v[10:11], s[4:5], 0, v[14:15]
	v_lshlrev_b32_e32 v14, 1, v18
	v_lshl_add_u64 v[10:11], v[10:11], 0, v[14:15]
	global_load_dwordx4 v[10:13], v[10:11], off offset:128
.LBB443_54:
	s_or_b64 exec, exec, s[2:3]
	v_mov_b32_e32 v16, 0
	v_mov_b32_e32 v15, 0
	;; [unrolled: 1-line block ×3, first 2 shown]
	s_and_saveexec_b64 s[2:3], s[0:1]
	s_cbranch_execz .LBB443_56
; %bb.55:
	v_mov_b32_e32 v21, 0
	v_lshl_add_u64 v[14:15], s[4:5], 0, v[20:21]
	v_lshlrev_b32_e32 v20, 1, v18
	v_lshl_add_u64 v[14:15], v[14:15], 0, v[20:21]
	global_load_dwordx4 v[14:17], v[14:15], off offset:128
.LBB443_56:
	s_or_b64 exec, exec, s[2:3]
	s_branch .LBB443_59
.LBB443_57:
                                        ; implicit-def: $vgpr5
                                        ; implicit-def: $vgpr9
                                        ; implicit-def: $vgpr13
                                        ; implicit-def: $vgpr17
	s_cbranch_execz .LBB443_59
; %bb.58:
	s_waitcnt vmcnt(0)
	v_lshlrev_b32_e32 v2, 1, v18
	v_lshl_or_b32 v18, v23, 9, v2
	s_and_b32 s5, s5, 0xffff
	s_mov_b32 s7, 0x20000
	s_movk_i32 s6, 0x4000
	s_movk_i32 s0, 0x80
	buffer_load_dwordx4 v[2:5], v18, s[4:7], 0 offen
	buffer_load_dwordx4 v[6:9], v18, s[4:7], 0 offen offset:256
	buffer_load_dwordx4 v[10:13], v18, s[4:7], s0 offen
	buffer_load_dwordx4 v[14:17], v18, s[4:7], s0 offen offset:256
.LBB443_59:
	ds_read_b64 v[20:21], v25 offset:32768
	v_add_u32_e32 v18, 0xb000, v24
	ds_read2_b64 v[32:35], v18 offset1:16
	ds_read_b64 v[40:41], v26 offset:32768
	ds_read_b64 v[26:27], v27 offset:32768
	;; [unrolled: 1-line block ×3, first 2 shown]
	v_and_b32_e32 v18, 6, v0
	v_xor_b32_e32 v23, v23, v18
	v_lshlrev_b32_e32 v23, 2, v23
	v_and_b32_e32 v0, 1, v0
	v_xor_b32_e32 v28, 0x440, v23
	v_cmp_eq_u32_e32 vcc, 0, v0
	s_waitcnt lgkmcnt(3)
	v_mfma_f32_16x16x16_bf16 a[0:3], v[20:21], v[32:33], a[0:3]
	s_mov_b32 s0, 0x1000504
	v_cndmask_b32_e32 v0, v28, v23, vcc
	v_lshl_or_b32 v0, v18, 10, v0
	v_mfma_f32_16x16x16_bf16 a[4:7], v[20:21], v[34:35], a[4:7]
	ds_read2st64_b64 v[32:35], v24 offset0:90 offset1:92
	ds_read2st64_b64 v[36:39], v29 offset0:90 offset1:92
	ds_read_b64 v[20:21], v24 offset:48128
	ds_read_b64 v[24:25], v29 offset:48128
	s_waitcnt vmcnt(0)
	v_perm_b32 v18, v2, v6, s0
	s_waitcnt lgkmcnt(3)
	v_mfma_f32_16x16x16_bf16 a[0:3], v[40:41], v[32:33], a[0:3]
	s_mov_b32 s1, 0x3020706
	v_perm_b32 v2, v2, v6, s1
	v_perm_b32 v6, v10, v14, s1
	s_waitcnt lgkmcnt(2)
	v_mfma_f32_16x16x16_bf16 a[4:7], v[40:41], v[36:37], a[4:7]
	v_mfma_f32_16x16x16_bf16 a[0:3], v[26:27], v[34:35], a[0:3]
	;; [unrolled: 1-line block ×3, first 2 shown]
	s_waitcnt lgkmcnt(1)
	v_mfma_f32_16x16x16_bf16 a[4:7], v[42:43], v[20:21], a[0:3]
	v_perm_b32 v20, v10, v14, s0
	ds_write2st64_b32 v0, v18, v20 offset0:32 offset1:64
	v_xor_b32_e32 v18, 8, v0
	v_add_u32_e32 v10, 0x80, v18
	ds_write2st64_b32 v10, v2, v6 offset0:32 offset1:64
	v_xor_b32_e32 v2, 16, v0
	v_perm_b32 v6, v3, v7, s0
	v_perm_b32 v10, v11, v15, s0
	ds_write2st64_b32 v2, v6, v10 offset0:33 offset1:65
	v_xor_b32_e32 v2, 24, v0
	v_perm_b32 v3, v3, v7, s1
	v_perm_b32 v6, v11, v15, s1
	v_add_u32_e32 v2, 0x80, v2
	ds_write2st64_b32 v2, v3, v6 offset0:33 offset1:65
	v_xor_b32_e32 v2, 32, v0
	v_perm_b32 v3, v4, v8, s0
	v_perm_b32 v6, v12, v16, s0
	s_waitcnt lgkmcnt(4)
	v_mfma_f32_16x16x16_bf16 a[0:3], v[42:43], v[24:25], a[8:11]
	ds_write2st64_b32 v2, v3, v6 offset0:34 offset1:66
	v_xor_b32_e32 v2, 40, v0
	v_perm_b32 v3, v4, v8, s1
	v_perm_b32 v4, v12, v16, s1
	v_add_u32_e32 v2, 0x80, v2
	ds_write2st64_b32 v2, v3, v4 offset0:34 offset1:66
	v_xor_b32_e32 v2, 48, v0
	v_perm_b32 v3, v5, v9, s0
	v_perm_b32 v4, v13, v17, s0
	v_xor_b32_e32 v0, 56, v0
	v_and_or_b32 v21, v30, 12, v1
	ds_write2st64_b32 v2, v3, v4 offset0:35 offset1:67
	v_perm_b32 v2, v5, v9, s1
	v_perm_b32 v3, v13, v17, s1
	v_add_u32_e32 v0, 0x80, v0
	v_cmp_gt_i32_e32 vcc, s27, v21
	v_mov_b32_e32 v16, 0
	v_mov_b32_e32 v18, 0
	ds_write2st64_b32 v0, v2, v3 offset0:35 offset1:67
	s_and_saveexec_b64 s[0:1], vcc
	s_cbranch_execz .LBB443_61
; %bb.60:
	v_add_u32_e32 v0, s26, v21
	v_ashrrev_i32_e32 v1, 31, v0
	v_mul_lo_u32 v2, v1, s30
	v_mul_lo_u32 v3, v0, s31
	v_mad_u64_u32 v[0:1], s[2:3], v0, s30, 0
	v_add3_u32 v1, v1, v3, v2
	v_lshl_add_u64 v[0:1], v[0:1], 2, s[10:11]
	global_load_dword v0, v[0:1], off
	s_waitcnt vmcnt(0)
	v_sub_f32_e32 v0, s12, v0
	v_exp_f32_e32 v18, v0
.LBB443_61:
	s_or_b64 exec, exec, s[0:1]
	v_or_b32_e32 v10, 1, v21
	v_cmp_gt_i32_e64 s[2:3], s27, v10
	s_and_saveexec_b64 s[0:1], s[2:3]
	s_cbranch_execz .LBB443_63
; %bb.62:
	v_add_u32_e32 v0, s26, v10
	v_ashrrev_i32_e32 v1, 31, v0
	v_mul_lo_u32 v2, v1, s30
	v_mul_lo_u32 v3, v0, s31
	v_mad_u64_u32 v[0:1], s[4:5], v0, s30, 0
	v_add3_u32 v1, v1, v3, v2
	v_lshl_add_u64 v[0:1], v[0:1], 2, s[10:11]
	global_load_dword v0, v[0:1], off
	s_waitcnt vmcnt(0)
	v_sub_f32_e32 v0, s12, v0
	v_exp_f32_e32 v16, v0
.LBB443_63:
	s_or_b64 exec, exec, s[0:1]
	v_or_b32_e32 v12, 2, v21
	v_cmp_gt_i32_e64 s[0:1], s27, v12
	v_mov_b32_e32 v17, 0
	v_mov_b32_e32 v20, 0
	s_and_saveexec_b64 s[4:5], s[0:1]
	s_cbranch_execz .LBB443_65
; %bb.64:
	v_add_u32_e32 v0, s26, v12
	v_ashrrev_i32_e32 v1, 31, v0
	v_mul_lo_u32 v2, v1, s30
	v_mul_lo_u32 v3, v0, s31
	v_mad_u64_u32 v[0:1], s[6:7], v0, s30, 0
	v_add3_u32 v1, v1, v3, v2
	v_lshl_add_u64 v[0:1], v[0:1], 2, s[10:11]
	global_load_dword v0, v[0:1], off
	s_waitcnt vmcnt(0)
	v_sub_f32_e32 v0, s12, v0
	v_exp_f32_e32 v20, v0
.LBB443_65:
	s_or_b64 exec, exec, s[4:5]
	v_or_b32_e32 v14, 3, v21
	v_cmp_gt_i32_e64 s[4:5], s27, v14
	s_and_saveexec_b64 s[6:7], s[4:5]
	s_cbranch_execz .LBB443_67
; %bb.66:
	v_add_u32_e32 v0, s26, v14
	v_ashrrev_i32_e32 v1, 31, v0
	v_mul_lo_u32 v2, v1, s30
	v_mul_lo_u32 v3, v0, s31
	v_mad_u64_u32 v[0:1], s[14:15], v0, s30, 0
	v_add3_u32 v1, v1, v3, v2
	v_lshl_add_u64 v[0:1], v[0:1], 2, s[10:11]
	global_load_dword v0, v[0:1], off
	s_waitcnt vmcnt(0)
	v_sub_f32_e32 v0, s12, v0
	v_exp_f32_e32 v17, v0
.LBB443_67:
	s_or_b64 exec, exec, s[6:7]
	s_add_u32 s6, s8, s20
	s_addc_u32 s7, s9, s21
	s_add_u32 s8, s28, s20
	v_ashrrev_i32_e32 v51, 31, v50
	v_accvgpr_read_b32 v0, a4
	s_addc_u32 s9, s29, s21
	v_lshlrev_b64 v[4:5], 1, v[50:51]
	v_accvgpr_read_b32 v1, a5
	v_accvgpr_read_b32 v2, a6
	;; [unrolled: 1-line block ×3, first 2 shown]
	v_lshl_add_u64 v[6:7], s[6:7], 0, v[4:5]
	v_lshl_add_u64 v[4:5], s[8:9], 0, v[4:5]
	v_mov_b32_e32 v11, 0
	v_lshlrev_b32_e32 v8, 8, v21
	v_mov_b32_e32 v9, 0
	s_and_saveexec_b64 s[6:7], vcc
	s_cbranch_execz .LBB443_69
; %bb.68:
	v_mov_b32_e32 v9, 0
	v_lshl_add_u64 v[24:25], v[6:7], 0, v[8:9]
	global_load_ushort v13, v[24:25], off
	v_lshl_add_u64 v[24:25], v[4:5], 0, v[8:9]
	s_waitcnt vmcnt(0)
	v_lshlrev_b32_e32 v9, 16, v13
	v_sub_f32_e32 v0, v9, v0
	global_store_short_d16_hi v[24:25], v0, off
	v_mul_f32_e32 v0, v18, v0
	v_lshrrev_b32_e32 v9, 16, v0
.LBB443_69:
	s_or_b64 exec, exec, s[6:7]
	v_lshlrev_b32_e32 v10, 8, v10
	s_and_saveexec_b64 s[6:7], s[2:3]
	s_cbranch_execz .LBB443_71
; %bb.70:
	v_mov_b32_e32 v11, 0
	v_lshl_add_u64 v[24:25], v[6:7], 0, v[10:11]
	global_load_ushort v0, v[24:25], off
	v_lshl_add_u64 v[24:25], v[4:5], 0, v[10:11]
	s_waitcnt vmcnt(0)
	v_lshlrev_b32_e32 v0, 16, v0
	v_sub_f32_e32 v0, v0, v1
	global_store_short_d16_hi v[24:25], v0, off
	v_mul_f32_e32 v0, v16, v0
	v_lshrrev_b32_e32 v11, 16, v0
.LBB443_71:
	s_or_b64 exec, exec, s[6:7]
	v_mov_b32_e32 v15, 0
	v_lshlrev_b32_e32 v12, 8, v12
	v_mov_b32_e32 v13, 0
	s_and_saveexec_b64 s[6:7], s[0:1]
	s_cbranch_execz .LBB443_73
; %bb.72:
	v_mov_b32_e32 v13, 0
	v_lshl_add_u64 v[0:1], v[6:7], 0, v[12:13]
	global_load_ushort v23, v[0:1], off
	v_lshl_add_u64 v[0:1], v[4:5], 0, v[12:13]
	s_waitcnt vmcnt(0)
	v_lshlrev_b32_e32 v13, 16, v23
	v_sub_f32_e32 v2, v13, v2
	global_store_short_d16_hi v[0:1], v2, off
	v_mul_f32_e32 v0, v20, v2
	v_lshrrev_b32_e32 v13, 16, v0
.LBB443_73:
	s_or_b64 exec, exec, s[6:7]
	v_lshlrev_b32_e32 v14, 8, v14
	s_and_saveexec_b64 s[6:7], s[4:5]
	s_cbranch_execz .LBB443_75
; %bb.74:
	v_mov_b32_e32 v15, 0
	v_lshl_add_u64 v[0:1], v[6:7], 0, v[14:15]
	global_load_ushort v2, v[0:1], off
	v_lshl_add_u64 v[0:1], v[4:5], 0, v[14:15]
	s_waitcnt vmcnt(0)
	v_lshlrev_b32_e32 v2, 16, v2
	v_sub_f32_e32 v2, v2, v3
	global_store_short_d16_hi v[0:1], v2, off
	v_mul_f32_e32 v0, v17, v2
	v_lshrrev_b32_e32 v15, 16, v0
.LBB443_75:
	s_or_b64 exec, exec, s[6:7]
	v_lshlrev_b32_e32 v21, 5, v21
	s_mov_b32 s6, 0x5040100
	v_perm_b32 v24, v11, v9, s6
	v_or_b32_e32 v9, v21, v22
	v_accvgpr_read_b32 v0, a0
	v_perm_b32 v25, v15, v13, s6
	v_lshlrev_b32_e32 v9, 1, v9
	v_accvgpr_read_b32 v1, a1
	v_accvgpr_read_b32 v2, a2
	;; [unrolled: 1-line block ×3, first 2 shown]
	ds_write_b64 v9, v[24:25] offset:45056
	v_mov_b32_e32 v11, 0
	v_mov_b32_e32 v9, 0
	s_and_saveexec_b64 s[6:7], vcc
	s_cbranch_execz .LBB443_77
; %bb.76:
	v_mov_b32_e32 v9, 0
	v_lshl_add_u64 v[22:23], v[6:7], 0, v[8:9]
	global_load_ushort v13, v[22:23], off offset:32
	v_lshl_add_u64 v[8:9], v[4:5], 0, v[8:9]
	s_waitcnt vmcnt(0)
	v_lshlrev_b32_e32 v13, 16, v13
	v_sub_f32_e32 v0, v13, v0
	global_store_short_d16_hi v[8:9], v0, off offset:32
	v_mul_f32_e32 v0, v18, v0
	v_lshrrev_b32_e32 v9, 16, v0
.LBB443_77:
	s_or_b64 exec, exec, s[6:7]
	s_and_saveexec_b64 s[6:7], s[2:3]
	s_cbranch_execz .LBB443_79
; %bb.78:
	v_mov_b32_e32 v11, 0
	v_lshl_add_u64 v[22:23], v[6:7], 0, v[10:11]
	global_load_ushort v0, v[22:23], off offset:32
	v_lshl_add_u64 v[10:11], v[4:5], 0, v[10:11]
	s_waitcnt vmcnt(0)
	v_lshlrev_b32_e32 v0, 16, v0
	v_sub_f32_e32 v0, v0, v1
	global_store_short_d16_hi v[10:11], v0, off offset:32
	v_mul_f32_e32 v0, v16, v0
	v_lshrrev_b32_e32 v11, 16, v0
.LBB443_79:
	s_or_b64 exec, exec, s[6:7]
	v_mov_b32_e32 v0, 0
	v_mov_b32_e32 v1, 0
	s_and_saveexec_b64 s[2:3], s[0:1]
	s_cbranch_execz .LBB443_81
; %bb.80:
	v_mov_b32_e32 v13, 0
	v_lshl_add_u64 v[22:23], v[6:7], 0, v[12:13]
	global_load_ushort v1, v[22:23], off offset:32
	v_lshl_add_u64 v[12:13], v[4:5], 0, v[12:13]
	s_waitcnt vmcnt(0)
	v_lshlrev_b32_e32 v1, 16, v1
	v_sub_f32_e32 v1, v1, v2
	global_store_short_d16_hi v[12:13], v1, off offset:32
	v_mul_f32_e32 v1, v20, v1
	v_lshrrev_b32_e32 v1, 16, v1
.LBB443_81:
	s_or_b64 exec, exec, s[2:3]
	s_and_saveexec_b64 s[0:1], s[4:5]
	s_cbranch_execz .LBB443_83
; %bb.82:
	v_mov_b32_e32 v15, 0
	v_lshl_add_u64 v[6:7], v[6:7], 0, v[14:15]
	global_load_ushort v0, v[6:7], off offset:32
	v_lshl_add_u64 v[4:5], v[4:5], 0, v[14:15]
	s_waitcnt vmcnt(0)
	v_lshlrev_b32_e32 v0, 16, v0
	v_sub_f32_e32 v0, v0, v3
	global_store_short_d16_hi v[4:5], v0, off offset:32
	v_mul_f32_e32 v0, v17, v0
	v_lshrrev_b32_e32 v0, 16, v0
.LBB443_83:
	s_or_b64 exec, exec, s[0:1]
	s_mov_b32 s0, 0x5040100
	v_or_b32_e32 v2, v21, v19
	v_perm_b32 v1, v0, v1, s0
	v_perm_b32 v0, v11, v9, s0
	v_lshlrev_b32_e32 v2, 1, v2
	ds_write_b64 v2, v[0:1] offset:45056
	s_waitcnt lgkmcnt(0)
	s_barrier
.LBB443_84:
	s_endpgm
	.section	.rodata,"a",@progbits
	.p2align	6, 0x0
	.amdhsa_kernel _ZN12_GLOBAL__N_139chunk_gated_delta_rule_fwd_h_hip_kernelILi32ELb1ELb0ELb1ELb0ELb1ELb0ELb0ELb0EEEvPK12hip_bfloat16S3_S3_PKfS5_PKvPS1_S8_PvPKiSB_iiiiilll
		.amdhsa_group_segment_fixed_size 49152
		.amdhsa_private_segment_fixed_size 0
		.amdhsa_kernarg_size 136
		.amdhsa_user_sgpr_count 2
		.amdhsa_user_sgpr_dispatch_ptr 0
		.amdhsa_user_sgpr_queue_ptr 0
		.amdhsa_user_sgpr_kernarg_segment_ptr 1
		.amdhsa_user_sgpr_dispatch_id 0
		.amdhsa_user_sgpr_kernarg_preload_length 0
		.amdhsa_user_sgpr_kernarg_preload_offset 0
		.amdhsa_user_sgpr_private_segment_size 0
		.amdhsa_uses_dynamic_stack 0
		.amdhsa_enable_private_segment 0
		.amdhsa_system_sgpr_workgroup_id_x 1
		.amdhsa_system_sgpr_workgroup_id_y 1
		.amdhsa_system_sgpr_workgroup_id_z 0
		.amdhsa_system_sgpr_workgroup_info 0
		.amdhsa_system_vgpr_workitem_id 0
		.amdhsa_next_free_vgpr 152
		.amdhsa_next_free_sgpr 70
		.amdhsa_accum_offset 132
		.amdhsa_reserve_vcc 1
		.amdhsa_float_round_mode_32 0
		.amdhsa_float_round_mode_16_64 0
		.amdhsa_float_denorm_mode_32 3
		.amdhsa_float_denorm_mode_16_64 3
		.amdhsa_dx10_clamp 1
		.amdhsa_ieee_mode 1
		.amdhsa_fp16_overflow 0
		.amdhsa_tg_split 0
		.amdhsa_exception_fp_ieee_invalid_op 0
		.amdhsa_exception_fp_denorm_src 0
		.amdhsa_exception_fp_ieee_div_zero 0
		.amdhsa_exception_fp_ieee_overflow 0
		.amdhsa_exception_fp_ieee_underflow 0
		.amdhsa_exception_fp_ieee_inexact 0
		.amdhsa_exception_int_div_zero 0
	.end_amdhsa_kernel
	.section	.text._ZN12_GLOBAL__N_139chunk_gated_delta_rule_fwd_h_hip_kernelILi32ELb1ELb0ELb1ELb0ELb1ELb0ELb0ELb0EEEvPK12hip_bfloat16S3_S3_PKfS5_PKvPS1_S8_PvPKiSB_iiiiilll,"axG",@progbits,_ZN12_GLOBAL__N_139chunk_gated_delta_rule_fwd_h_hip_kernelILi32ELb1ELb0ELb1ELb0ELb1ELb0ELb0ELb0EEEvPK12hip_bfloat16S3_S3_PKfS5_PKvPS1_S8_PvPKiSB_iiiiilll,comdat
.Lfunc_end443:
	.size	_ZN12_GLOBAL__N_139chunk_gated_delta_rule_fwd_h_hip_kernelILi32ELb1ELb0ELb1ELb0ELb1ELb0ELb0ELb0EEEvPK12hip_bfloat16S3_S3_PKfS5_PKvPS1_S8_PvPKiSB_iiiiilll, .Lfunc_end443-_ZN12_GLOBAL__N_139chunk_gated_delta_rule_fwd_h_hip_kernelILi32ELb1ELb0ELb1ELb0ELb1ELb0ELb0ELb0EEEvPK12hip_bfloat16S3_S3_PKfS5_PKvPS1_S8_PvPKiSB_iiiiilll
                                        ; -- End function
	.section	.AMDGPU.csdata,"",@progbits
; Kernel info:
; codeLenInByte = 8624
; NumSgprs: 76
; NumVgprs: 132
; NumAgprs: 20
; TotalNumVgprs: 152
; ScratchSize: 0
; MemoryBound: 0
; FloatMode: 240
; IeeeMode: 1
; LDSByteSize: 49152 bytes/workgroup (compile time only)
; SGPRBlocks: 9
; VGPRBlocks: 18
; NumSGPRsForWavesPerEU: 76
; NumVGPRsForWavesPerEU: 152
; AccumOffset: 132
; Occupancy: 1
; WaveLimiterHint : 1
; COMPUTE_PGM_RSRC2:SCRATCH_EN: 0
; COMPUTE_PGM_RSRC2:USER_SGPR: 2
; COMPUTE_PGM_RSRC2:TRAP_HANDLER: 0
; COMPUTE_PGM_RSRC2:TGID_X_EN: 1
; COMPUTE_PGM_RSRC2:TGID_Y_EN: 1
; COMPUTE_PGM_RSRC2:TGID_Z_EN: 0
; COMPUTE_PGM_RSRC2:TIDIG_COMP_CNT: 0
; COMPUTE_PGM_RSRC3_GFX90A:ACCUM_OFFSET: 32
; COMPUTE_PGM_RSRC3_GFX90A:TG_SPLIT: 0
	.section	.text._ZN12_GLOBAL__N_139chunk_gated_delta_rule_fwd_h_hip_kernelILi32ELb1ELb0ELb0ELb0ELb1ELb0ELb0ELb0EEEvPK12hip_bfloat16S3_S3_PKfS5_PKvPS1_S8_PvPKiSB_iiiiilll,"axG",@progbits,_ZN12_GLOBAL__N_139chunk_gated_delta_rule_fwd_h_hip_kernelILi32ELb1ELb0ELb0ELb0ELb1ELb0ELb0ELb0EEEvPK12hip_bfloat16S3_S3_PKfS5_PKvPS1_S8_PvPKiSB_iiiiilll,comdat
	.globl	_ZN12_GLOBAL__N_139chunk_gated_delta_rule_fwd_h_hip_kernelILi32ELb1ELb0ELb0ELb0ELb1ELb0ELb0ELb0EEEvPK12hip_bfloat16S3_S3_PKfS5_PKvPS1_S8_PvPKiSB_iiiiilll ; -- Begin function _ZN12_GLOBAL__N_139chunk_gated_delta_rule_fwd_h_hip_kernelILi32ELb1ELb0ELb0ELb0ELb1ELb0ELb0ELb0EEEvPK12hip_bfloat16S3_S3_PKfS5_PKvPS1_S8_PvPKiSB_iiiiilll
	.p2align	8
	.type	_ZN12_GLOBAL__N_139chunk_gated_delta_rule_fwd_h_hip_kernelILi32ELb1ELb0ELb0ELb0ELb1ELb0ELb0ELb0EEEvPK12hip_bfloat16S3_S3_PKfS5_PKvPS1_S8_PvPKiSB_iiiiilll,@function
_ZN12_GLOBAL__N_139chunk_gated_delta_rule_fwd_h_hip_kernelILi32ELb1ELb0ELb0ELb0ELb1ELb0ELb0ELb0EEEvPK12hip_bfloat16S3_S3_PKfS5_PKvPS1_S8_PvPKiSB_iiiiilll: ; @_ZN12_GLOBAL__N_139chunk_gated_delta_rule_fwd_h_hip_kernelILi32ELb1ELb0ELb0ELb0ELb1ELb0ELb0ELb0EEEvPK12hip_bfloat16S3_S3_PKfS5_PKvPS1_S8_PvPKiSB_iiiiilll
; %bb.0:
	s_load_dwordx4 s[12:15], s[0:1], 0x5c
	s_load_dwordx4 s[16:19], s[0:1], 0x28
	s_abs_i32 s6, s3
	s_ashr_i32 s5, s3, 31
	v_and_b32_e32 v61, 15, v0
	s_waitcnt lgkmcnt(0)
	s_abs_i32 s4, s13
	v_cvt_f32_u32_e32 v1, s4
	s_sub_i32 s8, 0, s4
	s_ashr_i32 s7, s13, 31
	s_xor_b32 s5, s5, s7
	v_rcp_iflag_f32_e32 v1, v1
	v_lshrrev_b32_e32 v59, 6, v0
	v_bfe_u32 v60, v0, 4, 2
	v_mov_b32_e32 v7, 0
	v_mul_f32_e32 v1, 0x4f7ffffe, v1
	v_cvt_u32_f32_e32 v1, v1
	v_and_b32_e32 v58, 63, v0
	v_lshrrev_b32_e32 v63, 3, v58
	v_lshlrev_b32_e32 v62, 3, v0
	v_readfirstlane_b32 s9, v1
	s_mul_i32 s8, s8, s9
	s_mul_hi_u32 s8, s9, s8
	s_add_i32 s9, s9, s8
	s_mul_hi_u32 s8, s6, s9
	s_mul_i32 s9, s8, s4
	s_sub_i32 s6, s6, s9
	s_add_i32 s10, s8, 1
	s_sub_i32 s9, s6, s4
	s_cmp_ge_u32 s6, s4
	s_cselect_b32 s8, s10, s8
	s_cselect_b32 s6, s9, s6
	s_add_i32 s9, s8, 1
	s_cmp_ge_u32 s6, s4
	s_cselect_b32 s6, s9, s8
	s_xor_b32 s6, s6, s5
	s_sub_i32 s48, s6, s5
	s_mul_i32 s6, s48, s13
	s_sub_i32 s46, s3, s6
	s_abs_i32 s3, s14
	v_cvt_f32_u32_e32 v1, s3
	s_add_i32 s8, s12, 63
	s_ashr_i32 s9, s8, 31
	s_lshr_b32 s5, s9, 26
	v_rcp_iflag_f32_e32 v1, v1
	s_ashr_i32 s47, s12, 31
	s_add_i32 s8, s8, s5
	s_lshr_b32 s5, s47, 26
	v_mul_f32_e32 v1, 0x4f7ffffe, v1
	v_cvt_u32_f32_e32 v1, v1
	s_add_i32 s5, s12, s5
	s_ashr_i32 s51, s14, 31
	s_ashr_i32 s24, s8, 6
	;; [unrolled: 1-line block ×3, first 2 shown]
	s_xor_b32 s5, s7, s51
	s_sub_i32 s7, 0, s3
	v_readfirstlane_b32 s8, v1
	s_mul_i32 s7, s7, s8
	s_mul_hi_u32 s7, s8, s7
	s_add_i32 s8, s8, s7
	s_mul_hi_u32 s7, s4, s8
	s_mul_i32 s8, s7, s3
	s_sub_i32 s4, s4, s8
	s_lshl_b32 s2, s2, 5
	s_add_i32 s8, s7, 1
	s_sub_i32 s9, s4, s3
	s_cmp_ge_u32 s4, s3
	s_cselect_b32 s7, s8, s7
	s_cselect_b32 s4, s9, s4
	s_add_i32 s8, s7, 1
	s_cmp_ge_u32 s4, s3
	s_cselect_b32 s3, s8, s7
	s_xor_b32 s3, s3, s5
	s_sub_i32 s3, s3, s5
	s_abs_i32 s4, s3
	v_cvt_f32_u32_e32 v1, s4
	s_sub_i32 s7, 0, s4
	s_abs_i32 s5, s46
	s_xor_b32 s3, s46, s3
	v_rcp_iflag_f32_e32 v1, v1
	s_ashr_i32 s3, s3, 31
	v_or_b32_e32 v50, s2, v61
	v_lshlrev_b32_e32 v2, 7, v50
	v_mul_f32_e32 v1, 0x4f7ffffe, v1
	v_cvt_u32_f32_e32 v1, v1
	v_ashrrev_i32_e32 v3, 31, v2
	s_mul_i32 s53, s48, s24
	v_readfirstlane_b32 s8, v1
	s_mul_i32 s7, s7, s8
	s_mul_hi_u32 s7, s8, s7
	s_add_i32 s8, s8, s7
	s_mul_hi_u32 s7, s5, s8
	s_mul_i32 s8, s7, s4
	s_sub_i32 s5, s5, s8
	s_add_i32 s8, s7, 1
	s_sub_i32 s9, s5, s4
	s_cmp_ge_u32 s5, s4
	s_cselect_b32 s7, s8, s7
	s_cselect_b32 s5, s9, s5
	s_add_i32 s8, s7, 1
	s_cmp_ge_u32 s5, s4
	s_cselect_b32 s4, s8, s7
	s_xor_b32 s4, s4, s3
	s_sub_i32 s52, s4, s3
	s_ashr_i32 s3, s48, 31
	s_ashr_i32 s50, s46, 31
	s_mul_hi_i32 s4, s48, s13
	s_add_u32 s36, s6, s46
	s_addc_u32 s37, s4, s50
	s_lshl_b64 s[4:5], s[36:37], 16
	s_add_u32 s4, s16, s4
	s_addc_u32 s5, s17, s5
	v_lshlrev_b32_e32 v1, 4, v59
	v_lshl_add_u64 v[4:5], v[2:3], 2, s[4:5]
	v_or_b32_e32 v2, 0x800, v2
	v_lshl_or_b32 v64, v60, 2, v1
	v_ashrrev_i32_e32 v3, 31, v2
	v_lshlrev_b32_e32 v6, 2, v64
	v_lshl_add_u64 v[2:3], v[2:3], 2, s[4:5]
	v_lshl_add_u64 v[4:5], v[4:5], 0, v[6:7]
	;; [unrolled: 1-line block ×3, first 2 shown]
	global_load_dwordx4 v[14:17], v[4:5], off
	global_load_dwordx4 v[10:13], v[4:5], off offset:256
	global_load_dwordx4 v[6:9], v[18:19], off
	s_nop 0
	global_load_dwordx4 v[2:5], v[18:19], off offset:256
	s_load_dwordx8 s[4:11], s[0:1], 0x0
	s_load_dwordx2 s[28:29], s[0:1], 0x80
	s_load_dwordx4 s[20:23], s[0:1], 0x70
	v_or_b32_e32 v65, 64, v64
	s_cmp_lt_i32 s12, 64
	s_mul_i32 s54, s37, s12
	s_mul_hi_u32 s55, s36, s12
	s_mul_i32 s16, s36, s12
	s_waitcnt lgkmcnt(0)
	s_mul_i32 s33, s48, s21
	s_mul_hi_u32 s42, s48, s20
	s_mul_i32 s43, s3, s20
	s_mul_i32 s30, s48, s20
	;; [unrolled: 1-line block ×3, first 2 shown]
	s_mul_hi_u32 s44, s46, s22
	s_mul_i32 s45, s50, s22
	s_mul_i32 s34, s46, s22
	s_cbranch_scc1 .LBB444_3
; %bb.1:
	s_add_i32 s17, s55, s54
	s_lshl_b64 s[0:1], s[16:17], 8
	v_and_b32_e32 v67, 56, v62
	s_add_u32 s20, s6, s0
	v_lshl_or_b32 v66, v59, 3, v63
	v_lshlrev_b32_e32 v18, 1, v67
	s_addc_u32 s0, s7, s1
	v_lshl_or_b32 v68, v66, 8, v18
	s_and_b32 s21, s0, 0xffff
	s_mov_b32 s23, 0x20000
	s_movk_i32 s22, 0x4000
	s_movk_i32 s0, 0x80
	v_or_b32_e32 v69, 0x2000, v68
	buffer_load_dwordx4 v[20:23], v68, s[20:23], 0 offen
	buffer_load_dwordx4 v[24:27], v68, s[20:23], s0 offen
	;; [unrolled: 1-line block ×4, first 2 shown]
	v_lshlrev_b32_e32 v19, 3, v66
	v_and_or_b32 v37, v0, 7, v19
	v_and_b32_e32 v19, 0x78, v19
	v_lshlrev_b32_e32 v37, 4, v37
	v_xor_b32_e32 v70, v37, v19
	v_mul_lo_u32 v36, v66, s15
	v_or_b32_e32 v71, 0x1000, v70
	v_xor_b32_e32 v19, 8, v70
	s_cmpk_eq_i32 s15, 0x80
	s_mov_b32 s56, s14
	v_xor_b32_e32 v37, 8, v71
	s_cselect_b64 s[0:1], -1, 0
	s_cmpk_lg_i32 s15, 0x80
	s_waitcnt vmcnt(3)
	ds_write_b64 v70, v[20:21] offset:24576
	ds_write_b64 v19, v[22:23] offset:24576
	s_waitcnt vmcnt(2)
	ds_write_b64 v70, v[24:25] offset:32768
	ds_write_b64 v19, v[26:27] offset:32768
	;; [unrolled: 3-line block ×4, first 2 shown]
	v_lshl_add_u32 v19, v36, 1, v67
	s_cbranch_scc0 .LBB444_29
; %bb.2:
	v_lshlrev_b32_e32 v21, 1, v19
	v_add_lshl_u32 v20, v19, s15, 1
	s_lshl_b32 s22, s15, 7
	v_lshl_or_b32 v18, v66, 9, v18
	s_cbranch_execz .LBB444_30
	s_branch .LBB444_31
.LBB444_3:
	s_waitcnt vmcnt(0)
	v_mov_b32_e32 v19, v5
	v_mov_b32_e32 v18, v9
	;; [unrolled: 1-line block ×4, first 2 shown]
.LBB444_4:
	s_lshl_b32 s26, s49, 6
	s_sub_i32 s27, s12, s26
	s_cmp_gt_i32 s27, 0
	s_cbranch_scc0 .LBB444_84
; %bb.5:
	s_ashr_i32 s3, s26, 31
	s_cmpk_lg_i32 s15, 0x80
	s_cselect_b64 s[22:23], -1, 0
	s_and_b64 vcc, exec, s[22:23]
	s_cbranch_vccz .LBB444_7
; %bb.6:
	s_mul_i32 s1, s48, s12
	s_mul_hi_i32 s0, s48, s12
	s_add_u32 s1, s1, s26
	s_addc_u32 s0, s0, s3
	s_mul_i32 s17, s1, s51
	s_mul_hi_u32 s20, s1, s14
	s_add_i32 s17, s20, s17
	s_mul_i32 s0, s0, s14
	s_add_i32 s17, s17, s0
	s_mul_i32 s1, s1, s14
	s_ashr_i32 s0, s52, 31
	s_add_u32 s24, s1, s52
	s_addc_u32 s25, s17, s0
	s_cbranch_execz .LBB444_8
	s_branch .LBB444_9
.LBB444_7:
                                        ; implicit-def: $sgpr24_sgpr25
.LBB444_8:
	s_mul_hi_i32 s0, s48, s14
	s_mul_i32 s48, s48, s14
	s_ashr_i32 s1, s52, 31
	s_add_u32 s14, s48, s52
	s_addc_u32 s0, s0, s1
	s_mul_i32 s1, s14, s47
	s_mul_hi_u32 s17, s14, s12
	s_add_i32 s1, s17, s1
	s_mul_i32 s0, s0, s12
	s_add_i32 s1, s1, s0
	s_mul_i32 s14, s14, s12
	s_add_u32 s24, s14, s26
	s_addc_u32 s25, s1, s3
.LBB444_9:
	s_mul_i32 s0, s36, s47
	s_add_i32 s0, s55, s0
	s_add_i32 s14, s53, s49
	;; [unrolled: 1-line block ×3, first 2 shown]
	s_add_u32 s0, s16, s26
	s_addc_u32 s1, s1, s3
	v_lshlrev_b32_e32 v21, 5, v64
	v_lshlrev_b32_e32 v22, 2, v61
	s_mov_b32 s3, 0x7060302
	v_xor_b32_e32 v5, v64, v22
	v_xor_b32_e32 v23, v65, v22
	v_perm_b32 v13, v9, v12, s3
	v_or_b32_e32 v9, v21, v22
	s_lshl_b64 s[20:21], s[0:1], 8
	v_perm_b32 v17, v20, v16, s3
	v_perm_b32 v16, v15, v14, s3
	v_perm_b32 v12, v11, v10, s3
	v_lshlrev_b32_e32 v9, 1, v9
	v_lshlrev_b32_e32 v10, 1, v5
	;; [unrolled: 1-line block ×4, first 2 shown]
	s_add_u32 s0, s6, s20
	ds_write2st64_b64 v9, v[16:17], v[12:13] offset0:80 offset1:88
	v_or_b32_e32 v9, v10, v5
	v_or_b32_e32 v5, v11, v5
	s_addc_u32 s1, s7, s21
	ds_write_b64 v9, v[16:17]
	ds_write_b64 v5, v[12:13]
	v_perm_b32 v9, v18, v8, s3
	v_perm_b32 v8, v7, v6, s3
	;; [unrolled: 1-line block ×4, first 2 shown]
	s_mul_hi_i32 s3, s14, s13
	s_mul_i32 s14, s14, s13
	s_add_u32 s6, s14, s46
	v_or_b32_e32 v2, 16, v61
	s_addc_u32 s7, s3, s50
	v_lshlrev_b32_e32 v19, 2, v2
	s_ashr_i32 s3, s2, 31
	s_lshl_b64 s[6:7], s[6:7], 15
	v_or_b32_e32 v3, v21, v19
	s_add_u32 s6, s18, s6
	v_lshlrev_b32_e32 v3, 1, v3
	v_lshlrev_b32_e32 v2, 8, v2
	s_addc_u32 s7, s19, s7
	s_lshl_b64 s[2:3], s[2:3], 8
	ds_write2st64_b64 v3, v[8:9], v[4:5] offset0:80 offset1:88
	v_or_b32_e32 v3, v10, v2
	v_or_b32_e32 v2, v11, v2
	s_add_u32 s2, s6, s2
	ds_write_b64 v3, v[8:9]
	ds_write_b64 v2, v[4:5]
	v_lshrrev_b32_e32 v2, 4, v0
	s_addc_u32 s3, s7, s3
	v_lshlrev_b32_e32 v3, 1, v61
	v_lshlrev_b32_e32 v10, 4, v61
	v_mov_b32_e32 v11, 0
	v_or_b32_e32 v4, 1, v3
	v_xor_b32_e32 v3, v2, v3
	v_lshl_add_u64 v[12:13], s[2:3], 0, v[10:11]
	v_lshlrev_b32_e32 v10, 8, v2
	v_xor_b32_e32 v6, v4, v2
	v_lshl_or_b32 v2, v3, 3, v10
	s_waitcnt lgkmcnt(0)
	s_barrier
	ds_read2st64_b64 v[2:5], v2 offset1:8
	v_lshl_or_b32 v6, v6, 3, v10
	ds_read2st64_b64 v[6:9], v6 offset1:8
	v_lshl_add_u64 v[14:15], v[12:13], 0, v[10:11]
	s_movk_i32 s2, 0x1000
	s_waitcnt lgkmcnt(1)
	v_mov_b32_e32 v10, v2
	v_add_co_u32_e32 v2, vcc, s2, v14
	s_cmp_lg_u32 s27, 64
	v_mov_b32_e32 v11, v3
	v_addc_co_u32_e32 v3, vcc, 0, v15, vcc
	s_cselect_b64 s[6:7], -1, 0
	v_lshl_or_b32 v23, v59, 3, v63
	s_waitcnt lgkmcnt(0)
	v_mov_b32_e32 v12, v6
	v_mov_b32_e32 v13, v7
	v_mov_b32_e32 v6, v4
	v_mov_b32_e32 v7, v5
	s_mov_b32 s16, 0
	v_or_b32_e32 v20, 32, v23
	v_and_b32_e32 v18, 56, v62
	s_and_b64 vcc, exec, s[6:7]
	global_store_dwordx4 v[14:15], v[10:13], off
	global_store_dwordx4 v[2:3], v[6:9], off
	s_cbranch_vccz .LBB444_15
; %bb.10:
	s_mov_b32 s17, s16
	s_mov_b32 s18, s16
	;; [unrolled: 1-line block ×3, first 2 shown]
	v_mov_b64_e32 v[6:7], s[16:17]
	v_mov_b64_e32 v[8:9], s[18:19]
	;; [unrolled: 1-line block ×3, first 2 shown]
	v_cmp_gt_i32_e32 vcc, s27, v23
	v_mov_b64_e32 v[4:5], v[8:9]
	s_and_saveexec_b64 s[2:3], vcc
	s_cbranch_execz .LBB444_12
; %bb.11:
	v_lshlrev_b32_e32 v2, 8, v23
	v_mov_b32_e32 v3, 0
	v_lshl_add_u64 v[4:5], s[0:1], 0, v[2:3]
	v_lshlrev_b32_e32 v2, 1, v18
	v_lshl_add_u64 v[10:11], v[4:5], 0, v[2:3]
	global_load_dwordx4 v[6:9], v[10:11], off
	global_load_dwordx4 v[2:5], v[10:11], off offset:128
.LBB444_12:
	s_or_b64 exec, exec, s[2:3]
	s_mov_b32 s17, s16
	s_mov_b32 s18, s16
	;; [unrolled: 1-line block ×3, first 2 shown]
	v_mov_b64_e32 v[14:15], s[16:17]
	v_mov_b64_e32 v[16:17], s[18:19]
	;; [unrolled: 1-line block ×3, first 2 shown]
	v_cmp_gt_i32_e32 vcc, s27, v20
	v_lshlrev_b32_e32 v21, 7, v20
	v_mov_b64_e32 v[12:13], v[16:17]
	s_and_saveexec_b64 s[2:3], vcc
	s_cbranch_execz .LBB444_14
; %bb.13:
	v_lshlrev_b32_e32 v10, 1, v21
	v_mov_b32_e32 v11, 0
	v_lshl_add_u64 v[12:13], s[0:1], 0, v[10:11]
	v_lshlrev_b32_e32 v10, 1, v18
	v_lshl_add_u64 v[24:25], v[12:13], 0, v[10:11]
	global_load_dwordx4 v[14:17], v[24:25], off
	global_load_dwordx4 v[10:13], v[24:25], off offset:128
.LBB444_14:
	s_or_b64 exec, exec, s[2:3]
	v_lshrrev_b32_e32 v24, 3, v18
	v_lshlrev_b32_e32 v25, 3, v23
	v_or_b32_e32 v24, v25, v24
	v_lshlrev_b32_e32 v24, 4, v24
	v_and_b32_e32 v25, 0x78, v25
	v_xor_b32_e32 v24, v24, v25
	s_branch .LBB444_17
.LBB444_15:
                                        ; implicit-def: $vgpr24
                                        ; implicit-def: $vgpr21
                                        ; implicit-def: $vgpr6_vgpr7_vgpr8_vgpr9
                                        ; implicit-def: $vgpr2_vgpr3_vgpr4_vgpr5
                                        ; implicit-def: $vgpr14_vgpr15_vgpr16_vgpr17
                                        ; implicit-def: $vgpr10_vgpr11_vgpr12_vgpr13
	s_cbranch_execz .LBB444_17
; %bb.16:
	s_waitcnt vmcnt(0)
	v_lshlrev_b32_e32 v2, 1, v18
	v_lshl_or_b32 v21, v23, 8, v2
	s_and_b32 s1, s1, 0xffff
	s_mov_b32 s3, 0x20000
	s_movk_i32 s2, 0x4000
	v_lshl_or_b32 v24, v20, 8, v2
	s_movk_i32 s13, 0x80
	buffer_load_dwordx4 v[6:9], v21, s[0:3], 0 offen
	buffer_load_dwordx4 v[2:5], v21, s[0:3], s13 offen
	;; [unrolled: 1-line block ×4, first 2 shown]
	v_lshrrev_b32_e32 v21, 3, v18
	v_lshlrev_b32_e32 v24, 3, v23
	v_or_b32_e32 v21, v24, v21
	v_lshlrev_b32_e32 v21, 4, v21
	v_and_b32_e32 v24, 0x78, v24
	v_xor_b32_e32 v24, v21, v24
	v_lshlrev_b32_e32 v21, 7, v20
.LBB444_17:
	s_lshl_b64 s[0:1], s[24:25], 8
	s_add_u32 s4, s4, s0
	s_movk_i32 s0, 0x1000
	v_and_or_b32 v20, v21, s0, v24
	s_waitcnt vmcnt(1)
	ds_write_b64 v24, v[6:7] offset:24576
	v_xor_b32_e32 v6, 8, v24
	ds_write_b64 v6, v[8:9] offset:24576
	s_waitcnt vmcnt(0)
	ds_write_b64 v24, v[2:3] offset:32768
	ds_write_b64 v6, v[4:5] offset:32768
	;; [unrolled: 1-line block ×3, first 2 shown]
	v_xor_b32_e32 v2, 8, v20
	ds_write_b64 v2, v[16:17] offset:24576
	ds_write_b64 v20, v[10:11] offset:32768
	;; [unrolled: 1-line block ×3, first 2 shown]
	v_or_b32_e32 v2, v1, v61
	v_lshlrev_b32_e32 v3, 11, v59
	v_lshlrev_b32_e32 v2, 3, v2
	v_and_b32_e32 v6, 0x1000, v3
	v_lshrrev_b32_e32 v3, 5, v58
	s_movk_i32 s3, 0xf8
	v_and_or_b32 v3, v2, s3, v3
	v_lshlrev_b32_e32 v7, 4, v3
	v_and_b32_e32 v8, 0x78, v2
	v_or_b32_e32 v10, 32, v7
	v_lshrrev_b32_e32 v3, 1, v58
	v_xor_b32_e32 v10, v10, v8
	v_xor_b32_e32 v2, v7, v8
	v_and_b32_e32 v9, 8, v3
	v_or_b32_e32 v10, v10, v6
	v_or_b32_e32 v2, v2, v6
	v_xor_b32_e32 v26, v10, v9
	v_or_b32_e32 v10, 64, v7
	v_xor_b32_e32 v25, v2, v9
	v_xor_b32_e32 v10, v10, v8
	s_waitcnt lgkmcnt(0)
	s_barrier
	v_or_b32_e32 v12, v10, v6
	ds_read_b64 v[10:11], v25 offset:24576
	v_lshl_or_b32 v20, v60, 7, v22
	v_lshlrev_b32_e32 v24, 1, v20
	v_add_u32_e32 v2, 0xa000, v24
	ds_read2_b64 v[2:5], v2 offset1:16
	v_or_b32_e32 v7, 0x60, v7
	v_xor_b32_e32 v7, v7, v8
	s_waitcnt lgkmcnt(0)
	v_mfma_f32_16x16x16_bf16 a[0:3], v[10:11], v[2:3], 0
	v_or_b32_e32 v2, 64, v20
	v_or_b32_e32 v6, v7, v6
	v_lshlrev_b32_e32 v29, 1, v2
	v_xor_b32_e32 v27, v12, v9
	v_xor_b32_e32 v28, v6, v9
	ds_read_b64 v[12:13], v26 offset:24576
	ds_read_b64 v[14:15], v27 offset:24576
	;; [unrolled: 1-line block ×3, first 2 shown]
	v_mfma_f32_16x16x16_bf16 a[4:7], v[10:11], v[4:5], 0
	ds_read2st64_b64 v[2:5], v29 offset0:82 offset1:84
	ds_read2st64_b64 v[6:9], v24 offset0:82 offset1:84
	s_addc_u32 s5, s5, s1
	s_add_i32 s1, s42, s33
	s_add_i32 s0, s12, -1
	s_add_i32 s31, s1, s43
	s_add_i32 s1, s44, s37
	;; [unrolled: 1-line block ×3, first 2 shown]
	s_ashr_i32 s1, s0, 31
	s_mul_i32 s2, s0, s29
	s_mul_hi_u32 s3, s0, s28
	s_add_i32 s2, s3, s2
	s_mul_i32 s1, s1, s28
	s_waitcnt lgkmcnt(1)
	v_mfma_f32_16x16x16_bf16 a[4:7], v[12:13], v[2:3], a[4:7]
	s_add_i32 s1, s2, s1
	s_lshl_b64 s[2:3], s[30:31], 2
	s_add_u32 s10, s10, s2
	s_waitcnt lgkmcnt(0)
	v_mfma_f32_16x16x16_bf16 a[0:3], v[12:13], v[6:7], a[0:3]
	s_addc_u32 s11, s11, s3
	s_lshl_b64 s[2:3], s[34:35], 2
	s_mul_i32 s0, s0, s28
	s_add_u32 s10, s10, s2
	ds_read_b64 v[2:3], v24 offset:44032
	v_mfma_f32_16x16x16_bf16 a[4:7], v[14:15], v[4:5], a[4:7]
	ds_read_b64 v[4:5], v29 offset:44032
	s_addc_u32 s11, s11, s3
	s_lshl_b64 s[0:1], s[0:1], 2
	v_mfma_f32_16x16x16_bf16 a[0:3], v[14:15], v[8:9], a[0:3]
	s_add_u32 s0, s10, s0
	s_addc_u32 s1, s11, s1
	s_load_dword s12, s[0:1], 0x0
	s_waitcnt lgkmcnt(0)
	v_mfma_f32_16x16x16_bf16 a[0:3], v[16:17], v[2:3], a[0:3]
	s_and_b64 vcc, exec, s[22:23]
	v_mfma_f32_16x16x16_bf16 a[4:7], v[16:17], v[4:5], a[4:7]
	s_cbranch_vccz .LBB444_28
; %bb.18:
	v_lshlrev_b32_e32 v20, 1, v23
	s_and_b64 vcc, exec, s[6:7]
	s_cbranch_vccz .LBB444_44
; %bb.19:
	v_cmp_gt_i32_e32 vcc, s27, v20
	v_mov_b32_e32 v6, 0
	v_mov_b32_e32 v2, 0
	v_mov_b32_e32 v3, 0
	v_mov_b32_e32 v4, 0
	v_mov_b32_e32 v5, 0
	s_and_saveexec_b64 s[0:1], vcc
	s_cbranch_execz .LBB444_21
; %bb.20:
	v_mad_i64_i32 v[2:3], s[2:3], s15, v20, 0
	v_lshl_add_u64 v[2:3], v[2:3], 1, s[4:5]
	v_lshlrev_b32_e32 v4, 1, v18
	v_mov_b32_e32 v5, 0
	v_lshl_add_u64 v[2:3], v[2:3], 0, v[4:5]
	global_load_dwordx4 v[2:5], v[2:3], off
.LBB444_21:
	s_or_b64 exec, exec, s[0:1]
	v_or_b32_e32 v21, 1, v20
	v_cmp_gt_i32_e64 s[0:1], s27, v21
	v_mov_b32_e32 v7, 0
	v_mov_b32_e32 v8, 0
	;; [unrolled: 1-line block ×3, first 2 shown]
	s_and_saveexec_b64 s[2:3], s[0:1]
	s_cbranch_execz .LBB444_23
; %bb.22:
	v_mad_i64_i32 v[6:7], s[16:17], s15, v21, 0
	v_lshl_add_u64 v[6:7], v[6:7], 1, s[4:5]
	v_lshlrev_b32_e32 v8, 1, v18
	v_mov_b32_e32 v9, 0
	v_lshl_add_u64 v[6:7], v[6:7], 0, v[8:9]
	global_load_dwordx4 v[6:9], v[6:7], off
.LBB444_23:
	s_or_b64 exec, exec, s[2:3]
	v_mov_b32_e32 v17, 0
	v_mov_b32_e32 v10, 0
	;; [unrolled: 1-line block ×5, first 2 shown]
	s_and_saveexec_b64 s[2:3], vcc
	s_cbranch_execz .LBB444_25
; %bb.24:
	v_mad_i64_i32 v[10:11], s[16:17], s15, v20, 0
	v_lshl_add_u64 v[10:11], v[10:11], 1, s[4:5]
	v_lshlrev_b32_e32 v12, 1, v18
	v_mov_b32_e32 v13, 0
	v_lshl_add_u64 v[10:11], v[10:11], 0, v[12:13]
	global_load_dwordx4 v[10:13], v[10:11], off offset:128
.LBB444_25:
	s_or_b64 exec, exec, s[2:3]
	v_mov_b32_e32 v16, 0
	v_mov_b32_e32 v15, 0
	;; [unrolled: 1-line block ×3, first 2 shown]
	s_and_saveexec_b64 s[2:3], s[0:1]
	s_cbranch_execz .LBB444_27
; %bb.26:
	v_mad_i64_i32 v[14:15], s[0:1], s15, v21, 0
	v_lshl_add_u64 v[14:15], v[14:15], 1, s[4:5]
	v_lshlrev_b32_e32 v16, 1, v18
	v_mov_b32_e32 v17, 0
	v_lshl_add_u64 v[14:15], v[14:15], 0, v[16:17]
	global_load_dwordx4 v[14:17], v[14:15], off offset:128
.LBB444_27:
	s_or_b64 exec, exec, s[2:3]
	s_branch .LBB444_46
.LBB444_28:
                                        ; implicit-def: $vgpr5
                                        ; implicit-def: $vgpr9
                                        ; implicit-def: $vgpr13
                                        ; implicit-def: $vgpr17
	v_lshrrev_b32_e32 v30, 2, v58
	s_branch .LBB444_47
.LBB444_29:
                                        ; implicit-def: $vgpr20
                                        ; implicit-def: $vgpr21
                                        ; implicit-def: $sgpr22
	v_lshl_or_b32 v18, v66, 9, v18
.LBB444_30:
	v_or_b32_e32 v20, 0x100, v18
	s_movk_i32 s22, 0x4000
	v_mov_b32_e32 v21, v18
.LBB444_31:
	s_mul_hi_u32 s20, s14, s12
	s_mul_i32 s21, s51, s12
	s_add_i32 s20, s20, s21
	s_mul_i32 s21, s14, s12
	s_mul_i32 s23, s21, s3
	s_mul_hi_u32 s24, s21, s48
	s_add_i32 s23, s24, s23
	s_mul_i32 s20, s20, s48
	s_add_i32 s23, s23, s20
	s_mul_i32 s21, s21, s48
	s_ashr_i32 s57, s52, 31
	s_add_u32 s20, s21, s52
	s_addc_u32 s21, s23, s57
	s_lshl_b64 s[20:21], s[20:21], 8
	s_add_u32 s20, s4, s20
	s_addc_u32 s21, s5, s21
	s_and_b32 s21, s21, 0xffff
	s_mov_b32 s23, 0x20000
	s_movk_i32 s58, 0x80
	buffer_load_dwordx4 v[22:25], v21, s[20:23], 0 offen
	buffer_load_dwordx4 v[26:29], v21, s[20:23], s58 offen
	;; [unrolled: 1-line block ×4, first 2 shown]
	v_and_b32_e32 v20, 6, v0
	v_lshlrev_b32_e32 v39, 6, v64
	v_or_b32_e32 v41, 16, v61
	v_xor_b32_e32 v42, v66, v20
	v_and_b32_e32 v21, 1, v0
	v_lshl_or_b32 v45, v61, 3, v39
	v_lshl_or_b32 v39, v41, 3, v39
	v_lshlrev_b32_e32 v42, 2, v42
	s_mul_i32 s3, s3, s12
	s_mul_hi_u32 s20, s48, s12
	v_lshlrev_b32_e32 v38, 2, v61
	v_or_b32_e32 v74, 0xa000, v39
	v_or_b32_e32 v75, 0xb000, v39
	v_xor_b32_e32 v39, 0x440, v42
	v_cmp_eq_u32_e32 vcc, 0, v21
	v_xor_b32_e32 v43, v64, v38
	v_xor_b32_e32 v44, v65, v38
	v_cndmask_b32_e32 v21, v39, v42, vcc
	s_add_i32 s63, s20, s3
	s_add_i32 s3, s42, s33
	s_mov_b32 s60, 0x1000504
	v_lshlrev_b32_e32 v40, 8, v61
	v_lshlrev_b32_e32 v43, 1, v43
	;; [unrolled: 1-line block ×3, first 2 shown]
	v_lshl_or_b32 v20, v20, 10, v21
	s_add_i32 s31, s3, s43
	s_add_i32 s3, s44, s37
	s_mov_b32 s61, 0x3020706
	v_or_b32_e32 v72, 0xa000, v45
	v_or_b32_e32 v73, 0xb000, v45
	;; [unrolled: 1-line block ×4, first 2 shown]
	v_xor_b32_e32 v21, 8, v20
	v_xor_b32_e32 v40, 24, v20
	;; [unrolled: 1-line block ×4, first 2 shown]
	s_add_i32 s35, s3, s45
	s_lshl_b64 s[20:21], s[30:31], 2
	v_xor_b32_e32 v39, 16, v20
	v_xor_b32_e32 v42, 32, v20
	;; [unrolled: 1-line block ×3, first 2 shown]
	v_add_u32_e32 v21, 0x80, v21
	v_add_u32_e32 v40, 0x80, v40
	;; [unrolled: 1-line block ×4, first 2 shown]
	s_add_u32 s3, s10, s20
	s_addc_u32 s22, s11, s21
	s_lshl_b64 s[20:21], s[34:35], 2
	s_add_u32 s38, s3, s20
	s_movk_i32 s3, 0xf8
	s_addc_u32 s39, s22, s21
	s_lshl_b32 s26, s15, 7
	s_movk_i32 s24, 0x100
	v_mov_b32_e32 v53, 0
	v_lshlrev_b32_e32 v52, 4, v61
	v_cmp_gt_u32_e32 vcc, s24, v0
	v_ashrrev_i32_e32 v51, 31, v50
	s_mov_b32 s59, 0
	s_mul_i32 s62, s48, s12
	s_movk_i32 s31, 0x1000
	s_movk_i32 s22, 0x4000
	v_lshl_add_u64 v[54:55], v[50:51], 1, s[8:9]
	s_mov_b32 s64, 0
	s_waitcnt vmcnt(1)
	v_perm_b32 v48, v22, v30, s60
	s_waitcnt vmcnt(0)
	v_perm_b32 v49, v26, v34, s60
	v_perm_b32 v22, v22, v30, s61
	;; [unrolled: 1-line block ×15, first 2 shown]
	ds_write2st64_b32 v20, v48, v49 offset0:32 offset1:64
	ds_write2st64_b32 v21, v22, v26 offset0:32 offset1:64
	;; [unrolled: 1-line block ×8, first 2 shown]
	v_lshlrev_b32_e32 v20, 8, v41
	v_or_b32_e32 v78, v20, v43
	v_or_b32_e32 v79, v20, v44
	;; [unrolled: 1-line block ×3, first 2 shown]
	v_lshlrev_b32_e32 v20, 3, v20
	v_lshrrev_b32_e32 v23, 5, v58
	v_and_or_b32 v23, v20, s3, v23
	v_lshlrev_b32_e32 v23, 4, v23
	v_lshlrev_b32_e32 v21, 11, v59
	v_and_b32_e32 v20, 0x78, v20
	v_or_b32_e32 v28, 32, v23
	v_and_b32_e32 v22, 0x1000, v21
	v_lshrrev_b32_e32 v25, 1, v0
	v_xor_b32_e32 v28, v28, v20
	v_and_b32_e32 v26, 8, v25
	v_or_b32_e32 v28, v28, v22
	v_xor_b32_e32 v24, v23, v20
	v_xor_b32_e32 v82, v28, v26
	v_or_b32_e32 v28, 64, v23
	v_or_b32_e32 v23, 0x60, v23
	s_ashr_i32 s3, s2, 31
	v_xor_b32_e32 v28, v28, v20
	v_xor_b32_e32 v20, v23, v20
	s_lshl_b64 s[20:21], s[2:3], 8
	v_or_b32_e32 v24, v24, v22
	v_or_b32_e32 v28, v28, v22
	;; [unrolled: 1-line block ×3, first 2 shown]
	s_add_u32 s20, s18, s20
	v_lshlrev_b32_e32 v22, 1, v61
	v_xor_b32_e32 v84, v28, v26
	v_lshrrev_b32_e32 v28, 4, v0
	s_addc_u32 s21, s19, s21
	v_or_b32_e32 v23, 1, v22
	v_mov_b32_e32 v32, 0x4000
	v_mov_b32_e32 v33, 0x2000
	v_xor_b32_e32 v29, v28, v22
	v_xor_b32_e32 v30, v23, v28
	v_lshl_add_u64 v[22:23], s[20:21], 0, v[52:53]
	v_lshlrev_b32_e32 v52, 8, v28
	v_cndmask_b32_e32 v32, v32, v33, vcc
	v_lshlrev_b32_e32 v33, 3, v59
	v_and_b32_e32 v25, 24, v25
	v_lshl_or_b32 v88, v29, 3, v52
	v_and_b32_e32 v29, 8, v0
	v_xor_b32_e32 v34, v33, v25
	v_or_b32_e32 v35, 0x440, v34
	v_cmp_eq_u32_e32 vcc, 0, v29
	v_and_b32_e32 v28, 7, v0
	v_xor_b32_e32 v80, v24, v26
	v_cndmask_b32_e32 v29, v35, v34, vcc
	v_lshlrev_b32_e32 v24, 7, v60
	v_lshl_or_b32 v89, v30, 3, v52
	v_lshlrev_b32_e32 v30, 3, v28
	v_lshlrev_b32_e32 v28, 7, v28
	;; [unrolled: 1-line block ×3, first 2 shown]
	v_or_b32_e32 v29, v29, v21
	v_or_b32_e32 v27, v24, v38
	v_xad_u32 v90, v29, v30, v28
	v_and_or_b32 v24, v31, 60, v24
	v_mov_b32_e32 v29, 0xb000
	v_lshl_or_b32 v91, v24, 1, v29
	v_or_b32_e32 v24, 32, v25
	v_xor_b32_e32 v24, v33, v24
	v_or_b32_e32 v29, 0x440, v24
	v_cndmask_b32_e32 v24, v29, v24, vcc
	v_or_b32_e32 v24, v24, v21
	v_xad_u32 v92, v24, v30, v28
	v_or_b32_e32 v24, 64, v25
	v_xor_b32_e32 v24, v33, v24
	v_xor_b32_e32 v29, 0x440, v24
	v_cndmask_b32_e32 v24, v29, v24, vcc
	v_or_b32_e32 v24, v24, v21
	v_xad_u32 v93, v24, v30, v28
	v_or_b32_e32 v24, 0x60, v25
	v_xor_b32_e32 v24, v33, v24
	v_xor_b32_e32 v25, 0x440, v24
	v_cndmask_b32_e32 v24, v25, v24, vcc
	v_lshlrev_b32_e32 v27, 1, v27
	v_or_b32_e32 v21, v24, v21
	v_or_b32_e32 v81, 0xa000, v27
	;; [unrolled: 1-line block ×3, first 2 shown]
	v_xor_b32_e32 v85, v20, v26
	v_or_b32_e32 v86, 0xb000, v27
	v_or_b32_e32 v87, 0xb080, v27
	v_lshlrev_b32_e32 v20, 7, v64
	v_lshlrev_b32_e32 v26, 1, v19
	v_add_lshl_u32 v19, v19, s15, 1
	v_or_b32_e32 v27, 0x100, v18
	v_xad_u32 v94, v21, v30, v28
	v_cndmask_b32_e64 v95, v26, v18, s[0:1]
	v_cndmask_b32_e64 v96, v19, v27, s[0:1]
	v_lshl_add_u64 v[56:57], v[22:23], 0, v[52:53]
	s_mov_b32 s3, 0x7060302
	v_lshlrev_b32_e32 v52, 1, v20
	v_add_u32_e32 v51, v32, v90
	v_add_u32_e32 v97, v32, v92
	;; [unrolled: 1-line block ×4, first 2 shown]
	s_waitcnt lgkmcnt(0)
	s_barrier
.LBB444_32:                             ; =>This Inner Loop Header: Depth=1
	s_add_i32 s35, s64, 1
	s_cmp_lt_i32 s35, s49
	s_mov_b64 s[24:25], 0
	s_cselect_b64 s[40:41], -1, 0
	s_cmp_ge_i32 s35, s49
	s_mov_b64 s[20:21], 0
	s_cbranch_scc1 .LBB444_34
; %bb.33:                               ;   in Loop: Header=BB444_32 Depth=1
	s_add_i32 s0, s59, 64
	s_add_u32 s0, s16, s0
	s_addc_u32 s1, s17, 0
	s_lshl_b64 s[0:1], s[0:1], 8
	s_add_u32 s20, s6, s0
	s_addc_u32 s21, s7, s1
.LBB444_34:                             ;   in Loop: Header=BB444_32 Depth=1
	v_cndmask_b32_e64 v18, 0, 1, s[40:41]
	v_cmp_ne_u32_e64 s[0:1], 1, v18
	s_andn2_b64 vcc, exec, s[40:41]
	s_cbranch_vccnz .LBB444_36
; %bb.35:                               ;   in Loop: Header=BB444_32 Depth=1
	s_add_i32 s24, s59, 64
	s_add_u32 s24, s62, s24
	s_addc_u32 s25, s63, 0
	s_mul_i32 s27, s24, s51
	s_mul_hi_u32 s40, s24, s56
	s_add_i32 s27, s40, s27
	s_mul_i32 s25, s25, s56
	s_add_i32 s27, s27, s25
	s_mul_i32 s24, s24, s56
	s_add_u32 s24, s24, s52
	s_addc_u32 s25, s27, s57
	s_lshl_b64 s[24:25], s[24:25], 8
	s_add_u32 s24, s4, s24
	s_addc_u32 s25, s5, s25
.LBB444_36:                             ;   in Loop: Header=BB444_32 Depth=1
	v_perm_b32 v19, v17, v16, s3
	v_perm_b32 v18, v15, v14, s3
	;; [unrolled: 1-line block ×4, first 2 shown]
	ds_write_b64 v72, v[18:19]
	ds_write_b64 v73, v[20:21]
	;; [unrolled: 1-line block ×4, first 2 shown]
	v_perm_b32 v19, v9, v8, s3
	v_perm_b32 v18, v7, v6, s3
	;; [unrolled: 1-line block ×4, first 2 shown]
	ds_write_b64 v74, v[18:19]
	ds_write_b64 v75, v[20:21]
	;; [unrolled: 1-line block ×4, first 2 shown]
	s_waitcnt lgkmcnt(0)
	s_barrier
	ds_read_b64 v[22:23], v80 offset:24576
	ds_read2_b64 v[18:21], v81 offset1:16
	ds_read_b64 v[26:27], v83 offset:3072
	ds_read_b64 v[28:29], v81 offset:3072
	;; [unrolled: 1-line block ×3, first 2 shown]
	s_waitcnt lgkmcnt(3)
	v_mfma_f32_16x16x16_bf16 a[0:3], v[22:23], v[18:19], 0
	s_add_i32 s27, s59, 63
	s_mul_i32 s40, s27, s29
	s_mul_hi_u32 s41, s27, s28
	v_mfma_f32_16x16x16_bf16 a[4:7], v[22:23], v[20:21], 0
	ds_read2st64_b64 v[18:21], v81 offset0:2 offset1:4
	ds_read2st64_b64 v[22:25], v83 offset0:2 offset1:4
	s_add_i32 s41, s41, s40
	s_waitcnt lgkmcnt(1)
	v_mfma_f32_16x16x16_bf16 a[0:3], v[30:31], v[18:19], a[0:3]
	s_mul_i32 s40, s27, s28
	s_lshl_b64 s[40:41], s[40:41], 2
	s_add_u32 s40, s38, s40
	s_waitcnt lgkmcnt(0)
	v_mfma_f32_16x16x16_bf16 a[4:7], v[30:31], v[22:23], a[4:7]
	ds_read_b64 v[18:19], v84 offset:24576
	ds_read_b64 v[22:23], v85 offset:24576
	s_addc_u32 s41, s39, s41
	s_and_b64 vcc, exec, s[0:1]
	s_waitcnt lgkmcnt(1)
	v_mfma_f32_16x16x16_bf16 a[0:3], v[18:19], v[20:21], a[0:3]
	v_mov_b32_e32 v102, 0
	v_mov_b32_e32 v101, 0
	;; [unrolled: 1-line block ×3, first 2 shown]
	v_mfma_f32_16x16x16_bf16 a[4:7], v[18:19], v[24:25], a[4:7]
	v_mov_b32_e32 v18, 0
	v_mov_b32_e32 v19, 0
	;; [unrolled: 1-line block ×3, first 2 shown]
	s_waitcnt lgkmcnt(0)
	v_mfma_f32_16x16x16_bf16 a[0:3], v[22:23], v[28:29], a[0:3]
	v_mov_b32_e32 v21, 0
	v_mov_b32_e32 v24, 0
	;; [unrolled: 1-line block ×3, first 2 shown]
	v_mfma_f32_16x16x16_bf16 a[4:7], v[22:23], v[26:27], a[4:7]
	v_mov_b32_e32 v22, 0
	v_mov_b32_e32 v23, 0
	;; [unrolled: 1-line block ×10, first 2 shown]
	s_cbranch_vccnz .LBB444_38
; %bb.37:                               ;   in Loop: Header=BB444_32 Depth=1
	s_and_b32 s21, s21, 0xffff
	buffer_load_dwordx4 v[30:33], v68, s[20:23], 0 offen
	buffer_load_dwordx4 v[26:29], v68, s[20:23], s58 offen
	buffer_load_dwordx4 v[22:25], v69, s[20:23], 0 offen
	buffer_load_dwordx4 v[18:21], v69, s[20:23], s58 offen
	v_mov_b32_e32 v101, v70
	v_mov_b32_e32 v100, v71
.LBB444_38:                             ;   in Loop: Header=BB444_32 Depth=1
	s_waitcnt vmcnt(4)
	ds_read_b64 v[38:39], v80 offset:32768
	s_waitcnt vmcnt(2)
	ds_read2_b64 v[34:37], v86 offset1:16
	ds_read_b64 v[42:43], v82 offset:32768
	ds_read_b64 v[44:45], v84 offset:32768
	;; [unrolled: 1-line block ×3, first 2 shown]
	v_add_u32_e32 v103, s59, v64
	s_waitcnt lgkmcnt(3)
	v_mfma_f32_16x16x16_bf16 a[0:3], v[38:39], v[34:35], a[0:3]
	v_mfma_f32_16x16x16_bf16 a[4:7], v[38:39], v[36:37], a[4:7]
	ds_read2st64_b64 v[34:37], v86 offset0:2 offset1:4
	ds_read2st64_b64 v[38:41], v87 offset0:2 offset1:4
	s_waitcnt lgkmcnt(1)
	v_mfma_f32_16x16x16_bf16 a[0:3], v[42:43], v[34:35], a[0:3]
	ds_read_b64 v[34:35], v86 offset:3072
	ds_read_b64 v[48:49], v87 offset:3072
	s_waitcnt lgkmcnt(2)
	v_mfma_f32_16x16x16_bf16 a[4:7], v[42:43], v[38:39], a[4:7]
	v_ashrrev_i32_e32 v38, 31, v103
	v_mul_lo_u32 v39, v103, s29
	v_mul_lo_u32 v38, v38, s28
	v_mfma_f32_16x16x16_bf16 a[0:3], v[44:45], v[36:37], a[0:3]
	v_mad_u64_u32 v[36:37], s[20:21], v103, s28, 0
	v_add3_u32 v37, v37, v39, v38
	v_lshl_add_u64 v[36:37], v[36:37], 2, s[38:39]
	global_load_dword v42, v[36:37], off
	v_add_u32_e32 v36, 1, v103
	v_ashrrev_i32_e32 v37, 31, v36
	s_waitcnt lgkmcnt(1)
	v_mfma_f32_16x16x16_bf16 a[0:3], v[46:47], v[34:35], a[0:3]
	v_mul_lo_u32 v37, v37, s28
	v_mul_lo_u32 v38, v36, s29
	v_mad_u64_u32 v[34:35], s[20:21], v36, s28, 0
	v_add_u32_e32 v36, 2, v103
	v_add3_u32 v35, v35, v38, v37
	v_ashrrev_i32_e32 v37, 31, v36
	v_mul_lo_u32 v38, v37, s28
	v_mul_lo_u32 v39, v36, s29
	v_mad_u64_u32 v[36:37], s[20:21], v36, s28, 0
	v_add3_u32 v37, v37, v39, v38
	v_add_u32_e32 v38, 3, v103
	v_ashrrev_i32_e32 v39, 31, v38
	v_mfma_f32_16x16x16_bf16 a[4:7], v[44:45], v[40:41], a[4:7]
	v_mul_lo_u32 v40, v39, s28
	v_mul_lo_u32 v41, v38, s29
	v_mad_u64_u32 v[38:39], s[20:21], v38, s28, 0
	s_add_u32 s20, s16, s59
	s_addc_u32 s21, s17, 0
	s_lshl_b64 s[20:21], s[20:21], 8
	v_add3_u32 v39, v39, v41, v40
	v_lshl_add_u64 v[40:41], v[54:55], 0, s[20:21]
	v_lshl_add_u64 v[34:35], v[34:35], 2, s[38:39]
	;; [unrolled: 1-line block ×4, first 2 shown]
	global_load_ushort v44, v[40:41], off
	global_load_ushort v43, v[40:41], off offset:256
	global_load_ushort v103, v[40:41], off offset:800
	;; [unrolled: 1-line block ×7, first 2 shown]
	v_lshl_add_u64 v[38:39], v[38:39], 2, s[38:39]
	global_load_dword v108, v[34:35], off
	global_load_dword v109, v[36:37], off
	;; [unrolled: 1-line block ×3, first 2 shown]
	s_load_dword s20, s[40:41], 0x0
	s_waitcnt lgkmcnt(0)
	v_mfma_f32_16x16x16_bf16 a[4:7], v[46:47], v[48:49], a[4:7]
	v_accvgpr_read_b32 v39, a1
	v_accvgpr_read_b32 v35, a3
	;; [unrolled: 1-line block ×4, first 2 shown]
	s_and_b64 vcc, exec, s[0:1]
	s_waitcnt vmcnt(11)
	v_sub_f32_e32 v48, s20, v42
	v_exp_f32_e32 v48, v48
	v_accvgpr_read_b32 v41, a5
	v_accvgpr_read_b32 v40, a4
	;; [unrolled: 1-line block ×4, first 2 shown]
	s_waitcnt vmcnt(10)
	v_lshlrev_b32_e32 v42, 16, v44
	s_waitcnt vmcnt(9)
	v_lshlrev_b32_e32 v43, 16, v43
	v_pk_add_f32 v[38:39], v[42:43], v[38:39] neg_lo:[0,1] neg_hi:[0,1]
	s_waitcnt vmcnt(7)
	v_lshlrev_b32_e32 v45, 16, v45
	v_mov_b32_e32 v42, 0
	s_waitcnt vmcnt(5)
	v_lshlrev_b32_e32 v44, 16, v104
	s_waitcnt vmcnt(4)
	v_lshlrev_b32_e32 v47, 16, v105
	s_waitcnt vmcnt(2)
	v_sub_f32_e32 v49, s20, v108
	s_waitcnt vmcnt(1)
	v_sub_f32_e32 v104, s20, v109
	;; [unrolled: 2-line block ×3, first 2 shown]
	v_exp_f32_e32 v49, v49
	v_exp_f32_e32 v104, v104
	;; [unrolled: 1-line block ×3, first 2 shown]
	v_pk_add_f32 v[34:35], v[44:45], v[34:35] neg_lo:[0,1] neg_hi:[0,1]
	v_lshlrev_b32_e32 v46, 16, v107
	v_pk_mul_f32 v[38:39], v[48:49], v[38:39]
	v_pk_mul_f32 v[34:35], v[104:105], v[34:35]
	v_mov_b32_e32 v43, 0
	v_perm_b32 v35, v35, v34, s3
	v_perm_b32 v34, v39, v38, s3
	v_pk_add_f32 v[38:39], v[46:47], v[40:41] neg_lo:[0,1] neg_hi:[0,1]
	v_lshlrev_b32_e32 v41, 16, v103
	v_lshlrev_b32_e32 v40, 16, v106
	v_pk_add_f32 v[36:37], v[40:41], v[36:37] neg_lo:[0,1] neg_hi:[0,1]
	v_pk_mul_f32 v[38:39], v[48:49], v[38:39]
	v_pk_mul_f32 v[36:37], v[104:105], v[36:37]
	v_mov_b32_e32 v103, 0
	v_perm_b32 v37, v37, v36, s3
	v_perm_b32 v36, v39, v38, s3
	ds_write2_b64 v73, v[34:35], v[36:37] offset1:16
	v_mov_b32_e32 v34, 0
	v_mov_b32_e32 v35, 0
	;; [unrolled: 1-line block ×14, first 2 shown]
	s_cbranch_vccnz .LBB444_40
; %bb.39:                               ;   in Loop: Header=BB444_32 Depth=1
	s_and_b32 s25, s25, 0xffff
	s_mov_b32 s27, s23
	buffer_load_dwordx4 v[46:49], v95, s[24:27], 0 offen
	buffer_load_dwordx4 v[38:41], v95, s[24:27], s58 offen
	buffer_load_dwordx4 v[42:45], v96, s[24:27], 0 offen
	buffer_load_dwordx4 v[34:37], v96, s[24:27], s58 offen
	v_mov_b32_e32 v102, v67
	v_mov_b32_e32 v103, v66
.LBB444_40:                             ;   in Loop: Header=BB444_32 Depth=1
	s_waitcnt lgkmcnt(0)
	s_barrier
	ds_read_b64 v[108:109], v51
	ds_read_b64 v[116:117], v91
	ds_read_b64 v[112:113], v97
	ds_read_b64 v[118:119], v98
	ds_read_b64 v[120:121], v99
	ds_read_b64 v[122:123], v92 offset:16384
	ds_read_b64 v[124:125], v90 offset:16384
	ds_read2_b64 v[104:107], v86 offset0:16 offset1:128
	s_waitcnt lgkmcnt(6)
	v_mfma_f32_16x16x16_bf16 a[0:3], v[108:109], v[116:117], 0
	ds_read_b64 v[126:127], v87 offset:3072
	ds_read_b64 v[128:129], v94 offset:16384
	s_add_i32 s21, s53, s64
	s_waitcnt lgkmcnt(2)
	v_mfma_f32_16x16x16_bf16 a[4:7], v[108:109], v[104:105], 0
	ds_read2st64_b64 v[108:111], v87 offset0:2 offset1:4
	s_mul_hi_i32 s25, s21, s13
	s_mul_i32 s21, s21, s13
	v_mfma_f32_16x16x16_bf16 a[0:3], v[112:113], v[106:107], a[0:3]
	s_add_u32 s24, s21, s46
	s_addc_u32 s25, s25, s50
	s_lshl_b64 s[24:25], s[24:25], 15
	s_waitcnt lgkmcnt(0)
	v_mfma_f32_16x16x16_bf16 a[4:7], v[112:113], v[108:109], a[4:7]
	ds_read2st64_b64 v[112:115], v86 offset0:4 offset1:6
	s_waitcnt lgkmcnt(0)
	v_mfma_f32_16x16x16_bf16 a[0:3], v[118:119], v[112:113], a[0:3]
	v_mfma_f32_16x16x16_bf16 a[8:11], v[118:119], v[110:111], a[4:7]
	;; [unrolled: 1-line block ×5, first 2 shown]
	ds_read2st64_b64 v[116:119], v89 offset1:8
	v_mfma_f32_16x16x16_bf16 a[12:15], v[124:125], v[104:105], 0
	ds_read_b64 v[124:125], v93 offset:16384
	v_mfma_f32_16x16x16_bf16 a[8:11], v[122:123], v[106:107], a[8:11]
	ds_read2st64_b64 v[104:107], v88 offset1:8
	s_waitcnt lgkmcnt(0)
	v_mov_b32_e32 v120, v104
	v_mfma_f32_16x16x16_bf16 a[12:15], v[122:123], v[108:109], a[12:15]
	v_lshl_add_u64 v[108:109], v[56:57], 0, s[24:25]
	v_add_co_u32_e32 v104, vcc, s31, v108
	v_mfma_f32_16x16x16_bf16 a[8:11], v[124:125], v[112:113], a[8:11]
	v_mov_b32_e32 v121, v105
	v_addc_co_u32_e32 v105, vcc, 0, v109, vcc
	v_mfma_f32_16x16x16_bf16 a[16:19], v[124:125], v[110:111], a[12:15]
	v_mov_b32_e32 v122, v116
	v_mov_b32_e32 v123, v117
	;; [unrolled: 1-line block ×3, first 2 shown]
	v_mfma_f32_16x16x16_bf16 a[12:15], v[128:129], v[114:115], a[8:11]
	v_mov_b32_e32 v117, v107
	s_and_b64 vcc, exec, s[0:1]
	global_store_dwordx4 v[108:109], v[120:123], off
	v_mfma_f32_16x16x16_bf16 a[8:11], v[128:129], v[126:127], a[16:19]
	global_store_dwordx4 v[104:105], v[116:119], off
	s_cbranch_vccnz .LBB444_42
; %bb.41:                               ;   in Loop: Header=BB444_32 Depth=1
	v_lshrrev_b32_e32 v104, 3, v102
	v_and_b32_e32 v104, 6, v104
	v_xor_b32_e32 v103, v104, v103
	v_lshlrev_b32_e32 v103, 2, v103
	v_and_b32_e32 v102, 8, v102
	v_xor_b32_e32 v105, 0x440, v103
	v_cmp_eq_u32_e32 vcc, 0, v102
	s_barrier
	s_nop 0
	v_cndmask_b32_e32 v102, v105, v103, vcc
	v_lshl_or_b32 v102, v104, 10, v102
	s_waitcnt vmcnt(3)
	v_perm_b32 v103, v46, v42, s60
	s_waitcnt vmcnt(2)
	v_perm_b32 v104, v38, v34, s60
	ds_write2st64_b32 v102, v103, v104 offset0:32 offset1:64
	v_xor_b32_e32 v103, 8, v102
	v_perm_b32 v42, v46, v42, s61
	v_perm_b32 v34, v38, v34, s61
	v_add_u32_e32 v38, 0x80, v103
	ds_write2st64_b32 v38, v42, v34 offset0:32 offset1:64
	v_xor_b32_e32 v34, 16, v102
	v_perm_b32 v38, v47, v43, s60
	v_perm_b32 v42, v39, v35, s60
	ds_write2st64_b32 v34, v38, v42 offset0:33 offset1:65
	v_xor_b32_e32 v34, 24, v102
	v_perm_b32 v38, v47, v43, s61
	v_perm_b32 v35, v39, v35, s61
	v_add_u32_e32 v34, 0x80, v34
	ds_write2st64_b32 v34, v38, v35 offset0:33 offset1:65
	v_xor_b32_e32 v34, 32, v102
	v_perm_b32 v35, v48, v44, s60
	v_perm_b32 v38, v40, v36, s60
	ds_write2st64_b32 v34, v35, v38 offset0:34 offset1:66
	v_xor_b32_e32 v34, 40, v102
	v_perm_b32 v35, v48, v44, s61
	v_perm_b32 v36, v40, v36, s61
	v_add_u32_e32 v34, 0x80, v34
	ds_write2st64_b32 v34, v35, v36 offset0:34 offset1:66
	v_xor_b32_e32 v34, 48, v102
	v_perm_b32 v35, v49, v45, s60
	v_perm_b32 v36, v41, v37, s60
	ds_write2st64_b32 v34, v35, v36 offset0:35 offset1:67
	v_xor_b32_e32 v34, 56, v102
	v_perm_b32 v35, v49, v45, s61
	v_perm_b32 v36, v41, v37, s61
	v_add_u32_e32 v34, 0x80, v34
	ds_write2st64_b32 v34, v35, v36 offset0:35 offset1:67
	ds_write_b64 v101, v[30:31] offset:24576
	v_xor_b32_e32 v30, 8, v101
	ds_write_b64 v30, v[32:33] offset:24576
	ds_write_b64 v101, v[26:27] offset:32768
	;; [unrolled: 1-line block ×4, first 2 shown]
	v_xor_b32_e32 v22, 8, v100
	ds_write_b64 v22, v[24:25] offset:24576
	ds_write_b64 v100, v[18:19] offset:32768
	;; [unrolled: 1-line block ×3, first 2 shown]
.LBB444_42:                             ;   in Loop: Header=BB444_32 Depth=1
	v_exp_f32_e32 v21, s20
	v_accvgpr_read_b32 v18, a4
	v_accvgpr_read_b32 v20, a7
	;; [unrolled: 1-line block ×3, first 2 shown]
	v_fma_f32 v14, v14, v21, v18
	v_accvgpr_read_b32 v18, a6
	v_fma_f32 v16, v16, v21, v18
	v_accvgpr_read_b32 v18, a3
	v_fmac_f32_e32 v18, v9, v21
	v_accvgpr_read_b32 v9, a12
	v_fma_f32 v10, v10, v21, v9
	v_accvgpr_read_b32 v9, a13
	v_fma_f32 v11, v11, v21, v9
	;; [unrolled: 2-line block ×3, first 2 shown]
	v_accvgpr_read_b32 v9, a15
	v_fmac_f32_e32 v20, v17, v21
	v_accvgpr_read_b32 v17, a0
	v_fmac_f32_e32 v9, v13, v21
	v_accvgpr_read_b32 v13, a8
	v_fma_f32 v6, v6, v21, v17
	v_accvgpr_read_b32 v17, a1
	v_fma_f32 v2, v2, v21, v13
	;; [unrolled: 2-line block ×3, first 2 shown]
	v_fma_f32 v7, v7, v21, v17
	v_accvgpr_read_b32 v17, a2
	v_fma_f32 v3, v3, v21, v13
	v_accvgpr_read_b32 v13, a10
	v_accvgpr_read_b32 v19, a11
	s_add_i32 s59, s59, 64
	v_fma_f32 v8, v8, v21, v17
	v_fma_f32 v4, v4, v21, v13
	s_cmp_eq_u32 s49, s35
	v_fmac_f32_e32 v19, v5, v21
	s_cbranch_scc1 .LBB444_4
; %bb.43:                               ;   in Loop: Header=BB444_32 Depth=1
	s_mov_b32 s64, s35
	v_mov_b32_e32 v17, v20
	v_mov_b32_e32 v13, v9
	;; [unrolled: 1-line block ×4, first 2 shown]
	s_branch .LBB444_32
.LBB444_44:
                                        ; implicit-def: $vgpr5
                                        ; implicit-def: $vgpr9
                                        ; implicit-def: $vgpr13
                                        ; implicit-def: $vgpr17
	s_cbranch_execz .LBB444_46
; %bb.45:
	s_waitcnt vmcnt(0)
	v_mad_u64_u32 v[2:3], s[0:1], v20, s15, v[18:19]
	v_lshlrev_b32_e32 v20, 1, v2
	s_lshl_b32 s2, s15, 7
	s_and_b32 s1, s5, 0xffff
	s_mov_b32 s3, 0x20000
	s_mov_b32 s0, s4
	v_add_lshl_u32 v21, v2, s15, 1
	s_movk_i32 s13, 0x80
	buffer_load_dwordx4 v[2:5], v20, s[0:3], 0 offen
	buffer_load_dwordx4 v[10:13], v20, s[0:3], s13 offen
	;; [unrolled: 1-line block ×4, first 2 shown]
.LBB444_46:
	v_lshrrev_b32_e32 v30, 2, v58
	s_cbranch_execnz .LBB444_59
.LBB444_47:
	s_and_b64 vcc, exec, s[6:7]
	s_cbranch_vccz .LBB444_57
; %bb.48:
	s_waitcnt vmcnt(0)
	v_lshlrev_b32_e32 v7, 1, v23
	v_cmp_gt_i32_e32 vcc, s27, v7
	v_mov_b32_e32 v6, 0
	v_lshlrev_b32_e32 v14, 9, v23
	v_mov_b32_e32 v2, 0
	v_mov_b32_e32 v3, 0
	v_mov_b32_e32 v4, 0
	v_mov_b32_e32 v5, 0
	s_and_saveexec_b64 s[0:1], vcc
	s_cbranch_execz .LBB444_50
; %bb.49:
	v_mov_b32_e32 v15, 0
	v_lshl_add_u64 v[2:3], s[4:5], 0, v[14:15]
	v_lshlrev_b32_e32 v4, 1, v18
	v_mov_b32_e32 v5, v15
	v_lshl_add_u64 v[2:3], v[2:3], 0, v[4:5]
	global_load_dwordx4 v[2:5], v[2:3], off
.LBB444_50:
	s_or_b64 exec, exec, s[0:1]
	v_or_b32_e32 v7, 1, v7
	v_cmp_gt_i32_e64 s[0:1], s27, v7
	v_lshlrev_b32_e32 v20, 8, v7
	v_mov_b32_e32 v7, 0
	v_mov_b32_e32 v8, 0
	;; [unrolled: 1-line block ×3, first 2 shown]
	s_and_saveexec_b64 s[2:3], s[0:1]
	s_cbranch_execz .LBB444_52
; %bb.51:
	v_mov_b32_e32 v21, 0
	v_lshl_add_u64 v[6:7], s[4:5], 0, v[20:21]
	v_lshlrev_b32_e32 v8, 1, v18
	v_mov_b32_e32 v9, v21
	v_lshl_add_u64 v[6:7], v[6:7], 0, v[8:9]
	global_load_dwordx4 v[6:9], v[6:7], off
.LBB444_52:
	s_or_b64 exec, exec, s[2:3]
	v_mov_b32_e32 v17, 0
	v_mov_b32_e32 v10, 0
	;; [unrolled: 1-line block ×5, first 2 shown]
	s_and_saveexec_b64 s[2:3], vcc
	s_cbranch_execz .LBB444_54
; %bb.53:
	v_mov_b32_e32 v15, 0
	v_lshl_add_u64 v[10:11], s[4:5], 0, v[14:15]
	v_lshlrev_b32_e32 v14, 1, v18
	v_lshl_add_u64 v[10:11], v[10:11], 0, v[14:15]
	global_load_dwordx4 v[10:13], v[10:11], off offset:128
.LBB444_54:
	s_or_b64 exec, exec, s[2:3]
	v_mov_b32_e32 v16, 0
	v_mov_b32_e32 v15, 0
	;; [unrolled: 1-line block ×3, first 2 shown]
	s_and_saveexec_b64 s[2:3], s[0:1]
	s_cbranch_execz .LBB444_56
; %bb.55:
	v_mov_b32_e32 v21, 0
	v_lshl_add_u64 v[14:15], s[4:5], 0, v[20:21]
	v_lshlrev_b32_e32 v20, 1, v18
	v_lshl_add_u64 v[14:15], v[14:15], 0, v[20:21]
	global_load_dwordx4 v[14:17], v[14:15], off offset:128
.LBB444_56:
	s_or_b64 exec, exec, s[2:3]
	s_branch .LBB444_59
.LBB444_57:
                                        ; implicit-def: $vgpr5
                                        ; implicit-def: $vgpr9
                                        ; implicit-def: $vgpr13
                                        ; implicit-def: $vgpr17
	s_cbranch_execz .LBB444_59
; %bb.58:
	s_waitcnt vmcnt(0)
	v_lshlrev_b32_e32 v2, 1, v18
	v_lshl_or_b32 v18, v23, 9, v2
	s_and_b32 s5, s5, 0xffff
	s_mov_b32 s7, 0x20000
	s_movk_i32 s6, 0x4000
	s_movk_i32 s0, 0x80
	buffer_load_dwordx4 v[2:5], v18, s[4:7], 0 offen
	buffer_load_dwordx4 v[6:9], v18, s[4:7], 0 offen offset:256
	buffer_load_dwordx4 v[10:13], v18, s[4:7], s0 offen
	buffer_load_dwordx4 v[14:17], v18, s[4:7], s0 offen offset:256
.LBB444_59:
	ds_read_b64 v[20:21], v25 offset:32768
	v_add_u32_e32 v18, 0xb000, v24
	ds_read2_b64 v[32:35], v18 offset1:16
	ds_read_b64 v[40:41], v26 offset:32768
	ds_read_b64 v[26:27], v27 offset:32768
	;; [unrolled: 1-line block ×3, first 2 shown]
	v_and_b32_e32 v18, 6, v0
	v_xor_b32_e32 v23, v23, v18
	v_lshlrev_b32_e32 v23, 2, v23
	v_and_b32_e32 v0, 1, v0
	v_xor_b32_e32 v28, 0x440, v23
	v_cmp_eq_u32_e32 vcc, 0, v0
	s_waitcnt lgkmcnt(3)
	v_mfma_f32_16x16x16_bf16 a[0:3], v[20:21], v[32:33], a[0:3]
	s_mov_b32 s0, 0x1000504
	v_cndmask_b32_e32 v0, v28, v23, vcc
	v_lshl_or_b32 v0, v18, 10, v0
	v_mfma_f32_16x16x16_bf16 a[4:7], v[20:21], v[34:35], a[4:7]
	ds_read2st64_b64 v[32:35], v24 offset0:90 offset1:92
	ds_read2st64_b64 v[36:39], v29 offset0:90 offset1:92
	ds_read_b64 v[20:21], v24 offset:48128
	ds_read_b64 v[24:25], v29 offset:48128
	s_waitcnt vmcnt(0)
	v_perm_b32 v18, v2, v6, s0
	s_waitcnt lgkmcnt(3)
	v_mfma_f32_16x16x16_bf16 a[0:3], v[40:41], v[32:33], a[0:3]
	s_mov_b32 s1, 0x3020706
	v_perm_b32 v2, v2, v6, s1
	v_perm_b32 v6, v10, v14, s1
	s_waitcnt lgkmcnt(2)
	v_mfma_f32_16x16x16_bf16 a[4:7], v[40:41], v[36:37], a[4:7]
	v_mfma_f32_16x16x16_bf16 a[0:3], v[26:27], v[34:35], a[0:3]
	;; [unrolled: 1-line block ×3, first 2 shown]
	s_waitcnt lgkmcnt(1)
	v_mfma_f32_16x16x16_bf16 a[4:7], v[42:43], v[20:21], a[0:3]
	v_perm_b32 v20, v10, v14, s0
	ds_write2st64_b32 v0, v18, v20 offset0:32 offset1:64
	v_xor_b32_e32 v18, 8, v0
	v_add_u32_e32 v10, 0x80, v18
	ds_write2st64_b32 v10, v2, v6 offset0:32 offset1:64
	v_xor_b32_e32 v2, 16, v0
	v_perm_b32 v6, v3, v7, s0
	v_perm_b32 v10, v11, v15, s0
	ds_write2st64_b32 v2, v6, v10 offset0:33 offset1:65
	v_xor_b32_e32 v2, 24, v0
	v_perm_b32 v3, v3, v7, s1
	v_perm_b32 v6, v11, v15, s1
	v_add_u32_e32 v2, 0x80, v2
	ds_write2st64_b32 v2, v3, v6 offset0:33 offset1:65
	v_xor_b32_e32 v2, 32, v0
	v_perm_b32 v3, v4, v8, s0
	v_perm_b32 v6, v12, v16, s0
	s_waitcnt lgkmcnt(4)
	v_mfma_f32_16x16x16_bf16 a[0:3], v[42:43], v[24:25], a[8:11]
	ds_write2st64_b32 v2, v3, v6 offset0:34 offset1:66
	v_xor_b32_e32 v2, 40, v0
	v_perm_b32 v3, v4, v8, s1
	v_perm_b32 v4, v12, v16, s1
	v_add_u32_e32 v2, 0x80, v2
	ds_write2st64_b32 v2, v3, v4 offset0:34 offset1:66
	v_xor_b32_e32 v2, 48, v0
	v_perm_b32 v3, v5, v9, s0
	v_perm_b32 v4, v13, v17, s0
	v_xor_b32_e32 v0, 56, v0
	v_and_or_b32 v18, v30, 12, v1
	ds_write2st64_b32 v2, v3, v4 offset0:35 offset1:67
	v_perm_b32 v2, v5, v9, s1
	v_perm_b32 v3, v13, v17, s1
	v_add_u32_e32 v0, 0x80, v0
	v_cmp_gt_i32_e32 vcc, s27, v18
	v_mov_b32_e32 v14, 0
	v_mov_b32_e32 v16, 0
	ds_write2st64_b32 v0, v2, v3 offset0:35 offset1:67
	s_and_saveexec_b64 s[0:1], vcc
	s_cbranch_execz .LBB444_61
; %bb.60:
	v_add_u32_e32 v0, s26, v18
	v_ashrrev_i32_e32 v1, 31, v0
	v_mul_lo_u32 v2, v1, s28
	v_mul_lo_u32 v3, v0, s29
	v_mad_u64_u32 v[0:1], s[2:3], v0, s28, 0
	v_add3_u32 v1, v1, v3, v2
	v_lshl_add_u64 v[0:1], v[0:1], 2, s[10:11]
	global_load_dword v0, v[0:1], off
	s_waitcnt vmcnt(0)
	v_sub_f32_e32 v0, s12, v0
	v_exp_f32_e32 v16, v0
.LBB444_61:
	s_or_b64 exec, exec, s[0:1]
	v_or_b32_e32 v8, 1, v18
	v_cmp_gt_i32_e64 s[0:1], s27, v8
	s_and_saveexec_b64 s[2:3], s[0:1]
	s_cbranch_execz .LBB444_63
; %bb.62:
	v_add_u32_e32 v0, s26, v8
	v_ashrrev_i32_e32 v1, 31, v0
	v_mul_lo_u32 v2, v1, s28
	v_mul_lo_u32 v3, v0, s29
	v_mad_u64_u32 v[0:1], s[4:5], v0, s28, 0
	v_add3_u32 v1, v1, v3, v2
	v_lshl_add_u64 v[0:1], v[0:1], 2, s[10:11]
	global_load_dword v0, v[0:1], off
	s_waitcnt vmcnt(0)
	v_sub_f32_e32 v0, s12, v0
	v_exp_f32_e32 v14, v0
.LBB444_63:
	s_or_b64 exec, exec, s[2:3]
	v_or_b32_e32 v10, 2, v18
	v_cmp_gt_i32_e64 s[2:3], s27, v10
	v_mov_b32_e32 v15, 0
	v_mov_b32_e32 v17, 0
	s_and_saveexec_b64 s[4:5], s[2:3]
	s_cbranch_execz .LBB444_65
; %bb.64:
	v_add_u32_e32 v0, s26, v10
	v_ashrrev_i32_e32 v1, 31, v0
	v_mul_lo_u32 v2, v1, s28
	v_mul_lo_u32 v3, v0, s29
	v_mad_u64_u32 v[0:1], s[6:7], v0, s28, 0
	v_add3_u32 v1, v1, v3, v2
	v_lshl_add_u64 v[0:1], v[0:1], 2, s[10:11]
	global_load_dword v0, v[0:1], off
	s_waitcnt vmcnt(0)
	v_sub_f32_e32 v0, s12, v0
	v_exp_f32_e32 v17, v0
.LBB444_65:
	s_or_b64 exec, exec, s[4:5]
	v_or_b32_e32 v12, 3, v18
	v_cmp_gt_i32_e64 s[4:5], s27, v12
	s_and_saveexec_b64 s[6:7], s[4:5]
	s_cbranch_execz .LBB444_67
; %bb.66:
	v_add_u32_e32 v0, s26, v12
	v_ashrrev_i32_e32 v1, 31, v0
	v_mul_lo_u32 v2, v1, s28
	v_mul_lo_u32 v3, v0, s29
	v_mad_u64_u32 v[0:1], s[14:15], v0, s28, 0
	v_add3_u32 v1, v1, v3, v2
	v_lshl_add_u64 v[0:1], v[0:1], 2, s[10:11]
	global_load_dword v0, v[0:1], off
	s_waitcnt vmcnt(0)
	v_sub_f32_e32 v0, s12, v0
	v_exp_f32_e32 v15, v0
.LBB444_67:
	s_or_b64 exec, exec, s[6:7]
	s_add_u32 s6, s8, s20
	v_accvgpr_read_b32 v0, a4
	s_addc_u32 s7, s9, s21
	v_ashrrev_i32_e32 v51, 31, v50
	v_accvgpr_read_b32 v1, a5
	v_accvgpr_read_b32 v2, a6
	v_accvgpr_read_b32 v3, a7
	v_lshl_add_u64 v[4:5], v[50:51], 1, s[6:7]
	v_mov_b32_e32 v9, 0
	v_lshlrev_b32_e32 v6, 8, v18
	v_mov_b32_e32 v7, 0
	s_and_saveexec_b64 s[6:7], vcc
	s_cbranch_execz .LBB444_69
; %bb.68:
	v_mov_b32_e32 v7, 0
	v_lshl_add_u64 v[20:21], v[4:5], 0, v[6:7]
	global_load_ushort v7, v[20:21], off
	s_waitcnt vmcnt(0)
	v_lshlrev_b32_e32 v7, 16, v7
	v_sub_f32_e32 v0, v7, v0
	v_mul_f32_e32 v0, v16, v0
	v_lshrrev_b32_e32 v7, 16, v0
.LBB444_69:
	s_or_b64 exec, exec, s[6:7]
	v_lshlrev_b32_e32 v8, 8, v8
	s_and_saveexec_b64 s[6:7], s[0:1]
	s_cbranch_execz .LBB444_71
; %bb.70:
	v_mov_b32_e32 v9, 0
	v_lshl_add_u64 v[20:21], v[4:5], 0, v[8:9]
	global_load_ushort v0, v[20:21], off
	s_waitcnt vmcnt(0)
	v_lshlrev_b32_e32 v0, 16, v0
	v_sub_f32_e32 v0, v0, v1
	v_mul_f32_e32 v0, v14, v0
	v_lshrrev_b32_e32 v9, 16, v0
.LBB444_71:
	s_or_b64 exec, exec, s[6:7]
	v_mov_b32_e32 v13, 0
	v_lshlrev_b32_e32 v10, 8, v10
	v_mov_b32_e32 v11, 0
	s_and_saveexec_b64 s[6:7], s[2:3]
	s_cbranch_execz .LBB444_73
; %bb.72:
	v_mov_b32_e32 v11, 0
	v_lshl_add_u64 v[0:1], v[4:5], 0, v[10:11]
	global_load_ushort v0, v[0:1], off
	s_waitcnt vmcnt(0)
	v_lshlrev_b32_e32 v0, 16, v0
	v_sub_f32_e32 v0, v0, v2
	v_mul_f32_e32 v0, v17, v0
	v_lshrrev_b32_e32 v11, 16, v0
.LBB444_73:
	s_or_b64 exec, exec, s[6:7]
	v_lshlrev_b32_e32 v12, 8, v12
	s_and_saveexec_b64 s[6:7], s[4:5]
	s_cbranch_execz .LBB444_75
; %bb.74:
	v_mov_b32_e32 v13, 0
	v_lshl_add_u64 v[0:1], v[4:5], 0, v[12:13]
	global_load_ushort v0, v[0:1], off
	s_waitcnt vmcnt(0)
	v_lshlrev_b32_e32 v0, 16, v0
	v_sub_f32_e32 v0, v0, v3
	v_mul_f32_e32 v0, v15, v0
	v_lshrrev_b32_e32 v13, 16, v0
.LBB444_75:
	s_or_b64 exec, exec, s[6:7]
	v_lshlrev_b32_e32 v18, 5, v18
	s_mov_b32 s6, 0x5040100
	v_perm_b32 v20, v9, v7, s6
	v_or_b32_e32 v7, v18, v22
	v_accvgpr_read_b32 v0, a0
	v_perm_b32 v21, v13, v11, s6
	v_lshlrev_b32_e32 v7, 1, v7
	v_accvgpr_read_b32 v1, a1
	v_accvgpr_read_b32 v2, a2
	v_accvgpr_read_b32 v3, a3
	ds_write_b64 v7, v[20:21] offset:45056
	v_mov_b32_e32 v9, 0
	v_mov_b32_e32 v7, 0
	s_and_saveexec_b64 s[6:7], vcc
	s_cbranch_execz .LBB444_77
; %bb.76:
	v_mov_b32_e32 v7, 0
	v_lshl_add_u64 v[6:7], v[4:5], 0, v[6:7]
	global_load_ushort v6, v[6:7], off offset:32
	s_waitcnt vmcnt(0)
	v_lshlrev_b32_e32 v6, 16, v6
	v_sub_f32_e32 v0, v6, v0
	v_mul_f32_e32 v0, v16, v0
	v_lshrrev_b32_e32 v7, 16, v0
.LBB444_77:
	s_or_b64 exec, exec, s[6:7]
	s_and_saveexec_b64 s[6:7], s[0:1]
	s_cbranch_execz .LBB444_79
; %bb.78:
	v_mov_b32_e32 v9, 0
	v_lshl_add_u64 v[8:9], v[4:5], 0, v[8:9]
	global_load_ushort v0, v[8:9], off offset:32
	s_waitcnt vmcnt(0)
	v_lshlrev_b32_e32 v0, 16, v0
	v_sub_f32_e32 v0, v0, v1
	v_mul_f32_e32 v0, v14, v0
	v_lshrrev_b32_e32 v9, 16, v0
.LBB444_79:
	s_or_b64 exec, exec, s[6:7]
	v_mov_b32_e32 v0, 0
	v_mov_b32_e32 v1, 0
	s_and_saveexec_b64 s[0:1], s[2:3]
	s_cbranch_execz .LBB444_81
; %bb.80:
	v_mov_b32_e32 v11, 0
	v_lshl_add_u64 v[10:11], v[4:5], 0, v[10:11]
	global_load_ushort v1, v[10:11], off offset:32
	s_waitcnt vmcnt(0)
	v_lshlrev_b32_e32 v1, 16, v1
	v_sub_f32_e32 v1, v1, v2
	v_mul_f32_e32 v1, v17, v1
	v_lshrrev_b32_e32 v1, 16, v1
.LBB444_81:
	s_or_b64 exec, exec, s[0:1]
	s_and_saveexec_b64 s[0:1], s[4:5]
	s_cbranch_execz .LBB444_83
; %bb.82:
	v_mov_b32_e32 v13, 0
	v_lshl_add_u64 v[4:5], v[4:5], 0, v[12:13]
	global_load_ushort v0, v[4:5], off offset:32
	s_waitcnt vmcnt(0)
	v_lshlrev_b32_e32 v0, 16, v0
	v_sub_f32_e32 v0, v0, v3
	v_mul_f32_e32 v0, v15, v0
	v_lshrrev_b32_e32 v0, 16, v0
.LBB444_83:
	s_or_b64 exec, exec, s[0:1]
	s_mov_b32 s0, 0x5040100
	v_or_b32_e32 v2, v18, v19
	v_perm_b32 v1, v0, v1, s0
	v_perm_b32 v0, v9, v7, s0
	v_lshlrev_b32_e32 v2, 1, v2
	ds_write_b64 v2, v[0:1] offset:45056
	s_waitcnt lgkmcnt(0)
	s_barrier
.LBB444_84:
	s_endpgm
	.section	.rodata,"a",@progbits
	.p2align	6, 0x0
	.amdhsa_kernel _ZN12_GLOBAL__N_139chunk_gated_delta_rule_fwd_h_hip_kernelILi32ELb1ELb0ELb0ELb0ELb1ELb0ELb0ELb0EEEvPK12hip_bfloat16S3_S3_PKfS5_PKvPS1_S8_PvPKiSB_iiiiilll
		.amdhsa_group_segment_fixed_size 49152
		.amdhsa_private_segment_fixed_size 0
		.amdhsa_kernarg_size 136
		.amdhsa_user_sgpr_count 2
		.amdhsa_user_sgpr_dispatch_ptr 0
		.amdhsa_user_sgpr_queue_ptr 0
		.amdhsa_user_sgpr_kernarg_segment_ptr 1
		.amdhsa_user_sgpr_dispatch_id 0
		.amdhsa_user_sgpr_kernarg_preload_length 0
		.amdhsa_user_sgpr_kernarg_preload_offset 0
		.amdhsa_user_sgpr_private_segment_size 0
		.amdhsa_uses_dynamic_stack 0
		.amdhsa_enable_private_segment 0
		.amdhsa_system_sgpr_workgroup_id_x 1
		.amdhsa_system_sgpr_workgroup_id_y 1
		.amdhsa_system_sgpr_workgroup_id_z 0
		.amdhsa_system_sgpr_workgroup_info 0
		.amdhsa_system_vgpr_workitem_id 0
		.amdhsa_next_free_vgpr 152
		.amdhsa_next_free_sgpr 65
		.amdhsa_accum_offset 132
		.amdhsa_reserve_vcc 1
		.amdhsa_float_round_mode_32 0
		.amdhsa_float_round_mode_16_64 0
		.amdhsa_float_denorm_mode_32 3
		.amdhsa_float_denorm_mode_16_64 3
		.amdhsa_dx10_clamp 1
		.amdhsa_ieee_mode 1
		.amdhsa_fp16_overflow 0
		.amdhsa_tg_split 0
		.amdhsa_exception_fp_ieee_invalid_op 0
		.amdhsa_exception_fp_denorm_src 0
		.amdhsa_exception_fp_ieee_div_zero 0
		.amdhsa_exception_fp_ieee_overflow 0
		.amdhsa_exception_fp_ieee_underflow 0
		.amdhsa_exception_fp_ieee_inexact 0
		.amdhsa_exception_int_div_zero 0
	.end_amdhsa_kernel
	.section	.text._ZN12_GLOBAL__N_139chunk_gated_delta_rule_fwd_h_hip_kernelILi32ELb1ELb0ELb0ELb0ELb1ELb0ELb0ELb0EEEvPK12hip_bfloat16S3_S3_PKfS5_PKvPS1_S8_PvPKiSB_iiiiilll,"axG",@progbits,_ZN12_GLOBAL__N_139chunk_gated_delta_rule_fwd_h_hip_kernelILi32ELb1ELb0ELb0ELb0ELb1ELb0ELb0ELb0EEEvPK12hip_bfloat16S3_S3_PKfS5_PKvPS1_S8_PvPKiSB_iiiiilll,comdat
.Lfunc_end444:
	.size	_ZN12_GLOBAL__N_139chunk_gated_delta_rule_fwd_h_hip_kernelILi32ELb1ELb0ELb0ELb0ELb1ELb0ELb0ELb0EEEvPK12hip_bfloat16S3_S3_PKfS5_PKvPS1_S8_PvPKiSB_iiiiilll, .Lfunc_end444-_ZN12_GLOBAL__N_139chunk_gated_delta_rule_fwd_h_hip_kernelILi32ELb1ELb0ELb0ELb0ELb1ELb0ELb0ELb0EEEvPK12hip_bfloat16S3_S3_PKfS5_PKvPS1_S8_PvPKiSB_iiiiilll
                                        ; -- End function
	.section	.AMDGPU.csdata,"",@progbits
; Kernel info:
; codeLenInByte = 8368
; NumSgprs: 71
; NumVgprs: 130
; NumAgprs: 20
; TotalNumVgprs: 152
; ScratchSize: 0
; MemoryBound: 0
; FloatMode: 240
; IeeeMode: 1
; LDSByteSize: 49152 bytes/workgroup (compile time only)
; SGPRBlocks: 8
; VGPRBlocks: 18
; NumSGPRsForWavesPerEU: 71
; NumVGPRsForWavesPerEU: 152
; AccumOffset: 132
; Occupancy: 1
; WaveLimiterHint : 1
; COMPUTE_PGM_RSRC2:SCRATCH_EN: 0
; COMPUTE_PGM_RSRC2:USER_SGPR: 2
; COMPUTE_PGM_RSRC2:TRAP_HANDLER: 0
; COMPUTE_PGM_RSRC2:TGID_X_EN: 1
; COMPUTE_PGM_RSRC2:TGID_Y_EN: 1
; COMPUTE_PGM_RSRC2:TGID_Z_EN: 0
; COMPUTE_PGM_RSRC2:TIDIG_COMP_CNT: 0
; COMPUTE_PGM_RSRC3_GFX90A:ACCUM_OFFSET: 32
; COMPUTE_PGM_RSRC3_GFX90A:TG_SPLIT: 0
	.section	.text._ZN12_GLOBAL__N_139chunk_gated_delta_rule_fwd_h_hip_kernelILi32ELb0ELb1ELb1ELb0ELb1ELb0ELb0ELb0EEEvPK12hip_bfloat16S3_S3_PKfS5_PKvPS1_S8_PvPKiSB_iiiiilll,"axG",@progbits,_ZN12_GLOBAL__N_139chunk_gated_delta_rule_fwd_h_hip_kernelILi32ELb0ELb1ELb1ELb0ELb1ELb0ELb0ELb0EEEvPK12hip_bfloat16S3_S3_PKfS5_PKvPS1_S8_PvPKiSB_iiiiilll,comdat
	.globl	_ZN12_GLOBAL__N_139chunk_gated_delta_rule_fwd_h_hip_kernelILi32ELb0ELb1ELb1ELb0ELb1ELb0ELb0ELb0EEEvPK12hip_bfloat16S3_S3_PKfS5_PKvPS1_S8_PvPKiSB_iiiiilll ; -- Begin function _ZN12_GLOBAL__N_139chunk_gated_delta_rule_fwd_h_hip_kernelILi32ELb0ELb1ELb1ELb0ELb1ELb0ELb0ELb0EEEvPK12hip_bfloat16S3_S3_PKfS5_PKvPS1_S8_PvPKiSB_iiiiilll
	.p2align	8
	.type	_ZN12_GLOBAL__N_139chunk_gated_delta_rule_fwd_h_hip_kernelILi32ELb0ELb1ELb1ELb0ELb1ELb0ELb0ELb0EEEvPK12hip_bfloat16S3_S3_PKfS5_PKvPS1_S8_PvPKiSB_iiiiilll,@function
_ZN12_GLOBAL__N_139chunk_gated_delta_rule_fwd_h_hip_kernelILi32ELb0ELb1ELb1ELb0ELb1ELb0ELb0ELb0EEEvPK12hip_bfloat16S3_S3_PKfS5_PKvPS1_S8_PvPKiSB_iiiiilll: ; @_ZN12_GLOBAL__N_139chunk_gated_delta_rule_fwd_h_hip_kernelILi32ELb0ELb1ELb1ELb0ELb1ELb0ELb0ELb0EEEvPK12hip_bfloat16S3_S3_PKfS5_PKvPS1_S8_PvPKiSB_iiiiilll
; %bb.0:
	s_load_dwordx4 s[28:31], s[0:1], 0x5c
	s_load_dwordx4 s[36:39], s[0:1], 0x70
	s_abs_i32 s6, s3
	s_ashr_i32 s5, s3, 31
	s_load_dwordx8 s[16:23], s[0:1], 0x0
	s_waitcnt lgkmcnt(0)
	s_abs_i32 s4, s29
	v_cvt_f32_u32_e32 v1, s4
	s_sub_i32 s8, 0, s4
	s_ashr_i32 s7, s29, 31
	s_xor_b32 s5, s5, s7
	v_rcp_iflag_f32_e32 v1, v1
	s_load_dwordx2 s[34:35], s[0:1], 0x40
	s_load_dwordx4 s[24:27], s[0:1], 0x30
	s_load_dwordx2 s[40:41], s[0:1], 0x80
	s_mov_b32 s0, 0
	v_mul_f32_e32 v1, 0x4f7ffffe, v1
	v_cvt_u32_f32_e32 v1, v1
	v_lshrrev_b32_e32 v58, 6, v0
	v_bfe_u32 v61, v0, 4, 2
	v_lshlrev_b32_e32 v59, 4, v58
	v_readfirstlane_b32 s9, v1
	s_mul_i32 s8, s8, s9
	s_mul_hi_u32 s8, s9, s8
	s_add_i32 s9, s9, s8
	s_mul_hi_u32 s8, s6, s9
	s_mul_i32 s9, s8, s4
	s_sub_i32 s6, s6, s9
	s_add_i32 s10, s8, 1
	s_sub_i32 s9, s6, s4
	s_cmp_ge_u32 s6, s4
	s_cselect_b32 s8, s10, s8
	s_cselect_b32 s6, s9, s6
	s_add_i32 s9, s8, 1
	s_cmp_ge_u32 s6, s4
	s_cselect_b32 s6, s9, s8
	s_xor_b32 s6, s6, s5
	s_sub_i32 s51, s6, s5
	s_abs_i32 s6, s30
	v_cvt_f32_u32_e32 v1, s6
	s_mul_i32 s49, s51, s29
	s_sub_i32 s33, s3, s49
	s_add_i32 s3, s28, 63
	v_rcp_iflag_f32_e32 v1, v1
	s_ashr_i32 s5, s3, 31
	s_lshr_b32 s5, s5, 26
	s_ashr_i32 s50, s28, 31
	v_mul_f32_e32 v1, 0x4f7ffffe, v1
	v_cvt_u32_f32_e32 v1, v1
	s_add_i32 s3, s3, s5
	s_lshr_b32 s5, s50, 26
	s_add_i32 s5, s28, s5
	s_ashr_i32 s46, s30, 31
	s_ashr_i32 s52, s5, 6
	s_xor_b32 s5, s7, s46
	s_sub_i32 s7, 0, s6
	v_readfirstlane_b32 s8, v1
	s_mul_i32 s7, s7, s8
	s_mul_hi_u32 s7, s8, s7
	s_add_i32 s8, s8, s7
	s_mul_hi_u32 s7, s4, s8
	s_mul_i32 s8, s7, s6
	s_sub_i32 s4, s4, s8
	s_ashr_i32 s3, s3, 6
	s_add_i32 s8, s7, 1
	s_sub_i32 s9, s4, s6
	s_cmp_ge_u32 s4, s6
	s_cselect_b32 s7, s8, s7
	s_cselect_b32 s4, s9, s4
	s_add_i32 s8, s7, 1
	s_cmp_ge_u32 s4, s6
	s_cselect_b32 s4, s8, s7
	s_xor_b32 s4, s4, s5
	s_sub_i32 s4, s4, s5
	s_abs_i32 s5, s4
	v_cvt_f32_u32_e32 v1, s5
	s_sub_i32 s6, 0, s5
	s_xor_b32 s1, s33, s4
	s_abs_i32 s4, s33
	v_rcp_iflag_f32_e32 v1, v1
	s_ashr_i32 s1, s1, 31
	v_lshlrev_b32_e32 v18, 2, v61
	s_mov_b32 s14, s0
	v_mul_f32_e32 v1, 0x4f7ffffe, v1
	v_cvt_u32_f32_e32 v1, v1
	s_mov_b32 s15, s0
	v_and_b32_e32 v60, 63, v0
	s_mul_i32 s55, s51, s3
	v_readfirstlane_b32 s7, v1
	s_mul_i32 s6, s6, s7
	s_mul_hi_u32 s6, s7, s6
	s_add_i32 s7, s7, s6
	s_mul_hi_u32 s6, s4, s7
	s_mul_i32 s7, s6, s5
	s_sub_i32 s4, s4, s7
	s_add_i32 s7, s6, 1
	s_sub_i32 s8, s4, s5
	s_cmp_ge_u32 s4, s5
	s_cselect_b32 s6, s7, s6
	s_cselect_b32 s4, s8, s4
	s_add_i32 s7, s6, 1
	s_cmp_ge_u32 s4, s5
	s_cselect_b32 s4, s7, s6
	s_xor_b32 s4, s4, s1
	s_sub_i32 s56, s4, s1
	v_or_b32_e32 v1, v18, v59
	s_lshl_b32 s42, s2, 5
	s_mov_b32 s1, s0
	s_mov_b32 s2, s0
	;; [unrolled: 1-line block ×13, first 2 shown]
	v_mov_b64_e32 v[16:17], s[14:15]
	v_and_b32_e32 v62, 15, v0
	v_or_b32_e32 v65, 64, v1
	s_cmp_lt_i32 s28, 64
	v_mov_b64_e32 v[14:15], s[12:13]
	v_mov_b64_e32 v[12:13], s[10:11]
	;; [unrolled: 1-line block ×7, first 2 shown]
	s_mul_hi_i32 s57, s51, s29
	v_lshrrev_b32_e32 v64, 3, v60
	v_lshlrev_b32_e32 v63, 3, v0
	s_mul_i32 s37, s51, s37
	s_mul_hi_u32 s48, s51, s36
	s_mul_i32 s12, s51, s36
	s_cbranch_scc1 .LBB445_19
; %bb.1:
	s_ashr_i32 s8, s51, 31
	s_ashr_i32 s53, s33, 31
	s_add_u32 s0, s49, s33
	s_addc_u32 s1, s57, s53
	s_mul_i32 s1, s28, s1
	s_mul_hi_u32 s2, s28, s0
	s_add_i32 s3, s2, s1
	s_mul_i32 s2, s28, s0
	s_lshl_b64 s[0:1], s[2:3], 8
	v_and_b32_e32 v9, 56, v63
	s_add_u32 s4, s18, s0
	v_lshl_or_b32 v5, v58, 3, v64
	v_lshlrev_b32_e32 v2, 1, v9
	s_addc_u32 s0, s19, s1
	v_lshl_or_b32 v13, v5, 8, v2
	s_and_b32 s5, s0, 0xffff
	s_mov_b32 s7, 0x20000
	s_movk_i32 s6, 0x4000
	s_movk_i32 s0, 0x80
	v_or_b32_e32 v17, 0x2000, v13
	buffer_load_dwordx4 v[20:23], v13, s[4:7], 0 offen
	buffer_load_dwordx4 v[24:27], v13, s[4:7], s0 offen
	;; [unrolled: 1-line block ×4, first 2 shown]
	v_lshlrev_b32_e32 v3, 3, v5
	v_and_or_b32 v6, v0, 7, v3
	v_and_b32_e32 v3, 0x78, v3
	v_lshlrev_b32_e32 v6, 4, v6
	v_xor_b32_e32 v66, v6, v3
	v_mul_lo_u32 v4, v5, s31
	v_or_b32_e32 v67, 0x1000, v66
	v_xor_b32_e32 v3, 8, v66
	s_cmpk_eq_i32 s31, 0x80
	s_mov_b32 s47, s30
	v_xor_b32_e32 v6, 8, v67
	s_cselect_b64 s[0:1], -1, 0
	s_cmpk_lg_i32 s31, 0x80
	s_waitcnt vmcnt(3)
	ds_write_b64 v66, v[20:21] offset:24576
	ds_write_b64 v3, v[22:23] offset:24576
	s_waitcnt vmcnt(2)
	ds_write_b64 v66, v[24:25] offset:32768
	ds_write_b64 v3, v[26:27] offset:32768
	;; [unrolled: 3-line block ×4, first 2 shown]
	v_lshl_add_u32 v3, v4, 1, v9
	s_cbranch_scc0 .LBB445_3
; %bb.2:
	v_lshlrev_b32_e32 v6, 1, v3
	v_add_lshl_u32 v4, v3, s31, 1
	s_lshl_b32 s6, s31, 7
	v_lshl_or_b32 v2, v5, 9, v2
	s_cbranch_execz .LBB445_4
	s_branch .LBB445_5
.LBB445_3:
                                        ; implicit-def: $vgpr4
                                        ; implicit-def: $vgpr6
                                        ; implicit-def: $sgpr6
	v_lshl_or_b32 v2, v5, 9, v2
.LBB445_4:
	v_or_b32_e32 v4, 0x100, v2
	s_movk_i32 s6, 0x4000
	v_mov_b32_e32 v6, v2
.LBB445_5:
	s_mul_hi_u32 s4, s30, s28
	s_mul_i32 s5, s46, s28
	s_add_i32 s4, s4, s5
	s_mul_i32 s5, s30, s28
	s_mul_i32 s7, s5, s8
	s_mul_hi_u32 s9, s5, s51
	s_add_i32 s7, s9, s7
	s_mul_i32 s4, s4, s51
	s_add_i32 s7, s7, s4
	s_mul_i32 s5, s5, s51
	s_ashr_i32 s54, s56, 31
	s_add_u32 s4, s5, s56
	s_addc_u32 s5, s7, s54
	s_lshl_b64 s[4:5], s[4:5], 8
	s_add_u32 s4, s16, s4
	s_addc_u32 s5, s17, s5
	s_and_b32 s5, s5, 0xffff
	s_mov_b32 s7, 0x20000
	s_movk_i32 s58, 0x80
	buffer_load_dwordx4 v[20:23], v6, s[4:7], 0 offen
	buffer_load_dwordx4 v[24:27], v6, s[4:7], s58 offen
	;; [unrolled: 1-line block ×4, first 2 shown]
	v_and_b32_e32 v4, 6, v0
	v_lshlrev_b32_e32 v8, 6, v1
	v_or_b32_e32 v11, 16, v62
	v_xor_b32_e32 v12, v5, v4
	v_and_b32_e32 v6, 1, v0
	s_mul_i32 s4, s8, s28
	s_mul_hi_u32 s5, s51, s28
	v_lshl_or_b32 v16, v62, 3, v8
	v_lshl_or_b32 v8, v11, 3, v8
	v_lshlrev_b32_e32 v12, 2, v12
	v_lshlrev_b32_e32 v7, 2, v62
	v_or_b32_e32 v70, 0xa000, v8
	v_or_b32_e32 v71, 0xb000, v8
	v_xor_b32_e32 v8, 0x440, v12
	v_cmp_eq_u32_e32 vcc, 0, v6
	s_add_i32 s63, s5, s4
	s_add_i32 s4, s48, s37
	s_mul_i32 s8, s8, s36
	v_xor_b32_e32 v14, v1, v7
	v_xor_b32_e32 v15, v65, v7
	v_cndmask_b32_e32 v6, v8, v12, vcc
	s_add_i32 s13, s4, s8
	s_mul_i32 s4, s33, s39
	s_mul_hi_u32 s5, s33, s38
	s_mov_b32 s60, 0x1000504
	v_lshlrev_b32_e32 v10, 8, v62
	v_lshlrev_b32_e32 v14, 1, v14
	;; [unrolled: 1-line block ×3, first 2 shown]
	v_lshl_or_b32 v4, v4, 10, v6
	s_add_i32 s4, s5, s4
	s_mul_i32 s5, s53, s38
	s_mov_b32 s61, 0x3020706
	v_or_b32_e32 v68, 0xa000, v16
	v_or_b32_e32 v69, 0xb000, v16
	;; [unrolled: 1-line block ×4, first 2 shown]
	v_xor_b32_e32 v6, 8, v4
	v_xor_b32_e32 v10, 24, v4
	;; [unrolled: 1-line block ×4, first 2 shown]
	s_add_i32 s5, s4, s5
	s_lshl_b64 s[8:9], s[12:13], 2
	v_xor_b32_e32 v8, 16, v4
	v_xor_b32_e32 v12, 32, v4
	v_xor_b32_e32 v19, 48, v4
	v_add_u32_e32 v6, 0x80, v6
	v_add_u32_e32 v10, 0x80, v10
	;; [unrolled: 1-line block ×4, first 2 shown]
	s_mul_i32 s4, s33, s38
	s_add_u32 s6, s22, s8
	s_addc_u32 s8, s23, s9
	s_lshl_b64 s[4:5], s[4:5], 2
	s_add_u32 s14, s6, s4
	s_movk_i32 s4, 0xf8
	s_addc_u32 s15, s8, s5
	s_ashr_i32 s43, s42, 31
	s_lshl_b32 s10, s31, 7
	s_movk_i32 s8, 0x100
	v_mov_b32_e32 v51, 0
	v_lshlrev_b32_e32 v50, 4, v62
	v_cmp_gt_u32_e32 vcc, s8, v0
	s_mov_b32 s59, 0
	s_mul_i32 s62, s51, s28
	s_movk_i32 s13, 0x1000
	s_movk_i32 s6, 0x4000
	v_add_u32_e32 v93, v59, v18
	s_mov_b32 s65, 0
	v_mov_b32_e32 v99, v51
	v_mov_b32_e32 v98, v51
	;; [unrolled: 1-line block ×4, first 2 shown]
	s_waitcnt vmcnt(1)
	v_perm_b32 v37, v20, v28, s60
	s_waitcnt vmcnt(0)
	v_perm_b32 v38, v24, v32, s60
	v_perm_b32 v20, v20, v28, s61
	;; [unrolled: 1-line block ×15, first 2 shown]
	ds_write2st64_b32 v4, v37, v38 offset0:32 offset1:64
	ds_write2st64_b32 v6, v20, v24 offset0:32 offset1:64
	;; [unrolled: 1-line block ×8, first 2 shown]
	v_lshlrev_b32_e32 v4, 8, v11
	v_or_b32_e32 v74, v4, v14
	v_or_b32_e32 v75, v4, v15
	;; [unrolled: 1-line block ×3, first 2 shown]
	v_lshlrev_b32_e32 v4, 3, v4
	v_lshrrev_b32_e32 v10, 5, v60
	v_and_or_b32 v10, v4, s4, v10
	v_lshlrev_b32_e32 v8, 11, v58
	v_lshlrev_b32_e32 v10, 4, v10
	v_and_b32_e32 v4, 0x78, v4
	v_and_b32_e32 v6, 0x1000, v8
	v_xor_b32_e32 v11, v10, v4
	v_lshrrev_b32_e32 v12, 1, v0
	v_or_b32_e32 v11, v11, v6
	v_and_b32_e32 v14, 8, v12
	v_xor_b32_e32 v76, v11, v14
	v_or_b32_e32 v11, 32, v10
	v_xor_b32_e32 v11, v11, v4
	v_or_b32_e32 v11, v11, v6
	;; [unrolled: 2-line block ×4, first 2 shown]
	s_lshl_b64 s[4:5], s[42:43], 8
	v_or_b32_e32 v11, v11, v6
	v_xor_b32_e32 v4, v10, v4
	s_waitcnt lgkmcnt(0)
	s_add_u32 s4, s24, s4
	v_lshlrev_b32_e32 v10, 1, v62
	v_xor_b32_e32 v80, v11, v14
	v_lshrrev_b32_e32 v19, 4, v0
	s_addc_u32 s5, s25, s5
	v_or_b32_e32 v11, 1, v10
	v_mov_b32_e32 v23, 0x4000
	v_mov_b32_e32 v24, 0x2000
	v_xor_b32_e32 v20, v19, v10
	v_xor_b32_e32 v21, v11, v19
	v_lshl_add_u64 v[10:11], s[4:5], 0, v[50:51]
	v_lshlrev_b32_e32 v50, 8, v19
	v_cndmask_b32_e32 v23, v23, v24, vcc
	v_lshlrev_b32_e32 v24, 3, v58
	v_and_b32_e32 v12, 24, v12
	v_lshl_or_b32 v84, v20, 3, v50
	v_and_b32_e32 v20, 8, v0
	v_xor_b32_e32 v25, v24, v12
	v_or_b32_e32 v26, 0x440, v25
	v_cmp_eq_u32_e32 vcc, 0, v20
	v_and_b32_e32 v19, 7, v0
	v_lshlrev_b32_e32 v15, 7, v61
	v_cndmask_b32_e32 v20, v26, v25, vcc
	v_lshl_or_b32 v85, v21, 3, v50
	v_lshlrev_b32_e32 v21, 3, v19
	v_lshlrev_b32_e32 v19, 7, v19
	v_lshlrev_b32_e32 v22, 2, v0
	v_or_b32_e32 v20, v20, v8
	v_or_b32_e32 v7, v15, v7
	v_xad_u32 v86, v20, v21, v19
	v_and_or_b32 v15, v22, 60, v15
	v_mov_b32_e32 v20, 0xb000
	v_lshl_or_b32 v87, v15, 1, v20
	v_or_b32_e32 v15, 32, v12
	v_xor_b32_e32 v15, v24, v15
	v_or_b32_e32 v20, 0x440, v15
	v_cndmask_b32_e32 v15, v20, v15, vcc
	v_or_b32_e32 v15, v15, v8
	v_xad_u32 v88, v15, v21, v19
	v_or_b32_e32 v15, 64, v12
	v_xor_b32_e32 v15, v24, v15
	v_xor_b32_e32 v20, 0x440, v15
	v_cndmask_b32_e32 v15, v20, v15, vcc
	v_or_b32_e32 v12, 0x60, v12
	v_or_b32_e32 v15, v15, v8
	v_xor_b32_e32 v12, v24, v12
	v_xad_u32 v89, v15, v21, v19
	v_xor_b32_e32 v15, 0x440, v12
	v_lshlrev_b32_e32 v7, 1, v7
	v_or_b32_e32 v4, v4, v6
	v_or_b32_e32 v6, s42, v62
	v_cndmask_b32_e32 v12, v15, v12, vcc
	v_or_b32_e32 v77, 0xa000, v7
	v_or_b32_e32 v79, 0xa080, v7
	v_xor_b32_e32 v81, v4, v14
	v_or_b32_e32 v82, 0xb000, v7
	v_or_b32_e32 v83, 0xb080, v7
	v_ashrrev_i32_e32 v7, 31, v6
	v_lshlrev_b32_e32 v14, 1, v3
	v_add_lshl_u32 v3, v3, s31, 1
	v_or_b32_e32 v16, 0x100, v2
	v_or_b32_e32 v8, v12, v8
	v_lshlrev_b32_e32 v4, 7, v1
	v_xad_u32 v90, v8, v21, v19
	v_cndmask_b32_e64 v91, v14, v2, s[0:1]
	v_cndmask_b32_e64 v92, v3, v16, s[0:1]
	v_lshlrev_b64 v[2:3], 1, v[6:7]
	v_lshl_add_u64 v[52:53], s[20:21], 0, v[2:3]
	v_lshl_add_u64 v[54:55], s[26:27], 0, v[2:3]
	v_lshl_add_u64 v[56:57], v[10:11], 0, v[50:51]
	s_mov_b32 s43, 0x7060302
	v_lshlrev_b32_e32 v50, 1, v4
	v_add_u32_e32 v94, v23, v86
	v_add_u32_e32 v95, v23, v88
	;; [unrolled: 1-line block ×4, first 2 shown]
	v_mov_b32_e32 v2, v51
	v_mov_b32_e32 v3, v51
	v_mov_b32_e32 v4, v51
	v_mov_b32_e32 v6, v51
	v_mov_b32_e32 v7, v51
	v_mov_b32_e32 v8, v51
	v_mov_b32_e32 v10, v51
	v_mov_b32_e32 v11, v51
	v_mov_b32_e32 v12, v51
	v_mov_b32_e32 v14, v51
	v_mov_b32_e32 v15, v51
	v_mov_b32_e32 v16, v51
	s_barrier
.LBB445_6:                              ; =>This Inner Loop Header: Depth=1
	s_add_i32 s64, s65, 1
	s_cmp_lt_i32 s64, s52
	s_mov_b64 s[8:9], 0
	s_cselect_b64 s[44:45], -1, 0
	s_cmp_ge_i32 s64, s52
	s_mov_b64 s[4:5], 0
	s_cbranch_scc1 .LBB445_8
; %bb.7:                                ;   in Loop: Header=BB445_6 Depth=1
	s_add_i32 s0, s59, 64
	s_add_u32 s0, s2, s0
	s_addc_u32 s1, s3, 0
	s_lshl_b64 s[0:1], s[0:1], 8
	s_add_u32 s4, s18, s0
	s_addc_u32 s5, s19, s1
.LBB445_8:                              ;   in Loop: Header=BB445_6 Depth=1
	v_cndmask_b32_e64 v18, 0, 1, s[44:45]
	v_cmp_ne_u32_e64 s[0:1], 1, v18
	s_andn2_b64 vcc, exec, s[44:45]
	s_cbranch_vccnz .LBB445_10
; %bb.9:                                ;   in Loop: Header=BB445_6 Depth=1
	s_add_i32 s8, s59, 64
	s_add_u32 s8, s62, s8
	s_addc_u32 s9, s63, 0
	s_mul_i32 s11, s8, s46
	s_mul_hi_u32 s44, s8, s47
	s_add_i32 s11, s44, s11
	s_mul_i32 s9, s9, s47
	s_add_i32 s11, s11, s9
	s_mul_i32 s8, s8, s47
	s_add_u32 s8, s8, s56
	s_addc_u32 s9, s11, s54
	s_lshl_b64 s[8:9], s[8:9], 8
	s_add_u32 s8, s16, s8
	s_addc_u32 s9, s17, s9
.LBB445_10:                             ;   in Loop: Header=BB445_6 Depth=1
	v_perm_b32 v19, v99, v4, s43
	v_perm_b32 v18, v3, v2, s43
	;; [unrolled: 1-line block ×4, first 2 shown]
	ds_write_b64 v68, v[18:19]
	ds_write_b64 v69, v[20:21]
	;; [unrolled: 1-line block ×4, first 2 shown]
	v_perm_b32 v19, v101, v12, s43
	v_perm_b32 v18, v11, v10, s43
	;; [unrolled: 1-line block ×4, first 2 shown]
	ds_write_b64 v70, v[18:19]
	ds_write_b64 v71, v[20:21]
	;; [unrolled: 1-line block ×4, first 2 shown]
	s_waitcnt lgkmcnt(0)
	s_barrier
	ds_read_b64 v[22:23], v76 offset:24576
	ds_read2_b64 v[18:21], v77 offset1:16
	ds_read_b64 v[26:27], v79 offset:3072
	ds_read_b64 v[28:29], v77 offset:3072
	ds_read_b64 v[30:31], v78 offset:24576
	s_waitcnt lgkmcnt(3)
	v_mfma_f32_16x16x16_bf16 a[0:3], v[22:23], v[18:19], 0
	s_add_i32 s11, s59, 63
	s_mul_i32 s44, s11, s41
	s_mul_hi_u32 s45, s11, s40
	v_mfma_f32_16x16x16_bf16 a[4:7], v[22:23], v[20:21], 0
	ds_read2st64_b64 v[18:21], v77 offset0:2 offset1:4
	ds_read2st64_b64 v[22:25], v79 offset0:2 offset1:4
	s_add_i32 s45, s45, s44
	s_waitcnt lgkmcnt(1)
	v_mfma_f32_16x16x16_bf16 a[0:3], v[30:31], v[18:19], a[0:3]
	s_mul_i32 s44, s11, s40
	s_lshl_b64 s[44:45], s[44:45], 2
	s_add_u32 s44, s14, s44
	s_waitcnt lgkmcnt(0)
	v_mfma_f32_16x16x16_bf16 a[4:7], v[30:31], v[22:23], a[4:7]
	ds_read_b64 v[18:19], v80 offset:24576
	ds_read_b64 v[22:23], v81 offset:24576
	s_addc_u32 s45, s15, s45
	s_and_b64 vcc, exec, s[0:1]
	s_waitcnt lgkmcnt(1)
	v_mfma_f32_16x16x16_bf16 a[0:3], v[18:19], v[20:21], a[0:3]
	v_mov_b32_e32 v104, 0
	v_mov_b32_e32 v103, 0
	;; [unrolled: 1-line block ×3, first 2 shown]
	v_mfma_f32_16x16x16_bf16 a[8:11], v[18:19], v[24:25], a[4:7]
	v_mov_b32_e32 v18, 0
	v_mov_b32_e32 v19, 0
	v_mov_b32_e32 v20, 0
	s_waitcnt lgkmcnt(0)
	v_mfma_f32_16x16x16_bf16 a[4:7], v[22:23], v[28:29], a[0:3]
	v_mov_b32_e32 v21, 0
	v_mov_b32_e32 v24, 0
	;; [unrolled: 1-line block ×3, first 2 shown]
	v_mfma_f32_16x16x16_bf16 a[0:3], v[22:23], v[26:27], a[8:11]
	v_mov_b32_e32 v22, 0
	v_mov_b32_e32 v23, 0
	;; [unrolled: 1-line block ×10, first 2 shown]
	s_cbranch_vccnz .LBB445_12
; %bb.11:                               ;   in Loop: Header=BB445_6 Depth=1
	s_and_b32 s5, s5, 0xffff
	buffer_load_dwordx4 v[30:33], v13, s[4:7], 0 offen
	buffer_load_dwordx4 v[26:29], v13, s[4:7], s58 offen
	;; [unrolled: 1-line block ×4, first 2 shown]
	v_mov_b32_e32 v103, v66
	v_mov_b32_e32 v102, v67
.LBB445_12:                             ;   in Loop: Header=BB445_6 Depth=1
	ds_read_b64 v[42:43], v76 offset:32768
	ds_read2_b64 v[34:37], v82 offset1:16
	ds_read_b64 v[44:45], v78 offset:32768
	ds_read_b64 v[46:47], v80 offset:32768
	;; [unrolled: 1-line block ×3, first 2 shown]
	ds_read2st64_b64 v[38:41], v82 offset0:2 offset1:4
	v_add_u32_e32 v105, s59, v93
	s_waitcnt lgkmcnt(4)
	v_mfma_f32_16x16x16_bf16 a[4:7], v[42:43], v[34:35], a[4:7]
	v_ashrrev_i32_e32 v34, 31, v105
	v_mfma_f32_16x16x16_bf16 a[0:3], v[42:43], v[36:37], a[0:3]
	v_mul_lo_u32 v36, v105, s41
	v_mul_lo_u32 v37, v34, s40
	v_mad_u64_u32 v[34:35], s[4:5], v105, s40, 0
	v_add3_u32 v35, v35, v36, v37
	v_add_u32_e32 v36, 1, v105
	v_ashrrev_i32_e32 v37, 31, v36
	s_waitcnt lgkmcnt(0)
	v_mfma_f32_16x16x16_bf16 a[4:7], v[44:45], v[38:39], a[4:7]
	v_mul_lo_u32 v38, v37, s40
	v_mul_lo_u32 v39, v36, s41
	v_mad_u64_u32 v[36:37], s[4:5], v36, s40, 0
	v_add3_u32 v37, v37, v39, v38
	v_add_u32_e32 v38, 2, v105
	v_ashrrev_i32_e32 v39, 31, v38
	v_mul_lo_u32 v42, v39, s40
	v_mul_lo_u32 v43, v38, s41
	v_mad_u64_u32 v[38:39], s[4:5], v38, s40, 0
	v_add3_u32 v39, v39, v43, v42
	v_add_u32_e32 v42, 3, v105
	v_ashrrev_i32_e32 v43, 31, v42
	v_mul_lo_u32 v105, v43, s40
	v_mul_lo_u32 v106, v42, s41
	v_mad_u64_u32 v[42:43], s[4:5], v42, s40, 0
	s_add_u32 s4, s2, s59
	s_addc_u32 s5, s3, 0
	s_lshl_b64 s[66:67], s[4:5], 8
	v_lshl_add_u64 v[34:35], v[34:35], 2, s[14:15]
	v_add3_u32 v43, v43, v106, v105
	v_lshl_add_u64 v[106:107], v[52:53], 0, s[66:67]
	v_lshl_add_u64 v[36:37], v[36:37], 2, s[14:15]
	;; [unrolled: 1-line block ×3, first 2 shown]
	global_load_dword v105, v[34:35], off
	global_load_ushort v108, v[106:107], off offset:256
	global_load_ushort v109, v[106:107], off
	global_load_ushort v110, v[106:107], off offset:768
	v_lshl_add_u64 v[34:35], v[42:43], 2, s[14:15]
	v_lshl_add_u64 v[38:39], v[38:39], 2, s[14:15]
	global_load_dword v111, v[36:37], off
	global_load_dword v112, v[38:39], off
	;; [unrolled: 1-line block ×3, first 2 shown]
	ds_read2st64_b64 v[34:37], v83 offset0:2 offset1:4
	s_waitcnt lgkmcnt(0)
	v_mfma_f32_16x16x16_bf16 a[0:3], v[44:45], v[34:35], a[0:3]
	global_load_ushort v44, v[106:107], off offset:512
	global_load_ushort v114, v[106:107], off offset:800
	;; [unrolled: 1-line block ×4, first 2 shown]
	s_nop 0
	global_load_ushort v106, v[106:107], off offset:32
	s_and_b64 vcc, exec, s[0:1]
	v_mfma_f32_16x16x16_bf16 a[4:7], v[46:47], v[40:41], a[4:7]
	s_waitcnt vmcnt(10)
	v_lshlrev_b32_e32 v43, 16, v108
	v_mfma_f32_16x16x16_bf16 a[0:3], v[46:47], v[36:37], a[0:3]
	ds_read_b64 v[34:35], v82 offset:3072
	ds_read_b64 v[36:37], v83 offset:3072
	s_load_dword s4, s[44:45], 0x0
	s_waitcnt vmcnt(9)
	v_lshlrev_b32_e32 v42, 16, v109
	s_waitcnt lgkmcnt(0)
	v_mfma_f32_16x16x16_bf16 a[4:7], v[48:49], v[34:35], a[4:7]
	v_lshl_add_u64 v[34:35], v[54:55], 0, s[66:67]
	v_sub_f32_e32 v46, s4, v105
	s_waitcnt vmcnt(7)
	v_sub_f32_e32 v47, s4, v111
	v_mfma_f32_16x16x16_bf16 a[0:3], v[48:49], v[36:37], a[0:3]
	s_waitcnt vmcnt(6)
	v_sub_f32_e32 v48, s4, v112
	s_waitcnt vmcnt(5)
	v_sub_f32_e32 v49, s4, v113
	v_accvgpr_read_b32 v41, a5
	v_accvgpr_read_b32 v40, a4
	v_exp_f32_e32 v46, v46
	v_pk_add_f32 v[40:41], v[42:43], v[40:41] neg_lo:[0,1] neg_hi:[0,1]
	v_exp_f32_e32 v47, v47
	v_exp_f32_e32 v42, v48
	;; [unrolled: 1-line block ×3, first 2 shown]
	v_accvgpr_read_b32 v37, a7
	v_accvgpr_read_b32 v36, a6
	v_lshlrev_b32_e32 v45, 16, v110
	s_waitcnt vmcnt(4)
	v_lshlrev_b32_e32 v44, 16, v44
	v_lshl_add_u64 v[34:35], v[34:35], 0, v[50:51]
	v_pk_add_f32 v[36:37], v[44:45], v[36:37] neg_lo:[0,1] neg_hi:[0,1]
	global_store_short_d16_hi v[34:35], v40, off
	global_store_short_d16_hi v[34:35], v41, off offset:256
	global_store_short_d16_hi v[34:35], v36, off offset:512
	global_store_short_d16_hi v[34:35], v37, off offset:768
	v_pk_mul_f32 v[40:41], v[46:47], v[40:41]
	v_pk_mul_f32 v[36:37], v[42:43], v[36:37]
	v_accvgpr_read_b32 v45, a1
	v_perm_b32 v40, v41, v40, s43
	v_perm_b32 v41, v37, v36, s43
	s_waitcnt vmcnt(5)
	v_lshlrev_b32_e32 v37, 16, v116
	s_waitcnt vmcnt(4)
	v_lshlrev_b32_e32 v36, 16, v106
	v_accvgpr_read_b32 v44, a0
	v_accvgpr_read_b32 v39, a3
	;; [unrolled: 1-line block ×3, first 2 shown]
	v_pk_add_f32 v[36:37], v[36:37], v[44:45] neg_lo:[0,1] neg_hi:[0,1]
	v_lshlrev_b32_e32 v45, 16, v114
	v_lshlrev_b32_e32 v44, 16, v115
	v_pk_add_f32 v[38:39], v[44:45], v[38:39] neg_lo:[0,1] neg_hi:[0,1]
	global_store_short_d16_hi v[34:35], v36, off offset:32
	global_store_short_d16_hi v[34:35], v37, off offset:288
	;; [unrolled: 1-line block ×4, first 2 shown]
	v_pk_mul_f32 v[34:35], v[46:47], v[36:37]
	v_pk_mul_f32 v[36:37], v[42:43], v[38:39]
	v_mov_b32_e32 v105, 0
	v_perm_b32 v37, v37, v36, s43
	v_perm_b32 v36, v35, v34, s43
	ds_write2_b64 v69, v[40:41], v[36:37] offset1:16
	v_mov_b32_e32 v34, 0
	v_mov_b32_e32 v35, 0
	;; [unrolled: 1-line block ×16, first 2 shown]
	s_cbranch_vccnz .LBB445_14
; %bb.13:                               ;   in Loop: Header=BB445_6 Depth=1
	s_and_b32 s9, s9, 0xffff
	s_mov_b32 s11, s7
	buffer_load_dwordx4 v[46:49], v91, s[8:11], 0 offen
	buffer_load_dwordx4 v[38:41], v91, s[8:11], s58 offen
	;; [unrolled: 1-line block ×4, first 2 shown]
	v_mov_b32_e32 v104, v9
	v_mov_b32_e32 v105, v5
.LBB445_14:                             ;   in Loop: Header=BB445_6 Depth=1
	s_waitcnt lgkmcnt(0)
	s_barrier
	ds_read_b64 v[110:111], v94
	ds_read_b64 v[118:119], v87
	;; [unrolled: 1-line block ×5, first 2 shown]
	ds_read_b64 v[124:125], v88 offset:16384
	ds_read_b64 v[126:127], v86 offset:16384
	ds_read2_b64 v[106:109], v82 offset0:16 offset1:128
	s_waitcnt lgkmcnt(6)
	v_mfma_f32_16x16x16_bf16 a[0:3], v[110:111], v[118:119], 0
	ds_read_b64 v[128:129], v83 offset:3072
	ds_read_b64 v[130:131], v90 offset:16384
	s_add_i32 s5, s55, s65
	s_waitcnt lgkmcnt(2)
	v_mfma_f32_16x16x16_bf16 a[4:7], v[110:111], v[106:107], 0
	ds_read2st64_b64 v[110:113], v83 offset0:2 offset1:4
	s_mul_hi_i32 s9, s5, s29
	s_mul_i32 s5, s5, s29
	v_mfma_f32_16x16x16_bf16 a[0:3], v[114:115], v[108:109], a[0:3]
	s_add_u32 s8, s5, s33
	s_addc_u32 s9, s9, s53
	s_lshl_b64 s[8:9], s[8:9], 15
	s_waitcnt lgkmcnt(0)
	v_mfma_f32_16x16x16_bf16 a[4:7], v[114:115], v[110:111], a[4:7]
	ds_read2st64_b64 v[114:117], v82 offset0:4 offset1:6
	s_waitcnt lgkmcnt(0)
	v_mfma_f32_16x16x16_bf16 a[0:3], v[120:121], v[114:115], a[0:3]
	v_mfma_f32_16x16x16_bf16 a[8:11], v[120:121], v[112:113], a[4:7]
	;; [unrolled: 1-line block ×5, first 2 shown]
	ds_read2st64_b64 v[118:121], v85 offset1:8
	v_mfma_f32_16x16x16_bf16 a[12:15], v[126:127], v[106:107], 0
	ds_read_b64 v[126:127], v89 offset:16384
	v_mfma_f32_16x16x16_bf16 a[8:11], v[124:125], v[108:109], a[8:11]
	ds_read2st64_b64 v[106:109], v84 offset1:8
	s_waitcnt lgkmcnt(0)
	v_mov_b32_e32 v122, v106
	v_mfma_f32_16x16x16_bf16 a[12:15], v[124:125], v[110:111], a[12:15]
	v_lshl_add_u64 v[110:111], v[56:57], 0, s[8:9]
	v_add_co_u32_e32 v106, vcc, s13, v110
	v_mfma_f32_16x16x16_bf16 a[8:11], v[126:127], v[114:115], a[8:11]
	v_mov_b32_e32 v123, v107
	v_addc_co_u32_e32 v107, vcc, 0, v111, vcc
	v_mfma_f32_16x16x16_bf16 a[12:15], v[126:127], v[112:113], a[12:15]
	v_mov_b32_e32 v124, v118
	v_mov_b32_e32 v125, v119
	;; [unrolled: 1-line block ×3, first 2 shown]
	v_mfma_f32_16x16x16_bf16 a[8:11], v[130:131], v[116:117], a[8:11]
	v_mov_b32_e32 v119, v109
	s_and_b64 vcc, exec, s[0:1]
	global_store_dwordx4 v[110:111], v[122:125], off
	v_mfma_f32_16x16x16_bf16 a[12:15], v[130:131], v[128:129], a[12:15]
	global_store_dwordx4 v[106:107], v[118:121], off
	s_cbranch_vccnz .LBB445_16
; %bb.15:                               ;   in Loop: Header=BB445_6 Depth=1
	v_lshrrev_b32_e32 v106, 3, v104
	v_and_b32_e32 v106, 6, v106
	v_xor_b32_e32 v105, v106, v105
	v_lshlrev_b32_e32 v105, 2, v105
	v_and_b32_e32 v104, 8, v104
	v_xor_b32_e32 v107, 0x440, v105
	v_cmp_eq_u32_e32 vcc, 0, v104
	s_barrier
	s_nop 0
	v_cndmask_b32_e32 v104, v107, v105, vcc
	v_lshl_or_b32 v104, v106, 10, v104
	s_waitcnt vmcnt(3)
	v_perm_b32 v105, v46, v42, s60
	s_waitcnt vmcnt(2)
	v_perm_b32 v106, v38, v34, s60
	ds_write2st64_b32 v104, v105, v106 offset0:32 offset1:64
	v_xor_b32_e32 v105, 8, v104
	v_perm_b32 v42, v46, v42, s61
	v_perm_b32 v34, v38, v34, s61
	v_add_u32_e32 v38, 0x80, v105
	ds_write2st64_b32 v38, v42, v34 offset0:32 offset1:64
	v_xor_b32_e32 v34, 16, v104
	v_perm_b32 v38, v47, v43, s60
	v_perm_b32 v42, v39, v35, s60
	ds_write2st64_b32 v34, v38, v42 offset0:33 offset1:65
	v_xor_b32_e32 v34, 24, v104
	v_perm_b32 v38, v47, v43, s61
	v_perm_b32 v35, v39, v35, s61
	v_add_u32_e32 v34, 0x80, v34
	ds_write2st64_b32 v34, v38, v35 offset0:33 offset1:65
	v_xor_b32_e32 v34, 32, v104
	v_perm_b32 v35, v48, v44, s60
	;; [unrolled: 9-line block ×3, first 2 shown]
	v_perm_b32 v36, v41, v37, s60
	ds_write2st64_b32 v34, v35, v36 offset0:35 offset1:67
	v_xor_b32_e32 v34, 56, v104
	v_perm_b32 v35, v49, v45, s61
	v_perm_b32 v36, v41, v37, s61
	v_add_u32_e32 v34, 0x80, v34
	ds_write2st64_b32 v34, v35, v36 offset0:35 offset1:67
	ds_write_b64 v103, v[30:31] offset:24576
	v_xor_b32_e32 v30, 8, v103
	ds_write_b64 v30, v[32:33] offset:24576
	ds_write_b64 v103, v[26:27] offset:32768
	;; [unrolled: 1-line block ×4, first 2 shown]
	v_xor_b32_e32 v22, 8, v102
	ds_write_b64 v22, v[24:25] offset:24576
	ds_write_b64 v102, v[18:19] offset:32768
	ds_write_b64 v22, v[20:21] offset:32768
.LBB445_16:                             ;   in Loop: Header=BB445_6 Depth=1
	s_waitcnt vmcnt(2)
	v_exp_f32_e32 v34, s4
	v_accvgpr_read_b32 v33, a7
	v_accvgpr_read_b32 v25, a3
	;; [unrolled: 1-line block ×16, first 2 shown]
	s_add_i32 s59, s59, 64
	v_fma_f32 v2, v2, v34, v30
	v_fma_f32 v3, v3, v34, v31
	v_fma_f32 v4, v4, v34, v32
	v_fmac_f32_e32 v33, v99, v34
	v_fma_f32 v10, v10, v34, v22
	v_fma_f32 v11, v11, v34, v23
	v_fma_f32 v12, v12, v34, v24
	v_fmac_f32_e32 v25, v101, v34
	;; [unrolled: 4-line block ×3, first 2 shown]
	v_fma_f32 v14, v14, v34, v18
	v_fma_f32 v15, v15, v34, v19
	;; [unrolled: 1-line block ×3, first 2 shown]
	s_cmp_eq_u32 s52, s64
	v_fmac_f32_e32 v21, v100, v34
	s_cbranch_scc1 .LBB445_18
; %bb.17:                               ;   in Loop: Header=BB445_6 Depth=1
	s_mov_b32 s65, s64
	v_mov_b32_e32 v99, v33
	v_mov_b32_e32 v98, v29
	;; [unrolled: 1-line block ×4, first 2 shown]
	s_branch .LBB445_6
.LBB445_18:
	v_mov_b32_e32 v5, v33
	v_mov_b32_e32 v9, v29
	;; [unrolled: 1-line block ×4, first 2 shown]
.LBB445_19:
	s_lshl_b32 s53, s52, 6
	s_sub_i32 s54, s28, s53
	s_cmp_gt_i32 s54, 0
	v_or_b32_e32 v34, s42, v62
	s_cbranch_scc1 .LBB445_21
; %bb.20:
	s_ashr_i32 s0, s33, 31
	s_add_u32 s8, s49, s33
	s_addc_u32 s9, s57, s0
	v_or_b32_e32 v18, s42, v62
	s_cbranch_execz .LBB445_22
	s_branch .LBB445_86
.LBB445_21:
                                        ; implicit-def: $sgpr8_sgpr9
                                        ; implicit-def: $vgpr18
.LBB445_22:
	s_ashr_i32 s13, s51, 31
	s_ashr_i32 s2, s53, 31
	s_cmpk_lg_i32 s31, 0x80
	s_cselect_b64 s[44:45], -1, 0
	s_and_b64 vcc, exec, s[44:45]
	s_cbranch_vccz .LBB445_24
; %bb.23:
	s_mul_i32 s1, s51, s28
	s_mul_hi_i32 s0, s51, s28
	s_add_u32 s1, s1, s53
	s_addc_u32 s0, s0, s2
	s_mul_i32 s3, s1, s46
	s_mul_hi_u32 s4, s1, s30
	s_add_i32 s3, s4, s3
	s_mul_i32 s0, s0, s30
	s_add_i32 s3, s3, s0
	s_mul_i32 s1, s1, s30
	s_ashr_i32 s0, s56, 31
	s_add_u32 s46, s1, s56
	s_addc_u32 s47, s3, s0
	s_cbranch_execz .LBB445_25
	s_branch .LBB445_26
.LBB445_24:
                                        ; implicit-def: $sgpr46_sgpr47
.LBB445_25:
	s_mul_hi_i32 s0, s51, s30
	s_mul_i32 s51, s51, s30
	s_ashr_i32 s1, s56, 31
	s_add_u32 s3, s51, s56
	s_addc_u32 s0, s0, s1
	s_mul_i32 s1, s3, s50
	s_mul_hi_u32 s4, s3, s28
	s_add_i32 s1, s4, s1
	s_mul_i32 s0, s0, s28
	s_add_i32 s1, s1, s0
	s_mul_i32 s3, s3, s28
	s_add_u32 s46, s3, s53
	s_addc_u32 s47, s1, s2
.LBB445_26:
	s_add_i32 s3, s55, s52
	s_ashr_i32 s30, s33, 31
	s_add_u32 s8, s49, s33
	s_addc_u32 s9, s57, s30
	s_mul_i32 s0, s8, s50
	s_mul_hi_u32 s1, s8, s28
	s_add_i32 s0, s1, s0
	s_mul_i32 s1, s9, s28
	s_add_i32 s1, s0, s1
	s_mul_i32 s0, s8, s28
	s_add_u32 s0, s0, s53
	v_lshlrev_b32_e32 v22, 5, v1
	v_lshlrev_b32_e32 v40, 2, v62
	s_addc_u32 s1, s1, s2
	s_mov_b32 s2, 0x7060302
	v_or_b32_e32 v25, v22, v40
	v_xor_b32_e32 v23, v1, v40
	v_perm_b32 v19, v5, v4, s2
	v_perm_b32 v18, v3, v2, s2
	;; [unrolled: 1-line block ×4, first 2 shown]
	v_lshlrev_b32_e32 v25, 1, v25
	s_lshl_b64 s[10:11], s[0:1], 8
	v_xor_b32_e32 v24, v65, v40
	ds_write2st64_b64 v25, v[18:19], v[20:21] offset0:80 offset1:88
	v_lshlrev_b32_e32 v23, 1, v23
	v_lshlrev_b32_e32 v25, 8, v62
	s_add_u32 s0, s18, s10
	v_or_b32_e32 v26, v23, v25
	v_lshlrev_b32_e32 v24, 1, v24
	s_addc_u32 s1, s19, s11
	ds_write_b64 v26, v[18:19]
	v_or_b32_e32 v18, v24, v25
	v_or_b32_e32 v25, 16, v62
	s_mul_hi_i32 s4, s3, s29
	s_mul_i32 s3, s3, s29
	ds_write_b64 v18, v[20:21]
	v_perm_b32 v19, v13, v12, s2
	v_perm_b32 v18, v11, v10, s2
	;; [unrolled: 1-line block ×4, first 2 shown]
	v_lshlrev_b32_e32 v37, 2, v25
	s_add_u32 s2, s3, s33
	v_or_b32_e32 v22, v22, v37
	s_addc_u32 s3, s4, s30
	v_lshlrev_b32_e32 v22, 1, v22
	s_ashr_i32 s43, s42, 31
	s_lshl_b64 s[2:3], s[2:3], 15
	ds_write2st64_b64 v22, v[18:19], v[20:21] offset0:80 offset1:88
	v_lshlrev_b32_e32 v22, 8, v25
	s_waitcnt lgkmcnt(0)
	s_add_u32 s4, s24, s2
	v_or_b32_e32 v23, v23, v22
	s_addc_u32 s5, s25, s3
	s_lshl_b64 s[2:3], s[42:43], 8
	ds_write_b64 v23, v[18:19]
	v_or_b32_e32 v18, v24, v22
	s_add_u32 s2, s4, s2
	ds_write_b64 v18, v[20:21]
	v_lshrrev_b32_e32 v18, 4, v0
	s_addc_u32 s3, s5, s3
	v_lshlrev_b32_e32 v19, 1, v62
	v_lshlrev_b32_e32 v26, 4, v62
	v_mov_b32_e32 v27, 0
	v_or_b32_e32 v20, 1, v19
	v_xor_b32_e32 v19, v18, v19
	v_lshl_add_u64 v[28:29], s[2:3], 0, v[26:27]
	v_lshlrev_b32_e32 v26, 8, v18
	v_xor_b32_e32 v22, v20, v18
	v_lshl_or_b32 v18, v19, 3, v26
	s_waitcnt lgkmcnt(0)
	s_barrier
	ds_read2st64_b64 v[18:21], v18 offset1:8
	v_lshl_or_b32 v22, v22, 3, v26
	ds_read2st64_b64 v[22:25], v22 offset1:8
	v_lshl_add_u64 v[30:31], v[28:29], 0, v[26:27]
	s_movk_i32 s2, 0x1000
	s_waitcnt lgkmcnt(1)
	v_mov_b32_e32 v26, v18
	v_add_co_u32_e32 v18, vcc, s2, v30
	s_cmp_lg_u32 s54, 64
	v_mov_b32_e32 v27, v19
	v_addc_co_u32_e32 v19, vcc, 0, v31, vcc
	s_cselect_b64 s[14:15], -1, 0
	v_lshl_or_b32 v35, v58, 3, v64
	s_waitcnt lgkmcnt(0)
	v_mov_b32_e32 v28, v22
	v_mov_b32_e32 v29, v23
	;; [unrolled: 1-line block ×4, first 2 shown]
	s_mov_b32 s4, 0
	v_or_b32_e32 v38, 32, v35
	v_and_b32_e32 v36, 56, v63
	s_and_b64 vcc, exec, s[14:15]
	global_store_dwordx4 v[30:31], v[26:29], off
	global_store_dwordx4 v[18:19], v[22:25], off
	s_cbranch_vccz .LBB445_32
; %bb.27:
	s_mov_b32 s6, s4
	s_mov_b32 s7, s4
	;; [unrolled: 1-line block ×3, first 2 shown]
	v_mov_b64_e32 v[24:25], s[6:7]
	v_mov_b64_e32 v[22:23], s[4:5]
	;; [unrolled: 1-line block ×3, first 2 shown]
	v_cmp_gt_i32_e32 vcc, s54, v35
	v_mov_b64_e32 v[20:21], v[24:25]
	s_and_saveexec_b64 s[2:3], vcc
	s_cbranch_execz .LBB445_29
; %bb.28:
	v_lshlrev_b32_e32 v18, 8, v35
	v_mov_b32_e32 v19, 0
	v_lshl_add_u64 v[20:21], s[0:1], 0, v[18:19]
	v_lshlrev_b32_e32 v18, 1, v36
	v_lshl_add_u64 v[26:27], v[20:21], 0, v[18:19]
	global_load_dwordx4 v[22:25], v[26:27], off
	global_load_dwordx4 v[18:21], v[26:27], off offset:128
.LBB445_29:
	s_or_b64 exec, exec, s[2:3]
	s_mov_b32 s6, s4
	s_mov_b32 s7, s4
	;; [unrolled: 1-line block ×3, first 2 shown]
	v_mov_b64_e32 v[32:33], s[6:7]
	v_mov_b64_e32 v[30:31], s[4:5]
	;; [unrolled: 1-line block ×3, first 2 shown]
	v_cmp_gt_i32_e32 vcc, s54, v38
	v_lshlrev_b32_e32 v39, 7, v38
	v_mov_b64_e32 v[28:29], v[32:33]
	s_and_saveexec_b64 s[2:3], vcc
	s_cbranch_execz .LBB445_31
; %bb.30:
	v_lshlrev_b32_e32 v26, 1, v39
	v_mov_b32_e32 v27, 0
	v_lshl_add_u64 v[28:29], s[0:1], 0, v[26:27]
	v_lshlrev_b32_e32 v26, 1, v36
	v_lshl_add_u64 v[42:43], v[28:29], 0, v[26:27]
	global_load_dwordx4 v[30:33], v[42:43], off
	global_load_dwordx4 v[26:29], v[42:43], off offset:128
.LBB445_31:
	s_or_b64 exec, exec, s[2:3]
	v_lshrrev_b32_e32 v41, 3, v36
	v_lshlrev_b32_e32 v42, 3, v35
	v_or_b32_e32 v41, v42, v41
	v_lshlrev_b32_e32 v41, 4, v41
	v_and_b32_e32 v42, 0x78, v42
	v_xor_b32_e32 v41, v41, v42
	s_branch .LBB445_34
.LBB445_32:
                                        ; implicit-def: $vgpr41
                                        ; implicit-def: $vgpr39
                                        ; implicit-def: $vgpr22_vgpr23_vgpr24_vgpr25
                                        ; implicit-def: $vgpr18_vgpr19_vgpr20_vgpr21
                                        ; implicit-def: $vgpr30_vgpr31_vgpr32_vgpr33
                                        ; implicit-def: $vgpr26_vgpr27_vgpr28_vgpr29
	s_cbranch_execz .LBB445_34
; %bb.33:
	s_waitcnt vmcnt(0)
	v_lshlrev_b32_e32 v18, 1, v36
	v_lshl_or_b32 v39, v35, 8, v18
	s_and_b32 s1, s1, 0xffff
	s_mov_b32 s3, 0x20000
	s_movk_i32 s2, 0x4000
	v_lshl_or_b32 v41, v38, 8, v18
	s_movk_i32 s4, 0x80
	buffer_load_dwordx4 v[22:25], v39, s[0:3], 0 offen
	buffer_load_dwordx4 v[18:21], v39, s[0:3], s4 offen
	;; [unrolled: 1-line block ×4, first 2 shown]
	v_lshrrev_b32_e32 v39, 3, v36
	v_lshlrev_b32_e32 v41, 3, v35
	v_or_b32_e32 v39, v41, v39
	v_lshlrev_b32_e32 v39, 4, v39
	v_and_b32_e32 v41, 0x78, v41
	v_xor_b32_e32 v41, v39, v41
	v_lshlrev_b32_e32 v39, 7, v38
.LBB445_34:
	s_lshl_b64 s[0:1], s[46:47], 8
	s_add_u32 s4, s16, s0
	s_movk_i32 s0, 0x1000
	v_and_or_b32 v38, v39, s0, v41
	s_waitcnt vmcnt(1)
	ds_write_b64 v41, v[22:23] offset:24576
	v_xor_b32_e32 v22, 8, v41
	ds_write_b64 v22, v[24:25] offset:24576
	s_waitcnt vmcnt(0)
	ds_write_b64 v41, v[18:19] offset:32768
	ds_write_b64 v22, v[20:21] offset:32768
	;; [unrolled: 1-line block ×3, first 2 shown]
	v_xor_b32_e32 v18, 8, v38
	ds_write_b64 v18, v[32:33] offset:24576
	ds_write_b64 v38, v[26:27] offset:32768
	;; [unrolled: 1-line block ×3, first 2 shown]
	v_or_b32_e32 v18, v59, v62
	v_lshlrev_b32_e32 v18, 3, v18
	v_lshrrev_b32_e32 v19, 5, v60
	s_movk_i32 s7, 0xf8
	v_and_or_b32 v19, v18, s7, v19
	v_lshlrev_b32_e32 v23, 4, v19
	v_lshlrev_b32_e32 v41, 11, v58
	v_and_b32_e32 v24, 0x78, v18
	v_or_b32_e32 v26, 32, v23
	v_and_b32_e32 v22, 0x1000, v41
	v_lshrrev_b32_e32 v19, 1, v60
	v_xor_b32_e32 v26, v26, v24
	v_xor_b32_e32 v18, v23, v24
	v_and_b32_e32 v25, 8, v19
	v_or_b32_e32 v26, v26, v22
	v_or_b32_e32 v18, v18, v22
	v_xor_b32_e32 v45, v26, v25
	v_or_b32_e32 v26, 64, v23
	v_xor_b32_e32 v44, v18, v25
	v_xor_b32_e32 v26, v26, v24
	s_waitcnt lgkmcnt(0)
	s_barrier
	v_or_b32_e32 v28, v26, v22
	ds_read_b64 v[26:27], v44 offset:24576
	v_lshl_or_b32 v38, v61, 7, v40
	v_lshlrev_b32_e32 v42, 1, v38
	v_add_u32_e32 v18, 0xa000, v42
	ds_read2_b64 v[18:21], v18 offset1:16
	v_or_b32_e32 v23, 0x60, v23
	v_xor_b32_e32 v23, v23, v24
	s_waitcnt lgkmcnt(0)
	v_mfma_f32_16x16x16_bf16 a[0:3], v[26:27], v[18:19], 0
	v_or_b32_e32 v18, 64, v38
	v_or_b32_e32 v22, v23, v22
	v_lshlrev_b32_e32 v43, 1, v18
	v_xor_b32_e32 v46, v28, v25
	v_xor_b32_e32 v47, v22, v25
	ds_read_b64 v[28:29], v45 offset:24576
	ds_read_b64 v[30:31], v46 offset:24576
	;; [unrolled: 1-line block ×3, first 2 shown]
	v_mfma_f32_16x16x16_bf16 a[4:7], v[26:27], v[20:21], 0
	ds_read2st64_b64 v[18:21], v43 offset0:82 offset1:84
	ds_read2st64_b64 v[22:25], v42 offset0:82 offset1:84
	s_addc_u32 s5, s17, s1
	s_add_i32 s2, s28, -1
	s_add_i32 s0, s48, s37
	s_mul_i32 s13, s13, s36
	s_add_i32 s13, s0, s13
	s_mul_i32 s0, s33, s39
	s_mul_hi_u32 s1, s33, s38
	s_ashr_i32 s3, s2, 31
	s_mul_i32 s6, s2, s41
	s_mul_hi_u32 s7, s2, s40
	s_add_i32 s0, s1, s0
	s_mul_i32 s1, s30, s38
	s_add_i32 s6, s7, s6
	s_mul_i32 s3, s3, s40
	s_waitcnt lgkmcnt(1)
	v_mfma_f32_16x16x16_bf16 a[4:7], v[28:29], v[18:19], a[4:7]
	s_add_i32 s1, s0, s1
	s_add_i32 s3, s6, s3
	s_lshl_b64 s[6:7], s[12:13], 2
	s_waitcnt lgkmcnt(0)
	v_mfma_f32_16x16x16_bf16 a[0:3], v[28:29], v[22:23], a[0:3]
	s_mul_i32 s0, s33, s38
	s_add_u32 s6, s22, s6
	s_addc_u32 s7, s23, s7
	s_lshl_b64 s[0:1], s[0:1], 2
	s_mul_i32 s2, s2, s40
	s_add_u32 s12, s6, s0
	ds_read_b64 v[18:19], v42 offset:44032
	v_mfma_f32_16x16x16_bf16 a[4:7], v[30:31], v[20:21], a[4:7]
	ds_read_b64 v[20:21], v43 offset:44032
	s_addc_u32 s13, s7, s1
	s_lshl_b64 s[0:1], s[2:3], 2
	v_mfma_f32_16x16x16_bf16 a[0:3], v[30:31], v[24:25], a[0:3]
	s_add_u32 s0, s12, s0
	s_addc_u32 s1, s13, s1
	s_load_dword s16, s[0:1], 0x0
	s_waitcnt lgkmcnt(0)
	v_mfma_f32_16x16x16_bf16 a[0:3], v[32:33], v[18:19], a[0:3]
	s_and_b64 vcc, exec, s[44:45]
	v_mfma_f32_16x16x16_bf16 a[4:7], v[32:33], v[20:21], a[4:7]
	s_cbranch_vccz .LBB445_45
; %bb.35:
	v_lshlrev_b32_e32 v38, 1, v35
	s_and_b64 vcc, exec, s[14:15]
	s_cbranch_vccz .LBB445_46
; %bb.36:
	v_cmp_gt_i32_e32 vcc, s54, v38
	v_mov_b32_e32 v22, 0
	v_mov_b32_e32 v18, 0
	;; [unrolled: 1-line block ×5, first 2 shown]
	s_and_saveexec_b64 s[0:1], vcc
	s_cbranch_execz .LBB445_38
; %bb.37:
	v_mad_i64_i32 v[18:19], s[2:3], s31, v38, 0
	v_lshl_add_u64 v[18:19], v[18:19], 1, s[4:5]
	v_lshlrev_b32_e32 v20, 1, v36
	v_mov_b32_e32 v21, 0
	v_lshl_add_u64 v[18:19], v[18:19], 0, v[20:21]
	global_load_dwordx4 v[18:21], v[18:19], off
.LBB445_38:
	s_or_b64 exec, exec, s[0:1]
	v_or_b32_e32 v39, 1, v38
	v_cmp_gt_i32_e64 s[0:1], s54, v39
	v_mov_b32_e32 v23, 0
	v_mov_b32_e32 v24, 0
	v_mov_b32_e32 v25, 0
	s_and_saveexec_b64 s[2:3], s[0:1]
	s_cbranch_execz .LBB445_40
; %bb.39:
	v_mad_i64_i32 v[22:23], s[6:7], s31, v39, 0
	v_lshl_add_u64 v[22:23], v[22:23], 1, s[4:5]
	v_lshlrev_b32_e32 v24, 1, v36
	v_mov_b32_e32 v25, 0
	v_lshl_add_u64 v[22:23], v[22:23], 0, v[24:25]
	global_load_dwordx4 v[22:25], v[22:23], off
.LBB445_40:
	s_or_b64 exec, exec, s[2:3]
	v_mov_b32_e32 v33, 0
	v_mov_b32_e32 v26, 0
	;; [unrolled: 1-line block ×5, first 2 shown]
	s_and_saveexec_b64 s[2:3], vcc
	s_cbranch_execz .LBB445_42
; %bb.41:
	v_mad_i64_i32 v[26:27], s[6:7], s31, v38, 0
	v_lshl_add_u64 v[26:27], v[26:27], 1, s[4:5]
	v_lshlrev_b32_e32 v28, 1, v36
	v_mov_b32_e32 v29, 0
	v_lshl_add_u64 v[26:27], v[26:27], 0, v[28:29]
	global_load_dwordx4 v[26:29], v[26:27], off offset:128
.LBB445_42:
	s_or_b64 exec, exec, s[2:3]
	v_mov_b32_e32 v32, 0
	v_mov_b32_e32 v31, 0
	;; [unrolled: 1-line block ×3, first 2 shown]
	s_and_saveexec_b64 s[2:3], s[0:1]
	s_cbranch_execz .LBB445_44
; %bb.43:
	v_mad_i64_i32 v[30:31], s[0:1], s31, v39, 0
	v_lshl_add_u64 v[30:31], v[30:31], 1, s[4:5]
	v_lshlrev_b32_e32 v32, 1, v36
	v_mov_b32_e32 v33, 0
	v_lshl_add_u64 v[30:31], v[30:31], 0, v[32:33]
	global_load_dwordx4 v[30:33], v[30:31], off offset:128
.LBB445_44:
	s_or_b64 exec, exec, s[2:3]
	s_branch .LBB445_48
.LBB445_45:
                                        ; implicit-def: $vgpr21
                                        ; implicit-def: $vgpr25
                                        ; implicit-def: $vgpr29
                                        ; implicit-def: $vgpr33
	v_lshrrev_b32_e32 v48, 2, v60
	s_branch .LBB445_49
.LBB445_46:
                                        ; implicit-def: $vgpr21
                                        ; implicit-def: $vgpr25
                                        ; implicit-def: $vgpr29
                                        ; implicit-def: $vgpr33
	s_cbranch_execz .LBB445_48
; %bb.47:
	s_waitcnt vmcnt(0)
	v_mad_u64_u32 v[18:19], s[0:1], v38, s31, v[36:37]
	v_lshlrev_b32_e32 v38, 1, v18
	s_lshl_b32 s2, s31, 7
	s_and_b32 s1, s5, 0xffff
	s_mov_b32 s3, 0x20000
	s_mov_b32 s0, s4
	v_add_lshl_u32 v39, v18, s31, 1
	s_movk_i32 s6, 0x80
	buffer_load_dwordx4 v[18:21], v38, s[0:3], 0 offen
	buffer_load_dwordx4 v[26:29], v38, s[0:3], s6 offen
	buffer_load_dwordx4 v[22:25], v39, s[0:3], 0 offen
	buffer_load_dwordx4 v[30:33], v39, s[0:3], s6 offen
.LBB445_48:
	v_lshrrev_b32_e32 v48, 2, v60
	s_cbranch_execnz .LBB445_61
.LBB445_49:
	s_and_b64 vcc, exec, s[14:15]
	s_cbranch_vccz .LBB445_59
; %bb.50:
	s_waitcnt vmcnt(0)
	v_lshlrev_b32_e32 v23, 1, v35
	v_cmp_gt_i32_e32 vcc, s54, v23
	v_mov_b32_e32 v22, 0
	v_lshlrev_b32_e32 v30, 9, v35
	v_mov_b32_e32 v18, 0
	v_mov_b32_e32 v19, 0
	;; [unrolled: 1-line block ×4, first 2 shown]
	s_and_saveexec_b64 s[0:1], vcc
	s_cbranch_execz .LBB445_52
; %bb.51:
	v_mov_b32_e32 v31, 0
	v_lshl_add_u64 v[18:19], s[4:5], 0, v[30:31]
	v_lshlrev_b32_e32 v20, 1, v36
	v_mov_b32_e32 v21, v31
	v_lshl_add_u64 v[18:19], v[18:19], 0, v[20:21]
	global_load_dwordx4 v[18:21], v[18:19], off
.LBB445_52:
	s_or_b64 exec, exec, s[0:1]
	v_or_b32_e32 v23, 1, v23
	v_cmp_gt_i32_e64 s[0:1], s54, v23
	v_lshlrev_b32_e32 v38, 8, v23
	v_mov_b32_e32 v23, 0
	v_mov_b32_e32 v24, 0
	;; [unrolled: 1-line block ×3, first 2 shown]
	s_and_saveexec_b64 s[2:3], s[0:1]
	s_cbranch_execz .LBB445_54
; %bb.53:
	v_mov_b32_e32 v39, 0
	v_lshl_add_u64 v[22:23], s[4:5], 0, v[38:39]
	v_lshlrev_b32_e32 v24, 1, v36
	v_mov_b32_e32 v25, v39
	v_lshl_add_u64 v[22:23], v[22:23], 0, v[24:25]
	global_load_dwordx4 v[22:25], v[22:23], off
.LBB445_54:
	s_or_b64 exec, exec, s[2:3]
	v_mov_b32_e32 v33, 0
	v_mov_b32_e32 v26, 0
	;; [unrolled: 1-line block ×5, first 2 shown]
	s_and_saveexec_b64 s[2:3], vcc
	s_cbranch_execz .LBB445_56
; %bb.55:
	v_mov_b32_e32 v31, 0
	v_lshl_add_u64 v[26:27], s[4:5], 0, v[30:31]
	v_lshlrev_b32_e32 v30, 1, v36
	v_lshl_add_u64 v[26:27], v[26:27], 0, v[30:31]
	global_load_dwordx4 v[26:29], v[26:27], off offset:128
.LBB445_56:
	s_or_b64 exec, exec, s[2:3]
	v_mov_b32_e32 v32, 0
	v_mov_b32_e32 v31, 0
	;; [unrolled: 1-line block ×3, first 2 shown]
	s_and_saveexec_b64 s[2:3], s[0:1]
	s_cbranch_execz .LBB445_58
; %bb.57:
	v_mov_b32_e32 v39, 0
	v_lshl_add_u64 v[30:31], s[4:5], 0, v[38:39]
	v_lshlrev_b32_e32 v38, 1, v36
	v_lshl_add_u64 v[30:31], v[30:31], 0, v[38:39]
	global_load_dwordx4 v[30:33], v[30:31], off offset:128
.LBB445_58:
	s_or_b64 exec, exec, s[2:3]
	s_branch .LBB445_61
.LBB445_59:
                                        ; implicit-def: $vgpr21
                                        ; implicit-def: $vgpr25
                                        ; implicit-def: $vgpr29
                                        ; implicit-def: $vgpr33
	s_cbranch_execz .LBB445_61
; %bb.60:
	s_waitcnt vmcnt(0)
	v_lshlrev_b32_e32 v18, 1, v36
	v_lshl_or_b32 v36, v35, 9, v18
	s_and_b32 s5, s5, 0xffff
	s_mov_b32 s7, 0x20000
	s_movk_i32 s6, 0x4000
	s_movk_i32 s0, 0x80
	buffer_load_dwordx4 v[18:21], v36, s[4:7], 0 offen
	buffer_load_dwordx4 v[22:25], v36, s[4:7], 0 offen offset:256
	buffer_load_dwordx4 v[26:29], v36, s[4:7], s0 offen
	buffer_load_dwordx4 v[30:33], v36, s[4:7], s0 offen offset:256
.LBB445_61:
	ds_read_b64 v[38:39], v44 offset:32768
	v_add_u32_e32 v36, 0xb000, v42
	ds_read2_b64 v[50:53], v36 offset1:16
	ds_read_b64 v[54:55], v45 offset:32768
	ds_read_b64 v[56:57], v46 offset:32768
	;; [unrolled: 1-line block ×3, first 2 shown]
	v_and_b32_e32 v36, 6, v0
	v_xor_b32_e32 v35, v35, v36
	v_lshlrev_b32_e32 v35, 2, v35
	v_and_b32_e32 v49, 1, v0
	v_cmp_eq_u32_e32 vcc, 0, v49
	s_mov_b32 s0, 0x1000504
	s_waitcnt lgkmcnt(3)
	v_mfma_f32_16x16x16_bf16 a[0:3], v[38:39], v[50:51], a[0:3]
	s_mov_b32 s1, 0x3020706
	v_mfma_f32_16x16x16_bf16 a[4:7], v[38:39], v[52:53], a[4:7]
	ds_read2st64_b64 v[44:47], v42 offset0:90 offset1:92
	ds_read2st64_b64 v[50:53], v43 offset0:90 offset1:92
	s_waitcnt lgkmcnt(1)
	v_mfma_f32_16x16x16_bf16 a[0:3], v[54:55], v[44:45], a[0:3]
	ds_read_b64 v[38:39], v42 offset:48128
	ds_read_b64 v[44:45], v43 offset:48128
	s_waitcnt lgkmcnt(2)
	v_mfma_f32_16x16x16_bf16 a[4:7], v[54:55], v[50:51], a[4:7]
	v_mfma_f32_16x16x16_bf16 a[0:3], v[56:57], v[46:47], a[0:3]
	v_xor_b32_e32 v46, 0x440, v35
	v_cndmask_b32_e32 v35, v46, v35, vcc
	v_lshl_or_b32 v35, v36, 10, v35
	v_mfma_f32_16x16x16_bf16 a[8:11], v[56:57], v[52:53], a[4:7]
	s_waitcnt vmcnt(0)
	v_perm_b32 v36, v18, v22, s0
	v_perm_b32 v18, v18, v22, s1
	v_perm_b32 v22, v26, v30, s1
	s_waitcnt lgkmcnt(1)
	v_mfma_f32_16x16x16_bf16 a[4:7], v[60:61], v[38:39], a[0:3]
	v_perm_b32 v38, v26, v30, s0
	ds_write2st64_b32 v35, v36, v38 offset0:32 offset1:64
	v_xor_b32_e32 v36, 8, v35
	v_add_u32_e32 v26, 0x80, v36
	ds_write2st64_b32 v26, v18, v22 offset0:32 offset1:64
	v_xor_b32_e32 v18, 16, v35
	v_perm_b32 v22, v19, v23, s0
	v_perm_b32 v26, v27, v31, s0
	ds_write2st64_b32 v18, v22, v26 offset0:33 offset1:65
	v_xor_b32_e32 v18, 24, v35
	v_perm_b32 v19, v19, v23, s1
	v_perm_b32 v22, v27, v31, s1
	v_add_u32_e32 v18, 0x80, v18
	ds_write2st64_b32 v18, v19, v22 offset0:33 offset1:65
	v_xor_b32_e32 v18, 32, v35
	v_perm_b32 v19, v20, v24, s0
	v_perm_b32 v22, v28, v32, s0
	ds_write2st64_b32 v18, v19, v22 offset0:34 offset1:66
	v_xor_b32_e32 v18, 40, v35
	s_waitcnt lgkmcnt(5)
	v_mfma_f32_16x16x16_bf16 a[0:3], v[60:61], v[44:45], a[8:11]
	v_perm_b32 v19, v20, v24, s1
	v_perm_b32 v20, v28, v32, s1
	v_add_u32_e32 v18, 0x80, v18
	ds_write2st64_b32 v18, v19, v20 offset0:34 offset1:66
	v_xor_b32_e32 v18, 48, v35
	v_perm_b32 v19, v21, v25, s0
	v_perm_b32 v20, v29, v33, s0
	ds_write2st64_b32 v18, v19, v20 offset0:35 offset1:67
	v_xor_b32_e32 v18, 56, v35
	v_and_or_b32 v45, v48, 12, v59
	v_perm_b32 v19, v21, v25, s1
	v_perm_b32 v20, v29, v33, s1
	v_add_u32_e32 v18, 0x80, v18
	v_cmp_gt_i32_e64 s[0:1], s54, v45
	v_mov_b32_e32 v38, 0
	v_mov_b32_e32 v39, 0
	ds_write2st64_b32 v18, v19, v20 offset0:35 offset1:67
	s_and_saveexec_b64 s[2:3], s[0:1]
	s_cbranch_execz .LBB445_63
; %bb.62:
	v_add_u32_e32 v18, s53, v45
	v_ashrrev_i32_e32 v19, 31, v18
	v_mul_lo_u32 v20, v19, s40
	v_mul_lo_u32 v21, v18, s41
	v_mad_u64_u32 v[18:19], s[4:5], v18, s40, 0
	v_add3_u32 v19, v19, v21, v20
	v_lshl_add_u64 v[18:19], v[18:19], 2, s[12:13]
	global_load_dword v18, v[18:19], off
	s_waitcnt vmcnt(0)
	v_sub_f32_e32 v18, s16, v18
	v_exp_f32_e32 v39, v18
.LBB445_63:
	s_or_b64 exec, exec, s[2:3]
	v_or_b32_e32 v30, 1, v45
	v_cmp_gt_i32_e64 s[4:5], s54, v30
	s_and_saveexec_b64 s[2:3], s[4:5]
	s_cbranch_execz .LBB445_65
; %bb.64:
	v_add_u32_e32 v18, s53, v30
	v_ashrrev_i32_e32 v19, 31, v18
	v_mul_lo_u32 v20, v19, s40
	v_mul_lo_u32 v21, v18, s41
	v_mad_u64_u32 v[18:19], s[6:7], v18, s40, 0
	v_add3_u32 v19, v19, v21, v20
	v_lshl_add_u64 v[18:19], v[18:19], 2, s[12:13]
	global_load_dword v18, v[18:19], off
	s_waitcnt vmcnt(0)
	v_sub_f32_e32 v18, s16, v18
	v_exp_f32_e32 v38, v18
.LBB445_65:
	s_or_b64 exec, exec, s[2:3]
	v_or_b32_e32 v28, 2, v45
	v_cmp_gt_i32_e64 s[2:3], s54, v28
	v_mov_b32_e32 v36, 0
	v_mov_b32_e32 v44, 0
	s_and_saveexec_b64 s[6:7], s[2:3]
	s_cbranch_execz .LBB445_67
; %bb.66:
	v_add_u32_e32 v18, s53, v28
	v_ashrrev_i32_e32 v19, 31, v18
	v_mul_lo_u32 v20, v19, s40
	v_mul_lo_u32 v21, v18, s41
	v_mad_u64_u32 v[18:19], s[14:15], v18, s40, 0
	v_add3_u32 v19, v19, v21, v20
	v_lshl_add_u64 v[18:19], v[18:19], 2, s[12:13]
	global_load_dword v18, v[18:19], off
	s_waitcnt vmcnt(0)
	v_sub_f32_e32 v18, s16, v18
	v_exp_f32_e32 v44, v18
.LBB445_67:
	s_or_b64 exec, exec, s[6:7]
	v_or_b32_e32 v29, 3, v45
	v_cmp_gt_i32_e32 vcc, s54, v29
	s_and_saveexec_b64 s[6:7], vcc
	s_cbranch_execz .LBB445_69
; %bb.68:
	v_add_u32_e32 v18, s53, v29
	v_ashrrev_i32_e32 v19, 31, v18
	v_mul_lo_u32 v20, v19, s40
	v_mul_lo_u32 v21, v18, s41
	v_mad_u64_u32 v[18:19], s[14:15], v18, s40, 0
	v_add3_u32 v19, v19, v21, v20
	v_lshl_add_u64 v[18:19], v[18:19], 2, s[12:13]
	global_load_dword v18, v[18:19], off
	s_waitcnt vmcnt(0)
	v_sub_f32_e32 v18, s16, v18
	v_exp_f32_e32 v36, v18
.LBB445_69:
	s_or_b64 exec, exec, s[6:7]
	s_add_u32 s6, s20, s10
	s_addc_u32 s7, s21, s11
	s_add_u32 s10, s26, s10
	v_ashrrev_i32_e32 v35, 31, v34
	v_accvgpr_read_b32 v21, a7
	s_addc_u32 s11, s27, s11
	v_lshlrev_b64 v[22:23], 1, v[34:35]
	v_accvgpr_read_b32 v20, a6
	v_accvgpr_read_b32 v19, a5
	;; [unrolled: 1-line block ×3, first 2 shown]
	v_lshl_add_u64 v[24:25], s[6:7], 0, v[22:23]
	v_lshl_add_u64 v[22:23], s[10:11], 0, v[22:23]
	v_mov_b32_e32 v31, 0
	v_lshlrev_b32_e32 v26, 8, v45
	v_mov_b32_e32 v27, 0
	s_and_saveexec_b64 s[6:7], s[0:1]
	s_cbranch_execz .LBB445_71
; %bb.70:
	v_mov_b32_e32 v27, 0
	v_lshl_add_u64 v[32:33], v[24:25], 0, v[26:27]
	global_load_ushort v35, v[32:33], off
	v_lshl_add_u64 v[32:33], v[22:23], 0, v[26:27]
	s_waitcnt vmcnt(0)
	v_lshlrev_b32_e32 v27, 16, v35
	v_sub_f32_e32 v18, v27, v18
	global_store_short_d16_hi v[32:33], v18, off
	v_mul_f32_e32 v18, v39, v18
	v_lshrrev_b32_e32 v27, 16, v18
.LBB445_71:
	s_or_b64 exec, exec, s[6:7]
	v_lshlrev_b32_e32 v30, 8, v30
	s_and_saveexec_b64 s[6:7], s[4:5]
	s_cbranch_execz .LBB445_73
; %bb.72:
	v_mov_b32_e32 v31, 0
	v_lshl_add_u64 v[32:33], v[24:25], 0, v[30:31]
	global_load_ushort v18, v[32:33], off
	v_lshl_add_u64 v[32:33], v[22:23], 0, v[30:31]
	s_waitcnt vmcnt(0)
	v_lshlrev_b32_e32 v18, 16, v18
	v_sub_f32_e32 v18, v18, v19
	global_store_short_d16_hi v[32:33], v18, off
	v_mul_f32_e32 v18, v38, v18
	v_lshrrev_b32_e32 v31, 16, v18
.LBB445_73:
	s_or_b64 exec, exec, s[6:7]
	v_mov_b32_e32 v46, 0
	v_lshlrev_b32_e32 v32, 8, v28
	v_mov_b32_e32 v33, 0
	s_and_saveexec_b64 s[6:7], s[2:3]
	s_cbranch_execz .LBB445_75
; %bb.74:
	v_mov_b32_e32 v33, 0
	v_lshl_add_u64 v[18:19], v[24:25], 0, v[32:33]
	global_load_ushort v28, v[18:19], off
	v_lshl_add_u64 v[18:19], v[22:23], 0, v[32:33]
	s_waitcnt vmcnt(0)
	v_lshlrev_b32_e32 v28, 16, v28
	v_sub_f32_e32 v20, v28, v20
	global_store_short_d16_hi v[18:19], v20, off
	v_mul_f32_e32 v18, v44, v20
	v_lshrrev_b32_e32 v33, 16, v18
.LBB445_75:
	s_or_b64 exec, exec, s[6:7]
	v_lshlrev_b32_e32 v28, 8, v29
	s_and_saveexec_b64 s[6:7], vcc
	s_cbranch_execz .LBB445_77
; %bb.76:
	v_mov_b32_e32 v29, 0
	v_lshl_add_u64 v[18:19], v[24:25], 0, v[28:29]
	global_load_ushort v20, v[18:19], off
	v_lshl_add_u64 v[18:19], v[22:23], 0, v[28:29]
	s_waitcnt vmcnt(0)
	v_lshlrev_b32_e32 v20, 16, v20
	v_sub_f32_e32 v20, v20, v21
	global_store_short_d16_hi v[18:19], v20, off
	v_mul_f32_e32 v18, v36, v20
	v_lshrrev_b32_e32 v46, 16, v18
.LBB445_77:
	s_or_b64 exec, exec, s[6:7]
	v_lshlrev_b32_e32 v35, 5, v45
	s_mov_b32 s6, 0x5040100
	v_perm_b32 v47, v46, v33, s6
	v_perm_b32 v46, v31, v27, s6
	v_or_b32_e32 v27, v35, v40
	v_accvgpr_read_b32 v21, a3
	v_lshlrev_b32_e32 v27, 1, v27
	v_accvgpr_read_b32 v20, a2
	v_accvgpr_read_b32 v19, a1
	;; [unrolled: 1-line block ×3, first 2 shown]
	ds_write_b64 v27, v[46:47] offset:45056
	v_mov_b32_e32 v31, 0
	v_mov_b32_e32 v27, 0
	s_and_saveexec_b64 s[6:7], s[0:1]
	s_cbranch_execz .LBB445_79
; %bb.78:
	v_mov_b32_e32 v27, 0
	v_lshl_add_u64 v[46:47], v[24:25], 0, v[26:27]
	global_load_ushort v29, v[46:47], off offset:32
	v_lshl_add_u64 v[26:27], v[22:23], 0, v[26:27]
	s_waitcnt vmcnt(0)
	v_lshlrev_b32_e32 v29, 16, v29
	v_sub_f32_e32 v18, v29, v18
	global_store_short_d16_hi v[26:27], v18, off offset:32
	v_mul_f32_e32 v18, v39, v18
	v_lshrrev_b32_e32 v27, 16, v18
.LBB445_79:
	s_or_b64 exec, exec, s[6:7]
	s_and_saveexec_b64 s[0:1], s[4:5]
	s_cbranch_execz .LBB445_81
; %bb.80:
	v_mov_b32_e32 v31, 0
	v_lshl_add_u64 v[46:47], v[24:25], 0, v[30:31]
	global_load_ushort v18, v[46:47], off offset:32
	v_lshl_add_u64 v[30:31], v[22:23], 0, v[30:31]
	s_waitcnt vmcnt(0)
	v_lshlrev_b32_e32 v18, 16, v18
	v_sub_f32_e32 v18, v18, v19
	global_store_short_d16_hi v[30:31], v18, off offset:32
	v_mul_f32_e32 v18, v38, v18
	v_lshrrev_b32_e32 v31, 16, v18
.LBB445_81:
	s_or_b64 exec, exec, s[0:1]
	v_mov_b32_e32 v26, 0
	v_mov_b32_e32 v30, 0
	s_and_saveexec_b64 s[0:1], s[2:3]
	s_cbranch_execz .LBB445_83
; %bb.82:
	v_mov_b32_e32 v33, 0
	v_lshl_add_u64 v[18:19], v[24:25], 0, v[32:33]
	global_load_ushort v29, v[18:19], off offset:32
	v_lshl_add_u64 v[18:19], v[22:23], 0, v[32:33]
	s_waitcnt vmcnt(0)
	v_lshlrev_b32_e32 v29, 16, v29
	v_sub_f32_e32 v20, v29, v20
	global_store_short_d16_hi v[18:19], v20, off offset:32
	v_mul_f32_e32 v18, v44, v20
	v_lshrrev_b32_e32 v30, 16, v18
.LBB445_83:
	s_or_b64 exec, exec, s[0:1]
	v_or_b32_e32 v19, 0xb000, v42
	v_or_b32_e32 v18, 0xb000, v43
	s_and_saveexec_b64 s[0:1], vcc
	s_cbranch_execz .LBB445_85
; %bb.84:
	v_mov_b32_e32 v29, 0
	v_lshl_add_u64 v[24:25], v[24:25], 0, v[28:29]
	global_load_ushort v20, v[24:25], off offset:32
	v_lshl_add_u64 v[22:23], v[22:23], 0, v[28:29]
	s_waitcnt vmcnt(0)
	v_lshlrev_b32_e32 v20, 16, v20
	v_sub_f32_e32 v20, v20, v21
	global_store_short_d16_hi v[22:23], v20, off offset:32
	v_mul_f32_e32 v20, v36, v20
	v_lshrrev_b32_e32 v26, 16, v20
.LBB445_85:
	s_or_b64 exec, exec, s[0:1]
	s_mov_b32 s0, 0x5040100
	v_or_b32_e32 v22, v35, v37
	v_perm_b32 v21, v26, v30, s0
	v_perm_b32 v20, v31, v27, s0
	v_lshlrev_b32_e32 v22, 1, v22
	s_movk_i32 s0, 0x100
	ds_write_b64 v22, v[20:21] offset:45056
	v_and_b32_e32 v20, 7, v0
	v_and_b32_e32 v21, 8, v0
	v_cmp_gt_u32_e32 vcc, s0, v0
	v_lshrrev_b32_e32 v0, 1, v0
	v_lshlrev_b32_e32 v35, 3, v20
	v_lshlrev_b32_e32 v36, 7, v20
	v_mov_b32_e32 v20, 0x4000
	v_mov_b32_e32 v22, 0x2000
	v_lshlrev_b32_e32 v38, 3, v58
	v_and_b32_e32 v0, 24, v0
	v_cndmask_b32_e32 v37, v20, v22, vcc
	v_xor_b32_e32 v20, v38, v0
	v_or_b32_e32 v26, 32, v0
	v_or_b32_e32 v22, 0x440, v20
	v_cmp_eq_u32_e32 vcc, 0, v21
	v_xor_b32_e32 v26, v38, v26
	v_or_b32_e32 v27, 0x440, v26
	v_cndmask_b32_e32 v20, v22, v20, vcc
	v_or_b32_e32 v20, v20, v41
	v_cndmask_b32_e32 v26, v27, v26, vcc
	v_xad_u32 v40, v20, v35, v36
	v_or_b32_e32 v26, v26, v41
	v_add_u32_e32 v20, v37, v40
	v_xad_u32 v42, v26, v35, v36
	s_waitcnt lgkmcnt(0)
	s_barrier
	ds_read_b64 v[24:25], v20
	ds_read2_b64 v[20:23], v19 offset1:16
	v_add_u32_e32 v26, v37, v42
	ds_read_b64 v[32:33], v26
	s_waitcnt lgkmcnt(1)
	v_mfma_f32_16x16x16_bf16 a[0:3], v[24:25], v[20:21], 0
	ds_read2st64_b64 v[28:31], v18 offset0:2 offset1:4
	v_mfma_f32_16x16x16_bf16 a[4:7], v[24:25], v[22:23], 0
	ds_read2st64_b64 v[24:27], v19 offset0:2 offset1:4
	s_waitcnt lgkmcnt(0)
	v_mfma_f32_16x16x16_bf16 a[0:3], v[32:33], v[24:25], a[0:3]
	v_mfma_f32_16x16x16_bf16 a[4:7], v[32:33], v[28:29], a[4:7]
	v_or_b32_e32 v32, 64, v0
	v_xor_b32_e32 v32, v38, v32
	v_xor_b32_e32 v33, 0x440, v32
	v_cndmask_b32_e32 v32, v33, v32, vcc
	v_or_b32_e32 v32, v32, v41
	v_xad_u32 v43, v32, v35, v36
	v_add_u32_e32 v32, v37, v43
	ds_read_b64 v[32:33], v32
	v_or_b32_e32 v0, 0x60, v0
	v_xor_b32_e32 v0, v38, v0
	v_xor_b32_e32 v38, 0x440, v0
	v_cndmask_b32_e32 v0, v38, v0, vcc
	v_or_b32_e32 v0, v0, v41
	v_xad_u32 v0, v0, v35, v36
	v_add_u32_e32 v35, v37, v0
	ds_read_b64 v[36:37], v35
	s_waitcnt lgkmcnt(1)
	v_mfma_f32_16x16x16_bf16 a[0:3], v[32:33], v[26:27], a[0:3]
	v_exp_f32_e32 v35, s16
	v_mfma_f32_16x16x16_bf16 a[4:7], v[32:33], v[30:31], a[4:7]
	ds_read_b64 v[32:33], v19 offset:3072
	ds_read_b64 v[38:39], v18 offset:3072
	;; [unrolled: 1-line block ×3, first 2 shown]
	s_waitcnt lgkmcnt(0)
	v_mfma_f32_16x16x16_bf16 a[8:11], v[18:19], v[20:21], 0
	ds_read_b64 v[20:21], v42 offset:16384
	v_mfma_f32_16x16x16_bf16 a[0:3], v[36:37], v[32:33], a[0:3]
	v_mfma_f32_16x16x16_bf16 a[12:15], v[18:19], v[22:23], 0
	ds_read_b64 v[22:23], v43 offset:16384
	s_nop 4
	v_accvgpr_read_b32 v18, a0
	v_fma_f32 v18, v2, v35, v18
	v_accvgpr_read_b32 v2, a1
	v_fma_f32 v19, v3, v35, v2
	v_accvgpr_read_b32 v2, a2
	s_waitcnt lgkmcnt(1)
	v_mfma_f32_16x16x16_bf16 a[8:11], v[20:21], v[24:25], a[8:11]
	v_mfma_f32_16x16x16_bf16 a[12:15], v[20:21], v[28:29], a[12:15]
	v_fma_f32 v20, v4, v35, v2
	ds_read_b64 v[2:3], v0 offset:16384
	v_accvgpr_read_b32 v21, a3
	s_waitcnt lgkmcnt(1)
	v_mfma_f32_16x16x16_bf16 a[0:3], v[22:23], v[26:27], a[8:11]
	v_fmac_f32_e32 v21, v5, v35
	v_mfma_f32_16x16x16_bf16 a[4:7], v[36:37], v[38:39], a[4:7]
	v_mfma_f32_16x16x16_bf16 a[8:11], v[22:23], v[30:31], a[12:15]
	s_waitcnt lgkmcnt(0)
	v_mfma_f32_16x16x16_bf16 a[0:3], v[2:3], v[32:33], a[0:3]
	s_nop 3
	v_accvgpr_read_b32 v0, a4
	v_fma_f32 v26, v10, v35, v0
	v_accvgpr_read_b32 v0, a5
	v_fma_f32 v27, v11, v35, v0
	v_accvgpr_read_b32 v0, a6
	v_accvgpr_read_b32 v29, a7
	v_mfma_f32_16x16x16_bf16 a[4:7], v[2:3], v[38:39], a[8:11]
	v_fma_f32 v28, v12, v35, v0
	v_accvgpr_read_b32 v0, a0
	v_fma_f32 v22, v6, v35, v0
	v_accvgpr_read_b32 v0, a1
	;; [unrolled: 2-line block ×5, first 2 shown]
	v_accvgpr_read_b32 v25, a3
	v_fma_f32 v31, v15, v35, v0
	v_accvgpr_read_b32 v0, a6
	v_accvgpr_read_b32 v33, a7
	v_fmac_f32_e32 v29, v13, v35
	v_fmac_f32_e32 v25, v9, v35
	v_fma_f32 v32, v16, v35, v0
	v_fmac_f32_e32 v33, v17, v35
	v_mov_b64_e32 v[2:3], v[18:19]
	v_mov_b64_e32 v[4:5], v[20:21]
	;; [unrolled: 1-line block ×8, first 2 shown]
	v_mov_b32_e32 v18, v34
.LBB445_86:
	s_lshl_b64 s[0:1], s[8:9], 16
	s_waitcnt lgkmcnt(0)
	s_add_u32 s0, s34, s0
	v_lshlrev_b32_e32 v18, 7, v18
	s_addc_u32 s1, s35, s1
	v_ashrrev_i32_e32 v19, 31, v18
	v_lshl_add_u64 v[20:21], v[18:19], 2, s[0:1]
	v_lshlrev_b32_e32 v0, 2, v1
	v_mov_b32_e32 v1, 0
	v_lshl_add_u64 v[20:21], v[20:21], 0, v[0:1]
	global_store_dwordx4 v[20:21], v[2:5], off
	global_store_dwordx4 v[20:21], v[6:9], off offset:256
	s_nop 0
	v_or_b32_e32 v2, 0x800, v18
	v_ashrrev_i32_e32 v3, 31, v2
	v_lshl_add_u64 v[2:3], v[2:3], 2, s[0:1]
	v_lshl_add_u64 v[0:1], v[2:3], 0, v[0:1]
	global_store_dwordx4 v[0:1], v[10:13], off
	global_store_dwordx4 v[0:1], v[14:17], off offset:256
	s_endpgm
	.section	.rodata,"a",@progbits
	.p2align	6, 0x0
	.amdhsa_kernel _ZN12_GLOBAL__N_139chunk_gated_delta_rule_fwd_h_hip_kernelILi32ELb0ELb1ELb1ELb0ELb1ELb0ELb0ELb0EEEvPK12hip_bfloat16S3_S3_PKfS5_PKvPS1_S8_PvPKiSB_iiiiilll
		.amdhsa_group_segment_fixed_size 49152
		.amdhsa_private_segment_fixed_size 0
		.amdhsa_kernarg_size 136
		.amdhsa_user_sgpr_count 2
		.amdhsa_user_sgpr_dispatch_ptr 0
		.amdhsa_user_sgpr_queue_ptr 0
		.amdhsa_user_sgpr_kernarg_segment_ptr 1
		.amdhsa_user_sgpr_dispatch_id 0
		.amdhsa_user_sgpr_kernarg_preload_length 0
		.amdhsa_user_sgpr_kernarg_preload_offset 0
		.amdhsa_user_sgpr_private_segment_size 0
		.amdhsa_uses_dynamic_stack 0
		.amdhsa_enable_private_segment 0
		.amdhsa_system_sgpr_workgroup_id_x 1
		.amdhsa_system_sgpr_workgroup_id_y 1
		.amdhsa_system_sgpr_workgroup_id_z 0
		.amdhsa_system_sgpr_workgroup_info 0
		.amdhsa_system_vgpr_workitem_id 0
		.amdhsa_next_free_vgpr 148
		.amdhsa_next_free_sgpr 68
		.amdhsa_accum_offset 132
		.amdhsa_reserve_vcc 1
		.amdhsa_float_round_mode_32 0
		.amdhsa_float_round_mode_16_64 0
		.amdhsa_float_denorm_mode_32 3
		.amdhsa_float_denorm_mode_16_64 3
		.amdhsa_dx10_clamp 1
		.amdhsa_ieee_mode 1
		.amdhsa_fp16_overflow 0
		.amdhsa_tg_split 0
		.amdhsa_exception_fp_ieee_invalid_op 0
		.amdhsa_exception_fp_denorm_src 0
		.amdhsa_exception_fp_ieee_div_zero 0
		.amdhsa_exception_fp_ieee_overflow 0
		.amdhsa_exception_fp_ieee_underflow 0
		.amdhsa_exception_fp_ieee_inexact 0
		.amdhsa_exception_int_div_zero 0
	.end_amdhsa_kernel
	.section	.text._ZN12_GLOBAL__N_139chunk_gated_delta_rule_fwd_h_hip_kernelILi32ELb0ELb1ELb1ELb0ELb1ELb0ELb0ELb0EEEvPK12hip_bfloat16S3_S3_PKfS5_PKvPS1_S8_PvPKiSB_iiiiilll,"axG",@progbits,_ZN12_GLOBAL__N_139chunk_gated_delta_rule_fwd_h_hip_kernelILi32ELb0ELb1ELb1ELb0ELb1ELb0ELb0ELb0EEEvPK12hip_bfloat16S3_S3_PKfS5_PKvPS1_S8_PvPKiSB_iiiiilll,comdat
.Lfunc_end445:
	.size	_ZN12_GLOBAL__N_139chunk_gated_delta_rule_fwd_h_hip_kernelILi32ELb0ELb1ELb1ELb0ELb1ELb0ELb0ELb0EEEvPK12hip_bfloat16S3_S3_PKfS5_PKvPS1_S8_PvPKiSB_iiiiilll, .Lfunc_end445-_ZN12_GLOBAL__N_139chunk_gated_delta_rule_fwd_h_hip_kernelILi32ELb0ELb1ELb1ELb0ELb1ELb0ELb0ELb0EEEvPK12hip_bfloat16S3_S3_PKfS5_PKvPS1_S8_PvPKiSB_iiiiilll
                                        ; -- End function
	.section	.AMDGPU.csdata,"",@progbits
; Kernel info:
; codeLenInByte = 9624
; NumSgprs: 74
; NumVgprs: 132
; NumAgprs: 16
; TotalNumVgprs: 148
; ScratchSize: 0
; MemoryBound: 0
; FloatMode: 240
; IeeeMode: 1
; LDSByteSize: 49152 bytes/workgroup (compile time only)
; SGPRBlocks: 9
; VGPRBlocks: 18
; NumSGPRsForWavesPerEU: 74
; NumVGPRsForWavesPerEU: 148
; AccumOffset: 132
; Occupancy: 1
; WaveLimiterHint : 1
; COMPUTE_PGM_RSRC2:SCRATCH_EN: 0
; COMPUTE_PGM_RSRC2:USER_SGPR: 2
; COMPUTE_PGM_RSRC2:TRAP_HANDLER: 0
; COMPUTE_PGM_RSRC2:TGID_X_EN: 1
; COMPUTE_PGM_RSRC2:TGID_Y_EN: 1
; COMPUTE_PGM_RSRC2:TGID_Z_EN: 0
; COMPUTE_PGM_RSRC2:TIDIG_COMP_CNT: 0
; COMPUTE_PGM_RSRC3_GFX90A:ACCUM_OFFSET: 32
; COMPUTE_PGM_RSRC3_GFX90A:TG_SPLIT: 0
	.section	.text._ZN12_GLOBAL__N_139chunk_gated_delta_rule_fwd_h_hip_kernelILi32ELb0ELb1ELb0ELb0ELb1ELb0ELb0ELb0EEEvPK12hip_bfloat16S3_S3_PKfS5_PKvPS1_S8_PvPKiSB_iiiiilll,"axG",@progbits,_ZN12_GLOBAL__N_139chunk_gated_delta_rule_fwd_h_hip_kernelILi32ELb0ELb1ELb0ELb0ELb1ELb0ELb0ELb0EEEvPK12hip_bfloat16S3_S3_PKfS5_PKvPS1_S8_PvPKiSB_iiiiilll,comdat
	.globl	_ZN12_GLOBAL__N_139chunk_gated_delta_rule_fwd_h_hip_kernelILi32ELb0ELb1ELb0ELb0ELb1ELb0ELb0ELb0EEEvPK12hip_bfloat16S3_S3_PKfS5_PKvPS1_S8_PvPKiSB_iiiiilll ; -- Begin function _ZN12_GLOBAL__N_139chunk_gated_delta_rule_fwd_h_hip_kernelILi32ELb0ELb1ELb0ELb0ELb1ELb0ELb0ELb0EEEvPK12hip_bfloat16S3_S3_PKfS5_PKvPS1_S8_PvPKiSB_iiiiilll
	.p2align	8
	.type	_ZN12_GLOBAL__N_139chunk_gated_delta_rule_fwd_h_hip_kernelILi32ELb0ELb1ELb0ELb0ELb1ELb0ELb0ELb0EEEvPK12hip_bfloat16S3_S3_PKfS5_PKvPS1_S8_PvPKiSB_iiiiilll,@function
_ZN12_GLOBAL__N_139chunk_gated_delta_rule_fwd_h_hip_kernelILi32ELb0ELb1ELb0ELb0ELb1ELb0ELb0ELb0EEEvPK12hip_bfloat16S3_S3_PKfS5_PKvPS1_S8_PvPKiSB_iiiiilll: ; @_ZN12_GLOBAL__N_139chunk_gated_delta_rule_fwd_h_hip_kernelILi32ELb0ELb1ELb0ELb0ELb1ELb0ELb0ELb0EEEvPK12hip_bfloat16S3_S3_PKfS5_PKvPS1_S8_PvPKiSB_iiiiilll
; %bb.0:
	s_load_dwordx4 s[24:27], s[0:1], 0x5c
	s_load_dwordx4 s[28:31], s[0:1], 0x70
	s_abs_i32 s6, s3
	s_ashr_i32 s5, s3, 31
	s_load_dwordx8 s[16:23], s[0:1], 0x0
	s_waitcnt lgkmcnt(0)
	s_abs_i32 s4, s25
	v_cvt_f32_u32_e32 v1, s4
	s_sub_i32 s8, 0, s4
	s_ashr_i32 s7, s25, 31
	s_xor_b32 s5, s5, s7
	v_rcp_iflag_f32_e32 v1, v1
	s_load_dwordx2 s[34:35], s[0:1], 0x40
	s_load_dwordx2 s[38:39], s[0:1], 0x30
	;; [unrolled: 1-line block ×3, first 2 shown]
	s_mov_b32 s0, 0
	v_mul_f32_e32 v1, 0x4f7ffffe, v1
	v_cvt_u32_f32_e32 v1, v1
	v_lshrrev_b32_e32 v56, 6, v0
	v_bfe_u32 v59, v0, 4, 2
	v_lshlrev_b32_e32 v57, 4, v56
	v_readfirstlane_b32 s9, v1
	s_mul_i32 s8, s8, s9
	s_mul_hi_u32 s8, s9, s8
	s_add_i32 s9, s9, s8
	s_mul_hi_u32 s8, s6, s9
	s_mul_i32 s9, s8, s4
	s_sub_i32 s6, s6, s9
	s_add_i32 s10, s8, 1
	s_sub_i32 s9, s6, s4
	s_cmp_ge_u32 s6, s4
	s_cselect_b32 s8, s10, s8
	s_cselect_b32 s6, s9, s6
	s_add_i32 s9, s8, 1
	s_cmp_ge_u32 s6, s4
	s_cselect_b32 s6, s9, s8
	s_xor_b32 s6, s6, s5
	s_sub_i32 s49, s6, s5
	s_abs_i32 s6, s26
	v_cvt_f32_u32_e32 v1, s6
	s_mul_i32 s47, s49, s25
	s_sub_i32 s33, s3, s47
	s_add_i32 s3, s24, 63
	v_rcp_iflag_f32_e32 v1, v1
	s_ashr_i32 s5, s3, 31
	s_lshr_b32 s5, s5, 26
	s_ashr_i32 s48, s24, 31
	v_mul_f32_e32 v1, 0x4f7ffffe, v1
	v_cvt_u32_f32_e32 v1, v1
	s_add_i32 s3, s3, s5
	s_lshr_b32 s5, s48, 26
	s_add_i32 s5, s24, s5
	s_ashr_i32 s44, s26, 31
	s_ashr_i32 s51, s5, 6
	s_xor_b32 s5, s7, s44
	s_sub_i32 s7, 0, s6
	v_readfirstlane_b32 s8, v1
	s_mul_i32 s7, s7, s8
	s_mul_hi_u32 s7, s8, s7
	s_add_i32 s8, s8, s7
	s_mul_hi_u32 s7, s4, s8
	s_mul_i32 s8, s7, s6
	s_sub_i32 s4, s4, s8
	s_ashr_i32 s3, s3, 6
	s_add_i32 s8, s7, 1
	s_sub_i32 s9, s4, s6
	s_cmp_ge_u32 s4, s6
	s_cselect_b32 s7, s8, s7
	s_cselect_b32 s4, s9, s4
	s_add_i32 s8, s7, 1
	s_cmp_ge_u32 s4, s6
	s_cselect_b32 s4, s8, s7
	s_xor_b32 s4, s4, s5
	s_sub_i32 s4, s4, s5
	s_abs_i32 s5, s4
	v_cvt_f32_u32_e32 v1, s5
	s_sub_i32 s6, 0, s5
	s_xor_b32 s1, s33, s4
	s_abs_i32 s4, s33
	v_rcp_iflag_f32_e32 v1, v1
	s_ashr_i32 s1, s1, 31
	v_lshlrev_b32_e32 v18, 2, v59
	s_mov_b32 s14, s0
	v_mul_f32_e32 v1, 0x4f7ffffe, v1
	v_cvt_u32_f32_e32 v1, v1
	s_mov_b32 s15, s0
	v_and_b32_e32 v58, 63, v0
	s_mul_i32 s53, s49, s3
	v_readfirstlane_b32 s7, v1
	s_mul_i32 s6, s6, s7
	s_mul_hi_u32 s6, s7, s6
	s_add_i32 s7, s7, s6
	s_mul_hi_u32 s6, s4, s7
	s_mul_i32 s7, s6, s5
	s_sub_i32 s4, s4, s7
	s_add_i32 s7, s6, 1
	s_sub_i32 s8, s4, s5
	s_cmp_ge_u32 s4, s5
	s_cselect_b32 s6, s7, s6
	s_cselect_b32 s4, s8, s4
	s_add_i32 s7, s6, 1
	s_cmp_ge_u32 s4, s5
	s_cselect_b32 s4, s7, s6
	s_xor_b32 s4, s4, s1
	s_sub_i32 s54, s4, s1
	v_or_b32_e32 v1, v18, v57
	s_lshl_b32 s40, s2, 5
	s_mov_b32 s1, s0
	s_mov_b32 s2, s0
	;; [unrolled: 1-line block ×13, first 2 shown]
	v_mov_b64_e32 v[16:17], s[14:15]
	v_and_b32_e32 v60, 15, v0
	v_or_b32_e32 v63, 64, v1
	s_cmp_lt_i32 s24, 64
	v_mov_b64_e32 v[14:15], s[12:13]
	v_mov_b64_e32 v[12:13], s[10:11]
	;; [unrolled: 1-line block ×7, first 2 shown]
	s_mul_hi_i32 s55, s49, s25
	v_lshrrev_b32_e32 v62, 3, v58
	v_lshlrev_b32_e32 v61, 3, v0
	s_mul_i32 s29, s49, s29
	s_mul_hi_u32 s46, s49, s28
	s_mul_i32 s12, s49, s28
	s_cbranch_scc1 .LBB446_19
; %bb.1:
	s_ashr_i32 s8, s49, 31
	s_ashr_i32 s50, s33, 31
	s_add_u32 s0, s47, s33
	s_addc_u32 s1, s55, s50
	s_mul_i32 s1, s24, s1
	s_mul_hi_u32 s2, s24, s0
	s_add_i32 s3, s2, s1
	s_mul_i32 s2, s24, s0
	s_lshl_b64 s[0:1], s[2:3], 8
	v_and_b32_e32 v9, 56, v61
	s_add_u32 s4, s18, s0
	v_lshl_or_b32 v5, v56, 3, v62
	v_lshlrev_b32_e32 v2, 1, v9
	s_addc_u32 s0, s19, s1
	v_lshl_or_b32 v13, v5, 8, v2
	s_and_b32 s5, s0, 0xffff
	s_mov_b32 s7, 0x20000
	s_movk_i32 s6, 0x4000
	s_movk_i32 s0, 0x80
	v_or_b32_e32 v17, 0x2000, v13
	buffer_load_dwordx4 v[20:23], v13, s[4:7], 0 offen
	buffer_load_dwordx4 v[24:27], v13, s[4:7], s0 offen
	buffer_load_dwordx4 v[28:31], v17, s[4:7], 0 offen
	buffer_load_dwordx4 v[32:35], v17, s[4:7], s0 offen
	v_lshlrev_b32_e32 v3, 3, v5
	v_and_or_b32 v6, v0, 7, v3
	v_and_b32_e32 v3, 0x78, v3
	v_lshlrev_b32_e32 v6, 4, v6
	v_xor_b32_e32 v64, v6, v3
	v_mul_lo_u32 v4, v5, s27
	v_or_b32_e32 v65, 0x1000, v64
	v_xor_b32_e32 v3, 8, v64
	s_cmpk_eq_i32 s27, 0x80
	s_mov_b32 s45, s26
	v_xor_b32_e32 v6, 8, v65
	s_cselect_b64 s[0:1], -1, 0
	s_cmpk_lg_i32 s27, 0x80
	s_waitcnt vmcnt(3)
	ds_write_b64 v64, v[20:21] offset:24576
	ds_write_b64 v3, v[22:23] offset:24576
	s_waitcnt vmcnt(2)
	ds_write_b64 v64, v[24:25] offset:32768
	ds_write_b64 v3, v[26:27] offset:32768
	;; [unrolled: 3-line block ×4, first 2 shown]
	v_lshl_add_u32 v3, v4, 1, v9
	s_cbranch_scc0 .LBB446_3
; %bb.2:
	v_lshlrev_b32_e32 v6, 1, v3
	v_add_lshl_u32 v4, v3, s27, 1
	s_lshl_b32 s6, s27, 7
	v_lshl_or_b32 v2, v5, 9, v2
	s_cbranch_execz .LBB446_4
	s_branch .LBB446_5
.LBB446_3:
                                        ; implicit-def: $vgpr4
                                        ; implicit-def: $vgpr6
                                        ; implicit-def: $sgpr6
	v_lshl_or_b32 v2, v5, 9, v2
.LBB446_4:
	v_or_b32_e32 v4, 0x100, v2
	s_movk_i32 s6, 0x4000
	v_mov_b32_e32 v6, v2
.LBB446_5:
	s_mul_hi_u32 s4, s26, s24
	s_mul_i32 s5, s44, s24
	s_add_i32 s4, s4, s5
	s_mul_i32 s5, s26, s24
	s_mul_i32 s7, s5, s8
	s_mul_hi_u32 s9, s5, s49
	s_add_i32 s7, s9, s7
	s_mul_i32 s4, s4, s49
	s_add_i32 s7, s7, s4
	s_mul_i32 s5, s5, s49
	s_ashr_i32 s52, s54, 31
	s_add_u32 s4, s5, s54
	s_addc_u32 s5, s7, s52
	s_lshl_b64 s[4:5], s[4:5], 8
	s_add_u32 s4, s16, s4
	s_addc_u32 s5, s17, s5
	s_and_b32 s5, s5, 0xffff
	s_mov_b32 s7, 0x20000
	s_movk_i32 s56, 0x80
	buffer_load_dwordx4 v[20:23], v6, s[4:7], 0 offen
	buffer_load_dwordx4 v[24:27], v6, s[4:7], s56 offen
	;; [unrolled: 1-line block ×4, first 2 shown]
	v_and_b32_e32 v4, 6, v0
	v_lshlrev_b32_e32 v8, 6, v1
	v_or_b32_e32 v11, 16, v60
	v_xor_b32_e32 v12, v5, v4
	v_and_b32_e32 v6, 1, v0
	s_mul_i32 s4, s8, s24
	s_mul_hi_u32 s5, s49, s24
	v_lshl_or_b32 v16, v60, 3, v8
	v_lshl_or_b32 v8, v11, 3, v8
	v_lshlrev_b32_e32 v12, 2, v12
	v_lshlrev_b32_e32 v7, 2, v60
	v_or_b32_e32 v68, 0xa000, v8
	v_or_b32_e32 v69, 0xb000, v8
	v_xor_b32_e32 v8, 0x440, v12
	v_cmp_eq_u32_e32 vcc, 0, v6
	s_add_i32 s61, s5, s4
	s_add_i32 s4, s46, s29
	s_mul_i32 s8, s8, s28
	v_xor_b32_e32 v14, v1, v7
	v_xor_b32_e32 v15, v63, v7
	v_cndmask_b32_e32 v6, v8, v12, vcc
	s_add_i32 s13, s4, s8
	s_mul_i32 s4, s33, s31
	s_mul_hi_u32 s5, s33, s30
	s_mov_b32 s58, 0x1000504
	v_lshlrev_b32_e32 v10, 8, v60
	v_lshlrev_b32_e32 v14, 1, v14
	;; [unrolled: 1-line block ×3, first 2 shown]
	v_lshl_or_b32 v4, v4, 10, v6
	s_add_i32 s4, s5, s4
	s_mul_i32 s5, s50, s30
	s_mov_b32 s59, 0x3020706
	v_or_b32_e32 v66, 0xa000, v16
	v_or_b32_e32 v67, 0xb000, v16
	;; [unrolled: 1-line block ×4, first 2 shown]
	v_xor_b32_e32 v6, 8, v4
	v_xor_b32_e32 v10, 24, v4
	;; [unrolled: 1-line block ×4, first 2 shown]
	s_add_i32 s5, s4, s5
	s_lshl_b64 s[8:9], s[12:13], 2
	v_xor_b32_e32 v8, 16, v4
	v_xor_b32_e32 v12, 32, v4
	;; [unrolled: 1-line block ×3, first 2 shown]
	v_add_u32_e32 v6, 0x80, v6
	v_add_u32_e32 v10, 0x80, v10
	;; [unrolled: 1-line block ×4, first 2 shown]
	s_mul_i32 s4, s33, s30
	s_add_u32 s6, s22, s8
	s_addc_u32 s8, s23, s9
	s_lshl_b64 s[4:5], s[4:5], 2
	s_add_u32 s14, s6, s4
	s_movk_i32 s4, 0xf8
	s_addc_u32 s15, s8, s5
	s_ashr_i32 s41, s40, 31
	s_lshl_b32 s10, s27, 7
	s_movk_i32 s8, 0x100
	v_mov_b32_e32 v51, 0
	v_lshlrev_b32_e32 v50, 4, v60
	v_cmp_gt_u32_e32 vcc, s8, v0
	s_mov_b32 s57, 0
	s_mul_i32 s60, s49, s24
	s_movk_i32 s13, 0x1000
	s_movk_i32 s6, 0x4000
	v_add_u32_e32 v91, v57, v18
	s_mov_b32 s63, 0
	v_mov_b32_e32 v97, v51
	v_mov_b32_e32 v96, v51
	;; [unrolled: 1-line block ×4, first 2 shown]
	s_waitcnt vmcnt(1)
	v_perm_b32 v37, v20, v28, s58
	s_waitcnt vmcnt(0)
	v_perm_b32 v38, v24, v32, s58
	v_perm_b32 v20, v20, v28, s59
	;; [unrolled: 1-line block ×15, first 2 shown]
	ds_write2st64_b32 v4, v37, v38 offset0:32 offset1:64
	ds_write2st64_b32 v6, v20, v24 offset0:32 offset1:64
	;; [unrolled: 1-line block ×8, first 2 shown]
	v_lshlrev_b32_e32 v4, 8, v11
	v_or_b32_e32 v72, v4, v14
	v_or_b32_e32 v73, v4, v15
	;; [unrolled: 1-line block ×3, first 2 shown]
	v_lshlrev_b32_e32 v4, 3, v4
	v_lshrrev_b32_e32 v10, 5, v58
	v_and_or_b32 v10, v4, s4, v10
	v_lshlrev_b32_e32 v8, 11, v56
	v_lshlrev_b32_e32 v10, 4, v10
	v_and_b32_e32 v4, 0x78, v4
	v_and_b32_e32 v6, 0x1000, v8
	v_xor_b32_e32 v11, v10, v4
	v_lshrrev_b32_e32 v12, 1, v0
	v_or_b32_e32 v11, v11, v6
	v_and_b32_e32 v14, 8, v12
	v_xor_b32_e32 v74, v11, v14
	v_or_b32_e32 v11, 32, v10
	v_xor_b32_e32 v11, v11, v4
	v_or_b32_e32 v11, v11, v6
	;; [unrolled: 2-line block ×4, first 2 shown]
	s_lshl_b64 s[4:5], s[40:41], 8
	v_or_b32_e32 v11, v11, v6
	v_xor_b32_e32 v4, v10, v4
	s_waitcnt lgkmcnt(0)
	s_add_u32 s4, s38, s4
	v_lshlrev_b32_e32 v10, 1, v60
	v_xor_b32_e32 v78, v11, v14
	v_lshrrev_b32_e32 v19, 4, v0
	s_addc_u32 s5, s39, s5
	v_or_b32_e32 v11, 1, v10
	v_mov_b32_e32 v23, 0x4000
	v_mov_b32_e32 v24, 0x2000
	v_xor_b32_e32 v20, v19, v10
	v_xor_b32_e32 v21, v11, v19
	v_lshl_add_u64 v[10:11], s[4:5], 0, v[50:51]
	v_lshlrev_b32_e32 v50, 8, v19
	v_cndmask_b32_e32 v23, v23, v24, vcc
	v_lshlrev_b32_e32 v24, 3, v56
	v_and_b32_e32 v12, 24, v12
	v_lshl_or_b32 v82, v20, 3, v50
	v_and_b32_e32 v20, 8, v0
	v_xor_b32_e32 v25, v24, v12
	v_or_b32_e32 v26, 0x440, v25
	v_cmp_eq_u32_e32 vcc, 0, v20
	v_and_b32_e32 v19, 7, v0
	v_lshlrev_b32_e32 v15, 7, v59
	v_cndmask_b32_e32 v20, v26, v25, vcc
	v_lshl_or_b32 v83, v21, 3, v50
	v_lshlrev_b32_e32 v21, 3, v19
	v_lshlrev_b32_e32 v19, 7, v19
	;; [unrolled: 1-line block ×3, first 2 shown]
	v_or_b32_e32 v20, v20, v8
	v_or_b32_e32 v7, v15, v7
	v_xad_u32 v84, v20, v21, v19
	v_and_or_b32 v15, v22, 60, v15
	v_mov_b32_e32 v20, 0xb000
	v_lshl_or_b32 v85, v15, 1, v20
	v_or_b32_e32 v15, 32, v12
	v_xor_b32_e32 v15, v24, v15
	v_or_b32_e32 v20, 0x440, v15
	v_cndmask_b32_e32 v15, v20, v15, vcc
	v_or_b32_e32 v15, v15, v8
	v_xad_u32 v86, v15, v21, v19
	v_or_b32_e32 v15, 64, v12
	v_xor_b32_e32 v15, v24, v15
	v_xor_b32_e32 v20, 0x440, v15
	v_cndmask_b32_e32 v15, v20, v15, vcc
	v_or_b32_e32 v12, 0x60, v12
	v_or_b32_e32 v15, v15, v8
	v_xor_b32_e32 v12, v24, v12
	v_xad_u32 v87, v15, v21, v19
	v_xor_b32_e32 v15, 0x440, v12
	v_cndmask_b32_e32 v12, v15, v12, vcc
	v_lshlrev_b32_e32 v7, 1, v7
	v_or_b32_e32 v4, v4, v6
	v_or_b32_e32 v6, s40, v60
	;; [unrolled: 1-line block ×5, first 2 shown]
	v_xor_b32_e32 v79, v4, v14
	v_or_b32_e32 v80, 0xb000, v7
	v_or_b32_e32 v81, 0xb080, v7
	v_lshlrev_b32_e32 v4, 7, v1
	v_ashrrev_i32_e32 v7, 31, v6
	v_lshlrev_b32_e32 v14, 1, v3
	v_add_lshl_u32 v3, v3, s27, 1
	v_or_b32_e32 v16, 0x100, v2
	v_xad_u32 v88, v8, v21, v19
	v_cndmask_b32_e64 v89, v14, v2, s[0:1]
	v_cndmask_b32_e64 v90, v3, v16, s[0:1]
	v_lshl_add_u64 v[52:53], v[6:7], 1, s[20:21]
	v_lshl_add_u64 v[54:55], v[10:11], 0, v[50:51]
	s_mov_b32 s41, 0x7060302
	v_lshlrev_b32_e32 v50, 1, v4
	v_add_u32_e32 v92, v23, v84
	v_add_u32_e32 v93, v23, v86
	;; [unrolled: 1-line block ×4, first 2 shown]
	v_mov_b32_e32 v2, v51
	v_mov_b32_e32 v3, v51
	;; [unrolled: 1-line block ×12, first 2 shown]
	s_barrier
.LBB446_6:                              ; =>This Inner Loop Header: Depth=1
	s_add_i32 s62, s63, 1
	s_cmp_lt_i32 s62, s51
	s_mov_b64 s[8:9], 0
	s_cselect_b64 s[42:43], -1, 0
	s_cmp_ge_i32 s62, s51
	s_mov_b64 s[4:5], 0
	s_cbranch_scc1 .LBB446_8
; %bb.7:                                ;   in Loop: Header=BB446_6 Depth=1
	s_add_i32 s0, s57, 64
	s_add_u32 s0, s2, s0
	s_addc_u32 s1, s3, 0
	s_lshl_b64 s[0:1], s[0:1], 8
	s_add_u32 s4, s18, s0
	s_addc_u32 s5, s19, s1
.LBB446_8:                              ;   in Loop: Header=BB446_6 Depth=1
	v_cndmask_b32_e64 v18, 0, 1, s[42:43]
	v_cmp_ne_u32_e64 s[0:1], 1, v18
	s_andn2_b64 vcc, exec, s[42:43]
	s_cbranch_vccnz .LBB446_10
; %bb.9:                                ;   in Loop: Header=BB446_6 Depth=1
	s_add_i32 s8, s57, 64
	s_add_u32 s8, s60, s8
	s_addc_u32 s9, s61, 0
	s_mul_i32 s11, s8, s44
	s_mul_hi_u32 s42, s8, s45
	s_add_i32 s11, s42, s11
	s_mul_i32 s9, s9, s45
	s_add_i32 s11, s11, s9
	s_mul_i32 s8, s8, s45
	s_add_u32 s8, s8, s54
	s_addc_u32 s9, s11, s52
	s_lshl_b64 s[8:9], s[8:9], 8
	s_add_u32 s8, s16, s8
	s_addc_u32 s9, s17, s9
.LBB446_10:                             ;   in Loop: Header=BB446_6 Depth=1
	v_perm_b32 v19, v97, v4, s41
	v_perm_b32 v18, v3, v2, s41
	;; [unrolled: 1-line block ×4, first 2 shown]
	ds_write_b64 v66, v[18:19]
	ds_write_b64 v67, v[20:21]
	ds_write_b64 v70, v[18:19]
	ds_write_b64 v71, v[20:21]
	v_perm_b32 v19, v99, v12, s41
	v_perm_b32 v18, v11, v10, s41
	;; [unrolled: 1-line block ×4, first 2 shown]
	ds_write_b64 v68, v[18:19]
	ds_write_b64 v69, v[20:21]
	ds_write_b64 v72, v[18:19]
	ds_write_b64 v73, v[20:21]
	s_waitcnt lgkmcnt(0)
	s_barrier
	ds_read_b64 v[22:23], v74 offset:24576
	ds_read2_b64 v[18:21], v75 offset1:16
	ds_read_b64 v[26:27], v77 offset:3072
	ds_read_b64 v[28:29], v75 offset:3072
	;; [unrolled: 1-line block ×3, first 2 shown]
	s_waitcnt lgkmcnt(3)
	v_mfma_f32_16x16x16_bf16 a[0:3], v[22:23], v[18:19], 0
	s_add_i32 s11, s57, 63
	s_mul_i32 s42, s11, s37
	s_mul_hi_u32 s43, s11, s36
	v_mfma_f32_16x16x16_bf16 a[4:7], v[22:23], v[20:21], 0
	ds_read2st64_b64 v[18:21], v75 offset0:2 offset1:4
	ds_read2st64_b64 v[22:25], v77 offset0:2 offset1:4
	s_add_i32 s43, s43, s42
	s_waitcnt lgkmcnt(1)
	v_mfma_f32_16x16x16_bf16 a[0:3], v[30:31], v[18:19], a[0:3]
	s_mul_i32 s42, s11, s36
	s_lshl_b64 s[42:43], s[42:43], 2
	s_add_u32 s42, s14, s42
	s_waitcnt lgkmcnt(0)
	v_mfma_f32_16x16x16_bf16 a[4:7], v[30:31], v[22:23], a[4:7]
	ds_read_b64 v[18:19], v78 offset:24576
	ds_read_b64 v[22:23], v79 offset:24576
	s_addc_u32 s43, s15, s43
	s_and_b64 vcc, exec, s[0:1]
	s_waitcnt lgkmcnt(1)
	v_mfma_f32_16x16x16_bf16 a[0:3], v[18:19], v[20:21], a[0:3]
	v_mov_b32_e32 v102, 0
	v_mov_b32_e32 v101, 0
	;; [unrolled: 1-line block ×3, first 2 shown]
	v_mfma_f32_16x16x16_bf16 a[4:7], v[18:19], v[24:25], a[4:7]
	v_mov_b32_e32 v18, 0
	v_mov_b32_e32 v19, 0
	;; [unrolled: 1-line block ×3, first 2 shown]
	s_waitcnt lgkmcnt(0)
	v_mfma_f32_16x16x16_bf16 a[0:3], v[22:23], v[28:29], a[0:3]
	v_mov_b32_e32 v21, 0
	v_mov_b32_e32 v24, 0
	;; [unrolled: 1-line block ×3, first 2 shown]
	v_mfma_f32_16x16x16_bf16 a[4:7], v[22:23], v[26:27], a[4:7]
	v_mov_b32_e32 v22, 0
	v_mov_b32_e32 v23, 0
	;; [unrolled: 1-line block ×10, first 2 shown]
	s_cbranch_vccnz .LBB446_12
; %bb.11:                               ;   in Loop: Header=BB446_6 Depth=1
	s_and_b32 s5, s5, 0xffff
	buffer_load_dwordx4 v[30:33], v13, s[4:7], 0 offen
	buffer_load_dwordx4 v[26:29], v13, s[4:7], s56 offen
	;; [unrolled: 1-line block ×4, first 2 shown]
	v_mov_b32_e32 v101, v64
	v_mov_b32_e32 v100, v65
.LBB446_12:                             ;   in Loop: Header=BB446_6 Depth=1
	ds_read_b64 v[38:39], v74 offset:32768
	ds_read2_b64 v[34:37], v80 offset1:16
	ds_read_b64 v[42:43], v76 offset:32768
	ds_read_b64 v[44:45], v78 offset:32768
	;; [unrolled: 1-line block ×3, first 2 shown]
	v_add_u32_e32 v103, s57, v91
	s_waitcnt lgkmcnt(3)
	v_mfma_f32_16x16x16_bf16 a[0:3], v[38:39], v[34:35], a[0:3]
	v_mfma_f32_16x16x16_bf16 a[4:7], v[38:39], v[36:37], a[4:7]
	ds_read2st64_b64 v[34:37], v80 offset0:2 offset1:4
	ds_read2st64_b64 v[38:41], v81 offset0:2 offset1:4
	s_waitcnt lgkmcnt(1)
	v_mfma_f32_16x16x16_bf16 a[0:3], v[42:43], v[34:35], a[0:3]
	ds_read_b64 v[34:35], v80 offset:3072
	ds_read_b64 v[48:49], v81 offset:3072
	s_waitcnt lgkmcnt(2)
	v_mfma_f32_16x16x16_bf16 a[4:7], v[42:43], v[38:39], a[4:7]
	v_ashrrev_i32_e32 v38, 31, v103
	v_mul_lo_u32 v39, v103, s37
	v_mul_lo_u32 v38, v38, s36
	v_mfma_f32_16x16x16_bf16 a[0:3], v[44:45], v[36:37], a[0:3]
	v_mad_u64_u32 v[36:37], s[4:5], v103, s36, 0
	v_add3_u32 v37, v37, v39, v38
	v_lshl_add_u64 v[36:37], v[36:37], 2, s[14:15]
	global_load_dword v42, v[36:37], off
	v_add_u32_e32 v36, 1, v103
	v_ashrrev_i32_e32 v37, 31, v36
	s_waitcnt lgkmcnt(1)
	v_mfma_f32_16x16x16_bf16 a[0:3], v[46:47], v[34:35], a[0:3]
	v_mul_lo_u32 v37, v37, s36
	v_mul_lo_u32 v38, v36, s37
	v_mad_u64_u32 v[34:35], s[4:5], v36, s36, 0
	v_add_u32_e32 v36, 2, v103
	v_add3_u32 v35, v35, v38, v37
	v_ashrrev_i32_e32 v37, 31, v36
	v_mul_lo_u32 v38, v37, s36
	v_mul_lo_u32 v39, v36, s37
	v_mad_u64_u32 v[36:37], s[4:5], v36, s36, 0
	v_add3_u32 v37, v37, v39, v38
	v_add_u32_e32 v38, 3, v103
	v_ashrrev_i32_e32 v39, 31, v38
	v_mfma_f32_16x16x16_bf16 a[4:7], v[44:45], v[40:41], a[4:7]
	v_mul_lo_u32 v40, v39, s36
	v_mul_lo_u32 v41, v38, s37
	v_mad_u64_u32 v[38:39], s[4:5], v38, s36, 0
	s_add_u32 s4, s2, s57
	s_addc_u32 s5, s3, 0
	s_lshl_b64 s[4:5], s[4:5], 8
	v_add3_u32 v39, v39, v41, v40
	v_lshl_add_u64 v[40:41], v[52:53], 0, s[4:5]
	v_lshl_add_u64 v[34:35], v[34:35], 2, s[14:15]
	;; [unrolled: 1-line block ×4, first 2 shown]
	global_load_ushort v44, v[40:41], off
	global_load_ushort v43, v[40:41], off offset:256
	global_load_ushort v103, v[40:41], off offset:800
	;; [unrolled: 1-line block ×7, first 2 shown]
	v_lshl_add_u64 v[38:39], v[38:39], 2, s[14:15]
	global_load_dword v108, v[34:35], off
	global_load_dword v109, v[36:37], off
	;; [unrolled: 1-line block ×3, first 2 shown]
	s_load_dword s4, s[42:43], 0x0
	s_waitcnt lgkmcnt(0)
	v_mfma_f32_16x16x16_bf16 a[4:7], v[46:47], v[48:49], a[4:7]
	v_accvgpr_read_b32 v39, a1
	v_accvgpr_read_b32 v35, a3
	;; [unrolled: 1-line block ×4, first 2 shown]
	s_and_b64 vcc, exec, s[0:1]
	s_waitcnt vmcnt(11)
	v_sub_f32_e32 v48, s4, v42
	v_exp_f32_e32 v48, v48
	v_accvgpr_read_b32 v41, a5
	v_accvgpr_read_b32 v40, a4
	;; [unrolled: 1-line block ×4, first 2 shown]
	s_waitcnt vmcnt(10)
	v_lshlrev_b32_e32 v42, 16, v44
	s_waitcnt vmcnt(9)
	v_lshlrev_b32_e32 v43, 16, v43
	v_pk_add_f32 v[38:39], v[42:43], v[38:39] neg_lo:[0,1] neg_hi:[0,1]
	s_waitcnt vmcnt(7)
	v_lshlrev_b32_e32 v45, 16, v45
	v_mov_b32_e32 v42, 0
	s_waitcnt vmcnt(5)
	v_lshlrev_b32_e32 v44, 16, v104
	s_waitcnt vmcnt(4)
	v_lshlrev_b32_e32 v47, 16, v105
	s_waitcnt vmcnt(2)
	v_sub_f32_e32 v49, s4, v108
	s_waitcnt vmcnt(1)
	v_sub_f32_e32 v104, s4, v109
	;; [unrolled: 2-line block ×3, first 2 shown]
	v_exp_f32_e32 v49, v49
	v_exp_f32_e32 v104, v104
	v_exp_f32_e32 v105, v105
	v_pk_add_f32 v[34:35], v[44:45], v[34:35] neg_lo:[0,1] neg_hi:[0,1]
	v_lshlrev_b32_e32 v46, 16, v107
	v_pk_mul_f32 v[38:39], v[48:49], v[38:39]
	v_pk_mul_f32 v[34:35], v[104:105], v[34:35]
	v_mov_b32_e32 v43, 0
	v_perm_b32 v35, v35, v34, s41
	v_perm_b32 v34, v39, v38, s41
	v_pk_add_f32 v[38:39], v[46:47], v[40:41] neg_lo:[0,1] neg_hi:[0,1]
	v_lshlrev_b32_e32 v41, 16, v103
	v_lshlrev_b32_e32 v40, 16, v106
	v_pk_add_f32 v[36:37], v[40:41], v[36:37] neg_lo:[0,1] neg_hi:[0,1]
	v_pk_mul_f32 v[38:39], v[48:49], v[38:39]
	v_pk_mul_f32 v[36:37], v[104:105], v[36:37]
	v_mov_b32_e32 v103, 0
	v_perm_b32 v37, v37, v36, s41
	v_perm_b32 v36, v39, v38, s41
	ds_write2_b64 v67, v[34:35], v[36:37] offset1:16
	v_mov_b32_e32 v34, 0
	v_mov_b32_e32 v35, 0
	;; [unrolled: 1-line block ×14, first 2 shown]
	s_cbranch_vccnz .LBB446_14
; %bb.13:                               ;   in Loop: Header=BB446_6 Depth=1
	s_and_b32 s9, s9, 0xffff
	s_mov_b32 s11, s7
	buffer_load_dwordx4 v[46:49], v89, s[8:11], 0 offen
	buffer_load_dwordx4 v[38:41], v89, s[8:11], s56 offen
	;; [unrolled: 1-line block ×4, first 2 shown]
	v_mov_b32_e32 v102, v9
	v_mov_b32_e32 v103, v5
.LBB446_14:                             ;   in Loop: Header=BB446_6 Depth=1
	s_waitcnt lgkmcnt(0)
	s_barrier
	ds_read_b64 v[108:109], v92
	ds_read_b64 v[116:117], v85
	ds_read_b64 v[112:113], v93
	ds_read_b64 v[118:119], v94
	ds_read_b64 v[120:121], v95
	ds_read_b64 v[122:123], v86 offset:16384
	ds_read_b64 v[124:125], v84 offset:16384
	ds_read2_b64 v[104:107], v80 offset0:16 offset1:128
	s_waitcnt lgkmcnt(6)
	v_mfma_f32_16x16x16_bf16 a[0:3], v[108:109], v[116:117], 0
	ds_read_b64 v[126:127], v81 offset:3072
	ds_read_b64 v[128:129], v88 offset:16384
	s_add_i32 s5, s53, s63
	s_waitcnt lgkmcnt(2)
	v_mfma_f32_16x16x16_bf16 a[4:7], v[108:109], v[104:105], 0
	ds_read2st64_b64 v[108:111], v81 offset0:2 offset1:4
	s_mul_hi_i32 s9, s5, s25
	s_mul_i32 s5, s5, s25
	v_mfma_f32_16x16x16_bf16 a[0:3], v[112:113], v[106:107], a[0:3]
	s_add_u32 s8, s5, s33
	s_addc_u32 s9, s9, s50
	s_lshl_b64 s[8:9], s[8:9], 15
	s_waitcnt lgkmcnt(0)
	v_mfma_f32_16x16x16_bf16 a[4:7], v[112:113], v[108:109], a[4:7]
	ds_read2st64_b64 v[112:115], v80 offset0:4 offset1:6
	s_waitcnt lgkmcnt(0)
	v_mfma_f32_16x16x16_bf16 a[0:3], v[118:119], v[112:113], a[0:3]
	v_mfma_f32_16x16x16_bf16 a[8:11], v[118:119], v[110:111], a[4:7]
	;; [unrolled: 1-line block ×5, first 2 shown]
	ds_read2st64_b64 v[116:119], v83 offset1:8
	v_mfma_f32_16x16x16_bf16 a[12:15], v[124:125], v[104:105], 0
	ds_read_b64 v[124:125], v87 offset:16384
	v_mfma_f32_16x16x16_bf16 a[8:11], v[122:123], v[106:107], a[8:11]
	ds_read2st64_b64 v[104:107], v82 offset1:8
	s_waitcnt lgkmcnt(0)
	v_mov_b32_e32 v120, v104
	v_mfma_f32_16x16x16_bf16 a[12:15], v[122:123], v[108:109], a[12:15]
	v_lshl_add_u64 v[108:109], v[54:55], 0, s[8:9]
	v_add_co_u32_e32 v104, vcc, s13, v108
	v_mfma_f32_16x16x16_bf16 a[8:11], v[124:125], v[112:113], a[8:11]
	v_mov_b32_e32 v121, v105
	v_addc_co_u32_e32 v105, vcc, 0, v109, vcc
	v_mfma_f32_16x16x16_bf16 a[12:15], v[124:125], v[110:111], a[12:15]
	v_mov_b32_e32 v122, v116
	v_mov_b32_e32 v123, v117
	;; [unrolled: 1-line block ×3, first 2 shown]
	v_mfma_f32_16x16x16_bf16 a[8:11], v[128:129], v[114:115], a[8:11]
	v_mov_b32_e32 v117, v107
	s_and_b64 vcc, exec, s[0:1]
	global_store_dwordx4 v[108:109], v[120:123], off
	v_mfma_f32_16x16x16_bf16 a[12:15], v[128:129], v[126:127], a[12:15]
	global_store_dwordx4 v[104:105], v[116:119], off
	s_cbranch_vccnz .LBB446_16
; %bb.15:                               ;   in Loop: Header=BB446_6 Depth=1
	v_lshrrev_b32_e32 v104, 3, v102
	v_and_b32_e32 v104, 6, v104
	v_xor_b32_e32 v103, v104, v103
	v_lshlrev_b32_e32 v103, 2, v103
	v_and_b32_e32 v102, 8, v102
	v_xor_b32_e32 v105, 0x440, v103
	v_cmp_eq_u32_e32 vcc, 0, v102
	s_barrier
	s_nop 0
	v_cndmask_b32_e32 v102, v105, v103, vcc
	v_lshl_or_b32 v102, v104, 10, v102
	s_waitcnt vmcnt(3)
	v_perm_b32 v103, v46, v42, s58
	s_waitcnt vmcnt(2)
	v_perm_b32 v104, v38, v34, s58
	ds_write2st64_b32 v102, v103, v104 offset0:32 offset1:64
	v_xor_b32_e32 v103, 8, v102
	v_perm_b32 v42, v46, v42, s59
	v_perm_b32 v34, v38, v34, s59
	v_add_u32_e32 v38, 0x80, v103
	ds_write2st64_b32 v38, v42, v34 offset0:32 offset1:64
	v_xor_b32_e32 v34, 16, v102
	v_perm_b32 v38, v47, v43, s58
	v_perm_b32 v42, v39, v35, s58
	ds_write2st64_b32 v34, v38, v42 offset0:33 offset1:65
	v_xor_b32_e32 v34, 24, v102
	v_perm_b32 v38, v47, v43, s59
	v_perm_b32 v35, v39, v35, s59
	v_add_u32_e32 v34, 0x80, v34
	ds_write2st64_b32 v34, v38, v35 offset0:33 offset1:65
	v_xor_b32_e32 v34, 32, v102
	v_perm_b32 v35, v48, v44, s58
	;; [unrolled: 9-line block ×3, first 2 shown]
	v_perm_b32 v36, v41, v37, s58
	ds_write2st64_b32 v34, v35, v36 offset0:35 offset1:67
	v_xor_b32_e32 v34, 56, v102
	v_perm_b32 v35, v49, v45, s59
	v_perm_b32 v36, v41, v37, s59
	v_add_u32_e32 v34, 0x80, v34
	ds_write2st64_b32 v34, v35, v36 offset0:35 offset1:67
	ds_write_b64 v101, v[30:31] offset:24576
	v_xor_b32_e32 v30, 8, v101
	ds_write_b64 v30, v[32:33] offset:24576
	ds_write_b64 v101, v[26:27] offset:32768
	;; [unrolled: 1-line block ×4, first 2 shown]
	v_xor_b32_e32 v22, 8, v100
	ds_write_b64 v22, v[24:25] offset:24576
	ds_write_b64 v100, v[18:19] offset:32768
	;; [unrolled: 1-line block ×3, first 2 shown]
.LBB446_16:                             ;   in Loop: Header=BB446_6 Depth=1
	s_waitcnt vmcnt(2)
	v_exp_f32_e32 v34, s4
	v_accvgpr_read_b32 v33, a7
	v_accvgpr_read_b32 v25, a3
	;; [unrolled: 1-line block ×16, first 2 shown]
	s_add_i32 s57, s57, 64
	v_fma_f32 v2, v2, v34, v30
	v_fma_f32 v3, v3, v34, v31
	v_fma_f32 v4, v4, v34, v32
	v_fmac_f32_e32 v33, v97, v34
	v_fma_f32 v10, v10, v34, v22
	v_fma_f32 v11, v11, v34, v23
	v_fma_f32 v12, v12, v34, v24
	v_fmac_f32_e32 v25, v99, v34
	;; [unrolled: 4-line block ×3, first 2 shown]
	v_fma_f32 v14, v14, v34, v18
	v_fma_f32 v15, v15, v34, v19
	;; [unrolled: 1-line block ×3, first 2 shown]
	s_cmp_eq_u32 s51, s62
	v_fmac_f32_e32 v21, v98, v34
	s_cbranch_scc1 .LBB446_18
; %bb.17:                               ;   in Loop: Header=BB446_6 Depth=1
	s_mov_b32 s63, s62
	v_mov_b32_e32 v97, v33
	v_mov_b32_e32 v96, v29
	;; [unrolled: 1-line block ×4, first 2 shown]
	s_branch .LBB446_6
.LBB446_18:
	v_mov_b32_e32 v5, v33
	v_mov_b32_e32 v9, v29
	;; [unrolled: 1-line block ×4, first 2 shown]
.LBB446_19:
	s_lshl_b32 s50, s51, 6
	s_sub_i32 s52, s24, s50
	s_cmp_gt_i32 s52, 0
	v_or_b32_e32 v34, s40, v60
	s_cbranch_scc1 .LBB446_21
; %bb.20:
	s_ashr_i32 s0, s33, 31
	s_add_u32 s8, s47, s33
	s_addc_u32 s9, s55, s0
	v_or_b32_e32 v18, s40, v60
	s_cbranch_execz .LBB446_22
	s_branch .LBB446_86
.LBB446_21:
                                        ; implicit-def: $sgpr8_sgpr9
                                        ; implicit-def: $vgpr18
.LBB446_22:
	s_ashr_i32 s13, s49, 31
	s_ashr_i32 s2, s50, 31
	s_cmpk_lg_i32 s27, 0x80
	s_cselect_b64 s[42:43], -1, 0
	s_and_b64 vcc, exec, s[42:43]
	s_cbranch_vccz .LBB446_24
; %bb.23:
	s_mul_i32 s1, s49, s24
	s_mul_hi_i32 s0, s49, s24
	s_add_u32 s1, s1, s50
	s_addc_u32 s0, s0, s2
	s_mul_i32 s3, s1, s44
	s_mul_hi_u32 s4, s1, s26
	s_add_i32 s3, s4, s3
	s_mul_i32 s0, s0, s26
	s_add_i32 s3, s3, s0
	s_mul_i32 s1, s1, s26
	s_ashr_i32 s0, s54, 31
	s_add_u32 s44, s1, s54
	s_addc_u32 s45, s3, s0
	s_cbranch_execz .LBB446_25
	s_branch .LBB446_26
.LBB446_24:
                                        ; implicit-def: $sgpr44_sgpr45
.LBB446_25:
	s_mul_hi_i32 s0, s49, s26
	s_mul_i32 s49, s49, s26
	s_ashr_i32 s1, s54, 31
	s_add_u32 s3, s49, s54
	s_addc_u32 s0, s0, s1
	s_mul_i32 s1, s3, s48
	s_mul_hi_u32 s4, s3, s24
	s_add_i32 s1, s4, s1
	s_mul_i32 s0, s0, s24
	s_add_i32 s1, s1, s0
	s_mul_i32 s3, s3, s24
	s_add_u32 s44, s3, s50
	s_addc_u32 s45, s1, s2
.LBB446_26:
	s_add_i32 s3, s53, s51
	s_ashr_i32 s26, s33, 31
	s_add_u32 s8, s47, s33
	s_addc_u32 s9, s55, s26
	s_mul_i32 s0, s8, s48
	s_mul_hi_u32 s1, s8, s24
	s_add_i32 s0, s1, s0
	s_mul_i32 s1, s9, s24
	s_add_i32 s1, s0, s1
	s_mul_i32 s0, s8, s24
	s_add_u32 s0, s0, s50
	v_lshlrev_b32_e32 v22, 5, v1
	v_lshlrev_b32_e32 v40, 2, v60
	s_addc_u32 s1, s1, s2
	s_mov_b32 s2, 0x7060302
	v_or_b32_e32 v25, v22, v40
	v_xor_b32_e32 v23, v1, v40
	v_perm_b32 v19, v5, v4, s2
	v_perm_b32 v18, v3, v2, s2
	;; [unrolled: 1-line block ×4, first 2 shown]
	v_lshlrev_b32_e32 v25, 1, v25
	s_lshl_b64 s[10:11], s[0:1], 8
	v_xor_b32_e32 v24, v63, v40
	ds_write2st64_b64 v25, v[18:19], v[20:21] offset0:80 offset1:88
	v_lshlrev_b32_e32 v23, 1, v23
	v_lshlrev_b32_e32 v25, 8, v60
	s_add_u32 s0, s18, s10
	v_or_b32_e32 v26, v23, v25
	v_lshlrev_b32_e32 v24, 1, v24
	s_addc_u32 s1, s19, s11
	ds_write_b64 v26, v[18:19]
	v_or_b32_e32 v18, v24, v25
	v_or_b32_e32 v25, 16, v60
	s_mul_hi_i32 s4, s3, s25
	s_mul_i32 s3, s3, s25
	ds_write_b64 v18, v[20:21]
	v_perm_b32 v19, v13, v12, s2
	v_perm_b32 v18, v11, v10, s2
	;; [unrolled: 1-line block ×4, first 2 shown]
	v_lshlrev_b32_e32 v37, 2, v25
	s_add_u32 s2, s3, s33
	v_or_b32_e32 v22, v22, v37
	s_addc_u32 s3, s4, s26
	v_lshlrev_b32_e32 v22, 1, v22
	s_ashr_i32 s41, s40, 31
	s_lshl_b64 s[2:3], s[2:3], 15
	ds_write2st64_b64 v22, v[18:19], v[20:21] offset0:80 offset1:88
	v_lshlrev_b32_e32 v22, 8, v25
	s_waitcnt lgkmcnt(0)
	s_add_u32 s4, s38, s2
	v_or_b32_e32 v23, v23, v22
	s_addc_u32 s5, s39, s3
	s_lshl_b64 s[2:3], s[40:41], 8
	ds_write_b64 v23, v[18:19]
	v_or_b32_e32 v18, v24, v22
	s_add_u32 s2, s4, s2
	ds_write_b64 v18, v[20:21]
	v_lshrrev_b32_e32 v18, 4, v0
	s_addc_u32 s3, s5, s3
	v_lshlrev_b32_e32 v19, 1, v60
	v_lshlrev_b32_e32 v26, 4, v60
	v_mov_b32_e32 v27, 0
	v_or_b32_e32 v20, 1, v19
	v_xor_b32_e32 v19, v18, v19
	v_lshl_add_u64 v[28:29], s[2:3], 0, v[26:27]
	v_lshlrev_b32_e32 v26, 8, v18
	v_xor_b32_e32 v22, v20, v18
	v_lshl_or_b32 v18, v19, 3, v26
	s_waitcnt lgkmcnt(0)
	s_barrier
	ds_read2st64_b64 v[18:21], v18 offset1:8
	v_lshl_or_b32 v22, v22, 3, v26
	ds_read2st64_b64 v[22:25], v22 offset1:8
	v_lshl_add_u64 v[30:31], v[28:29], 0, v[26:27]
	s_movk_i32 s2, 0x1000
	s_waitcnt lgkmcnt(1)
	v_mov_b32_e32 v26, v18
	v_add_co_u32_e32 v18, vcc, s2, v30
	s_cmp_lg_u32 s52, 64
	v_mov_b32_e32 v27, v19
	v_addc_co_u32_e32 v19, vcc, 0, v31, vcc
	s_cselect_b64 s[14:15], -1, 0
	v_lshl_or_b32 v35, v56, 3, v62
	s_waitcnt lgkmcnt(0)
	v_mov_b32_e32 v28, v22
	v_mov_b32_e32 v29, v23
	;; [unrolled: 1-line block ×4, first 2 shown]
	s_mov_b32 s4, 0
	v_or_b32_e32 v38, 32, v35
	v_and_b32_e32 v36, 56, v61
	s_and_b64 vcc, exec, s[14:15]
	global_store_dwordx4 v[30:31], v[26:29], off
	global_store_dwordx4 v[18:19], v[22:25], off
	s_cbranch_vccz .LBB446_32
; %bb.27:
	s_mov_b32 s6, s4
	s_mov_b32 s7, s4
	;; [unrolled: 1-line block ×3, first 2 shown]
	v_mov_b64_e32 v[24:25], s[6:7]
	v_mov_b64_e32 v[22:23], s[4:5]
	;; [unrolled: 1-line block ×3, first 2 shown]
	v_cmp_gt_i32_e32 vcc, s52, v35
	v_mov_b64_e32 v[20:21], v[24:25]
	s_and_saveexec_b64 s[2:3], vcc
	s_cbranch_execz .LBB446_29
; %bb.28:
	v_lshlrev_b32_e32 v18, 8, v35
	v_mov_b32_e32 v19, 0
	v_lshl_add_u64 v[20:21], s[0:1], 0, v[18:19]
	v_lshlrev_b32_e32 v18, 1, v36
	v_lshl_add_u64 v[26:27], v[20:21], 0, v[18:19]
	global_load_dwordx4 v[22:25], v[26:27], off
	global_load_dwordx4 v[18:21], v[26:27], off offset:128
.LBB446_29:
	s_or_b64 exec, exec, s[2:3]
	s_mov_b32 s6, s4
	s_mov_b32 s7, s4
	;; [unrolled: 1-line block ×3, first 2 shown]
	v_mov_b64_e32 v[32:33], s[6:7]
	v_mov_b64_e32 v[30:31], s[4:5]
	;; [unrolled: 1-line block ×3, first 2 shown]
	v_cmp_gt_i32_e32 vcc, s52, v38
	v_lshlrev_b32_e32 v39, 7, v38
	v_mov_b64_e32 v[28:29], v[32:33]
	s_and_saveexec_b64 s[2:3], vcc
	s_cbranch_execz .LBB446_31
; %bb.30:
	v_lshlrev_b32_e32 v26, 1, v39
	v_mov_b32_e32 v27, 0
	v_lshl_add_u64 v[28:29], s[0:1], 0, v[26:27]
	v_lshlrev_b32_e32 v26, 1, v36
	v_lshl_add_u64 v[42:43], v[28:29], 0, v[26:27]
	global_load_dwordx4 v[30:33], v[42:43], off
	global_load_dwordx4 v[26:29], v[42:43], off offset:128
.LBB446_31:
	s_or_b64 exec, exec, s[2:3]
	v_lshrrev_b32_e32 v41, 3, v36
	v_lshlrev_b32_e32 v42, 3, v35
	v_or_b32_e32 v41, v42, v41
	v_lshlrev_b32_e32 v41, 4, v41
	v_and_b32_e32 v42, 0x78, v42
	v_xor_b32_e32 v41, v41, v42
	s_branch .LBB446_34
.LBB446_32:
                                        ; implicit-def: $vgpr41
                                        ; implicit-def: $vgpr39
                                        ; implicit-def: $vgpr22_vgpr23_vgpr24_vgpr25
                                        ; implicit-def: $vgpr18_vgpr19_vgpr20_vgpr21
                                        ; implicit-def: $vgpr30_vgpr31_vgpr32_vgpr33
                                        ; implicit-def: $vgpr26_vgpr27_vgpr28_vgpr29
	s_cbranch_execz .LBB446_34
; %bb.33:
	s_waitcnt vmcnt(0)
	v_lshlrev_b32_e32 v18, 1, v36
	v_lshl_or_b32 v39, v35, 8, v18
	s_and_b32 s1, s1, 0xffff
	s_mov_b32 s3, 0x20000
	s_movk_i32 s2, 0x4000
	v_lshl_or_b32 v41, v38, 8, v18
	s_movk_i32 s4, 0x80
	buffer_load_dwordx4 v[22:25], v39, s[0:3], 0 offen
	buffer_load_dwordx4 v[18:21], v39, s[0:3], s4 offen
	;; [unrolled: 1-line block ×4, first 2 shown]
	v_lshrrev_b32_e32 v39, 3, v36
	v_lshlrev_b32_e32 v41, 3, v35
	v_or_b32_e32 v39, v41, v39
	v_lshlrev_b32_e32 v39, 4, v39
	v_and_b32_e32 v41, 0x78, v41
	v_xor_b32_e32 v41, v39, v41
	v_lshlrev_b32_e32 v39, 7, v38
.LBB446_34:
	s_lshl_b64 s[0:1], s[44:45], 8
	s_add_u32 s4, s16, s0
	s_movk_i32 s0, 0x1000
	v_and_or_b32 v38, v39, s0, v41
	s_waitcnt vmcnt(1)
	ds_write_b64 v41, v[22:23] offset:24576
	v_xor_b32_e32 v22, 8, v41
	ds_write_b64 v22, v[24:25] offset:24576
	s_waitcnt vmcnt(0)
	ds_write_b64 v41, v[18:19] offset:32768
	ds_write_b64 v22, v[20:21] offset:32768
	;; [unrolled: 1-line block ×3, first 2 shown]
	v_xor_b32_e32 v18, 8, v38
	ds_write_b64 v18, v[32:33] offset:24576
	ds_write_b64 v38, v[26:27] offset:32768
	;; [unrolled: 1-line block ×3, first 2 shown]
	v_or_b32_e32 v18, v57, v60
	v_lshlrev_b32_e32 v18, 3, v18
	v_lshrrev_b32_e32 v19, 5, v58
	s_movk_i32 s7, 0xf8
	v_and_or_b32 v19, v18, s7, v19
	v_lshlrev_b32_e32 v23, 4, v19
	v_lshlrev_b32_e32 v41, 11, v56
	v_and_b32_e32 v24, 0x78, v18
	v_or_b32_e32 v26, 32, v23
	v_and_b32_e32 v22, 0x1000, v41
	v_lshrrev_b32_e32 v19, 1, v58
	v_xor_b32_e32 v26, v26, v24
	v_xor_b32_e32 v18, v23, v24
	v_and_b32_e32 v25, 8, v19
	v_or_b32_e32 v26, v26, v22
	v_or_b32_e32 v18, v18, v22
	v_xor_b32_e32 v45, v26, v25
	v_or_b32_e32 v26, 64, v23
	v_xor_b32_e32 v44, v18, v25
	v_xor_b32_e32 v26, v26, v24
	s_waitcnt lgkmcnt(0)
	s_barrier
	v_or_b32_e32 v28, v26, v22
	ds_read_b64 v[26:27], v44 offset:24576
	v_lshl_or_b32 v38, v59, 7, v40
	v_lshlrev_b32_e32 v42, 1, v38
	v_add_u32_e32 v18, 0xa000, v42
	ds_read2_b64 v[18:21], v18 offset1:16
	v_or_b32_e32 v23, 0x60, v23
	v_xor_b32_e32 v23, v23, v24
	s_waitcnt lgkmcnt(0)
	v_mfma_f32_16x16x16_bf16 a[0:3], v[26:27], v[18:19], 0
	v_or_b32_e32 v18, 64, v38
	v_or_b32_e32 v22, v23, v22
	v_lshlrev_b32_e32 v43, 1, v18
	v_xor_b32_e32 v46, v28, v25
	v_xor_b32_e32 v47, v22, v25
	ds_read_b64 v[28:29], v45 offset:24576
	ds_read_b64 v[30:31], v46 offset:24576
	;; [unrolled: 1-line block ×3, first 2 shown]
	v_mfma_f32_16x16x16_bf16 a[4:7], v[26:27], v[20:21], 0
	ds_read2st64_b64 v[18:21], v43 offset0:82 offset1:84
	ds_read2st64_b64 v[22:25], v42 offset0:82 offset1:84
	s_addc_u32 s5, s17, s1
	s_add_i32 s2, s24, -1
	s_add_i32 s0, s46, s29
	s_mul_i32 s13, s13, s28
	s_add_i32 s13, s0, s13
	s_mul_i32 s0, s33, s31
	s_mul_hi_u32 s1, s33, s30
	s_ashr_i32 s3, s2, 31
	s_mul_i32 s6, s2, s37
	s_mul_hi_u32 s7, s2, s36
	s_add_i32 s0, s1, s0
	s_mul_i32 s1, s26, s30
	s_add_i32 s6, s7, s6
	s_mul_i32 s3, s3, s36
	s_waitcnt lgkmcnt(1)
	v_mfma_f32_16x16x16_bf16 a[4:7], v[28:29], v[18:19], a[4:7]
	s_add_i32 s1, s0, s1
	s_add_i32 s3, s6, s3
	s_lshl_b64 s[6:7], s[12:13], 2
	s_waitcnt lgkmcnt(0)
	v_mfma_f32_16x16x16_bf16 a[0:3], v[28:29], v[22:23], a[0:3]
	s_mul_i32 s0, s33, s30
	s_add_u32 s6, s22, s6
	s_addc_u32 s7, s23, s7
	s_lshl_b64 s[0:1], s[0:1], 2
	s_mul_i32 s2, s2, s36
	s_add_u32 s12, s6, s0
	ds_read_b64 v[18:19], v42 offset:44032
	v_mfma_f32_16x16x16_bf16 a[4:7], v[30:31], v[20:21], a[4:7]
	ds_read_b64 v[20:21], v43 offset:44032
	s_addc_u32 s13, s7, s1
	s_lshl_b64 s[0:1], s[2:3], 2
	v_mfma_f32_16x16x16_bf16 a[0:3], v[30:31], v[24:25], a[0:3]
	s_add_u32 s0, s12, s0
	s_addc_u32 s1, s13, s1
	s_load_dword s16, s[0:1], 0x0
	s_waitcnt lgkmcnt(0)
	v_mfma_f32_16x16x16_bf16 a[0:3], v[32:33], v[18:19], a[0:3]
	s_and_b64 vcc, exec, s[42:43]
	v_mfma_f32_16x16x16_bf16 a[4:7], v[32:33], v[20:21], a[4:7]
	s_cbranch_vccz .LBB446_45
; %bb.35:
	v_lshlrev_b32_e32 v38, 1, v35
	s_and_b64 vcc, exec, s[14:15]
	s_cbranch_vccz .LBB446_46
; %bb.36:
	v_cmp_gt_i32_e32 vcc, s52, v38
	v_mov_b32_e32 v22, 0
	v_mov_b32_e32 v18, 0
	;; [unrolled: 1-line block ×5, first 2 shown]
	s_and_saveexec_b64 s[0:1], vcc
	s_cbranch_execz .LBB446_38
; %bb.37:
	v_mad_i64_i32 v[18:19], s[2:3], s27, v38, 0
	v_lshl_add_u64 v[18:19], v[18:19], 1, s[4:5]
	v_lshlrev_b32_e32 v20, 1, v36
	v_mov_b32_e32 v21, 0
	v_lshl_add_u64 v[18:19], v[18:19], 0, v[20:21]
	global_load_dwordx4 v[18:21], v[18:19], off
.LBB446_38:
	s_or_b64 exec, exec, s[0:1]
	v_or_b32_e32 v39, 1, v38
	v_cmp_gt_i32_e64 s[0:1], s52, v39
	v_mov_b32_e32 v23, 0
	v_mov_b32_e32 v24, 0
	;; [unrolled: 1-line block ×3, first 2 shown]
	s_and_saveexec_b64 s[2:3], s[0:1]
	s_cbranch_execz .LBB446_40
; %bb.39:
	v_mad_i64_i32 v[22:23], s[6:7], s27, v39, 0
	v_lshl_add_u64 v[22:23], v[22:23], 1, s[4:5]
	v_lshlrev_b32_e32 v24, 1, v36
	v_mov_b32_e32 v25, 0
	v_lshl_add_u64 v[22:23], v[22:23], 0, v[24:25]
	global_load_dwordx4 v[22:25], v[22:23], off
.LBB446_40:
	s_or_b64 exec, exec, s[2:3]
	v_mov_b32_e32 v33, 0
	v_mov_b32_e32 v26, 0
	;; [unrolled: 1-line block ×5, first 2 shown]
	s_and_saveexec_b64 s[2:3], vcc
	s_cbranch_execz .LBB446_42
; %bb.41:
	v_mad_i64_i32 v[26:27], s[6:7], s27, v38, 0
	v_lshl_add_u64 v[26:27], v[26:27], 1, s[4:5]
	v_lshlrev_b32_e32 v28, 1, v36
	v_mov_b32_e32 v29, 0
	v_lshl_add_u64 v[26:27], v[26:27], 0, v[28:29]
	global_load_dwordx4 v[26:29], v[26:27], off offset:128
.LBB446_42:
	s_or_b64 exec, exec, s[2:3]
	v_mov_b32_e32 v32, 0
	v_mov_b32_e32 v31, 0
	v_mov_b32_e32 v30, 0
	s_and_saveexec_b64 s[2:3], s[0:1]
	s_cbranch_execz .LBB446_44
; %bb.43:
	v_mad_i64_i32 v[30:31], s[0:1], s27, v39, 0
	v_lshl_add_u64 v[30:31], v[30:31], 1, s[4:5]
	v_lshlrev_b32_e32 v32, 1, v36
	v_mov_b32_e32 v33, 0
	v_lshl_add_u64 v[30:31], v[30:31], 0, v[32:33]
	global_load_dwordx4 v[30:33], v[30:31], off offset:128
.LBB446_44:
	s_or_b64 exec, exec, s[2:3]
	s_branch .LBB446_48
.LBB446_45:
                                        ; implicit-def: $vgpr21
                                        ; implicit-def: $vgpr25
                                        ; implicit-def: $vgpr29
                                        ; implicit-def: $vgpr33
	v_lshrrev_b32_e32 v48, 2, v58
	s_branch .LBB446_49
.LBB446_46:
                                        ; implicit-def: $vgpr21
                                        ; implicit-def: $vgpr25
                                        ; implicit-def: $vgpr29
                                        ; implicit-def: $vgpr33
	s_cbranch_execz .LBB446_48
; %bb.47:
	s_waitcnt vmcnt(0)
	v_mad_u64_u32 v[18:19], s[0:1], v38, s27, v[36:37]
	v_lshlrev_b32_e32 v38, 1, v18
	s_lshl_b32 s2, s27, 7
	s_and_b32 s1, s5, 0xffff
	s_mov_b32 s3, 0x20000
	s_mov_b32 s0, s4
	v_add_lshl_u32 v39, v18, s27, 1
	s_movk_i32 s6, 0x80
	buffer_load_dwordx4 v[18:21], v38, s[0:3], 0 offen
	buffer_load_dwordx4 v[26:29], v38, s[0:3], s6 offen
	;; [unrolled: 1-line block ×4, first 2 shown]
.LBB446_48:
	v_lshrrev_b32_e32 v48, 2, v58
	s_cbranch_execnz .LBB446_61
.LBB446_49:
	s_and_b64 vcc, exec, s[14:15]
	s_cbranch_vccz .LBB446_59
; %bb.50:
	s_waitcnt vmcnt(0)
	v_lshlrev_b32_e32 v23, 1, v35
	v_cmp_gt_i32_e32 vcc, s52, v23
	v_mov_b32_e32 v22, 0
	v_lshlrev_b32_e32 v30, 9, v35
	v_mov_b32_e32 v18, 0
	v_mov_b32_e32 v19, 0
	v_mov_b32_e32 v20, 0
	v_mov_b32_e32 v21, 0
	s_and_saveexec_b64 s[0:1], vcc
	s_cbranch_execz .LBB446_52
; %bb.51:
	v_mov_b32_e32 v31, 0
	v_lshl_add_u64 v[18:19], s[4:5], 0, v[30:31]
	v_lshlrev_b32_e32 v20, 1, v36
	v_mov_b32_e32 v21, v31
	v_lshl_add_u64 v[18:19], v[18:19], 0, v[20:21]
	global_load_dwordx4 v[18:21], v[18:19], off
.LBB446_52:
	s_or_b64 exec, exec, s[0:1]
	v_or_b32_e32 v23, 1, v23
	v_cmp_gt_i32_e64 s[0:1], s52, v23
	v_lshlrev_b32_e32 v38, 8, v23
	v_mov_b32_e32 v23, 0
	v_mov_b32_e32 v24, 0
	;; [unrolled: 1-line block ×3, first 2 shown]
	s_and_saveexec_b64 s[2:3], s[0:1]
	s_cbranch_execz .LBB446_54
; %bb.53:
	v_mov_b32_e32 v39, 0
	v_lshl_add_u64 v[22:23], s[4:5], 0, v[38:39]
	v_lshlrev_b32_e32 v24, 1, v36
	v_mov_b32_e32 v25, v39
	v_lshl_add_u64 v[22:23], v[22:23], 0, v[24:25]
	global_load_dwordx4 v[22:25], v[22:23], off
.LBB446_54:
	s_or_b64 exec, exec, s[2:3]
	v_mov_b32_e32 v33, 0
	v_mov_b32_e32 v26, 0
	;; [unrolled: 1-line block ×5, first 2 shown]
	s_and_saveexec_b64 s[2:3], vcc
	s_cbranch_execz .LBB446_56
; %bb.55:
	v_mov_b32_e32 v31, 0
	v_lshl_add_u64 v[26:27], s[4:5], 0, v[30:31]
	v_lshlrev_b32_e32 v30, 1, v36
	v_lshl_add_u64 v[26:27], v[26:27], 0, v[30:31]
	global_load_dwordx4 v[26:29], v[26:27], off offset:128
.LBB446_56:
	s_or_b64 exec, exec, s[2:3]
	v_mov_b32_e32 v32, 0
	v_mov_b32_e32 v31, 0
	;; [unrolled: 1-line block ×3, first 2 shown]
	s_and_saveexec_b64 s[2:3], s[0:1]
	s_cbranch_execz .LBB446_58
; %bb.57:
	v_mov_b32_e32 v39, 0
	v_lshl_add_u64 v[30:31], s[4:5], 0, v[38:39]
	v_lshlrev_b32_e32 v38, 1, v36
	v_lshl_add_u64 v[30:31], v[30:31], 0, v[38:39]
	global_load_dwordx4 v[30:33], v[30:31], off offset:128
.LBB446_58:
	s_or_b64 exec, exec, s[2:3]
	s_branch .LBB446_61
.LBB446_59:
                                        ; implicit-def: $vgpr21
                                        ; implicit-def: $vgpr25
                                        ; implicit-def: $vgpr29
                                        ; implicit-def: $vgpr33
	s_cbranch_execz .LBB446_61
; %bb.60:
	s_waitcnt vmcnt(0)
	v_lshlrev_b32_e32 v18, 1, v36
	v_lshl_or_b32 v36, v35, 9, v18
	s_and_b32 s5, s5, 0xffff
	s_mov_b32 s7, 0x20000
	s_movk_i32 s6, 0x4000
	s_movk_i32 s0, 0x80
	buffer_load_dwordx4 v[18:21], v36, s[4:7], 0 offen
	buffer_load_dwordx4 v[22:25], v36, s[4:7], 0 offen offset:256
	buffer_load_dwordx4 v[26:29], v36, s[4:7], s0 offen
	buffer_load_dwordx4 v[30:33], v36, s[4:7], s0 offen offset:256
.LBB446_61:
	ds_read_b64 v[38:39], v44 offset:32768
	v_add_u32_e32 v36, 0xb000, v42
	ds_read2_b64 v[50:53], v36 offset1:16
	ds_read_b64 v[54:55], v45 offset:32768
	ds_read_b64 v[58:59], v46 offset:32768
	;; [unrolled: 1-line block ×3, first 2 shown]
	v_and_b32_e32 v36, 6, v0
	v_xor_b32_e32 v35, v35, v36
	v_lshlrev_b32_e32 v35, 2, v35
	v_and_b32_e32 v49, 1, v0
	v_cmp_eq_u32_e32 vcc, 0, v49
	s_mov_b32 s0, 0x1000504
	s_waitcnt lgkmcnt(3)
	v_mfma_f32_16x16x16_bf16 a[0:3], v[38:39], v[50:51], a[0:3]
	s_mov_b32 s1, 0x3020706
	v_mfma_f32_16x16x16_bf16 a[4:7], v[38:39], v[52:53], a[4:7]
	ds_read2st64_b64 v[44:47], v42 offset0:90 offset1:92
	ds_read2st64_b64 v[50:53], v43 offset0:90 offset1:92
	s_waitcnt lgkmcnt(1)
	v_mfma_f32_16x16x16_bf16 a[0:3], v[54:55], v[44:45], a[0:3]
	ds_read_b64 v[38:39], v42 offset:48128
	ds_read_b64 v[44:45], v43 offset:48128
	s_waitcnt lgkmcnt(2)
	v_mfma_f32_16x16x16_bf16 a[4:7], v[54:55], v[50:51], a[4:7]
	v_mfma_f32_16x16x16_bf16 a[0:3], v[58:59], v[46:47], a[0:3]
	v_xor_b32_e32 v46, 0x440, v35
	v_cndmask_b32_e32 v35, v46, v35, vcc
	v_lshl_or_b32 v35, v36, 10, v35
	v_mfma_f32_16x16x16_bf16 a[8:11], v[58:59], v[52:53], a[4:7]
	s_waitcnt vmcnt(0)
	v_perm_b32 v36, v18, v22, s0
	v_perm_b32 v18, v18, v22, s1
	;; [unrolled: 1-line block ×3, first 2 shown]
	s_waitcnt lgkmcnt(1)
	v_mfma_f32_16x16x16_bf16 a[4:7], v[60:61], v[38:39], a[0:3]
	v_perm_b32 v38, v26, v30, s0
	ds_write2st64_b32 v35, v36, v38 offset0:32 offset1:64
	v_xor_b32_e32 v36, 8, v35
	v_add_u32_e32 v26, 0x80, v36
	ds_write2st64_b32 v26, v18, v22 offset0:32 offset1:64
	v_xor_b32_e32 v18, 16, v35
	v_perm_b32 v22, v19, v23, s0
	v_perm_b32 v26, v27, v31, s0
	ds_write2st64_b32 v18, v22, v26 offset0:33 offset1:65
	v_xor_b32_e32 v18, 24, v35
	v_perm_b32 v19, v19, v23, s1
	v_perm_b32 v22, v27, v31, s1
	v_add_u32_e32 v18, 0x80, v18
	ds_write2st64_b32 v18, v19, v22 offset0:33 offset1:65
	v_xor_b32_e32 v18, 32, v35
	v_perm_b32 v19, v20, v24, s0
	v_perm_b32 v22, v28, v32, s0
	ds_write2st64_b32 v18, v19, v22 offset0:34 offset1:66
	v_xor_b32_e32 v18, 40, v35
	s_waitcnt lgkmcnt(5)
	v_mfma_f32_16x16x16_bf16 a[0:3], v[60:61], v[44:45], a[8:11]
	v_perm_b32 v19, v20, v24, s1
	v_perm_b32 v20, v28, v32, s1
	v_add_u32_e32 v18, 0x80, v18
	ds_write2st64_b32 v18, v19, v20 offset0:34 offset1:66
	v_xor_b32_e32 v18, 48, v35
	v_perm_b32 v19, v21, v25, s0
	v_perm_b32 v20, v29, v33, s0
	ds_write2st64_b32 v18, v19, v20 offset0:35 offset1:67
	v_xor_b32_e32 v18, 56, v35
	v_and_or_b32 v39, v48, 12, v57
	v_perm_b32 v19, v21, v25, s1
	v_perm_b32 v20, v29, v33, s1
	v_add_u32_e32 v18, 0x80, v18
	v_cmp_gt_i32_e32 vcc, s52, v39
	v_mov_b32_e32 v32, 0
	v_mov_b32_e32 v36, 0
	ds_write2st64_b32 v18, v19, v20 offset0:35 offset1:67
	s_and_saveexec_b64 s[0:1], vcc
	s_cbranch_execz .LBB446_63
; %bb.62:
	v_add_u32_e32 v18, s50, v39
	v_ashrrev_i32_e32 v19, 31, v18
	v_mul_lo_u32 v20, v19, s36
	v_mul_lo_u32 v21, v18, s37
	v_mad_u64_u32 v[18:19], s[2:3], v18, s36, 0
	v_add3_u32 v19, v19, v21, v20
	v_lshl_add_u64 v[18:19], v[18:19], 2, s[12:13]
	global_load_dword v18, v[18:19], off
	s_waitcnt vmcnt(0)
	v_sub_f32_e32 v18, s16, v18
	v_exp_f32_e32 v36, v18
.LBB446_63:
	s_or_b64 exec, exec, s[0:1]
	v_or_b32_e32 v26, 1, v39
	v_cmp_gt_i32_e64 s[0:1], s52, v26
	s_and_saveexec_b64 s[2:3], s[0:1]
	s_cbranch_execz .LBB446_65
; %bb.64:
	v_add_u32_e32 v18, s50, v26
	v_ashrrev_i32_e32 v19, 31, v18
	v_mul_lo_u32 v20, v19, s36
	v_mul_lo_u32 v21, v18, s37
	v_mad_u64_u32 v[18:19], s[4:5], v18, s36, 0
	v_add3_u32 v19, v19, v21, v20
	v_lshl_add_u64 v[18:19], v[18:19], 2, s[12:13]
	global_load_dword v18, v[18:19], off
	s_waitcnt vmcnt(0)
	v_sub_f32_e32 v18, s16, v18
	v_exp_f32_e32 v32, v18
.LBB446_65:
	s_or_b64 exec, exec, s[2:3]
	v_or_b32_e32 v27, 2, v39
	v_cmp_gt_i32_e64 s[2:3], s52, v27
	v_mov_b32_e32 v33, 0
	v_mov_b32_e32 v38, 0
	s_and_saveexec_b64 s[4:5], s[2:3]
	s_cbranch_execz .LBB446_67
; %bb.66:
	v_add_u32_e32 v18, s50, v27
	v_ashrrev_i32_e32 v19, 31, v18
	v_mul_lo_u32 v20, v19, s36
	v_mul_lo_u32 v21, v18, s37
	v_mad_u64_u32 v[18:19], s[6:7], v18, s36, 0
	v_add3_u32 v19, v19, v21, v20
	v_lshl_add_u64 v[18:19], v[18:19], 2, s[12:13]
	global_load_dword v18, v[18:19], off
	s_waitcnt vmcnt(0)
	v_sub_f32_e32 v18, s16, v18
	v_exp_f32_e32 v38, v18
.LBB446_67:
	s_or_b64 exec, exec, s[4:5]
	v_or_b32_e32 v44, 3, v39
	v_cmp_gt_i32_e64 s[4:5], s52, v44
	s_and_saveexec_b64 s[6:7], s[4:5]
	s_cbranch_execz .LBB446_69
; %bb.68:
	v_add_u32_e32 v18, s50, v44
	v_ashrrev_i32_e32 v19, 31, v18
	v_mul_lo_u32 v20, v19, s36
	v_mul_lo_u32 v21, v18, s37
	v_mad_u64_u32 v[18:19], s[14:15], v18, s36, 0
	v_add3_u32 v19, v19, v21, v20
	v_lshl_add_u64 v[18:19], v[18:19], 2, s[12:13]
	global_load_dword v18, v[18:19], off
	s_waitcnt vmcnt(0)
	v_sub_f32_e32 v18, s16, v18
	v_exp_f32_e32 v33, v18
.LBB446_69:
	s_or_b64 exec, exec, s[6:7]
	s_add_u32 s6, s20, s10
	v_accvgpr_read_b32 v21, a7
	s_addc_u32 s7, s21, s11
	v_ashrrev_i32_e32 v35, 31, v34
	v_accvgpr_read_b32 v20, a6
	v_accvgpr_read_b32 v19, a5
	;; [unrolled: 1-line block ×3, first 2 shown]
	v_lshl_add_u64 v[22:23], v[34:35], 1, s[6:7]
	v_mov_b32_e32 v29, 0
	v_lshlrev_b32_e32 v24, 8, v39
	v_mov_b32_e32 v25, 0
	s_and_saveexec_b64 s[6:7], vcc
	s_cbranch_execz .LBB446_71
; %bb.70:
	v_mov_b32_e32 v25, 0
	v_lshl_add_u64 v[30:31], v[22:23], 0, v[24:25]
	global_load_ushort v25, v[30:31], off
	s_waitcnt vmcnt(0)
	v_lshlrev_b32_e32 v25, 16, v25
	v_sub_f32_e32 v18, v25, v18
	v_mul_f32_e32 v18, v36, v18
	v_lshrrev_b32_e32 v25, 16, v18
.LBB446_71:
	s_or_b64 exec, exec, s[6:7]
	v_lshlrev_b32_e32 v28, 8, v26
	s_and_saveexec_b64 s[6:7], s[0:1]
	s_cbranch_execz .LBB446_73
; %bb.72:
	v_mov_b32_e32 v29, 0
	v_lshl_add_u64 v[30:31], v[22:23], 0, v[28:29]
	global_load_ushort v18, v[30:31], off
	s_waitcnt vmcnt(0)
	v_lshlrev_b32_e32 v18, 16, v18
	v_sub_f32_e32 v18, v18, v19
	v_mul_f32_e32 v18, v32, v18
	v_lshrrev_b32_e32 v29, 16, v18
.LBB446_73:
	s_or_b64 exec, exec, s[6:7]
	v_mov_b32_e32 v45, 0
	v_lshlrev_b32_e32 v30, 8, v27
	v_mov_b32_e32 v31, 0
	s_and_saveexec_b64 s[6:7], s[2:3]
	s_cbranch_execz .LBB446_75
; %bb.74:
	v_mov_b32_e32 v31, 0
	v_lshl_add_u64 v[18:19], v[22:23], 0, v[30:31]
	global_load_ushort v18, v[18:19], off
	s_waitcnt vmcnt(0)
	v_lshlrev_b32_e32 v18, 16, v18
	v_sub_f32_e32 v18, v18, v20
	v_mul_f32_e32 v18, v38, v18
	v_lshrrev_b32_e32 v31, 16, v18
.LBB446_75:
	s_or_b64 exec, exec, s[6:7]
	v_lshlrev_b32_e32 v26, 8, v44
	s_and_saveexec_b64 s[6:7], s[4:5]
	s_cbranch_execz .LBB446_77
; %bb.76:
	v_mov_b32_e32 v27, 0
	v_lshl_add_u64 v[18:19], v[22:23], 0, v[26:27]
	global_load_ushort v18, v[18:19], off
	s_waitcnt vmcnt(0)
	v_lshlrev_b32_e32 v18, 16, v18
	v_sub_f32_e32 v18, v18, v21
	v_mul_f32_e32 v18, v33, v18
	v_lshrrev_b32_e32 v45, 16, v18
.LBB446_77:
	s_or_b64 exec, exec, s[6:7]
	v_lshlrev_b32_e32 v35, 5, v39
	s_mov_b32 s6, 0x5040100
	v_perm_b32 v44, v29, v25, s6
	v_or_b32_e32 v25, v35, v40
	v_accvgpr_read_b32 v21, a3
	v_perm_b32 v45, v45, v31, s6
	v_lshlrev_b32_e32 v25, 1, v25
	v_accvgpr_read_b32 v20, a2
	v_accvgpr_read_b32 v19, a1
	v_accvgpr_read_b32 v18, a0
	ds_write_b64 v25, v[44:45] offset:45056
	v_mov_b32_e32 v29, 0
	v_mov_b32_e32 v25, 0
	s_and_saveexec_b64 s[6:7], vcc
	s_cbranch_execz .LBB446_79
; %bb.78:
	v_mov_b32_e32 v25, 0
	v_lshl_add_u64 v[24:25], v[22:23], 0, v[24:25]
	global_load_ushort v24, v[24:25], off offset:32
	s_waitcnt vmcnt(0)
	v_lshlrev_b32_e32 v24, 16, v24
	v_sub_f32_e32 v18, v24, v18
	v_mul_f32_e32 v18, v36, v18
	v_lshrrev_b32_e32 v25, 16, v18
.LBB446_79:
	s_or_b64 exec, exec, s[6:7]
	s_and_saveexec_b64 s[6:7], s[0:1]
	s_cbranch_execz .LBB446_81
; %bb.80:
	v_mov_b32_e32 v29, 0
	v_lshl_add_u64 v[28:29], v[22:23], 0, v[28:29]
	global_load_ushort v18, v[28:29], off offset:32
	s_waitcnt vmcnt(0)
	v_lshlrev_b32_e32 v18, 16, v18
	v_sub_f32_e32 v18, v18, v19
	v_mul_f32_e32 v18, v32, v18
	v_lshrrev_b32_e32 v29, 16, v18
.LBB446_81:
	s_or_b64 exec, exec, s[6:7]
	v_mov_b32_e32 v24, 0
	v_mov_b32_e32 v28, 0
	s_and_saveexec_b64 s[0:1], s[2:3]
	s_cbranch_execz .LBB446_83
; %bb.82:
	v_mov_b32_e32 v31, 0
	v_lshl_add_u64 v[18:19], v[22:23], 0, v[30:31]
	global_load_ushort v18, v[18:19], off offset:32
	s_waitcnt vmcnt(0)
	v_lshlrev_b32_e32 v18, 16, v18
	v_sub_f32_e32 v18, v18, v20
	v_mul_f32_e32 v18, v38, v18
	v_lshrrev_b32_e32 v28, 16, v18
.LBB446_83:
	s_or_b64 exec, exec, s[0:1]
	v_or_b32_e32 v19, 0xb000, v42
	v_or_b32_e32 v18, 0xb000, v43
	s_and_saveexec_b64 s[0:1], s[4:5]
	s_cbranch_execz .LBB446_85
; %bb.84:
	v_mov_b32_e32 v27, 0
	v_lshl_add_u64 v[22:23], v[22:23], 0, v[26:27]
	global_load_ushort v20, v[22:23], off offset:32
	s_waitcnt vmcnt(0)
	v_lshlrev_b32_e32 v20, 16, v20
	v_sub_f32_e32 v20, v20, v21
	v_mul_f32_e32 v20, v33, v20
	v_lshrrev_b32_e32 v24, 16, v20
.LBB446_85:
	s_or_b64 exec, exec, s[0:1]
	s_mov_b32 s0, 0x5040100
	v_or_b32_e32 v22, v35, v37
	v_perm_b32 v21, v24, v28, s0
	v_perm_b32 v20, v29, v25, s0
	v_lshlrev_b32_e32 v22, 1, v22
	s_movk_i32 s0, 0x100
	ds_write_b64 v22, v[20:21] offset:45056
	v_and_b32_e32 v20, 7, v0
	v_and_b32_e32 v21, 8, v0
	v_cmp_gt_u32_e32 vcc, s0, v0
	v_lshrrev_b32_e32 v0, 1, v0
	v_lshlrev_b32_e32 v35, 3, v20
	v_lshlrev_b32_e32 v36, 7, v20
	v_mov_b32_e32 v20, 0x4000
	v_mov_b32_e32 v22, 0x2000
	v_lshlrev_b32_e32 v38, 3, v56
	v_and_b32_e32 v0, 24, v0
	v_cndmask_b32_e32 v37, v20, v22, vcc
	v_xor_b32_e32 v20, v38, v0
	v_or_b32_e32 v26, 32, v0
	v_or_b32_e32 v22, 0x440, v20
	v_cmp_eq_u32_e32 vcc, 0, v21
	v_xor_b32_e32 v26, v38, v26
	v_or_b32_e32 v27, 0x440, v26
	v_cndmask_b32_e32 v20, v22, v20, vcc
	v_or_b32_e32 v20, v20, v41
	v_cndmask_b32_e32 v26, v27, v26, vcc
	v_xad_u32 v40, v20, v35, v36
	v_or_b32_e32 v26, v26, v41
	v_add_u32_e32 v20, v37, v40
	v_xad_u32 v42, v26, v35, v36
	s_waitcnt lgkmcnt(0)
	s_barrier
	ds_read_b64 v[24:25], v20
	ds_read2_b64 v[20:23], v19 offset1:16
	v_add_u32_e32 v26, v37, v42
	ds_read_b64 v[32:33], v26
	s_waitcnt lgkmcnt(1)
	v_mfma_f32_16x16x16_bf16 a[0:3], v[24:25], v[20:21], 0
	ds_read2st64_b64 v[28:31], v18 offset0:2 offset1:4
	v_mfma_f32_16x16x16_bf16 a[4:7], v[24:25], v[22:23], 0
	ds_read2st64_b64 v[24:27], v19 offset0:2 offset1:4
	s_waitcnt lgkmcnt(0)
	v_mfma_f32_16x16x16_bf16 a[0:3], v[32:33], v[24:25], a[0:3]
	v_mfma_f32_16x16x16_bf16 a[4:7], v[32:33], v[28:29], a[4:7]
	v_or_b32_e32 v32, 64, v0
	v_xor_b32_e32 v32, v38, v32
	v_xor_b32_e32 v33, 0x440, v32
	v_cndmask_b32_e32 v32, v33, v32, vcc
	v_or_b32_e32 v32, v32, v41
	v_xad_u32 v43, v32, v35, v36
	v_add_u32_e32 v32, v37, v43
	ds_read_b64 v[32:33], v32
	v_or_b32_e32 v0, 0x60, v0
	v_xor_b32_e32 v0, v38, v0
	v_xor_b32_e32 v38, 0x440, v0
	v_cndmask_b32_e32 v0, v38, v0, vcc
	v_or_b32_e32 v0, v0, v41
	v_xad_u32 v0, v0, v35, v36
	v_add_u32_e32 v35, v37, v0
	ds_read_b64 v[36:37], v35
	s_waitcnt lgkmcnt(1)
	v_mfma_f32_16x16x16_bf16 a[0:3], v[32:33], v[26:27], a[0:3]
	v_exp_f32_e32 v35, s16
	v_mfma_f32_16x16x16_bf16 a[4:7], v[32:33], v[30:31], a[4:7]
	ds_read_b64 v[32:33], v19 offset:3072
	ds_read_b64 v[38:39], v18 offset:3072
	;; [unrolled: 1-line block ×3, first 2 shown]
	s_waitcnt lgkmcnt(0)
	v_mfma_f32_16x16x16_bf16 a[8:11], v[18:19], v[20:21], 0
	ds_read_b64 v[20:21], v42 offset:16384
	v_mfma_f32_16x16x16_bf16 a[0:3], v[36:37], v[32:33], a[0:3]
	v_mfma_f32_16x16x16_bf16 a[12:15], v[18:19], v[22:23], 0
	ds_read_b64 v[22:23], v43 offset:16384
	s_nop 4
	v_accvgpr_read_b32 v18, a0
	v_fma_f32 v18, v2, v35, v18
	v_accvgpr_read_b32 v2, a1
	v_fma_f32 v19, v3, v35, v2
	v_accvgpr_read_b32 v2, a2
	s_waitcnt lgkmcnt(1)
	v_mfma_f32_16x16x16_bf16 a[8:11], v[20:21], v[24:25], a[8:11]
	v_mfma_f32_16x16x16_bf16 a[12:15], v[20:21], v[28:29], a[12:15]
	v_fma_f32 v20, v4, v35, v2
	ds_read_b64 v[2:3], v0 offset:16384
	v_accvgpr_read_b32 v21, a3
	s_waitcnt lgkmcnt(1)
	v_mfma_f32_16x16x16_bf16 a[0:3], v[22:23], v[26:27], a[8:11]
	v_fmac_f32_e32 v21, v5, v35
	v_mfma_f32_16x16x16_bf16 a[4:7], v[36:37], v[38:39], a[4:7]
	v_mfma_f32_16x16x16_bf16 a[8:11], v[22:23], v[30:31], a[12:15]
	s_waitcnt lgkmcnt(0)
	v_mfma_f32_16x16x16_bf16 a[0:3], v[2:3], v[32:33], a[0:3]
	s_nop 3
	v_accvgpr_read_b32 v0, a4
	v_fma_f32 v26, v10, v35, v0
	v_accvgpr_read_b32 v0, a5
	v_fma_f32 v27, v11, v35, v0
	v_accvgpr_read_b32 v0, a6
	v_accvgpr_read_b32 v29, a7
	v_mfma_f32_16x16x16_bf16 a[4:7], v[2:3], v[38:39], a[8:11]
	v_fma_f32 v28, v12, v35, v0
	v_accvgpr_read_b32 v0, a0
	v_fma_f32 v22, v6, v35, v0
	v_accvgpr_read_b32 v0, a1
	;; [unrolled: 2-line block ×5, first 2 shown]
	v_accvgpr_read_b32 v25, a3
	v_fma_f32 v31, v15, v35, v0
	v_accvgpr_read_b32 v0, a6
	v_accvgpr_read_b32 v33, a7
	v_fmac_f32_e32 v29, v13, v35
	v_fmac_f32_e32 v25, v9, v35
	v_fma_f32 v32, v16, v35, v0
	v_fmac_f32_e32 v33, v17, v35
	v_mov_b64_e32 v[2:3], v[18:19]
	v_mov_b64_e32 v[4:5], v[20:21]
	;; [unrolled: 1-line block ×8, first 2 shown]
	v_mov_b32_e32 v18, v34
.LBB446_86:
	s_lshl_b64 s[0:1], s[8:9], 16
	s_waitcnt lgkmcnt(0)
	s_add_u32 s0, s34, s0
	v_lshlrev_b32_e32 v18, 7, v18
	s_addc_u32 s1, s35, s1
	v_ashrrev_i32_e32 v19, 31, v18
	v_lshl_add_u64 v[20:21], v[18:19], 2, s[0:1]
	v_lshlrev_b32_e32 v0, 2, v1
	v_mov_b32_e32 v1, 0
	v_lshl_add_u64 v[20:21], v[20:21], 0, v[0:1]
	global_store_dwordx4 v[20:21], v[2:5], off
	global_store_dwordx4 v[20:21], v[6:9], off offset:256
	s_nop 0
	v_or_b32_e32 v2, 0x800, v18
	v_ashrrev_i32_e32 v3, 31, v2
	v_lshl_add_u64 v[2:3], v[2:3], 2, s[0:1]
	v_lshl_add_u64 v[0:1], v[2:3], 0, v[0:1]
	global_store_dwordx4 v[0:1], v[10:13], off
	global_store_dwordx4 v[0:1], v[14:17], off offset:256
	s_endpgm
	.section	.rodata,"a",@progbits
	.p2align	6, 0x0
	.amdhsa_kernel _ZN12_GLOBAL__N_139chunk_gated_delta_rule_fwd_h_hip_kernelILi32ELb0ELb1ELb0ELb0ELb1ELb0ELb0ELb0EEEvPK12hip_bfloat16S3_S3_PKfS5_PKvPS1_S8_PvPKiSB_iiiiilll
		.amdhsa_group_segment_fixed_size 49152
		.amdhsa_private_segment_fixed_size 0
		.amdhsa_kernarg_size 136
		.amdhsa_user_sgpr_count 2
		.amdhsa_user_sgpr_dispatch_ptr 0
		.amdhsa_user_sgpr_queue_ptr 0
		.amdhsa_user_sgpr_kernarg_segment_ptr 1
		.amdhsa_user_sgpr_dispatch_id 0
		.amdhsa_user_sgpr_kernarg_preload_length 0
		.amdhsa_user_sgpr_kernarg_preload_offset 0
		.amdhsa_user_sgpr_private_segment_size 0
		.amdhsa_uses_dynamic_stack 0
		.amdhsa_enable_private_segment 0
		.amdhsa_system_sgpr_workgroup_id_x 1
		.amdhsa_system_sgpr_workgroup_id_y 1
		.amdhsa_system_sgpr_workgroup_id_z 0
		.amdhsa_system_sgpr_workgroup_info 0
		.amdhsa_system_vgpr_workitem_id 0
		.amdhsa_next_free_vgpr 148
		.amdhsa_next_free_sgpr 64
		.amdhsa_accum_offset 132
		.amdhsa_reserve_vcc 1
		.amdhsa_float_round_mode_32 0
		.amdhsa_float_round_mode_16_64 0
		.amdhsa_float_denorm_mode_32 3
		.amdhsa_float_denorm_mode_16_64 3
		.amdhsa_dx10_clamp 1
		.amdhsa_ieee_mode 1
		.amdhsa_fp16_overflow 0
		.amdhsa_tg_split 0
		.amdhsa_exception_fp_ieee_invalid_op 0
		.amdhsa_exception_fp_denorm_src 0
		.amdhsa_exception_fp_ieee_div_zero 0
		.amdhsa_exception_fp_ieee_overflow 0
		.amdhsa_exception_fp_ieee_underflow 0
		.amdhsa_exception_fp_ieee_inexact 0
		.amdhsa_exception_int_div_zero 0
	.end_amdhsa_kernel
	.section	.text._ZN12_GLOBAL__N_139chunk_gated_delta_rule_fwd_h_hip_kernelILi32ELb0ELb1ELb0ELb0ELb1ELb0ELb0ELb0EEEvPK12hip_bfloat16S3_S3_PKfS5_PKvPS1_S8_PvPKiSB_iiiiilll,"axG",@progbits,_ZN12_GLOBAL__N_139chunk_gated_delta_rule_fwd_h_hip_kernelILi32ELb0ELb1ELb0ELb0ELb1ELb0ELb0ELb0EEEvPK12hip_bfloat16S3_S3_PKfS5_PKvPS1_S8_PvPKiSB_iiiiilll,comdat
.Lfunc_end446:
	.size	_ZN12_GLOBAL__N_139chunk_gated_delta_rule_fwd_h_hip_kernelILi32ELb0ELb1ELb0ELb0ELb1ELb0ELb0ELb0EEEvPK12hip_bfloat16S3_S3_PKfS5_PKvPS1_S8_PvPKiSB_iiiiilll, .Lfunc_end446-_ZN12_GLOBAL__N_139chunk_gated_delta_rule_fwd_h_hip_kernelILi32ELb0ELb1ELb0ELb0ELb1ELb0ELb0ELb0EEEvPK12hip_bfloat16S3_S3_PKfS5_PKvPS1_S8_PvPKiSB_iiiiilll
                                        ; -- End function
	.section	.AMDGPU.csdata,"",@progbits
; Kernel info:
; codeLenInByte = 9380
; NumSgprs: 70
; NumVgprs: 130
; NumAgprs: 16
; TotalNumVgprs: 148
; ScratchSize: 0
; MemoryBound: 0
; FloatMode: 240
; IeeeMode: 1
; LDSByteSize: 49152 bytes/workgroup (compile time only)
; SGPRBlocks: 8
; VGPRBlocks: 18
; NumSGPRsForWavesPerEU: 70
; NumVGPRsForWavesPerEU: 148
; AccumOffset: 132
; Occupancy: 1
; WaveLimiterHint : 1
; COMPUTE_PGM_RSRC2:SCRATCH_EN: 0
; COMPUTE_PGM_RSRC2:USER_SGPR: 2
; COMPUTE_PGM_RSRC2:TRAP_HANDLER: 0
; COMPUTE_PGM_RSRC2:TGID_X_EN: 1
; COMPUTE_PGM_RSRC2:TGID_Y_EN: 1
; COMPUTE_PGM_RSRC2:TGID_Z_EN: 0
; COMPUTE_PGM_RSRC2:TIDIG_COMP_CNT: 0
; COMPUTE_PGM_RSRC3_GFX90A:ACCUM_OFFSET: 32
; COMPUTE_PGM_RSRC3_GFX90A:TG_SPLIT: 0
	.section	.text._ZN12_GLOBAL__N_139chunk_gated_delta_rule_fwd_h_hip_kernelILi32ELb0ELb0ELb1ELb0ELb1ELb0ELb0ELb0EEEvPK12hip_bfloat16S3_S3_PKfS5_PKvPS1_S8_PvPKiSB_iiiiilll,"axG",@progbits,_ZN12_GLOBAL__N_139chunk_gated_delta_rule_fwd_h_hip_kernelILi32ELb0ELb0ELb1ELb0ELb1ELb0ELb0ELb0EEEvPK12hip_bfloat16S3_S3_PKfS5_PKvPS1_S8_PvPKiSB_iiiiilll,comdat
	.globl	_ZN12_GLOBAL__N_139chunk_gated_delta_rule_fwd_h_hip_kernelILi32ELb0ELb0ELb1ELb0ELb1ELb0ELb0ELb0EEEvPK12hip_bfloat16S3_S3_PKfS5_PKvPS1_S8_PvPKiSB_iiiiilll ; -- Begin function _ZN12_GLOBAL__N_139chunk_gated_delta_rule_fwd_h_hip_kernelILi32ELb0ELb0ELb1ELb0ELb1ELb0ELb0ELb0EEEvPK12hip_bfloat16S3_S3_PKfS5_PKvPS1_S8_PvPKiSB_iiiiilll
	.p2align	8
	.type	_ZN12_GLOBAL__N_139chunk_gated_delta_rule_fwd_h_hip_kernelILi32ELb0ELb0ELb1ELb0ELb1ELb0ELb0ELb0EEEvPK12hip_bfloat16S3_S3_PKfS5_PKvPS1_S8_PvPKiSB_iiiiilll,@function
_ZN12_GLOBAL__N_139chunk_gated_delta_rule_fwd_h_hip_kernelILi32ELb0ELb0ELb1ELb0ELb1ELb0ELb0ELb0EEEvPK12hip_bfloat16S3_S3_PKfS5_PKvPS1_S8_PvPKiSB_iiiiilll: ; @_ZN12_GLOBAL__N_139chunk_gated_delta_rule_fwd_h_hip_kernelILi32ELb0ELb0ELb1ELb0ELb1ELb0ELb0ELb0EEEvPK12hip_bfloat16S3_S3_PKfS5_PKvPS1_S8_PvPKiSB_iiiiilll
; %bb.0:
	s_load_dwordx4 s[16:19], s[0:1], 0x5c
	s_load_dwordx4 s[12:15], s[0:1], 0x30
	s_abs_i32 s22, s3
	s_ashr_i32 s21, s3, 31
	s_load_dwordx8 s[4:11], s[0:1], 0x0
	s_waitcnt lgkmcnt(0)
	s_abs_i32 s20, s17
	v_cvt_f32_u32_e32 v1, s20
	s_sub_i32 s24, 0, s20
	s_ashr_i32 s23, s17, 31
	s_xor_b32 s21, s21, s23
	v_rcp_iflag_f32_e32 v1, v1
	v_lshrrev_b32_e32 v44, 6, v0
	v_bfe_u32 v45, v0, 4, 2
	v_lshlrev_b32_e32 v2, 2, v45
	v_mul_f32_e32 v1, 0x4f7ffffe, v1
	v_cvt_u32_f32_e32 v1, v1
	v_and_b32_e32 v43, 63, v0
	v_and_b32_e32 v42, 15, v0
	v_mov_b32_e32 v3, 0
	v_readfirstlane_b32 s25, v1
	s_mul_i32 s24, s24, s25
	s_mul_hi_u32 s24, s25, s24
	s_add_i32 s25, s25, s24
	s_mul_hi_u32 s24, s22, s25
	s_mul_i32 s25, s24, s20
	s_sub_i32 s22, s22, s25
	s_add_i32 s26, s24, 1
	s_sub_i32 s25, s22, s20
	s_cmp_ge_u32 s22, s20
	s_cselect_b32 s24, s26, s24
	s_cselect_b32 s22, s25, s22
	s_add_i32 s25, s24, 1
	s_cmp_ge_u32 s22, s20
	s_cselect_b32 s22, s25, s24
	s_xor_b32 s22, s22, s21
	s_sub_i32 s47, s22, s21
	s_abs_i32 s21, s18
	v_cvt_f32_u32_e32 v1, s21
	s_add_i32 s24, s16, 63
	s_mul_i32 s45, s47, s17
	s_sub_i32 s33, s3, s45
	v_rcp_iflag_f32_e32 v1, v1
	s_ashr_i32 s3, s24, 31
	s_ashr_i32 s46, s16, 31
	s_lshr_b32 s3, s3, 26
	v_mul_f32_e32 v1, 0x4f7ffffe, v1
	v_cvt_u32_f32_e32 v1, v1
	s_lshr_b32 s22, s46, 26
	s_add_i32 s24, s24, s3
	s_add_i32 s22, s16, s22
	s_ashr_i32 s49, s18, 31
	s_ashr_i32 s3, s24, 6
	;; [unrolled: 1-line block ×3, first 2 shown]
	s_xor_b32 s22, s23, s49
	s_sub_i32 s23, 0, s21
	v_readfirstlane_b32 s24, v1
	s_mul_i32 s23, s23, s24
	s_mul_hi_u32 s23, s24, s23
	s_add_i32 s24, s24, s23
	s_mul_hi_u32 s23, s20, s24
	s_mul_i32 s24, s23, s21
	s_sub_i32 s20, s20, s24
	s_add_i32 s24, s23, 1
	s_sub_i32 s25, s20, s21
	s_cmp_ge_u32 s20, s21
	s_cselect_b32 s23, s24, s23
	s_cselect_b32 s20, s25, s20
	s_add_i32 s24, s23, 1
	s_cmp_ge_u32 s20, s21
	s_cselect_b32 s20, s24, s23
	s_xor_b32 s20, s20, s22
	s_sub_i32 s24, s20, s22
	s_abs_i32 s25, s24
	v_cvt_f32_u32_e32 v1, s25
	s_load_dwordx2 s[34:35], s[0:1], 0x80
	s_load_dwordx4 s[20:23], s[0:1], 0x70
	s_xor_b32 s0, s33, s24
	s_sub_i32 s24, 0, s25
	v_rcp_iflag_f32_e32 v1, v1
	s_abs_i32 s1, s33
	s_ashr_i32 s0, s0, 31
	s_mul_i32 s50, s47, s3
	v_mul_f32_e32 v1, 0x4f7ffffe, v1
	v_cvt_u32_f32_e32 v1, v1
	s_mul_hi_i32 s51, s47, s17
	v_lshrrev_b32_e32 v47, 3, v43
	v_lshlrev_b32_e32 v46, 3, v0
	v_readfirstlane_b32 s26, v1
	s_mul_i32 s24, s24, s26
	s_mul_hi_u32 s24, s26, s24
	s_add_i32 s26, s26, s24
	s_mul_hi_u32 s24, s1, s26
	s_mul_i32 s26, s24, s25
	s_sub_i32 s1, s1, s26
	s_add_i32 s26, s24, 1
	s_sub_i32 s27, s1, s25
	s_cmp_ge_u32 s1, s25
	s_cselect_b32 s24, s26, s24
	s_cselect_b32 s1, s27, s1
	s_add_i32 s26, s24, 1
	s_cmp_ge_u32 s1, s25
	s_cselect_b32 s1, s26, s24
	s_xor_b32 s1, s1, s0
	v_lshlrev_b32_e32 v1, 4, v44
	s_sub_i32 s52, s1, s0
	v_or_b32_e32 v48, v2, v1
	s_lshl_b32 s36, s2, 5
	v_or_b32_e32 v49, 64, v48
	s_cmp_lt_i32 s16, 64
	s_waitcnt lgkmcnt(0)
	s_mul_i32 s21, s47, s21
	s_mul_hi_u32 s44, s47, s20
	s_mul_i32 s38, s47, s20
	v_mov_b32_e32 v64, 0
	v_mov_b32_e32 v62, 0
	v_mov_b32_e32 v63, 0
	v_mov_b32_e32 v4, 0
	v_mov_b32_e32 v67, 0
	v_mov_b32_e32 v65, 0
	v_mov_b32_e32 v66, 0
	v_mov_b32_e32 v6, 0
	v_mov_b32_e32 v72, 0
	v_mov_b32_e32 v70, 0
	v_mov_b32_e32 v71, 0
	v_mov_b32_e32 v5, 0
	v_mov_b32_e32 v75, 0
	v_mov_b32_e32 v73, 0
	v_mov_b32_e32 v74, 0
	s_cbranch_scc1 .LBB447_18
; %bb.1:
	s_ashr_i32 s28, s47, 31
	s_ashr_i32 s54, s33, 31
	s_add_u32 s0, s45, s33
	s_addc_u32 s1, s51, s54
	s_mul_i32 s1, s16, s1
	s_mul_hi_u32 s2, s16, s0
	s_add_i32 s3, s2, s1
	s_mul_i32 s2, s16, s0
	s_lshl_b64 s[0:1], s[2:3], 8
	v_and_b32_e32 v51, 56, v46
	s_add_u32 s24, s6, s0
	v_lshl_or_b32 v50, v44, 3, v47
	v_lshlrev_b32_e32 v3, 1, v51
	s_addc_u32 s0, s7, s1
	v_lshl_or_b32 v52, v50, 8, v3
	s_and_b32 s25, s0, 0xffff
	s_mov_b32 s27, 0x20000
	s_movk_i32 s26, 0x4000
	s_movk_i32 s0, 0x80
	v_or_b32_e32 v53, 0x2000, v52
	buffer_load_dwordx4 v[4:7], v52, s[24:27], 0 offen
	buffer_load_dwordx4 v[8:11], v52, s[24:27], s0 offen
	;; [unrolled: 1-line block ×4, first 2 shown]
	v_lshlrev_b32_e32 v20, 3, v50
	v_and_or_b32 v22, v0, 7, v20
	v_and_b32_e32 v20, 0x78, v20
	v_lshlrev_b32_e32 v22, 4, v22
	v_xor_b32_e32 v54, v22, v20
	v_mul_lo_u32 v21, v50, s19
	v_or_b32_e32 v55, 0x1000, v54
	s_cmpk_eq_i32 s19, 0x80
	s_mov_b32 s53, s18
	v_xor_b32_e32 v20, 8, v54
	v_xor_b32_e32 v22, 8, v55
	s_cselect_b64 s[0:1], -1, 0
	s_cmpk_lg_i32 s19, 0x80
	s_waitcnt vmcnt(3)
	ds_write_b64 v54, v[4:5] offset:24576
	ds_write_b64 v20, v[6:7] offset:24576
	s_waitcnt vmcnt(2)
	ds_write_b64 v54, v[8:9] offset:32768
	ds_write_b64 v20, v[10:11] offset:32768
	;; [unrolled: 3-line block ×4, first 2 shown]
	v_lshl_add_u32 v4, v21, 1, v51
	s_cbranch_scc0 .LBB447_3
; %bb.2:
	v_lshlrev_b32_e32 v6, 1, v4
	v_add_lshl_u32 v5, v4, s19, 1
	s_lshl_b32 s26, s19, 7
	v_lshl_or_b32 v3, v50, 9, v3
	s_cbranch_execz .LBB447_4
	s_branch .LBB447_5
.LBB447_3:
                                        ; implicit-def: $vgpr5
                                        ; implicit-def: $vgpr6
                                        ; implicit-def: $sgpr26
	v_lshl_or_b32 v3, v50, 9, v3
.LBB447_4:
	v_or_b32_e32 v5, 0x100, v3
	s_movk_i32 s26, 0x4000
	v_mov_b32_e32 v6, v3
.LBB447_5:
	s_mul_hi_u32 s24, s18, s16
	s_mul_i32 s25, s49, s16
	s_add_i32 s24, s24, s25
	s_mul_i32 s25, s18, s16
	s_mul_i32 s27, s25, s28
	s_mul_hi_u32 s29, s25, s47
	s_add_i32 s27, s29, s27
	s_mul_i32 s24, s24, s47
	s_add_i32 s27, s27, s24
	s_mul_i32 s25, s25, s47
	s_ashr_i32 s55, s52, 31
	s_add_u32 s24, s25, s52
	s_addc_u32 s25, s27, s55
	s_lshl_b64 s[24:25], s[24:25], 8
	s_add_u32 s24, s4, s24
	s_addc_u32 s25, s5, s25
	s_and_b32 s25, s25, 0xffff
	s_mov_b32 s27, 0x20000
	s_movk_i32 s56, 0x80
	buffer_load_dwordx4 v[8:11], v6, s[24:27], 0 offen
	buffer_load_dwordx4 v[12:15], v6, s[24:27], s56 offen
	;; [unrolled: 1-line block ×4, first 2 shown]
	v_and_b32_e32 v5, 6, v0
	v_lshlrev_b32_e32 v24, 6, v48
	v_or_b32_e32 v26, 16, v42
	v_xor_b32_e32 v27, v50, v5
	v_and_b32_e32 v6, 1, v0
	s_mul_i32 s24, s28, s16
	s_mul_hi_u32 s25, s47, s16
	v_lshl_or_b32 v30, v42, 3, v24
	v_lshl_or_b32 v24, v26, 3, v24
	v_lshlrev_b32_e32 v27, 2, v27
	v_lshlrev_b32_e32 v7, 2, v42
	v_or_b32_e32 v58, 0xa000, v24
	v_or_b32_e32 v59, 0xb000, v24
	v_xor_b32_e32 v24, 0x440, v27
	v_cmp_eq_u32_e32 vcc, 0, v6
	s_add_i32 s61, s25, s24
	s_add_i32 s24, s44, s21
	s_mul_i32 s28, s28, s20
	v_xor_b32_e32 v28, v48, v7
	v_xor_b32_e32 v29, v49, v7
	v_cndmask_b32_e32 v6, v24, v27, vcc
	s_add_i32 s39, s24, s28
	s_mul_i32 s24, s33, s23
	s_mul_hi_u32 s25, s33, s22
	s_mov_b32 s58, 0x1000504
	v_lshlrev_b32_e32 v25, 8, v42
	v_lshlrev_b32_e32 v28, 1, v28
	;; [unrolled: 1-line block ×3, first 2 shown]
	v_lshl_or_b32 v5, v5, 10, v6
	s_add_i32 s24, s25, s24
	s_mul_i32 s25, s54, s22
	s_mov_b32 s59, 0x3020706
	v_or_b32_e32 v56, 0xa000, v30
	v_or_b32_e32 v57, 0xb000, v30
	;; [unrolled: 1-line block ×4, first 2 shown]
	v_xor_b32_e32 v6, 8, v5
	v_xor_b32_e32 v25, 24, v5
	;; [unrolled: 1-line block ×4, first 2 shown]
	s_add_i32 s25, s24, s25
	s_lshl_b64 s[28:29], s[38:39], 2
	v_xor_b32_e32 v24, 16, v5
	v_xor_b32_e32 v27, 32, v5
	;; [unrolled: 1-line block ×3, first 2 shown]
	v_add_u32_e32 v6, 0x80, v6
	v_add_u32_e32 v25, 0x80, v25
	;; [unrolled: 1-line block ×4, first 2 shown]
	s_mul_i32 s24, s33, s22
	s_add_u32 s26, s10, s28
	s_addc_u32 s28, s11, s29
	s_lshl_b64 s[24:25], s[24:25], 2
	s_add_u32 s40, s26, s24
	s_movk_i32 s24, 0xf8
	s_addc_u32 s41, s28, s25
	s_ashr_i32 s37, s36, 31
	s_lshl_b32 s30, s19, 7
	s_movk_i32 s28, 0x100
	v_mov_b32_e32 v35, 0
	v_cmp_gt_u32_e32 vcc, s28, v0
	s_mov_b32 s57, 0
	s_mul_i32 s60, s47, s16
	s_movk_i32 s39, 0x1000
	s_movk_i32 s26, 0x4000
	v_add_u32_e32 v93, v1, v2
	s_mov_b32 s63, 0
	v_mov_b32_e32 v74, v35
	v_mov_b32_e32 v73, v35
	;; [unrolled: 1-line block ×11, first 2 shown]
	s_waitcnt vmcnt(1)
	v_perm_b32 v33, v8, v16, s58
	s_waitcnt vmcnt(0)
	v_perm_b32 v34, v12, v20, s58
	v_perm_b32 v8, v8, v16, s59
	;; [unrolled: 1-line block ×15, first 2 shown]
	ds_write2st64_b32 v5, v33, v34 offset0:32 offset1:64
	ds_write2st64_b32 v6, v8, v12 offset0:32 offset1:64
	;; [unrolled: 1-line block ×8, first 2 shown]
	v_lshlrev_b32_e32 v5, 8, v26
	v_or_b32_e32 v68, v5, v28
	v_or_b32_e32 v69, v5, v29
	;; [unrolled: 1-line block ×3, first 2 shown]
	v_lshlrev_b32_e32 v5, 3, v5
	v_lshrrev_b32_e32 v8, 5, v43
	v_and_or_b32 v8, v5, s24, v8
	v_lshlrev_b32_e32 v8, 4, v8
	v_lshlrev_b32_e32 v9, 11, v44
	v_and_b32_e32 v5, 0x78, v5
	v_or_b32_e32 v13, 32, v8
	v_and_b32_e32 v6, 0x1000, v9
	v_lshrrev_b32_e32 v11, 1, v0
	v_xor_b32_e32 v13, v13, v5
	v_and_b32_e32 v12, 8, v11
	v_or_b32_e32 v13, v13, v6
	v_xor_b32_e32 v10, v8, v5
	v_xor_b32_e32 v78, v13, v12
	v_or_b32_e32 v13, 64, v8
	v_or_b32_e32 v8, 0x60, v8
	v_xor_b32_e32 v13, v13, v5
	v_xor_b32_e32 v5, v8, v5
	v_or_b32_e32 v10, v10, v6
	v_or_b32_e32 v13, v13, v6
	;; [unrolled: 1-line block ×3, first 2 shown]
	s_lshl_b64 s[24:25], s[36:37], 8
	v_xor_b32_e32 v76, v10, v12
	v_xor_b32_e32 v80, v13, v12
	;; [unrolled: 1-line block ×3, first 2 shown]
	v_lshlrev_b32_e32 v12, 1, v4
	v_add_lshl_u32 v13, v4, s19, 1
	s_add_u32 s24, s12, s24
	v_lshlrev_b32_e32 v4, 1, v42
	v_lshrrev_b32_e32 v15, 4, v0
	s_addc_u32 s25, s13, s25
	v_or_b32_e32 v5, 1, v4
	v_lshlrev_b32_e32 v34, 4, v42
	v_mov_b32_e32 v19, 0x4000
	v_mov_b32_e32 v20, 0x2000
	v_xor_b32_e32 v16, v15, v4
	v_xor_b32_e32 v17, v5, v15
	v_lshl_add_u64 v[4:5], s[24:25], 0, v[34:35]
	v_lshlrev_b32_e32 v34, 8, v15
	v_cndmask_b32_e32 v19, v19, v20, vcc
	v_lshlrev_b32_e32 v20, 3, v44
	v_and_b32_e32 v11, 24, v11
	v_lshl_or_b32 v84, v16, 3, v34
	v_and_b32_e32 v16, 8, v0
	v_xor_b32_e32 v21, v20, v11
	v_or_b32_e32 v22, 0x440, v21
	v_cmp_eq_u32_e32 vcc, 0, v16
	v_and_b32_e32 v15, 7, v0
	v_lshlrev_b32_e32 v10, 7, v45
	v_cndmask_b32_e32 v16, v22, v21, vcc
	v_lshl_or_b32 v85, v17, 3, v34
	v_lshlrev_b32_e32 v17, 3, v15
	v_lshlrev_b32_e32 v15, 7, v15
	;; [unrolled: 1-line block ×3, first 2 shown]
	v_or_b32_e32 v16, v16, v9
	v_or_b32_e32 v7, v10, v7
	v_xad_u32 v86, v16, v17, v15
	v_and_or_b32 v10, v18, 60, v10
	v_mov_b32_e32 v16, 0xb000
	v_lshl_or_b32 v87, v10, 1, v16
	v_or_b32_e32 v10, 32, v11
	v_xor_b32_e32 v10, v20, v10
	v_or_b32_e32 v16, 0x440, v10
	v_cndmask_b32_e32 v10, v16, v10, vcc
	v_or_b32_e32 v10, v10, v9
	v_xad_u32 v88, v10, v17, v15
	v_or_b32_e32 v10, 64, v11
	v_xor_b32_e32 v10, v20, v10
	v_xor_b32_e32 v16, 0x440, v10
	v_cndmask_b32_e32 v10, v16, v10, vcc
	v_or_b32_e32 v10, v10, v9
	v_xad_u32 v89, v10, v17, v15
	v_or_b32_e32 v10, 0x60, v11
	v_xor_b32_e32 v10, v20, v10
	v_xor_b32_e32 v11, 0x440, v10
	v_lshlrev_b32_e32 v7, 1, v7
	v_or_b32_e32 v6, s36, v42
	v_cndmask_b32_e32 v10, v11, v10, vcc
	v_or_b32_e32 v77, 0xa000, v7
	v_or_b32_e32 v79, 0xa080, v7
	;; [unrolled: 1-line block ×4, first 2 shown]
	v_ashrrev_i32_e32 v7, 31, v6
	v_or_b32_e32 v9, v10, v9
	v_lshlrev_b32_e32 v8, 7, v48
	v_or_b32_e32 v14, 0x100, v3
	v_xad_u32 v90, v9, v17, v15
	v_lshlrev_b64 v[6:7], 1, v[6:7]
	v_cndmask_b32_e64 v91, v12, v3, s[0:1]
	v_cndmask_b32_e64 v92, v13, v14, s[0:1]
	v_lshl_add_u64 v[36:37], s[8:9], 0, v[6:7]
	v_lshl_add_u64 v[38:39], s[14:15], 0, v[6:7]
	;; [unrolled: 1-line block ×3, first 2 shown]
	s_mov_b32 s37, 0x7060302
	v_lshlrev_b32_e32 v34, 1, v8
	v_add_u32_e32 v94, v19, v86
	v_add_u32_e32 v95, v19, v88
	;; [unrolled: 1-line block ×4, first 2 shown]
	v_mov_b32_e32 v101, v35
	v_mov_b32_e32 v63, v35
	;; [unrolled: 1-line block ×5, first 2 shown]
	s_waitcnt lgkmcnt(0)
	s_barrier
.LBB447_6:                              ; =>This Inner Loop Header: Depth=1
	s_add_i32 s62, s63, 1
	s_cmp_lt_i32 s62, s48
	s_mov_b64 s[28:29], 0
	s_cselect_b64 s[42:43], -1, 0
	s_cmp_ge_i32 s62, s48
	s_mov_b64 s[24:25], 0
	s_cbranch_scc1 .LBB447_8
; %bb.7:                                ;   in Loop: Header=BB447_6 Depth=1
	s_add_i32 s0, s57, 64
	s_add_u32 s0, s2, s0
	s_addc_u32 s1, s3, 0
	s_lshl_b64 s[0:1], s[0:1], 8
	s_add_u32 s24, s6, s0
	s_addc_u32 s25, s7, s1
.LBB447_8:                              ;   in Loop: Header=BB447_6 Depth=1
	v_cndmask_b32_e64 v2, 0, 1, s[42:43]
	v_cmp_ne_u32_e64 s[0:1], 1, v2
	s_andn2_b64 vcc, exec, s[42:43]
	s_cbranch_vccnz .LBB447_10
; %bb.9:                                ;   in Loop: Header=BB447_6 Depth=1
	s_add_i32 s28, s57, 64
	s_add_u32 s28, s60, s28
	s_addc_u32 s29, s61, 0
	s_mul_i32 s31, s28, s49
	s_mul_hi_u32 s42, s28, s53
	s_add_i32 s31, s42, s31
	s_mul_i32 s29, s29, s53
	s_add_i32 s31, s31, s29
	s_mul_i32 s28, s28, s53
	s_add_u32 s28, s28, s52
	s_addc_u32 s29, s31, s55
	s_lshl_b64 s[28:29], s[28:29], 8
	s_add_u32 s28, s4, s28
	s_addc_u32 s29, s5, s29
.LBB447_10:                             ;   in Loop: Header=BB447_6 Depth=1
	v_perm_b32 v3, v100, v75, s37
	v_perm_b32 v2, v73, v74, s37
	;; [unrolled: 1-line block ×4, first 2 shown]
	ds_write_b64 v56, v[2:3]
	ds_write_b64 v57, v[4:5]
	;; [unrolled: 1-line block ×4, first 2 shown]
	v_perm_b32 v3, v101, v67, s37
	v_perm_b32 v2, v65, v66, s37
	v_perm_b32 v5, v99, v64, s37
	v_perm_b32 v4, v62, v63, s37
	ds_write_b64 v58, v[2:3]
	ds_write_b64 v59, v[4:5]
	ds_write_b64 v68, v[2:3]
	ds_write_b64 v69, v[4:5]
	s_waitcnt lgkmcnt(0)
	s_barrier
	ds_read_b64 v[6:7], v76 offset:24576
	ds_read2_b64 v[2:5], v77 offset1:16
	ds_read_b64 v[10:11], v79 offset:3072
	ds_read_b64 v[12:13], v77 offset:3072
	;; [unrolled: 1-line block ×3, first 2 shown]
	s_waitcnt lgkmcnt(3)
	v_mfma_f32_16x16x16_bf16 a[0:3], v[6:7], v[2:3], 0
	s_add_i32 s31, s57, 63
	s_mul_i32 s42, s31, s35
	s_mul_hi_u32 s43, s31, s34
	v_mfma_f32_16x16x16_bf16 a[4:7], v[6:7], v[4:5], 0
	ds_read2st64_b64 v[2:5], v77 offset0:2 offset1:4
	ds_read2st64_b64 v[6:9], v79 offset0:2 offset1:4
	s_add_i32 s43, s43, s42
	s_waitcnt lgkmcnt(1)
	v_mfma_f32_16x16x16_bf16 a[0:3], v[14:15], v[2:3], a[0:3]
	s_mul_i32 s42, s31, s34
	s_lshl_b64 s[42:43], s[42:43], 2
	s_add_u32 s42, s40, s42
	s_waitcnt lgkmcnt(0)
	v_mfma_f32_16x16x16_bf16 a[4:7], v[14:15], v[6:7], a[4:7]
	ds_read_b64 v[2:3], v80 offset:24576
	ds_read_b64 v[6:7], v81 offset:24576
	s_addc_u32 s43, s41, s43
	s_and_b64 vcc, exec, s[0:1]
	s_waitcnt lgkmcnt(1)
	v_mfma_f32_16x16x16_bf16 a[0:3], v[2:3], v[4:5], a[0:3]
	v_mov_b32_e32 v104, 0
	v_mov_b32_e32 v103, 0
	;; [unrolled: 1-line block ×3, first 2 shown]
	v_mfma_f32_16x16x16_bf16 a[8:11], v[2:3], v[8:9], a[4:7]
	v_mov_b32_e32 v2, 0
	v_mov_b32_e32 v3, 0
	;; [unrolled: 1-line block ×3, first 2 shown]
	s_waitcnt lgkmcnt(0)
	v_mfma_f32_16x16x16_bf16 a[4:7], v[6:7], v[12:13], a[0:3]
	v_mov_b32_e32 v5, 0
	v_mov_b32_e32 v8, 0
	;; [unrolled: 1-line block ×3, first 2 shown]
	v_mfma_f32_16x16x16_bf16 a[0:3], v[6:7], v[10:11], a[8:11]
	v_mov_b32_e32 v6, 0
	v_mov_b32_e32 v7, 0
	;; [unrolled: 1-line block ×10, first 2 shown]
	s_cbranch_vccnz .LBB447_12
; %bb.11:                               ;   in Loop: Header=BB447_6 Depth=1
	s_and_b32 s25, s25, 0xffff
	buffer_load_dwordx4 v[14:17], v52, s[24:27], 0 offen
	buffer_load_dwordx4 v[10:13], v52, s[24:27], s56 offen
	;; [unrolled: 1-line block ×4, first 2 shown]
	v_mov_b32_e32 v103, v54
	v_mov_b32_e32 v102, v55
.LBB447_12:                             ;   in Loop: Header=BB447_6 Depth=1
	s_waitcnt vmcnt(3)
	ds_read_b64 v[26:27], v76 offset:32768
	s_waitcnt vmcnt(2)
	ds_read2_b64 v[18:21], v82 offset1:16
	ds_read_b64 v[28:29], v78 offset:32768
	ds_read_b64 v[30:31], v80 offset:32768
	;; [unrolled: 1-line block ×3, first 2 shown]
	ds_read2st64_b64 v[22:25], v82 offset0:2 offset1:4
	v_add_u32_e32 v105, s57, v93
	s_waitcnt lgkmcnt(4)
	v_mfma_f32_16x16x16_bf16 a[4:7], v[26:27], v[18:19], a[4:7]
	v_ashrrev_i32_e32 v18, 31, v105
	v_mfma_f32_16x16x16_bf16 a[0:3], v[26:27], v[20:21], a[0:3]
	v_mul_lo_u32 v20, v105, s35
	v_mul_lo_u32 v21, v18, s34
	v_mad_u64_u32 v[18:19], s[24:25], v105, s34, 0
	v_add3_u32 v19, v19, v20, v21
	v_add_u32_e32 v20, 1, v105
	v_ashrrev_i32_e32 v21, 31, v20
	s_waitcnt lgkmcnt(0)
	v_mfma_f32_16x16x16_bf16 a[4:7], v[28:29], v[22:23], a[4:7]
	v_mul_lo_u32 v22, v21, s34
	v_mul_lo_u32 v23, v20, s35
	v_mad_u64_u32 v[20:21], s[24:25], v20, s34, 0
	v_add3_u32 v21, v21, v23, v22
	v_add_u32_e32 v22, 2, v105
	v_ashrrev_i32_e32 v23, 31, v22
	v_mul_lo_u32 v26, v23, s34
	v_mul_lo_u32 v27, v22, s35
	v_mad_u64_u32 v[22:23], s[24:25], v22, s34, 0
	v_add3_u32 v23, v23, v27, v26
	v_add_u32_e32 v26, 3, v105
	v_ashrrev_i32_e32 v27, 31, v26
	v_mul_lo_u32 v105, v27, s34
	v_mul_lo_u32 v106, v26, s35
	v_mad_u64_u32 v[26:27], s[24:25], v26, s34, 0
	s_add_u32 s24, s2, s57
	s_addc_u32 s25, s3, 0
	s_lshl_b64 s[64:65], s[24:25], 8
	v_lshl_add_u64 v[18:19], v[18:19], 2, s[40:41]
	v_add3_u32 v27, v27, v106, v105
	v_lshl_add_u64 v[106:107], v[36:37], 0, s[64:65]
	v_lshl_add_u64 v[20:21], v[20:21], 2, s[40:41]
	;; [unrolled: 1-line block ×3, first 2 shown]
	global_load_dword v105, v[18:19], off
	global_load_ushort v108, v[106:107], off offset:256
	global_load_ushort v109, v[106:107], off
	global_load_ushort v110, v[106:107], off offset:768
	v_lshl_add_u64 v[18:19], v[26:27], 2, s[40:41]
	v_lshl_add_u64 v[22:23], v[22:23], 2, s[40:41]
	global_load_dword v111, v[20:21], off
	global_load_dword v112, v[22:23], off
	;; [unrolled: 1-line block ×3, first 2 shown]
	ds_read2st64_b64 v[18:21], v83 offset0:2 offset1:4
	s_waitcnt lgkmcnt(0)
	v_mfma_f32_16x16x16_bf16 a[0:3], v[28:29], v[18:19], a[0:3]
	global_load_ushort v28, v[106:107], off offset:512
	global_load_ushort v114, v[106:107], off offset:800
	;; [unrolled: 1-line block ×4, first 2 shown]
	s_nop 0
	global_load_ushort v106, v[106:107], off offset:32
	s_and_b64 vcc, exec, s[0:1]
	v_mfma_f32_16x16x16_bf16 a[4:7], v[30:31], v[24:25], a[4:7]
	s_waitcnt vmcnt(10)
	v_lshlrev_b32_e32 v27, 16, v108
	v_mfma_f32_16x16x16_bf16 a[0:3], v[30:31], v[20:21], a[0:3]
	ds_read_b64 v[18:19], v82 offset:3072
	ds_read_b64 v[20:21], v83 offset:3072
	s_load_dword s24, s[42:43], 0x0
	s_waitcnt vmcnt(9)
	v_lshlrev_b32_e32 v26, 16, v109
	s_waitcnt lgkmcnt(0)
	v_mfma_f32_16x16x16_bf16 a[4:7], v[32:33], v[18:19], a[4:7]
	v_lshl_add_u64 v[18:19], v[38:39], 0, s[64:65]
	v_sub_f32_e32 v30, s24, v105
	s_waitcnt vmcnt(7)
	v_sub_f32_e32 v31, s24, v111
	v_mfma_f32_16x16x16_bf16 a[0:3], v[32:33], v[20:21], a[0:3]
	s_waitcnt vmcnt(6)
	v_sub_f32_e32 v32, s24, v112
	s_waitcnt vmcnt(5)
	v_sub_f32_e32 v33, s24, v113
	v_accvgpr_read_b32 v25, a5
	v_accvgpr_read_b32 v24, a4
	v_exp_f32_e32 v30, v30
	v_pk_add_f32 v[24:25], v[26:27], v[24:25] neg_lo:[0,1] neg_hi:[0,1]
	v_exp_f32_e32 v31, v31
	v_exp_f32_e32 v26, v32
	;; [unrolled: 1-line block ×3, first 2 shown]
	v_accvgpr_read_b32 v21, a7
	v_accvgpr_read_b32 v20, a6
	v_lshlrev_b32_e32 v29, 16, v110
	s_waitcnt vmcnt(4)
	v_lshlrev_b32_e32 v28, 16, v28
	v_lshl_add_u64 v[18:19], v[18:19], 0, v[34:35]
	v_pk_add_f32 v[20:21], v[28:29], v[20:21] neg_lo:[0,1] neg_hi:[0,1]
	global_store_short_d16_hi v[18:19], v24, off
	global_store_short_d16_hi v[18:19], v25, off offset:256
	global_store_short_d16_hi v[18:19], v20, off offset:512
	;; [unrolled: 1-line block ×3, first 2 shown]
	v_pk_mul_f32 v[24:25], v[30:31], v[24:25]
	v_pk_mul_f32 v[20:21], v[26:27], v[20:21]
	v_accvgpr_read_b32 v29, a1
	v_perm_b32 v24, v25, v24, s37
	v_perm_b32 v25, v21, v20, s37
	s_waitcnt vmcnt(5)
	v_lshlrev_b32_e32 v21, 16, v116
	s_waitcnt vmcnt(4)
	v_lshlrev_b32_e32 v20, 16, v106
	v_accvgpr_read_b32 v28, a0
	v_accvgpr_read_b32 v23, a3
	;; [unrolled: 1-line block ×3, first 2 shown]
	v_pk_add_f32 v[20:21], v[20:21], v[28:29] neg_lo:[0,1] neg_hi:[0,1]
	v_lshlrev_b32_e32 v29, 16, v114
	v_lshlrev_b32_e32 v28, 16, v115
	v_pk_add_f32 v[22:23], v[28:29], v[22:23] neg_lo:[0,1] neg_hi:[0,1]
	global_store_short_d16_hi v[18:19], v20, off offset:32
	global_store_short_d16_hi v[18:19], v21, off offset:288
	;; [unrolled: 1-line block ×4, first 2 shown]
	v_pk_mul_f32 v[18:19], v[30:31], v[20:21]
	v_pk_mul_f32 v[20:21], v[26:27], v[22:23]
	v_mov_b32_e32 v105, 0
	v_perm_b32 v21, v21, v20, s37
	v_perm_b32 v20, v19, v18, s37
	ds_write2_b64 v57, v[24:25], v[20:21] offset1:16
	v_mov_b32_e32 v18, 0
	v_mov_b32_e32 v19, 0
	;; [unrolled: 1-line block ×16, first 2 shown]
	s_cbranch_vccnz .LBB447_14
; %bb.13:                               ;   in Loop: Header=BB447_6 Depth=1
	s_and_b32 s29, s29, 0xffff
	s_mov_b32 s31, s27
	buffer_load_dwordx4 v[30:33], v91, s[28:31], 0 offen
	buffer_load_dwordx4 v[22:25], v91, s[28:31], s56 offen
	;; [unrolled: 1-line block ×4, first 2 shown]
	v_mov_b32_e32 v104, v51
	v_mov_b32_e32 v105, v50
.LBB447_14:                             ;   in Loop: Header=BB447_6 Depth=1
	s_waitcnt lgkmcnt(0)
	s_barrier
	ds_read_b64 v[110:111], v94
	ds_read_b64 v[118:119], v87
	;; [unrolled: 1-line block ×5, first 2 shown]
	ds_read_b64 v[124:125], v88 offset:16384
	ds_read_b64 v[126:127], v86 offset:16384
	ds_read2_b64 v[106:109], v82 offset0:16 offset1:128
	s_waitcnt lgkmcnt(6)
	v_mfma_f32_16x16x16_bf16 a[0:3], v[110:111], v[118:119], 0
	ds_read_b64 v[128:129], v83 offset:3072
	ds_read_b64 v[130:131], v90 offset:16384
	s_add_i32 s25, s50, s63
	s_waitcnt lgkmcnt(2)
	v_mfma_f32_16x16x16_bf16 a[4:7], v[110:111], v[106:107], 0
	ds_read2st64_b64 v[110:113], v83 offset0:2 offset1:4
	s_mul_hi_i32 s29, s25, s17
	s_mul_i32 s25, s25, s17
	v_mfma_f32_16x16x16_bf16 a[0:3], v[114:115], v[108:109], a[0:3]
	s_add_u32 s28, s25, s33
	s_addc_u32 s29, s29, s54
	s_lshl_b64 s[28:29], s[28:29], 15
	s_waitcnt lgkmcnt(0)
	v_mfma_f32_16x16x16_bf16 a[4:7], v[114:115], v[110:111], a[4:7]
	ds_read2st64_b64 v[114:117], v82 offset0:4 offset1:6
	s_waitcnt lgkmcnt(0)
	v_mfma_f32_16x16x16_bf16 a[0:3], v[120:121], v[114:115], a[0:3]
	v_mfma_f32_16x16x16_bf16 a[8:11], v[120:121], v[112:113], a[4:7]
	;; [unrolled: 1-line block ×5, first 2 shown]
	ds_read2st64_b64 v[118:121], v85 offset1:8
	v_mfma_f32_16x16x16_bf16 a[12:15], v[126:127], v[106:107], 0
	ds_read_b64 v[126:127], v89 offset:16384
	v_mfma_f32_16x16x16_bf16 a[8:11], v[124:125], v[108:109], a[8:11]
	ds_read2st64_b64 v[106:109], v84 offset1:8
	s_waitcnt lgkmcnt(0)
	v_mov_b32_e32 v122, v106
	v_mfma_f32_16x16x16_bf16 a[12:15], v[124:125], v[110:111], a[12:15]
	v_lshl_add_u64 v[110:111], v[40:41], 0, s[28:29]
	v_add_co_u32_e32 v106, vcc, s39, v110
	v_mfma_f32_16x16x16_bf16 a[8:11], v[126:127], v[114:115], a[8:11]
	v_mov_b32_e32 v123, v107
	v_addc_co_u32_e32 v107, vcc, 0, v111, vcc
	v_mfma_f32_16x16x16_bf16 a[16:19], v[126:127], v[112:113], a[12:15]
	v_mov_b32_e32 v124, v118
	v_mov_b32_e32 v125, v119
	;; [unrolled: 1-line block ×3, first 2 shown]
	v_mfma_f32_16x16x16_bf16 a[12:15], v[130:131], v[116:117], a[8:11]
	v_mov_b32_e32 v119, v109
	s_and_b64 vcc, exec, s[0:1]
	global_store_dwordx4 v[110:111], v[122:125], off
	v_mfma_f32_16x16x16_bf16 a[8:11], v[130:131], v[128:129], a[16:19]
	global_store_dwordx4 v[106:107], v[118:121], off
	s_cbranch_vccnz .LBB447_16
; %bb.15:                               ;   in Loop: Header=BB447_6 Depth=1
	v_lshrrev_b32_e32 v106, 3, v104
	v_and_b32_e32 v106, 6, v106
	v_xor_b32_e32 v105, v106, v105
	v_lshlrev_b32_e32 v105, 2, v105
	v_and_b32_e32 v104, 8, v104
	v_xor_b32_e32 v107, 0x440, v105
	v_cmp_eq_u32_e32 vcc, 0, v104
	s_barrier
	s_nop 0
	v_cndmask_b32_e32 v104, v107, v105, vcc
	v_lshl_or_b32 v104, v106, 10, v104
	s_waitcnt vmcnt(3)
	v_perm_b32 v105, v30, v26, s58
	s_waitcnt vmcnt(2)
	v_perm_b32 v106, v22, v18, s58
	ds_write2st64_b32 v104, v105, v106 offset0:32 offset1:64
	v_xor_b32_e32 v105, 8, v104
	v_perm_b32 v26, v30, v26, s59
	v_perm_b32 v18, v22, v18, s59
	v_add_u32_e32 v22, 0x80, v105
	ds_write2st64_b32 v22, v26, v18 offset0:32 offset1:64
	v_xor_b32_e32 v18, 16, v104
	v_perm_b32 v22, v31, v27, s58
	v_perm_b32 v26, v23, v19, s58
	ds_write2st64_b32 v18, v22, v26 offset0:33 offset1:65
	v_xor_b32_e32 v18, 24, v104
	v_perm_b32 v22, v31, v27, s59
	v_perm_b32 v19, v23, v19, s59
	v_add_u32_e32 v18, 0x80, v18
	ds_write2st64_b32 v18, v22, v19 offset0:33 offset1:65
	v_xor_b32_e32 v18, 32, v104
	v_perm_b32 v19, v32, v28, s58
	;; [unrolled: 9-line block ×3, first 2 shown]
	v_perm_b32 v20, v25, v21, s58
	ds_write2st64_b32 v18, v19, v20 offset0:35 offset1:67
	v_xor_b32_e32 v18, 56, v104
	v_perm_b32 v19, v33, v29, s59
	v_perm_b32 v20, v25, v21, s59
	v_add_u32_e32 v18, 0x80, v18
	ds_write2st64_b32 v18, v19, v20 offset0:35 offset1:67
	ds_write_b64 v103, v[14:15] offset:24576
	v_xor_b32_e32 v14, 8, v103
	ds_write_b64 v14, v[16:17] offset:24576
	ds_write_b64 v103, v[10:11] offset:32768
	;; [unrolled: 1-line block ×4, first 2 shown]
	v_xor_b32_e32 v6, 8, v102
	ds_write_b64 v6, v[8:9] offset:24576
	ds_write_b64 v102, v[2:3] offset:32768
	;; [unrolled: 1-line block ×3, first 2 shown]
.LBB447_16:                             ;   in Loop: Header=BB447_6 Depth=1
	v_exp_f32_e32 v2, s24
	v_accvgpr_read_b32 v3, a4
	v_accvgpr_read_b32 v4, a5
	;; [unrolled: 1-line block ×3, first 2 shown]
	v_fma_f32 v74, v74, v2, v3
	v_accvgpr_read_b32 v3, a6
	v_fma_f32 v75, v75, v2, v3
	v_accvgpr_read_b32 v3, a0
	;; [unrolled: 2-line block ×11, first 2 shown]
	v_accvgpr_read_b32 v6, a15
	v_fma_f32 v64, v64, v2, v3
	v_accvgpr_read_b32 v3, a11
	s_add_i32 s57, s57, 64
	v_fmac_f32_e32 v5, v100, v2
	v_fmac_f32_e32 v4, v101, v2
	;; [unrolled: 1-line block ×3, first 2 shown]
	s_cmp_eq_u32 s48, s62
	v_fmac_f32_e32 v3, v99, v2
	s_cbranch_scc1 .LBB447_18
; %bb.17:                               ;   in Loop: Header=BB447_6 Depth=1
	s_mov_b32 s63, s62
	v_mov_b32_e32 v100, v5
	v_mov_b32_e32 v98, v6
	;; [unrolled: 1-line block ×4, first 2 shown]
	s_branch .LBB447_6
.LBB447_18:
	s_lshl_b32 s42, s48, 6
	s_sub_i32 s43, s16, s42
	s_cmp_gt_i32 s43, 0
	s_cbranch_scc0 .LBB447_83
; %bb.19:
	s_ashr_i32 s39, s47, 31
	s_ashr_i32 s2, s42, 31
	s_cmpk_lg_i32 s19, 0x80
	s_cselect_b64 s[30:31], -1, 0
	s_and_b64 vcc, exec, s[30:31]
	s_cbranch_vccz .LBB447_21
; %bb.20:
	s_mul_i32 s1, s47, s16
	s_mul_hi_i32 s0, s47, s16
	s_add_u32 s1, s1, s42
	s_addc_u32 s0, s0, s2
	s_mul_i32 s3, s1, s49
	s_mul_hi_u32 s24, s1, s18
	s_add_i32 s3, s24, s3
	s_mul_i32 s0, s0, s18
	s_add_i32 s3, s3, s0
	s_mul_i32 s1, s1, s18
	s_ashr_i32 s0, s52, 31
	s_add_u32 s40, s1, s52
	s_addc_u32 s41, s3, s0
	s_cbranch_execz .LBB447_22
	s_branch .LBB447_23
.LBB447_21:
                                        ; implicit-def: $sgpr40_sgpr41
.LBB447_22:
	s_mul_hi_i32 s0, s47, s18
	s_mul_i32 s47, s47, s18
	s_ashr_i32 s1, s52, 31
	s_add_u32 s3, s47, s52
	s_addc_u32 s0, s0, s1
	s_mul_i32 s1, s3, s46
	s_mul_hi_u32 s18, s3, s16
	s_add_i32 s1, s18, s1
	s_mul_i32 s0, s0, s16
	s_add_i32 s1, s1, s0
	s_mul_i32 s3, s3, s16
	s_add_u32 s40, s3, s42
	s_addc_u32 s41, s1, s2
.LBB447_23:
	s_add_i32 s3, s50, s48
	s_ashr_i32 s18, s33, 31
	s_add_u32 s0, s45, s33
	s_addc_u32 s1, s51, s18
	s_mul_i32 s24, s0, s46
	s_mul_hi_u32 s25, s0, s16
	s_add_i32 s24, s25, s24
	s_mul_i32 s1, s1, s16
	s_add_i32 s24, s24, s1
	s_mul_i32 s0, s0, s16
	s_add_u32 s0, s0, s42
	s_addc_u32 s1, s24, s2
	v_lshlrev_b32_e32 v10, 5, v48
	s_waitcnt vmcnt(4)
	v_lshlrev_b32_e32 v22, 2, v42
	s_mov_b32 s2, 0x7060302
	v_xor_b32_e32 v2, v48, v22
	v_perm_b32 v9, v5, v75, s2
	v_or_b32_e32 v5, v10, v22
	v_perm_b32 v8, v73, v74, s2
	v_perm_b32 v7, v6, v72, s2
	;; [unrolled: 1-line block ×3, first 2 shown]
	v_lshlrev_b32_e32 v5, 1, v5
	v_lshlrev_b32_e32 v12, 1, v2
	;; [unrolled: 1-line block ×3, first 2 shown]
	s_lshl_b64 s[28:29], s[0:1], 8
	v_xor_b32_e32 v11, v49, v22
	ds_write2st64_b64 v5, v[8:9], v[6:7] offset0:80 offset1:88
	v_or_b32_e32 v5, v12, v2
	s_add_u32 s0, s6, s28
	ds_write_b64 v5, v[8:9]
	v_lshlrev_b32_e32 v8, 1, v11
	s_addc_u32 s1, s7, s29
	v_or_b32_e32 v2, v8, v2
	s_mul_hi_i32 s6, s3, s17
	s_mul_i32 s3, s3, s17
	ds_write_b64 v2, v[6:7]
	v_perm_b32 v5, v4, v67, s2
	v_perm_b32 v4, v65, v66, s2
	;; [unrolled: 1-line block ×4, first 2 shown]
	v_or_b32_e32 v6, 16, v42
	s_add_u32 s2, s3, s33
	s_waitcnt vmcnt(2)
	v_lshlrev_b32_e32 v19, 2, v6
	s_addc_u32 s3, s6, s18
	v_or_b32_e32 v7, v10, v19
	s_ashr_i32 s37, s36, 31
	s_lshl_b64 s[2:3], s[2:3], 15
	v_lshlrev_b32_e32 v7, 1, v7
	v_lshlrev_b32_e32 v6, 8, v6
	s_add_u32 s6, s12, s2
	ds_write2st64_b64 v7, v[4:5], v[2:3] offset0:80 offset1:88
	v_or_b32_e32 v7, v12, v6
	s_addc_u32 s7, s13, s3
	s_lshl_b64 s[2:3], s[36:37], 8
	ds_write_b64 v7, v[4:5]
	v_or_b32_e32 v4, v8, v6
	s_add_u32 s2, s6, s2
	ds_write_b64 v4, v[2:3]
	v_lshrrev_b32_e32 v2, 4, v0
	s_addc_u32 s3, s7, s3
	v_lshlrev_b32_e32 v3, 1, v42
	v_lshlrev_b32_e32 v10, 4, v42
	v_mov_b32_e32 v11, 0
	v_or_b32_e32 v4, 1, v3
	v_xor_b32_e32 v3, v2, v3
	v_lshl_add_u64 v[12:13], s[2:3], 0, v[10:11]
	v_lshlrev_b32_e32 v10, 8, v2
	v_xor_b32_e32 v6, v4, v2
	v_lshl_or_b32 v2, v3, 3, v10
	s_waitcnt lgkmcnt(0)
	s_barrier
	ds_read2st64_b64 v[2:5], v2 offset1:8
	v_lshl_or_b32 v6, v6, 3, v10
	ds_read2st64_b64 v[6:9], v6 offset1:8
	v_lshl_add_u64 v[14:15], v[12:13], 0, v[10:11]
	s_movk_i32 s2, 0x1000
	s_waitcnt lgkmcnt(1)
	v_mov_b32_e32 v10, v2
	v_add_co_u32_e32 v2, vcc, s2, v14
	s_cmp_lg_u32 s43, 64
	v_mov_b32_e32 v11, v3
	v_addc_co_u32_e32 v3, vcc, 0, v15, vcc
	s_cselect_b64 s[6:7], -1, 0
	v_lshl_or_b32 v23, v44, 3, v47
	s_waitcnt lgkmcnt(0)
	v_mov_b32_e32 v12, v6
	v_mov_b32_e32 v13, v7
	;; [unrolled: 1-line block ×4, first 2 shown]
	s_mov_b32 s24, 0
	v_or_b32_e32 v20, 32, v23
	v_and_b32_e32 v18, 56, v46
	s_and_b64 vcc, exec, s[6:7]
	global_store_dwordx4 v[14:15], v[10:13], off
	global_store_dwordx4 v[2:3], v[6:9], off
	s_cbranch_vccz .LBB447_29
; %bb.24:
	s_mov_b32 s25, s24
	s_mov_b32 s26, s24
	;; [unrolled: 1-line block ×3, first 2 shown]
	v_mov_b64_e32 v[6:7], s[24:25]
	v_mov_b64_e32 v[8:9], s[26:27]
	;; [unrolled: 1-line block ×3, first 2 shown]
	v_cmp_gt_i32_e32 vcc, s43, v23
	v_mov_b64_e32 v[4:5], v[8:9]
	s_and_saveexec_b64 s[2:3], vcc
	s_cbranch_execz .LBB447_26
; %bb.25:
	v_lshlrev_b32_e32 v2, 8, v23
	v_mov_b32_e32 v3, 0
	v_lshl_add_u64 v[4:5], s[0:1], 0, v[2:3]
	v_lshlrev_b32_e32 v2, 1, v18
	v_lshl_add_u64 v[10:11], v[4:5], 0, v[2:3]
	global_load_dwordx4 v[6:9], v[10:11], off
	global_load_dwordx4 v[2:5], v[10:11], off offset:128
.LBB447_26:
	s_or_b64 exec, exec, s[2:3]
	s_mov_b32 s25, s24
	s_mov_b32 s26, s24
	;; [unrolled: 1-line block ×3, first 2 shown]
	v_mov_b64_e32 v[14:15], s[24:25]
	v_mov_b64_e32 v[16:17], s[26:27]
	;; [unrolled: 1-line block ×3, first 2 shown]
	v_cmp_gt_i32_e32 vcc, s43, v20
	v_lshlrev_b32_e32 v21, 7, v20
	v_mov_b64_e32 v[12:13], v[16:17]
	s_and_saveexec_b64 s[2:3], vcc
	s_cbranch_execz .LBB447_28
; %bb.27:
	v_lshlrev_b32_e32 v10, 1, v21
	v_mov_b32_e32 v11, 0
	v_lshl_add_u64 v[12:13], s[0:1], 0, v[10:11]
	v_lshlrev_b32_e32 v10, 1, v18
	v_lshl_add_u64 v[24:25], v[12:13], 0, v[10:11]
	global_load_dwordx4 v[14:17], v[24:25], off
	global_load_dwordx4 v[10:13], v[24:25], off offset:128
.LBB447_28:
	s_or_b64 exec, exec, s[2:3]
	v_lshrrev_b32_e32 v24, 3, v18
	v_lshlrev_b32_e32 v25, 3, v23
	v_or_b32_e32 v24, v25, v24
	v_lshlrev_b32_e32 v24, 4, v24
	v_and_b32_e32 v25, 0x78, v25
	v_xor_b32_e32 v24, v24, v25
	s_branch .LBB447_31
.LBB447_29:
                                        ; implicit-def: $vgpr24
                                        ; implicit-def: $vgpr21
                                        ; implicit-def: $vgpr6_vgpr7_vgpr8_vgpr9
                                        ; implicit-def: $vgpr2_vgpr3_vgpr4_vgpr5
                                        ; implicit-def: $vgpr14_vgpr15_vgpr16_vgpr17
                                        ; implicit-def: $vgpr10_vgpr11_vgpr12_vgpr13
	s_cbranch_execz .LBB447_31
; %bb.30:
	s_waitcnt vmcnt(0)
	v_lshlrev_b32_e32 v2, 1, v18
	v_lshl_or_b32 v21, v23, 8, v2
	s_and_b32 s1, s1, 0xffff
	s_mov_b32 s3, 0x20000
	s_movk_i32 s2, 0x4000
	v_lshl_or_b32 v24, v20, 8, v2
	s_movk_i32 s12, 0x80
	buffer_load_dwordx4 v[6:9], v21, s[0:3], 0 offen
	buffer_load_dwordx4 v[2:5], v21, s[0:3], s12 offen
	;; [unrolled: 1-line block ×4, first 2 shown]
	v_lshrrev_b32_e32 v21, 3, v18
	v_lshlrev_b32_e32 v24, 3, v23
	v_or_b32_e32 v21, v24, v21
	v_lshlrev_b32_e32 v21, 4, v21
	v_and_b32_e32 v24, 0x78, v24
	v_xor_b32_e32 v24, v21, v24
	v_lshlrev_b32_e32 v21, 7, v20
.LBB447_31:
	s_lshl_b64 s[0:1], s[40:41], 8
	s_add_u32 s4, s4, s0
	s_movk_i32 s0, 0x1000
	v_and_or_b32 v20, v21, s0, v24
	s_waitcnt vmcnt(1)
	ds_write_b64 v24, v[6:7] offset:24576
	v_xor_b32_e32 v6, 8, v24
	ds_write_b64 v6, v[8:9] offset:24576
	s_waitcnt vmcnt(0)
	ds_write_b64 v24, v[2:3] offset:32768
	ds_write_b64 v6, v[4:5] offset:32768
	;; [unrolled: 1-line block ×3, first 2 shown]
	v_xor_b32_e32 v2, 8, v20
	ds_write_b64 v2, v[16:17] offset:24576
	ds_write_b64 v20, v[10:11] offset:32768
	ds_write_b64 v2, v[12:13] offset:32768
	v_or_b32_e32 v2, v1, v42
	v_lshlrev_b32_e32 v3, 11, v44
	v_lshlrev_b32_e32 v2, 3, v2
	v_and_b32_e32 v6, 0x1000, v3
	v_lshrrev_b32_e32 v3, 5, v43
	s_movk_i32 s13, 0xf8
	v_and_or_b32 v3, v2, s13, v3
	v_lshlrev_b32_e32 v7, 4, v3
	v_and_b32_e32 v8, 0x78, v2
	v_or_b32_e32 v10, 32, v7
	v_lshrrev_b32_e32 v3, 1, v43
	v_xor_b32_e32 v10, v10, v8
	v_xor_b32_e32 v2, v7, v8
	v_and_b32_e32 v9, 8, v3
	v_or_b32_e32 v10, v10, v6
	v_or_b32_e32 v2, v2, v6
	v_xor_b32_e32 v26, v10, v9
	v_or_b32_e32 v10, 64, v7
	v_xor_b32_e32 v25, v2, v9
	v_xor_b32_e32 v10, v10, v8
	s_waitcnt lgkmcnt(0)
	s_barrier
	v_or_b32_e32 v12, v10, v6
	ds_read_b64 v[10:11], v25 offset:24576
	v_lshl_or_b32 v20, v45, 7, v22
	v_lshlrev_b32_e32 v24, 1, v20
	v_add_u32_e32 v2, 0xa000, v24
	ds_read2_b64 v[2:5], v2 offset1:16
	v_or_b32_e32 v7, 0x60, v7
	v_xor_b32_e32 v7, v7, v8
	s_waitcnt lgkmcnt(0)
	v_mfma_f32_16x16x16_bf16 a[0:3], v[10:11], v[2:3], 0
	v_or_b32_e32 v2, 64, v20
	v_or_b32_e32 v6, v7, v6
	v_lshlrev_b32_e32 v29, 1, v2
	v_xor_b32_e32 v27, v12, v9
	v_xor_b32_e32 v28, v6, v9
	ds_read_b64 v[12:13], v26 offset:24576
	ds_read_b64 v[14:15], v27 offset:24576
	;; [unrolled: 1-line block ×3, first 2 shown]
	v_mfma_f32_16x16x16_bf16 a[4:7], v[10:11], v[4:5], 0
	ds_read2st64_b64 v[2:5], v29 offset0:82 offset1:84
	ds_read2st64_b64 v[6:9], v24 offset0:82 offset1:84
	s_addc_u32 s5, s5, s1
	s_add_i32 s2, s16, -1
	s_add_i32 s0, s44, s21
	s_mul_i32 s39, s39, s20
	s_add_i32 s39, s0, s39
	s_mul_i32 s0, s33, s23
	s_mul_hi_u32 s1, s33, s22
	s_ashr_i32 s3, s2, 31
	s_mul_i32 s12, s2, s35
	s_mul_hi_u32 s13, s2, s34
	s_add_i32 s0, s1, s0
	s_mul_i32 s1, s18, s22
	s_add_i32 s12, s13, s12
	s_mul_i32 s3, s3, s34
	s_waitcnt lgkmcnt(1)
	v_mfma_f32_16x16x16_bf16 a[4:7], v[12:13], v[2:3], a[4:7]
	s_add_i32 s1, s0, s1
	s_add_i32 s3, s12, s3
	s_lshl_b64 s[12:13], s[38:39], 2
	s_waitcnt lgkmcnt(0)
	v_mfma_f32_16x16x16_bf16 a[0:3], v[12:13], v[6:7], a[0:3]
	s_mul_i32 s0, s33, s22
	s_add_u32 s10, s10, s12
	s_addc_u32 s11, s11, s13
	s_lshl_b64 s[0:1], s[0:1], 2
	s_mul_i32 s2, s2, s34
	s_add_u32 s10, s10, s0
	ds_read_b64 v[2:3], v24 offset:44032
	v_mfma_f32_16x16x16_bf16 a[4:7], v[14:15], v[4:5], a[4:7]
	ds_read_b64 v[4:5], v29 offset:44032
	s_addc_u32 s11, s11, s1
	s_lshl_b64 s[0:1], s[2:3], 2
	v_mfma_f32_16x16x16_bf16 a[0:3], v[14:15], v[8:9], a[0:3]
	s_add_u32 s0, s10, s0
	s_addc_u32 s1, s11, s1
	s_load_dword s12, s[0:1], 0x0
	s_waitcnt lgkmcnt(0)
	v_mfma_f32_16x16x16_bf16 a[0:3], v[16:17], v[2:3], a[0:3]
	s_and_b64 vcc, exec, s[30:31]
	v_mfma_f32_16x16x16_bf16 a[4:7], v[16:17], v[4:5], a[4:7]
	s_cbranch_vccz .LBB447_42
; %bb.32:
	v_lshlrev_b32_e32 v20, 1, v23
	s_and_b64 vcc, exec, s[6:7]
	s_cbranch_vccz .LBB447_43
; %bb.33:
	v_cmp_gt_i32_e32 vcc, s43, v20
	v_mov_b32_e32 v6, 0
	v_mov_b32_e32 v2, 0
	;; [unrolled: 1-line block ×5, first 2 shown]
	s_and_saveexec_b64 s[0:1], vcc
	s_cbranch_execz .LBB447_35
; %bb.34:
	v_mad_i64_i32 v[2:3], s[2:3], s19, v20, 0
	v_lshl_add_u64 v[2:3], v[2:3], 1, s[4:5]
	v_lshlrev_b32_e32 v4, 1, v18
	v_mov_b32_e32 v5, 0
	v_lshl_add_u64 v[2:3], v[2:3], 0, v[4:5]
	global_load_dwordx4 v[2:5], v[2:3], off
.LBB447_35:
	s_or_b64 exec, exec, s[0:1]
	v_or_b32_e32 v21, 1, v20
	v_cmp_gt_i32_e64 s[0:1], s43, v21
	v_mov_b32_e32 v7, 0
	v_mov_b32_e32 v8, 0
	v_mov_b32_e32 v9, 0
	s_and_saveexec_b64 s[2:3], s[0:1]
	s_cbranch_execz .LBB447_37
; %bb.36:
	v_mad_i64_i32 v[6:7], s[16:17], s19, v21, 0
	v_lshl_add_u64 v[6:7], v[6:7], 1, s[4:5]
	v_lshlrev_b32_e32 v8, 1, v18
	v_mov_b32_e32 v9, 0
	v_lshl_add_u64 v[6:7], v[6:7], 0, v[8:9]
	global_load_dwordx4 v[6:9], v[6:7], off
.LBB447_37:
	s_or_b64 exec, exec, s[2:3]
	v_mov_b32_e32 v17, 0
	v_mov_b32_e32 v10, 0
	;; [unrolled: 1-line block ×5, first 2 shown]
	s_and_saveexec_b64 s[2:3], vcc
	s_cbranch_execz .LBB447_39
; %bb.38:
	v_mad_i64_i32 v[10:11], s[16:17], s19, v20, 0
	v_lshl_add_u64 v[10:11], v[10:11], 1, s[4:5]
	v_lshlrev_b32_e32 v12, 1, v18
	v_mov_b32_e32 v13, 0
	v_lshl_add_u64 v[10:11], v[10:11], 0, v[12:13]
	global_load_dwordx4 v[10:13], v[10:11], off offset:128
.LBB447_39:
	s_or_b64 exec, exec, s[2:3]
	v_mov_b32_e32 v16, 0
	v_mov_b32_e32 v15, 0
	;; [unrolled: 1-line block ×3, first 2 shown]
	s_and_saveexec_b64 s[2:3], s[0:1]
	s_cbranch_execz .LBB447_41
; %bb.40:
	v_mad_i64_i32 v[14:15], s[0:1], s19, v21, 0
	v_lshl_add_u64 v[14:15], v[14:15], 1, s[4:5]
	v_lshlrev_b32_e32 v16, 1, v18
	v_mov_b32_e32 v17, 0
	v_lshl_add_u64 v[14:15], v[14:15], 0, v[16:17]
	global_load_dwordx4 v[14:17], v[14:15], off offset:128
.LBB447_41:
	s_or_b64 exec, exec, s[2:3]
	s_branch .LBB447_45
.LBB447_42:
                                        ; implicit-def: $vgpr5
                                        ; implicit-def: $vgpr9
                                        ; implicit-def: $vgpr13
                                        ; implicit-def: $vgpr17
	v_lshrrev_b32_e32 v30, 2, v43
	s_branch .LBB447_46
.LBB447_43:
                                        ; implicit-def: $vgpr5
                                        ; implicit-def: $vgpr9
                                        ; implicit-def: $vgpr13
                                        ; implicit-def: $vgpr17
	s_cbranch_execz .LBB447_45
; %bb.44:
	s_waitcnt vmcnt(0)
	v_mad_u64_u32 v[2:3], s[0:1], v20, s19, v[18:19]
	v_lshlrev_b32_e32 v20, 1, v2
	s_lshl_b32 s2, s19, 7
	s_and_b32 s1, s5, 0xffff
	s_mov_b32 s3, 0x20000
	s_mov_b32 s0, s4
	v_add_lshl_u32 v21, v2, s19, 1
	s_movk_i32 s13, 0x80
	buffer_load_dwordx4 v[2:5], v20, s[0:3], 0 offen
	buffer_load_dwordx4 v[10:13], v20, s[0:3], s13 offen
	;; [unrolled: 1-line block ×4, first 2 shown]
.LBB447_45:
	v_lshrrev_b32_e32 v30, 2, v43
	s_cbranch_execnz .LBB447_58
.LBB447_46:
	s_and_b64 vcc, exec, s[6:7]
	s_cbranch_vccz .LBB447_56
; %bb.47:
	s_waitcnt vmcnt(0)
	v_lshlrev_b32_e32 v7, 1, v23
	v_cmp_gt_i32_e32 vcc, s43, v7
	v_mov_b32_e32 v6, 0
	v_lshlrev_b32_e32 v14, 9, v23
	v_mov_b32_e32 v2, 0
	v_mov_b32_e32 v3, 0
	;; [unrolled: 1-line block ×4, first 2 shown]
	s_and_saveexec_b64 s[0:1], vcc
	s_cbranch_execz .LBB447_49
; %bb.48:
	v_mov_b32_e32 v15, 0
	v_lshl_add_u64 v[2:3], s[4:5], 0, v[14:15]
	v_lshlrev_b32_e32 v4, 1, v18
	v_mov_b32_e32 v5, v15
	v_lshl_add_u64 v[2:3], v[2:3], 0, v[4:5]
	global_load_dwordx4 v[2:5], v[2:3], off
.LBB447_49:
	s_or_b64 exec, exec, s[0:1]
	v_or_b32_e32 v7, 1, v7
	v_cmp_gt_i32_e64 s[0:1], s43, v7
	v_lshlrev_b32_e32 v20, 8, v7
	v_mov_b32_e32 v7, 0
	v_mov_b32_e32 v8, 0
	;; [unrolled: 1-line block ×3, first 2 shown]
	s_and_saveexec_b64 s[2:3], s[0:1]
	s_cbranch_execz .LBB447_51
; %bb.50:
	v_mov_b32_e32 v21, 0
	v_lshl_add_u64 v[6:7], s[4:5], 0, v[20:21]
	v_lshlrev_b32_e32 v8, 1, v18
	v_mov_b32_e32 v9, v21
	v_lshl_add_u64 v[6:7], v[6:7], 0, v[8:9]
	global_load_dwordx4 v[6:9], v[6:7], off
.LBB447_51:
	s_or_b64 exec, exec, s[2:3]
	v_mov_b32_e32 v17, 0
	v_mov_b32_e32 v10, 0
	;; [unrolled: 1-line block ×5, first 2 shown]
	s_and_saveexec_b64 s[2:3], vcc
	s_cbranch_execz .LBB447_53
; %bb.52:
	v_mov_b32_e32 v15, 0
	v_lshl_add_u64 v[10:11], s[4:5], 0, v[14:15]
	v_lshlrev_b32_e32 v14, 1, v18
	v_lshl_add_u64 v[10:11], v[10:11], 0, v[14:15]
	global_load_dwordx4 v[10:13], v[10:11], off offset:128
.LBB447_53:
	s_or_b64 exec, exec, s[2:3]
	v_mov_b32_e32 v16, 0
	v_mov_b32_e32 v15, 0
	;; [unrolled: 1-line block ×3, first 2 shown]
	s_and_saveexec_b64 s[2:3], s[0:1]
	s_cbranch_execz .LBB447_55
; %bb.54:
	v_mov_b32_e32 v21, 0
	v_lshl_add_u64 v[14:15], s[4:5], 0, v[20:21]
	v_lshlrev_b32_e32 v20, 1, v18
	v_lshl_add_u64 v[14:15], v[14:15], 0, v[20:21]
	global_load_dwordx4 v[14:17], v[14:15], off offset:128
.LBB447_55:
	s_or_b64 exec, exec, s[2:3]
	s_branch .LBB447_58
.LBB447_56:
                                        ; implicit-def: $vgpr5
                                        ; implicit-def: $vgpr9
                                        ; implicit-def: $vgpr13
                                        ; implicit-def: $vgpr17
	s_cbranch_execz .LBB447_58
; %bb.57:
	s_waitcnt vmcnt(0)
	v_lshlrev_b32_e32 v2, 1, v18
	v_lshl_or_b32 v18, v23, 9, v2
	s_and_b32 s5, s5, 0xffff
	s_mov_b32 s7, 0x20000
	s_movk_i32 s6, 0x4000
	s_movk_i32 s0, 0x80
	buffer_load_dwordx4 v[2:5], v18, s[4:7], 0 offen
	buffer_load_dwordx4 v[6:9], v18, s[4:7], 0 offen offset:256
	buffer_load_dwordx4 v[10:13], v18, s[4:7], s0 offen
	buffer_load_dwordx4 v[14:17], v18, s[4:7], s0 offen offset:256
.LBB447_58:
	ds_read_b64 v[20:21], v25 offset:32768
	v_add_u32_e32 v18, 0xb000, v24
	ds_read2_b64 v[32:35], v18 offset1:16
	ds_read_b64 v[40:41], v26 offset:32768
	ds_read_b64 v[26:27], v27 offset:32768
	;; [unrolled: 1-line block ×3, first 2 shown]
	v_and_b32_e32 v18, 6, v0
	v_xor_b32_e32 v23, v23, v18
	v_lshlrev_b32_e32 v23, 2, v23
	v_and_b32_e32 v0, 1, v0
	v_xor_b32_e32 v28, 0x440, v23
	v_cmp_eq_u32_e32 vcc, 0, v0
	s_waitcnt lgkmcnt(3)
	v_mfma_f32_16x16x16_bf16 a[0:3], v[20:21], v[32:33], a[0:3]
	s_mov_b32 s0, 0x1000504
	v_cndmask_b32_e32 v0, v28, v23, vcc
	v_lshl_or_b32 v0, v18, 10, v0
	v_mfma_f32_16x16x16_bf16 a[4:7], v[20:21], v[34:35], a[4:7]
	ds_read2st64_b64 v[32:35], v24 offset0:90 offset1:92
	ds_read2st64_b64 v[36:39], v29 offset0:90 offset1:92
	ds_read_b64 v[20:21], v24 offset:48128
	ds_read_b64 v[24:25], v29 offset:48128
	s_waitcnt vmcnt(0)
	v_perm_b32 v18, v2, v6, s0
	s_waitcnt lgkmcnt(3)
	v_mfma_f32_16x16x16_bf16 a[0:3], v[40:41], v[32:33], a[0:3]
	s_mov_b32 s1, 0x3020706
	v_perm_b32 v2, v2, v6, s1
	v_perm_b32 v6, v10, v14, s1
	s_waitcnt lgkmcnt(2)
	v_mfma_f32_16x16x16_bf16 a[4:7], v[40:41], v[36:37], a[4:7]
	v_mfma_f32_16x16x16_bf16 a[0:3], v[26:27], v[34:35], a[0:3]
	;; [unrolled: 1-line block ×3, first 2 shown]
	s_waitcnt lgkmcnt(1)
	v_mfma_f32_16x16x16_bf16 a[4:7], v[44:45], v[20:21], a[0:3]
	v_perm_b32 v20, v10, v14, s0
	ds_write2st64_b32 v0, v18, v20 offset0:32 offset1:64
	v_xor_b32_e32 v18, 8, v0
	v_add_u32_e32 v10, 0x80, v18
	ds_write2st64_b32 v10, v2, v6 offset0:32 offset1:64
	v_xor_b32_e32 v2, 16, v0
	v_perm_b32 v6, v3, v7, s0
	v_perm_b32 v10, v11, v15, s0
	ds_write2st64_b32 v2, v6, v10 offset0:33 offset1:65
	v_xor_b32_e32 v2, 24, v0
	v_perm_b32 v3, v3, v7, s1
	v_perm_b32 v6, v11, v15, s1
	v_add_u32_e32 v2, 0x80, v2
	ds_write2st64_b32 v2, v3, v6 offset0:33 offset1:65
	v_xor_b32_e32 v2, 32, v0
	v_perm_b32 v3, v4, v8, s0
	v_perm_b32 v6, v12, v16, s0
	s_waitcnt lgkmcnt(4)
	v_mfma_f32_16x16x16_bf16 a[0:3], v[44:45], v[24:25], a[8:11]
	ds_write2st64_b32 v2, v3, v6 offset0:34 offset1:66
	v_xor_b32_e32 v2, 40, v0
	v_perm_b32 v3, v4, v8, s1
	v_perm_b32 v4, v12, v16, s1
	v_add_u32_e32 v2, 0x80, v2
	ds_write2st64_b32 v2, v3, v4 offset0:34 offset1:66
	v_xor_b32_e32 v2, 48, v0
	v_perm_b32 v3, v5, v9, s0
	v_perm_b32 v4, v13, v17, s0
	v_xor_b32_e32 v0, 56, v0
	v_and_or_b32 v21, v30, 12, v1
	ds_write2st64_b32 v2, v3, v4 offset0:35 offset1:67
	v_perm_b32 v2, v5, v9, s1
	v_perm_b32 v3, v13, v17, s1
	v_add_u32_e32 v0, 0x80, v0
	v_cmp_gt_i32_e32 vcc, s43, v21
	v_mov_b32_e32 v16, 0
	v_mov_b32_e32 v18, 0
	ds_write2st64_b32 v0, v2, v3 offset0:35 offset1:67
	s_and_saveexec_b64 s[0:1], vcc
	s_cbranch_execz .LBB447_60
; %bb.59:
	v_add_u32_e32 v0, s42, v21
	v_ashrrev_i32_e32 v1, 31, v0
	v_mul_lo_u32 v2, v1, s34
	v_mul_lo_u32 v3, v0, s35
	v_mad_u64_u32 v[0:1], s[2:3], v0, s34, 0
	v_add3_u32 v1, v1, v3, v2
	v_lshl_add_u64 v[0:1], v[0:1], 2, s[10:11]
	global_load_dword v0, v[0:1], off
	s_waitcnt vmcnt(0)
	v_sub_f32_e32 v0, s12, v0
	v_exp_f32_e32 v18, v0
.LBB447_60:
	s_or_b64 exec, exec, s[0:1]
	v_or_b32_e32 v10, 1, v21
	v_cmp_gt_i32_e64 s[2:3], s43, v10
	s_and_saveexec_b64 s[0:1], s[2:3]
	s_cbranch_execz .LBB447_62
; %bb.61:
	v_add_u32_e32 v0, s42, v10
	v_ashrrev_i32_e32 v1, 31, v0
	v_mul_lo_u32 v2, v1, s34
	v_mul_lo_u32 v3, v0, s35
	v_mad_u64_u32 v[0:1], s[4:5], v0, s34, 0
	v_add3_u32 v1, v1, v3, v2
	v_lshl_add_u64 v[0:1], v[0:1], 2, s[10:11]
	global_load_dword v0, v[0:1], off
	s_waitcnt vmcnt(0)
	v_sub_f32_e32 v0, s12, v0
	v_exp_f32_e32 v16, v0
.LBB447_62:
	s_or_b64 exec, exec, s[0:1]
	v_or_b32_e32 v12, 2, v21
	v_cmp_gt_i32_e64 s[0:1], s43, v12
	v_mov_b32_e32 v17, 0
	v_mov_b32_e32 v20, 0
	s_and_saveexec_b64 s[4:5], s[0:1]
	s_cbranch_execz .LBB447_64
; %bb.63:
	v_add_u32_e32 v0, s42, v12
	v_ashrrev_i32_e32 v1, 31, v0
	v_mul_lo_u32 v2, v1, s34
	v_mul_lo_u32 v3, v0, s35
	v_mad_u64_u32 v[0:1], s[6:7], v0, s34, 0
	v_add3_u32 v1, v1, v3, v2
	v_lshl_add_u64 v[0:1], v[0:1], 2, s[10:11]
	global_load_dword v0, v[0:1], off
	s_waitcnt vmcnt(0)
	v_sub_f32_e32 v0, s12, v0
	v_exp_f32_e32 v20, v0
.LBB447_64:
	s_or_b64 exec, exec, s[4:5]
	v_or_b32_e32 v14, 3, v21
	v_cmp_gt_i32_e64 s[4:5], s43, v14
	s_and_saveexec_b64 s[6:7], s[4:5]
	s_cbranch_execz .LBB447_66
; %bb.65:
	v_add_u32_e32 v0, s42, v14
	v_ashrrev_i32_e32 v1, 31, v0
	v_mul_lo_u32 v2, v1, s34
	v_mul_lo_u32 v3, v0, s35
	v_mad_u64_u32 v[0:1], s[16:17], v0, s34, 0
	v_add3_u32 v1, v1, v3, v2
	v_lshl_add_u64 v[0:1], v[0:1], 2, s[10:11]
	global_load_dword v0, v[0:1], off
	s_waitcnt vmcnt(0)
	v_sub_f32_e32 v0, s12, v0
	v_exp_f32_e32 v17, v0
.LBB447_66:
	s_or_b64 exec, exec, s[6:7]
	s_add_u32 s6, s8, s28
	v_or_b32_e32 v4, s36, v42
	s_addc_u32 s7, s9, s29
	s_add_u32 s8, s14, s28
	v_ashrrev_i32_e32 v5, 31, v4
	v_accvgpr_read_b32 v0, a4
	s_addc_u32 s9, s15, s29
	v_lshlrev_b64 v[4:5], 1, v[4:5]
	v_accvgpr_read_b32 v1, a5
	v_accvgpr_read_b32 v2, a6
	;; [unrolled: 1-line block ×3, first 2 shown]
	v_lshl_add_u64 v[6:7], s[6:7], 0, v[4:5]
	v_lshl_add_u64 v[4:5], s[8:9], 0, v[4:5]
	v_mov_b32_e32 v11, 0
	v_lshlrev_b32_e32 v8, 8, v21
	v_mov_b32_e32 v9, 0
	s_and_saveexec_b64 s[6:7], vcc
	s_cbranch_execz .LBB447_68
; %bb.67:
	v_mov_b32_e32 v9, 0
	v_lshl_add_u64 v[24:25], v[6:7], 0, v[8:9]
	global_load_ushort v13, v[24:25], off
	v_lshl_add_u64 v[24:25], v[4:5], 0, v[8:9]
	s_waitcnt vmcnt(0)
	v_lshlrev_b32_e32 v9, 16, v13
	v_sub_f32_e32 v0, v9, v0
	global_store_short_d16_hi v[24:25], v0, off
	v_mul_f32_e32 v0, v18, v0
	v_lshrrev_b32_e32 v9, 16, v0
.LBB447_68:
	s_or_b64 exec, exec, s[6:7]
	v_lshlrev_b32_e32 v10, 8, v10
	s_and_saveexec_b64 s[6:7], s[2:3]
	s_cbranch_execz .LBB447_70
; %bb.69:
	v_mov_b32_e32 v11, 0
	v_lshl_add_u64 v[24:25], v[6:7], 0, v[10:11]
	global_load_ushort v0, v[24:25], off
	v_lshl_add_u64 v[24:25], v[4:5], 0, v[10:11]
	s_waitcnt vmcnt(0)
	v_lshlrev_b32_e32 v0, 16, v0
	v_sub_f32_e32 v0, v0, v1
	global_store_short_d16_hi v[24:25], v0, off
	v_mul_f32_e32 v0, v16, v0
	v_lshrrev_b32_e32 v11, 16, v0
.LBB447_70:
	s_or_b64 exec, exec, s[6:7]
	v_mov_b32_e32 v15, 0
	v_lshlrev_b32_e32 v12, 8, v12
	v_mov_b32_e32 v13, 0
	s_and_saveexec_b64 s[6:7], s[0:1]
	s_cbranch_execz .LBB447_72
; %bb.71:
	v_mov_b32_e32 v13, 0
	v_lshl_add_u64 v[0:1], v[6:7], 0, v[12:13]
	global_load_ushort v23, v[0:1], off
	v_lshl_add_u64 v[0:1], v[4:5], 0, v[12:13]
	s_waitcnt vmcnt(0)
	v_lshlrev_b32_e32 v13, 16, v23
	v_sub_f32_e32 v2, v13, v2
	global_store_short_d16_hi v[0:1], v2, off
	v_mul_f32_e32 v0, v20, v2
	v_lshrrev_b32_e32 v13, 16, v0
.LBB447_72:
	s_or_b64 exec, exec, s[6:7]
	v_lshlrev_b32_e32 v14, 8, v14
	s_and_saveexec_b64 s[6:7], s[4:5]
	s_cbranch_execz .LBB447_74
; %bb.73:
	v_mov_b32_e32 v15, 0
	v_lshl_add_u64 v[0:1], v[6:7], 0, v[14:15]
	global_load_ushort v2, v[0:1], off
	v_lshl_add_u64 v[0:1], v[4:5], 0, v[14:15]
	s_waitcnt vmcnt(0)
	v_lshlrev_b32_e32 v2, 16, v2
	v_sub_f32_e32 v2, v2, v3
	global_store_short_d16_hi v[0:1], v2, off
	v_mul_f32_e32 v0, v17, v2
	v_lshrrev_b32_e32 v15, 16, v0
.LBB447_74:
	s_or_b64 exec, exec, s[6:7]
	v_lshlrev_b32_e32 v21, 5, v21
	s_mov_b32 s6, 0x5040100
	v_perm_b32 v24, v11, v9, s6
	v_or_b32_e32 v9, v21, v22
	v_accvgpr_read_b32 v0, a0
	v_perm_b32 v25, v15, v13, s6
	v_lshlrev_b32_e32 v9, 1, v9
	v_accvgpr_read_b32 v1, a1
	v_accvgpr_read_b32 v2, a2
	;; [unrolled: 1-line block ×3, first 2 shown]
	ds_write_b64 v9, v[24:25] offset:45056
	v_mov_b32_e32 v11, 0
	v_mov_b32_e32 v9, 0
	s_and_saveexec_b64 s[6:7], vcc
	s_cbranch_execz .LBB447_76
; %bb.75:
	v_mov_b32_e32 v9, 0
	v_lshl_add_u64 v[22:23], v[6:7], 0, v[8:9]
	global_load_ushort v13, v[22:23], off offset:32
	v_lshl_add_u64 v[8:9], v[4:5], 0, v[8:9]
	s_waitcnt vmcnt(0)
	v_lshlrev_b32_e32 v13, 16, v13
	v_sub_f32_e32 v0, v13, v0
	global_store_short_d16_hi v[8:9], v0, off offset:32
	v_mul_f32_e32 v0, v18, v0
	v_lshrrev_b32_e32 v9, 16, v0
.LBB447_76:
	s_or_b64 exec, exec, s[6:7]
	s_and_saveexec_b64 s[6:7], s[2:3]
	s_cbranch_execz .LBB447_78
; %bb.77:
	v_mov_b32_e32 v11, 0
	v_lshl_add_u64 v[22:23], v[6:7], 0, v[10:11]
	global_load_ushort v0, v[22:23], off offset:32
	v_lshl_add_u64 v[10:11], v[4:5], 0, v[10:11]
	s_waitcnt vmcnt(0)
	v_lshlrev_b32_e32 v0, 16, v0
	v_sub_f32_e32 v0, v0, v1
	global_store_short_d16_hi v[10:11], v0, off offset:32
	v_mul_f32_e32 v0, v16, v0
	v_lshrrev_b32_e32 v11, 16, v0
.LBB447_78:
	s_or_b64 exec, exec, s[6:7]
	v_mov_b32_e32 v0, 0
	v_mov_b32_e32 v1, 0
	s_and_saveexec_b64 s[2:3], s[0:1]
	s_cbranch_execz .LBB447_80
; %bb.79:
	v_mov_b32_e32 v13, 0
	v_lshl_add_u64 v[22:23], v[6:7], 0, v[12:13]
	global_load_ushort v1, v[22:23], off offset:32
	v_lshl_add_u64 v[12:13], v[4:5], 0, v[12:13]
	s_waitcnt vmcnt(0)
	v_lshlrev_b32_e32 v1, 16, v1
	v_sub_f32_e32 v1, v1, v2
	global_store_short_d16_hi v[12:13], v1, off offset:32
	v_mul_f32_e32 v1, v20, v1
	v_lshrrev_b32_e32 v1, 16, v1
.LBB447_80:
	s_or_b64 exec, exec, s[2:3]
	s_and_saveexec_b64 s[0:1], s[4:5]
	s_cbranch_execz .LBB447_82
; %bb.81:
	v_mov_b32_e32 v15, 0
	v_lshl_add_u64 v[6:7], v[6:7], 0, v[14:15]
	global_load_ushort v0, v[6:7], off offset:32
	v_lshl_add_u64 v[4:5], v[4:5], 0, v[14:15]
	s_waitcnt vmcnt(0)
	v_lshlrev_b32_e32 v0, 16, v0
	v_sub_f32_e32 v0, v0, v3
	global_store_short_d16_hi v[4:5], v0, off offset:32
	v_mul_f32_e32 v0, v17, v0
	v_lshrrev_b32_e32 v0, 16, v0
.LBB447_82:
	s_or_b64 exec, exec, s[0:1]
	s_mov_b32 s0, 0x5040100
	v_or_b32_e32 v2, v21, v19
	v_perm_b32 v1, v0, v1, s0
	v_perm_b32 v0, v11, v9, s0
	v_lshlrev_b32_e32 v2, 1, v2
	ds_write_b64 v2, v[0:1] offset:45056
	s_waitcnt lgkmcnt(0)
	s_barrier
.LBB447_83:
	s_endpgm
	.section	.rodata,"a",@progbits
	.p2align	6, 0x0
	.amdhsa_kernel _ZN12_GLOBAL__N_139chunk_gated_delta_rule_fwd_h_hip_kernelILi32ELb0ELb0ELb1ELb0ELb1ELb0ELb0ELb0EEEvPK12hip_bfloat16S3_S3_PKfS5_PKvPS1_S8_PvPKiSB_iiiiilll
		.amdhsa_group_segment_fixed_size 49152
		.amdhsa_private_segment_fixed_size 0
		.amdhsa_kernarg_size 136
		.amdhsa_user_sgpr_count 2
		.amdhsa_user_sgpr_dispatch_ptr 0
		.amdhsa_user_sgpr_queue_ptr 0
		.amdhsa_user_sgpr_kernarg_segment_ptr 1
		.amdhsa_user_sgpr_dispatch_id 0
		.amdhsa_user_sgpr_kernarg_preload_length 0
		.amdhsa_user_sgpr_kernarg_preload_offset 0
		.amdhsa_user_sgpr_private_segment_size 0
		.amdhsa_uses_dynamic_stack 0
		.amdhsa_enable_private_segment 0
		.amdhsa_system_sgpr_workgroup_id_x 1
		.amdhsa_system_sgpr_workgroup_id_y 1
		.amdhsa_system_sgpr_workgroup_id_z 0
		.amdhsa_system_sgpr_workgroup_info 0
		.amdhsa_system_vgpr_workitem_id 0
		.amdhsa_next_free_vgpr 152
		.amdhsa_next_free_sgpr 66
		.amdhsa_accum_offset 132
		.amdhsa_reserve_vcc 1
		.amdhsa_float_round_mode_32 0
		.amdhsa_float_round_mode_16_64 0
		.amdhsa_float_denorm_mode_32 3
		.amdhsa_float_denorm_mode_16_64 3
		.amdhsa_dx10_clamp 1
		.amdhsa_ieee_mode 1
		.amdhsa_fp16_overflow 0
		.amdhsa_tg_split 0
		.amdhsa_exception_fp_ieee_invalid_op 0
		.amdhsa_exception_fp_denorm_src 0
		.amdhsa_exception_fp_ieee_div_zero 0
		.amdhsa_exception_fp_ieee_overflow 0
		.amdhsa_exception_fp_ieee_underflow 0
		.amdhsa_exception_fp_ieee_inexact 0
		.amdhsa_exception_int_div_zero 0
	.end_amdhsa_kernel
	.section	.text._ZN12_GLOBAL__N_139chunk_gated_delta_rule_fwd_h_hip_kernelILi32ELb0ELb0ELb1ELb0ELb1ELb0ELb0ELb0EEEvPK12hip_bfloat16S3_S3_PKfS5_PKvPS1_S8_PvPKiSB_iiiiilll,"axG",@progbits,_ZN12_GLOBAL__N_139chunk_gated_delta_rule_fwd_h_hip_kernelILi32ELb0ELb0ELb1ELb0ELb1ELb0ELb0ELb0EEEvPK12hip_bfloat16S3_S3_PKfS5_PKvPS1_S8_PvPKiSB_iiiiilll,comdat
.Lfunc_end447:
	.size	_ZN12_GLOBAL__N_139chunk_gated_delta_rule_fwd_h_hip_kernelILi32ELb0ELb0ELb1ELb0ELb1ELb0ELb0ELb0EEEvPK12hip_bfloat16S3_S3_PKfS5_PKvPS1_S8_PvPKiSB_iiiiilll, .Lfunc_end447-_ZN12_GLOBAL__N_139chunk_gated_delta_rule_fwd_h_hip_kernelILi32ELb0ELb0ELb1ELb0ELb1ELb0ELb0ELb0EEEvPK12hip_bfloat16S3_S3_PKfS5_PKvPS1_S8_PvPKiSB_iiiiilll
                                        ; -- End function
	.section	.AMDGPU.csdata,"",@progbits
; Kernel info:
; codeLenInByte = 8676
; NumSgprs: 72
; NumVgprs: 132
; NumAgprs: 20
; TotalNumVgprs: 152
; ScratchSize: 0
; MemoryBound: 0
; FloatMode: 240
; IeeeMode: 1
; LDSByteSize: 49152 bytes/workgroup (compile time only)
; SGPRBlocks: 8
; VGPRBlocks: 18
; NumSGPRsForWavesPerEU: 72
; NumVGPRsForWavesPerEU: 152
; AccumOffset: 132
; Occupancy: 1
; WaveLimiterHint : 1
; COMPUTE_PGM_RSRC2:SCRATCH_EN: 0
; COMPUTE_PGM_RSRC2:USER_SGPR: 2
; COMPUTE_PGM_RSRC2:TRAP_HANDLER: 0
; COMPUTE_PGM_RSRC2:TGID_X_EN: 1
; COMPUTE_PGM_RSRC2:TGID_Y_EN: 1
; COMPUTE_PGM_RSRC2:TGID_Z_EN: 0
; COMPUTE_PGM_RSRC2:TIDIG_COMP_CNT: 0
; COMPUTE_PGM_RSRC3_GFX90A:ACCUM_OFFSET: 32
; COMPUTE_PGM_RSRC3_GFX90A:TG_SPLIT: 0
	.section	.text._ZN12_GLOBAL__N_139chunk_gated_delta_rule_fwd_h_hip_kernelILi32ELb0ELb0ELb0ELb0ELb1ELb0ELb0ELb0EEEvPK12hip_bfloat16S3_S3_PKfS5_PKvPS1_S8_PvPKiSB_iiiiilll,"axG",@progbits,_ZN12_GLOBAL__N_139chunk_gated_delta_rule_fwd_h_hip_kernelILi32ELb0ELb0ELb0ELb0ELb1ELb0ELb0ELb0EEEvPK12hip_bfloat16S3_S3_PKfS5_PKvPS1_S8_PvPKiSB_iiiiilll,comdat
	.globl	_ZN12_GLOBAL__N_139chunk_gated_delta_rule_fwd_h_hip_kernelILi32ELb0ELb0ELb0ELb0ELb1ELb0ELb0ELb0EEEvPK12hip_bfloat16S3_S3_PKfS5_PKvPS1_S8_PvPKiSB_iiiiilll ; -- Begin function _ZN12_GLOBAL__N_139chunk_gated_delta_rule_fwd_h_hip_kernelILi32ELb0ELb0ELb0ELb0ELb1ELb0ELb0ELb0EEEvPK12hip_bfloat16S3_S3_PKfS5_PKvPS1_S8_PvPKiSB_iiiiilll
	.p2align	8
	.type	_ZN12_GLOBAL__N_139chunk_gated_delta_rule_fwd_h_hip_kernelILi32ELb0ELb0ELb0ELb0ELb1ELb0ELb0ELb0EEEvPK12hip_bfloat16S3_S3_PKfS5_PKvPS1_S8_PvPKiSB_iiiiilll,@function
_ZN12_GLOBAL__N_139chunk_gated_delta_rule_fwd_h_hip_kernelILi32ELb0ELb0ELb0ELb0ELb1ELb0ELb0ELb0EEEvPK12hip_bfloat16S3_S3_PKfS5_PKvPS1_S8_PvPKiSB_iiiiilll: ; @_ZN12_GLOBAL__N_139chunk_gated_delta_rule_fwd_h_hip_kernelILi32ELb0ELb0ELb0ELb0ELb1ELb0ELb0ELb0EEEvPK12hip_bfloat16S3_S3_PKfS5_PKvPS1_S8_PvPKiSB_iiiiilll
; %bb.0:
	s_load_dwordx4 s[12:15], s[0:1], 0x5c
	s_load_dwordx2 s[36:37], s[0:1], 0x30
	s_abs_i32 s18, s3
	s_ashr_i32 s17, s3, 31
	s_load_dwordx8 s[4:11], s[0:1], 0x0
	s_waitcnt lgkmcnt(0)
	s_abs_i32 s16, s13
	v_cvt_f32_u32_e32 v1, s16
	s_sub_i32 s20, 0, s16
	s_ashr_i32 s19, s13, 31
	s_xor_b32 s17, s17, s19
	v_rcp_iflag_f32_e32 v1, v1
	v_lshrrev_b32_e32 v42, 6, v0
	v_bfe_u32 v43, v0, 4, 2
	v_lshlrev_b32_e32 v2, 2, v43
	v_mul_f32_e32 v1, 0x4f7ffffe, v1
	v_cvt_u32_f32_e32 v1, v1
	v_and_b32_e32 v41, 63, v0
	v_and_b32_e32 v40, 15, v0
	v_mov_b32_e32 v3, 0
	v_readfirstlane_b32 s21, v1
	s_mul_i32 s20, s20, s21
	s_mul_hi_u32 s20, s21, s20
	s_add_i32 s21, s21, s20
	s_mul_hi_u32 s20, s18, s21
	s_mul_i32 s21, s20, s16
	s_sub_i32 s18, s18, s21
	s_add_i32 s22, s20, 1
	s_sub_i32 s21, s18, s16
	s_cmp_ge_u32 s18, s16
	s_cselect_b32 s20, s22, s20
	s_cselect_b32 s18, s21, s18
	s_add_i32 s21, s20, 1
	s_cmp_ge_u32 s18, s16
	s_cselect_b32 s18, s21, s20
	s_xor_b32 s18, s18, s17
	s_sub_i32 s45, s18, s17
	s_abs_i32 s17, s14
	v_cvt_f32_u32_e32 v1, s17
	s_add_i32 s20, s12, 63
	s_mul_i32 s43, s45, s13
	s_sub_i32 s33, s3, s43
	v_rcp_iflag_f32_e32 v1, v1
	s_ashr_i32 s3, s20, 31
	s_ashr_i32 s44, s12, 31
	s_lshr_b32 s3, s3, 26
	v_mul_f32_e32 v1, 0x4f7ffffe, v1
	v_cvt_u32_f32_e32 v1, v1
	s_lshr_b32 s18, s44, 26
	s_add_i32 s20, s20, s3
	s_add_i32 s18, s12, s18
	s_ashr_i32 s47, s14, 31
	s_ashr_i32 s3, s20, 6
	;; [unrolled: 1-line block ×3, first 2 shown]
	s_xor_b32 s18, s19, s47
	s_sub_i32 s19, 0, s17
	v_readfirstlane_b32 s20, v1
	s_mul_i32 s19, s19, s20
	s_mul_hi_u32 s19, s20, s19
	s_add_i32 s20, s20, s19
	s_mul_hi_u32 s19, s16, s20
	s_mul_i32 s20, s19, s17
	s_sub_i32 s16, s16, s20
	s_add_i32 s20, s19, 1
	s_sub_i32 s21, s16, s17
	s_cmp_ge_u32 s16, s17
	s_cselect_b32 s19, s20, s19
	s_cselect_b32 s16, s21, s16
	s_add_i32 s20, s19, 1
	s_cmp_ge_u32 s16, s17
	s_cselect_b32 s16, s20, s19
	s_xor_b32 s16, s16, s18
	s_sub_i32 s20, s16, s18
	s_abs_i32 s21, s20
	v_cvt_f32_u32_e32 v1, s21
	s_load_dwordx2 s[28:29], s[0:1], 0x80
	s_load_dwordx4 s[16:19], s[0:1], 0x70
	s_xor_b32 s0, s33, s20
	s_sub_i32 s20, 0, s21
	v_rcp_iflag_f32_e32 v1, v1
	s_abs_i32 s1, s33
	s_ashr_i32 s0, s0, 31
	s_mul_i32 s48, s45, s3
	v_mul_f32_e32 v1, 0x4f7ffffe, v1
	v_cvt_u32_f32_e32 v1, v1
	s_mul_hi_i32 s49, s45, s13
	v_lshrrev_b32_e32 v45, 3, v41
	v_lshlrev_b32_e32 v44, 3, v0
	v_readfirstlane_b32 s22, v1
	s_mul_i32 s20, s20, s22
	s_mul_hi_u32 s20, s22, s20
	s_add_i32 s22, s22, s20
	s_mul_hi_u32 s20, s1, s22
	s_mul_i32 s22, s20, s21
	s_sub_i32 s1, s1, s22
	s_add_i32 s22, s20, 1
	s_sub_i32 s23, s1, s21
	s_cmp_ge_u32 s1, s21
	s_cselect_b32 s20, s22, s20
	s_cselect_b32 s1, s23, s1
	s_add_i32 s22, s20, 1
	s_cmp_ge_u32 s1, s21
	s_cselect_b32 s1, s22, s20
	s_xor_b32 s1, s1, s0
	v_lshlrev_b32_e32 v1, 4, v42
	s_sub_i32 s50, s1, s0
	v_or_b32_e32 v46, v2, v1
	s_lshl_b32 s30, s2, 5
	v_or_b32_e32 v47, 64, v46
	s_cmp_lt_i32 s12, 64
	s_waitcnt lgkmcnt(0)
	s_mul_i32 s17, s45, s17
	s_mul_hi_u32 s42, s45, s16
	s_mul_i32 s34, s45, s16
	v_mov_b32_e32 v62, 0
	v_mov_b32_e32 v60, 0
	;; [unrolled: 1-line block ×15, first 2 shown]
	s_cbranch_scc1 .LBB448_18
; %bb.1:
	s_ashr_i32 s24, s45, 31
	s_ashr_i32 s52, s33, 31
	s_add_u32 s0, s43, s33
	s_addc_u32 s1, s49, s52
	s_mul_i32 s1, s12, s1
	s_mul_hi_u32 s2, s12, s0
	s_add_i32 s3, s2, s1
	s_mul_i32 s2, s12, s0
	s_lshl_b64 s[0:1], s[2:3], 8
	v_and_b32_e32 v49, 56, v44
	s_add_u32 s20, s6, s0
	v_lshl_or_b32 v48, v42, 3, v45
	v_lshlrev_b32_e32 v3, 1, v49
	s_addc_u32 s0, s7, s1
	v_lshl_or_b32 v50, v48, 8, v3
	s_and_b32 s21, s0, 0xffff
	s_mov_b32 s23, 0x20000
	s_movk_i32 s22, 0x4000
	s_movk_i32 s0, 0x80
	v_or_b32_e32 v51, 0x2000, v50
	buffer_load_dwordx4 v[4:7], v50, s[20:23], 0 offen
	buffer_load_dwordx4 v[8:11], v50, s[20:23], s0 offen
	;; [unrolled: 1-line block ×4, first 2 shown]
	v_lshlrev_b32_e32 v20, 3, v48
	v_and_or_b32 v22, v0, 7, v20
	v_and_b32_e32 v20, 0x78, v20
	v_lshlrev_b32_e32 v22, 4, v22
	v_xor_b32_e32 v52, v22, v20
	v_mul_lo_u32 v21, v48, s15
	v_or_b32_e32 v53, 0x1000, v52
	s_cmpk_eq_i32 s15, 0x80
	s_mov_b32 s51, s14
	v_xor_b32_e32 v20, 8, v52
	v_xor_b32_e32 v22, 8, v53
	s_cselect_b64 s[0:1], -1, 0
	s_cmpk_lg_i32 s15, 0x80
	s_waitcnt vmcnt(3)
	ds_write_b64 v52, v[4:5] offset:24576
	ds_write_b64 v20, v[6:7] offset:24576
	s_waitcnt vmcnt(2)
	ds_write_b64 v52, v[8:9] offset:32768
	ds_write_b64 v20, v[10:11] offset:32768
	s_waitcnt vmcnt(1)
	ds_write_b64 v52, v[12:13] offset:28672
	ds_write_b64 v22, v[14:15] offset:24576
	s_waitcnt vmcnt(0)
	ds_write_b64 v52, v[16:17] offset:36864
	ds_write_b64 v22, v[18:19] offset:32768
	v_lshl_add_u32 v4, v21, 1, v49
	s_cbranch_scc0 .LBB448_3
; %bb.2:
	v_lshlrev_b32_e32 v6, 1, v4
	v_add_lshl_u32 v5, v4, s15, 1
	s_lshl_b32 s22, s15, 7
	v_lshl_or_b32 v3, v48, 9, v3
	s_cbranch_execz .LBB448_4
	s_branch .LBB448_5
.LBB448_3:
                                        ; implicit-def: $vgpr5
                                        ; implicit-def: $vgpr6
                                        ; implicit-def: $sgpr22
	v_lshl_or_b32 v3, v48, 9, v3
.LBB448_4:
	v_or_b32_e32 v5, 0x100, v3
	s_movk_i32 s22, 0x4000
	v_mov_b32_e32 v6, v3
.LBB448_5:
	s_mul_hi_u32 s20, s14, s12
	s_mul_i32 s21, s47, s12
	s_add_i32 s20, s20, s21
	s_mul_i32 s21, s14, s12
	s_mul_i32 s23, s21, s24
	s_mul_hi_u32 s25, s21, s45
	s_add_i32 s23, s25, s23
	s_mul_i32 s20, s20, s45
	s_add_i32 s23, s23, s20
	s_mul_i32 s21, s21, s45
	s_ashr_i32 s53, s50, 31
	s_add_u32 s20, s21, s50
	s_addc_u32 s21, s23, s53
	s_lshl_b64 s[20:21], s[20:21], 8
	s_add_u32 s20, s4, s20
	s_addc_u32 s21, s5, s21
	s_and_b32 s21, s21, 0xffff
	s_mov_b32 s23, 0x20000
	s_movk_i32 s54, 0x80
	buffer_load_dwordx4 v[8:11], v6, s[20:23], 0 offen
	buffer_load_dwordx4 v[12:15], v6, s[20:23], s54 offen
	;; [unrolled: 1-line block ×4, first 2 shown]
	v_and_b32_e32 v5, 6, v0
	v_lshlrev_b32_e32 v24, 6, v46
	v_or_b32_e32 v26, 16, v40
	v_xor_b32_e32 v27, v48, v5
	v_and_b32_e32 v6, 1, v0
	s_mul_i32 s20, s24, s12
	s_mul_hi_u32 s21, s45, s12
	v_lshl_or_b32 v30, v40, 3, v24
	v_lshl_or_b32 v24, v26, 3, v24
	v_lshlrev_b32_e32 v27, 2, v27
	v_lshlrev_b32_e32 v7, 2, v40
	v_or_b32_e32 v56, 0xa000, v24
	v_or_b32_e32 v57, 0xb000, v24
	v_xor_b32_e32 v24, 0x440, v27
	v_cmp_eq_u32_e32 vcc, 0, v6
	s_add_i32 s59, s21, s20
	s_add_i32 s20, s42, s17
	s_mul_i32 s24, s24, s16
	v_xor_b32_e32 v28, v46, v7
	v_xor_b32_e32 v29, v47, v7
	v_cndmask_b32_e32 v6, v24, v27, vcc
	s_add_i32 s35, s20, s24
	s_mul_i32 s20, s33, s19
	s_mul_hi_u32 s21, s33, s18
	s_mov_b32 s56, 0x1000504
	v_lshlrev_b32_e32 v25, 8, v40
	v_lshlrev_b32_e32 v28, 1, v28
	;; [unrolled: 1-line block ×3, first 2 shown]
	v_lshl_or_b32 v5, v5, 10, v6
	s_add_i32 s20, s21, s20
	s_mul_i32 s21, s52, s18
	s_mov_b32 s57, 0x3020706
	v_or_b32_e32 v54, 0xa000, v30
	v_or_b32_e32 v55, 0xb000, v30
	;; [unrolled: 1-line block ×4, first 2 shown]
	v_xor_b32_e32 v6, 8, v5
	v_xor_b32_e32 v25, 24, v5
	;; [unrolled: 1-line block ×4, first 2 shown]
	s_add_i32 s21, s20, s21
	s_lshl_b64 s[24:25], s[34:35], 2
	v_xor_b32_e32 v24, 16, v5
	v_xor_b32_e32 v27, 32, v5
	;; [unrolled: 1-line block ×3, first 2 shown]
	v_add_u32_e32 v6, 0x80, v6
	v_add_u32_e32 v25, 0x80, v25
	;; [unrolled: 1-line block ×4, first 2 shown]
	s_mul_i32 s20, s33, s18
	s_add_u32 s22, s10, s24
	s_addc_u32 s24, s11, s25
	s_lshl_b64 s[20:21], s[20:21], 2
	s_add_u32 s38, s22, s20
	s_movk_i32 s20, 0xf8
	s_addc_u32 s39, s24, s21
	s_ashr_i32 s31, s30, 31
	s_lshl_b32 s26, s15, 7
	s_movk_i32 s24, 0x100
	v_mov_b32_e32 v35, 0
	v_cmp_gt_u32_e32 vcc, s24, v0
	s_mov_b32 s55, 0
	s_mul_i32 s58, s45, s12
	s_movk_i32 s35, 0x1000
	s_movk_i32 s22, 0x4000
	v_add_u32_e32 v91, v1, v2
	s_mov_b32 s61, 0
	v_mov_b32_e32 v72, v35
	v_mov_b32_e32 v71, v35
	;; [unrolled: 1-line block ×11, first 2 shown]
	s_waitcnt vmcnt(1)
	v_perm_b32 v33, v8, v16, s56
	s_waitcnt vmcnt(0)
	v_perm_b32 v34, v12, v20, s56
	v_perm_b32 v8, v8, v16, s57
	;; [unrolled: 1-line block ×15, first 2 shown]
	ds_write2st64_b32 v5, v33, v34 offset0:32 offset1:64
	ds_write2st64_b32 v6, v8, v12 offset0:32 offset1:64
	;; [unrolled: 1-line block ×8, first 2 shown]
	v_lshlrev_b32_e32 v5, 8, v26
	v_or_b32_e32 v66, v5, v28
	v_or_b32_e32 v67, v5, v29
	;; [unrolled: 1-line block ×3, first 2 shown]
	v_lshlrev_b32_e32 v5, 3, v5
	v_lshrrev_b32_e32 v8, 5, v41
	v_and_or_b32 v8, v5, s20, v8
	v_lshlrev_b32_e32 v8, 4, v8
	v_lshlrev_b32_e32 v9, 11, v42
	v_and_b32_e32 v5, 0x78, v5
	v_or_b32_e32 v13, 32, v8
	v_and_b32_e32 v6, 0x1000, v9
	v_lshrrev_b32_e32 v11, 1, v0
	v_xor_b32_e32 v13, v13, v5
	v_and_b32_e32 v12, 8, v11
	v_or_b32_e32 v13, v13, v6
	v_xor_b32_e32 v10, v8, v5
	v_xor_b32_e32 v76, v13, v12
	v_or_b32_e32 v13, 64, v8
	v_or_b32_e32 v8, 0x60, v8
	v_xor_b32_e32 v13, v13, v5
	v_xor_b32_e32 v5, v8, v5
	v_or_b32_e32 v10, v10, v6
	v_or_b32_e32 v13, v13, v6
	;; [unrolled: 1-line block ×3, first 2 shown]
	s_lshl_b64 s[20:21], s[30:31], 8
	v_xor_b32_e32 v74, v10, v12
	v_xor_b32_e32 v78, v13, v12
	;; [unrolled: 1-line block ×3, first 2 shown]
	v_lshlrev_b32_e32 v12, 1, v4
	v_add_lshl_u32 v13, v4, s15, 1
	s_add_u32 s20, s36, s20
	v_lshlrev_b32_e32 v4, 1, v40
	v_lshrrev_b32_e32 v15, 4, v0
	s_addc_u32 s21, s37, s21
	v_or_b32_e32 v5, 1, v4
	v_lshlrev_b32_e32 v34, 4, v40
	v_mov_b32_e32 v19, 0x4000
	v_mov_b32_e32 v20, 0x2000
	v_xor_b32_e32 v16, v15, v4
	v_xor_b32_e32 v17, v5, v15
	v_lshl_add_u64 v[4:5], s[20:21], 0, v[34:35]
	v_lshlrev_b32_e32 v34, 8, v15
	v_cndmask_b32_e32 v19, v19, v20, vcc
	v_lshlrev_b32_e32 v20, 3, v42
	v_and_b32_e32 v11, 24, v11
	v_lshl_or_b32 v82, v16, 3, v34
	v_and_b32_e32 v16, 8, v0
	v_xor_b32_e32 v21, v20, v11
	v_or_b32_e32 v22, 0x440, v21
	v_cmp_eq_u32_e32 vcc, 0, v16
	v_and_b32_e32 v15, 7, v0
	v_lshlrev_b32_e32 v10, 7, v43
	v_cndmask_b32_e32 v16, v22, v21, vcc
	v_lshl_or_b32 v83, v17, 3, v34
	v_lshlrev_b32_e32 v17, 3, v15
	v_lshlrev_b32_e32 v15, 7, v15
	;; [unrolled: 1-line block ×3, first 2 shown]
	v_or_b32_e32 v16, v16, v9
	v_or_b32_e32 v7, v10, v7
	v_xad_u32 v84, v16, v17, v15
	v_and_or_b32 v10, v18, 60, v10
	v_mov_b32_e32 v16, 0xb000
	v_lshl_or_b32 v85, v10, 1, v16
	v_or_b32_e32 v10, 32, v11
	v_xor_b32_e32 v10, v20, v10
	v_or_b32_e32 v16, 0x440, v10
	v_cndmask_b32_e32 v10, v16, v10, vcc
	v_or_b32_e32 v10, v10, v9
	v_xad_u32 v86, v10, v17, v15
	v_or_b32_e32 v10, 64, v11
	v_xor_b32_e32 v10, v20, v10
	v_xor_b32_e32 v16, 0x440, v10
	v_cndmask_b32_e32 v10, v16, v10, vcc
	v_or_b32_e32 v10, v10, v9
	v_xad_u32 v87, v10, v17, v15
	v_or_b32_e32 v10, 0x60, v11
	v_xor_b32_e32 v10, v20, v10
	v_xor_b32_e32 v11, 0x440, v10
	v_cndmask_b32_e32 v10, v11, v10, vcc
	v_lshlrev_b32_e32 v7, 1, v7
	v_or_b32_e32 v6, s30, v40
	v_or_b32_e32 v9, v10, v9
	;; [unrolled: 1-line block ×6, first 2 shown]
	v_lshlrev_b32_e32 v8, 7, v46
	v_ashrrev_i32_e32 v7, 31, v6
	v_or_b32_e32 v14, 0x100, v3
	v_xad_u32 v88, v9, v17, v15
	v_cndmask_b32_e64 v89, v12, v3, s[0:1]
	v_cndmask_b32_e64 v90, v13, v14, s[0:1]
	v_lshl_add_u64 v[36:37], v[6:7], 1, s[8:9]
	v_lshl_add_u64 v[38:39], v[4:5], 0, v[34:35]
	s_mov_b32 s31, 0x7060302
	v_lshlrev_b32_e32 v34, 1, v8
	v_add_u32_e32 v92, v19, v84
	v_add_u32_e32 v93, v19, v86
	;; [unrolled: 1-line block ×4, first 2 shown]
	v_mov_b32_e32 v99, v35
	v_mov_b32_e32 v61, v35
	;; [unrolled: 1-line block ×5, first 2 shown]
	s_waitcnt lgkmcnt(0)
	s_barrier
.LBB448_6:                              ; =>This Inner Loop Header: Depth=1
	s_add_i32 s60, s61, 1
	s_cmp_lt_i32 s60, s46
	s_mov_b64 s[24:25], 0
	s_cselect_b64 s[40:41], -1, 0
	s_cmp_ge_i32 s60, s46
	s_mov_b64 s[20:21], 0
	s_cbranch_scc1 .LBB448_8
; %bb.7:                                ;   in Loop: Header=BB448_6 Depth=1
	s_add_i32 s0, s55, 64
	s_add_u32 s0, s2, s0
	s_addc_u32 s1, s3, 0
	s_lshl_b64 s[0:1], s[0:1], 8
	s_add_u32 s20, s6, s0
	s_addc_u32 s21, s7, s1
.LBB448_8:                              ;   in Loop: Header=BB448_6 Depth=1
	v_cndmask_b32_e64 v2, 0, 1, s[40:41]
	v_cmp_ne_u32_e64 s[0:1], 1, v2
	s_andn2_b64 vcc, exec, s[40:41]
	s_cbranch_vccnz .LBB448_10
; %bb.9:                                ;   in Loop: Header=BB448_6 Depth=1
	s_add_i32 s24, s55, 64
	s_add_u32 s24, s58, s24
	s_addc_u32 s25, s59, 0
	s_mul_i32 s27, s24, s47
	s_mul_hi_u32 s40, s24, s51
	s_add_i32 s27, s40, s27
	s_mul_i32 s25, s25, s51
	s_add_i32 s27, s27, s25
	s_mul_i32 s24, s24, s51
	s_add_u32 s24, s24, s50
	s_addc_u32 s25, s27, s53
	s_lshl_b64 s[24:25], s[24:25], 8
	s_add_u32 s24, s4, s24
	s_addc_u32 s25, s5, s25
.LBB448_10:                             ;   in Loop: Header=BB448_6 Depth=1
	v_perm_b32 v3, v98, v73, s31
	v_perm_b32 v2, v71, v72, s31
	;; [unrolled: 1-line block ×4, first 2 shown]
	ds_write_b64 v54, v[2:3]
	ds_write_b64 v55, v[4:5]
	;; [unrolled: 1-line block ×4, first 2 shown]
	v_perm_b32 v3, v99, v65, s31
	v_perm_b32 v2, v63, v64, s31
	;; [unrolled: 1-line block ×4, first 2 shown]
	ds_write_b64 v56, v[2:3]
	ds_write_b64 v57, v[4:5]
	;; [unrolled: 1-line block ×4, first 2 shown]
	s_waitcnt lgkmcnt(0)
	s_barrier
	ds_read_b64 v[6:7], v74 offset:24576
	ds_read2_b64 v[2:5], v75 offset1:16
	ds_read_b64 v[10:11], v77 offset:3072
	ds_read_b64 v[12:13], v75 offset:3072
	;; [unrolled: 1-line block ×3, first 2 shown]
	s_waitcnt lgkmcnt(3)
	v_mfma_f32_16x16x16_bf16 a[0:3], v[6:7], v[2:3], 0
	s_add_i32 s27, s55, 63
	s_mul_i32 s40, s27, s29
	s_mul_hi_u32 s41, s27, s28
	v_mfma_f32_16x16x16_bf16 a[4:7], v[6:7], v[4:5], 0
	ds_read2st64_b64 v[2:5], v75 offset0:2 offset1:4
	ds_read2st64_b64 v[6:9], v77 offset0:2 offset1:4
	s_add_i32 s41, s41, s40
	s_waitcnt lgkmcnt(1)
	v_mfma_f32_16x16x16_bf16 a[0:3], v[14:15], v[2:3], a[0:3]
	s_mul_i32 s40, s27, s28
	s_lshl_b64 s[40:41], s[40:41], 2
	s_add_u32 s40, s38, s40
	s_waitcnt lgkmcnt(0)
	v_mfma_f32_16x16x16_bf16 a[4:7], v[14:15], v[6:7], a[4:7]
	ds_read_b64 v[2:3], v78 offset:24576
	ds_read_b64 v[6:7], v79 offset:24576
	s_addc_u32 s41, s39, s41
	s_and_b64 vcc, exec, s[0:1]
	s_waitcnt lgkmcnt(1)
	v_mfma_f32_16x16x16_bf16 a[0:3], v[2:3], v[4:5], a[0:3]
	v_mov_b32_e32 v102, 0
	v_mov_b32_e32 v101, 0
	;; [unrolled: 1-line block ×3, first 2 shown]
	v_mfma_f32_16x16x16_bf16 a[4:7], v[2:3], v[8:9], a[4:7]
	v_mov_b32_e32 v2, 0
	v_mov_b32_e32 v3, 0
	;; [unrolled: 1-line block ×3, first 2 shown]
	s_waitcnt lgkmcnt(0)
	v_mfma_f32_16x16x16_bf16 a[0:3], v[6:7], v[12:13], a[0:3]
	v_mov_b32_e32 v5, 0
	v_mov_b32_e32 v8, 0
	;; [unrolled: 1-line block ×3, first 2 shown]
	v_mfma_f32_16x16x16_bf16 a[4:7], v[6:7], v[10:11], a[4:7]
	v_mov_b32_e32 v6, 0
	v_mov_b32_e32 v7, 0
	;; [unrolled: 1-line block ×10, first 2 shown]
	s_cbranch_vccnz .LBB448_12
; %bb.11:                               ;   in Loop: Header=BB448_6 Depth=1
	s_and_b32 s21, s21, 0xffff
	buffer_load_dwordx4 v[14:17], v50, s[20:23], 0 offen
	buffer_load_dwordx4 v[10:13], v50, s[20:23], s54 offen
	;; [unrolled: 1-line block ×4, first 2 shown]
	v_mov_b32_e32 v101, v52
	v_mov_b32_e32 v100, v53
.LBB448_12:                             ;   in Loop: Header=BB448_6 Depth=1
	s_waitcnt vmcnt(4)
	ds_read_b64 v[22:23], v74 offset:32768
	s_waitcnt vmcnt(2)
	ds_read2_b64 v[18:21], v80 offset1:16
	ds_read_b64 v[26:27], v76 offset:32768
	ds_read_b64 v[28:29], v78 offset:32768
	ds_read_b64 v[30:31], v79 offset:32768
	v_add_u32_e32 v103, s55, v91
	s_waitcnt lgkmcnt(3)
	v_mfma_f32_16x16x16_bf16 a[0:3], v[22:23], v[18:19], a[0:3]
	v_mfma_f32_16x16x16_bf16 a[4:7], v[22:23], v[20:21], a[4:7]
	ds_read2st64_b64 v[18:21], v80 offset0:2 offset1:4
	ds_read2st64_b64 v[22:25], v81 offset0:2 offset1:4
	s_waitcnt lgkmcnt(1)
	v_mfma_f32_16x16x16_bf16 a[0:3], v[26:27], v[18:19], a[0:3]
	ds_read_b64 v[18:19], v80 offset:3072
	ds_read_b64 v[32:33], v81 offset:3072
	s_waitcnt lgkmcnt(2)
	v_mfma_f32_16x16x16_bf16 a[4:7], v[26:27], v[22:23], a[4:7]
	v_ashrrev_i32_e32 v22, 31, v103
	v_mul_lo_u32 v23, v103, s29
	v_mul_lo_u32 v22, v22, s28
	v_mfma_f32_16x16x16_bf16 a[0:3], v[28:29], v[20:21], a[0:3]
	v_mad_u64_u32 v[20:21], s[20:21], v103, s28, 0
	v_add3_u32 v21, v21, v23, v22
	v_lshl_add_u64 v[20:21], v[20:21], 2, s[38:39]
	global_load_dword v26, v[20:21], off
	v_add_u32_e32 v20, 1, v103
	v_ashrrev_i32_e32 v21, 31, v20
	s_waitcnt lgkmcnt(1)
	v_mfma_f32_16x16x16_bf16 a[0:3], v[30:31], v[18:19], a[0:3]
	v_mul_lo_u32 v21, v21, s28
	v_mul_lo_u32 v22, v20, s29
	v_mad_u64_u32 v[18:19], s[20:21], v20, s28, 0
	v_add_u32_e32 v20, 2, v103
	v_add3_u32 v19, v19, v22, v21
	v_ashrrev_i32_e32 v21, 31, v20
	v_mul_lo_u32 v22, v21, s28
	v_mul_lo_u32 v23, v20, s29
	v_mad_u64_u32 v[20:21], s[20:21], v20, s28, 0
	v_add3_u32 v21, v21, v23, v22
	v_add_u32_e32 v22, 3, v103
	v_ashrrev_i32_e32 v23, 31, v22
	v_mfma_f32_16x16x16_bf16 a[4:7], v[28:29], v[24:25], a[4:7]
	v_mul_lo_u32 v24, v23, s28
	v_mul_lo_u32 v25, v22, s29
	v_mad_u64_u32 v[22:23], s[20:21], v22, s28, 0
	s_add_u32 s20, s2, s55
	s_addc_u32 s21, s3, 0
	s_lshl_b64 s[20:21], s[20:21], 8
	v_add3_u32 v23, v23, v25, v24
	v_lshl_add_u64 v[24:25], v[36:37], 0, s[20:21]
	v_lshl_add_u64 v[18:19], v[18:19], 2, s[38:39]
	;; [unrolled: 1-line block ×4, first 2 shown]
	global_load_ushort v28, v[24:25], off
	global_load_ushort v27, v[24:25], off offset:256
	global_load_ushort v103, v[24:25], off offset:800
	;; [unrolled: 1-line block ×7, first 2 shown]
	v_lshl_add_u64 v[22:23], v[22:23], 2, s[38:39]
	global_load_dword v108, v[18:19], off
	global_load_dword v109, v[20:21], off
	global_load_dword v110, v[22:23], off
	s_load_dword s20, s[40:41], 0x0
	s_waitcnt lgkmcnt(0)
	v_mfma_f32_16x16x16_bf16 a[4:7], v[30:31], v[32:33], a[4:7]
	v_accvgpr_read_b32 v23, a1
	v_accvgpr_read_b32 v19, a3
	;; [unrolled: 1-line block ×4, first 2 shown]
	s_and_b64 vcc, exec, s[0:1]
	s_waitcnt vmcnt(11)
	v_sub_f32_e32 v32, s20, v26
	v_exp_f32_e32 v32, v32
	v_accvgpr_read_b32 v25, a5
	v_accvgpr_read_b32 v24, a4
	;; [unrolled: 1-line block ×4, first 2 shown]
	s_waitcnt vmcnt(10)
	v_lshlrev_b32_e32 v26, 16, v28
	s_waitcnt vmcnt(9)
	v_lshlrev_b32_e32 v27, 16, v27
	v_pk_add_f32 v[22:23], v[26:27], v[22:23] neg_lo:[0,1] neg_hi:[0,1]
	s_waitcnt vmcnt(7)
	v_lshlrev_b32_e32 v29, 16, v29
	v_mov_b32_e32 v26, 0
	s_waitcnt vmcnt(5)
	v_lshlrev_b32_e32 v28, 16, v104
	s_waitcnt vmcnt(4)
	v_lshlrev_b32_e32 v31, 16, v105
	s_waitcnt vmcnt(2)
	v_sub_f32_e32 v33, s20, v108
	s_waitcnt vmcnt(1)
	v_sub_f32_e32 v104, s20, v109
	;; [unrolled: 2-line block ×3, first 2 shown]
	v_exp_f32_e32 v33, v33
	v_exp_f32_e32 v104, v104
	;; [unrolled: 1-line block ×3, first 2 shown]
	v_pk_add_f32 v[18:19], v[28:29], v[18:19] neg_lo:[0,1] neg_hi:[0,1]
	v_lshlrev_b32_e32 v30, 16, v107
	v_pk_mul_f32 v[22:23], v[32:33], v[22:23]
	v_pk_mul_f32 v[18:19], v[104:105], v[18:19]
	v_mov_b32_e32 v27, 0
	v_perm_b32 v19, v19, v18, s31
	v_perm_b32 v18, v23, v22, s31
	v_pk_add_f32 v[22:23], v[30:31], v[24:25] neg_lo:[0,1] neg_hi:[0,1]
	v_lshlrev_b32_e32 v25, 16, v103
	v_lshlrev_b32_e32 v24, 16, v106
	v_pk_add_f32 v[20:21], v[24:25], v[20:21] neg_lo:[0,1] neg_hi:[0,1]
	v_pk_mul_f32 v[22:23], v[32:33], v[22:23]
	v_pk_mul_f32 v[20:21], v[104:105], v[20:21]
	v_mov_b32_e32 v103, 0
	v_perm_b32 v21, v21, v20, s31
	v_perm_b32 v20, v23, v22, s31
	ds_write2_b64 v55, v[18:19], v[20:21] offset1:16
	v_mov_b32_e32 v18, 0
	v_mov_b32_e32 v19, 0
	;; [unrolled: 1-line block ×14, first 2 shown]
	s_cbranch_vccnz .LBB448_14
; %bb.13:                               ;   in Loop: Header=BB448_6 Depth=1
	s_and_b32 s25, s25, 0xffff
	s_mov_b32 s27, s23
	buffer_load_dwordx4 v[30:33], v89, s[24:27], 0 offen
	buffer_load_dwordx4 v[22:25], v89, s[24:27], s54 offen
	buffer_load_dwordx4 v[26:29], v90, s[24:27], 0 offen
	buffer_load_dwordx4 v[18:21], v90, s[24:27], s54 offen
	v_mov_b32_e32 v102, v49
	v_mov_b32_e32 v103, v48
.LBB448_14:                             ;   in Loop: Header=BB448_6 Depth=1
	s_waitcnt lgkmcnt(0)
	s_barrier
	ds_read_b64 v[108:109], v92
	ds_read_b64 v[116:117], v85
	;; [unrolled: 1-line block ×5, first 2 shown]
	ds_read_b64 v[122:123], v86 offset:16384
	ds_read_b64 v[124:125], v84 offset:16384
	ds_read2_b64 v[104:107], v80 offset0:16 offset1:128
	s_waitcnt lgkmcnt(6)
	v_mfma_f32_16x16x16_bf16 a[0:3], v[108:109], v[116:117], 0
	ds_read_b64 v[126:127], v81 offset:3072
	ds_read_b64 v[128:129], v88 offset:16384
	s_add_i32 s21, s48, s61
	s_waitcnt lgkmcnt(2)
	v_mfma_f32_16x16x16_bf16 a[4:7], v[108:109], v[104:105], 0
	ds_read2st64_b64 v[108:111], v81 offset0:2 offset1:4
	s_mul_hi_i32 s25, s21, s13
	s_mul_i32 s21, s21, s13
	v_mfma_f32_16x16x16_bf16 a[0:3], v[112:113], v[106:107], a[0:3]
	s_add_u32 s24, s21, s33
	s_addc_u32 s25, s25, s52
	s_lshl_b64 s[24:25], s[24:25], 15
	s_waitcnt lgkmcnt(0)
	v_mfma_f32_16x16x16_bf16 a[4:7], v[112:113], v[108:109], a[4:7]
	ds_read2st64_b64 v[112:115], v80 offset0:4 offset1:6
	s_waitcnt lgkmcnt(0)
	v_mfma_f32_16x16x16_bf16 a[0:3], v[118:119], v[112:113], a[0:3]
	v_mfma_f32_16x16x16_bf16 a[8:11], v[118:119], v[110:111], a[4:7]
	;; [unrolled: 1-line block ×5, first 2 shown]
	ds_read2st64_b64 v[116:119], v83 offset1:8
	v_mfma_f32_16x16x16_bf16 a[12:15], v[124:125], v[104:105], 0
	ds_read_b64 v[124:125], v87 offset:16384
	v_mfma_f32_16x16x16_bf16 a[8:11], v[122:123], v[106:107], a[8:11]
	ds_read2st64_b64 v[104:107], v82 offset1:8
	s_waitcnt lgkmcnt(0)
	v_mov_b32_e32 v120, v104
	v_mfma_f32_16x16x16_bf16 a[12:15], v[122:123], v[108:109], a[12:15]
	v_lshl_add_u64 v[108:109], v[38:39], 0, s[24:25]
	v_add_co_u32_e32 v104, vcc, s35, v108
	v_mfma_f32_16x16x16_bf16 a[8:11], v[124:125], v[112:113], a[8:11]
	v_mov_b32_e32 v121, v105
	v_addc_co_u32_e32 v105, vcc, 0, v109, vcc
	v_mfma_f32_16x16x16_bf16 a[16:19], v[124:125], v[110:111], a[12:15]
	v_mov_b32_e32 v122, v116
	v_mov_b32_e32 v123, v117
	;; [unrolled: 1-line block ×3, first 2 shown]
	v_mfma_f32_16x16x16_bf16 a[12:15], v[128:129], v[114:115], a[8:11]
	v_mov_b32_e32 v117, v107
	s_and_b64 vcc, exec, s[0:1]
	global_store_dwordx4 v[108:109], v[120:123], off
	v_mfma_f32_16x16x16_bf16 a[8:11], v[128:129], v[126:127], a[16:19]
	global_store_dwordx4 v[104:105], v[116:119], off
	s_cbranch_vccnz .LBB448_16
; %bb.15:                               ;   in Loop: Header=BB448_6 Depth=1
	v_lshrrev_b32_e32 v104, 3, v102
	v_and_b32_e32 v104, 6, v104
	v_xor_b32_e32 v103, v104, v103
	v_lshlrev_b32_e32 v103, 2, v103
	v_and_b32_e32 v102, 8, v102
	v_xor_b32_e32 v105, 0x440, v103
	v_cmp_eq_u32_e32 vcc, 0, v102
	s_barrier
	s_nop 0
	v_cndmask_b32_e32 v102, v105, v103, vcc
	v_lshl_or_b32 v102, v104, 10, v102
	s_waitcnt vmcnt(3)
	v_perm_b32 v103, v30, v26, s56
	s_waitcnt vmcnt(2)
	v_perm_b32 v104, v22, v18, s56
	ds_write2st64_b32 v102, v103, v104 offset0:32 offset1:64
	v_xor_b32_e32 v103, 8, v102
	v_perm_b32 v26, v30, v26, s57
	v_perm_b32 v18, v22, v18, s57
	v_add_u32_e32 v22, 0x80, v103
	ds_write2st64_b32 v22, v26, v18 offset0:32 offset1:64
	v_xor_b32_e32 v18, 16, v102
	v_perm_b32 v22, v31, v27, s56
	v_perm_b32 v26, v23, v19, s56
	ds_write2st64_b32 v18, v22, v26 offset0:33 offset1:65
	v_xor_b32_e32 v18, 24, v102
	v_perm_b32 v22, v31, v27, s57
	v_perm_b32 v19, v23, v19, s57
	v_add_u32_e32 v18, 0x80, v18
	ds_write2st64_b32 v18, v22, v19 offset0:33 offset1:65
	v_xor_b32_e32 v18, 32, v102
	v_perm_b32 v19, v32, v28, s56
	;; [unrolled: 9-line block ×3, first 2 shown]
	v_perm_b32 v20, v25, v21, s56
	ds_write2st64_b32 v18, v19, v20 offset0:35 offset1:67
	v_xor_b32_e32 v18, 56, v102
	v_perm_b32 v19, v33, v29, s57
	v_perm_b32 v20, v25, v21, s57
	v_add_u32_e32 v18, 0x80, v18
	ds_write2st64_b32 v18, v19, v20 offset0:35 offset1:67
	ds_write_b64 v101, v[14:15] offset:24576
	v_xor_b32_e32 v14, 8, v101
	ds_write_b64 v14, v[16:17] offset:24576
	ds_write_b64 v101, v[10:11] offset:32768
	;; [unrolled: 1-line block ×4, first 2 shown]
	v_xor_b32_e32 v6, 8, v100
	ds_write_b64 v6, v[8:9] offset:24576
	ds_write_b64 v100, v[2:3] offset:32768
	;; [unrolled: 1-line block ×3, first 2 shown]
.LBB448_16:                             ;   in Loop: Header=BB448_6 Depth=1
	v_exp_f32_e32 v2, s20
	v_accvgpr_read_b32 v3, a4
	v_accvgpr_read_b32 v4, a5
	;; [unrolled: 1-line block ×3, first 2 shown]
	v_fma_f32 v72, v72, v2, v3
	v_accvgpr_read_b32 v3, a6
	v_fma_f32 v73, v73, v2, v3
	v_accvgpr_read_b32 v3, a0
	;; [unrolled: 2-line block ×11, first 2 shown]
	v_accvgpr_read_b32 v6, a15
	v_fma_f32 v62, v62, v2, v3
	v_accvgpr_read_b32 v3, a11
	s_add_i32 s55, s55, 64
	v_fmac_f32_e32 v5, v98, v2
	v_fmac_f32_e32 v4, v99, v2
	;; [unrolled: 1-line block ×3, first 2 shown]
	s_cmp_eq_u32 s46, s60
	v_fmac_f32_e32 v3, v97, v2
	s_cbranch_scc1 .LBB448_18
; %bb.17:                               ;   in Loop: Header=BB448_6 Depth=1
	s_mov_b32 s61, s60
	v_mov_b32_e32 v98, v5
	v_mov_b32_e32 v96, v6
	v_mov_b32_e32 v99, v4
	v_mov_b32_e32 v97, v3
	s_branch .LBB448_6
.LBB448_18:
	s_lshl_b32 s40, s46, 6
	s_sub_i32 s41, s12, s40
	s_cmp_gt_i32 s41, 0
	s_cbranch_scc0 .LBB448_83
; %bb.19:
	s_ashr_i32 s35, s45, 31
	s_ashr_i32 s2, s40, 31
	s_cmpk_lg_i32 s15, 0x80
	s_cselect_b64 s[26:27], -1, 0
	s_and_b64 vcc, exec, s[26:27]
	s_cbranch_vccz .LBB448_21
; %bb.20:
	s_mul_i32 s1, s45, s12
	s_mul_hi_i32 s0, s45, s12
	s_add_u32 s1, s1, s40
	s_addc_u32 s0, s0, s2
	s_mul_i32 s3, s1, s47
	s_mul_hi_u32 s20, s1, s14
	s_add_i32 s3, s20, s3
	s_mul_i32 s0, s0, s14
	s_add_i32 s3, s3, s0
	s_mul_i32 s1, s1, s14
	s_ashr_i32 s0, s50, 31
	s_add_u32 s38, s1, s50
	s_addc_u32 s39, s3, s0
	s_cbranch_execz .LBB448_22
	s_branch .LBB448_23
.LBB448_21:
                                        ; implicit-def: $sgpr38_sgpr39
.LBB448_22:
	s_mul_hi_i32 s0, s45, s14
	s_mul_i32 s45, s45, s14
	s_ashr_i32 s1, s50, 31
	s_add_u32 s3, s45, s50
	s_addc_u32 s0, s0, s1
	s_mul_i32 s1, s3, s44
	s_mul_hi_u32 s14, s3, s12
	s_add_i32 s1, s14, s1
	s_mul_i32 s0, s0, s12
	s_add_i32 s1, s1, s0
	s_mul_i32 s3, s3, s12
	s_add_u32 s38, s3, s40
	s_addc_u32 s39, s1, s2
.LBB448_23:
	s_add_i32 s3, s48, s46
	s_ashr_i32 s14, s33, 31
	s_add_u32 s0, s43, s33
	s_addc_u32 s1, s49, s14
	s_mul_i32 s20, s0, s44
	s_mul_hi_u32 s21, s0, s12
	s_add_i32 s20, s21, s20
	s_mul_i32 s1, s1, s12
	s_add_i32 s20, s20, s1
	s_mul_i32 s0, s0, s12
	s_add_u32 s0, s0, s40
	s_addc_u32 s1, s20, s2
	v_lshlrev_b32_e32 v10, 5, v46
	s_waitcnt vmcnt(4)
	v_lshlrev_b32_e32 v22, 2, v40
	s_mov_b32 s2, 0x7060302
	v_xor_b32_e32 v2, v46, v22
	v_perm_b32 v9, v5, v73, s2
	v_or_b32_e32 v5, v10, v22
	v_perm_b32 v8, v71, v72, s2
	v_perm_b32 v7, v6, v70, s2
	;; [unrolled: 1-line block ×3, first 2 shown]
	v_lshlrev_b32_e32 v5, 1, v5
	v_lshlrev_b32_e32 v12, 1, v2
	v_lshlrev_b32_e32 v2, 8, v40
	s_lshl_b64 s[24:25], s[0:1], 8
	v_xor_b32_e32 v11, v47, v22
	ds_write2st64_b64 v5, v[8:9], v[6:7] offset0:80 offset1:88
	v_or_b32_e32 v5, v12, v2
	s_add_u32 s0, s6, s24
	ds_write_b64 v5, v[8:9]
	v_lshlrev_b32_e32 v8, 1, v11
	s_addc_u32 s1, s7, s25
	v_or_b32_e32 v2, v8, v2
	s_mul_hi_i32 s6, s3, s13
	s_mul_i32 s3, s3, s13
	ds_write_b64 v2, v[6:7]
	v_perm_b32 v5, v4, v65, s2
	v_perm_b32 v4, v63, v64, s2
	;; [unrolled: 1-line block ×4, first 2 shown]
	v_or_b32_e32 v6, 16, v40
	s_add_u32 s2, s3, s33
	s_waitcnt vmcnt(2)
	v_lshlrev_b32_e32 v19, 2, v6
	s_addc_u32 s3, s6, s14
	v_or_b32_e32 v7, v10, v19
	s_ashr_i32 s31, s30, 31
	s_lshl_b64 s[2:3], s[2:3], 15
	v_lshlrev_b32_e32 v7, 1, v7
	v_lshlrev_b32_e32 v6, 8, v6
	s_add_u32 s6, s36, s2
	ds_write2st64_b64 v7, v[4:5], v[2:3] offset0:80 offset1:88
	v_or_b32_e32 v7, v12, v6
	s_addc_u32 s7, s37, s3
	s_lshl_b64 s[2:3], s[30:31], 8
	ds_write_b64 v7, v[4:5]
	v_or_b32_e32 v4, v8, v6
	s_add_u32 s2, s6, s2
	ds_write_b64 v4, v[2:3]
	v_lshrrev_b32_e32 v2, 4, v0
	s_addc_u32 s3, s7, s3
	v_lshlrev_b32_e32 v3, 1, v40
	v_lshlrev_b32_e32 v10, 4, v40
	v_mov_b32_e32 v11, 0
	v_or_b32_e32 v4, 1, v3
	v_xor_b32_e32 v3, v2, v3
	v_lshl_add_u64 v[12:13], s[2:3], 0, v[10:11]
	v_lshlrev_b32_e32 v10, 8, v2
	v_xor_b32_e32 v6, v4, v2
	v_lshl_or_b32 v2, v3, 3, v10
	s_waitcnt lgkmcnt(0)
	s_barrier
	ds_read2st64_b64 v[2:5], v2 offset1:8
	v_lshl_or_b32 v6, v6, 3, v10
	ds_read2st64_b64 v[6:9], v6 offset1:8
	v_lshl_add_u64 v[14:15], v[12:13], 0, v[10:11]
	s_movk_i32 s2, 0x1000
	s_waitcnt lgkmcnt(1)
	v_mov_b32_e32 v10, v2
	v_add_co_u32_e32 v2, vcc, s2, v14
	s_cmp_lg_u32 s41, 64
	v_mov_b32_e32 v11, v3
	v_addc_co_u32_e32 v3, vcc, 0, v15, vcc
	s_cselect_b64 s[6:7], -1, 0
	v_lshl_or_b32 v23, v42, 3, v45
	s_waitcnt lgkmcnt(0)
	v_mov_b32_e32 v12, v6
	v_mov_b32_e32 v13, v7
	;; [unrolled: 1-line block ×4, first 2 shown]
	s_mov_b32 s20, 0
	v_or_b32_e32 v20, 32, v23
	v_and_b32_e32 v18, 56, v44
	s_and_b64 vcc, exec, s[6:7]
	global_store_dwordx4 v[14:15], v[10:13], off
	global_store_dwordx4 v[2:3], v[6:9], off
	s_cbranch_vccz .LBB448_29
; %bb.24:
	s_mov_b32 s21, s20
	s_mov_b32 s22, s20
	;; [unrolled: 1-line block ×3, first 2 shown]
	v_mov_b64_e32 v[6:7], s[20:21]
	v_mov_b64_e32 v[8:9], s[22:23]
	;; [unrolled: 1-line block ×3, first 2 shown]
	v_cmp_gt_i32_e32 vcc, s41, v23
	v_mov_b64_e32 v[4:5], v[8:9]
	s_and_saveexec_b64 s[2:3], vcc
	s_cbranch_execz .LBB448_26
; %bb.25:
	v_lshlrev_b32_e32 v2, 8, v23
	v_mov_b32_e32 v3, 0
	v_lshl_add_u64 v[4:5], s[0:1], 0, v[2:3]
	v_lshlrev_b32_e32 v2, 1, v18
	v_lshl_add_u64 v[10:11], v[4:5], 0, v[2:3]
	global_load_dwordx4 v[6:9], v[10:11], off
	global_load_dwordx4 v[2:5], v[10:11], off offset:128
.LBB448_26:
	s_or_b64 exec, exec, s[2:3]
	s_mov_b32 s21, s20
	s_mov_b32 s22, s20
	;; [unrolled: 1-line block ×3, first 2 shown]
	v_mov_b64_e32 v[14:15], s[20:21]
	v_mov_b64_e32 v[16:17], s[22:23]
	;; [unrolled: 1-line block ×3, first 2 shown]
	v_cmp_gt_i32_e32 vcc, s41, v20
	v_lshlrev_b32_e32 v21, 7, v20
	v_mov_b64_e32 v[12:13], v[16:17]
	s_and_saveexec_b64 s[2:3], vcc
	s_cbranch_execz .LBB448_28
; %bb.27:
	v_lshlrev_b32_e32 v10, 1, v21
	v_mov_b32_e32 v11, 0
	v_lshl_add_u64 v[12:13], s[0:1], 0, v[10:11]
	v_lshlrev_b32_e32 v10, 1, v18
	v_lshl_add_u64 v[24:25], v[12:13], 0, v[10:11]
	global_load_dwordx4 v[14:17], v[24:25], off
	global_load_dwordx4 v[10:13], v[24:25], off offset:128
.LBB448_28:
	s_or_b64 exec, exec, s[2:3]
	v_lshrrev_b32_e32 v24, 3, v18
	v_lshlrev_b32_e32 v25, 3, v23
	v_or_b32_e32 v24, v25, v24
	v_lshlrev_b32_e32 v24, 4, v24
	v_and_b32_e32 v25, 0x78, v25
	v_xor_b32_e32 v24, v24, v25
	s_branch .LBB448_31
.LBB448_29:
                                        ; implicit-def: $vgpr24
                                        ; implicit-def: $vgpr21
                                        ; implicit-def: $vgpr6_vgpr7_vgpr8_vgpr9
                                        ; implicit-def: $vgpr2_vgpr3_vgpr4_vgpr5
                                        ; implicit-def: $vgpr14_vgpr15_vgpr16_vgpr17
                                        ; implicit-def: $vgpr10_vgpr11_vgpr12_vgpr13
	s_cbranch_execz .LBB448_31
; %bb.30:
	s_waitcnt vmcnt(0)
	v_lshlrev_b32_e32 v2, 1, v18
	v_lshl_or_b32 v21, v23, 8, v2
	s_and_b32 s1, s1, 0xffff
	s_mov_b32 s3, 0x20000
	s_movk_i32 s2, 0x4000
	v_lshl_or_b32 v24, v20, 8, v2
	s_movk_i32 s13, 0x80
	buffer_load_dwordx4 v[6:9], v21, s[0:3], 0 offen
	buffer_load_dwordx4 v[2:5], v21, s[0:3], s13 offen
	;; [unrolled: 1-line block ×4, first 2 shown]
	v_lshrrev_b32_e32 v21, 3, v18
	v_lshlrev_b32_e32 v24, 3, v23
	v_or_b32_e32 v21, v24, v21
	v_lshlrev_b32_e32 v21, 4, v21
	v_and_b32_e32 v24, 0x78, v24
	v_xor_b32_e32 v24, v21, v24
	v_lshlrev_b32_e32 v21, 7, v20
.LBB448_31:
	s_lshl_b64 s[0:1], s[38:39], 8
	s_add_u32 s4, s4, s0
	s_movk_i32 s0, 0x1000
	v_and_or_b32 v20, v21, s0, v24
	s_waitcnt vmcnt(1)
	ds_write_b64 v24, v[6:7] offset:24576
	v_xor_b32_e32 v6, 8, v24
	ds_write_b64 v6, v[8:9] offset:24576
	s_waitcnt vmcnt(0)
	ds_write_b64 v24, v[2:3] offset:32768
	ds_write_b64 v6, v[4:5] offset:32768
	;; [unrolled: 1-line block ×3, first 2 shown]
	v_xor_b32_e32 v2, 8, v20
	ds_write_b64 v2, v[16:17] offset:24576
	ds_write_b64 v20, v[10:11] offset:32768
	ds_write_b64 v2, v[12:13] offset:32768
	v_or_b32_e32 v2, v1, v40
	v_lshlrev_b32_e32 v3, 11, v42
	v_lshlrev_b32_e32 v2, 3, v2
	v_and_b32_e32 v6, 0x1000, v3
	v_lshrrev_b32_e32 v3, 5, v41
	s_movk_i32 s13, 0xf8
	v_and_or_b32 v3, v2, s13, v3
	v_lshlrev_b32_e32 v7, 4, v3
	v_and_b32_e32 v8, 0x78, v2
	v_or_b32_e32 v10, 32, v7
	v_lshrrev_b32_e32 v3, 1, v41
	v_xor_b32_e32 v10, v10, v8
	v_xor_b32_e32 v2, v7, v8
	v_and_b32_e32 v9, 8, v3
	v_or_b32_e32 v10, v10, v6
	v_or_b32_e32 v2, v2, v6
	v_xor_b32_e32 v26, v10, v9
	v_or_b32_e32 v10, 64, v7
	v_xor_b32_e32 v25, v2, v9
	v_xor_b32_e32 v10, v10, v8
	s_waitcnt lgkmcnt(0)
	s_barrier
	v_or_b32_e32 v12, v10, v6
	ds_read_b64 v[10:11], v25 offset:24576
	v_lshl_or_b32 v20, v43, 7, v22
	v_lshlrev_b32_e32 v24, 1, v20
	v_add_u32_e32 v2, 0xa000, v24
	ds_read2_b64 v[2:5], v2 offset1:16
	v_or_b32_e32 v7, 0x60, v7
	v_xor_b32_e32 v7, v7, v8
	s_waitcnt lgkmcnt(0)
	v_mfma_f32_16x16x16_bf16 a[0:3], v[10:11], v[2:3], 0
	v_or_b32_e32 v2, 64, v20
	v_or_b32_e32 v6, v7, v6
	v_lshlrev_b32_e32 v29, 1, v2
	v_xor_b32_e32 v27, v12, v9
	v_xor_b32_e32 v28, v6, v9
	ds_read_b64 v[12:13], v26 offset:24576
	ds_read_b64 v[14:15], v27 offset:24576
	;; [unrolled: 1-line block ×3, first 2 shown]
	v_mfma_f32_16x16x16_bf16 a[4:7], v[10:11], v[4:5], 0
	ds_read2st64_b64 v[2:5], v29 offset0:82 offset1:84
	ds_read2st64_b64 v[6:9], v24 offset0:82 offset1:84
	s_addc_u32 s5, s5, s1
	s_add_i32 s2, s12, -1
	s_add_i32 s0, s42, s17
	s_mul_i32 s35, s35, s16
	s_add_i32 s35, s0, s35
	s_mul_i32 s0, s33, s19
	s_mul_hi_u32 s1, s33, s18
	s_ashr_i32 s3, s2, 31
	s_mul_i32 s12, s2, s29
	s_mul_hi_u32 s13, s2, s28
	s_add_i32 s0, s1, s0
	s_mul_i32 s1, s14, s18
	s_add_i32 s12, s13, s12
	s_mul_i32 s3, s3, s28
	s_waitcnt lgkmcnt(1)
	v_mfma_f32_16x16x16_bf16 a[4:7], v[12:13], v[2:3], a[4:7]
	s_add_i32 s1, s0, s1
	s_add_i32 s3, s12, s3
	s_lshl_b64 s[12:13], s[34:35], 2
	s_waitcnt lgkmcnt(0)
	v_mfma_f32_16x16x16_bf16 a[0:3], v[12:13], v[6:7], a[0:3]
	s_mul_i32 s0, s33, s18
	s_add_u32 s10, s10, s12
	s_addc_u32 s11, s11, s13
	s_lshl_b64 s[0:1], s[0:1], 2
	s_mul_i32 s2, s2, s28
	s_add_u32 s10, s10, s0
	ds_read_b64 v[2:3], v24 offset:44032
	v_mfma_f32_16x16x16_bf16 a[4:7], v[14:15], v[4:5], a[4:7]
	ds_read_b64 v[4:5], v29 offset:44032
	s_addc_u32 s11, s11, s1
	s_lshl_b64 s[0:1], s[2:3], 2
	v_mfma_f32_16x16x16_bf16 a[0:3], v[14:15], v[8:9], a[0:3]
	s_add_u32 s0, s10, s0
	s_addc_u32 s1, s11, s1
	s_load_dword s12, s[0:1], 0x0
	s_waitcnt lgkmcnt(0)
	v_mfma_f32_16x16x16_bf16 a[0:3], v[16:17], v[2:3], a[0:3]
	s_and_b64 vcc, exec, s[26:27]
	v_mfma_f32_16x16x16_bf16 a[4:7], v[16:17], v[4:5], a[4:7]
	s_cbranch_vccz .LBB448_42
; %bb.32:
	v_lshlrev_b32_e32 v20, 1, v23
	s_and_b64 vcc, exec, s[6:7]
	s_cbranch_vccz .LBB448_43
; %bb.33:
	v_cmp_gt_i32_e32 vcc, s41, v20
	v_mov_b32_e32 v6, 0
	v_mov_b32_e32 v2, 0
	;; [unrolled: 1-line block ×5, first 2 shown]
	s_and_saveexec_b64 s[0:1], vcc
	s_cbranch_execz .LBB448_35
; %bb.34:
	v_mad_i64_i32 v[2:3], s[2:3], s15, v20, 0
	v_lshl_add_u64 v[2:3], v[2:3], 1, s[4:5]
	v_lshlrev_b32_e32 v4, 1, v18
	v_mov_b32_e32 v5, 0
	v_lshl_add_u64 v[2:3], v[2:3], 0, v[4:5]
	global_load_dwordx4 v[2:5], v[2:3], off
.LBB448_35:
	s_or_b64 exec, exec, s[0:1]
	v_or_b32_e32 v21, 1, v20
	v_cmp_gt_i32_e64 s[0:1], s41, v21
	v_mov_b32_e32 v7, 0
	v_mov_b32_e32 v8, 0
	;; [unrolled: 1-line block ×3, first 2 shown]
	s_and_saveexec_b64 s[2:3], s[0:1]
	s_cbranch_execz .LBB448_37
; %bb.36:
	v_mad_i64_i32 v[6:7], s[16:17], s15, v21, 0
	v_lshl_add_u64 v[6:7], v[6:7], 1, s[4:5]
	v_lshlrev_b32_e32 v8, 1, v18
	v_mov_b32_e32 v9, 0
	v_lshl_add_u64 v[6:7], v[6:7], 0, v[8:9]
	global_load_dwordx4 v[6:9], v[6:7], off
.LBB448_37:
	s_or_b64 exec, exec, s[2:3]
	v_mov_b32_e32 v17, 0
	v_mov_b32_e32 v10, 0
	;; [unrolled: 1-line block ×5, first 2 shown]
	s_and_saveexec_b64 s[2:3], vcc
	s_cbranch_execz .LBB448_39
; %bb.38:
	v_mad_i64_i32 v[10:11], s[16:17], s15, v20, 0
	v_lshl_add_u64 v[10:11], v[10:11], 1, s[4:5]
	v_lshlrev_b32_e32 v12, 1, v18
	v_mov_b32_e32 v13, 0
	v_lshl_add_u64 v[10:11], v[10:11], 0, v[12:13]
	global_load_dwordx4 v[10:13], v[10:11], off offset:128
.LBB448_39:
	s_or_b64 exec, exec, s[2:3]
	v_mov_b32_e32 v16, 0
	v_mov_b32_e32 v15, 0
	;; [unrolled: 1-line block ×3, first 2 shown]
	s_and_saveexec_b64 s[2:3], s[0:1]
	s_cbranch_execz .LBB448_41
; %bb.40:
	v_mad_i64_i32 v[14:15], s[0:1], s15, v21, 0
	v_lshl_add_u64 v[14:15], v[14:15], 1, s[4:5]
	v_lshlrev_b32_e32 v16, 1, v18
	v_mov_b32_e32 v17, 0
	v_lshl_add_u64 v[14:15], v[14:15], 0, v[16:17]
	global_load_dwordx4 v[14:17], v[14:15], off offset:128
.LBB448_41:
	s_or_b64 exec, exec, s[2:3]
	s_branch .LBB448_45
.LBB448_42:
                                        ; implicit-def: $vgpr5
                                        ; implicit-def: $vgpr9
                                        ; implicit-def: $vgpr13
                                        ; implicit-def: $vgpr17
	v_lshrrev_b32_e32 v30, 2, v41
	s_branch .LBB448_46
.LBB448_43:
                                        ; implicit-def: $vgpr5
                                        ; implicit-def: $vgpr9
                                        ; implicit-def: $vgpr13
                                        ; implicit-def: $vgpr17
	s_cbranch_execz .LBB448_45
; %bb.44:
	s_waitcnt vmcnt(0)
	v_mad_u64_u32 v[2:3], s[0:1], v20, s15, v[18:19]
	v_lshlrev_b32_e32 v20, 1, v2
	s_lshl_b32 s2, s15, 7
	s_and_b32 s1, s5, 0xffff
	s_mov_b32 s3, 0x20000
	s_mov_b32 s0, s4
	v_add_lshl_u32 v21, v2, s15, 1
	s_movk_i32 s13, 0x80
	buffer_load_dwordx4 v[2:5], v20, s[0:3], 0 offen
	buffer_load_dwordx4 v[10:13], v20, s[0:3], s13 offen
	buffer_load_dwordx4 v[6:9], v21, s[0:3], 0 offen
	buffer_load_dwordx4 v[14:17], v21, s[0:3], s13 offen
.LBB448_45:
	v_lshrrev_b32_e32 v30, 2, v41
	s_cbranch_execnz .LBB448_58
.LBB448_46:
	s_and_b64 vcc, exec, s[6:7]
	s_cbranch_vccz .LBB448_56
; %bb.47:
	s_waitcnt vmcnt(0)
	v_lshlrev_b32_e32 v7, 1, v23
	v_cmp_gt_i32_e32 vcc, s41, v7
	v_mov_b32_e32 v6, 0
	v_lshlrev_b32_e32 v14, 9, v23
	v_mov_b32_e32 v2, 0
	v_mov_b32_e32 v3, 0
	;; [unrolled: 1-line block ×4, first 2 shown]
	s_and_saveexec_b64 s[0:1], vcc
	s_cbranch_execz .LBB448_49
; %bb.48:
	v_mov_b32_e32 v15, 0
	v_lshl_add_u64 v[2:3], s[4:5], 0, v[14:15]
	v_lshlrev_b32_e32 v4, 1, v18
	v_mov_b32_e32 v5, v15
	v_lshl_add_u64 v[2:3], v[2:3], 0, v[4:5]
	global_load_dwordx4 v[2:5], v[2:3], off
.LBB448_49:
	s_or_b64 exec, exec, s[0:1]
	v_or_b32_e32 v7, 1, v7
	v_cmp_gt_i32_e64 s[0:1], s41, v7
	v_lshlrev_b32_e32 v20, 8, v7
	v_mov_b32_e32 v7, 0
	v_mov_b32_e32 v8, 0
	;; [unrolled: 1-line block ×3, first 2 shown]
	s_and_saveexec_b64 s[2:3], s[0:1]
	s_cbranch_execz .LBB448_51
; %bb.50:
	v_mov_b32_e32 v21, 0
	v_lshl_add_u64 v[6:7], s[4:5], 0, v[20:21]
	v_lshlrev_b32_e32 v8, 1, v18
	v_mov_b32_e32 v9, v21
	v_lshl_add_u64 v[6:7], v[6:7], 0, v[8:9]
	global_load_dwordx4 v[6:9], v[6:7], off
.LBB448_51:
	s_or_b64 exec, exec, s[2:3]
	v_mov_b32_e32 v17, 0
	v_mov_b32_e32 v10, 0
	v_mov_b32_e32 v11, 0
	v_mov_b32_e32 v12, 0
	v_mov_b32_e32 v13, 0
	s_and_saveexec_b64 s[2:3], vcc
	s_cbranch_execz .LBB448_53
; %bb.52:
	v_mov_b32_e32 v15, 0
	v_lshl_add_u64 v[10:11], s[4:5], 0, v[14:15]
	v_lshlrev_b32_e32 v14, 1, v18
	v_lshl_add_u64 v[10:11], v[10:11], 0, v[14:15]
	global_load_dwordx4 v[10:13], v[10:11], off offset:128
.LBB448_53:
	s_or_b64 exec, exec, s[2:3]
	v_mov_b32_e32 v16, 0
	v_mov_b32_e32 v15, 0
	;; [unrolled: 1-line block ×3, first 2 shown]
	s_and_saveexec_b64 s[2:3], s[0:1]
	s_cbranch_execz .LBB448_55
; %bb.54:
	v_mov_b32_e32 v21, 0
	v_lshl_add_u64 v[14:15], s[4:5], 0, v[20:21]
	v_lshlrev_b32_e32 v20, 1, v18
	v_lshl_add_u64 v[14:15], v[14:15], 0, v[20:21]
	global_load_dwordx4 v[14:17], v[14:15], off offset:128
.LBB448_55:
	s_or_b64 exec, exec, s[2:3]
	s_branch .LBB448_58
.LBB448_56:
                                        ; implicit-def: $vgpr5
                                        ; implicit-def: $vgpr9
                                        ; implicit-def: $vgpr13
                                        ; implicit-def: $vgpr17
	s_cbranch_execz .LBB448_58
; %bb.57:
	s_waitcnt vmcnt(0)
	v_lshlrev_b32_e32 v2, 1, v18
	v_lshl_or_b32 v18, v23, 9, v2
	s_and_b32 s5, s5, 0xffff
	s_mov_b32 s7, 0x20000
	s_movk_i32 s6, 0x4000
	s_movk_i32 s0, 0x80
	buffer_load_dwordx4 v[2:5], v18, s[4:7], 0 offen
	buffer_load_dwordx4 v[6:9], v18, s[4:7], 0 offen offset:256
	buffer_load_dwordx4 v[10:13], v18, s[4:7], s0 offen
	buffer_load_dwordx4 v[14:17], v18, s[4:7], s0 offen offset:256
.LBB448_58:
	ds_read_b64 v[20:21], v25 offset:32768
	v_add_u32_e32 v18, 0xb000, v24
	ds_read2_b64 v[32:35], v18 offset1:16
	ds_read_b64 v[42:43], v26 offset:32768
	ds_read_b64 v[26:27], v27 offset:32768
	;; [unrolled: 1-line block ×3, first 2 shown]
	v_and_b32_e32 v18, 6, v0
	v_xor_b32_e32 v23, v23, v18
	v_lshlrev_b32_e32 v23, 2, v23
	v_and_b32_e32 v0, 1, v0
	v_xor_b32_e32 v28, 0x440, v23
	v_cmp_eq_u32_e32 vcc, 0, v0
	s_waitcnt lgkmcnt(3)
	v_mfma_f32_16x16x16_bf16 a[0:3], v[20:21], v[32:33], a[0:3]
	s_mov_b32 s0, 0x1000504
	v_cndmask_b32_e32 v0, v28, v23, vcc
	v_lshl_or_b32 v0, v18, 10, v0
	v_mfma_f32_16x16x16_bf16 a[4:7], v[20:21], v[34:35], a[4:7]
	ds_read2st64_b64 v[32:35], v24 offset0:90 offset1:92
	ds_read2st64_b64 v[36:39], v29 offset0:90 offset1:92
	ds_read_b64 v[20:21], v24 offset:48128
	ds_read_b64 v[24:25], v29 offset:48128
	s_waitcnt vmcnt(0)
	v_perm_b32 v18, v2, v6, s0
	s_waitcnt lgkmcnt(3)
	v_mfma_f32_16x16x16_bf16 a[0:3], v[42:43], v[32:33], a[0:3]
	s_mov_b32 s1, 0x3020706
	v_perm_b32 v2, v2, v6, s1
	v_perm_b32 v6, v10, v14, s1
	s_waitcnt lgkmcnt(2)
	v_mfma_f32_16x16x16_bf16 a[4:7], v[42:43], v[36:37], a[4:7]
	v_mfma_f32_16x16x16_bf16 a[0:3], v[26:27], v[34:35], a[0:3]
	;; [unrolled: 1-line block ×3, first 2 shown]
	s_waitcnt lgkmcnt(1)
	v_mfma_f32_16x16x16_bf16 a[4:7], v[44:45], v[20:21], a[0:3]
	v_perm_b32 v20, v10, v14, s0
	ds_write2st64_b32 v0, v18, v20 offset0:32 offset1:64
	v_xor_b32_e32 v18, 8, v0
	v_add_u32_e32 v10, 0x80, v18
	ds_write2st64_b32 v10, v2, v6 offset0:32 offset1:64
	v_xor_b32_e32 v2, 16, v0
	v_perm_b32 v6, v3, v7, s0
	v_perm_b32 v10, v11, v15, s0
	ds_write2st64_b32 v2, v6, v10 offset0:33 offset1:65
	v_xor_b32_e32 v2, 24, v0
	v_perm_b32 v3, v3, v7, s1
	v_perm_b32 v6, v11, v15, s1
	v_add_u32_e32 v2, 0x80, v2
	ds_write2st64_b32 v2, v3, v6 offset0:33 offset1:65
	v_xor_b32_e32 v2, 32, v0
	v_perm_b32 v3, v4, v8, s0
	v_perm_b32 v6, v12, v16, s0
	s_waitcnt lgkmcnt(4)
	v_mfma_f32_16x16x16_bf16 a[0:3], v[44:45], v[24:25], a[8:11]
	ds_write2st64_b32 v2, v3, v6 offset0:34 offset1:66
	v_xor_b32_e32 v2, 40, v0
	v_perm_b32 v3, v4, v8, s1
	v_perm_b32 v4, v12, v16, s1
	v_add_u32_e32 v2, 0x80, v2
	ds_write2st64_b32 v2, v3, v4 offset0:34 offset1:66
	v_xor_b32_e32 v2, 48, v0
	v_perm_b32 v3, v5, v9, s0
	v_perm_b32 v4, v13, v17, s0
	v_xor_b32_e32 v0, 56, v0
	v_and_or_b32 v18, v30, 12, v1
	ds_write2st64_b32 v2, v3, v4 offset0:35 offset1:67
	v_perm_b32 v2, v5, v9, s1
	v_perm_b32 v3, v13, v17, s1
	v_add_u32_e32 v0, 0x80, v0
	v_cmp_gt_i32_e32 vcc, s41, v18
	v_mov_b32_e32 v14, 0
	v_mov_b32_e32 v16, 0
	ds_write2st64_b32 v0, v2, v3 offset0:35 offset1:67
	s_and_saveexec_b64 s[0:1], vcc
	s_cbranch_execz .LBB448_60
; %bb.59:
	v_add_u32_e32 v0, s40, v18
	v_ashrrev_i32_e32 v1, 31, v0
	v_mul_lo_u32 v2, v1, s28
	v_mul_lo_u32 v3, v0, s29
	v_mad_u64_u32 v[0:1], s[2:3], v0, s28, 0
	v_add3_u32 v1, v1, v3, v2
	v_lshl_add_u64 v[0:1], v[0:1], 2, s[10:11]
	global_load_dword v0, v[0:1], off
	s_waitcnt vmcnt(0)
	v_sub_f32_e32 v0, s12, v0
	v_exp_f32_e32 v16, v0
.LBB448_60:
	s_or_b64 exec, exec, s[0:1]
	v_or_b32_e32 v8, 1, v18
	v_cmp_gt_i32_e64 s[0:1], s41, v8
	s_and_saveexec_b64 s[2:3], s[0:1]
	s_cbranch_execz .LBB448_62
; %bb.61:
	v_add_u32_e32 v0, s40, v8
	v_ashrrev_i32_e32 v1, 31, v0
	v_mul_lo_u32 v2, v1, s28
	v_mul_lo_u32 v3, v0, s29
	v_mad_u64_u32 v[0:1], s[4:5], v0, s28, 0
	v_add3_u32 v1, v1, v3, v2
	v_lshl_add_u64 v[0:1], v[0:1], 2, s[10:11]
	global_load_dword v0, v[0:1], off
	s_waitcnt vmcnt(0)
	v_sub_f32_e32 v0, s12, v0
	v_exp_f32_e32 v14, v0
.LBB448_62:
	s_or_b64 exec, exec, s[2:3]
	v_or_b32_e32 v10, 2, v18
	v_cmp_gt_i32_e64 s[2:3], s41, v10
	v_mov_b32_e32 v15, 0
	v_mov_b32_e32 v17, 0
	s_and_saveexec_b64 s[4:5], s[2:3]
	s_cbranch_execz .LBB448_64
; %bb.63:
	v_add_u32_e32 v0, s40, v10
	v_ashrrev_i32_e32 v1, 31, v0
	v_mul_lo_u32 v2, v1, s28
	v_mul_lo_u32 v3, v0, s29
	v_mad_u64_u32 v[0:1], s[6:7], v0, s28, 0
	v_add3_u32 v1, v1, v3, v2
	v_lshl_add_u64 v[0:1], v[0:1], 2, s[10:11]
	global_load_dword v0, v[0:1], off
	s_waitcnt vmcnt(0)
	v_sub_f32_e32 v0, s12, v0
	v_exp_f32_e32 v17, v0
.LBB448_64:
	s_or_b64 exec, exec, s[4:5]
	v_or_b32_e32 v12, 3, v18
	v_cmp_gt_i32_e64 s[4:5], s41, v12
	s_and_saveexec_b64 s[6:7], s[4:5]
	s_cbranch_execz .LBB448_66
; %bb.65:
	v_add_u32_e32 v0, s40, v12
	v_ashrrev_i32_e32 v1, 31, v0
	v_mul_lo_u32 v2, v1, s28
	v_mul_lo_u32 v3, v0, s29
	v_mad_u64_u32 v[0:1], s[14:15], v0, s28, 0
	v_add3_u32 v1, v1, v3, v2
	v_lshl_add_u64 v[0:1], v[0:1], 2, s[10:11]
	global_load_dword v0, v[0:1], off
	s_waitcnt vmcnt(0)
	v_sub_f32_e32 v0, s12, v0
	v_exp_f32_e32 v15, v0
.LBB448_66:
	s_or_b64 exec, exec, s[6:7]
	v_or_b32_e32 v4, s30, v40
	s_add_u32 s6, s8, s24
	v_accvgpr_read_b32 v0, a4
	s_addc_u32 s7, s9, s25
	v_ashrrev_i32_e32 v5, 31, v4
	v_accvgpr_read_b32 v1, a5
	v_accvgpr_read_b32 v2, a6
	;; [unrolled: 1-line block ×3, first 2 shown]
	v_lshl_add_u64 v[4:5], v[4:5], 1, s[6:7]
	v_mov_b32_e32 v9, 0
	v_lshlrev_b32_e32 v6, 8, v18
	v_mov_b32_e32 v7, 0
	s_and_saveexec_b64 s[6:7], vcc
	s_cbranch_execz .LBB448_68
; %bb.67:
	v_mov_b32_e32 v7, 0
	v_lshl_add_u64 v[20:21], v[4:5], 0, v[6:7]
	global_load_ushort v7, v[20:21], off
	s_waitcnt vmcnt(0)
	v_lshlrev_b32_e32 v7, 16, v7
	v_sub_f32_e32 v0, v7, v0
	v_mul_f32_e32 v0, v16, v0
	v_lshrrev_b32_e32 v7, 16, v0
.LBB448_68:
	s_or_b64 exec, exec, s[6:7]
	v_lshlrev_b32_e32 v8, 8, v8
	s_and_saveexec_b64 s[6:7], s[0:1]
	s_cbranch_execz .LBB448_70
; %bb.69:
	v_mov_b32_e32 v9, 0
	v_lshl_add_u64 v[20:21], v[4:5], 0, v[8:9]
	global_load_ushort v0, v[20:21], off
	s_waitcnt vmcnt(0)
	v_lshlrev_b32_e32 v0, 16, v0
	v_sub_f32_e32 v0, v0, v1
	v_mul_f32_e32 v0, v14, v0
	v_lshrrev_b32_e32 v9, 16, v0
.LBB448_70:
	s_or_b64 exec, exec, s[6:7]
	v_mov_b32_e32 v13, 0
	v_lshlrev_b32_e32 v10, 8, v10
	v_mov_b32_e32 v11, 0
	s_and_saveexec_b64 s[6:7], s[2:3]
	s_cbranch_execz .LBB448_72
; %bb.71:
	v_mov_b32_e32 v11, 0
	v_lshl_add_u64 v[0:1], v[4:5], 0, v[10:11]
	global_load_ushort v0, v[0:1], off
	s_waitcnt vmcnt(0)
	v_lshlrev_b32_e32 v0, 16, v0
	v_sub_f32_e32 v0, v0, v2
	v_mul_f32_e32 v0, v17, v0
	v_lshrrev_b32_e32 v11, 16, v0
.LBB448_72:
	s_or_b64 exec, exec, s[6:7]
	v_lshlrev_b32_e32 v12, 8, v12
	s_and_saveexec_b64 s[6:7], s[4:5]
	s_cbranch_execz .LBB448_74
; %bb.73:
	v_mov_b32_e32 v13, 0
	v_lshl_add_u64 v[0:1], v[4:5], 0, v[12:13]
	global_load_ushort v0, v[0:1], off
	s_waitcnt vmcnt(0)
	v_lshlrev_b32_e32 v0, 16, v0
	v_sub_f32_e32 v0, v0, v3
	v_mul_f32_e32 v0, v15, v0
	v_lshrrev_b32_e32 v13, 16, v0
.LBB448_74:
	s_or_b64 exec, exec, s[6:7]
	v_lshlrev_b32_e32 v18, 5, v18
	s_mov_b32 s6, 0x5040100
	v_perm_b32 v20, v9, v7, s6
	v_or_b32_e32 v7, v18, v22
	v_accvgpr_read_b32 v0, a0
	v_perm_b32 v21, v13, v11, s6
	v_lshlrev_b32_e32 v7, 1, v7
	v_accvgpr_read_b32 v1, a1
	v_accvgpr_read_b32 v2, a2
	;; [unrolled: 1-line block ×3, first 2 shown]
	ds_write_b64 v7, v[20:21] offset:45056
	v_mov_b32_e32 v9, 0
	v_mov_b32_e32 v7, 0
	s_and_saveexec_b64 s[6:7], vcc
	s_cbranch_execz .LBB448_76
; %bb.75:
	v_mov_b32_e32 v7, 0
	v_lshl_add_u64 v[6:7], v[4:5], 0, v[6:7]
	global_load_ushort v6, v[6:7], off offset:32
	s_waitcnt vmcnt(0)
	v_lshlrev_b32_e32 v6, 16, v6
	v_sub_f32_e32 v0, v6, v0
	v_mul_f32_e32 v0, v16, v0
	v_lshrrev_b32_e32 v7, 16, v0
.LBB448_76:
	s_or_b64 exec, exec, s[6:7]
	s_and_saveexec_b64 s[6:7], s[0:1]
	s_cbranch_execz .LBB448_78
; %bb.77:
	v_mov_b32_e32 v9, 0
	v_lshl_add_u64 v[8:9], v[4:5], 0, v[8:9]
	global_load_ushort v0, v[8:9], off offset:32
	s_waitcnt vmcnt(0)
	v_lshlrev_b32_e32 v0, 16, v0
	v_sub_f32_e32 v0, v0, v1
	v_mul_f32_e32 v0, v14, v0
	v_lshrrev_b32_e32 v9, 16, v0
.LBB448_78:
	s_or_b64 exec, exec, s[6:7]
	v_mov_b32_e32 v0, 0
	v_mov_b32_e32 v1, 0
	s_and_saveexec_b64 s[0:1], s[2:3]
	s_cbranch_execz .LBB448_80
; %bb.79:
	v_mov_b32_e32 v11, 0
	v_lshl_add_u64 v[10:11], v[4:5], 0, v[10:11]
	global_load_ushort v1, v[10:11], off offset:32
	s_waitcnt vmcnt(0)
	v_lshlrev_b32_e32 v1, 16, v1
	v_sub_f32_e32 v1, v1, v2
	v_mul_f32_e32 v1, v17, v1
	v_lshrrev_b32_e32 v1, 16, v1
.LBB448_80:
	s_or_b64 exec, exec, s[0:1]
	s_and_saveexec_b64 s[0:1], s[4:5]
	s_cbranch_execz .LBB448_82
; %bb.81:
	v_mov_b32_e32 v13, 0
	v_lshl_add_u64 v[4:5], v[4:5], 0, v[12:13]
	global_load_ushort v0, v[4:5], off offset:32
	s_waitcnt vmcnt(0)
	v_lshlrev_b32_e32 v0, 16, v0
	v_sub_f32_e32 v0, v0, v3
	v_mul_f32_e32 v0, v15, v0
	v_lshrrev_b32_e32 v0, 16, v0
.LBB448_82:
	s_or_b64 exec, exec, s[0:1]
	s_mov_b32 s0, 0x5040100
	v_or_b32_e32 v2, v18, v19
	v_perm_b32 v1, v0, v1, s0
	v_perm_b32 v0, v9, v7, s0
	v_lshlrev_b32_e32 v2, 1, v2
	ds_write_b64 v2, v[0:1] offset:45056
	s_waitcnt lgkmcnt(0)
	s_barrier
.LBB448_83:
	s_endpgm
	.section	.rodata,"a",@progbits
	.p2align	6, 0x0
	.amdhsa_kernel _ZN12_GLOBAL__N_139chunk_gated_delta_rule_fwd_h_hip_kernelILi32ELb0ELb0ELb0ELb0ELb1ELb0ELb0ELb0EEEvPK12hip_bfloat16S3_S3_PKfS5_PKvPS1_S8_PvPKiSB_iiiiilll
		.amdhsa_group_segment_fixed_size 49152
		.amdhsa_private_segment_fixed_size 0
		.amdhsa_kernarg_size 136
		.amdhsa_user_sgpr_count 2
		.amdhsa_user_sgpr_dispatch_ptr 0
		.amdhsa_user_sgpr_queue_ptr 0
		.amdhsa_user_sgpr_kernarg_segment_ptr 1
		.amdhsa_user_sgpr_dispatch_id 0
		.amdhsa_user_sgpr_kernarg_preload_length 0
		.amdhsa_user_sgpr_kernarg_preload_offset 0
		.amdhsa_user_sgpr_private_segment_size 0
		.amdhsa_uses_dynamic_stack 0
		.amdhsa_enable_private_segment 0
		.amdhsa_system_sgpr_workgroup_id_x 1
		.amdhsa_system_sgpr_workgroup_id_y 1
		.amdhsa_system_sgpr_workgroup_id_z 0
		.amdhsa_system_sgpr_workgroup_info 0
		.amdhsa_system_vgpr_workitem_id 0
		.amdhsa_next_free_vgpr 152
		.amdhsa_next_free_sgpr 62
		.amdhsa_accum_offset 132
		.amdhsa_reserve_vcc 1
		.amdhsa_float_round_mode_32 0
		.amdhsa_float_round_mode_16_64 0
		.amdhsa_float_denorm_mode_32 3
		.amdhsa_float_denorm_mode_16_64 3
		.amdhsa_dx10_clamp 1
		.amdhsa_ieee_mode 1
		.amdhsa_fp16_overflow 0
		.amdhsa_tg_split 0
		.amdhsa_exception_fp_ieee_invalid_op 0
		.amdhsa_exception_fp_denorm_src 0
		.amdhsa_exception_fp_ieee_div_zero 0
		.amdhsa_exception_fp_ieee_overflow 0
		.amdhsa_exception_fp_ieee_underflow 0
		.amdhsa_exception_fp_ieee_inexact 0
		.amdhsa_exception_int_div_zero 0
	.end_amdhsa_kernel
	.section	.text._ZN12_GLOBAL__N_139chunk_gated_delta_rule_fwd_h_hip_kernelILi32ELb0ELb0ELb0ELb0ELb1ELb0ELb0ELb0EEEvPK12hip_bfloat16S3_S3_PKfS5_PKvPS1_S8_PvPKiSB_iiiiilll,"axG",@progbits,_ZN12_GLOBAL__N_139chunk_gated_delta_rule_fwd_h_hip_kernelILi32ELb0ELb0ELb0ELb0ELb1ELb0ELb0ELb0EEEvPK12hip_bfloat16S3_S3_PKfS5_PKvPS1_S8_PvPKiSB_iiiiilll,comdat
.Lfunc_end448:
	.size	_ZN12_GLOBAL__N_139chunk_gated_delta_rule_fwd_h_hip_kernelILi32ELb0ELb0ELb0ELb0ELb1ELb0ELb0ELb0EEEvPK12hip_bfloat16S3_S3_PKfS5_PKvPS1_S8_PvPKiSB_iiiiilll, .Lfunc_end448-_ZN12_GLOBAL__N_139chunk_gated_delta_rule_fwd_h_hip_kernelILi32ELb0ELb0ELb0ELb0ELb1ELb0ELb0ELb0EEEvPK12hip_bfloat16S3_S3_PKfS5_PKvPS1_S8_PvPKiSB_iiiiilll
                                        ; -- End function
	.section	.AMDGPU.csdata,"",@progbits
; Kernel info:
; codeLenInByte = 8432
; NumSgprs: 68
; NumVgprs: 130
; NumAgprs: 20
; TotalNumVgprs: 152
; ScratchSize: 0
; MemoryBound: 0
; FloatMode: 240
; IeeeMode: 1
; LDSByteSize: 49152 bytes/workgroup (compile time only)
; SGPRBlocks: 8
; VGPRBlocks: 18
; NumSGPRsForWavesPerEU: 68
; NumVGPRsForWavesPerEU: 152
; AccumOffset: 132
; Occupancy: 1
; WaveLimiterHint : 1
; COMPUTE_PGM_RSRC2:SCRATCH_EN: 0
; COMPUTE_PGM_RSRC2:USER_SGPR: 2
; COMPUTE_PGM_RSRC2:TRAP_HANDLER: 0
; COMPUTE_PGM_RSRC2:TGID_X_EN: 1
; COMPUTE_PGM_RSRC2:TGID_Y_EN: 1
; COMPUTE_PGM_RSRC2:TGID_Z_EN: 0
; COMPUTE_PGM_RSRC2:TIDIG_COMP_CNT: 0
; COMPUTE_PGM_RSRC3_GFX90A:ACCUM_OFFSET: 32
; COMPUTE_PGM_RSRC3_GFX90A:TG_SPLIT: 0
	.section	.text._ZN12_GLOBAL__N_139chunk_gated_delta_rule_fwd_h_hip_kernelILi32ELb1ELb1ELb1ELb1ELb0ELb1ELb1ELb0EEEvPK12hip_bfloat16S3_S3_PKfS5_PKvPS1_S8_PvPKiSB_iiiiilll,"axG",@progbits,_ZN12_GLOBAL__N_139chunk_gated_delta_rule_fwd_h_hip_kernelILi32ELb1ELb1ELb1ELb1ELb0ELb1ELb1ELb0EEEvPK12hip_bfloat16S3_S3_PKfS5_PKvPS1_S8_PvPKiSB_iiiiilll,comdat
	.globl	_ZN12_GLOBAL__N_139chunk_gated_delta_rule_fwd_h_hip_kernelILi32ELb1ELb1ELb1ELb1ELb0ELb1ELb1ELb0EEEvPK12hip_bfloat16S3_S3_PKfS5_PKvPS1_S8_PvPKiSB_iiiiilll ; -- Begin function _ZN12_GLOBAL__N_139chunk_gated_delta_rule_fwd_h_hip_kernelILi32ELb1ELb1ELb1ELb1ELb0ELb1ELb1ELb0EEEvPK12hip_bfloat16S3_S3_PKfS5_PKvPS1_S8_PvPKiSB_iiiiilll
	.p2align	8
	.type	_ZN12_GLOBAL__N_139chunk_gated_delta_rule_fwd_h_hip_kernelILi32ELb1ELb1ELb1ELb1ELb0ELb1ELb1ELb0EEEvPK12hip_bfloat16S3_S3_PKfS5_PKvPS1_S8_PvPKiSB_iiiiilll,@function
_ZN12_GLOBAL__N_139chunk_gated_delta_rule_fwd_h_hip_kernelILi32ELb1ELb1ELb1ELb1ELb0ELb1ELb1ELb0EEEvPK12hip_bfloat16S3_S3_PKfS5_PKvPS1_S8_PvPKiSB_iiiiilll: ; @_ZN12_GLOBAL__N_139chunk_gated_delta_rule_fwd_h_hip_kernelILi32ELb1ELb1ELb1ELb1ELb0ELb1ELb1ELb0EEEvPK12hip_bfloat16S3_S3_PKfS5_PKvPS1_S8_PvPKiSB_iiiiilll
; %bb.0:
	s_load_dwordx4 s[28:31], s[0:1], 0x5c
	s_load_dwordx4 s[4:7], s[0:1], 0x70
	s_abs_i32 s11, s3
	s_ashr_i32 s10, s3, 31
	s_load_dwordx4 s[24:27], s[0:1], 0x40
	s_load_dwordx2 s[8:9], s[0:1], 0x50
	s_waitcnt lgkmcnt(0)
	s_abs_i32 s14, s29
	v_cvt_f32_u32_e32 v1, s14
	s_sub_i32 s12, 0, s14
	s_ashr_i32 s15, s29, 31
	s_xor_b32 s10, s10, s15
	v_rcp_iflag_f32_e32 v1, v1
	v_and_b32_e32 v79, 15, v0
	v_bfe_u32 v78, v0, 4, 2
	v_mov_b32_e32 v63, 0
	v_mul_f32_e32 v1, 0x4f7ffffe, v1
	v_cvt_u32_f32_e32 v1, v1
	v_lshlrev_b32_e32 v80, 3, v0
	v_readfirstlane_b32 s13, v1
	s_mul_i32 s12, s12, s13
	s_mul_hi_u32 s12, s13, s12
	s_add_i32 s13, s13, s12
	s_mul_hi_u32 s12, s11, s13
	s_mul_i32 s13, s12, s14
	s_sub_i32 s11, s11, s13
	s_add_i32 s16, s12, 1
	s_sub_i32 s13, s11, s14
	s_cmp_ge_u32 s11, s14
	s_cselect_b32 s12, s16, s12
	s_cselect_b32 s11, s13, s11
	s_add_i32 s13, s12, 1
	s_cmp_ge_u32 s11, s14
	s_cselect_b32 s11, s13, s12
	s_xor_b32 s11, s11, s10
	s_sub_i32 s36, s11, s10
	s_mul_i32 s16, s36, s29
	s_ashr_i32 s37, s36, 31
	s_sub_i32 s33, s3, s16
	s_lshl_b64 s[10:11], s[36:37], 2
	s_add_u32 s12, s26, s10
	s_addc_u32 s13, s27, s11
	s_add_u32 s38, s8, s10
	s_addc_u32 s39, s9, s11
	s_abs_i32 s3, s30
	v_cvt_f32_u32_e32 v1, s3
	s_load_dwordx2 s[34:35], s[12:13], 0x0
	s_sub_i32 s9, 0, s3
	s_lshl_b32 s2, s2, 5
	v_rcp_iflag_f32_e32 v1, v1
	v_or_b32_e32 v68, s2, v79
	s_waitcnt lgkmcnt(0)
	s_sub_i32 s56, s35, s34
	s_ashr_i32 s8, s56, 31
	v_mul_f32_e32 v1, 0x4f7ffffe, v1
	v_cvt_u32_f32_e32 v1, v1
	s_lshr_b32 s8, s8, 26
	s_add_i32 s8, s56, s8
	s_ashr_i32 s55, s8, 6
	v_readfirstlane_b32 s10, v1
	s_mul_i32 s9, s9, s10
	s_mul_hi_u32 s9, s10, s9
	s_add_i32 s10, s10, s9
	s_mul_hi_u32 s9, s14, s10
	s_mul_i32 s10, s9, s3
	s_ashr_i32 s8, s30, 31
	s_sub_i32 s10, s14, s10
	s_xor_b32 s8, s15, s8
	s_add_i32 s11, s9, 1
	s_sub_i32 s12, s10, s3
	s_cmp_ge_u32 s10, s3
	s_cselect_b32 s9, s11, s9
	s_cselect_b32 s10, s12, s10
	s_add_i32 s11, s9, 1
	s_cmp_ge_u32 s10, s3
	s_cselect_b32 s3, s11, s9
	s_xor_b32 s3, s3, s8
	s_sub_i32 s3, s3, s8
	s_abs_i32 s17, s3
	v_cvt_f32_u32_e32 v1, s17
	s_sub_i32 s19, 0, s17
	s_abs_i32 s18, s33
	s_xor_b32 s3, s33, s3
	v_rcp_iflag_f32_e32 v2, v1
	s_ashr_i32 s3, s3, 31
	s_load_dwordx8 s[8:15], s[0:1], 0x20
	v_lshrrev_b32_e32 v1, 6, v0
	v_mul_f32_e32 v2, 0x4f7ffffe, v2
	v_cvt_u32_f32_e32 v2, v2
	v_lshlrev_b32_e32 v61, 4, v1
	v_lshlrev_b32_e32 v66, 7, v68
	v_lshl_or_b32 v82, v78, 2, v61
	v_readfirstlane_b32 s20, v2
	s_mul_i32 s19, s19, s20
	s_mul_hi_u32 s19, s20, s19
	s_add_i32 s20, s20, s19
	s_mul_hi_u32 s19, s18, s20
	s_mul_i32 s20, s19, s17
	s_sub_i32 s18, s18, s20
	s_add_i32 s20, s19, 1
	s_sub_i32 s21, s18, s17
	s_cmp_ge_u32 s18, s17
	s_cselect_b32 s19, s20, s19
	s_cselect_b32 s18, s21, s18
	s_add_i32 s20, s19, 1
	s_cmp_ge_u32 s18, s17
	s_cselect_b32 s17, s20, s19
	s_xor_b32 s17, s17, s3
	s_sub_i32 s57, s17, s3
	s_ashr_i32 s48, s33, 31
	s_mul_hi_i32 s3, s36, s29
	s_add_u32 s16, s16, s33
	s_addc_u32 s17, s3, s48
	s_lshl_b64 s[26:27], s[16:17], 16
	s_waitcnt lgkmcnt(0)
	s_add_u32 s10, s10, s26
	s_addc_u32 s11, s11, s27
	v_ashrrev_i32_e32 v67, 31, v66
	v_lshl_add_u64 v[2:3], v[66:67], 2, s[10:11]
	v_lshlrev_b32_e32 v62, 2, v82
	v_or_b32_e32 v64, 0x800, v66
	v_lshl_add_u64 v[10:11], v[2:3], 0, v[62:63]
	v_ashrrev_i32_e32 v65, 31, v64
	global_load_dwordx4 v[2:5], v[10:11], off
	global_load_dwordx4 v[6:9], v[10:11], off offset:256
	v_lshl_add_u64 v[10:11], v[64:65], 2, s[10:11]
	v_lshl_add_u64 v[10:11], v[10:11], 0, v[62:63]
	global_load_dwordx4 v[18:21], v[10:11], off
	global_load_dwordx4 v[22:25], v[10:11], off offset:256
	s_load_dwordx8 s[16:23], s[0:1], 0x0
	s_load_dwordx2 s[10:11], s[0:1], 0x80
	s_load_dword s58, s[38:39], 0x0
	v_and_b32_e32 v63, 63, v0
	v_or_b32_e32 v83, 64, v82
	s_cmp_lt_i32 s56, 64
	s_mul_hi_i32 s59, s33, s28
	s_mul_i32 s60, s33, s28
	v_lshrrev_b32_e32 v81, 3, v63
	s_mul_i32 s49, s36, s5
	s_mul_hi_u32 s51, s36, s4
	s_mul_i32 s52, s37, s4
	s_mul_i32 s40, s36, s4
	;; [unrolled: 1-line block ×3, first 2 shown]
	s_mul_hi_u32 s53, s33, s6
	s_mul_i32 s54, s48, s6
	s_mul_i32 s42, s33, s6
	s_cbranch_scc1 .LBB449_3
; %bb.1:
	s_ashr_i32 s1, s34, 31
	s_add_u32 s0, s60, s34
	s_addc_u32 s1, s59, s1
	s_lshl_b64 s[0:1], s[0:1], 8
	v_and_b32_e32 v85, 56, v80
	s_waitcnt lgkmcnt(0)
	s_add_u32 s4, s18, s0
	v_lshl_or_b32 v84, v1, 3, v81
	v_lshlrev_b32_e32 v10, 1, v85
	s_addc_u32 s0, s19, s1
	v_lshl_or_b32 v86, v84, 8, v10
	s_and_b32 s5, s0, 0xffff
	s_mov_b32 s7, 0x20000
	s_movk_i32 s6, 0x4000
	s_movk_i32 s0, 0x80
	v_or_b32_e32 v87, 0x2000, v86
	buffer_load_dwordx4 v[12:15], v86, s[4:7], 0 offen
	buffer_load_dwordx4 v[26:29], v86, s[4:7], s0 offen
	;; [unrolled: 1-line block ×4, first 2 shown]
	v_lshlrev_b32_e32 v11, 3, v84
	v_and_or_b32 v17, v0, 7, v11
	v_and_b32_e32 v11, 0x78, v11
	v_lshlrev_b32_e32 v17, 4, v17
	v_xor_b32_e32 v88, v17, v11
	v_mul_lo_u32 v16, v84, s31
	v_or_b32_e32 v89, 0x1000, v88
	v_xor_b32_e32 v11, 8, v88
	s_cmpk_eq_i32 s31, 0x80
	s_mov_b32 s61, s34
	v_xor_b32_e32 v17, 8, v89
	s_cselect_b64 s[0:1], -1, 0
	s_cmpk_lg_i32 s31, 0x80
	s_waitcnt vmcnt(3)
	ds_write_b64 v88, v[12:13] offset:24576
	ds_write_b64 v11, v[14:15] offset:24576
	s_waitcnt vmcnt(2)
	ds_write_b64 v88, v[26:27] offset:32768
	ds_write_b64 v11, v[28:29] offset:32768
	;; [unrolled: 3-line block ×4, first 2 shown]
	v_lshl_add_u32 v11, v16, 1, v85
	s_cbranch_scc0 .LBB449_4
; %bb.2:
	v_lshlrev_b32_e32 v13, 1, v11
	v_add_lshl_u32 v12, v11, s31, 1
	s_lshl_b32 s6, s31, 7
	v_lshl_or_b32 v10, v84, 9, v10
	s_cbranch_execz .LBB449_5
	s_branch .LBB449_6
.LBB449_3:
	s_waitcnt vmcnt(0)
	v_mov_b32_e32 v17, v25
	v_mov_b32_e32 v16, v24
	;; [unrolled: 1-line block ×5, first 2 shown]
	s_branch .LBB449_20
.LBB449_4:
                                        ; implicit-def: $vgpr12
                                        ; implicit-def: $vgpr13
                                        ; implicit-def: $sgpr6
	v_lshl_or_b32 v10, v84, 9, v10
.LBB449_5:
	v_or_b32_e32 v12, 0x100, v10
	s_movk_i32 s6, 0x4000
	v_mov_b32_e32 v13, v10
.LBB449_6:
	s_mul_i32 s4, s34, s30
	s_ashr_i32 s62, s57, 31
	s_mul_hi_i32 s3, s34, s30
	s_add_u32 s4, s4, s57
	s_addc_u32 s5, s3, s62
	s_lshl_b64 s[4:5], s[4:5], 8
	s_add_u32 s4, s16, s4
	s_addc_u32 s3, s17, s5
	s_and_b32 s5, s3, 0xffff
	s_movk_i32 s63, 0x80
	buffer_load_dwordx4 v[14:17], v13, s[4:7], 0 offen
	buffer_load_dwordx4 v[26:29], v13, s[4:7], s63 offen
	;; [unrolled: 1-line block ×4, first 2 shown]
	v_and_b32_e32 v12, 6, v0
	v_lshlrev_b32_e32 v39, 6, v82
	v_or_b32_e32 v41, 16, v79
	v_xor_b32_e32 v42, v84, v12
	v_and_b32_e32 v13, 1, v0
	v_lshl_or_b32 v45, v79, 3, v39
	v_lshl_or_b32 v39, v41, 3, v39
	v_lshlrev_b32_e32 v42, 2, v42
	v_lshlrev_b32_e32 v38, 2, v79
	v_or_b32_e32 v92, 0xa000, v39
	v_or_b32_e32 v93, 0xb000, v39
	v_xor_b32_e32 v39, 0x440, v42
	v_cmp_eq_u32_e32 vcc, 0, v13
	s_add_i32 s3, s51, s49
	v_xor_b32_e32 v43, v82, v38
	v_xor_b32_e32 v44, v83, v38
	v_cndmask_b32_e32 v13, v39, v42, vcc
	s_add_i32 s4, s53, s50
	s_add_i32 s41, s3, s52
	s_mov_b32 s64, 0x1000504
	v_lshlrev_b32_e32 v40, 8, v79
	v_lshlrev_b32_e32 v41, 8, v41
	v_lshlrev_b32_e32 v43, 1, v43
	v_lshlrev_b32_e32 v44, 1, v44
	v_lshl_or_b32 v12, v12, 10, v13
	s_add_i32 s43, s4, s54
	s_lshl_b64 s[4:5], s[40:41], 2
	s_mov_b32 s65, 0x3020706
	v_or_b32_e32 v90, 0xa000, v45
	v_or_b32_e32 v91, 0xb000, v45
	;; [unrolled: 1-line block ×5, first 2 shown]
	v_xor_b32_e32 v13, 8, v12
	v_xor_b32_e32 v40, 24, v12
	;; [unrolled: 1-line block ×4, first 2 shown]
	s_add_u32 s3, s22, s4
	v_or_b32_e32 v96, v41, v43
	v_xor_b32_e32 v39, 16, v12
	v_xor_b32_e32 v41, 32, v12
	;; [unrolled: 1-line block ×3, first 2 shown]
	v_add_u32_e32 v13, 0x80, v13
	v_add_u32_e32 v40, 0x80, v40
	v_add_u32_e32 v42, 0x80, v42
	v_add_u32_e32 v44, 0x80, v44
	s_addc_u32 s6, s23, s5
	s_lshl_b64 s[4:5], s[42:43], 2
	s_add_u32 s44, s3, s4
	s_movk_i32 s3, 0xf8
	s_addc_u32 s45, s6, s5
	s_lshl_b32 s38, s31, 7
	s_movk_i32 s36, 0x100
	v_mov_b32_e32 v71, 0
	v_lshlrev_b32_e32 v70, 4, v79
	v_cmp_gt_u32_e32 vcc, s36, v0
	v_ashrrev_i32_e32 v69, 31, v68
	s_mov_b32 s66, 0
	s_movk_i32 s41, 0x1000
	s_movk_i32 s6, 0x4000
	v_mov_b32_e32 v120, 0x3fb8aa3b
	s_waitcnt vmcnt(1)
	v_perm_b32 v45, v14, v30, s64
	s_waitcnt vmcnt(0)
	v_perm_b32 v46, v26, v34, s64
	v_perm_b32 v14, v14, v30, s65
	;; [unrolled: 1-line block ×15, first 2 shown]
	ds_write2st64_b32 v12, v45, v46 offset0:32 offset1:64
	ds_write2st64_b32 v13, v14, v26 offset0:32 offset1:64
	;; [unrolled: 1-line block ×8, first 2 shown]
	v_or_b32_e32 v12, v61, v79
	v_lshlrev_b32_e32 v12, 3, v12
	v_lshrrev_b32_e32 v15, 5, v63
	v_and_or_b32 v15, v12, s3, v15
	v_lshlrev_b32_e32 v15, 4, v15
	v_lshlrev_b32_e32 v17, 11, v1
	v_and_b32_e32 v12, 0x78, v12
	v_or_b32_e32 v28, 32, v15
	v_and_b32_e32 v14, 0x1000, v17
	v_lshrrev_b32_e32 v26, 1, v63
	v_xor_b32_e32 v28, v28, v12
	v_xor_b32_e32 v16, v15, v12
	v_and_b32_e32 v26, 8, v26
	v_or_b32_e32 v28, v28, v14
	v_or_b32_e32 v16, v16, v14
	v_lshlrev_b32_e32 v27, 7, v78
	v_xor_b32_e32 v100, v28, v26
	v_or_b32_e32 v28, 64, v15
	v_or_b32_e32 v15, 0x60, v15
	s_ashr_i32 s3, s2, 31
	v_xor_b32_e32 v98, v16, v26
	v_or_b32_e32 v16, v27, v38
	v_xor_b32_e32 v28, v28, v12
	v_xor_b32_e32 v12, v15, v12
	s_lshl_b64 s[4:5], s[2:3], 8
	v_lshlrev_b32_e32 v16, 1, v16
	v_or_b32_e32 v28, v28, v14
	v_or_b32_e32 v12, v12, v14
	s_add_u32 s4, s12, s4
	v_lshlrev_b32_e32 v14, 1, v79
	v_or_b32_e32 v99, 0xa000, v16
	v_or_b32_e32 v101, 0xa080, v16
	;; [unrolled: 1-line block ×4, first 2 shown]
	v_lshrrev_b32_e32 v16, 4, v0
	s_addc_u32 s5, s13, s5
	v_or_b32_e32 v15, 1, v14
	v_mov_b32_e32 v33, 0x4000
	v_mov_b32_e32 v34, 0x2000
	v_lshrrev_b32_e32 v35, 1, v0
	v_xor_b32_e32 v102, v28, v26
	v_xor_b32_e32 v103, v12, v26
	;; [unrolled: 1-line block ×4, first 2 shown]
	v_lshl_add_u64 v[14:15], s[4:5], 0, v[70:71]
	v_lshlrev_b32_e32 v70, 8, v16
	v_cndmask_b32_e32 v33, v33, v34, vcc
	v_lshlrev_b32_e32 v34, 3, v1
	v_and_b32_e32 v35, 24, v35
	v_lshl_or_b32 v106, v26, 3, v70
	v_and_b32_e32 v26, 8, v0
	v_xor_b32_e32 v36, v34, v35
	v_or_b32_e32 v37, 0x440, v36
	v_cmp_eq_u32_e32 vcc, 0, v26
	v_and_b32_e32 v16, 7, v0
	v_lshl_or_b32 v107, v30, 3, v70
	v_cndmask_b32_e32 v26, v37, v36, vcc
	v_lshlrev_b32_e32 v30, 3, v16
	v_lshlrev_b32_e32 v32, 2, v0
	v_or_b32_e32 v26, v26, v17
	v_xor_b32_e32 v36, v26, v30
	v_and_or_b32 v26, v32, 60, v27
	v_mov_b32_e32 v27, 0xb000
	v_lshl_or_b32 v108, v26, 1, v27
	v_or_b32_e32 v26, 32, v35
	v_xor_b32_e32 v26, v34, v26
	v_or_b32_e32 v27, 0x440, v26
	v_cndmask_b32_e32 v26, v27, v26, vcc
	v_or_b32_e32 v26, v26, v17
	v_xor_b32_e32 v27, v26, v30
	v_or_b32_e32 v26, 64, v35
	v_xor_b32_e32 v26, v34, v26
	v_xor_b32_e32 v38, 0x440, v26
	v_cndmask_b32_e32 v26, v38, v26, vcc
	v_or_b32_e32 v26, v26, v17
	v_xor_b32_e32 v38, v26, v30
	v_or_b32_e32 v26, 0x60, v35
	v_xor_b32_e32 v26, v34, v26
	v_xor_b32_e32 v34, 0x440, v26
	v_cndmask_b32_e32 v26, v34, v26, vcc
	v_lshrrev_b32_e32 v13, 2, v63
	v_or_b32_e32 v17, v26, v17
	v_and_b32_e32 v13, 12, v13
	v_lshlrev_b32_e32 v28, 1, v11
	v_add_lshl_u32 v11, v11, s31, 1
	v_or_b32_e32 v29, 0x100, v10
	v_xor_b32_e32 v17, v17, v30
	v_lshlrev_b32_e32 v12, 7, v82
	v_lshlrev_b32_e32 v31, 7, v16
	v_or_b32_e32 v16, v13, v61
	v_add_u32_e32 v37, v33, v36
	v_add_u32_e32 v32, v33, v27
	v_add_u32_e32 v39, v33, v38
	v_add_u32_e32 v30, v33, v17
	v_or3_b32 v26, v61, v13, 64
	v_add_u32_e32 v13, 0x4000, v36
	v_add_u32_e32 v27, 0x4000, v27
	;; [unrolled: 1-line block ×4, first 2 shown]
	v_cndmask_b32_e64 v109, v28, v10, s[0:1]
	v_cndmask_b32_e64 v110, v11, v29, s[0:1]
	v_lshlrev_b64 v[10:11], 1, v[68:69]
	v_lshl_add_u64 v[72:73], s[20:21], 0, v[10:11]
	v_lshl_add_u64 v[74:75], s[14:15], 0, v[10:11]
	;; [unrolled: 1-line block ×3, first 2 shown]
	s_mov_b32 s3, 0x7060302
	v_lshlrev_b32_e32 v70, 1, v12
	v_lshlrev_b32_e32 v69, 2, v16
	v_add_u32_e32 v111, v37, v31
	v_add_u32_e32 v112, v32, v31
	;; [unrolled: 1-line block ×4, first 2 shown]
	v_lshlrev_b32_e32 v115, 2, v26
	v_add_u32_e32 v116, v13, v31
	v_add_u32_e32 v117, v27, v31
	v_add_u32_e32 v118, v33, v31
	v_add_u32_e32 v119, v17, v31
	s_waitcnt lgkmcnt(0)
	s_barrier
.LBB449_7:                              ; =>This Inner Loop Header: Depth=1
	s_add_i32 s43, s66, 1
	s_cmp_lt_i32 s43, s55
	s_mov_b64 s[36:37], 0
	s_cselect_b64 s[46:47], -1, 0
	s_cmp_ge_i32 s43, s55
	s_mov_b64 s[4:5], 0
	s_cbranch_scc1 .LBB449_9
; %bb.8:                                ;   in Loop: Header=BB449_7 Depth=1
	s_add_i32 s0, s61, 64
	s_ashr_i32 s1, s0, 31
	s_add_u32 s0, s60, s0
	s_addc_u32 s1, s59, s1
	s_lshl_b64 s[0:1], s[0:1], 8
	s_add_u32 s4, s18, s0
	s_addc_u32 s5, s19, s1
.LBB449_9:                              ;   in Loop: Header=BB449_7 Depth=1
	v_cndmask_b32_e64 v10, 0, 1, s[46:47]
	v_cmp_ne_u32_e64 s[0:1], 1, v10
	s_andn2_b64 vcc, exec, s[46:47]
	s_cbranch_vccnz .LBB449_11
; %bb.10:                               ;   in Loop: Header=BB449_7 Depth=1
	s_add_i32 s36, s61, 64
	s_mul_hi_i32 s37, s36, s30
	s_mul_i32 s36, s36, s30
	s_add_u32 s36, s36, s57
	s_addc_u32 s37, s37, s62
	s_lshl_b64 s[36:37], s[36:37], 8
	s_add_u32 s36, s16, s36
	s_addc_u32 s37, s17, s37
.LBB449_11:                             ;   in Loop: Header=BB449_7 Depth=1
	v_perm_b32 v11, v5, v4, s3
	v_perm_b32 v10, v3, v2, s3
	;; [unrolled: 1-line block ×4, first 2 shown]
	ds_write_b64 v90, v[10:11]
	ds_write_b64 v91, v[12:13]
	ds_write_b64 v94, v[10:11]
	ds_write_b64 v95, v[12:13]
	v_perm_b32 v11, v21, v20, s3
	v_perm_b32 v10, v19, v18, s3
	v_perm_b32 v13, v25, v24, s3
	v_perm_b32 v12, v23, v22, s3
	ds_write_b64 v92, v[10:11]
	ds_write_b64 v93, v[12:13]
	;; [unrolled: 1-line block ×4, first 2 shown]
	s_waitcnt lgkmcnt(0)
	s_barrier
	ds_read_b64 v[14:15], v98 offset:24576
	ds_read2_b64 v[10:13], v99 offset1:16
	ds_read_b64 v[26:27], v101 offset:3072
	ds_read_b64 v[28:29], v99 offset:3072
	;; [unrolled: 1-line block ×3, first 2 shown]
	s_waitcnt lgkmcnt(3)
	v_mfma_f32_16x16x16_bf16 a[0:3], v[14:15], v[10:11], 0
	s_add_i32 s67, s61, 63
	s_ashr_i32 s39, s67, 31
	s_mul_i32 s46, s67, s11
	v_mfma_f32_16x16x16_bf16 a[4:7], v[14:15], v[12:13], 0
	ds_read2st64_b64 v[10:13], v99 offset0:2 offset1:4
	s_mul_hi_u32 s47, s67, s10
	s_add_i32 s46, s47, s46
	s_waitcnt lgkmcnt(0)
	v_mfma_f32_16x16x16_bf16 a[0:3], v[30:31], v[10:11], a[0:3]
	ds_read2st64_b64 v[14:17], v101 offset0:2 offset1:4
	ds_read_b64 v[10:11], v102 offset:24576
	s_mul_i32 s39, s39, s10
	s_add_i32 s47, s46, s39
	s_waitcnt lgkmcnt(1)
	v_mfma_f32_16x16x16_bf16 a[4:7], v[30:31], v[14:15], a[4:7]
	ds_read_b64 v[14:15], v103 offset:24576
	s_mul_i32 s46, s67, s10
	s_lshl_b64 s[46:47], s[46:47], 2
	s_waitcnt lgkmcnt(1)
	v_mfma_f32_16x16x16_bf16 a[0:3], v[10:11], v[12:13], a[0:3]
	s_add_u32 s46, s44, s46
	s_addc_u32 s47, s45, s47
	s_and_b64 vcc, exec, s[0:1]
	v_mfma_f32_16x16x16_bf16 a[8:11], v[10:11], v[16:17], a[4:7]
	v_mov_b32_e32 v123, 0
	v_mov_b32_e32 v122, 0
	;; [unrolled: 1-line block ×3, first 2 shown]
	s_waitcnt lgkmcnt(0)
	v_mfma_f32_16x16x16_bf16 a[4:7], v[14:15], v[28:29], a[0:3]
	v_mov_b32_e32 v10, 0
	v_mov_b32_e32 v11, 0
	;; [unrolled: 1-line block ×3, first 2 shown]
	v_mfma_f32_16x16x16_bf16 a[0:3], v[14:15], v[26:27], a[8:11]
	v_mov_b32_e32 v13, 0
	v_mov_b32_e32 v14, 0
	;; [unrolled: 1-line block ×13, first 2 shown]
	s_cbranch_vccnz .LBB449_13
; %bb.12:                               ;   in Loop: Header=BB449_7 Depth=1
	s_and_b32 s5, s5, 0xffff
	buffer_load_dwordx4 v[30:33], v86, s[4:7], 0 offen
	buffer_load_dwordx4 v[26:29], v86, s[4:7], s63 offen
	buffer_load_dwordx4 v[14:17], v87, s[4:7], 0 offen
	buffer_load_dwordx4 v[10:13], v87, s[4:7], s63 offen
	v_mov_b32_e32 v122, v88
	v_mov_b32_e32 v121, v89
.LBB449_13:                             ;   in Loop: Header=BB449_7 Depth=1
	ds_read_b64 v[42:43], v98 offset:32768
	ds_read2_b64 v[34:37], v104 offset1:16
	ds_read_b64 v[44:45], v100 offset:32768
	ds_read_b64 v[46:47], v102 offset:32768
	;; [unrolled: 1-line block ×3, first 2 shown]
	v_add_u32_e32 v50, s61, v82
	s_waitcnt lgkmcnt(3)
	v_mfma_f32_16x16x16_bf16 a[4:7], v[42:43], v[34:35], a[4:7]
	v_ashrrev_i32_e32 v34, 31, v50
	ds_read2st64_b64 v[38:41], v104 offset0:2 offset1:4
	v_mfma_f32_16x16x16_bf16 a[0:3], v[42:43], v[36:37], a[0:3]
	v_mul_lo_u32 v36, v34, s10
	v_mul_lo_u32 v37, v50, s11
	v_mad_u64_u32 v[34:35], s[4:5], v50, s10, 0
	v_add3_u32 v35, v35, v37, v36
	v_add_u32_e32 v36, 1, v50
	v_ashrrev_i32_e32 v37, 31, v36
	v_mul_lo_u32 v42, v37, s10
	v_mul_lo_u32 v43, v36, s11
	v_mad_u64_u32 v[36:37], s[4:5], v36, s10, 0
	v_add3_u32 v37, v37, v43, v42
	v_add_u32_e32 v42, 2, v50
	v_ashrrev_i32_e32 v43, 31, v42
	v_mul_lo_u32 v51, v43, s10
	v_mul_lo_u32 v52, v42, s11
	v_mad_u64_u32 v[42:43], s[4:5], v42, s10, 0
	v_add_u32_e32 v50, 3, v50
	v_add3_u32 v43, v43, v52, v51
	v_ashrrev_i32_e32 v51, 31, v50
	v_mul_lo_u32 v52, v51, s10
	v_mul_lo_u32 v53, v50, s11
	v_mad_u64_u32 v[50:51], s[4:5], v50, s10, 0
	s_ashr_i32 s5, s61, 31
	v_add3_u32 v51, v51, v53, v52
	s_add_u32 s4, s60, s61
	v_lshl_add_u64 v[34:35], v[34:35], 2, s[44:45]
	v_lshl_add_u64 v[50:51], v[50:51], 2, s[44:45]
	s_addc_u32 s5, s59, s5
	v_lshl_add_u64 v[36:37], v[36:37], 2, s[44:45]
	v_lshl_add_u64 v[42:43], v[42:43], 2, s[44:45]
	global_load_dword v52, v[34:35], off
	global_load_dword v53, v[36:37], off
	;; [unrolled: 1-line block ×3, first 2 shown]
	s_nop 0
	global_load_dword v50, v[50:51], off
	s_lshl_b64 s[68:69], s[4:5], 8
	v_lshl_add_u64 v[34:35], v[72:73], 0, s[68:69]
	v_lshl_add_u64 v[42:43], v[34:35], 0, v[70:71]
	global_load_ushort v51, v[42:43], off offset:256
	global_load_ushort v55, v[42:43], off
	ds_read2st64_b64 v[34:37], v105 offset0:2 offset1:4
	global_load_ushort v56, v[42:43], off offset:768
	global_load_ushort v57, v[42:43], off offset:512
	global_load_ushort v58, v[42:43], off offset:800
	global_load_ushort v59, v[42:43], off offset:544
	global_load_ushort v60, v[42:43], off offset:288
	global_load_ushort v124, v[42:43], off offset:32
	s_waitcnt lgkmcnt(1)
	v_mfma_f32_16x16x16_bf16 a[4:7], v[44:45], v[38:39], a[4:7]
	s_and_b64 vcc, exec, s[0:1]
	s_waitcnt vmcnt(7)
	v_lshlrev_b32_e32 v43, 16, v51
	s_waitcnt lgkmcnt(0)
	v_mfma_f32_16x16x16_bf16 a[0:3], v[44:45], v[34:35], a[0:3]
	v_mfma_f32_16x16x16_bf16 a[4:7], v[46:47], v[40:41], a[4:7]
	;; [unrolled: 1-line block ×3, first 2 shown]
	ds_read_b64 v[34:35], v104 offset:3072
	ds_read_b64 v[36:37], v105 offset:3072
	s_load_dword s4, s[46:47], 0x0
	s_waitcnt lgkmcnt(0)
	v_sub_f32_e32 v42, s4, v52
	v_mfma_f32_16x16x16_bf16 a[4:7], v[48:49], v[34:35], a[4:7]
	v_sub_f32_e32 v45, s4, v53
	v_sub_f32_e32 v46, s4, v54
	;; [unrolled: 1-line block ×3, first 2 shown]
	v_mul_f32_e32 v44, 0x3fb8aa3b, v42
	v_mul_f32_e32 v45, 0x3fb8aa3b, v45
	;; [unrolled: 1-line block ×4, first 2 shown]
	v_mfma_f32_16x16x16_bf16 a[0:3], v[48:49], v[36:37], a[0:3]
	v_accvgpr_read_b32 v41, a5
	v_exp_f32_e32 v44, v44
	v_exp_f32_e32 v45, v45
	;; [unrolled: 1-line block ×4, first 2 shown]
	v_accvgpr_read_b32 v40, a4
	s_waitcnt vmcnt(6)
	v_lshlrev_b32_e32 v42, 16, v55
	v_lshl_add_u64 v[34:35], v[74:75], 0, s[68:69]
	v_accvgpr_read_b32 v37, a7
	v_accvgpr_read_b32 v36, a6
	v_pk_add_f32 v[40:41], v[42:43], v[40:41] neg_lo:[0,1] neg_hi:[0,1]
	s_waitcnt vmcnt(5)
	v_lshlrev_b32_e32 v43, 16, v56
	s_waitcnt vmcnt(4)
	v_lshlrev_b32_e32 v42, 16, v57
	v_lshl_add_u64 v[34:35], v[34:35], 0, v[70:71]
	v_pk_add_f32 v[36:37], v[42:43], v[36:37] neg_lo:[0,1] neg_hi:[0,1]
	global_store_short_d16_hi v[34:35], v40, off
	global_store_short_d16_hi v[34:35], v41, off offset:256
	global_store_short_d16_hi v[34:35], v36, off offset:512
	;; [unrolled: 1-line block ×3, first 2 shown]
	v_pk_mul_f32 v[40:41], v[44:45], v[40:41]
	v_pk_mul_f32 v[36:37], v[46:47], v[36:37]
	v_accvgpr_read_b32 v43, a1
	v_perm_b32 v37, v37, v36, s3
	v_perm_b32 v36, v41, v40, s3
	s_waitcnt vmcnt(5)
	v_lshlrev_b32_e32 v41, 16, v60
	s_waitcnt vmcnt(4)
	v_lshlrev_b32_e32 v40, 16, v124
	v_accvgpr_read_b32 v42, a0
	v_accvgpr_read_b32 v39, a3
	;; [unrolled: 1-line block ×3, first 2 shown]
	v_pk_add_f32 v[40:41], v[40:41], v[42:43] neg_lo:[0,1] neg_hi:[0,1]
	v_lshlrev_b32_e32 v43, 16, v58
	v_lshlrev_b32_e32 v42, 16, v59
	v_pk_add_f32 v[38:39], v[42:43], v[38:39] neg_lo:[0,1] neg_hi:[0,1]
	global_store_short_d16_hi v[34:35], v40, off offset:32
	global_store_short_d16_hi v[34:35], v41, off offset:288
	;; [unrolled: 1-line block ×4, first 2 shown]
	v_pk_mul_f32 v[34:35], v[44:45], v[40:41]
	v_pk_mul_f32 v[38:39], v[46:47], v[38:39]
	v_mov_b32_e32 v124, 0
	v_perm_b32 v39, v39, v38, s3
	v_perm_b32 v38, v35, v34, s3
	ds_write2_b64 v91, v[36:37], v[38:39] offset1:16
	v_mov_b32_e32 v34, 0
	v_mov_b32_e32 v35, 0
	;; [unrolled: 1-line block ×16, first 2 shown]
	s_cbranch_vccnz .LBB449_15
; %bb.14:                               ;   in Loop: Header=BB449_7 Depth=1
	s_and_b32 s37, s37, 0xffff
	s_mov_b32 s39, s7
	buffer_load_dwordx4 v[46:49], v109, s[36:39], 0 offen
	buffer_load_dwordx4 v[38:41], v109, s[36:39], s63 offen
	;; [unrolled: 1-line block ×4, first 2 shown]
	v_mov_b32_e32 v123, v85
	v_mov_b32_e32 v124, v84
.LBB449_15:                             ;   in Loop: Header=BB449_7 Depth=1
	s_waitcnt lgkmcnt(0)
	s_barrier
	ds_read_b64 v[54:55], v111
	ds_read_b64 v[130:131], v108
	;; [unrolled: 1-line block ×5, first 2 shown]
	ds_read_b64 v[144:145], v105 offset:3072
	ds_read2_b64 v[50:53], v104 offset0:16 offset1:128
	s_waitcnt lgkmcnt(5)
	v_mfma_f32_16x16x16_bf16 a[0:3], v[54:55], v[130:131], 0
	ds_read2st64_b64 v[56:59], v105 offset0:2 offset1:4
	s_add_i32 s5, s58, s66
	s_mul_hi_i32 s37, s5, s29
	s_waitcnt lgkmcnt(1)
	v_mfma_f32_16x16x16_bf16 a[4:7], v[54:55], v[50:51], 0
	ds_read_b64 v[54:55], v116
	s_mul_i32 s5, s5, s29
	s_add_u32 s36, s5, s33
	s_waitcnt lgkmcnt(1)
	v_mfma_f32_16x16x16_bf16 a[4:7], v[132:133], v[56:57], a[4:7]
	s_addc_u32 s37, s37, s48
	s_lshl_b64 s[36:37], s[36:37], 15
	s_mul_i32 s39, s67, s29
	s_mul_hi_i32 s5, s67, s29
	s_add_u32 s46, s39, s33
	v_mfma_f32_16x16x16_bf16 a[8:11], v[134:135], v[58:59], a[4:7]
	s_addc_u32 s47, s5, s48
	ds_read2st64_b64 v[126:129], v104 offset0:4 offset1:6
	s_lshl_b64 s[46:47], s[46:47], 9
	s_waitcnt lgkmcnt(1)
	v_mfma_f32_16x16x16_bf16 a[4:7], v[54:55], v[130:131], 0
	s_add_u32 s46, s8, s46
	s_addc_u32 s47, s9, s47
	v_mfma_f32_16x16x16_bf16 a[0:3], v[132:133], v[52:53], a[0:3]
	ds_read_b64 v[132:133], v117
	ds_read_b64 v[140:141], v118
	;; [unrolled: 1-line block ×3, first 2 shown]
	v_mfma_f32_16x16x16_bf16 a[12:15], v[54:55], v[50:51], 0
	s_waitcnt lgkmcnt(2)
	v_mfma_f32_16x16x16_bf16 a[4:7], v[132:133], v[52:53], a[4:7]
	global_load_dwordx4 v[50:53], v115, s[46:47]
	v_mfma_f32_16x16x16_bf16 a[12:15], v[132:133], v[56:57], a[12:15]
	global_load_dwordx4 v[54:57], v69, s[46:47]
	ds_read2st64_b64 v[130:133], v106 offset1:8
	s_waitcnt lgkmcnt(0)
	v_mov_b32_e32 v138, v130
	v_mfma_f32_16x16x16_bf16 a[0:3], v[134:135], v[126:127], a[0:3]
	ds_read2st64_b64 v[134:137], v107 offset1:8
	v_mov_b32_e32 v139, v131
	v_mfma_f32_16x16x16_bf16 a[16:19], v[140:141], v[126:127], a[4:7]
	v_lshl_add_u64 v[126:127], v[76:77], 0, s[36:37]
	v_mfma_f32_16x16x16_bf16 a[20:23], v[140:141], v[58:59], a[12:15]
	v_add_co_u32_e32 v58, vcc, s41, v126
	s_waitcnt lgkmcnt(0)
	v_mov_b32_e32 v140, v134
	v_mfma_f32_16x16x16_bf16 a[4:7], v[142:143], v[128:129], a[0:3]
	v_mov_b32_e32 v141, v135
	v_mov_b32_e32 v134, v132
	;; [unrolled: 1-line block ×3, first 2 shown]
	v_mfma_f32_16x16x16_bf16 a[8:11], v[142:143], v[144:145], a[8:11]
	v_addc_co_u32_e32 v59, vcc, 0, v127, vcc
	global_store_dwordx4 v[58:59], v[134:137], off
	v_mfma_f32_16x16x16_bf16 a[12:15], v[146:147], v[128:129], a[16:19]
	s_and_b64 vcc, exec, s[0:1]
	global_store_dwordx4 v[126:127], v[138:141], off
	s_waitcnt vmcnt(3)
	v_mov_b32_e32 v60, v53
	v_mfma_f32_16x16x16_bf16 a[0:3], v[146:147], v[144:145], a[20:23]
	v_mov_b32_e32 v59, v52
	v_mov_b32_e32 v58, v51
	s_cbranch_vccnz .LBB449_17
; %bb.16:                               ;   in Loop: Header=BB449_7 Depth=1
	v_lshrrev_b32_e32 v51, 3, v123
	v_and_b32_e32 v51, 6, v51
	v_xor_b32_e32 v52, v51, v124
	v_lshlrev_b32_e32 v52, 2, v52
	v_and_b32_e32 v53, 8, v123
	v_xor_b32_e32 v123, 0x440, v52
	v_cmp_eq_u32_e32 vcc, 0, v53
	v_perm_b32 v53, v38, v34, s64
	s_nop 0
	v_cndmask_b32_e32 v52, v123, v52, vcc
	v_lshl_or_b32 v51, v51, 10, v52
	v_perm_b32 v52, v46, v42, s64
	s_barrier
	ds_write2st64_b32 v51, v52, v53 offset0:32 offset1:64
	v_xor_b32_e32 v52, 8, v51
	v_perm_b32 v42, v46, v42, s65
	v_perm_b32 v34, v38, v34, s65
	v_add_u32_e32 v38, 0x80, v52
	ds_write2st64_b32 v38, v42, v34 offset0:32 offset1:64
	v_xor_b32_e32 v34, 16, v51
	v_perm_b32 v38, v47, v43, s64
	v_perm_b32 v42, v39, v35, s64
	ds_write2st64_b32 v34, v38, v42 offset0:33 offset1:65
	v_xor_b32_e32 v34, 24, v51
	v_perm_b32 v38, v47, v43, s65
	v_perm_b32 v35, v39, v35, s65
	v_add_u32_e32 v34, 0x80, v34
	ds_write2st64_b32 v34, v38, v35 offset0:33 offset1:65
	v_xor_b32_e32 v34, 32, v51
	v_perm_b32 v35, v48, v44, s64
	v_perm_b32 v38, v40, v36, s64
	;; [unrolled: 9-line block ×3, first 2 shown]
	ds_write2st64_b32 v34, v35, v36 offset0:35 offset1:67
	v_xor_b32_e32 v34, 56, v51
	v_perm_b32 v35, v49, v45, s65
	v_perm_b32 v36, v41, v37, s65
	v_add_u32_e32 v34, 0x80, v34
	ds_write2st64_b32 v34, v35, v36 offset0:35 offset1:67
	ds_write_b64 v122, v[30:31] offset:24576
	v_xor_b32_e32 v30, 8, v122
	ds_write_b64 v30, v[32:33] offset:24576
	ds_write_b64 v122, v[26:27] offset:32768
	ds_write_b64 v30, v[28:29] offset:32768
	ds_write_b64 v121, v[14:15] offset:24576
	v_xor_b32_e32 v14, 8, v121
	ds_write_b64 v14, v[16:17] offset:24576
	ds_write_b64 v121, v[10:11] offset:32768
	;; [unrolled: 1-line block ×3, first 2 shown]
.LBB449_17:                             ;   in Loop: Header=BB449_7 Depth=1
	v_mul_f32_e32 v14, s4, v120
	v_exp_f32_e32 v34, v14
	s_waitcnt vmcnt(2)
	v_mul_f32_e32 v14, 0x3fb8aa3b, v54
	v_exp_f32_e32 v36, v14
	v_mul_f32_e32 v14, 0x3fb8aa3b, v55
	v_exp_f32_e32 v37, v14
	v_mul_f32_e32 v14, 0x3fb8aa3b, v56
	v_exp_f32_e32 v38, v14
	v_mul_f32_e32 v14, 0x3fb8aa3b, v57
	v_exp_f32_e32 v39, v14
	v_accvgpr_read_b32 v29, a7
	v_accvgpr_read_b32 v27, a5
	;; [unrolled: 1-line block ×4, first 2 shown]
	v_pk_mul_f32 v[36:37], v[34:35], v[36:37] op_sel_hi:[0,1]
	v_accvgpr_read_b32 v12, a10
	v_pk_fma_f32 v[2:3], v[2:3], v[36:37], v[26:27]
	v_pk_mul_f32 v[26:27], v[34:35], v[38:39] op_sel_hi:[0,1]
	v_accvgpr_read_b32 v28, a6
	v_accvgpr_read_b32 v11, a9
	;; [unrolled: 1-line block ×3, first 2 shown]
	v_fma_f32 v20, v20, v26, v12
	v_mul_f32_e32 v12, 0x3fb8aa3b, v59
	v_pk_fma_f32 v[4:5], v[4:5], v[26:27], v[28:29]
	v_fma_f32 v18, v18, v36, v10
	v_fma_f32 v19, v19, v37, v11
	v_mul_f32_e32 v10, 0x3fb8aa3b, v50
	v_mul_f32_e32 v11, 0x3fb8aa3b, v58
	v_exp_f32_e32 v28, v12
	v_mul_f32_e32 v12, 0x3fb8aa3b, v60
	v_exp_f32_e32 v10, v10
	v_exp_f32_e32 v11, v11
	;; [unrolled: 1-line block ×3, first 2 shown]
	v_accvgpr_read_b32 v33, a15
	v_accvgpr_read_b32 v17, a3
	v_accvgpr_read_b32 v32, a14
	v_accvgpr_read_b32 v31, a13
	v_accvgpr_read_b32 v30, a12
	v_accvgpr_read_b32 v16, a2
	v_accvgpr_read_b32 v15, a1
	v_accvgpr_read_b32 v14, a0
	v_fmac_f32_e32 v13, v21, v27
	v_pk_mul_f32 v[10:11], v[34:35], v[10:11] op_sel_hi:[0,1]
	v_pk_mul_f32 v[26:27], v[34:35], v[28:29] op_sel_hi:[0,1]
	s_add_i32 s61, s61, 64
	v_pk_fma_f32 v[6:7], v[6:7], v[10:11], v[30:31]
	v_pk_fma_f32 v[8:9], v[8:9], v[26:27], v[32:33]
	v_fma_f32 v22, v22, v10, v14
	v_fma_f32 v23, v23, v11, v15
	;; [unrolled: 1-line block ×3, first 2 shown]
	s_cmp_eq_u32 s55, s43
	v_fmac_f32_e32 v17, v25, v27
	s_cbranch_scc1 .LBB449_19
; %bb.18:                               ;   in Loop: Header=BB449_7 Depth=1
	s_mov_b32 s66, s43
	v_mov_b32_e32 v21, v13
	v_mov_b32_e32 v25, v17
	s_branch .LBB449_7
.LBB449_19:
	v_mov_b32_e32 v16, v24
	v_mov_b32_e32 v15, v23
	;; [unrolled: 1-line block ×3, first 2 shown]
.LBB449_20:
	s_lshl_b32 s0, s55, 6
	s_sub_i32 s46, s56, s0
	v_mov_b32_e32 v12, v20
	v_mov_b32_e32 v11, v19
	;; [unrolled: 1-line block ×3, first 2 shown]
	s_cmp_gt_i32 s46, 0
	s_cbranch_scc0 .LBB449_85
; %bb.21:
	s_add_i32 s34, s0, s34
	s_ashr_i32 s3, s34, 31
	s_cmpk_lg_i32 s31, 0x80
	s_cselect_b64 s[38:39], -1, 0
	s_and_b64 vcc, exec, s[38:39]
	s_cbranch_vccz .LBB449_23
; %bb.22:
	s_mul_i32 s1, s34, s30
	s_ashr_i32 s4, s57, 31
	s_mul_hi_i32 s0, s34, s30
	s_add_u32 s44, s1, s57
	s_addc_u32 s45, s0, s4
	s_cbranch_execz .LBB449_24
	s_branch .LBB449_25
.LBB449_23:
                                        ; implicit-def: $sgpr44_sgpr45
.LBB449_24:
	s_mul_i32 s1, s57, s28
	s_mul_hi_i32 s0, s57, s28
	s_add_u32 s44, s1, s34
	s_addc_u32 s45, s0, s3
.LBB449_25:
	s_waitcnt lgkmcnt(0)
	s_add_i32 s4, s55, s58
	s_add_u32 s0, s60, s34
	v_lshlrev_b32_e32 v22, 5, v82
	v_lshlrev_b32_e32 v38, 2, v79
	s_addc_u32 s1, s59, s3
	s_mov_b32 s3, 0x7060302
	v_or_b32_e32 v25, v22, v38
	v_xor_b32_e32 v23, v82, v38
	v_perm_b32 v19, v5, v4, s3
	v_perm_b32 v18, v3, v2, s3
	;; [unrolled: 1-line block ×4, first 2 shown]
	v_lshlrev_b32_e32 v25, 1, v25
	v_xor_b32_e32 v24, v83, v38
	ds_write2st64_b64 v25, v[18:19], v[20:21] offset0:80 offset1:88
	v_lshlrev_b32_e32 v23, 1, v23
	v_lshlrev_b32_e32 v25, 8, v79
	s_lshl_b64 s[36:37], s[0:1], 8
	v_or_b32_e32 v26, v23, v25
	v_lshlrev_b32_e32 v24, 1, v24
	s_add_u32 s0, s18, s36
	ds_write_b64 v26, v[18:19]
	v_or_b32_e32 v18, v24, v25
	s_addc_u32 s1, s19, s37
	ds_write_b64 v18, v[20:21]
	v_perm_b32 v19, v13, v12, s3
	v_perm_b32 v18, v11, v10, s3
	;; [unrolled: 1-line block ×4, first 2 shown]
	v_or_b32_e32 v25, 16, v79
	s_mul_hi_i32 s3, s4, s29
	s_mul_i32 s4, s4, s29
	v_lshlrev_b32_e32 v35, 2, v25
	s_add_u32 s4, s4, s33
	v_or_b32_e32 v22, v22, v35
	s_addc_u32 s5, s3, s48
	v_lshlrev_b32_e32 v22, 1, v22
	s_ashr_i32 s3, s2, 31
	s_lshl_b64 s[4:5], s[4:5], 15
	ds_write2st64_b64 v22, v[18:19], v[20:21] offset0:80 offset1:88
	v_lshlrev_b32_e32 v22, 8, v25
	s_add_u32 s4, s12, s4
	v_or_b32_e32 v23, v23, v22
	s_addc_u32 s5, s13, s5
	s_lshl_b64 s[2:3], s[2:3], 8
	ds_write_b64 v23, v[18:19]
	v_or_b32_e32 v18, v24, v22
	s_add_u32 s2, s4, s2
	ds_write_b64 v18, v[20:21]
	v_lshrrev_b32_e32 v18, 4, v0
	s_addc_u32 s3, s5, s3
	v_lshlrev_b32_e32 v19, 1, v79
	v_lshlrev_b32_e32 v26, 4, v79
	v_mov_b32_e32 v27, 0
	v_or_b32_e32 v20, 1, v19
	v_xor_b32_e32 v19, v18, v19
	v_lshl_add_u64 v[28:29], s[2:3], 0, v[26:27]
	v_lshlrev_b32_e32 v26, 8, v18
	v_xor_b32_e32 v22, v20, v18
	v_lshl_or_b32 v18, v19, 3, v26
	s_waitcnt lgkmcnt(0)
	s_barrier
	ds_read2st64_b64 v[18:21], v18 offset1:8
	v_lshl_or_b32 v22, v22, 3, v26
	ds_read2st64_b64 v[22:25], v22 offset1:8
	v_lshl_add_u64 v[30:31], v[28:29], 0, v[26:27]
	s_movk_i32 s2, 0x1000
	s_waitcnt lgkmcnt(1)
	v_mov_b32_e32 v26, v18
	v_add_co_u32_e32 v18, vcc, s2, v30
	s_cmp_lg_u32 s46, 64
	v_mov_b32_e32 v27, v19
	v_addc_co_u32_e32 v19, vcc, 0, v31, vcc
	s_cselect_b64 s[18:19], -1, 0
	v_lshl_or_b32 v42, v1, 3, v81
	s_waitcnt lgkmcnt(0)
	v_mov_b32_e32 v28, v22
	v_mov_b32_e32 v29, v23
	;; [unrolled: 1-line block ×4, first 2 shown]
	s_mov_b32 s4, 0
	v_or_b32_e32 v36, 32, v42
	v_and_b32_e32 v34, 56, v80
	s_and_b64 vcc, exec, s[18:19]
	global_store_dwordx4 v[30:31], v[26:29], off
	global_store_dwordx4 v[18:19], v[22:25], off
	s_cbranch_vccz .LBB449_31
; %bb.26:
	s_mov_b32 s6, s4
	s_mov_b32 s7, s4
	;; [unrolled: 1-line block ×3, first 2 shown]
	v_mov_b64_e32 v[24:25], s[6:7]
	v_mov_b64_e32 v[22:23], s[4:5]
	;; [unrolled: 1-line block ×3, first 2 shown]
	v_cmp_gt_i32_e32 vcc, s46, v42
	v_mov_b64_e32 v[20:21], v[24:25]
	s_and_saveexec_b64 s[2:3], vcc
	s_cbranch_execz .LBB449_28
; %bb.27:
	v_lshlrev_b32_e32 v18, 8, v42
	v_mov_b32_e32 v19, 0
	v_lshl_add_u64 v[20:21], s[0:1], 0, v[18:19]
	v_lshlrev_b32_e32 v18, 1, v34
	v_lshl_add_u64 v[26:27], v[20:21], 0, v[18:19]
	global_load_dwordx4 v[22:25], v[26:27], off
	global_load_dwordx4 v[18:21], v[26:27], off offset:128
.LBB449_28:
	s_or_b64 exec, exec, s[2:3]
	s_mov_b32 s6, s4
	s_mov_b32 s7, s4
	;; [unrolled: 1-line block ×3, first 2 shown]
	v_mov_b64_e32 v[32:33], s[6:7]
	v_mov_b64_e32 v[30:31], s[4:5]
	v_mov_b64_e32 v[26:27], v[30:31]
	v_cmp_gt_i32_e32 vcc, s46, v36
	v_lshlrev_b32_e32 v37, 7, v36
	v_mov_b64_e32 v[28:29], v[32:33]
	s_and_saveexec_b64 s[2:3], vcc
	s_cbranch_execz .LBB449_30
; %bb.29:
	v_lshlrev_b32_e32 v26, 1, v37
	v_mov_b32_e32 v27, 0
	v_lshl_add_u64 v[28:29], s[0:1], 0, v[26:27]
	v_lshlrev_b32_e32 v26, 1, v34
	v_lshl_add_u64 v[40:41], v[28:29], 0, v[26:27]
	global_load_dwordx4 v[30:33], v[40:41], off
	global_load_dwordx4 v[26:29], v[40:41], off offset:128
.LBB449_30:
	s_or_b64 exec, exec, s[2:3]
	v_lshrrev_b32_e32 v39, 3, v34
	v_lshlrev_b32_e32 v40, 3, v42
	v_or_b32_e32 v39, v40, v39
	v_lshlrev_b32_e32 v39, 4, v39
	v_and_b32_e32 v40, 0x78, v40
	v_xor_b32_e32 v39, v39, v40
	s_branch .LBB449_33
.LBB449_31:
                                        ; implicit-def: $vgpr39
                                        ; implicit-def: $vgpr37
                                        ; implicit-def: $vgpr22_vgpr23_vgpr24_vgpr25
                                        ; implicit-def: $vgpr18_vgpr19_vgpr20_vgpr21
                                        ; implicit-def: $vgpr30_vgpr31_vgpr32_vgpr33
                                        ; implicit-def: $vgpr26_vgpr27_vgpr28_vgpr29
	s_cbranch_execz .LBB449_33
; %bb.32:
	s_waitcnt vmcnt(0)
	v_lshlrev_b32_e32 v18, 1, v34
	v_lshl_or_b32 v37, v42, 8, v18
	s_and_b32 s1, s1, 0xffff
	s_mov_b32 s3, 0x20000
	s_movk_i32 s2, 0x4000
	v_lshl_or_b32 v39, v36, 8, v18
	s_movk_i32 s4, 0x80
	buffer_load_dwordx4 v[22:25], v37, s[0:3], 0 offen
	buffer_load_dwordx4 v[18:21], v37, s[0:3], s4 offen
	;; [unrolled: 1-line block ×4, first 2 shown]
	v_lshrrev_b32_e32 v37, 3, v34
	v_lshlrev_b32_e32 v39, 3, v42
	v_or_b32_e32 v37, v39, v37
	v_lshlrev_b32_e32 v37, 4, v37
	v_and_b32_e32 v39, 0x78, v39
	v_xor_b32_e32 v39, v37, v39
	v_lshlrev_b32_e32 v37, 7, v36
.LBB449_33:
	s_lshl_b64 s[0:1], s[44:45], 8
	s_add_u32 s4, s16, s0
	s_movk_i32 s0, 0x1000
	v_and_or_b32 v36, v37, s0, v39
	s_waitcnt vmcnt(1)
	ds_write_b64 v39, v[22:23] offset:24576
	v_xor_b32_e32 v22, 8, v39
	ds_write_b64 v22, v[24:25] offset:24576
	s_waitcnt vmcnt(0)
	ds_write_b64 v39, v[18:19] offset:32768
	ds_write_b64 v22, v[20:21] offset:32768
	;; [unrolled: 1-line block ×3, first 2 shown]
	v_xor_b32_e32 v18, 8, v36
	ds_write_b64 v18, v[32:33] offset:24576
	ds_write_b64 v36, v[26:27] offset:32768
	;; [unrolled: 1-line block ×3, first 2 shown]
	v_or_b32_e32 v18, v61, v79
	v_lshlrev_b32_e32 v18, 3, v18
	v_lshrrev_b32_e32 v19, 5, v63
	s_movk_i32 s2, 0xf8
	v_and_or_b32 v19, v18, s2, v19
	v_lshlrev_b32_e32 v23, 4, v19
	v_lshlrev_b32_e32 v39, 11, v1
	v_and_b32_e32 v24, 0x78, v18
	v_or_b32_e32 v26, 32, v23
	v_and_b32_e32 v22, 0x1000, v39
	v_lshrrev_b32_e32 v19, 1, v63
	v_xor_b32_e32 v26, v26, v24
	v_xor_b32_e32 v18, v23, v24
	v_and_b32_e32 v25, 8, v19
	v_or_b32_e32 v26, v26, v22
	v_or_b32_e32 v18, v18, v22
	v_xor_b32_e32 v44, v26, v25
	v_or_b32_e32 v26, 64, v23
	v_xor_b32_e32 v43, v18, v25
	v_xor_b32_e32 v26, v26, v24
	s_waitcnt lgkmcnt(0)
	s_barrier
	v_or_b32_e32 v28, v26, v22
	ds_read_b64 v[26:27], v43 offset:24576
	v_lshl_or_b32 v36, v78, 7, v38
	v_lshlrev_b32_e32 v40, 1, v36
	v_add_u32_e32 v18, 0xa000, v40
	ds_read2_b64 v[18:21], v18 offset1:16
	v_or_b32_e32 v23, 0x60, v23
	v_xor_b32_e32 v23, v23, v24
	s_waitcnt lgkmcnt(0)
	v_mfma_f32_16x16x16_bf16 a[0:3], v[26:27], v[18:19], 0
	v_or_b32_e32 v18, 64, v36
	v_or_b32_e32 v22, v23, v22
	v_lshlrev_b32_e32 v41, 1, v18
	v_xor_b32_e32 v45, v28, v25
	v_xor_b32_e32 v46, v22, v25
	ds_read_b64 v[28:29], v44 offset:24576
	ds_read_b64 v[30:31], v45 offset:24576
	;; [unrolled: 1-line block ×3, first 2 shown]
	v_mfma_f32_16x16x16_bf16 a[4:7], v[26:27], v[20:21], 0
	ds_read2st64_b64 v[18:21], v41 offset0:82 offset1:84
	ds_read2st64_b64 v[22:25], v40 offset0:82 offset1:84
	s_addc_u32 s5, s17, s1
	s_add_i32 s0, s51, s49
	s_add_i32 s16, s35, -1
	s_add_i32 s41, s0, s52
	s_add_i32 s0, s53, s50
	;; [unrolled: 1-line block ×3, first 2 shown]
	s_ashr_i32 s0, s16, 31
	s_mul_i32 s1, s16, s11
	s_mul_hi_u32 s2, s16, s10
	s_add_i32 s1, s2, s1
	s_mul_i32 s0, s0, s10
	s_waitcnt lgkmcnt(1)
	v_mfma_f32_16x16x16_bf16 a[4:7], v[28:29], v[18:19], a[4:7]
	s_add_i32 s1, s1, s0
	s_lshl_b64 s[2:3], s[40:41], 2
	s_add_u32 s6, s22, s2
	s_waitcnt lgkmcnt(0)
	v_mfma_f32_16x16x16_bf16 a[0:3], v[28:29], v[22:23], a[0:3]
	s_addc_u32 s7, s23, s3
	s_lshl_b64 s[2:3], s[42:43], 2
	s_mul_i32 s0, s16, s10
	s_add_u32 s12, s6, s2
	ds_read_b64 v[18:19], v40 offset:44032
	v_mfma_f32_16x16x16_bf16 a[4:7], v[30:31], v[20:21], a[4:7]
	ds_read_b64 v[20:21], v41 offset:44032
	s_addc_u32 s13, s7, s3
	s_lshl_b64 s[0:1], s[0:1], 2
	v_mfma_f32_16x16x16_bf16 a[0:3], v[30:31], v[24:25], a[0:3]
	s_add_u32 s0, s12, s0
	s_addc_u32 s1, s13, s1
	s_load_dword s17, s[0:1], 0x0
	s_waitcnt lgkmcnt(0)
	v_mfma_f32_16x16x16_bf16 a[0:3], v[32:33], v[18:19], a[0:3]
	s_and_b64 vcc, exec, s[38:39]
	v_mfma_f32_16x16x16_bf16 a[4:7], v[32:33], v[20:21], a[4:7]
	s_cbranch_vccz .LBB449_44
; %bb.34:
	v_lshlrev_b32_e32 v36, 1, v42
	s_and_b64 vcc, exec, s[18:19]
	s_cbranch_vccz .LBB449_45
; %bb.35:
	v_cmp_gt_i32_e32 vcc, s46, v36
	v_mov_b32_e32 v22, 0
	v_mov_b32_e32 v18, 0
	v_mov_b32_e32 v19, 0
	v_mov_b32_e32 v20, 0
	v_mov_b32_e32 v21, 0
	s_and_saveexec_b64 s[0:1], vcc
	s_cbranch_execz .LBB449_37
; %bb.36:
	v_mad_i64_i32 v[18:19], s[2:3], s31, v36, 0
	v_lshl_add_u64 v[18:19], v[18:19], 1, s[4:5]
	v_lshlrev_b32_e32 v20, 1, v34
	v_mov_b32_e32 v21, 0
	v_lshl_add_u64 v[18:19], v[18:19], 0, v[20:21]
	global_load_dwordx4 v[18:21], v[18:19], off
.LBB449_37:
	s_or_b64 exec, exec, s[0:1]
	v_or_b32_e32 v37, 1, v36
	v_cmp_gt_i32_e64 s[0:1], s46, v37
	v_mov_b32_e32 v23, 0
	v_mov_b32_e32 v24, 0
	;; [unrolled: 1-line block ×3, first 2 shown]
	s_and_saveexec_b64 s[2:3], s[0:1]
	s_cbranch_execz .LBB449_39
; %bb.38:
	v_mad_i64_i32 v[22:23], s[6:7], s31, v37, 0
	v_lshl_add_u64 v[22:23], v[22:23], 1, s[4:5]
	v_lshlrev_b32_e32 v24, 1, v34
	v_mov_b32_e32 v25, 0
	v_lshl_add_u64 v[22:23], v[22:23], 0, v[24:25]
	global_load_dwordx4 v[22:25], v[22:23], off
.LBB449_39:
	s_or_b64 exec, exec, s[2:3]
	v_mov_b32_e32 v33, 0
	v_mov_b32_e32 v26, 0
	;; [unrolled: 1-line block ×5, first 2 shown]
	s_and_saveexec_b64 s[2:3], vcc
	s_cbranch_execz .LBB449_41
; %bb.40:
	v_mad_i64_i32 v[26:27], s[6:7], s31, v36, 0
	v_lshl_add_u64 v[26:27], v[26:27], 1, s[4:5]
	v_lshlrev_b32_e32 v28, 1, v34
	v_mov_b32_e32 v29, 0
	v_lshl_add_u64 v[26:27], v[26:27], 0, v[28:29]
	global_load_dwordx4 v[26:29], v[26:27], off offset:128
.LBB449_41:
	s_or_b64 exec, exec, s[2:3]
	v_mov_b32_e32 v32, 0
	v_mov_b32_e32 v31, 0
	v_mov_b32_e32 v30, 0
	s_and_saveexec_b64 s[2:3], s[0:1]
	s_cbranch_execz .LBB449_43
; %bb.42:
	v_mad_i64_i32 v[30:31], s[0:1], s31, v37, 0
	v_lshl_add_u64 v[30:31], v[30:31], 1, s[4:5]
	v_lshlrev_b32_e32 v32, 1, v34
	v_mov_b32_e32 v33, 0
	v_lshl_add_u64 v[30:31], v[30:31], 0, v[32:33]
	global_load_dwordx4 v[30:33], v[30:31], off offset:128
.LBB449_43:
	s_or_b64 exec, exec, s[2:3]
	s_branch .LBB449_47
.LBB449_44:
                                        ; implicit-def: $vgpr21
                                        ; implicit-def: $vgpr25
                                        ; implicit-def: $vgpr29
                                        ; implicit-def: $vgpr33
	v_lshrrev_b32_e32 v47, 2, v63
	s_branch .LBB449_48
.LBB449_45:
                                        ; implicit-def: $vgpr21
                                        ; implicit-def: $vgpr25
                                        ; implicit-def: $vgpr29
                                        ; implicit-def: $vgpr33
	s_cbranch_execz .LBB449_47
; %bb.46:
	s_waitcnt vmcnt(0)
	v_mad_u64_u32 v[18:19], s[0:1], v36, s31, v[34:35]
	v_lshlrev_b32_e32 v36, 1, v18
	s_lshl_b32 s2, s31, 7
	s_and_b32 s1, s5, 0xffff
	s_mov_b32 s3, 0x20000
	s_mov_b32 s0, s4
	v_add_lshl_u32 v37, v18, s31, 1
	s_movk_i32 s6, 0x80
	buffer_load_dwordx4 v[18:21], v36, s[0:3], 0 offen
	buffer_load_dwordx4 v[26:29], v36, s[0:3], s6 offen
	;; [unrolled: 1-line block ×4, first 2 shown]
.LBB449_47:
	v_lshrrev_b32_e32 v47, 2, v63
	s_cbranch_execnz .LBB449_60
.LBB449_48:
	s_and_b64 vcc, exec, s[18:19]
	s_cbranch_vccz .LBB449_58
; %bb.49:
	s_waitcnt vmcnt(0)
	v_lshlrev_b32_e32 v23, 1, v42
	v_cmp_gt_i32_e32 vcc, s46, v23
	v_mov_b32_e32 v22, 0
	v_lshlrev_b32_e32 v30, 9, v42
	v_mov_b32_e32 v18, 0
	v_mov_b32_e32 v19, 0
	;; [unrolled: 1-line block ×4, first 2 shown]
	s_and_saveexec_b64 s[0:1], vcc
	s_cbranch_execz .LBB449_51
; %bb.50:
	v_mov_b32_e32 v31, 0
	v_lshl_add_u64 v[18:19], s[4:5], 0, v[30:31]
	v_lshlrev_b32_e32 v20, 1, v34
	v_mov_b32_e32 v21, v31
	v_lshl_add_u64 v[18:19], v[18:19], 0, v[20:21]
	global_load_dwordx4 v[18:21], v[18:19], off
.LBB449_51:
	s_or_b64 exec, exec, s[0:1]
	v_or_b32_e32 v23, 1, v23
	v_cmp_gt_i32_e64 s[0:1], s46, v23
	v_lshlrev_b32_e32 v36, 8, v23
	v_mov_b32_e32 v23, 0
	v_mov_b32_e32 v24, 0
	;; [unrolled: 1-line block ×3, first 2 shown]
	s_and_saveexec_b64 s[2:3], s[0:1]
	s_cbranch_execz .LBB449_53
; %bb.52:
	v_mov_b32_e32 v37, 0
	v_lshl_add_u64 v[22:23], s[4:5], 0, v[36:37]
	v_lshlrev_b32_e32 v24, 1, v34
	v_mov_b32_e32 v25, v37
	v_lshl_add_u64 v[22:23], v[22:23], 0, v[24:25]
	global_load_dwordx4 v[22:25], v[22:23], off
.LBB449_53:
	s_or_b64 exec, exec, s[2:3]
	v_mov_b32_e32 v33, 0
	v_mov_b32_e32 v26, 0
	;; [unrolled: 1-line block ×5, first 2 shown]
	s_and_saveexec_b64 s[2:3], vcc
	s_cbranch_execz .LBB449_55
; %bb.54:
	v_mov_b32_e32 v31, 0
	v_lshl_add_u64 v[26:27], s[4:5], 0, v[30:31]
	v_lshlrev_b32_e32 v30, 1, v34
	v_lshl_add_u64 v[26:27], v[26:27], 0, v[30:31]
	global_load_dwordx4 v[26:29], v[26:27], off offset:128
.LBB449_55:
	s_or_b64 exec, exec, s[2:3]
	v_mov_b32_e32 v32, 0
	v_mov_b32_e32 v31, 0
	;; [unrolled: 1-line block ×3, first 2 shown]
	s_and_saveexec_b64 s[2:3], s[0:1]
	s_cbranch_execz .LBB449_57
; %bb.56:
	v_mov_b32_e32 v37, 0
	v_lshl_add_u64 v[30:31], s[4:5], 0, v[36:37]
	v_lshlrev_b32_e32 v36, 1, v34
	v_lshl_add_u64 v[30:31], v[30:31], 0, v[36:37]
	global_load_dwordx4 v[30:33], v[30:31], off offset:128
.LBB449_57:
	s_or_b64 exec, exec, s[2:3]
	s_branch .LBB449_60
.LBB449_58:
                                        ; implicit-def: $vgpr21
                                        ; implicit-def: $vgpr25
                                        ; implicit-def: $vgpr29
                                        ; implicit-def: $vgpr33
	s_cbranch_execz .LBB449_60
; %bb.59:
	s_waitcnt vmcnt(0)
	v_lshlrev_b32_e32 v18, 1, v34
	v_lshl_or_b32 v34, v42, 9, v18
	s_and_b32 s5, s5, 0xffff
	s_mov_b32 s7, 0x20000
	s_movk_i32 s6, 0x4000
	s_movk_i32 s0, 0x80
	buffer_load_dwordx4 v[18:21], v34, s[4:7], 0 offen
	buffer_load_dwordx4 v[22:25], v34, s[4:7], 0 offen offset:256
	buffer_load_dwordx4 v[26:29], v34, s[4:7], s0 offen
	buffer_load_dwordx4 v[30:33], v34, s[4:7], s0 offen offset:256
.LBB449_60:
	ds_read_b64 v[36:37], v43 offset:32768
	v_add_u32_e32 v34, 0xb000, v40
	ds_read2_b64 v[48:51], v34 offset1:16
	ds_read_b64 v[56:57], v44 offset:32768
	ds_read_b64 v[44:45], v45 offset:32768
	;; [unrolled: 1-line block ×3, first 2 shown]
	ds_read2st64_b64 v[52:55], v41 offset0:90 offset1:92
	v_and_b32_e32 v43, 6, v0
	v_and_b32_e32 v34, 12, v47
	v_xor_b32_e32 v42, v42, v43
	v_lshlrev_b32_e32 v42, 2, v42
	s_mov_b32 s0, 0x1000504
	s_waitcnt lgkmcnt(4)
	v_mfma_f32_16x16x16_bf16 a[0:3], v[36:37], v[48:49], a[0:3]
	s_mov_b32 s1, 0x3020706
	v_mfma_f32_16x16x16_bf16 a[4:7], v[36:37], v[50:51], a[4:7]
	ds_read2st64_b64 v[48:51], v40 offset0:90 offset1:92
	ds_read_b64 v[36:37], v40 offset:48128
	ds_read_b64 v[46:47], v41 offset:48128
	s_waitcnt lgkmcnt(2)
	v_mfma_f32_16x16x16_bf16 a[0:3], v[56:57], v[48:49], a[0:3]
	v_and_b32_e32 v48, 1, v0
	v_xor_b32_e32 v49, 0x440, v42
	v_cmp_eq_u32_e32 vcc, 0, v48
	v_mfma_f32_16x16x16_bf16 a[4:7], v[56:57], v[52:53], a[4:7]
	s_nop 0
	v_cndmask_b32_e32 v42, v49, v42, vcc
	v_lshl_or_b32 v42, v43, 10, v42
	v_mfma_f32_16x16x16_bf16 a[0:3], v[44:45], v[50:51], a[0:3]
	v_mov_b32_e32 v43, 0
	v_mfma_f32_16x16x16_bf16 a[8:11], v[44:45], v[54:55], a[4:7]
	s_waitcnt lgkmcnt(1)
	v_mfma_f32_16x16x16_bf16 a[4:7], v[58:59], v[36:37], a[0:3]
	s_waitcnt vmcnt(0)
	v_perm_b32 v36, v18, v22, s0
	v_perm_b32 v37, v26, v30, s0
	ds_write2st64_b32 v42, v36, v37 offset0:32 offset1:64
	v_xor_b32_e32 v36, 8, v42
	v_perm_b32 v18, v18, v22, s1
	v_perm_b32 v22, v26, v30, s1
	v_add_u32_e32 v26, 0x80, v36
	ds_write2st64_b32 v26, v18, v22 offset0:32 offset1:64
	v_xor_b32_e32 v18, 16, v42
	v_perm_b32 v22, v19, v23, s0
	v_perm_b32 v26, v27, v31, s0
	ds_write2st64_b32 v18, v22, v26 offset0:33 offset1:65
	v_xor_b32_e32 v18, 24, v42
	v_perm_b32 v19, v19, v23, s1
	v_perm_b32 v22, v27, v31, s1
	v_add_u32_e32 v18, 0x80, v18
	ds_write2st64_b32 v18, v19, v22 offset0:33 offset1:65
	v_xor_b32_e32 v18, 32, v42
	v_perm_b32 v19, v20, v24, s0
	v_perm_b32 v22, v28, v32, s0
	ds_write2st64_b32 v18, v19, v22 offset0:34 offset1:66
	v_xor_b32_e32 v18, 40, v42
	s_waitcnt lgkmcnt(5)
	v_mfma_f32_16x16x16_bf16 a[0:3], v[58:59], v[46:47], a[8:11]
	v_perm_b32 v19, v20, v24, s1
	v_perm_b32 v20, v28, v32, s1
	v_add_u32_e32 v18, 0x80, v18
	ds_write2st64_b32 v18, v19, v20 offset0:34 offset1:66
	v_xor_b32_e32 v18, 48, v42
	v_perm_b32 v19, v21, v25, s0
	v_perm_b32 v20, v29, v33, s0
	ds_write2st64_b32 v18, v19, v20 offset0:35 offset1:67
	v_xor_b32_e32 v18, 56, v42
	v_or_b32_e32 v36, v34, v61
	v_perm_b32 v19, v21, v25, s1
	v_perm_b32 v20, v29, v33, s1
	v_add_u32_e32 v18, 0x80, v18
	v_cmp_gt_i32_e32 vcc, s46, v36
	v_mov_b32_e32 v37, 0
	ds_write2st64_b32 v18, v19, v20 offset0:35 offset1:67
	s_and_saveexec_b64 s[0:1], vcc
	s_cbranch_execz .LBB449_62
; %bb.61:
	v_add_u32_e32 v18, s34, v36
	v_ashrrev_i32_e32 v19, 31, v18
	v_mul_lo_u32 v20, v19, s10
	v_mul_lo_u32 v21, v18, s11
	v_mad_u64_u32 v[18:19], s[2:3], v18, s10, 0
	v_add3_u32 v19, v19, v21, v20
	v_lshl_add_u64 v[18:19], v[18:19], 2, s[12:13]
	global_load_dword v18, v[18:19], off
	s_waitcnt vmcnt(0)
	v_sub_f32_e32 v18, s17, v18
	v_mul_f32_e32 v18, 0x3fb8aa3b, v18
	v_exp_f32_e32 v43, v18
.LBB449_62:
	s_or_b64 exec, exec, s[0:1]
	v_or_b32_e32 v29, 1, v36
	v_cmp_gt_i32_e64 s[0:1], s46, v29
	s_and_saveexec_b64 s[2:3], s[0:1]
	s_cbranch_execz .LBB449_64
; %bb.63:
	v_add_u32_e32 v18, s34, v29
	v_ashrrev_i32_e32 v19, 31, v18
	v_mul_lo_u32 v20, v19, s10
	v_mul_lo_u32 v21, v18, s11
	v_mad_u64_u32 v[18:19], s[4:5], v18, s10, 0
	v_add3_u32 v19, v19, v21, v20
	v_lshl_add_u64 v[18:19], v[18:19], 2, s[12:13]
	global_load_dword v18, v[18:19], off
	s_waitcnt vmcnt(0)
	v_sub_f32_e32 v18, s17, v18
	v_mul_f32_e32 v18, 0x3fb8aa3b, v18
	v_exp_f32_e32 v37, v18
.LBB449_64:
	s_or_b64 exec, exec, s[2:3]
	v_or_b32_e32 v28, 2, v36
	v_cmp_gt_i32_e64 s[2:3], s46, v28
	v_mov_b32_e32 v42, 0
	v_mov_b32_e32 v44, 0
	s_and_saveexec_b64 s[4:5], s[2:3]
	s_cbranch_execz .LBB449_66
; %bb.65:
	v_add_u32_e32 v18, s34, v28
	v_ashrrev_i32_e32 v19, 31, v18
	v_mul_lo_u32 v20, v19, s10
	v_mul_lo_u32 v21, v18, s11
	v_mad_u64_u32 v[18:19], s[6:7], v18, s10, 0
	v_add3_u32 v19, v19, v21, v20
	v_lshl_add_u64 v[18:19], v[18:19], 2, s[12:13]
	global_load_dword v18, v[18:19], off
	s_waitcnt vmcnt(0)
	v_sub_f32_e32 v18, s17, v18
	v_mul_f32_e32 v18, 0x3fb8aa3b, v18
	v_exp_f32_e32 v44, v18
.LBB449_66:
	s_or_b64 exec, exec, s[4:5]
	v_or_b32_e32 v45, 3, v36
	v_cmp_gt_i32_e64 s[4:5], s46, v45
	s_and_saveexec_b64 s[6:7], s[4:5]
	s_cbranch_execz .LBB449_68
; %bb.67:
	v_add_u32_e32 v18, s34, v45
	v_ashrrev_i32_e32 v19, 31, v18
	v_mul_lo_u32 v20, v19, s10
	v_mul_lo_u32 v21, v18, s11
	v_mad_u64_u32 v[18:19], s[10:11], v18, s10, 0
	v_add3_u32 v19, v19, v21, v20
	v_lshl_add_u64 v[18:19], v[18:19], 2, s[12:13]
	global_load_dword v18, v[18:19], off
	s_waitcnt vmcnt(0)
	v_sub_f32_e32 v18, s17, v18
	v_mul_f32_e32 v18, 0x3fb8aa3b, v18
	v_exp_f32_e32 v42, v18
.LBB449_68:
	s_or_b64 exec, exec, s[6:7]
	s_add_u32 s6, s20, s36
	s_addc_u32 s7, s21, s37
	s_add_u32 s10, s14, s36
	v_ashrrev_i32_e32 v69, 31, v68
	v_accvgpr_read_b32 v21, a7
	s_addc_u32 s11, s15, s37
	v_lshlrev_b64 v[22:23], 1, v[68:69]
	v_accvgpr_read_b32 v20, a6
	v_accvgpr_read_b32 v19, a5
	;; [unrolled: 1-line block ×3, first 2 shown]
	v_lshl_add_u64 v[24:25], s[6:7], 0, v[22:23]
	v_lshl_add_u64 v[22:23], s[10:11], 0, v[22:23]
	v_mov_b32_e32 v31, 0
	v_lshlrev_b32_e32 v26, 8, v36
	v_mov_b32_e32 v27, 0
	s_and_saveexec_b64 s[6:7], vcc
	s_cbranch_execz .LBB449_70
; %bb.69:
	v_mov_b32_e32 v27, 0
	v_lshl_add_u64 v[32:33], v[24:25], 0, v[26:27]
	global_load_ushort v30, v[32:33], off
	v_lshl_add_u64 v[32:33], v[22:23], 0, v[26:27]
	s_waitcnt vmcnt(0)
	v_lshlrev_b32_e32 v27, 16, v30
	v_sub_f32_e32 v18, v27, v18
	global_store_short_d16_hi v[32:33], v18, off
	v_mul_f32_e32 v18, v43, v18
	v_lshrrev_b32_e32 v27, 16, v18
.LBB449_70:
	s_or_b64 exec, exec, s[6:7]
	v_lshlrev_b32_e32 v30, 8, v29
	s_and_saveexec_b64 s[6:7], s[0:1]
	s_cbranch_execz .LBB449_72
; %bb.71:
	v_mov_b32_e32 v31, 0
	v_lshl_add_u64 v[32:33], v[24:25], 0, v[30:31]
	global_load_ushort v18, v[32:33], off
	v_lshl_add_u64 v[32:33], v[22:23], 0, v[30:31]
	s_waitcnt vmcnt(0)
	v_lshlrev_b32_e32 v18, 16, v18
	v_sub_f32_e32 v18, v18, v19
	global_store_short_d16_hi v[32:33], v18, off
	v_mul_f32_e32 v18, v37, v18
	v_lshrrev_b32_e32 v31, 16, v18
.LBB449_72:
	s_or_b64 exec, exec, s[6:7]
	v_mov_b32_e32 v29, 0
	v_lshlrev_b32_e32 v32, 8, v28
	v_mov_b32_e32 v33, 0
	s_and_saveexec_b64 s[6:7], s[2:3]
	s_cbranch_execz .LBB449_74
; %bb.73:
	v_mov_b32_e32 v33, 0
	v_lshl_add_u64 v[18:19], v[24:25], 0, v[32:33]
	global_load_ushort v28, v[18:19], off
	v_lshl_add_u64 v[18:19], v[22:23], 0, v[32:33]
	s_waitcnt vmcnt(0)
	v_lshlrev_b32_e32 v28, 16, v28
	v_sub_f32_e32 v20, v28, v20
	global_store_short_d16_hi v[18:19], v20, off
	v_mul_f32_e32 v18, v44, v20
	v_lshrrev_b32_e32 v33, 16, v18
.LBB449_74:
	s_or_b64 exec, exec, s[6:7]
	v_lshlrev_b32_e32 v28, 8, v45
	s_and_saveexec_b64 s[6:7], s[4:5]
	s_cbranch_execz .LBB449_76
; %bb.75:
	v_mov_b32_e32 v29, 0
	v_lshl_add_u64 v[18:19], v[24:25], 0, v[28:29]
	global_load_ushort v20, v[18:19], off
	v_lshl_add_u64 v[18:19], v[22:23], 0, v[28:29]
	s_waitcnt vmcnt(0)
	v_lshlrev_b32_e32 v20, 16, v20
	v_sub_f32_e32 v20, v20, v21
	global_store_short_d16_hi v[18:19], v20, off
	v_mul_f32_e32 v18, v42, v20
	v_lshrrev_b32_e32 v29, 16, v18
.LBB449_76:
	s_or_b64 exec, exec, s[6:7]
	v_lshlrev_b32_e32 v45, 5, v36
	s_mov_b32 s6, 0x5040100
	v_perm_b32 v46, v31, v27, s6
	v_or_b32_e32 v27, v45, v38
	v_accvgpr_read_b32 v21, a3
	v_perm_b32 v47, v29, v33, s6
	v_lshlrev_b32_e32 v27, 1, v27
	v_accvgpr_read_b32 v20, a2
	v_accvgpr_read_b32 v19, a1
	;; [unrolled: 1-line block ×3, first 2 shown]
	ds_write_b64 v27, v[46:47] offset:45056
	v_mov_b32_e32 v31, 0
	v_mov_b32_e32 v27, 0
	s_and_saveexec_b64 s[6:7], vcc
	s_cbranch_execz .LBB449_78
; %bb.77:
	v_mov_b32_e32 v27, 0
	v_lshl_add_u64 v[46:47], v[24:25], 0, v[26:27]
	global_load_ushort v29, v[46:47], off offset:32
	v_lshl_add_u64 v[26:27], v[22:23], 0, v[26:27]
	s_waitcnt vmcnt(0)
	v_lshlrev_b32_e32 v29, 16, v29
	v_sub_f32_e32 v18, v29, v18
	global_store_short_d16_hi v[26:27], v18, off offset:32
	v_mul_f32_e32 v18, v43, v18
	v_lshrrev_b32_e32 v27, 16, v18
.LBB449_78:
	s_or_b64 exec, exec, s[6:7]
	s_and_saveexec_b64 s[6:7], s[0:1]
	s_cbranch_execz .LBB449_80
; %bb.79:
	v_mov_b32_e32 v31, 0
	v_lshl_add_u64 v[46:47], v[24:25], 0, v[30:31]
	global_load_ushort v18, v[46:47], off offset:32
	v_lshl_add_u64 v[30:31], v[22:23], 0, v[30:31]
	s_waitcnt vmcnt(0)
	v_lshlrev_b32_e32 v18, 16, v18
	v_sub_f32_e32 v18, v18, v19
	global_store_short_d16_hi v[30:31], v18, off offset:32
	v_mul_f32_e32 v18, v37, v18
	v_lshrrev_b32_e32 v31, 16, v18
.LBB449_80:
	s_or_b64 exec, exec, s[6:7]
	v_mov_b32_e32 v26, 0
	v_mov_b32_e32 v30, 0
	s_and_saveexec_b64 s[0:1], s[2:3]
	s_cbranch_execz .LBB449_82
; %bb.81:
	v_mov_b32_e32 v33, 0
	v_lshl_add_u64 v[18:19], v[24:25], 0, v[32:33]
	global_load_ushort v29, v[18:19], off offset:32
	v_lshl_add_u64 v[18:19], v[22:23], 0, v[32:33]
	s_waitcnt vmcnt(0)
	v_lshlrev_b32_e32 v29, 16, v29
	v_sub_f32_e32 v20, v29, v20
	global_store_short_d16_hi v[18:19], v20, off offset:32
	v_mul_f32_e32 v18, v44, v20
	v_lshrrev_b32_e32 v30, 16, v18
.LBB449_82:
	s_or_b64 exec, exec, s[0:1]
	v_or_b32_e32 v19, 0xb000, v40
	v_or_b32_e32 v18, 0xb000, v41
	s_and_saveexec_b64 s[0:1], s[4:5]
	s_cbranch_execz .LBB449_84
; %bb.83:
	v_mov_b32_e32 v29, 0
	v_lshl_add_u64 v[24:25], v[24:25], 0, v[28:29]
	global_load_ushort v20, v[24:25], off offset:32
	v_lshl_add_u64 v[22:23], v[22:23], 0, v[28:29]
	s_waitcnt vmcnt(0)
	v_lshlrev_b32_e32 v20, 16, v20
	v_sub_f32_e32 v20, v20, v21
	global_store_short_d16_hi v[22:23], v20, off offset:32
	v_mul_f32_e32 v20, v42, v20
	v_lshrrev_b32_e32 v26, 16, v20
.LBB449_84:
	s_or_b64 exec, exec, s[0:1]
	s_mov_b32 s0, 0x5040100
	v_or_b32_e32 v22, v45, v35
	v_perm_b32 v21, v26, v30, s0
	v_perm_b32 v20, v31, v27, s0
	v_lshlrev_b32_e32 v22, 1, v22
	s_movk_i32 s2, 0x100
	ds_write_b64 v22, v[20:21] offset:45056
	v_and_b32_e32 v20, 7, v0
	v_and_b32_e32 v21, 8, v0
	v_cmp_gt_u32_e32 vcc, s2, v0
	v_lshrrev_b32_e32 v0, 1, v0
	v_lshlrev_b32_e32 v26, 3, v20
	v_lshlrev_b32_e32 v48, 7, v20
	v_mov_b32_e32 v20, 0x4000
	v_mov_b32_e32 v22, 0x2000
	v_lshlrev_b32_e32 v24, 3, v1
	v_and_b32_e32 v0, 24, v0
	v_cndmask_b32_e32 v27, v20, v22, vcc
	v_xor_b32_e32 v20, v24, v0
	v_or_b32_e32 v22, 0x440, v20
	v_cmp_eq_u32_e32 vcc, 0, v21
	v_or_b32_e32 v28, 32, v0
	v_xor_b32_e32 v28, v24, v28
	v_cndmask_b32_e32 v20, v22, v20, vcc
	v_or_b32_e32 v20, v20, v39
	v_xor_b32_e32 v49, v20, v26
	v_or_b32_e32 v29, 0x440, v28
	v_add3_u32 v25, v27, v49, v48
	v_cndmask_b32_e32 v28, v29, v28, vcc
	v_or_b32_e32 v29, 64, v0
	v_or_b32_e32 v0, 0x60, v0
	s_waitcnt lgkmcnt(0)
	s_barrier
	v_xor_b32_e32 v29, v24, v29
	v_xor_b32_e32 v0, v24, v0
	ds_read_b64 v[24:25], v25
	v_xor_b32_e32 v30, 0x440, v29
	ds_read2_b64 v[20:23], v19 offset1:16
	v_cndmask_b32_e32 v29, v30, v29, vcc
	v_xor_b32_e32 v30, 0x440, v0
	v_or_b32_e32 v28, v28, v39
	v_or_b32_e32 v29, v29, v39
	v_cndmask_b32_e32 v0, v30, v0, vcc
	v_xor_b32_e32 v50, v28, v26
	v_xor_b32_e32 v51, v29, v26
	v_or_b32_e32 v0, v0, v39
	v_add3_u32 v28, v27, v50, v48
	v_add3_u32 v29, v27, v51, v48
	v_xor_b32_e32 v52, v0, v26
	s_mul_i32 s0, s16, s29
	s_mul_hi_i32 s1, s16, s29
	v_add3_u32 v0, v27, v52, v48
	ds_read_b64 v[26:27], v28
	ds_read_b64 v[42:43], v29
	ds_read_b64 v[44:45], v0
	s_add_u32 s0, s0, s33
	ds_read2st64_b64 v[28:31], v19 offset0:2 offset1:4
	ds_read2st64_b64 v[38:41], v18 offset0:2 offset1:4
	s_waitcnt lgkmcnt(5)
	v_mfma_f32_16x16x16_bf16 a[0:3], v[24:25], v[20:21], 0
	s_addc_u32 s1, s1, s48
	s_lshl_b64 s[0:1], s[0:1], 9
	s_add_u32 s0, s8, s0
	v_mfma_f32_16x16x16_bf16 a[4:7], v[24:25], v[22:23], 0
	s_addc_u32 s1, s9, s1
	v_lshlrev_b32_e32 v0, 2, v36
	ds_read_b64 v[36:37], v19 offset:3072
	ds_read_b64 v[46:47], v18 offset:3072
	s_waitcnt lgkmcnt(3)
	v_mfma_f32_16x16x16_bf16 a[0:3], v[26:27], v[28:29], a[0:3]
	s_waitcnt lgkmcnt(2)
	v_mfma_f32_16x16x16_bf16 a[4:7], v[26:27], v[38:39], a[4:7]
	global_load_dwordx4 v[24:27], v0, s[0:1]
	v_lshlrev_b32_e32 v0, 6, v1
	v_lshlrev_b32_e32 v1, 2, v34
	v_or3_b32 v0, v0, v1, s2
	global_load_dwordx4 v[32:35], v0, s[0:1]
	v_mfma_f32_16x16x16_bf16 a[0:3], v[42:43], v[30:31], a[0:3]
	v_mov_b32_e32 v0, 0x3fb8aa3b
	v_mul_f32_e32 v0, s17, v0
	s_waitcnt vmcnt(1)
	v_mul_f32_e32 v18, 0x3fb8aa3b, v26
	v_mfma_f32_16x16x16_bf16 a[4:7], v[42:43], v[40:41], a[4:7]
	v_exp_f32_e32 v42, v0
	v_mul_f32_e32 v0, 0x3fb8aa3b, v24
	v_exp_f32_e32 v24, v18
	s_waitcnt lgkmcnt(1)
	v_mfma_f32_16x16x16_bf16 a[0:3], v[44:45], v[36:37], a[0:3]
	v_add_u32_e32 v18, v49, v48
	v_mul_f32_e32 v19, 0x3fb8aa3b, v27
	v_mul_f32_e32 v1, 0x3fb8aa3b, v25
	v_exp_f32_e32 v0, v0
	v_exp_f32_e32 v1, v1
	;; [unrolled: 1-line block ×3, first 2 shown]
	v_pk_mul_f32 v[0:1], v[42:43], v[0:1] op_sel_hi:[0,1]
	v_accvgpr_read_b32 v27, a3
	v_accvgpr_read_b32 v26, a2
	s_waitcnt lgkmcnt(0)
	v_mfma_f32_16x16x16_bf16 a[2:5], v[44:45], v[46:47], a[4:7]
	ds_read_b64 v[44:45], v18 offset:16384
	v_accvgpr_read_b32 v19, a1
	v_accvgpr_read_b32 v18, a0
	v_pk_fma_f32 v[18:19], v[2:3], v[0:1], v[18:19]
	v_add_u32_e32 v2, v50, v48
	v_add_u32_e32 v50, v52, v48
	s_waitcnt lgkmcnt(0)
	v_mfma_f32_16x16x16_bf16 a[6:9], v[44:45], v[20:21], 0
	v_add_u32_e32 v43, v51, v48
	ds_read_b64 v[2:3], v2 offset:16384
	ds_read_b64 v[48:49], v43 offset:16384
	;; [unrolled: 1-line block ×3, first 2 shown]
	v_pk_mul_f32 v[24:25], v[42:43], v[24:25] op_sel_hi:[0,1]
	v_pk_fma_f32 v[20:21], v[4:5], v[24:25], v[26:27]
	v_accvgpr_read_b32 v4, a2
	v_mfma_f32_16x16x16_bf16 a[10:13], v[44:45], v[22:23], 0
	v_fma_f32 v26, v10, v0, v4
	v_accvgpr_read_b32 v0, a3
	v_fma_f32 v27, v11, v1, v0
	s_waitcnt lgkmcnt(2)
	v_mfma_f32_16x16x16_bf16 a[0:3], v[2:3], v[28:29], a[6:9]
	v_accvgpr_read_b32 v0, a4
	v_accvgpr_read_b32 v29, a5
	v_fma_f32 v28, v12, v24, v0
	v_mfma_f32_16x16x16_bf16 a[4:7], v[2:3], v[38:39], a[10:13]
	s_waitcnt vmcnt(0)
	v_mov_b32_e32 v0, v33
	v_mov_b32_e32 v1, v34
	;; [unrolled: 1-line block ×3, first 2 shown]
	s_waitcnt lgkmcnt(1)
	v_mfma_f32_16x16x16_bf16 a[0:3], v[48:49], v[30:31], a[0:3]
	v_mul_f32_e32 v0, 0x3fb8aa3b, v0
	v_exp_f32_e32 v5, v0
	v_mul_f32_e32 v0, 0x3fb8aa3b, v1
	v_mfma_f32_16x16x16_bf16 a[4:7], v[48:49], v[40:41], a[4:7]
	v_mul_f32_e32 v1, 0x3fb8aa3b, v2
	v_mul_f32_e32 v3, 0x3fb8aa3b, v32
	v_exp_f32_e32 v0, v0
	s_waitcnt lgkmcnt(0)
	v_mfma_f32_16x16x16_bf16 a[0:3], v[50:51], v[36:37], a[0:3]
	v_exp_f32_e32 v1, v1
	v_exp_f32_e32 v4, v3
	v_fmac_f32_e32 v29, v13, v25
	v_pk_mul_f32 v[0:1], v[42:43], v[0:1] op_sel_hi:[0,1]
	v_pk_mul_f32 v[4:5], v[42:43], v[4:5] op_sel_hi:[0,1]
	s_nop 1
	v_accvgpr_read_b32 v3, a3
	v_accvgpr_read_b32 v2, a2
	v_mfma_f32_16x16x16_bf16 a[2:5], v[50:51], v[46:47], a[4:7]
	v_pk_fma_f32 v[24:25], v[8:9], v[0:1], v[2:3]
	v_accvgpr_read_b32 v11, a1
	v_accvgpr_read_b32 v10, a0
	v_pk_fma_f32 v[22:23], v[6:7], v[4:5], v[10:11]
	s_nop 2
	v_accvgpr_read_b32 v2, a2
	v_fma_f32 v30, v14, v4, v2
	v_accvgpr_read_b32 v2, a3
	v_fma_f32 v31, v15, v5, v2
	v_accvgpr_read_b32 v2, a4
	v_accvgpr_read_b32 v33, a5
	v_fma_f32 v32, v16, v0, v2
	v_fmac_f32_e32 v33, v17, v1
	v_mov_b64_e32 v[2:3], v[18:19]
	v_mov_b64_e32 v[4:5], v[20:21]
	;; [unrolled: 1-line block ×8, first 2 shown]
.LBB449_85:
	s_add_u32 s0, s24, s26
	s_addc_u32 s1, s25, s27
	v_lshl_add_u64 v[0:1], v[66:67], 2, s[0:1]
	v_mov_b32_e32 v63, 0
	v_lshl_add_u64 v[0:1], v[0:1], 0, v[62:63]
	global_store_dwordx4 v[0:1], v[2:5], off
	global_store_dwordx4 v[0:1], v[6:9], off offset:256
	v_lshl_add_u64 v[0:1], v[64:65], 2, s[0:1]
	v_lshl_add_u64 v[0:1], v[0:1], 0, v[62:63]
	global_store_dwordx4 v[0:1], v[10:13], off
	global_store_dwordx4 v[0:1], v[14:17], off offset:256
	s_endpgm
	.section	.rodata,"a",@progbits
	.p2align	6, 0x0
	.amdhsa_kernel _ZN12_GLOBAL__N_139chunk_gated_delta_rule_fwd_h_hip_kernelILi32ELb1ELb1ELb1ELb1ELb0ELb1ELb1ELb0EEEvPK12hip_bfloat16S3_S3_PKfS5_PKvPS1_S8_PvPKiSB_iiiiilll
		.amdhsa_group_segment_fixed_size 49152
		.amdhsa_private_segment_fixed_size 0
		.amdhsa_kernarg_size 136
		.amdhsa_user_sgpr_count 2
		.amdhsa_user_sgpr_dispatch_ptr 0
		.amdhsa_user_sgpr_queue_ptr 0
		.amdhsa_user_sgpr_kernarg_segment_ptr 1
		.amdhsa_user_sgpr_dispatch_id 0
		.amdhsa_user_sgpr_kernarg_preload_length 0
		.amdhsa_user_sgpr_kernarg_preload_offset 0
		.amdhsa_user_sgpr_private_segment_size 0
		.amdhsa_uses_dynamic_stack 0
		.amdhsa_enable_private_segment 0
		.amdhsa_system_sgpr_workgroup_id_x 1
		.amdhsa_system_sgpr_workgroup_id_y 1
		.amdhsa_system_sgpr_workgroup_id_z 0
		.amdhsa_system_sgpr_workgroup_info 0
		.amdhsa_system_vgpr_workitem_id 0
		.amdhsa_next_free_vgpr 172
		.amdhsa_next_free_sgpr 70
		.amdhsa_accum_offset 148
		.amdhsa_reserve_vcc 1
		.amdhsa_float_round_mode_32 0
		.amdhsa_float_round_mode_16_64 0
		.amdhsa_float_denorm_mode_32 3
		.amdhsa_float_denorm_mode_16_64 3
		.amdhsa_dx10_clamp 1
		.amdhsa_ieee_mode 1
		.amdhsa_fp16_overflow 0
		.amdhsa_tg_split 0
		.amdhsa_exception_fp_ieee_invalid_op 0
		.amdhsa_exception_fp_denorm_src 0
		.amdhsa_exception_fp_ieee_div_zero 0
		.amdhsa_exception_fp_ieee_overflow 0
		.amdhsa_exception_fp_ieee_underflow 0
		.amdhsa_exception_fp_ieee_inexact 0
		.amdhsa_exception_int_div_zero 0
	.end_amdhsa_kernel
	.section	.text._ZN12_GLOBAL__N_139chunk_gated_delta_rule_fwd_h_hip_kernelILi32ELb1ELb1ELb1ELb1ELb0ELb1ELb1ELb0EEEvPK12hip_bfloat16S3_S3_PKfS5_PKvPS1_S8_PvPKiSB_iiiiilll,"axG",@progbits,_ZN12_GLOBAL__N_139chunk_gated_delta_rule_fwd_h_hip_kernelILi32ELb1ELb1ELb1ELb1ELb0ELb1ELb1ELb0EEEvPK12hip_bfloat16S3_S3_PKfS5_PKvPS1_S8_PvPKiSB_iiiiilll,comdat
.Lfunc_end449:
	.size	_ZN12_GLOBAL__N_139chunk_gated_delta_rule_fwd_h_hip_kernelILi32ELb1ELb1ELb1ELb1ELb0ELb1ELb1ELb0EEEvPK12hip_bfloat16S3_S3_PKfS5_PKvPS1_S8_PvPKiSB_iiiiilll, .Lfunc_end449-_ZN12_GLOBAL__N_139chunk_gated_delta_rule_fwd_h_hip_kernelILi32ELb1ELb1ELb1ELb1ELb0ELb1ELb1ELb0EEEvPK12hip_bfloat16S3_S3_PKfS5_PKvPS1_S8_PvPKiSB_iiiiilll
                                        ; -- End function
	.section	.AMDGPU.csdata,"",@progbits
; Kernel info:
; codeLenInByte = 9912
; NumSgprs: 76
; NumVgprs: 148
; NumAgprs: 24
; TotalNumVgprs: 172
; ScratchSize: 0
; MemoryBound: 0
; FloatMode: 240
; IeeeMode: 1
; LDSByteSize: 49152 bytes/workgroup (compile time only)
; SGPRBlocks: 9
; VGPRBlocks: 21
; NumSGPRsForWavesPerEU: 76
; NumVGPRsForWavesPerEU: 172
; AccumOffset: 148
; Occupancy: 1
; WaveLimiterHint : 1
; COMPUTE_PGM_RSRC2:SCRATCH_EN: 0
; COMPUTE_PGM_RSRC2:USER_SGPR: 2
; COMPUTE_PGM_RSRC2:TRAP_HANDLER: 0
; COMPUTE_PGM_RSRC2:TGID_X_EN: 1
; COMPUTE_PGM_RSRC2:TGID_Y_EN: 1
; COMPUTE_PGM_RSRC2:TGID_Z_EN: 0
; COMPUTE_PGM_RSRC2:TIDIG_COMP_CNT: 0
; COMPUTE_PGM_RSRC3_GFX90A:ACCUM_OFFSET: 36
; COMPUTE_PGM_RSRC3_GFX90A:TG_SPLIT: 0
	.section	.text._ZN12_GLOBAL__N_139chunk_gated_delta_rule_fwd_h_hip_kernelILi32ELb1ELb1ELb0ELb1ELb0ELb1ELb1ELb0EEEvPK12hip_bfloat16S3_S3_PKfS5_PKvPS1_S8_PvPKiSB_iiiiilll,"axG",@progbits,_ZN12_GLOBAL__N_139chunk_gated_delta_rule_fwd_h_hip_kernelILi32ELb1ELb1ELb0ELb1ELb0ELb1ELb1ELb0EEEvPK12hip_bfloat16S3_S3_PKfS5_PKvPS1_S8_PvPKiSB_iiiiilll,comdat
	.globl	_ZN12_GLOBAL__N_139chunk_gated_delta_rule_fwd_h_hip_kernelILi32ELb1ELb1ELb0ELb1ELb0ELb1ELb1ELb0EEEvPK12hip_bfloat16S3_S3_PKfS5_PKvPS1_S8_PvPKiSB_iiiiilll ; -- Begin function _ZN12_GLOBAL__N_139chunk_gated_delta_rule_fwd_h_hip_kernelILi32ELb1ELb1ELb0ELb1ELb0ELb1ELb1ELb0EEEvPK12hip_bfloat16S3_S3_PKfS5_PKvPS1_S8_PvPKiSB_iiiiilll
	.p2align	8
	.type	_ZN12_GLOBAL__N_139chunk_gated_delta_rule_fwd_h_hip_kernelILi32ELb1ELb1ELb0ELb1ELb0ELb1ELb1ELb0EEEvPK12hip_bfloat16S3_S3_PKfS5_PKvPS1_S8_PvPKiSB_iiiiilll,@function
_ZN12_GLOBAL__N_139chunk_gated_delta_rule_fwd_h_hip_kernelILi32ELb1ELb1ELb0ELb1ELb0ELb1ELb1ELb0EEEvPK12hip_bfloat16S3_S3_PKfS5_PKvPS1_S8_PvPKiSB_iiiiilll: ; @_ZN12_GLOBAL__N_139chunk_gated_delta_rule_fwd_h_hip_kernelILi32ELb1ELb1ELb0ELb1ELb0ELb1ELb1ELb0EEEvPK12hip_bfloat16S3_S3_PKfS5_PKvPS1_S8_PvPKiSB_iiiiilll
; %bb.0:
	s_load_dwordx4 s[16:19], s[0:1], 0x5c
	s_load_dwordx4 s[24:27], s[0:1], 0x70
	s_abs_i32 s7, s3
	s_ashr_i32 s6, s3, 31
	s_load_dwordx4 s[12:15], s[0:1], 0x40
	s_load_dwordx2 s[4:5], s[0:1], 0x50
	s_waitcnt lgkmcnt(0)
	s_abs_i32 s10, s17
	v_cvt_f32_u32_e32 v1, s10
	s_sub_i32 s8, 0, s10
	s_ashr_i32 s11, s17, 31
	s_xor_b32 s6, s6, s11
	v_rcp_iflag_f32_e32 v1, v1
	v_and_b32_e32 v77, 15, v0
	v_bfe_u32 v76, v0, 4, 2
	v_mov_b32_e32 v63, 0
	v_mul_f32_e32 v1, 0x4f7ffffe, v1
	v_cvt_u32_f32_e32 v1, v1
	v_lshlrev_b32_e32 v78, 3, v0
	v_readfirstlane_b32 s9, v1
	s_mul_i32 s8, s8, s9
	s_mul_hi_u32 s8, s9, s8
	s_add_i32 s9, s9, s8
	s_mul_hi_u32 s8, s7, s9
	s_mul_i32 s9, s8, s10
	s_sub_i32 s7, s7, s9
	s_add_i32 s20, s8, 1
	s_sub_i32 s9, s7, s10
	s_cmp_ge_u32 s7, s10
	s_cselect_b32 s8, s20, s8
	s_cselect_b32 s7, s9, s7
	s_add_i32 s9, s8, 1
	s_cmp_ge_u32 s7, s10
	s_cselect_b32 s7, s9, s8
	s_xor_b32 s7, s7, s6
	s_sub_i32 s28, s7, s6
	s_mul_i32 s36, s28, s17
	s_ashr_i32 s29, s28, 31
	s_sub_i32 s33, s3, s36
	s_lshl_b64 s[6:7], s[28:29], 2
	s_add_u32 s8, s14, s6
	s_addc_u32 s9, s15, s7
	s_add_u32 s30, s4, s6
	s_addc_u32 s31, s5, s7
	s_abs_i32 s3, s18
	v_cvt_f32_u32_e32 v1, s3
	s_load_dwordx2 s[34:35], s[8:9], 0x0
	s_sub_i32 s5, 0, s3
	s_lshl_b32 s2, s2, 5
	v_rcp_iflag_f32_e32 v1, v1
	s_load_dwordx4 s[20:23], s[0:1], 0x20
	s_load_dwordx2 s[40:41], s[0:1], 0x30
	s_waitcnt lgkmcnt(0)
	s_sub_i32 s54, s35, s34
	s_ashr_i32 s4, s54, 31
	v_mul_f32_e32 v1, 0x4f7ffffe, v1
	v_cvt_u32_f32_e32 v1, v1
	s_lshr_b32 s4, s4, 26
	s_add_i32 s4, s54, s4
	s_ashr_i32 s53, s4, 6
	v_readfirstlane_b32 s6, v1
	s_mul_i32 s5, s5, s6
	s_mul_hi_u32 s5, s6, s5
	s_add_i32 s6, s6, s5
	s_mul_hi_u32 s5, s10, s6
	s_mul_i32 s6, s5, s3
	s_ashr_i32 s4, s18, 31
	s_sub_i32 s6, s10, s6
	s_xor_b32 s4, s11, s4
	s_add_i32 s7, s5, 1
	s_sub_i32 s8, s6, s3
	s_cmp_ge_u32 s6, s3
	s_cselect_b32 s5, s7, s5
	s_cselect_b32 s6, s8, s6
	s_add_i32 s7, s5, 1
	s_cmp_ge_u32 s6, s3
	s_cselect_b32 s3, s7, s5
	s_xor_b32 s3, s3, s4
	s_sub_i32 s3, s3, s4
	s_abs_i32 s4, s3
	v_cvt_f32_u32_e32 v1, s4
	s_sub_i32 s6, 0, s4
	s_abs_i32 s5, s33
	s_xor_b32 s3, s33, s3
	v_rcp_iflag_f32_e32 v2, v1
	s_ashr_i32 s3, s3, 31
	v_lshrrev_b32_e32 v1, 6, v0
	v_or_b32_e32 v68, s2, v77
	v_mul_f32_e32 v2, 0x4f7ffffe, v2
	v_cvt_u32_f32_e32 v2, v2
	v_lshlrev_b32_e32 v61, 4, v1
	v_lshlrev_b32_e32 v66, 7, v68
	v_lshl_or_b32 v80, v76, 2, v61
	v_readfirstlane_b32 s7, v2
	s_mul_i32 s6, s6, s7
	s_mul_hi_u32 s6, s7, s6
	s_add_i32 s7, s7, s6
	s_mul_hi_u32 s6, s5, s7
	s_mul_i32 s7, s6, s4
	s_sub_i32 s5, s5, s7
	s_add_i32 s7, s6, 1
	s_sub_i32 s8, s5, s4
	s_cmp_ge_u32 s5, s4
	s_cselect_b32 s6, s7, s6
	s_cselect_b32 s5, s8, s5
	s_add_i32 s7, s6, 1
	s_cmp_ge_u32 s5, s4
	s_cselect_b32 s4, s7, s6
	s_xor_b32 s4, s4, s3
	s_sub_i32 s55, s4, s3
	s_ashr_i32 s46, s33, 31
	s_mul_hi_i32 s3, s28, s17
	s_add_u32 s4, s36, s33
	s_addc_u32 s5, s3, s46
	s_lshl_b64 s[14:15], s[4:5], 16
	s_add_u32 s4, s22, s14
	s_addc_u32 s5, s23, s15
	v_ashrrev_i32_e32 v67, 31, v66
	v_lshl_add_u64 v[2:3], v[66:67], 2, s[4:5]
	v_lshlrev_b32_e32 v62, 2, v80
	v_or_b32_e32 v64, 0x800, v66
	v_lshl_add_u64 v[10:11], v[2:3], 0, v[62:63]
	v_ashrrev_i32_e32 v65, 31, v64
	global_load_dwordx4 v[2:5], v[10:11], off
	global_load_dwordx4 v[6:9], v[10:11], off offset:256
	v_lshl_add_u64 v[10:11], v[64:65], 2, s[4:5]
	v_lshl_add_u64 v[10:11], v[10:11], 0, v[62:63]
	global_load_dwordx4 v[18:21], v[10:11], off
	global_load_dwordx4 v[22:25], v[10:11], off offset:256
	s_load_dwordx8 s[4:11], s[0:1], 0x0
	s_load_dwordx2 s[22:23], s[0:1], 0x80
	s_load_dword s56, s[30:31], 0x0
	v_and_b32_e32 v63, 63, v0
	v_or_b32_e32 v81, 64, v80
	s_cmp_lt_i32 s54, 64
	s_mul_hi_i32 s57, s33, s16
	s_mul_i32 s58, s33, s16
	v_lshrrev_b32_e32 v79, 3, v63
	s_mul_i32 s47, s28, s25
	s_mul_hi_u32 s49, s28, s24
	s_mul_i32 s50, s29, s24
	s_mul_i32 s36, s28, s24
	s_mul_i32 s48, s33, s27
	s_mul_hi_u32 s51, s33, s26
	s_mul_i32 s52, s46, s26
	s_mul_i32 s38, s33, s26
	s_cbranch_scc1 .LBB450_3
; %bb.1:
	s_ashr_i32 s1, s34, 31
	s_add_u32 s0, s58, s34
	s_addc_u32 s1, s57, s1
	s_lshl_b64 s[0:1], s[0:1], 8
	v_and_b32_e32 v83, 56, v78
	s_waitcnt lgkmcnt(0)
	s_add_u32 s24, s6, s0
	v_lshl_or_b32 v82, v1, 3, v79
	v_lshlrev_b32_e32 v10, 1, v83
	s_addc_u32 s0, s7, s1
	v_lshl_or_b32 v84, v82, 8, v10
	s_and_b32 s25, s0, 0xffff
	s_mov_b32 s27, 0x20000
	s_movk_i32 s26, 0x4000
	s_movk_i32 s0, 0x80
	v_or_b32_e32 v85, 0x2000, v84
	buffer_load_dwordx4 v[12:15], v84, s[24:27], 0 offen
	buffer_load_dwordx4 v[26:29], v84, s[24:27], s0 offen
	;; [unrolled: 1-line block ×4, first 2 shown]
	v_lshlrev_b32_e32 v11, 3, v82
	v_and_or_b32 v17, v0, 7, v11
	v_and_b32_e32 v11, 0x78, v11
	v_lshlrev_b32_e32 v17, 4, v17
	v_xor_b32_e32 v86, v17, v11
	v_mul_lo_u32 v16, v82, s19
	v_or_b32_e32 v87, 0x1000, v86
	v_xor_b32_e32 v11, 8, v86
	s_cmpk_eq_i32 s19, 0x80
	s_mov_b32 s59, s34
	v_xor_b32_e32 v17, 8, v87
	s_cselect_b64 s[0:1], -1, 0
	s_cmpk_lg_i32 s19, 0x80
	s_waitcnt vmcnt(3)
	ds_write_b64 v86, v[12:13] offset:24576
	ds_write_b64 v11, v[14:15] offset:24576
	s_waitcnt vmcnt(2)
	ds_write_b64 v86, v[26:27] offset:32768
	ds_write_b64 v11, v[28:29] offset:32768
	s_waitcnt vmcnt(1)
	ds_write_b64 v86, v[30:31] offset:28672
	ds_write_b64 v17, v[32:33] offset:24576
	s_waitcnt vmcnt(0)
	ds_write_b64 v86, v[34:35] offset:36864
	ds_write_b64 v17, v[36:37] offset:32768
	v_lshl_add_u32 v11, v16, 1, v83
	s_cbranch_scc0 .LBB450_4
; %bb.2:
	v_lshlrev_b32_e32 v13, 1, v11
	v_add_lshl_u32 v12, v11, s19, 1
	s_lshl_b32 s26, s19, 7
	v_lshl_or_b32 v10, v82, 9, v10
	s_cbranch_execz .LBB450_5
	s_branch .LBB450_6
.LBB450_3:
	s_waitcnt vmcnt(0)
	v_mov_b32_e32 v17, v25
	v_mov_b32_e32 v16, v24
	;; [unrolled: 1-line block ×5, first 2 shown]
	s_branch .LBB450_20
.LBB450_4:
                                        ; implicit-def: $vgpr12
                                        ; implicit-def: $vgpr13
                                        ; implicit-def: $sgpr26
	v_lshl_or_b32 v10, v82, 9, v10
.LBB450_5:
	v_or_b32_e32 v12, 0x100, v10
	s_movk_i32 s26, 0x4000
	v_mov_b32_e32 v13, v10
.LBB450_6:
	s_mul_i32 s24, s34, s18
	s_ashr_i32 s60, s55, 31
	s_mul_hi_i32 s3, s34, s18
	s_add_u32 s24, s24, s55
	s_addc_u32 s25, s3, s60
	s_lshl_b64 s[24:25], s[24:25], 8
	s_add_u32 s24, s4, s24
	s_addc_u32 s3, s5, s25
	s_and_b32 s25, s3, 0xffff
	s_movk_i32 s61, 0x80
	buffer_load_dwordx4 v[14:17], v13, s[24:27], 0 offen
	buffer_load_dwordx4 v[26:29], v13, s[24:27], s61 offen
	;; [unrolled: 1-line block ×4, first 2 shown]
	v_and_b32_e32 v12, 6, v0
	v_lshlrev_b32_e32 v39, 6, v80
	v_or_b32_e32 v41, 16, v77
	v_xor_b32_e32 v42, v82, v12
	v_and_b32_e32 v13, 1, v0
	v_lshl_or_b32 v45, v77, 3, v39
	v_lshl_or_b32 v39, v41, 3, v39
	v_lshlrev_b32_e32 v42, 2, v42
	v_lshlrev_b32_e32 v38, 2, v77
	v_or_b32_e32 v90, 0xa000, v39
	v_or_b32_e32 v91, 0xb000, v39
	v_xor_b32_e32 v39, 0x440, v42
	v_cmp_eq_u32_e32 vcc, 0, v13
	s_add_i32 s3, s49, s47
	v_xor_b32_e32 v43, v80, v38
	v_xor_b32_e32 v44, v81, v38
	v_cndmask_b32_e32 v13, v39, v42, vcc
	s_add_i32 s24, s51, s48
	s_add_i32 s37, s3, s50
	s_mov_b32 s62, 0x1000504
	v_lshlrev_b32_e32 v40, 8, v77
	v_lshlrev_b32_e32 v41, 8, v41
	;; [unrolled: 1-line block ×4, first 2 shown]
	v_lshl_or_b32 v12, v12, 10, v13
	s_add_i32 s39, s24, s52
	s_lshl_b64 s[24:25], s[36:37], 2
	s_mov_b32 s63, 0x3020706
	v_or_b32_e32 v88, 0xa000, v45
	v_or_b32_e32 v89, 0xb000, v45
	;; [unrolled: 1-line block ×5, first 2 shown]
	v_xor_b32_e32 v13, 8, v12
	v_xor_b32_e32 v40, 24, v12
	;; [unrolled: 1-line block ×4, first 2 shown]
	s_add_u32 s3, s10, s24
	v_or_b32_e32 v94, v41, v43
	v_xor_b32_e32 v39, 16, v12
	v_xor_b32_e32 v41, 32, v12
	;; [unrolled: 1-line block ×3, first 2 shown]
	v_add_u32_e32 v13, 0x80, v13
	v_add_u32_e32 v40, 0x80, v40
	;; [unrolled: 1-line block ×4, first 2 shown]
	s_addc_u32 s26, s11, s25
	s_lshl_b64 s[24:25], s[38:39], 2
	s_add_u32 s42, s3, s24
	s_movk_i32 s3, 0xf8
	s_addc_u32 s43, s26, s25
	s_lshl_b32 s30, s19, 7
	s_movk_i32 s28, 0x100
	v_mov_b32_e32 v71, 0
	v_lshlrev_b32_e32 v70, 4, v77
	v_cmp_gt_u32_e32 vcc, s28, v0
	v_ashrrev_i32_e32 v69, 31, v68
	s_mov_b32 s64, 0
	s_movk_i32 s37, 0x1000
	s_movk_i32 s26, 0x4000
	v_lshl_add_u64 v[72:73], v[68:69], 1, s[8:9]
	v_mov_b32_e32 v118, 0x3fb8aa3b
	s_waitcnt vmcnt(1)
	v_perm_b32 v45, v14, v30, s62
	s_waitcnt vmcnt(0)
	v_perm_b32 v46, v26, v34, s62
	v_perm_b32 v14, v14, v30, s63
	;; [unrolled: 1-line block ×15, first 2 shown]
	ds_write2st64_b32 v12, v45, v46 offset0:32 offset1:64
	ds_write2st64_b32 v13, v14, v26 offset0:32 offset1:64
	;; [unrolled: 1-line block ×8, first 2 shown]
	v_or_b32_e32 v12, v61, v77
	v_lshlrev_b32_e32 v12, 3, v12
	v_lshrrev_b32_e32 v15, 5, v63
	v_and_or_b32 v15, v12, s3, v15
	v_lshlrev_b32_e32 v15, 4, v15
	v_lshlrev_b32_e32 v17, 11, v1
	v_and_b32_e32 v12, 0x78, v12
	v_or_b32_e32 v28, 32, v15
	v_and_b32_e32 v14, 0x1000, v17
	v_lshrrev_b32_e32 v26, 1, v63
	v_xor_b32_e32 v28, v28, v12
	v_xor_b32_e32 v16, v15, v12
	v_and_b32_e32 v26, 8, v26
	v_or_b32_e32 v28, v28, v14
	v_or_b32_e32 v16, v16, v14
	v_lshlrev_b32_e32 v27, 7, v76
	v_xor_b32_e32 v98, v28, v26
	v_or_b32_e32 v28, 64, v15
	v_or_b32_e32 v15, 0x60, v15
	s_ashr_i32 s3, s2, 31
	v_xor_b32_e32 v96, v16, v26
	v_or_b32_e32 v16, v27, v38
	v_xor_b32_e32 v28, v28, v12
	v_xor_b32_e32 v12, v15, v12
	s_lshl_b64 s[24:25], s[2:3], 8
	v_lshlrev_b32_e32 v16, 1, v16
	v_or_b32_e32 v28, v28, v14
	v_or_b32_e32 v12, v12, v14
	s_add_u32 s24, s40, s24
	v_lshlrev_b32_e32 v14, 1, v77
	v_or_b32_e32 v97, 0xa000, v16
	v_or_b32_e32 v99, 0xa080, v16
	;; [unrolled: 1-line block ×4, first 2 shown]
	v_lshrrev_b32_e32 v16, 4, v0
	s_addc_u32 s25, s41, s25
	v_or_b32_e32 v15, 1, v14
	v_mov_b32_e32 v33, 0x4000
	v_mov_b32_e32 v34, 0x2000
	v_lshrrev_b32_e32 v35, 1, v0
	v_xor_b32_e32 v100, v28, v26
	v_xor_b32_e32 v101, v12, v26
	;; [unrolled: 1-line block ×4, first 2 shown]
	v_lshl_add_u64 v[14:15], s[24:25], 0, v[70:71]
	v_lshlrev_b32_e32 v70, 8, v16
	v_cndmask_b32_e32 v33, v33, v34, vcc
	v_lshlrev_b32_e32 v34, 3, v1
	v_and_b32_e32 v35, 24, v35
	v_lshl_or_b32 v104, v26, 3, v70
	v_and_b32_e32 v26, 8, v0
	v_xor_b32_e32 v36, v34, v35
	v_or_b32_e32 v37, 0x440, v36
	v_cmp_eq_u32_e32 vcc, 0, v26
	v_and_b32_e32 v16, 7, v0
	v_lshl_or_b32 v105, v30, 3, v70
	v_cndmask_b32_e32 v26, v37, v36, vcc
	v_lshlrev_b32_e32 v30, 3, v16
	v_lshlrev_b32_e32 v32, 2, v0
	v_or_b32_e32 v26, v26, v17
	v_xor_b32_e32 v36, v26, v30
	v_and_or_b32 v26, v32, 60, v27
	v_mov_b32_e32 v27, 0xb000
	v_lshl_or_b32 v106, v26, 1, v27
	v_or_b32_e32 v26, 32, v35
	v_xor_b32_e32 v26, v34, v26
	v_or_b32_e32 v27, 0x440, v26
	v_cndmask_b32_e32 v26, v27, v26, vcc
	v_or_b32_e32 v26, v26, v17
	v_xor_b32_e32 v27, v26, v30
	v_or_b32_e32 v26, 64, v35
	v_xor_b32_e32 v26, v34, v26
	v_xor_b32_e32 v38, 0x440, v26
	v_cndmask_b32_e32 v26, v38, v26, vcc
	v_or_b32_e32 v26, v26, v17
	v_xor_b32_e32 v38, v26, v30
	v_or_b32_e32 v26, 0x60, v35
	v_xor_b32_e32 v26, v34, v26
	v_xor_b32_e32 v34, 0x440, v26
	v_cndmask_b32_e32 v26, v34, v26, vcc
	v_lshrrev_b32_e32 v13, 2, v63
	v_or_b32_e32 v17, v26, v17
	v_and_b32_e32 v13, 12, v13
	v_xor_b32_e32 v17, v17, v30
	v_lshlrev_b32_e32 v12, 7, v80
	v_lshlrev_b32_e32 v28, 1, v11
	v_add_lshl_u32 v11, v11, s19, 1
	v_or_b32_e32 v29, 0x100, v10
	v_lshlrev_b32_e32 v31, 7, v16
	v_or_b32_e32 v16, v13, v61
	v_add_u32_e32 v37, v33, v36
	v_add_u32_e32 v32, v33, v27
	;; [unrolled: 1-line block ×4, first 2 shown]
	v_or3_b32 v26, v61, v13, 64
	v_add_u32_e32 v13, 0x4000, v36
	v_add_u32_e32 v27, 0x4000, v27
	;; [unrolled: 1-line block ×4, first 2 shown]
	v_cndmask_b32_e64 v107, v28, v10, s[0:1]
	v_cndmask_b32_e64 v108, v11, v29, s[0:1]
	v_lshl_add_u64 v[74:75], v[14:15], 0, v[70:71]
	s_mov_b32 s3, 0x7060302
	v_lshlrev_b32_e32 v70, 1, v12
	v_lshlrev_b32_e32 v69, 2, v16
	v_add_u32_e32 v109, v37, v31
	v_add_u32_e32 v110, v32, v31
	;; [unrolled: 1-line block ×4, first 2 shown]
	v_lshlrev_b32_e32 v113, 2, v26
	v_add_u32_e32 v114, v13, v31
	v_add_u32_e32 v115, v27, v31
	v_add_u32_e32 v116, v33, v31
	v_add_u32_e32 v117, v17, v31
	s_waitcnt lgkmcnt(0)
	s_barrier
.LBB450_7:                              ; =>This Inner Loop Header: Depth=1
	s_add_i32 s39, s64, 1
	s_cmp_lt_i32 s39, s53
	s_mov_b64 s[28:29], 0
	s_cselect_b64 s[44:45], -1, 0
	s_cmp_ge_i32 s39, s53
	s_mov_b64 s[24:25], 0
	s_cbranch_scc1 .LBB450_9
; %bb.8:                                ;   in Loop: Header=BB450_7 Depth=1
	s_add_i32 s0, s59, 64
	s_ashr_i32 s1, s0, 31
	s_add_u32 s0, s58, s0
	s_addc_u32 s1, s57, s1
	s_lshl_b64 s[0:1], s[0:1], 8
	s_add_u32 s24, s6, s0
	s_addc_u32 s25, s7, s1
.LBB450_9:                              ;   in Loop: Header=BB450_7 Depth=1
	v_cndmask_b32_e64 v10, 0, 1, s[44:45]
	v_cmp_ne_u32_e64 s[0:1], 1, v10
	s_andn2_b64 vcc, exec, s[44:45]
	s_cbranch_vccnz .LBB450_11
; %bb.10:                               ;   in Loop: Header=BB450_7 Depth=1
	s_add_i32 s28, s59, 64
	s_mul_hi_i32 s29, s28, s18
	s_mul_i32 s28, s28, s18
	s_add_u32 s28, s28, s55
	s_addc_u32 s29, s29, s60
	s_lshl_b64 s[28:29], s[28:29], 8
	s_add_u32 s28, s4, s28
	s_addc_u32 s29, s5, s29
.LBB450_11:                             ;   in Loop: Header=BB450_7 Depth=1
	v_perm_b32 v11, v5, v4, s3
	v_perm_b32 v10, v3, v2, s3
	;; [unrolled: 1-line block ×4, first 2 shown]
	ds_write_b64 v88, v[10:11]
	ds_write_b64 v89, v[12:13]
	;; [unrolled: 1-line block ×4, first 2 shown]
	v_perm_b32 v11, v21, v20, s3
	v_perm_b32 v10, v19, v18, s3
	;; [unrolled: 1-line block ×4, first 2 shown]
	ds_write_b64 v90, v[10:11]
	ds_write_b64 v91, v[12:13]
	;; [unrolled: 1-line block ×4, first 2 shown]
	s_waitcnt lgkmcnt(0)
	s_barrier
	ds_read_b64 v[14:15], v96 offset:24576
	ds_read2_b64 v[10:13], v97 offset1:16
	ds_read_b64 v[26:27], v99 offset:3072
	ds_read_b64 v[28:29], v97 offset:3072
	;; [unrolled: 1-line block ×3, first 2 shown]
	s_waitcnt lgkmcnt(3)
	v_mfma_f32_16x16x16_bf16 a[0:3], v[14:15], v[10:11], 0
	s_add_i32 s65, s59, 63
	s_ashr_i32 s31, s65, 31
	s_mul_i32 s44, s65, s23
	v_mfma_f32_16x16x16_bf16 a[4:7], v[14:15], v[12:13], 0
	ds_read2st64_b64 v[10:13], v97 offset0:2 offset1:4
	s_mul_hi_u32 s45, s65, s22
	s_add_i32 s44, s45, s44
	s_waitcnt lgkmcnt(0)
	v_mfma_f32_16x16x16_bf16 a[0:3], v[30:31], v[10:11], a[0:3]
	ds_read2st64_b64 v[14:17], v99 offset0:2 offset1:4
	ds_read_b64 v[10:11], v100 offset:24576
	s_mul_i32 s31, s31, s22
	s_add_i32 s45, s44, s31
	s_waitcnt lgkmcnt(1)
	v_mfma_f32_16x16x16_bf16 a[4:7], v[30:31], v[14:15], a[4:7]
	ds_read_b64 v[14:15], v101 offset:24576
	s_mul_i32 s44, s65, s22
	s_lshl_b64 s[44:45], s[44:45], 2
	s_waitcnt lgkmcnt(1)
	v_mfma_f32_16x16x16_bf16 a[0:3], v[10:11], v[12:13], a[0:3]
	s_add_u32 s44, s42, s44
	s_addc_u32 s45, s43, s45
	s_and_b64 vcc, exec, s[0:1]
	v_mfma_f32_16x16x16_bf16 a[4:7], v[10:11], v[16:17], a[4:7]
	v_mov_b32_e32 v121, 0
	v_mov_b32_e32 v120, 0
	;; [unrolled: 1-line block ×3, first 2 shown]
	s_waitcnt lgkmcnt(0)
	v_mfma_f32_16x16x16_bf16 a[0:3], v[14:15], v[28:29], a[0:3]
	v_mov_b32_e32 v10, 0
	v_mov_b32_e32 v11, 0
	;; [unrolled: 1-line block ×3, first 2 shown]
	v_mfma_f32_16x16x16_bf16 a[4:7], v[14:15], v[26:27], a[4:7]
	v_mov_b32_e32 v13, 0
	v_mov_b32_e32 v14, 0
	;; [unrolled: 1-line block ×13, first 2 shown]
	s_cbranch_vccnz .LBB450_13
; %bb.12:                               ;   in Loop: Header=BB450_7 Depth=1
	s_and_b32 s25, s25, 0xffff
	buffer_load_dwordx4 v[30:33], v84, s[24:27], 0 offen
	buffer_load_dwordx4 v[26:29], v84, s[24:27], s61 offen
	;; [unrolled: 1-line block ×4, first 2 shown]
	v_mov_b32_e32 v120, v86
	v_mov_b32_e32 v119, v87
.LBB450_13:                             ;   in Loop: Header=BB450_7 Depth=1
	ds_read_b64 v[38:39], v96 offset:32768
	ds_read2_b64 v[34:37], v102 offset1:16
	ds_read_b64 v[42:43], v98 offset:32768
	ds_read_b64 v[44:45], v100 offset:32768
	;; [unrolled: 1-line block ×3, first 2 shown]
	v_add_u32_e32 v48, s59, v80
	s_waitcnt lgkmcnt(3)
	v_mfma_f32_16x16x16_bf16 a[0:3], v[38:39], v[34:35], a[0:3]
	v_mul_lo_u32 v49, v48, s23
	v_mov_b32_e32 v122, 0
	v_mfma_f32_16x16x16_bf16 a[4:7], v[38:39], v[36:37], a[4:7]
	ds_read2st64_b64 v[34:37], v102 offset0:2 offset1:4
	ds_read2st64_b64 v[38:41], v103 offset0:2 offset1:4
	s_waitcnt lgkmcnt(1)
	v_mfma_f32_16x16x16_bf16 a[0:3], v[42:43], v[34:35], a[0:3]
	v_ashrrev_i32_e32 v34, 31, v48
	v_mul_lo_u32 v50, v34, s22
	v_mad_u64_u32 v[34:35], s[24:25], v48, s22, 0
	v_mfma_f32_16x16x16_bf16 a[0:3], v[44:45], v[36:37], a[0:3]
	v_add_u32_e32 v36, 1, v48
	v_ashrrev_i32_e32 v37, 31, v36
	v_add3_u32 v35, v35, v49, v50
	s_waitcnt lgkmcnt(0)
	v_mfma_f32_16x16x16_bf16 a[4:7], v[42:43], v[38:39], a[4:7]
	v_mul_lo_u32 v38, v37, s22
	v_mul_lo_u32 v39, v36, s23
	v_mad_u64_u32 v[36:37], s[24:25], v36, s22, 0
	v_add3_u32 v37, v37, v39, v38
	v_add_u32_e32 v38, 2, v48
	v_ashrrev_i32_e32 v39, 31, v38
	v_mul_lo_u32 v42, v39, s22
	v_mul_lo_u32 v43, v38, s23
	v_mad_u64_u32 v[38:39], s[24:25], v38, s22, 0
	v_add3_u32 v39, v39, v43, v42
	v_add_u32_e32 v42, 3, v48
	v_ashrrev_i32_e32 v43, 31, v42
	v_mul_lo_u32 v48, v43, s22
	v_mul_lo_u32 v49, v42, s23
	v_mad_u64_u32 v[42:43], s[24:25], v42, s22, 0
	v_add3_u32 v43, v43, v49, v48
	s_ashr_i32 s25, s59, 31
	v_lshl_add_u64 v[34:35], v[34:35], 2, s[42:43]
	v_lshl_add_u64 v[42:43], v[42:43], 2, s[42:43]
	s_add_u32 s24, s58, s59
	v_lshl_add_u64 v[36:37], v[36:37], 2, s[42:43]
	v_lshl_add_u64 v[38:39], v[38:39], 2, s[42:43]
	global_load_dword v48, v[34:35], off
	global_load_dword v49, v[36:37], off
	;; [unrolled: 1-line block ×3, first 2 shown]
	s_nop 0
	global_load_dword v42, v[42:43], off
	s_addc_u32 s25, s57, s25
	s_lshl_b64 s[24:25], s[24:25], 8
	v_lshl_add_u64 v[34:35], v[72:73], 0, s[24:25]
	v_lshl_add_u64 v[34:35], v[34:35], 0, v[70:71]
	global_load_ushort v43, v[34:35], off offset:256
	global_load_ushort v51, v[34:35], off
	global_load_ushort v52, v[34:35], off offset:768
	global_load_ushort v53, v[34:35], off offset:512
	ds_read_b64 v[36:37], v102 offset:3072
	ds_read_b64 v[38:39], v103 offset:3072
	global_load_ushort v54, v[34:35], off offset:800
	global_load_ushort v55, v[34:35], off offset:544
	;; [unrolled: 1-line block ×4, first 2 shown]
	s_load_dword s24, s[44:45], 0x0
	v_mfma_f32_16x16x16_bf16 a[4:7], v[44:45], v[40:41], a[4:7]
	s_and_b64 vcc, exec, s[0:1]
	s_waitcnt vmcnt(11) lgkmcnt(0)
	v_sub_f32_e32 v40, s24, v48
	v_mfma_f32_16x16x16_bf16 a[0:3], v[46:47], v[36:37], a[0:3]
	s_waitcnt vmcnt(10)
	v_sub_f32_e32 v45, s24, v49
	v_mul_f32_e32 v44, 0x3fb8aa3b, v40
	v_mul_f32_e32 v45, 0x3fb8aa3b, v45
	v_mfma_f32_16x16x16_bf16 a[4:7], v[46:47], v[38:39], a[4:7]
	s_waitcnt vmcnt(9)
	v_sub_f32_e32 v46, s24, v50
	s_waitcnt vmcnt(8)
	v_sub_f32_e32 v47, s24, v42
	v_mul_f32_e32 v46, 0x3fb8aa3b, v46
	v_mul_f32_e32 v47, 0x3fb8aa3b, v47
	v_exp_f32_e32 v44, v44
	v_exp_f32_e32 v45, v45
	;; [unrolled: 1-line block ×4, first 2 shown]
	v_accvgpr_read_b32 v39, a1
	v_accvgpr_read_b32 v35, a3
	;; [unrolled: 1-line block ×4, first 2 shown]
	s_waitcnt vmcnt(7)
	v_lshlrev_b32_e32 v41, 16, v43
	s_waitcnt vmcnt(6)
	v_lshlrev_b32_e32 v40, 16, v51
	;; [unrolled: 2-line block ×4, first 2 shown]
	v_pk_add_f32 v[38:39], v[40:41], v[38:39] neg_lo:[0,1] neg_hi:[0,1]
	v_pk_add_f32 v[34:35], v[42:43], v[34:35] neg_lo:[0,1] neg_hi:[0,1]
	v_pk_mul_f32 v[38:39], v[44:45], v[38:39]
	v_pk_mul_f32 v[34:35], v[46:47], v[34:35]
	v_accvgpr_read_b32 v41, a5
	v_perm_b32 v35, v35, v34, s3
	v_perm_b32 v34, v39, v38, s3
	s_waitcnt vmcnt(1)
	v_lshlrev_b32_e32 v39, 16, v56
	s_waitcnt vmcnt(0)
	v_lshlrev_b32_e32 v38, 16, v57
	v_accvgpr_read_b32 v40, a4
	v_accvgpr_read_b32 v37, a7
	;; [unrolled: 1-line block ×3, first 2 shown]
	v_pk_add_f32 v[38:39], v[38:39], v[40:41] neg_lo:[0,1] neg_hi:[0,1]
	v_lshlrev_b32_e32 v41, 16, v54
	v_lshlrev_b32_e32 v40, 16, v55
	v_pk_add_f32 v[36:37], v[40:41], v[36:37] neg_lo:[0,1] neg_hi:[0,1]
	v_pk_mul_f32 v[38:39], v[44:45], v[38:39]
	v_pk_mul_f32 v[36:37], v[46:47], v[36:37]
	v_mov_b32_e32 v40, 0
	v_perm_b32 v37, v37, v36, s3
	v_perm_b32 v36, v39, v38, s3
	ds_write2_b64 v89, v[34:35], v[36:37] offset1:16
	v_mov_b32_e32 v34, 0
	v_mov_b32_e32 v35, 0
	;; [unrolled: 1-line block ×15, first 2 shown]
	s_cbranch_vccnz .LBB450_15
; %bb.14:                               ;   in Loop: Header=BB450_7 Depth=1
	s_and_b32 s29, s29, 0xffff
	s_mov_b32 s31, s27
	buffer_load_dwordx4 v[46:49], v107, s[28:31], 0 offen
	buffer_load_dwordx4 v[38:41], v107, s[28:31], s61 offen
	;; [unrolled: 1-line block ×4, first 2 shown]
	v_mov_b32_e32 v121, v83
	v_mov_b32_e32 v122, v82
.LBB450_15:                             ;   in Loop: Header=BB450_7 Depth=1
	s_waitcnt lgkmcnt(0)
	s_barrier
	ds_read_b64 v[54:55], v109
	ds_read_b64 v[128:129], v106
	;; [unrolled: 1-line block ×5, first 2 shown]
	ds_read_b64 v[142:143], v103 offset:3072
	ds_read2_b64 v[50:53], v102 offset0:16 offset1:128
	s_waitcnt lgkmcnt(5)
	v_mfma_f32_16x16x16_bf16 a[0:3], v[54:55], v[128:129], 0
	ds_read2st64_b64 v[56:59], v103 offset0:2 offset1:4
	s_add_i32 s25, s56, s64
	s_mul_hi_i32 s29, s25, s17
	s_waitcnt lgkmcnt(1)
	v_mfma_f32_16x16x16_bf16 a[4:7], v[54:55], v[50:51], 0
	ds_read_b64 v[54:55], v114
	s_mul_i32 s25, s25, s17
	s_add_u32 s28, s25, s33
	s_waitcnt lgkmcnt(1)
	v_mfma_f32_16x16x16_bf16 a[4:7], v[130:131], v[56:57], a[4:7]
	s_addc_u32 s29, s29, s46
	s_lshl_b64 s[28:29], s[28:29], 15
	s_mul_i32 s31, s65, s17
	s_mul_hi_i32 s25, s65, s17
	s_add_u32 s44, s31, s33
	v_mfma_f32_16x16x16_bf16 a[8:11], v[132:133], v[58:59], a[4:7]
	s_addc_u32 s45, s25, s46
	ds_read2st64_b64 v[124:127], v102 offset0:4 offset1:6
	s_lshl_b64 s[44:45], s[44:45], 9
	s_waitcnt lgkmcnt(1)
	v_mfma_f32_16x16x16_bf16 a[4:7], v[54:55], v[128:129], 0
	s_add_u32 s44, s20, s44
	s_addc_u32 s45, s21, s45
	v_mfma_f32_16x16x16_bf16 a[0:3], v[130:131], v[52:53], a[0:3]
	ds_read_b64 v[130:131], v115
	ds_read_b64 v[138:139], v116
	;; [unrolled: 1-line block ×3, first 2 shown]
	v_mfma_f32_16x16x16_bf16 a[12:15], v[54:55], v[50:51], 0
	s_waitcnt lgkmcnt(2)
	v_mfma_f32_16x16x16_bf16 a[4:7], v[130:131], v[52:53], a[4:7]
	global_load_dwordx4 v[50:53], v113, s[44:45]
	v_mfma_f32_16x16x16_bf16 a[12:15], v[130:131], v[56:57], a[12:15]
	global_load_dwordx4 v[54:57], v69, s[44:45]
	ds_read2st64_b64 v[128:131], v104 offset1:8
	s_waitcnt lgkmcnt(0)
	v_mov_b32_e32 v136, v128
	v_mfma_f32_16x16x16_bf16 a[0:3], v[132:133], v[124:125], a[0:3]
	ds_read2st64_b64 v[132:135], v105 offset1:8
	v_mov_b32_e32 v137, v129
	v_mfma_f32_16x16x16_bf16 a[16:19], v[138:139], v[124:125], a[4:7]
	v_lshl_add_u64 v[124:125], v[74:75], 0, s[28:29]
	v_mfma_f32_16x16x16_bf16 a[20:23], v[138:139], v[58:59], a[12:15]
	v_add_co_u32_e32 v58, vcc, s37, v124
	s_waitcnt lgkmcnt(0)
	v_mov_b32_e32 v138, v132
	v_mfma_f32_16x16x16_bf16 a[4:7], v[140:141], v[126:127], a[0:3]
	v_mov_b32_e32 v139, v133
	v_mov_b32_e32 v132, v130
	;; [unrolled: 1-line block ×3, first 2 shown]
	v_mfma_f32_16x16x16_bf16 a[8:11], v[140:141], v[142:143], a[8:11]
	v_addc_co_u32_e32 v59, vcc, 0, v125, vcc
	global_store_dwordx4 v[58:59], v[132:135], off
	v_mfma_f32_16x16x16_bf16 a[12:15], v[144:145], v[126:127], a[16:19]
	s_and_b64 vcc, exec, s[0:1]
	global_store_dwordx4 v[124:125], v[136:139], off
	s_waitcnt vmcnt(3)
	v_mov_b32_e32 v60, v53
	v_mfma_f32_16x16x16_bf16 a[0:3], v[144:145], v[142:143], a[20:23]
	v_mov_b32_e32 v59, v52
	v_mov_b32_e32 v58, v51
	s_cbranch_vccnz .LBB450_17
; %bb.16:                               ;   in Loop: Header=BB450_7 Depth=1
	v_lshrrev_b32_e32 v51, 3, v121
	v_and_b32_e32 v51, 6, v51
	v_xor_b32_e32 v52, v51, v122
	v_lshlrev_b32_e32 v52, 2, v52
	v_and_b32_e32 v53, 8, v121
	v_xor_b32_e32 v121, 0x440, v52
	v_cmp_eq_u32_e32 vcc, 0, v53
	v_perm_b32 v53, v38, v34, s62
	s_nop 0
	v_cndmask_b32_e32 v52, v121, v52, vcc
	v_lshl_or_b32 v51, v51, 10, v52
	v_perm_b32 v52, v46, v42, s62
	s_barrier
	ds_write2st64_b32 v51, v52, v53 offset0:32 offset1:64
	v_xor_b32_e32 v52, 8, v51
	v_perm_b32 v42, v46, v42, s63
	v_perm_b32 v34, v38, v34, s63
	v_add_u32_e32 v38, 0x80, v52
	ds_write2st64_b32 v38, v42, v34 offset0:32 offset1:64
	v_xor_b32_e32 v34, 16, v51
	v_perm_b32 v38, v47, v43, s62
	v_perm_b32 v42, v39, v35, s62
	ds_write2st64_b32 v34, v38, v42 offset0:33 offset1:65
	v_xor_b32_e32 v34, 24, v51
	v_perm_b32 v38, v47, v43, s63
	v_perm_b32 v35, v39, v35, s63
	v_add_u32_e32 v34, 0x80, v34
	ds_write2st64_b32 v34, v38, v35 offset0:33 offset1:65
	v_xor_b32_e32 v34, 32, v51
	v_perm_b32 v35, v48, v44, s62
	v_perm_b32 v38, v40, v36, s62
	;; [unrolled: 9-line block ×3, first 2 shown]
	ds_write2st64_b32 v34, v35, v36 offset0:35 offset1:67
	v_xor_b32_e32 v34, 56, v51
	v_perm_b32 v35, v49, v45, s63
	v_perm_b32 v36, v41, v37, s63
	v_add_u32_e32 v34, 0x80, v34
	ds_write2st64_b32 v34, v35, v36 offset0:35 offset1:67
	ds_write_b64 v120, v[30:31] offset:24576
	v_xor_b32_e32 v30, 8, v120
	ds_write_b64 v30, v[32:33] offset:24576
	ds_write_b64 v120, v[26:27] offset:32768
	;; [unrolled: 1-line block ×4, first 2 shown]
	v_xor_b32_e32 v14, 8, v119
	ds_write_b64 v14, v[16:17] offset:24576
	ds_write_b64 v119, v[10:11] offset:32768
	;; [unrolled: 1-line block ×3, first 2 shown]
.LBB450_17:                             ;   in Loop: Header=BB450_7 Depth=1
	v_mul_f32_e32 v14, s24, v118
	v_exp_f32_e32 v34, v14
	s_waitcnt vmcnt(2)
	v_mul_f32_e32 v14, 0x3fb8aa3b, v54
	v_exp_f32_e32 v36, v14
	v_mul_f32_e32 v14, 0x3fb8aa3b, v55
	v_exp_f32_e32 v37, v14
	;; [unrolled: 2-line block ×4, first 2 shown]
	v_accvgpr_read_b32 v29, a7
	v_accvgpr_read_b32 v27, a5
	v_accvgpr_read_b32 v26, a4
	v_accvgpr_read_b32 v13, a11
	v_pk_mul_f32 v[36:37], v[34:35], v[36:37] op_sel_hi:[0,1]
	v_accvgpr_read_b32 v12, a10
	v_pk_fma_f32 v[2:3], v[2:3], v[36:37], v[26:27]
	v_pk_mul_f32 v[26:27], v[34:35], v[38:39] op_sel_hi:[0,1]
	v_accvgpr_read_b32 v28, a6
	v_accvgpr_read_b32 v11, a9
	;; [unrolled: 1-line block ×3, first 2 shown]
	v_fma_f32 v20, v20, v26, v12
	v_mul_f32_e32 v12, 0x3fb8aa3b, v59
	v_pk_fma_f32 v[4:5], v[4:5], v[26:27], v[28:29]
	v_fma_f32 v18, v18, v36, v10
	v_fma_f32 v19, v19, v37, v11
	v_mul_f32_e32 v10, 0x3fb8aa3b, v50
	v_mul_f32_e32 v11, 0x3fb8aa3b, v58
	v_exp_f32_e32 v28, v12
	v_mul_f32_e32 v12, 0x3fb8aa3b, v60
	v_exp_f32_e32 v10, v10
	v_exp_f32_e32 v11, v11
	;; [unrolled: 1-line block ×3, first 2 shown]
	v_accvgpr_read_b32 v33, a15
	v_accvgpr_read_b32 v17, a3
	;; [unrolled: 1-line block ×8, first 2 shown]
	v_fmac_f32_e32 v13, v21, v27
	v_pk_mul_f32 v[10:11], v[34:35], v[10:11] op_sel_hi:[0,1]
	v_pk_mul_f32 v[26:27], v[34:35], v[28:29] op_sel_hi:[0,1]
	s_add_i32 s59, s59, 64
	v_pk_fma_f32 v[6:7], v[6:7], v[10:11], v[30:31]
	v_pk_fma_f32 v[8:9], v[8:9], v[26:27], v[32:33]
	v_fma_f32 v22, v22, v10, v14
	v_fma_f32 v23, v23, v11, v15
	;; [unrolled: 1-line block ×3, first 2 shown]
	s_cmp_eq_u32 s53, s39
	v_fmac_f32_e32 v17, v25, v27
	s_cbranch_scc1 .LBB450_19
; %bb.18:                               ;   in Loop: Header=BB450_7 Depth=1
	s_mov_b32 s64, s39
	v_mov_b32_e32 v21, v13
	v_mov_b32_e32 v25, v17
	s_branch .LBB450_7
.LBB450_19:
	v_mov_b32_e32 v16, v24
	v_mov_b32_e32 v15, v23
	;; [unrolled: 1-line block ×3, first 2 shown]
.LBB450_20:
	s_lshl_b32 s0, s53, 6
	s_sub_i32 s44, s54, s0
	v_mov_b32_e32 v12, v20
	v_mov_b32_e32 v11, v19
	;; [unrolled: 1-line block ×3, first 2 shown]
	s_cmp_gt_i32 s44, 0
	s_cbranch_scc0 .LBB450_85
; %bb.21:
	s_add_i32 s34, s0, s34
	s_ashr_i32 s3, s34, 31
	s_cmpk_lg_i32 s19, 0x80
	s_cselect_b64 s[30:31], -1, 0
	s_and_b64 vcc, exec, s[30:31]
	s_cbranch_vccz .LBB450_23
; %bb.22:
	s_mul_hi_i32 s0, s34, s18
	s_mul_i32 s1, s34, s18
	s_ashr_i32 s18, s55, 31
	s_add_u32 s42, s1, s55
	s_addc_u32 s43, s0, s18
	s_cbranch_execz .LBB450_24
	s_branch .LBB450_25
.LBB450_23:
                                        ; implicit-def: $sgpr42_sgpr43
.LBB450_24:
	s_mul_i32 s1, s55, s16
	s_mul_hi_i32 s0, s55, s16
	s_add_u32 s42, s1, s34
	s_addc_u32 s43, s0, s3
.LBB450_25:
	s_waitcnt lgkmcnt(0)
	s_add_i32 s16, s53, s56
	s_add_u32 s0, s58, s34
	v_lshlrev_b32_e32 v22, 5, v80
	v_lshlrev_b32_e32 v38, 2, v77
	s_addc_u32 s1, s57, s3
	s_mov_b32 s3, 0x7060302
	v_or_b32_e32 v25, v22, v38
	v_xor_b32_e32 v23, v80, v38
	v_perm_b32 v19, v5, v4, s3
	v_perm_b32 v18, v3, v2, s3
	;; [unrolled: 1-line block ×4, first 2 shown]
	v_lshlrev_b32_e32 v25, 1, v25
	v_xor_b32_e32 v24, v81, v38
	ds_write2st64_b64 v25, v[18:19], v[20:21] offset0:80 offset1:88
	v_lshlrev_b32_e32 v23, 1, v23
	v_lshlrev_b32_e32 v25, 8, v77
	s_lshl_b64 s[28:29], s[0:1], 8
	v_or_b32_e32 v26, v23, v25
	v_lshlrev_b32_e32 v24, 1, v24
	s_add_u32 s0, s6, s28
	ds_write_b64 v26, v[18:19]
	v_or_b32_e32 v18, v24, v25
	s_addc_u32 s1, s7, s29
	ds_write_b64 v18, v[20:21]
	v_perm_b32 v19, v13, v12, s3
	v_perm_b32 v18, v11, v10, s3
	v_perm_b32 v21, v17, v16, s3
	v_perm_b32 v20, v15, v14, s3
	v_or_b32_e32 v25, 16, v77
	s_mul_hi_i32 s3, s16, s17
	s_mul_i32 s16, s16, s17
	v_lshlrev_b32_e32 v35, 2, v25
	s_add_u32 s6, s16, s33
	v_or_b32_e32 v22, v22, v35
	s_addc_u32 s7, s3, s46
	v_lshlrev_b32_e32 v22, 1, v22
	s_ashr_i32 s3, s2, 31
	s_lshl_b64 s[6:7], s[6:7], 15
	ds_write2st64_b64 v22, v[18:19], v[20:21] offset0:80 offset1:88
	v_lshlrev_b32_e32 v22, 8, v25
	s_add_u32 s6, s40, s6
	v_or_b32_e32 v23, v23, v22
	s_addc_u32 s7, s41, s7
	s_lshl_b64 s[2:3], s[2:3], 8
	ds_write_b64 v23, v[18:19]
	v_or_b32_e32 v18, v24, v22
	s_add_u32 s2, s6, s2
	ds_write_b64 v18, v[20:21]
	v_lshrrev_b32_e32 v18, 4, v0
	s_addc_u32 s3, s7, s3
	v_lshlrev_b32_e32 v19, 1, v77
	v_lshlrev_b32_e32 v26, 4, v77
	v_mov_b32_e32 v27, 0
	v_or_b32_e32 v20, 1, v19
	v_xor_b32_e32 v19, v18, v19
	v_lshl_add_u64 v[28:29], s[2:3], 0, v[26:27]
	v_lshlrev_b32_e32 v26, 8, v18
	v_xor_b32_e32 v22, v20, v18
	v_lshl_or_b32 v18, v19, 3, v26
	s_waitcnt lgkmcnt(0)
	s_barrier
	ds_read2st64_b64 v[18:21], v18 offset1:8
	v_lshl_or_b32 v22, v22, 3, v26
	ds_read2st64_b64 v[22:25], v22 offset1:8
	v_lshl_add_u64 v[30:31], v[28:29], 0, v[26:27]
	s_movk_i32 s2, 0x1000
	s_waitcnt lgkmcnt(1)
	v_mov_b32_e32 v26, v18
	v_add_co_u32_e32 v18, vcc, s2, v30
	s_cmp_lg_u32 s44, 64
	v_mov_b32_e32 v27, v19
	v_addc_co_u32_e32 v19, vcc, 0, v31, vcc
	s_cselect_b64 s[6:7], -1, 0
	v_lshl_or_b32 v42, v1, 3, v79
	s_waitcnt lgkmcnt(0)
	v_mov_b32_e32 v28, v22
	v_mov_b32_e32 v29, v23
	;; [unrolled: 1-line block ×4, first 2 shown]
	s_mov_b32 s24, 0
	v_or_b32_e32 v36, 32, v42
	v_and_b32_e32 v34, 56, v78
	s_and_b64 vcc, exec, s[6:7]
	global_store_dwordx4 v[30:31], v[26:29], off
	global_store_dwordx4 v[18:19], v[22:25], off
	s_cbranch_vccz .LBB450_31
; %bb.26:
	s_mov_b32 s25, s24
	s_mov_b32 s26, s24
	;; [unrolled: 1-line block ×3, first 2 shown]
	v_mov_b64_e32 v[22:23], s[24:25]
	v_mov_b64_e32 v[24:25], s[26:27]
	;; [unrolled: 1-line block ×3, first 2 shown]
	v_cmp_gt_i32_e32 vcc, s44, v42
	v_mov_b64_e32 v[20:21], v[24:25]
	s_and_saveexec_b64 s[2:3], vcc
	s_cbranch_execz .LBB450_28
; %bb.27:
	v_lshlrev_b32_e32 v18, 8, v42
	v_mov_b32_e32 v19, 0
	v_lshl_add_u64 v[20:21], s[0:1], 0, v[18:19]
	v_lshlrev_b32_e32 v18, 1, v34
	v_lshl_add_u64 v[26:27], v[20:21], 0, v[18:19]
	global_load_dwordx4 v[22:25], v[26:27], off
	global_load_dwordx4 v[18:21], v[26:27], off offset:128
.LBB450_28:
	s_or_b64 exec, exec, s[2:3]
	s_mov_b32 s26, s24
	s_mov_b32 s27, s24
	;; [unrolled: 1-line block ×3, first 2 shown]
	v_mov_b64_e32 v[32:33], s[26:27]
	v_mov_b64_e32 v[30:31], s[24:25]
	;; [unrolled: 1-line block ×3, first 2 shown]
	v_cmp_gt_i32_e32 vcc, s44, v36
	v_lshlrev_b32_e32 v37, 7, v36
	v_mov_b64_e32 v[28:29], v[32:33]
	s_and_saveexec_b64 s[2:3], vcc
	s_cbranch_execz .LBB450_30
; %bb.29:
	v_lshlrev_b32_e32 v26, 1, v37
	v_mov_b32_e32 v27, 0
	v_lshl_add_u64 v[28:29], s[0:1], 0, v[26:27]
	v_lshlrev_b32_e32 v26, 1, v34
	v_lshl_add_u64 v[40:41], v[28:29], 0, v[26:27]
	global_load_dwordx4 v[30:33], v[40:41], off
	global_load_dwordx4 v[26:29], v[40:41], off offset:128
.LBB450_30:
	s_or_b64 exec, exec, s[2:3]
	v_lshrrev_b32_e32 v39, 3, v34
	v_lshlrev_b32_e32 v40, 3, v42
	v_or_b32_e32 v39, v40, v39
	v_lshlrev_b32_e32 v39, 4, v39
	v_and_b32_e32 v40, 0x78, v40
	v_xor_b32_e32 v39, v39, v40
	s_branch .LBB450_33
.LBB450_31:
                                        ; implicit-def: $vgpr39
                                        ; implicit-def: $vgpr37
                                        ; implicit-def: $vgpr22_vgpr23_vgpr24_vgpr25
                                        ; implicit-def: $vgpr18_vgpr19_vgpr20_vgpr21
                                        ; implicit-def: $vgpr30_vgpr31_vgpr32_vgpr33
                                        ; implicit-def: $vgpr26_vgpr27_vgpr28_vgpr29
	s_cbranch_execz .LBB450_33
; %bb.32:
	s_waitcnt vmcnt(0)
	v_lshlrev_b32_e32 v18, 1, v34
	v_lshl_or_b32 v37, v42, 8, v18
	s_and_b32 s1, s1, 0xffff
	s_mov_b32 s3, 0x20000
	s_movk_i32 s2, 0x4000
	v_lshl_or_b32 v39, v36, 8, v18
	s_movk_i32 s16, 0x80
	buffer_load_dwordx4 v[22:25], v37, s[0:3], 0 offen
	buffer_load_dwordx4 v[18:21], v37, s[0:3], s16 offen
	;; [unrolled: 1-line block ×4, first 2 shown]
	v_lshrrev_b32_e32 v37, 3, v34
	v_lshlrev_b32_e32 v39, 3, v42
	v_or_b32_e32 v37, v39, v37
	v_lshlrev_b32_e32 v37, 4, v37
	v_and_b32_e32 v39, 0x78, v39
	v_xor_b32_e32 v39, v37, v39
	v_lshlrev_b32_e32 v37, 7, v36
.LBB450_33:
	s_lshl_b64 s[0:1], s[42:43], 8
	s_add_u32 s4, s4, s0
	s_movk_i32 s0, 0x1000
	v_and_or_b32 v36, v37, s0, v39
	s_waitcnt vmcnt(1)
	ds_write_b64 v39, v[22:23] offset:24576
	v_xor_b32_e32 v22, 8, v39
	ds_write_b64 v22, v[24:25] offset:24576
	s_waitcnt vmcnt(0)
	ds_write_b64 v39, v[18:19] offset:32768
	ds_write_b64 v22, v[20:21] offset:32768
	;; [unrolled: 1-line block ×3, first 2 shown]
	v_xor_b32_e32 v18, 8, v36
	ds_write_b64 v18, v[32:33] offset:24576
	ds_write_b64 v36, v[26:27] offset:32768
	;; [unrolled: 1-line block ×3, first 2 shown]
	v_or_b32_e32 v18, v61, v77
	v_lshlrev_b32_e32 v18, 3, v18
	v_lshrrev_b32_e32 v19, 5, v63
	s_movk_i32 s2, 0xf8
	v_and_or_b32 v19, v18, s2, v19
	v_lshlrev_b32_e32 v23, 4, v19
	v_lshlrev_b32_e32 v39, 11, v1
	v_and_b32_e32 v24, 0x78, v18
	v_or_b32_e32 v26, 32, v23
	v_and_b32_e32 v22, 0x1000, v39
	v_lshrrev_b32_e32 v19, 1, v63
	v_xor_b32_e32 v26, v26, v24
	v_xor_b32_e32 v18, v23, v24
	v_and_b32_e32 v25, 8, v19
	v_or_b32_e32 v26, v26, v22
	v_or_b32_e32 v18, v18, v22
	v_xor_b32_e32 v44, v26, v25
	v_or_b32_e32 v26, 64, v23
	v_xor_b32_e32 v43, v18, v25
	v_xor_b32_e32 v26, v26, v24
	s_waitcnt lgkmcnt(0)
	s_barrier
	v_or_b32_e32 v28, v26, v22
	ds_read_b64 v[26:27], v43 offset:24576
	v_lshl_or_b32 v36, v76, 7, v38
	v_lshlrev_b32_e32 v40, 1, v36
	v_add_u32_e32 v18, 0xa000, v40
	ds_read2_b64 v[18:21], v18 offset1:16
	v_or_b32_e32 v23, 0x60, v23
	v_xor_b32_e32 v23, v23, v24
	s_waitcnt lgkmcnt(0)
	v_mfma_f32_16x16x16_bf16 a[0:3], v[26:27], v[18:19], 0
	v_or_b32_e32 v18, 64, v36
	v_or_b32_e32 v22, v23, v22
	v_lshlrev_b32_e32 v41, 1, v18
	v_xor_b32_e32 v45, v28, v25
	v_xor_b32_e32 v46, v22, v25
	ds_read_b64 v[28:29], v44 offset:24576
	ds_read_b64 v[30:31], v45 offset:24576
	;; [unrolled: 1-line block ×3, first 2 shown]
	v_mfma_f32_16x16x16_bf16 a[4:7], v[26:27], v[20:21], 0
	ds_read2st64_b64 v[18:21], v41 offset0:82 offset1:84
	ds_read2st64_b64 v[22:25], v40 offset0:82 offset1:84
	s_addc_u32 s5, s5, s1
	s_add_i32 s0, s49, s47
	s_add_i32 s16, s35, -1
	s_add_i32 s37, s0, s50
	s_add_i32 s0, s51, s48
	;; [unrolled: 1-line block ×3, first 2 shown]
	s_ashr_i32 s0, s16, 31
	s_mul_i32 s1, s16, s23
	s_mul_hi_u32 s2, s16, s22
	s_add_i32 s1, s2, s1
	s_mul_i32 s0, s0, s22
	s_waitcnt lgkmcnt(1)
	v_mfma_f32_16x16x16_bf16 a[4:7], v[28:29], v[18:19], a[4:7]
	s_add_i32 s1, s1, s0
	s_lshl_b64 s[2:3], s[36:37], 2
	s_add_u32 s10, s10, s2
	s_waitcnt lgkmcnt(0)
	v_mfma_f32_16x16x16_bf16 a[0:3], v[28:29], v[22:23], a[0:3]
	s_addc_u32 s11, s11, s3
	s_lshl_b64 s[2:3], s[38:39], 2
	s_mul_i32 s0, s16, s22
	s_add_u32 s10, s10, s2
	ds_read_b64 v[18:19], v40 offset:44032
	v_mfma_f32_16x16x16_bf16 a[4:7], v[30:31], v[20:21], a[4:7]
	ds_read_b64 v[20:21], v41 offset:44032
	s_addc_u32 s11, s11, s3
	s_lshl_b64 s[0:1], s[0:1], 2
	v_mfma_f32_16x16x16_bf16 a[0:3], v[30:31], v[24:25], a[0:3]
	s_add_u32 s0, s10, s0
	s_addc_u32 s1, s11, s1
	s_load_dword s18, s[0:1], 0x0
	s_waitcnt lgkmcnt(0)
	v_mfma_f32_16x16x16_bf16 a[0:3], v[32:33], v[18:19], a[0:3]
	s_and_b64 vcc, exec, s[30:31]
	v_mfma_f32_16x16x16_bf16 a[4:7], v[32:33], v[20:21], a[4:7]
	s_cbranch_vccz .LBB450_44
; %bb.34:
	v_lshlrev_b32_e32 v36, 1, v42
	s_and_b64 vcc, exec, s[6:7]
	s_cbranch_vccz .LBB450_45
; %bb.35:
	v_cmp_gt_i32_e32 vcc, s44, v36
	v_mov_b32_e32 v22, 0
	v_mov_b32_e32 v18, 0
	;; [unrolled: 1-line block ×5, first 2 shown]
	s_and_saveexec_b64 s[0:1], vcc
	s_cbranch_execz .LBB450_37
; %bb.36:
	v_mad_i64_i32 v[18:19], s[2:3], s19, v36, 0
	v_lshl_add_u64 v[18:19], v[18:19], 1, s[4:5]
	v_lshlrev_b32_e32 v20, 1, v34
	v_mov_b32_e32 v21, 0
	v_lshl_add_u64 v[18:19], v[18:19], 0, v[20:21]
	global_load_dwordx4 v[18:21], v[18:19], off
.LBB450_37:
	s_or_b64 exec, exec, s[0:1]
	v_or_b32_e32 v37, 1, v36
	v_cmp_gt_i32_e64 s[0:1], s44, v37
	v_mov_b32_e32 v23, 0
	v_mov_b32_e32 v24, 0
	;; [unrolled: 1-line block ×3, first 2 shown]
	s_and_saveexec_b64 s[2:3], s[0:1]
	s_cbranch_execz .LBB450_39
; %bb.38:
	v_mad_i64_i32 v[22:23], s[24:25], s19, v37, 0
	v_lshl_add_u64 v[22:23], v[22:23], 1, s[4:5]
	v_lshlrev_b32_e32 v24, 1, v34
	v_mov_b32_e32 v25, 0
	v_lshl_add_u64 v[22:23], v[22:23], 0, v[24:25]
	global_load_dwordx4 v[22:25], v[22:23], off
.LBB450_39:
	s_or_b64 exec, exec, s[2:3]
	v_mov_b32_e32 v33, 0
	v_mov_b32_e32 v26, 0
	;; [unrolled: 1-line block ×5, first 2 shown]
	s_and_saveexec_b64 s[2:3], vcc
	s_cbranch_execz .LBB450_41
; %bb.40:
	v_mad_i64_i32 v[26:27], s[24:25], s19, v36, 0
	v_lshl_add_u64 v[26:27], v[26:27], 1, s[4:5]
	v_lshlrev_b32_e32 v28, 1, v34
	v_mov_b32_e32 v29, 0
	v_lshl_add_u64 v[26:27], v[26:27], 0, v[28:29]
	global_load_dwordx4 v[26:29], v[26:27], off offset:128
.LBB450_41:
	s_or_b64 exec, exec, s[2:3]
	v_mov_b32_e32 v32, 0
	v_mov_b32_e32 v31, 0
	;; [unrolled: 1-line block ×3, first 2 shown]
	s_and_saveexec_b64 s[2:3], s[0:1]
	s_cbranch_execz .LBB450_43
; %bb.42:
	v_mad_i64_i32 v[30:31], s[0:1], s19, v37, 0
	v_lshl_add_u64 v[30:31], v[30:31], 1, s[4:5]
	v_lshlrev_b32_e32 v32, 1, v34
	v_mov_b32_e32 v33, 0
	v_lshl_add_u64 v[30:31], v[30:31], 0, v[32:33]
	global_load_dwordx4 v[30:33], v[30:31], off offset:128
.LBB450_43:
	s_or_b64 exec, exec, s[2:3]
	s_branch .LBB450_47
.LBB450_44:
                                        ; implicit-def: $vgpr21
                                        ; implicit-def: $vgpr25
                                        ; implicit-def: $vgpr29
                                        ; implicit-def: $vgpr33
	v_lshrrev_b32_e32 v47, 2, v63
	s_branch .LBB450_48
.LBB450_45:
                                        ; implicit-def: $vgpr21
                                        ; implicit-def: $vgpr25
                                        ; implicit-def: $vgpr29
                                        ; implicit-def: $vgpr33
	s_cbranch_execz .LBB450_47
; %bb.46:
	s_waitcnt vmcnt(0)
	v_mad_u64_u32 v[18:19], s[0:1], v36, s19, v[34:35]
	v_lshlrev_b32_e32 v36, 1, v18
	s_lshl_b32 s2, s19, 7
	s_and_b32 s1, s5, 0xffff
	s_mov_b32 s3, 0x20000
	s_mov_b32 s0, s4
	v_add_lshl_u32 v37, v18, s19, 1
	s_movk_i32 s19, 0x80
	buffer_load_dwordx4 v[18:21], v36, s[0:3], 0 offen
	buffer_load_dwordx4 v[26:29], v36, s[0:3], s19 offen
	;; [unrolled: 1-line block ×4, first 2 shown]
.LBB450_47:
	v_lshrrev_b32_e32 v47, 2, v63
	s_cbranch_execnz .LBB450_60
.LBB450_48:
	s_and_b64 vcc, exec, s[6:7]
	s_cbranch_vccz .LBB450_58
; %bb.49:
	s_waitcnt vmcnt(0)
	v_lshlrev_b32_e32 v23, 1, v42
	v_cmp_gt_i32_e32 vcc, s44, v23
	v_mov_b32_e32 v22, 0
	v_lshlrev_b32_e32 v30, 9, v42
	v_mov_b32_e32 v18, 0
	v_mov_b32_e32 v19, 0
	;; [unrolled: 1-line block ×4, first 2 shown]
	s_and_saveexec_b64 s[0:1], vcc
	s_cbranch_execz .LBB450_51
; %bb.50:
	v_mov_b32_e32 v31, 0
	v_lshl_add_u64 v[18:19], s[4:5], 0, v[30:31]
	v_lshlrev_b32_e32 v20, 1, v34
	v_mov_b32_e32 v21, v31
	v_lshl_add_u64 v[18:19], v[18:19], 0, v[20:21]
	global_load_dwordx4 v[18:21], v[18:19], off
.LBB450_51:
	s_or_b64 exec, exec, s[0:1]
	v_or_b32_e32 v23, 1, v23
	v_cmp_gt_i32_e64 s[0:1], s44, v23
	v_lshlrev_b32_e32 v36, 8, v23
	v_mov_b32_e32 v23, 0
	v_mov_b32_e32 v24, 0
	v_mov_b32_e32 v25, 0
	s_and_saveexec_b64 s[2:3], s[0:1]
	s_cbranch_execz .LBB450_53
; %bb.52:
	v_mov_b32_e32 v37, 0
	v_lshl_add_u64 v[22:23], s[4:5], 0, v[36:37]
	v_lshlrev_b32_e32 v24, 1, v34
	v_mov_b32_e32 v25, v37
	v_lshl_add_u64 v[22:23], v[22:23], 0, v[24:25]
	global_load_dwordx4 v[22:25], v[22:23], off
.LBB450_53:
	s_or_b64 exec, exec, s[2:3]
	v_mov_b32_e32 v33, 0
	v_mov_b32_e32 v26, 0
	;; [unrolled: 1-line block ×5, first 2 shown]
	s_and_saveexec_b64 s[2:3], vcc
	s_cbranch_execz .LBB450_55
; %bb.54:
	v_mov_b32_e32 v31, 0
	v_lshl_add_u64 v[26:27], s[4:5], 0, v[30:31]
	v_lshlrev_b32_e32 v30, 1, v34
	v_lshl_add_u64 v[26:27], v[26:27], 0, v[30:31]
	global_load_dwordx4 v[26:29], v[26:27], off offset:128
.LBB450_55:
	s_or_b64 exec, exec, s[2:3]
	v_mov_b32_e32 v32, 0
	v_mov_b32_e32 v31, 0
	;; [unrolled: 1-line block ×3, first 2 shown]
	s_and_saveexec_b64 s[2:3], s[0:1]
	s_cbranch_execz .LBB450_57
; %bb.56:
	v_mov_b32_e32 v37, 0
	v_lshl_add_u64 v[30:31], s[4:5], 0, v[36:37]
	v_lshlrev_b32_e32 v36, 1, v34
	v_lshl_add_u64 v[30:31], v[30:31], 0, v[36:37]
	global_load_dwordx4 v[30:33], v[30:31], off offset:128
.LBB450_57:
	s_or_b64 exec, exec, s[2:3]
	s_branch .LBB450_60
.LBB450_58:
                                        ; implicit-def: $vgpr21
                                        ; implicit-def: $vgpr25
                                        ; implicit-def: $vgpr29
                                        ; implicit-def: $vgpr33
	s_cbranch_execz .LBB450_60
; %bb.59:
	s_waitcnt vmcnt(0)
	v_lshlrev_b32_e32 v18, 1, v34
	v_lshl_or_b32 v34, v42, 9, v18
	s_and_b32 s5, s5, 0xffff
	s_mov_b32 s7, 0x20000
	s_movk_i32 s6, 0x4000
	s_movk_i32 s0, 0x80
	buffer_load_dwordx4 v[18:21], v34, s[4:7], 0 offen
	buffer_load_dwordx4 v[22:25], v34, s[4:7], 0 offen offset:256
	buffer_load_dwordx4 v[26:29], v34, s[4:7], s0 offen
	buffer_load_dwordx4 v[30:33], v34, s[4:7], s0 offen offset:256
.LBB450_60:
	ds_read_b64 v[36:37], v43 offset:32768
	v_add_u32_e32 v34, 0xb000, v40
	ds_read2_b64 v[48:51], v34 offset1:16
	ds_read_b64 v[56:57], v44 offset:32768
	ds_read_b64 v[44:45], v45 offset:32768
	;; [unrolled: 1-line block ×3, first 2 shown]
	ds_read2st64_b64 v[52:55], v41 offset0:90 offset1:92
	v_and_b32_e32 v43, 6, v0
	v_and_b32_e32 v34, 12, v47
	v_xor_b32_e32 v42, v42, v43
	v_lshlrev_b32_e32 v42, 2, v42
	s_mov_b32 s0, 0x1000504
	s_waitcnt lgkmcnt(4)
	v_mfma_f32_16x16x16_bf16 a[0:3], v[36:37], v[48:49], a[0:3]
	s_mov_b32 s1, 0x3020706
	v_mfma_f32_16x16x16_bf16 a[4:7], v[36:37], v[50:51], a[4:7]
	ds_read2st64_b64 v[48:51], v40 offset0:90 offset1:92
	ds_read_b64 v[36:37], v40 offset:48128
	ds_read_b64 v[46:47], v41 offset:48128
	s_waitcnt lgkmcnt(2)
	v_mfma_f32_16x16x16_bf16 a[0:3], v[56:57], v[48:49], a[0:3]
	v_and_b32_e32 v48, 1, v0
	v_xor_b32_e32 v49, 0x440, v42
	v_cmp_eq_u32_e32 vcc, 0, v48
	v_mfma_f32_16x16x16_bf16 a[4:7], v[56:57], v[52:53], a[4:7]
	s_nop 0
	v_cndmask_b32_e32 v42, v49, v42, vcc
	v_lshl_or_b32 v42, v43, 10, v42
	v_mfma_f32_16x16x16_bf16 a[0:3], v[44:45], v[50:51], a[0:3]
	v_mfma_f32_16x16x16_bf16 a[8:11], v[44:45], v[54:55], a[4:7]
	s_waitcnt lgkmcnt(1)
	v_mfma_f32_16x16x16_bf16 a[4:7], v[58:59], v[36:37], a[0:3]
	s_waitcnt vmcnt(0)
	v_perm_b32 v36, v18, v22, s0
	v_perm_b32 v37, v26, v30, s0
	ds_write2st64_b32 v42, v36, v37 offset0:32 offset1:64
	v_xor_b32_e32 v36, 8, v42
	v_perm_b32 v18, v18, v22, s1
	v_perm_b32 v22, v26, v30, s1
	v_add_u32_e32 v26, 0x80, v36
	ds_write2st64_b32 v26, v18, v22 offset0:32 offset1:64
	v_xor_b32_e32 v18, 16, v42
	v_perm_b32 v22, v19, v23, s0
	v_perm_b32 v26, v27, v31, s0
	ds_write2st64_b32 v18, v22, v26 offset0:33 offset1:65
	v_xor_b32_e32 v18, 24, v42
	v_perm_b32 v19, v19, v23, s1
	v_perm_b32 v22, v27, v31, s1
	v_add_u32_e32 v18, 0x80, v18
	ds_write2st64_b32 v18, v19, v22 offset0:33 offset1:65
	v_xor_b32_e32 v18, 32, v42
	v_perm_b32 v19, v20, v24, s0
	v_perm_b32 v22, v28, v32, s0
	ds_write2st64_b32 v18, v19, v22 offset0:34 offset1:66
	v_xor_b32_e32 v18, 40, v42
	s_waitcnt lgkmcnt(5)
	v_mfma_f32_16x16x16_bf16 a[0:3], v[58:59], v[46:47], a[8:11]
	v_perm_b32 v19, v20, v24, s1
	v_perm_b32 v20, v28, v32, s1
	v_add_u32_e32 v18, 0x80, v18
	ds_write2st64_b32 v18, v19, v20 offset0:34 offset1:66
	v_xor_b32_e32 v18, 48, v42
	v_perm_b32 v19, v21, v25, s0
	v_perm_b32 v20, v29, v33, s0
	ds_write2st64_b32 v18, v19, v20 offset0:35 offset1:67
	v_xor_b32_e32 v18, 56, v42
	v_or_b32_e32 v32, v34, v61
	v_perm_b32 v19, v21, v25, s1
	v_perm_b32 v20, v29, v33, s1
	v_add_u32_e32 v18, 0x80, v18
	v_cmp_gt_i32_e32 vcc, s44, v32
	v_mov_b32_e32 v33, 0
	v_mov_b32_e32 v37, 0
	ds_write2st64_b32 v18, v19, v20 offset0:35 offset1:67
	s_and_saveexec_b64 s[0:1], vcc
	s_cbranch_execz .LBB450_62
; %bb.61:
	v_add_u32_e32 v18, s34, v32
	v_ashrrev_i32_e32 v19, 31, v18
	v_mul_lo_u32 v20, v19, s22
	v_mul_lo_u32 v21, v18, s23
	v_mad_u64_u32 v[18:19], s[2:3], v18, s22, 0
	v_add3_u32 v19, v19, v21, v20
	v_lshl_add_u64 v[18:19], v[18:19], 2, s[10:11]
	global_load_dword v18, v[18:19], off
	s_waitcnt vmcnt(0)
	v_sub_f32_e32 v18, s18, v18
	v_mul_f32_e32 v18, 0x3fb8aa3b, v18
	v_exp_f32_e32 v37, v18
.LBB450_62:
	s_or_b64 exec, exec, s[0:1]
	v_or_b32_e32 v26, 1, v32
	v_cmp_gt_i32_e64 s[0:1], s44, v26
	s_and_saveexec_b64 s[2:3], s[0:1]
	s_cbranch_execz .LBB450_64
; %bb.63:
	v_add_u32_e32 v18, s34, v26
	v_ashrrev_i32_e32 v19, 31, v18
	v_mul_lo_u32 v20, v19, s22
	v_mul_lo_u32 v21, v18, s23
	v_mad_u64_u32 v[18:19], s[4:5], v18, s22, 0
	v_add3_u32 v19, v19, v21, v20
	v_lshl_add_u64 v[18:19], v[18:19], 2, s[10:11]
	global_load_dword v18, v[18:19], off
	s_waitcnt vmcnt(0)
	v_sub_f32_e32 v18, s18, v18
	v_mul_f32_e32 v18, 0x3fb8aa3b, v18
	v_exp_f32_e32 v33, v18
.LBB450_64:
	s_or_b64 exec, exec, s[2:3]
	v_or_b32_e32 v27, 2, v32
	v_cmp_gt_i32_e64 s[2:3], s44, v27
	v_mov_b32_e32 v36, 0
	v_mov_b32_e32 v42, 0
	s_and_saveexec_b64 s[4:5], s[2:3]
	s_cbranch_execz .LBB450_66
; %bb.65:
	v_add_u32_e32 v18, s34, v27
	v_ashrrev_i32_e32 v19, 31, v18
	v_mul_lo_u32 v20, v19, s22
	v_mul_lo_u32 v21, v18, s23
	v_mad_u64_u32 v[18:19], s[6:7], v18, s22, 0
	v_add3_u32 v19, v19, v21, v20
	v_lshl_add_u64 v[18:19], v[18:19], 2, s[10:11]
	global_load_dword v18, v[18:19], off
	s_waitcnt vmcnt(0)
	v_sub_f32_e32 v18, s18, v18
	v_mul_f32_e32 v18, 0x3fb8aa3b, v18
	v_exp_f32_e32 v42, v18
.LBB450_66:
	s_or_b64 exec, exec, s[4:5]
	v_or_b32_e32 v43, 3, v32
	v_cmp_gt_i32_e64 s[4:5], s44, v43
	s_and_saveexec_b64 s[6:7], s[4:5]
	s_cbranch_execz .LBB450_68
; %bb.67:
	v_add_u32_e32 v18, s34, v43
	v_ashrrev_i32_e32 v19, 31, v18
	v_mul_lo_u32 v20, v19, s22
	v_mul_lo_u32 v21, v18, s23
	v_mad_u64_u32 v[18:19], s[22:23], v18, s22, 0
	v_add3_u32 v19, v19, v21, v20
	v_lshl_add_u64 v[18:19], v[18:19], 2, s[10:11]
	global_load_dword v18, v[18:19], off
	s_waitcnt vmcnt(0)
	v_sub_f32_e32 v18, s18, v18
	v_mul_f32_e32 v18, 0x3fb8aa3b, v18
	v_exp_f32_e32 v36, v18
.LBB450_68:
	s_or_b64 exec, exec, s[6:7]
	s_add_u32 s6, s8, s28
	v_accvgpr_read_b32 v21, a7
	s_addc_u32 s7, s9, s29
	v_ashrrev_i32_e32 v69, 31, v68
	v_accvgpr_read_b32 v20, a6
	v_accvgpr_read_b32 v19, a5
	;; [unrolled: 1-line block ×3, first 2 shown]
	v_lshl_add_u64 v[22:23], v[68:69], 1, s[6:7]
	v_mov_b32_e32 v29, 0
	v_lshlrev_b32_e32 v24, 8, v32
	v_mov_b32_e32 v25, 0
	s_and_saveexec_b64 s[6:7], vcc
	s_cbranch_execz .LBB450_70
; %bb.69:
	v_mov_b32_e32 v25, 0
	v_lshl_add_u64 v[30:31], v[22:23], 0, v[24:25]
	global_load_ushort v25, v[30:31], off
	s_waitcnt vmcnt(0)
	v_lshlrev_b32_e32 v25, 16, v25
	v_sub_f32_e32 v18, v25, v18
	v_mul_f32_e32 v18, v37, v18
	v_lshrrev_b32_e32 v25, 16, v18
.LBB450_70:
	s_or_b64 exec, exec, s[6:7]
	v_lshlrev_b32_e32 v28, 8, v26
	s_and_saveexec_b64 s[6:7], s[0:1]
	s_cbranch_execz .LBB450_72
; %bb.71:
	v_mov_b32_e32 v29, 0
	v_lshl_add_u64 v[30:31], v[22:23], 0, v[28:29]
	global_load_ushort v18, v[30:31], off
	s_waitcnt vmcnt(0)
	v_lshlrev_b32_e32 v18, 16, v18
	v_sub_f32_e32 v18, v18, v19
	v_mul_f32_e32 v18, v33, v18
	v_lshrrev_b32_e32 v29, 16, v18
.LBB450_72:
	s_or_b64 exec, exec, s[6:7]
	v_mov_b32_e32 v44, 0
	v_lshlrev_b32_e32 v30, 8, v27
	v_mov_b32_e32 v31, 0
	s_and_saveexec_b64 s[6:7], s[2:3]
	s_cbranch_execz .LBB450_74
; %bb.73:
	v_mov_b32_e32 v31, 0
	v_lshl_add_u64 v[18:19], v[22:23], 0, v[30:31]
	global_load_ushort v18, v[18:19], off
	s_waitcnt vmcnt(0)
	v_lshlrev_b32_e32 v18, 16, v18
	v_sub_f32_e32 v18, v18, v20
	v_mul_f32_e32 v18, v42, v18
	v_lshrrev_b32_e32 v31, 16, v18
.LBB450_74:
	s_or_b64 exec, exec, s[6:7]
	v_lshlrev_b32_e32 v26, 8, v43
	s_and_saveexec_b64 s[6:7], s[4:5]
	s_cbranch_execz .LBB450_76
; %bb.75:
	v_mov_b32_e32 v27, 0
	v_lshl_add_u64 v[18:19], v[22:23], 0, v[26:27]
	global_load_ushort v18, v[18:19], off
	s_waitcnt vmcnt(0)
	v_lshlrev_b32_e32 v18, 16, v18
	v_sub_f32_e32 v18, v18, v21
	v_mul_f32_e32 v18, v36, v18
	v_lshrrev_b32_e32 v44, 16, v18
.LBB450_76:
	s_or_b64 exec, exec, s[6:7]
	v_lshlrev_b32_e32 v43, 5, v32
	s_mov_b32 s6, 0x5040100
	v_perm_b32 v45, v44, v31, s6
	v_perm_b32 v44, v29, v25, s6
	v_or_b32_e32 v25, v43, v38
	v_accvgpr_read_b32 v21, a3
	v_lshlrev_b32_e32 v25, 1, v25
	v_accvgpr_read_b32 v20, a2
	v_accvgpr_read_b32 v19, a1
	;; [unrolled: 1-line block ×3, first 2 shown]
	ds_write_b64 v25, v[44:45] offset:45056
	v_mov_b32_e32 v29, 0
	v_mov_b32_e32 v25, 0
	s_and_saveexec_b64 s[6:7], vcc
	s_cbranch_execz .LBB450_78
; %bb.77:
	v_mov_b32_e32 v25, 0
	v_lshl_add_u64 v[24:25], v[22:23], 0, v[24:25]
	global_load_ushort v24, v[24:25], off offset:32
	s_waitcnt vmcnt(0)
	v_lshlrev_b32_e32 v24, 16, v24
	v_sub_f32_e32 v18, v24, v18
	v_mul_f32_e32 v18, v37, v18
	v_lshrrev_b32_e32 v25, 16, v18
.LBB450_78:
	s_or_b64 exec, exec, s[6:7]
	s_and_saveexec_b64 s[6:7], s[0:1]
	s_cbranch_execz .LBB450_80
; %bb.79:
	v_mov_b32_e32 v29, 0
	v_lshl_add_u64 v[28:29], v[22:23], 0, v[28:29]
	global_load_ushort v18, v[28:29], off offset:32
	s_waitcnt vmcnt(0)
	v_lshlrev_b32_e32 v18, 16, v18
	v_sub_f32_e32 v18, v18, v19
	v_mul_f32_e32 v18, v33, v18
	v_lshrrev_b32_e32 v29, 16, v18
.LBB450_80:
	s_or_b64 exec, exec, s[6:7]
	v_mov_b32_e32 v24, 0
	v_mov_b32_e32 v28, 0
	s_and_saveexec_b64 s[0:1], s[2:3]
	s_cbranch_execz .LBB450_82
; %bb.81:
	v_mov_b32_e32 v31, 0
	v_lshl_add_u64 v[18:19], v[22:23], 0, v[30:31]
	global_load_ushort v18, v[18:19], off offset:32
	s_waitcnt vmcnt(0)
	v_lshlrev_b32_e32 v18, 16, v18
	v_sub_f32_e32 v18, v18, v20
	v_mul_f32_e32 v18, v42, v18
	v_lshrrev_b32_e32 v28, 16, v18
.LBB450_82:
	s_or_b64 exec, exec, s[0:1]
	v_or_b32_e32 v19, 0xb000, v40
	v_or_b32_e32 v18, 0xb000, v41
	s_and_saveexec_b64 s[0:1], s[4:5]
	s_cbranch_execz .LBB450_84
; %bb.83:
	v_mov_b32_e32 v27, 0
	v_lshl_add_u64 v[22:23], v[22:23], 0, v[26:27]
	global_load_ushort v20, v[22:23], off offset:32
	s_waitcnt vmcnt(0)
	v_lshlrev_b32_e32 v20, 16, v20
	v_sub_f32_e32 v20, v20, v21
	v_mul_f32_e32 v20, v36, v20
	v_lshrrev_b32_e32 v24, 16, v20
.LBB450_84:
	s_or_b64 exec, exec, s[0:1]
	s_mov_b32 s0, 0x5040100
	v_or_b32_e32 v22, v43, v35
	v_perm_b32 v21, v24, v28, s0
	v_perm_b32 v20, v29, v25, s0
	v_lshlrev_b32_e32 v22, 1, v22
	s_movk_i32 s2, 0x100
	ds_write_b64 v22, v[20:21] offset:45056
	v_and_b32_e32 v20, 7, v0
	v_and_b32_e32 v21, 8, v0
	v_cmp_gt_u32_e32 vcc, s2, v0
	v_lshrrev_b32_e32 v0, 1, v0
	v_lshlrev_b32_e32 v26, 3, v20
	v_lshlrev_b32_e32 v48, 7, v20
	v_mov_b32_e32 v20, 0x4000
	v_mov_b32_e32 v22, 0x2000
	v_lshlrev_b32_e32 v24, 3, v1
	v_and_b32_e32 v0, 24, v0
	v_cndmask_b32_e32 v27, v20, v22, vcc
	v_xor_b32_e32 v20, v24, v0
	v_or_b32_e32 v22, 0x440, v20
	v_cmp_eq_u32_e32 vcc, 0, v21
	v_or_b32_e32 v28, 32, v0
	v_xor_b32_e32 v28, v24, v28
	v_cndmask_b32_e32 v20, v22, v20, vcc
	v_or_b32_e32 v20, v20, v39
	v_xor_b32_e32 v49, v20, v26
	v_or_b32_e32 v29, 0x440, v28
	v_add3_u32 v25, v27, v49, v48
	v_cndmask_b32_e32 v28, v29, v28, vcc
	v_or_b32_e32 v29, 64, v0
	v_or_b32_e32 v0, 0x60, v0
	s_waitcnt lgkmcnt(0)
	s_barrier
	v_xor_b32_e32 v29, v24, v29
	v_xor_b32_e32 v0, v24, v0
	ds_read_b64 v[24:25], v25
	v_xor_b32_e32 v30, 0x440, v29
	ds_read2_b64 v[20:23], v19 offset1:16
	v_cndmask_b32_e32 v29, v30, v29, vcc
	v_xor_b32_e32 v30, 0x440, v0
	v_or_b32_e32 v28, v28, v39
	v_or_b32_e32 v29, v29, v39
	v_cndmask_b32_e32 v0, v30, v0, vcc
	v_xor_b32_e32 v50, v28, v26
	v_xor_b32_e32 v51, v29, v26
	v_or_b32_e32 v0, v0, v39
	v_add3_u32 v28, v27, v50, v48
	v_add3_u32 v29, v27, v51, v48
	v_xor_b32_e32 v52, v0, v26
	s_mul_i32 s0, s16, s17
	s_mul_hi_i32 s1, s16, s17
	v_add3_u32 v0, v27, v52, v48
	ds_read_b64 v[26:27], v28
	ds_read_b64 v[40:41], v29
	;; [unrolled: 1-line block ×3, first 2 shown]
	s_add_u32 s0, s0, s33
	ds_read2st64_b64 v[28:31], v19 offset0:2 offset1:4
	ds_read2st64_b64 v[36:39], v18 offset0:2 offset1:4
	s_waitcnt lgkmcnt(5)
	v_mfma_f32_16x16x16_bf16 a[0:3], v[24:25], v[20:21], 0
	s_addc_u32 s1, s1, s46
	s_lshl_b64 s[0:1], s[0:1], 9
	s_add_u32 s0, s20, s0
	v_mfma_f32_16x16x16_bf16 a[4:7], v[24:25], v[22:23], 0
	s_addc_u32 s1, s21, s1
	v_lshlrev_b32_e32 v0, 2, v32
	ds_read_b64 v[44:45], v19 offset:3072
	ds_read_b64 v[46:47], v18 offset:3072
	s_waitcnt lgkmcnt(3)
	v_mfma_f32_16x16x16_bf16 a[0:3], v[26:27], v[28:29], a[0:3]
	s_waitcnt lgkmcnt(2)
	v_mfma_f32_16x16x16_bf16 a[4:7], v[26:27], v[36:37], a[4:7]
	global_load_dwordx4 v[24:27], v0, s[0:1]
	v_lshlrev_b32_e32 v0, 6, v1
	v_lshlrev_b32_e32 v1, 2, v34
	v_or3_b32 v0, v0, v1, s2
	global_load_dwordx4 v[32:35], v0, s[0:1]
	v_mfma_f32_16x16x16_bf16 a[0:3], v[40:41], v[30:31], a[0:3]
	v_mov_b32_e32 v0, 0x3fb8aa3b
	v_mul_f32_e32 v0, s18, v0
	s_waitcnt vmcnt(1)
	v_mul_f32_e32 v18, 0x3fb8aa3b, v26
	v_mfma_f32_16x16x16_bf16 a[4:7], v[40:41], v[38:39], a[4:7]
	v_exp_f32_e32 v40, v0
	v_mul_f32_e32 v0, 0x3fb8aa3b, v24
	v_exp_f32_e32 v24, v18
	s_waitcnt lgkmcnt(1)
	v_mfma_f32_16x16x16_bf16 a[0:3], v[42:43], v[44:45], a[0:3]
	v_add_u32_e32 v18, v49, v48
	v_mul_f32_e32 v19, 0x3fb8aa3b, v27
	v_mul_f32_e32 v1, 0x3fb8aa3b, v25
	v_exp_f32_e32 v0, v0
	v_exp_f32_e32 v1, v1
	;; [unrolled: 1-line block ×3, first 2 shown]
	v_pk_mul_f32 v[0:1], v[40:41], v[0:1] op_sel_hi:[0,1]
	v_accvgpr_read_b32 v27, a3
	v_accvgpr_read_b32 v26, a2
	s_waitcnt lgkmcnt(0)
	v_mfma_f32_16x16x16_bf16 a[2:5], v[42:43], v[46:47], a[4:7]
	ds_read_b64 v[42:43], v18 offset:16384
	v_accvgpr_read_b32 v19, a1
	v_accvgpr_read_b32 v18, a0
	v_pk_fma_f32 v[18:19], v[2:3], v[0:1], v[18:19]
	v_add_u32_e32 v2, v50, v48
	v_add_u32_e32 v50, v52, v48
	s_waitcnt lgkmcnt(0)
	v_mfma_f32_16x16x16_bf16 a[6:9], v[42:43], v[20:21], 0
	v_add_u32_e32 v41, v51, v48
	ds_read_b64 v[2:3], v2 offset:16384
	ds_read_b64 v[48:49], v41 offset:16384
	;; [unrolled: 1-line block ×3, first 2 shown]
	v_pk_mul_f32 v[24:25], v[40:41], v[24:25] op_sel_hi:[0,1]
	v_pk_fma_f32 v[20:21], v[4:5], v[24:25], v[26:27]
	v_accvgpr_read_b32 v4, a2
	v_mfma_f32_16x16x16_bf16 a[10:13], v[42:43], v[22:23], 0
	v_fma_f32 v26, v10, v0, v4
	v_accvgpr_read_b32 v0, a3
	v_fma_f32 v27, v11, v1, v0
	s_waitcnt lgkmcnt(2)
	v_mfma_f32_16x16x16_bf16 a[0:3], v[2:3], v[28:29], a[6:9]
	v_accvgpr_read_b32 v0, a4
	v_accvgpr_read_b32 v29, a5
	v_fma_f32 v28, v12, v24, v0
	v_mfma_f32_16x16x16_bf16 a[4:7], v[2:3], v[36:37], a[10:13]
	s_waitcnt vmcnt(0)
	v_mov_b32_e32 v0, v33
	v_mov_b32_e32 v1, v34
	;; [unrolled: 1-line block ×3, first 2 shown]
	s_waitcnt lgkmcnt(1)
	v_mfma_f32_16x16x16_bf16 a[0:3], v[48:49], v[30:31], a[0:3]
	v_mul_f32_e32 v0, 0x3fb8aa3b, v0
	v_exp_f32_e32 v5, v0
	v_mul_f32_e32 v0, 0x3fb8aa3b, v1
	v_mfma_f32_16x16x16_bf16 a[4:7], v[48:49], v[38:39], a[4:7]
	v_mul_f32_e32 v1, 0x3fb8aa3b, v2
	v_mul_f32_e32 v3, 0x3fb8aa3b, v32
	v_exp_f32_e32 v0, v0
	s_waitcnt lgkmcnt(0)
	v_mfma_f32_16x16x16_bf16 a[0:3], v[50:51], v[44:45], a[0:3]
	v_exp_f32_e32 v1, v1
	v_exp_f32_e32 v4, v3
	v_fmac_f32_e32 v29, v13, v25
	v_pk_mul_f32 v[0:1], v[40:41], v[0:1] op_sel_hi:[0,1]
	v_pk_mul_f32 v[4:5], v[40:41], v[4:5] op_sel_hi:[0,1]
	s_nop 1
	v_accvgpr_read_b32 v3, a3
	v_accvgpr_read_b32 v2, a2
	v_mfma_f32_16x16x16_bf16 a[2:5], v[50:51], v[46:47], a[4:7]
	v_pk_fma_f32 v[24:25], v[8:9], v[0:1], v[2:3]
	v_accvgpr_read_b32 v11, a1
	v_accvgpr_read_b32 v10, a0
	v_pk_fma_f32 v[22:23], v[6:7], v[4:5], v[10:11]
	s_nop 2
	v_accvgpr_read_b32 v2, a2
	v_fma_f32 v30, v14, v4, v2
	v_accvgpr_read_b32 v2, a3
	v_fma_f32 v31, v15, v5, v2
	v_accvgpr_read_b32 v2, a4
	v_accvgpr_read_b32 v33, a5
	v_fma_f32 v32, v16, v0, v2
	v_fmac_f32_e32 v33, v17, v1
	v_mov_b64_e32 v[2:3], v[18:19]
	v_mov_b64_e32 v[4:5], v[20:21]
	;; [unrolled: 1-line block ×8, first 2 shown]
.LBB450_85:
	s_add_u32 s0, s12, s14
	s_addc_u32 s1, s13, s15
	v_lshl_add_u64 v[0:1], v[66:67], 2, s[0:1]
	v_mov_b32_e32 v63, 0
	v_lshl_add_u64 v[0:1], v[0:1], 0, v[62:63]
	global_store_dwordx4 v[0:1], v[2:5], off
	global_store_dwordx4 v[0:1], v[6:9], off offset:256
	v_lshl_add_u64 v[0:1], v[64:65], 2, s[0:1]
	v_lshl_add_u64 v[0:1], v[0:1], 0, v[62:63]
	global_store_dwordx4 v[0:1], v[10:13], off
	global_store_dwordx4 v[0:1], v[14:17], off offset:256
	s_endpgm
	.section	.rodata,"a",@progbits
	.p2align	6, 0x0
	.amdhsa_kernel _ZN12_GLOBAL__N_139chunk_gated_delta_rule_fwd_h_hip_kernelILi32ELb1ELb1ELb0ELb1ELb0ELb1ELb1ELb0EEEvPK12hip_bfloat16S3_S3_PKfS5_PKvPS1_S8_PvPKiSB_iiiiilll
		.amdhsa_group_segment_fixed_size 49152
		.amdhsa_private_segment_fixed_size 0
		.amdhsa_kernarg_size 136
		.amdhsa_user_sgpr_count 2
		.amdhsa_user_sgpr_dispatch_ptr 0
		.amdhsa_user_sgpr_queue_ptr 0
		.amdhsa_user_sgpr_kernarg_segment_ptr 1
		.amdhsa_user_sgpr_dispatch_id 0
		.amdhsa_user_sgpr_kernarg_preload_length 0
		.amdhsa_user_sgpr_kernarg_preload_offset 0
		.amdhsa_user_sgpr_private_segment_size 0
		.amdhsa_uses_dynamic_stack 0
		.amdhsa_enable_private_segment 0
		.amdhsa_system_sgpr_workgroup_id_x 1
		.amdhsa_system_sgpr_workgroup_id_y 1
		.amdhsa_system_sgpr_workgroup_id_z 0
		.amdhsa_system_sgpr_workgroup_info 0
		.amdhsa_system_vgpr_workitem_id 0
		.amdhsa_next_free_vgpr 172
		.amdhsa_next_free_sgpr 66
		.amdhsa_accum_offset 148
		.amdhsa_reserve_vcc 1
		.amdhsa_float_round_mode_32 0
		.amdhsa_float_round_mode_16_64 0
		.amdhsa_float_denorm_mode_32 3
		.amdhsa_float_denorm_mode_16_64 3
		.amdhsa_dx10_clamp 1
		.amdhsa_ieee_mode 1
		.amdhsa_fp16_overflow 0
		.amdhsa_tg_split 0
		.amdhsa_exception_fp_ieee_invalid_op 0
		.amdhsa_exception_fp_denorm_src 0
		.amdhsa_exception_fp_ieee_div_zero 0
		.amdhsa_exception_fp_ieee_overflow 0
		.amdhsa_exception_fp_ieee_underflow 0
		.amdhsa_exception_fp_ieee_inexact 0
		.amdhsa_exception_int_div_zero 0
	.end_amdhsa_kernel
	.section	.text._ZN12_GLOBAL__N_139chunk_gated_delta_rule_fwd_h_hip_kernelILi32ELb1ELb1ELb0ELb1ELb0ELb1ELb1ELb0EEEvPK12hip_bfloat16S3_S3_PKfS5_PKvPS1_S8_PvPKiSB_iiiiilll,"axG",@progbits,_ZN12_GLOBAL__N_139chunk_gated_delta_rule_fwd_h_hip_kernelILi32ELb1ELb1ELb0ELb1ELb0ELb1ELb1ELb0EEEvPK12hip_bfloat16S3_S3_PKfS5_PKvPS1_S8_PvPKiSB_iiiiilll,comdat
.Lfunc_end450:
	.size	_ZN12_GLOBAL__N_139chunk_gated_delta_rule_fwd_h_hip_kernelILi32ELb1ELb1ELb0ELb1ELb0ELb1ELb1ELb0EEEvPK12hip_bfloat16S3_S3_PKfS5_PKvPS1_S8_PvPKiSB_iiiiilll, .Lfunc_end450-_ZN12_GLOBAL__N_139chunk_gated_delta_rule_fwd_h_hip_kernelILi32ELb1ELb1ELb0ELb1ELb0ELb1ELb1ELb0EEEvPK12hip_bfloat16S3_S3_PKfS5_PKvPS1_S8_PvPKiSB_iiiiilll
                                        ; -- End function
	.section	.AMDGPU.csdata,"",@progbits
; Kernel info:
; codeLenInByte = 9680
; NumSgprs: 72
; NumVgprs: 146
; NumAgprs: 24
; TotalNumVgprs: 172
; ScratchSize: 0
; MemoryBound: 0
; FloatMode: 240
; IeeeMode: 1
; LDSByteSize: 49152 bytes/workgroup (compile time only)
; SGPRBlocks: 8
; VGPRBlocks: 21
; NumSGPRsForWavesPerEU: 72
; NumVGPRsForWavesPerEU: 172
; AccumOffset: 148
; Occupancy: 1
; WaveLimiterHint : 1
; COMPUTE_PGM_RSRC2:SCRATCH_EN: 0
; COMPUTE_PGM_RSRC2:USER_SGPR: 2
; COMPUTE_PGM_RSRC2:TRAP_HANDLER: 0
; COMPUTE_PGM_RSRC2:TGID_X_EN: 1
; COMPUTE_PGM_RSRC2:TGID_Y_EN: 1
; COMPUTE_PGM_RSRC2:TGID_Z_EN: 0
; COMPUTE_PGM_RSRC2:TIDIG_COMP_CNT: 0
; COMPUTE_PGM_RSRC3_GFX90A:ACCUM_OFFSET: 36
; COMPUTE_PGM_RSRC3_GFX90A:TG_SPLIT: 0
	.section	.text._ZN12_GLOBAL__N_139chunk_gated_delta_rule_fwd_h_hip_kernelILi32ELb1ELb0ELb1ELb1ELb0ELb1ELb1ELb0EEEvPK12hip_bfloat16S3_S3_PKfS5_PKvPS1_S8_PvPKiSB_iiiiilll,"axG",@progbits,_ZN12_GLOBAL__N_139chunk_gated_delta_rule_fwd_h_hip_kernelILi32ELb1ELb0ELb1ELb1ELb0ELb1ELb1ELb0EEEvPK12hip_bfloat16S3_S3_PKfS5_PKvPS1_S8_PvPKiSB_iiiiilll,comdat
	.globl	_ZN12_GLOBAL__N_139chunk_gated_delta_rule_fwd_h_hip_kernelILi32ELb1ELb0ELb1ELb1ELb0ELb1ELb1ELb0EEEvPK12hip_bfloat16S3_S3_PKfS5_PKvPS1_S8_PvPKiSB_iiiiilll ; -- Begin function _ZN12_GLOBAL__N_139chunk_gated_delta_rule_fwd_h_hip_kernelILi32ELb1ELb0ELb1ELb1ELb0ELb1ELb1ELb0EEEvPK12hip_bfloat16S3_S3_PKfS5_PKvPS1_S8_PvPKiSB_iiiiilll
	.p2align	8
	.type	_ZN12_GLOBAL__N_139chunk_gated_delta_rule_fwd_h_hip_kernelILi32ELb1ELb0ELb1ELb1ELb0ELb1ELb1ELb0EEEvPK12hip_bfloat16S3_S3_PKfS5_PKvPS1_S8_PvPKiSB_iiiiilll,@function
_ZN12_GLOBAL__N_139chunk_gated_delta_rule_fwd_h_hip_kernelILi32ELb1ELb0ELb1ELb1ELb0ELb1ELb1ELb0EEEvPK12hip_bfloat16S3_S3_PKfS5_PKvPS1_S8_PvPKiSB_iiiiilll: ; @_ZN12_GLOBAL__N_139chunk_gated_delta_rule_fwd_h_hip_kernelILi32ELb1ELb0ELb1ELb1ELb0ELb1ELb1ELb0EEEvPK12hip_bfloat16S3_S3_PKfS5_PKvPS1_S8_PvPKiSB_iiiiilll
; %bb.0:
	s_load_dwordx4 s[12:15], s[0:1], 0x5c
	s_load_dwordx4 s[4:7], s[0:1], 0x48
	s_abs_i32 s9, s3
	s_ashr_i32 s8, s3, 31
	v_and_b32_e32 v74, 15, v0
	s_waitcnt lgkmcnt(0)
	s_abs_i32 s10, s13
	v_cvt_f32_u32_e32 v1, s10
	s_sub_i32 s16, 0, s10
	s_ashr_i32 s11, s13, 31
	s_xor_b32 s8, s8, s11
	v_rcp_iflag_f32_e32 v1, v1
	v_lshrrev_b32_e32 v72, 6, v0
	v_bfe_u32 v73, v0, 4, 2
	v_mov_b32_e32 v7, 0
	v_mul_f32_e32 v1, 0x4f7ffffe, v1
	v_cvt_u32_f32_e32 v1, v1
	v_and_b32_e32 v61, 63, v0
	v_lshrrev_b32_e32 v76, 3, v61
	v_lshlrev_b32_e32 v75, 3, v0
	v_readfirstlane_b32 s17, v1
	s_mul_i32 s16, s16, s17
	s_mul_hi_u32 s16, s17, s16
	s_add_i32 s17, s17, s16
	s_mul_hi_u32 s16, s9, s17
	s_mul_i32 s17, s16, s10
	s_sub_i32 s9, s9, s17
	s_add_i32 s18, s16, 1
	s_sub_i32 s17, s9, s10
	s_cmp_ge_u32 s9, s10
	s_cselect_b32 s16, s18, s16
	s_cselect_b32 s9, s17, s9
	s_add_i32 s17, s16, 1
	s_cmp_ge_u32 s9, s10
	s_cselect_b32 s9, s17, s16
	s_xor_b32 s9, s9, s8
	s_sub_i32 s20, s9, s8
	s_mul_i32 s24, s20, s13
	s_ashr_i32 s21, s20, 31
	s_sub_i32 s49, s3, s24
	s_lshl_b64 s[8:9], s[20:21], 2
	s_add_u32 s4, s4, s8
	s_addc_u32 s5, s5, s9
	s_add_u32 s22, s6, s8
	s_addc_u32 s23, s7, s9
	s_abs_i32 s3, s14
	v_cvt_f32_u32_e32 v1, s3
	s_load_dwordx2 s[34:35], s[4:5], 0x0
	s_lshl_b32 s40, s2, 5
	s_ashr_i32 s2, s14, 31
	v_rcp_iflag_f32_e32 v1, v1
	s_xor_b32 s2, s11, s2
	s_waitcnt lgkmcnt(0)
	s_sub_i32 s52, s35, s34
	s_ashr_i32 s4, s52, 31
	v_mul_f32_e32 v1, 0x4f7ffffe, v1
	v_cvt_u32_f32_e32 v1, v1
	s_lshr_b32 s4, s4, 26
	s_add_i32 s4, s52, s4
	s_ashr_i32 s50, s4, 6
	s_sub_i32 s4, 0, s3
	v_readfirstlane_b32 s5, v1
	s_mul_i32 s4, s4, s5
	s_mul_hi_u32 s4, s5, s4
	s_add_i32 s5, s5, s4
	s_mul_hi_u32 s4, s10, s5
	s_mul_i32 s5, s4, s3
	s_sub_i32 s5, s10, s5
	s_add_i32 s6, s4, 1
	s_sub_i32 s7, s5, s3
	s_cmp_ge_u32 s5, s3
	s_cselect_b32 s4, s6, s4
	s_cselect_b32 s5, s7, s5
	s_add_i32 s6, s4, 1
	s_cmp_ge_u32 s5, s3
	s_cselect_b32 s3, s6, s4
	s_xor_b32 s3, s3, s2
	s_sub_i32 s2, s3, s2
	s_abs_i32 s3, s2
	v_cvt_f32_u32_e32 v1, s3
	s_sub_i32 s5, 0, s3
	s_abs_i32 s4, s49
	s_xor_b32 s2, s49, s2
	v_rcp_iflag_f32_e32 v1, v1
	s_ashr_i32 s2, s2, 31
	s_load_dwordx4 s[16:19], s[0:1], 0x28
	s_load_dwordx2 s[28:29], s[0:1], 0x38
	v_or_b32_e32 v62, s40, v74
	v_mul_f32_e32 v1, 0x4f7ffffe, v1
	v_cvt_u32_f32_e32 v1, v1
	v_lshlrev_b32_e32 v2, 7, v62
	v_ashrrev_i32_e32 v3, 31, v2
	s_mul_hi_i32 s55, s49, s12
	v_readfirstlane_b32 s6, v1
	s_mul_i32 s5, s5, s6
	s_mul_hi_u32 s5, s6, s5
	s_add_i32 s6, s6, s5
	s_mul_hi_u32 s5, s4, s6
	s_mul_i32 s6, s5, s3
	s_sub_i32 s4, s4, s6
	s_add_i32 s6, s5, 1
	s_sub_i32 s7, s4, s3
	s_cmp_ge_u32 s4, s3
	s_cselect_b32 s5, s6, s5
	s_cselect_b32 s4, s7, s4
	s_add_i32 s6, s5, 1
	s_cmp_ge_u32 s4, s3
	s_cselect_b32 s3, s6, s5
	s_xor_b32 s3, s3, s2
	s_sub_i32 s53, s3, s2
	s_ashr_i32 s51, s49, 31
	s_mul_hi_i32 s3, s20, s13
	s_add_u32 s2, s24, s49
	s_addc_u32 s3, s3, s51
	s_lshl_b64 s[2:3], s[2:3], 16
	s_waitcnt lgkmcnt(0)
	s_add_u32 s2, s16, s2
	s_addc_u32 s3, s17, s3
	v_lshlrev_b32_e32 v1, 4, v72
	v_lshl_add_u64 v[4:5], v[2:3], 2, s[2:3]
	v_or_b32_e32 v2, 0x800, v2
	v_lshl_or_b32 v77, v73, 2, v1
	v_ashrrev_i32_e32 v3, 31, v2
	v_lshlrev_b32_e32 v6, 2, v77
	v_lshl_add_u64 v[2:3], v[2:3], 2, s[2:3]
	v_lshl_add_u64 v[4:5], v[4:5], 0, v[6:7]
	v_lshl_add_u64 v[18:19], v[2:3], 0, v[6:7]
	global_load_dwordx4 v[14:17], v[4:5], off
	global_load_dwordx4 v[10:13], v[4:5], off offset:256
	global_load_dwordx4 v[6:9], v[18:19], off
	s_nop 0
	global_load_dwordx4 v[2:5], v[18:19], off offset:256
	s_load_dwordx8 s[4:11], s[0:1], 0x0
	s_load_dwordx2 s[30:31], s[0:1], 0x80
	s_load_dwordx4 s[24:27], s[0:1], 0x70
	s_load_dword s54, s[22:23], 0x0
	v_or_b32_e32 v78, 64, v77
	s_cmp_lt_i32 s52, 64
	s_mul_i32 s56, s49, s12
	s_waitcnt lgkmcnt(0)
	s_mul_i32 s33, s20, s25
	s_mul_hi_u32 s45, s20, s24
	s_mul_i32 s46, s21, s24
	s_mul_i32 s36, s20, s24
	;; [unrolled: 1-line block ×3, first 2 shown]
	s_mul_hi_u32 s47, s49, s26
	s_mul_i32 s48, s51, s26
	s_mul_i32 s38, s49, s26
	s_cbranch_scc1 .LBB451_3
; %bb.1:
	s_ashr_i32 s3, s34, 31
	s_add_u32 s2, s56, s34
	s_addc_u32 s3, s55, s3
	s_lshl_b64 s[2:3], s[2:3], 8
	v_and_b32_e32 v80, 56, v75
	s_add_u32 s20, s6, s2
	v_lshl_or_b32 v79, v72, 3, v76
	v_lshlrev_b32_e32 v18, 1, v80
	s_addc_u32 s2, s7, s3
	v_lshl_or_b32 v81, v79, 8, v18
	s_and_b32 s21, s2, 0xffff
	s_mov_b32 s23, 0x20000
	s_movk_i32 s22, 0x4000
	s_movk_i32 s2, 0x80
	v_or_b32_e32 v82, 0x2000, v81
	buffer_load_dwordx4 v[20:23], v81, s[20:23], 0 offen
	buffer_load_dwordx4 v[24:27], v81, s[20:23], s2 offen
	;; [unrolled: 1-line block ×4, first 2 shown]
	v_lshlrev_b32_e32 v19, 3, v79
	v_and_or_b32 v37, v0, 7, v19
	v_and_b32_e32 v19, 0x78, v19
	v_lshlrev_b32_e32 v37, 4, v37
	v_xor_b32_e32 v83, v37, v19
	v_mul_lo_u32 v36, v79, s15
	v_or_b32_e32 v84, 0x1000, v83
	v_xor_b32_e32 v19, 8, v83
	s_cmpk_eq_i32 s15, 0x80
	s_mov_b32 s57, s34
	v_xor_b32_e32 v37, 8, v84
	s_cselect_b64 s[2:3], -1, 0
	s_cmpk_lg_i32 s15, 0x80
	s_waitcnt vmcnt(3)
	ds_write_b64 v83, v[20:21] offset:24576
	ds_write_b64 v19, v[22:23] offset:24576
	s_waitcnt vmcnt(2)
	ds_write_b64 v83, v[24:25] offset:32768
	ds_write_b64 v19, v[26:27] offset:32768
	;; [unrolled: 3-line block ×4, first 2 shown]
	v_lshl_add_u32 v19, v36, 1, v80
	s_cbranch_scc0 .LBB451_29
; %bb.2:
	v_lshlrev_b32_e32 v21, 1, v19
	v_add_lshl_u32 v20, v19, s15, 1
	s_lshl_b32 s22, s15, 7
	s_load_dwordx2 s[16:17], s[0:1], 0x20
	v_lshl_or_b32 v18, v79, 9, v18
	s_cbranch_execz .LBB451_30
	s_branch .LBB451_31
.LBB451_3:
	s_waitcnt vmcnt(0)
	v_mov_b32_e32 v25, v5
	v_mov_b32_e32 v21, v9
.LBB451_4:
	s_lshl_b32 s26, s50, 6
	s_sub_i32 s27, s52, s26
	s_cmp_gt_i32 s27, 0
	s_cbranch_scc0 .LBB451_84
; %bb.5:
	s_add_i32 s26, s26, s34
	s_ashr_i32 s2, s26, 31
	s_cmpk_lg_i32 s15, 0x80
	s_cselect_b64 s[22:23], -1, 0
	s_and_b64 vcc, exec, s[22:23]
	s_cbranch_vccz .LBB451_7
; %bb.6:
	s_mul_i32 s1, s26, s14
	s_ashr_i32 s3, s53, 31
	s_mul_hi_i32 s0, s26, s14
	s_add_u32 s24, s1, s53
	s_addc_u32 s25, s0, s3
	s_cbranch_execz .LBB451_8
	s_branch .LBB451_9
.LBB451_7:
                                        ; implicit-def: $sgpr24_sgpr25
.LBB451_8:
	s_mul_i32 s1, s53, s12
	s_mul_hi_i32 s0, s53, s12
	s_add_u32 s24, s1, s26
	s_addc_u32 s25, s0, s2
.LBB451_9:
	s_add_i32 s3, s50, s54
	s_add_u32 s0, s56, s26
	s_addc_u32 s1, s55, s2
	v_lshlrev_b32_e32 v18, 5, v77
	v_lshlrev_b32_e32 v22, 2, v74
	s_mov_b32 s2, 0x7060302
	v_perm_b32 v13, v13, v12, s2
	v_perm_b32 v12, v11, v10, s2
	v_or_b32_e32 v10, v18, v22
	v_xor_b32_e32 v5, v77, v22
	v_perm_b32 v17, v17, v16, s2
	v_perm_b32 v16, v15, v14, s2
	v_lshlrev_b32_e32 v10, 1, v10
	ds_write2st64_b64 v10, v[16:17], v[12:13] offset0:80 offset1:88
	v_lshlrev_b32_e32 v10, 1, v5
	v_lshlrev_b32_e32 v5, 8, v74
	s_lshl_b64 s[20:21], s[0:1], 8
	v_xor_b32_e32 v9, v78, v22
	v_or_b32_e32 v11, v10, v5
	s_add_u32 s0, s6, s20
	ds_write_b64 v11, v[16:17]
	v_lshlrev_b32_e32 v11, 1, v9
	s_addc_u32 s1, s7, s21
	v_or_b32_e32 v5, v11, v5
	s_mul_hi_i32 s6, s3, s13
	s_mul_i32 s3, s3, s13
	ds_write_b64 v5, v[12:13]
	v_perm_b32 v9, v21, v8, s2
	v_perm_b32 v8, v7, v6, s2
	;; [unrolled: 1-line block ×4, first 2 shown]
	s_add_u32 s2, s3, s49
	v_or_b32_e32 v2, 16, v74
	s_addc_u32 s3, s6, s51
	v_lshlrev_b32_e32 v19, 2, v2
	s_ashr_i32 s41, s40, 31
	s_lshl_b64 s[2:3], s[2:3], 15
	v_or_b32_e32 v3, v18, v19
	s_add_u32 s6, s18, s2
	v_lshlrev_b32_e32 v3, 1, v3
	v_lshlrev_b32_e32 v2, 8, v2
	s_addc_u32 s7, s19, s3
	s_lshl_b64 s[2:3], s[40:41], 8
	ds_write2st64_b64 v3, v[8:9], v[4:5] offset0:80 offset1:88
	v_or_b32_e32 v3, v10, v2
	v_or_b32_e32 v2, v11, v2
	s_add_u32 s2, s6, s2
	ds_write_b64 v3, v[8:9]
	ds_write_b64 v2, v[4:5]
	v_lshrrev_b32_e32 v2, 4, v0
	s_addc_u32 s3, s7, s3
	v_lshlrev_b32_e32 v3, 1, v74
	v_lshlrev_b32_e32 v10, 4, v74
	v_mov_b32_e32 v11, 0
	v_or_b32_e32 v4, 1, v3
	v_xor_b32_e32 v3, v2, v3
	v_lshl_add_u64 v[12:13], s[2:3], 0, v[10:11]
	v_lshlrev_b32_e32 v10, 8, v2
	v_xor_b32_e32 v6, v4, v2
	v_lshl_or_b32 v2, v3, 3, v10
	s_waitcnt lgkmcnt(0)
	s_barrier
	ds_read2st64_b64 v[2:5], v2 offset1:8
	v_lshl_or_b32 v6, v6, 3, v10
	ds_read2st64_b64 v[6:9], v6 offset1:8
	v_lshl_add_u64 v[14:15], v[12:13], 0, v[10:11]
	s_movk_i32 s2, 0x1000
	s_waitcnt lgkmcnt(1)
	v_mov_b32_e32 v10, v2
	v_add_co_u32_e32 v2, vcc, s2, v14
	s_cmp_lg_u32 s27, 64
	v_mov_b32_e32 v11, v3
	v_addc_co_u32_e32 v3, vcc, 0, v15, vcc
	s_cselect_b64 s[6:7], -1, 0
	v_lshl_or_b32 v23, v72, 3, v76
	s_waitcnt lgkmcnt(0)
	v_mov_b32_e32 v12, v6
	v_mov_b32_e32 v13, v7
	;; [unrolled: 1-line block ×4, first 2 shown]
	s_mov_b32 s16, 0
	v_or_b32_e32 v20, 32, v23
	v_and_b32_e32 v18, 56, v75
	s_and_b64 vcc, exec, s[6:7]
	global_store_dwordx4 v[14:15], v[10:13], off
	global_store_dwordx4 v[2:3], v[6:9], off
	s_cbranch_vccz .LBB451_15
; %bb.10:
	s_mov_b32 s17, s16
	s_mov_b32 s18, s16
	s_mov_b32 s19, s16
	v_mov_b64_e32 v[6:7], s[16:17]
	v_mov_b64_e32 v[8:9], s[18:19]
	;; [unrolled: 1-line block ×3, first 2 shown]
	v_cmp_gt_i32_e32 vcc, s27, v23
	v_mov_b64_e32 v[4:5], v[8:9]
	s_and_saveexec_b64 s[2:3], vcc
	s_cbranch_execz .LBB451_12
; %bb.11:
	v_lshlrev_b32_e32 v2, 8, v23
	v_mov_b32_e32 v3, 0
	v_lshl_add_u64 v[4:5], s[0:1], 0, v[2:3]
	v_lshlrev_b32_e32 v2, 1, v18
	v_lshl_add_u64 v[10:11], v[4:5], 0, v[2:3]
	global_load_dwordx4 v[6:9], v[10:11], off
	global_load_dwordx4 v[2:5], v[10:11], off offset:128
.LBB451_12:
	s_or_b64 exec, exec, s[2:3]
	s_mov_b32 s17, s16
	s_mov_b32 s18, s16
	;; [unrolled: 1-line block ×3, first 2 shown]
	v_mov_b64_e32 v[14:15], s[16:17]
	v_mov_b64_e32 v[16:17], s[18:19]
	;; [unrolled: 1-line block ×3, first 2 shown]
	v_cmp_gt_i32_e32 vcc, s27, v20
	v_lshlrev_b32_e32 v21, 7, v20
	v_mov_b64_e32 v[12:13], v[16:17]
	s_and_saveexec_b64 s[2:3], vcc
	s_cbranch_execz .LBB451_14
; %bb.13:
	v_lshlrev_b32_e32 v10, 1, v21
	v_mov_b32_e32 v11, 0
	v_lshl_add_u64 v[12:13], s[0:1], 0, v[10:11]
	v_lshlrev_b32_e32 v10, 1, v18
	v_lshl_add_u64 v[24:25], v[12:13], 0, v[10:11]
	global_load_dwordx4 v[14:17], v[24:25], off
	global_load_dwordx4 v[10:13], v[24:25], off offset:128
.LBB451_14:
	s_or_b64 exec, exec, s[2:3]
	v_lshrrev_b32_e32 v24, 3, v18
	v_lshlrev_b32_e32 v25, 3, v23
	v_or_b32_e32 v24, v25, v24
	v_lshlrev_b32_e32 v24, 4, v24
	v_and_b32_e32 v25, 0x78, v25
	v_xor_b32_e32 v24, v24, v25
	s_branch .LBB451_17
.LBB451_15:
                                        ; implicit-def: $vgpr24
                                        ; implicit-def: $vgpr21
                                        ; implicit-def: $vgpr6_vgpr7_vgpr8_vgpr9
                                        ; implicit-def: $vgpr2_vgpr3_vgpr4_vgpr5
                                        ; implicit-def: $vgpr14_vgpr15_vgpr16_vgpr17
                                        ; implicit-def: $vgpr10_vgpr11_vgpr12_vgpr13
	s_cbranch_execz .LBB451_17
; %bb.16:
	s_waitcnt vmcnt(0)
	v_lshlrev_b32_e32 v2, 1, v18
	v_lshl_or_b32 v21, v23, 8, v2
	s_and_b32 s1, s1, 0xffff
	s_mov_b32 s3, 0x20000
	s_movk_i32 s2, 0x4000
	v_lshl_or_b32 v24, v20, 8, v2
	s_movk_i32 s12, 0x80
	buffer_load_dwordx4 v[6:9], v21, s[0:3], 0 offen
	buffer_load_dwordx4 v[2:5], v21, s[0:3], s12 offen
	;; [unrolled: 1-line block ×4, first 2 shown]
	v_lshrrev_b32_e32 v21, 3, v18
	v_lshlrev_b32_e32 v24, 3, v23
	v_or_b32_e32 v21, v24, v21
	v_lshlrev_b32_e32 v21, 4, v21
	v_and_b32_e32 v24, 0x78, v24
	v_xor_b32_e32 v24, v21, v24
	v_lshlrev_b32_e32 v21, 7, v20
.LBB451_17:
	s_lshl_b64 s[0:1], s[24:25], 8
	s_add_u32 s4, s4, s0
	s_movk_i32 s0, 0x1000
	v_and_or_b32 v20, v21, s0, v24
	s_waitcnt vmcnt(1)
	ds_write_b64 v24, v[6:7] offset:24576
	v_xor_b32_e32 v6, 8, v24
	ds_write_b64 v6, v[8:9] offset:24576
	s_waitcnt vmcnt(0)
	ds_write_b64 v24, v[2:3] offset:32768
	ds_write_b64 v6, v[4:5] offset:32768
	;; [unrolled: 1-line block ×3, first 2 shown]
	v_xor_b32_e32 v2, 8, v20
	ds_write_b64 v2, v[16:17] offset:24576
	ds_write_b64 v20, v[10:11] offset:32768
	;; [unrolled: 1-line block ×3, first 2 shown]
	v_or_b32_e32 v2, v1, v74
	v_lshlrev_b32_e32 v3, 11, v72
	v_lshlrev_b32_e32 v2, 3, v2
	v_and_b32_e32 v6, 0x1000, v3
	v_lshrrev_b32_e32 v3, 5, v61
	s_movk_i32 s3, 0xf8
	v_and_or_b32 v3, v2, s3, v3
	v_lshlrev_b32_e32 v7, 4, v3
	v_and_b32_e32 v8, 0x78, v2
	v_or_b32_e32 v10, 32, v7
	v_lshrrev_b32_e32 v3, 1, v61
	v_xor_b32_e32 v10, v10, v8
	v_xor_b32_e32 v2, v7, v8
	v_and_b32_e32 v9, 8, v3
	v_or_b32_e32 v10, v10, v6
	v_or_b32_e32 v2, v2, v6
	v_xor_b32_e32 v26, v10, v9
	v_or_b32_e32 v10, 64, v7
	v_xor_b32_e32 v25, v2, v9
	v_xor_b32_e32 v10, v10, v8
	s_waitcnt lgkmcnt(0)
	s_barrier
	v_or_b32_e32 v12, v10, v6
	ds_read_b64 v[10:11], v25 offset:24576
	v_lshl_or_b32 v20, v73, 7, v22
	v_lshlrev_b32_e32 v24, 1, v20
	v_add_u32_e32 v2, 0xa000, v24
	ds_read2_b64 v[2:5], v2 offset1:16
	v_or_b32_e32 v7, 0x60, v7
	v_xor_b32_e32 v7, v7, v8
	s_waitcnt lgkmcnt(0)
	v_mfma_f32_16x16x16_bf16 a[0:3], v[10:11], v[2:3], 0
	v_or_b32_e32 v2, 64, v20
	v_or_b32_e32 v6, v7, v6
	v_lshlrev_b32_e32 v29, 1, v2
	v_xor_b32_e32 v27, v12, v9
	v_xor_b32_e32 v28, v6, v9
	ds_read_b64 v[12:13], v26 offset:24576
	ds_read_b64 v[14:15], v27 offset:24576
	;; [unrolled: 1-line block ×3, first 2 shown]
	v_mfma_f32_16x16x16_bf16 a[4:7], v[10:11], v[4:5], 0
	ds_read2st64_b64 v[2:5], v29 offset0:82 offset1:84
	ds_read2st64_b64 v[6:9], v24 offset0:82 offset1:84
	s_addc_u32 s5, s5, s1
	s_add_i32 s1, s45, s33
	s_add_i32 s0, s35, -1
	s_add_i32 s37, s1, s46
	s_add_i32 s1, s47, s44
	;; [unrolled: 1-line block ×3, first 2 shown]
	s_ashr_i32 s1, s0, 31
	s_mul_i32 s2, s0, s31
	s_mul_hi_u32 s3, s0, s30
	s_add_i32 s2, s3, s2
	s_mul_i32 s1, s1, s30
	s_waitcnt lgkmcnt(1)
	v_mfma_f32_16x16x16_bf16 a[4:7], v[12:13], v[2:3], a[4:7]
	s_add_i32 s1, s2, s1
	s_lshl_b64 s[2:3], s[36:37], 2
	s_add_u32 s10, s10, s2
	s_waitcnt lgkmcnt(0)
	v_mfma_f32_16x16x16_bf16 a[0:3], v[12:13], v[6:7], a[0:3]
	s_addc_u32 s11, s11, s3
	s_lshl_b64 s[2:3], s[38:39], 2
	s_mul_i32 s0, s0, s30
	s_add_u32 s10, s10, s2
	ds_read_b64 v[2:3], v24 offset:44032
	v_mfma_f32_16x16x16_bf16 a[4:7], v[14:15], v[4:5], a[4:7]
	ds_read_b64 v[4:5], v29 offset:44032
	s_addc_u32 s11, s11, s3
	s_lshl_b64 s[0:1], s[0:1], 2
	v_mfma_f32_16x16x16_bf16 a[0:3], v[14:15], v[8:9], a[0:3]
	s_add_u32 s0, s10, s0
	s_addc_u32 s1, s11, s1
	s_load_dword s12, s[0:1], 0x0
	s_waitcnt lgkmcnt(0)
	v_mfma_f32_16x16x16_bf16 a[0:3], v[16:17], v[2:3], a[0:3]
	s_and_b64 vcc, exec, s[22:23]
	v_mfma_f32_16x16x16_bf16 a[4:7], v[16:17], v[4:5], a[4:7]
	s_cbranch_vccz .LBB451_28
; %bb.18:
	v_lshlrev_b32_e32 v20, 1, v23
	s_and_b64 vcc, exec, s[6:7]
	s_cbranch_vccz .LBB451_44
; %bb.19:
	v_cmp_gt_i32_e32 vcc, s27, v20
	v_mov_b32_e32 v6, 0
	v_mov_b32_e32 v2, 0
	;; [unrolled: 1-line block ×5, first 2 shown]
	s_and_saveexec_b64 s[0:1], vcc
	s_cbranch_execz .LBB451_21
; %bb.20:
	v_mad_i64_i32 v[2:3], s[2:3], s15, v20, 0
	v_lshl_add_u64 v[2:3], v[2:3], 1, s[4:5]
	v_lshlrev_b32_e32 v4, 1, v18
	v_mov_b32_e32 v5, 0
	v_lshl_add_u64 v[2:3], v[2:3], 0, v[4:5]
	global_load_dwordx4 v[2:5], v[2:3], off
.LBB451_21:
	s_or_b64 exec, exec, s[0:1]
	v_or_b32_e32 v21, 1, v20
	v_cmp_gt_i32_e64 s[0:1], s27, v21
	v_mov_b32_e32 v7, 0
	v_mov_b32_e32 v8, 0
	;; [unrolled: 1-line block ×3, first 2 shown]
	s_and_saveexec_b64 s[2:3], s[0:1]
	s_cbranch_execz .LBB451_23
; %bb.22:
	v_mad_i64_i32 v[6:7], s[16:17], s15, v21, 0
	v_lshl_add_u64 v[6:7], v[6:7], 1, s[4:5]
	v_lshlrev_b32_e32 v8, 1, v18
	v_mov_b32_e32 v9, 0
	v_lshl_add_u64 v[6:7], v[6:7], 0, v[8:9]
	global_load_dwordx4 v[6:9], v[6:7], off
.LBB451_23:
	s_or_b64 exec, exec, s[2:3]
	v_mov_b32_e32 v17, 0
	v_mov_b32_e32 v10, 0
	;; [unrolled: 1-line block ×5, first 2 shown]
	s_and_saveexec_b64 s[2:3], vcc
	s_cbranch_execz .LBB451_25
; %bb.24:
	v_mad_i64_i32 v[10:11], s[16:17], s15, v20, 0
	v_lshl_add_u64 v[10:11], v[10:11], 1, s[4:5]
	v_lshlrev_b32_e32 v12, 1, v18
	v_mov_b32_e32 v13, 0
	v_lshl_add_u64 v[10:11], v[10:11], 0, v[12:13]
	global_load_dwordx4 v[10:13], v[10:11], off offset:128
.LBB451_25:
	s_or_b64 exec, exec, s[2:3]
	v_mov_b32_e32 v16, 0
	v_mov_b32_e32 v15, 0
	;; [unrolled: 1-line block ×3, first 2 shown]
	s_and_saveexec_b64 s[2:3], s[0:1]
	s_cbranch_execz .LBB451_27
; %bb.26:
	v_mad_i64_i32 v[14:15], s[0:1], s15, v21, 0
	v_lshl_add_u64 v[14:15], v[14:15], 1, s[4:5]
	v_lshlrev_b32_e32 v16, 1, v18
	v_mov_b32_e32 v17, 0
	v_lshl_add_u64 v[14:15], v[14:15], 0, v[16:17]
	global_load_dwordx4 v[14:17], v[14:15], off offset:128
.LBB451_27:
	s_or_b64 exec, exec, s[2:3]
	s_branch .LBB451_46
.LBB451_28:
                                        ; implicit-def: $vgpr5
                                        ; implicit-def: $vgpr9
                                        ; implicit-def: $vgpr13
                                        ; implicit-def: $vgpr17
	v_lshrrev_b32_e32 v30, 2, v61
	s_branch .LBB451_47
.LBB451_29:
                                        ; implicit-def: $vgpr20
                                        ; implicit-def: $vgpr21
                                        ; implicit-def: $sgpr22
	s_load_dwordx2 s[16:17], s[0:1], 0x20
	v_lshl_or_b32 v18, v79, 9, v18
.LBB451_30:
	v_or_b32_e32 v20, 0x100, v18
	s_movk_i32 s22, 0x4000
	v_mov_b32_e32 v21, v18
.LBB451_31:
	s_mul_i32 s0, s34, s14
	s_ashr_i32 s58, s53, 31
	s_mul_hi_i32 s1, s34, s14
	s_add_u32 s0, s0, s53
	s_addc_u32 s1, s1, s58
	s_lshl_b64 s[0:1], s[0:1], 8
	s_add_u32 s20, s4, s0
	s_addc_u32 s0, s5, s1
	s_and_b32 s21, s0, 0xffff
	s_movk_i32 s59, 0x80
	buffer_load_dwordx4 v[22:25], v21, s[20:23], 0 offen
	buffer_load_dwordx4 v[26:29], v21, s[20:23], s59 offen
	;; [unrolled: 1-line block ×4, first 2 shown]
	v_and_b32_e32 v20, 6, v0
	v_lshlrev_b32_e32 v39, 6, v77
	v_or_b32_e32 v41, 16, v74
	v_xor_b32_e32 v42, v79, v20
	v_and_b32_e32 v21, 1, v0
	v_lshl_or_b32 v45, v74, 3, v39
	v_lshl_or_b32 v39, v41, 3, v39
	v_lshlrev_b32_e32 v42, 2, v42
	v_lshlrev_b32_e32 v38, 2, v74
	v_or_b32_e32 v87, 0xa000, v39
	v_or_b32_e32 v88, 0xb000, v39
	v_xor_b32_e32 v39, 0x440, v42
	v_cmp_eq_u32_e32 vcc, 0, v21
	s_add_i32 s0, s45, s33
	v_xor_b32_e32 v43, v77, v38
	v_xor_b32_e32 v44, v78, v38
	v_cndmask_b32_e32 v21, v39, v42, vcc
	s_add_i32 s1, s47, s44
	s_add_i32 s37, s0, s46
	s_mov_b32 s60, 0x1000504
	v_lshlrev_b32_e32 v40, 8, v74
	v_lshlrev_b32_e32 v41, 8, v41
	;; [unrolled: 1-line block ×4, first 2 shown]
	v_lshl_or_b32 v20, v20, 10, v21
	s_add_i32 s39, s1, s48
	s_lshl_b64 s[0:1], s[36:37], 2
	s_mov_b32 s61, 0x3020706
	v_or_b32_e32 v85, 0xa000, v45
	v_or_b32_e32 v86, 0xb000, v45
	;; [unrolled: 1-line block ×5, first 2 shown]
	v_xor_b32_e32 v21, 8, v20
	v_xor_b32_e32 v40, 24, v20
	;; [unrolled: 1-line block ×4, first 2 shown]
	s_add_u32 s20, s10, s0
	v_or_b32_e32 v91, v41, v43
	v_xor_b32_e32 v39, 16, v20
	v_xor_b32_e32 v41, 32, v20
	;; [unrolled: 1-line block ×3, first 2 shown]
	v_add_u32_e32 v21, 0x80, v21
	v_add_u32_e32 v40, 0x80, v40
	;; [unrolled: 1-line block ×4, first 2 shown]
	s_addc_u32 s21, s11, s1
	s_lshl_b64 s[0:1], s[38:39], 2
	s_add_u32 s42, s20, s0
	s_movk_i32 s0, 0xf8
	s_addc_u32 s43, s21, s1
	s_ashr_i32 s41, s40, 31
	s_lshl_b32 s26, s15, 7
	s_movk_i32 s20, 0x100
	v_mov_b32_e32 v65, 0
	v_lshlrev_b32_e32 v64, 4, v74
	v_cmp_gt_u32_e32 vcc, s20, v0
	v_ashrrev_i32_e32 v63, 31, v62
	s_mov_b32 s62, 0
	s_movk_i32 s37, 0x1000
	s_movk_i32 s22, 0x4000
	s_mov_b32 s39, 0x7060302
	v_mov_b32_e32 v115, 0x3fb8aa3b
	s_waitcnt vmcnt(1)
	v_perm_b32 v45, v22, v30, s60
	s_waitcnt vmcnt(0)
	v_perm_b32 v46, v26, v34, s60
	v_perm_b32 v22, v22, v30, s61
	;; [unrolled: 1-line block ×15, first 2 shown]
	ds_write2st64_b32 v20, v45, v46 offset0:32 offset1:64
	ds_write2st64_b32 v21, v22, v26 offset0:32 offset1:64
	;; [unrolled: 1-line block ×8, first 2 shown]
	v_or_b32_e32 v20, v1, v74
	v_lshlrev_b32_e32 v20, 3, v20
	v_lshrrev_b32_e32 v23, 5, v61
	v_and_or_b32 v23, v20, s0, v23
	v_lshlrev_b32_e32 v23, 4, v23
	v_lshlrev_b32_e32 v25, 11, v72
	v_and_b32_e32 v20, 0x78, v20
	v_or_b32_e32 v28, 32, v23
	v_and_b32_e32 v22, 0x1000, v25
	v_lshrrev_b32_e32 v26, 1, v61
	v_xor_b32_e32 v28, v28, v20
	v_xor_b32_e32 v24, v23, v20
	v_and_b32_e32 v26, 8, v26
	v_or_b32_e32 v28, v28, v22
	v_or_b32_e32 v24, v24, v22
	v_lshlrev_b32_e32 v27, 7, v73
	v_xor_b32_e32 v95, v28, v26
	v_or_b32_e32 v28, 64, v23
	v_or_b32_e32 v23, 0x60, v23
	v_xor_b32_e32 v93, v24, v26
	v_or_b32_e32 v24, v27, v38
	v_xor_b32_e32 v28, v28, v20
	v_xor_b32_e32 v20, v23, v20
	s_lshl_b64 s[0:1], s[40:41], 8
	v_lshlrev_b32_e32 v24, 1, v24
	v_or_b32_e32 v28, v28, v22
	v_or_b32_e32 v20, v20, v22
	s_add_u32 s0, s18, s0
	v_lshlrev_b32_e32 v22, 1, v74
	v_or_b32_e32 v94, 0xa000, v24
	v_or_b32_e32 v96, 0xa080, v24
	;; [unrolled: 1-line block ×4, first 2 shown]
	v_lshrrev_b32_e32 v24, 4, v0
	s_addc_u32 s1, s19, s1
	v_or_b32_e32 v23, 1, v22
	v_mov_b32_e32 v33, 0x4000
	v_mov_b32_e32 v34, 0x2000
	v_lshrrev_b32_e32 v35, 1, v0
	v_xor_b32_e32 v97, v28, v26
	v_xor_b32_e32 v98, v20, v26
	;; [unrolled: 1-line block ×4, first 2 shown]
	v_lshl_add_u64 v[22:23], s[0:1], 0, v[64:65]
	v_lshlrev_b32_e32 v64, 8, v24
	v_cndmask_b32_e32 v33, v33, v34, vcc
	v_lshlrev_b32_e32 v34, 3, v72
	v_and_b32_e32 v35, 24, v35
	v_lshl_or_b32 v101, v26, 3, v64
	v_and_b32_e32 v26, 8, v0
	v_xor_b32_e32 v36, v34, v35
	v_or_b32_e32 v37, 0x440, v36
	v_cmp_eq_u32_e32 vcc, 0, v26
	v_and_b32_e32 v24, 7, v0
	v_lshl_or_b32 v102, v30, 3, v64
	v_cndmask_b32_e32 v26, v37, v36, vcc
	v_lshlrev_b32_e32 v30, 3, v24
	v_lshlrev_b32_e32 v32, 2, v0
	v_or_b32_e32 v26, v26, v25
	v_xor_b32_e32 v36, v26, v30
	v_and_or_b32 v26, v32, 60, v27
	v_mov_b32_e32 v27, 0xb000
	v_lshl_or_b32 v103, v26, 1, v27
	v_or_b32_e32 v26, 32, v35
	v_xor_b32_e32 v26, v34, v26
	v_or_b32_e32 v27, 0x440, v26
	v_cndmask_b32_e32 v26, v27, v26, vcc
	v_or_b32_e32 v26, v26, v25
	v_xor_b32_e32 v27, v26, v30
	v_or_b32_e32 v26, 64, v35
	v_xor_b32_e32 v26, v34, v26
	v_xor_b32_e32 v38, 0x440, v26
	v_cndmask_b32_e32 v26, v38, v26, vcc
	v_or_b32_e32 v26, v26, v25
	v_xor_b32_e32 v38, v26, v30
	v_or_b32_e32 v26, 0x60, v35
	v_xor_b32_e32 v26, v34, v26
	v_xor_b32_e32 v34, 0x440, v26
	v_cndmask_b32_e32 v26, v34, v26, vcc
	v_lshrrev_b32_e32 v21, 2, v61
	v_or_b32_e32 v25, v26, v25
	v_and_b32_e32 v21, 12, v21
	v_lshlrev_b32_e32 v28, 1, v19
	v_add_lshl_u32 v19, v19, s15, 1
	v_or_b32_e32 v29, 0x100, v18
	v_xor_b32_e32 v25, v25, v30
	v_lshlrev_b32_e32 v20, 7, v77
	v_lshlrev_b32_e32 v31, 7, v24
	v_or_b32_e32 v24, v21, v1
	v_add_u32_e32 v37, v33, v36
	v_add_u32_e32 v32, v33, v27
	;; [unrolled: 1-line block ×4, first 2 shown]
	v_or3_b32 v26, v1, v21, 64
	v_add_u32_e32 v21, 0x4000, v36
	v_add_u32_e32 v27, 0x4000, v27
	;; [unrolled: 1-line block ×4, first 2 shown]
	v_cndmask_b32_e64 v104, v28, v18, s[2:3]
	v_cndmask_b32_e64 v105, v19, v29, s[2:3]
	v_lshlrev_b64 v[18:19], 1, v[62:63]
	v_lshl_add_u64 v[66:67], s[8:9], 0, v[18:19]
	v_lshl_add_u64 v[68:69], s[28:29], 0, v[18:19]
	;; [unrolled: 1-line block ×3, first 2 shown]
	v_lshlrev_b32_e32 v64, 1, v20
	v_lshlrev_b32_e32 v63, 2, v24
	v_add_u32_e32 v106, v37, v31
	v_add_u32_e32 v107, v32, v31
	;; [unrolled: 1-line block ×4, first 2 shown]
	v_lshlrev_b32_e32 v110, 2, v26
	v_add_u32_e32 v111, v21, v31
	v_add_u32_e32 v112, v27, v31
	;; [unrolled: 1-line block ×4, first 2 shown]
	s_waitcnt lgkmcnt(0)
	s_barrier
.LBB451_32:                             ; =>This Inner Loop Header: Depth=1
	s_add_i32 s41, s62, 1
	s_cmp_lt_i32 s41, s50
	s_mov_b64 s[24:25], 0
	s_cselect_b64 s[2:3], -1, 0
	s_cmp_ge_i32 s41, s50
	s_mov_b64 s[20:21], 0
	s_cbranch_scc1 .LBB451_34
; %bb.33:                               ;   in Loop: Header=BB451_32 Depth=1
	s_add_i32 s0, s57, 64
	s_ashr_i32 s1, s0, 31
	s_add_u32 s0, s56, s0
	s_addc_u32 s1, s55, s1
	s_lshl_b64 s[0:1], s[0:1], 8
	s_add_u32 s20, s6, s0
	s_addc_u32 s21, s7, s1
.LBB451_34:                             ;   in Loop: Header=BB451_32 Depth=1
	v_cndmask_b32_e64 v18, 0, 1, s[2:3]
	v_cmp_ne_u32_e64 s[0:1], 1, v18
	s_andn2_b64 vcc, exec, s[2:3]
	s_cbranch_vccnz .LBB451_36
; %bb.35:                               ;   in Loop: Header=BB451_32 Depth=1
	s_add_i32 s2, s57, 64
	s_mul_hi_i32 s3, s2, s14
	s_mul_i32 s2, s2, s14
	s_add_u32 s2, s2, s53
	s_addc_u32 s3, s3, s58
	s_lshl_b64 s[2:3], s[2:3], 8
	s_add_u32 s24, s4, s2
	s_addc_u32 s25, s5, s3
.LBB451_36:                             ;   in Loop: Header=BB451_32 Depth=1
	v_perm_b32 v19, v17, v16, s39
	v_perm_b32 v18, v15, v14, s39
	;; [unrolled: 1-line block ×4, first 2 shown]
	ds_write_b64 v85, v[18:19]
	ds_write_b64 v86, v[20:21]
	;; [unrolled: 1-line block ×4, first 2 shown]
	v_perm_b32 v19, v9, v8, s39
	v_perm_b32 v18, v7, v6, s39
	;; [unrolled: 1-line block ×4, first 2 shown]
	ds_write_b64 v87, v[18:19]
	ds_write_b64 v88, v[20:21]
	;; [unrolled: 1-line block ×4, first 2 shown]
	s_waitcnt lgkmcnt(0)
	s_barrier
	ds_read_b64 v[22:23], v93 offset:24576
	ds_read2_b64 v[18:21], v94 offset1:16
	ds_read_b64 v[26:27], v96 offset:3072
	ds_read_b64 v[28:29], v94 offset:3072
	;; [unrolled: 1-line block ×3, first 2 shown]
	s_waitcnt lgkmcnt(3)
	v_mfma_f32_16x16x16_bf16 a[0:3], v[22:23], v[18:19], 0
	s_add_i32 s63, s57, 63
	s_ashr_i32 s2, s63, 31
	s_mul_i32 s3, s63, s31
	v_mfma_f32_16x16x16_bf16 a[4:7], v[22:23], v[20:21], 0
	ds_read2st64_b64 v[18:21], v94 offset0:2 offset1:4
	s_mul_hi_u32 s27, s63, s30
	s_add_i32 s3, s27, s3
	s_waitcnt lgkmcnt(0)
	v_mfma_f32_16x16x16_bf16 a[0:3], v[30:31], v[18:19], a[0:3]
	ds_read2st64_b64 v[22:25], v96 offset0:2 offset1:4
	ds_read_b64 v[18:19], v97 offset:24576
	s_mul_i32 s2, s2, s30
	s_add_i32 s3, s3, s2
	s_waitcnt lgkmcnt(1)
	v_mfma_f32_16x16x16_bf16 a[4:7], v[30:31], v[22:23], a[4:7]
	ds_read_b64 v[22:23], v98 offset:24576
	s_mul_i32 s2, s63, s30
	s_lshl_b64 s[2:3], s[2:3], 2
	s_waitcnt lgkmcnt(1)
	v_mfma_f32_16x16x16_bf16 a[0:3], v[18:19], v[20:21], a[0:3]
	s_add_u32 s2, s42, s2
	s_addc_u32 s3, s43, s3
	s_and_b64 vcc, exec, s[0:1]
	v_mfma_f32_16x16x16_bf16 a[8:11], v[18:19], v[24:25], a[4:7]
	v_mov_b32_e32 v118, 0
	v_mov_b32_e32 v117, 0
	;; [unrolled: 1-line block ×3, first 2 shown]
	s_waitcnt lgkmcnt(0)
	v_mfma_f32_16x16x16_bf16 a[4:7], v[22:23], v[28:29], a[0:3]
	v_mov_b32_e32 v18, 0
	v_mov_b32_e32 v19, 0
	;; [unrolled: 1-line block ×3, first 2 shown]
	v_mfma_f32_16x16x16_bf16 a[0:3], v[22:23], v[26:27], a[8:11]
	v_mov_b32_e32 v21, 0
	v_mov_b32_e32 v22, 0
	;; [unrolled: 1-line block ×13, first 2 shown]
	s_cbranch_vccnz .LBB451_38
; %bb.37:                               ;   in Loop: Header=BB451_32 Depth=1
	s_and_b32 s21, s21, 0xffff
	buffer_load_dwordx4 v[30:33], v81, s[20:23], 0 offen
	buffer_load_dwordx4 v[26:29], v81, s[20:23], s59 offen
	;; [unrolled: 1-line block ×4, first 2 shown]
	v_mov_b32_e32 v117, v83
	v_mov_b32_e32 v116, v84
.LBB451_38:                             ;   in Loop: Header=BB451_32 Depth=1
	ds_read_b64 v[42:43], v93 offset:32768
	ds_read2_b64 v[34:37], v99 offset1:16
	ds_read_b64 v[44:45], v95 offset:32768
	ds_read_b64 v[46:47], v97 offset:32768
	;; [unrolled: 1-line block ×3, first 2 shown]
	v_add_u32_e32 v50, s57, v77
	s_waitcnt lgkmcnt(3)
	v_mfma_f32_16x16x16_bf16 a[4:7], v[42:43], v[34:35], a[4:7]
	v_ashrrev_i32_e32 v34, 31, v50
	ds_read2st64_b64 v[38:41], v99 offset0:2 offset1:4
	v_mfma_f32_16x16x16_bf16 a[0:3], v[42:43], v[36:37], a[0:3]
	v_mul_lo_u32 v36, v34, s30
	v_mul_lo_u32 v37, v50, s31
	v_mad_u64_u32 v[34:35], s[20:21], v50, s30, 0
	v_add3_u32 v35, v35, v37, v36
	v_add_u32_e32 v36, 1, v50
	v_ashrrev_i32_e32 v37, 31, v36
	v_mul_lo_u32 v42, v37, s30
	v_mul_lo_u32 v43, v36, s31
	v_mad_u64_u32 v[36:37], s[20:21], v36, s30, 0
	v_add3_u32 v37, v37, v43, v42
	v_add_u32_e32 v42, 2, v50
	v_ashrrev_i32_e32 v43, 31, v42
	v_mul_lo_u32 v51, v43, s30
	v_mul_lo_u32 v52, v42, s31
	v_mad_u64_u32 v[42:43], s[20:21], v42, s30, 0
	v_add_u32_e32 v50, 3, v50
	v_add3_u32 v43, v43, v52, v51
	v_ashrrev_i32_e32 v51, 31, v50
	v_mul_lo_u32 v52, v51, s30
	v_mul_lo_u32 v53, v50, s31
	v_mad_u64_u32 v[50:51], s[20:21], v50, s30, 0
	s_ashr_i32 s21, s57, 31
	v_add3_u32 v51, v51, v53, v52
	s_add_u32 s20, s56, s57
	v_lshl_add_u64 v[34:35], v[34:35], 2, s[42:43]
	v_lshl_add_u64 v[50:51], v[50:51], 2, s[42:43]
	s_addc_u32 s21, s55, s21
	v_lshl_add_u64 v[36:37], v[36:37], 2, s[42:43]
	v_lshl_add_u64 v[42:43], v[42:43], 2, s[42:43]
	global_load_dword v52, v[34:35], off
	global_load_dword v53, v[36:37], off
	;; [unrolled: 1-line block ×3, first 2 shown]
	s_nop 0
	global_load_dword v50, v[50:51], off
	s_lshl_b64 s[20:21], s[20:21], 8
	v_lshl_add_u64 v[34:35], v[66:67], 0, s[20:21]
	v_lshl_add_u64 v[42:43], v[34:35], 0, v[64:65]
	global_load_ushort v51, v[42:43], off offset:256
	global_load_ushort v55, v[42:43], off
	ds_read2st64_b64 v[34:37], v100 offset0:2 offset1:4
	global_load_ushort v56, v[42:43], off offset:768
	global_load_ushort v57, v[42:43], off offset:512
	;; [unrolled: 1-line block ×6, first 2 shown]
	s_waitcnt lgkmcnt(1)
	v_mfma_f32_16x16x16_bf16 a[4:7], v[44:45], v[38:39], a[4:7]
	s_and_b64 vcc, exec, s[0:1]
	s_waitcnt vmcnt(7)
	v_lshlrev_b32_e32 v43, 16, v51
	s_waitcnt lgkmcnt(0)
	v_mfma_f32_16x16x16_bf16 a[0:3], v[44:45], v[34:35], a[0:3]
	v_mfma_f32_16x16x16_bf16 a[4:7], v[46:47], v[40:41], a[4:7]
	;; [unrolled: 1-line block ×3, first 2 shown]
	ds_read_b64 v[34:35], v99 offset:3072
	ds_read_b64 v[36:37], v100 offset:3072
	s_load_dword s2, s[2:3], 0x0
	s_waitcnt lgkmcnt(0)
	v_sub_f32_e32 v42, s2, v52
	v_mfma_f32_16x16x16_bf16 a[4:7], v[48:49], v[34:35], a[4:7]
	v_sub_f32_e32 v45, s2, v53
	v_sub_f32_e32 v46, s2, v54
	;; [unrolled: 1-line block ×3, first 2 shown]
	v_mul_f32_e32 v44, 0x3fb8aa3b, v42
	v_mul_f32_e32 v45, 0x3fb8aa3b, v45
	;; [unrolled: 1-line block ×4, first 2 shown]
	v_mfma_f32_16x16x16_bf16 a[0:3], v[48:49], v[36:37], a[0:3]
	v_accvgpr_read_b32 v41, a5
	v_exp_f32_e32 v44, v44
	v_exp_f32_e32 v45, v45
	;; [unrolled: 1-line block ×4, first 2 shown]
	v_accvgpr_read_b32 v40, a4
	s_waitcnt vmcnt(6)
	v_lshlrev_b32_e32 v42, 16, v55
	v_lshl_add_u64 v[34:35], v[68:69], 0, s[20:21]
	v_accvgpr_read_b32 v37, a7
	v_accvgpr_read_b32 v36, a6
	v_pk_add_f32 v[40:41], v[42:43], v[40:41] neg_lo:[0,1] neg_hi:[0,1]
	s_waitcnt vmcnt(5)
	v_lshlrev_b32_e32 v43, 16, v56
	s_waitcnt vmcnt(4)
	v_lshlrev_b32_e32 v42, 16, v57
	v_lshl_add_u64 v[34:35], v[34:35], 0, v[64:65]
	v_pk_add_f32 v[36:37], v[42:43], v[36:37] neg_lo:[0,1] neg_hi:[0,1]
	global_store_short_d16_hi v[34:35], v40, off
	global_store_short_d16_hi v[34:35], v41, off offset:256
	global_store_short_d16_hi v[34:35], v36, off offset:512
	global_store_short_d16_hi v[34:35], v37, off offset:768
	v_pk_mul_f32 v[40:41], v[44:45], v[40:41]
	v_pk_mul_f32 v[36:37], v[46:47], v[36:37]
	v_accvgpr_read_b32 v43, a1
	v_perm_b32 v37, v37, v36, s39
	v_perm_b32 v36, v41, v40, s39
	s_waitcnt vmcnt(5)
	v_lshlrev_b32_e32 v41, 16, v60
	s_waitcnt vmcnt(4)
	v_lshlrev_b32_e32 v40, 16, v119
	v_accvgpr_read_b32 v42, a0
	v_accvgpr_read_b32 v39, a3
	;; [unrolled: 1-line block ×3, first 2 shown]
	v_pk_add_f32 v[40:41], v[40:41], v[42:43] neg_lo:[0,1] neg_hi:[0,1]
	v_lshlrev_b32_e32 v43, 16, v58
	v_lshlrev_b32_e32 v42, 16, v59
	v_pk_add_f32 v[38:39], v[42:43], v[38:39] neg_lo:[0,1] neg_hi:[0,1]
	global_store_short_d16_hi v[34:35], v40, off offset:32
	global_store_short_d16_hi v[34:35], v41, off offset:288
	global_store_short_d16_hi v[34:35], v38, off offset:544
	global_store_short_d16_hi v[34:35], v39, off offset:800
	v_pk_mul_f32 v[34:35], v[44:45], v[40:41]
	v_pk_mul_f32 v[38:39], v[46:47], v[38:39]
	v_mov_b32_e32 v119, 0
	v_perm_b32 v39, v39, v38, s39
	v_perm_b32 v38, v35, v34, s39
	ds_write2_b64 v86, v[36:37], v[38:39] offset1:16
	v_mov_b32_e32 v34, 0
	v_mov_b32_e32 v35, 0
	v_mov_b32_e32 v36, 0
	v_mov_b32_e32 v37, 0
	v_mov_b32_e32 v38, 0
	v_mov_b32_e32 v39, 0
	v_mov_b32_e32 v40, 0
	v_mov_b32_e32 v41, 0
	v_mov_b32_e32 v42, 0
	v_mov_b32_e32 v43, 0
	v_mov_b32_e32 v44, 0
	v_mov_b32_e32 v45, 0
	v_mov_b32_e32 v46, 0
	v_mov_b32_e32 v47, 0
	v_mov_b32_e32 v48, 0
	v_mov_b32_e32 v49, 0
	s_cbranch_vccnz .LBB451_40
; %bb.39:                               ;   in Loop: Header=BB451_32 Depth=1
	s_and_b32 s25, s25, 0xffff
	s_mov_b32 s27, s23
	buffer_load_dwordx4 v[46:49], v104, s[24:27], 0 offen
	buffer_load_dwordx4 v[38:41], v104, s[24:27], s59 offen
	;; [unrolled: 1-line block ×4, first 2 shown]
	v_mov_b32_e32 v118, v80
	v_mov_b32_e32 v119, v79
.LBB451_40:                             ;   in Loop: Header=BB451_32 Depth=1
	s_waitcnt lgkmcnt(0)
	s_barrier
	ds_read_b64 v[54:55], v106
	ds_read_b64 v[124:125], v103
	;; [unrolled: 1-line block ×5, first 2 shown]
	ds_read_b64 v[138:139], v100 offset:3072
	ds_read2_b64 v[50:53], v99 offset0:16 offset1:128
	s_waitcnt lgkmcnt(5)
	v_mfma_f32_16x16x16_bf16 a[0:3], v[54:55], v[124:125], 0
	ds_read2st64_b64 v[56:59], v100 offset0:2 offset1:4
	s_add_i32 s3, s54, s62
	s_mul_hi_i32 s21, s3, s13
	s_waitcnt lgkmcnt(1)
	v_mfma_f32_16x16x16_bf16 a[4:7], v[54:55], v[50:51], 0
	ds_read_b64 v[54:55], v111
	s_mul_i32 s3, s3, s13
	s_add_u32 s20, s3, s49
	s_waitcnt lgkmcnt(1)
	v_mfma_f32_16x16x16_bf16 a[4:7], v[126:127], v[56:57], a[4:7]
	s_addc_u32 s21, s21, s51
	s_lshl_b64 s[20:21], s[20:21], 15
	s_mul_i32 s24, s63, s13
	s_mul_hi_i32 s3, s63, s13
	s_add_u32 s24, s24, s49
	v_mfma_f32_16x16x16_bf16 a[8:11], v[128:129], v[58:59], a[4:7]
	s_addc_u32 s25, s3, s51
	ds_read2st64_b64 v[120:123], v99 offset0:4 offset1:6
	s_lshl_b64 s[24:25], s[24:25], 9
	s_waitcnt lgkmcnt(1)
	v_mfma_f32_16x16x16_bf16 a[4:7], v[54:55], v[124:125], 0
	s_add_u32 s24, s16, s24
	s_addc_u32 s25, s17, s25
	v_mfma_f32_16x16x16_bf16 a[0:3], v[126:127], v[52:53], a[0:3]
	ds_read_b64 v[126:127], v112
	ds_read_b64 v[134:135], v113
	;; [unrolled: 1-line block ×3, first 2 shown]
	v_mfma_f32_16x16x16_bf16 a[12:15], v[54:55], v[50:51], 0
	s_waitcnt lgkmcnt(2)
	v_mfma_f32_16x16x16_bf16 a[4:7], v[126:127], v[52:53], a[4:7]
	global_load_dwordx4 v[50:53], v110, s[24:25]
	v_mfma_f32_16x16x16_bf16 a[12:15], v[126:127], v[56:57], a[12:15]
	global_load_dwordx4 v[54:57], v63, s[24:25]
	ds_read2st64_b64 v[124:127], v101 offset1:8
	s_waitcnt lgkmcnt(0)
	v_mov_b32_e32 v132, v124
	v_mfma_f32_16x16x16_bf16 a[0:3], v[128:129], v[120:121], a[0:3]
	ds_read2st64_b64 v[128:131], v102 offset1:8
	v_mov_b32_e32 v133, v125
	v_mfma_f32_16x16x16_bf16 a[16:19], v[134:135], v[120:121], a[4:7]
	v_lshl_add_u64 v[120:121], v[70:71], 0, s[20:21]
	v_mfma_f32_16x16x16_bf16 a[20:23], v[134:135], v[58:59], a[12:15]
	v_add_co_u32_e32 v58, vcc, s37, v120
	s_waitcnt lgkmcnt(0)
	v_mov_b32_e32 v134, v128
	v_mfma_f32_16x16x16_bf16 a[4:7], v[136:137], v[122:123], a[0:3]
	v_mov_b32_e32 v135, v129
	v_mov_b32_e32 v128, v126
	;; [unrolled: 1-line block ×3, first 2 shown]
	v_mfma_f32_16x16x16_bf16 a[8:11], v[136:137], v[138:139], a[8:11]
	v_addc_co_u32_e32 v59, vcc, 0, v121, vcc
	global_store_dwordx4 v[58:59], v[128:131], off
	v_mfma_f32_16x16x16_bf16 a[12:15], v[140:141], v[122:123], a[16:19]
	s_and_b64 vcc, exec, s[0:1]
	global_store_dwordx4 v[120:121], v[132:135], off
	s_waitcnt vmcnt(3)
	v_mov_b32_e32 v60, v53
	v_mfma_f32_16x16x16_bf16 a[0:3], v[140:141], v[138:139], a[20:23]
	v_mov_b32_e32 v59, v52
	v_mov_b32_e32 v58, v51
	s_cbranch_vccnz .LBB451_42
; %bb.41:                               ;   in Loop: Header=BB451_32 Depth=1
	v_lshrrev_b32_e32 v51, 3, v118
	v_and_b32_e32 v51, 6, v51
	v_xor_b32_e32 v52, v51, v119
	v_lshlrev_b32_e32 v52, 2, v52
	v_and_b32_e32 v53, 8, v118
	v_xor_b32_e32 v118, 0x440, v52
	v_cmp_eq_u32_e32 vcc, 0, v53
	v_perm_b32 v53, v38, v34, s60
	s_nop 0
	v_cndmask_b32_e32 v52, v118, v52, vcc
	v_lshl_or_b32 v51, v51, 10, v52
	v_perm_b32 v52, v46, v42, s60
	s_barrier
	ds_write2st64_b32 v51, v52, v53 offset0:32 offset1:64
	v_xor_b32_e32 v52, 8, v51
	v_perm_b32 v42, v46, v42, s61
	v_perm_b32 v34, v38, v34, s61
	v_add_u32_e32 v38, 0x80, v52
	ds_write2st64_b32 v38, v42, v34 offset0:32 offset1:64
	v_xor_b32_e32 v34, 16, v51
	v_perm_b32 v38, v47, v43, s60
	v_perm_b32 v42, v39, v35, s60
	ds_write2st64_b32 v34, v38, v42 offset0:33 offset1:65
	v_xor_b32_e32 v34, 24, v51
	v_perm_b32 v38, v47, v43, s61
	v_perm_b32 v35, v39, v35, s61
	v_add_u32_e32 v34, 0x80, v34
	ds_write2st64_b32 v34, v38, v35 offset0:33 offset1:65
	v_xor_b32_e32 v34, 32, v51
	v_perm_b32 v35, v48, v44, s60
	v_perm_b32 v38, v40, v36, s60
	;; [unrolled: 9-line block ×3, first 2 shown]
	ds_write2st64_b32 v34, v35, v36 offset0:35 offset1:67
	v_xor_b32_e32 v34, 56, v51
	v_perm_b32 v35, v49, v45, s61
	v_perm_b32 v36, v41, v37, s61
	v_add_u32_e32 v34, 0x80, v34
	ds_write2st64_b32 v34, v35, v36 offset0:35 offset1:67
	ds_write_b64 v117, v[30:31] offset:24576
	v_xor_b32_e32 v30, 8, v117
	ds_write_b64 v30, v[32:33] offset:24576
	ds_write_b64 v117, v[26:27] offset:32768
	ds_write_b64 v30, v[28:29] offset:32768
	ds_write_b64 v116, v[22:23] offset:24576
	v_xor_b32_e32 v22, 8, v116
	ds_write_b64 v22, v[24:25] offset:24576
	ds_write_b64 v116, v[18:19] offset:32768
	;; [unrolled: 1-line block ×3, first 2 shown]
.LBB451_42:                             ;   in Loop: Header=BB451_32 Depth=1
	v_mul_f32_e32 v22, s2, v115
	v_exp_f32_e32 v34, v22
	s_waitcnt vmcnt(2)
	v_mul_f32_e32 v22, 0x3fb8aa3b, v54
	v_exp_f32_e32 v36, v22
	v_mul_f32_e32 v22, 0x3fb8aa3b, v55
	v_exp_f32_e32 v37, v22
	;; [unrolled: 2-line block ×4, first 2 shown]
	v_accvgpr_read_b32 v29, a7
	v_accvgpr_read_b32 v27, a5
	;; [unrolled: 1-line block ×4, first 2 shown]
	v_pk_mul_f32 v[36:37], v[34:35], v[36:37] op_sel_hi:[0,1]
	v_accvgpr_read_b32 v20, a10
	v_pk_fma_f32 v[14:15], v[14:15], v[36:37], v[26:27]
	v_pk_mul_f32 v[26:27], v[34:35], v[38:39] op_sel_hi:[0,1]
	v_accvgpr_read_b32 v28, a6
	v_accvgpr_read_b32 v19, a9
	v_accvgpr_read_b32 v18, a8
	v_fma_f32 v8, v8, v26, v20
	v_mul_f32_e32 v20, 0x3fb8aa3b, v59
	v_pk_fma_f32 v[16:17], v[16:17], v[26:27], v[28:29]
	v_fma_f32 v6, v6, v36, v18
	v_fma_f32 v7, v7, v37, v19
	v_mul_f32_e32 v18, 0x3fb8aa3b, v50
	v_mul_f32_e32 v19, 0x3fb8aa3b, v58
	v_exp_f32_e32 v28, v20
	v_mul_f32_e32 v20, 0x3fb8aa3b, v60
	v_exp_f32_e32 v18, v18
	v_exp_f32_e32 v19, v19
	;; [unrolled: 1-line block ×3, first 2 shown]
	v_accvgpr_read_b32 v33, a15
	v_accvgpr_read_b32 v25, a3
	;; [unrolled: 1-line block ×8, first 2 shown]
	v_fmac_f32_e32 v21, v9, v27
	v_pk_mul_f32 v[18:19], v[34:35], v[18:19] op_sel_hi:[0,1]
	v_pk_mul_f32 v[26:27], v[34:35], v[28:29] op_sel_hi:[0,1]
	s_add_i32 s57, s57, 64
	v_pk_fma_f32 v[10:11], v[10:11], v[18:19], v[30:31]
	v_pk_fma_f32 v[12:13], v[12:13], v[26:27], v[32:33]
	v_fma_f32 v2, v2, v18, v22
	v_fma_f32 v3, v3, v19, v23
	;; [unrolled: 1-line block ×3, first 2 shown]
	s_cmp_eq_u32 s50, s41
	v_fmac_f32_e32 v25, v5, v27
	s_cbranch_scc1 .LBB451_4
; %bb.43:                               ;   in Loop: Header=BB451_32 Depth=1
	s_mov_b32 s62, s41
	v_mov_b32_e32 v9, v21
	v_mov_b32_e32 v5, v25
	s_branch .LBB451_32
.LBB451_44:
                                        ; implicit-def: $vgpr5
                                        ; implicit-def: $vgpr9
                                        ; implicit-def: $vgpr13
                                        ; implicit-def: $vgpr17
	s_cbranch_execz .LBB451_46
; %bb.45:
	s_waitcnt vmcnt(0)
	v_mad_u64_u32 v[2:3], s[0:1], v20, s15, v[18:19]
	v_lshlrev_b32_e32 v20, 1, v2
	s_lshl_b32 s2, s15, 7
	s_and_b32 s1, s5, 0xffff
	s_mov_b32 s3, 0x20000
	s_mov_b32 s0, s4
	v_add_lshl_u32 v21, v2, s15, 1
	s_movk_i32 s13, 0x80
	buffer_load_dwordx4 v[2:5], v20, s[0:3], 0 offen
	buffer_load_dwordx4 v[10:13], v20, s[0:3], s13 offen
	;; [unrolled: 1-line block ×4, first 2 shown]
.LBB451_46:
	v_lshrrev_b32_e32 v30, 2, v61
	s_cbranch_execnz .LBB451_59
.LBB451_47:
	s_and_b64 vcc, exec, s[6:7]
	s_cbranch_vccz .LBB451_57
; %bb.48:
	s_waitcnt vmcnt(0)
	v_lshlrev_b32_e32 v7, 1, v23
	v_cmp_gt_i32_e32 vcc, s27, v7
	v_mov_b32_e32 v6, 0
	v_lshlrev_b32_e32 v14, 9, v23
	v_mov_b32_e32 v2, 0
	v_mov_b32_e32 v3, 0
	;; [unrolled: 1-line block ×4, first 2 shown]
	s_and_saveexec_b64 s[0:1], vcc
	s_cbranch_execz .LBB451_50
; %bb.49:
	v_mov_b32_e32 v15, 0
	v_lshl_add_u64 v[2:3], s[4:5], 0, v[14:15]
	v_lshlrev_b32_e32 v4, 1, v18
	v_mov_b32_e32 v5, v15
	v_lshl_add_u64 v[2:3], v[2:3], 0, v[4:5]
	global_load_dwordx4 v[2:5], v[2:3], off
.LBB451_50:
	s_or_b64 exec, exec, s[0:1]
	v_or_b32_e32 v7, 1, v7
	v_cmp_gt_i32_e64 s[0:1], s27, v7
	v_lshlrev_b32_e32 v20, 8, v7
	v_mov_b32_e32 v7, 0
	v_mov_b32_e32 v8, 0
	;; [unrolled: 1-line block ×3, first 2 shown]
	s_and_saveexec_b64 s[2:3], s[0:1]
	s_cbranch_execz .LBB451_52
; %bb.51:
	v_mov_b32_e32 v21, 0
	v_lshl_add_u64 v[6:7], s[4:5], 0, v[20:21]
	v_lshlrev_b32_e32 v8, 1, v18
	v_mov_b32_e32 v9, v21
	v_lshl_add_u64 v[6:7], v[6:7], 0, v[8:9]
	global_load_dwordx4 v[6:9], v[6:7], off
.LBB451_52:
	s_or_b64 exec, exec, s[2:3]
	v_mov_b32_e32 v17, 0
	v_mov_b32_e32 v10, 0
	;; [unrolled: 1-line block ×5, first 2 shown]
	s_and_saveexec_b64 s[2:3], vcc
	s_cbranch_execz .LBB451_54
; %bb.53:
	v_mov_b32_e32 v15, 0
	v_lshl_add_u64 v[10:11], s[4:5], 0, v[14:15]
	v_lshlrev_b32_e32 v14, 1, v18
	v_lshl_add_u64 v[10:11], v[10:11], 0, v[14:15]
	global_load_dwordx4 v[10:13], v[10:11], off offset:128
.LBB451_54:
	s_or_b64 exec, exec, s[2:3]
	v_mov_b32_e32 v16, 0
	v_mov_b32_e32 v15, 0
	;; [unrolled: 1-line block ×3, first 2 shown]
	s_and_saveexec_b64 s[2:3], s[0:1]
	s_cbranch_execz .LBB451_56
; %bb.55:
	v_mov_b32_e32 v21, 0
	v_lshl_add_u64 v[14:15], s[4:5], 0, v[20:21]
	v_lshlrev_b32_e32 v20, 1, v18
	v_lshl_add_u64 v[14:15], v[14:15], 0, v[20:21]
	global_load_dwordx4 v[14:17], v[14:15], off offset:128
.LBB451_56:
	s_or_b64 exec, exec, s[2:3]
	s_branch .LBB451_59
.LBB451_57:
                                        ; implicit-def: $vgpr5
                                        ; implicit-def: $vgpr9
                                        ; implicit-def: $vgpr13
                                        ; implicit-def: $vgpr17
	s_cbranch_execz .LBB451_59
; %bb.58:
	s_waitcnt vmcnt(0)
	v_lshlrev_b32_e32 v2, 1, v18
	v_lshl_or_b32 v18, v23, 9, v2
	s_and_b32 s5, s5, 0xffff
	s_mov_b32 s7, 0x20000
	s_movk_i32 s6, 0x4000
	s_movk_i32 s0, 0x80
	buffer_load_dwordx4 v[2:5], v18, s[4:7], 0 offen
	buffer_load_dwordx4 v[6:9], v18, s[4:7], 0 offen offset:256
	buffer_load_dwordx4 v[10:13], v18, s[4:7], s0 offen
	buffer_load_dwordx4 v[14:17], v18, s[4:7], s0 offen offset:256
.LBB451_59:
	ds_read_b64 v[20:21], v25 offset:32768
	v_add_u32_e32 v18, 0xb000, v24
	ds_read2_b64 v[32:35], v18 offset1:16
	ds_read_b64 v[40:41], v26 offset:32768
	ds_read_b64 v[26:27], v27 offset:32768
	;; [unrolled: 1-line block ×3, first 2 shown]
	v_and_b32_e32 v18, 6, v0
	v_xor_b32_e32 v23, v23, v18
	v_lshlrev_b32_e32 v23, 2, v23
	v_and_b32_e32 v0, 1, v0
	v_xor_b32_e32 v28, 0x440, v23
	v_cmp_eq_u32_e32 vcc, 0, v0
	s_waitcnt lgkmcnt(3)
	v_mfma_f32_16x16x16_bf16 a[0:3], v[20:21], v[32:33], a[0:3]
	s_mov_b32 s0, 0x1000504
	v_cndmask_b32_e32 v0, v28, v23, vcc
	v_lshl_or_b32 v0, v18, 10, v0
	v_mfma_f32_16x16x16_bf16 a[4:7], v[20:21], v[34:35], a[4:7]
	ds_read2st64_b64 v[32:35], v24 offset0:90 offset1:92
	ds_read2st64_b64 v[36:39], v29 offset0:90 offset1:92
	ds_read_b64 v[20:21], v24 offset:48128
	ds_read_b64 v[24:25], v29 offset:48128
	s_waitcnt vmcnt(0)
	v_perm_b32 v18, v2, v6, s0
	s_waitcnt lgkmcnt(3)
	v_mfma_f32_16x16x16_bf16 a[0:3], v[40:41], v[32:33], a[0:3]
	s_mov_b32 s1, 0x3020706
	v_perm_b32 v2, v2, v6, s1
	v_perm_b32 v6, v10, v14, s1
	s_waitcnt lgkmcnt(2)
	v_mfma_f32_16x16x16_bf16 a[4:7], v[40:41], v[36:37], a[4:7]
	v_mfma_f32_16x16x16_bf16 a[0:3], v[26:27], v[34:35], a[0:3]
	;; [unrolled: 1-line block ×3, first 2 shown]
	s_waitcnt lgkmcnt(1)
	v_mfma_f32_16x16x16_bf16 a[4:7], v[42:43], v[20:21], a[0:3]
	v_perm_b32 v20, v10, v14, s0
	ds_write2st64_b32 v0, v18, v20 offset0:32 offset1:64
	v_xor_b32_e32 v18, 8, v0
	v_add_u32_e32 v10, 0x80, v18
	ds_write2st64_b32 v10, v2, v6 offset0:32 offset1:64
	v_xor_b32_e32 v2, 16, v0
	v_perm_b32 v6, v3, v7, s0
	v_perm_b32 v10, v11, v15, s0
	ds_write2st64_b32 v2, v6, v10 offset0:33 offset1:65
	v_xor_b32_e32 v2, 24, v0
	v_perm_b32 v3, v3, v7, s1
	v_perm_b32 v6, v11, v15, s1
	v_add_u32_e32 v2, 0x80, v2
	ds_write2st64_b32 v2, v3, v6 offset0:33 offset1:65
	v_xor_b32_e32 v2, 32, v0
	v_perm_b32 v3, v4, v8, s0
	v_perm_b32 v6, v12, v16, s0
	s_waitcnt lgkmcnt(4)
	v_mfma_f32_16x16x16_bf16 a[0:3], v[42:43], v[24:25], a[8:11]
	ds_write2st64_b32 v2, v3, v6 offset0:34 offset1:66
	v_xor_b32_e32 v2, 40, v0
	v_perm_b32 v3, v4, v8, s1
	v_perm_b32 v4, v12, v16, s1
	v_add_u32_e32 v2, 0x80, v2
	ds_write2st64_b32 v2, v3, v4 offset0:34 offset1:66
	v_xor_b32_e32 v2, 48, v0
	v_perm_b32 v3, v5, v9, s0
	v_perm_b32 v4, v13, v17, s0
	v_xor_b32_e32 v0, 56, v0
	v_and_or_b32 v21, v30, 12, v1
	ds_write2st64_b32 v2, v3, v4 offset0:35 offset1:67
	v_perm_b32 v2, v5, v9, s1
	v_perm_b32 v3, v13, v17, s1
	v_add_u32_e32 v0, 0x80, v0
	v_cmp_gt_i32_e32 vcc, s27, v21
	v_mov_b32_e32 v16, 0
	v_mov_b32_e32 v18, 0
	ds_write2st64_b32 v0, v2, v3 offset0:35 offset1:67
	s_and_saveexec_b64 s[0:1], vcc
	s_cbranch_execz .LBB451_61
; %bb.60:
	v_add_u32_e32 v0, s26, v21
	v_ashrrev_i32_e32 v1, 31, v0
	v_mul_lo_u32 v2, v1, s30
	v_mul_lo_u32 v3, v0, s31
	v_mad_u64_u32 v[0:1], s[2:3], v0, s30, 0
	v_add3_u32 v1, v1, v3, v2
	v_lshl_add_u64 v[0:1], v[0:1], 2, s[10:11]
	global_load_dword v0, v[0:1], off
	s_waitcnt vmcnt(0)
	v_sub_f32_e32 v0, s12, v0
	v_mul_f32_e32 v0, 0x3fb8aa3b, v0
	v_exp_f32_e32 v18, v0
.LBB451_61:
	s_or_b64 exec, exec, s[0:1]
	v_or_b32_e32 v10, 1, v21
	v_cmp_gt_i32_e64 s[0:1], s27, v10
	s_and_saveexec_b64 s[2:3], s[0:1]
	s_cbranch_execz .LBB451_63
; %bb.62:
	v_add_u32_e32 v0, s26, v10
	v_ashrrev_i32_e32 v1, 31, v0
	v_mul_lo_u32 v2, v1, s30
	v_mul_lo_u32 v3, v0, s31
	v_mad_u64_u32 v[0:1], s[4:5], v0, s30, 0
	v_add3_u32 v1, v1, v3, v2
	v_lshl_add_u64 v[0:1], v[0:1], 2, s[10:11]
	global_load_dword v0, v[0:1], off
	s_waitcnt vmcnt(0)
	v_sub_f32_e32 v0, s12, v0
	v_mul_f32_e32 v0, 0x3fb8aa3b, v0
	v_exp_f32_e32 v16, v0
.LBB451_63:
	s_or_b64 exec, exec, s[2:3]
	v_or_b32_e32 v12, 2, v21
	v_cmp_gt_i32_e64 s[2:3], s27, v12
	v_mov_b32_e32 v17, 0
	v_mov_b32_e32 v20, 0
	s_and_saveexec_b64 s[4:5], s[2:3]
	s_cbranch_execz .LBB451_65
; %bb.64:
	v_add_u32_e32 v0, s26, v12
	v_ashrrev_i32_e32 v1, 31, v0
	v_mul_lo_u32 v2, v1, s30
	v_mul_lo_u32 v3, v0, s31
	v_mad_u64_u32 v[0:1], s[6:7], v0, s30, 0
	v_add3_u32 v1, v1, v3, v2
	v_lshl_add_u64 v[0:1], v[0:1], 2, s[10:11]
	global_load_dword v0, v[0:1], off
	s_waitcnt vmcnt(0)
	v_sub_f32_e32 v0, s12, v0
	v_mul_f32_e32 v0, 0x3fb8aa3b, v0
	v_exp_f32_e32 v20, v0
.LBB451_65:
	s_or_b64 exec, exec, s[4:5]
	v_or_b32_e32 v14, 3, v21
	v_cmp_gt_i32_e64 s[4:5], s27, v14
	s_and_saveexec_b64 s[6:7], s[4:5]
	s_cbranch_execz .LBB451_67
; %bb.66:
	v_add_u32_e32 v0, s26, v14
	v_ashrrev_i32_e32 v1, 31, v0
	v_mul_lo_u32 v2, v1, s30
	v_mul_lo_u32 v3, v0, s31
	v_mad_u64_u32 v[0:1], s[14:15], v0, s30, 0
	v_add3_u32 v1, v1, v3, v2
	v_lshl_add_u64 v[0:1], v[0:1], 2, s[10:11]
	global_load_dword v0, v[0:1], off
	s_waitcnt vmcnt(0)
	v_sub_f32_e32 v0, s12, v0
	v_mul_f32_e32 v0, 0x3fb8aa3b, v0
	v_exp_f32_e32 v17, v0
.LBB451_67:
	s_or_b64 exec, exec, s[6:7]
	s_add_u32 s6, s8, s20
	s_addc_u32 s7, s9, s21
	s_add_u32 s8, s28, s20
	v_ashrrev_i32_e32 v63, 31, v62
	v_accvgpr_read_b32 v0, a4
	s_addc_u32 s9, s29, s21
	v_lshlrev_b64 v[4:5], 1, v[62:63]
	v_accvgpr_read_b32 v1, a5
	v_accvgpr_read_b32 v2, a6
	;; [unrolled: 1-line block ×3, first 2 shown]
	v_lshl_add_u64 v[6:7], s[6:7], 0, v[4:5]
	v_lshl_add_u64 v[4:5], s[8:9], 0, v[4:5]
	v_mov_b32_e32 v11, 0
	v_lshlrev_b32_e32 v8, 8, v21
	v_mov_b32_e32 v9, 0
	s_and_saveexec_b64 s[6:7], vcc
	s_cbranch_execz .LBB451_69
; %bb.68:
	v_mov_b32_e32 v9, 0
	v_lshl_add_u64 v[24:25], v[6:7], 0, v[8:9]
	global_load_ushort v13, v[24:25], off
	v_lshl_add_u64 v[24:25], v[4:5], 0, v[8:9]
	s_waitcnt vmcnt(0)
	v_lshlrev_b32_e32 v9, 16, v13
	v_sub_f32_e32 v0, v9, v0
	global_store_short_d16_hi v[24:25], v0, off
	v_mul_f32_e32 v0, v18, v0
	v_lshrrev_b32_e32 v9, 16, v0
.LBB451_69:
	s_or_b64 exec, exec, s[6:7]
	v_lshlrev_b32_e32 v10, 8, v10
	s_and_saveexec_b64 s[6:7], s[0:1]
	s_cbranch_execz .LBB451_71
; %bb.70:
	v_mov_b32_e32 v11, 0
	v_lshl_add_u64 v[24:25], v[6:7], 0, v[10:11]
	global_load_ushort v0, v[24:25], off
	v_lshl_add_u64 v[24:25], v[4:5], 0, v[10:11]
	s_waitcnt vmcnt(0)
	v_lshlrev_b32_e32 v0, 16, v0
	v_sub_f32_e32 v0, v0, v1
	global_store_short_d16_hi v[24:25], v0, off
	v_mul_f32_e32 v0, v16, v0
	v_lshrrev_b32_e32 v11, 16, v0
.LBB451_71:
	s_or_b64 exec, exec, s[6:7]
	v_mov_b32_e32 v15, 0
	v_lshlrev_b32_e32 v12, 8, v12
	v_mov_b32_e32 v13, 0
	s_and_saveexec_b64 s[6:7], s[2:3]
	s_cbranch_execz .LBB451_73
; %bb.72:
	v_mov_b32_e32 v13, 0
	v_lshl_add_u64 v[0:1], v[6:7], 0, v[12:13]
	global_load_ushort v23, v[0:1], off
	v_lshl_add_u64 v[0:1], v[4:5], 0, v[12:13]
	s_waitcnt vmcnt(0)
	v_lshlrev_b32_e32 v13, 16, v23
	v_sub_f32_e32 v2, v13, v2
	global_store_short_d16_hi v[0:1], v2, off
	v_mul_f32_e32 v0, v20, v2
	v_lshrrev_b32_e32 v13, 16, v0
.LBB451_73:
	s_or_b64 exec, exec, s[6:7]
	v_lshlrev_b32_e32 v14, 8, v14
	s_and_saveexec_b64 s[6:7], s[4:5]
	s_cbranch_execz .LBB451_75
; %bb.74:
	v_mov_b32_e32 v15, 0
	v_lshl_add_u64 v[0:1], v[6:7], 0, v[14:15]
	global_load_ushort v2, v[0:1], off
	v_lshl_add_u64 v[0:1], v[4:5], 0, v[14:15]
	s_waitcnt vmcnt(0)
	v_lshlrev_b32_e32 v2, 16, v2
	v_sub_f32_e32 v2, v2, v3
	global_store_short_d16_hi v[0:1], v2, off
	v_mul_f32_e32 v0, v17, v2
	v_lshrrev_b32_e32 v15, 16, v0
.LBB451_75:
	s_or_b64 exec, exec, s[6:7]
	v_lshlrev_b32_e32 v21, 5, v21
	s_mov_b32 s6, 0x5040100
	v_perm_b32 v24, v11, v9, s6
	v_or_b32_e32 v9, v21, v22
	v_accvgpr_read_b32 v0, a0
	v_perm_b32 v25, v15, v13, s6
	v_lshlrev_b32_e32 v9, 1, v9
	v_accvgpr_read_b32 v1, a1
	v_accvgpr_read_b32 v2, a2
	;; [unrolled: 1-line block ×3, first 2 shown]
	ds_write_b64 v9, v[24:25] offset:45056
	v_mov_b32_e32 v11, 0
	v_mov_b32_e32 v9, 0
	s_and_saveexec_b64 s[6:7], vcc
	s_cbranch_execz .LBB451_77
; %bb.76:
	v_mov_b32_e32 v9, 0
	v_lshl_add_u64 v[22:23], v[6:7], 0, v[8:9]
	global_load_ushort v13, v[22:23], off offset:32
	v_lshl_add_u64 v[8:9], v[4:5], 0, v[8:9]
	s_waitcnt vmcnt(0)
	v_lshlrev_b32_e32 v13, 16, v13
	v_sub_f32_e32 v0, v13, v0
	global_store_short_d16_hi v[8:9], v0, off offset:32
	v_mul_f32_e32 v0, v18, v0
	v_lshrrev_b32_e32 v9, 16, v0
.LBB451_77:
	s_or_b64 exec, exec, s[6:7]
	s_and_saveexec_b64 s[6:7], s[0:1]
	s_cbranch_execz .LBB451_79
; %bb.78:
	v_mov_b32_e32 v11, 0
	v_lshl_add_u64 v[22:23], v[6:7], 0, v[10:11]
	global_load_ushort v0, v[22:23], off offset:32
	v_lshl_add_u64 v[10:11], v[4:5], 0, v[10:11]
	s_waitcnt vmcnt(0)
	v_lshlrev_b32_e32 v0, 16, v0
	v_sub_f32_e32 v0, v0, v1
	global_store_short_d16_hi v[10:11], v0, off offset:32
	v_mul_f32_e32 v0, v16, v0
	v_lshrrev_b32_e32 v11, 16, v0
.LBB451_79:
	s_or_b64 exec, exec, s[6:7]
	v_mov_b32_e32 v0, 0
	v_mov_b32_e32 v1, 0
	s_and_saveexec_b64 s[0:1], s[2:3]
	s_cbranch_execz .LBB451_81
; %bb.80:
	v_mov_b32_e32 v13, 0
	v_lshl_add_u64 v[22:23], v[6:7], 0, v[12:13]
	global_load_ushort v1, v[22:23], off offset:32
	v_lshl_add_u64 v[12:13], v[4:5], 0, v[12:13]
	s_waitcnt vmcnt(0)
	v_lshlrev_b32_e32 v1, 16, v1
	v_sub_f32_e32 v1, v1, v2
	global_store_short_d16_hi v[12:13], v1, off offset:32
	v_mul_f32_e32 v1, v20, v1
	v_lshrrev_b32_e32 v1, 16, v1
.LBB451_81:
	s_or_b64 exec, exec, s[0:1]
	s_and_saveexec_b64 s[0:1], s[4:5]
	s_cbranch_execz .LBB451_83
; %bb.82:
	v_mov_b32_e32 v15, 0
	v_lshl_add_u64 v[6:7], v[6:7], 0, v[14:15]
	global_load_ushort v0, v[6:7], off offset:32
	v_lshl_add_u64 v[4:5], v[4:5], 0, v[14:15]
	s_waitcnt vmcnt(0)
	v_lshlrev_b32_e32 v0, 16, v0
	v_sub_f32_e32 v0, v0, v3
	global_store_short_d16_hi v[4:5], v0, off offset:32
	v_mul_f32_e32 v0, v17, v0
	v_lshrrev_b32_e32 v0, 16, v0
.LBB451_83:
	s_or_b64 exec, exec, s[0:1]
	s_mov_b32 s0, 0x5040100
	v_or_b32_e32 v2, v21, v19
	v_perm_b32 v1, v0, v1, s0
	v_perm_b32 v0, v11, v9, s0
	v_lshlrev_b32_e32 v2, 1, v2
	ds_write_b64 v2, v[0:1] offset:45056
	s_waitcnt lgkmcnt(0)
	s_barrier
.LBB451_84:
	s_endpgm
	.section	.rodata,"a",@progbits
	.p2align	6, 0x0
	.amdhsa_kernel _ZN12_GLOBAL__N_139chunk_gated_delta_rule_fwd_h_hip_kernelILi32ELb1ELb0ELb1ELb1ELb0ELb1ELb1ELb0EEEvPK12hip_bfloat16S3_S3_PKfS5_PKvPS1_S8_PvPKiSB_iiiiilll
		.amdhsa_group_segment_fixed_size 49152
		.amdhsa_private_segment_fixed_size 0
		.amdhsa_kernarg_size 136
		.amdhsa_user_sgpr_count 2
		.amdhsa_user_sgpr_dispatch_ptr 0
		.amdhsa_user_sgpr_queue_ptr 0
		.amdhsa_user_sgpr_kernarg_segment_ptr 1
		.amdhsa_user_sgpr_dispatch_id 0
		.amdhsa_user_sgpr_kernarg_preload_length 0
		.amdhsa_user_sgpr_kernarg_preload_offset 0
		.amdhsa_user_sgpr_private_segment_size 0
		.amdhsa_uses_dynamic_stack 0
		.amdhsa_enable_private_segment 0
		.amdhsa_system_sgpr_workgroup_id_x 1
		.amdhsa_system_sgpr_workgroup_id_y 1
		.amdhsa_system_sgpr_workgroup_id_z 0
		.amdhsa_system_sgpr_workgroup_info 0
		.amdhsa_system_vgpr_workitem_id 0
		.amdhsa_next_free_vgpr 168
		.amdhsa_next_free_sgpr 64
		.amdhsa_accum_offset 144
		.amdhsa_reserve_vcc 1
		.amdhsa_float_round_mode_32 0
		.amdhsa_float_round_mode_16_64 0
		.amdhsa_float_denorm_mode_32 3
		.amdhsa_float_denorm_mode_16_64 3
		.amdhsa_dx10_clamp 1
		.amdhsa_ieee_mode 1
		.amdhsa_fp16_overflow 0
		.amdhsa_tg_split 0
		.amdhsa_exception_fp_ieee_invalid_op 0
		.amdhsa_exception_fp_denorm_src 0
		.amdhsa_exception_fp_ieee_div_zero 0
		.amdhsa_exception_fp_ieee_overflow 0
		.amdhsa_exception_fp_ieee_underflow 0
		.amdhsa_exception_fp_ieee_inexact 0
		.amdhsa_exception_int_div_zero 0
	.end_amdhsa_kernel
	.section	.text._ZN12_GLOBAL__N_139chunk_gated_delta_rule_fwd_h_hip_kernelILi32ELb1ELb0ELb1ELb1ELb0ELb1ELb1ELb0EEEvPK12hip_bfloat16S3_S3_PKfS5_PKvPS1_S8_PvPKiSB_iiiiilll,"axG",@progbits,_ZN12_GLOBAL__N_139chunk_gated_delta_rule_fwd_h_hip_kernelILi32ELb1ELb0ELb1ELb1ELb0ELb1ELb1ELb0EEEvPK12hip_bfloat16S3_S3_PKfS5_PKvPS1_S8_PvPKiSB_iiiiilll,comdat
.Lfunc_end451:
	.size	_ZN12_GLOBAL__N_139chunk_gated_delta_rule_fwd_h_hip_kernelILi32ELb1ELb0ELb1ELb1ELb0ELb1ELb1ELb0EEEvPK12hip_bfloat16S3_S3_PKfS5_PKvPS1_S8_PvPKiSB_iiiiilll, .Lfunc_end451-_ZN12_GLOBAL__N_139chunk_gated_delta_rule_fwd_h_hip_kernelILi32ELb1ELb0ELb1ELb1ELb0ELb1ELb1ELb0EEEvPK12hip_bfloat16S3_S3_PKfS5_PKvPS1_S8_PvPKiSB_iiiiilll
                                        ; -- End function
	.section	.AMDGPU.csdata,"",@progbits
; Kernel info:
; codeLenInByte = 8824
; NumSgprs: 70
; NumVgprs: 142
; NumAgprs: 24
; TotalNumVgprs: 168
; ScratchSize: 0
; MemoryBound: 0
; FloatMode: 240
; IeeeMode: 1
; LDSByteSize: 49152 bytes/workgroup (compile time only)
; SGPRBlocks: 8
; VGPRBlocks: 20
; NumSGPRsForWavesPerEU: 70
; NumVGPRsForWavesPerEU: 168
; AccumOffset: 144
; Occupancy: 1
; WaveLimiterHint : 1
; COMPUTE_PGM_RSRC2:SCRATCH_EN: 0
; COMPUTE_PGM_RSRC2:USER_SGPR: 2
; COMPUTE_PGM_RSRC2:TRAP_HANDLER: 0
; COMPUTE_PGM_RSRC2:TGID_X_EN: 1
; COMPUTE_PGM_RSRC2:TGID_Y_EN: 1
; COMPUTE_PGM_RSRC2:TGID_Z_EN: 0
; COMPUTE_PGM_RSRC2:TIDIG_COMP_CNT: 0
; COMPUTE_PGM_RSRC3_GFX90A:ACCUM_OFFSET: 35
; COMPUTE_PGM_RSRC3_GFX90A:TG_SPLIT: 0
	.section	.text._ZN12_GLOBAL__N_139chunk_gated_delta_rule_fwd_h_hip_kernelILi32ELb1ELb0ELb0ELb1ELb0ELb1ELb1ELb0EEEvPK12hip_bfloat16S3_S3_PKfS5_PKvPS1_S8_PvPKiSB_iiiiilll,"axG",@progbits,_ZN12_GLOBAL__N_139chunk_gated_delta_rule_fwd_h_hip_kernelILi32ELb1ELb0ELb0ELb1ELb0ELb1ELb1ELb0EEEvPK12hip_bfloat16S3_S3_PKfS5_PKvPS1_S8_PvPKiSB_iiiiilll,comdat
	.globl	_ZN12_GLOBAL__N_139chunk_gated_delta_rule_fwd_h_hip_kernelILi32ELb1ELb0ELb0ELb1ELb0ELb1ELb1ELb0EEEvPK12hip_bfloat16S3_S3_PKfS5_PKvPS1_S8_PvPKiSB_iiiiilll ; -- Begin function _ZN12_GLOBAL__N_139chunk_gated_delta_rule_fwd_h_hip_kernelILi32ELb1ELb0ELb0ELb1ELb0ELb1ELb1ELb0EEEvPK12hip_bfloat16S3_S3_PKfS5_PKvPS1_S8_PvPKiSB_iiiiilll
	.p2align	8
	.type	_ZN12_GLOBAL__N_139chunk_gated_delta_rule_fwd_h_hip_kernelILi32ELb1ELb0ELb0ELb1ELb0ELb1ELb1ELb0EEEvPK12hip_bfloat16S3_S3_PKfS5_PKvPS1_S8_PvPKiSB_iiiiilll,@function
_ZN12_GLOBAL__N_139chunk_gated_delta_rule_fwd_h_hip_kernelILi32ELb1ELb0ELb0ELb1ELb0ELb1ELb1ELb0EEEvPK12hip_bfloat16S3_S3_PKfS5_PKvPS1_S8_PvPKiSB_iiiiilll: ; @_ZN12_GLOBAL__N_139chunk_gated_delta_rule_fwd_h_hip_kernelILi32ELb1ELb0ELb0ELb1ELb0ELb1ELb1ELb0EEEvPK12hip_bfloat16S3_S3_PKfS5_PKvPS1_S8_PvPKiSB_iiiiilll
; %bb.0:
	s_load_dwordx4 s[12:15], s[0:1], 0x5c
	s_load_dwordx4 s[20:23], s[0:1], 0x70
	s_abs_i32 s9, s3
	s_ashr_i32 s8, s3, 31
	s_load_dwordx4 s[4:7], s[0:1], 0x48
	s_waitcnt lgkmcnt(0)
	s_abs_i32 s10, s13
	v_cvt_f32_u32_e32 v1, s10
	s_sub_i32 s16, 0, s10
	s_ashr_i32 s11, s13, 31
	s_xor_b32 s8, s8, s11
	v_rcp_iflag_f32_e32 v1, v1
	v_and_b32_e32 v72, 15, v0
	v_lshrrev_b32_e32 v70, 6, v0
	v_bfe_u32 v71, v0, 4, 2
	v_mul_f32_e32 v1, 0x4f7ffffe, v1
	v_cvt_u32_f32_e32 v1, v1
	v_mov_b32_e32 v7, 0
	v_and_b32_e32 v61, 63, v0
	v_lshrrev_b32_e32 v74, 3, v61
	v_readfirstlane_b32 s17, v1
	s_mul_i32 s16, s16, s17
	s_mul_hi_u32 s16, s17, s16
	s_add_i32 s17, s17, s16
	s_mul_hi_u32 s16, s9, s17
	s_mul_i32 s17, s16, s10
	s_sub_i32 s9, s9, s17
	s_add_i32 s18, s16, 1
	s_sub_i32 s17, s9, s10
	s_cmp_ge_u32 s9, s10
	s_cselect_b32 s16, s18, s16
	s_cselect_b32 s9, s17, s9
	s_add_i32 s17, s16, 1
	s_cmp_ge_u32 s9, s10
	s_cselect_b32 s9, s17, s16
	s_load_dwordx4 s[16:19], s[0:1], 0x28
	s_xor_b32 s9, s9, s8
	s_sub_i32 s24, s9, s8
	s_mul_i32 s28, s24, s13
	s_ashr_i32 s25, s24, 31
	s_sub_i32 s47, s3, s28
	s_lshl_b64 s[8:9], s[24:25], 2
	s_add_u32 s4, s4, s8
	s_addc_u32 s5, s5, s9
	s_add_u32 s26, s6, s8
	s_addc_u32 s27, s7, s9
	s_abs_i32 s3, s14
	v_cvt_f32_u32_e32 v1, s3
	s_load_dwordx2 s[30:31], s[4:5], 0x0
	s_lshl_b32 s38, s2, 5
	s_ashr_i32 s2, s14, 31
	v_rcp_iflag_f32_e32 v1, v1
	s_xor_b32 s2, s11, s2
	s_waitcnt lgkmcnt(0)
	s_sub_i32 s50, s31, s30
	s_ashr_i32 s4, s50, 31
	v_mul_f32_e32 v1, 0x4f7ffffe, v1
	v_cvt_u32_f32_e32 v1, v1
	s_lshr_b32 s4, s4, 26
	s_add_i32 s4, s50, s4
	s_ashr_i32 s48, s4, 6
	s_sub_i32 s4, 0, s3
	v_readfirstlane_b32 s5, v1
	s_mul_i32 s4, s4, s5
	s_mul_hi_u32 s4, s5, s4
	s_add_i32 s5, s5, s4
	s_mul_hi_u32 s4, s10, s5
	s_mul_i32 s5, s4, s3
	s_sub_i32 s5, s10, s5
	s_add_i32 s6, s4, 1
	s_sub_i32 s7, s5, s3
	s_cmp_ge_u32 s5, s3
	s_cselect_b32 s4, s6, s4
	s_cselect_b32 s5, s7, s5
	s_add_i32 s6, s4, 1
	s_cmp_ge_u32 s5, s3
	s_cselect_b32 s3, s6, s4
	s_xor_b32 s3, s3, s2
	s_sub_i32 s2, s3, s2
	s_abs_i32 s3, s2
	v_cvt_f32_u32_e32 v1, s3
	s_sub_i32 s5, 0, s3
	s_abs_i32 s4, s47
	s_xor_b32 s2, s47, s2
	v_rcp_iflag_f32_e32 v1, v1
	s_ashr_i32 s2, s2, 31
	v_or_b32_e32 v62, s38, v72
	v_lshlrev_b32_e32 v2, 7, v62
	v_mul_f32_e32 v1, 0x4f7ffffe, v1
	v_cvt_u32_f32_e32 v1, v1
	v_ashrrev_i32_e32 v3, 31, v2
	s_mul_hi_i32 s53, s47, s12
	s_mul_i32 s54, s47, s12
	v_readfirstlane_b32 s6, v1
	s_mul_i32 s5, s5, s6
	s_mul_hi_u32 s5, s6, s5
	s_add_i32 s6, s6, s5
	s_mul_hi_u32 s5, s4, s6
	s_mul_i32 s6, s5, s3
	s_sub_i32 s4, s4, s6
	s_add_i32 s6, s5, 1
	s_sub_i32 s7, s4, s3
	s_cmp_ge_u32 s4, s3
	s_cselect_b32 s5, s6, s5
	s_cselect_b32 s4, s7, s4
	s_add_i32 s6, s5, 1
	s_cmp_ge_u32 s4, s3
	s_cselect_b32 s3, s6, s5
	s_xor_b32 s3, s3, s2
	s_sub_i32 s51, s3, s2
	s_ashr_i32 s49, s47, 31
	s_mul_hi_i32 s3, s24, s13
	s_add_u32 s2, s28, s47
	s_addc_u32 s3, s3, s49
	s_lshl_b64 s[2:3], s[2:3], 16
	s_add_u32 s2, s16, s2
	s_addc_u32 s3, s17, s3
	v_lshlrev_b32_e32 v1, 4, v70
	v_lshl_add_u64 v[4:5], v[2:3], 2, s[2:3]
	v_or_b32_e32 v2, 0x800, v2
	v_lshl_or_b32 v75, v71, 2, v1
	v_ashrrev_i32_e32 v3, 31, v2
	v_lshlrev_b32_e32 v6, 2, v75
	v_lshl_add_u64 v[2:3], v[2:3], 2, s[2:3]
	v_lshl_add_u64 v[4:5], v[4:5], 0, v[6:7]
	;; [unrolled: 1-line block ×3, first 2 shown]
	global_load_dwordx4 v[14:17], v[4:5], off
	global_load_dwordx4 v[10:13], v[4:5], off offset:256
	global_load_dwordx4 v[6:9], v[18:19], off
	s_nop 0
	global_load_dwordx4 v[2:5], v[18:19], off offset:256
	s_load_dwordx8 s[4:11], s[0:1], 0x0
	s_load_dwordx2 s[28:29], s[0:1], 0x80
	s_load_dword s52, s[26:27], 0x0
	v_or_b32_e32 v76, 64, v75
	s_cmp_lt_i32 s50, 64
	v_lshlrev_b32_e32 v73, 3, v0
	s_mul_i32 s33, s24, s21
	s_mul_hi_u32 s43, s24, s20
	s_mul_i32 s44, s25, s20
	s_mul_i32 s34, s24, s20
	;; [unrolled: 1-line block ×3, first 2 shown]
	s_mul_hi_u32 s45, s47, s22
	s_mul_i32 s46, s49, s22
	s_mul_i32 s36, s47, s22
	s_cbranch_scc1 .LBB452_3
; %bb.1:
	s_ashr_i32 s3, s30, 31
	s_add_u32 s2, s54, s30
	s_addc_u32 s3, s53, s3
	s_lshl_b64 s[2:3], s[2:3], 8
	v_and_b32_e32 v78, 56, v73
	s_waitcnt lgkmcnt(0)
	s_add_u32 s20, s6, s2
	v_lshl_or_b32 v77, v70, 3, v74
	v_lshlrev_b32_e32 v18, 1, v78
	s_addc_u32 s2, s7, s3
	v_lshl_or_b32 v79, v77, 8, v18
	s_and_b32 s21, s2, 0xffff
	s_mov_b32 s23, 0x20000
	s_movk_i32 s22, 0x4000
	s_movk_i32 s2, 0x80
	v_or_b32_e32 v80, 0x2000, v79
	buffer_load_dwordx4 v[20:23], v79, s[20:23], 0 offen
	buffer_load_dwordx4 v[24:27], v79, s[20:23], s2 offen
	;; [unrolled: 1-line block ×4, first 2 shown]
	v_lshlrev_b32_e32 v19, 3, v77
	v_and_or_b32 v37, v0, 7, v19
	v_and_b32_e32 v19, 0x78, v19
	v_lshlrev_b32_e32 v37, 4, v37
	v_xor_b32_e32 v81, v37, v19
	v_mul_lo_u32 v36, v77, s15
	v_or_b32_e32 v82, 0x1000, v81
	v_xor_b32_e32 v19, 8, v81
	s_cmpk_eq_i32 s15, 0x80
	s_mov_b32 s55, s30
	v_xor_b32_e32 v37, 8, v82
	s_cselect_b64 s[2:3], -1, 0
	s_cmpk_lg_i32 s15, 0x80
	s_waitcnt vmcnt(3)
	ds_write_b64 v81, v[20:21] offset:24576
	ds_write_b64 v19, v[22:23] offset:24576
	s_waitcnt vmcnt(2)
	ds_write_b64 v81, v[24:25] offset:32768
	ds_write_b64 v19, v[26:27] offset:32768
	;; [unrolled: 3-line block ×4, first 2 shown]
	v_lshl_add_u32 v19, v36, 1, v78
	s_cbranch_scc0 .LBB452_29
; %bb.2:
	v_lshlrev_b32_e32 v21, 1, v19
	v_add_lshl_u32 v20, v19, s15, 1
	s_lshl_b32 s22, s15, 7
	s_load_dwordx2 s[16:17], s[0:1], 0x20
	v_lshl_or_b32 v18, v77, 9, v18
	s_cbranch_execz .LBB452_30
	s_branch .LBB452_31
.LBB452_3:
	s_waitcnt vmcnt(0)
	v_mov_b32_e32 v25, v5
	v_mov_b32_e32 v21, v9
.LBB452_4:
	s_lshl_b32 s26, s48, 6
	s_sub_i32 s27, s50, s26
	s_cmp_gt_i32 s27, 0
	s_cbranch_scc0 .LBB452_84
; %bb.5:
	s_add_i32 s26, s26, s30
	s_ashr_i32 s2, s26, 31
	s_cmpk_lg_i32 s15, 0x80
	s_cselect_b64 s[22:23], -1, 0
	s_and_b64 vcc, exec, s[22:23]
	s_cbranch_vccz .LBB452_7
; %bb.6:
	s_mul_i32 s1, s26, s14
	s_ashr_i32 s3, s51, 31
	s_mul_hi_i32 s0, s26, s14
	s_add_u32 s24, s1, s51
	s_addc_u32 s25, s0, s3
	s_cbranch_execz .LBB452_8
	s_branch .LBB452_9
.LBB452_7:
                                        ; implicit-def: $sgpr24_sgpr25
.LBB452_8:
	s_mul_i32 s1, s51, s12
	s_mul_hi_i32 s0, s51, s12
	s_add_u32 s24, s1, s26
	s_addc_u32 s25, s0, s2
.LBB452_9:
	s_waitcnt lgkmcnt(0)
	s_add_i32 s3, s48, s52
	s_add_u32 s0, s54, s26
	s_addc_u32 s1, s53, s2
	v_lshlrev_b32_e32 v18, 5, v75
	v_lshlrev_b32_e32 v22, 2, v72
	s_mov_b32 s2, 0x7060302
	v_perm_b32 v13, v13, v12, s2
	v_perm_b32 v12, v11, v10, s2
	v_or_b32_e32 v10, v18, v22
	v_xor_b32_e32 v5, v75, v22
	v_perm_b32 v17, v17, v16, s2
	v_perm_b32 v16, v15, v14, s2
	v_lshlrev_b32_e32 v10, 1, v10
	ds_write2st64_b64 v10, v[16:17], v[12:13] offset0:80 offset1:88
	v_lshlrev_b32_e32 v10, 1, v5
	v_lshlrev_b32_e32 v5, 8, v72
	s_lshl_b64 s[20:21], s[0:1], 8
	v_xor_b32_e32 v9, v76, v22
	v_or_b32_e32 v11, v10, v5
	s_add_u32 s0, s6, s20
	ds_write_b64 v11, v[16:17]
	v_lshlrev_b32_e32 v11, 1, v9
	s_addc_u32 s1, s7, s21
	v_or_b32_e32 v5, v11, v5
	s_mul_hi_i32 s6, s3, s13
	s_mul_i32 s3, s3, s13
	ds_write_b64 v5, v[12:13]
	v_perm_b32 v9, v21, v8, s2
	v_perm_b32 v8, v7, v6, s2
	;; [unrolled: 1-line block ×4, first 2 shown]
	s_add_u32 s2, s3, s47
	v_or_b32_e32 v2, 16, v72
	s_addc_u32 s3, s6, s49
	v_lshlrev_b32_e32 v19, 2, v2
	s_ashr_i32 s39, s38, 31
	s_lshl_b64 s[2:3], s[2:3], 15
	v_or_b32_e32 v3, v18, v19
	s_add_u32 s6, s18, s2
	v_lshlrev_b32_e32 v3, 1, v3
	v_lshlrev_b32_e32 v2, 8, v2
	s_addc_u32 s7, s19, s3
	s_lshl_b64 s[2:3], s[38:39], 8
	ds_write2st64_b64 v3, v[8:9], v[4:5] offset0:80 offset1:88
	v_or_b32_e32 v3, v10, v2
	v_or_b32_e32 v2, v11, v2
	s_add_u32 s2, s6, s2
	ds_write_b64 v3, v[8:9]
	ds_write_b64 v2, v[4:5]
	v_lshrrev_b32_e32 v2, 4, v0
	s_addc_u32 s3, s7, s3
	v_lshlrev_b32_e32 v3, 1, v72
	v_lshlrev_b32_e32 v10, 4, v72
	v_mov_b32_e32 v11, 0
	v_or_b32_e32 v4, 1, v3
	v_xor_b32_e32 v3, v2, v3
	v_lshl_add_u64 v[12:13], s[2:3], 0, v[10:11]
	v_lshlrev_b32_e32 v10, 8, v2
	v_xor_b32_e32 v6, v4, v2
	v_lshl_or_b32 v2, v3, 3, v10
	s_waitcnt lgkmcnt(0)
	s_barrier
	ds_read2st64_b64 v[2:5], v2 offset1:8
	v_lshl_or_b32 v6, v6, 3, v10
	ds_read2st64_b64 v[6:9], v6 offset1:8
	v_lshl_add_u64 v[14:15], v[12:13], 0, v[10:11]
	s_movk_i32 s2, 0x1000
	s_waitcnt lgkmcnt(1)
	v_mov_b32_e32 v10, v2
	v_add_co_u32_e32 v2, vcc, s2, v14
	s_cmp_lg_u32 s27, 64
	v_mov_b32_e32 v11, v3
	v_addc_co_u32_e32 v3, vcc, 0, v15, vcc
	s_cselect_b64 s[6:7], -1, 0
	v_lshl_or_b32 v23, v70, 3, v74
	s_waitcnt lgkmcnt(0)
	v_mov_b32_e32 v12, v6
	v_mov_b32_e32 v13, v7
	;; [unrolled: 1-line block ×4, first 2 shown]
	s_mov_b32 s16, 0
	v_or_b32_e32 v20, 32, v23
	v_and_b32_e32 v18, 56, v73
	s_and_b64 vcc, exec, s[6:7]
	global_store_dwordx4 v[14:15], v[10:13], off
	global_store_dwordx4 v[2:3], v[6:9], off
	s_cbranch_vccz .LBB452_15
; %bb.10:
	s_mov_b32 s17, s16
	s_mov_b32 s18, s16
	;; [unrolled: 1-line block ×3, first 2 shown]
	v_mov_b64_e32 v[6:7], s[16:17]
	v_mov_b64_e32 v[8:9], s[18:19]
	v_mov_b64_e32 v[2:3], v[6:7]
	v_cmp_gt_i32_e32 vcc, s27, v23
	v_mov_b64_e32 v[4:5], v[8:9]
	s_and_saveexec_b64 s[2:3], vcc
	s_cbranch_execz .LBB452_12
; %bb.11:
	v_lshlrev_b32_e32 v2, 8, v23
	v_mov_b32_e32 v3, 0
	v_lshl_add_u64 v[4:5], s[0:1], 0, v[2:3]
	v_lshlrev_b32_e32 v2, 1, v18
	v_lshl_add_u64 v[10:11], v[4:5], 0, v[2:3]
	global_load_dwordx4 v[6:9], v[10:11], off
	global_load_dwordx4 v[2:5], v[10:11], off offset:128
.LBB452_12:
	s_or_b64 exec, exec, s[2:3]
	s_mov_b32 s17, s16
	s_mov_b32 s18, s16
	;; [unrolled: 1-line block ×3, first 2 shown]
	v_mov_b64_e32 v[14:15], s[16:17]
	v_mov_b64_e32 v[16:17], s[18:19]
	;; [unrolled: 1-line block ×3, first 2 shown]
	v_cmp_gt_i32_e32 vcc, s27, v20
	v_lshlrev_b32_e32 v21, 7, v20
	v_mov_b64_e32 v[12:13], v[16:17]
	s_and_saveexec_b64 s[2:3], vcc
	s_cbranch_execz .LBB452_14
; %bb.13:
	v_lshlrev_b32_e32 v10, 1, v21
	v_mov_b32_e32 v11, 0
	v_lshl_add_u64 v[12:13], s[0:1], 0, v[10:11]
	v_lshlrev_b32_e32 v10, 1, v18
	v_lshl_add_u64 v[24:25], v[12:13], 0, v[10:11]
	global_load_dwordx4 v[14:17], v[24:25], off
	global_load_dwordx4 v[10:13], v[24:25], off offset:128
.LBB452_14:
	s_or_b64 exec, exec, s[2:3]
	v_lshrrev_b32_e32 v24, 3, v18
	v_lshlrev_b32_e32 v25, 3, v23
	v_or_b32_e32 v24, v25, v24
	v_lshlrev_b32_e32 v24, 4, v24
	v_and_b32_e32 v25, 0x78, v25
	v_xor_b32_e32 v24, v24, v25
	s_branch .LBB452_17
.LBB452_15:
                                        ; implicit-def: $vgpr24
                                        ; implicit-def: $vgpr21
                                        ; implicit-def: $vgpr6_vgpr7_vgpr8_vgpr9
                                        ; implicit-def: $vgpr2_vgpr3_vgpr4_vgpr5
                                        ; implicit-def: $vgpr14_vgpr15_vgpr16_vgpr17
                                        ; implicit-def: $vgpr10_vgpr11_vgpr12_vgpr13
	s_cbranch_execz .LBB452_17
; %bb.16:
	s_waitcnt vmcnt(0)
	v_lshlrev_b32_e32 v2, 1, v18
	v_lshl_or_b32 v21, v23, 8, v2
	s_and_b32 s1, s1, 0xffff
	s_mov_b32 s3, 0x20000
	s_movk_i32 s2, 0x4000
	v_lshl_or_b32 v24, v20, 8, v2
	s_movk_i32 s12, 0x80
	buffer_load_dwordx4 v[6:9], v21, s[0:3], 0 offen
	buffer_load_dwordx4 v[2:5], v21, s[0:3], s12 offen
	;; [unrolled: 1-line block ×4, first 2 shown]
	v_lshrrev_b32_e32 v21, 3, v18
	v_lshlrev_b32_e32 v24, 3, v23
	v_or_b32_e32 v21, v24, v21
	v_lshlrev_b32_e32 v21, 4, v21
	v_and_b32_e32 v24, 0x78, v24
	v_xor_b32_e32 v24, v21, v24
	v_lshlrev_b32_e32 v21, 7, v20
.LBB452_17:
	s_lshl_b64 s[0:1], s[24:25], 8
	s_add_u32 s4, s4, s0
	s_movk_i32 s0, 0x1000
	v_and_or_b32 v20, v21, s0, v24
	s_waitcnt vmcnt(1)
	ds_write_b64 v24, v[6:7] offset:24576
	v_xor_b32_e32 v6, 8, v24
	ds_write_b64 v6, v[8:9] offset:24576
	s_waitcnt vmcnt(0)
	ds_write_b64 v24, v[2:3] offset:32768
	ds_write_b64 v6, v[4:5] offset:32768
	;; [unrolled: 1-line block ×3, first 2 shown]
	v_xor_b32_e32 v2, 8, v20
	ds_write_b64 v2, v[16:17] offset:24576
	ds_write_b64 v20, v[10:11] offset:32768
	;; [unrolled: 1-line block ×3, first 2 shown]
	v_or_b32_e32 v2, v1, v72
	v_lshlrev_b32_e32 v3, 11, v70
	v_lshlrev_b32_e32 v2, 3, v2
	v_and_b32_e32 v6, 0x1000, v3
	v_lshrrev_b32_e32 v3, 5, v61
	s_movk_i32 s3, 0xf8
	v_and_or_b32 v3, v2, s3, v3
	v_lshlrev_b32_e32 v7, 4, v3
	v_and_b32_e32 v8, 0x78, v2
	v_or_b32_e32 v10, 32, v7
	v_lshrrev_b32_e32 v3, 1, v61
	v_xor_b32_e32 v10, v10, v8
	v_xor_b32_e32 v2, v7, v8
	v_and_b32_e32 v9, 8, v3
	v_or_b32_e32 v10, v10, v6
	v_or_b32_e32 v2, v2, v6
	v_xor_b32_e32 v26, v10, v9
	v_or_b32_e32 v10, 64, v7
	v_xor_b32_e32 v25, v2, v9
	v_xor_b32_e32 v10, v10, v8
	s_waitcnt lgkmcnt(0)
	s_barrier
	v_or_b32_e32 v12, v10, v6
	ds_read_b64 v[10:11], v25 offset:24576
	v_lshl_or_b32 v20, v71, 7, v22
	v_lshlrev_b32_e32 v24, 1, v20
	v_add_u32_e32 v2, 0xa000, v24
	ds_read2_b64 v[2:5], v2 offset1:16
	v_or_b32_e32 v7, 0x60, v7
	v_xor_b32_e32 v7, v7, v8
	s_waitcnt lgkmcnt(0)
	v_mfma_f32_16x16x16_bf16 a[0:3], v[10:11], v[2:3], 0
	v_or_b32_e32 v2, 64, v20
	v_or_b32_e32 v6, v7, v6
	v_lshlrev_b32_e32 v29, 1, v2
	v_xor_b32_e32 v27, v12, v9
	v_xor_b32_e32 v28, v6, v9
	ds_read_b64 v[12:13], v26 offset:24576
	ds_read_b64 v[14:15], v27 offset:24576
	;; [unrolled: 1-line block ×3, first 2 shown]
	v_mfma_f32_16x16x16_bf16 a[4:7], v[10:11], v[4:5], 0
	ds_read2st64_b64 v[2:5], v29 offset0:82 offset1:84
	ds_read2st64_b64 v[6:9], v24 offset0:82 offset1:84
	s_addc_u32 s5, s5, s1
	s_add_i32 s1, s43, s33
	s_add_i32 s0, s31, -1
	s_add_i32 s35, s1, s44
	s_add_i32 s1, s45, s42
	;; [unrolled: 1-line block ×3, first 2 shown]
	s_ashr_i32 s1, s0, 31
	s_mul_i32 s2, s0, s29
	s_mul_hi_u32 s3, s0, s28
	s_add_i32 s2, s3, s2
	s_mul_i32 s1, s1, s28
	s_waitcnt lgkmcnt(1)
	v_mfma_f32_16x16x16_bf16 a[4:7], v[12:13], v[2:3], a[4:7]
	s_add_i32 s1, s2, s1
	s_lshl_b64 s[2:3], s[34:35], 2
	s_add_u32 s10, s10, s2
	s_waitcnt lgkmcnt(0)
	v_mfma_f32_16x16x16_bf16 a[0:3], v[12:13], v[6:7], a[0:3]
	s_addc_u32 s11, s11, s3
	s_lshl_b64 s[2:3], s[36:37], 2
	s_mul_i32 s0, s0, s28
	s_add_u32 s10, s10, s2
	ds_read_b64 v[2:3], v24 offset:44032
	v_mfma_f32_16x16x16_bf16 a[4:7], v[14:15], v[4:5], a[4:7]
	ds_read_b64 v[4:5], v29 offset:44032
	s_addc_u32 s11, s11, s3
	s_lshl_b64 s[0:1], s[0:1], 2
	v_mfma_f32_16x16x16_bf16 a[0:3], v[14:15], v[8:9], a[0:3]
	s_add_u32 s0, s10, s0
	s_addc_u32 s1, s11, s1
	s_load_dword s12, s[0:1], 0x0
	s_waitcnt lgkmcnt(0)
	v_mfma_f32_16x16x16_bf16 a[0:3], v[16:17], v[2:3], a[0:3]
	s_and_b64 vcc, exec, s[22:23]
	v_mfma_f32_16x16x16_bf16 a[4:7], v[16:17], v[4:5], a[4:7]
	s_cbranch_vccz .LBB452_28
; %bb.18:
	v_lshlrev_b32_e32 v20, 1, v23
	s_and_b64 vcc, exec, s[6:7]
	s_cbranch_vccz .LBB452_44
; %bb.19:
	v_cmp_gt_i32_e32 vcc, s27, v20
	v_mov_b32_e32 v6, 0
	v_mov_b32_e32 v2, 0
	;; [unrolled: 1-line block ×5, first 2 shown]
	s_and_saveexec_b64 s[0:1], vcc
	s_cbranch_execz .LBB452_21
; %bb.20:
	v_mad_i64_i32 v[2:3], s[2:3], s15, v20, 0
	v_lshl_add_u64 v[2:3], v[2:3], 1, s[4:5]
	v_lshlrev_b32_e32 v4, 1, v18
	v_mov_b32_e32 v5, 0
	v_lshl_add_u64 v[2:3], v[2:3], 0, v[4:5]
	global_load_dwordx4 v[2:5], v[2:3], off
.LBB452_21:
	s_or_b64 exec, exec, s[0:1]
	v_or_b32_e32 v21, 1, v20
	v_cmp_gt_i32_e64 s[0:1], s27, v21
	v_mov_b32_e32 v7, 0
	v_mov_b32_e32 v8, 0
	;; [unrolled: 1-line block ×3, first 2 shown]
	s_and_saveexec_b64 s[2:3], s[0:1]
	s_cbranch_execz .LBB452_23
; %bb.22:
	v_mad_i64_i32 v[6:7], s[16:17], s15, v21, 0
	v_lshl_add_u64 v[6:7], v[6:7], 1, s[4:5]
	v_lshlrev_b32_e32 v8, 1, v18
	v_mov_b32_e32 v9, 0
	v_lshl_add_u64 v[6:7], v[6:7], 0, v[8:9]
	global_load_dwordx4 v[6:9], v[6:7], off
.LBB452_23:
	s_or_b64 exec, exec, s[2:3]
	v_mov_b32_e32 v17, 0
	v_mov_b32_e32 v10, 0
	;; [unrolled: 1-line block ×5, first 2 shown]
	s_and_saveexec_b64 s[2:3], vcc
	s_cbranch_execz .LBB452_25
; %bb.24:
	v_mad_i64_i32 v[10:11], s[16:17], s15, v20, 0
	v_lshl_add_u64 v[10:11], v[10:11], 1, s[4:5]
	v_lshlrev_b32_e32 v12, 1, v18
	v_mov_b32_e32 v13, 0
	v_lshl_add_u64 v[10:11], v[10:11], 0, v[12:13]
	global_load_dwordx4 v[10:13], v[10:11], off offset:128
.LBB452_25:
	s_or_b64 exec, exec, s[2:3]
	v_mov_b32_e32 v16, 0
	v_mov_b32_e32 v15, 0
	;; [unrolled: 1-line block ×3, first 2 shown]
	s_and_saveexec_b64 s[2:3], s[0:1]
	s_cbranch_execz .LBB452_27
; %bb.26:
	v_mad_i64_i32 v[14:15], s[0:1], s15, v21, 0
	v_lshl_add_u64 v[14:15], v[14:15], 1, s[4:5]
	v_lshlrev_b32_e32 v16, 1, v18
	v_mov_b32_e32 v17, 0
	v_lshl_add_u64 v[14:15], v[14:15], 0, v[16:17]
	global_load_dwordx4 v[14:17], v[14:15], off offset:128
.LBB452_27:
	s_or_b64 exec, exec, s[2:3]
	s_branch .LBB452_46
.LBB452_28:
                                        ; implicit-def: $vgpr5
                                        ; implicit-def: $vgpr9
                                        ; implicit-def: $vgpr13
                                        ; implicit-def: $vgpr17
	v_lshrrev_b32_e32 v30, 2, v61
	s_branch .LBB452_47
.LBB452_29:
                                        ; implicit-def: $vgpr20
                                        ; implicit-def: $vgpr21
                                        ; implicit-def: $sgpr22
	s_load_dwordx2 s[16:17], s[0:1], 0x20
	v_lshl_or_b32 v18, v77, 9, v18
.LBB452_30:
	v_or_b32_e32 v20, 0x100, v18
	s_movk_i32 s22, 0x4000
	v_mov_b32_e32 v21, v18
.LBB452_31:
	s_mul_i32 s0, s30, s14
	s_ashr_i32 s56, s51, 31
	s_mul_hi_i32 s1, s30, s14
	s_add_u32 s0, s0, s51
	s_addc_u32 s1, s1, s56
	s_lshl_b64 s[0:1], s[0:1], 8
	s_add_u32 s20, s4, s0
	s_addc_u32 s0, s5, s1
	s_and_b32 s21, s0, 0xffff
	s_movk_i32 s57, 0x80
	buffer_load_dwordx4 v[22:25], v21, s[20:23], 0 offen
	buffer_load_dwordx4 v[26:29], v21, s[20:23], s57 offen
	buffer_load_dwordx4 v[30:33], v20, s[20:23], 0 offen
	buffer_load_dwordx4 v[34:37], v20, s[20:23], s57 offen
	v_and_b32_e32 v20, 6, v0
	v_lshlrev_b32_e32 v39, 6, v75
	v_or_b32_e32 v41, 16, v72
	v_xor_b32_e32 v42, v77, v20
	v_and_b32_e32 v21, 1, v0
	v_lshl_or_b32 v45, v72, 3, v39
	v_lshl_or_b32 v39, v41, 3, v39
	v_lshlrev_b32_e32 v42, 2, v42
	v_lshlrev_b32_e32 v38, 2, v72
	v_or_b32_e32 v85, 0xa000, v39
	v_or_b32_e32 v86, 0xb000, v39
	v_xor_b32_e32 v39, 0x440, v42
	v_cmp_eq_u32_e32 vcc, 0, v21
	s_add_i32 s0, s43, s33
	v_xor_b32_e32 v43, v75, v38
	v_xor_b32_e32 v44, v76, v38
	v_cndmask_b32_e32 v21, v39, v42, vcc
	s_add_i32 s1, s45, s42
	s_add_i32 s35, s0, s44
	s_mov_b32 s58, 0x1000504
	v_lshlrev_b32_e32 v40, 8, v72
	v_lshlrev_b32_e32 v41, 8, v41
	;; [unrolled: 1-line block ×4, first 2 shown]
	v_lshl_or_b32 v20, v20, 10, v21
	s_add_i32 s37, s1, s46
	s_lshl_b64 s[0:1], s[34:35], 2
	s_mov_b32 s59, 0x3020706
	v_or_b32_e32 v83, 0xa000, v45
	v_or_b32_e32 v84, 0xb000, v45
	;; [unrolled: 1-line block ×5, first 2 shown]
	v_xor_b32_e32 v21, 8, v20
	v_xor_b32_e32 v40, 24, v20
	;; [unrolled: 1-line block ×4, first 2 shown]
	s_add_u32 s20, s10, s0
	v_or_b32_e32 v89, v41, v43
	v_xor_b32_e32 v39, 16, v20
	v_xor_b32_e32 v41, 32, v20
	;; [unrolled: 1-line block ×3, first 2 shown]
	v_add_u32_e32 v21, 0x80, v21
	v_add_u32_e32 v40, 0x80, v40
	;; [unrolled: 1-line block ×4, first 2 shown]
	s_addc_u32 s21, s11, s1
	s_lshl_b64 s[0:1], s[36:37], 2
	s_add_u32 s40, s20, s0
	s_movk_i32 s0, 0xf8
	s_addc_u32 s41, s21, s1
	s_ashr_i32 s39, s38, 31
	s_lshl_b32 s26, s15, 7
	s_movk_i32 s20, 0x100
	v_mov_b32_e32 v65, 0
	v_lshlrev_b32_e32 v64, 4, v72
	v_cmp_gt_u32_e32 vcc, s20, v0
	v_ashrrev_i32_e32 v63, 31, v62
	s_mov_b32 s60, 0
	s_movk_i32 s35, 0x1000
	s_movk_i32 s22, 0x4000
	v_lshl_add_u64 v[66:67], v[62:63], 1, s[8:9]
	s_mov_b32 s37, 0x7060302
	v_mov_b32_e32 v113, 0x3fb8aa3b
	s_waitcnt vmcnt(1)
	v_perm_b32 v45, v22, v30, s58
	s_waitcnt vmcnt(0)
	v_perm_b32 v46, v26, v34, s58
	v_perm_b32 v22, v22, v30, s59
	;; [unrolled: 1-line block ×15, first 2 shown]
	ds_write2st64_b32 v20, v45, v46 offset0:32 offset1:64
	ds_write2st64_b32 v21, v22, v26 offset0:32 offset1:64
	;; [unrolled: 1-line block ×8, first 2 shown]
	v_or_b32_e32 v20, v1, v72
	v_lshlrev_b32_e32 v20, 3, v20
	v_lshrrev_b32_e32 v23, 5, v61
	v_and_or_b32 v23, v20, s0, v23
	v_lshlrev_b32_e32 v23, 4, v23
	v_lshlrev_b32_e32 v25, 11, v70
	v_and_b32_e32 v20, 0x78, v20
	v_or_b32_e32 v28, 32, v23
	v_and_b32_e32 v22, 0x1000, v25
	v_lshrrev_b32_e32 v26, 1, v61
	v_xor_b32_e32 v28, v28, v20
	v_xor_b32_e32 v24, v23, v20
	v_and_b32_e32 v26, 8, v26
	v_or_b32_e32 v28, v28, v22
	v_or_b32_e32 v24, v24, v22
	v_lshlrev_b32_e32 v27, 7, v71
	v_xor_b32_e32 v93, v28, v26
	v_or_b32_e32 v28, 64, v23
	v_or_b32_e32 v23, 0x60, v23
	v_xor_b32_e32 v91, v24, v26
	v_or_b32_e32 v24, v27, v38
	v_xor_b32_e32 v28, v28, v20
	v_xor_b32_e32 v20, v23, v20
	s_lshl_b64 s[0:1], s[38:39], 8
	v_lshlrev_b32_e32 v24, 1, v24
	v_or_b32_e32 v28, v28, v22
	v_or_b32_e32 v20, v20, v22
	s_add_u32 s0, s18, s0
	v_lshlrev_b32_e32 v22, 1, v72
	v_or_b32_e32 v92, 0xa000, v24
	v_or_b32_e32 v94, 0xa080, v24
	;; [unrolled: 1-line block ×4, first 2 shown]
	v_lshrrev_b32_e32 v24, 4, v0
	s_addc_u32 s1, s19, s1
	v_or_b32_e32 v23, 1, v22
	v_mov_b32_e32 v33, 0x4000
	v_mov_b32_e32 v34, 0x2000
	v_lshrrev_b32_e32 v35, 1, v0
	v_xor_b32_e32 v95, v28, v26
	v_xor_b32_e32 v96, v20, v26
	;; [unrolled: 1-line block ×4, first 2 shown]
	v_lshl_add_u64 v[22:23], s[0:1], 0, v[64:65]
	v_lshlrev_b32_e32 v64, 8, v24
	v_cndmask_b32_e32 v33, v33, v34, vcc
	v_lshlrev_b32_e32 v34, 3, v70
	v_and_b32_e32 v35, 24, v35
	v_lshl_or_b32 v99, v26, 3, v64
	v_and_b32_e32 v26, 8, v0
	v_xor_b32_e32 v36, v34, v35
	v_or_b32_e32 v37, 0x440, v36
	v_cmp_eq_u32_e32 vcc, 0, v26
	v_and_b32_e32 v24, 7, v0
	v_lshl_or_b32 v100, v30, 3, v64
	v_cndmask_b32_e32 v26, v37, v36, vcc
	v_lshlrev_b32_e32 v30, 3, v24
	v_lshlrev_b32_e32 v32, 2, v0
	v_or_b32_e32 v26, v26, v25
	v_xor_b32_e32 v36, v26, v30
	v_and_or_b32 v26, v32, 60, v27
	v_mov_b32_e32 v27, 0xb000
	v_lshl_or_b32 v101, v26, 1, v27
	v_or_b32_e32 v26, 32, v35
	v_xor_b32_e32 v26, v34, v26
	v_or_b32_e32 v27, 0x440, v26
	v_cndmask_b32_e32 v26, v27, v26, vcc
	v_or_b32_e32 v26, v26, v25
	v_xor_b32_e32 v27, v26, v30
	v_or_b32_e32 v26, 64, v35
	v_xor_b32_e32 v26, v34, v26
	v_xor_b32_e32 v38, 0x440, v26
	v_cndmask_b32_e32 v26, v38, v26, vcc
	v_or_b32_e32 v26, v26, v25
	v_xor_b32_e32 v38, v26, v30
	v_or_b32_e32 v26, 0x60, v35
	v_xor_b32_e32 v26, v34, v26
	v_xor_b32_e32 v34, 0x440, v26
	v_cndmask_b32_e32 v26, v34, v26, vcc
	v_lshrrev_b32_e32 v21, 2, v61
	v_or_b32_e32 v25, v26, v25
	v_and_b32_e32 v21, 12, v21
	v_xor_b32_e32 v25, v25, v30
	v_lshlrev_b32_e32 v20, 7, v75
	v_lshlrev_b32_e32 v28, 1, v19
	v_add_lshl_u32 v19, v19, s15, 1
	v_or_b32_e32 v29, 0x100, v18
	v_lshlrev_b32_e32 v31, 7, v24
	v_or_b32_e32 v24, v21, v1
	v_add_u32_e32 v37, v33, v36
	v_add_u32_e32 v32, v33, v27
	;; [unrolled: 1-line block ×4, first 2 shown]
	v_or3_b32 v26, v1, v21, 64
	v_add_u32_e32 v21, 0x4000, v36
	v_add_u32_e32 v27, 0x4000, v27
	;; [unrolled: 1-line block ×4, first 2 shown]
	v_cndmask_b32_e64 v102, v28, v18, s[2:3]
	v_cndmask_b32_e64 v103, v19, v29, s[2:3]
	v_lshl_add_u64 v[68:69], v[22:23], 0, v[64:65]
	v_lshlrev_b32_e32 v64, 1, v20
	v_lshlrev_b32_e32 v63, 2, v24
	v_add_u32_e32 v104, v37, v31
	v_add_u32_e32 v105, v32, v31
	;; [unrolled: 1-line block ×4, first 2 shown]
	v_lshlrev_b32_e32 v108, 2, v26
	v_add_u32_e32 v109, v21, v31
	v_add_u32_e32 v110, v27, v31
	v_add_u32_e32 v111, v33, v31
	v_add_u32_e32 v112, v25, v31
	s_waitcnt lgkmcnt(0)
	s_barrier
.LBB452_32:                             ; =>This Inner Loop Header: Depth=1
	s_add_i32 s39, s60, 1
	s_cmp_lt_i32 s39, s48
	s_mov_b64 s[24:25], 0
	s_cselect_b64 s[2:3], -1, 0
	s_cmp_ge_i32 s39, s48
	s_mov_b64 s[20:21], 0
	s_cbranch_scc1 .LBB452_34
; %bb.33:                               ;   in Loop: Header=BB452_32 Depth=1
	s_add_i32 s0, s55, 64
	s_ashr_i32 s1, s0, 31
	s_add_u32 s0, s54, s0
	s_addc_u32 s1, s53, s1
	s_lshl_b64 s[0:1], s[0:1], 8
	s_add_u32 s20, s6, s0
	s_addc_u32 s21, s7, s1
.LBB452_34:                             ;   in Loop: Header=BB452_32 Depth=1
	v_cndmask_b32_e64 v18, 0, 1, s[2:3]
	v_cmp_ne_u32_e64 s[0:1], 1, v18
	s_andn2_b64 vcc, exec, s[2:3]
	s_cbranch_vccnz .LBB452_36
; %bb.35:                               ;   in Loop: Header=BB452_32 Depth=1
	s_add_i32 s2, s55, 64
	s_mul_hi_i32 s3, s2, s14
	s_mul_i32 s2, s2, s14
	s_add_u32 s2, s2, s51
	s_addc_u32 s3, s3, s56
	s_lshl_b64 s[2:3], s[2:3], 8
	s_add_u32 s24, s4, s2
	s_addc_u32 s25, s5, s3
.LBB452_36:                             ;   in Loop: Header=BB452_32 Depth=1
	v_perm_b32 v19, v17, v16, s37
	v_perm_b32 v18, v15, v14, s37
	;; [unrolled: 1-line block ×4, first 2 shown]
	ds_write_b64 v83, v[18:19]
	ds_write_b64 v84, v[20:21]
	;; [unrolled: 1-line block ×4, first 2 shown]
	v_perm_b32 v19, v9, v8, s37
	v_perm_b32 v18, v7, v6, s37
	;; [unrolled: 1-line block ×4, first 2 shown]
	ds_write_b64 v85, v[18:19]
	ds_write_b64 v86, v[20:21]
	;; [unrolled: 1-line block ×4, first 2 shown]
	s_waitcnt lgkmcnt(0)
	s_barrier
	ds_read_b64 v[22:23], v91 offset:24576
	ds_read2_b64 v[18:21], v92 offset1:16
	ds_read_b64 v[26:27], v94 offset:3072
	ds_read_b64 v[28:29], v92 offset:3072
	;; [unrolled: 1-line block ×3, first 2 shown]
	s_waitcnt lgkmcnt(3)
	v_mfma_f32_16x16x16_bf16 a[0:3], v[22:23], v[18:19], 0
	s_add_i32 s61, s55, 63
	s_ashr_i32 s2, s61, 31
	s_mul_i32 s3, s61, s29
	v_mfma_f32_16x16x16_bf16 a[4:7], v[22:23], v[20:21], 0
	ds_read2st64_b64 v[18:21], v92 offset0:2 offset1:4
	s_mul_hi_u32 s27, s61, s28
	s_add_i32 s3, s27, s3
	s_waitcnt lgkmcnt(0)
	v_mfma_f32_16x16x16_bf16 a[0:3], v[30:31], v[18:19], a[0:3]
	ds_read2st64_b64 v[22:25], v94 offset0:2 offset1:4
	ds_read_b64 v[18:19], v95 offset:24576
	s_mul_i32 s2, s2, s28
	s_add_i32 s3, s3, s2
	s_waitcnt lgkmcnt(1)
	v_mfma_f32_16x16x16_bf16 a[4:7], v[30:31], v[22:23], a[4:7]
	ds_read_b64 v[22:23], v96 offset:24576
	s_mul_i32 s2, s61, s28
	s_lshl_b64 s[2:3], s[2:3], 2
	s_waitcnt lgkmcnt(1)
	v_mfma_f32_16x16x16_bf16 a[0:3], v[18:19], v[20:21], a[0:3]
	s_add_u32 s2, s40, s2
	s_addc_u32 s3, s41, s3
	s_and_b64 vcc, exec, s[0:1]
	v_mfma_f32_16x16x16_bf16 a[4:7], v[18:19], v[24:25], a[4:7]
	v_mov_b32_e32 v116, 0
	v_mov_b32_e32 v115, 0
	;; [unrolled: 1-line block ×3, first 2 shown]
	s_waitcnt lgkmcnt(0)
	v_mfma_f32_16x16x16_bf16 a[0:3], v[22:23], v[28:29], a[0:3]
	v_mov_b32_e32 v18, 0
	v_mov_b32_e32 v19, 0
	;; [unrolled: 1-line block ×3, first 2 shown]
	v_mfma_f32_16x16x16_bf16 a[4:7], v[22:23], v[26:27], a[4:7]
	v_mov_b32_e32 v21, 0
	v_mov_b32_e32 v22, 0
	v_mov_b32_e32 v23, 0
	v_mov_b32_e32 v24, 0
	v_mov_b32_e32 v25, 0
	v_mov_b32_e32 v26, 0
	v_mov_b32_e32 v27, 0
	v_mov_b32_e32 v28, 0
	v_mov_b32_e32 v29, 0
	v_mov_b32_e32 v30, 0
	v_mov_b32_e32 v31, 0
	v_mov_b32_e32 v32, 0
	v_mov_b32_e32 v33, 0
	s_cbranch_vccnz .LBB452_38
; %bb.37:                               ;   in Loop: Header=BB452_32 Depth=1
	s_and_b32 s21, s21, 0xffff
	buffer_load_dwordx4 v[30:33], v79, s[20:23], 0 offen
	buffer_load_dwordx4 v[26:29], v79, s[20:23], s57 offen
	;; [unrolled: 1-line block ×4, first 2 shown]
	v_mov_b32_e32 v115, v81
	v_mov_b32_e32 v114, v82
.LBB452_38:                             ;   in Loop: Header=BB452_32 Depth=1
	ds_read_b64 v[38:39], v91 offset:32768
	ds_read2_b64 v[34:37], v97 offset1:16
	ds_read_b64 v[42:43], v93 offset:32768
	ds_read_b64 v[44:45], v95 offset:32768
	;; [unrolled: 1-line block ×3, first 2 shown]
	v_add_u32_e32 v48, s55, v75
	s_waitcnt lgkmcnt(3)
	v_mfma_f32_16x16x16_bf16 a[0:3], v[38:39], v[34:35], a[0:3]
	v_mul_lo_u32 v49, v48, s29
	v_mov_b32_e32 v117, 0
	v_mfma_f32_16x16x16_bf16 a[4:7], v[38:39], v[36:37], a[4:7]
	ds_read2st64_b64 v[34:37], v97 offset0:2 offset1:4
	ds_read2st64_b64 v[38:41], v98 offset0:2 offset1:4
	s_waitcnt lgkmcnt(1)
	v_mfma_f32_16x16x16_bf16 a[0:3], v[42:43], v[34:35], a[0:3]
	v_ashrrev_i32_e32 v34, 31, v48
	v_mul_lo_u32 v50, v34, s28
	v_mad_u64_u32 v[34:35], s[20:21], v48, s28, 0
	v_mfma_f32_16x16x16_bf16 a[0:3], v[44:45], v[36:37], a[0:3]
	v_add_u32_e32 v36, 1, v48
	v_ashrrev_i32_e32 v37, 31, v36
	v_add3_u32 v35, v35, v49, v50
	s_waitcnt lgkmcnt(0)
	v_mfma_f32_16x16x16_bf16 a[4:7], v[42:43], v[38:39], a[4:7]
	v_mul_lo_u32 v38, v37, s28
	v_mul_lo_u32 v39, v36, s29
	v_mad_u64_u32 v[36:37], s[20:21], v36, s28, 0
	v_add3_u32 v37, v37, v39, v38
	v_add_u32_e32 v38, 2, v48
	v_ashrrev_i32_e32 v39, 31, v38
	v_mul_lo_u32 v42, v39, s28
	v_mul_lo_u32 v43, v38, s29
	v_mad_u64_u32 v[38:39], s[20:21], v38, s28, 0
	v_add3_u32 v39, v39, v43, v42
	v_add_u32_e32 v42, 3, v48
	v_ashrrev_i32_e32 v43, 31, v42
	v_mul_lo_u32 v48, v43, s28
	v_mul_lo_u32 v49, v42, s29
	v_mad_u64_u32 v[42:43], s[20:21], v42, s28, 0
	v_add3_u32 v43, v43, v49, v48
	s_ashr_i32 s21, s55, 31
	v_lshl_add_u64 v[34:35], v[34:35], 2, s[40:41]
	v_lshl_add_u64 v[42:43], v[42:43], 2, s[40:41]
	s_add_u32 s20, s54, s55
	v_lshl_add_u64 v[36:37], v[36:37], 2, s[40:41]
	v_lshl_add_u64 v[38:39], v[38:39], 2, s[40:41]
	global_load_dword v48, v[34:35], off
	global_load_dword v49, v[36:37], off
	;; [unrolled: 1-line block ×3, first 2 shown]
	s_nop 0
	global_load_dword v42, v[42:43], off
	s_addc_u32 s21, s53, s21
	s_lshl_b64 s[20:21], s[20:21], 8
	v_lshl_add_u64 v[34:35], v[66:67], 0, s[20:21]
	v_lshl_add_u64 v[34:35], v[34:35], 0, v[64:65]
	global_load_ushort v43, v[34:35], off offset:256
	global_load_ushort v51, v[34:35], off
	global_load_ushort v52, v[34:35], off offset:768
	global_load_ushort v53, v[34:35], off offset:512
	ds_read_b64 v[36:37], v97 offset:3072
	ds_read_b64 v[38:39], v98 offset:3072
	global_load_ushort v54, v[34:35], off offset:800
	global_load_ushort v55, v[34:35], off offset:544
	;; [unrolled: 1-line block ×4, first 2 shown]
	s_load_dword s2, s[2:3], 0x0
	v_mfma_f32_16x16x16_bf16 a[4:7], v[44:45], v[40:41], a[4:7]
	s_and_b64 vcc, exec, s[0:1]
	s_waitcnt vmcnt(11) lgkmcnt(0)
	v_sub_f32_e32 v40, s2, v48
	v_mfma_f32_16x16x16_bf16 a[0:3], v[46:47], v[36:37], a[0:3]
	s_waitcnt vmcnt(10)
	v_sub_f32_e32 v45, s2, v49
	v_mul_f32_e32 v44, 0x3fb8aa3b, v40
	v_mul_f32_e32 v45, 0x3fb8aa3b, v45
	v_mfma_f32_16x16x16_bf16 a[4:7], v[46:47], v[38:39], a[4:7]
	s_waitcnt vmcnt(9)
	v_sub_f32_e32 v46, s2, v50
	s_waitcnt vmcnt(8)
	v_sub_f32_e32 v47, s2, v42
	v_mul_f32_e32 v46, 0x3fb8aa3b, v46
	v_mul_f32_e32 v47, 0x3fb8aa3b, v47
	v_exp_f32_e32 v44, v44
	v_exp_f32_e32 v45, v45
	;; [unrolled: 1-line block ×4, first 2 shown]
	v_accvgpr_read_b32 v39, a1
	v_accvgpr_read_b32 v35, a3
	;; [unrolled: 1-line block ×4, first 2 shown]
	s_waitcnt vmcnt(7)
	v_lshlrev_b32_e32 v41, 16, v43
	s_waitcnt vmcnt(6)
	v_lshlrev_b32_e32 v40, 16, v51
	;; [unrolled: 2-line block ×4, first 2 shown]
	v_pk_add_f32 v[38:39], v[40:41], v[38:39] neg_lo:[0,1] neg_hi:[0,1]
	v_pk_add_f32 v[34:35], v[42:43], v[34:35] neg_lo:[0,1] neg_hi:[0,1]
	v_pk_mul_f32 v[38:39], v[44:45], v[38:39]
	v_pk_mul_f32 v[34:35], v[46:47], v[34:35]
	v_accvgpr_read_b32 v41, a5
	v_perm_b32 v35, v35, v34, s37
	v_perm_b32 v34, v39, v38, s37
	s_waitcnt vmcnt(1)
	v_lshlrev_b32_e32 v39, 16, v56
	s_waitcnt vmcnt(0)
	v_lshlrev_b32_e32 v38, 16, v57
	v_accvgpr_read_b32 v40, a4
	v_accvgpr_read_b32 v37, a7
	;; [unrolled: 1-line block ×3, first 2 shown]
	v_pk_add_f32 v[38:39], v[38:39], v[40:41] neg_lo:[0,1] neg_hi:[0,1]
	v_lshlrev_b32_e32 v41, 16, v54
	v_lshlrev_b32_e32 v40, 16, v55
	v_pk_add_f32 v[36:37], v[40:41], v[36:37] neg_lo:[0,1] neg_hi:[0,1]
	v_pk_mul_f32 v[38:39], v[44:45], v[38:39]
	v_pk_mul_f32 v[36:37], v[46:47], v[36:37]
	v_mov_b32_e32 v40, 0
	v_perm_b32 v37, v37, v36, s37
	v_perm_b32 v36, v39, v38, s37
	ds_write2_b64 v84, v[34:35], v[36:37] offset1:16
	v_mov_b32_e32 v34, 0
	v_mov_b32_e32 v35, 0
	v_mov_b32_e32 v36, 0
	v_mov_b32_e32 v37, 0
	v_mov_b32_e32 v38, 0
	v_mov_b32_e32 v39, 0
	v_mov_b32_e32 v41, 0
	v_mov_b32_e32 v42, 0
	v_mov_b32_e32 v43, 0
	v_mov_b32_e32 v44, 0
	v_mov_b32_e32 v45, 0
	v_mov_b32_e32 v46, 0
	v_mov_b32_e32 v47, 0
	v_mov_b32_e32 v48, 0
	v_mov_b32_e32 v49, 0
	s_cbranch_vccnz .LBB452_40
; %bb.39:                               ;   in Loop: Header=BB452_32 Depth=1
	s_and_b32 s25, s25, 0xffff
	s_mov_b32 s27, s23
	buffer_load_dwordx4 v[46:49], v102, s[24:27], 0 offen
	buffer_load_dwordx4 v[38:41], v102, s[24:27], s57 offen
	;; [unrolled: 1-line block ×4, first 2 shown]
	v_mov_b32_e32 v116, v78
	v_mov_b32_e32 v117, v77
.LBB452_40:                             ;   in Loop: Header=BB452_32 Depth=1
	s_waitcnt lgkmcnt(0)
	s_barrier
	ds_read_b64 v[54:55], v104
	ds_read_b64 v[122:123], v101
	;; [unrolled: 1-line block ×5, first 2 shown]
	ds_read_b64 v[136:137], v98 offset:3072
	ds_read2_b64 v[50:53], v97 offset0:16 offset1:128
	s_waitcnt lgkmcnt(5)
	v_mfma_f32_16x16x16_bf16 a[0:3], v[54:55], v[122:123], 0
	ds_read2st64_b64 v[56:59], v98 offset0:2 offset1:4
	s_add_i32 s3, s52, s60
	s_mul_hi_i32 s21, s3, s13
	s_waitcnt lgkmcnt(1)
	v_mfma_f32_16x16x16_bf16 a[4:7], v[54:55], v[50:51], 0
	ds_read_b64 v[54:55], v109
	s_mul_i32 s3, s3, s13
	s_add_u32 s20, s3, s47
	s_waitcnt lgkmcnt(1)
	v_mfma_f32_16x16x16_bf16 a[4:7], v[124:125], v[56:57], a[4:7]
	s_addc_u32 s21, s21, s49
	s_lshl_b64 s[20:21], s[20:21], 15
	s_mul_i32 s24, s61, s13
	s_mul_hi_i32 s3, s61, s13
	s_add_u32 s24, s24, s47
	v_mfma_f32_16x16x16_bf16 a[8:11], v[126:127], v[58:59], a[4:7]
	s_addc_u32 s25, s3, s49
	ds_read2st64_b64 v[118:121], v97 offset0:4 offset1:6
	s_lshl_b64 s[24:25], s[24:25], 9
	s_waitcnt lgkmcnt(1)
	v_mfma_f32_16x16x16_bf16 a[4:7], v[54:55], v[122:123], 0
	s_add_u32 s24, s16, s24
	s_addc_u32 s25, s17, s25
	v_mfma_f32_16x16x16_bf16 a[0:3], v[124:125], v[52:53], a[0:3]
	ds_read_b64 v[124:125], v110
	ds_read_b64 v[132:133], v111
	;; [unrolled: 1-line block ×3, first 2 shown]
	v_mfma_f32_16x16x16_bf16 a[12:15], v[54:55], v[50:51], 0
	s_waitcnt lgkmcnt(2)
	v_mfma_f32_16x16x16_bf16 a[4:7], v[124:125], v[52:53], a[4:7]
	global_load_dwordx4 v[50:53], v108, s[24:25]
	v_mfma_f32_16x16x16_bf16 a[12:15], v[124:125], v[56:57], a[12:15]
	global_load_dwordx4 v[54:57], v63, s[24:25]
	ds_read2st64_b64 v[122:125], v99 offset1:8
	s_waitcnt lgkmcnt(0)
	v_mov_b32_e32 v130, v122
	v_mfma_f32_16x16x16_bf16 a[0:3], v[126:127], v[118:119], a[0:3]
	ds_read2st64_b64 v[126:129], v100 offset1:8
	v_mov_b32_e32 v131, v123
	v_mfma_f32_16x16x16_bf16 a[16:19], v[132:133], v[118:119], a[4:7]
	v_lshl_add_u64 v[118:119], v[68:69], 0, s[20:21]
	v_mfma_f32_16x16x16_bf16 a[20:23], v[132:133], v[58:59], a[12:15]
	v_add_co_u32_e32 v58, vcc, s35, v118
	s_waitcnt lgkmcnt(0)
	v_mov_b32_e32 v132, v126
	v_mfma_f32_16x16x16_bf16 a[4:7], v[134:135], v[120:121], a[0:3]
	v_mov_b32_e32 v133, v127
	v_mov_b32_e32 v126, v124
	;; [unrolled: 1-line block ×3, first 2 shown]
	v_mfma_f32_16x16x16_bf16 a[8:11], v[134:135], v[136:137], a[8:11]
	v_addc_co_u32_e32 v59, vcc, 0, v119, vcc
	global_store_dwordx4 v[58:59], v[126:129], off
	v_mfma_f32_16x16x16_bf16 a[12:15], v[138:139], v[120:121], a[16:19]
	s_and_b64 vcc, exec, s[0:1]
	global_store_dwordx4 v[118:119], v[130:133], off
	s_waitcnt vmcnt(3)
	v_mov_b32_e32 v60, v53
	v_mfma_f32_16x16x16_bf16 a[0:3], v[138:139], v[136:137], a[20:23]
	v_mov_b32_e32 v59, v52
	v_mov_b32_e32 v58, v51
	s_cbranch_vccnz .LBB452_42
; %bb.41:                               ;   in Loop: Header=BB452_32 Depth=1
	v_lshrrev_b32_e32 v51, 3, v116
	v_and_b32_e32 v51, 6, v51
	v_xor_b32_e32 v52, v51, v117
	v_lshlrev_b32_e32 v52, 2, v52
	v_and_b32_e32 v53, 8, v116
	v_xor_b32_e32 v116, 0x440, v52
	v_cmp_eq_u32_e32 vcc, 0, v53
	v_perm_b32 v53, v38, v34, s58
	s_nop 0
	v_cndmask_b32_e32 v52, v116, v52, vcc
	v_lshl_or_b32 v51, v51, 10, v52
	v_perm_b32 v52, v46, v42, s58
	s_barrier
	ds_write2st64_b32 v51, v52, v53 offset0:32 offset1:64
	v_xor_b32_e32 v52, 8, v51
	v_perm_b32 v42, v46, v42, s59
	v_perm_b32 v34, v38, v34, s59
	v_add_u32_e32 v38, 0x80, v52
	ds_write2st64_b32 v38, v42, v34 offset0:32 offset1:64
	v_xor_b32_e32 v34, 16, v51
	v_perm_b32 v38, v47, v43, s58
	v_perm_b32 v42, v39, v35, s58
	ds_write2st64_b32 v34, v38, v42 offset0:33 offset1:65
	v_xor_b32_e32 v34, 24, v51
	v_perm_b32 v38, v47, v43, s59
	v_perm_b32 v35, v39, v35, s59
	v_add_u32_e32 v34, 0x80, v34
	ds_write2st64_b32 v34, v38, v35 offset0:33 offset1:65
	v_xor_b32_e32 v34, 32, v51
	v_perm_b32 v35, v48, v44, s58
	v_perm_b32 v38, v40, v36, s58
	;; [unrolled: 9-line block ×3, first 2 shown]
	ds_write2st64_b32 v34, v35, v36 offset0:35 offset1:67
	v_xor_b32_e32 v34, 56, v51
	v_perm_b32 v35, v49, v45, s59
	v_perm_b32 v36, v41, v37, s59
	v_add_u32_e32 v34, 0x80, v34
	ds_write2st64_b32 v34, v35, v36 offset0:35 offset1:67
	ds_write_b64 v115, v[30:31] offset:24576
	v_xor_b32_e32 v30, 8, v115
	ds_write_b64 v30, v[32:33] offset:24576
	ds_write_b64 v115, v[26:27] offset:32768
	;; [unrolled: 1-line block ×4, first 2 shown]
	v_xor_b32_e32 v22, 8, v114
	ds_write_b64 v22, v[24:25] offset:24576
	ds_write_b64 v114, v[18:19] offset:32768
	;; [unrolled: 1-line block ×3, first 2 shown]
.LBB452_42:                             ;   in Loop: Header=BB452_32 Depth=1
	v_mul_f32_e32 v22, s2, v113
	v_exp_f32_e32 v34, v22
	s_waitcnt vmcnt(2)
	v_mul_f32_e32 v22, 0x3fb8aa3b, v54
	v_exp_f32_e32 v36, v22
	v_mul_f32_e32 v22, 0x3fb8aa3b, v55
	v_exp_f32_e32 v37, v22
	;; [unrolled: 2-line block ×4, first 2 shown]
	v_accvgpr_read_b32 v29, a7
	v_accvgpr_read_b32 v27, a5
	;; [unrolled: 1-line block ×4, first 2 shown]
	v_pk_mul_f32 v[36:37], v[34:35], v[36:37] op_sel_hi:[0,1]
	v_accvgpr_read_b32 v20, a10
	v_pk_fma_f32 v[14:15], v[14:15], v[36:37], v[26:27]
	v_pk_mul_f32 v[26:27], v[34:35], v[38:39] op_sel_hi:[0,1]
	v_accvgpr_read_b32 v28, a6
	v_accvgpr_read_b32 v19, a9
	;; [unrolled: 1-line block ×3, first 2 shown]
	v_fma_f32 v8, v8, v26, v20
	v_mul_f32_e32 v20, 0x3fb8aa3b, v59
	v_pk_fma_f32 v[16:17], v[16:17], v[26:27], v[28:29]
	v_fma_f32 v6, v6, v36, v18
	v_fma_f32 v7, v7, v37, v19
	v_mul_f32_e32 v18, 0x3fb8aa3b, v50
	v_mul_f32_e32 v19, 0x3fb8aa3b, v58
	v_exp_f32_e32 v28, v20
	v_mul_f32_e32 v20, 0x3fb8aa3b, v60
	v_exp_f32_e32 v18, v18
	v_exp_f32_e32 v19, v19
	;; [unrolled: 1-line block ×3, first 2 shown]
	v_accvgpr_read_b32 v33, a15
	v_accvgpr_read_b32 v25, a3
	;; [unrolled: 1-line block ×8, first 2 shown]
	v_fmac_f32_e32 v21, v9, v27
	v_pk_mul_f32 v[18:19], v[34:35], v[18:19] op_sel_hi:[0,1]
	v_pk_mul_f32 v[26:27], v[34:35], v[28:29] op_sel_hi:[0,1]
	s_add_i32 s55, s55, 64
	v_pk_fma_f32 v[10:11], v[10:11], v[18:19], v[30:31]
	v_pk_fma_f32 v[12:13], v[12:13], v[26:27], v[32:33]
	v_fma_f32 v2, v2, v18, v22
	v_fma_f32 v3, v3, v19, v23
	;; [unrolled: 1-line block ×3, first 2 shown]
	s_cmp_eq_u32 s48, s39
	v_fmac_f32_e32 v25, v5, v27
	s_cbranch_scc1 .LBB452_4
; %bb.43:                               ;   in Loop: Header=BB452_32 Depth=1
	s_mov_b32 s60, s39
	v_mov_b32_e32 v9, v21
	v_mov_b32_e32 v5, v25
	s_branch .LBB452_32
.LBB452_44:
                                        ; implicit-def: $vgpr5
                                        ; implicit-def: $vgpr9
                                        ; implicit-def: $vgpr13
                                        ; implicit-def: $vgpr17
	s_cbranch_execz .LBB452_46
; %bb.45:
	s_waitcnt vmcnt(0)
	v_mad_u64_u32 v[2:3], s[0:1], v20, s15, v[18:19]
	v_lshlrev_b32_e32 v20, 1, v2
	s_lshl_b32 s2, s15, 7
	s_and_b32 s1, s5, 0xffff
	s_mov_b32 s3, 0x20000
	s_mov_b32 s0, s4
	v_add_lshl_u32 v21, v2, s15, 1
	s_movk_i32 s13, 0x80
	buffer_load_dwordx4 v[2:5], v20, s[0:3], 0 offen
	buffer_load_dwordx4 v[10:13], v20, s[0:3], s13 offen
	;; [unrolled: 1-line block ×4, first 2 shown]
.LBB452_46:
	v_lshrrev_b32_e32 v30, 2, v61
	s_cbranch_execnz .LBB452_59
.LBB452_47:
	s_and_b64 vcc, exec, s[6:7]
	s_cbranch_vccz .LBB452_57
; %bb.48:
	s_waitcnt vmcnt(0)
	v_lshlrev_b32_e32 v7, 1, v23
	v_cmp_gt_i32_e32 vcc, s27, v7
	v_mov_b32_e32 v6, 0
	v_lshlrev_b32_e32 v14, 9, v23
	v_mov_b32_e32 v2, 0
	v_mov_b32_e32 v3, 0
	;; [unrolled: 1-line block ×4, first 2 shown]
	s_and_saveexec_b64 s[0:1], vcc
	s_cbranch_execz .LBB452_50
; %bb.49:
	v_mov_b32_e32 v15, 0
	v_lshl_add_u64 v[2:3], s[4:5], 0, v[14:15]
	v_lshlrev_b32_e32 v4, 1, v18
	v_mov_b32_e32 v5, v15
	v_lshl_add_u64 v[2:3], v[2:3], 0, v[4:5]
	global_load_dwordx4 v[2:5], v[2:3], off
.LBB452_50:
	s_or_b64 exec, exec, s[0:1]
	v_or_b32_e32 v7, 1, v7
	v_cmp_gt_i32_e64 s[0:1], s27, v7
	v_lshlrev_b32_e32 v20, 8, v7
	v_mov_b32_e32 v7, 0
	v_mov_b32_e32 v8, 0
	;; [unrolled: 1-line block ×3, first 2 shown]
	s_and_saveexec_b64 s[2:3], s[0:1]
	s_cbranch_execz .LBB452_52
; %bb.51:
	v_mov_b32_e32 v21, 0
	v_lshl_add_u64 v[6:7], s[4:5], 0, v[20:21]
	v_lshlrev_b32_e32 v8, 1, v18
	v_mov_b32_e32 v9, v21
	v_lshl_add_u64 v[6:7], v[6:7], 0, v[8:9]
	global_load_dwordx4 v[6:9], v[6:7], off
.LBB452_52:
	s_or_b64 exec, exec, s[2:3]
	v_mov_b32_e32 v17, 0
	v_mov_b32_e32 v10, 0
	;; [unrolled: 1-line block ×5, first 2 shown]
	s_and_saveexec_b64 s[2:3], vcc
	s_cbranch_execz .LBB452_54
; %bb.53:
	v_mov_b32_e32 v15, 0
	v_lshl_add_u64 v[10:11], s[4:5], 0, v[14:15]
	v_lshlrev_b32_e32 v14, 1, v18
	v_lshl_add_u64 v[10:11], v[10:11], 0, v[14:15]
	global_load_dwordx4 v[10:13], v[10:11], off offset:128
.LBB452_54:
	s_or_b64 exec, exec, s[2:3]
	v_mov_b32_e32 v16, 0
	v_mov_b32_e32 v15, 0
	;; [unrolled: 1-line block ×3, first 2 shown]
	s_and_saveexec_b64 s[2:3], s[0:1]
	s_cbranch_execz .LBB452_56
; %bb.55:
	v_mov_b32_e32 v21, 0
	v_lshl_add_u64 v[14:15], s[4:5], 0, v[20:21]
	v_lshlrev_b32_e32 v20, 1, v18
	v_lshl_add_u64 v[14:15], v[14:15], 0, v[20:21]
	global_load_dwordx4 v[14:17], v[14:15], off offset:128
.LBB452_56:
	s_or_b64 exec, exec, s[2:3]
	s_branch .LBB452_59
.LBB452_57:
                                        ; implicit-def: $vgpr5
                                        ; implicit-def: $vgpr9
                                        ; implicit-def: $vgpr13
                                        ; implicit-def: $vgpr17
	s_cbranch_execz .LBB452_59
; %bb.58:
	s_waitcnt vmcnt(0)
	v_lshlrev_b32_e32 v2, 1, v18
	v_lshl_or_b32 v18, v23, 9, v2
	s_and_b32 s5, s5, 0xffff
	s_mov_b32 s7, 0x20000
	s_movk_i32 s6, 0x4000
	s_movk_i32 s0, 0x80
	buffer_load_dwordx4 v[2:5], v18, s[4:7], 0 offen
	buffer_load_dwordx4 v[6:9], v18, s[4:7], 0 offen offset:256
	buffer_load_dwordx4 v[10:13], v18, s[4:7], s0 offen
	buffer_load_dwordx4 v[14:17], v18, s[4:7], s0 offen offset:256
.LBB452_59:
	ds_read_b64 v[20:21], v25 offset:32768
	v_add_u32_e32 v18, 0xb000, v24
	ds_read2_b64 v[32:35], v18 offset1:16
	ds_read_b64 v[40:41], v26 offset:32768
	ds_read_b64 v[26:27], v27 offset:32768
	;; [unrolled: 1-line block ×3, first 2 shown]
	v_and_b32_e32 v18, 6, v0
	v_xor_b32_e32 v23, v23, v18
	v_lshlrev_b32_e32 v23, 2, v23
	v_and_b32_e32 v0, 1, v0
	v_xor_b32_e32 v28, 0x440, v23
	v_cmp_eq_u32_e32 vcc, 0, v0
	s_waitcnt lgkmcnt(3)
	v_mfma_f32_16x16x16_bf16 a[0:3], v[20:21], v[32:33], a[0:3]
	s_mov_b32 s0, 0x1000504
	v_cndmask_b32_e32 v0, v28, v23, vcc
	v_lshl_or_b32 v0, v18, 10, v0
	v_mfma_f32_16x16x16_bf16 a[4:7], v[20:21], v[34:35], a[4:7]
	ds_read2st64_b64 v[32:35], v24 offset0:90 offset1:92
	ds_read2st64_b64 v[36:39], v29 offset0:90 offset1:92
	ds_read_b64 v[20:21], v24 offset:48128
	ds_read_b64 v[24:25], v29 offset:48128
	s_waitcnt vmcnt(0)
	v_perm_b32 v18, v2, v6, s0
	s_waitcnt lgkmcnt(3)
	v_mfma_f32_16x16x16_bf16 a[0:3], v[40:41], v[32:33], a[0:3]
	s_mov_b32 s1, 0x3020706
	v_perm_b32 v2, v2, v6, s1
	v_perm_b32 v6, v10, v14, s1
	s_waitcnt lgkmcnt(2)
	v_mfma_f32_16x16x16_bf16 a[4:7], v[40:41], v[36:37], a[4:7]
	v_mfma_f32_16x16x16_bf16 a[0:3], v[26:27], v[34:35], a[0:3]
	;; [unrolled: 1-line block ×3, first 2 shown]
	s_waitcnt lgkmcnt(1)
	v_mfma_f32_16x16x16_bf16 a[4:7], v[42:43], v[20:21], a[0:3]
	v_perm_b32 v20, v10, v14, s0
	ds_write2st64_b32 v0, v18, v20 offset0:32 offset1:64
	v_xor_b32_e32 v18, 8, v0
	v_add_u32_e32 v10, 0x80, v18
	ds_write2st64_b32 v10, v2, v6 offset0:32 offset1:64
	v_xor_b32_e32 v2, 16, v0
	v_perm_b32 v6, v3, v7, s0
	v_perm_b32 v10, v11, v15, s0
	ds_write2st64_b32 v2, v6, v10 offset0:33 offset1:65
	v_xor_b32_e32 v2, 24, v0
	v_perm_b32 v3, v3, v7, s1
	v_perm_b32 v6, v11, v15, s1
	v_add_u32_e32 v2, 0x80, v2
	ds_write2st64_b32 v2, v3, v6 offset0:33 offset1:65
	v_xor_b32_e32 v2, 32, v0
	v_perm_b32 v3, v4, v8, s0
	v_perm_b32 v6, v12, v16, s0
	ds_write2st64_b32 v2, v3, v6 offset0:34 offset1:66
	v_xor_b32_e32 v2, 40, v0
	s_waitcnt lgkmcnt(5)
	v_mfma_f32_16x16x16_bf16 a[0:3], v[42:43], v[24:25], a[8:11]
	v_perm_b32 v3, v4, v8, s1
	v_perm_b32 v4, v12, v16, s1
	v_add_u32_e32 v2, 0x80, v2
	ds_write2st64_b32 v2, v3, v4 offset0:34 offset1:66
	v_xor_b32_e32 v2, 48, v0
	v_perm_b32 v3, v5, v9, s0
	v_perm_b32 v4, v13, v17, s0
	ds_write2st64_b32 v2, v3, v4 offset0:35 offset1:67
	v_xor_b32_e32 v0, 56, v0
	v_perm_b32 v3, v13, v17, s1
	v_and_or_b32 v17, v30, 12, v1
	v_perm_b32 v2, v5, v9, s1
	v_add_u32_e32 v0, 0x80, v0
	v_cmp_gt_i32_e32 vcc, s27, v17
	v_mov_b32_e32 v14, 0
	v_mov_b32_e32 v16, 0
	ds_write2st64_b32 v0, v2, v3 offset0:35 offset1:67
	s_and_saveexec_b64 s[0:1], vcc
	s_cbranch_execz .LBB452_61
; %bb.60:
	v_add_u32_e32 v0, s26, v17
	v_ashrrev_i32_e32 v1, 31, v0
	v_mul_lo_u32 v2, v1, s28
	v_mul_lo_u32 v3, v0, s29
	v_mad_u64_u32 v[0:1], s[2:3], v0, s28, 0
	v_add3_u32 v1, v1, v3, v2
	v_lshl_add_u64 v[0:1], v[0:1], 2, s[10:11]
	global_load_dword v0, v[0:1], off
	s_waitcnt vmcnt(0)
	v_sub_f32_e32 v0, s12, v0
	v_mul_f32_e32 v0, 0x3fb8aa3b, v0
	v_exp_f32_e32 v16, v0
.LBB452_61:
	s_or_b64 exec, exec, s[0:1]
	v_or_b32_e32 v8, 1, v17
	v_cmp_gt_i32_e64 s[0:1], s27, v8
	s_and_saveexec_b64 s[2:3], s[0:1]
	s_cbranch_execz .LBB452_63
; %bb.62:
	v_add_u32_e32 v0, s26, v8
	v_ashrrev_i32_e32 v1, 31, v0
	v_mul_lo_u32 v2, v1, s28
	v_mul_lo_u32 v3, v0, s29
	v_mad_u64_u32 v[0:1], s[4:5], v0, s28, 0
	v_add3_u32 v1, v1, v3, v2
	v_lshl_add_u64 v[0:1], v[0:1], 2, s[10:11]
	global_load_dword v0, v[0:1], off
	s_waitcnt vmcnt(0)
	v_sub_f32_e32 v0, s12, v0
	v_mul_f32_e32 v0, 0x3fb8aa3b, v0
	v_exp_f32_e32 v14, v0
.LBB452_63:
	s_or_b64 exec, exec, s[2:3]
	v_or_b32_e32 v10, 2, v17
	v_cmp_gt_i32_e64 s[2:3], s27, v10
	v_mov_b32_e32 v15, 0
	v_mov_b32_e32 v18, 0
	s_and_saveexec_b64 s[4:5], s[2:3]
	s_cbranch_execz .LBB452_65
; %bb.64:
	v_add_u32_e32 v0, s26, v10
	v_ashrrev_i32_e32 v1, 31, v0
	v_mul_lo_u32 v2, v1, s28
	v_mul_lo_u32 v3, v0, s29
	v_mad_u64_u32 v[0:1], s[6:7], v0, s28, 0
	v_add3_u32 v1, v1, v3, v2
	v_lshl_add_u64 v[0:1], v[0:1], 2, s[10:11]
	global_load_dword v0, v[0:1], off
	s_waitcnt vmcnt(0)
	v_sub_f32_e32 v0, s12, v0
	v_mul_f32_e32 v0, 0x3fb8aa3b, v0
	v_exp_f32_e32 v18, v0
.LBB452_65:
	s_or_b64 exec, exec, s[4:5]
	v_or_b32_e32 v12, 3, v17
	v_cmp_gt_i32_e64 s[4:5], s27, v12
	s_and_saveexec_b64 s[6:7], s[4:5]
	s_cbranch_execz .LBB452_67
; %bb.66:
	v_add_u32_e32 v0, s26, v12
	v_ashrrev_i32_e32 v1, 31, v0
	v_mul_lo_u32 v2, v1, s28
	v_mul_lo_u32 v3, v0, s29
	v_mad_u64_u32 v[0:1], s[14:15], v0, s28, 0
	v_add3_u32 v1, v1, v3, v2
	v_lshl_add_u64 v[0:1], v[0:1], 2, s[10:11]
	global_load_dword v0, v[0:1], off
	s_waitcnt vmcnt(0)
	v_sub_f32_e32 v0, s12, v0
	v_mul_f32_e32 v0, 0x3fb8aa3b, v0
	v_exp_f32_e32 v15, v0
.LBB452_67:
	s_or_b64 exec, exec, s[6:7]
	s_add_u32 s6, s8, s20
	v_accvgpr_read_b32 v0, a4
	s_addc_u32 s7, s9, s21
	v_ashrrev_i32_e32 v63, 31, v62
	v_accvgpr_read_b32 v1, a5
	v_accvgpr_read_b32 v2, a6
	;; [unrolled: 1-line block ×3, first 2 shown]
	v_lshl_add_u64 v[4:5], v[62:63], 1, s[6:7]
	v_mov_b32_e32 v9, 0
	v_lshlrev_b32_e32 v6, 8, v17
	v_mov_b32_e32 v7, 0
	s_and_saveexec_b64 s[6:7], vcc
	s_cbranch_execz .LBB452_69
; %bb.68:
	v_mov_b32_e32 v7, 0
	v_lshl_add_u64 v[20:21], v[4:5], 0, v[6:7]
	global_load_ushort v7, v[20:21], off
	s_waitcnt vmcnt(0)
	v_lshlrev_b32_e32 v7, 16, v7
	v_sub_f32_e32 v0, v7, v0
	v_mul_f32_e32 v0, v16, v0
	v_lshrrev_b32_e32 v7, 16, v0
.LBB452_69:
	s_or_b64 exec, exec, s[6:7]
	v_lshlrev_b32_e32 v8, 8, v8
	s_and_saveexec_b64 s[6:7], s[0:1]
	s_cbranch_execz .LBB452_71
; %bb.70:
	v_mov_b32_e32 v9, 0
	v_lshl_add_u64 v[20:21], v[4:5], 0, v[8:9]
	global_load_ushort v0, v[20:21], off
	s_waitcnt vmcnt(0)
	v_lshlrev_b32_e32 v0, 16, v0
	v_sub_f32_e32 v0, v0, v1
	v_mul_f32_e32 v0, v14, v0
	v_lshrrev_b32_e32 v9, 16, v0
.LBB452_71:
	s_or_b64 exec, exec, s[6:7]
	v_mov_b32_e32 v13, 0
	v_lshlrev_b32_e32 v10, 8, v10
	v_mov_b32_e32 v11, 0
	s_and_saveexec_b64 s[6:7], s[2:3]
	s_cbranch_execz .LBB452_73
; %bb.72:
	v_mov_b32_e32 v11, 0
	v_lshl_add_u64 v[0:1], v[4:5], 0, v[10:11]
	global_load_ushort v0, v[0:1], off
	s_waitcnt vmcnt(0)
	v_lshlrev_b32_e32 v0, 16, v0
	v_sub_f32_e32 v0, v0, v2
	v_mul_f32_e32 v0, v18, v0
	v_lshrrev_b32_e32 v11, 16, v0
.LBB452_73:
	s_or_b64 exec, exec, s[6:7]
	v_lshlrev_b32_e32 v12, 8, v12
	s_and_saveexec_b64 s[6:7], s[4:5]
	s_cbranch_execz .LBB452_75
; %bb.74:
	v_mov_b32_e32 v13, 0
	v_lshl_add_u64 v[0:1], v[4:5], 0, v[12:13]
	global_load_ushort v0, v[0:1], off
	s_waitcnt vmcnt(0)
	v_lshlrev_b32_e32 v0, 16, v0
	v_sub_f32_e32 v0, v0, v3
	v_mul_f32_e32 v0, v15, v0
	v_lshrrev_b32_e32 v13, 16, v0
.LBB452_75:
	s_or_b64 exec, exec, s[6:7]
	v_lshlrev_b32_e32 v17, 5, v17
	s_mov_b32 s6, 0x5040100
	v_perm_b32 v20, v9, v7, s6
	v_or_b32_e32 v7, v17, v22
	v_accvgpr_read_b32 v0, a0
	v_perm_b32 v21, v13, v11, s6
	v_lshlrev_b32_e32 v7, 1, v7
	v_accvgpr_read_b32 v1, a1
	v_accvgpr_read_b32 v2, a2
	;; [unrolled: 1-line block ×3, first 2 shown]
	ds_write_b64 v7, v[20:21] offset:45056
	v_mov_b32_e32 v9, 0
	v_mov_b32_e32 v7, 0
	s_and_saveexec_b64 s[6:7], vcc
	s_cbranch_execz .LBB452_77
; %bb.76:
	v_mov_b32_e32 v7, 0
	v_lshl_add_u64 v[6:7], v[4:5], 0, v[6:7]
	global_load_ushort v6, v[6:7], off offset:32
	s_waitcnt vmcnt(0)
	v_lshlrev_b32_e32 v6, 16, v6
	v_sub_f32_e32 v0, v6, v0
	v_mul_f32_e32 v0, v16, v0
	v_lshrrev_b32_e32 v7, 16, v0
.LBB452_77:
	s_or_b64 exec, exec, s[6:7]
	s_and_saveexec_b64 s[6:7], s[0:1]
	s_cbranch_execz .LBB452_79
; %bb.78:
	v_mov_b32_e32 v9, 0
	v_lshl_add_u64 v[8:9], v[4:5], 0, v[8:9]
	global_load_ushort v0, v[8:9], off offset:32
	s_waitcnt vmcnt(0)
	v_lshlrev_b32_e32 v0, 16, v0
	v_sub_f32_e32 v0, v0, v1
	v_mul_f32_e32 v0, v14, v0
	v_lshrrev_b32_e32 v9, 16, v0
.LBB452_79:
	s_or_b64 exec, exec, s[6:7]
	v_mov_b32_e32 v0, 0
	v_mov_b32_e32 v1, 0
	s_and_saveexec_b64 s[0:1], s[2:3]
	s_cbranch_execz .LBB452_81
; %bb.80:
	v_mov_b32_e32 v11, 0
	v_lshl_add_u64 v[10:11], v[4:5], 0, v[10:11]
	global_load_ushort v1, v[10:11], off offset:32
	s_waitcnt vmcnt(0)
	v_lshlrev_b32_e32 v1, 16, v1
	v_sub_f32_e32 v1, v1, v2
	v_mul_f32_e32 v1, v18, v1
	v_lshrrev_b32_e32 v1, 16, v1
.LBB452_81:
	s_or_b64 exec, exec, s[0:1]
	s_and_saveexec_b64 s[0:1], s[4:5]
	s_cbranch_execz .LBB452_83
; %bb.82:
	v_mov_b32_e32 v13, 0
	v_lshl_add_u64 v[4:5], v[4:5], 0, v[12:13]
	global_load_ushort v0, v[4:5], off offset:32
	s_waitcnt vmcnt(0)
	v_lshlrev_b32_e32 v0, 16, v0
	v_sub_f32_e32 v0, v0, v3
	v_mul_f32_e32 v0, v15, v0
	v_lshrrev_b32_e32 v0, 16, v0
.LBB452_83:
	s_or_b64 exec, exec, s[0:1]
	s_mov_b32 s0, 0x5040100
	v_or_b32_e32 v2, v17, v19
	v_perm_b32 v1, v0, v1, s0
	v_perm_b32 v0, v9, v7, s0
	v_lshlrev_b32_e32 v2, 1, v2
	ds_write_b64 v2, v[0:1] offset:45056
	s_waitcnt lgkmcnt(0)
	s_barrier
.LBB452_84:
	s_endpgm
	.section	.rodata,"a",@progbits
	.p2align	6, 0x0
	.amdhsa_kernel _ZN12_GLOBAL__N_139chunk_gated_delta_rule_fwd_h_hip_kernelILi32ELb1ELb0ELb0ELb1ELb0ELb1ELb1ELb0EEEvPK12hip_bfloat16S3_S3_PKfS5_PKvPS1_S8_PvPKiSB_iiiiilll
		.amdhsa_group_segment_fixed_size 49152
		.amdhsa_private_segment_fixed_size 0
		.amdhsa_kernarg_size 136
		.amdhsa_user_sgpr_count 2
		.amdhsa_user_sgpr_dispatch_ptr 0
		.amdhsa_user_sgpr_queue_ptr 0
		.amdhsa_user_sgpr_kernarg_segment_ptr 1
		.amdhsa_user_sgpr_dispatch_id 0
		.amdhsa_user_sgpr_kernarg_preload_length 0
		.amdhsa_user_sgpr_kernarg_preload_offset 0
		.amdhsa_user_sgpr_private_segment_size 0
		.amdhsa_uses_dynamic_stack 0
		.amdhsa_enable_private_segment 0
		.amdhsa_system_sgpr_workgroup_id_x 1
		.amdhsa_system_sgpr_workgroup_id_y 1
		.amdhsa_system_sgpr_workgroup_id_z 0
		.amdhsa_system_sgpr_workgroup_info 0
		.amdhsa_system_vgpr_workitem_id 0
		.amdhsa_next_free_vgpr 164
		.amdhsa_next_free_sgpr 62
		.amdhsa_accum_offset 140
		.amdhsa_reserve_vcc 1
		.amdhsa_float_round_mode_32 0
		.amdhsa_float_round_mode_16_64 0
		.amdhsa_float_denorm_mode_32 3
		.amdhsa_float_denorm_mode_16_64 3
		.amdhsa_dx10_clamp 1
		.amdhsa_ieee_mode 1
		.amdhsa_fp16_overflow 0
		.amdhsa_tg_split 0
		.amdhsa_exception_fp_ieee_invalid_op 0
		.amdhsa_exception_fp_denorm_src 0
		.amdhsa_exception_fp_ieee_div_zero 0
		.amdhsa_exception_fp_ieee_overflow 0
		.amdhsa_exception_fp_ieee_underflow 0
		.amdhsa_exception_fp_ieee_inexact 0
		.amdhsa_exception_int_div_zero 0
	.end_amdhsa_kernel
	.section	.text._ZN12_GLOBAL__N_139chunk_gated_delta_rule_fwd_h_hip_kernelILi32ELb1ELb0ELb0ELb1ELb0ELb1ELb1ELb0EEEvPK12hip_bfloat16S3_S3_PKfS5_PKvPS1_S8_PvPKiSB_iiiiilll,"axG",@progbits,_ZN12_GLOBAL__N_139chunk_gated_delta_rule_fwd_h_hip_kernelILi32ELb1ELb0ELb0ELb1ELb0ELb1ELb1ELb0EEEvPK12hip_bfloat16S3_S3_PKfS5_PKvPS1_S8_PvPKiSB_iiiiilll,comdat
.Lfunc_end452:
	.size	_ZN12_GLOBAL__N_139chunk_gated_delta_rule_fwd_h_hip_kernelILi32ELb1ELb0ELb0ELb1ELb0ELb1ELb1ELb0EEEvPK12hip_bfloat16S3_S3_PKfS5_PKvPS1_S8_PvPKiSB_iiiiilll, .Lfunc_end452-_ZN12_GLOBAL__N_139chunk_gated_delta_rule_fwd_h_hip_kernelILi32ELb1ELb0ELb0ELb1ELb0ELb1ELb1ELb0EEEvPK12hip_bfloat16S3_S3_PKfS5_PKvPS1_S8_PvPKiSB_iiiiilll
                                        ; -- End function
	.section	.AMDGPU.csdata,"",@progbits
; Kernel info:
; codeLenInByte = 8580
; NumSgprs: 68
; NumVgprs: 140
; NumAgprs: 24
; TotalNumVgprs: 164
; ScratchSize: 0
; MemoryBound: 0
; FloatMode: 240
; IeeeMode: 1
; LDSByteSize: 49152 bytes/workgroup (compile time only)
; SGPRBlocks: 8
; VGPRBlocks: 20
; NumSGPRsForWavesPerEU: 68
; NumVGPRsForWavesPerEU: 164
; AccumOffset: 140
; Occupancy: 1
; WaveLimiterHint : 1
; COMPUTE_PGM_RSRC2:SCRATCH_EN: 0
; COMPUTE_PGM_RSRC2:USER_SGPR: 2
; COMPUTE_PGM_RSRC2:TRAP_HANDLER: 0
; COMPUTE_PGM_RSRC2:TGID_X_EN: 1
; COMPUTE_PGM_RSRC2:TGID_Y_EN: 1
; COMPUTE_PGM_RSRC2:TGID_Z_EN: 0
; COMPUTE_PGM_RSRC2:TIDIG_COMP_CNT: 0
; COMPUTE_PGM_RSRC3_GFX90A:ACCUM_OFFSET: 34
; COMPUTE_PGM_RSRC3_GFX90A:TG_SPLIT: 0
	.section	.text._ZN12_GLOBAL__N_139chunk_gated_delta_rule_fwd_h_hip_kernelILi32ELb0ELb1ELb1ELb1ELb0ELb1ELb1ELb0EEEvPK12hip_bfloat16S3_S3_PKfS5_PKvPS1_S8_PvPKiSB_iiiiilll,"axG",@progbits,_ZN12_GLOBAL__N_139chunk_gated_delta_rule_fwd_h_hip_kernelILi32ELb0ELb1ELb1ELb1ELb0ELb1ELb1ELb0EEEvPK12hip_bfloat16S3_S3_PKfS5_PKvPS1_S8_PvPKiSB_iiiiilll,comdat
	.globl	_ZN12_GLOBAL__N_139chunk_gated_delta_rule_fwd_h_hip_kernelILi32ELb0ELb1ELb1ELb1ELb0ELb1ELb1ELb0EEEvPK12hip_bfloat16S3_S3_PKfS5_PKvPS1_S8_PvPKiSB_iiiiilll ; -- Begin function _ZN12_GLOBAL__N_139chunk_gated_delta_rule_fwd_h_hip_kernelILi32ELb0ELb1ELb1ELb1ELb0ELb1ELb1ELb0EEEvPK12hip_bfloat16S3_S3_PKfS5_PKvPS1_S8_PvPKiSB_iiiiilll
	.p2align	8
	.type	_ZN12_GLOBAL__N_139chunk_gated_delta_rule_fwd_h_hip_kernelILi32ELb0ELb1ELb1ELb1ELb0ELb1ELb1ELb0EEEvPK12hip_bfloat16S3_S3_PKfS5_PKvPS1_S8_PvPKiSB_iiiiilll,@function
_ZN12_GLOBAL__N_139chunk_gated_delta_rule_fwd_h_hip_kernelILi32ELb0ELb1ELb1ELb1ELb0ELb1ELb1ELb0EEEvPK12hip_bfloat16S3_S3_PKfS5_PKvPS1_S8_PvPKiSB_iiiiilll: ; @_ZN12_GLOBAL__N_139chunk_gated_delta_rule_fwd_h_hip_kernelILi32ELb0ELb1ELb1ELb1ELb0ELb1ELb1ELb0EEEvPK12hip_bfloat16S3_S3_PKfS5_PKvPS1_S8_PvPKiSB_iiiiilll
; %bb.0:
	s_load_dwordx4 s[20:23], s[0:1], 0x5c
	s_load_dwordx2 s[40:41], s[0:1], 0x20
	s_abs_i32 s27, s3
	s_ashr_i32 s26, s3, 31
	s_load_dwordx2 s[24:25], s[0:1], 0x50
	s_load_dwordx8 s[4:11], s[0:1], 0x30
	s_load_dwordx8 s[12:19], s[0:1], 0x0
	s_waitcnt lgkmcnt(0)
	s_abs_i32 s30, s21
	v_cvt_f32_u32_e32 v1, s30
	s_sub_i32 s28, 0, s30
	s_ashr_i32 s33, s21, 31
	s_xor_b32 s26, s26, s33
	v_rcp_iflag_f32_e32 v1, v1
	v_lshrrev_b32_e32 v53, 6, v0
	v_bfe_u32 v64, v0, 4, 2
	v_lshlrev_b32_e32 v62, 4, v53
	v_mul_f32_e32 v1, 0x4f7ffffe, v1
	v_cvt_u32_f32_e32 v1, v1
	v_lshlrev_b32_e32 v18, 2, v64
	v_and_b32_e32 v63, 63, v0
	v_mov_b32_e32 v17, 0
	v_readfirstlane_b32 s29, v1
	s_mul_i32 s28, s28, s29
	s_mul_hi_u32 s28, s29, s28
	s_add_i32 s29, s29, s28
	s_mul_hi_u32 s28, s27, s29
	s_mul_i32 s29, s28, s30
	s_sub_i32 s27, s27, s29
	s_add_i32 s31, s28, 1
	s_sub_i32 s29, s27, s30
	s_cmp_ge_u32 s27, s30
	s_cselect_b32 s28, s31, s28
	s_cselect_b32 s27, s29, s27
	s_add_i32 s29, s28, 1
	s_cmp_ge_u32 s27, s30
	s_cselect_b32 s27, s29, s28
	s_xor_b32 s27, s27, s26
	s_sub_i32 s34, s27, s26
	s_mul_i32 s26, s34, s21
	s_ashr_i32 s35, s34, 31
	s_sub_i32 s48, s3, s26
	s_lshl_b64 s[26:27], s[34:35], 2
	s_add_u32 s10, s10, s26
	s_addc_u32 s11, s11, s27
	s_add_u32 s28, s24, s26
	s_addc_u32 s29, s25, s27
	s_abs_i32 s3, s22
	v_cvt_f32_u32_e32 v1, s3
	s_load_dwordx2 s[42:43], s[10:11], 0x0
	s_sub_i32 s11, 0, s3
	s_mov_b32 s49, s21
	v_rcp_iflag_f32_e32 v1, v1
	v_and_b32_e32 v65, 15, v0
	s_waitcnt lgkmcnt(0)
	s_sub_i32 s58, s43, s42
	s_ashr_i32 s10, s58, 31
	v_mul_f32_e32 v1, 0x4f7ffffe, v1
	v_cvt_u32_f32_e32 v1, v1
	s_lshr_b32 s10, s10, 26
	s_add_i32 s10, s58, s10
	s_ashr_i32 s53, s10, 6
	v_readfirstlane_b32 s24, v1
	s_mul_i32 s11, s11, s24
	s_mul_hi_u32 s11, s24, s11
	s_add_i32 s24, s24, s11
	s_mul_hi_u32 s11, s30, s24
	s_mul_i32 s24, s11, s3
	s_ashr_i32 s10, s22, 31
	s_sub_i32 s24, s30, s24
	s_xor_b32 s10, s33, s10
	s_add_i32 s25, s11, 1
	s_sub_i32 s26, s24, s3
	s_cmp_ge_u32 s24, s3
	s_cselect_b32 s11, s25, s11
	s_cselect_b32 s24, s26, s24
	s_add_i32 s25, s11, 1
	s_cmp_ge_u32 s24, s3
	s_cselect_b32 s3, s25, s11
	s_xor_b32 s3, s3, s10
	s_sub_i32 s3, s3, s10
	s_abs_i32 s30, s3
	v_cvt_f32_u32_e32 v1, s30
	s_load_dwordx2 s[10:11], s[0:1], 0x80
	s_load_dwordx4 s[24:27], s[0:1], 0x70
	s_load_dword s54, s[28:29], 0x0
	s_xor_b32 s0, s48, s3
	v_rcp_iflag_f32_e32 v1, v1
	s_sub_i32 s3, 0, s30
	s_abs_i32 s1, s48
	s_ashr_i32 s0, s0, 31
	v_mul_f32_e32 v1, 0x4f7ffffe, v1
	v_cvt_u32_f32_e32 v1, v1
	s_mul_hi_i32 s55, s48, s20
	s_mul_i32 s56, s48, s20
	v_lshrrev_b32_e32 v67, 3, v63
	v_readfirstlane_b32 s28, v1
	s_mul_i32 s3, s3, s28
	s_mul_hi_u32 s3, s28, s3
	s_add_i32 s28, s28, s3
	s_mul_hi_u32 s3, s1, s28
	s_mul_i32 s28, s3, s30
	s_sub_i32 s1, s1, s28
	s_add_i32 s28, s3, 1
	s_sub_i32 s29, s1, s30
	s_cmp_ge_u32 s1, s30
	s_cselect_b32 s3, s28, s3
	s_cselect_b32 s1, s29, s1
	s_add_i32 s28, s3, 1
	s_cmp_ge_u32 s1, s30
	s_cselect_b32 s1, s28, s3
	s_xor_b32 s1, s1, s0
	s_sub_i32 s57, s1, s0
	v_or_b32_e32 v1, v18, v62
	s_lshl_b32 s2, s2, 5
	v_or_b32_e32 v68, 64, v1
	s_cmp_lt_i32 s58, 64
	v_lshlrev_b32_e32 v66, 3, v0
	s_waitcnt lgkmcnt(0)
	s_mul_i32 s50, s34, s25
	s_mul_hi_u32 s51, s34, s24
	s_mul_i32 s52, s35, s24
	s_mul_i32 s24, s34, s24
	v_mov_b32_e32 v16, v17
	v_mov_b32_e32 v15, v17
	;; [unrolled: 1-line block ×15, first 2 shown]
	s_cbranch_scc1 .LBB453_19
; %bb.1:
	s_ashr_i32 s60, s48, 31
	s_ashr_i32 s1, s42, 31
	s_add_u32 s0, s56, s42
	s_addc_u32 s1, s55, s1
	s_lshl_b64 s[0:1], s[0:1], 8
	v_and_b32_e32 v70, 56, v66
	s_add_u32 s28, s14, s0
	v_lshl_or_b32 v69, v53, 3, v67
	v_lshlrev_b32_e32 v2, 1, v70
	s_addc_u32 s0, s15, s1
	v_lshl_or_b32 v71, v69, 8, v2
	s_and_b32 s29, s0, 0xffff
	s_mov_b32 s31, 0x20000
	s_movk_i32 s30, 0x4000
	s_movk_i32 s0, 0x80
	v_or_b32_e32 v72, 0x2000, v71
	buffer_load_dwordx4 v[4:7], v71, s[28:31], 0 offen
	buffer_load_dwordx4 v[8:11], v71, s[28:31], s0 offen
	;; [unrolled: 1-line block ×4, first 2 shown]
	v_lshlrev_b32_e32 v3, 3, v69
	v_and_or_b32 v17, v0, 7, v3
	v_and_b32_e32 v3, 0x78, v3
	v_lshlrev_b32_e32 v17, 4, v17
	v_xor_b32_e32 v73, v17, v3
	v_mul_lo_u32 v16, v69, s23
	v_or_b32_e32 v74, 0x1000, v73
	v_xor_b32_e32 v3, 8, v73
	s_cmpk_eq_i32 s23, 0x80
	s_mov_b32 s59, s42
	v_xor_b32_e32 v17, 8, v74
	s_cselect_b64 s[0:1], -1, 0
	s_cmpk_lg_i32 s23, 0x80
	s_waitcnt vmcnt(3)
	ds_write_b64 v73, v[4:5] offset:24576
	ds_write_b64 v3, v[6:7] offset:24576
	s_waitcnt vmcnt(2)
	ds_write_b64 v73, v[8:9] offset:32768
	ds_write_b64 v3, v[10:11] offset:32768
	;; [unrolled: 3-line block ×4, first 2 shown]
	v_lshl_add_u32 v3, v16, 1, v70
	s_cbranch_scc0 .LBB453_3
; %bb.2:
	v_lshlrev_b32_e32 v5, 1, v3
	v_add_lshl_u32 v4, v3, s23, 1
	s_lshl_b32 s30, s23, 7
	v_lshl_or_b32 v2, v69, 9, v2
	s_cbranch_execz .LBB453_4
	s_branch .LBB453_5
.LBB453_3:
                                        ; implicit-def: $vgpr4
                                        ; implicit-def: $vgpr5
                                        ; implicit-def: $sgpr30
	v_lshl_or_b32 v2, v69, 9, v2
.LBB453_4:
	v_or_b32_e32 v4, 0x100, v2
	s_movk_i32 s30, 0x4000
	v_mov_b32_e32 v5, v2
.LBB453_5:
	s_mul_i32 s25, s42, s22
	s_ashr_i32 s61, s57, 31
	s_mul_hi_i32 s3, s42, s22
	s_add_u32 s28, s25, s57
	s_addc_u32 s29, s3, s61
	s_lshl_b64 s[28:29], s[28:29], 8
	s_add_u32 s28, s12, s28
	s_addc_u32 s3, s13, s29
	s_and_b32 s29, s3, 0xffff
	s_movk_i32 s62, 0x80
	buffer_load_dwordx4 v[6:9], v5, s[28:31], 0 offen
	buffer_load_dwordx4 v[10:13], v5, s[28:31], s62 offen
	buffer_load_dwordx4 v[14:17], v4, s[28:31], 0 offen
	buffer_load_dwordx4 v[20:23], v4, s[28:31], s62 offen
	v_and_b32_e32 v4, 6, v0
	v_lshlrev_b32_e32 v24, 6, v1
	v_or_b32_e32 v26, 16, v65
	v_xor_b32_e32 v27, v69, v4
	v_and_b32_e32 v5, 1, v0
	v_lshl_or_b32 v30, v65, 3, v24
	v_lshl_or_b32 v24, v26, 3, v24
	v_lshlrev_b32_e32 v27, 2, v27
	v_lshlrev_b32_e32 v19, 2, v65
	s_mul_i32 s3, s48, s27
	s_mul_hi_u32 s25, s48, s26
	v_or_b32_e32 v77, 0xa000, v24
	v_or_b32_e32 v78, 0xb000, v24
	v_xor_b32_e32 v24, 0x440, v27
	v_cmp_eq_u32_e32 vcc, 0, v5
	s_add_i32 s29, s51, s50
	s_mul_i32 s28, s60, s26
	v_xor_b32_e32 v28, v1, v19
	v_xor_b32_e32 v29, v68, v19
	v_cndmask_b32_e32 v5, v24, v27, vcc
	s_add_i32 s3, s25, s3
	s_add_i32 s25, s29, s52
	s_mov_b32 s63, 0x1000504
	v_lshlrev_b32_e32 v25, 8, v65
	v_lshlrev_b32_e32 v26, 8, v26
	;; [unrolled: 1-line block ×4, first 2 shown]
	v_lshl_or_b32 v4, v4, 10, v5
	s_add_i32 s29, s3, s28
	s_lshl_b64 s[36:37], s[24:25], 2
	s_mov_b32 s64, 0x3020706
	v_or_b32_e32 v75, 0xa000, v30
	v_or_b32_e32 v76, 0xb000, v30
	;; [unrolled: 1-line block ×5, first 2 shown]
	v_xor_b32_e32 v5, 8, v4
	v_xor_b32_e32 v25, 24, v4
	;; [unrolled: 1-line block ×4, first 2 shown]
	s_mul_i32 s28, s48, s26
	s_add_u32 s3, s18, s36
	v_or_b32_e32 v81, v26, v28
	v_xor_b32_e32 v24, 16, v4
	v_xor_b32_e32 v26, 32, v4
	;; [unrolled: 1-line block ×3, first 2 shown]
	v_add_u32_e32 v5, 0x80, v5
	v_add_u32_e32 v25, 0x80, v25
	;; [unrolled: 1-line block ×4, first 2 shown]
	s_addc_u32 s25, s19, s37
	s_lshl_b64 s[28:29], s[28:29], 2
	s_add_u32 s44, s3, s28
	s_movk_i32 s3, 0xf8
	s_addc_u32 s45, s25, s29
	s_lshl_b32 s38, s23, 7
	s_movk_i32 s36, 0x100
	v_mov_b32_e32 v55, 0
	v_lshlrev_b32_e32 v54, 4, v65
	v_cmp_gt_u32_e32 vcc, s36, v0
	s_mov_b32 s65, 0
	s_movk_i32 s25, 0x1000
	s_movk_i32 s30, 0x4000
	v_add_u32_e32 v96, v62, v18
	v_mov_b32_e32 v107, 0x3fb8aa3b
	v_mov_b32_e32 v108, v55
	;; [unrolled: 1-line block ×9, first 2 shown]
	s_waitcnt vmcnt(1)
	v_perm_b32 v30, v6, v14, s63
	s_waitcnt vmcnt(0)
	v_perm_b32 v31, v10, v20, s63
	v_perm_b32 v6, v6, v14, s64
	;; [unrolled: 1-line block ×15, first 2 shown]
	ds_write2st64_b32 v4, v30, v31 offset0:32 offset1:64
	ds_write2st64_b32 v5, v6, v10 offset0:32 offset1:64
	;; [unrolled: 1-line block ×8, first 2 shown]
	v_or_b32_e32 v4, v62, v65
	v_lshlrev_b32_e32 v4, 3, v4
	v_lshrrev_b32_e32 v6, 5, v63
	v_and_or_b32 v6, v4, s3, v6
	v_lshlrev_b32_e32 v6, 4, v6
	v_lshrrev_b32_e32 v5, 2, v63
	v_lshlrev_b32_e32 v11, 11, v53
	v_and_b32_e32 v4, 0x78, v4
	v_or_b32_e32 v10, 32, v6
	v_and_b32_e32 v7, 12, v5
	v_and_b32_e32 v5, 0x1000, v11
	v_xor_b32_e32 v8, v6, v4
	v_lshrrev_b32_e32 v9, 1, v63
	v_xor_b32_e32 v10, v10, v4
	v_or_b32_e32 v8, v8, v5
	v_and_b32_e32 v9, 8, v9
	v_lshlrev_b32_e32 v12, 7, v64
	v_or_b32_e32 v10, v10, v5
	v_xor_b32_e32 v83, v8, v9
	v_or_b32_e32 v8, v12, v19
	v_xor_b32_e32 v85, v10, v9
	v_or_b32_e32 v10, 64, v6
	v_or_b32_e32 v6, 0x60, v6
	s_ashr_i32 s3, s2, 31
	v_lshlrev_b32_e32 v8, 1, v8
	v_xor_b32_e32 v10, v10, v4
	v_xor_b32_e32 v4, v6, v4
	s_lshl_b64 s[28:29], s[2:3], 8
	v_or_b32_e32 v84, 0xa000, v8
	v_or_b32_e32 v86, 0xa080, v8
	;; [unrolled: 1-line block ×6, first 2 shown]
	s_add_u32 s28, s4, s28
	v_lshlrev_b32_e32 v8, 1, v65
	v_lshlrev_b32_e32 v19, 2, v0
	v_lshrrev_b32_e32 v22, 1, v0
	v_xor_b32_e32 v87, v10, v9
	v_xor_b32_e32 v88, v4, v9
	v_lshrrev_b32_e32 v10, 4, v0
	s_addc_u32 s29, s5, s29
	v_or_b32_e32 v9, 1, v8
	v_mov_b32_e32 v20, 0x4000
	v_mov_b32_e32 v21, 0x2000
	v_and_b32_e32 v22, 24, v22
	v_and_or_b32 v12, v19, 60, v12
	v_mov_b32_e32 v19, 0xb000
	v_xor_b32_e32 v15, v10, v8
	v_xor_b32_e32 v16, v9, v10
	v_lshl_add_u64 v[8:9], s[28:29], 0, v[54:55]
	v_lshlrev_b32_e32 v54, 8, v10
	v_cndmask_b32_e32 v20, v20, v21, vcc
	v_lshlrev_b32_e32 v21, 3, v53
	v_lshl_or_b32 v93, v12, 1, v19
	v_or_b32_e32 v12, 32, v22
	v_lshl_or_b32 v91, v15, 3, v54
	v_and_b32_e32 v15, 8, v0
	v_xor_b32_e32 v12, v21, v12
	v_cmp_eq_u32_e32 vcc, 0, v15
	v_or_b32_e32 v19, 0x440, v12
	v_and_b32_e32 v10, 7, v0
	v_cndmask_b32_e32 v12, v19, v12, vcc
	v_lshl_or_b32 v92, v16, 3, v54
	v_lshlrev_b32_e32 v16, 3, v10
	v_or_b32_e32 v12, v12, v11
	v_xor_b32_e32 v19, v12, v16
	v_or_b32_e32 v12, 64, v22
	v_xor_b32_e32 v12, v21, v12
	v_xor_b32_e32 v25, 0x440, v12
	v_cndmask_b32_e32 v12, v25, v12, vcc
	v_or_b32_e32 v12, v12, v11
	v_xor_b32_e32 v25, v12, v16
	v_or_b32_e32 v12, 0x60, v22
	v_xor_b32_e32 v23, v21, v22
	v_xor_b32_e32 v12, v21, v12
	v_or_b32_e32 v24, 0x440, v23
	v_xor_b32_e32 v21, 0x440, v12
	v_cndmask_b32_e32 v15, v24, v23, vcc
	v_cndmask_b32_e32 v12, v21, v12, vcc
	v_or_b32_e32 v4, s2, v65
	v_or_b32_e32 v15, v15, v11
	;; [unrolled: 1-line block ×3, first 2 shown]
	v_ashrrev_i32_e32 v5, 31, v4
	v_lshlrev_b32_e32 v13, 1, v3
	v_add_lshl_u32 v3, v3, s23, 1
	v_or_b32_e32 v14, 0x100, v2
	v_xor_b32_e32 v15, v15, v16
	v_xor_b32_e32 v11, v11, v16
	v_lshlrev_b32_e32 v6, 7, v1
	v_lshlrev_b32_e32 v17, 7, v10
	v_or_b32_e32 v10, v7, v62
	v_add_u32_e32 v23, v20, v15
	v_add_u32_e32 v24, v20, v19
	;; [unrolled: 1-line block ×4, first 2 shown]
	v_or3_b32 v12, v62, v7, 64
	v_add_u32_e32 v7, 0x4000, v15
	v_add_u32_e32 v15, 0x4000, v19
	;; [unrolled: 1-line block ×4, first 2 shown]
	v_cndmask_b32_e64 v94, v13, v2, s[0:1]
	v_cndmask_b32_e64 v95, v3, v14, s[0:1]
	v_lshlrev_b64 v[2:3], 1, v[4:5]
	v_lshl_add_u64 v[56:57], s[16:17], 0, v[2:3]
	v_lshl_add_u64 v[58:59], s[6:7], 0, v[2:3]
	;; [unrolled: 1-line block ×3, first 2 shown]
	s_mov_b32 s3, 0x7060302
	v_lshlrev_b32_e32 v54, 1, v6
	v_lshlrev_b32_e32 v97, 2, v10
	v_add_u32_e32 v98, v23, v17
	v_add_u32_e32 v99, v24, v17
	v_add_u32_e32 v100, v26, v17
	v_add_u32_e32 v101, v16, v17
	v_lshlrev_b32_e32 v102, 2, v12
	v_add_u32_e32 v103, v7, v17
	v_add_u32_e32 v104, v15, v17
	;; [unrolled: 1-line block ×4, first 2 shown]
	v_mov_b32_e32 v2, v55
	v_mov_b32_e32 v3, v55
	;; [unrolled: 1-line block ×8, first 2 shown]
	s_waitcnt lgkmcnt(0)
	s_barrier
.LBB453_6:                              ; =>This Inner Loop Header: Depth=1
	s_add_i32 s66, s65, 1
	s_cmp_lt_i32 s66, s53
	s_mov_b64 s[36:37], 0
	s_cselect_b64 s[46:47], -1, 0
	s_cmp_ge_i32 s66, s53
	s_mov_b64 s[28:29], 0
	s_cbranch_scc1 .LBB453_8
; %bb.7:                                ;   in Loop: Header=BB453_6 Depth=1
	s_add_i32 s0, s59, 64
	s_ashr_i32 s1, s0, 31
	s_add_u32 s0, s56, s0
	s_addc_u32 s1, s55, s1
	s_lshl_b64 s[0:1], s[0:1], 8
	s_add_u32 s28, s14, s0
	s_addc_u32 s29, s15, s1
.LBB453_8:                              ;   in Loop: Header=BB453_6 Depth=1
	v_cndmask_b32_e64 v10, 0, 1, s[46:47]
	v_cmp_ne_u32_e64 s[0:1], 1, v10
	s_andn2_b64 vcc, exec, s[46:47]
	s_cbranch_vccnz .LBB453_10
; %bb.9:                                ;   in Loop: Header=BB453_6 Depth=1
	s_add_i32 s36, s59, 64
	s_mul_hi_i32 s37, s36, s22
	s_mul_i32 s36, s36, s22
	s_add_u32 s36, s36, s57
	s_addc_u32 s37, s37, s61
	s_lshl_b64 s[36:37], s[36:37], 8
	s_add_u32 s36, s12, s36
	s_addc_u32 s37, s13, s37
.LBB453_10:                             ;   in Loop: Header=BB453_6 Depth=1
	v_perm_b32 v11, v5, v4, s3
	v_perm_b32 v10, v3, v2, s3
	;; [unrolled: 1-line block ×4, first 2 shown]
	ds_write_b64 v75, v[10:11]
	ds_write_b64 v76, v[12:13]
	;; [unrolled: 1-line block ×4, first 2 shown]
	v_perm_b32 v11, v115, v110, s3
	v_perm_b32 v10, v109, v108, s3
	;; [unrolled: 1-line block ×4, first 2 shown]
	ds_write_b64 v77, v[10:11]
	ds_write_b64 v78, v[12:13]
	;; [unrolled: 1-line block ×4, first 2 shown]
	s_waitcnt lgkmcnt(0)
	s_barrier
	ds_read_b64 v[14:15], v83 offset:24576
	ds_read2_b64 v[10:13], v84 offset1:16
	ds_read_b64 v[18:19], v86 offset:3072
	ds_read_b64 v[20:21], v84 offset:3072
	;; [unrolled: 1-line block ×3, first 2 shown]
	s_waitcnt lgkmcnt(3)
	v_mfma_f32_16x16x16_bf16 a[0:3], v[14:15], v[10:11], 0
	s_add_i32 s67, s59, 63
	s_ashr_i32 s39, s67, 31
	s_mul_i32 s46, s67, s11
	v_mfma_f32_16x16x16_bf16 a[4:7], v[14:15], v[12:13], 0
	ds_read2st64_b64 v[10:13], v84 offset0:2 offset1:4
	s_mul_hi_u32 s47, s67, s10
	s_add_i32 s46, s47, s46
	s_waitcnt lgkmcnt(0)
	v_mfma_f32_16x16x16_bf16 a[0:3], v[22:23], v[10:11], a[0:3]
	ds_read2st64_b64 v[14:17], v86 offset0:2 offset1:4
	ds_read_b64 v[10:11], v87 offset:24576
	s_mul_i32 s39, s39, s10
	s_add_i32 s47, s46, s39
	s_waitcnt lgkmcnt(1)
	v_mfma_f32_16x16x16_bf16 a[4:7], v[22:23], v[14:15], a[4:7]
	ds_read_b64 v[14:15], v88 offset:24576
	s_mul_i32 s46, s67, s10
	s_lshl_b64 s[46:47], s[46:47], 2
	s_waitcnt lgkmcnt(1)
	v_mfma_f32_16x16x16_bf16 a[0:3], v[10:11], v[12:13], a[0:3]
	s_add_u32 s46, s44, s46
	s_addc_u32 s47, s45, s47
	s_and_b64 vcc, exec, s[0:1]
	v_mfma_f32_16x16x16_bf16 a[8:11], v[10:11], v[16:17], a[4:7]
	v_mov_b32_e32 v118, 0
	v_mov_b32_e32 v117, 0
	;; [unrolled: 1-line block ×3, first 2 shown]
	s_waitcnt lgkmcnt(0)
	v_mfma_f32_16x16x16_bf16 a[4:7], v[14:15], v[20:21], a[0:3]
	v_mov_b32_e32 v10, 0
	v_mov_b32_e32 v11, 0
	;; [unrolled: 1-line block ×3, first 2 shown]
	v_mfma_f32_16x16x16_bf16 a[0:3], v[14:15], v[18:19], a[8:11]
	v_mov_b32_e32 v13, 0
	v_mov_b32_e32 v14, 0
	;; [unrolled: 1-line block ×13, first 2 shown]
	s_cbranch_vccnz .LBB453_12
; %bb.11:                               ;   in Loop: Header=BB453_6 Depth=1
	s_and_b32 s29, s29, 0xffff
	buffer_load_dwordx4 v[22:25], v71, s[28:31], 0 offen
	buffer_load_dwordx4 v[18:21], v71, s[28:31], s62 offen
	;; [unrolled: 1-line block ×4, first 2 shown]
	v_mov_b32_e32 v117, v73
	v_mov_b32_e32 v116, v74
.LBB453_12:                             ;   in Loop: Header=BB453_6 Depth=1
	ds_read_b64 v[34:35], v83 offset:32768
	ds_read2_b64 v[26:29], v89 offset1:16
	ds_read_b64 v[36:37], v85 offset:32768
	ds_read_b64 v[38:39], v87 offset:32768
	;; [unrolled: 1-line block ×3, first 2 shown]
	v_add_u32_e32 v42, s59, v96
	s_waitcnt lgkmcnt(3)
	v_mfma_f32_16x16x16_bf16 a[4:7], v[34:35], v[26:27], a[4:7]
	v_ashrrev_i32_e32 v26, 31, v42
	ds_read2st64_b64 v[30:33], v89 offset0:2 offset1:4
	v_mfma_f32_16x16x16_bf16 a[0:3], v[34:35], v[28:29], a[0:3]
	v_mul_lo_u32 v28, v26, s10
	v_mul_lo_u32 v29, v42, s11
	v_mad_u64_u32 v[26:27], s[28:29], v42, s10, 0
	v_add3_u32 v27, v27, v29, v28
	v_add_u32_e32 v28, 1, v42
	v_ashrrev_i32_e32 v29, 31, v28
	v_mul_lo_u32 v34, v29, s10
	v_mul_lo_u32 v35, v28, s11
	v_mad_u64_u32 v[28:29], s[28:29], v28, s10, 0
	v_add3_u32 v29, v29, v35, v34
	v_add_u32_e32 v34, 2, v42
	v_ashrrev_i32_e32 v35, 31, v34
	v_mul_lo_u32 v43, v35, s10
	v_mul_lo_u32 v44, v34, s11
	v_mad_u64_u32 v[34:35], s[28:29], v34, s10, 0
	v_add_u32_e32 v42, 3, v42
	v_add3_u32 v35, v35, v44, v43
	v_ashrrev_i32_e32 v43, 31, v42
	v_mul_lo_u32 v44, v43, s10
	v_mul_lo_u32 v45, v42, s11
	v_mad_u64_u32 v[42:43], s[28:29], v42, s10, 0
	s_ashr_i32 s29, s59, 31
	v_add3_u32 v43, v43, v45, v44
	s_add_u32 s28, s56, s59
	v_lshl_add_u64 v[26:27], v[26:27], 2, s[44:45]
	v_lshl_add_u64 v[42:43], v[42:43], 2, s[44:45]
	s_addc_u32 s29, s55, s29
	v_lshl_add_u64 v[28:29], v[28:29], 2, s[44:45]
	v_lshl_add_u64 v[34:35], v[34:35], 2, s[44:45]
	global_load_dword v44, v[26:27], off
	global_load_dword v45, v[28:29], off
	;; [unrolled: 1-line block ×3, first 2 shown]
	s_nop 0
	global_load_dword v42, v[42:43], off
	s_lshl_b64 s[68:69], s[28:29], 8
	v_lshl_add_u64 v[26:27], v[56:57], 0, s[68:69]
	v_lshl_add_u64 v[34:35], v[26:27], 0, v[54:55]
	global_load_ushort v43, v[34:35], off offset:256
	global_load_ushort v47, v[34:35], off
	ds_read2st64_b64 v[26:29], v90 offset0:2 offset1:4
	global_load_ushort v48, v[34:35], off offset:768
	global_load_ushort v49, v[34:35], off offset:512
	;; [unrolled: 1-line block ×6, first 2 shown]
	s_waitcnt lgkmcnt(1)
	v_mfma_f32_16x16x16_bf16 a[4:7], v[36:37], v[30:31], a[4:7]
	s_and_b64 vcc, exec, s[0:1]
	s_waitcnt vmcnt(7)
	v_lshlrev_b32_e32 v35, 16, v43
	s_waitcnt lgkmcnt(0)
	v_mfma_f32_16x16x16_bf16 a[0:3], v[36:37], v[26:27], a[0:3]
	v_mfma_f32_16x16x16_bf16 a[4:7], v[38:39], v[32:33], a[4:7]
	v_mfma_f32_16x16x16_bf16 a[0:3], v[38:39], v[28:29], a[0:3]
	ds_read_b64 v[26:27], v89 offset:3072
	ds_read_b64 v[28:29], v90 offset:3072
	s_load_dword s28, s[46:47], 0x0
	s_waitcnt lgkmcnt(0)
	v_sub_f32_e32 v34, s28, v44
	v_mfma_f32_16x16x16_bf16 a[4:7], v[40:41], v[26:27], a[4:7]
	v_sub_f32_e32 v37, s28, v45
	v_sub_f32_e32 v38, s28, v46
	;; [unrolled: 1-line block ×3, first 2 shown]
	v_mul_f32_e32 v36, 0x3fb8aa3b, v34
	v_mul_f32_e32 v37, 0x3fb8aa3b, v37
	;; [unrolled: 1-line block ×4, first 2 shown]
	v_mfma_f32_16x16x16_bf16 a[0:3], v[40:41], v[28:29], a[0:3]
	v_accvgpr_read_b32 v33, a5
	v_exp_f32_e32 v36, v36
	v_exp_f32_e32 v37, v37
	;; [unrolled: 1-line block ×4, first 2 shown]
	v_accvgpr_read_b32 v32, a4
	s_waitcnt vmcnt(6)
	v_lshlrev_b32_e32 v34, 16, v47
	v_lshl_add_u64 v[26:27], v[58:59], 0, s[68:69]
	v_accvgpr_read_b32 v29, a7
	v_accvgpr_read_b32 v28, a6
	v_pk_add_f32 v[32:33], v[34:35], v[32:33] neg_lo:[0,1] neg_hi:[0,1]
	s_waitcnt vmcnt(5)
	v_lshlrev_b32_e32 v35, 16, v48
	s_waitcnt vmcnt(4)
	v_lshlrev_b32_e32 v34, 16, v49
	v_lshl_add_u64 v[26:27], v[26:27], 0, v[54:55]
	v_pk_add_f32 v[28:29], v[34:35], v[28:29] neg_lo:[0,1] neg_hi:[0,1]
	global_store_short_d16_hi v[26:27], v32, off
	global_store_short_d16_hi v[26:27], v33, off offset:256
	global_store_short_d16_hi v[26:27], v28, off offset:512
	;; [unrolled: 1-line block ×3, first 2 shown]
	v_pk_mul_f32 v[32:33], v[36:37], v[32:33]
	v_pk_mul_f32 v[28:29], v[38:39], v[28:29]
	v_accvgpr_read_b32 v35, a1
	v_perm_b32 v29, v29, v28, s3
	v_perm_b32 v28, v33, v32, s3
	s_waitcnt vmcnt(5)
	v_lshlrev_b32_e32 v33, 16, v52
	s_waitcnt vmcnt(4)
	v_lshlrev_b32_e32 v32, 16, v119
	v_accvgpr_read_b32 v34, a0
	v_accvgpr_read_b32 v31, a3
	;; [unrolled: 1-line block ×3, first 2 shown]
	v_pk_add_f32 v[32:33], v[32:33], v[34:35] neg_lo:[0,1] neg_hi:[0,1]
	v_lshlrev_b32_e32 v35, 16, v50
	v_lshlrev_b32_e32 v34, 16, v51
	v_pk_add_f32 v[30:31], v[34:35], v[30:31] neg_lo:[0,1] neg_hi:[0,1]
	global_store_short_d16_hi v[26:27], v32, off offset:32
	global_store_short_d16_hi v[26:27], v33, off offset:288
	;; [unrolled: 1-line block ×4, first 2 shown]
	v_pk_mul_f32 v[26:27], v[36:37], v[32:33]
	v_pk_mul_f32 v[30:31], v[38:39], v[30:31]
	v_mov_b32_e32 v119, 0
	v_perm_b32 v31, v31, v30, s3
	v_perm_b32 v30, v27, v26, s3
	ds_write2_b64 v76, v[28:29], v[30:31] offset1:16
	v_mov_b32_e32 v26, 0
	v_mov_b32_e32 v27, 0
	;; [unrolled: 1-line block ×16, first 2 shown]
	s_cbranch_vccnz .LBB453_14
; %bb.13:                               ;   in Loop: Header=BB453_6 Depth=1
	s_and_b32 s37, s37, 0xffff
	s_mov_b32 s39, s31
	buffer_load_dwordx4 v[38:41], v94, s[36:39], 0 offen
	buffer_load_dwordx4 v[30:33], v94, s[36:39], s62 offen
	;; [unrolled: 1-line block ×4, first 2 shown]
	v_mov_b32_e32 v118, v70
	v_mov_b32_e32 v119, v69
.LBB453_14:                             ;   in Loop: Header=BB453_6 Depth=1
	s_waitcnt lgkmcnt(0)
	s_barrier
	ds_read_b64 v[46:47], v98
	ds_read_b64 v[124:125], v93
	;; [unrolled: 1-line block ×5, first 2 shown]
	ds_read_b64 v[138:139], v90 offset:3072
	ds_read2_b64 v[42:45], v89 offset0:16 offset1:128
	s_waitcnt lgkmcnt(5)
	v_mfma_f32_16x16x16_bf16 a[0:3], v[46:47], v[124:125], 0
	ds_read2st64_b64 v[48:51], v90 offset0:2 offset1:4
	s_add_i32 s29, s54, s65
	s_mul_hi_i32 s37, s29, s49
	s_waitcnt lgkmcnt(1)
	v_mfma_f32_16x16x16_bf16 a[4:7], v[46:47], v[42:43], 0
	ds_read_b64 v[46:47], v103
	s_mul_i32 s29, s29, s49
	s_add_u32 s36, s29, s48
	s_waitcnt lgkmcnt(1)
	v_mfma_f32_16x16x16_bf16 a[4:7], v[126:127], v[48:49], a[4:7]
	s_addc_u32 s37, s37, s60
	s_lshl_b64 s[36:37], s[36:37], 15
	s_mul_i32 s39, s67, s49
	s_mul_hi_i32 s29, s67, s49
	s_add_u32 s46, s39, s48
	v_mfma_f32_16x16x16_bf16 a[8:11], v[128:129], v[50:51], a[4:7]
	s_addc_u32 s47, s29, s60
	ds_read2st64_b64 v[120:123], v89 offset0:4 offset1:6
	s_lshl_b64 s[46:47], s[46:47], 9
	s_waitcnt lgkmcnt(1)
	v_mfma_f32_16x16x16_bf16 a[4:7], v[46:47], v[124:125], 0
	s_add_u32 s46, s40, s46
	s_addc_u32 s47, s41, s47
	v_mfma_f32_16x16x16_bf16 a[0:3], v[126:127], v[44:45], a[0:3]
	ds_read_b64 v[126:127], v104
	ds_read_b64 v[134:135], v105
	;; [unrolled: 1-line block ×3, first 2 shown]
	v_mfma_f32_16x16x16_bf16 a[12:15], v[46:47], v[42:43], 0
	s_waitcnt lgkmcnt(2)
	v_mfma_f32_16x16x16_bf16 a[4:7], v[126:127], v[44:45], a[4:7]
	global_load_dwordx4 v[42:45], v102, s[46:47]
	v_mfma_f32_16x16x16_bf16 a[12:15], v[126:127], v[48:49], a[12:15]
	global_load_dwordx4 v[46:49], v97, s[46:47]
	ds_read2st64_b64 v[124:127], v91 offset1:8
	s_waitcnt lgkmcnt(0)
	v_mov_b32_e32 v132, v124
	v_mfma_f32_16x16x16_bf16 a[0:3], v[128:129], v[120:121], a[0:3]
	ds_read2st64_b64 v[128:131], v92 offset1:8
	v_mov_b32_e32 v133, v125
	v_mfma_f32_16x16x16_bf16 a[16:19], v[134:135], v[120:121], a[4:7]
	v_lshl_add_u64 v[120:121], v[60:61], 0, s[36:37]
	v_mfma_f32_16x16x16_bf16 a[20:23], v[134:135], v[50:51], a[12:15]
	v_add_co_u32_e32 v50, vcc, s25, v120
	s_waitcnt lgkmcnt(0)
	v_mov_b32_e32 v134, v128
	v_mfma_f32_16x16x16_bf16 a[4:7], v[136:137], v[122:123], a[0:3]
	v_mov_b32_e32 v135, v129
	v_mov_b32_e32 v128, v126
	;; [unrolled: 1-line block ×3, first 2 shown]
	v_mfma_f32_16x16x16_bf16 a[8:11], v[136:137], v[138:139], a[8:11]
	v_addc_co_u32_e32 v51, vcc, 0, v121, vcc
	global_store_dwordx4 v[50:51], v[128:131], off
	v_mfma_f32_16x16x16_bf16 a[12:15], v[140:141], v[122:123], a[16:19]
	s_and_b64 vcc, exec, s[0:1]
	global_store_dwordx4 v[120:121], v[132:135], off
	s_waitcnt vmcnt(3)
	v_mov_b32_e32 v52, v45
	v_mfma_f32_16x16x16_bf16 a[0:3], v[140:141], v[138:139], a[20:23]
	v_mov_b32_e32 v51, v44
	v_mov_b32_e32 v50, v43
	s_cbranch_vccnz .LBB453_16
; %bb.15:                               ;   in Loop: Header=BB453_6 Depth=1
	v_lshrrev_b32_e32 v43, 3, v118
	v_and_b32_e32 v43, 6, v43
	v_xor_b32_e32 v44, v43, v119
	v_lshlrev_b32_e32 v44, 2, v44
	v_and_b32_e32 v45, 8, v118
	v_xor_b32_e32 v118, 0x440, v44
	v_cmp_eq_u32_e32 vcc, 0, v45
	v_perm_b32 v45, v30, v26, s63
	s_nop 0
	v_cndmask_b32_e32 v44, v118, v44, vcc
	v_lshl_or_b32 v43, v43, 10, v44
	v_perm_b32 v44, v38, v34, s63
	s_barrier
	ds_write2st64_b32 v43, v44, v45 offset0:32 offset1:64
	v_xor_b32_e32 v44, 8, v43
	v_perm_b32 v34, v38, v34, s64
	v_perm_b32 v26, v30, v26, s64
	v_add_u32_e32 v30, 0x80, v44
	ds_write2st64_b32 v30, v34, v26 offset0:32 offset1:64
	v_xor_b32_e32 v26, 16, v43
	v_perm_b32 v30, v39, v35, s63
	v_perm_b32 v34, v31, v27, s63
	ds_write2st64_b32 v26, v30, v34 offset0:33 offset1:65
	v_xor_b32_e32 v26, 24, v43
	v_perm_b32 v30, v39, v35, s64
	v_perm_b32 v27, v31, v27, s64
	v_add_u32_e32 v26, 0x80, v26
	ds_write2st64_b32 v26, v30, v27 offset0:33 offset1:65
	v_xor_b32_e32 v26, 32, v43
	v_perm_b32 v27, v40, v36, s63
	v_perm_b32 v30, v32, v28, s63
	;; [unrolled: 9-line block ×3, first 2 shown]
	ds_write2st64_b32 v26, v27, v28 offset0:35 offset1:67
	v_xor_b32_e32 v26, 56, v43
	v_perm_b32 v27, v41, v37, s64
	v_perm_b32 v28, v33, v29, s64
	v_add_u32_e32 v26, 0x80, v26
	ds_write2st64_b32 v26, v27, v28 offset0:35 offset1:67
	ds_write_b64 v117, v[22:23] offset:24576
	v_xor_b32_e32 v22, 8, v117
	ds_write_b64 v22, v[24:25] offset:24576
	ds_write_b64 v117, v[18:19] offset:32768
	;; [unrolled: 1-line block ×4, first 2 shown]
	v_xor_b32_e32 v14, 8, v116
	ds_write_b64 v14, v[16:17] offset:24576
	ds_write_b64 v116, v[10:11] offset:32768
	ds_write_b64 v14, v[12:13] offset:32768
.LBB453_16:                             ;   in Loop: Header=BB453_6 Depth=1
	v_mul_f32_e32 v14, s28, v107
	v_exp_f32_e32 v26, v14
	s_waitcnt vmcnt(2)
	v_mul_f32_e32 v14, 0x3fb8aa3b, v46
	v_exp_f32_e32 v28, v14
	v_mul_f32_e32 v14, 0x3fb8aa3b, v47
	v_exp_f32_e32 v29, v14
	;; [unrolled: 2-line block ×4, first 2 shown]
	v_accvgpr_read_b32 v21, a7
	v_accvgpr_read_b32 v19, a5
	v_accvgpr_read_b32 v18, a4
	v_accvgpr_read_b32 v13, a11
	v_pk_mul_f32 v[28:29], v[26:27], v[28:29] op_sel_hi:[0,1]
	v_accvgpr_read_b32 v12, a10
	v_pk_fma_f32 v[2:3], v[2:3], v[28:29], v[18:19]
	v_pk_mul_f32 v[18:19], v[26:27], v[30:31] op_sel_hi:[0,1]
	v_accvgpr_read_b32 v20, a6
	v_accvgpr_read_b32 v11, a9
	;; [unrolled: 1-line block ×3, first 2 shown]
	v_fma_f32 v110, v110, v18, v12
	v_mul_f32_e32 v12, 0x3fb8aa3b, v51
	v_pk_fma_f32 v[4:5], v[4:5], v[18:19], v[20:21]
	v_fma_f32 v108, v108, v28, v10
	v_fma_f32 v109, v109, v29, v11
	v_mul_f32_e32 v10, 0x3fb8aa3b, v42
	v_mul_f32_e32 v11, 0x3fb8aa3b, v50
	v_exp_f32_e32 v20, v12
	v_mul_f32_e32 v12, 0x3fb8aa3b, v52
	v_exp_f32_e32 v10, v10
	v_exp_f32_e32 v11, v11
	;; [unrolled: 1-line block ×3, first 2 shown]
	v_accvgpr_read_b32 v25, a15
	v_accvgpr_read_b32 v17, a3
	;; [unrolled: 1-line block ×8, first 2 shown]
	v_fmac_f32_e32 v13, v115, v19
	v_pk_mul_f32 v[10:11], v[26:27], v[10:11] op_sel_hi:[0,1]
	v_pk_mul_f32 v[18:19], v[26:27], v[20:21] op_sel_hi:[0,1]
	s_add_i32 s59, s59, 64
	v_pk_fma_f32 v[6:7], v[6:7], v[10:11], v[22:23]
	v_pk_fma_f32 v[8:9], v[8:9], v[18:19], v[24:25]
	v_fma_f32 v111, v111, v10, v14
	v_fma_f32 v112, v112, v11, v15
	;; [unrolled: 1-line block ×3, first 2 shown]
	s_cmp_eq_u32 s53, s66
	v_fmac_f32_e32 v17, v114, v19
	s_cbranch_scc1 .LBB453_18
; %bb.17:                               ;   in Loop: Header=BB453_6 Depth=1
	s_mov_b32 s65, s66
	v_mov_b32_e32 v115, v13
	v_mov_b32_e32 v114, v17
	s_branch .LBB453_6
.LBB453_18:
	v_mov_b32_e32 v16, v113
	v_mov_b32_e32 v15, v112
	;; [unrolled: 1-line block ×6, first 2 shown]
.LBB453_19:
	s_lshl_b32 s3, s53, 6
	s_sub_i32 s58, s58, s3
	s_cmp_gt_i32 s58, 0
	v_or_b32_e32 v34, s2, v65
	s_cbranch_scc1 .LBB453_21
; %bb.20:
	s_ashr_i32 s37, s48, 31
	v_or_b32_e32 v35, s2, v65
	s_cbranch_execz .LBB453_22
	s_branch .LBB453_86
.LBB453_21:
                                        ; implicit-def: $vgpr35
                                        ; implicit-def: $sgpr36_sgpr37
.LBB453_22:
	s_add_i32 s36, s3, s42
	s_ashr_i32 s3, s36, 31
	s_cmpk_lg_i32 s23, 0x80
	s_cselect_b64 s[44:45], -1, 0
	s_and_b64 vcc, exec, s[44:45]
	s_cbranch_vccz .LBB453_24
; %bb.23:
	s_mul_hi_i32 s0, s36, s22
	s_mul_i32 s1, s36, s22
	s_ashr_i32 s22, s57, 31
	s_add_u32 s46, s1, s57
	s_addc_u32 s47, s0, s22
	s_cbranch_execz .LBB453_25
	s_branch .LBB453_26
.LBB453_24:
                                        ; implicit-def: $sgpr46_sgpr47
.LBB453_25:
	s_mul_i32 s1, s57, s20
	s_mul_hi_i32 s0, s57, s20
	s_add_u32 s46, s1, s36
	s_addc_u32 s47, s0, s3
.LBB453_26:
	s_add_i32 s20, s53, s54
	s_ashr_i32 s37, s48, 31
	s_add_u32 s0, s56, s36
	v_lshlrev_b32_e32 v22, 5, v1
	v_lshlrev_b32_e32 v40, 2, v65
	s_addc_u32 s1, s55, s3
	s_mov_b32 s3, 0x7060302
	v_or_b32_e32 v25, v22, v40
	v_xor_b32_e32 v23, v1, v40
	v_perm_b32 v19, v5, v4, s3
	v_perm_b32 v18, v3, v2, s3
	;; [unrolled: 1-line block ×4, first 2 shown]
	v_lshlrev_b32_e32 v25, 1, v25
	v_xor_b32_e32 v24, v68, v40
	ds_write2st64_b64 v25, v[18:19], v[20:21] offset0:80 offset1:88
	v_lshlrev_b32_e32 v23, 1, v23
	v_lshlrev_b32_e32 v25, 8, v65
	s_lshl_b64 s[38:39], s[0:1], 8
	v_or_b32_e32 v26, v23, v25
	v_lshlrev_b32_e32 v24, 1, v24
	s_add_u32 s0, s14, s38
	ds_write_b64 v26, v[18:19]
	v_or_b32_e32 v18, v24, v25
	s_addc_u32 s1, s15, s39
	ds_write_b64 v18, v[20:21]
	v_perm_b32 v19, v13, v12, s3
	v_perm_b32 v18, v11, v10, s3
	;; [unrolled: 1-line block ×4, first 2 shown]
	v_or_b32_e32 v25, 16, v65
	s_mul_hi_i32 s3, s20, s21
	s_mul_i32 s20, s20, s21
	v_lshlrev_b32_e32 v37, 2, v25
	s_add_u32 s14, s20, s48
	v_or_b32_e32 v22, v22, v37
	s_addc_u32 s15, s3, s37
	v_lshlrev_b32_e32 v22, 1, v22
	s_ashr_i32 s3, s2, 31
	s_lshl_b64 s[14:15], s[14:15], 15
	ds_write2st64_b64 v22, v[18:19], v[20:21] offset0:80 offset1:88
	v_lshlrev_b32_e32 v22, 8, v25
	s_add_u32 s4, s4, s14
	v_or_b32_e32 v23, v23, v22
	s_addc_u32 s5, s5, s15
	s_lshl_b64 s[2:3], s[2:3], 8
	ds_write_b64 v23, v[18:19]
	v_or_b32_e32 v18, v24, v22
	s_add_u32 s2, s4, s2
	ds_write_b64 v18, v[20:21]
	v_lshrrev_b32_e32 v18, 4, v0
	s_addc_u32 s3, s5, s3
	v_lshlrev_b32_e32 v19, 1, v65
	v_lshlrev_b32_e32 v26, 4, v65
	v_mov_b32_e32 v27, 0
	v_or_b32_e32 v20, 1, v19
	v_xor_b32_e32 v19, v18, v19
	v_lshl_add_u64 v[28:29], s[2:3], 0, v[26:27]
	v_lshlrev_b32_e32 v26, 8, v18
	v_xor_b32_e32 v22, v20, v18
	v_lshl_or_b32 v18, v19, 3, v26
	s_waitcnt lgkmcnt(0)
	s_barrier
	ds_read2st64_b64 v[18:21], v18 offset1:8
	v_lshl_or_b32 v22, v22, 3, v26
	ds_read2st64_b64 v[22:25], v22 offset1:8
	v_lshl_add_u64 v[30:31], v[28:29], 0, v[26:27]
	s_movk_i32 s2, 0x1000
	s_waitcnt lgkmcnt(1)
	v_mov_b32_e32 v26, v18
	v_add_co_u32_e32 v18, vcc, s2, v30
	s_cmp_lg_u32 s58, 64
	v_mov_b32_e32 v27, v19
	v_addc_co_u32_e32 v19, vcc, 0, v31, vcc
	s_cselect_b64 s[4:5], -1, 0
	v_lshl_or_b32 v35, v53, 3, v67
	s_waitcnt lgkmcnt(0)
	v_mov_b32_e32 v28, v22
	v_mov_b32_e32 v29, v23
	;; [unrolled: 1-line block ×4, first 2 shown]
	s_mov_b32 s28, 0
	v_or_b32_e32 v38, 32, v35
	v_and_b32_e32 v36, 56, v66
	s_and_b64 vcc, exec, s[4:5]
	global_store_dwordx4 v[30:31], v[26:29], off
	global_store_dwordx4 v[18:19], v[22:25], off
	s_cbranch_vccz .LBB453_32
; %bb.27:
	s_mov_b32 s29, s28
	s_mov_b32 s30, s28
	;; [unrolled: 1-line block ×3, first 2 shown]
	v_mov_b64_e32 v[22:23], s[28:29]
	v_mov_b64_e32 v[24:25], s[30:31]
	;; [unrolled: 1-line block ×3, first 2 shown]
	v_cmp_gt_i32_e32 vcc, s58, v35
	v_mov_b64_e32 v[20:21], v[24:25]
	s_and_saveexec_b64 s[2:3], vcc
	s_cbranch_execz .LBB453_29
; %bb.28:
	v_lshlrev_b32_e32 v18, 8, v35
	v_mov_b32_e32 v19, 0
	v_lshl_add_u64 v[20:21], s[0:1], 0, v[18:19]
	v_lshlrev_b32_e32 v18, 1, v36
	v_lshl_add_u64 v[26:27], v[20:21], 0, v[18:19]
	global_load_dwordx4 v[22:25], v[26:27], off
	global_load_dwordx4 v[18:21], v[26:27], off offset:128
.LBB453_29:
	s_or_b64 exec, exec, s[2:3]
	s_mov_b32 s30, s28
	s_mov_b32 s31, s28
	s_mov_b32 s29, s28
	v_mov_b64_e32 v[32:33], s[30:31]
	v_mov_b64_e32 v[30:31], s[28:29]
	;; [unrolled: 1-line block ×3, first 2 shown]
	v_cmp_gt_i32_e32 vcc, s58, v38
	v_lshlrev_b32_e32 v39, 7, v38
	v_mov_b64_e32 v[28:29], v[32:33]
	s_and_saveexec_b64 s[2:3], vcc
	s_cbranch_execz .LBB453_31
; %bb.30:
	v_lshlrev_b32_e32 v26, 1, v39
	v_mov_b32_e32 v27, 0
	v_lshl_add_u64 v[28:29], s[0:1], 0, v[26:27]
	v_lshlrev_b32_e32 v26, 1, v36
	v_lshl_add_u64 v[42:43], v[28:29], 0, v[26:27]
	global_load_dwordx4 v[30:33], v[42:43], off
	global_load_dwordx4 v[26:29], v[42:43], off offset:128
.LBB453_31:
	s_or_b64 exec, exec, s[2:3]
	v_lshrrev_b32_e32 v41, 3, v36
	v_lshlrev_b32_e32 v42, 3, v35
	v_or_b32_e32 v41, v42, v41
	v_lshlrev_b32_e32 v41, 4, v41
	v_and_b32_e32 v42, 0x78, v42
	v_xor_b32_e32 v41, v41, v42
	s_branch .LBB453_34
.LBB453_32:
                                        ; implicit-def: $vgpr41
                                        ; implicit-def: $vgpr39
                                        ; implicit-def: $vgpr22_vgpr23_vgpr24_vgpr25
                                        ; implicit-def: $vgpr18_vgpr19_vgpr20_vgpr21
                                        ; implicit-def: $vgpr30_vgpr31_vgpr32_vgpr33
                                        ; implicit-def: $vgpr26_vgpr27_vgpr28_vgpr29
	s_cbranch_execz .LBB453_34
; %bb.33:
	s_waitcnt vmcnt(0)
	v_lshlrev_b32_e32 v18, 1, v36
	v_lshl_or_b32 v39, v35, 8, v18
	s_and_b32 s1, s1, 0xffff
	s_mov_b32 s3, 0x20000
	s_movk_i32 s2, 0x4000
	v_lshl_or_b32 v41, v38, 8, v18
	s_movk_i32 s14, 0x80
	buffer_load_dwordx4 v[22:25], v39, s[0:3], 0 offen
	buffer_load_dwordx4 v[18:21], v39, s[0:3], s14 offen
	;; [unrolled: 1-line block ×4, first 2 shown]
	v_lshrrev_b32_e32 v39, 3, v36
	v_lshlrev_b32_e32 v41, 3, v35
	v_or_b32_e32 v39, v41, v39
	v_lshlrev_b32_e32 v39, 4, v39
	v_and_b32_e32 v41, 0x78, v41
	v_xor_b32_e32 v41, v39, v41
	v_lshlrev_b32_e32 v39, 7, v38
.LBB453_34:
	s_lshl_b64 s[0:1], s[46:47], 8
	s_add_u32 s12, s12, s0
	s_movk_i32 s0, 0x1000
	v_and_or_b32 v38, v39, s0, v41
	s_waitcnt vmcnt(1)
	ds_write_b64 v41, v[22:23] offset:24576
	v_xor_b32_e32 v22, 8, v41
	ds_write_b64 v22, v[24:25] offset:24576
	s_waitcnt vmcnt(0)
	ds_write_b64 v41, v[18:19] offset:32768
	ds_write_b64 v22, v[20:21] offset:32768
	;; [unrolled: 1-line block ×3, first 2 shown]
	v_xor_b32_e32 v18, 8, v38
	ds_write_b64 v18, v[32:33] offset:24576
	ds_write_b64 v38, v[26:27] offset:32768
	;; [unrolled: 1-line block ×3, first 2 shown]
	v_or_b32_e32 v18, v62, v65
	v_lshlrev_b32_e32 v18, 3, v18
	v_lshrrev_b32_e32 v19, 5, v63
	s_movk_i32 s14, 0xf8
	v_and_or_b32 v19, v18, s14, v19
	v_lshlrev_b32_e32 v23, 4, v19
	v_lshlrev_b32_e32 v41, 11, v53
	v_and_b32_e32 v24, 0x78, v18
	v_or_b32_e32 v26, 32, v23
	v_and_b32_e32 v22, 0x1000, v41
	v_lshrrev_b32_e32 v19, 1, v63
	v_xor_b32_e32 v26, v26, v24
	v_xor_b32_e32 v18, v23, v24
	v_and_b32_e32 v25, 8, v19
	v_or_b32_e32 v26, v26, v22
	v_or_b32_e32 v18, v18, v22
	v_xor_b32_e32 v45, v26, v25
	v_or_b32_e32 v26, 64, v23
	v_xor_b32_e32 v44, v18, v25
	v_xor_b32_e32 v26, v26, v24
	s_waitcnt lgkmcnt(0)
	s_barrier
	v_or_b32_e32 v28, v26, v22
	ds_read_b64 v[26:27], v44 offset:24576
	v_lshl_or_b32 v38, v64, 7, v40
	v_lshlrev_b32_e32 v42, 1, v38
	v_add_u32_e32 v18, 0xa000, v42
	ds_read2_b64 v[18:21], v18 offset1:16
	v_or_b32_e32 v23, 0x60, v23
	v_xor_b32_e32 v23, v23, v24
	s_waitcnt lgkmcnt(0)
	v_mfma_f32_16x16x16_bf16 a[0:3], v[26:27], v[18:19], 0
	v_or_b32_e32 v18, 64, v38
	v_or_b32_e32 v22, v23, v22
	v_lshlrev_b32_e32 v43, 1, v18
	v_xor_b32_e32 v46, v28, v25
	v_xor_b32_e32 v47, v22, v25
	ds_read_b64 v[28:29], v45 offset:24576
	ds_read_b64 v[30:31], v46 offset:24576
	;; [unrolled: 1-line block ×3, first 2 shown]
	v_mfma_f32_16x16x16_bf16 a[4:7], v[26:27], v[20:21], 0
	ds_read2st64_b64 v[18:21], v43 offset0:82 offset1:84
	ds_read2st64_b64 v[22:25], v42 offset0:82 offset1:84
	s_addc_u32 s13, s13, s1
	s_add_i32 s20, s43, -1
	s_add_i32 s0, s51, s50
	s_add_i32 s25, s0, s52
	s_mul_i32 s0, s48, s27
	s_mul_hi_u32 s1, s48, s26
	s_ashr_i32 s2, s20, 31
	s_mul_i32 s3, s20, s11
	s_mul_hi_u32 s14, s20, s10
	s_add_i32 s0, s1, s0
	s_mul_i32 s1, s37, s26
	s_add_i32 s3, s14, s3
	s_mul_i32 s2, s2, s10
	s_waitcnt lgkmcnt(1)
	v_mfma_f32_16x16x16_bf16 a[4:7], v[28:29], v[18:19], a[4:7]
	s_add_i32 s1, s0, s1
	s_add_i32 s3, s3, s2
	s_lshl_b64 s[14:15], s[24:25], 2
	s_waitcnt lgkmcnt(0)
	v_mfma_f32_16x16x16_bf16 a[0:3], v[28:29], v[22:23], a[0:3]
	s_mul_i32 s0, s48, s26
	s_add_u32 s14, s18, s14
	s_addc_u32 s15, s19, s15
	s_lshl_b64 s[0:1], s[0:1], 2
	s_mul_i32 s2, s20, s10
	s_add_u32 s18, s14, s0
	ds_read_b64 v[18:19], v42 offset:44032
	v_mfma_f32_16x16x16_bf16 a[4:7], v[30:31], v[20:21], a[4:7]
	ds_read_b64 v[20:21], v43 offset:44032
	s_addc_u32 s19, s15, s1
	s_lshl_b64 s[0:1], s[2:3], 2
	v_mfma_f32_16x16x16_bf16 a[0:3], v[30:31], v[24:25], a[0:3]
	s_add_u32 s0, s18, s0
	s_addc_u32 s1, s19, s1
	s_load_dword s22, s[0:1], 0x0
	s_waitcnt lgkmcnt(0)
	v_mfma_f32_16x16x16_bf16 a[0:3], v[32:33], v[18:19], a[0:3]
	s_and_b64 vcc, exec, s[44:45]
	v_mfma_f32_16x16x16_bf16 a[4:7], v[32:33], v[20:21], a[4:7]
	s_cbranch_vccz .LBB453_45
; %bb.35:
	v_lshlrev_b32_e32 v38, 1, v35
	s_and_b64 vcc, exec, s[4:5]
	s_cbranch_vccz .LBB453_46
; %bb.36:
	v_cmp_gt_i32_e32 vcc, s58, v38
	v_mov_b32_e32 v22, 0
	v_mov_b32_e32 v18, 0
	;; [unrolled: 1-line block ×5, first 2 shown]
	s_and_saveexec_b64 s[0:1], vcc
	s_cbranch_execz .LBB453_38
; %bb.37:
	v_mad_i64_i32 v[18:19], s[2:3], s23, v38, 0
	v_lshl_add_u64 v[18:19], v[18:19], 1, s[12:13]
	v_lshlrev_b32_e32 v20, 1, v36
	v_mov_b32_e32 v21, 0
	v_lshl_add_u64 v[18:19], v[18:19], 0, v[20:21]
	global_load_dwordx4 v[18:21], v[18:19], off
.LBB453_38:
	s_or_b64 exec, exec, s[0:1]
	v_or_b32_e32 v39, 1, v38
	v_cmp_gt_i32_e64 s[0:1], s58, v39
	v_mov_b32_e32 v23, 0
	v_mov_b32_e32 v24, 0
	;; [unrolled: 1-line block ×3, first 2 shown]
	s_and_saveexec_b64 s[2:3], s[0:1]
	s_cbranch_execz .LBB453_40
; %bb.39:
	v_mad_i64_i32 v[22:23], s[14:15], s23, v39, 0
	v_lshl_add_u64 v[22:23], v[22:23], 1, s[12:13]
	v_lshlrev_b32_e32 v24, 1, v36
	v_mov_b32_e32 v25, 0
	v_lshl_add_u64 v[22:23], v[22:23], 0, v[24:25]
	global_load_dwordx4 v[22:25], v[22:23], off
.LBB453_40:
	s_or_b64 exec, exec, s[2:3]
	v_mov_b32_e32 v33, 0
	v_mov_b32_e32 v26, 0
	;; [unrolled: 1-line block ×5, first 2 shown]
	s_and_saveexec_b64 s[2:3], vcc
	s_cbranch_execz .LBB453_42
; %bb.41:
	v_mad_i64_i32 v[26:27], s[14:15], s23, v38, 0
	v_lshl_add_u64 v[26:27], v[26:27], 1, s[12:13]
	v_lshlrev_b32_e32 v28, 1, v36
	v_mov_b32_e32 v29, 0
	v_lshl_add_u64 v[26:27], v[26:27], 0, v[28:29]
	global_load_dwordx4 v[26:29], v[26:27], off offset:128
.LBB453_42:
	s_or_b64 exec, exec, s[2:3]
	v_mov_b32_e32 v32, 0
	v_mov_b32_e32 v31, 0
	;; [unrolled: 1-line block ×3, first 2 shown]
	s_and_saveexec_b64 s[2:3], s[0:1]
	s_cbranch_execz .LBB453_44
; %bb.43:
	v_mad_i64_i32 v[30:31], s[0:1], s23, v39, 0
	v_lshl_add_u64 v[30:31], v[30:31], 1, s[12:13]
	v_lshlrev_b32_e32 v32, 1, v36
	v_mov_b32_e32 v33, 0
	v_lshl_add_u64 v[30:31], v[30:31], 0, v[32:33]
	global_load_dwordx4 v[30:33], v[30:31], off offset:128
.LBB453_44:
	s_or_b64 exec, exec, s[2:3]
	s_branch .LBB453_48
.LBB453_45:
                                        ; implicit-def: $vgpr21
                                        ; implicit-def: $vgpr25
                                        ; implicit-def: $vgpr29
                                        ; implicit-def: $vgpr33
	v_lshrrev_b32_e32 v48, 2, v63
	s_branch .LBB453_49
.LBB453_46:
                                        ; implicit-def: $vgpr21
                                        ; implicit-def: $vgpr25
                                        ; implicit-def: $vgpr29
                                        ; implicit-def: $vgpr33
	s_cbranch_execz .LBB453_48
; %bb.47:
	s_waitcnt vmcnt(0)
	v_mad_u64_u32 v[18:19], s[0:1], v38, s23, v[36:37]
	v_lshlrev_b32_e32 v38, 1, v18
	s_lshl_b32 s2, s23, 7
	s_and_b32 s1, s13, 0xffff
	s_mov_b32 s3, 0x20000
	s_mov_b32 s0, s12
	v_add_lshl_u32 v39, v18, s23, 1
	s_movk_i32 s14, 0x80
	buffer_load_dwordx4 v[18:21], v38, s[0:3], 0 offen
	buffer_load_dwordx4 v[26:29], v38, s[0:3], s14 offen
	;; [unrolled: 1-line block ×4, first 2 shown]
.LBB453_48:
	v_lshrrev_b32_e32 v48, 2, v63
	s_cbranch_execnz .LBB453_61
.LBB453_49:
	s_and_b64 vcc, exec, s[4:5]
	s_cbranch_vccz .LBB453_59
; %bb.50:
	s_waitcnt vmcnt(0)
	v_lshlrev_b32_e32 v23, 1, v35
	v_cmp_gt_i32_e32 vcc, s58, v23
	v_mov_b32_e32 v22, 0
	v_lshlrev_b32_e32 v30, 9, v35
	v_mov_b32_e32 v18, 0
	v_mov_b32_e32 v19, 0
	;; [unrolled: 1-line block ×4, first 2 shown]
	s_and_saveexec_b64 s[0:1], vcc
	s_cbranch_execz .LBB453_52
; %bb.51:
	v_mov_b32_e32 v31, 0
	v_lshl_add_u64 v[18:19], s[12:13], 0, v[30:31]
	v_lshlrev_b32_e32 v20, 1, v36
	v_mov_b32_e32 v21, v31
	v_lshl_add_u64 v[18:19], v[18:19], 0, v[20:21]
	global_load_dwordx4 v[18:21], v[18:19], off
.LBB453_52:
	s_or_b64 exec, exec, s[0:1]
	v_or_b32_e32 v23, 1, v23
	v_cmp_gt_i32_e64 s[0:1], s58, v23
	v_lshlrev_b32_e32 v38, 8, v23
	v_mov_b32_e32 v23, 0
	v_mov_b32_e32 v24, 0
	;; [unrolled: 1-line block ×3, first 2 shown]
	s_and_saveexec_b64 s[2:3], s[0:1]
	s_cbranch_execz .LBB453_54
; %bb.53:
	v_mov_b32_e32 v39, 0
	v_lshl_add_u64 v[22:23], s[12:13], 0, v[38:39]
	v_lshlrev_b32_e32 v24, 1, v36
	v_mov_b32_e32 v25, v39
	v_lshl_add_u64 v[22:23], v[22:23], 0, v[24:25]
	global_load_dwordx4 v[22:25], v[22:23], off
.LBB453_54:
	s_or_b64 exec, exec, s[2:3]
	v_mov_b32_e32 v33, 0
	v_mov_b32_e32 v26, 0
	;; [unrolled: 1-line block ×5, first 2 shown]
	s_and_saveexec_b64 s[2:3], vcc
	s_cbranch_execz .LBB453_56
; %bb.55:
	v_mov_b32_e32 v31, 0
	v_lshl_add_u64 v[26:27], s[12:13], 0, v[30:31]
	v_lshlrev_b32_e32 v30, 1, v36
	v_lshl_add_u64 v[26:27], v[26:27], 0, v[30:31]
	global_load_dwordx4 v[26:29], v[26:27], off offset:128
.LBB453_56:
	s_or_b64 exec, exec, s[2:3]
	v_mov_b32_e32 v32, 0
	v_mov_b32_e32 v31, 0
	;; [unrolled: 1-line block ×3, first 2 shown]
	s_and_saveexec_b64 s[2:3], s[0:1]
	s_cbranch_execz .LBB453_58
; %bb.57:
	v_mov_b32_e32 v39, 0
	v_lshl_add_u64 v[30:31], s[12:13], 0, v[38:39]
	v_lshlrev_b32_e32 v38, 1, v36
	v_lshl_add_u64 v[30:31], v[30:31], 0, v[38:39]
	global_load_dwordx4 v[30:33], v[30:31], off offset:128
.LBB453_58:
	s_or_b64 exec, exec, s[2:3]
	s_branch .LBB453_61
.LBB453_59:
                                        ; implicit-def: $vgpr21
                                        ; implicit-def: $vgpr25
                                        ; implicit-def: $vgpr29
                                        ; implicit-def: $vgpr33
	s_cbranch_execz .LBB453_61
; %bb.60:
	s_waitcnt vmcnt(0)
	v_lshlrev_b32_e32 v18, 1, v36
	v_lshl_or_b32 v36, v35, 9, v18
	s_and_b32 s13, s13, 0xffff
	s_mov_b32 s15, 0x20000
	s_movk_i32 s14, 0x4000
	s_movk_i32 s0, 0x80
	buffer_load_dwordx4 v[18:21], v36, s[12:15], 0 offen
	buffer_load_dwordx4 v[22:25], v36, s[12:15], 0 offen offset:256
	buffer_load_dwordx4 v[26:29], v36, s[12:15], s0 offen
	buffer_load_dwordx4 v[30:33], v36, s[12:15], s0 offen offset:256
.LBB453_61:
	ds_read_b64 v[38:39], v44 offset:32768
	v_add_u32_e32 v36, 0xb000, v42
	ds_read2_b64 v[54:57], v36 offset1:16
	ds_read_b64 v[50:51], v45 offset:32768
	ds_read_b64 v[58:59], v46 offset:32768
	;; [unrolled: 1-line block ×3, first 2 shown]
	ds_read2st64_b64 v[44:47], v42 offset0:90 offset1:92
	v_and_b32_e32 v36, 12, v48
	v_and_b32_e32 v48, 6, v0
	v_xor_b32_e32 v35, v35, v48
	v_lshlrev_b32_e32 v35, 2, v35
	s_mov_b32 s0, 0x1000504
	s_waitcnt lgkmcnt(4)
	v_mfma_f32_16x16x16_bf16 a[0:3], v[38:39], v[54:55], a[0:3]
	s_mov_b32 s1, 0x3020706
	v_mfma_f32_16x16x16_bf16 a[4:7], v[38:39], v[56:57], a[4:7]
	ds_read2st64_b64 v[54:57], v43 offset0:90 offset1:92
	s_waitcnt lgkmcnt(1)
	v_mfma_f32_16x16x16_bf16 a[0:3], v[50:51], v[44:45], a[0:3]
	ds_read_b64 v[38:39], v42 offset:48128
	ds_read_b64 v[44:45], v43 offset:48128
	s_waitcnt lgkmcnt(2)
	v_mfma_f32_16x16x16_bf16 a[4:7], v[50:51], v[54:55], a[4:7]
	v_mfma_f32_16x16x16_bf16 a[0:3], v[58:59], v[46:47], a[0:3]
	v_and_b32_e32 v46, 1, v0
	v_xor_b32_e32 v47, 0x440, v35
	v_cmp_eq_u32_e32 vcc, 0, v46
	v_mfma_f32_16x16x16_bf16 a[8:11], v[58:59], v[56:57], a[4:7]
	s_nop 0
	v_cndmask_b32_e32 v35, v47, v35, vcc
	v_lshl_or_b32 v35, v48, 10, v35
	s_waitcnt lgkmcnt(1)
	v_mfma_f32_16x16x16_bf16 a[4:7], v[60:61], v[38:39], a[0:3]
	s_waitcnt vmcnt(0)
	v_perm_b32 v38, v18, v22, s0
	v_perm_b32 v39, v26, v30, s0
	ds_write2st64_b32 v35, v38, v39 offset0:32 offset1:64
	v_xor_b32_e32 v38, 8, v35
	v_perm_b32 v18, v18, v22, s1
	v_perm_b32 v22, v26, v30, s1
	v_add_u32_e32 v26, 0x80, v38
	ds_write2st64_b32 v26, v18, v22 offset0:32 offset1:64
	v_xor_b32_e32 v18, 16, v35
	v_perm_b32 v22, v19, v23, s0
	v_perm_b32 v26, v27, v31, s0
	ds_write2st64_b32 v18, v22, v26 offset0:33 offset1:65
	v_xor_b32_e32 v18, 24, v35
	v_perm_b32 v19, v19, v23, s1
	v_perm_b32 v22, v27, v31, s1
	v_add_u32_e32 v18, 0x80, v18
	ds_write2st64_b32 v18, v19, v22 offset0:33 offset1:65
	v_xor_b32_e32 v18, 32, v35
	v_perm_b32 v19, v20, v24, s0
	v_perm_b32 v22, v28, v32, s0
	ds_write2st64_b32 v18, v19, v22 offset0:34 offset1:66
	v_xor_b32_e32 v18, 40, v35
	s_waitcnt lgkmcnt(5)
	v_mfma_f32_16x16x16_bf16 a[0:3], v[60:61], v[44:45], a[8:11]
	v_perm_b32 v19, v20, v24, s1
	v_perm_b32 v20, v28, v32, s1
	v_add_u32_e32 v18, 0x80, v18
	ds_write2st64_b32 v18, v19, v20 offset0:34 offset1:66
	v_xor_b32_e32 v18, 48, v35
	v_perm_b32 v19, v21, v25, s0
	v_perm_b32 v20, v29, v33, s0
	ds_write2st64_b32 v18, v19, v20 offset0:35 offset1:67
	v_xor_b32_e32 v18, 56, v35
	v_or_b32_e32 v38, v36, v62
	v_perm_b32 v19, v21, v25, s1
	v_perm_b32 v20, v29, v33, s1
	v_add_u32_e32 v18, 0x80, v18
	v_cmp_gt_i32_e32 vcc, s58, v38
	v_mov_b32_e32 v44, 0
	v_mov_b32_e32 v45, 0
	ds_write2st64_b32 v18, v19, v20 offset0:35 offset1:67
	s_and_saveexec_b64 s[0:1], vcc
	s_cbranch_execz .LBB453_63
; %bb.62:
	v_add_u32_e32 v18, s36, v38
	v_ashrrev_i32_e32 v19, 31, v18
	v_mul_lo_u32 v20, v19, s10
	v_mul_lo_u32 v21, v18, s11
	v_mad_u64_u32 v[18:19], s[2:3], v18, s10, 0
	v_add3_u32 v19, v19, v21, v20
	v_lshl_add_u64 v[18:19], v[18:19], 2, s[18:19]
	global_load_dword v18, v[18:19], off
	s_waitcnt vmcnt(0)
	v_sub_f32_e32 v18, s22, v18
	v_mul_f32_e32 v18, 0x3fb8aa3b, v18
	v_exp_f32_e32 v45, v18
.LBB453_63:
	s_or_b64 exec, exec, s[0:1]
	v_or_b32_e32 v27, 1, v38
	v_cmp_gt_i32_e64 s[2:3], s58, v27
	s_and_saveexec_b64 s[0:1], s[2:3]
	s_cbranch_execz .LBB453_65
; %bb.64:
	v_add_u32_e32 v18, s36, v27
	v_ashrrev_i32_e32 v19, 31, v18
	v_mul_lo_u32 v20, v19, s10
	v_mul_lo_u32 v21, v18, s11
	v_mad_u64_u32 v[18:19], s[4:5], v18, s10, 0
	v_add3_u32 v19, v19, v21, v20
	v_lshl_add_u64 v[18:19], v[18:19], 2, s[18:19]
	global_load_dword v18, v[18:19], off
	s_waitcnt vmcnt(0)
	v_sub_f32_e32 v18, s22, v18
	v_mul_f32_e32 v18, 0x3fb8aa3b, v18
	v_exp_f32_e32 v44, v18
.LBB453_65:
	s_or_b64 exec, exec, s[0:1]
	v_or_b32_e32 v26, 2, v38
	v_cmp_gt_i32_e64 s[4:5], s58, v26
	v_mov_b32_e32 v39, 0
	v_mov_b32_e32 v46, 0
	s_and_saveexec_b64 s[0:1], s[4:5]
	s_cbranch_execz .LBB453_67
; %bb.66:
	v_add_u32_e32 v18, s36, v26
	v_ashrrev_i32_e32 v19, 31, v18
	v_mul_lo_u32 v20, v19, s10
	v_mul_lo_u32 v21, v18, s11
	v_mad_u64_u32 v[18:19], s[12:13], v18, s10, 0
	v_add3_u32 v19, v19, v21, v20
	v_lshl_add_u64 v[18:19], v[18:19], 2, s[18:19]
	global_load_dword v18, v[18:19], off
	s_waitcnt vmcnt(0)
	v_sub_f32_e32 v18, s22, v18
	v_mul_f32_e32 v18, 0x3fb8aa3b, v18
	v_exp_f32_e32 v46, v18
.LBB453_67:
	s_or_b64 exec, exec, s[0:1]
	v_or_b32_e32 v47, 3, v38
	v_cmp_gt_i32_e64 s[0:1], s58, v47
	s_and_saveexec_b64 s[12:13], s[0:1]
	s_cbranch_execz .LBB453_69
; %bb.68:
	v_add_u32_e32 v18, s36, v47
	v_ashrrev_i32_e32 v19, 31, v18
	v_mul_lo_u32 v20, v19, s10
	v_mul_lo_u32 v21, v18, s11
	v_mad_u64_u32 v[18:19], s[10:11], v18, s10, 0
	v_add3_u32 v19, v19, v21, v20
	v_lshl_add_u64 v[18:19], v[18:19], 2, s[18:19]
	global_load_dword v18, v[18:19], off
	s_waitcnt vmcnt(0)
	v_sub_f32_e32 v18, s22, v18
	v_mul_f32_e32 v18, 0x3fb8aa3b, v18
	v_exp_f32_e32 v39, v18
.LBB453_69:
	s_or_b64 exec, exec, s[12:13]
	s_add_u32 s10, s16, s38
	s_addc_u32 s11, s17, s39
	s_add_u32 s6, s6, s38
	v_ashrrev_i32_e32 v35, 31, v34
	v_accvgpr_read_b32 v21, a7
	s_addc_u32 s7, s7, s39
	v_lshlrev_b64 v[22:23], 1, v[34:35]
	v_accvgpr_read_b32 v20, a6
	v_accvgpr_read_b32 v19, a5
	;; [unrolled: 1-line block ×3, first 2 shown]
	v_lshl_add_u64 v[24:25], s[10:11], 0, v[22:23]
	v_lshl_add_u64 v[22:23], s[6:7], 0, v[22:23]
	v_mov_b32_e32 v31, 0
	v_lshlrev_b32_e32 v28, 8, v38
	v_mov_b32_e32 v29, 0
	s_and_saveexec_b64 s[6:7], vcc
	s_cbranch_execz .LBB453_71
; %bb.70:
	v_mov_b32_e32 v29, 0
	v_lshl_add_u64 v[32:33], v[24:25], 0, v[28:29]
	global_load_ushort v30, v[32:33], off
	v_lshl_add_u64 v[32:33], v[22:23], 0, v[28:29]
	s_waitcnt vmcnt(0)
	v_lshlrev_b32_e32 v29, 16, v30
	v_sub_f32_e32 v18, v29, v18
	global_store_short_d16_hi v[32:33], v18, off
	v_mul_f32_e32 v18, v45, v18
	v_lshrrev_b32_e32 v29, 16, v18
.LBB453_71:
	s_or_b64 exec, exec, s[6:7]
	v_lshlrev_b32_e32 v30, 8, v27
	s_and_saveexec_b64 s[6:7], s[2:3]
	s_cbranch_execz .LBB453_73
; %bb.72:
	v_mov_b32_e32 v31, 0
	v_lshl_add_u64 v[32:33], v[24:25], 0, v[30:31]
	global_load_ushort v18, v[32:33], off
	v_lshl_add_u64 v[32:33], v[22:23], 0, v[30:31]
	s_waitcnt vmcnt(0)
	v_lshlrev_b32_e32 v18, 16, v18
	v_sub_f32_e32 v18, v18, v19
	global_store_short_d16_hi v[32:33], v18, off
	v_mul_f32_e32 v18, v44, v18
	v_lshrrev_b32_e32 v31, 16, v18
.LBB453_73:
	s_or_b64 exec, exec, s[6:7]
	v_mov_b32_e32 v27, 0
	v_lshlrev_b32_e32 v32, 8, v26
	v_mov_b32_e32 v33, 0
	s_and_saveexec_b64 s[6:7], s[4:5]
	s_cbranch_execz .LBB453_75
; %bb.74:
	v_mov_b32_e32 v33, 0
	v_lshl_add_u64 v[18:19], v[24:25], 0, v[32:33]
	global_load_ushort v26, v[18:19], off
	v_lshl_add_u64 v[18:19], v[22:23], 0, v[32:33]
	s_waitcnt vmcnt(0)
	v_lshlrev_b32_e32 v26, 16, v26
	v_sub_f32_e32 v20, v26, v20
	global_store_short_d16_hi v[18:19], v20, off
	v_mul_f32_e32 v18, v46, v20
	v_lshrrev_b32_e32 v33, 16, v18
.LBB453_75:
	s_or_b64 exec, exec, s[6:7]
	v_lshlrev_b32_e32 v26, 8, v47
	s_and_saveexec_b64 s[6:7], s[0:1]
	s_cbranch_execz .LBB453_77
; %bb.76:
	v_mov_b32_e32 v27, 0
	v_lshl_add_u64 v[18:19], v[24:25], 0, v[26:27]
	global_load_ushort v20, v[18:19], off
	v_lshl_add_u64 v[18:19], v[22:23], 0, v[26:27]
	s_waitcnt vmcnt(0)
	v_lshlrev_b32_e32 v20, 16, v20
	v_sub_f32_e32 v20, v20, v21
	global_store_short_d16_hi v[18:19], v20, off
	v_mul_f32_e32 v18, v39, v20
	v_lshrrev_b32_e32 v27, 16, v18
.LBB453_77:
	s_or_b64 exec, exec, s[6:7]
	v_lshlrev_b32_e32 v35, 5, v38
	s_mov_b32 s6, 0x5040100
	v_accvgpr_read_b32 v21, a3
	v_perm_b32 v49, v27, v33, s6
	v_or_b32_e32 v27, v35, v40
	v_accvgpr_read_b32 v20, a2
	v_accvgpr_read_b32 v19, a1
	;; [unrolled: 1-line block ×3, first 2 shown]
	v_perm_b32 v48, v31, v29, s6
	v_lshlrev_b32_e32 v27, 1, v27
	v_mov_b32_e32 v31, 0
	v_mov_b32_e32 v29, 0
	ds_write_b64 v27, v[48:49] offset:45056
	s_and_saveexec_b64 s[6:7], vcc
	s_cbranch_execz .LBB453_79
; %bb.78:
	v_mov_b32_e32 v29, 0
	v_lshl_add_u64 v[48:49], v[24:25], 0, v[28:29]
	global_load_ushort v27, v[48:49], off offset:32
	v_lshl_add_u64 v[28:29], v[22:23], 0, v[28:29]
	s_waitcnt vmcnt(0)
	v_lshlrev_b32_e32 v27, 16, v27
	v_sub_f32_e32 v18, v27, v18
	global_store_short_d16_hi v[28:29], v18, off offset:32
	v_mul_f32_e32 v18, v45, v18
	v_lshrrev_b32_e32 v29, 16, v18
.LBB453_79:
	s_or_b64 exec, exec, s[6:7]
	s_and_saveexec_b64 s[6:7], s[2:3]
	s_cbranch_execz .LBB453_81
; %bb.80:
	v_mov_b32_e32 v31, 0
	v_lshl_add_u64 v[48:49], v[24:25], 0, v[30:31]
	global_load_ushort v18, v[48:49], off offset:32
	v_lshl_add_u64 v[30:31], v[22:23], 0, v[30:31]
	s_waitcnt vmcnt(0)
	v_lshlrev_b32_e32 v18, 16, v18
	v_sub_f32_e32 v18, v18, v19
	global_store_short_d16_hi v[30:31], v18, off offset:32
	v_mul_f32_e32 v18, v44, v18
	v_lshrrev_b32_e32 v31, 16, v18
.LBB453_81:
	s_or_b64 exec, exec, s[6:7]
	v_mov_b32_e32 v27, 0
	v_mov_b32_e32 v28, 0
	s_and_saveexec_b64 s[2:3], s[4:5]
	s_cbranch_execz .LBB453_83
; %bb.82:
	v_mov_b32_e32 v33, 0
	v_lshl_add_u64 v[18:19], v[24:25], 0, v[32:33]
	global_load_ushort v28, v[18:19], off offset:32
	v_lshl_add_u64 v[18:19], v[22:23], 0, v[32:33]
	s_waitcnt vmcnt(0)
	v_lshlrev_b32_e32 v28, 16, v28
	v_sub_f32_e32 v20, v28, v20
	global_store_short_d16_hi v[18:19], v20, off offset:32
	v_mul_f32_e32 v18, v46, v20
	v_lshrrev_b32_e32 v28, 16, v18
.LBB453_83:
	s_or_b64 exec, exec, s[2:3]
	v_or_b32_e32 v19, 0xb000, v42
	v_or_b32_e32 v18, 0xb000, v43
	s_and_saveexec_b64 s[2:3], s[0:1]
	s_cbranch_execz .LBB453_85
; %bb.84:
	v_mov_b32_e32 v27, 0
	v_lshl_add_u64 v[24:25], v[24:25], 0, v[26:27]
	global_load_ushort v20, v[24:25], off offset:32
	v_lshl_add_u64 v[22:23], v[22:23], 0, v[26:27]
	s_waitcnt vmcnt(0)
	v_lshlrev_b32_e32 v20, 16, v20
	v_sub_f32_e32 v20, v20, v21
	global_store_short_d16_hi v[22:23], v20, off offset:32
	v_mul_f32_e32 v20, v39, v20
	v_lshrrev_b32_e32 v27, 16, v20
.LBB453_85:
	s_or_b64 exec, exec, s[2:3]
	s_mov_b32 s0, 0x5040100
	v_or_b32_e32 v22, v35, v37
	v_perm_b32 v21, v27, v28, s0
	v_perm_b32 v20, v31, v29, s0
	v_lshlrev_b32_e32 v22, 1, v22
	s_movk_i32 s2, 0x100
	ds_write_b64 v22, v[20:21] offset:45056
	v_and_b32_e32 v20, 7, v0
	v_and_b32_e32 v21, 8, v0
	v_cmp_gt_u32_e32 vcc, s2, v0
	v_lshrrev_b32_e32 v0, 1, v0
	v_lshlrev_b32_e32 v26, 3, v20
	v_lshlrev_b32_e32 v35, 7, v20
	v_mov_b32_e32 v20, 0x4000
	v_mov_b32_e32 v22, 0x2000
	v_lshlrev_b32_e32 v24, 3, v53
	v_and_b32_e32 v0, 24, v0
	v_cndmask_b32_e32 v27, v20, v22, vcc
	v_xor_b32_e32 v20, v24, v0
	v_or_b32_e32 v22, 0x440, v20
	v_cmp_eq_u32_e32 vcc, 0, v21
	v_or_b32_e32 v28, 32, v0
	v_xor_b32_e32 v28, v24, v28
	v_cndmask_b32_e32 v20, v22, v20, vcc
	v_or_b32_e32 v20, v20, v41
	v_xor_b32_e32 v48, v20, v26
	v_or_b32_e32 v29, 0x440, v28
	v_add3_u32 v25, v27, v48, v35
	v_cndmask_b32_e32 v28, v29, v28, vcc
	v_or_b32_e32 v29, 64, v0
	v_or_b32_e32 v0, 0x60, v0
	s_waitcnt lgkmcnt(0)
	s_barrier
	v_xor_b32_e32 v29, v24, v29
	v_xor_b32_e32 v0, v24, v0
	ds_read_b64 v[24:25], v25
	v_xor_b32_e32 v30, 0x440, v29
	ds_read2_b64 v[20:23], v19 offset1:16
	v_cndmask_b32_e32 v29, v30, v29, vcc
	v_xor_b32_e32 v30, 0x440, v0
	v_or_b32_e32 v28, v28, v41
	v_or_b32_e32 v29, v29, v41
	v_cndmask_b32_e32 v0, v30, v0, vcc
	v_xor_b32_e32 v50, v28, v26
	v_xor_b32_e32 v51, v29, v26
	v_or_b32_e32 v0, v0, v41
	v_add3_u32 v28, v27, v50, v35
	v_add3_u32 v29, v27, v51, v35
	v_xor_b32_e32 v52, v0, v26
	s_mul_i32 s0, s20, s21
	s_mul_hi_i32 s1, s20, s21
	v_add3_u32 v0, v27, v52, v35
	ds_read_b64 v[26:27], v28
	ds_read_b64 v[32:33], v29
	;; [unrolled: 1-line block ×3, first 2 shown]
	s_add_u32 s0, s0, s48
	ds_read2st64_b64 v[28:31], v19 offset0:2 offset1:4
	ds_read2st64_b64 v[40:43], v18 offset0:2 offset1:4
	s_waitcnt lgkmcnt(5)
	v_mfma_f32_16x16x16_bf16 a[0:3], v[24:25], v[20:21], 0
	s_addc_u32 s1, s1, s37
	s_lshl_b64 s[0:1], s[0:1], 9
	s_add_u32 s0, s40, s0
	v_mfma_f32_16x16x16_bf16 a[4:7], v[24:25], v[22:23], 0
	s_addc_u32 s1, s41, s1
	v_lshlrev_b32_e32 v0, 2, v38
	v_lshlrev_b32_e32 v36, 2, v36
	s_waitcnt lgkmcnt(1)
	v_mfma_f32_16x16x16_bf16 a[0:3], v[26:27], v[28:29], a[0:3]
	ds_read_b64 v[46:47], v19 offset:3072
	s_waitcnt lgkmcnt(1)
	v_mfma_f32_16x16x16_bf16 a[4:7], v[26:27], v[40:41], a[4:7]
	global_load_dwordx4 v[24:27], v0, s[0:1]
	v_lshlrev_b32_e32 v0, 6, v53
	v_or3_b32 v0, v0, v36, s2
	global_load_dwordx4 v[36:39], v0, s[0:1]
	v_mfma_f32_16x16x16_bf16 a[0:3], v[32:33], v[30:31], a[0:3]
	v_mov_b32_e32 v0, 0x3fb8aa3b
	v_mul_f32_e32 v0, s22, v0
	v_exp_f32_e32 v0, v0
	v_mfma_f32_16x16x16_bf16 a[4:7], v[32:33], v[42:43], a[4:7]
	ds_read_b64 v[32:33], v18 offset:3072
	s_waitcnt vmcnt(1)
	v_mul_f32_e32 v18, 0x3fb8aa3b, v24
	v_mul_f32_e32 v19, 0x3fb8aa3b, v25
	s_waitcnt lgkmcnt(1)
	v_mfma_f32_16x16x16_bf16 a[0:3], v[44:45], v[46:47], a[0:3]
	v_exp_f32_e32 v18, v18
	v_exp_f32_e32 v19, v19
	v_mul_f32_e32 v24, 0x3fb8aa3b, v26
	v_mul_f32_e32 v25, 0x3fb8aa3b, v27
	v_exp_f32_e32 v24, v24
	v_exp_f32_e32 v25, v25
	s_nop 0
	v_accvgpr_read_b32 v27, a3
	v_accvgpr_read_b32 v26, a2
	s_waitcnt lgkmcnt(0)
	v_mfma_f32_16x16x16_bf16 a[2:5], v[44:45], v[32:33], a[4:7]
	v_pk_mul_f32 v[44:45], v[0:1], v[18:19] op_sel_hi:[0,1]
	v_add_u32_e32 v18, v48, v35
	ds_read_b64 v[48:49], v18 offset:16384
	v_accvgpr_read_b32 v19, a1
	v_accvgpr_read_b32 v18, a0
	v_pk_fma_f32 v[18:19], v[2:3], v[44:45], v[18:19]
	v_add_u32_e32 v2, v50, v35
	v_add_u32_e32 v50, v51, v35
	s_waitcnt lgkmcnt(0)
	v_mfma_f32_16x16x16_bf16 a[6:9], v[48:49], v[20:21], 0
	v_add_u32_e32 v35, v52, v35
	ds_read_b64 v[2:3], v2 offset:16384
	ds_read_b64 v[50:51], v50 offset:16384
	;; [unrolled: 1-line block ×3, first 2 shown]
	v_pk_mul_f32 v[24:25], v[0:1], v[24:25] op_sel_hi:[0,1]
	v_pk_fma_f32 v[20:21], v[4:5], v[24:25], v[26:27]
	v_accvgpr_read_b32 v4, a2
	v_mfma_f32_16x16x16_bf16 a[10:13], v[48:49], v[22:23], 0
	v_fma_f32 v26, v10, v44, v4
	v_accvgpr_read_b32 v4, a3
	v_fma_f32 v27, v11, v45, v4
	s_waitcnt lgkmcnt(2)
	v_mfma_f32_16x16x16_bf16 a[0:3], v[2:3], v[28:29], a[6:9]
	v_accvgpr_read_b32 v4, a4
	v_accvgpr_read_b32 v29, a5
	v_fma_f32 v28, v12, v24, v4
	v_mfma_f32_16x16x16_bf16 a[4:7], v[2:3], v[40:41], a[10:13]
	s_waitcnt vmcnt(0)
	v_mov_b32_e32 v2, v37
	v_mov_b32_e32 v3, v38
	v_mov_b32_e32 v4, v39
	s_waitcnt lgkmcnt(1)
	v_mfma_f32_16x16x16_bf16 a[0:3], v[50:51], v[30:31], a[0:3]
	v_mul_f32_e32 v2, 0x3fb8aa3b, v2
	v_mul_f32_e32 v5, 0x3fb8aa3b, v36
	v_exp_f32_e32 v11, v2
	v_mfma_f32_16x16x16_bf16 a[4:7], v[50:51], v[42:43], a[4:7]
	v_mul_f32_e32 v2, 0x3fb8aa3b, v3
	v_mul_f32_e32 v3, 0x3fb8aa3b, v4
	v_exp_f32_e32 v10, v5
	s_waitcnt lgkmcnt(0)
	v_mfma_f32_16x16x16_bf16 a[0:3], v[52:53], v[46:47], a[0:3]
	v_exp_f32_e32 v2, v2
	v_exp_f32_e32 v3, v3
	v_pk_mul_f32 v[10:11], v[0:1], v[10:11] op_sel_hi:[0,1]
	v_fmac_f32_e32 v29, v13, v25
	v_mov_b32_e32 v35, v34
	v_pk_mul_f32 v[2:3], v[0:1], v[2:3] op_sel_hi:[0,1]
	s_nop 0
	v_accvgpr_read_b32 v5, a3
	v_accvgpr_read_b32 v4, a2
	v_mfma_f32_16x16x16_bf16 a[2:5], v[52:53], v[32:33], a[4:7]
	v_accvgpr_read_b32 v13, a1
	v_accvgpr_read_b32 v12, a0
	v_pk_fma_f32 v[22:23], v[6:7], v[10:11], v[12:13]
	v_pk_fma_f32 v[24:25], v[8:9], v[2:3], v[4:5]
	s_nop 2
	v_accvgpr_read_b32 v0, a2
	v_fma_f32 v30, v14, v10, v0
	v_accvgpr_read_b32 v0, a3
	v_fma_f32 v31, v15, v11, v0
	v_accvgpr_read_b32 v0, a4
	v_accvgpr_read_b32 v33, a5
	v_fma_f32 v32, v16, v2, v0
	v_fmac_f32_e32 v33, v17, v3
	v_mov_b64_e32 v[2:3], v[18:19]
	v_mov_b64_e32 v[4:5], v[20:21]
	;; [unrolled: 1-line block ×8, first 2 shown]
.LBB453_86:
	s_mul_i32 s0, s49, s35
	s_mul_hi_u32 s1, s49, s34
	s_add_i32 s0, s1, s0
	s_mul_i32 s1, s33, s34
	s_add_i32 s1, s0, s1
	s_mul_i32 s0, s49, s34
	s_add_u32 s0, s0, s48
	s_addc_u32 s1, s1, s37
	s_lshl_b64 s[0:1], s[0:1], 16
	s_add_u32 s0, s8, s0
	v_lshlrev_b32_e32 v18, 7, v35
	s_addc_u32 s1, s9, s1
	v_ashrrev_i32_e32 v19, 31, v18
	v_lshl_add_u64 v[20:21], v[18:19], 2, s[0:1]
	v_lshlrev_b32_e32 v0, 2, v1
	v_mov_b32_e32 v1, 0
	v_lshl_add_u64 v[20:21], v[20:21], 0, v[0:1]
	global_store_dwordx4 v[20:21], v[2:5], off
	global_store_dwordx4 v[20:21], v[6:9], off offset:256
	s_nop 0
	v_or_b32_e32 v2, 0x800, v18
	v_ashrrev_i32_e32 v3, 31, v2
	v_lshl_add_u64 v[2:3], v[2:3], 2, s[0:1]
	v_lshl_add_u64 v[0:1], v[2:3], 0, v[0:1]
	global_store_dwordx4 v[0:1], v[10:13], off
	global_store_dwordx4 v[0:1], v[14:17], off offset:256
	s_endpgm
	.section	.rodata,"a",@progbits
	.p2align	6, 0x0
	.amdhsa_kernel _ZN12_GLOBAL__N_139chunk_gated_delta_rule_fwd_h_hip_kernelILi32ELb0ELb1ELb1ELb1ELb0ELb1ELb1ELb0EEEvPK12hip_bfloat16S3_S3_PKfS5_PKvPS1_S8_PvPKiSB_iiiiilll
		.amdhsa_group_segment_fixed_size 49152
		.amdhsa_private_segment_fixed_size 0
		.amdhsa_kernarg_size 136
		.amdhsa_user_sgpr_count 2
		.amdhsa_user_sgpr_dispatch_ptr 0
		.amdhsa_user_sgpr_queue_ptr 0
		.amdhsa_user_sgpr_kernarg_segment_ptr 1
		.amdhsa_user_sgpr_dispatch_id 0
		.amdhsa_user_sgpr_kernarg_preload_length 0
		.amdhsa_user_sgpr_kernarg_preload_offset 0
		.amdhsa_user_sgpr_private_segment_size 0
		.amdhsa_uses_dynamic_stack 0
		.amdhsa_enable_private_segment 0
		.amdhsa_system_sgpr_workgroup_id_x 1
		.amdhsa_system_sgpr_workgroup_id_y 1
		.amdhsa_system_sgpr_workgroup_id_z 0
		.amdhsa_system_sgpr_workgroup_info 0
		.amdhsa_system_vgpr_workitem_id 0
		.amdhsa_next_free_vgpr 168
		.amdhsa_next_free_sgpr 70
		.amdhsa_accum_offset 144
		.amdhsa_reserve_vcc 1
		.amdhsa_float_round_mode_32 0
		.amdhsa_float_round_mode_16_64 0
		.amdhsa_float_denorm_mode_32 3
		.amdhsa_float_denorm_mode_16_64 3
		.amdhsa_dx10_clamp 1
		.amdhsa_ieee_mode 1
		.amdhsa_fp16_overflow 0
		.amdhsa_tg_split 0
		.amdhsa_exception_fp_ieee_invalid_op 0
		.amdhsa_exception_fp_denorm_src 0
		.amdhsa_exception_fp_ieee_div_zero 0
		.amdhsa_exception_fp_ieee_overflow 0
		.amdhsa_exception_fp_ieee_underflow 0
		.amdhsa_exception_fp_ieee_inexact 0
		.amdhsa_exception_int_div_zero 0
	.end_amdhsa_kernel
	.section	.text._ZN12_GLOBAL__N_139chunk_gated_delta_rule_fwd_h_hip_kernelILi32ELb0ELb1ELb1ELb1ELb0ELb1ELb1ELb0EEEvPK12hip_bfloat16S3_S3_PKfS5_PKvPS1_S8_PvPKiSB_iiiiilll,"axG",@progbits,_ZN12_GLOBAL__N_139chunk_gated_delta_rule_fwd_h_hip_kernelILi32ELb0ELb1ELb1ELb1ELb0ELb1ELb1ELb0EEEvPK12hip_bfloat16S3_S3_PKfS5_PKvPS1_S8_PvPKiSB_iiiiilll,comdat
.Lfunc_end453:
	.size	_ZN12_GLOBAL__N_139chunk_gated_delta_rule_fwd_h_hip_kernelILi32ELb0ELb1ELb1ELb1ELb0ELb1ELb1ELb0EEEvPK12hip_bfloat16S3_S3_PKfS5_PKvPS1_S8_PvPKiSB_iiiiilll, .Lfunc_end453-_ZN12_GLOBAL__N_139chunk_gated_delta_rule_fwd_h_hip_kernelILi32ELb0ELb1ELb1ELb1ELb0ELb1ELb1ELb0EEEvPK12hip_bfloat16S3_S3_PKfS5_PKvPS1_S8_PvPKiSB_iiiiilll
                                        ; -- End function
	.section	.AMDGPU.csdata,"",@progbits
; Kernel info:
; codeLenInByte = 10012
; NumSgprs: 76
; NumVgprs: 142
; NumAgprs: 24
; TotalNumVgprs: 168
; ScratchSize: 0
; MemoryBound: 0
; FloatMode: 240
; IeeeMode: 1
; LDSByteSize: 49152 bytes/workgroup (compile time only)
; SGPRBlocks: 9
; VGPRBlocks: 20
; NumSGPRsForWavesPerEU: 76
; NumVGPRsForWavesPerEU: 168
; AccumOffset: 144
; Occupancy: 1
; WaveLimiterHint : 1
; COMPUTE_PGM_RSRC2:SCRATCH_EN: 0
; COMPUTE_PGM_RSRC2:USER_SGPR: 2
; COMPUTE_PGM_RSRC2:TRAP_HANDLER: 0
; COMPUTE_PGM_RSRC2:TGID_X_EN: 1
; COMPUTE_PGM_RSRC2:TGID_Y_EN: 1
; COMPUTE_PGM_RSRC2:TGID_Z_EN: 0
; COMPUTE_PGM_RSRC2:TIDIG_COMP_CNT: 0
; COMPUTE_PGM_RSRC3_GFX90A:ACCUM_OFFSET: 35
; COMPUTE_PGM_RSRC3_GFX90A:TG_SPLIT: 0
	.section	.text._ZN12_GLOBAL__N_139chunk_gated_delta_rule_fwd_h_hip_kernelILi32ELb0ELb1ELb0ELb1ELb0ELb1ELb1ELb0EEEvPK12hip_bfloat16S3_S3_PKfS5_PKvPS1_S8_PvPKiSB_iiiiilll,"axG",@progbits,_ZN12_GLOBAL__N_139chunk_gated_delta_rule_fwd_h_hip_kernelILi32ELb0ELb1ELb0ELb1ELb0ELb1ELb1ELb0EEEvPK12hip_bfloat16S3_S3_PKfS5_PKvPS1_S8_PvPKiSB_iiiiilll,comdat
	.globl	_ZN12_GLOBAL__N_139chunk_gated_delta_rule_fwd_h_hip_kernelILi32ELb0ELb1ELb0ELb1ELb0ELb1ELb1ELb0EEEvPK12hip_bfloat16S3_S3_PKfS5_PKvPS1_S8_PvPKiSB_iiiiilll ; -- Begin function _ZN12_GLOBAL__N_139chunk_gated_delta_rule_fwd_h_hip_kernelILi32ELb0ELb1ELb0ELb1ELb0ELb1ELb1ELb0EEEvPK12hip_bfloat16S3_S3_PKfS5_PKvPS1_S8_PvPKiSB_iiiiilll
	.p2align	8
	.type	_ZN12_GLOBAL__N_139chunk_gated_delta_rule_fwd_h_hip_kernelILi32ELb0ELb1ELb0ELb1ELb0ELb1ELb1ELb0EEEvPK12hip_bfloat16S3_S3_PKfS5_PKvPS1_S8_PvPKiSB_iiiiilll,@function
_ZN12_GLOBAL__N_139chunk_gated_delta_rule_fwd_h_hip_kernelILi32ELb0ELb1ELb0ELb1ELb0ELb1ELb1ELb0EEEvPK12hip_bfloat16S3_S3_PKfS5_PKvPS1_S8_PvPKiSB_iiiiilll: ; @_ZN12_GLOBAL__N_139chunk_gated_delta_rule_fwd_h_hip_kernelILi32ELb0ELb1ELb0ELb1ELb0ELb1ELb1ELb0EEEvPK12hip_bfloat16S3_S3_PKfS5_PKvPS1_S8_PvPKiSB_iiiiilll
; %bb.0:
	s_load_dwordx4 s[16:19], s[0:1], 0x5c
	s_load_dwordx4 s[20:23], s[0:1], 0x70
	s_abs_i32 s27, s3
	s_ashr_i32 s26, s3, 31
	s_load_dwordx8 s[4:11], s[0:1], 0x0
	s_load_dwordx2 s[36:37], s[0:1], 0x20
	s_load_dwordx2 s[40:41], s[0:1], 0x30
	s_waitcnt lgkmcnt(0)
	s_abs_i32 s28, s17
	v_cvt_f32_u32_e32 v1, s28
	s_sub_i32 s29, 0, s28
	s_ashr_i32 s33, s17, 31
	s_xor_b32 s26, s26, s33
	v_rcp_iflag_f32_e32 v1, v1
	s_load_dwordx4 s[12:15], s[0:1], 0x40
	s_load_dwordx2 s[24:25], s[0:1], 0x50
	v_lshrrev_b32_e32 v53, 6, v0
	v_bfe_u32 v62, v0, 4, 2
	v_mul_f32_e32 v1, 0x4f7ffffe, v1
	v_cvt_u32_f32_e32 v1, v1
	v_lshlrev_b32_e32 v60, 4, v53
	v_lshlrev_b32_e32 v18, 2, v62
	v_and_b32_e32 v61, 63, v0
	v_readfirstlane_b32 s30, v1
	s_mul_i32 s29, s29, s30
	s_mul_hi_u32 s29, s30, s29
	s_add_i32 s30, s30, s29
	s_mul_hi_u32 s29, s27, s30
	s_mul_i32 s30, s29, s28
	s_sub_i32 s27, s27, s30
	s_add_i32 s30, s29, 1
	s_sub_i32 s31, s27, s28
	s_cmp_ge_u32 s27, s28
	s_cselect_b32 s29, s30, s29
	s_cselect_b32 s27, s31, s27
	s_add_i32 s30, s29, 1
	s_cmp_ge_u32 s27, s28
	s_cselect_b32 s27, s30, s29
	s_xor_b32 s27, s27, s26
	s_sub_i32 s34, s27, s26
	s_mul_i32 s26, s34, s17
	s_ashr_i32 s35, s34, 31
	s_sub_i32 s46, s3, s26
	s_lshl_b64 s[26:27], s[34:35], 2
	s_waitcnt lgkmcnt(0)
	s_add_u32 s14, s14, s26
	s_addc_u32 s15, s15, s27
	s_add_u32 s24, s24, s26
	s_addc_u32 s25, s25, s27
	s_abs_i32 s3, s18
	v_cvt_f32_u32_e32 v1, s3
	s_load_dwordx2 s[38:39], s[14:15], 0x0
	s_sub_i32 s15, 0, s3
	s_load_dword s52, s[24:25], 0x0
	v_rcp_iflag_f32_e32 v1, v1
	v_mov_b32_e32 v17, 0
	s_waitcnt lgkmcnt(0)
	s_sub_i32 s56, s39, s38
	s_ashr_i32 s14, s56, 31
	v_mul_f32_e32 v1, 0x4f7ffffe, v1
	v_cvt_u32_f32_e32 v1, v1
	s_lshr_b32 s14, s14, 26
	s_add_i32 s14, s56, s14
	s_ashr_i32 s51, s14, 6
	v_readfirstlane_b32 s26, v1
	s_mul_i32 s15, s15, s26
	s_mul_hi_u32 s15, s26, s15
	s_add_i32 s26, s26, s15
	s_mul_hi_u32 s15, s28, s26
	s_mul_i32 s26, s15, s3
	s_ashr_i32 s14, s18, 31
	s_sub_i32 s26, s28, s26
	s_xor_b32 s14, s33, s14
	s_add_i32 s27, s15, 1
	s_sub_i32 s28, s26, s3
	s_cmp_ge_u32 s26, s3
	s_cselect_b32 s15, s27, s15
	s_cselect_b32 s26, s28, s26
	s_add_i32 s27, s15, 1
	s_cmp_ge_u32 s26, s3
	s_cselect_b32 s3, s27, s15
	s_xor_b32 s3, s3, s14
	s_sub_i32 s3, s3, s14
	s_abs_i32 s26, s3
	v_cvt_f32_u32_e32 v1, s26
	s_load_dwordx2 s[14:15], s[0:1], 0x80
	s_xor_b32 s0, s46, s3
	s_sub_i32 s3, 0, s26
	v_rcp_iflag_f32_e32 v1, v1
	s_abs_i32 s1, s46
	s_ashr_i32 s0, s0, 31
	s_mov_b32 s47, s17
	v_mul_f32_e32 v1, 0x4f7ffffe, v1
	v_cvt_u32_f32_e32 v1, v1
	v_and_b32_e32 v63, 15, v0
	s_mul_hi_i32 s53, s46, s16
	s_mul_i32 s54, s46, s16
	v_readfirstlane_b32 s24, v1
	s_mul_i32 s3, s3, s24
	s_mul_hi_u32 s3, s24, s3
	s_add_i32 s24, s24, s3
	s_mul_hi_u32 s3, s1, s24
	s_mul_i32 s24, s3, s26
	s_sub_i32 s1, s1, s24
	s_add_i32 s24, s3, 1
	s_sub_i32 s25, s1, s26
	s_cmp_ge_u32 s1, s26
	s_cselect_b32 s3, s24, s3
	s_cselect_b32 s1, s25, s1
	s_add_i32 s24, s3, 1
	s_cmp_ge_u32 s1, s26
	s_cselect_b32 s1, s24, s3
	s_xor_b32 s1, s1, s0
	s_sub_i32 s55, s1, s0
	v_or_b32_e32 v1, v18, v60
	s_lshl_b32 s2, s2, 5
	v_or_b32_e32 v66, 64, v1
	s_cmp_lt_i32 s56, 64
	v_lshrrev_b32_e32 v65, 3, v61
	v_lshlrev_b32_e32 v64, 3, v0
	s_mul_i32 s48, s34, s21
	s_mul_hi_u32 s49, s34, s20
	s_mul_i32 s50, s35, s20
	s_mul_i32 s20, s34, s20
	v_mov_b32_e32 v16, v17
	v_mov_b32_e32 v15, v17
	;; [unrolled: 1-line block ×15, first 2 shown]
	s_cbranch_scc1 .LBB454_19
; %bb.1:
	s_ashr_i32 s58, s46, 31
	s_ashr_i32 s1, s38, 31
	s_add_u32 s0, s54, s38
	s_addc_u32 s1, s53, s1
	s_lshl_b64 s[0:1], s[0:1], 8
	v_and_b32_e32 v68, 56, v64
	s_add_u32 s24, s6, s0
	v_lshl_or_b32 v67, v53, 3, v65
	v_lshlrev_b32_e32 v2, 1, v68
	s_addc_u32 s0, s7, s1
	v_lshl_or_b32 v69, v67, 8, v2
	s_and_b32 s25, s0, 0xffff
	s_mov_b32 s27, 0x20000
	s_movk_i32 s26, 0x4000
	s_movk_i32 s0, 0x80
	v_or_b32_e32 v70, 0x2000, v69
	buffer_load_dwordx4 v[4:7], v69, s[24:27], 0 offen
	buffer_load_dwordx4 v[8:11], v69, s[24:27], s0 offen
	;; [unrolled: 1-line block ×4, first 2 shown]
	v_lshlrev_b32_e32 v3, 3, v67
	v_and_or_b32 v17, v0, 7, v3
	v_and_b32_e32 v3, 0x78, v3
	v_lshlrev_b32_e32 v17, 4, v17
	v_xor_b32_e32 v71, v17, v3
	v_mul_lo_u32 v16, v67, s19
	v_or_b32_e32 v72, 0x1000, v71
	v_xor_b32_e32 v3, 8, v71
	s_cmpk_eq_i32 s19, 0x80
	s_mov_b32 s57, s38
	v_xor_b32_e32 v17, 8, v72
	s_cselect_b64 s[0:1], -1, 0
	s_cmpk_lg_i32 s19, 0x80
	s_waitcnt vmcnt(3)
	ds_write_b64 v71, v[4:5] offset:24576
	ds_write_b64 v3, v[6:7] offset:24576
	s_waitcnt vmcnt(2)
	ds_write_b64 v71, v[8:9] offset:32768
	ds_write_b64 v3, v[10:11] offset:32768
	;; [unrolled: 3-line block ×4, first 2 shown]
	v_lshl_add_u32 v3, v16, 1, v68
	s_cbranch_scc0 .LBB454_3
; %bb.2:
	v_lshlrev_b32_e32 v5, 1, v3
	v_add_lshl_u32 v4, v3, s19, 1
	s_lshl_b32 s26, s19, 7
	v_lshl_or_b32 v2, v67, 9, v2
	s_cbranch_execz .LBB454_4
	s_branch .LBB454_5
.LBB454_3:
                                        ; implicit-def: $vgpr4
                                        ; implicit-def: $vgpr5
                                        ; implicit-def: $sgpr26
	v_lshl_or_b32 v2, v67, 9, v2
.LBB454_4:
	v_or_b32_e32 v4, 0x100, v2
	s_movk_i32 s26, 0x4000
	v_mov_b32_e32 v5, v2
.LBB454_5:
	s_mul_i32 s21, s38, s18
	s_ashr_i32 s59, s55, 31
	s_mul_hi_i32 s3, s38, s18
	s_add_u32 s24, s21, s55
	s_addc_u32 s25, s3, s59
	s_lshl_b64 s[24:25], s[24:25], 8
	s_add_u32 s24, s4, s24
	s_addc_u32 s3, s5, s25
	s_and_b32 s25, s3, 0xffff
	s_movk_i32 s60, 0x80
	buffer_load_dwordx4 v[6:9], v5, s[24:27], 0 offen
	buffer_load_dwordx4 v[10:13], v5, s[24:27], s60 offen
	;; [unrolled: 1-line block ×4, first 2 shown]
	v_and_b32_e32 v4, 6, v0
	v_lshlrev_b32_e32 v24, 6, v1
	v_or_b32_e32 v26, 16, v63
	v_xor_b32_e32 v27, v67, v4
	v_and_b32_e32 v5, 1, v0
	v_lshl_or_b32 v30, v63, 3, v24
	v_lshl_or_b32 v24, v26, 3, v24
	v_lshlrev_b32_e32 v27, 2, v27
	v_lshlrev_b32_e32 v19, 2, v63
	s_mul_i32 s3, s46, s23
	s_mul_hi_u32 s21, s46, s22
	v_or_b32_e32 v75, 0xa000, v24
	v_or_b32_e32 v76, 0xb000, v24
	v_xor_b32_e32 v24, 0x440, v27
	v_cmp_eq_u32_e32 vcc, 0, v5
	s_add_i32 s25, s49, s48
	s_mul_i32 s24, s58, s22
	v_xor_b32_e32 v28, v1, v19
	v_xor_b32_e32 v29, v66, v19
	v_cndmask_b32_e32 v5, v24, v27, vcc
	s_add_i32 s3, s21, s3
	s_add_i32 s21, s25, s50
	s_mov_b32 s61, 0x1000504
	v_lshlrev_b32_e32 v25, 8, v63
	v_lshlrev_b32_e32 v26, 8, v26
	;; [unrolled: 1-line block ×4, first 2 shown]
	v_lshl_or_b32 v4, v4, 10, v5
	s_add_i32 s25, s3, s24
	s_lshl_b64 s[28:29], s[20:21], 2
	s_mov_b32 s62, 0x3020706
	v_or_b32_e32 v73, 0xa000, v30
	v_or_b32_e32 v74, 0xb000, v30
	;; [unrolled: 1-line block ×5, first 2 shown]
	v_xor_b32_e32 v5, 8, v4
	v_xor_b32_e32 v25, 24, v4
	;; [unrolled: 1-line block ×4, first 2 shown]
	s_mul_i32 s24, s46, s22
	s_add_u32 s3, s10, s28
	v_or_b32_e32 v79, v26, v28
	v_xor_b32_e32 v24, 16, v4
	v_xor_b32_e32 v26, 32, v4
	;; [unrolled: 1-line block ×3, first 2 shown]
	v_add_u32_e32 v5, 0x80, v5
	v_add_u32_e32 v25, 0x80, v25
	;; [unrolled: 1-line block ×4, first 2 shown]
	s_addc_u32 s21, s11, s29
	s_lshl_b64 s[24:25], s[24:25], 2
	s_add_u32 s42, s3, s24
	s_movk_i32 s3, 0xf8
	s_addc_u32 s43, s21, s25
	s_lshl_b32 s30, s19, 7
	s_movk_i32 s28, 0x100
	v_mov_b32_e32 v55, 0
	v_lshlrev_b32_e32 v54, 4, v63
	v_cmp_gt_u32_e32 vcc, s28, v0
	s_mov_b32 s63, 0
	s_movk_i32 s21, 0x1000
	s_movk_i32 s26, 0x4000
	v_add_u32_e32 v94, v60, v18
	v_mov_b32_e32 v105, 0x3fb8aa3b
	v_mov_b32_e32 v106, v55
	;; [unrolled: 1-line block ×9, first 2 shown]
	s_waitcnt vmcnt(1)
	v_perm_b32 v30, v6, v14, s61
	s_waitcnt vmcnt(0)
	v_perm_b32 v31, v10, v20, s61
	v_perm_b32 v6, v6, v14, s62
	;; [unrolled: 1-line block ×15, first 2 shown]
	ds_write2st64_b32 v4, v30, v31 offset0:32 offset1:64
	ds_write2st64_b32 v5, v6, v10 offset0:32 offset1:64
	;; [unrolled: 1-line block ×8, first 2 shown]
	v_or_b32_e32 v4, v60, v63
	v_lshlrev_b32_e32 v4, 3, v4
	v_lshrrev_b32_e32 v6, 5, v61
	v_and_or_b32 v6, v4, s3, v6
	v_lshlrev_b32_e32 v6, 4, v6
	v_lshrrev_b32_e32 v5, 2, v61
	v_lshlrev_b32_e32 v11, 11, v53
	v_and_b32_e32 v4, 0x78, v4
	v_or_b32_e32 v10, 32, v6
	v_and_b32_e32 v7, 12, v5
	v_and_b32_e32 v5, 0x1000, v11
	v_xor_b32_e32 v8, v6, v4
	v_lshrrev_b32_e32 v9, 1, v61
	v_xor_b32_e32 v10, v10, v4
	v_or_b32_e32 v8, v8, v5
	v_and_b32_e32 v9, 8, v9
	v_lshlrev_b32_e32 v12, 7, v62
	v_or_b32_e32 v10, v10, v5
	v_xor_b32_e32 v81, v8, v9
	v_or_b32_e32 v8, v12, v19
	v_xor_b32_e32 v83, v10, v9
	v_or_b32_e32 v10, 64, v6
	v_or_b32_e32 v6, 0x60, v6
	s_ashr_i32 s3, s2, 31
	v_lshlrev_b32_e32 v8, 1, v8
	v_xor_b32_e32 v10, v10, v4
	v_xor_b32_e32 v4, v6, v4
	s_lshl_b64 s[24:25], s[2:3], 8
	v_or_b32_e32 v82, 0xa000, v8
	v_or_b32_e32 v84, 0xa080, v8
	;; [unrolled: 1-line block ×6, first 2 shown]
	s_add_u32 s24, s40, s24
	v_lshlrev_b32_e32 v8, 1, v63
	v_lshlrev_b32_e32 v19, 2, v0
	v_lshrrev_b32_e32 v22, 1, v0
	v_xor_b32_e32 v85, v10, v9
	v_xor_b32_e32 v86, v4, v9
	v_lshrrev_b32_e32 v10, 4, v0
	s_addc_u32 s25, s41, s25
	v_or_b32_e32 v9, 1, v8
	v_mov_b32_e32 v20, 0x4000
	v_mov_b32_e32 v21, 0x2000
	v_and_b32_e32 v22, 24, v22
	v_and_or_b32 v12, v19, 60, v12
	v_mov_b32_e32 v19, 0xb000
	v_xor_b32_e32 v15, v10, v8
	v_xor_b32_e32 v16, v9, v10
	v_lshl_add_u64 v[8:9], s[24:25], 0, v[54:55]
	v_lshlrev_b32_e32 v54, 8, v10
	v_cndmask_b32_e32 v20, v20, v21, vcc
	v_lshlrev_b32_e32 v21, 3, v53
	v_lshl_or_b32 v91, v12, 1, v19
	v_or_b32_e32 v12, 32, v22
	v_lshl_or_b32 v89, v15, 3, v54
	v_and_b32_e32 v15, 8, v0
	v_xor_b32_e32 v12, v21, v12
	v_cmp_eq_u32_e32 vcc, 0, v15
	v_or_b32_e32 v19, 0x440, v12
	v_and_b32_e32 v10, 7, v0
	v_cndmask_b32_e32 v12, v19, v12, vcc
	v_lshl_or_b32 v90, v16, 3, v54
	v_lshlrev_b32_e32 v16, 3, v10
	v_or_b32_e32 v12, v12, v11
	v_xor_b32_e32 v19, v12, v16
	v_or_b32_e32 v12, 64, v22
	v_xor_b32_e32 v12, v21, v12
	v_xor_b32_e32 v25, 0x440, v12
	v_cndmask_b32_e32 v12, v25, v12, vcc
	v_or_b32_e32 v12, v12, v11
	v_xor_b32_e32 v25, v12, v16
	v_or_b32_e32 v12, 0x60, v22
	v_xor_b32_e32 v23, v21, v22
	v_xor_b32_e32 v12, v21, v12
	v_or_b32_e32 v24, 0x440, v23
	v_xor_b32_e32 v21, 0x440, v12
	v_cndmask_b32_e32 v15, v24, v23, vcc
	v_cndmask_b32_e32 v12, v21, v12, vcc
	v_or_b32_e32 v15, v15, v11
	v_or_b32_e32 v11, v12, v11
	;; [unrolled: 1-line block ×3, first 2 shown]
	v_xor_b32_e32 v15, v15, v16
	v_xor_b32_e32 v11, v11, v16
	v_lshlrev_b32_e32 v6, 7, v1
	v_ashrrev_i32_e32 v5, 31, v4
	v_lshlrev_b32_e32 v13, 1, v3
	v_add_lshl_u32 v3, v3, s19, 1
	v_or_b32_e32 v14, 0x100, v2
	v_lshlrev_b32_e32 v17, 7, v10
	v_or_b32_e32 v10, v7, v60
	v_add_u32_e32 v23, v20, v15
	v_add_u32_e32 v24, v20, v19
	;; [unrolled: 1-line block ×4, first 2 shown]
	v_or3_b32 v12, v60, v7, 64
	v_add_u32_e32 v7, 0x4000, v15
	v_add_u32_e32 v15, 0x4000, v19
	;; [unrolled: 1-line block ×4, first 2 shown]
	v_cndmask_b32_e64 v92, v13, v2, s[0:1]
	v_cndmask_b32_e64 v93, v3, v14, s[0:1]
	v_lshl_add_u64 v[56:57], v[4:5], 1, s[8:9]
	v_lshl_add_u64 v[58:59], v[8:9], 0, v[54:55]
	s_mov_b32 s3, 0x7060302
	v_lshlrev_b32_e32 v54, 1, v6
	v_lshlrev_b32_e32 v95, 2, v10
	v_add_u32_e32 v96, v23, v17
	v_add_u32_e32 v97, v24, v17
	;; [unrolled: 1-line block ×4, first 2 shown]
	v_lshlrev_b32_e32 v100, 2, v12
	v_add_u32_e32 v101, v7, v17
	v_add_u32_e32 v102, v15, v17
	;; [unrolled: 1-line block ×4, first 2 shown]
	v_mov_b32_e32 v2, v55
	v_mov_b32_e32 v3, v55
	;; [unrolled: 1-line block ×8, first 2 shown]
	s_waitcnt lgkmcnt(0)
	s_barrier
.LBB454_6:                              ; =>This Inner Loop Header: Depth=1
	s_add_i32 s64, s63, 1
	s_cmp_lt_i32 s64, s51
	s_mov_b64 s[28:29], 0
	s_cselect_b64 s[44:45], -1, 0
	s_cmp_ge_i32 s64, s51
	s_mov_b64 s[24:25], 0
	s_cbranch_scc1 .LBB454_8
; %bb.7:                                ;   in Loop: Header=BB454_6 Depth=1
	s_add_i32 s0, s57, 64
	s_ashr_i32 s1, s0, 31
	s_add_u32 s0, s54, s0
	s_addc_u32 s1, s53, s1
	s_lshl_b64 s[0:1], s[0:1], 8
	s_add_u32 s24, s6, s0
	s_addc_u32 s25, s7, s1
.LBB454_8:                              ;   in Loop: Header=BB454_6 Depth=1
	v_cndmask_b32_e64 v10, 0, 1, s[44:45]
	v_cmp_ne_u32_e64 s[0:1], 1, v10
	s_andn2_b64 vcc, exec, s[44:45]
	s_cbranch_vccnz .LBB454_10
; %bb.9:                                ;   in Loop: Header=BB454_6 Depth=1
	s_add_i32 s28, s57, 64
	s_mul_hi_i32 s29, s28, s18
	s_mul_i32 s28, s28, s18
	s_add_u32 s28, s28, s55
	s_addc_u32 s29, s29, s59
	s_lshl_b64 s[28:29], s[28:29], 8
	s_add_u32 s28, s4, s28
	s_addc_u32 s29, s5, s29
.LBB454_10:                             ;   in Loop: Header=BB454_6 Depth=1
	v_perm_b32 v11, v5, v4, s3
	v_perm_b32 v10, v3, v2, s3
	;; [unrolled: 1-line block ×4, first 2 shown]
	ds_write_b64 v73, v[10:11]
	ds_write_b64 v74, v[12:13]
	;; [unrolled: 1-line block ×4, first 2 shown]
	v_perm_b32 v11, v113, v108, s3
	v_perm_b32 v10, v107, v106, s3
	v_perm_b32 v13, v112, v111, s3
	v_perm_b32 v12, v110, v109, s3
	ds_write_b64 v75, v[10:11]
	ds_write_b64 v76, v[12:13]
	;; [unrolled: 1-line block ×4, first 2 shown]
	s_waitcnt lgkmcnt(0)
	s_barrier
	ds_read_b64 v[14:15], v81 offset:24576
	ds_read2_b64 v[10:13], v82 offset1:16
	ds_read_b64 v[18:19], v84 offset:3072
	ds_read_b64 v[20:21], v82 offset:3072
	;; [unrolled: 1-line block ×3, first 2 shown]
	s_waitcnt lgkmcnt(3)
	v_mfma_f32_16x16x16_bf16 a[0:3], v[14:15], v[10:11], 0
	s_add_i32 s65, s57, 63
	s_ashr_i32 s31, s65, 31
	s_mul_i32 s44, s65, s15
	v_mfma_f32_16x16x16_bf16 a[4:7], v[14:15], v[12:13], 0
	ds_read2st64_b64 v[10:13], v82 offset0:2 offset1:4
	s_mul_hi_u32 s45, s65, s14
	s_add_i32 s44, s45, s44
	s_waitcnt lgkmcnt(0)
	v_mfma_f32_16x16x16_bf16 a[0:3], v[22:23], v[10:11], a[0:3]
	ds_read2st64_b64 v[14:17], v84 offset0:2 offset1:4
	ds_read_b64 v[10:11], v85 offset:24576
	s_mul_i32 s31, s31, s14
	s_add_i32 s45, s44, s31
	s_waitcnt lgkmcnt(1)
	v_mfma_f32_16x16x16_bf16 a[4:7], v[22:23], v[14:15], a[4:7]
	ds_read_b64 v[14:15], v86 offset:24576
	s_mul_i32 s44, s65, s14
	s_lshl_b64 s[44:45], s[44:45], 2
	s_waitcnt lgkmcnt(1)
	v_mfma_f32_16x16x16_bf16 a[0:3], v[10:11], v[12:13], a[0:3]
	s_add_u32 s44, s42, s44
	s_addc_u32 s45, s43, s45
	s_and_b64 vcc, exec, s[0:1]
	v_mfma_f32_16x16x16_bf16 a[4:7], v[10:11], v[16:17], a[4:7]
	v_mov_b32_e32 v116, 0
	v_mov_b32_e32 v115, 0
	;; [unrolled: 1-line block ×3, first 2 shown]
	s_waitcnt lgkmcnt(0)
	v_mfma_f32_16x16x16_bf16 a[0:3], v[14:15], v[20:21], a[0:3]
	v_mov_b32_e32 v10, 0
	v_mov_b32_e32 v11, 0
	;; [unrolled: 1-line block ×3, first 2 shown]
	v_mfma_f32_16x16x16_bf16 a[4:7], v[14:15], v[18:19], a[4:7]
	v_mov_b32_e32 v13, 0
	v_mov_b32_e32 v14, 0
	;; [unrolled: 1-line block ×13, first 2 shown]
	s_cbranch_vccnz .LBB454_12
; %bb.11:                               ;   in Loop: Header=BB454_6 Depth=1
	s_and_b32 s25, s25, 0xffff
	buffer_load_dwordx4 v[22:25], v69, s[24:27], 0 offen
	buffer_load_dwordx4 v[18:21], v69, s[24:27], s60 offen
	;; [unrolled: 1-line block ×4, first 2 shown]
	v_mov_b32_e32 v115, v71
	v_mov_b32_e32 v114, v72
.LBB454_12:                             ;   in Loop: Header=BB454_6 Depth=1
	ds_read_b64 v[30:31], v81 offset:32768
	ds_read2_b64 v[26:29], v87 offset1:16
	ds_read_b64 v[34:35], v83 offset:32768
	ds_read_b64 v[36:37], v85 offset:32768
	;; [unrolled: 1-line block ×3, first 2 shown]
	v_add_u32_e32 v40, s57, v94
	s_waitcnt lgkmcnt(3)
	v_mfma_f32_16x16x16_bf16 a[0:3], v[30:31], v[26:27], a[0:3]
	v_mul_lo_u32 v41, v40, s15
	v_mov_b32_e32 v117, 0
	v_mfma_f32_16x16x16_bf16 a[4:7], v[30:31], v[28:29], a[4:7]
	ds_read2st64_b64 v[26:29], v87 offset0:2 offset1:4
	ds_read2st64_b64 v[30:33], v88 offset0:2 offset1:4
	s_waitcnt lgkmcnt(1)
	v_mfma_f32_16x16x16_bf16 a[0:3], v[34:35], v[26:27], a[0:3]
	v_ashrrev_i32_e32 v26, 31, v40
	v_mul_lo_u32 v42, v26, s14
	v_mad_u64_u32 v[26:27], s[24:25], v40, s14, 0
	v_mfma_f32_16x16x16_bf16 a[0:3], v[36:37], v[28:29], a[0:3]
	v_add_u32_e32 v28, 1, v40
	v_ashrrev_i32_e32 v29, 31, v28
	v_add3_u32 v27, v27, v41, v42
	s_waitcnt lgkmcnt(0)
	v_mfma_f32_16x16x16_bf16 a[4:7], v[34:35], v[30:31], a[4:7]
	v_mul_lo_u32 v30, v29, s14
	v_mul_lo_u32 v31, v28, s15
	v_mad_u64_u32 v[28:29], s[24:25], v28, s14, 0
	v_add3_u32 v29, v29, v31, v30
	v_add_u32_e32 v30, 2, v40
	v_ashrrev_i32_e32 v31, 31, v30
	v_mul_lo_u32 v34, v31, s14
	v_mul_lo_u32 v35, v30, s15
	v_mad_u64_u32 v[30:31], s[24:25], v30, s14, 0
	v_add3_u32 v31, v31, v35, v34
	v_add_u32_e32 v34, 3, v40
	v_ashrrev_i32_e32 v35, 31, v34
	v_mul_lo_u32 v40, v35, s14
	v_mul_lo_u32 v41, v34, s15
	v_mad_u64_u32 v[34:35], s[24:25], v34, s14, 0
	v_add3_u32 v35, v35, v41, v40
	s_ashr_i32 s25, s57, 31
	v_lshl_add_u64 v[26:27], v[26:27], 2, s[42:43]
	v_lshl_add_u64 v[34:35], v[34:35], 2, s[42:43]
	s_add_u32 s24, s54, s57
	v_lshl_add_u64 v[28:29], v[28:29], 2, s[42:43]
	v_lshl_add_u64 v[30:31], v[30:31], 2, s[42:43]
	global_load_dword v40, v[26:27], off
	global_load_dword v41, v[28:29], off
	;; [unrolled: 1-line block ×3, first 2 shown]
	s_nop 0
	global_load_dword v34, v[34:35], off
	s_addc_u32 s25, s53, s25
	s_lshl_b64 s[24:25], s[24:25], 8
	v_lshl_add_u64 v[26:27], v[56:57], 0, s[24:25]
	v_lshl_add_u64 v[26:27], v[26:27], 0, v[54:55]
	global_load_ushort v35, v[26:27], off offset:256
	global_load_ushort v43, v[26:27], off
	global_load_ushort v44, v[26:27], off offset:768
	global_load_ushort v45, v[26:27], off offset:512
	ds_read_b64 v[28:29], v87 offset:3072
	ds_read_b64 v[30:31], v88 offset:3072
	global_load_ushort v46, v[26:27], off offset:800
	global_load_ushort v47, v[26:27], off offset:544
	;; [unrolled: 1-line block ×4, first 2 shown]
	s_load_dword s24, s[44:45], 0x0
	v_mfma_f32_16x16x16_bf16 a[4:7], v[36:37], v[32:33], a[4:7]
	s_and_b64 vcc, exec, s[0:1]
	s_waitcnt vmcnt(11) lgkmcnt(0)
	v_sub_f32_e32 v32, s24, v40
	v_mfma_f32_16x16x16_bf16 a[0:3], v[38:39], v[28:29], a[0:3]
	s_waitcnt vmcnt(10)
	v_sub_f32_e32 v37, s24, v41
	v_mul_f32_e32 v36, 0x3fb8aa3b, v32
	v_mul_f32_e32 v37, 0x3fb8aa3b, v37
	v_mfma_f32_16x16x16_bf16 a[4:7], v[38:39], v[30:31], a[4:7]
	s_waitcnt vmcnt(9)
	v_sub_f32_e32 v38, s24, v42
	s_waitcnt vmcnt(8)
	v_sub_f32_e32 v39, s24, v34
	v_mul_f32_e32 v38, 0x3fb8aa3b, v38
	v_mul_f32_e32 v39, 0x3fb8aa3b, v39
	v_exp_f32_e32 v36, v36
	v_exp_f32_e32 v37, v37
	;; [unrolled: 1-line block ×4, first 2 shown]
	v_accvgpr_read_b32 v31, a1
	v_accvgpr_read_b32 v27, a3
	;; [unrolled: 1-line block ×4, first 2 shown]
	s_waitcnt vmcnt(7)
	v_lshlrev_b32_e32 v33, 16, v35
	s_waitcnt vmcnt(6)
	v_lshlrev_b32_e32 v32, 16, v43
	;; [unrolled: 2-line block ×4, first 2 shown]
	v_pk_add_f32 v[30:31], v[32:33], v[30:31] neg_lo:[0,1] neg_hi:[0,1]
	v_pk_add_f32 v[26:27], v[34:35], v[26:27] neg_lo:[0,1] neg_hi:[0,1]
	v_pk_mul_f32 v[30:31], v[36:37], v[30:31]
	v_pk_mul_f32 v[26:27], v[38:39], v[26:27]
	v_accvgpr_read_b32 v33, a5
	v_perm_b32 v27, v27, v26, s3
	v_perm_b32 v26, v31, v30, s3
	s_waitcnt vmcnt(1)
	v_lshlrev_b32_e32 v31, 16, v48
	s_waitcnt vmcnt(0)
	v_lshlrev_b32_e32 v30, 16, v49
	v_accvgpr_read_b32 v32, a4
	v_accvgpr_read_b32 v29, a7
	;; [unrolled: 1-line block ×3, first 2 shown]
	v_pk_add_f32 v[30:31], v[30:31], v[32:33] neg_lo:[0,1] neg_hi:[0,1]
	v_lshlrev_b32_e32 v33, 16, v46
	v_lshlrev_b32_e32 v32, 16, v47
	v_pk_add_f32 v[28:29], v[32:33], v[28:29] neg_lo:[0,1] neg_hi:[0,1]
	v_pk_mul_f32 v[30:31], v[36:37], v[30:31]
	v_pk_mul_f32 v[28:29], v[38:39], v[28:29]
	v_mov_b32_e32 v32, 0
	v_perm_b32 v29, v29, v28, s3
	v_perm_b32 v28, v31, v30, s3
	ds_write2_b64 v74, v[26:27], v[28:29] offset1:16
	v_mov_b32_e32 v26, 0
	v_mov_b32_e32 v27, 0
	;; [unrolled: 1-line block ×15, first 2 shown]
	s_cbranch_vccnz .LBB454_14
; %bb.13:                               ;   in Loop: Header=BB454_6 Depth=1
	s_and_b32 s29, s29, 0xffff
	s_mov_b32 s31, s27
	buffer_load_dwordx4 v[38:41], v92, s[28:31], 0 offen
	buffer_load_dwordx4 v[30:33], v92, s[28:31], s60 offen
	;; [unrolled: 1-line block ×4, first 2 shown]
	v_mov_b32_e32 v116, v68
	v_mov_b32_e32 v117, v67
.LBB454_14:                             ;   in Loop: Header=BB454_6 Depth=1
	s_waitcnt lgkmcnt(0)
	s_barrier
	ds_read_b64 v[46:47], v96
	ds_read_b64 v[122:123], v91
	;; [unrolled: 1-line block ×5, first 2 shown]
	ds_read_b64 v[136:137], v88 offset:3072
	ds_read2_b64 v[42:45], v87 offset0:16 offset1:128
	s_waitcnt lgkmcnt(5)
	v_mfma_f32_16x16x16_bf16 a[0:3], v[46:47], v[122:123], 0
	ds_read2st64_b64 v[48:51], v88 offset0:2 offset1:4
	s_add_i32 s25, s52, s63
	s_mul_hi_i32 s29, s25, s47
	s_waitcnt lgkmcnt(1)
	v_mfma_f32_16x16x16_bf16 a[4:7], v[46:47], v[42:43], 0
	ds_read_b64 v[46:47], v101
	s_mul_i32 s25, s25, s47
	s_add_u32 s28, s25, s46
	s_waitcnt lgkmcnt(1)
	v_mfma_f32_16x16x16_bf16 a[4:7], v[124:125], v[48:49], a[4:7]
	s_addc_u32 s29, s29, s58
	s_lshl_b64 s[28:29], s[28:29], 15
	s_mul_i32 s31, s65, s47
	s_mul_hi_i32 s25, s65, s47
	s_add_u32 s44, s31, s46
	v_mfma_f32_16x16x16_bf16 a[8:11], v[126:127], v[50:51], a[4:7]
	s_addc_u32 s45, s25, s58
	ds_read2st64_b64 v[118:121], v87 offset0:4 offset1:6
	s_lshl_b64 s[44:45], s[44:45], 9
	s_waitcnt lgkmcnt(1)
	v_mfma_f32_16x16x16_bf16 a[4:7], v[46:47], v[122:123], 0
	s_add_u32 s44, s36, s44
	s_addc_u32 s45, s37, s45
	v_mfma_f32_16x16x16_bf16 a[0:3], v[124:125], v[44:45], a[0:3]
	ds_read_b64 v[124:125], v102
	ds_read_b64 v[132:133], v103
	;; [unrolled: 1-line block ×3, first 2 shown]
	v_mfma_f32_16x16x16_bf16 a[12:15], v[46:47], v[42:43], 0
	s_waitcnt lgkmcnt(2)
	v_mfma_f32_16x16x16_bf16 a[4:7], v[124:125], v[44:45], a[4:7]
	global_load_dwordx4 v[42:45], v100, s[44:45]
	v_mfma_f32_16x16x16_bf16 a[12:15], v[124:125], v[48:49], a[12:15]
	global_load_dwordx4 v[46:49], v95, s[44:45]
	ds_read2st64_b64 v[122:125], v89 offset1:8
	s_waitcnt lgkmcnt(0)
	v_mov_b32_e32 v130, v122
	v_mfma_f32_16x16x16_bf16 a[0:3], v[126:127], v[118:119], a[0:3]
	ds_read2st64_b64 v[126:129], v90 offset1:8
	v_mov_b32_e32 v131, v123
	v_mfma_f32_16x16x16_bf16 a[16:19], v[132:133], v[118:119], a[4:7]
	v_lshl_add_u64 v[118:119], v[58:59], 0, s[28:29]
	v_mfma_f32_16x16x16_bf16 a[20:23], v[132:133], v[50:51], a[12:15]
	v_add_co_u32_e32 v50, vcc, s21, v118
	s_waitcnt lgkmcnt(0)
	v_mov_b32_e32 v132, v126
	v_mfma_f32_16x16x16_bf16 a[4:7], v[134:135], v[120:121], a[0:3]
	v_mov_b32_e32 v133, v127
	v_mov_b32_e32 v126, v124
	;; [unrolled: 1-line block ×3, first 2 shown]
	v_mfma_f32_16x16x16_bf16 a[8:11], v[134:135], v[136:137], a[8:11]
	v_addc_co_u32_e32 v51, vcc, 0, v119, vcc
	global_store_dwordx4 v[50:51], v[126:129], off
	v_mfma_f32_16x16x16_bf16 a[12:15], v[138:139], v[120:121], a[16:19]
	s_and_b64 vcc, exec, s[0:1]
	global_store_dwordx4 v[118:119], v[130:133], off
	s_waitcnt vmcnt(3)
	v_mov_b32_e32 v52, v45
	v_mfma_f32_16x16x16_bf16 a[0:3], v[138:139], v[136:137], a[20:23]
	v_mov_b32_e32 v51, v44
	v_mov_b32_e32 v50, v43
	s_cbranch_vccnz .LBB454_16
; %bb.15:                               ;   in Loop: Header=BB454_6 Depth=1
	v_lshrrev_b32_e32 v43, 3, v116
	v_and_b32_e32 v43, 6, v43
	v_xor_b32_e32 v44, v43, v117
	v_lshlrev_b32_e32 v44, 2, v44
	v_and_b32_e32 v45, 8, v116
	v_xor_b32_e32 v116, 0x440, v44
	v_cmp_eq_u32_e32 vcc, 0, v45
	v_perm_b32 v45, v30, v26, s61
	s_nop 0
	v_cndmask_b32_e32 v44, v116, v44, vcc
	v_lshl_or_b32 v43, v43, 10, v44
	v_perm_b32 v44, v38, v34, s61
	s_barrier
	ds_write2st64_b32 v43, v44, v45 offset0:32 offset1:64
	v_xor_b32_e32 v44, 8, v43
	v_perm_b32 v34, v38, v34, s62
	v_perm_b32 v26, v30, v26, s62
	v_add_u32_e32 v30, 0x80, v44
	ds_write2st64_b32 v30, v34, v26 offset0:32 offset1:64
	v_xor_b32_e32 v26, 16, v43
	v_perm_b32 v30, v39, v35, s61
	v_perm_b32 v34, v31, v27, s61
	ds_write2st64_b32 v26, v30, v34 offset0:33 offset1:65
	v_xor_b32_e32 v26, 24, v43
	v_perm_b32 v30, v39, v35, s62
	v_perm_b32 v27, v31, v27, s62
	v_add_u32_e32 v26, 0x80, v26
	ds_write2st64_b32 v26, v30, v27 offset0:33 offset1:65
	v_xor_b32_e32 v26, 32, v43
	v_perm_b32 v27, v40, v36, s61
	v_perm_b32 v30, v32, v28, s61
	;; [unrolled: 9-line block ×3, first 2 shown]
	ds_write2st64_b32 v26, v27, v28 offset0:35 offset1:67
	v_xor_b32_e32 v26, 56, v43
	v_perm_b32 v27, v41, v37, s62
	v_perm_b32 v28, v33, v29, s62
	v_add_u32_e32 v26, 0x80, v26
	ds_write2st64_b32 v26, v27, v28 offset0:35 offset1:67
	ds_write_b64 v115, v[22:23] offset:24576
	v_xor_b32_e32 v22, 8, v115
	ds_write_b64 v22, v[24:25] offset:24576
	ds_write_b64 v115, v[18:19] offset:32768
	;; [unrolled: 1-line block ×4, first 2 shown]
	v_xor_b32_e32 v14, 8, v114
	ds_write_b64 v14, v[16:17] offset:24576
	ds_write_b64 v114, v[10:11] offset:32768
	;; [unrolled: 1-line block ×3, first 2 shown]
.LBB454_16:                             ;   in Loop: Header=BB454_6 Depth=1
	v_mul_f32_e32 v14, s24, v105
	v_exp_f32_e32 v26, v14
	s_waitcnt vmcnt(2)
	v_mul_f32_e32 v14, 0x3fb8aa3b, v46
	v_exp_f32_e32 v28, v14
	v_mul_f32_e32 v14, 0x3fb8aa3b, v47
	v_exp_f32_e32 v29, v14
	;; [unrolled: 2-line block ×4, first 2 shown]
	v_accvgpr_read_b32 v21, a7
	v_accvgpr_read_b32 v19, a5
	;; [unrolled: 1-line block ×4, first 2 shown]
	v_pk_mul_f32 v[28:29], v[26:27], v[28:29] op_sel_hi:[0,1]
	v_accvgpr_read_b32 v12, a10
	v_pk_fma_f32 v[2:3], v[2:3], v[28:29], v[18:19]
	v_pk_mul_f32 v[18:19], v[26:27], v[30:31] op_sel_hi:[0,1]
	v_accvgpr_read_b32 v20, a6
	v_accvgpr_read_b32 v11, a9
	v_accvgpr_read_b32 v10, a8
	v_fma_f32 v108, v108, v18, v12
	v_mul_f32_e32 v12, 0x3fb8aa3b, v51
	v_pk_fma_f32 v[4:5], v[4:5], v[18:19], v[20:21]
	v_fma_f32 v106, v106, v28, v10
	v_fma_f32 v107, v107, v29, v11
	v_mul_f32_e32 v10, 0x3fb8aa3b, v42
	v_mul_f32_e32 v11, 0x3fb8aa3b, v50
	v_exp_f32_e32 v20, v12
	v_mul_f32_e32 v12, 0x3fb8aa3b, v52
	v_exp_f32_e32 v10, v10
	v_exp_f32_e32 v11, v11
	;; [unrolled: 1-line block ×3, first 2 shown]
	v_accvgpr_read_b32 v25, a15
	v_accvgpr_read_b32 v17, a3
	;; [unrolled: 1-line block ×8, first 2 shown]
	v_fmac_f32_e32 v13, v113, v19
	v_pk_mul_f32 v[10:11], v[26:27], v[10:11] op_sel_hi:[0,1]
	v_pk_mul_f32 v[18:19], v[26:27], v[20:21] op_sel_hi:[0,1]
	s_add_i32 s57, s57, 64
	v_pk_fma_f32 v[6:7], v[6:7], v[10:11], v[22:23]
	v_pk_fma_f32 v[8:9], v[8:9], v[18:19], v[24:25]
	v_fma_f32 v109, v109, v10, v14
	v_fma_f32 v110, v110, v11, v15
	;; [unrolled: 1-line block ×3, first 2 shown]
	s_cmp_eq_u32 s51, s64
	v_fmac_f32_e32 v17, v112, v19
	s_cbranch_scc1 .LBB454_18
; %bb.17:                               ;   in Loop: Header=BB454_6 Depth=1
	s_mov_b32 s63, s64
	v_mov_b32_e32 v113, v13
	v_mov_b32_e32 v112, v17
	s_branch .LBB454_6
.LBB454_18:
	v_mov_b32_e32 v16, v111
	v_mov_b32_e32 v15, v110
	;; [unrolled: 1-line block ×6, first 2 shown]
.LBB454_19:
	s_lshl_b32 s3, s51, 6
	s_sub_i32 s56, s56, s3
	s_cmp_gt_i32 s56, 0
	v_or_b32_e32 v34, s2, v63
	s_cbranch_scc1 .LBB454_21
; %bb.20:
	s_ashr_i32 s29, s46, 31
	v_or_b32_e32 v35, s2, v63
	s_cbranch_execz .LBB454_22
	s_branch .LBB454_86
.LBB454_21:
                                        ; implicit-def: $vgpr35
                                        ; implicit-def: $sgpr28_sgpr29
.LBB454_22:
	s_add_i32 s28, s3, s38
	s_ashr_i32 s3, s28, 31
	s_cmpk_lg_i32 s19, 0x80
	s_cselect_b64 s[42:43], -1, 0
	s_and_b64 vcc, exec, s[42:43]
	s_cbranch_vccz .LBB454_24
; %bb.23:
	s_mul_hi_i32 s0, s28, s18
	s_mul_i32 s1, s28, s18
	s_ashr_i32 s18, s55, 31
	s_add_u32 s44, s1, s55
	s_addc_u32 s45, s0, s18
	s_cbranch_execz .LBB454_25
	s_branch .LBB454_26
.LBB454_24:
                                        ; implicit-def: $sgpr44_sgpr45
.LBB454_25:
	s_mul_i32 s1, s55, s16
	s_mul_hi_i32 s0, s55, s16
	s_add_u32 s44, s1, s28
	s_addc_u32 s45, s0, s3
.LBB454_26:
	s_add_i32 s16, s51, s52
	s_ashr_i32 s29, s46, 31
	s_add_u32 s0, s54, s28
	v_lshlrev_b32_e32 v22, 5, v1
	v_lshlrev_b32_e32 v40, 2, v63
	s_addc_u32 s1, s53, s3
	s_mov_b32 s3, 0x7060302
	v_or_b32_e32 v25, v22, v40
	v_xor_b32_e32 v23, v1, v40
	v_perm_b32 v19, v5, v4, s3
	v_perm_b32 v18, v3, v2, s3
	;; [unrolled: 1-line block ×4, first 2 shown]
	v_lshlrev_b32_e32 v25, 1, v25
	v_xor_b32_e32 v24, v66, v40
	ds_write2st64_b64 v25, v[18:19], v[20:21] offset0:80 offset1:88
	v_lshlrev_b32_e32 v23, 1, v23
	v_lshlrev_b32_e32 v25, 8, v63
	s_lshl_b64 s[30:31], s[0:1], 8
	v_or_b32_e32 v26, v23, v25
	v_lshlrev_b32_e32 v24, 1, v24
	s_add_u32 s0, s6, s30
	ds_write_b64 v26, v[18:19]
	v_or_b32_e32 v18, v24, v25
	s_addc_u32 s1, s7, s31
	ds_write_b64 v18, v[20:21]
	v_perm_b32 v19, v13, v12, s3
	v_perm_b32 v18, v11, v10, s3
	;; [unrolled: 1-line block ×4, first 2 shown]
	v_or_b32_e32 v25, 16, v63
	s_mul_hi_i32 s3, s16, s17
	s_mul_i32 s16, s16, s17
	v_lshlrev_b32_e32 v37, 2, v25
	s_add_u32 s6, s16, s46
	v_or_b32_e32 v22, v22, v37
	s_addc_u32 s7, s3, s29
	v_lshlrev_b32_e32 v22, 1, v22
	s_ashr_i32 s3, s2, 31
	s_lshl_b64 s[6:7], s[6:7], 15
	ds_write2st64_b64 v22, v[18:19], v[20:21] offset0:80 offset1:88
	v_lshlrev_b32_e32 v22, 8, v25
	s_add_u32 s6, s40, s6
	v_or_b32_e32 v23, v23, v22
	s_addc_u32 s7, s41, s7
	s_lshl_b64 s[2:3], s[2:3], 8
	ds_write_b64 v23, v[18:19]
	v_or_b32_e32 v18, v24, v22
	s_add_u32 s2, s6, s2
	ds_write_b64 v18, v[20:21]
	v_lshrrev_b32_e32 v18, 4, v0
	s_addc_u32 s3, s7, s3
	v_lshlrev_b32_e32 v19, 1, v63
	v_lshlrev_b32_e32 v26, 4, v63
	v_mov_b32_e32 v27, 0
	v_or_b32_e32 v20, 1, v19
	v_xor_b32_e32 v19, v18, v19
	v_lshl_add_u64 v[28:29], s[2:3], 0, v[26:27]
	v_lshlrev_b32_e32 v26, 8, v18
	v_xor_b32_e32 v22, v20, v18
	v_lshl_or_b32 v18, v19, 3, v26
	s_waitcnt lgkmcnt(0)
	s_barrier
	ds_read2st64_b64 v[18:21], v18 offset1:8
	v_lshl_or_b32 v22, v22, 3, v26
	ds_read2st64_b64 v[22:25], v22 offset1:8
	v_lshl_add_u64 v[30:31], v[28:29], 0, v[26:27]
	s_movk_i32 s2, 0x1000
	s_waitcnt lgkmcnt(1)
	v_mov_b32_e32 v26, v18
	v_add_co_u32_e32 v18, vcc, s2, v30
	s_cmp_lg_u32 s56, 64
	v_mov_b32_e32 v27, v19
	v_addc_co_u32_e32 v19, vcc, 0, v31, vcc
	s_cselect_b64 s[6:7], -1, 0
	v_lshl_or_b32 v35, v53, 3, v65
	s_waitcnt lgkmcnt(0)
	v_mov_b32_e32 v28, v22
	v_mov_b32_e32 v29, v23
	;; [unrolled: 1-line block ×4, first 2 shown]
	s_mov_b32 s24, 0
	v_or_b32_e32 v38, 32, v35
	v_and_b32_e32 v36, 56, v64
	s_and_b64 vcc, exec, s[6:7]
	global_store_dwordx4 v[30:31], v[26:29], off
	global_store_dwordx4 v[18:19], v[22:25], off
	s_cbranch_vccz .LBB454_32
; %bb.27:
	s_mov_b32 s25, s24
	s_mov_b32 s26, s24
	;; [unrolled: 1-line block ×3, first 2 shown]
	v_mov_b64_e32 v[22:23], s[24:25]
	v_mov_b64_e32 v[24:25], s[26:27]
	;; [unrolled: 1-line block ×3, first 2 shown]
	v_cmp_gt_i32_e32 vcc, s56, v35
	v_mov_b64_e32 v[20:21], v[24:25]
	s_and_saveexec_b64 s[2:3], vcc
	s_cbranch_execz .LBB454_29
; %bb.28:
	v_lshlrev_b32_e32 v18, 8, v35
	v_mov_b32_e32 v19, 0
	v_lshl_add_u64 v[20:21], s[0:1], 0, v[18:19]
	v_lshlrev_b32_e32 v18, 1, v36
	v_lshl_add_u64 v[26:27], v[20:21], 0, v[18:19]
	global_load_dwordx4 v[22:25], v[26:27], off
	global_load_dwordx4 v[18:21], v[26:27], off offset:128
.LBB454_29:
	s_or_b64 exec, exec, s[2:3]
	s_mov_b32 s26, s24
	s_mov_b32 s27, s24
	s_mov_b32 s25, s24
	v_mov_b64_e32 v[32:33], s[26:27]
	v_mov_b64_e32 v[30:31], s[24:25]
	;; [unrolled: 1-line block ×3, first 2 shown]
	v_cmp_gt_i32_e32 vcc, s56, v38
	v_lshlrev_b32_e32 v39, 7, v38
	v_mov_b64_e32 v[28:29], v[32:33]
	s_and_saveexec_b64 s[2:3], vcc
	s_cbranch_execz .LBB454_31
; %bb.30:
	v_lshlrev_b32_e32 v26, 1, v39
	v_mov_b32_e32 v27, 0
	v_lshl_add_u64 v[28:29], s[0:1], 0, v[26:27]
	v_lshlrev_b32_e32 v26, 1, v36
	v_lshl_add_u64 v[42:43], v[28:29], 0, v[26:27]
	global_load_dwordx4 v[30:33], v[42:43], off
	global_load_dwordx4 v[26:29], v[42:43], off offset:128
.LBB454_31:
	s_or_b64 exec, exec, s[2:3]
	v_lshrrev_b32_e32 v41, 3, v36
	v_lshlrev_b32_e32 v42, 3, v35
	v_or_b32_e32 v41, v42, v41
	v_lshlrev_b32_e32 v41, 4, v41
	v_and_b32_e32 v42, 0x78, v42
	v_xor_b32_e32 v41, v41, v42
	s_branch .LBB454_34
.LBB454_32:
                                        ; implicit-def: $vgpr41
                                        ; implicit-def: $vgpr39
                                        ; implicit-def: $vgpr22_vgpr23_vgpr24_vgpr25
                                        ; implicit-def: $vgpr18_vgpr19_vgpr20_vgpr21
                                        ; implicit-def: $vgpr30_vgpr31_vgpr32_vgpr33
                                        ; implicit-def: $vgpr26_vgpr27_vgpr28_vgpr29
	s_cbranch_execz .LBB454_34
; %bb.33:
	s_waitcnt vmcnt(0)
	v_lshlrev_b32_e32 v18, 1, v36
	v_lshl_or_b32 v39, v35, 8, v18
	s_and_b32 s1, s1, 0xffff
	s_mov_b32 s3, 0x20000
	s_movk_i32 s2, 0x4000
	v_lshl_or_b32 v41, v38, 8, v18
	s_movk_i32 s16, 0x80
	buffer_load_dwordx4 v[22:25], v39, s[0:3], 0 offen
	buffer_load_dwordx4 v[18:21], v39, s[0:3], s16 offen
	buffer_load_dwordx4 v[30:33], v41, s[0:3], 0 offen
	buffer_load_dwordx4 v[26:29], v41, s[0:3], s16 offen
	v_lshrrev_b32_e32 v39, 3, v36
	v_lshlrev_b32_e32 v41, 3, v35
	v_or_b32_e32 v39, v41, v39
	v_lshlrev_b32_e32 v39, 4, v39
	v_and_b32_e32 v41, 0x78, v41
	v_xor_b32_e32 v41, v39, v41
	v_lshlrev_b32_e32 v39, 7, v38
.LBB454_34:
	s_lshl_b64 s[0:1], s[44:45], 8
	s_add_u32 s4, s4, s0
	s_movk_i32 s0, 0x1000
	v_and_or_b32 v38, v39, s0, v41
	s_waitcnt vmcnt(1)
	ds_write_b64 v41, v[22:23] offset:24576
	v_xor_b32_e32 v22, 8, v41
	ds_write_b64 v22, v[24:25] offset:24576
	s_waitcnt vmcnt(0)
	ds_write_b64 v41, v[18:19] offset:32768
	ds_write_b64 v22, v[20:21] offset:32768
	;; [unrolled: 1-line block ×3, first 2 shown]
	v_xor_b32_e32 v18, 8, v38
	ds_write_b64 v18, v[32:33] offset:24576
	ds_write_b64 v38, v[26:27] offset:32768
	;; [unrolled: 1-line block ×3, first 2 shown]
	v_or_b32_e32 v18, v60, v63
	v_lshlrev_b32_e32 v18, 3, v18
	v_lshrrev_b32_e32 v19, 5, v61
	s_movk_i32 s18, 0xf8
	v_and_or_b32 v19, v18, s18, v19
	v_lshlrev_b32_e32 v23, 4, v19
	v_lshlrev_b32_e32 v41, 11, v53
	v_and_b32_e32 v24, 0x78, v18
	v_or_b32_e32 v26, 32, v23
	v_and_b32_e32 v22, 0x1000, v41
	v_lshrrev_b32_e32 v19, 1, v61
	v_xor_b32_e32 v26, v26, v24
	v_xor_b32_e32 v18, v23, v24
	v_and_b32_e32 v25, 8, v19
	v_or_b32_e32 v26, v26, v22
	v_or_b32_e32 v18, v18, v22
	v_xor_b32_e32 v45, v26, v25
	v_or_b32_e32 v26, 64, v23
	v_xor_b32_e32 v44, v18, v25
	v_xor_b32_e32 v26, v26, v24
	s_waitcnt lgkmcnt(0)
	s_barrier
	v_or_b32_e32 v28, v26, v22
	ds_read_b64 v[26:27], v44 offset:24576
	v_lshl_or_b32 v38, v62, 7, v40
	v_lshlrev_b32_e32 v42, 1, v38
	v_add_u32_e32 v18, 0xa000, v42
	ds_read2_b64 v[18:21], v18 offset1:16
	v_or_b32_e32 v23, 0x60, v23
	v_xor_b32_e32 v23, v23, v24
	s_waitcnt lgkmcnt(0)
	v_mfma_f32_16x16x16_bf16 a[0:3], v[26:27], v[18:19], 0
	v_or_b32_e32 v18, 64, v38
	v_or_b32_e32 v22, v23, v22
	v_lshlrev_b32_e32 v43, 1, v18
	v_xor_b32_e32 v46, v28, v25
	v_xor_b32_e32 v47, v22, v25
	ds_read_b64 v[28:29], v45 offset:24576
	ds_read_b64 v[30:31], v46 offset:24576
	ds_read_b64 v[32:33], v47 offset:24576
	v_mfma_f32_16x16x16_bf16 a[4:7], v[26:27], v[20:21], 0
	ds_read2st64_b64 v[18:21], v43 offset0:82 offset1:84
	ds_read2st64_b64 v[22:25], v42 offset0:82 offset1:84
	s_addc_u32 s5, s5, s1
	s_add_i32 s16, s39, -1
	s_add_i32 s0, s49, s48
	s_add_i32 s21, s0, s50
	s_mul_i32 s0, s46, s23
	s_mul_hi_u32 s1, s46, s22
	s_ashr_i32 s2, s16, 31
	s_mul_i32 s3, s16, s15
	s_mul_hi_u32 s18, s16, s14
	s_add_i32 s0, s1, s0
	s_mul_i32 s1, s29, s22
	s_add_i32 s3, s18, s3
	s_mul_i32 s2, s2, s14
	s_waitcnt lgkmcnt(1)
	v_mfma_f32_16x16x16_bf16 a[4:7], v[28:29], v[18:19], a[4:7]
	s_add_i32 s1, s0, s1
	s_add_i32 s3, s3, s2
	s_lshl_b64 s[20:21], s[20:21], 2
	s_waitcnt lgkmcnt(0)
	v_mfma_f32_16x16x16_bf16 a[0:3], v[28:29], v[22:23], a[0:3]
	s_mul_i32 s0, s46, s22
	s_add_u32 s10, s10, s20
	s_addc_u32 s11, s11, s21
	s_lshl_b64 s[0:1], s[0:1], 2
	s_mul_i32 s2, s16, s14
	s_add_u32 s10, s10, s0
	ds_read_b64 v[18:19], v42 offset:44032
	v_mfma_f32_16x16x16_bf16 a[4:7], v[30:31], v[20:21], a[4:7]
	ds_read_b64 v[20:21], v43 offset:44032
	s_addc_u32 s11, s11, s1
	s_lshl_b64 s[0:1], s[2:3], 2
	v_mfma_f32_16x16x16_bf16 a[0:3], v[30:31], v[24:25], a[0:3]
	s_add_u32 s0, s10, s0
	s_addc_u32 s1, s11, s1
	s_load_dword s18, s[0:1], 0x0
	s_waitcnt lgkmcnt(0)
	v_mfma_f32_16x16x16_bf16 a[0:3], v[32:33], v[18:19], a[0:3]
	s_and_b64 vcc, exec, s[42:43]
	v_mfma_f32_16x16x16_bf16 a[4:7], v[32:33], v[20:21], a[4:7]
	s_cbranch_vccz .LBB454_45
; %bb.35:
	v_lshlrev_b32_e32 v38, 1, v35
	s_and_b64 vcc, exec, s[6:7]
	s_cbranch_vccz .LBB454_46
; %bb.36:
	v_cmp_gt_i32_e32 vcc, s56, v38
	v_mov_b32_e32 v22, 0
	v_mov_b32_e32 v18, 0
	;; [unrolled: 1-line block ×5, first 2 shown]
	s_and_saveexec_b64 s[0:1], vcc
	s_cbranch_execz .LBB454_38
; %bb.37:
	v_mad_i64_i32 v[18:19], s[2:3], s19, v38, 0
	v_lshl_add_u64 v[18:19], v[18:19], 1, s[4:5]
	v_lshlrev_b32_e32 v20, 1, v36
	v_mov_b32_e32 v21, 0
	v_lshl_add_u64 v[18:19], v[18:19], 0, v[20:21]
	global_load_dwordx4 v[18:21], v[18:19], off
.LBB454_38:
	s_or_b64 exec, exec, s[0:1]
	v_or_b32_e32 v39, 1, v38
	v_cmp_gt_i32_e64 s[0:1], s56, v39
	v_mov_b32_e32 v23, 0
	v_mov_b32_e32 v24, 0
	v_mov_b32_e32 v25, 0
	s_and_saveexec_b64 s[2:3], s[0:1]
	s_cbranch_execz .LBB454_40
; %bb.39:
	v_mad_i64_i32 v[22:23], s[20:21], s19, v39, 0
	v_lshl_add_u64 v[22:23], v[22:23], 1, s[4:5]
	v_lshlrev_b32_e32 v24, 1, v36
	v_mov_b32_e32 v25, 0
	v_lshl_add_u64 v[22:23], v[22:23], 0, v[24:25]
	global_load_dwordx4 v[22:25], v[22:23], off
.LBB454_40:
	s_or_b64 exec, exec, s[2:3]
	v_mov_b32_e32 v33, 0
	v_mov_b32_e32 v26, 0
	;; [unrolled: 1-line block ×5, first 2 shown]
	s_and_saveexec_b64 s[2:3], vcc
	s_cbranch_execz .LBB454_42
; %bb.41:
	v_mad_i64_i32 v[26:27], s[20:21], s19, v38, 0
	v_lshl_add_u64 v[26:27], v[26:27], 1, s[4:5]
	v_lshlrev_b32_e32 v28, 1, v36
	v_mov_b32_e32 v29, 0
	v_lshl_add_u64 v[26:27], v[26:27], 0, v[28:29]
	global_load_dwordx4 v[26:29], v[26:27], off offset:128
.LBB454_42:
	s_or_b64 exec, exec, s[2:3]
	v_mov_b32_e32 v32, 0
	v_mov_b32_e32 v31, 0
	;; [unrolled: 1-line block ×3, first 2 shown]
	s_and_saveexec_b64 s[2:3], s[0:1]
	s_cbranch_execz .LBB454_44
; %bb.43:
	v_mad_i64_i32 v[30:31], s[0:1], s19, v39, 0
	v_lshl_add_u64 v[30:31], v[30:31], 1, s[4:5]
	v_lshlrev_b32_e32 v32, 1, v36
	v_mov_b32_e32 v33, 0
	v_lshl_add_u64 v[30:31], v[30:31], 0, v[32:33]
	global_load_dwordx4 v[30:33], v[30:31], off offset:128
.LBB454_44:
	s_or_b64 exec, exec, s[2:3]
	s_branch .LBB454_48
.LBB454_45:
                                        ; implicit-def: $vgpr21
                                        ; implicit-def: $vgpr25
                                        ; implicit-def: $vgpr29
                                        ; implicit-def: $vgpr33
	v_lshrrev_b32_e32 v48, 2, v61
	s_branch .LBB454_49
.LBB454_46:
                                        ; implicit-def: $vgpr21
                                        ; implicit-def: $vgpr25
                                        ; implicit-def: $vgpr29
                                        ; implicit-def: $vgpr33
	s_cbranch_execz .LBB454_48
; %bb.47:
	s_waitcnt vmcnt(0)
	v_mad_u64_u32 v[18:19], s[0:1], v38, s19, v[36:37]
	v_lshlrev_b32_e32 v38, 1, v18
	s_lshl_b32 s2, s19, 7
	s_and_b32 s1, s5, 0xffff
	s_mov_b32 s3, 0x20000
	s_mov_b32 s0, s4
	v_add_lshl_u32 v39, v18, s19, 1
	s_movk_i32 s19, 0x80
	buffer_load_dwordx4 v[18:21], v38, s[0:3], 0 offen
	buffer_load_dwordx4 v[26:29], v38, s[0:3], s19 offen
	buffer_load_dwordx4 v[22:25], v39, s[0:3], 0 offen
	buffer_load_dwordx4 v[30:33], v39, s[0:3], s19 offen
.LBB454_48:
	v_lshrrev_b32_e32 v48, 2, v61
	s_cbranch_execnz .LBB454_61
.LBB454_49:
	s_and_b64 vcc, exec, s[6:7]
	s_cbranch_vccz .LBB454_59
; %bb.50:
	s_waitcnt vmcnt(0)
	v_lshlrev_b32_e32 v23, 1, v35
	v_cmp_gt_i32_e32 vcc, s56, v23
	v_mov_b32_e32 v22, 0
	v_lshlrev_b32_e32 v30, 9, v35
	v_mov_b32_e32 v18, 0
	v_mov_b32_e32 v19, 0
	;; [unrolled: 1-line block ×4, first 2 shown]
	s_and_saveexec_b64 s[0:1], vcc
	s_cbranch_execz .LBB454_52
; %bb.51:
	v_mov_b32_e32 v31, 0
	v_lshl_add_u64 v[18:19], s[4:5], 0, v[30:31]
	v_lshlrev_b32_e32 v20, 1, v36
	v_mov_b32_e32 v21, v31
	v_lshl_add_u64 v[18:19], v[18:19], 0, v[20:21]
	global_load_dwordx4 v[18:21], v[18:19], off
.LBB454_52:
	s_or_b64 exec, exec, s[0:1]
	v_or_b32_e32 v23, 1, v23
	v_cmp_gt_i32_e64 s[0:1], s56, v23
	v_lshlrev_b32_e32 v38, 8, v23
	v_mov_b32_e32 v23, 0
	v_mov_b32_e32 v24, 0
	;; [unrolled: 1-line block ×3, first 2 shown]
	s_and_saveexec_b64 s[2:3], s[0:1]
	s_cbranch_execz .LBB454_54
; %bb.53:
	v_mov_b32_e32 v39, 0
	v_lshl_add_u64 v[22:23], s[4:5], 0, v[38:39]
	v_lshlrev_b32_e32 v24, 1, v36
	v_mov_b32_e32 v25, v39
	v_lshl_add_u64 v[22:23], v[22:23], 0, v[24:25]
	global_load_dwordx4 v[22:25], v[22:23], off
.LBB454_54:
	s_or_b64 exec, exec, s[2:3]
	v_mov_b32_e32 v33, 0
	v_mov_b32_e32 v26, 0
	;; [unrolled: 1-line block ×5, first 2 shown]
	s_and_saveexec_b64 s[2:3], vcc
	s_cbranch_execz .LBB454_56
; %bb.55:
	v_mov_b32_e32 v31, 0
	v_lshl_add_u64 v[26:27], s[4:5], 0, v[30:31]
	v_lshlrev_b32_e32 v30, 1, v36
	v_lshl_add_u64 v[26:27], v[26:27], 0, v[30:31]
	global_load_dwordx4 v[26:29], v[26:27], off offset:128
.LBB454_56:
	s_or_b64 exec, exec, s[2:3]
	v_mov_b32_e32 v32, 0
	v_mov_b32_e32 v31, 0
	;; [unrolled: 1-line block ×3, first 2 shown]
	s_and_saveexec_b64 s[2:3], s[0:1]
	s_cbranch_execz .LBB454_58
; %bb.57:
	v_mov_b32_e32 v39, 0
	v_lshl_add_u64 v[30:31], s[4:5], 0, v[38:39]
	v_lshlrev_b32_e32 v38, 1, v36
	v_lshl_add_u64 v[30:31], v[30:31], 0, v[38:39]
	global_load_dwordx4 v[30:33], v[30:31], off offset:128
.LBB454_58:
	s_or_b64 exec, exec, s[2:3]
	s_branch .LBB454_61
.LBB454_59:
                                        ; implicit-def: $vgpr21
                                        ; implicit-def: $vgpr25
                                        ; implicit-def: $vgpr29
                                        ; implicit-def: $vgpr33
	s_cbranch_execz .LBB454_61
; %bb.60:
	s_waitcnt vmcnt(0)
	v_lshlrev_b32_e32 v18, 1, v36
	v_lshl_or_b32 v36, v35, 9, v18
	s_and_b32 s5, s5, 0xffff
	s_mov_b32 s7, 0x20000
	s_movk_i32 s6, 0x4000
	s_movk_i32 s0, 0x80
	buffer_load_dwordx4 v[18:21], v36, s[4:7], 0 offen
	buffer_load_dwordx4 v[22:25], v36, s[4:7], 0 offen offset:256
	buffer_load_dwordx4 v[26:29], v36, s[4:7], s0 offen
	buffer_load_dwordx4 v[30:33], v36, s[4:7], s0 offen offset:256
.LBB454_61:
	ds_read_b64 v[38:39], v44 offset:32768
	v_add_u32_e32 v36, 0xb000, v42
	ds_read2_b64 v[54:57], v36 offset1:16
	ds_read_b64 v[50:51], v45 offset:32768
	ds_read_b64 v[58:59], v46 offset:32768
	;; [unrolled: 1-line block ×3, first 2 shown]
	ds_read2st64_b64 v[44:47], v42 offset0:90 offset1:92
	v_and_b32_e32 v36, 12, v48
	v_and_b32_e32 v48, 6, v0
	v_xor_b32_e32 v35, v35, v48
	v_lshlrev_b32_e32 v35, 2, v35
	s_mov_b32 s0, 0x1000504
	s_waitcnt lgkmcnt(4)
	v_mfma_f32_16x16x16_bf16 a[0:3], v[38:39], v[54:55], a[0:3]
	s_mov_b32 s1, 0x3020706
	v_mfma_f32_16x16x16_bf16 a[4:7], v[38:39], v[56:57], a[4:7]
	ds_read2st64_b64 v[54:57], v43 offset0:90 offset1:92
	s_waitcnt lgkmcnt(1)
	v_mfma_f32_16x16x16_bf16 a[0:3], v[50:51], v[44:45], a[0:3]
	ds_read_b64 v[38:39], v42 offset:48128
	ds_read_b64 v[44:45], v43 offset:48128
	s_waitcnt lgkmcnt(2)
	v_mfma_f32_16x16x16_bf16 a[4:7], v[50:51], v[54:55], a[4:7]
	v_mfma_f32_16x16x16_bf16 a[0:3], v[58:59], v[46:47], a[0:3]
	v_and_b32_e32 v46, 1, v0
	v_xor_b32_e32 v47, 0x440, v35
	v_cmp_eq_u32_e32 vcc, 0, v46
	v_mfma_f32_16x16x16_bf16 a[8:11], v[58:59], v[56:57], a[4:7]
	s_nop 0
	v_cndmask_b32_e32 v35, v47, v35, vcc
	v_lshl_or_b32 v35, v48, 10, v35
	s_waitcnt lgkmcnt(1)
	v_mfma_f32_16x16x16_bf16 a[4:7], v[62:63], v[38:39], a[0:3]
	s_waitcnt vmcnt(0)
	v_perm_b32 v38, v18, v22, s0
	v_perm_b32 v39, v26, v30, s0
	ds_write2st64_b32 v35, v38, v39 offset0:32 offset1:64
	v_xor_b32_e32 v38, 8, v35
	v_perm_b32 v18, v18, v22, s1
	v_perm_b32 v22, v26, v30, s1
	v_add_u32_e32 v26, 0x80, v38
	ds_write2st64_b32 v26, v18, v22 offset0:32 offset1:64
	v_xor_b32_e32 v18, 16, v35
	v_perm_b32 v22, v19, v23, s0
	v_perm_b32 v26, v27, v31, s0
	ds_write2st64_b32 v18, v22, v26 offset0:33 offset1:65
	v_xor_b32_e32 v18, 24, v35
	v_perm_b32 v19, v19, v23, s1
	v_perm_b32 v22, v27, v31, s1
	v_add_u32_e32 v18, 0x80, v18
	ds_write2st64_b32 v18, v19, v22 offset0:33 offset1:65
	v_xor_b32_e32 v18, 32, v35
	v_perm_b32 v19, v20, v24, s0
	v_perm_b32 v22, v28, v32, s0
	ds_write2st64_b32 v18, v19, v22 offset0:34 offset1:66
	v_xor_b32_e32 v18, 40, v35
	s_waitcnt lgkmcnt(5)
	v_mfma_f32_16x16x16_bf16 a[0:3], v[62:63], v[44:45], a[8:11]
	v_perm_b32 v19, v20, v24, s1
	v_perm_b32 v20, v28, v32, s1
	v_add_u32_e32 v18, 0x80, v18
	ds_write2st64_b32 v18, v19, v20 offset0:34 offset1:66
	v_xor_b32_e32 v18, 48, v35
	v_perm_b32 v19, v21, v25, s0
	v_perm_b32 v20, v29, v33, s0
	ds_write2st64_b32 v18, v19, v20 offset0:35 offset1:67
	v_xor_b32_e32 v18, 56, v35
	v_or_b32_e32 v32, v36, v60
	v_perm_b32 v19, v21, v25, s1
	v_perm_b32 v20, v29, v33, s1
	v_add_u32_e32 v18, 0x80, v18
	v_cmp_gt_i32_e32 vcc, s56, v32
	v_mov_b32_e32 v33, 0
	v_mov_b32_e32 v39, 0
	ds_write2st64_b32 v18, v19, v20 offset0:35 offset1:67
	s_and_saveexec_b64 s[0:1], vcc
	s_cbranch_execz .LBB454_63
; %bb.62:
	v_add_u32_e32 v18, s28, v32
	v_ashrrev_i32_e32 v19, 31, v18
	v_mul_lo_u32 v20, v19, s14
	v_mul_lo_u32 v21, v18, s15
	v_mad_u64_u32 v[18:19], s[2:3], v18, s14, 0
	v_add3_u32 v19, v19, v21, v20
	v_lshl_add_u64 v[18:19], v[18:19], 2, s[10:11]
	global_load_dword v18, v[18:19], off
	s_waitcnt vmcnt(0)
	v_sub_f32_e32 v18, s18, v18
	v_mul_f32_e32 v18, 0x3fb8aa3b, v18
	v_exp_f32_e32 v39, v18
.LBB454_63:
	s_or_b64 exec, exec, s[0:1]
	v_or_b32_e32 v24, 1, v32
	v_cmp_gt_i32_e64 s[0:1], s56, v24
	s_and_saveexec_b64 s[2:3], s[0:1]
	s_cbranch_execz .LBB454_65
; %bb.64:
	v_add_u32_e32 v18, s28, v24
	v_ashrrev_i32_e32 v19, 31, v18
	v_mul_lo_u32 v20, v19, s14
	v_mul_lo_u32 v21, v18, s15
	v_mad_u64_u32 v[18:19], s[4:5], v18, s14, 0
	v_add3_u32 v19, v19, v21, v20
	v_lshl_add_u64 v[18:19], v[18:19], 2, s[10:11]
	global_load_dword v18, v[18:19], off
	s_waitcnt vmcnt(0)
	v_sub_f32_e32 v18, s18, v18
	v_mul_f32_e32 v18, 0x3fb8aa3b, v18
	v_exp_f32_e32 v33, v18
.LBB454_65:
	s_or_b64 exec, exec, s[2:3]
	v_or_b32_e32 v25, 2, v32
	v_cmp_gt_i32_e64 s[2:3], s56, v25
	v_mov_b32_e32 v38, 0
	v_mov_b32_e32 v44, 0
	s_and_saveexec_b64 s[4:5], s[2:3]
	s_cbranch_execz .LBB454_67
; %bb.66:
	v_add_u32_e32 v18, s28, v25
	v_ashrrev_i32_e32 v19, 31, v18
	v_mul_lo_u32 v20, v19, s14
	v_mul_lo_u32 v21, v18, s15
	v_mad_u64_u32 v[18:19], s[6:7], v18, s14, 0
	v_add3_u32 v19, v19, v21, v20
	v_lshl_add_u64 v[18:19], v[18:19], 2, s[10:11]
	global_load_dword v18, v[18:19], off
	s_waitcnt vmcnt(0)
	v_sub_f32_e32 v18, s18, v18
	v_mul_f32_e32 v18, 0x3fb8aa3b, v18
	v_exp_f32_e32 v44, v18
.LBB454_67:
	s_or_b64 exec, exec, s[4:5]
	v_or_b32_e32 v45, 3, v32
	v_cmp_gt_i32_e64 s[4:5], s56, v45
	s_and_saveexec_b64 s[6:7], s[4:5]
	s_cbranch_execz .LBB454_69
; %bb.68:
	v_add_u32_e32 v18, s28, v45
	v_ashrrev_i32_e32 v19, 31, v18
	v_mul_lo_u32 v20, v19, s14
	v_mul_lo_u32 v21, v18, s15
	v_mad_u64_u32 v[18:19], s[14:15], v18, s14, 0
	v_add3_u32 v19, v19, v21, v20
	v_lshl_add_u64 v[18:19], v[18:19], 2, s[10:11]
	global_load_dword v18, v[18:19], off
	s_waitcnt vmcnt(0)
	v_sub_f32_e32 v18, s18, v18
	v_mul_f32_e32 v18, 0x3fb8aa3b, v18
	v_exp_f32_e32 v38, v18
.LBB454_69:
	s_or_b64 exec, exec, s[6:7]
	s_add_u32 s6, s8, s30
	v_accvgpr_read_b32 v21, a7
	s_addc_u32 s7, s9, s31
	v_ashrrev_i32_e32 v35, 31, v34
	v_accvgpr_read_b32 v20, a6
	v_accvgpr_read_b32 v19, a5
	;; [unrolled: 1-line block ×3, first 2 shown]
	v_lshl_add_u64 v[22:23], v[34:35], 1, s[6:7]
	v_mov_b32_e32 v29, 0
	v_lshlrev_b32_e32 v26, 8, v32
	v_mov_b32_e32 v27, 0
	s_and_saveexec_b64 s[6:7], vcc
	s_cbranch_execz .LBB454_71
; %bb.70:
	v_mov_b32_e32 v27, 0
	v_lshl_add_u64 v[30:31], v[22:23], 0, v[26:27]
	global_load_ushort v27, v[30:31], off
	s_waitcnt vmcnt(0)
	v_lshlrev_b32_e32 v27, 16, v27
	v_sub_f32_e32 v18, v27, v18
	v_mul_f32_e32 v18, v39, v18
	v_lshrrev_b32_e32 v27, 16, v18
.LBB454_71:
	s_or_b64 exec, exec, s[6:7]
	v_lshlrev_b32_e32 v28, 8, v24
	s_and_saveexec_b64 s[6:7], s[0:1]
	s_cbranch_execz .LBB454_73
; %bb.72:
	v_mov_b32_e32 v29, 0
	v_lshl_add_u64 v[30:31], v[22:23], 0, v[28:29]
	global_load_ushort v18, v[30:31], off
	s_waitcnt vmcnt(0)
	v_lshlrev_b32_e32 v18, 16, v18
	v_sub_f32_e32 v18, v18, v19
	v_mul_f32_e32 v18, v33, v18
	v_lshrrev_b32_e32 v29, 16, v18
.LBB454_73:
	s_or_b64 exec, exec, s[6:7]
	v_mov_b32_e32 v46, 0
	v_lshlrev_b32_e32 v30, 8, v25
	v_mov_b32_e32 v31, 0
	s_and_saveexec_b64 s[6:7], s[2:3]
	s_cbranch_execz .LBB454_75
; %bb.74:
	v_mov_b32_e32 v31, 0
	v_lshl_add_u64 v[18:19], v[22:23], 0, v[30:31]
	global_load_ushort v18, v[18:19], off
	s_waitcnt vmcnt(0)
	v_lshlrev_b32_e32 v18, 16, v18
	v_sub_f32_e32 v18, v18, v20
	v_mul_f32_e32 v18, v44, v18
	v_lshrrev_b32_e32 v31, 16, v18
.LBB454_75:
	s_or_b64 exec, exec, s[6:7]
	v_lshlrev_b32_e32 v24, 8, v45
	s_and_saveexec_b64 s[6:7], s[4:5]
	s_cbranch_execz .LBB454_77
; %bb.76:
	v_mov_b32_e32 v25, 0
	v_lshl_add_u64 v[18:19], v[22:23], 0, v[24:25]
	global_load_ushort v18, v[18:19], off
	s_waitcnt vmcnt(0)
	v_lshlrev_b32_e32 v18, 16, v18
	v_sub_f32_e32 v18, v18, v21
	v_mul_f32_e32 v18, v38, v18
	v_lshrrev_b32_e32 v46, 16, v18
.LBB454_77:
	s_or_b64 exec, exec, s[6:7]
	v_lshlrev_b32_e32 v35, 5, v32
	v_accvgpr_read_b32 v21, a3
	s_mov_b32 s6, 0x5040100
	v_or_b32_e32 v25, v35, v40
	v_accvgpr_read_b32 v20, a2
	v_accvgpr_read_b32 v19, a1
	;; [unrolled: 1-line block ×3, first 2 shown]
	v_perm_b32 v47, v46, v31, s6
	v_perm_b32 v46, v29, v27, s6
	v_lshlrev_b32_e32 v25, 1, v25
	v_mov_b32_e32 v29, 0
	v_mov_b32_e32 v27, 0
	ds_write_b64 v25, v[46:47] offset:45056
	s_and_saveexec_b64 s[6:7], vcc
	s_cbranch_execz .LBB454_79
; %bb.78:
	v_mov_b32_e32 v27, 0
	v_lshl_add_u64 v[26:27], v[22:23], 0, v[26:27]
	global_load_ushort v25, v[26:27], off offset:32
	s_waitcnt vmcnt(0)
	v_lshlrev_b32_e32 v25, 16, v25
	v_sub_f32_e32 v18, v25, v18
	v_mul_f32_e32 v18, v39, v18
	v_lshrrev_b32_e32 v27, 16, v18
.LBB454_79:
	s_or_b64 exec, exec, s[6:7]
	s_and_saveexec_b64 s[6:7], s[0:1]
	s_cbranch_execz .LBB454_81
; %bb.80:
	v_mov_b32_e32 v29, 0
	v_lshl_add_u64 v[28:29], v[22:23], 0, v[28:29]
	global_load_ushort v18, v[28:29], off offset:32
	s_waitcnt vmcnt(0)
	v_lshlrev_b32_e32 v18, 16, v18
	v_sub_f32_e32 v18, v18, v19
	v_mul_f32_e32 v18, v33, v18
	v_lshrrev_b32_e32 v29, 16, v18
.LBB454_81:
	s_or_b64 exec, exec, s[6:7]
	v_mov_b32_e32 v25, 0
	v_mov_b32_e32 v26, 0
	s_and_saveexec_b64 s[0:1], s[2:3]
	s_cbranch_execz .LBB454_83
; %bb.82:
	v_mov_b32_e32 v31, 0
	v_lshl_add_u64 v[18:19], v[22:23], 0, v[30:31]
	global_load_ushort v18, v[18:19], off offset:32
	s_waitcnt vmcnt(0)
	v_lshlrev_b32_e32 v18, 16, v18
	v_sub_f32_e32 v18, v18, v20
	v_mul_f32_e32 v18, v44, v18
	v_lshrrev_b32_e32 v26, 16, v18
.LBB454_83:
	s_or_b64 exec, exec, s[0:1]
	v_or_b32_e32 v19, 0xb000, v42
	v_or_b32_e32 v18, 0xb000, v43
	s_and_saveexec_b64 s[0:1], s[4:5]
	s_cbranch_execz .LBB454_85
; %bb.84:
	v_mov_b32_e32 v25, 0
	v_lshl_add_u64 v[22:23], v[22:23], 0, v[24:25]
	global_load_ushort v20, v[22:23], off offset:32
	s_waitcnt vmcnt(0)
	v_lshlrev_b32_e32 v20, 16, v20
	v_sub_f32_e32 v20, v20, v21
	v_mul_f32_e32 v20, v38, v20
	v_lshrrev_b32_e32 v25, 16, v20
.LBB454_85:
	s_or_b64 exec, exec, s[0:1]
	s_mov_b32 s0, 0x5040100
	v_or_b32_e32 v22, v35, v37
	v_perm_b32 v21, v25, v26, s0
	v_perm_b32 v20, v29, v27, s0
	v_lshlrev_b32_e32 v22, 1, v22
	s_movk_i32 s2, 0x100
	ds_write_b64 v22, v[20:21] offset:45056
	v_and_b32_e32 v20, 7, v0
	v_and_b32_e32 v21, 8, v0
	v_cmp_gt_u32_e32 vcc, s2, v0
	v_lshrrev_b32_e32 v0, 1, v0
	v_lshlrev_b32_e32 v26, 3, v20
	v_lshlrev_b32_e32 v35, 7, v20
	v_mov_b32_e32 v20, 0x4000
	v_mov_b32_e32 v22, 0x2000
	v_lshlrev_b32_e32 v24, 3, v53
	v_and_b32_e32 v0, 24, v0
	v_cndmask_b32_e32 v27, v20, v22, vcc
	v_xor_b32_e32 v20, v24, v0
	v_or_b32_e32 v22, 0x440, v20
	v_cmp_eq_u32_e32 vcc, 0, v21
	v_or_b32_e32 v28, 32, v0
	v_xor_b32_e32 v28, v24, v28
	v_cndmask_b32_e32 v20, v22, v20, vcc
	v_or_b32_e32 v20, v20, v41
	v_xor_b32_e32 v50, v20, v26
	v_or_b32_e32 v29, 0x440, v28
	v_add3_u32 v25, v27, v50, v35
	v_cndmask_b32_e32 v28, v29, v28, vcc
	v_or_b32_e32 v29, 64, v0
	v_or_b32_e32 v0, 0x60, v0
	s_waitcnt lgkmcnt(0)
	s_barrier
	v_xor_b32_e32 v29, v24, v29
	v_xor_b32_e32 v0, v24, v0
	ds_read_b64 v[24:25], v25
	v_xor_b32_e32 v30, 0x440, v29
	ds_read2_b64 v[20:23], v19 offset1:16
	v_cndmask_b32_e32 v29, v30, v29, vcc
	v_xor_b32_e32 v30, 0x440, v0
	v_or_b32_e32 v28, v28, v41
	v_or_b32_e32 v29, v29, v41
	v_cndmask_b32_e32 v0, v30, v0, vcc
	v_xor_b32_e32 v51, v28, v26
	v_xor_b32_e32 v52, v29, v26
	v_or_b32_e32 v0, v0, v41
	v_add3_u32 v28, v27, v51, v35
	v_add3_u32 v29, v27, v52, v35
	v_xor_b32_e32 v54, v0, v26
	s_mul_i32 s0, s16, s17
	s_mul_hi_i32 s1, s16, s17
	v_add3_u32 v0, v27, v54, v35
	ds_read_b64 v[26:27], v28
	ds_read_b64 v[46:47], v29
	;; [unrolled: 1-line block ×3, first 2 shown]
	s_add_u32 s0, s0, s46
	ds_read2st64_b64 v[28:31], v19 offset0:2 offset1:4
	ds_read2st64_b64 v[38:41], v18 offset0:2 offset1:4
	s_waitcnt lgkmcnt(5)
	v_mfma_f32_16x16x16_bf16 a[0:3], v[24:25], v[20:21], 0
	s_addc_u32 s1, s1, s29
	s_lshl_b64 s[0:1], s[0:1], 9
	s_add_u32 s0, s36, s0
	v_mfma_f32_16x16x16_bf16 a[4:7], v[24:25], v[22:23], 0
	s_addc_u32 s1, s37, s1
	v_lshlrev_b32_e32 v0, 2, v32
	v_lshlrev_b32_e32 v32, 2, v36
	s_waitcnt lgkmcnt(1)
	v_mfma_f32_16x16x16_bf16 a[0:3], v[26:27], v[28:29], a[0:3]
	ds_read_b64 v[36:37], v18 offset:3072
	s_waitcnt lgkmcnt(1)
	v_mfma_f32_16x16x16_bf16 a[4:7], v[26:27], v[38:39], a[4:7]
	global_load_dwordx4 v[24:27], v0, s[0:1]
	v_lshlrev_b32_e32 v0, 6, v53
	v_or3_b32 v0, v0, v32, s2
	global_load_dwordx4 v[42:45], v0, s[0:1]
	ds_read_b64 v[32:33], v19 offset:3072
	v_mfma_f32_16x16x16_bf16 a[0:3], v[46:47], v[30:31], a[0:3]
	v_mov_b32_e32 v0, 0x3fb8aa3b
	v_mul_f32_e32 v0, s18, v0
	v_exp_f32_e32 v0, v0
	v_mfma_f32_16x16x16_bf16 a[4:7], v[46:47], v[40:41], a[4:7]
	s_waitcnt vmcnt(1)
	v_mul_f32_e32 v18, 0x3fb8aa3b, v24
	v_mul_f32_e32 v19, 0x3fb8aa3b, v25
	v_exp_f32_e32 v18, v18
	v_exp_f32_e32 v19, v19
	s_waitcnt lgkmcnt(0)
	v_mfma_f32_16x16x16_bf16 a[0:3], v[48:49], v[32:33], a[0:3]
	v_mul_f32_e32 v24, 0x3fb8aa3b, v26
	v_mul_f32_e32 v25, 0x3fb8aa3b, v27
	v_pk_mul_f32 v[46:47], v[0:1], v[18:19] op_sel_hi:[0,1]
	v_add_u32_e32 v18, v50, v35
	v_exp_f32_e32 v24, v24
	v_exp_f32_e32 v25, v25
	v_add_u32_e32 v50, v52, v35
	v_accvgpr_read_b32 v27, a3
	v_accvgpr_read_b32 v26, a2
	v_mfma_f32_16x16x16_bf16 a[2:5], v[48:49], v[36:37], a[4:7]
	ds_read_b64 v[48:49], v18 offset:16384
	v_accvgpr_read_b32 v19, a1
	v_accvgpr_read_b32 v18, a0
	v_pk_fma_f32 v[18:19], v[2:3], v[46:47], v[18:19]
	v_add_u32_e32 v2, v51, v35
	s_waitcnt lgkmcnt(0)
	v_mfma_f32_16x16x16_bf16 a[6:9], v[48:49], v[20:21], 0
	v_add_u32_e32 v35, v54, v35
	ds_read_b64 v[2:3], v2 offset:16384
	ds_read_b64 v[50:51], v50 offset:16384
	;; [unrolled: 1-line block ×3, first 2 shown]
	v_pk_mul_f32 v[24:25], v[0:1], v[24:25] op_sel_hi:[0,1]
	v_pk_fma_f32 v[20:21], v[4:5], v[24:25], v[26:27]
	v_accvgpr_read_b32 v4, a2
	v_mfma_f32_16x16x16_bf16 a[10:13], v[48:49], v[22:23], 0
	v_fma_f32 v26, v10, v46, v4
	v_accvgpr_read_b32 v4, a3
	v_fma_f32 v27, v11, v47, v4
	s_waitcnt lgkmcnt(2)
	v_mfma_f32_16x16x16_bf16 a[0:3], v[2:3], v[28:29], a[6:9]
	v_accvgpr_read_b32 v4, a4
	v_accvgpr_read_b32 v29, a5
	v_fma_f32 v28, v12, v24, v4
	v_mfma_f32_16x16x16_bf16 a[4:7], v[2:3], v[38:39], a[10:13]
	s_waitcnt vmcnt(0)
	v_mov_b32_e32 v2, v43
	v_mov_b32_e32 v3, v44
	;; [unrolled: 1-line block ×3, first 2 shown]
	s_waitcnt lgkmcnt(1)
	v_mfma_f32_16x16x16_bf16 a[0:3], v[50:51], v[30:31], a[0:3]
	v_mul_f32_e32 v2, 0x3fb8aa3b, v2
	v_mul_f32_e32 v5, 0x3fb8aa3b, v42
	v_exp_f32_e32 v11, v2
	v_mfma_f32_16x16x16_bf16 a[4:7], v[50:51], v[40:41], a[4:7]
	v_mul_f32_e32 v2, 0x3fb8aa3b, v3
	v_mul_f32_e32 v3, 0x3fb8aa3b, v4
	v_exp_f32_e32 v10, v5
	s_waitcnt lgkmcnt(0)
	v_mfma_f32_16x16x16_bf16 a[0:3], v[52:53], v[32:33], a[0:3]
	v_exp_f32_e32 v2, v2
	v_exp_f32_e32 v3, v3
	v_pk_mul_f32 v[10:11], v[0:1], v[10:11] op_sel_hi:[0,1]
	v_fmac_f32_e32 v29, v13, v25
	v_mov_b32_e32 v35, v34
	v_pk_mul_f32 v[2:3], v[0:1], v[2:3] op_sel_hi:[0,1]
	s_nop 0
	v_accvgpr_read_b32 v5, a3
	v_accvgpr_read_b32 v4, a2
	v_mfma_f32_16x16x16_bf16 a[2:5], v[52:53], v[36:37], a[4:7]
	v_accvgpr_read_b32 v13, a1
	v_accvgpr_read_b32 v12, a0
	v_pk_fma_f32 v[22:23], v[6:7], v[10:11], v[12:13]
	v_pk_fma_f32 v[24:25], v[8:9], v[2:3], v[4:5]
	s_nop 2
	v_accvgpr_read_b32 v0, a2
	v_fma_f32 v30, v14, v10, v0
	v_accvgpr_read_b32 v0, a3
	v_fma_f32 v31, v15, v11, v0
	v_accvgpr_read_b32 v0, a4
	v_accvgpr_read_b32 v33, a5
	v_fma_f32 v32, v16, v2, v0
	v_fmac_f32_e32 v33, v17, v3
	v_mov_b64_e32 v[2:3], v[18:19]
	v_mov_b64_e32 v[4:5], v[20:21]
	;; [unrolled: 1-line block ×8, first 2 shown]
.LBB454_86:
	s_mul_i32 s0, s47, s35
	s_mul_hi_u32 s1, s47, s34
	s_add_i32 s0, s1, s0
	s_mul_i32 s1, s33, s34
	s_add_i32 s1, s0, s1
	s_mul_i32 s0, s47, s34
	s_add_u32 s0, s0, s46
	s_addc_u32 s1, s1, s29
	s_lshl_b64 s[0:1], s[0:1], 16
	s_add_u32 s0, s12, s0
	v_lshlrev_b32_e32 v18, 7, v35
	s_addc_u32 s1, s13, s1
	v_ashrrev_i32_e32 v19, 31, v18
	v_lshl_add_u64 v[20:21], v[18:19], 2, s[0:1]
	v_lshlrev_b32_e32 v0, 2, v1
	v_mov_b32_e32 v1, 0
	v_lshl_add_u64 v[20:21], v[20:21], 0, v[0:1]
	global_store_dwordx4 v[20:21], v[2:5], off
	global_store_dwordx4 v[20:21], v[6:9], off offset:256
	s_nop 0
	v_or_b32_e32 v2, 0x800, v18
	v_ashrrev_i32_e32 v3, 31, v2
	v_lshl_add_u64 v[2:3], v[2:3], 2, s[0:1]
	v_lshl_add_u64 v[0:1], v[2:3], 0, v[0:1]
	global_store_dwordx4 v[0:1], v[10:13], off
	global_store_dwordx4 v[0:1], v[14:17], off offset:256
	s_endpgm
	.section	.rodata,"a",@progbits
	.p2align	6, 0x0
	.amdhsa_kernel _ZN12_GLOBAL__N_139chunk_gated_delta_rule_fwd_h_hip_kernelILi32ELb0ELb1ELb0ELb1ELb0ELb1ELb1ELb0EEEvPK12hip_bfloat16S3_S3_PKfS5_PKvPS1_S8_PvPKiSB_iiiiilll
		.amdhsa_group_segment_fixed_size 49152
		.amdhsa_private_segment_fixed_size 0
		.amdhsa_kernarg_size 136
		.amdhsa_user_sgpr_count 2
		.amdhsa_user_sgpr_dispatch_ptr 0
		.amdhsa_user_sgpr_queue_ptr 0
		.amdhsa_user_sgpr_kernarg_segment_ptr 1
		.amdhsa_user_sgpr_dispatch_id 0
		.amdhsa_user_sgpr_kernarg_preload_length 0
		.amdhsa_user_sgpr_kernarg_preload_offset 0
		.amdhsa_user_sgpr_private_segment_size 0
		.amdhsa_uses_dynamic_stack 0
		.amdhsa_enable_private_segment 0
		.amdhsa_system_sgpr_workgroup_id_x 1
		.amdhsa_system_sgpr_workgroup_id_y 1
		.amdhsa_system_sgpr_workgroup_id_z 0
		.amdhsa_system_sgpr_workgroup_info 0
		.amdhsa_system_vgpr_workitem_id 0
		.amdhsa_next_free_vgpr 164
		.amdhsa_next_free_sgpr 66
		.amdhsa_accum_offset 140
		.amdhsa_reserve_vcc 1
		.amdhsa_float_round_mode_32 0
		.amdhsa_float_round_mode_16_64 0
		.amdhsa_float_denorm_mode_32 3
		.amdhsa_float_denorm_mode_16_64 3
		.amdhsa_dx10_clamp 1
		.amdhsa_ieee_mode 1
		.amdhsa_fp16_overflow 0
		.amdhsa_tg_split 0
		.amdhsa_exception_fp_ieee_invalid_op 0
		.amdhsa_exception_fp_denorm_src 0
		.amdhsa_exception_fp_ieee_div_zero 0
		.amdhsa_exception_fp_ieee_overflow 0
		.amdhsa_exception_fp_ieee_underflow 0
		.amdhsa_exception_fp_ieee_inexact 0
		.amdhsa_exception_int_div_zero 0
	.end_amdhsa_kernel
	.section	.text._ZN12_GLOBAL__N_139chunk_gated_delta_rule_fwd_h_hip_kernelILi32ELb0ELb1ELb0ELb1ELb0ELb1ELb1ELb0EEEvPK12hip_bfloat16S3_S3_PKfS5_PKvPS1_S8_PvPKiSB_iiiiilll,"axG",@progbits,_ZN12_GLOBAL__N_139chunk_gated_delta_rule_fwd_h_hip_kernelILi32ELb0ELb1ELb0ELb1ELb0ELb1ELb1ELb0EEEvPK12hip_bfloat16S3_S3_PKfS5_PKvPS1_S8_PvPKiSB_iiiiilll,comdat
.Lfunc_end454:
	.size	_ZN12_GLOBAL__N_139chunk_gated_delta_rule_fwd_h_hip_kernelILi32ELb0ELb1ELb0ELb1ELb0ELb1ELb1ELb0EEEvPK12hip_bfloat16S3_S3_PKfS5_PKvPS1_S8_PvPKiSB_iiiiilll, .Lfunc_end454-_ZN12_GLOBAL__N_139chunk_gated_delta_rule_fwd_h_hip_kernelILi32ELb0ELb1ELb0ELb1ELb0ELb1ELb1ELb0EEEvPK12hip_bfloat16S3_S3_PKfS5_PKvPS1_S8_PvPKiSB_iiiiilll
                                        ; -- End function
	.section	.AMDGPU.csdata,"",@progbits
; Kernel info:
; codeLenInByte = 9776
; NumSgprs: 72
; NumVgprs: 140
; NumAgprs: 24
; TotalNumVgprs: 164
; ScratchSize: 0
; MemoryBound: 0
; FloatMode: 240
; IeeeMode: 1
; LDSByteSize: 49152 bytes/workgroup (compile time only)
; SGPRBlocks: 8
; VGPRBlocks: 20
; NumSGPRsForWavesPerEU: 72
; NumVGPRsForWavesPerEU: 164
; AccumOffset: 140
; Occupancy: 1
; WaveLimiterHint : 1
; COMPUTE_PGM_RSRC2:SCRATCH_EN: 0
; COMPUTE_PGM_RSRC2:USER_SGPR: 2
; COMPUTE_PGM_RSRC2:TRAP_HANDLER: 0
; COMPUTE_PGM_RSRC2:TGID_X_EN: 1
; COMPUTE_PGM_RSRC2:TGID_Y_EN: 1
; COMPUTE_PGM_RSRC2:TGID_Z_EN: 0
; COMPUTE_PGM_RSRC2:TIDIG_COMP_CNT: 0
; COMPUTE_PGM_RSRC3_GFX90A:ACCUM_OFFSET: 34
; COMPUTE_PGM_RSRC3_GFX90A:TG_SPLIT: 0
	.section	.text._ZN12_GLOBAL__N_139chunk_gated_delta_rule_fwd_h_hip_kernelILi32ELb0ELb0ELb1ELb1ELb0ELb1ELb1ELb0EEEvPK12hip_bfloat16S3_S3_PKfS5_PKvPS1_S8_PvPKiSB_iiiiilll,"axG",@progbits,_ZN12_GLOBAL__N_139chunk_gated_delta_rule_fwd_h_hip_kernelILi32ELb0ELb0ELb1ELb1ELb0ELb1ELb1ELb0EEEvPK12hip_bfloat16S3_S3_PKfS5_PKvPS1_S8_PvPKiSB_iiiiilll,comdat
	.globl	_ZN12_GLOBAL__N_139chunk_gated_delta_rule_fwd_h_hip_kernelILi32ELb0ELb0ELb1ELb1ELb0ELb1ELb1ELb0EEEvPK12hip_bfloat16S3_S3_PKfS5_PKvPS1_S8_PvPKiSB_iiiiilll ; -- Begin function _ZN12_GLOBAL__N_139chunk_gated_delta_rule_fwd_h_hip_kernelILi32ELb0ELb0ELb1ELb1ELb0ELb1ELb1ELb0EEEvPK12hip_bfloat16S3_S3_PKfS5_PKvPS1_S8_PvPKiSB_iiiiilll
	.p2align	8
	.type	_ZN12_GLOBAL__N_139chunk_gated_delta_rule_fwd_h_hip_kernelILi32ELb0ELb0ELb1ELb1ELb0ELb1ELb1ELb0EEEvPK12hip_bfloat16S3_S3_PKfS5_PKvPS1_S8_PvPKiSB_iiiiilll,@function
_ZN12_GLOBAL__N_139chunk_gated_delta_rule_fwd_h_hip_kernelILi32ELb0ELb0ELb1ELb1ELb0ELb1ELb1ELb0EEEvPK12hip_bfloat16S3_S3_PKfS5_PKvPS1_S8_PvPKiSB_iiiiilll: ; @_ZN12_GLOBAL__N_139chunk_gated_delta_rule_fwd_h_hip_kernelILi32ELb0ELb0ELb1ELb1ELb0ELb1ELb1ELb0EEEvPK12hip_bfloat16S3_S3_PKfS5_PKvPS1_S8_PvPKiSB_iiiiilll
; %bb.0:
	s_load_dwordx4 s[16:19], s[0:1], 0x5c
	s_load_dwordx4 s[20:23], s[0:1], 0x70
	s_abs_i32 s25, s3
	s_ashr_i32 s24, s3, 31
	s_load_dwordx4 s[12:15], s[0:1], 0x30
	s_load_dwordx4 s[28:31], s[0:1], 0x48
	s_waitcnt lgkmcnt(0)
	s_abs_i32 s34, s17
	v_cvt_f32_u32_e32 v1, s34
	s_sub_i32 s26, 0, s34
	s_ashr_i32 s35, s17, 31
	s_xor_b32 s24, s24, s35
	v_rcp_iflag_f32_e32 v1, v1
	s_load_dwordx8 s[4:11], s[0:1], 0x0
	v_lshrrev_b32_e32 v63, 6, v0
	v_bfe_u32 v64, v0, 4, 2
	v_mul_f32_e32 v1, 0x4f7ffffe, v1
	v_cvt_u32_f32_e32 v1, v1
	v_lshlrev_b32_e32 v2, 2, v64
	v_and_b32_e32 v62, 63, v0
	v_mov_b32_e32 v5, 0
	v_readfirstlane_b32 s27, v1
	s_mul_i32 s26, s26, s27
	s_mul_hi_u32 s26, s27, s26
	s_add_i32 s27, s27, s26
	s_mul_hi_u32 s26, s25, s27
	s_mul_i32 s27, s26, s34
	s_sub_i32 s25, s25, s27
	s_add_i32 s33, s26, 1
	s_sub_i32 s27, s25, s34
	s_cmp_ge_u32 s25, s34
	s_cselect_b32 s26, s33, s26
	s_cselect_b32 s25, s27, s25
	s_add_i32 s27, s26, 1
	s_cmp_ge_u32 s25, s34
	s_cselect_b32 s25, s27, s26
	s_xor_b32 s25, s25, s24
	s_sub_i32 s24, s25, s24
	s_mul_i32 s25, s24, s17
	s_sub_i32 s33, s3, s25
	s_ashr_i32 s25, s24, 31
	s_lshl_b64 s[26:27], s[24:25], 2
	s_add_u32 s28, s28, s26
	s_addc_u32 s29, s29, s27
	s_add_u32 s26, s30, s26
	s_addc_u32 s27, s31, s27
	s_abs_i32 s3, s18
	v_cvt_f32_u32_e32 v1, s3
	s_load_dwordx2 s[38:39], s[28:29], 0x0
	s_sub_i32 s29, 0, s3
	s_load_dword s48, s[26:27], 0x0
	v_rcp_iflag_f32_e32 v1, v1
	v_and_b32_e32 v45, 15, v0
	s_waitcnt lgkmcnt(0)
	s_sub_i32 s49, s39, s38
	s_ashr_i32 s28, s49, 31
	v_mul_f32_e32 v1, 0x4f7ffffe, v1
	v_cvt_u32_f32_e32 v1, v1
	s_lshr_b32 s28, s28, 26
	s_add_i32 s28, s49, s28
	s_ashr_i32 s47, s28, 6
	v_readfirstlane_b32 s30, v1
	s_mul_i32 s29, s29, s30
	s_mul_hi_u32 s29, s30, s29
	s_add_i32 s30, s30, s29
	s_mul_hi_u32 s29, s34, s30
	s_mul_i32 s30, s29, s3
	s_ashr_i32 s28, s18, 31
	s_sub_i32 s30, s34, s30
	s_xor_b32 s28, s35, s28
	s_add_i32 s31, s29, 1
	s_sub_i32 s34, s30, s3
	s_cmp_ge_u32 s30, s3
	s_cselect_b32 s29, s31, s29
	s_cselect_b32 s30, s34, s30
	s_add_i32 s31, s29, 1
	s_cmp_ge_u32 s30, s3
	s_cselect_b32 s3, s31, s29
	s_xor_b32 s3, s3, s28
	s_sub_i32 s3, s3, s28
	s_abs_i32 s28, s3
	v_cvt_f32_u32_e32 v1, s28
	s_sub_i32 s27, 0, s28
	s_abs_i32 s26, s33
	s_xor_b32 s3, s33, s3
	v_rcp_iflag_f32_e32 v1, v1
	s_ashr_i32 s3, s3, 31
	s_load_dwordx2 s[34:35], s[0:1], 0x80
	s_mul_hi_i32 s50, s33, s16
	v_mul_f32_e32 v1, 0x4f7ffffe, v1
	v_cvt_u32_f32_e32 v1, v1
	s_mul_i32 s51, s33, s16
	v_lshrrev_b32_e32 v66, 3, v62
	v_lshlrev_b32_e32 v65, 3, v0
	v_readfirstlane_b32 s29, v1
	s_mul_i32 s27, s27, s29
	s_mul_hi_u32 s27, s29, s27
	s_add_i32 s29, s29, s27
	s_mul_hi_u32 s27, s26, s29
	s_mul_i32 s29, s27, s28
	s_sub_i32 s26, s26, s29
	s_add_i32 s29, s27, 1
	s_sub_i32 s30, s26, s28
	s_cmp_ge_u32 s26, s28
	s_cselect_b32 s27, s29, s27
	s_cselect_b32 s26, s30, s26
	s_add_i32 s29, s27, 1
	s_cmp_ge_u32 s26, s28
	s_cselect_b32 s26, s29, s27
	s_xor_b32 s26, s26, s3
	v_lshlrev_b32_e32 v1, 4, v63
	s_sub_i32 s52, s26, s3
	v_or_b32_e32 v67, v2, v1
	s_lshl_b32 s36, s2, 5
	v_or_b32_e32 v68, 64, v67
	s_cmp_lt_i32 s49, 64
	s_mul_i32 s44, s24, s21
	s_mul_hi_u32 s45, s24, s20
	s_mul_i32 s46, s25, s20
	s_mul_i32 s20, s24, s20
	v_mov_b32_e32 v86, 0
	v_mov_b32_e32 v84, 0
	;; [unrolled: 1-line block ×15, first 2 shown]
	s_cbranch_scc1 .LBB455_18
; %bb.1:
	s_ashr_i32 s55, s33, 31
	s_ashr_i32 s3, s38, 31
	s_add_u32 s2, s51, s38
	s_addc_u32 s3, s50, s3
	s_lshl_b64 s[2:3], s[2:3], 8
	v_and_b32_e32 v70, 56, v65
	s_add_u32 s24, s6, s2
	v_lshl_or_b32 v69, v63, 3, v66
	v_lshlrev_b32_e32 v3, 1, v70
	s_addc_u32 s2, s7, s3
	v_lshl_or_b32 v71, v69, 8, v3
	s_and_b32 s25, s2, 0xffff
	s_mov_b32 s27, 0x20000
	s_movk_i32 s26, 0x4000
	s_movk_i32 s2, 0x80
	v_or_b32_e32 v72, 0x2000, v71
	buffer_load_dwordx4 v[4:7], v71, s[24:27], 0 offen
	buffer_load_dwordx4 v[8:11], v71, s[24:27], s2 offen
	;; [unrolled: 1-line block ×4, first 2 shown]
	v_lshlrev_b32_e32 v20, 3, v69
	v_and_or_b32 v22, v0, 7, v20
	v_and_b32_e32 v20, 0x78, v20
	v_lshlrev_b32_e32 v22, 4, v22
	v_xor_b32_e32 v73, v22, v20
	v_mul_lo_u32 v21, v69, s19
	v_or_b32_e32 v74, 0x1000, v73
	s_cmpk_eq_i32 s19, 0x80
	s_mov_b32 s53, s17
	s_mov_b32 s54, s38
	v_xor_b32_e32 v20, 8, v73
	v_xor_b32_e32 v22, 8, v74
	s_cselect_b64 s[2:3], -1, 0
	s_cmpk_lg_i32 s19, 0x80
	s_waitcnt vmcnt(3)
	ds_write_b64 v73, v[4:5] offset:24576
	ds_write_b64 v20, v[6:7] offset:24576
	s_waitcnt vmcnt(2)
	ds_write_b64 v73, v[8:9] offset:32768
	ds_write_b64 v20, v[10:11] offset:32768
	;; [unrolled: 3-line block ×4, first 2 shown]
	v_lshl_add_u32 v4, v21, 1, v70
	s_cbranch_scc0 .LBB455_3
; %bb.2:
	v_lshlrev_b32_e32 v6, 1, v4
	v_add_lshl_u32 v5, v4, s19, 1
	s_lshl_b32 s26, s19, 7
	s_load_dwordx2 s[40:41], s[0:1], 0x20
	v_lshl_or_b32 v3, v69, 9, v3
	s_cbranch_execz .LBB455_4
	s_branch .LBB455_5
.LBB455_3:
                                        ; implicit-def: $vgpr5
                                        ; implicit-def: $vgpr6
                                        ; implicit-def: $sgpr26
	s_load_dwordx2 s[40:41], s[0:1], 0x20
	v_lshl_or_b32 v3, v69, 9, v3
.LBB455_4:
	v_or_b32_e32 v5, 0x100, v3
	s_movk_i32 s26, 0x4000
	v_mov_b32_e32 v6, v3
.LBB455_5:
	s_mul_i32 s0, s38, s18
	s_ashr_i32 s56, s52, 31
	s_mul_hi_i32 s1, s38, s18
	s_add_u32 s0, s0, s52
	s_addc_u32 s1, s1, s56
	s_lshl_b64 s[0:1], s[0:1], 8
	s_add_u32 s24, s4, s0
	s_addc_u32 s0, s5, s1
	s_and_b32 s25, s0, 0xffff
	s_movk_i32 s57, 0x80
	buffer_load_dwordx4 v[8:11], v6, s[24:27], 0 offen
	buffer_load_dwordx4 v[12:15], v6, s[24:27], s57 offen
	;; [unrolled: 1-line block ×4, first 2 shown]
	v_and_b32_e32 v5, 6, v0
	v_lshlrev_b32_e32 v24, 6, v67
	v_or_b32_e32 v26, 16, v45
	v_xor_b32_e32 v27, v69, v5
	v_and_b32_e32 v6, 1, v0
	v_lshl_or_b32 v30, v45, 3, v24
	v_lshl_or_b32 v24, v26, 3, v24
	v_lshlrev_b32_e32 v27, 2, v27
	v_lshlrev_b32_e32 v7, 2, v45
	s_mul_i32 s0, s33, s23
	s_mul_hi_u32 s1, s33, s22
	v_or_b32_e32 v77, 0xa000, v24
	v_or_b32_e32 v78, 0xb000, v24
	v_xor_b32_e32 v24, 0x440, v27
	v_cmp_eq_u32_e32 vcc, 0, v6
	s_add_i32 s21, s45, s44
	s_mul_i32 s24, s55, s22
	v_xor_b32_e32 v28, v67, v7
	v_xor_b32_e32 v29, v68, v7
	v_cndmask_b32_e32 v6, v24, v27, vcc
	s_add_i32 s0, s1, s0
	s_add_i32 s21, s21, s46
	s_mov_b32 s58, 0x1000504
	v_lshlrev_b32_e32 v25, 8, v45
	v_lshlrev_b32_e32 v26, 8, v26
	;; [unrolled: 1-line block ×4, first 2 shown]
	v_lshl_or_b32 v5, v5, 10, v6
	s_add_i32 s1, s0, s24
	s_lshl_b64 s[24:25], s[20:21], 2
	s_mov_b32 s59, 0x3020706
	v_or_b32_e32 v75, 0xa000, v30
	v_or_b32_e32 v76, 0xb000, v30
	;; [unrolled: 1-line block ×5, first 2 shown]
	v_xor_b32_e32 v6, 8, v5
	v_xor_b32_e32 v25, 24, v5
	;; [unrolled: 1-line block ×4, first 2 shown]
	s_mul_i32 s0, s33, s22
	s_add_u32 s21, s10, s24
	v_or_b32_e32 v81, v26, v28
	v_xor_b32_e32 v24, 16, v5
	v_xor_b32_e32 v26, 32, v5
	;; [unrolled: 1-line block ×3, first 2 shown]
	v_add_u32_e32 v6, 0x80, v6
	v_add_u32_e32 v25, 0x80, v25
	;; [unrolled: 1-line block ×4, first 2 shown]
	s_addc_u32 s24, s11, s25
	s_lshl_b64 s[0:1], s[0:1], 2
	s_add_u32 s42, s21, s0
	s_movk_i32 s0, 0xf8
	s_addc_u32 s43, s24, s1
	s_ashr_i32 s37, s36, 31
	s_lshl_b32 s30, s19, 7
	s_movk_i32 s24, 0x100
	v_mov_b32_e32 v51, 0
	v_lshlrev_b32_e32 v50, 4, v45
	v_cmp_gt_u32_e32 vcc, s24, v0
	s_mov_b32 s60, 0
	s_movk_i32 s21, 0x1000
	s_movk_i32 s26, 0x4000
	v_add_u32_e32 v102, v1, v2
	v_mov_b32_e32 v113, 0x3fb8aa3b
	v_mov_b32_e32 v52, v51
	v_mov_b32_e32 v53, v51
	v_mov_b32_e32 v54, v51
	v_mov_b32_e32 v55, v51
	v_mov_b32_e32 v46, v51
	v_mov_b32_e32 v47, v51
	v_mov_b32_e32 v48, v51
	v_mov_b32_e32 v49, v51
	v_mov_b32_e32 v89, v51
	v_mov_b32_e32 v88, v51
	v_mov_b32_e32 v90, v51
	v_mov_b32_e32 v115, v51
	s_waitcnt vmcnt(1)
	v_perm_b32 v30, v8, v16, s58
	s_waitcnt vmcnt(0)
	v_perm_b32 v31, v12, v20, s58
	v_perm_b32 v8, v8, v16, s59
	v_perm_b32 v12, v12, v20, s59
	v_perm_b32 v16, v9, v17, s58
	v_perm_b32 v20, v13, v21, s58
	v_perm_b32 v9, v9, v17, s59
	v_perm_b32 v13, v13, v21, s59
	v_perm_b32 v17, v10, v18, s58
	v_perm_b32 v21, v14, v22, s58
	v_perm_b32 v10, v10, v18, s59
	v_perm_b32 v14, v14, v22, s59
	v_perm_b32 v18, v11, v19, s58
	v_perm_b32 v22, v15, v23, s58
	v_perm_b32 v11, v11, v19, s59
	v_perm_b32 v15, v15, v23, s59
	ds_write2st64_b32 v5, v30, v31 offset0:32 offset1:64
	ds_write2st64_b32 v6, v8, v12 offset0:32 offset1:64
	;; [unrolled: 1-line block ×8, first 2 shown]
	v_or_b32_e32 v5, v1, v45
	v_lshlrev_b32_e32 v5, 3, v5
	v_lshrrev_b32_e32 v8, 5, v62
	v_and_or_b32 v8, v5, s0, v8
	v_lshrrev_b32_e32 v6, 2, v62
	v_lshlrev_b32_e32 v11, 11, v63
	v_lshlrev_b32_e32 v8, 4, v8
	v_and_b32_e32 v5, 0x78, v5
	v_and_b32_e32 v9, 12, v6
	;; [unrolled: 1-line block ×3, first 2 shown]
	v_xor_b32_e32 v10, v8, v5
	v_lshrrev_b32_e32 v12, 1, v62
	v_or_b32_e32 v10, v10, v6
	v_and_b32_e32 v12, 8, v12
	v_xor_b32_e32 v83, v10, v12
	v_or_b32_e32 v10, 32, v8
	v_xor_b32_e32 v10, v10, v5
	v_or_b32_e32 v10, v10, v6
	;; [unrolled: 2-line block ×3, first 2 shown]
	v_or_b32_e32 v8, 0x60, v8
	v_xor_b32_e32 v10, v10, v5
	v_xor_b32_e32 v5, v8, v5
	s_lshl_b64 s[0:1], s[36:37], 8
	v_or_b32_e32 v10, v10, v6
	v_or_b32_e32 v5, v5, v6
	v_lshlrev_b32_e32 v14, 1, v4
	v_add_lshl_u32 v15, v4, s19, 1
	s_add_u32 s0, s12, s0
	v_lshlrev_b32_e32 v4, 1, v45
	v_xor_b32_e32 v93, v10, v12
	v_xor_b32_e32 v94, v5, v12
	v_lshrrev_b32_e32 v10, 4, v0
	s_addc_u32 s1, s13, s1
	v_or_b32_e32 v5, 1, v4
	v_mov_b32_e32 v20, 0x4000
	v_mov_b32_e32 v21, 0x2000
	v_lshrrev_b32_e32 v22, 1, v0
	v_xor_b32_e32 v12, v10, v4
	v_xor_b32_e32 v17, v5, v10
	v_lshl_add_u64 v[4:5], s[0:1], 0, v[50:51]
	v_lshlrev_b32_e32 v50, 8, v10
	v_cndmask_b32_e32 v20, v20, v21, vcc
	v_lshlrev_b32_e32 v21, 3, v63
	v_and_b32_e32 v22, 24, v22
	v_lshl_or_b32 v97, v12, 3, v50
	v_and_b32_e32 v12, 8, v0
	v_xor_b32_e32 v23, v21, v22
	v_or_b32_e32 v24, 0x440, v23
	v_cmp_eq_u32_e32 vcc, 0, v12
	v_and_b32_e32 v10, 7, v0
	v_lshlrev_b32_e32 v13, 7, v64
	v_cndmask_b32_e32 v12, v24, v23, vcc
	v_lshl_or_b32 v98, v17, 3, v50
	v_lshlrev_b32_e32 v17, 3, v10
	v_lshlrev_b32_e32 v19, 2, v0
	v_or_b32_e32 v12, v12, v11
	v_or_b32_e32 v7, v13, v7
	v_xor_b32_e32 v23, v12, v17
	v_and_or_b32 v12, v19, 60, v13
	v_mov_b32_e32 v13, 0xb000
	v_lshl_or_b32 v99, v12, 1, v13
	v_or_b32_e32 v12, 32, v22
	v_xor_b32_e32 v12, v21, v12
	v_or_b32_e32 v13, 0x440, v12
	v_cndmask_b32_e32 v12, v13, v12, vcc
	v_or_b32_e32 v12, v12, v11
	v_xor_b32_e32 v13, v12, v17
	v_or_b32_e32 v12, 64, v22
	v_xor_b32_e32 v12, v21, v12
	v_xor_b32_e32 v25, 0x440, v12
	v_cndmask_b32_e32 v12, v25, v12, vcc
	v_or_b32_e32 v12, v12, v11
	v_xor_b32_e32 v25, v12, v17
	v_or_b32_e32 v12, 0x60, v22
	v_xor_b32_e32 v12, v21, v12
	v_xor_b32_e32 v21, 0x440, v12
	v_cndmask_b32_e32 v12, v21, v12, vcc
	v_lshlrev_b32_e32 v7, 1, v7
	v_or_b32_e32 v6, s36, v45
	v_or_b32_e32 v11, v12, v11
	;; [unrolled: 1-line block ×6, first 2 shown]
	v_ashrrev_i32_e32 v7, 31, v6
	v_xor_b32_e32 v11, v11, v17
	v_lshlrev_b32_e32 v8, 7, v67
	v_or_b32_e32 v16, 0x100, v3
	v_lshlrev_b32_e32 v18, 7, v10
	v_or_b32_e32 v10, v9, v1
	v_add_u32_e32 v24, v20, v23
	v_add_u32_e32 v19, v20, v13
	;; [unrolled: 1-line block ×4, first 2 shown]
	v_or3_b32 v12, v1, v9, 64
	v_add_u32_e32 v9, 0x4000, v23
	v_add_u32_e32 v13, 0x4000, v13
	;; [unrolled: 1-line block ×4, first 2 shown]
	v_lshlrev_b64 v[6:7], 1, v[6:7]
	v_cndmask_b32_e64 v100, v14, v3, s[2:3]
	v_cndmask_b32_e64 v101, v15, v16, s[2:3]
	v_lshl_add_u64 v[56:57], s[8:9], 0, v[6:7]
	v_lshl_add_u64 v[58:59], s[14:15], 0, v[6:7]
	v_lshl_add_u64 v[60:61], v[4:5], 0, v[50:51]
	s_mov_b32 s37, 0x7060302
	v_lshlrev_b32_e32 v50, 1, v8
	v_lshlrev_b32_e32 v103, 2, v10
	v_add_u32_e32 v104, v24, v18
	v_add_u32_e32 v105, v19, v18
	;; [unrolled: 1-line block ×4, first 2 shown]
	v_lshlrev_b32_e32 v108, 2, v12
	v_add_u32_e32 v109, v9, v18
	v_add_u32_e32 v110, v13, v18
	;; [unrolled: 1-line block ×4, first 2 shown]
	v_mov_b32_e32 v85, v51
	v_mov_b32_e32 v84, v51
	;; [unrolled: 1-line block ×4, first 2 shown]
	s_waitcnt lgkmcnt(0)
	s_barrier
.LBB455_6:                              ; =>This Inner Loop Header: Depth=1
	s_add_i32 s61, s60, 1
	s_cmp_lt_i32 s61, s47
	s_mov_b64 s[28:29], 0
	s_cselect_b64 s[2:3], -1, 0
	s_cmp_ge_i32 s61, s47
	s_mov_b64 s[24:25], 0
	s_cbranch_scc1 .LBB455_8
; %bb.7:                                ;   in Loop: Header=BB455_6 Depth=1
	s_add_i32 s0, s54, 64
	s_ashr_i32 s1, s0, 31
	s_add_u32 s0, s51, s0
	s_addc_u32 s1, s50, s1
	s_lshl_b64 s[0:1], s[0:1], 8
	s_add_u32 s24, s6, s0
	s_addc_u32 s25, s7, s1
.LBB455_8:                              ;   in Loop: Header=BB455_6 Depth=1
	v_cndmask_b32_e64 v2, 0, 1, s[2:3]
	v_cmp_ne_u32_e64 s[0:1], 1, v2
	s_andn2_b64 vcc, exec, s[2:3]
	s_cbranch_vccnz .LBB455_10
; %bb.9:                                ;   in Loop: Header=BB455_6 Depth=1
	s_add_i32 s2, s54, 64
	s_mul_hi_i32 s3, s2, s18
	s_mul_i32 s2, s2, s18
	s_add_u32 s2, s2, s52
	s_addc_u32 s3, s3, s56
	s_lshl_b64 s[2:3], s[2:3], 8
	s_add_u32 s28, s4, s2
	s_addc_u32 s29, s5, s3
.LBB455_10:                             ;   in Loop: Header=BB455_6 Depth=1
	v_perm_b32 v3, v55, v54, s37
	v_perm_b32 v2, v53, v52, s37
	v_perm_b32 v5, v49, v48, s37
	v_perm_b32 v4, v47, v46, s37
	ds_write_b64 v75, v[2:3]
	ds_write_b64 v76, v[4:5]
	;; [unrolled: 1-line block ×4, first 2 shown]
	v_perm_b32 v3, v115, v90, s37
	v_perm_b32 v2, v88, v89, s37
	;; [unrolled: 1-line block ×4, first 2 shown]
	ds_write_b64 v77, v[2:3]
	ds_write_b64 v78, v[4:5]
	;; [unrolled: 1-line block ×4, first 2 shown]
	s_waitcnt lgkmcnt(0)
	s_barrier
	ds_read_b64 v[6:7], v83 offset:24576
	ds_read2_b64 v[2:5], v87 offset1:16
	ds_read_b64 v[10:11], v92 offset:3072
	ds_read_b64 v[12:13], v87 offset:3072
	;; [unrolled: 1-line block ×3, first 2 shown]
	s_waitcnt lgkmcnt(3)
	v_mfma_f32_16x16x16_bf16 a[0:3], v[6:7], v[2:3], 0
	s_add_i32 s62, s54, 63
	s_ashr_i32 s2, s62, 31
	s_mul_i32 s3, s62, s35
	v_mfma_f32_16x16x16_bf16 a[4:7], v[6:7], v[4:5], 0
	ds_read2st64_b64 v[2:5], v87 offset0:2 offset1:4
	s_mul_hi_u32 s31, s62, s34
	s_add_i32 s3, s31, s3
	s_waitcnt lgkmcnt(0)
	v_mfma_f32_16x16x16_bf16 a[0:3], v[14:15], v[2:3], a[0:3]
	ds_read2st64_b64 v[6:9], v92 offset0:2 offset1:4
	ds_read_b64 v[2:3], v93 offset:24576
	s_mul_i32 s2, s2, s34
	s_add_i32 s3, s3, s2
	s_waitcnt lgkmcnt(1)
	v_mfma_f32_16x16x16_bf16 a[4:7], v[14:15], v[6:7], a[4:7]
	ds_read_b64 v[6:7], v94 offset:24576
	s_mul_i32 s2, s62, s34
	s_lshl_b64 s[2:3], s[2:3], 2
	s_waitcnt lgkmcnt(1)
	v_mfma_f32_16x16x16_bf16 a[0:3], v[2:3], v[4:5], a[0:3]
	s_add_u32 s2, s42, s2
	s_addc_u32 s3, s43, s3
	s_and_b64 vcc, exec, s[0:1]
	v_mfma_f32_16x16x16_bf16 a[8:11], v[2:3], v[8:9], a[4:7]
	v_mov_b32_e32 v118, 0
	v_mov_b32_e32 v117, 0
	;; [unrolled: 1-line block ×3, first 2 shown]
	s_waitcnt lgkmcnt(0)
	v_mfma_f32_16x16x16_bf16 a[4:7], v[6:7], v[12:13], a[0:3]
	v_mov_b32_e32 v2, 0
	v_mov_b32_e32 v3, 0
	;; [unrolled: 1-line block ×3, first 2 shown]
	v_mfma_f32_16x16x16_bf16 a[0:3], v[6:7], v[10:11], a[8:11]
	v_mov_b32_e32 v5, 0
	v_mov_b32_e32 v6, 0
	;; [unrolled: 1-line block ×13, first 2 shown]
	s_cbranch_vccnz .LBB455_12
; %bb.11:                               ;   in Loop: Header=BB455_6 Depth=1
	s_and_b32 s25, s25, 0xffff
	buffer_load_dwordx4 v[14:17], v71, s[24:27], 0 offen
	buffer_load_dwordx4 v[10:13], v71, s[24:27], s57 offen
	buffer_load_dwordx4 v[6:9], v72, s[24:27], 0 offen
	buffer_load_dwordx4 v[2:5], v72, s[24:27], s57 offen
	v_mov_b32_e32 v117, v73
	v_mov_b32_e32 v116, v74
.LBB455_12:                             ;   in Loop: Header=BB455_6 Depth=1
	ds_read_b64 v[26:27], v83 offset:32768
	ds_read2_b64 v[18:21], v95 offset1:16
	ds_read_b64 v[28:29], v91 offset:32768
	ds_read_b64 v[30:31], v93 offset:32768
	;; [unrolled: 1-line block ×3, first 2 shown]
	v_add_u32_e32 v34, s54, v102
	s_waitcnt lgkmcnt(3)
	v_mfma_f32_16x16x16_bf16 a[4:7], v[26:27], v[18:19], a[4:7]
	v_ashrrev_i32_e32 v18, 31, v34
	ds_read2st64_b64 v[22:25], v95 offset0:2 offset1:4
	v_mfma_f32_16x16x16_bf16 a[0:3], v[26:27], v[20:21], a[0:3]
	v_mul_lo_u32 v20, v18, s34
	v_mul_lo_u32 v21, v34, s35
	v_mad_u64_u32 v[18:19], s[24:25], v34, s34, 0
	v_add3_u32 v19, v19, v21, v20
	v_add_u32_e32 v20, 1, v34
	v_ashrrev_i32_e32 v21, 31, v20
	v_mul_lo_u32 v26, v21, s34
	v_mul_lo_u32 v27, v20, s35
	v_mad_u64_u32 v[20:21], s[24:25], v20, s34, 0
	v_add3_u32 v21, v21, v27, v26
	v_add_u32_e32 v26, 2, v34
	v_ashrrev_i32_e32 v27, 31, v26
	v_mul_lo_u32 v35, v27, s34
	v_mul_lo_u32 v36, v26, s35
	v_mad_u64_u32 v[26:27], s[24:25], v26, s34, 0
	v_add_u32_e32 v34, 3, v34
	v_add3_u32 v27, v27, v36, v35
	v_ashrrev_i32_e32 v35, 31, v34
	v_mul_lo_u32 v36, v35, s34
	v_mul_lo_u32 v37, v34, s35
	v_mad_u64_u32 v[34:35], s[24:25], v34, s34, 0
	s_ashr_i32 s25, s54, 31
	v_add3_u32 v35, v35, v37, v36
	s_add_u32 s24, s51, s54
	v_lshl_add_u64 v[18:19], v[18:19], 2, s[42:43]
	v_lshl_add_u64 v[34:35], v[34:35], 2, s[42:43]
	s_addc_u32 s25, s50, s25
	v_lshl_add_u64 v[20:21], v[20:21], 2, s[42:43]
	v_lshl_add_u64 v[26:27], v[26:27], 2, s[42:43]
	global_load_dword v36, v[18:19], off
	global_load_dword v37, v[20:21], off
	;; [unrolled: 1-line block ×3, first 2 shown]
	s_nop 0
	global_load_dword v34, v[34:35], off
	s_lshl_b64 s[24:25], s[24:25], 8
	v_lshl_add_u64 v[18:19], v[56:57], 0, s[24:25]
	v_lshl_add_u64 v[26:27], v[18:19], 0, v[50:51]
	global_load_ushort v35, v[26:27], off offset:256
	global_load_ushort v39, v[26:27], off
	ds_read2st64_b64 v[18:21], v96 offset0:2 offset1:4
	global_load_ushort v40, v[26:27], off offset:768
	global_load_ushort v41, v[26:27], off offset:512
	;; [unrolled: 1-line block ×6, first 2 shown]
	s_waitcnt lgkmcnt(1)
	v_mfma_f32_16x16x16_bf16 a[4:7], v[28:29], v[22:23], a[4:7]
	s_and_b64 vcc, exec, s[0:1]
	s_waitcnt vmcnt(7)
	v_lshlrev_b32_e32 v27, 16, v35
	s_waitcnt lgkmcnt(0)
	v_mfma_f32_16x16x16_bf16 a[0:3], v[28:29], v[18:19], a[0:3]
	v_mfma_f32_16x16x16_bf16 a[4:7], v[30:31], v[24:25], a[4:7]
	;; [unrolled: 1-line block ×3, first 2 shown]
	ds_read_b64 v[18:19], v95 offset:3072
	ds_read_b64 v[20:21], v96 offset:3072
	s_load_dword s2, s[2:3], 0x0
	s_waitcnt lgkmcnt(0)
	v_sub_f32_e32 v26, s2, v36
	v_mfma_f32_16x16x16_bf16 a[4:7], v[32:33], v[18:19], a[4:7]
	v_sub_f32_e32 v29, s2, v37
	v_sub_f32_e32 v30, s2, v38
	;; [unrolled: 1-line block ×3, first 2 shown]
	v_mul_f32_e32 v28, 0x3fb8aa3b, v26
	v_mul_f32_e32 v29, 0x3fb8aa3b, v29
	;; [unrolled: 1-line block ×4, first 2 shown]
	v_mfma_f32_16x16x16_bf16 a[0:3], v[32:33], v[20:21], a[0:3]
	v_accvgpr_read_b32 v25, a5
	v_exp_f32_e32 v28, v28
	v_exp_f32_e32 v29, v29
	;; [unrolled: 1-line block ×4, first 2 shown]
	v_accvgpr_read_b32 v24, a4
	s_waitcnt vmcnt(6)
	v_lshlrev_b32_e32 v26, 16, v39
	v_lshl_add_u64 v[18:19], v[58:59], 0, s[24:25]
	v_accvgpr_read_b32 v21, a7
	v_accvgpr_read_b32 v20, a6
	v_pk_add_f32 v[24:25], v[26:27], v[24:25] neg_lo:[0,1] neg_hi:[0,1]
	s_waitcnt vmcnt(5)
	v_lshlrev_b32_e32 v27, 16, v40
	s_waitcnt vmcnt(4)
	v_lshlrev_b32_e32 v26, 16, v41
	v_lshl_add_u64 v[18:19], v[18:19], 0, v[50:51]
	v_pk_add_f32 v[20:21], v[26:27], v[20:21] neg_lo:[0,1] neg_hi:[0,1]
	global_store_short_d16_hi v[18:19], v24, off
	global_store_short_d16_hi v[18:19], v25, off offset:256
	global_store_short_d16_hi v[18:19], v20, off offset:512
	;; [unrolled: 1-line block ×3, first 2 shown]
	v_pk_mul_f32 v[24:25], v[28:29], v[24:25]
	v_pk_mul_f32 v[20:21], v[30:31], v[20:21]
	v_accvgpr_read_b32 v27, a1
	v_perm_b32 v21, v21, v20, s37
	v_perm_b32 v20, v25, v24, s37
	s_waitcnt vmcnt(5)
	v_lshlrev_b32_e32 v25, 16, v44
	s_waitcnt vmcnt(4)
	v_lshlrev_b32_e32 v24, 16, v119
	v_accvgpr_read_b32 v26, a0
	v_accvgpr_read_b32 v23, a3
	;; [unrolled: 1-line block ×3, first 2 shown]
	v_pk_add_f32 v[24:25], v[24:25], v[26:27] neg_lo:[0,1] neg_hi:[0,1]
	v_lshlrev_b32_e32 v27, 16, v42
	v_lshlrev_b32_e32 v26, 16, v43
	v_pk_add_f32 v[22:23], v[26:27], v[22:23] neg_lo:[0,1] neg_hi:[0,1]
	global_store_short_d16_hi v[18:19], v24, off offset:32
	global_store_short_d16_hi v[18:19], v25, off offset:288
	;; [unrolled: 1-line block ×4, first 2 shown]
	v_pk_mul_f32 v[18:19], v[28:29], v[24:25]
	v_pk_mul_f32 v[22:23], v[30:31], v[22:23]
	v_mov_b32_e32 v119, 0
	v_perm_b32 v23, v23, v22, s37
	v_perm_b32 v22, v19, v18, s37
	ds_write2_b64 v76, v[20:21], v[22:23] offset1:16
	v_mov_b32_e32 v18, 0
	v_mov_b32_e32 v19, 0
	;; [unrolled: 1-line block ×16, first 2 shown]
	s_cbranch_vccnz .LBB455_14
; %bb.13:                               ;   in Loop: Header=BB455_6 Depth=1
	s_and_b32 s29, s29, 0xffff
	s_mov_b32 s31, s27
	buffer_load_dwordx4 v[30:33], v100, s[28:31], 0 offen
	buffer_load_dwordx4 v[22:25], v100, s[28:31], s57 offen
	;; [unrolled: 1-line block ×4, first 2 shown]
	v_mov_b32_e32 v118, v70
	v_mov_b32_e32 v119, v69
.LBB455_14:                             ;   in Loop: Header=BB455_6 Depth=1
	s_waitcnt lgkmcnt(0)
	s_barrier
	ds_read_b64 v[38:39], v104
	ds_read_b64 v[124:125], v99
	;; [unrolled: 1-line block ×5, first 2 shown]
	ds_read_b64 v[138:139], v96 offset:3072
	ds_read2_b64 v[34:37], v95 offset0:16 offset1:128
	s_waitcnt lgkmcnt(5)
	v_mfma_f32_16x16x16_bf16 a[0:3], v[38:39], v[124:125], 0
	ds_read2st64_b64 v[40:43], v96 offset0:2 offset1:4
	s_add_i32 s3, s48, s60
	s_mul_hi_i32 s25, s3, s53
	s_waitcnt lgkmcnt(1)
	v_mfma_f32_16x16x16_bf16 a[4:7], v[38:39], v[34:35], 0
	ds_read_b64 v[38:39], v109
	s_mul_i32 s3, s3, s53
	s_add_u32 s24, s3, s33
	s_waitcnt lgkmcnt(1)
	v_mfma_f32_16x16x16_bf16 a[4:7], v[126:127], v[40:41], a[4:7]
	s_addc_u32 s25, s25, s55
	s_lshl_b64 s[24:25], s[24:25], 15
	s_mul_i32 s28, s62, s53
	s_mul_hi_i32 s3, s62, s53
	s_add_u32 s28, s28, s33
	v_mfma_f32_16x16x16_bf16 a[8:11], v[128:129], v[42:43], a[4:7]
	s_addc_u32 s29, s3, s55
	ds_read2st64_b64 v[120:123], v95 offset0:4 offset1:6
	s_lshl_b64 s[28:29], s[28:29], 9
	s_waitcnt lgkmcnt(1)
	v_mfma_f32_16x16x16_bf16 a[4:7], v[38:39], v[124:125], 0
	s_add_u32 s28, s40, s28
	s_addc_u32 s29, s41, s29
	v_mfma_f32_16x16x16_bf16 a[0:3], v[126:127], v[36:37], a[0:3]
	ds_read_b64 v[126:127], v110
	ds_read_b64 v[134:135], v111
	;; [unrolled: 1-line block ×3, first 2 shown]
	v_mfma_f32_16x16x16_bf16 a[12:15], v[38:39], v[34:35], 0
	s_waitcnt lgkmcnt(2)
	v_mfma_f32_16x16x16_bf16 a[4:7], v[126:127], v[36:37], a[4:7]
	global_load_dwordx4 v[34:37], v108, s[28:29]
	v_mfma_f32_16x16x16_bf16 a[12:15], v[126:127], v[40:41], a[12:15]
	global_load_dwordx4 v[38:41], v103, s[28:29]
	ds_read2st64_b64 v[124:127], v97 offset1:8
	s_waitcnt lgkmcnt(0)
	v_mov_b32_e32 v132, v124
	v_mfma_f32_16x16x16_bf16 a[0:3], v[128:129], v[120:121], a[0:3]
	ds_read2st64_b64 v[128:131], v98 offset1:8
	v_mov_b32_e32 v133, v125
	v_mfma_f32_16x16x16_bf16 a[16:19], v[134:135], v[120:121], a[4:7]
	v_lshl_add_u64 v[120:121], v[60:61], 0, s[24:25]
	v_mfma_f32_16x16x16_bf16 a[20:23], v[134:135], v[42:43], a[12:15]
	v_add_co_u32_e32 v42, vcc, s21, v120
	s_waitcnt lgkmcnt(0)
	v_mov_b32_e32 v134, v128
	v_mfma_f32_16x16x16_bf16 a[4:7], v[136:137], v[122:123], a[0:3]
	v_mov_b32_e32 v135, v129
	v_mov_b32_e32 v128, v126
	;; [unrolled: 1-line block ×3, first 2 shown]
	v_mfma_f32_16x16x16_bf16 a[8:11], v[136:137], v[138:139], a[8:11]
	v_addc_co_u32_e32 v43, vcc, 0, v121, vcc
	global_store_dwordx4 v[42:43], v[128:131], off
	v_mfma_f32_16x16x16_bf16 a[12:15], v[140:141], v[122:123], a[16:19]
	s_and_b64 vcc, exec, s[0:1]
	global_store_dwordx4 v[120:121], v[132:135], off
	s_waitcnt vmcnt(3)
	v_mov_b32_e32 v44, v37
	v_mfma_f32_16x16x16_bf16 a[0:3], v[140:141], v[138:139], a[20:23]
	v_mov_b32_e32 v43, v36
	v_mov_b32_e32 v42, v35
	s_cbranch_vccnz .LBB455_16
; %bb.15:                               ;   in Loop: Header=BB455_6 Depth=1
	v_lshrrev_b32_e32 v35, 3, v118
	v_and_b32_e32 v35, 6, v35
	v_xor_b32_e32 v36, v35, v119
	v_lshlrev_b32_e32 v36, 2, v36
	v_and_b32_e32 v37, 8, v118
	v_xor_b32_e32 v118, 0x440, v36
	v_cmp_eq_u32_e32 vcc, 0, v37
	v_perm_b32 v37, v22, v18, s58
	s_nop 0
	v_cndmask_b32_e32 v36, v118, v36, vcc
	v_lshl_or_b32 v35, v35, 10, v36
	v_perm_b32 v36, v30, v26, s58
	s_barrier
	ds_write2st64_b32 v35, v36, v37 offset0:32 offset1:64
	v_xor_b32_e32 v36, 8, v35
	v_perm_b32 v26, v30, v26, s59
	v_perm_b32 v18, v22, v18, s59
	v_add_u32_e32 v22, 0x80, v36
	ds_write2st64_b32 v22, v26, v18 offset0:32 offset1:64
	v_xor_b32_e32 v18, 16, v35
	v_perm_b32 v22, v31, v27, s58
	v_perm_b32 v26, v23, v19, s58
	ds_write2st64_b32 v18, v22, v26 offset0:33 offset1:65
	v_xor_b32_e32 v18, 24, v35
	v_perm_b32 v22, v31, v27, s59
	v_perm_b32 v19, v23, v19, s59
	v_add_u32_e32 v18, 0x80, v18
	ds_write2st64_b32 v18, v22, v19 offset0:33 offset1:65
	v_xor_b32_e32 v18, 32, v35
	v_perm_b32 v19, v32, v28, s58
	v_perm_b32 v22, v24, v20, s58
	;; [unrolled: 9-line block ×3, first 2 shown]
	ds_write2st64_b32 v18, v19, v20 offset0:35 offset1:67
	v_xor_b32_e32 v18, 56, v35
	v_perm_b32 v19, v33, v29, s59
	v_perm_b32 v20, v25, v21, s59
	v_add_u32_e32 v18, 0x80, v18
	ds_write2st64_b32 v18, v19, v20 offset0:35 offset1:67
	ds_write_b64 v117, v[14:15] offset:24576
	v_xor_b32_e32 v14, 8, v117
	ds_write_b64 v14, v[16:17] offset:24576
	ds_write_b64 v117, v[10:11] offset:32768
	;; [unrolled: 1-line block ×4, first 2 shown]
	v_xor_b32_e32 v6, 8, v116
	ds_write_b64 v6, v[8:9] offset:24576
	ds_write_b64 v116, v[2:3] offset:32768
	;; [unrolled: 1-line block ×3, first 2 shown]
.LBB455_16:                             ;   in Loop: Header=BB455_6 Depth=1
	v_mul_f32_e32 v2, s2, v113
	v_exp_f32_e32 v18, v2
	s_waitcnt vmcnt(2)
	v_mul_f32_e32 v2, 0x3fb8aa3b, v38
	v_exp_f32_e32 v20, v2
	v_mul_f32_e32 v2, 0x3fb8aa3b, v39
	v_exp_f32_e32 v21, v2
	;; [unrolled: 2-line block ×4, first 2 shown]
	v_accvgpr_read_b32 v13, a7
	v_accvgpr_read_b32 v11, a5
	;; [unrolled: 1-line block ×4, first 2 shown]
	v_pk_mul_f32 v[20:21], v[18:19], v[20:21] op_sel_hi:[0,1]
	v_accvgpr_read_b32 v8, a10
	v_pk_fma_f32 v[52:53], v[52:53], v[20:21], v[10:11]
	v_pk_mul_f32 v[10:11], v[18:19], v[22:23] op_sel_hi:[0,1]
	v_accvgpr_read_b32 v12, a6
	v_accvgpr_read_b32 v7, a9
	v_fma_f32 v90, v90, v10, v8
	v_mul_f32_e32 v8, 0x3fb8aa3b, v43
	v_pk_fma_f32 v[54:55], v[54:55], v[10:11], v[12:13]
	v_fma_f32 v89, v89, v20, v6
	v_fma_f32 v88, v88, v21, v7
	v_mul_f32_e32 v6, 0x3fb8aa3b, v34
	v_mul_f32_e32 v7, 0x3fb8aa3b, v42
	v_exp_f32_e32 v12, v8
	v_mul_f32_e32 v8, 0x3fb8aa3b, v44
	v_exp_f32_e32 v6, v6
	v_exp_f32_e32 v7, v7
	;; [unrolled: 1-line block ×3, first 2 shown]
	v_accvgpr_read_b32 v9, a11
	v_accvgpr_read_b32 v17, a15
	v_accvgpr_read_b32 v5, a3
	v_accvgpr_read_b32 v16, a14
	v_accvgpr_read_b32 v15, a13
	v_accvgpr_read_b32 v14, a12
	v_accvgpr_read_b32 v4, a2
	v_accvgpr_read_b32 v3, a1
	v_accvgpr_read_b32 v2, a0
	v_fmac_f32_e32 v9, v115, v11
	v_pk_mul_f32 v[6:7], v[18:19], v[6:7] op_sel_hi:[0,1]
	v_pk_mul_f32 v[10:11], v[18:19], v[12:13] op_sel_hi:[0,1]
	s_add_i32 s54, s54, 64
	v_pk_fma_f32 v[46:47], v[46:47], v[6:7], v[14:15]
	v_pk_fma_f32 v[48:49], v[48:49], v[10:11], v[16:17]
	v_fma_f32 v85, v85, v6, v2
	v_fma_f32 v84, v84, v7, v3
	;; [unrolled: 1-line block ×3, first 2 shown]
	s_cmp_eq_u32 s47, s61
	v_fmac_f32_e32 v5, v114, v11
	s_cbranch_scc1 .LBB455_18
; %bb.17:                               ;   in Loop: Header=BB455_6 Depth=1
	s_mov_b32 s60, s61
	v_mov_b32_e32 v115, v9
	v_mov_b32_e32 v114, v5
	s_branch .LBB455_6
.LBB455_18:
	s_lshl_b32 s0, s47, 6
	s_sub_i32 s42, s49, s0
	s_cmp_gt_i32 s42, 0
	s_cbranch_scc0 .LBB455_83
; %bb.19:
	s_add_i32 s38, s0, s38
	s_ashr_i32 s2, s38, 31
	s_cmpk_lg_i32 s19, 0x80
	s_cselect_b64 s[30:31], -1, 0
	s_and_b64 vcc, exec, s[30:31]
	s_cbranch_vccz .LBB455_21
; %bb.20:
	s_mul_i32 s1, s38, s18
	s_ashr_i32 s3, s52, 31
	s_mul_hi_i32 s0, s38, s18
	s_add_u32 s40, s1, s52
	s_addc_u32 s41, s0, s3
	s_cbranch_execz .LBB455_22
	s_branch .LBB455_23
.LBB455_21:
                                        ; implicit-def: $sgpr40_sgpr41
.LBB455_22:
	s_mul_i32 s1, s52, s16
	s_mul_hi_i32 s0, s52, s16
	s_add_u32 s40, s1, s38
	s_addc_u32 s41, s0, s2
.LBB455_23:
	s_add_i32 s3, s47, s48
	s_ashr_i32 s16, s33, 31
	s_add_u32 s0, s51, s38
	v_lshlrev_b32_e32 v8, 5, v67
	v_lshlrev_b32_e32 v22, 2, v45
	s_addc_u32 s1, s50, s2
	s_mov_b32 s2, 0x7060302
	v_or_b32_e32 v11, v8, v22
	v_xor_b32_e32 v4, v67, v22
	v_perm_b32 v3, v55, v54, s2
	v_perm_b32 v2, v53, v52, s2
	;; [unrolled: 1-line block ×4, first 2 shown]
	v_lshlrev_b32_e32 v11, 1, v11
	s_lshl_b64 s[28:29], s[0:1], 8
	v_xor_b32_e32 v10, v68, v22
	ds_write2st64_b64 v11, v[2:3], v[6:7] offset0:80 offset1:88
	v_lshlrev_b32_e32 v11, 1, v4
	v_lshlrev_b32_e32 v4, 8, v45
	s_add_u32 s0, s6, s28
	v_or_b32_e32 v12, v11, v4
	v_lshlrev_b32_e32 v10, 1, v10
	s_addc_u32 s1, s7, s29
	ds_write_b64 v12, v[2:3]
	v_or_b32_e32 v2, v10, v4
	s_mul_hi_i32 s6, s3, s17
	s_mul_i32 s3, s3, s17
	ds_write_b64 v2, v[6:7]
	v_perm_b32 v3, v9, v90, s2
	v_perm_b32 v2, v88, v89, s2
	;; [unrolled: 1-line block ×4, first 2 shown]
	v_or_b32_e32 v6, 16, v45
	s_add_u32 s2, s3, s33
	v_lshlrev_b32_e32 v19, 2, v6
	s_addc_u32 s3, s6, s16
	v_or_b32_e32 v7, v8, v19
	s_ashr_i32 s37, s36, 31
	s_lshl_b64 s[2:3], s[2:3], 15
	v_lshlrev_b32_e32 v7, 1, v7
	v_lshlrev_b32_e32 v6, 8, v6
	s_add_u32 s6, s12, s2
	ds_write2st64_b64 v7, v[2:3], v[4:5] offset0:80 offset1:88
	v_or_b32_e32 v7, v11, v6
	s_addc_u32 s7, s13, s3
	s_lshl_b64 s[2:3], s[36:37], 8
	ds_write_b64 v7, v[2:3]
	v_or_b32_e32 v2, v10, v6
	s_add_u32 s2, s6, s2
	ds_write_b64 v2, v[4:5]
	v_lshrrev_b32_e32 v2, 4, v0
	s_addc_u32 s3, s7, s3
	v_lshlrev_b32_e32 v3, 1, v45
	v_lshlrev_b32_e32 v10, 4, v45
	v_mov_b32_e32 v11, 0
	v_or_b32_e32 v4, 1, v3
	v_xor_b32_e32 v3, v2, v3
	v_lshl_add_u64 v[12:13], s[2:3], 0, v[10:11]
	v_lshlrev_b32_e32 v10, 8, v2
	v_xor_b32_e32 v6, v4, v2
	v_lshl_or_b32 v2, v3, 3, v10
	s_waitcnt lgkmcnt(0)
	s_barrier
	ds_read2st64_b64 v[2:5], v2 offset1:8
	v_lshl_or_b32 v6, v6, 3, v10
	ds_read2st64_b64 v[6:9], v6 offset1:8
	v_lshl_add_u64 v[14:15], v[12:13], 0, v[10:11]
	s_movk_i32 s2, 0x1000
	s_waitcnt lgkmcnt(1)
	v_mov_b32_e32 v10, v2
	v_add_co_u32_e32 v2, vcc, s2, v14
	s_cmp_lg_u32 s42, 64
	v_mov_b32_e32 v11, v3
	v_addc_co_u32_e32 v3, vcc, 0, v15, vcc
	s_cselect_b64 s[6:7], -1, 0
	v_lshl_or_b32 v23, v63, 3, v66
	s_waitcnt lgkmcnt(0)
	v_mov_b32_e32 v12, v6
	v_mov_b32_e32 v13, v7
	;; [unrolled: 1-line block ×4, first 2 shown]
	s_mov_b32 s24, 0
	v_or_b32_e32 v20, 32, v23
	v_and_b32_e32 v18, 56, v65
	s_and_b64 vcc, exec, s[6:7]
	global_store_dwordx4 v[14:15], v[10:13], off
	global_store_dwordx4 v[2:3], v[6:9], off
	s_cbranch_vccz .LBB455_29
; %bb.24:
	s_mov_b32 s25, s24
	s_mov_b32 s26, s24
	;; [unrolled: 1-line block ×3, first 2 shown]
	v_mov_b64_e32 v[6:7], s[24:25]
	v_mov_b64_e32 v[8:9], s[26:27]
	;; [unrolled: 1-line block ×3, first 2 shown]
	v_cmp_gt_i32_e32 vcc, s42, v23
	v_mov_b64_e32 v[4:5], v[8:9]
	s_and_saveexec_b64 s[2:3], vcc
	s_cbranch_execz .LBB455_26
; %bb.25:
	v_lshlrev_b32_e32 v2, 8, v23
	v_mov_b32_e32 v3, 0
	v_lshl_add_u64 v[4:5], s[0:1], 0, v[2:3]
	v_lshlrev_b32_e32 v2, 1, v18
	v_lshl_add_u64 v[10:11], v[4:5], 0, v[2:3]
	global_load_dwordx4 v[6:9], v[10:11], off
	global_load_dwordx4 v[2:5], v[10:11], off offset:128
.LBB455_26:
	s_or_b64 exec, exec, s[2:3]
	s_mov_b32 s25, s24
	s_mov_b32 s26, s24
	;; [unrolled: 1-line block ×3, first 2 shown]
	v_mov_b64_e32 v[14:15], s[24:25]
	v_mov_b64_e32 v[16:17], s[26:27]
	;; [unrolled: 1-line block ×3, first 2 shown]
	v_cmp_gt_i32_e32 vcc, s42, v20
	v_lshlrev_b32_e32 v21, 7, v20
	v_mov_b64_e32 v[12:13], v[16:17]
	s_and_saveexec_b64 s[2:3], vcc
	s_cbranch_execz .LBB455_28
; %bb.27:
	v_lshlrev_b32_e32 v10, 1, v21
	v_mov_b32_e32 v11, 0
	v_lshl_add_u64 v[12:13], s[0:1], 0, v[10:11]
	v_lshlrev_b32_e32 v10, 1, v18
	v_lshl_add_u64 v[24:25], v[12:13], 0, v[10:11]
	global_load_dwordx4 v[14:17], v[24:25], off
	global_load_dwordx4 v[10:13], v[24:25], off offset:128
.LBB455_28:
	s_or_b64 exec, exec, s[2:3]
	v_lshrrev_b32_e32 v24, 3, v18
	v_lshlrev_b32_e32 v25, 3, v23
	v_or_b32_e32 v24, v25, v24
	v_lshlrev_b32_e32 v24, 4, v24
	v_and_b32_e32 v25, 0x78, v25
	v_xor_b32_e32 v24, v24, v25
	s_branch .LBB455_31
.LBB455_29:
                                        ; implicit-def: $vgpr24
                                        ; implicit-def: $vgpr21
                                        ; implicit-def: $vgpr6_vgpr7_vgpr8_vgpr9
                                        ; implicit-def: $vgpr2_vgpr3_vgpr4_vgpr5
                                        ; implicit-def: $vgpr14_vgpr15_vgpr16_vgpr17
                                        ; implicit-def: $vgpr10_vgpr11_vgpr12_vgpr13
	s_cbranch_execz .LBB455_31
; %bb.30:
	s_waitcnt vmcnt(0)
	v_lshlrev_b32_e32 v2, 1, v18
	v_lshl_or_b32 v21, v23, 8, v2
	s_and_b32 s1, s1, 0xffff
	s_mov_b32 s3, 0x20000
	s_movk_i32 s2, 0x4000
	v_lshl_or_b32 v24, v20, 8, v2
	s_movk_i32 s12, 0x80
	buffer_load_dwordx4 v[6:9], v21, s[0:3], 0 offen
	buffer_load_dwordx4 v[2:5], v21, s[0:3], s12 offen
	;; [unrolled: 1-line block ×4, first 2 shown]
	v_lshrrev_b32_e32 v21, 3, v18
	v_lshlrev_b32_e32 v24, 3, v23
	v_or_b32_e32 v21, v24, v21
	v_lshlrev_b32_e32 v21, 4, v21
	v_and_b32_e32 v24, 0x78, v24
	v_xor_b32_e32 v24, v21, v24
	v_lshlrev_b32_e32 v21, 7, v20
.LBB455_31:
	s_lshl_b64 s[0:1], s[40:41], 8
	s_add_u32 s4, s4, s0
	s_movk_i32 s0, 0x1000
	v_and_or_b32 v20, v21, s0, v24
	s_waitcnt vmcnt(1)
	ds_write_b64 v24, v[6:7] offset:24576
	v_xor_b32_e32 v6, 8, v24
	ds_write_b64 v6, v[8:9] offset:24576
	s_waitcnt vmcnt(0)
	ds_write_b64 v24, v[2:3] offset:32768
	ds_write_b64 v6, v[4:5] offset:32768
	;; [unrolled: 1-line block ×3, first 2 shown]
	v_xor_b32_e32 v2, 8, v20
	ds_write_b64 v2, v[16:17] offset:24576
	ds_write_b64 v20, v[10:11] offset:32768
	;; [unrolled: 1-line block ×3, first 2 shown]
	v_or_b32_e32 v2, v1, v45
	v_lshlrev_b32_e32 v3, 11, v63
	v_lshlrev_b32_e32 v2, 3, v2
	v_and_b32_e32 v6, 0x1000, v3
	v_lshrrev_b32_e32 v3, 5, v62
	s_movk_i32 s13, 0xf8
	v_and_or_b32 v3, v2, s13, v3
	v_lshlrev_b32_e32 v7, 4, v3
	v_and_b32_e32 v8, 0x78, v2
	v_or_b32_e32 v10, 32, v7
	v_lshrrev_b32_e32 v3, 1, v62
	v_xor_b32_e32 v10, v10, v8
	v_xor_b32_e32 v2, v7, v8
	v_and_b32_e32 v9, 8, v3
	v_or_b32_e32 v10, v10, v6
	v_or_b32_e32 v2, v2, v6
	v_xor_b32_e32 v26, v10, v9
	v_or_b32_e32 v10, 64, v7
	v_xor_b32_e32 v25, v2, v9
	v_xor_b32_e32 v10, v10, v8
	s_waitcnt lgkmcnt(0)
	s_barrier
	v_or_b32_e32 v12, v10, v6
	ds_read_b64 v[10:11], v25 offset:24576
	v_lshl_or_b32 v20, v64, 7, v22
	v_lshlrev_b32_e32 v24, 1, v20
	v_add_u32_e32 v2, 0xa000, v24
	ds_read2_b64 v[2:5], v2 offset1:16
	v_or_b32_e32 v7, 0x60, v7
	v_xor_b32_e32 v7, v7, v8
	s_waitcnt lgkmcnt(0)
	v_mfma_f32_16x16x16_bf16 a[0:3], v[10:11], v[2:3], 0
	v_or_b32_e32 v2, 64, v20
	v_or_b32_e32 v6, v7, v6
	v_lshlrev_b32_e32 v29, 1, v2
	v_xor_b32_e32 v27, v12, v9
	v_xor_b32_e32 v28, v6, v9
	ds_read_b64 v[12:13], v26 offset:24576
	ds_read_b64 v[14:15], v27 offset:24576
	ds_read_b64 v[16:17], v28 offset:24576
	v_mfma_f32_16x16x16_bf16 a[4:7], v[10:11], v[4:5], 0
	ds_read2st64_b64 v[2:5], v29 offset0:82 offset1:84
	ds_read2st64_b64 v[6:9], v24 offset0:82 offset1:84
	s_addc_u32 s5, s5, s1
	s_add_i32 s2, s39, -1
	s_add_i32 s0, s45, s44
	s_add_i32 s21, s0, s46
	s_mul_i32 s0, s33, s23
	s_mul_hi_u32 s1, s33, s22
	s_ashr_i32 s3, s2, 31
	s_mul_i32 s12, s2, s35
	s_mul_hi_u32 s13, s2, s34
	s_add_i32 s0, s1, s0
	s_mul_i32 s1, s16, s22
	s_add_i32 s12, s13, s12
	s_mul_i32 s3, s3, s34
	s_waitcnt lgkmcnt(1)
	v_mfma_f32_16x16x16_bf16 a[4:7], v[12:13], v[2:3], a[4:7]
	s_add_i32 s1, s0, s1
	s_add_i32 s3, s12, s3
	s_lshl_b64 s[12:13], s[20:21], 2
	s_waitcnt lgkmcnt(0)
	v_mfma_f32_16x16x16_bf16 a[0:3], v[12:13], v[6:7], a[0:3]
	s_mul_i32 s0, s33, s22
	s_add_u32 s10, s10, s12
	s_addc_u32 s11, s11, s13
	s_lshl_b64 s[0:1], s[0:1], 2
	s_mul_i32 s2, s2, s34
	s_add_u32 s10, s10, s0
	ds_read_b64 v[2:3], v24 offset:44032
	v_mfma_f32_16x16x16_bf16 a[4:7], v[14:15], v[4:5], a[4:7]
	ds_read_b64 v[4:5], v29 offset:44032
	s_addc_u32 s11, s11, s1
	s_lshl_b64 s[0:1], s[2:3], 2
	v_mfma_f32_16x16x16_bf16 a[0:3], v[14:15], v[8:9], a[0:3]
	s_add_u32 s0, s10, s0
	s_addc_u32 s1, s11, s1
	s_load_dword s12, s[0:1], 0x0
	s_waitcnt lgkmcnt(0)
	v_mfma_f32_16x16x16_bf16 a[0:3], v[16:17], v[2:3], a[0:3]
	s_and_b64 vcc, exec, s[30:31]
	v_mfma_f32_16x16x16_bf16 a[4:7], v[16:17], v[4:5], a[4:7]
	s_cbranch_vccz .LBB455_42
; %bb.32:
	v_lshlrev_b32_e32 v20, 1, v23
	s_and_b64 vcc, exec, s[6:7]
	s_cbranch_vccz .LBB455_43
; %bb.33:
	v_cmp_gt_i32_e32 vcc, s42, v20
	v_mov_b32_e32 v6, 0
	v_mov_b32_e32 v2, 0
	;; [unrolled: 1-line block ×5, first 2 shown]
	s_and_saveexec_b64 s[0:1], vcc
	s_cbranch_execz .LBB455_35
; %bb.34:
	v_mad_i64_i32 v[2:3], s[2:3], s19, v20, 0
	v_lshl_add_u64 v[2:3], v[2:3], 1, s[4:5]
	v_lshlrev_b32_e32 v4, 1, v18
	v_mov_b32_e32 v5, 0
	v_lshl_add_u64 v[2:3], v[2:3], 0, v[4:5]
	global_load_dwordx4 v[2:5], v[2:3], off
.LBB455_35:
	s_or_b64 exec, exec, s[0:1]
	v_or_b32_e32 v21, 1, v20
	v_cmp_gt_i32_e64 s[0:1], s42, v21
	v_mov_b32_e32 v7, 0
	v_mov_b32_e32 v8, 0
	v_mov_b32_e32 v9, 0
	s_and_saveexec_b64 s[2:3], s[0:1]
	s_cbranch_execz .LBB455_37
; %bb.36:
	v_mad_i64_i32 v[6:7], s[16:17], s19, v21, 0
	v_lshl_add_u64 v[6:7], v[6:7], 1, s[4:5]
	v_lshlrev_b32_e32 v8, 1, v18
	v_mov_b32_e32 v9, 0
	v_lshl_add_u64 v[6:7], v[6:7], 0, v[8:9]
	global_load_dwordx4 v[6:9], v[6:7], off
.LBB455_37:
	s_or_b64 exec, exec, s[2:3]
	v_mov_b32_e32 v17, 0
	v_mov_b32_e32 v10, 0
	v_mov_b32_e32 v11, 0
	v_mov_b32_e32 v12, 0
	v_mov_b32_e32 v13, 0
	s_and_saveexec_b64 s[2:3], vcc
	s_cbranch_execz .LBB455_39
; %bb.38:
	v_mad_i64_i32 v[10:11], s[16:17], s19, v20, 0
	v_lshl_add_u64 v[10:11], v[10:11], 1, s[4:5]
	v_lshlrev_b32_e32 v12, 1, v18
	v_mov_b32_e32 v13, 0
	v_lshl_add_u64 v[10:11], v[10:11], 0, v[12:13]
	global_load_dwordx4 v[10:13], v[10:11], off offset:128
.LBB455_39:
	s_or_b64 exec, exec, s[2:3]
	v_mov_b32_e32 v16, 0
	v_mov_b32_e32 v15, 0
	;; [unrolled: 1-line block ×3, first 2 shown]
	s_and_saveexec_b64 s[2:3], s[0:1]
	s_cbranch_execz .LBB455_41
; %bb.40:
	v_mad_i64_i32 v[14:15], s[0:1], s19, v21, 0
	v_lshl_add_u64 v[14:15], v[14:15], 1, s[4:5]
	v_lshlrev_b32_e32 v16, 1, v18
	v_mov_b32_e32 v17, 0
	v_lshl_add_u64 v[14:15], v[14:15], 0, v[16:17]
	global_load_dwordx4 v[14:17], v[14:15], off offset:128
.LBB455_41:
	s_or_b64 exec, exec, s[2:3]
	s_branch .LBB455_45
.LBB455_42:
                                        ; implicit-def: $vgpr5
                                        ; implicit-def: $vgpr9
                                        ; implicit-def: $vgpr13
                                        ; implicit-def: $vgpr17
	v_lshrrev_b32_e32 v30, 2, v62
	s_branch .LBB455_46
.LBB455_43:
                                        ; implicit-def: $vgpr5
                                        ; implicit-def: $vgpr9
                                        ; implicit-def: $vgpr13
                                        ; implicit-def: $vgpr17
	s_cbranch_execz .LBB455_45
; %bb.44:
	s_waitcnt vmcnt(0)
	v_mad_u64_u32 v[2:3], s[0:1], v20, s19, v[18:19]
	v_lshlrev_b32_e32 v20, 1, v2
	s_lshl_b32 s2, s19, 7
	s_and_b32 s1, s5, 0xffff
	s_mov_b32 s3, 0x20000
	s_mov_b32 s0, s4
	v_add_lshl_u32 v21, v2, s19, 1
	s_movk_i32 s13, 0x80
	buffer_load_dwordx4 v[2:5], v20, s[0:3], 0 offen
	buffer_load_dwordx4 v[10:13], v20, s[0:3], s13 offen
	;; [unrolled: 1-line block ×4, first 2 shown]
.LBB455_45:
	v_lshrrev_b32_e32 v30, 2, v62
	s_cbranch_execnz .LBB455_58
.LBB455_46:
	s_and_b64 vcc, exec, s[6:7]
	s_cbranch_vccz .LBB455_56
; %bb.47:
	s_waitcnt vmcnt(0)
	v_lshlrev_b32_e32 v7, 1, v23
	v_cmp_gt_i32_e32 vcc, s42, v7
	v_mov_b32_e32 v6, 0
	v_lshlrev_b32_e32 v14, 9, v23
	v_mov_b32_e32 v2, 0
	v_mov_b32_e32 v3, 0
	;; [unrolled: 1-line block ×4, first 2 shown]
	s_and_saveexec_b64 s[0:1], vcc
	s_cbranch_execz .LBB455_49
; %bb.48:
	v_mov_b32_e32 v15, 0
	v_lshl_add_u64 v[2:3], s[4:5], 0, v[14:15]
	v_lshlrev_b32_e32 v4, 1, v18
	v_mov_b32_e32 v5, v15
	v_lshl_add_u64 v[2:3], v[2:3], 0, v[4:5]
	global_load_dwordx4 v[2:5], v[2:3], off
.LBB455_49:
	s_or_b64 exec, exec, s[0:1]
	v_or_b32_e32 v7, 1, v7
	v_cmp_gt_i32_e64 s[0:1], s42, v7
	v_lshlrev_b32_e32 v20, 8, v7
	v_mov_b32_e32 v7, 0
	v_mov_b32_e32 v8, 0
	;; [unrolled: 1-line block ×3, first 2 shown]
	s_and_saveexec_b64 s[2:3], s[0:1]
	s_cbranch_execz .LBB455_51
; %bb.50:
	v_mov_b32_e32 v21, 0
	v_lshl_add_u64 v[6:7], s[4:5], 0, v[20:21]
	v_lshlrev_b32_e32 v8, 1, v18
	v_mov_b32_e32 v9, v21
	v_lshl_add_u64 v[6:7], v[6:7], 0, v[8:9]
	global_load_dwordx4 v[6:9], v[6:7], off
.LBB455_51:
	s_or_b64 exec, exec, s[2:3]
	v_mov_b32_e32 v17, 0
	v_mov_b32_e32 v10, 0
	;; [unrolled: 1-line block ×5, first 2 shown]
	s_and_saveexec_b64 s[2:3], vcc
	s_cbranch_execz .LBB455_53
; %bb.52:
	v_mov_b32_e32 v15, 0
	v_lshl_add_u64 v[10:11], s[4:5], 0, v[14:15]
	v_lshlrev_b32_e32 v14, 1, v18
	v_lshl_add_u64 v[10:11], v[10:11], 0, v[14:15]
	global_load_dwordx4 v[10:13], v[10:11], off offset:128
.LBB455_53:
	s_or_b64 exec, exec, s[2:3]
	v_mov_b32_e32 v16, 0
	v_mov_b32_e32 v15, 0
	;; [unrolled: 1-line block ×3, first 2 shown]
	s_and_saveexec_b64 s[2:3], s[0:1]
	s_cbranch_execz .LBB455_55
; %bb.54:
	v_mov_b32_e32 v21, 0
	v_lshl_add_u64 v[14:15], s[4:5], 0, v[20:21]
	v_lshlrev_b32_e32 v20, 1, v18
	v_lshl_add_u64 v[14:15], v[14:15], 0, v[20:21]
	global_load_dwordx4 v[14:17], v[14:15], off offset:128
.LBB455_55:
	s_or_b64 exec, exec, s[2:3]
	s_branch .LBB455_58
.LBB455_56:
                                        ; implicit-def: $vgpr5
                                        ; implicit-def: $vgpr9
                                        ; implicit-def: $vgpr13
                                        ; implicit-def: $vgpr17
	s_cbranch_execz .LBB455_58
; %bb.57:
	s_waitcnt vmcnt(0)
	v_lshlrev_b32_e32 v2, 1, v18
	v_lshl_or_b32 v18, v23, 9, v2
	s_and_b32 s5, s5, 0xffff
	s_mov_b32 s7, 0x20000
	s_movk_i32 s6, 0x4000
	s_movk_i32 s0, 0x80
	buffer_load_dwordx4 v[2:5], v18, s[4:7], 0 offen
	buffer_load_dwordx4 v[6:9], v18, s[4:7], 0 offen offset:256
	buffer_load_dwordx4 v[10:13], v18, s[4:7], s0 offen
	buffer_load_dwordx4 v[14:17], v18, s[4:7], s0 offen offset:256
.LBB455_58:
	ds_read_b64 v[20:21], v25 offset:32768
	v_add_u32_e32 v18, 0xb000, v24
	ds_read2_b64 v[32:35], v18 offset1:16
	ds_read_b64 v[40:41], v26 offset:32768
	ds_read_b64 v[26:27], v27 offset:32768
	;; [unrolled: 1-line block ×3, first 2 shown]
	v_and_b32_e32 v18, 6, v0
	v_xor_b32_e32 v23, v23, v18
	v_lshlrev_b32_e32 v23, 2, v23
	v_and_b32_e32 v0, 1, v0
	v_xor_b32_e32 v28, 0x440, v23
	v_cmp_eq_u32_e32 vcc, 0, v0
	s_waitcnt lgkmcnt(3)
	v_mfma_f32_16x16x16_bf16 a[0:3], v[20:21], v[32:33], a[0:3]
	s_mov_b32 s0, 0x1000504
	v_cndmask_b32_e32 v0, v28, v23, vcc
	v_lshl_or_b32 v0, v18, 10, v0
	v_mfma_f32_16x16x16_bf16 a[4:7], v[20:21], v[34:35], a[4:7]
	ds_read2st64_b64 v[32:35], v24 offset0:90 offset1:92
	ds_read2st64_b64 v[36:39], v29 offset0:90 offset1:92
	ds_read_b64 v[20:21], v24 offset:48128
	ds_read_b64 v[24:25], v29 offset:48128
	s_waitcnt vmcnt(0)
	v_perm_b32 v18, v2, v6, s0
	s_waitcnt lgkmcnt(3)
	v_mfma_f32_16x16x16_bf16 a[0:3], v[40:41], v[32:33], a[0:3]
	s_mov_b32 s1, 0x3020706
	v_perm_b32 v2, v2, v6, s1
	v_perm_b32 v6, v10, v14, s1
	s_waitcnt lgkmcnt(2)
	v_mfma_f32_16x16x16_bf16 a[4:7], v[40:41], v[36:37], a[4:7]
	v_mfma_f32_16x16x16_bf16 a[0:3], v[26:27], v[34:35], a[0:3]
	;; [unrolled: 1-line block ×3, first 2 shown]
	s_waitcnt lgkmcnt(1)
	v_mfma_f32_16x16x16_bf16 a[4:7], v[42:43], v[20:21], a[0:3]
	v_perm_b32 v20, v10, v14, s0
	ds_write2st64_b32 v0, v18, v20 offset0:32 offset1:64
	v_xor_b32_e32 v18, 8, v0
	v_add_u32_e32 v10, 0x80, v18
	ds_write2st64_b32 v10, v2, v6 offset0:32 offset1:64
	v_xor_b32_e32 v2, 16, v0
	v_perm_b32 v6, v3, v7, s0
	v_perm_b32 v10, v11, v15, s0
	ds_write2st64_b32 v2, v6, v10 offset0:33 offset1:65
	v_xor_b32_e32 v2, 24, v0
	v_perm_b32 v3, v3, v7, s1
	v_perm_b32 v6, v11, v15, s1
	v_add_u32_e32 v2, 0x80, v2
	ds_write2st64_b32 v2, v3, v6 offset0:33 offset1:65
	v_xor_b32_e32 v2, 32, v0
	v_perm_b32 v3, v4, v8, s0
	v_perm_b32 v6, v12, v16, s0
	s_waitcnt lgkmcnt(4)
	v_mfma_f32_16x16x16_bf16 a[0:3], v[42:43], v[24:25], a[8:11]
	ds_write2st64_b32 v2, v3, v6 offset0:34 offset1:66
	v_xor_b32_e32 v2, 40, v0
	v_perm_b32 v3, v4, v8, s1
	v_perm_b32 v4, v12, v16, s1
	v_add_u32_e32 v2, 0x80, v2
	ds_write2st64_b32 v2, v3, v4 offset0:34 offset1:66
	v_xor_b32_e32 v2, 48, v0
	v_perm_b32 v3, v5, v9, s0
	v_perm_b32 v4, v13, v17, s0
	v_xor_b32_e32 v0, 56, v0
	v_and_or_b32 v21, v30, 12, v1
	ds_write2st64_b32 v2, v3, v4 offset0:35 offset1:67
	v_perm_b32 v2, v5, v9, s1
	v_perm_b32 v3, v13, v17, s1
	v_add_u32_e32 v0, 0x80, v0
	v_cmp_gt_i32_e32 vcc, s42, v21
	v_mov_b32_e32 v16, 0
	v_mov_b32_e32 v18, 0
	ds_write2st64_b32 v0, v2, v3 offset0:35 offset1:67
	s_and_saveexec_b64 s[0:1], vcc
	s_cbranch_execz .LBB455_60
; %bb.59:
	v_add_u32_e32 v0, s38, v21
	v_ashrrev_i32_e32 v1, 31, v0
	v_mul_lo_u32 v2, v1, s34
	v_mul_lo_u32 v3, v0, s35
	v_mad_u64_u32 v[0:1], s[2:3], v0, s34, 0
	v_add3_u32 v1, v1, v3, v2
	v_lshl_add_u64 v[0:1], v[0:1], 2, s[10:11]
	global_load_dword v0, v[0:1], off
	s_waitcnt vmcnt(0)
	v_sub_f32_e32 v0, s12, v0
	v_mul_f32_e32 v0, 0x3fb8aa3b, v0
	v_exp_f32_e32 v18, v0
.LBB455_60:
	s_or_b64 exec, exec, s[0:1]
	v_or_b32_e32 v10, 1, v21
	v_cmp_gt_i32_e64 s[0:1], s42, v10
	s_and_saveexec_b64 s[2:3], s[0:1]
	s_cbranch_execz .LBB455_62
; %bb.61:
	v_add_u32_e32 v0, s38, v10
	v_ashrrev_i32_e32 v1, 31, v0
	v_mul_lo_u32 v2, v1, s34
	v_mul_lo_u32 v3, v0, s35
	v_mad_u64_u32 v[0:1], s[4:5], v0, s34, 0
	v_add3_u32 v1, v1, v3, v2
	v_lshl_add_u64 v[0:1], v[0:1], 2, s[10:11]
	global_load_dword v0, v[0:1], off
	s_waitcnt vmcnt(0)
	v_sub_f32_e32 v0, s12, v0
	v_mul_f32_e32 v0, 0x3fb8aa3b, v0
	v_exp_f32_e32 v16, v0
.LBB455_62:
	s_or_b64 exec, exec, s[2:3]
	v_or_b32_e32 v12, 2, v21
	v_cmp_gt_i32_e64 s[2:3], s42, v12
	v_mov_b32_e32 v17, 0
	v_mov_b32_e32 v20, 0
	s_and_saveexec_b64 s[4:5], s[2:3]
	s_cbranch_execz .LBB455_64
; %bb.63:
	v_add_u32_e32 v0, s38, v12
	v_ashrrev_i32_e32 v1, 31, v0
	v_mul_lo_u32 v2, v1, s34
	v_mul_lo_u32 v3, v0, s35
	v_mad_u64_u32 v[0:1], s[6:7], v0, s34, 0
	v_add3_u32 v1, v1, v3, v2
	v_lshl_add_u64 v[0:1], v[0:1], 2, s[10:11]
	global_load_dword v0, v[0:1], off
	s_waitcnt vmcnt(0)
	v_sub_f32_e32 v0, s12, v0
	v_mul_f32_e32 v0, 0x3fb8aa3b, v0
	v_exp_f32_e32 v20, v0
.LBB455_64:
	s_or_b64 exec, exec, s[4:5]
	v_or_b32_e32 v14, 3, v21
	v_cmp_gt_i32_e64 s[4:5], s42, v14
	s_and_saveexec_b64 s[6:7], s[4:5]
	s_cbranch_execz .LBB455_66
; %bb.65:
	v_add_u32_e32 v0, s38, v14
	v_ashrrev_i32_e32 v1, 31, v0
	v_mul_lo_u32 v2, v1, s34
	v_mul_lo_u32 v3, v0, s35
	v_mad_u64_u32 v[0:1], s[16:17], v0, s34, 0
	v_add3_u32 v1, v1, v3, v2
	v_lshl_add_u64 v[0:1], v[0:1], 2, s[10:11]
	global_load_dword v0, v[0:1], off
	s_waitcnt vmcnt(0)
	v_sub_f32_e32 v0, s12, v0
	v_mul_f32_e32 v0, 0x3fb8aa3b, v0
	v_exp_f32_e32 v17, v0
.LBB455_66:
	s_or_b64 exec, exec, s[6:7]
	s_add_u32 s6, s8, s28
	v_or_b32_e32 v4, s36, v45
	s_addc_u32 s7, s9, s29
	s_add_u32 s8, s14, s28
	v_ashrrev_i32_e32 v5, 31, v4
	v_accvgpr_read_b32 v0, a4
	s_addc_u32 s9, s15, s29
	v_lshlrev_b64 v[4:5], 1, v[4:5]
	v_accvgpr_read_b32 v1, a5
	v_accvgpr_read_b32 v2, a6
	;; [unrolled: 1-line block ×3, first 2 shown]
	v_lshl_add_u64 v[6:7], s[6:7], 0, v[4:5]
	v_lshl_add_u64 v[4:5], s[8:9], 0, v[4:5]
	v_mov_b32_e32 v11, 0
	v_lshlrev_b32_e32 v8, 8, v21
	v_mov_b32_e32 v9, 0
	s_and_saveexec_b64 s[6:7], vcc
	s_cbranch_execz .LBB455_68
; %bb.67:
	v_mov_b32_e32 v9, 0
	v_lshl_add_u64 v[24:25], v[6:7], 0, v[8:9]
	global_load_ushort v13, v[24:25], off
	v_lshl_add_u64 v[24:25], v[4:5], 0, v[8:9]
	s_waitcnt vmcnt(0)
	v_lshlrev_b32_e32 v9, 16, v13
	v_sub_f32_e32 v0, v9, v0
	global_store_short_d16_hi v[24:25], v0, off
	v_mul_f32_e32 v0, v18, v0
	v_lshrrev_b32_e32 v9, 16, v0
.LBB455_68:
	s_or_b64 exec, exec, s[6:7]
	v_lshlrev_b32_e32 v10, 8, v10
	s_and_saveexec_b64 s[6:7], s[0:1]
	s_cbranch_execz .LBB455_70
; %bb.69:
	v_mov_b32_e32 v11, 0
	v_lshl_add_u64 v[24:25], v[6:7], 0, v[10:11]
	global_load_ushort v0, v[24:25], off
	v_lshl_add_u64 v[24:25], v[4:5], 0, v[10:11]
	s_waitcnt vmcnt(0)
	v_lshlrev_b32_e32 v0, 16, v0
	v_sub_f32_e32 v0, v0, v1
	global_store_short_d16_hi v[24:25], v0, off
	v_mul_f32_e32 v0, v16, v0
	v_lshrrev_b32_e32 v11, 16, v0
.LBB455_70:
	s_or_b64 exec, exec, s[6:7]
	v_mov_b32_e32 v15, 0
	v_lshlrev_b32_e32 v12, 8, v12
	v_mov_b32_e32 v13, 0
	s_and_saveexec_b64 s[6:7], s[2:3]
	s_cbranch_execz .LBB455_72
; %bb.71:
	v_mov_b32_e32 v13, 0
	v_lshl_add_u64 v[0:1], v[6:7], 0, v[12:13]
	global_load_ushort v23, v[0:1], off
	v_lshl_add_u64 v[0:1], v[4:5], 0, v[12:13]
	s_waitcnt vmcnt(0)
	v_lshlrev_b32_e32 v13, 16, v23
	v_sub_f32_e32 v2, v13, v2
	global_store_short_d16_hi v[0:1], v2, off
	v_mul_f32_e32 v0, v20, v2
	v_lshrrev_b32_e32 v13, 16, v0
.LBB455_72:
	s_or_b64 exec, exec, s[6:7]
	v_lshlrev_b32_e32 v14, 8, v14
	s_and_saveexec_b64 s[6:7], s[4:5]
	s_cbranch_execz .LBB455_74
; %bb.73:
	v_mov_b32_e32 v15, 0
	v_lshl_add_u64 v[0:1], v[6:7], 0, v[14:15]
	global_load_ushort v2, v[0:1], off
	v_lshl_add_u64 v[0:1], v[4:5], 0, v[14:15]
	s_waitcnt vmcnt(0)
	v_lshlrev_b32_e32 v2, 16, v2
	v_sub_f32_e32 v2, v2, v3
	global_store_short_d16_hi v[0:1], v2, off
	v_mul_f32_e32 v0, v17, v2
	v_lshrrev_b32_e32 v15, 16, v0
.LBB455_74:
	s_or_b64 exec, exec, s[6:7]
	v_lshlrev_b32_e32 v21, 5, v21
	s_mov_b32 s6, 0x5040100
	v_perm_b32 v24, v11, v9, s6
	v_or_b32_e32 v9, v21, v22
	v_accvgpr_read_b32 v0, a0
	v_perm_b32 v25, v15, v13, s6
	v_lshlrev_b32_e32 v9, 1, v9
	v_accvgpr_read_b32 v1, a1
	v_accvgpr_read_b32 v2, a2
	;; [unrolled: 1-line block ×3, first 2 shown]
	ds_write_b64 v9, v[24:25] offset:45056
	v_mov_b32_e32 v11, 0
	v_mov_b32_e32 v9, 0
	s_and_saveexec_b64 s[6:7], vcc
	s_cbranch_execz .LBB455_76
; %bb.75:
	v_mov_b32_e32 v9, 0
	v_lshl_add_u64 v[22:23], v[6:7], 0, v[8:9]
	global_load_ushort v13, v[22:23], off offset:32
	v_lshl_add_u64 v[8:9], v[4:5], 0, v[8:9]
	s_waitcnt vmcnt(0)
	v_lshlrev_b32_e32 v13, 16, v13
	v_sub_f32_e32 v0, v13, v0
	global_store_short_d16_hi v[8:9], v0, off offset:32
	v_mul_f32_e32 v0, v18, v0
	v_lshrrev_b32_e32 v9, 16, v0
.LBB455_76:
	s_or_b64 exec, exec, s[6:7]
	s_and_saveexec_b64 s[6:7], s[0:1]
	s_cbranch_execz .LBB455_78
; %bb.77:
	v_mov_b32_e32 v11, 0
	v_lshl_add_u64 v[22:23], v[6:7], 0, v[10:11]
	global_load_ushort v0, v[22:23], off offset:32
	v_lshl_add_u64 v[10:11], v[4:5], 0, v[10:11]
	s_waitcnt vmcnt(0)
	v_lshlrev_b32_e32 v0, 16, v0
	v_sub_f32_e32 v0, v0, v1
	global_store_short_d16_hi v[10:11], v0, off offset:32
	v_mul_f32_e32 v0, v16, v0
	v_lshrrev_b32_e32 v11, 16, v0
.LBB455_78:
	s_or_b64 exec, exec, s[6:7]
	v_mov_b32_e32 v0, 0
	v_mov_b32_e32 v1, 0
	s_and_saveexec_b64 s[0:1], s[2:3]
	s_cbranch_execz .LBB455_80
; %bb.79:
	v_mov_b32_e32 v13, 0
	v_lshl_add_u64 v[22:23], v[6:7], 0, v[12:13]
	global_load_ushort v1, v[22:23], off offset:32
	v_lshl_add_u64 v[12:13], v[4:5], 0, v[12:13]
	s_waitcnt vmcnt(0)
	v_lshlrev_b32_e32 v1, 16, v1
	v_sub_f32_e32 v1, v1, v2
	global_store_short_d16_hi v[12:13], v1, off offset:32
	v_mul_f32_e32 v1, v20, v1
	v_lshrrev_b32_e32 v1, 16, v1
.LBB455_80:
	s_or_b64 exec, exec, s[0:1]
	s_and_saveexec_b64 s[0:1], s[4:5]
	s_cbranch_execz .LBB455_82
; %bb.81:
	v_mov_b32_e32 v15, 0
	v_lshl_add_u64 v[6:7], v[6:7], 0, v[14:15]
	global_load_ushort v0, v[6:7], off offset:32
	v_lshl_add_u64 v[4:5], v[4:5], 0, v[14:15]
	s_waitcnt vmcnt(0)
	v_lshlrev_b32_e32 v0, 16, v0
	v_sub_f32_e32 v0, v0, v3
	global_store_short_d16_hi v[4:5], v0, off offset:32
	v_mul_f32_e32 v0, v17, v0
	v_lshrrev_b32_e32 v0, 16, v0
.LBB455_82:
	s_or_b64 exec, exec, s[0:1]
	s_mov_b32 s0, 0x5040100
	v_or_b32_e32 v2, v21, v19
	v_perm_b32 v1, v0, v1, s0
	v_perm_b32 v0, v11, v9, s0
	v_lshlrev_b32_e32 v2, 1, v2
	ds_write_b64 v2, v[0:1] offset:45056
	s_waitcnt lgkmcnt(0)
	s_barrier
.LBB455_83:
	s_endpgm
	.section	.rodata,"a",@progbits
	.p2align	6, 0x0
	.amdhsa_kernel _ZN12_GLOBAL__N_139chunk_gated_delta_rule_fwd_h_hip_kernelILi32ELb0ELb0ELb1ELb1ELb0ELb1ELb1ELb0EEEvPK12hip_bfloat16S3_S3_PKfS5_PKvPS1_S8_PvPKiSB_iiiiilll
		.amdhsa_group_segment_fixed_size 49152
		.amdhsa_private_segment_fixed_size 0
		.amdhsa_kernarg_size 136
		.amdhsa_user_sgpr_count 2
		.amdhsa_user_sgpr_dispatch_ptr 0
		.amdhsa_user_sgpr_queue_ptr 0
		.amdhsa_user_sgpr_kernarg_segment_ptr 1
		.amdhsa_user_sgpr_dispatch_id 0
		.amdhsa_user_sgpr_kernarg_preload_length 0
		.amdhsa_user_sgpr_kernarg_preload_offset 0
		.amdhsa_user_sgpr_private_segment_size 0
		.amdhsa_uses_dynamic_stack 0
		.amdhsa_enable_private_segment 0
		.amdhsa_system_sgpr_workgroup_id_x 1
		.amdhsa_system_sgpr_workgroup_id_y 1
		.amdhsa_system_sgpr_workgroup_id_z 0
		.amdhsa_system_sgpr_workgroup_info 0
		.amdhsa_system_vgpr_workitem_id 0
		.amdhsa_next_free_vgpr 168
		.amdhsa_next_free_sgpr 63
		.amdhsa_accum_offset 144
		.amdhsa_reserve_vcc 1
		.amdhsa_float_round_mode_32 0
		.amdhsa_float_round_mode_16_64 0
		.amdhsa_float_denorm_mode_32 3
		.amdhsa_float_denorm_mode_16_64 3
		.amdhsa_dx10_clamp 1
		.amdhsa_ieee_mode 1
		.amdhsa_fp16_overflow 0
		.amdhsa_tg_split 0
		.amdhsa_exception_fp_ieee_invalid_op 0
		.amdhsa_exception_fp_denorm_src 0
		.amdhsa_exception_fp_ieee_div_zero 0
		.amdhsa_exception_fp_ieee_overflow 0
		.amdhsa_exception_fp_ieee_underflow 0
		.amdhsa_exception_fp_ieee_inexact 0
		.amdhsa_exception_int_div_zero 0
	.end_amdhsa_kernel
	.section	.text._ZN12_GLOBAL__N_139chunk_gated_delta_rule_fwd_h_hip_kernelILi32ELb0ELb0ELb1ELb1ELb0ELb1ELb1ELb0EEEvPK12hip_bfloat16S3_S3_PKfS5_PKvPS1_S8_PvPKiSB_iiiiilll,"axG",@progbits,_ZN12_GLOBAL__N_139chunk_gated_delta_rule_fwd_h_hip_kernelILi32ELb0ELb0ELb1ELb1ELb0ELb1ELb1ELb0EEEvPK12hip_bfloat16S3_S3_PKfS5_PKvPS1_S8_PvPKiSB_iiiiilll,comdat
.Lfunc_end455:
	.size	_ZN12_GLOBAL__N_139chunk_gated_delta_rule_fwd_h_hip_kernelILi32ELb0ELb0ELb1ELb1ELb0ELb1ELb1ELb0EEEvPK12hip_bfloat16S3_S3_PKfS5_PKvPS1_S8_PvPKiSB_iiiiilll, .Lfunc_end455-_ZN12_GLOBAL__N_139chunk_gated_delta_rule_fwd_h_hip_kernelILi32ELb0ELb0ELb1ELb1ELb0ELb1ELb1ELb0EEEvPK12hip_bfloat16S3_S3_PKfS5_PKvPS1_S8_PvPKiSB_iiiiilll
                                        ; -- End function
	.section	.AMDGPU.csdata,"",@progbits
; Kernel info:
; codeLenInByte = 8836
; NumSgprs: 69
; NumVgprs: 142
; NumAgprs: 24
; TotalNumVgprs: 168
; ScratchSize: 0
; MemoryBound: 0
; FloatMode: 240
; IeeeMode: 1
; LDSByteSize: 49152 bytes/workgroup (compile time only)
; SGPRBlocks: 8
; VGPRBlocks: 20
; NumSGPRsForWavesPerEU: 69
; NumVGPRsForWavesPerEU: 168
; AccumOffset: 144
; Occupancy: 1
; WaveLimiterHint : 1
; COMPUTE_PGM_RSRC2:SCRATCH_EN: 0
; COMPUTE_PGM_RSRC2:USER_SGPR: 2
; COMPUTE_PGM_RSRC2:TRAP_HANDLER: 0
; COMPUTE_PGM_RSRC2:TGID_X_EN: 1
; COMPUTE_PGM_RSRC2:TGID_Y_EN: 1
; COMPUTE_PGM_RSRC2:TGID_Z_EN: 0
; COMPUTE_PGM_RSRC2:TIDIG_COMP_CNT: 0
; COMPUTE_PGM_RSRC3_GFX90A:ACCUM_OFFSET: 35
; COMPUTE_PGM_RSRC3_GFX90A:TG_SPLIT: 0
	.section	.text._ZN12_GLOBAL__N_139chunk_gated_delta_rule_fwd_h_hip_kernelILi32ELb0ELb0ELb0ELb1ELb0ELb1ELb1ELb0EEEvPK12hip_bfloat16S3_S3_PKfS5_PKvPS1_S8_PvPKiSB_iiiiilll,"axG",@progbits,_ZN12_GLOBAL__N_139chunk_gated_delta_rule_fwd_h_hip_kernelILi32ELb0ELb0ELb0ELb1ELb0ELb1ELb1ELb0EEEvPK12hip_bfloat16S3_S3_PKfS5_PKvPS1_S8_PvPKiSB_iiiiilll,comdat
	.globl	_ZN12_GLOBAL__N_139chunk_gated_delta_rule_fwd_h_hip_kernelILi32ELb0ELb0ELb0ELb1ELb0ELb1ELb1ELb0EEEvPK12hip_bfloat16S3_S3_PKfS5_PKvPS1_S8_PvPKiSB_iiiiilll ; -- Begin function _ZN12_GLOBAL__N_139chunk_gated_delta_rule_fwd_h_hip_kernelILi32ELb0ELb0ELb0ELb1ELb0ELb1ELb1ELb0EEEvPK12hip_bfloat16S3_S3_PKfS5_PKvPS1_S8_PvPKiSB_iiiiilll
	.p2align	8
	.type	_ZN12_GLOBAL__N_139chunk_gated_delta_rule_fwd_h_hip_kernelILi32ELb0ELb0ELb0ELb1ELb0ELb1ELb1ELb0EEEvPK12hip_bfloat16S3_S3_PKfS5_PKvPS1_S8_PvPKiSB_iiiiilll,@function
_ZN12_GLOBAL__N_139chunk_gated_delta_rule_fwd_h_hip_kernelILi32ELb0ELb0ELb0ELb1ELb0ELb1ELb1ELb0EEEvPK12hip_bfloat16S3_S3_PKfS5_PKvPS1_S8_PvPKiSB_iiiiilll: ; @_ZN12_GLOBAL__N_139chunk_gated_delta_rule_fwd_h_hip_kernelILi32ELb0ELb0ELb0ELb1ELb0ELb1ELb1ELb0EEEvPK12hip_bfloat16S3_S3_PKfS5_PKvPS1_S8_PvPKiSB_iiiiilll
; %bb.0:
	s_load_dwordx4 s[12:15], s[0:1], 0x5c
	s_load_dwordx4 s[16:19], s[0:1], 0x70
	s_abs_i32 s21, s3
	s_ashr_i32 s20, s3, 31
	s_load_dwordx2 s[36:37], s[0:1], 0x30
	s_load_dwordx4 s[24:27], s[0:1], 0x48
	s_waitcnt lgkmcnt(0)
	s_abs_i32 s28, s13
	v_cvt_f32_u32_e32 v1, s28
	s_sub_i32 s22, 0, s28
	s_ashr_i32 s29, s13, 31
	s_xor_b32 s20, s20, s29
	v_rcp_iflag_f32_e32 v1, v1
	s_load_dwordx8 s[4:11], s[0:1], 0x0
	v_lshrrev_b32_e32 v61, 6, v0
	v_bfe_u32 v62, v0, 4, 2
	v_mul_f32_e32 v1, 0x4f7ffffe, v1
	v_cvt_u32_f32_e32 v1, v1
	v_lshlrev_b32_e32 v2, 2, v62
	v_and_b32_e32 v60, 63, v0
	v_mov_b32_e32 v5, 0
	v_readfirstlane_b32 s23, v1
	s_mul_i32 s22, s22, s23
	s_mul_hi_u32 s22, s23, s22
	s_add_i32 s23, s23, s22
	s_mul_hi_u32 s22, s21, s23
	s_mul_i32 s23, s22, s28
	s_sub_i32 s21, s21, s23
	s_add_i32 s30, s22, 1
	s_sub_i32 s23, s21, s28
	s_cmp_ge_u32 s21, s28
	s_cselect_b32 s22, s30, s22
	s_cselect_b32 s21, s23, s21
	s_add_i32 s23, s22, 1
	s_cmp_ge_u32 s21, s28
	s_cselect_b32 s21, s23, s22
	s_xor_b32 s21, s21, s20
	s_sub_i32 s20, s21, s20
	s_mul_i32 s21, s20, s13
	s_sub_i32 s33, s3, s21
	s_ashr_i32 s21, s20, 31
	s_lshl_b64 s[22:23], s[20:21], 2
	s_add_u32 s24, s24, s22
	s_addc_u32 s25, s25, s23
	s_add_u32 s22, s26, s22
	s_addc_u32 s23, s27, s23
	s_abs_i32 s3, s14
	v_cvt_f32_u32_e32 v1, s3
	s_load_dwordx2 s[34:35], s[24:25], 0x0
	s_sub_i32 s25, 0, s3
	s_load_dword s46, s[22:23], 0x0
	v_rcp_iflag_f32_e32 v1, v1
	v_and_b32_e32 v45, 15, v0
	s_waitcnt lgkmcnt(0)
	s_sub_i32 s47, s35, s34
	s_ashr_i32 s24, s47, 31
	v_mul_f32_e32 v1, 0x4f7ffffe, v1
	v_cvt_u32_f32_e32 v1, v1
	s_lshr_b32 s24, s24, 26
	s_add_i32 s24, s47, s24
	s_ashr_i32 s45, s24, 6
	v_readfirstlane_b32 s26, v1
	s_mul_i32 s25, s25, s26
	s_mul_hi_u32 s25, s26, s25
	s_add_i32 s26, s26, s25
	s_mul_hi_u32 s25, s28, s26
	s_mul_i32 s26, s25, s3
	s_ashr_i32 s24, s14, 31
	s_sub_i32 s26, s28, s26
	s_xor_b32 s24, s29, s24
	s_add_i32 s27, s25, 1
	s_sub_i32 s28, s26, s3
	s_cmp_ge_u32 s26, s3
	s_cselect_b32 s25, s27, s25
	s_cselect_b32 s26, s28, s26
	s_add_i32 s27, s25, 1
	s_cmp_ge_u32 s26, s3
	s_cselect_b32 s3, s27, s25
	s_xor_b32 s3, s3, s24
	s_sub_i32 s3, s3, s24
	s_abs_i32 s24, s3
	v_cvt_f32_u32_e32 v1, s24
	s_sub_i32 s23, 0, s24
	s_abs_i32 s22, s33
	s_xor_b32 s3, s33, s3
	v_rcp_iflag_f32_e32 v1, v1
	s_ashr_i32 s3, s3, 31
	s_load_dwordx2 s[28:29], s[0:1], 0x80
	s_mul_hi_i32 s48, s33, s12
	v_mul_f32_e32 v1, 0x4f7ffffe, v1
	v_cvt_u32_f32_e32 v1, v1
	s_mul_i32 s49, s33, s12
	v_lshrrev_b32_e32 v64, 3, v60
	v_lshlrev_b32_e32 v63, 3, v0
	v_readfirstlane_b32 s25, v1
	s_mul_i32 s23, s23, s25
	s_mul_hi_u32 s23, s25, s23
	s_add_i32 s25, s25, s23
	s_mul_hi_u32 s23, s22, s25
	s_mul_i32 s25, s23, s24
	s_sub_i32 s22, s22, s25
	s_add_i32 s25, s23, 1
	s_sub_i32 s26, s22, s24
	s_cmp_ge_u32 s22, s24
	s_cselect_b32 s23, s25, s23
	s_cselect_b32 s22, s26, s22
	s_add_i32 s25, s23, 1
	s_cmp_ge_u32 s22, s24
	s_cselect_b32 s22, s25, s23
	s_xor_b32 s22, s22, s3
	v_lshlrev_b32_e32 v1, 4, v61
	s_sub_i32 s50, s22, s3
	v_or_b32_e32 v65, v2, v1
	s_lshl_b32 s30, s2, 5
	v_or_b32_e32 v66, 64, v65
	s_cmp_lt_i32 s47, 64
	s_mul_i32 s42, s20, s17
	s_mul_hi_u32 s43, s20, s16
	s_mul_i32 s44, s21, s16
	s_mul_i32 s16, s20, s16
	v_mov_b32_e32 v84, 0
	v_mov_b32_e32 v82, 0
	;; [unrolled: 1-line block ×15, first 2 shown]
	s_cbranch_scc1 .LBB456_18
; %bb.1:
	s_ashr_i32 s53, s33, 31
	s_ashr_i32 s3, s34, 31
	s_add_u32 s2, s49, s34
	s_addc_u32 s3, s48, s3
	s_lshl_b64 s[2:3], s[2:3], 8
	v_and_b32_e32 v68, 56, v63
	s_add_u32 s20, s6, s2
	v_lshl_or_b32 v67, v61, 3, v64
	v_lshlrev_b32_e32 v3, 1, v68
	s_addc_u32 s2, s7, s3
	v_lshl_or_b32 v69, v67, 8, v3
	s_and_b32 s21, s2, 0xffff
	s_mov_b32 s23, 0x20000
	s_movk_i32 s22, 0x4000
	s_movk_i32 s2, 0x80
	v_or_b32_e32 v70, 0x2000, v69
	buffer_load_dwordx4 v[4:7], v69, s[20:23], 0 offen
	buffer_load_dwordx4 v[8:11], v69, s[20:23], s2 offen
	;; [unrolled: 1-line block ×4, first 2 shown]
	v_lshlrev_b32_e32 v20, 3, v67
	v_and_or_b32 v22, v0, 7, v20
	v_and_b32_e32 v20, 0x78, v20
	v_lshlrev_b32_e32 v22, 4, v22
	v_xor_b32_e32 v71, v22, v20
	v_mul_lo_u32 v21, v67, s15
	v_or_b32_e32 v72, 0x1000, v71
	s_cmpk_eq_i32 s15, 0x80
	s_mov_b32 s51, s13
	s_mov_b32 s52, s34
	v_xor_b32_e32 v20, 8, v71
	v_xor_b32_e32 v22, 8, v72
	s_cselect_b64 s[2:3], -1, 0
	s_cmpk_lg_i32 s15, 0x80
	s_waitcnt vmcnt(3)
	ds_write_b64 v71, v[4:5] offset:24576
	ds_write_b64 v20, v[6:7] offset:24576
	s_waitcnt vmcnt(2)
	ds_write_b64 v71, v[8:9] offset:32768
	ds_write_b64 v20, v[10:11] offset:32768
	;; [unrolled: 3-line block ×4, first 2 shown]
	v_lshl_add_u32 v4, v21, 1, v68
	s_cbranch_scc0 .LBB456_3
; %bb.2:
	v_lshlrev_b32_e32 v6, 1, v4
	v_add_lshl_u32 v5, v4, s15, 1
	s_lshl_b32 s22, s15, 7
	s_load_dwordx2 s[38:39], s[0:1], 0x20
	v_lshl_or_b32 v3, v67, 9, v3
	s_cbranch_execz .LBB456_4
	s_branch .LBB456_5
.LBB456_3:
                                        ; implicit-def: $vgpr5
                                        ; implicit-def: $vgpr6
                                        ; implicit-def: $sgpr22
	s_load_dwordx2 s[38:39], s[0:1], 0x20
	v_lshl_or_b32 v3, v67, 9, v3
.LBB456_4:
	v_or_b32_e32 v5, 0x100, v3
	s_movk_i32 s22, 0x4000
	v_mov_b32_e32 v6, v3
.LBB456_5:
	s_mul_i32 s0, s34, s14
	s_ashr_i32 s54, s50, 31
	s_mul_hi_i32 s1, s34, s14
	s_add_u32 s0, s0, s50
	s_addc_u32 s1, s1, s54
	s_lshl_b64 s[0:1], s[0:1], 8
	s_add_u32 s20, s4, s0
	s_addc_u32 s0, s5, s1
	s_and_b32 s21, s0, 0xffff
	s_movk_i32 s55, 0x80
	buffer_load_dwordx4 v[8:11], v6, s[20:23], 0 offen
	buffer_load_dwordx4 v[12:15], v6, s[20:23], s55 offen
	buffer_load_dwordx4 v[16:19], v5, s[20:23], 0 offen
	buffer_load_dwordx4 v[20:23], v5, s[20:23], s55 offen
	v_and_b32_e32 v5, 6, v0
	v_lshlrev_b32_e32 v24, 6, v65
	v_or_b32_e32 v26, 16, v45
	v_xor_b32_e32 v27, v67, v5
	v_and_b32_e32 v6, 1, v0
	v_lshl_or_b32 v30, v45, 3, v24
	v_lshl_or_b32 v24, v26, 3, v24
	v_lshlrev_b32_e32 v27, 2, v27
	v_lshlrev_b32_e32 v7, 2, v45
	s_mul_i32 s0, s33, s19
	s_mul_hi_u32 s1, s33, s18
	v_or_b32_e32 v75, 0xa000, v24
	v_or_b32_e32 v76, 0xb000, v24
	v_xor_b32_e32 v24, 0x440, v27
	v_cmp_eq_u32_e32 vcc, 0, v6
	s_add_i32 s17, s43, s42
	s_mul_i32 s20, s53, s18
	v_xor_b32_e32 v28, v65, v7
	v_xor_b32_e32 v29, v66, v7
	v_cndmask_b32_e32 v6, v24, v27, vcc
	s_add_i32 s0, s1, s0
	s_add_i32 s17, s17, s44
	s_mov_b32 s56, 0x1000504
	v_lshlrev_b32_e32 v25, 8, v45
	v_lshlrev_b32_e32 v26, 8, v26
	;; [unrolled: 1-line block ×4, first 2 shown]
	v_lshl_or_b32 v5, v5, 10, v6
	s_add_i32 s1, s0, s20
	s_lshl_b64 s[20:21], s[16:17], 2
	s_mov_b32 s57, 0x3020706
	v_or_b32_e32 v73, 0xa000, v30
	v_or_b32_e32 v74, 0xb000, v30
	;; [unrolled: 1-line block ×5, first 2 shown]
	v_xor_b32_e32 v6, 8, v5
	v_xor_b32_e32 v25, 24, v5
	v_xor_b32_e32 v27, 40, v5
	v_xor_b32_e32 v29, 56, v5
	s_mul_i32 s0, s33, s18
	s_add_u32 s17, s10, s20
	v_or_b32_e32 v79, v26, v28
	v_xor_b32_e32 v24, 16, v5
	v_xor_b32_e32 v26, 32, v5
	;; [unrolled: 1-line block ×3, first 2 shown]
	v_add_u32_e32 v6, 0x80, v6
	v_add_u32_e32 v25, 0x80, v25
	;; [unrolled: 1-line block ×4, first 2 shown]
	s_addc_u32 s20, s11, s21
	s_lshl_b64 s[0:1], s[0:1], 2
	s_add_u32 s40, s17, s0
	s_movk_i32 s0, 0xf8
	s_addc_u32 s41, s20, s1
	s_ashr_i32 s31, s30, 31
	s_lshl_b32 s26, s15, 7
	s_movk_i32 s20, 0x100
	v_mov_b32_e32 v51, 0
	v_lshlrev_b32_e32 v50, 4, v45
	v_cmp_gt_u32_e32 vcc, s20, v0
	s_mov_b32 s58, 0
	s_movk_i32 s17, 0x1000
	s_movk_i32 s22, 0x4000
	v_add_u32_e32 v100, v1, v2
	v_mov_b32_e32 v111, 0x3fb8aa3b
	v_mov_b32_e32 v52, v51
	;; [unrolled: 1-line block ×13, first 2 shown]
	s_waitcnt vmcnt(1)
	v_perm_b32 v30, v8, v16, s56
	s_waitcnt vmcnt(0)
	v_perm_b32 v31, v12, v20, s56
	v_perm_b32 v8, v8, v16, s57
	;; [unrolled: 1-line block ×15, first 2 shown]
	ds_write2st64_b32 v5, v30, v31 offset0:32 offset1:64
	ds_write2st64_b32 v6, v8, v12 offset0:32 offset1:64
	;; [unrolled: 1-line block ×8, first 2 shown]
	v_or_b32_e32 v5, v1, v45
	v_lshlrev_b32_e32 v5, 3, v5
	v_lshrrev_b32_e32 v8, 5, v60
	v_and_or_b32 v8, v5, s0, v8
	v_lshrrev_b32_e32 v6, 2, v60
	v_lshlrev_b32_e32 v11, 11, v61
	v_lshlrev_b32_e32 v8, 4, v8
	v_and_b32_e32 v5, 0x78, v5
	v_and_b32_e32 v9, 12, v6
	v_and_b32_e32 v6, 0x1000, v11
	v_xor_b32_e32 v10, v8, v5
	v_lshrrev_b32_e32 v12, 1, v60
	v_or_b32_e32 v10, v10, v6
	v_and_b32_e32 v12, 8, v12
	v_xor_b32_e32 v81, v10, v12
	v_or_b32_e32 v10, 32, v8
	v_xor_b32_e32 v10, v10, v5
	v_or_b32_e32 v10, v10, v6
	;; [unrolled: 2-line block ×3, first 2 shown]
	v_or_b32_e32 v8, 0x60, v8
	v_xor_b32_e32 v10, v10, v5
	v_xor_b32_e32 v5, v8, v5
	s_lshl_b64 s[0:1], s[30:31], 8
	v_or_b32_e32 v10, v10, v6
	v_or_b32_e32 v5, v5, v6
	v_lshlrev_b32_e32 v14, 1, v4
	v_add_lshl_u32 v15, v4, s15, 1
	s_add_u32 s0, s36, s0
	v_lshlrev_b32_e32 v4, 1, v45
	v_xor_b32_e32 v91, v10, v12
	v_xor_b32_e32 v92, v5, v12
	v_lshrrev_b32_e32 v10, 4, v0
	s_addc_u32 s1, s37, s1
	v_or_b32_e32 v5, 1, v4
	v_mov_b32_e32 v20, 0x4000
	v_mov_b32_e32 v21, 0x2000
	v_lshrrev_b32_e32 v22, 1, v0
	v_xor_b32_e32 v12, v10, v4
	v_xor_b32_e32 v17, v5, v10
	v_lshl_add_u64 v[4:5], s[0:1], 0, v[50:51]
	v_lshlrev_b32_e32 v50, 8, v10
	v_cndmask_b32_e32 v20, v20, v21, vcc
	v_lshlrev_b32_e32 v21, 3, v61
	v_and_b32_e32 v22, 24, v22
	v_lshl_or_b32 v95, v12, 3, v50
	v_and_b32_e32 v12, 8, v0
	v_xor_b32_e32 v23, v21, v22
	v_or_b32_e32 v24, 0x440, v23
	v_cmp_eq_u32_e32 vcc, 0, v12
	v_and_b32_e32 v10, 7, v0
	v_lshlrev_b32_e32 v13, 7, v62
	v_cndmask_b32_e32 v12, v24, v23, vcc
	v_lshl_or_b32 v96, v17, 3, v50
	v_lshlrev_b32_e32 v17, 3, v10
	v_lshlrev_b32_e32 v19, 2, v0
	v_or_b32_e32 v12, v12, v11
	v_or_b32_e32 v7, v13, v7
	v_xor_b32_e32 v23, v12, v17
	v_and_or_b32 v12, v19, 60, v13
	v_mov_b32_e32 v13, 0xb000
	v_lshl_or_b32 v97, v12, 1, v13
	v_or_b32_e32 v12, 32, v22
	v_xor_b32_e32 v12, v21, v12
	v_or_b32_e32 v13, 0x440, v12
	v_cndmask_b32_e32 v12, v13, v12, vcc
	v_or_b32_e32 v12, v12, v11
	v_xor_b32_e32 v13, v12, v17
	v_or_b32_e32 v12, 64, v22
	v_xor_b32_e32 v12, v21, v12
	v_xor_b32_e32 v25, 0x440, v12
	v_cndmask_b32_e32 v12, v25, v12, vcc
	v_or_b32_e32 v12, v12, v11
	v_xor_b32_e32 v25, v12, v17
	v_or_b32_e32 v12, 0x60, v22
	v_xor_b32_e32 v12, v21, v12
	v_xor_b32_e32 v21, 0x440, v12
	v_cndmask_b32_e32 v12, v21, v12, vcc
	v_or_b32_e32 v11, v12, v11
	v_lshlrev_b32_e32 v7, 1, v7
	v_or_b32_e32 v6, s30, v45
	v_xor_b32_e32 v11, v11, v17
	v_or_b32_e32 v85, 0xa000, v7
	v_or_b32_e32 v90, 0xa080, v7
	;; [unrolled: 1-line block ×4, first 2 shown]
	v_lshlrev_b32_e32 v8, 7, v65
	v_ashrrev_i32_e32 v7, 31, v6
	v_or_b32_e32 v16, 0x100, v3
	v_lshlrev_b32_e32 v18, 7, v10
	v_or_b32_e32 v10, v9, v1
	v_add_u32_e32 v24, v20, v23
	v_add_u32_e32 v19, v20, v13
	;; [unrolled: 1-line block ×4, first 2 shown]
	v_or3_b32 v12, v1, v9, 64
	v_add_u32_e32 v9, 0x4000, v23
	v_add_u32_e32 v13, 0x4000, v13
	;; [unrolled: 1-line block ×4, first 2 shown]
	v_cndmask_b32_e64 v98, v14, v3, s[2:3]
	v_cndmask_b32_e64 v99, v15, v16, s[2:3]
	v_lshl_add_u64 v[56:57], v[6:7], 1, s[8:9]
	v_lshl_add_u64 v[58:59], v[4:5], 0, v[50:51]
	s_mov_b32 s31, 0x7060302
	v_lshlrev_b32_e32 v50, 1, v8
	v_lshlrev_b32_e32 v101, 2, v10
	v_add_u32_e32 v102, v24, v18
	v_add_u32_e32 v103, v19, v18
	;; [unrolled: 1-line block ×4, first 2 shown]
	v_lshlrev_b32_e32 v106, 2, v12
	v_add_u32_e32 v107, v9, v18
	v_add_u32_e32 v108, v13, v18
	;; [unrolled: 1-line block ×4, first 2 shown]
	v_mov_b32_e32 v83, v51
	v_mov_b32_e32 v82, v51
	;; [unrolled: 1-line block ×4, first 2 shown]
	s_waitcnt lgkmcnt(0)
	s_barrier
.LBB456_6:                              ; =>This Inner Loop Header: Depth=1
	s_add_i32 s59, s58, 1
	s_cmp_lt_i32 s59, s45
	s_mov_b64 s[24:25], 0
	s_cselect_b64 s[2:3], -1, 0
	s_cmp_ge_i32 s59, s45
	s_mov_b64 s[20:21], 0
	s_cbranch_scc1 .LBB456_8
; %bb.7:                                ;   in Loop: Header=BB456_6 Depth=1
	s_add_i32 s0, s52, 64
	s_ashr_i32 s1, s0, 31
	s_add_u32 s0, s49, s0
	s_addc_u32 s1, s48, s1
	s_lshl_b64 s[0:1], s[0:1], 8
	s_add_u32 s20, s6, s0
	s_addc_u32 s21, s7, s1
.LBB456_8:                              ;   in Loop: Header=BB456_6 Depth=1
	v_cndmask_b32_e64 v2, 0, 1, s[2:3]
	v_cmp_ne_u32_e64 s[0:1], 1, v2
	s_andn2_b64 vcc, exec, s[2:3]
	s_cbranch_vccnz .LBB456_10
; %bb.9:                                ;   in Loop: Header=BB456_6 Depth=1
	s_add_i32 s2, s52, 64
	s_mul_hi_i32 s3, s2, s14
	s_mul_i32 s2, s2, s14
	s_add_u32 s2, s2, s50
	s_addc_u32 s3, s3, s54
	s_lshl_b64 s[2:3], s[2:3], 8
	s_add_u32 s24, s4, s2
	s_addc_u32 s25, s5, s3
.LBB456_10:                             ;   in Loop: Header=BB456_6 Depth=1
	v_perm_b32 v3, v55, v54, s31
	v_perm_b32 v2, v53, v52, s31
	;; [unrolled: 1-line block ×4, first 2 shown]
	ds_write_b64 v73, v[2:3]
	ds_write_b64 v74, v[4:5]
	ds_write_b64 v77, v[2:3]
	ds_write_b64 v78, v[4:5]
	v_perm_b32 v3, v113, v88, s31
	v_perm_b32 v2, v86, v87, s31
	;; [unrolled: 1-line block ×4, first 2 shown]
	ds_write_b64 v75, v[2:3]
	ds_write_b64 v76, v[4:5]
	;; [unrolled: 1-line block ×4, first 2 shown]
	s_waitcnt lgkmcnt(0)
	s_barrier
	ds_read_b64 v[6:7], v81 offset:24576
	ds_read2_b64 v[2:5], v85 offset1:16
	ds_read_b64 v[10:11], v90 offset:3072
	ds_read_b64 v[12:13], v85 offset:3072
	;; [unrolled: 1-line block ×3, first 2 shown]
	s_waitcnt lgkmcnt(3)
	v_mfma_f32_16x16x16_bf16 a[0:3], v[6:7], v[2:3], 0
	s_add_i32 s60, s52, 63
	s_ashr_i32 s2, s60, 31
	s_mul_i32 s3, s60, s29
	v_mfma_f32_16x16x16_bf16 a[4:7], v[6:7], v[4:5], 0
	ds_read2st64_b64 v[2:5], v85 offset0:2 offset1:4
	s_mul_hi_u32 s27, s60, s28
	s_add_i32 s3, s27, s3
	s_waitcnt lgkmcnt(0)
	v_mfma_f32_16x16x16_bf16 a[0:3], v[14:15], v[2:3], a[0:3]
	ds_read2st64_b64 v[6:9], v90 offset0:2 offset1:4
	ds_read_b64 v[2:3], v91 offset:24576
	s_mul_i32 s2, s2, s28
	s_add_i32 s3, s3, s2
	s_waitcnt lgkmcnt(1)
	v_mfma_f32_16x16x16_bf16 a[4:7], v[14:15], v[6:7], a[4:7]
	ds_read_b64 v[6:7], v92 offset:24576
	s_mul_i32 s2, s60, s28
	s_lshl_b64 s[2:3], s[2:3], 2
	s_waitcnt lgkmcnt(1)
	v_mfma_f32_16x16x16_bf16 a[0:3], v[2:3], v[4:5], a[0:3]
	s_add_u32 s2, s40, s2
	s_addc_u32 s3, s41, s3
	s_and_b64 vcc, exec, s[0:1]
	v_mfma_f32_16x16x16_bf16 a[4:7], v[2:3], v[8:9], a[4:7]
	v_mov_b32_e32 v116, 0
	v_mov_b32_e32 v115, 0
	;; [unrolled: 1-line block ×3, first 2 shown]
	s_waitcnt lgkmcnt(0)
	v_mfma_f32_16x16x16_bf16 a[0:3], v[6:7], v[12:13], a[0:3]
	v_mov_b32_e32 v2, 0
	v_mov_b32_e32 v3, 0
	;; [unrolled: 1-line block ×3, first 2 shown]
	v_mfma_f32_16x16x16_bf16 a[4:7], v[6:7], v[10:11], a[4:7]
	v_mov_b32_e32 v5, 0
	v_mov_b32_e32 v6, 0
	;; [unrolled: 1-line block ×13, first 2 shown]
	s_cbranch_vccnz .LBB456_12
; %bb.11:                               ;   in Loop: Header=BB456_6 Depth=1
	s_and_b32 s21, s21, 0xffff
	buffer_load_dwordx4 v[14:17], v69, s[20:23], 0 offen
	buffer_load_dwordx4 v[10:13], v69, s[20:23], s55 offen
	;; [unrolled: 1-line block ×4, first 2 shown]
	v_mov_b32_e32 v115, v71
	v_mov_b32_e32 v114, v72
.LBB456_12:                             ;   in Loop: Header=BB456_6 Depth=1
	ds_read_b64 v[22:23], v81 offset:32768
	ds_read2_b64 v[18:21], v93 offset1:16
	ds_read_b64 v[26:27], v89 offset:32768
	ds_read_b64 v[28:29], v91 offset:32768
	;; [unrolled: 1-line block ×3, first 2 shown]
	v_add_u32_e32 v32, s52, v100
	s_waitcnt lgkmcnt(3)
	v_mfma_f32_16x16x16_bf16 a[0:3], v[22:23], v[18:19], a[0:3]
	v_mul_lo_u32 v33, v32, s29
	v_mov_b32_e32 v117, 0
	v_mfma_f32_16x16x16_bf16 a[4:7], v[22:23], v[20:21], a[4:7]
	ds_read2st64_b64 v[18:21], v93 offset0:2 offset1:4
	ds_read2st64_b64 v[22:25], v94 offset0:2 offset1:4
	s_waitcnt lgkmcnt(1)
	v_mfma_f32_16x16x16_bf16 a[0:3], v[26:27], v[18:19], a[0:3]
	v_ashrrev_i32_e32 v18, 31, v32
	v_mul_lo_u32 v34, v18, s28
	v_mad_u64_u32 v[18:19], s[20:21], v32, s28, 0
	v_mfma_f32_16x16x16_bf16 a[0:3], v[28:29], v[20:21], a[0:3]
	v_add_u32_e32 v20, 1, v32
	v_ashrrev_i32_e32 v21, 31, v20
	v_add3_u32 v19, v19, v33, v34
	s_waitcnt lgkmcnt(0)
	v_mfma_f32_16x16x16_bf16 a[4:7], v[26:27], v[22:23], a[4:7]
	v_mul_lo_u32 v22, v21, s28
	v_mul_lo_u32 v23, v20, s29
	v_mad_u64_u32 v[20:21], s[20:21], v20, s28, 0
	v_add3_u32 v21, v21, v23, v22
	v_add_u32_e32 v22, 2, v32
	v_ashrrev_i32_e32 v23, 31, v22
	v_mul_lo_u32 v26, v23, s28
	v_mul_lo_u32 v27, v22, s29
	v_mad_u64_u32 v[22:23], s[20:21], v22, s28, 0
	v_add3_u32 v23, v23, v27, v26
	v_add_u32_e32 v26, 3, v32
	v_ashrrev_i32_e32 v27, 31, v26
	v_mul_lo_u32 v32, v27, s28
	v_mul_lo_u32 v33, v26, s29
	v_mad_u64_u32 v[26:27], s[20:21], v26, s28, 0
	v_add3_u32 v27, v27, v33, v32
	s_ashr_i32 s21, s52, 31
	v_lshl_add_u64 v[18:19], v[18:19], 2, s[40:41]
	v_lshl_add_u64 v[26:27], v[26:27], 2, s[40:41]
	s_add_u32 s20, s49, s52
	v_lshl_add_u64 v[20:21], v[20:21], 2, s[40:41]
	v_lshl_add_u64 v[22:23], v[22:23], 2, s[40:41]
	global_load_dword v32, v[18:19], off
	global_load_dword v33, v[20:21], off
	;; [unrolled: 1-line block ×3, first 2 shown]
	s_nop 0
	global_load_dword v26, v[26:27], off
	s_addc_u32 s21, s48, s21
	s_lshl_b64 s[20:21], s[20:21], 8
	v_lshl_add_u64 v[18:19], v[56:57], 0, s[20:21]
	v_lshl_add_u64 v[18:19], v[18:19], 0, v[50:51]
	global_load_ushort v27, v[18:19], off offset:256
	global_load_ushort v35, v[18:19], off
	global_load_ushort v36, v[18:19], off offset:768
	global_load_ushort v37, v[18:19], off offset:512
	ds_read_b64 v[20:21], v93 offset:3072
	ds_read_b64 v[22:23], v94 offset:3072
	global_load_ushort v38, v[18:19], off offset:800
	global_load_ushort v39, v[18:19], off offset:544
	;; [unrolled: 1-line block ×4, first 2 shown]
	s_load_dword s2, s[2:3], 0x0
	v_mfma_f32_16x16x16_bf16 a[4:7], v[28:29], v[24:25], a[4:7]
	s_and_b64 vcc, exec, s[0:1]
	s_waitcnt vmcnt(11) lgkmcnt(0)
	v_sub_f32_e32 v24, s2, v32
	v_mfma_f32_16x16x16_bf16 a[0:3], v[30:31], v[20:21], a[0:3]
	s_waitcnt vmcnt(10)
	v_sub_f32_e32 v29, s2, v33
	v_mul_f32_e32 v28, 0x3fb8aa3b, v24
	v_mul_f32_e32 v29, 0x3fb8aa3b, v29
	v_mfma_f32_16x16x16_bf16 a[4:7], v[30:31], v[22:23], a[4:7]
	s_waitcnt vmcnt(9)
	v_sub_f32_e32 v30, s2, v34
	s_waitcnt vmcnt(8)
	v_sub_f32_e32 v31, s2, v26
	v_mul_f32_e32 v30, 0x3fb8aa3b, v30
	v_mul_f32_e32 v31, 0x3fb8aa3b, v31
	v_exp_f32_e32 v28, v28
	v_exp_f32_e32 v29, v29
	;; [unrolled: 1-line block ×4, first 2 shown]
	v_accvgpr_read_b32 v23, a1
	v_accvgpr_read_b32 v19, a3
	;; [unrolled: 1-line block ×4, first 2 shown]
	s_waitcnt vmcnt(7)
	v_lshlrev_b32_e32 v25, 16, v27
	s_waitcnt vmcnt(6)
	v_lshlrev_b32_e32 v24, 16, v35
	;; [unrolled: 2-line block ×4, first 2 shown]
	v_pk_add_f32 v[22:23], v[24:25], v[22:23] neg_lo:[0,1] neg_hi:[0,1]
	v_pk_add_f32 v[18:19], v[26:27], v[18:19] neg_lo:[0,1] neg_hi:[0,1]
	v_pk_mul_f32 v[22:23], v[28:29], v[22:23]
	v_pk_mul_f32 v[18:19], v[30:31], v[18:19]
	v_accvgpr_read_b32 v25, a5
	v_perm_b32 v19, v19, v18, s31
	v_perm_b32 v18, v23, v22, s31
	s_waitcnt vmcnt(1)
	v_lshlrev_b32_e32 v23, 16, v40
	s_waitcnt vmcnt(0)
	v_lshlrev_b32_e32 v22, 16, v41
	v_accvgpr_read_b32 v24, a4
	v_accvgpr_read_b32 v21, a7
	;; [unrolled: 1-line block ×3, first 2 shown]
	v_pk_add_f32 v[22:23], v[22:23], v[24:25] neg_lo:[0,1] neg_hi:[0,1]
	v_lshlrev_b32_e32 v25, 16, v38
	v_lshlrev_b32_e32 v24, 16, v39
	v_pk_add_f32 v[20:21], v[24:25], v[20:21] neg_lo:[0,1] neg_hi:[0,1]
	v_pk_mul_f32 v[22:23], v[28:29], v[22:23]
	v_pk_mul_f32 v[20:21], v[30:31], v[20:21]
	v_mov_b32_e32 v24, 0
	v_perm_b32 v21, v21, v20, s31
	v_perm_b32 v20, v23, v22, s31
	ds_write2_b64 v74, v[18:19], v[20:21] offset1:16
	v_mov_b32_e32 v18, 0
	v_mov_b32_e32 v19, 0
	;; [unrolled: 1-line block ×15, first 2 shown]
	s_cbranch_vccnz .LBB456_14
; %bb.13:                               ;   in Loop: Header=BB456_6 Depth=1
	s_and_b32 s25, s25, 0xffff
	s_mov_b32 s27, s23
	buffer_load_dwordx4 v[30:33], v98, s[24:27], 0 offen
	buffer_load_dwordx4 v[22:25], v98, s[24:27], s55 offen
	;; [unrolled: 1-line block ×4, first 2 shown]
	v_mov_b32_e32 v116, v68
	v_mov_b32_e32 v117, v67
.LBB456_14:                             ;   in Loop: Header=BB456_6 Depth=1
	s_waitcnt lgkmcnt(0)
	s_barrier
	ds_read_b64 v[38:39], v102
	ds_read_b64 v[122:123], v97
	;; [unrolled: 1-line block ×5, first 2 shown]
	ds_read_b64 v[136:137], v94 offset:3072
	ds_read2_b64 v[34:37], v93 offset0:16 offset1:128
	s_waitcnt lgkmcnt(5)
	v_mfma_f32_16x16x16_bf16 a[0:3], v[38:39], v[122:123], 0
	ds_read2st64_b64 v[40:43], v94 offset0:2 offset1:4
	s_add_i32 s3, s46, s58
	s_mul_hi_i32 s21, s3, s51
	s_waitcnt lgkmcnt(1)
	v_mfma_f32_16x16x16_bf16 a[4:7], v[38:39], v[34:35], 0
	ds_read_b64 v[38:39], v107
	s_mul_i32 s3, s3, s51
	s_add_u32 s20, s3, s33
	s_waitcnt lgkmcnt(1)
	v_mfma_f32_16x16x16_bf16 a[4:7], v[124:125], v[40:41], a[4:7]
	s_addc_u32 s21, s21, s53
	s_lshl_b64 s[20:21], s[20:21], 15
	s_mul_i32 s24, s60, s51
	s_mul_hi_i32 s3, s60, s51
	s_add_u32 s24, s24, s33
	v_mfma_f32_16x16x16_bf16 a[8:11], v[126:127], v[42:43], a[4:7]
	s_addc_u32 s25, s3, s53
	ds_read2st64_b64 v[118:121], v93 offset0:4 offset1:6
	s_lshl_b64 s[24:25], s[24:25], 9
	s_waitcnt lgkmcnt(1)
	v_mfma_f32_16x16x16_bf16 a[4:7], v[38:39], v[122:123], 0
	s_add_u32 s24, s38, s24
	s_addc_u32 s25, s39, s25
	v_mfma_f32_16x16x16_bf16 a[0:3], v[124:125], v[36:37], a[0:3]
	ds_read_b64 v[124:125], v108
	ds_read_b64 v[132:133], v109
	;; [unrolled: 1-line block ×3, first 2 shown]
	v_mfma_f32_16x16x16_bf16 a[12:15], v[38:39], v[34:35], 0
	s_waitcnt lgkmcnt(2)
	v_mfma_f32_16x16x16_bf16 a[4:7], v[124:125], v[36:37], a[4:7]
	global_load_dwordx4 v[34:37], v106, s[24:25]
	v_mfma_f32_16x16x16_bf16 a[12:15], v[124:125], v[40:41], a[12:15]
	global_load_dwordx4 v[38:41], v101, s[24:25]
	ds_read2st64_b64 v[122:125], v95 offset1:8
	s_waitcnt lgkmcnt(0)
	v_mov_b32_e32 v130, v122
	v_mfma_f32_16x16x16_bf16 a[0:3], v[126:127], v[118:119], a[0:3]
	ds_read2st64_b64 v[126:129], v96 offset1:8
	v_mov_b32_e32 v131, v123
	v_mfma_f32_16x16x16_bf16 a[16:19], v[132:133], v[118:119], a[4:7]
	v_lshl_add_u64 v[118:119], v[58:59], 0, s[20:21]
	v_mfma_f32_16x16x16_bf16 a[20:23], v[132:133], v[42:43], a[12:15]
	v_add_co_u32_e32 v42, vcc, s17, v118
	s_waitcnt lgkmcnt(0)
	v_mov_b32_e32 v132, v126
	v_mfma_f32_16x16x16_bf16 a[4:7], v[134:135], v[120:121], a[0:3]
	v_mov_b32_e32 v133, v127
	v_mov_b32_e32 v126, v124
	;; [unrolled: 1-line block ×3, first 2 shown]
	v_mfma_f32_16x16x16_bf16 a[8:11], v[134:135], v[136:137], a[8:11]
	v_addc_co_u32_e32 v43, vcc, 0, v119, vcc
	global_store_dwordx4 v[42:43], v[126:129], off
	v_mfma_f32_16x16x16_bf16 a[12:15], v[138:139], v[120:121], a[16:19]
	s_and_b64 vcc, exec, s[0:1]
	global_store_dwordx4 v[118:119], v[130:133], off
	s_waitcnt vmcnt(3)
	v_mov_b32_e32 v44, v37
	v_mfma_f32_16x16x16_bf16 a[0:3], v[138:139], v[136:137], a[20:23]
	v_mov_b32_e32 v43, v36
	v_mov_b32_e32 v42, v35
	s_cbranch_vccnz .LBB456_16
; %bb.15:                               ;   in Loop: Header=BB456_6 Depth=1
	v_lshrrev_b32_e32 v35, 3, v116
	v_and_b32_e32 v35, 6, v35
	v_xor_b32_e32 v36, v35, v117
	v_lshlrev_b32_e32 v36, 2, v36
	v_and_b32_e32 v37, 8, v116
	v_xor_b32_e32 v116, 0x440, v36
	v_cmp_eq_u32_e32 vcc, 0, v37
	v_perm_b32 v37, v22, v18, s56
	s_nop 0
	v_cndmask_b32_e32 v36, v116, v36, vcc
	v_lshl_or_b32 v35, v35, 10, v36
	v_perm_b32 v36, v30, v26, s56
	s_barrier
	ds_write2st64_b32 v35, v36, v37 offset0:32 offset1:64
	v_xor_b32_e32 v36, 8, v35
	v_perm_b32 v26, v30, v26, s57
	v_perm_b32 v18, v22, v18, s57
	v_add_u32_e32 v22, 0x80, v36
	ds_write2st64_b32 v22, v26, v18 offset0:32 offset1:64
	v_xor_b32_e32 v18, 16, v35
	v_perm_b32 v22, v31, v27, s56
	v_perm_b32 v26, v23, v19, s56
	ds_write2st64_b32 v18, v22, v26 offset0:33 offset1:65
	v_xor_b32_e32 v18, 24, v35
	v_perm_b32 v22, v31, v27, s57
	v_perm_b32 v19, v23, v19, s57
	v_add_u32_e32 v18, 0x80, v18
	ds_write2st64_b32 v18, v22, v19 offset0:33 offset1:65
	v_xor_b32_e32 v18, 32, v35
	v_perm_b32 v19, v32, v28, s56
	v_perm_b32 v22, v24, v20, s56
	;; [unrolled: 9-line block ×3, first 2 shown]
	ds_write2st64_b32 v18, v19, v20 offset0:35 offset1:67
	v_xor_b32_e32 v18, 56, v35
	v_perm_b32 v19, v33, v29, s57
	v_perm_b32 v20, v25, v21, s57
	v_add_u32_e32 v18, 0x80, v18
	ds_write2st64_b32 v18, v19, v20 offset0:35 offset1:67
	ds_write_b64 v115, v[14:15] offset:24576
	v_xor_b32_e32 v14, 8, v115
	ds_write_b64 v14, v[16:17] offset:24576
	ds_write_b64 v115, v[10:11] offset:32768
	;; [unrolled: 1-line block ×4, first 2 shown]
	v_xor_b32_e32 v6, 8, v114
	ds_write_b64 v6, v[8:9] offset:24576
	ds_write_b64 v114, v[2:3] offset:32768
	;; [unrolled: 1-line block ×3, first 2 shown]
.LBB456_16:                             ;   in Loop: Header=BB456_6 Depth=1
	v_mul_f32_e32 v2, s2, v111
	v_exp_f32_e32 v18, v2
	s_waitcnt vmcnt(2)
	v_mul_f32_e32 v2, 0x3fb8aa3b, v38
	v_exp_f32_e32 v20, v2
	v_mul_f32_e32 v2, 0x3fb8aa3b, v39
	v_exp_f32_e32 v21, v2
	;; [unrolled: 2-line block ×4, first 2 shown]
	v_accvgpr_read_b32 v13, a7
	v_accvgpr_read_b32 v11, a5
	;; [unrolled: 1-line block ×4, first 2 shown]
	v_pk_mul_f32 v[20:21], v[18:19], v[20:21] op_sel_hi:[0,1]
	v_accvgpr_read_b32 v8, a10
	v_pk_fma_f32 v[52:53], v[52:53], v[20:21], v[10:11]
	v_pk_mul_f32 v[10:11], v[18:19], v[22:23] op_sel_hi:[0,1]
	v_accvgpr_read_b32 v12, a6
	v_accvgpr_read_b32 v7, a9
	v_fma_f32 v88, v88, v10, v8
	v_mul_f32_e32 v8, 0x3fb8aa3b, v43
	v_pk_fma_f32 v[54:55], v[54:55], v[10:11], v[12:13]
	v_fma_f32 v87, v87, v20, v6
	v_fma_f32 v86, v86, v21, v7
	v_mul_f32_e32 v6, 0x3fb8aa3b, v34
	v_mul_f32_e32 v7, 0x3fb8aa3b, v42
	v_exp_f32_e32 v12, v8
	v_mul_f32_e32 v8, 0x3fb8aa3b, v44
	v_exp_f32_e32 v6, v6
	v_exp_f32_e32 v7, v7
	;; [unrolled: 1-line block ×3, first 2 shown]
	v_accvgpr_read_b32 v9, a11
	v_accvgpr_read_b32 v17, a15
	;; [unrolled: 1-line block ×9, first 2 shown]
	v_fmac_f32_e32 v9, v113, v11
	v_pk_mul_f32 v[6:7], v[18:19], v[6:7] op_sel_hi:[0,1]
	v_pk_mul_f32 v[10:11], v[18:19], v[12:13] op_sel_hi:[0,1]
	s_add_i32 s52, s52, 64
	v_pk_fma_f32 v[46:47], v[46:47], v[6:7], v[14:15]
	v_pk_fma_f32 v[48:49], v[48:49], v[10:11], v[16:17]
	v_fma_f32 v83, v83, v6, v2
	v_fma_f32 v82, v82, v7, v3
	;; [unrolled: 1-line block ×3, first 2 shown]
	s_cmp_eq_u32 s45, s59
	v_fmac_f32_e32 v5, v112, v11
	s_cbranch_scc1 .LBB456_18
; %bb.17:                               ;   in Loop: Header=BB456_6 Depth=1
	s_mov_b32 s58, s59
	v_mov_b32_e32 v113, v9
	v_mov_b32_e32 v112, v5
	s_branch .LBB456_6
.LBB456_18:
	s_lshl_b32 s0, s45, 6
	s_sub_i32 s40, s47, s0
	s_cmp_gt_i32 s40, 0
	s_cbranch_scc0 .LBB456_83
; %bb.19:
	s_add_i32 s34, s0, s34
	s_ashr_i32 s2, s34, 31
	s_cmpk_lg_i32 s15, 0x80
	s_cselect_b64 s[26:27], -1, 0
	s_and_b64 vcc, exec, s[26:27]
	s_cbranch_vccz .LBB456_21
; %bb.20:
	s_mul_i32 s1, s34, s14
	s_ashr_i32 s3, s50, 31
	s_mul_hi_i32 s0, s34, s14
	s_add_u32 s38, s1, s50
	s_addc_u32 s39, s0, s3
	s_cbranch_execz .LBB456_22
	s_branch .LBB456_23
.LBB456_21:
                                        ; implicit-def: $sgpr38_sgpr39
.LBB456_22:
	s_mul_i32 s1, s50, s12
	s_mul_hi_i32 s0, s50, s12
	s_add_u32 s38, s1, s34
	s_addc_u32 s39, s0, s2
.LBB456_23:
	s_add_i32 s3, s45, s46
	s_ashr_i32 s12, s33, 31
	s_add_u32 s0, s49, s34
	v_lshlrev_b32_e32 v8, 5, v65
	v_lshlrev_b32_e32 v22, 2, v45
	s_addc_u32 s1, s48, s2
	s_mov_b32 s2, 0x7060302
	v_or_b32_e32 v11, v8, v22
	v_xor_b32_e32 v4, v65, v22
	v_perm_b32 v3, v55, v54, s2
	v_perm_b32 v2, v53, v52, s2
	;; [unrolled: 1-line block ×4, first 2 shown]
	v_lshlrev_b32_e32 v11, 1, v11
	s_lshl_b64 s[24:25], s[0:1], 8
	v_xor_b32_e32 v10, v66, v22
	ds_write2st64_b64 v11, v[2:3], v[6:7] offset0:80 offset1:88
	v_lshlrev_b32_e32 v11, 1, v4
	v_lshlrev_b32_e32 v4, 8, v45
	s_add_u32 s0, s6, s24
	v_or_b32_e32 v12, v11, v4
	v_lshlrev_b32_e32 v10, 1, v10
	s_addc_u32 s1, s7, s25
	ds_write_b64 v12, v[2:3]
	v_or_b32_e32 v2, v10, v4
	s_mul_hi_i32 s6, s3, s13
	s_mul_i32 s3, s3, s13
	ds_write_b64 v2, v[6:7]
	v_perm_b32 v3, v9, v88, s2
	v_perm_b32 v2, v86, v87, s2
	;; [unrolled: 1-line block ×4, first 2 shown]
	v_or_b32_e32 v6, 16, v45
	s_add_u32 s2, s3, s33
	v_lshlrev_b32_e32 v19, 2, v6
	s_addc_u32 s3, s6, s12
	v_or_b32_e32 v7, v8, v19
	s_ashr_i32 s31, s30, 31
	s_lshl_b64 s[2:3], s[2:3], 15
	v_lshlrev_b32_e32 v7, 1, v7
	v_lshlrev_b32_e32 v6, 8, v6
	s_add_u32 s6, s36, s2
	ds_write2st64_b64 v7, v[2:3], v[4:5] offset0:80 offset1:88
	v_or_b32_e32 v7, v11, v6
	s_addc_u32 s7, s37, s3
	s_lshl_b64 s[2:3], s[30:31], 8
	ds_write_b64 v7, v[2:3]
	v_or_b32_e32 v2, v10, v6
	s_add_u32 s2, s6, s2
	ds_write_b64 v2, v[4:5]
	v_lshrrev_b32_e32 v2, 4, v0
	s_addc_u32 s3, s7, s3
	v_lshlrev_b32_e32 v3, 1, v45
	v_lshlrev_b32_e32 v10, 4, v45
	v_mov_b32_e32 v11, 0
	v_or_b32_e32 v4, 1, v3
	v_xor_b32_e32 v3, v2, v3
	v_lshl_add_u64 v[12:13], s[2:3], 0, v[10:11]
	v_lshlrev_b32_e32 v10, 8, v2
	v_xor_b32_e32 v6, v4, v2
	v_lshl_or_b32 v2, v3, 3, v10
	s_waitcnt lgkmcnt(0)
	s_barrier
	ds_read2st64_b64 v[2:5], v2 offset1:8
	v_lshl_or_b32 v6, v6, 3, v10
	ds_read2st64_b64 v[6:9], v6 offset1:8
	v_lshl_add_u64 v[14:15], v[12:13], 0, v[10:11]
	s_movk_i32 s2, 0x1000
	s_waitcnt lgkmcnt(1)
	v_mov_b32_e32 v10, v2
	v_add_co_u32_e32 v2, vcc, s2, v14
	s_cmp_lg_u32 s40, 64
	v_mov_b32_e32 v11, v3
	v_addc_co_u32_e32 v3, vcc, 0, v15, vcc
	s_cselect_b64 s[6:7], -1, 0
	v_lshl_or_b32 v23, v61, 3, v64
	s_waitcnt lgkmcnt(0)
	v_mov_b32_e32 v12, v6
	v_mov_b32_e32 v13, v7
	;; [unrolled: 1-line block ×4, first 2 shown]
	s_mov_b32 s20, 0
	v_or_b32_e32 v20, 32, v23
	v_and_b32_e32 v18, 56, v63
	s_and_b64 vcc, exec, s[6:7]
	global_store_dwordx4 v[14:15], v[10:13], off
	global_store_dwordx4 v[2:3], v[6:9], off
	s_cbranch_vccz .LBB456_29
; %bb.24:
	s_mov_b32 s21, s20
	s_mov_b32 s22, s20
	;; [unrolled: 1-line block ×3, first 2 shown]
	v_mov_b64_e32 v[6:7], s[20:21]
	v_mov_b64_e32 v[8:9], s[22:23]
	;; [unrolled: 1-line block ×3, first 2 shown]
	v_cmp_gt_i32_e32 vcc, s40, v23
	v_mov_b64_e32 v[4:5], v[8:9]
	s_and_saveexec_b64 s[2:3], vcc
	s_cbranch_execz .LBB456_26
; %bb.25:
	v_lshlrev_b32_e32 v2, 8, v23
	v_mov_b32_e32 v3, 0
	v_lshl_add_u64 v[4:5], s[0:1], 0, v[2:3]
	v_lshlrev_b32_e32 v2, 1, v18
	v_lshl_add_u64 v[10:11], v[4:5], 0, v[2:3]
	global_load_dwordx4 v[6:9], v[10:11], off
	global_load_dwordx4 v[2:5], v[10:11], off offset:128
.LBB456_26:
	s_or_b64 exec, exec, s[2:3]
	s_mov_b32 s21, s20
	s_mov_b32 s22, s20
	;; [unrolled: 1-line block ×3, first 2 shown]
	v_mov_b64_e32 v[14:15], s[20:21]
	v_mov_b64_e32 v[16:17], s[22:23]
	;; [unrolled: 1-line block ×3, first 2 shown]
	v_cmp_gt_i32_e32 vcc, s40, v20
	v_lshlrev_b32_e32 v21, 7, v20
	v_mov_b64_e32 v[12:13], v[16:17]
	s_and_saveexec_b64 s[2:3], vcc
	s_cbranch_execz .LBB456_28
; %bb.27:
	v_lshlrev_b32_e32 v10, 1, v21
	v_mov_b32_e32 v11, 0
	v_lshl_add_u64 v[12:13], s[0:1], 0, v[10:11]
	v_lshlrev_b32_e32 v10, 1, v18
	v_lshl_add_u64 v[24:25], v[12:13], 0, v[10:11]
	global_load_dwordx4 v[14:17], v[24:25], off
	global_load_dwordx4 v[10:13], v[24:25], off offset:128
.LBB456_28:
	s_or_b64 exec, exec, s[2:3]
	v_lshrrev_b32_e32 v24, 3, v18
	v_lshlrev_b32_e32 v25, 3, v23
	v_or_b32_e32 v24, v25, v24
	v_lshlrev_b32_e32 v24, 4, v24
	v_and_b32_e32 v25, 0x78, v25
	v_xor_b32_e32 v24, v24, v25
	s_branch .LBB456_31
.LBB456_29:
                                        ; implicit-def: $vgpr24
                                        ; implicit-def: $vgpr21
                                        ; implicit-def: $vgpr6_vgpr7_vgpr8_vgpr9
                                        ; implicit-def: $vgpr2_vgpr3_vgpr4_vgpr5
                                        ; implicit-def: $vgpr14_vgpr15_vgpr16_vgpr17
                                        ; implicit-def: $vgpr10_vgpr11_vgpr12_vgpr13
	s_cbranch_execz .LBB456_31
; %bb.30:
	s_waitcnt vmcnt(0)
	v_lshlrev_b32_e32 v2, 1, v18
	v_lshl_or_b32 v21, v23, 8, v2
	s_and_b32 s1, s1, 0xffff
	s_mov_b32 s3, 0x20000
	s_movk_i32 s2, 0x4000
	v_lshl_or_b32 v24, v20, 8, v2
	s_movk_i32 s13, 0x80
	buffer_load_dwordx4 v[6:9], v21, s[0:3], 0 offen
	buffer_load_dwordx4 v[2:5], v21, s[0:3], s13 offen
	;; [unrolled: 1-line block ×4, first 2 shown]
	v_lshrrev_b32_e32 v21, 3, v18
	v_lshlrev_b32_e32 v24, 3, v23
	v_or_b32_e32 v21, v24, v21
	v_lshlrev_b32_e32 v21, 4, v21
	v_and_b32_e32 v24, 0x78, v24
	v_xor_b32_e32 v24, v21, v24
	v_lshlrev_b32_e32 v21, 7, v20
.LBB456_31:
	s_lshl_b64 s[0:1], s[38:39], 8
	s_add_u32 s4, s4, s0
	s_movk_i32 s0, 0x1000
	v_and_or_b32 v20, v21, s0, v24
	s_waitcnt vmcnt(1)
	ds_write_b64 v24, v[6:7] offset:24576
	v_xor_b32_e32 v6, 8, v24
	ds_write_b64 v6, v[8:9] offset:24576
	s_waitcnt vmcnt(0)
	ds_write_b64 v24, v[2:3] offset:32768
	ds_write_b64 v6, v[4:5] offset:32768
	;; [unrolled: 1-line block ×3, first 2 shown]
	v_xor_b32_e32 v2, 8, v20
	ds_write_b64 v2, v[16:17] offset:24576
	ds_write_b64 v20, v[10:11] offset:32768
	;; [unrolled: 1-line block ×3, first 2 shown]
	v_or_b32_e32 v2, v1, v45
	v_lshlrev_b32_e32 v3, 11, v61
	v_lshlrev_b32_e32 v2, 3, v2
	v_and_b32_e32 v6, 0x1000, v3
	v_lshrrev_b32_e32 v3, 5, v60
	s_movk_i32 s13, 0xf8
	v_and_or_b32 v3, v2, s13, v3
	v_lshlrev_b32_e32 v7, 4, v3
	v_and_b32_e32 v8, 0x78, v2
	v_or_b32_e32 v10, 32, v7
	v_lshrrev_b32_e32 v3, 1, v60
	v_xor_b32_e32 v10, v10, v8
	v_xor_b32_e32 v2, v7, v8
	v_and_b32_e32 v9, 8, v3
	v_or_b32_e32 v10, v10, v6
	v_or_b32_e32 v2, v2, v6
	v_xor_b32_e32 v26, v10, v9
	v_or_b32_e32 v10, 64, v7
	v_xor_b32_e32 v25, v2, v9
	v_xor_b32_e32 v10, v10, v8
	s_waitcnt lgkmcnt(0)
	s_barrier
	v_or_b32_e32 v12, v10, v6
	ds_read_b64 v[10:11], v25 offset:24576
	v_lshl_or_b32 v20, v62, 7, v22
	v_lshlrev_b32_e32 v24, 1, v20
	v_add_u32_e32 v2, 0xa000, v24
	ds_read2_b64 v[2:5], v2 offset1:16
	v_or_b32_e32 v7, 0x60, v7
	v_xor_b32_e32 v7, v7, v8
	s_waitcnt lgkmcnt(0)
	v_mfma_f32_16x16x16_bf16 a[0:3], v[10:11], v[2:3], 0
	v_or_b32_e32 v2, 64, v20
	v_or_b32_e32 v6, v7, v6
	v_lshlrev_b32_e32 v29, 1, v2
	v_xor_b32_e32 v27, v12, v9
	v_xor_b32_e32 v28, v6, v9
	ds_read_b64 v[12:13], v26 offset:24576
	ds_read_b64 v[14:15], v27 offset:24576
	;; [unrolled: 1-line block ×3, first 2 shown]
	v_mfma_f32_16x16x16_bf16 a[4:7], v[10:11], v[4:5], 0
	ds_read2st64_b64 v[2:5], v29 offset0:82 offset1:84
	ds_read2st64_b64 v[6:9], v24 offset0:82 offset1:84
	s_addc_u32 s5, s5, s1
	s_add_i32 s0, s43, s42
	s_add_i32 s2, s35, -1
	s_add_i32 s17, s0, s44
	s_mul_i32 s0, s33, s19
	s_mul_hi_u32 s1, s33, s18
	s_add_i32 s0, s1, s0
	s_mul_i32 s1, s12, s18
	s_ashr_i32 s3, s2, 31
	s_mul_i32 s12, s2, s29
	s_mul_hi_u32 s13, s2, s28
	s_add_i32 s12, s13, s12
	s_mul_i32 s3, s3, s28
	s_waitcnt lgkmcnt(1)
	v_mfma_f32_16x16x16_bf16 a[4:7], v[12:13], v[2:3], a[4:7]
	s_add_i32 s1, s0, s1
	s_add_i32 s3, s12, s3
	s_lshl_b64 s[12:13], s[16:17], 2
	s_waitcnt lgkmcnt(0)
	v_mfma_f32_16x16x16_bf16 a[0:3], v[12:13], v[6:7], a[0:3]
	s_mul_i32 s0, s33, s18
	s_add_u32 s10, s10, s12
	s_addc_u32 s11, s11, s13
	s_lshl_b64 s[0:1], s[0:1], 2
	s_mul_i32 s2, s2, s28
	s_add_u32 s10, s10, s0
	ds_read_b64 v[2:3], v24 offset:44032
	v_mfma_f32_16x16x16_bf16 a[4:7], v[14:15], v[4:5], a[4:7]
	ds_read_b64 v[4:5], v29 offset:44032
	s_addc_u32 s11, s11, s1
	s_lshl_b64 s[0:1], s[2:3], 2
	v_mfma_f32_16x16x16_bf16 a[0:3], v[14:15], v[8:9], a[0:3]
	s_add_u32 s0, s10, s0
	s_addc_u32 s1, s11, s1
	s_load_dword s12, s[0:1], 0x0
	s_waitcnt lgkmcnt(0)
	v_mfma_f32_16x16x16_bf16 a[0:3], v[16:17], v[2:3], a[0:3]
	s_and_b64 vcc, exec, s[26:27]
	v_mfma_f32_16x16x16_bf16 a[4:7], v[16:17], v[4:5], a[4:7]
	s_cbranch_vccz .LBB456_42
; %bb.32:
	v_lshlrev_b32_e32 v20, 1, v23
	s_and_b64 vcc, exec, s[6:7]
	s_cbranch_vccz .LBB456_43
; %bb.33:
	v_cmp_gt_i32_e32 vcc, s40, v20
	v_mov_b32_e32 v6, 0
	v_mov_b32_e32 v2, 0
	;; [unrolled: 1-line block ×5, first 2 shown]
	s_and_saveexec_b64 s[0:1], vcc
	s_cbranch_execz .LBB456_35
; %bb.34:
	v_mad_i64_i32 v[2:3], s[2:3], s15, v20, 0
	v_lshl_add_u64 v[2:3], v[2:3], 1, s[4:5]
	v_lshlrev_b32_e32 v4, 1, v18
	v_mov_b32_e32 v5, 0
	v_lshl_add_u64 v[2:3], v[2:3], 0, v[4:5]
	global_load_dwordx4 v[2:5], v[2:3], off
.LBB456_35:
	s_or_b64 exec, exec, s[0:1]
	v_or_b32_e32 v21, 1, v20
	v_cmp_gt_i32_e64 s[0:1], s40, v21
	v_mov_b32_e32 v7, 0
	v_mov_b32_e32 v8, 0
	;; [unrolled: 1-line block ×3, first 2 shown]
	s_and_saveexec_b64 s[2:3], s[0:1]
	s_cbranch_execz .LBB456_37
; %bb.36:
	v_mad_i64_i32 v[6:7], s[16:17], s15, v21, 0
	v_lshl_add_u64 v[6:7], v[6:7], 1, s[4:5]
	v_lshlrev_b32_e32 v8, 1, v18
	v_mov_b32_e32 v9, 0
	v_lshl_add_u64 v[6:7], v[6:7], 0, v[8:9]
	global_load_dwordx4 v[6:9], v[6:7], off
.LBB456_37:
	s_or_b64 exec, exec, s[2:3]
	v_mov_b32_e32 v17, 0
	v_mov_b32_e32 v10, 0
	;; [unrolled: 1-line block ×5, first 2 shown]
	s_and_saveexec_b64 s[2:3], vcc
	s_cbranch_execz .LBB456_39
; %bb.38:
	v_mad_i64_i32 v[10:11], s[16:17], s15, v20, 0
	v_lshl_add_u64 v[10:11], v[10:11], 1, s[4:5]
	v_lshlrev_b32_e32 v12, 1, v18
	v_mov_b32_e32 v13, 0
	v_lshl_add_u64 v[10:11], v[10:11], 0, v[12:13]
	global_load_dwordx4 v[10:13], v[10:11], off offset:128
.LBB456_39:
	s_or_b64 exec, exec, s[2:3]
	v_mov_b32_e32 v16, 0
	v_mov_b32_e32 v15, 0
	;; [unrolled: 1-line block ×3, first 2 shown]
	s_and_saveexec_b64 s[2:3], s[0:1]
	s_cbranch_execz .LBB456_41
; %bb.40:
	v_mad_i64_i32 v[14:15], s[0:1], s15, v21, 0
	v_lshl_add_u64 v[14:15], v[14:15], 1, s[4:5]
	v_lshlrev_b32_e32 v16, 1, v18
	v_mov_b32_e32 v17, 0
	v_lshl_add_u64 v[14:15], v[14:15], 0, v[16:17]
	global_load_dwordx4 v[14:17], v[14:15], off offset:128
.LBB456_41:
	s_or_b64 exec, exec, s[2:3]
	s_branch .LBB456_45
.LBB456_42:
                                        ; implicit-def: $vgpr5
                                        ; implicit-def: $vgpr9
                                        ; implicit-def: $vgpr13
                                        ; implicit-def: $vgpr17
	v_lshrrev_b32_e32 v30, 2, v60
	s_branch .LBB456_46
.LBB456_43:
                                        ; implicit-def: $vgpr5
                                        ; implicit-def: $vgpr9
                                        ; implicit-def: $vgpr13
                                        ; implicit-def: $vgpr17
	s_cbranch_execz .LBB456_45
; %bb.44:
	s_waitcnt vmcnt(0)
	v_mad_u64_u32 v[2:3], s[0:1], v20, s15, v[18:19]
	v_lshlrev_b32_e32 v20, 1, v2
	s_lshl_b32 s2, s15, 7
	s_and_b32 s1, s5, 0xffff
	s_mov_b32 s3, 0x20000
	s_mov_b32 s0, s4
	v_add_lshl_u32 v21, v2, s15, 1
	s_movk_i32 s13, 0x80
	buffer_load_dwordx4 v[2:5], v20, s[0:3], 0 offen
	buffer_load_dwordx4 v[10:13], v20, s[0:3], s13 offen
	;; [unrolled: 1-line block ×4, first 2 shown]
.LBB456_45:
	v_lshrrev_b32_e32 v30, 2, v60
	s_cbranch_execnz .LBB456_58
.LBB456_46:
	s_and_b64 vcc, exec, s[6:7]
	s_cbranch_vccz .LBB456_56
; %bb.47:
	s_waitcnt vmcnt(0)
	v_lshlrev_b32_e32 v7, 1, v23
	v_cmp_gt_i32_e32 vcc, s40, v7
	v_mov_b32_e32 v6, 0
	v_lshlrev_b32_e32 v14, 9, v23
	v_mov_b32_e32 v2, 0
	v_mov_b32_e32 v3, 0
	;; [unrolled: 1-line block ×4, first 2 shown]
	s_and_saveexec_b64 s[0:1], vcc
	s_cbranch_execz .LBB456_49
; %bb.48:
	v_mov_b32_e32 v15, 0
	v_lshl_add_u64 v[2:3], s[4:5], 0, v[14:15]
	v_lshlrev_b32_e32 v4, 1, v18
	v_mov_b32_e32 v5, v15
	v_lshl_add_u64 v[2:3], v[2:3], 0, v[4:5]
	global_load_dwordx4 v[2:5], v[2:3], off
.LBB456_49:
	s_or_b64 exec, exec, s[0:1]
	v_or_b32_e32 v7, 1, v7
	v_cmp_gt_i32_e64 s[0:1], s40, v7
	v_lshlrev_b32_e32 v20, 8, v7
	v_mov_b32_e32 v7, 0
	v_mov_b32_e32 v8, 0
	v_mov_b32_e32 v9, 0
	s_and_saveexec_b64 s[2:3], s[0:1]
	s_cbranch_execz .LBB456_51
; %bb.50:
	v_mov_b32_e32 v21, 0
	v_lshl_add_u64 v[6:7], s[4:5], 0, v[20:21]
	v_lshlrev_b32_e32 v8, 1, v18
	v_mov_b32_e32 v9, v21
	v_lshl_add_u64 v[6:7], v[6:7], 0, v[8:9]
	global_load_dwordx4 v[6:9], v[6:7], off
.LBB456_51:
	s_or_b64 exec, exec, s[2:3]
	v_mov_b32_e32 v17, 0
	v_mov_b32_e32 v10, 0
	;; [unrolled: 1-line block ×5, first 2 shown]
	s_and_saveexec_b64 s[2:3], vcc
	s_cbranch_execz .LBB456_53
; %bb.52:
	v_mov_b32_e32 v15, 0
	v_lshl_add_u64 v[10:11], s[4:5], 0, v[14:15]
	v_lshlrev_b32_e32 v14, 1, v18
	v_lshl_add_u64 v[10:11], v[10:11], 0, v[14:15]
	global_load_dwordx4 v[10:13], v[10:11], off offset:128
.LBB456_53:
	s_or_b64 exec, exec, s[2:3]
	v_mov_b32_e32 v16, 0
	v_mov_b32_e32 v15, 0
	;; [unrolled: 1-line block ×3, first 2 shown]
	s_and_saveexec_b64 s[2:3], s[0:1]
	s_cbranch_execz .LBB456_55
; %bb.54:
	v_mov_b32_e32 v21, 0
	v_lshl_add_u64 v[14:15], s[4:5], 0, v[20:21]
	v_lshlrev_b32_e32 v20, 1, v18
	v_lshl_add_u64 v[14:15], v[14:15], 0, v[20:21]
	global_load_dwordx4 v[14:17], v[14:15], off offset:128
.LBB456_55:
	s_or_b64 exec, exec, s[2:3]
	s_branch .LBB456_58
.LBB456_56:
                                        ; implicit-def: $vgpr5
                                        ; implicit-def: $vgpr9
                                        ; implicit-def: $vgpr13
                                        ; implicit-def: $vgpr17
	s_cbranch_execz .LBB456_58
; %bb.57:
	s_waitcnt vmcnt(0)
	v_lshlrev_b32_e32 v2, 1, v18
	v_lshl_or_b32 v18, v23, 9, v2
	s_and_b32 s5, s5, 0xffff
	s_mov_b32 s7, 0x20000
	s_movk_i32 s6, 0x4000
	s_movk_i32 s0, 0x80
	buffer_load_dwordx4 v[2:5], v18, s[4:7], 0 offen
	buffer_load_dwordx4 v[6:9], v18, s[4:7], 0 offen offset:256
	buffer_load_dwordx4 v[10:13], v18, s[4:7], s0 offen
	buffer_load_dwordx4 v[14:17], v18, s[4:7], s0 offen offset:256
.LBB456_58:
	ds_read_b64 v[20:21], v25 offset:32768
	v_add_u32_e32 v18, 0xb000, v24
	ds_read2_b64 v[32:35], v18 offset1:16
	ds_read_b64 v[40:41], v26 offset:32768
	ds_read_b64 v[26:27], v27 offset:32768
	;; [unrolled: 1-line block ×3, first 2 shown]
	v_and_b32_e32 v18, 6, v0
	v_xor_b32_e32 v23, v23, v18
	v_lshlrev_b32_e32 v23, 2, v23
	v_and_b32_e32 v0, 1, v0
	v_xor_b32_e32 v28, 0x440, v23
	v_cmp_eq_u32_e32 vcc, 0, v0
	s_waitcnt lgkmcnt(3)
	v_mfma_f32_16x16x16_bf16 a[0:3], v[20:21], v[32:33], a[0:3]
	s_mov_b32 s0, 0x1000504
	v_cndmask_b32_e32 v0, v28, v23, vcc
	v_lshl_or_b32 v0, v18, 10, v0
	v_mfma_f32_16x16x16_bf16 a[4:7], v[20:21], v[34:35], a[4:7]
	ds_read2st64_b64 v[32:35], v24 offset0:90 offset1:92
	ds_read2st64_b64 v[36:39], v29 offset0:90 offset1:92
	ds_read_b64 v[20:21], v24 offset:48128
	ds_read_b64 v[24:25], v29 offset:48128
	s_waitcnt vmcnt(0)
	v_perm_b32 v18, v2, v6, s0
	s_waitcnt lgkmcnt(3)
	v_mfma_f32_16x16x16_bf16 a[0:3], v[40:41], v[32:33], a[0:3]
	s_mov_b32 s1, 0x3020706
	v_perm_b32 v2, v2, v6, s1
	v_perm_b32 v6, v10, v14, s1
	s_waitcnt lgkmcnt(2)
	v_mfma_f32_16x16x16_bf16 a[4:7], v[40:41], v[36:37], a[4:7]
	v_mfma_f32_16x16x16_bf16 a[0:3], v[26:27], v[34:35], a[0:3]
	;; [unrolled: 1-line block ×3, first 2 shown]
	s_waitcnt lgkmcnt(1)
	v_mfma_f32_16x16x16_bf16 a[4:7], v[42:43], v[20:21], a[0:3]
	v_perm_b32 v20, v10, v14, s0
	ds_write2st64_b32 v0, v18, v20 offset0:32 offset1:64
	v_xor_b32_e32 v18, 8, v0
	v_add_u32_e32 v10, 0x80, v18
	ds_write2st64_b32 v10, v2, v6 offset0:32 offset1:64
	v_xor_b32_e32 v2, 16, v0
	v_perm_b32 v6, v3, v7, s0
	v_perm_b32 v10, v11, v15, s0
	ds_write2st64_b32 v2, v6, v10 offset0:33 offset1:65
	v_xor_b32_e32 v2, 24, v0
	v_perm_b32 v3, v3, v7, s1
	v_perm_b32 v6, v11, v15, s1
	v_add_u32_e32 v2, 0x80, v2
	ds_write2st64_b32 v2, v3, v6 offset0:33 offset1:65
	v_xor_b32_e32 v2, 32, v0
	v_perm_b32 v3, v4, v8, s0
	v_perm_b32 v6, v12, v16, s0
	ds_write2st64_b32 v2, v3, v6 offset0:34 offset1:66
	v_xor_b32_e32 v2, 40, v0
	s_waitcnt lgkmcnt(5)
	v_mfma_f32_16x16x16_bf16 a[0:3], v[42:43], v[24:25], a[8:11]
	v_perm_b32 v3, v4, v8, s1
	v_perm_b32 v4, v12, v16, s1
	v_add_u32_e32 v2, 0x80, v2
	ds_write2st64_b32 v2, v3, v4 offset0:34 offset1:66
	v_xor_b32_e32 v2, 48, v0
	v_perm_b32 v3, v5, v9, s0
	v_perm_b32 v4, v13, v17, s0
	ds_write2st64_b32 v2, v3, v4 offset0:35 offset1:67
	v_xor_b32_e32 v0, 56, v0
	v_perm_b32 v3, v13, v17, s1
	v_and_or_b32 v17, v30, 12, v1
	v_perm_b32 v2, v5, v9, s1
	v_add_u32_e32 v0, 0x80, v0
	v_cmp_gt_i32_e32 vcc, s40, v17
	v_mov_b32_e32 v14, 0
	v_mov_b32_e32 v16, 0
	ds_write2st64_b32 v0, v2, v3 offset0:35 offset1:67
	s_and_saveexec_b64 s[0:1], vcc
	s_cbranch_execz .LBB456_60
; %bb.59:
	v_add_u32_e32 v0, s34, v17
	v_ashrrev_i32_e32 v1, 31, v0
	v_mul_lo_u32 v2, v1, s28
	v_mul_lo_u32 v3, v0, s29
	v_mad_u64_u32 v[0:1], s[2:3], v0, s28, 0
	v_add3_u32 v1, v1, v3, v2
	v_lshl_add_u64 v[0:1], v[0:1], 2, s[10:11]
	global_load_dword v0, v[0:1], off
	s_waitcnt vmcnt(0)
	v_sub_f32_e32 v0, s12, v0
	v_mul_f32_e32 v0, 0x3fb8aa3b, v0
	v_exp_f32_e32 v16, v0
.LBB456_60:
	s_or_b64 exec, exec, s[0:1]
	v_or_b32_e32 v8, 1, v17
	v_cmp_gt_i32_e64 s[0:1], s40, v8
	s_and_saveexec_b64 s[2:3], s[0:1]
	s_cbranch_execz .LBB456_62
; %bb.61:
	v_add_u32_e32 v0, s34, v8
	v_ashrrev_i32_e32 v1, 31, v0
	v_mul_lo_u32 v2, v1, s28
	v_mul_lo_u32 v3, v0, s29
	v_mad_u64_u32 v[0:1], s[4:5], v0, s28, 0
	v_add3_u32 v1, v1, v3, v2
	v_lshl_add_u64 v[0:1], v[0:1], 2, s[10:11]
	global_load_dword v0, v[0:1], off
	s_waitcnt vmcnt(0)
	v_sub_f32_e32 v0, s12, v0
	v_mul_f32_e32 v0, 0x3fb8aa3b, v0
	v_exp_f32_e32 v14, v0
.LBB456_62:
	s_or_b64 exec, exec, s[2:3]
	v_or_b32_e32 v10, 2, v17
	v_cmp_gt_i32_e64 s[2:3], s40, v10
	v_mov_b32_e32 v15, 0
	v_mov_b32_e32 v18, 0
	s_and_saveexec_b64 s[4:5], s[2:3]
	s_cbranch_execz .LBB456_64
; %bb.63:
	v_add_u32_e32 v0, s34, v10
	v_ashrrev_i32_e32 v1, 31, v0
	v_mul_lo_u32 v2, v1, s28
	v_mul_lo_u32 v3, v0, s29
	v_mad_u64_u32 v[0:1], s[6:7], v0, s28, 0
	v_add3_u32 v1, v1, v3, v2
	v_lshl_add_u64 v[0:1], v[0:1], 2, s[10:11]
	global_load_dword v0, v[0:1], off
	s_waitcnt vmcnt(0)
	v_sub_f32_e32 v0, s12, v0
	v_mul_f32_e32 v0, 0x3fb8aa3b, v0
	v_exp_f32_e32 v18, v0
.LBB456_64:
	s_or_b64 exec, exec, s[4:5]
	v_or_b32_e32 v12, 3, v17
	v_cmp_gt_i32_e64 s[4:5], s40, v12
	s_and_saveexec_b64 s[6:7], s[4:5]
	s_cbranch_execz .LBB456_66
; %bb.65:
	v_add_u32_e32 v0, s34, v12
	v_ashrrev_i32_e32 v1, 31, v0
	v_mul_lo_u32 v2, v1, s28
	v_mul_lo_u32 v3, v0, s29
	v_mad_u64_u32 v[0:1], s[14:15], v0, s28, 0
	v_add3_u32 v1, v1, v3, v2
	v_lshl_add_u64 v[0:1], v[0:1], 2, s[10:11]
	global_load_dword v0, v[0:1], off
	s_waitcnt vmcnt(0)
	v_sub_f32_e32 v0, s12, v0
	v_mul_f32_e32 v0, 0x3fb8aa3b, v0
	v_exp_f32_e32 v15, v0
.LBB456_66:
	s_or_b64 exec, exec, s[6:7]
	v_or_b32_e32 v4, s30, v45
	s_add_u32 s6, s8, s24
	v_accvgpr_read_b32 v0, a4
	s_addc_u32 s7, s9, s25
	v_ashrrev_i32_e32 v5, 31, v4
	v_accvgpr_read_b32 v1, a5
	v_accvgpr_read_b32 v2, a6
	;; [unrolled: 1-line block ×3, first 2 shown]
	v_lshl_add_u64 v[4:5], v[4:5], 1, s[6:7]
	v_mov_b32_e32 v9, 0
	v_lshlrev_b32_e32 v6, 8, v17
	v_mov_b32_e32 v7, 0
	s_and_saveexec_b64 s[6:7], vcc
	s_cbranch_execz .LBB456_68
; %bb.67:
	v_mov_b32_e32 v7, 0
	v_lshl_add_u64 v[20:21], v[4:5], 0, v[6:7]
	global_load_ushort v7, v[20:21], off
	s_waitcnt vmcnt(0)
	v_lshlrev_b32_e32 v7, 16, v7
	v_sub_f32_e32 v0, v7, v0
	v_mul_f32_e32 v0, v16, v0
	v_lshrrev_b32_e32 v7, 16, v0
.LBB456_68:
	s_or_b64 exec, exec, s[6:7]
	v_lshlrev_b32_e32 v8, 8, v8
	s_and_saveexec_b64 s[6:7], s[0:1]
	s_cbranch_execz .LBB456_70
; %bb.69:
	v_mov_b32_e32 v9, 0
	v_lshl_add_u64 v[20:21], v[4:5], 0, v[8:9]
	global_load_ushort v0, v[20:21], off
	s_waitcnt vmcnt(0)
	v_lshlrev_b32_e32 v0, 16, v0
	v_sub_f32_e32 v0, v0, v1
	v_mul_f32_e32 v0, v14, v0
	v_lshrrev_b32_e32 v9, 16, v0
.LBB456_70:
	s_or_b64 exec, exec, s[6:7]
	v_mov_b32_e32 v13, 0
	v_lshlrev_b32_e32 v10, 8, v10
	v_mov_b32_e32 v11, 0
	s_and_saveexec_b64 s[6:7], s[2:3]
	s_cbranch_execz .LBB456_72
; %bb.71:
	v_mov_b32_e32 v11, 0
	v_lshl_add_u64 v[0:1], v[4:5], 0, v[10:11]
	global_load_ushort v0, v[0:1], off
	s_waitcnt vmcnt(0)
	v_lshlrev_b32_e32 v0, 16, v0
	v_sub_f32_e32 v0, v0, v2
	v_mul_f32_e32 v0, v18, v0
	v_lshrrev_b32_e32 v11, 16, v0
.LBB456_72:
	s_or_b64 exec, exec, s[6:7]
	v_lshlrev_b32_e32 v12, 8, v12
	s_and_saveexec_b64 s[6:7], s[4:5]
	s_cbranch_execz .LBB456_74
; %bb.73:
	v_mov_b32_e32 v13, 0
	v_lshl_add_u64 v[0:1], v[4:5], 0, v[12:13]
	global_load_ushort v0, v[0:1], off
	s_waitcnt vmcnt(0)
	v_lshlrev_b32_e32 v0, 16, v0
	v_sub_f32_e32 v0, v0, v3
	v_mul_f32_e32 v0, v15, v0
	v_lshrrev_b32_e32 v13, 16, v0
.LBB456_74:
	s_or_b64 exec, exec, s[6:7]
	v_lshlrev_b32_e32 v17, 5, v17
	s_mov_b32 s6, 0x5040100
	v_perm_b32 v20, v9, v7, s6
	v_or_b32_e32 v7, v17, v22
	v_accvgpr_read_b32 v0, a0
	v_perm_b32 v21, v13, v11, s6
	v_lshlrev_b32_e32 v7, 1, v7
	v_accvgpr_read_b32 v1, a1
	v_accvgpr_read_b32 v2, a2
	;; [unrolled: 1-line block ×3, first 2 shown]
	ds_write_b64 v7, v[20:21] offset:45056
	v_mov_b32_e32 v9, 0
	v_mov_b32_e32 v7, 0
	s_and_saveexec_b64 s[6:7], vcc
	s_cbranch_execz .LBB456_76
; %bb.75:
	v_mov_b32_e32 v7, 0
	v_lshl_add_u64 v[6:7], v[4:5], 0, v[6:7]
	global_load_ushort v6, v[6:7], off offset:32
	s_waitcnt vmcnt(0)
	v_lshlrev_b32_e32 v6, 16, v6
	v_sub_f32_e32 v0, v6, v0
	v_mul_f32_e32 v0, v16, v0
	v_lshrrev_b32_e32 v7, 16, v0
.LBB456_76:
	s_or_b64 exec, exec, s[6:7]
	s_and_saveexec_b64 s[6:7], s[0:1]
	s_cbranch_execz .LBB456_78
; %bb.77:
	v_mov_b32_e32 v9, 0
	v_lshl_add_u64 v[8:9], v[4:5], 0, v[8:9]
	global_load_ushort v0, v[8:9], off offset:32
	s_waitcnt vmcnt(0)
	v_lshlrev_b32_e32 v0, 16, v0
	v_sub_f32_e32 v0, v0, v1
	v_mul_f32_e32 v0, v14, v0
	v_lshrrev_b32_e32 v9, 16, v0
.LBB456_78:
	s_or_b64 exec, exec, s[6:7]
	v_mov_b32_e32 v0, 0
	v_mov_b32_e32 v1, 0
	s_and_saveexec_b64 s[0:1], s[2:3]
	s_cbranch_execz .LBB456_80
; %bb.79:
	v_mov_b32_e32 v11, 0
	v_lshl_add_u64 v[10:11], v[4:5], 0, v[10:11]
	global_load_ushort v1, v[10:11], off offset:32
	s_waitcnt vmcnt(0)
	v_lshlrev_b32_e32 v1, 16, v1
	v_sub_f32_e32 v1, v1, v2
	v_mul_f32_e32 v1, v18, v1
	v_lshrrev_b32_e32 v1, 16, v1
.LBB456_80:
	s_or_b64 exec, exec, s[0:1]
	s_and_saveexec_b64 s[0:1], s[4:5]
	s_cbranch_execz .LBB456_82
; %bb.81:
	v_mov_b32_e32 v13, 0
	v_lshl_add_u64 v[4:5], v[4:5], 0, v[12:13]
	global_load_ushort v0, v[4:5], off offset:32
	s_waitcnt vmcnt(0)
	v_lshlrev_b32_e32 v0, 16, v0
	v_sub_f32_e32 v0, v0, v3
	v_mul_f32_e32 v0, v15, v0
	v_lshrrev_b32_e32 v0, 16, v0
.LBB456_82:
	s_or_b64 exec, exec, s[0:1]
	s_mov_b32 s0, 0x5040100
	v_or_b32_e32 v2, v17, v19
	v_perm_b32 v1, v0, v1, s0
	v_perm_b32 v0, v9, v7, s0
	v_lshlrev_b32_e32 v2, 1, v2
	ds_write_b64 v2, v[0:1] offset:45056
	s_waitcnt lgkmcnt(0)
	s_barrier
.LBB456_83:
	s_endpgm
	.section	.rodata,"a",@progbits
	.p2align	6, 0x0
	.amdhsa_kernel _ZN12_GLOBAL__N_139chunk_gated_delta_rule_fwd_h_hip_kernelILi32ELb0ELb0ELb0ELb1ELb0ELb1ELb1ELb0EEEvPK12hip_bfloat16S3_S3_PKfS5_PKvPS1_S8_PvPKiSB_iiiiilll
		.amdhsa_group_segment_fixed_size 49152
		.amdhsa_private_segment_fixed_size 0
		.amdhsa_kernarg_size 136
		.amdhsa_user_sgpr_count 2
		.amdhsa_user_sgpr_dispatch_ptr 0
		.amdhsa_user_sgpr_queue_ptr 0
		.amdhsa_user_sgpr_kernarg_segment_ptr 1
		.amdhsa_user_sgpr_dispatch_id 0
		.amdhsa_user_sgpr_kernarg_preload_length 0
		.amdhsa_user_sgpr_kernarg_preload_offset 0
		.amdhsa_user_sgpr_private_segment_size 0
		.amdhsa_uses_dynamic_stack 0
		.amdhsa_enable_private_segment 0
		.amdhsa_system_sgpr_workgroup_id_x 1
		.amdhsa_system_sgpr_workgroup_id_y 1
		.amdhsa_system_sgpr_workgroup_id_z 0
		.amdhsa_system_sgpr_workgroup_info 0
		.amdhsa_system_vgpr_workitem_id 0
		.amdhsa_next_free_vgpr 164
		.amdhsa_next_free_sgpr 61
		.amdhsa_accum_offset 140
		.amdhsa_reserve_vcc 1
		.amdhsa_float_round_mode_32 0
		.amdhsa_float_round_mode_16_64 0
		.amdhsa_float_denorm_mode_32 3
		.amdhsa_float_denorm_mode_16_64 3
		.amdhsa_dx10_clamp 1
		.amdhsa_ieee_mode 1
		.amdhsa_fp16_overflow 0
		.amdhsa_tg_split 0
		.amdhsa_exception_fp_ieee_invalid_op 0
		.amdhsa_exception_fp_denorm_src 0
		.amdhsa_exception_fp_ieee_div_zero 0
		.amdhsa_exception_fp_ieee_overflow 0
		.amdhsa_exception_fp_ieee_underflow 0
		.amdhsa_exception_fp_ieee_inexact 0
		.amdhsa_exception_int_div_zero 0
	.end_amdhsa_kernel
	.section	.text._ZN12_GLOBAL__N_139chunk_gated_delta_rule_fwd_h_hip_kernelILi32ELb0ELb0ELb0ELb1ELb0ELb1ELb1ELb0EEEvPK12hip_bfloat16S3_S3_PKfS5_PKvPS1_S8_PvPKiSB_iiiiilll,"axG",@progbits,_ZN12_GLOBAL__N_139chunk_gated_delta_rule_fwd_h_hip_kernelILi32ELb0ELb0ELb0ELb1ELb0ELb1ELb1ELb0EEEvPK12hip_bfloat16S3_S3_PKfS5_PKvPS1_S8_PvPKiSB_iiiiilll,comdat
.Lfunc_end456:
	.size	_ZN12_GLOBAL__N_139chunk_gated_delta_rule_fwd_h_hip_kernelILi32ELb0ELb0ELb0ELb1ELb0ELb1ELb1ELb0EEEvPK12hip_bfloat16S3_S3_PKfS5_PKvPS1_S8_PvPKiSB_iiiiilll, .Lfunc_end456-_ZN12_GLOBAL__N_139chunk_gated_delta_rule_fwd_h_hip_kernelILi32ELb0ELb0ELb0ELb1ELb0ELb1ELb1ELb0EEEvPK12hip_bfloat16S3_S3_PKfS5_PKvPS1_S8_PvPKiSB_iiiiilll
                                        ; -- End function
	.section	.AMDGPU.csdata,"",@progbits
; Kernel info:
; codeLenInByte = 8600
; NumSgprs: 67
; NumVgprs: 140
; NumAgprs: 24
; TotalNumVgprs: 164
; ScratchSize: 0
; MemoryBound: 0
; FloatMode: 240
; IeeeMode: 1
; LDSByteSize: 49152 bytes/workgroup (compile time only)
; SGPRBlocks: 8
; VGPRBlocks: 20
; NumSGPRsForWavesPerEU: 67
; NumVGPRsForWavesPerEU: 164
; AccumOffset: 140
; Occupancy: 1
; WaveLimiterHint : 1
; COMPUTE_PGM_RSRC2:SCRATCH_EN: 0
; COMPUTE_PGM_RSRC2:USER_SGPR: 2
; COMPUTE_PGM_RSRC2:TRAP_HANDLER: 0
; COMPUTE_PGM_RSRC2:TGID_X_EN: 1
; COMPUTE_PGM_RSRC2:TGID_Y_EN: 1
; COMPUTE_PGM_RSRC2:TGID_Z_EN: 0
; COMPUTE_PGM_RSRC2:TIDIG_COMP_CNT: 0
; COMPUTE_PGM_RSRC3_GFX90A:ACCUM_OFFSET: 34
; COMPUTE_PGM_RSRC3_GFX90A:TG_SPLIT: 0
	.section	.text._ZN12_GLOBAL__N_139chunk_gated_delta_rule_fwd_h_hip_kernelILi32ELb1ELb1ELb1ELb0ELb0ELb1ELb1ELb0EEEvPK12hip_bfloat16S3_S3_PKfS5_PKvPS1_S8_PvPKiSB_iiiiilll,"axG",@progbits,_ZN12_GLOBAL__N_139chunk_gated_delta_rule_fwd_h_hip_kernelILi32ELb1ELb1ELb1ELb0ELb0ELb1ELb1ELb0EEEvPK12hip_bfloat16S3_S3_PKfS5_PKvPS1_S8_PvPKiSB_iiiiilll,comdat
	.globl	_ZN12_GLOBAL__N_139chunk_gated_delta_rule_fwd_h_hip_kernelILi32ELb1ELb1ELb1ELb0ELb0ELb1ELb1ELb0EEEvPK12hip_bfloat16S3_S3_PKfS5_PKvPS1_S8_PvPKiSB_iiiiilll ; -- Begin function _ZN12_GLOBAL__N_139chunk_gated_delta_rule_fwd_h_hip_kernelILi32ELb1ELb1ELb1ELb0ELb0ELb1ELb1ELb0EEEvPK12hip_bfloat16S3_S3_PKfS5_PKvPS1_S8_PvPKiSB_iiiiilll
	.p2align	8
	.type	_ZN12_GLOBAL__N_139chunk_gated_delta_rule_fwd_h_hip_kernelILi32ELb1ELb1ELb1ELb0ELb0ELb1ELb1ELb0EEEvPK12hip_bfloat16S3_S3_PKfS5_PKvPS1_S8_PvPKiSB_iiiiilll,@function
_ZN12_GLOBAL__N_139chunk_gated_delta_rule_fwd_h_hip_kernelILi32ELb1ELb1ELb1ELb0ELb0ELb1ELb1ELb0EEEvPK12hip_bfloat16S3_S3_PKfS5_PKvPS1_S8_PvPKiSB_iiiiilll: ; @_ZN12_GLOBAL__N_139chunk_gated_delta_rule_fwd_h_hip_kernelILi32ELb1ELb1ELb1ELb0ELb0ELb1ELb1ELb0EEEvPK12hip_bfloat16S3_S3_PKfS5_PKvPS1_S8_PvPKiSB_iiiiilll
; %bb.0:
	s_load_dwordx4 s[24:27], s[0:1], 0x5c
	s_abs_i32 s6, s3
	s_ashr_i32 s5, s3, 31
	v_and_b32_e32 v79, 15, v0
	v_bfe_u32 v78, v0, 4, 2
	s_waitcnt lgkmcnt(0)
	s_abs_i32 s4, s25
	v_cvt_f32_u32_e32 v1, s4
	s_sub_i32 s8, 0, s4
	s_ashr_i32 s7, s25, 31
	s_xor_b32 s5, s5, s7
	v_rcp_iflag_f32_e32 v1, v1
	v_mov_b32_e32 v63, 0
	v_lshlrev_b32_e32 v80, 3, v0
	v_mul_f32_e32 v1, 0x4f7ffffe, v1
	v_cvt_u32_f32_e32 v1, v1
	s_nop 0
	v_readfirstlane_b32 s9, v1
	s_mul_i32 s8, s8, s9
	s_mul_hi_u32 s8, s9, s8
	s_add_i32 s9, s9, s8
	s_mul_hi_u32 s8, s6, s9
	s_mul_i32 s9, s8, s4
	s_sub_i32 s6, s6, s9
	s_add_i32 s10, s8, 1
	s_sub_i32 s9, s6, s4
	s_cmp_ge_u32 s6, s4
	s_cselect_b32 s8, s10, s8
	s_cselect_b32 s6, s9, s6
	s_add_i32 s9, s8, 1
	s_cmp_ge_u32 s6, s4
	s_cselect_b32 s6, s9, s8
	s_xor_b32 s6, s6, s5
	s_sub_i32 s58, s6, s5
	s_mul_i32 s6, s58, s25
	s_sub_i32 s33, s3, s6
	s_abs_i32 s3, s26
	v_cvt_f32_u32_e32 v1, s3
	s_add_i32 s8, s24, 63
	s_ashr_i32 s9, s8, 31
	s_lshr_b32 s5, s9, 26
	v_rcp_iflag_f32_e32 v1, v1
	s_ashr_i32 s57, s24, 31
	s_add_i32 s8, s8, s5
	s_lshr_b32 s5, s57, 26
	v_mul_f32_e32 v1, 0x4f7ffffe, v1
	v_cvt_u32_f32_e32 v1, v1
	s_add_i32 s5, s24, s5
	s_ashr_i32 s60, s26, 31
	s_ashr_i32 s28, s8, 6
	;; [unrolled: 1-line block ×3, first 2 shown]
	s_xor_b32 s5, s7, s60
	s_sub_i32 s7, 0, s3
	v_readfirstlane_b32 s8, v1
	s_mul_i32 s7, s7, s8
	s_mul_hi_u32 s7, s8, s7
	s_add_i32 s8, s8, s7
	s_mul_hi_u32 s7, s4, s8
	s_mul_i32 s8, s7, s3
	s_sub_i32 s4, s4, s8
	s_lshl_b32 s2, s2, 5
	s_add_i32 s8, s7, 1
	s_sub_i32 s9, s4, s3
	s_cmp_ge_u32 s4, s3
	s_cselect_b32 s7, s8, s7
	s_cselect_b32 s4, s9, s4
	s_add_i32 s8, s7, 1
	s_cmp_ge_u32 s4, s3
	s_cselect_b32 s3, s8, s7
	s_xor_b32 s3, s3, s5
	s_sub_i32 s3, s3, s5
	s_abs_i32 s4, s3
	v_cvt_f32_u32_e32 v1, s4
	s_sub_i32 s7, 0, s4
	s_abs_i32 s5, s33
	s_xor_b32 s3, s33, s3
	v_rcp_iflag_f32_e32 v2, v1
	s_ashr_i32 s3, s3, 31
	s_load_dwordx8 s[8:15], s[0:1], 0x20
	v_lshrrev_b32_e32 v1, 6, v0
	v_mul_f32_e32 v2, 0x4f7ffffe, v2
	v_cvt_u32_f32_e32 v2, v2
	v_or_b32_e32 v68, s2, v79
	v_lshlrev_b32_e32 v61, 4, v1
	v_lshlrev_b32_e32 v66, 7, v68
	v_readfirstlane_b32 s16, v2
	s_mul_i32 s7, s7, s16
	s_mul_hi_u32 s7, s16, s7
	s_add_i32 s16, s16, s7
	s_mul_hi_u32 s7, s5, s16
	s_mul_i32 s16, s7, s4
	s_sub_i32 s5, s5, s16
	s_add_i32 s16, s7, 1
	s_sub_i32 s17, s5, s4
	s_cmp_ge_u32 s5, s4
	s_cselect_b32 s7, s16, s7
	s_cselect_b32 s5, s17, s5
	s_add_i32 s16, s7, 1
	s_cmp_ge_u32 s5, s4
	s_cselect_b32 s4, s16, s7
	s_xor_b32 s4, s4, s3
	s_sub_i32 s61, s4, s3
	s_ashr_i32 s3, s58, 31
	s_ashr_i32 s50, s33, 31
	s_mul_hi_i32 s4, s58, s25
	s_add_u32 s42, s6, s33
	s_addc_u32 s43, s4, s50
	s_lshl_b64 s[34:35], s[42:43], 16
	s_waitcnt lgkmcnt(0)
	s_add_u32 s4, s10, s34
	v_lshl_or_b32 v82, v78, 2, v61
	s_addc_u32 s5, s11, s35
	v_ashrrev_i32_e32 v67, 31, v66
	v_lshl_add_u64 v[2:3], v[66:67], 2, s[4:5]
	v_lshlrev_b32_e32 v62, 2, v82
	v_or_b32_e32 v64, 0x800, v66
	v_lshl_add_u64 v[10:11], v[2:3], 0, v[62:63]
	v_ashrrev_i32_e32 v65, 31, v64
	global_load_dwordx4 v[2:5], v[10:11], off
	global_load_dwordx4 v[6:9], v[10:11], off offset:256
	v_lshl_add_u64 v[10:11], v[64:65], 2, s[4:5]
	v_lshl_add_u64 v[10:11], v[10:11], 0, v[62:63]
	global_load_dwordx4 v[18:21], v[10:11], off
	global_load_dwordx4 v[22:25], v[10:11], off offset:256
	s_load_dwordx2 s[10:11], s[0:1], 0x40
	s_load_dwordx8 s[16:23], s[0:1], 0x0
	s_load_dwordx2 s[36:37], s[0:1], 0x80
	s_load_dwordx4 s[4:7], s[0:1], 0x70
	v_and_b32_e32 v63, 63, v0
	s_mul_i32 s51, s58, s24
	s_mul_i32 s62, s58, s28
	v_or_b32_e32 v83, 64, v82
	s_cmp_lt_i32 s24, 64
	v_lshrrev_b32_e32 v81, 3, v63
	s_mul_i32 s63, s43, s24
	s_mul_hi_u32 s64, s42, s24
	s_mul_i32 s44, s42, s24
	s_waitcnt lgkmcnt(0)
	s_mul_i32 s43, s58, s5
	s_mul_hi_u32 s53, s58, s4
	s_mul_i32 s54, s3, s4
	s_mul_i32 s38, s58, s4
	;; [unrolled: 1-line block ×3, first 2 shown]
	s_mul_hi_u32 s55, s33, s6
	s_mul_i32 s56, s50, s6
	s_mul_i32 s40, s33, s6
	s_cbranch_scc1 .LBB457_3
; %bb.1:
	s_add_i32 s45, s64, s63
	s_lshl_b64 s[0:1], s[44:45], 8
	v_and_b32_e32 v85, 56, v80
	s_add_u32 s4, s18, s0
	v_lshl_or_b32 v84, v1, 3, v81
	v_lshlrev_b32_e32 v10, 1, v85
	s_addc_u32 s0, s19, s1
	v_lshl_or_b32 v86, v84, 8, v10
	s_and_b32 s5, s0, 0xffff
	s_mov_b32 s7, 0x20000
	s_movk_i32 s6, 0x4000
	s_movk_i32 s0, 0x80
	v_or_b32_e32 v87, 0x2000, v86
	buffer_load_dwordx4 v[12:15], v86, s[4:7], 0 offen
	buffer_load_dwordx4 v[26:29], v86, s[4:7], s0 offen
	;; [unrolled: 1-line block ×4, first 2 shown]
	v_lshlrev_b32_e32 v11, 3, v84
	v_and_or_b32 v17, v0, 7, v11
	v_and_b32_e32 v11, 0x78, v11
	v_lshlrev_b32_e32 v17, 4, v17
	v_xor_b32_e32 v88, v17, v11
	v_mul_lo_u32 v16, v84, s27
	v_or_b32_e32 v89, 0x1000, v88
	v_xor_b32_e32 v11, 8, v88
	s_cmpk_eq_i32 s27, 0x80
	s_mov_b32 s65, s26
	v_xor_b32_e32 v17, 8, v89
	s_cselect_b64 s[0:1], -1, 0
	s_cmpk_lg_i32 s27, 0x80
	s_waitcnt vmcnt(3)
	ds_write_b64 v88, v[12:13] offset:24576
	ds_write_b64 v11, v[14:15] offset:24576
	s_waitcnt vmcnt(2)
	ds_write_b64 v88, v[26:27] offset:32768
	ds_write_b64 v11, v[28:29] offset:32768
	s_waitcnt vmcnt(1)
	ds_write_b64 v88, v[30:31] offset:28672
	ds_write_b64 v17, v[32:33] offset:24576
	s_waitcnt vmcnt(0)
	ds_write_b64 v88, v[34:35] offset:36864
	ds_write_b64 v17, v[36:37] offset:32768
	v_lshl_add_u32 v11, v16, 1, v85
	s_cbranch_scc0 .LBB457_4
; %bb.2:
	v_lshlrev_b32_e32 v13, 1, v11
	v_add_lshl_u32 v12, v11, s27, 1
	s_lshl_b32 s6, s27, 7
	v_lshl_or_b32 v10, v84, 9, v10
	s_cbranch_execz .LBB457_5
	s_branch .LBB457_6
.LBB457_3:
	s_waitcnt vmcnt(0)
	v_mov_b32_e32 v17, v25
	v_mov_b32_e32 v16, v24
	;; [unrolled: 1-line block ×5, first 2 shown]
	s_branch .LBB457_20
.LBB457_4:
                                        ; implicit-def: $vgpr12
                                        ; implicit-def: $vgpr13
                                        ; implicit-def: $sgpr6
	v_lshl_or_b32 v10, v84, 9, v10
.LBB457_5:
	v_or_b32_e32 v12, 0x100, v10
	s_movk_i32 s6, 0x4000
	v_mov_b32_e32 v13, v10
.LBB457_6:
	s_mul_hi_u32 s4, s26, s24
	s_mul_i32 s5, s60, s24
	s_add_i32 s4, s4, s5
	s_mul_i32 s5, s26, s24
	s_mul_i32 s7, s5, s3
	s_mul_hi_u32 s28, s5, s58
	s_add_i32 s7, s28, s7
	s_mul_i32 s4, s4, s58
	s_add_i32 s7, s7, s4
	s_mul_i32 s5, s5, s58
	s_ashr_i32 s66, s61, 31
	s_add_u32 s4, s5, s61
	s_addc_u32 s5, s7, s66
	s_lshl_b64 s[4:5], s[4:5], 8
	s_add_u32 s4, s16, s4
	s_addc_u32 s5, s17, s5
	s_and_b32 s5, s5, 0xffff
	s_mov_b32 s7, 0x20000
	s_movk_i32 s67, 0x80
	buffer_load_dwordx4 v[14:17], v13, s[4:7], 0 offen
	buffer_load_dwordx4 v[26:29], v13, s[4:7], s67 offen
	;; [unrolled: 1-line block ×4, first 2 shown]
	v_and_b32_e32 v12, 6, v0
	v_lshlrev_b32_e32 v39, 6, v82
	v_or_b32_e32 v41, 16, v79
	v_xor_b32_e32 v42, v84, v12
	v_and_b32_e32 v13, 1, v0
	s_mul_i32 s3, s3, s24
	s_mul_hi_u32 s4, s58, s24
	v_lshl_or_b32 v45, v79, 3, v39
	v_lshl_or_b32 v39, v41, 3, v39
	v_lshlrev_b32_e32 v42, 2, v42
	v_lshlrev_b32_e32 v38, 2, v79
	v_or_b32_e32 v92, 0xa000, v39
	v_or_b32_e32 v93, 0xb000, v39
	v_xor_b32_e32 v39, 0x440, v42
	v_cmp_eq_u32_e32 vcc, 0, v13
	s_add_i32 s71, s4, s3
	s_add_i32 s3, s53, s43
	v_xor_b32_e32 v43, v82, v38
	v_xor_b32_e32 v44, v83, v38
	v_cndmask_b32_e32 v13, v39, v42, vcc
	s_add_i32 s39, s3, s54
	s_add_i32 s3, s55, s52
	s_mov_b32 s69, 0x1000504
	v_lshlrev_b32_e32 v40, 8, v79
	v_lshlrev_b32_e32 v43, 1, v43
	;; [unrolled: 1-line block ×3, first 2 shown]
	v_lshl_or_b32 v12, v12, 10, v13
	s_add_i32 s41, s3, s56
	s_lshl_b64 s[4:5], s[38:39], 2
	s_mov_b32 s70, 0x3020706
	v_or_b32_e32 v90, 0xa000, v45
	v_or_b32_e32 v91, 0xb000, v45
	v_or_b32_e32 v94, v40, v43
	v_or_b32_e32 v95, v40, v44
	v_xor_b32_e32 v13, 8, v12
	v_xor_b32_e32 v40, 24, v12
	;; [unrolled: 1-line block ×4, first 2 shown]
	s_add_u32 s3, s22, s4
	v_xor_b32_e32 v39, 16, v12
	v_xor_b32_e32 v42, 32, v12
	;; [unrolled: 1-line block ×3, first 2 shown]
	v_add_u32_e32 v13, 0x80, v13
	v_add_u32_e32 v40, 0x80, v40
	;; [unrolled: 1-line block ×4, first 2 shown]
	s_addc_u32 s6, s23, s5
	s_lshl_b64 s[4:5], s[40:41], 2
	s_add_u32 s46, s3, s4
	s_movk_i32 s3, 0xf8
	s_addc_u32 s47, s6, s5
	s_lshl_b32 s30, s27, 7
	s_movk_i32 s28, 0x100
	v_mov_b32_e32 v71, 0
	v_lshlrev_b32_e32 v70, 4, v79
	v_cmp_gt_u32_e32 vcc, s28, v0
	v_ashrrev_i32_e32 v69, 31, v68
	v_lshlrev_b32_e32 v41, 8, v41
	s_mov_b32 s68, 0
	v_or_b32_e32 v96, v41, v43
	v_or_b32_e32 v97, v41, v44
	s_movk_i32 s39, 0x1000
	s_movk_i32 s6, 0x4000
	s_mov_b32 s41, 0x7060302
	v_mov_b32_e32 v120, 0x3fb8aa3b
	s_mov_b32 s73, 0
	s_waitcnt vmcnt(1)
	v_perm_b32 v48, v14, v30, s69
	s_waitcnt vmcnt(0)
	v_perm_b32 v49, v26, v34, s69
	v_perm_b32 v14, v14, v30, s70
	;; [unrolled: 1-line block ×15, first 2 shown]
	ds_write2st64_b32 v12, v48, v49 offset0:32 offset1:64
	ds_write2st64_b32 v13, v14, v26 offset0:32 offset1:64
	;; [unrolled: 1-line block ×8, first 2 shown]
	v_or_b32_e32 v12, v61, v79
	v_lshlrev_b32_e32 v12, 3, v12
	v_lshrrev_b32_e32 v15, 5, v63
	v_and_or_b32 v15, v12, s3, v15
	v_lshlrev_b32_e32 v15, 4, v15
	v_lshlrev_b32_e32 v17, 11, v1
	v_and_b32_e32 v12, 0x78, v12
	v_or_b32_e32 v28, 32, v15
	v_and_b32_e32 v14, 0x1000, v17
	v_lshrrev_b32_e32 v26, 1, v63
	v_xor_b32_e32 v28, v28, v12
	v_xor_b32_e32 v16, v15, v12
	v_and_b32_e32 v26, 8, v26
	v_or_b32_e32 v28, v28, v14
	v_or_b32_e32 v16, v16, v14
	v_lshlrev_b32_e32 v27, 7, v78
	v_xor_b32_e32 v100, v28, v26
	v_or_b32_e32 v28, 64, v15
	v_or_b32_e32 v15, 0x60, v15
	s_ashr_i32 s3, s2, 31
	v_xor_b32_e32 v98, v16, v26
	v_or_b32_e32 v16, v27, v38
	v_xor_b32_e32 v28, v28, v12
	v_xor_b32_e32 v12, v15, v12
	s_lshl_b64 s[4:5], s[2:3], 8
	v_lshlrev_b32_e32 v16, 1, v16
	v_or_b32_e32 v28, v28, v14
	v_or_b32_e32 v12, v12, v14
	s_add_u32 s4, s12, s4
	v_lshlrev_b32_e32 v14, 1, v79
	v_or_b32_e32 v99, 0xa000, v16
	v_or_b32_e32 v101, 0xa080, v16
	;; [unrolled: 1-line block ×4, first 2 shown]
	v_lshrrev_b32_e32 v16, 4, v0
	s_addc_u32 s5, s13, s5
	v_or_b32_e32 v15, 1, v14
	v_mov_b32_e32 v33, 0x4000
	v_mov_b32_e32 v34, 0x2000
	v_lshrrev_b32_e32 v35, 1, v0
	v_xor_b32_e32 v102, v28, v26
	v_xor_b32_e32 v103, v12, v26
	;; [unrolled: 1-line block ×4, first 2 shown]
	v_lshl_add_u64 v[14:15], s[4:5], 0, v[70:71]
	v_lshlrev_b32_e32 v70, 8, v16
	v_cndmask_b32_e32 v33, v33, v34, vcc
	v_lshlrev_b32_e32 v34, 3, v1
	v_and_b32_e32 v35, 24, v35
	v_lshl_or_b32 v106, v26, 3, v70
	v_and_b32_e32 v26, 8, v0
	v_xor_b32_e32 v36, v34, v35
	v_or_b32_e32 v37, 0x440, v36
	v_cmp_eq_u32_e32 vcc, 0, v26
	v_and_b32_e32 v16, 7, v0
	v_lshl_or_b32 v107, v30, 3, v70
	v_cndmask_b32_e32 v26, v37, v36, vcc
	v_lshlrev_b32_e32 v30, 3, v16
	v_lshlrev_b32_e32 v32, 2, v0
	v_or_b32_e32 v26, v26, v17
	v_xor_b32_e32 v36, v26, v30
	v_and_or_b32 v26, v32, 60, v27
	v_mov_b32_e32 v27, 0xb000
	v_lshl_or_b32 v108, v26, 1, v27
	v_or_b32_e32 v26, 32, v35
	v_xor_b32_e32 v26, v34, v26
	v_or_b32_e32 v27, 0x440, v26
	v_cndmask_b32_e32 v26, v27, v26, vcc
	v_or_b32_e32 v26, v26, v17
	v_xor_b32_e32 v27, v26, v30
	v_or_b32_e32 v26, 64, v35
	v_xor_b32_e32 v26, v34, v26
	v_xor_b32_e32 v38, 0x440, v26
	v_cndmask_b32_e32 v26, v38, v26, vcc
	v_or_b32_e32 v26, v26, v17
	v_xor_b32_e32 v38, v26, v30
	v_or_b32_e32 v26, 0x60, v35
	v_xor_b32_e32 v26, v34, v26
	v_xor_b32_e32 v34, 0x440, v26
	v_cndmask_b32_e32 v26, v34, v26, vcc
	v_lshrrev_b32_e32 v13, 2, v63
	v_or_b32_e32 v17, v26, v17
	v_and_b32_e32 v13, 12, v13
	v_lshlrev_b32_e32 v28, 1, v11
	v_add_lshl_u32 v11, v11, s27, 1
	v_or_b32_e32 v29, 0x100, v10
	v_xor_b32_e32 v17, v17, v30
	v_lshlrev_b32_e32 v12, 7, v82
	v_lshlrev_b32_e32 v31, 7, v16
	v_or_b32_e32 v16, v13, v61
	v_add_u32_e32 v37, v33, v36
	v_add_u32_e32 v32, v33, v27
	;; [unrolled: 1-line block ×4, first 2 shown]
	v_or3_b32 v26, v61, v13, 64
	v_add_u32_e32 v13, 0x4000, v36
	v_add_u32_e32 v27, 0x4000, v27
	;; [unrolled: 1-line block ×4, first 2 shown]
	v_cndmask_b32_e64 v109, v28, v10, s[0:1]
	v_cndmask_b32_e64 v110, v11, v29, s[0:1]
	v_lshlrev_b64 v[10:11], 1, v[68:69]
	v_lshl_add_u64 v[72:73], s[20:21], 0, v[10:11]
	v_lshl_add_u64 v[74:75], s[14:15], 0, v[10:11]
	;; [unrolled: 1-line block ×3, first 2 shown]
	s_add_i32 s3, s51, 63
	v_lshlrev_b32_e32 v70, 1, v12
	v_lshlrev_b32_e32 v69, 2, v16
	v_add_u32_e32 v111, v37, v31
	v_add_u32_e32 v112, v32, v31
	;; [unrolled: 1-line block ×4, first 2 shown]
	v_lshlrev_b32_e32 v115, 2, v26
	v_add_u32_e32 v116, v13, v31
	v_add_u32_e32 v117, v27, v31
	;; [unrolled: 1-line block ×4, first 2 shown]
	s_waitcnt lgkmcnt(0)
	s_barrier
.LBB457_7:                              ; =>This Inner Loop Header: Depth=1
	s_add_i32 s72, s73, 1
	s_cmp_lt_i32 s72, s59
	s_mov_b64 s[28:29], 0
	s_cselect_b64 s[48:49], -1, 0
	s_cmp_ge_i32 s72, s59
	s_mov_b64 s[4:5], 0
	s_cbranch_scc1 .LBB457_9
; %bb.8:                                ;   in Loop: Header=BB457_7 Depth=1
	s_add_i32 s0, s68, 64
	s_add_u32 s0, s44, s0
	s_addc_u32 s1, s45, 0
	s_lshl_b64 s[0:1], s[0:1], 8
	s_add_u32 s4, s18, s0
	s_addc_u32 s5, s19, s1
.LBB457_9:                              ;   in Loop: Header=BB457_7 Depth=1
	v_cndmask_b32_e64 v10, 0, 1, s[48:49]
	v_cmp_ne_u32_e64 s[0:1], 1, v10
	s_andn2_b64 vcc, exec, s[48:49]
	s_cbranch_vccnz .LBB457_11
; %bb.10:                               ;   in Loop: Header=BB457_7 Depth=1
	s_add_i32 s28, s68, 64
	s_add_u32 s28, s51, s28
	s_addc_u32 s29, s71, 0
	s_mul_i32 s31, s28, s60
	s_mul_hi_u32 s48, s28, s65
	s_add_i32 s31, s48, s31
	s_mul_i32 s29, s29, s65
	s_add_i32 s31, s31, s29
	s_mul_i32 s28, s28, s65
	s_add_u32 s28, s28, s61
	s_addc_u32 s29, s31, s66
	s_lshl_b64 s[28:29], s[28:29], 8
	s_add_u32 s28, s16, s28
	s_addc_u32 s29, s17, s29
.LBB457_11:                             ;   in Loop: Header=BB457_7 Depth=1
	v_perm_b32 v11, v5, v4, s41
	v_perm_b32 v10, v3, v2, s41
	;; [unrolled: 1-line block ×4, first 2 shown]
	ds_write_b64 v90, v[10:11]
	ds_write_b64 v91, v[12:13]
	;; [unrolled: 1-line block ×4, first 2 shown]
	v_perm_b32 v11, v21, v20, s41
	v_perm_b32 v10, v19, v18, s41
	;; [unrolled: 1-line block ×4, first 2 shown]
	ds_write_b64 v92, v[10:11]
	ds_write_b64 v93, v[12:13]
	;; [unrolled: 1-line block ×4, first 2 shown]
	s_waitcnt lgkmcnt(0)
	s_barrier
	ds_read_b64 v[14:15], v98 offset:24576
	ds_read2_b64 v[10:13], v99 offset1:16
	ds_read_b64 v[26:27], v101 offset:3072
	ds_read_b64 v[28:29], v99 offset:3072
	;; [unrolled: 1-line block ×3, first 2 shown]
	s_waitcnt lgkmcnt(3)
	v_mfma_f32_16x16x16_bf16 a[0:3], v[14:15], v[10:11], 0
	s_add_i32 s31, s68, 63
	s_mul_i32 s48, s31, s37
	s_mul_hi_u32 s49, s31, s36
	v_mfma_f32_16x16x16_bf16 a[4:7], v[14:15], v[12:13], 0
	ds_read2st64_b64 v[10:13], v99 offset0:2 offset1:4
	ds_read2st64_b64 v[14:17], v101 offset0:2 offset1:4
	s_add_i32 s49, s49, s48
	s_waitcnt lgkmcnt(1)
	v_mfma_f32_16x16x16_bf16 a[0:3], v[30:31], v[10:11], a[0:3]
	s_mul_i32 s48, s31, s36
	s_lshl_b64 s[48:49], s[48:49], 2
	s_add_u32 s48, s46, s48
	s_waitcnt lgkmcnt(0)
	v_mfma_f32_16x16x16_bf16 a[4:7], v[30:31], v[14:15], a[4:7]
	ds_read_b64 v[10:11], v102 offset:24576
	ds_read_b64 v[14:15], v103 offset:24576
	s_addc_u32 s49, s47, s49
	s_and_b64 vcc, exec, s[0:1]
	s_waitcnt lgkmcnt(1)
	v_mfma_f32_16x16x16_bf16 a[0:3], v[10:11], v[12:13], a[0:3]
	v_mov_b32_e32 v123, 0
	v_mov_b32_e32 v122, 0
	;; [unrolled: 1-line block ×3, first 2 shown]
	v_mfma_f32_16x16x16_bf16 a[8:11], v[10:11], v[16:17], a[4:7]
	v_mov_b32_e32 v10, 0
	v_mov_b32_e32 v11, 0
	;; [unrolled: 1-line block ×3, first 2 shown]
	s_waitcnt lgkmcnt(0)
	v_mfma_f32_16x16x16_bf16 a[4:7], v[14:15], v[28:29], a[0:3]
	v_mov_b32_e32 v13, 0
	v_mov_b32_e32 v16, 0
	v_mov_b32_e32 v17, 0
	v_mfma_f32_16x16x16_bf16 a[0:3], v[14:15], v[26:27], a[8:11]
	v_mov_b32_e32 v14, 0
	v_mov_b32_e32 v15, 0
	;; [unrolled: 1-line block ×10, first 2 shown]
	s_cbranch_vccnz .LBB457_13
; %bb.12:                               ;   in Loop: Header=BB457_7 Depth=1
	s_and_b32 s5, s5, 0xffff
	buffer_load_dwordx4 v[30:33], v86, s[4:7], 0 offen
	buffer_load_dwordx4 v[26:29], v86, s[4:7], s67 offen
	;; [unrolled: 1-line block ×4, first 2 shown]
	v_mov_b32_e32 v122, v88
	v_mov_b32_e32 v121, v89
.LBB457_13:                             ;   in Loop: Header=BB457_7 Depth=1
	ds_read_b64 v[42:43], v98 offset:32768
	ds_read2_b64 v[34:37], v104 offset1:16
	ds_read_b64 v[44:45], v100 offset:32768
	ds_read_b64 v[46:47], v102 offset:32768
	;; [unrolled: 1-line block ×3, first 2 shown]
	v_add_u32_e32 v50, s68, v82
	s_waitcnt lgkmcnt(3)
	v_mfma_f32_16x16x16_bf16 a[4:7], v[42:43], v[34:35], a[4:7]
	v_ashrrev_i32_e32 v34, 31, v50
	ds_read2st64_b64 v[38:41], v104 offset0:2 offset1:4
	v_mfma_f32_16x16x16_bf16 a[0:3], v[42:43], v[36:37], a[0:3]
	v_mul_lo_u32 v36, v34, s36
	v_mul_lo_u32 v37, v50, s37
	v_mad_u64_u32 v[34:35], s[4:5], v50, s36, 0
	v_add3_u32 v35, v35, v37, v36
	v_add_u32_e32 v36, 1, v50
	v_ashrrev_i32_e32 v37, 31, v36
	v_mul_lo_u32 v42, v37, s36
	v_mul_lo_u32 v43, v36, s37
	v_mad_u64_u32 v[36:37], s[4:5], v36, s36, 0
	v_add3_u32 v37, v37, v43, v42
	v_add_u32_e32 v42, 2, v50
	v_ashrrev_i32_e32 v43, 31, v42
	v_mul_lo_u32 v51, v43, s36
	v_mul_lo_u32 v52, v42, s37
	v_mad_u64_u32 v[42:43], s[4:5], v42, s36, 0
	v_add_u32_e32 v50, 3, v50
	v_add3_u32 v43, v43, v52, v51
	v_ashrrev_i32_e32 v51, 31, v50
	v_mul_lo_u32 v52, v51, s36
	v_mul_lo_u32 v53, v50, s37
	v_mad_u64_u32 v[50:51], s[4:5], v50, s36, 0
	s_add_u32 s4, s44, s68
	s_addc_u32 s5, s45, 0
	s_lshl_b64 s[74:75], s[4:5], 8
	v_lshl_add_u64 v[34:35], v[34:35], 2, s[46:47]
	v_lshl_add_u64 v[36:37], v[36:37], 2, s[46:47]
	v_add3_u32 v51, v51, v53, v52
	v_lshl_add_u64 v[52:53], v[72:73], 0, s[74:75]
	v_lshl_add_u64 v[42:43], v[42:43], 2, s[46:47]
	;; [unrolled: 1-line block ×3, first 2 shown]
	global_load_dword v54, v[34:35], off
	global_load_ushort v55, v[52:53], off offset:256
	global_load_ushort v56, v[52:53], off
	v_lshl_add_u64 v[34:35], v[50:51], 2, s[46:47]
	global_load_dword v50, v[36:37], off
	global_load_dword v51, v[42:43], off
	;; [unrolled: 1-line block ×3, first 2 shown]
	ds_read2st64_b64 v[34:37], v105 offset0:2 offset1:4
	global_load_ushort v58, v[52:53], off offset:768
	global_load_ushort v59, v[52:53], off offset:512
	;; [unrolled: 1-line block ×5, first 2 shown]
	s_nop 0
	global_load_ushort v52, v[52:53], off offset:32
	s_waitcnt lgkmcnt(1)
	v_mfma_f32_16x16x16_bf16 a[4:7], v[44:45], v[38:39], a[4:7]
	s_and_b64 vcc, exec, s[0:1]
	s_waitcnt vmcnt(10)
	v_lshlrev_b32_e32 v43, 16, v55
	s_waitcnt lgkmcnt(0)
	v_mfma_f32_16x16x16_bf16 a[0:3], v[44:45], v[34:35], a[0:3]
	s_waitcnt vmcnt(9)
	v_lshlrev_b32_e32 v42, 16, v56
	v_mfma_f32_16x16x16_bf16 a[4:7], v[46:47], v[40:41], a[4:7]
	v_mfma_f32_16x16x16_bf16 a[0:3], v[46:47], v[36:37], a[0:3]
	ds_read_b64 v[34:35], v104 offset:3072
	ds_read_b64 v[36:37], v105 offset:3072
	s_load_dword s4, s[48:49], 0x0
	s_waitcnt lgkmcnt(0)
	v_sub_f32_e32 v44, s4, v54
	v_mfma_f32_16x16x16_bf16 a[4:7], v[48:49], v[34:35], a[4:7]
	v_mul_f32_e32 v44, 0x3fb8aa3b, v44
	s_waitcnt vmcnt(8)
	v_sub_f32_e32 v45, s4, v50
	s_waitcnt vmcnt(7)
	v_sub_f32_e32 v46, s4, v51
	;; [unrolled: 2-line block ×3, first 2 shown]
	v_mfma_f32_16x16x16_bf16 a[0:3], v[48:49], v[36:37], a[0:3]
	v_lshl_add_u64 v[34:35], v[74:75], 0, s[74:75]
	v_lshl_add_u64 v[34:35], v[34:35], 0, v[70:71]
	v_accvgpr_read_b32 v41, a5
	v_accvgpr_read_b32 v40, a4
	v_pk_add_f32 v[40:41], v[42:43], v[40:41] neg_lo:[0,1] neg_hi:[0,1]
	v_exp_f32_e32 v42, v44
	v_mul_f32_e32 v43, 0x3fb8aa3b, v45
	v_mul_f32_e32 v44, 0x3fb8aa3b, v46
	;; [unrolled: 1-line block ×3, first 2 shown]
	v_exp_f32_e32 v43, v43
	v_exp_f32_e32 v44, v44
	;; [unrolled: 1-line block ×3, first 2 shown]
	v_accvgpr_read_b32 v37, a7
	v_accvgpr_read_b32 v36, a6
	s_waitcnt vmcnt(5)
	v_lshlrev_b32_e32 v47, 16, v58
	s_waitcnt vmcnt(4)
	v_lshlrev_b32_e32 v46, 16, v59
	v_pk_add_f32 v[36:37], v[46:47], v[36:37] neg_lo:[0,1] neg_hi:[0,1]
	global_store_short_d16_hi v[34:35], v40, off
	global_store_short_d16_hi v[34:35], v41, off offset:256
	global_store_short_d16_hi v[34:35], v36, off offset:512
	;; [unrolled: 1-line block ×3, first 2 shown]
	v_pk_mul_f32 v[40:41], v[42:43], v[40:41]
	v_pk_mul_f32 v[36:37], v[44:45], v[36:37]
	v_accvgpr_read_b32 v47, a1
	v_perm_b32 v37, v37, v36, s41
	v_perm_b32 v36, v41, v40, s41
	s_waitcnt vmcnt(5)
	v_lshlrev_b32_e32 v41, 16, v125
	s_waitcnt vmcnt(4)
	v_lshlrev_b32_e32 v40, 16, v52
	v_accvgpr_read_b32 v46, a0
	v_accvgpr_read_b32 v39, a3
	;; [unrolled: 1-line block ×3, first 2 shown]
	v_pk_add_f32 v[40:41], v[40:41], v[46:47] neg_lo:[0,1] neg_hi:[0,1]
	v_lshlrev_b32_e32 v47, 16, v60
	v_lshlrev_b32_e32 v46, 16, v124
	v_pk_add_f32 v[38:39], v[46:47], v[38:39] neg_lo:[0,1] neg_hi:[0,1]
	global_store_short_d16_hi v[34:35], v40, off offset:32
	global_store_short_d16_hi v[34:35], v41, off offset:288
	;; [unrolled: 1-line block ×4, first 2 shown]
	v_pk_mul_f32 v[34:35], v[42:43], v[40:41]
	v_pk_mul_f32 v[38:39], v[44:45], v[38:39]
	v_mov_b32_e32 v124, 0
	v_perm_b32 v39, v39, v38, s41
	v_perm_b32 v38, v35, v34, s41
	ds_write2_b64 v91, v[36:37], v[38:39] offset1:16
	v_mov_b32_e32 v34, 0
	v_mov_b32_e32 v35, 0
	;; [unrolled: 1-line block ×16, first 2 shown]
	s_cbranch_vccnz .LBB457_15
; %bb.14:                               ;   in Loop: Header=BB457_7 Depth=1
	s_and_b32 s29, s29, 0xffff
	s_mov_b32 s31, s7
	buffer_load_dwordx4 v[46:49], v109, s[28:31], 0 offen
	buffer_load_dwordx4 v[38:41], v109, s[28:31], s67 offen
	buffer_load_dwordx4 v[42:45], v110, s[28:31], 0 offen
	buffer_load_dwordx4 v[34:37], v110, s[28:31], s67 offen
	v_mov_b32_e32 v123, v85
	v_mov_b32_e32 v124, v84
.LBB457_15:                             ;   in Loop: Header=BB457_7 Depth=1
	s_waitcnt lgkmcnt(0)
	s_barrier
	ds_read_b64 v[54:55], v111
	ds_read_b64 v[130:131], v108
	;; [unrolled: 1-line block ×5, first 2 shown]
	ds_read_b64 v[144:145], v105 offset:3072
	ds_read2_b64 v[50:53], v104 offset0:16 offset1:128
	s_waitcnt lgkmcnt(5)
	v_mfma_f32_16x16x16_bf16 a[0:3], v[54:55], v[130:131], 0
	ds_read2st64_b64 v[56:59], v105 offset0:2 offset1:4
	s_add_i32 s5, s62, s73
	s_mul_hi_i32 s29, s5, s25
	s_waitcnt lgkmcnt(1)
	v_mfma_f32_16x16x16_bf16 a[4:7], v[54:55], v[50:51], 0
	ds_read_b64 v[54:55], v116
	s_mul_i32 s5, s5, s25
	s_add_u32 s28, s5, s33
	s_waitcnt lgkmcnt(1)
	v_mfma_f32_16x16x16_bf16 a[4:7], v[132:133], v[56:57], a[4:7]
	s_addc_u32 s29, s29, s50
	s_add_i32 s5, s3, s68
	s_lshl_b64 s[28:29], s[28:29], 15
	s_mul_hi_i32 s31, s5, s25
	s_mul_i32 s5, s5, s25
	s_add_u32 s48, s5, s33
	v_mfma_f32_16x16x16_bf16 a[8:11], v[134:135], v[58:59], a[4:7]
	s_addc_u32 s49, s31, s50
	ds_read2st64_b64 v[126:129], v104 offset0:4 offset1:6
	s_lshl_b64 s[48:49], s[48:49], 9
	s_waitcnt lgkmcnt(1)
	v_mfma_f32_16x16x16_bf16 a[4:7], v[54:55], v[130:131], 0
	s_add_u32 s48, s8, s48
	s_addc_u32 s49, s9, s49
	v_mfma_f32_16x16x16_bf16 a[0:3], v[132:133], v[52:53], a[0:3]
	ds_read_b64 v[132:133], v117
	ds_read_b64 v[140:141], v118
	;; [unrolled: 1-line block ×3, first 2 shown]
	v_mfma_f32_16x16x16_bf16 a[12:15], v[54:55], v[50:51], 0
	s_waitcnt lgkmcnt(2)
	v_mfma_f32_16x16x16_bf16 a[4:7], v[132:133], v[52:53], a[4:7]
	global_load_dwordx4 v[50:53], v115, s[48:49]
	v_mfma_f32_16x16x16_bf16 a[12:15], v[132:133], v[56:57], a[12:15]
	global_load_dwordx4 v[54:57], v69, s[48:49]
	ds_read2st64_b64 v[130:133], v106 offset1:8
	s_waitcnt lgkmcnt(0)
	v_mov_b32_e32 v138, v130
	v_mfma_f32_16x16x16_bf16 a[0:3], v[134:135], v[126:127], a[0:3]
	ds_read2st64_b64 v[134:137], v107 offset1:8
	v_mov_b32_e32 v139, v131
	v_mfma_f32_16x16x16_bf16 a[16:19], v[140:141], v[126:127], a[4:7]
	v_lshl_add_u64 v[126:127], v[76:77], 0, s[28:29]
	v_mfma_f32_16x16x16_bf16 a[20:23], v[140:141], v[58:59], a[12:15]
	v_add_co_u32_e32 v58, vcc, s39, v126
	s_waitcnt lgkmcnt(0)
	v_mov_b32_e32 v140, v134
	v_mfma_f32_16x16x16_bf16 a[4:7], v[142:143], v[128:129], a[0:3]
	v_mov_b32_e32 v141, v135
	v_mov_b32_e32 v134, v132
	;; [unrolled: 1-line block ×3, first 2 shown]
	v_mfma_f32_16x16x16_bf16 a[8:11], v[142:143], v[144:145], a[8:11]
	v_addc_co_u32_e32 v59, vcc, 0, v127, vcc
	global_store_dwordx4 v[58:59], v[134:137], off
	v_mfma_f32_16x16x16_bf16 a[12:15], v[146:147], v[128:129], a[16:19]
	s_and_b64 vcc, exec, s[0:1]
	global_store_dwordx4 v[126:127], v[138:141], off
	s_waitcnt vmcnt(3)
	v_mov_b32_e32 v60, v53
	v_mfma_f32_16x16x16_bf16 a[0:3], v[146:147], v[144:145], a[20:23]
	v_mov_b32_e32 v59, v52
	v_mov_b32_e32 v58, v51
	s_cbranch_vccnz .LBB457_17
; %bb.16:                               ;   in Loop: Header=BB457_7 Depth=1
	v_lshrrev_b32_e32 v51, 3, v123
	v_and_b32_e32 v51, 6, v51
	v_xor_b32_e32 v52, v51, v124
	v_lshlrev_b32_e32 v52, 2, v52
	v_and_b32_e32 v53, 8, v123
	v_xor_b32_e32 v123, 0x440, v52
	v_cmp_eq_u32_e32 vcc, 0, v53
	v_perm_b32 v53, v38, v34, s69
	s_nop 0
	v_cndmask_b32_e32 v52, v123, v52, vcc
	v_lshl_or_b32 v51, v51, 10, v52
	v_perm_b32 v52, v46, v42, s69
	s_barrier
	ds_write2st64_b32 v51, v52, v53 offset0:32 offset1:64
	v_xor_b32_e32 v52, 8, v51
	v_perm_b32 v42, v46, v42, s70
	v_perm_b32 v34, v38, v34, s70
	v_add_u32_e32 v38, 0x80, v52
	ds_write2st64_b32 v38, v42, v34 offset0:32 offset1:64
	v_xor_b32_e32 v34, 16, v51
	v_perm_b32 v38, v47, v43, s69
	v_perm_b32 v42, v39, v35, s69
	ds_write2st64_b32 v34, v38, v42 offset0:33 offset1:65
	v_xor_b32_e32 v34, 24, v51
	v_perm_b32 v38, v47, v43, s70
	v_perm_b32 v35, v39, v35, s70
	v_add_u32_e32 v34, 0x80, v34
	ds_write2st64_b32 v34, v38, v35 offset0:33 offset1:65
	v_xor_b32_e32 v34, 32, v51
	v_perm_b32 v35, v48, v44, s69
	v_perm_b32 v38, v40, v36, s69
	;; [unrolled: 9-line block ×3, first 2 shown]
	ds_write2st64_b32 v34, v35, v36 offset0:35 offset1:67
	v_xor_b32_e32 v34, 56, v51
	v_perm_b32 v35, v49, v45, s70
	v_perm_b32 v36, v41, v37, s70
	v_add_u32_e32 v34, 0x80, v34
	ds_write2st64_b32 v34, v35, v36 offset0:35 offset1:67
	ds_write_b64 v122, v[30:31] offset:24576
	v_xor_b32_e32 v30, 8, v122
	ds_write_b64 v30, v[32:33] offset:24576
	ds_write_b64 v122, v[26:27] offset:32768
	;; [unrolled: 1-line block ×4, first 2 shown]
	v_xor_b32_e32 v14, 8, v121
	ds_write_b64 v14, v[16:17] offset:24576
	ds_write_b64 v121, v[10:11] offset:32768
	;; [unrolled: 1-line block ×3, first 2 shown]
.LBB457_17:                             ;   in Loop: Header=BB457_7 Depth=1
	v_mul_f32_e32 v14, s4, v120
	v_exp_f32_e32 v34, v14
	s_waitcnt vmcnt(2)
	v_mul_f32_e32 v14, 0x3fb8aa3b, v54
	v_exp_f32_e32 v36, v14
	v_mul_f32_e32 v14, 0x3fb8aa3b, v55
	v_exp_f32_e32 v37, v14
	;; [unrolled: 2-line block ×4, first 2 shown]
	v_accvgpr_read_b32 v29, a7
	v_accvgpr_read_b32 v27, a5
	;; [unrolled: 1-line block ×4, first 2 shown]
	v_pk_mul_f32 v[36:37], v[34:35], v[36:37] op_sel_hi:[0,1]
	v_accvgpr_read_b32 v12, a10
	v_pk_fma_f32 v[2:3], v[2:3], v[36:37], v[26:27]
	v_pk_mul_f32 v[26:27], v[34:35], v[38:39] op_sel_hi:[0,1]
	v_accvgpr_read_b32 v28, a6
	v_accvgpr_read_b32 v11, a9
	;; [unrolled: 1-line block ×3, first 2 shown]
	v_fma_f32 v20, v20, v26, v12
	v_mul_f32_e32 v12, 0x3fb8aa3b, v59
	v_pk_fma_f32 v[4:5], v[4:5], v[26:27], v[28:29]
	v_fma_f32 v18, v18, v36, v10
	v_fma_f32 v19, v19, v37, v11
	v_mul_f32_e32 v10, 0x3fb8aa3b, v50
	v_mul_f32_e32 v11, 0x3fb8aa3b, v58
	v_exp_f32_e32 v28, v12
	v_mul_f32_e32 v12, 0x3fb8aa3b, v60
	v_exp_f32_e32 v10, v10
	v_exp_f32_e32 v11, v11
	;; [unrolled: 1-line block ×3, first 2 shown]
	v_accvgpr_read_b32 v33, a15
	v_accvgpr_read_b32 v17, a3
	;; [unrolled: 1-line block ×8, first 2 shown]
	v_fmac_f32_e32 v13, v21, v27
	v_pk_mul_f32 v[10:11], v[34:35], v[10:11] op_sel_hi:[0,1]
	v_pk_mul_f32 v[26:27], v[34:35], v[28:29] op_sel_hi:[0,1]
	s_add_i32 s68, s68, 64
	v_pk_fma_f32 v[6:7], v[6:7], v[10:11], v[30:31]
	v_pk_fma_f32 v[8:9], v[8:9], v[26:27], v[32:33]
	v_fma_f32 v22, v22, v10, v14
	v_fma_f32 v23, v23, v11, v15
	;; [unrolled: 1-line block ×3, first 2 shown]
	s_cmp_eq_u32 s59, s72
	v_fmac_f32_e32 v17, v25, v27
	s_cbranch_scc1 .LBB457_19
; %bb.18:                               ;   in Loop: Header=BB457_7 Depth=1
	s_mov_b32 s73, s72
	v_mov_b32_e32 v21, v13
	v_mov_b32_e32 v25, v17
	s_branch .LBB457_7
.LBB457_19:
	v_mov_b32_e32 v16, v24
	v_mov_b32_e32 v15, v23
	;; [unrolled: 1-line block ×3, first 2 shown]
.LBB457_20:
	s_lshl_b32 s45, s59, 6
	s_sub_i32 s48, s24, s45
	v_mov_b32_e32 v12, v20
	v_mov_b32_e32 v11, v19
	;; [unrolled: 1-line block ×3, first 2 shown]
	s_cmp_gt_i32 s48, 0
	s_cbranch_scc0 .LBB457_85
; %bb.21:
	s_ashr_i32 s3, s45, 31
	s_cmpk_lg_i32 s27, 0x80
	s_cselect_b64 s[30:31], -1, 0
	s_and_b64 vcc, exec, s[30:31]
	s_cbranch_vccz .LBB457_23
; %bb.22:
	s_mul_hi_i32 s0, s58, s24
	s_add_u32 s1, s51, s45
	s_addc_u32 s0, s0, s3
	s_mul_i32 s4, s1, s60
	s_mul_hi_u32 s5, s1, s26
	s_add_i32 s4, s5, s4
	s_mul_i32 s0, s0, s26
	s_add_i32 s4, s4, s0
	s_mul_i32 s1, s1, s26
	s_ashr_i32 s0, s61, 31
	s_add_u32 s46, s1, s61
	s_addc_u32 s47, s4, s0
	s_cbranch_execz .LBB457_24
	s_branch .LBB457_25
.LBB457_23:
                                        ; implicit-def: $sgpr46_sgpr47
.LBB457_24:
	s_mul_hi_i32 s0, s58, s26
	s_mul_i32 s58, s58, s26
	s_ashr_i32 s1, s61, 31
	s_add_u32 s4, s58, s61
	s_addc_u32 s0, s0, s1
	s_mul_i32 s1, s4, s57
	s_mul_hi_u32 s5, s4, s24
	s_add_i32 s1, s5, s1
	s_mul_i32 s0, s0, s24
	s_add_i32 s1, s1, s0
	s_mul_i32 s4, s4, s24
	s_add_u32 s46, s4, s45
	s_addc_u32 s47, s1, s3
.LBB457_25:
	s_mul_i32 s0, s42, s57
	s_add_i32 s0, s64, s0
	s_add_i32 s4, s62, s59
	s_add_i32 s1, s0, s63
	s_add_u32 s0, s44, s45
	v_lshlrev_b32_e32 v22, 5, v82
	v_lshlrev_b32_e32 v38, 2, v79
	s_addc_u32 s1, s1, s3
	s_mov_b32 s3, 0x7060302
	v_or_b32_e32 v25, v22, v38
	v_xor_b32_e32 v23, v82, v38
	v_perm_b32 v19, v5, v4, s3
	v_perm_b32 v18, v3, v2, s3
	;; [unrolled: 1-line block ×4, first 2 shown]
	v_lshlrev_b32_e32 v25, 1, v25
	v_xor_b32_e32 v24, v83, v38
	ds_write2st64_b64 v25, v[18:19], v[20:21] offset0:80 offset1:88
	v_lshlrev_b32_e32 v23, 1, v23
	v_lshlrev_b32_e32 v25, 8, v79
	s_lshl_b64 s[28:29], s[0:1], 8
	v_or_b32_e32 v26, v23, v25
	v_lshlrev_b32_e32 v24, 1, v24
	s_add_u32 s0, s18, s28
	ds_write_b64 v26, v[18:19]
	v_or_b32_e32 v18, v24, v25
	s_addc_u32 s1, s19, s29
	ds_write_b64 v18, v[20:21]
	v_perm_b32 v19, v13, v12, s3
	v_perm_b32 v18, v11, v10, s3
	;; [unrolled: 1-line block ×4, first 2 shown]
	v_or_b32_e32 v25, 16, v79
	s_mul_hi_i32 s3, s4, s25
	s_mul_i32 s4, s4, s25
	v_lshlrev_b32_e32 v35, 2, v25
	s_add_u32 s4, s4, s33
	v_or_b32_e32 v22, v22, v35
	s_addc_u32 s5, s3, s50
	v_lshlrev_b32_e32 v22, 1, v22
	s_ashr_i32 s3, s2, 31
	s_lshl_b64 s[4:5], s[4:5], 15
	ds_write2st64_b64 v22, v[18:19], v[20:21] offset0:80 offset1:88
	v_lshlrev_b32_e32 v22, 8, v25
	s_add_u32 s4, s12, s4
	v_or_b32_e32 v23, v23, v22
	s_addc_u32 s5, s13, s5
	s_lshl_b64 s[2:3], s[2:3], 8
	ds_write_b64 v23, v[18:19]
	v_or_b32_e32 v18, v24, v22
	s_add_u32 s2, s4, s2
	ds_write_b64 v18, v[20:21]
	v_lshrrev_b32_e32 v18, 4, v0
	s_addc_u32 s3, s5, s3
	v_lshlrev_b32_e32 v19, 1, v79
	v_lshlrev_b32_e32 v26, 4, v79
	v_mov_b32_e32 v27, 0
	v_or_b32_e32 v20, 1, v19
	v_xor_b32_e32 v19, v18, v19
	v_lshl_add_u64 v[28:29], s[2:3], 0, v[26:27]
	v_lshlrev_b32_e32 v26, 8, v18
	v_xor_b32_e32 v22, v20, v18
	v_lshl_or_b32 v18, v19, 3, v26
	s_waitcnt lgkmcnt(0)
	s_barrier
	ds_read2st64_b64 v[18:21], v18 offset1:8
	v_lshl_or_b32 v22, v22, 3, v26
	ds_read2st64_b64 v[22:25], v22 offset1:8
	v_lshl_add_u64 v[30:31], v[28:29], 0, v[26:27]
	s_movk_i32 s2, 0x1000
	s_waitcnt lgkmcnt(1)
	v_mov_b32_e32 v26, v18
	v_add_co_u32_e32 v18, vcc, s2, v30
	s_cmp_lg_u32 s48, 64
	v_mov_b32_e32 v27, v19
	v_addc_co_u32_e32 v19, vcc, 0, v31, vcc
	s_cselect_b64 s[18:19], -1, 0
	v_lshl_or_b32 v42, v1, 3, v81
	s_waitcnt lgkmcnt(0)
	v_mov_b32_e32 v28, v22
	v_mov_b32_e32 v29, v23
	;; [unrolled: 1-line block ×4, first 2 shown]
	s_mov_b32 s4, 0
	v_or_b32_e32 v36, 32, v42
	v_and_b32_e32 v34, 56, v80
	s_and_b64 vcc, exec, s[18:19]
	global_store_dwordx4 v[30:31], v[26:29], off
	global_store_dwordx4 v[18:19], v[22:25], off
	s_cbranch_vccz .LBB457_31
; %bb.26:
	s_mov_b32 s6, s4
	s_mov_b32 s7, s4
	;; [unrolled: 1-line block ×3, first 2 shown]
	v_mov_b64_e32 v[24:25], s[6:7]
	v_mov_b64_e32 v[22:23], s[4:5]
	;; [unrolled: 1-line block ×3, first 2 shown]
	v_cmp_gt_i32_e32 vcc, s48, v42
	v_mov_b64_e32 v[20:21], v[24:25]
	s_and_saveexec_b64 s[2:3], vcc
	s_cbranch_execz .LBB457_28
; %bb.27:
	v_lshlrev_b32_e32 v18, 8, v42
	v_mov_b32_e32 v19, 0
	v_lshl_add_u64 v[20:21], s[0:1], 0, v[18:19]
	v_lshlrev_b32_e32 v18, 1, v34
	v_lshl_add_u64 v[26:27], v[20:21], 0, v[18:19]
	global_load_dwordx4 v[22:25], v[26:27], off
	global_load_dwordx4 v[18:21], v[26:27], off offset:128
.LBB457_28:
	s_or_b64 exec, exec, s[2:3]
	s_mov_b32 s6, s4
	s_mov_b32 s7, s4
	;; [unrolled: 1-line block ×3, first 2 shown]
	v_mov_b64_e32 v[32:33], s[6:7]
	v_mov_b64_e32 v[30:31], s[4:5]
	;; [unrolled: 1-line block ×3, first 2 shown]
	v_cmp_gt_i32_e32 vcc, s48, v36
	v_lshlrev_b32_e32 v37, 7, v36
	v_mov_b64_e32 v[28:29], v[32:33]
	s_and_saveexec_b64 s[2:3], vcc
	s_cbranch_execz .LBB457_30
; %bb.29:
	v_lshlrev_b32_e32 v26, 1, v37
	v_mov_b32_e32 v27, 0
	v_lshl_add_u64 v[28:29], s[0:1], 0, v[26:27]
	v_lshlrev_b32_e32 v26, 1, v34
	v_lshl_add_u64 v[40:41], v[28:29], 0, v[26:27]
	global_load_dwordx4 v[30:33], v[40:41], off
	global_load_dwordx4 v[26:29], v[40:41], off offset:128
.LBB457_30:
	s_or_b64 exec, exec, s[2:3]
	v_lshrrev_b32_e32 v39, 3, v34
	v_lshlrev_b32_e32 v40, 3, v42
	v_or_b32_e32 v39, v40, v39
	v_lshlrev_b32_e32 v39, 4, v39
	v_and_b32_e32 v40, 0x78, v40
	v_xor_b32_e32 v39, v39, v40
	s_branch .LBB457_33
.LBB457_31:
                                        ; implicit-def: $vgpr39
                                        ; implicit-def: $vgpr37
                                        ; implicit-def: $vgpr22_vgpr23_vgpr24_vgpr25
                                        ; implicit-def: $vgpr18_vgpr19_vgpr20_vgpr21
                                        ; implicit-def: $vgpr30_vgpr31_vgpr32_vgpr33
                                        ; implicit-def: $vgpr26_vgpr27_vgpr28_vgpr29
	s_cbranch_execz .LBB457_33
; %bb.32:
	s_waitcnt vmcnt(0)
	v_lshlrev_b32_e32 v18, 1, v34
	v_lshl_or_b32 v37, v42, 8, v18
	s_and_b32 s1, s1, 0xffff
	s_mov_b32 s3, 0x20000
	s_movk_i32 s2, 0x4000
	v_lshl_or_b32 v39, v36, 8, v18
	s_movk_i32 s4, 0x80
	buffer_load_dwordx4 v[22:25], v37, s[0:3], 0 offen
	buffer_load_dwordx4 v[18:21], v37, s[0:3], s4 offen
	;; [unrolled: 1-line block ×4, first 2 shown]
	v_lshrrev_b32_e32 v37, 3, v34
	v_lshlrev_b32_e32 v39, 3, v42
	v_or_b32_e32 v37, v39, v37
	v_lshlrev_b32_e32 v37, 4, v37
	v_and_b32_e32 v39, 0x78, v39
	v_xor_b32_e32 v39, v37, v39
	v_lshlrev_b32_e32 v37, 7, v36
.LBB457_33:
	s_lshl_b64 s[0:1], s[46:47], 8
	s_add_u32 s4, s16, s0
	s_movk_i32 s0, 0x1000
	v_and_or_b32 v36, v37, s0, v39
	s_waitcnt vmcnt(1)
	ds_write_b64 v39, v[22:23] offset:24576
	v_xor_b32_e32 v22, 8, v39
	ds_write_b64 v22, v[24:25] offset:24576
	s_waitcnt vmcnt(0)
	ds_write_b64 v39, v[18:19] offset:32768
	ds_write_b64 v22, v[20:21] offset:32768
	;; [unrolled: 1-line block ×3, first 2 shown]
	v_xor_b32_e32 v18, 8, v36
	ds_write_b64 v18, v[32:33] offset:24576
	ds_write_b64 v36, v[26:27] offset:32768
	;; [unrolled: 1-line block ×3, first 2 shown]
	v_or_b32_e32 v18, v61, v79
	v_lshlrev_b32_e32 v18, 3, v18
	v_lshrrev_b32_e32 v19, 5, v63
	s_movk_i32 s2, 0xf8
	v_and_or_b32 v19, v18, s2, v19
	v_lshlrev_b32_e32 v23, 4, v19
	v_lshlrev_b32_e32 v39, 11, v1
	v_and_b32_e32 v24, 0x78, v18
	v_or_b32_e32 v26, 32, v23
	v_and_b32_e32 v22, 0x1000, v39
	v_lshrrev_b32_e32 v19, 1, v63
	v_xor_b32_e32 v26, v26, v24
	v_xor_b32_e32 v18, v23, v24
	v_and_b32_e32 v25, 8, v19
	v_or_b32_e32 v26, v26, v22
	v_or_b32_e32 v18, v18, v22
	v_xor_b32_e32 v44, v26, v25
	v_or_b32_e32 v26, 64, v23
	v_xor_b32_e32 v43, v18, v25
	v_xor_b32_e32 v26, v26, v24
	s_waitcnt lgkmcnt(0)
	s_barrier
	v_or_b32_e32 v28, v26, v22
	ds_read_b64 v[26:27], v43 offset:24576
	v_lshl_or_b32 v36, v78, 7, v38
	v_lshlrev_b32_e32 v40, 1, v36
	v_add_u32_e32 v18, 0xa000, v40
	ds_read2_b64 v[18:21], v18 offset1:16
	v_or_b32_e32 v23, 0x60, v23
	v_xor_b32_e32 v23, v23, v24
	s_waitcnt lgkmcnt(0)
	v_mfma_f32_16x16x16_bf16 a[0:3], v[26:27], v[18:19], 0
	v_or_b32_e32 v18, 64, v36
	v_or_b32_e32 v22, v23, v22
	v_lshlrev_b32_e32 v41, 1, v18
	v_xor_b32_e32 v45, v28, v25
	v_xor_b32_e32 v46, v22, v25
	ds_read_b64 v[28:29], v44 offset:24576
	ds_read_b64 v[30:31], v45 offset:24576
	;; [unrolled: 1-line block ×3, first 2 shown]
	v_mfma_f32_16x16x16_bf16 a[4:7], v[26:27], v[20:21], 0
	ds_read2st64_b64 v[18:21], v41 offset0:82 offset1:84
	ds_read2st64_b64 v[22:25], v40 offset0:82 offset1:84
	s_addc_u32 s5, s17, s1
	s_add_i32 s0, s53, s43
	s_add_i32 s17, s24, -1
	s_add_i32 s39, s0, s54
	s_add_i32 s0, s55, s52
	;; [unrolled: 1-line block ×3, first 2 shown]
	s_ashr_i32 s0, s17, 31
	s_mul_i32 s1, s17, s37
	s_mul_hi_u32 s2, s17, s36
	s_add_i32 s1, s2, s1
	s_mul_i32 s0, s0, s36
	s_waitcnt lgkmcnt(1)
	v_mfma_f32_16x16x16_bf16 a[4:7], v[28:29], v[18:19], a[4:7]
	s_add_i32 s1, s1, s0
	s_lshl_b64 s[2:3], s[38:39], 2
	s_add_u32 s6, s22, s2
	s_waitcnt lgkmcnt(0)
	v_mfma_f32_16x16x16_bf16 a[0:3], v[28:29], v[22:23], a[0:3]
	s_addc_u32 s7, s23, s3
	s_lshl_b64 s[2:3], s[40:41], 2
	s_mul_i32 s0, s17, s36
	s_add_u32 s12, s6, s2
	ds_read_b64 v[18:19], v40 offset:44032
	v_mfma_f32_16x16x16_bf16 a[4:7], v[30:31], v[20:21], a[4:7]
	ds_read_b64 v[20:21], v41 offset:44032
	s_addc_u32 s13, s7, s3
	s_lshl_b64 s[0:1], s[0:1], 2
	v_mfma_f32_16x16x16_bf16 a[0:3], v[30:31], v[24:25], a[0:3]
	s_add_u32 s0, s12, s0
	s_addc_u32 s1, s13, s1
	s_load_dword s16, s[0:1], 0x0
	s_waitcnt lgkmcnt(0)
	v_mfma_f32_16x16x16_bf16 a[0:3], v[32:33], v[18:19], a[0:3]
	s_and_b64 vcc, exec, s[30:31]
	v_mfma_f32_16x16x16_bf16 a[4:7], v[32:33], v[20:21], a[4:7]
	s_cbranch_vccz .LBB457_44
; %bb.34:
	v_lshlrev_b32_e32 v36, 1, v42
	s_and_b64 vcc, exec, s[18:19]
	s_cbranch_vccz .LBB457_45
; %bb.35:
	v_cmp_gt_i32_e32 vcc, s48, v36
	v_mov_b32_e32 v22, 0
	v_mov_b32_e32 v18, 0
	;; [unrolled: 1-line block ×5, first 2 shown]
	s_and_saveexec_b64 s[0:1], vcc
	s_cbranch_execz .LBB457_37
; %bb.36:
	v_mad_i64_i32 v[18:19], s[2:3], s27, v36, 0
	v_lshl_add_u64 v[18:19], v[18:19], 1, s[4:5]
	v_lshlrev_b32_e32 v20, 1, v34
	v_mov_b32_e32 v21, 0
	v_lshl_add_u64 v[18:19], v[18:19], 0, v[20:21]
	global_load_dwordx4 v[18:21], v[18:19], off
.LBB457_37:
	s_or_b64 exec, exec, s[0:1]
	v_or_b32_e32 v37, 1, v36
	v_cmp_gt_i32_e64 s[0:1], s48, v37
	v_mov_b32_e32 v23, 0
	v_mov_b32_e32 v24, 0
	;; [unrolled: 1-line block ×3, first 2 shown]
	s_and_saveexec_b64 s[2:3], s[0:1]
	s_cbranch_execz .LBB457_39
; %bb.38:
	v_mad_i64_i32 v[22:23], s[6:7], s27, v37, 0
	v_lshl_add_u64 v[22:23], v[22:23], 1, s[4:5]
	v_lshlrev_b32_e32 v24, 1, v34
	v_mov_b32_e32 v25, 0
	v_lshl_add_u64 v[22:23], v[22:23], 0, v[24:25]
	global_load_dwordx4 v[22:25], v[22:23], off
.LBB457_39:
	s_or_b64 exec, exec, s[2:3]
	v_mov_b32_e32 v33, 0
	v_mov_b32_e32 v26, 0
	;; [unrolled: 1-line block ×5, first 2 shown]
	s_and_saveexec_b64 s[2:3], vcc
	s_cbranch_execz .LBB457_41
; %bb.40:
	v_mad_i64_i32 v[26:27], s[6:7], s27, v36, 0
	v_lshl_add_u64 v[26:27], v[26:27], 1, s[4:5]
	v_lshlrev_b32_e32 v28, 1, v34
	v_mov_b32_e32 v29, 0
	v_lshl_add_u64 v[26:27], v[26:27], 0, v[28:29]
	global_load_dwordx4 v[26:29], v[26:27], off offset:128
.LBB457_41:
	s_or_b64 exec, exec, s[2:3]
	v_mov_b32_e32 v32, 0
	v_mov_b32_e32 v31, 0
	;; [unrolled: 1-line block ×3, first 2 shown]
	s_and_saveexec_b64 s[2:3], s[0:1]
	s_cbranch_execz .LBB457_43
; %bb.42:
	v_mad_i64_i32 v[30:31], s[0:1], s27, v37, 0
	v_lshl_add_u64 v[30:31], v[30:31], 1, s[4:5]
	v_lshlrev_b32_e32 v32, 1, v34
	v_mov_b32_e32 v33, 0
	v_lshl_add_u64 v[30:31], v[30:31], 0, v[32:33]
	global_load_dwordx4 v[30:33], v[30:31], off offset:128
.LBB457_43:
	s_or_b64 exec, exec, s[2:3]
	s_branch .LBB457_47
.LBB457_44:
                                        ; implicit-def: $vgpr21
                                        ; implicit-def: $vgpr25
                                        ; implicit-def: $vgpr29
                                        ; implicit-def: $vgpr33
	v_lshrrev_b32_e32 v47, 2, v63
	s_branch .LBB457_48
.LBB457_45:
                                        ; implicit-def: $vgpr21
                                        ; implicit-def: $vgpr25
                                        ; implicit-def: $vgpr29
                                        ; implicit-def: $vgpr33
	s_cbranch_execz .LBB457_47
; %bb.46:
	s_waitcnt vmcnt(0)
	v_mad_u64_u32 v[18:19], s[0:1], v36, s27, v[34:35]
	v_lshlrev_b32_e32 v36, 1, v18
	s_lshl_b32 s2, s27, 7
	s_and_b32 s1, s5, 0xffff
	s_mov_b32 s3, 0x20000
	s_mov_b32 s0, s4
	v_add_lshl_u32 v37, v18, s27, 1
	s_movk_i32 s6, 0x80
	buffer_load_dwordx4 v[18:21], v36, s[0:3], 0 offen
	buffer_load_dwordx4 v[26:29], v36, s[0:3], s6 offen
	;; [unrolled: 1-line block ×4, first 2 shown]
.LBB457_47:
	v_lshrrev_b32_e32 v47, 2, v63
	s_cbranch_execnz .LBB457_60
.LBB457_48:
	s_and_b64 vcc, exec, s[18:19]
	s_cbranch_vccz .LBB457_58
; %bb.49:
	s_waitcnt vmcnt(0)
	v_lshlrev_b32_e32 v23, 1, v42
	v_cmp_gt_i32_e32 vcc, s48, v23
	v_mov_b32_e32 v22, 0
	v_lshlrev_b32_e32 v30, 9, v42
	v_mov_b32_e32 v18, 0
	v_mov_b32_e32 v19, 0
	;; [unrolled: 1-line block ×4, first 2 shown]
	s_and_saveexec_b64 s[0:1], vcc
	s_cbranch_execz .LBB457_51
; %bb.50:
	v_mov_b32_e32 v31, 0
	v_lshl_add_u64 v[18:19], s[4:5], 0, v[30:31]
	v_lshlrev_b32_e32 v20, 1, v34
	v_mov_b32_e32 v21, v31
	v_lshl_add_u64 v[18:19], v[18:19], 0, v[20:21]
	global_load_dwordx4 v[18:21], v[18:19], off
.LBB457_51:
	s_or_b64 exec, exec, s[0:1]
	v_or_b32_e32 v23, 1, v23
	v_cmp_gt_i32_e64 s[0:1], s48, v23
	v_lshlrev_b32_e32 v36, 8, v23
	v_mov_b32_e32 v23, 0
	v_mov_b32_e32 v24, 0
	;; [unrolled: 1-line block ×3, first 2 shown]
	s_and_saveexec_b64 s[2:3], s[0:1]
	s_cbranch_execz .LBB457_53
; %bb.52:
	v_mov_b32_e32 v37, 0
	v_lshl_add_u64 v[22:23], s[4:5], 0, v[36:37]
	v_lshlrev_b32_e32 v24, 1, v34
	v_mov_b32_e32 v25, v37
	v_lshl_add_u64 v[22:23], v[22:23], 0, v[24:25]
	global_load_dwordx4 v[22:25], v[22:23], off
.LBB457_53:
	s_or_b64 exec, exec, s[2:3]
	v_mov_b32_e32 v33, 0
	v_mov_b32_e32 v26, 0
	;; [unrolled: 1-line block ×5, first 2 shown]
	s_and_saveexec_b64 s[2:3], vcc
	s_cbranch_execz .LBB457_55
; %bb.54:
	v_mov_b32_e32 v31, 0
	v_lshl_add_u64 v[26:27], s[4:5], 0, v[30:31]
	v_lshlrev_b32_e32 v30, 1, v34
	v_lshl_add_u64 v[26:27], v[26:27], 0, v[30:31]
	global_load_dwordx4 v[26:29], v[26:27], off offset:128
.LBB457_55:
	s_or_b64 exec, exec, s[2:3]
	v_mov_b32_e32 v32, 0
	v_mov_b32_e32 v31, 0
	;; [unrolled: 1-line block ×3, first 2 shown]
	s_and_saveexec_b64 s[2:3], s[0:1]
	s_cbranch_execz .LBB457_57
; %bb.56:
	v_mov_b32_e32 v37, 0
	v_lshl_add_u64 v[30:31], s[4:5], 0, v[36:37]
	v_lshlrev_b32_e32 v36, 1, v34
	v_lshl_add_u64 v[30:31], v[30:31], 0, v[36:37]
	global_load_dwordx4 v[30:33], v[30:31], off offset:128
.LBB457_57:
	s_or_b64 exec, exec, s[2:3]
	s_branch .LBB457_60
.LBB457_58:
                                        ; implicit-def: $vgpr21
                                        ; implicit-def: $vgpr25
                                        ; implicit-def: $vgpr29
                                        ; implicit-def: $vgpr33
	s_cbranch_execz .LBB457_60
; %bb.59:
	s_waitcnt vmcnt(0)
	v_lshlrev_b32_e32 v18, 1, v34
	v_lshl_or_b32 v34, v42, 9, v18
	s_and_b32 s5, s5, 0xffff
	s_mov_b32 s7, 0x20000
	s_movk_i32 s6, 0x4000
	s_movk_i32 s0, 0x80
	buffer_load_dwordx4 v[18:21], v34, s[4:7], 0 offen
	buffer_load_dwordx4 v[22:25], v34, s[4:7], 0 offen offset:256
	buffer_load_dwordx4 v[26:29], v34, s[4:7], s0 offen
	buffer_load_dwordx4 v[30:33], v34, s[4:7], s0 offen offset:256
.LBB457_60:
	ds_read_b64 v[36:37], v43 offset:32768
	v_add_u32_e32 v34, 0xb000, v40
	ds_read2_b64 v[48:51], v34 offset1:16
	ds_read_b64 v[56:57], v44 offset:32768
	ds_read_b64 v[44:45], v45 offset:32768
	;; [unrolled: 1-line block ×3, first 2 shown]
	ds_read2st64_b64 v[52:55], v41 offset0:90 offset1:92
	v_and_b32_e32 v43, 6, v0
	v_and_b32_e32 v34, 12, v47
	v_xor_b32_e32 v42, v42, v43
	v_lshlrev_b32_e32 v42, 2, v42
	s_mov_b32 s0, 0x1000504
	s_waitcnt lgkmcnt(4)
	v_mfma_f32_16x16x16_bf16 a[0:3], v[36:37], v[48:49], a[0:3]
	s_mov_b32 s1, 0x3020706
	v_mfma_f32_16x16x16_bf16 a[4:7], v[36:37], v[50:51], a[4:7]
	ds_read2st64_b64 v[48:51], v40 offset0:90 offset1:92
	ds_read_b64 v[36:37], v40 offset:48128
	ds_read_b64 v[46:47], v41 offset:48128
	s_waitcnt lgkmcnt(2)
	v_mfma_f32_16x16x16_bf16 a[0:3], v[56:57], v[48:49], a[0:3]
	v_and_b32_e32 v48, 1, v0
	v_xor_b32_e32 v49, 0x440, v42
	v_cmp_eq_u32_e32 vcc, 0, v48
	v_mfma_f32_16x16x16_bf16 a[4:7], v[56:57], v[52:53], a[4:7]
	s_nop 0
	v_cndmask_b32_e32 v42, v49, v42, vcc
	v_lshl_or_b32 v42, v43, 10, v42
	v_mfma_f32_16x16x16_bf16 a[0:3], v[44:45], v[50:51], a[0:3]
	v_mov_b32_e32 v43, 0
	v_mfma_f32_16x16x16_bf16 a[8:11], v[44:45], v[54:55], a[4:7]
	s_waitcnt lgkmcnt(1)
	v_mfma_f32_16x16x16_bf16 a[4:7], v[58:59], v[36:37], a[0:3]
	s_waitcnt vmcnt(0)
	v_perm_b32 v36, v18, v22, s0
	v_perm_b32 v37, v26, v30, s0
	ds_write2st64_b32 v42, v36, v37 offset0:32 offset1:64
	v_xor_b32_e32 v36, 8, v42
	v_perm_b32 v18, v18, v22, s1
	v_perm_b32 v22, v26, v30, s1
	v_add_u32_e32 v26, 0x80, v36
	ds_write2st64_b32 v26, v18, v22 offset0:32 offset1:64
	v_xor_b32_e32 v18, 16, v42
	v_perm_b32 v22, v19, v23, s0
	v_perm_b32 v26, v27, v31, s0
	ds_write2st64_b32 v18, v22, v26 offset0:33 offset1:65
	v_xor_b32_e32 v18, 24, v42
	v_perm_b32 v19, v19, v23, s1
	v_perm_b32 v22, v27, v31, s1
	v_add_u32_e32 v18, 0x80, v18
	ds_write2st64_b32 v18, v19, v22 offset0:33 offset1:65
	v_xor_b32_e32 v18, 32, v42
	v_perm_b32 v19, v20, v24, s0
	v_perm_b32 v22, v28, v32, s0
	ds_write2st64_b32 v18, v19, v22 offset0:34 offset1:66
	v_xor_b32_e32 v18, 40, v42
	s_waitcnt lgkmcnt(5)
	v_mfma_f32_16x16x16_bf16 a[0:3], v[58:59], v[46:47], a[8:11]
	v_perm_b32 v19, v20, v24, s1
	v_perm_b32 v20, v28, v32, s1
	v_add_u32_e32 v18, 0x80, v18
	ds_write2st64_b32 v18, v19, v20 offset0:34 offset1:66
	v_xor_b32_e32 v18, 48, v42
	v_perm_b32 v19, v21, v25, s0
	v_perm_b32 v20, v29, v33, s0
	ds_write2st64_b32 v18, v19, v20 offset0:35 offset1:67
	v_xor_b32_e32 v18, 56, v42
	v_or_b32_e32 v36, v34, v61
	v_perm_b32 v19, v21, v25, s1
	v_perm_b32 v20, v29, v33, s1
	v_add_u32_e32 v18, 0x80, v18
	v_cmp_gt_i32_e32 vcc, s48, v36
	v_mov_b32_e32 v37, 0
	ds_write2st64_b32 v18, v19, v20 offset0:35 offset1:67
	s_and_saveexec_b64 s[0:1], vcc
	s_cbranch_execz .LBB457_62
; %bb.61:
	v_add_u32_e32 v18, s45, v36
	v_ashrrev_i32_e32 v19, 31, v18
	v_mul_lo_u32 v20, v19, s36
	v_mul_lo_u32 v21, v18, s37
	v_mad_u64_u32 v[18:19], s[2:3], v18, s36, 0
	v_add3_u32 v19, v19, v21, v20
	v_lshl_add_u64 v[18:19], v[18:19], 2, s[12:13]
	global_load_dword v18, v[18:19], off
	s_waitcnt vmcnt(0)
	v_sub_f32_e32 v18, s16, v18
	v_mul_f32_e32 v18, 0x3fb8aa3b, v18
	v_exp_f32_e32 v43, v18
.LBB457_62:
	s_or_b64 exec, exec, s[0:1]
	v_or_b32_e32 v29, 1, v36
	v_cmp_gt_i32_e64 s[0:1], s48, v29
	s_and_saveexec_b64 s[2:3], s[0:1]
	s_cbranch_execz .LBB457_64
; %bb.63:
	v_add_u32_e32 v18, s45, v29
	v_ashrrev_i32_e32 v19, 31, v18
	v_mul_lo_u32 v20, v19, s36
	v_mul_lo_u32 v21, v18, s37
	v_mad_u64_u32 v[18:19], s[4:5], v18, s36, 0
	v_add3_u32 v19, v19, v21, v20
	v_lshl_add_u64 v[18:19], v[18:19], 2, s[12:13]
	global_load_dword v18, v[18:19], off
	s_waitcnt vmcnt(0)
	v_sub_f32_e32 v18, s16, v18
	v_mul_f32_e32 v18, 0x3fb8aa3b, v18
	v_exp_f32_e32 v37, v18
.LBB457_64:
	s_or_b64 exec, exec, s[2:3]
	v_or_b32_e32 v28, 2, v36
	v_cmp_gt_i32_e64 s[2:3], s48, v28
	v_mov_b32_e32 v42, 0
	v_mov_b32_e32 v44, 0
	s_and_saveexec_b64 s[4:5], s[2:3]
	s_cbranch_execz .LBB457_66
; %bb.65:
	v_add_u32_e32 v18, s45, v28
	v_ashrrev_i32_e32 v19, 31, v18
	v_mul_lo_u32 v20, v19, s36
	v_mul_lo_u32 v21, v18, s37
	v_mad_u64_u32 v[18:19], s[6:7], v18, s36, 0
	v_add3_u32 v19, v19, v21, v20
	v_lshl_add_u64 v[18:19], v[18:19], 2, s[12:13]
	global_load_dword v18, v[18:19], off
	s_waitcnt vmcnt(0)
	v_sub_f32_e32 v18, s16, v18
	v_mul_f32_e32 v18, 0x3fb8aa3b, v18
	v_exp_f32_e32 v44, v18
.LBB457_66:
	s_or_b64 exec, exec, s[4:5]
	v_or_b32_e32 v45, 3, v36
	v_cmp_gt_i32_e64 s[4:5], s48, v45
	s_and_saveexec_b64 s[6:7], s[4:5]
	s_cbranch_execz .LBB457_68
; %bb.67:
	v_add_u32_e32 v18, s45, v45
	v_ashrrev_i32_e32 v19, 31, v18
	v_mul_lo_u32 v20, v19, s36
	v_mul_lo_u32 v21, v18, s37
	v_mad_u64_u32 v[18:19], s[18:19], v18, s36, 0
	v_add3_u32 v19, v19, v21, v20
	v_lshl_add_u64 v[18:19], v[18:19], 2, s[12:13]
	global_load_dword v18, v[18:19], off
	s_waitcnt vmcnt(0)
	v_sub_f32_e32 v18, s16, v18
	v_mul_f32_e32 v18, 0x3fb8aa3b, v18
	v_exp_f32_e32 v42, v18
.LBB457_68:
	s_or_b64 exec, exec, s[6:7]
	s_add_u32 s6, s20, s28
	s_addc_u32 s7, s21, s29
	s_add_u32 s12, s14, s28
	v_ashrrev_i32_e32 v69, 31, v68
	v_accvgpr_read_b32 v21, a7
	s_addc_u32 s13, s15, s29
	v_lshlrev_b64 v[22:23], 1, v[68:69]
	v_accvgpr_read_b32 v20, a6
	v_accvgpr_read_b32 v19, a5
	;; [unrolled: 1-line block ×3, first 2 shown]
	v_lshl_add_u64 v[24:25], s[6:7], 0, v[22:23]
	v_lshl_add_u64 v[22:23], s[12:13], 0, v[22:23]
	v_mov_b32_e32 v31, 0
	v_lshlrev_b32_e32 v26, 8, v36
	v_mov_b32_e32 v27, 0
	s_and_saveexec_b64 s[6:7], vcc
	s_cbranch_execz .LBB457_70
; %bb.69:
	v_mov_b32_e32 v27, 0
	v_lshl_add_u64 v[32:33], v[24:25], 0, v[26:27]
	global_load_ushort v30, v[32:33], off
	v_lshl_add_u64 v[32:33], v[22:23], 0, v[26:27]
	s_waitcnt vmcnt(0)
	v_lshlrev_b32_e32 v27, 16, v30
	v_sub_f32_e32 v18, v27, v18
	global_store_short_d16_hi v[32:33], v18, off
	v_mul_f32_e32 v18, v43, v18
	v_lshrrev_b32_e32 v27, 16, v18
.LBB457_70:
	s_or_b64 exec, exec, s[6:7]
	v_lshlrev_b32_e32 v30, 8, v29
	s_and_saveexec_b64 s[6:7], s[0:1]
	s_cbranch_execz .LBB457_72
; %bb.71:
	v_mov_b32_e32 v31, 0
	v_lshl_add_u64 v[32:33], v[24:25], 0, v[30:31]
	global_load_ushort v18, v[32:33], off
	v_lshl_add_u64 v[32:33], v[22:23], 0, v[30:31]
	s_waitcnt vmcnt(0)
	v_lshlrev_b32_e32 v18, 16, v18
	v_sub_f32_e32 v18, v18, v19
	global_store_short_d16_hi v[32:33], v18, off
	v_mul_f32_e32 v18, v37, v18
	v_lshrrev_b32_e32 v31, 16, v18
.LBB457_72:
	s_or_b64 exec, exec, s[6:7]
	v_mov_b32_e32 v29, 0
	v_lshlrev_b32_e32 v32, 8, v28
	v_mov_b32_e32 v33, 0
	s_and_saveexec_b64 s[6:7], s[2:3]
	s_cbranch_execz .LBB457_74
; %bb.73:
	v_mov_b32_e32 v33, 0
	v_lshl_add_u64 v[18:19], v[24:25], 0, v[32:33]
	global_load_ushort v28, v[18:19], off
	v_lshl_add_u64 v[18:19], v[22:23], 0, v[32:33]
	s_waitcnt vmcnt(0)
	v_lshlrev_b32_e32 v28, 16, v28
	v_sub_f32_e32 v20, v28, v20
	global_store_short_d16_hi v[18:19], v20, off
	v_mul_f32_e32 v18, v44, v20
	v_lshrrev_b32_e32 v33, 16, v18
.LBB457_74:
	s_or_b64 exec, exec, s[6:7]
	v_lshlrev_b32_e32 v28, 8, v45
	s_and_saveexec_b64 s[6:7], s[4:5]
	s_cbranch_execz .LBB457_76
; %bb.75:
	v_mov_b32_e32 v29, 0
	v_lshl_add_u64 v[18:19], v[24:25], 0, v[28:29]
	global_load_ushort v20, v[18:19], off
	v_lshl_add_u64 v[18:19], v[22:23], 0, v[28:29]
	s_waitcnt vmcnt(0)
	v_lshlrev_b32_e32 v20, 16, v20
	v_sub_f32_e32 v20, v20, v21
	global_store_short_d16_hi v[18:19], v20, off
	v_mul_f32_e32 v18, v42, v20
	v_lshrrev_b32_e32 v29, 16, v18
.LBB457_76:
	s_or_b64 exec, exec, s[6:7]
	v_lshlrev_b32_e32 v45, 5, v36
	s_mov_b32 s6, 0x5040100
	v_perm_b32 v46, v31, v27, s6
	v_or_b32_e32 v27, v45, v38
	v_accvgpr_read_b32 v21, a3
	v_perm_b32 v47, v29, v33, s6
	v_lshlrev_b32_e32 v27, 1, v27
	v_accvgpr_read_b32 v20, a2
	v_accvgpr_read_b32 v19, a1
	;; [unrolled: 1-line block ×3, first 2 shown]
	ds_write_b64 v27, v[46:47] offset:45056
	v_mov_b32_e32 v31, 0
	v_mov_b32_e32 v27, 0
	s_and_saveexec_b64 s[6:7], vcc
	s_cbranch_execz .LBB457_78
; %bb.77:
	v_mov_b32_e32 v27, 0
	v_lshl_add_u64 v[46:47], v[24:25], 0, v[26:27]
	global_load_ushort v29, v[46:47], off offset:32
	v_lshl_add_u64 v[26:27], v[22:23], 0, v[26:27]
	s_waitcnt vmcnt(0)
	v_lshlrev_b32_e32 v29, 16, v29
	v_sub_f32_e32 v18, v29, v18
	global_store_short_d16_hi v[26:27], v18, off offset:32
	v_mul_f32_e32 v18, v43, v18
	v_lshrrev_b32_e32 v27, 16, v18
.LBB457_78:
	s_or_b64 exec, exec, s[6:7]
	s_and_saveexec_b64 s[6:7], s[0:1]
	s_cbranch_execz .LBB457_80
; %bb.79:
	v_mov_b32_e32 v31, 0
	v_lshl_add_u64 v[46:47], v[24:25], 0, v[30:31]
	global_load_ushort v18, v[46:47], off offset:32
	v_lshl_add_u64 v[30:31], v[22:23], 0, v[30:31]
	s_waitcnt vmcnt(0)
	v_lshlrev_b32_e32 v18, 16, v18
	v_sub_f32_e32 v18, v18, v19
	global_store_short_d16_hi v[30:31], v18, off offset:32
	v_mul_f32_e32 v18, v37, v18
	v_lshrrev_b32_e32 v31, 16, v18
.LBB457_80:
	s_or_b64 exec, exec, s[6:7]
	v_mov_b32_e32 v26, 0
	v_mov_b32_e32 v30, 0
	s_and_saveexec_b64 s[0:1], s[2:3]
	s_cbranch_execz .LBB457_82
; %bb.81:
	v_mov_b32_e32 v33, 0
	v_lshl_add_u64 v[18:19], v[24:25], 0, v[32:33]
	global_load_ushort v29, v[18:19], off offset:32
	v_lshl_add_u64 v[18:19], v[22:23], 0, v[32:33]
	s_waitcnt vmcnt(0)
	v_lshlrev_b32_e32 v29, 16, v29
	v_sub_f32_e32 v20, v29, v20
	global_store_short_d16_hi v[18:19], v20, off offset:32
	v_mul_f32_e32 v18, v44, v20
	v_lshrrev_b32_e32 v30, 16, v18
.LBB457_82:
	s_or_b64 exec, exec, s[0:1]
	v_or_b32_e32 v19, 0xb000, v40
	v_or_b32_e32 v18, 0xb000, v41
	s_and_saveexec_b64 s[0:1], s[4:5]
	s_cbranch_execz .LBB457_84
; %bb.83:
	v_mov_b32_e32 v29, 0
	v_lshl_add_u64 v[24:25], v[24:25], 0, v[28:29]
	global_load_ushort v20, v[24:25], off offset:32
	v_lshl_add_u64 v[22:23], v[22:23], 0, v[28:29]
	s_waitcnt vmcnt(0)
	v_lshlrev_b32_e32 v20, 16, v20
	v_sub_f32_e32 v20, v20, v21
	global_store_short_d16_hi v[22:23], v20, off offset:32
	v_mul_f32_e32 v20, v42, v20
	v_lshrrev_b32_e32 v26, 16, v20
.LBB457_84:
	s_or_b64 exec, exec, s[0:1]
	s_mov_b32 s0, 0x5040100
	v_or_b32_e32 v22, v45, v35
	v_perm_b32 v21, v26, v30, s0
	v_perm_b32 v20, v31, v27, s0
	v_lshlrev_b32_e32 v22, 1, v22
	s_movk_i32 s2, 0x100
	ds_write_b64 v22, v[20:21] offset:45056
	v_and_b32_e32 v20, 7, v0
	v_and_b32_e32 v21, 8, v0
	v_cmp_gt_u32_e32 vcc, s2, v0
	v_lshrrev_b32_e32 v0, 1, v0
	v_lshlrev_b32_e32 v26, 3, v20
	v_lshlrev_b32_e32 v48, 7, v20
	v_mov_b32_e32 v20, 0x4000
	v_mov_b32_e32 v22, 0x2000
	v_lshlrev_b32_e32 v24, 3, v1
	v_and_b32_e32 v0, 24, v0
	v_cndmask_b32_e32 v27, v20, v22, vcc
	v_xor_b32_e32 v20, v24, v0
	v_or_b32_e32 v22, 0x440, v20
	v_cmp_eq_u32_e32 vcc, 0, v21
	v_or_b32_e32 v28, 32, v0
	v_xor_b32_e32 v28, v24, v28
	v_cndmask_b32_e32 v20, v22, v20, vcc
	v_or_b32_e32 v20, v20, v39
	v_xor_b32_e32 v49, v20, v26
	v_or_b32_e32 v29, 0x440, v28
	v_add3_u32 v25, v27, v49, v48
	v_cndmask_b32_e32 v28, v29, v28, vcc
	v_or_b32_e32 v29, 64, v0
	v_or_b32_e32 v0, 0x60, v0
	s_waitcnt lgkmcnt(0)
	s_barrier
	v_xor_b32_e32 v29, v24, v29
	v_xor_b32_e32 v0, v24, v0
	ds_read_b64 v[24:25], v25
	v_xor_b32_e32 v30, 0x440, v29
	ds_read2_b64 v[20:23], v19 offset1:16
	v_cndmask_b32_e32 v29, v30, v29, vcc
	v_xor_b32_e32 v30, 0x440, v0
	v_or_b32_e32 v28, v28, v39
	v_or_b32_e32 v29, v29, v39
	v_cndmask_b32_e32 v0, v30, v0, vcc
	s_add_i32 s0, s17, s51
	v_xor_b32_e32 v50, v28, v26
	v_xor_b32_e32 v51, v29, v26
	v_or_b32_e32 v0, v0, v39
	s_mul_hi_i32 s1, s0, s25
	v_add3_u32 v28, v27, v50, v48
	v_add3_u32 v29, v27, v51, v48
	v_xor_b32_e32 v52, v0, v26
	s_mul_i32 s0, s0, s25
	v_add3_u32 v0, v27, v52, v48
	ds_read_b64 v[26:27], v28
	ds_read_b64 v[42:43], v29
	;; [unrolled: 1-line block ×3, first 2 shown]
	s_add_u32 s0, s0, s33
	ds_read2st64_b64 v[28:31], v19 offset0:2 offset1:4
	ds_read2st64_b64 v[38:41], v18 offset0:2 offset1:4
	s_waitcnt lgkmcnt(5)
	v_mfma_f32_16x16x16_bf16 a[0:3], v[24:25], v[20:21], 0
	s_addc_u32 s1, s1, s50
	s_lshl_b64 s[0:1], s[0:1], 9
	s_add_u32 s0, s8, s0
	v_mfma_f32_16x16x16_bf16 a[4:7], v[24:25], v[22:23], 0
	s_addc_u32 s1, s9, s1
	v_lshlrev_b32_e32 v0, 2, v36
	ds_read_b64 v[36:37], v19 offset:3072
	ds_read_b64 v[46:47], v18 offset:3072
	s_waitcnt lgkmcnt(3)
	v_mfma_f32_16x16x16_bf16 a[0:3], v[26:27], v[28:29], a[0:3]
	s_waitcnt lgkmcnt(2)
	v_mfma_f32_16x16x16_bf16 a[4:7], v[26:27], v[38:39], a[4:7]
	global_load_dwordx4 v[24:27], v0, s[0:1]
	v_lshlrev_b32_e32 v0, 6, v1
	v_lshlrev_b32_e32 v1, 2, v34
	v_or3_b32 v0, v0, v1, s2
	global_load_dwordx4 v[32:35], v0, s[0:1]
	v_mfma_f32_16x16x16_bf16 a[0:3], v[42:43], v[30:31], a[0:3]
	v_mov_b32_e32 v0, 0x3fb8aa3b
	v_mul_f32_e32 v0, s16, v0
	s_waitcnt vmcnt(1)
	v_mul_f32_e32 v18, 0x3fb8aa3b, v26
	v_mfma_f32_16x16x16_bf16 a[4:7], v[42:43], v[40:41], a[4:7]
	v_exp_f32_e32 v42, v0
	v_mul_f32_e32 v0, 0x3fb8aa3b, v24
	v_exp_f32_e32 v24, v18
	s_waitcnt lgkmcnt(1)
	v_mfma_f32_16x16x16_bf16 a[0:3], v[44:45], v[36:37], a[0:3]
	v_add_u32_e32 v18, v49, v48
	v_mul_f32_e32 v19, 0x3fb8aa3b, v27
	v_mul_f32_e32 v1, 0x3fb8aa3b, v25
	v_exp_f32_e32 v0, v0
	v_exp_f32_e32 v1, v1
	;; [unrolled: 1-line block ×3, first 2 shown]
	v_pk_mul_f32 v[0:1], v[42:43], v[0:1] op_sel_hi:[0,1]
	v_accvgpr_read_b32 v27, a3
	v_accvgpr_read_b32 v26, a2
	s_waitcnt lgkmcnt(0)
	v_mfma_f32_16x16x16_bf16 a[2:5], v[44:45], v[46:47], a[4:7]
	ds_read_b64 v[44:45], v18 offset:16384
	v_accvgpr_read_b32 v19, a1
	v_accvgpr_read_b32 v18, a0
	v_pk_fma_f32 v[18:19], v[2:3], v[0:1], v[18:19]
	v_add_u32_e32 v2, v50, v48
	v_add_u32_e32 v50, v52, v48
	s_waitcnt lgkmcnt(0)
	v_mfma_f32_16x16x16_bf16 a[6:9], v[44:45], v[20:21], 0
	v_add_u32_e32 v43, v51, v48
	ds_read_b64 v[2:3], v2 offset:16384
	ds_read_b64 v[48:49], v43 offset:16384
	;; [unrolled: 1-line block ×3, first 2 shown]
	v_pk_mul_f32 v[24:25], v[42:43], v[24:25] op_sel_hi:[0,1]
	v_pk_fma_f32 v[20:21], v[4:5], v[24:25], v[26:27]
	v_accvgpr_read_b32 v4, a2
	v_mfma_f32_16x16x16_bf16 a[10:13], v[44:45], v[22:23], 0
	v_fma_f32 v26, v10, v0, v4
	v_accvgpr_read_b32 v0, a3
	v_fma_f32 v27, v11, v1, v0
	s_waitcnt lgkmcnt(2)
	v_mfma_f32_16x16x16_bf16 a[0:3], v[2:3], v[28:29], a[6:9]
	v_accvgpr_read_b32 v0, a4
	v_accvgpr_read_b32 v29, a5
	v_fma_f32 v28, v12, v24, v0
	v_mfma_f32_16x16x16_bf16 a[4:7], v[2:3], v[38:39], a[10:13]
	s_waitcnt vmcnt(0)
	v_mov_b32_e32 v0, v33
	v_mov_b32_e32 v1, v34
	;; [unrolled: 1-line block ×3, first 2 shown]
	s_waitcnt lgkmcnt(1)
	v_mfma_f32_16x16x16_bf16 a[0:3], v[48:49], v[30:31], a[0:3]
	v_mul_f32_e32 v0, 0x3fb8aa3b, v0
	v_exp_f32_e32 v5, v0
	v_mul_f32_e32 v0, 0x3fb8aa3b, v1
	v_mfma_f32_16x16x16_bf16 a[4:7], v[48:49], v[40:41], a[4:7]
	v_mul_f32_e32 v1, 0x3fb8aa3b, v2
	v_mul_f32_e32 v3, 0x3fb8aa3b, v32
	v_exp_f32_e32 v0, v0
	s_waitcnt lgkmcnt(0)
	v_mfma_f32_16x16x16_bf16 a[0:3], v[50:51], v[36:37], a[0:3]
	v_exp_f32_e32 v1, v1
	v_exp_f32_e32 v4, v3
	v_fmac_f32_e32 v29, v13, v25
	v_pk_mul_f32 v[0:1], v[42:43], v[0:1] op_sel_hi:[0,1]
	v_pk_mul_f32 v[4:5], v[42:43], v[4:5] op_sel_hi:[0,1]
	s_nop 1
	v_accvgpr_read_b32 v3, a3
	v_accvgpr_read_b32 v2, a2
	v_mfma_f32_16x16x16_bf16 a[2:5], v[50:51], v[46:47], a[4:7]
	v_pk_fma_f32 v[24:25], v[8:9], v[0:1], v[2:3]
	v_accvgpr_read_b32 v11, a1
	v_accvgpr_read_b32 v10, a0
	v_pk_fma_f32 v[22:23], v[6:7], v[4:5], v[10:11]
	s_nop 2
	v_accvgpr_read_b32 v2, a2
	v_fma_f32 v30, v14, v4, v2
	v_accvgpr_read_b32 v2, a3
	v_fma_f32 v31, v15, v5, v2
	v_accvgpr_read_b32 v2, a4
	v_accvgpr_read_b32 v33, a5
	v_fma_f32 v32, v16, v0, v2
	v_fmac_f32_e32 v33, v17, v1
	v_mov_b64_e32 v[2:3], v[18:19]
	v_mov_b64_e32 v[4:5], v[20:21]
	;; [unrolled: 1-line block ×8, first 2 shown]
.LBB457_85:
	s_add_u32 s0, s10, s34
	s_addc_u32 s1, s11, s35
	v_lshl_add_u64 v[0:1], v[66:67], 2, s[0:1]
	v_mov_b32_e32 v63, 0
	v_lshl_add_u64 v[0:1], v[0:1], 0, v[62:63]
	global_store_dwordx4 v[0:1], v[2:5], off
	global_store_dwordx4 v[0:1], v[6:9], off offset:256
	v_lshl_add_u64 v[0:1], v[64:65], 2, s[0:1]
	v_lshl_add_u64 v[0:1], v[0:1], 0, v[62:63]
	global_store_dwordx4 v[0:1], v[10:13], off
	global_store_dwordx4 v[0:1], v[14:17], off offset:256
	s_endpgm
	.section	.rodata,"a",@progbits
	.p2align	6, 0x0
	.amdhsa_kernel _ZN12_GLOBAL__N_139chunk_gated_delta_rule_fwd_h_hip_kernelILi32ELb1ELb1ELb1ELb0ELb0ELb1ELb1ELb0EEEvPK12hip_bfloat16S3_S3_PKfS5_PKvPS1_S8_PvPKiSB_iiiiilll
		.amdhsa_group_segment_fixed_size 49152
		.amdhsa_private_segment_fixed_size 0
		.amdhsa_kernarg_size 136
		.amdhsa_user_sgpr_count 2
		.amdhsa_user_sgpr_dispatch_ptr 0
		.amdhsa_user_sgpr_queue_ptr 0
		.amdhsa_user_sgpr_kernarg_segment_ptr 1
		.amdhsa_user_sgpr_dispatch_id 0
		.amdhsa_user_sgpr_kernarg_preload_length 0
		.amdhsa_user_sgpr_kernarg_preload_offset 0
		.amdhsa_user_sgpr_private_segment_size 0
		.amdhsa_uses_dynamic_stack 0
		.amdhsa_enable_private_segment 0
		.amdhsa_system_sgpr_workgroup_id_x 1
		.amdhsa_system_sgpr_workgroup_id_y 1
		.amdhsa_system_sgpr_workgroup_id_z 0
		.amdhsa_system_sgpr_workgroup_info 0
		.amdhsa_system_vgpr_workitem_id 0
		.amdhsa_next_free_vgpr 172
		.amdhsa_next_free_sgpr 76
		.amdhsa_accum_offset 148
		.amdhsa_reserve_vcc 1
		.amdhsa_float_round_mode_32 0
		.amdhsa_float_round_mode_16_64 0
		.amdhsa_float_denorm_mode_32 3
		.amdhsa_float_denorm_mode_16_64 3
		.amdhsa_dx10_clamp 1
		.amdhsa_ieee_mode 1
		.amdhsa_fp16_overflow 0
		.amdhsa_tg_split 0
		.amdhsa_exception_fp_ieee_invalid_op 0
		.amdhsa_exception_fp_denorm_src 0
		.amdhsa_exception_fp_ieee_div_zero 0
		.amdhsa_exception_fp_ieee_overflow 0
		.amdhsa_exception_fp_ieee_underflow 0
		.amdhsa_exception_fp_ieee_inexact 0
		.amdhsa_exception_int_div_zero 0
	.end_amdhsa_kernel
	.section	.text._ZN12_GLOBAL__N_139chunk_gated_delta_rule_fwd_h_hip_kernelILi32ELb1ELb1ELb1ELb0ELb0ELb1ELb1ELb0EEEvPK12hip_bfloat16S3_S3_PKfS5_PKvPS1_S8_PvPKiSB_iiiiilll,"axG",@progbits,_ZN12_GLOBAL__N_139chunk_gated_delta_rule_fwd_h_hip_kernelILi32ELb1ELb1ELb1ELb0ELb0ELb1ELb1ELb0EEEvPK12hip_bfloat16S3_S3_PKfS5_PKvPS1_S8_PvPKiSB_iiiiilll,comdat
.Lfunc_end457:
	.size	_ZN12_GLOBAL__N_139chunk_gated_delta_rule_fwd_h_hip_kernelILi32ELb1ELb1ELb1ELb0ELb0ELb1ELb1ELb0EEEvPK12hip_bfloat16S3_S3_PKfS5_PKvPS1_S8_PvPKiSB_iiiiilll, .Lfunc_end457-_ZN12_GLOBAL__N_139chunk_gated_delta_rule_fwd_h_hip_kernelILi32ELb1ELb1ELb1ELb0ELb0ELb1ELb1ELb0EEEvPK12hip_bfloat16S3_S3_PKfS5_PKvPS1_S8_PvPKiSB_iiiiilll
                                        ; -- End function
	.section	.AMDGPU.csdata,"",@progbits
; Kernel info:
; codeLenInByte = 10040
; NumSgprs: 82
; NumVgprs: 148
; NumAgprs: 24
; TotalNumVgprs: 172
; ScratchSize: 0
; MemoryBound: 0
; FloatMode: 240
; IeeeMode: 1
; LDSByteSize: 49152 bytes/workgroup (compile time only)
; SGPRBlocks: 10
; VGPRBlocks: 21
; NumSGPRsForWavesPerEU: 82
; NumVGPRsForWavesPerEU: 172
; AccumOffset: 148
; Occupancy: 1
; WaveLimiterHint : 1
; COMPUTE_PGM_RSRC2:SCRATCH_EN: 0
; COMPUTE_PGM_RSRC2:USER_SGPR: 2
; COMPUTE_PGM_RSRC2:TRAP_HANDLER: 0
; COMPUTE_PGM_RSRC2:TGID_X_EN: 1
; COMPUTE_PGM_RSRC2:TGID_Y_EN: 1
; COMPUTE_PGM_RSRC2:TGID_Z_EN: 0
; COMPUTE_PGM_RSRC2:TIDIG_COMP_CNT: 0
; COMPUTE_PGM_RSRC3_GFX90A:ACCUM_OFFSET: 36
; COMPUTE_PGM_RSRC3_GFX90A:TG_SPLIT: 0
	.section	.text._ZN12_GLOBAL__N_139chunk_gated_delta_rule_fwd_h_hip_kernelILi32ELb1ELb1ELb0ELb0ELb0ELb1ELb1ELb0EEEvPK12hip_bfloat16S3_S3_PKfS5_PKvPS1_S8_PvPKiSB_iiiiilll,"axG",@progbits,_ZN12_GLOBAL__N_139chunk_gated_delta_rule_fwd_h_hip_kernelILi32ELb1ELb1ELb0ELb0ELb0ELb1ELb1ELb0EEEvPK12hip_bfloat16S3_S3_PKfS5_PKvPS1_S8_PvPKiSB_iiiiilll,comdat
	.globl	_ZN12_GLOBAL__N_139chunk_gated_delta_rule_fwd_h_hip_kernelILi32ELb1ELb1ELb0ELb0ELb0ELb1ELb1ELb0EEEvPK12hip_bfloat16S3_S3_PKfS5_PKvPS1_S8_PvPKiSB_iiiiilll ; -- Begin function _ZN12_GLOBAL__N_139chunk_gated_delta_rule_fwd_h_hip_kernelILi32ELb1ELb1ELb0ELb0ELb0ELb1ELb1ELb0EEEvPK12hip_bfloat16S3_S3_PKfS5_PKvPS1_S8_PvPKiSB_iiiiilll
	.p2align	8
	.type	_ZN12_GLOBAL__N_139chunk_gated_delta_rule_fwd_h_hip_kernelILi32ELb1ELb1ELb0ELb0ELb0ELb1ELb1ELb0EEEvPK12hip_bfloat16S3_S3_PKfS5_PKvPS1_S8_PvPKiSB_iiiiilll,@function
_ZN12_GLOBAL__N_139chunk_gated_delta_rule_fwd_h_hip_kernelILi32ELb1ELb1ELb0ELb0ELb0ELb1ELb1ELb0EEEvPK12hip_bfloat16S3_S3_PKfS5_PKvPS1_S8_PvPKiSB_iiiiilll: ; @_ZN12_GLOBAL__N_139chunk_gated_delta_rule_fwd_h_hip_kernelILi32ELb1ELb1ELb0ELb0ELb0ELb1ELb1ELb0EEEvPK12hip_bfloat16S3_S3_PKfS5_PKvPS1_S8_PvPKiSB_iiiiilll
; %bb.0:
	s_load_dwordx4 s[12:15], s[0:1], 0x5c
	s_abs_i32 s6, s3
	s_ashr_i32 s5, s3, 31
	s_load_dwordx4 s[16:19], s[0:1], 0x20
	s_load_dwordx2 s[38:39], s[0:1], 0x30
	v_and_b32_e32 v77, 15, v0
	s_waitcnt lgkmcnt(0)
	s_abs_i32 s4, s13
	v_cvt_f32_u32_e32 v1, s4
	s_sub_i32 s8, 0, s4
	s_ashr_i32 s7, s13, 31
	s_xor_b32 s5, s5, s7
	v_rcp_iflag_f32_e32 v1, v1
	v_bfe_u32 v76, v0, 4, 2
	v_mov_b32_e32 v63, 0
	v_lshlrev_b32_e32 v78, 3, v0
	v_mul_f32_e32 v1, 0x4f7ffffe, v1
	v_cvt_u32_f32_e32 v1, v1
	s_nop 0
	v_readfirstlane_b32 s9, v1
	s_mul_i32 s8, s8, s9
	s_mul_hi_u32 s8, s9, s8
	s_add_i32 s9, s9, s8
	s_mul_hi_u32 s8, s6, s9
	s_mul_i32 s9, s8, s4
	s_sub_i32 s6, s6, s9
	s_add_i32 s10, s8, 1
	s_sub_i32 s9, s6, s4
	s_cmp_ge_u32 s6, s4
	s_cselect_b32 s8, s10, s8
	s_cselect_b32 s6, s9, s6
	s_add_i32 s9, s8, 1
	s_cmp_ge_u32 s6, s4
	s_cselect_b32 s6, s9, s8
	s_xor_b32 s6, s6, s5
	s_sub_i32 s56, s6, s5
	s_mul_i32 s6, s56, s13
	s_sub_i32 s33, s3, s6
	s_abs_i32 s3, s14
	v_cvt_f32_u32_e32 v1, s3
	s_add_i32 s8, s12, 63
	s_ashr_i32 s9, s8, 31
	s_lshr_b32 s5, s9, 26
	v_rcp_iflag_f32_e32 v1, v1
	s_ashr_i32 s55, s12, 31
	s_add_i32 s8, s8, s5
	s_lshr_b32 s5, s55, 26
	v_mul_f32_e32 v1, 0x4f7ffffe, v1
	v_cvt_u32_f32_e32 v1, v1
	s_add_i32 s5, s12, s5
	s_ashr_i32 s58, s14, 31
	s_ashr_i32 s24, s8, 6
	;; [unrolled: 1-line block ×3, first 2 shown]
	s_xor_b32 s5, s7, s58
	s_sub_i32 s7, 0, s3
	v_readfirstlane_b32 s8, v1
	s_mul_i32 s7, s7, s8
	s_mul_hi_u32 s7, s8, s7
	s_add_i32 s8, s8, s7
	s_mul_hi_u32 s7, s4, s8
	s_mul_i32 s8, s7, s3
	s_sub_i32 s4, s4, s8
	s_lshl_b32 s2, s2, 5
	s_add_i32 s8, s7, 1
	s_sub_i32 s9, s4, s3
	s_cmp_ge_u32 s4, s3
	s_cselect_b32 s7, s8, s7
	s_cselect_b32 s4, s9, s4
	s_add_i32 s8, s7, 1
	s_cmp_ge_u32 s4, s3
	s_cselect_b32 s3, s8, s7
	s_xor_b32 s3, s3, s5
	s_sub_i32 s3, s3, s5
	s_abs_i32 s4, s3
	v_cvt_f32_u32_e32 v1, s4
	s_sub_i32 s7, 0, s4
	s_abs_i32 s5, s33
	s_xor_b32 s3, s33, s3
	v_rcp_iflag_f32_e32 v2, v1
	s_ashr_i32 s3, s3, 31
	v_lshrrev_b32_e32 v1, 6, v0
	v_or_b32_e32 v68, s2, v77
	v_mul_f32_e32 v2, 0x4f7ffffe, v2
	v_cvt_u32_f32_e32 v2, v2
	v_lshlrev_b32_e32 v61, 4, v1
	v_lshlrev_b32_e32 v66, 7, v68
	v_lshl_or_b32 v80, v76, 2, v61
	v_readfirstlane_b32 s8, v2
	s_mul_i32 s7, s7, s8
	s_mul_hi_u32 s7, s8, s7
	s_add_i32 s8, s8, s7
	s_mul_hi_u32 s7, s5, s8
	s_mul_i32 s8, s7, s4
	s_sub_i32 s5, s5, s8
	s_add_i32 s8, s7, 1
	s_sub_i32 s9, s5, s4
	s_cmp_ge_u32 s5, s4
	s_cselect_b32 s7, s8, s7
	s_cselect_b32 s5, s9, s5
	s_add_i32 s8, s7, 1
	s_cmp_ge_u32 s5, s4
	s_cselect_b32 s4, s8, s7
	s_xor_b32 s4, s4, s3
	s_sub_i32 s59, s4, s3
	s_ashr_i32 s3, s56, 31
	s_ashr_i32 s48, s33, 31
	s_mul_hi_i32 s4, s56, s13
	s_add_u32 s40, s6, s33
	s_addc_u32 s41, s4, s48
	s_lshl_b64 s[28:29], s[40:41], 16
	s_add_u32 s4, s18, s28
	s_addc_u32 s5, s19, s29
	v_ashrrev_i32_e32 v67, 31, v66
	v_lshl_add_u64 v[2:3], v[66:67], 2, s[4:5]
	v_lshlrev_b32_e32 v62, 2, v80
	v_or_b32_e32 v64, 0x800, v66
	v_lshl_add_u64 v[10:11], v[2:3], 0, v[62:63]
	v_ashrrev_i32_e32 v65, 31, v64
	global_load_dwordx4 v[2:5], v[10:11], off
	global_load_dwordx4 v[6:9], v[10:11], off offset:256
	v_lshl_add_u64 v[10:11], v[64:65], 2, s[4:5]
	v_lshl_add_u64 v[10:11], v[10:11], 0, v[62:63]
	global_load_dwordx4 v[18:21], v[10:11], off
	global_load_dwordx4 v[22:25], v[10:11], off offset:256
	s_load_dwordx2 s[18:19], s[0:1], 0x40
	s_load_dwordx8 s[4:11], s[0:1], 0x0
	s_load_dwordx2 s[30:31], s[0:1], 0x80
	s_load_dwordx4 s[20:23], s[0:1], 0x70
	v_and_b32_e32 v63, 63, v0
	s_mul_i32 s49, s56, s12
	s_mul_i32 s60, s56, s24
	v_or_b32_e32 v81, 64, v80
	s_cmp_lt_i32 s12, 64
	v_lshrrev_b32_e32 v79, 3, v63
	s_mul_i32 s61, s41, s12
	s_mul_hi_u32 s62, s40, s12
	s_mul_i32 s42, s40, s12
	s_waitcnt lgkmcnt(0)
	s_mul_i32 s41, s56, s21
	s_mul_hi_u32 s51, s56, s20
	s_mul_i32 s52, s3, s20
	s_mul_i32 s34, s56, s20
	;; [unrolled: 1-line block ×3, first 2 shown]
	s_mul_hi_u32 s53, s33, s22
	s_mul_i32 s54, s48, s22
	s_mul_i32 s36, s33, s22
	s_cbranch_scc1 .LBB458_3
; %bb.1:
	s_add_i32 s43, s62, s61
	s_lshl_b64 s[0:1], s[42:43], 8
	v_and_b32_e32 v83, 56, v78
	s_add_u32 s20, s6, s0
	v_lshl_or_b32 v82, v1, 3, v79
	v_lshlrev_b32_e32 v10, 1, v83
	s_addc_u32 s0, s7, s1
	v_lshl_or_b32 v84, v82, 8, v10
	s_and_b32 s21, s0, 0xffff
	s_mov_b32 s23, 0x20000
	s_movk_i32 s22, 0x4000
	s_movk_i32 s0, 0x80
	v_or_b32_e32 v85, 0x2000, v84
	buffer_load_dwordx4 v[12:15], v84, s[20:23], 0 offen
	buffer_load_dwordx4 v[26:29], v84, s[20:23], s0 offen
	;; [unrolled: 1-line block ×4, first 2 shown]
	v_lshlrev_b32_e32 v11, 3, v82
	v_and_or_b32 v17, v0, 7, v11
	v_and_b32_e32 v11, 0x78, v11
	v_lshlrev_b32_e32 v17, 4, v17
	v_xor_b32_e32 v86, v17, v11
	v_mul_lo_u32 v16, v82, s15
	v_or_b32_e32 v87, 0x1000, v86
	v_xor_b32_e32 v11, 8, v86
	s_cmpk_eq_i32 s15, 0x80
	s_mov_b32 s63, s14
	v_xor_b32_e32 v17, 8, v87
	s_cselect_b64 s[0:1], -1, 0
	s_cmpk_lg_i32 s15, 0x80
	s_waitcnt vmcnt(3)
	ds_write_b64 v86, v[12:13] offset:24576
	ds_write_b64 v11, v[14:15] offset:24576
	s_waitcnt vmcnt(2)
	ds_write_b64 v86, v[26:27] offset:32768
	ds_write_b64 v11, v[28:29] offset:32768
	;; [unrolled: 3-line block ×4, first 2 shown]
	v_lshl_add_u32 v11, v16, 1, v83
	s_cbranch_scc0 .LBB458_4
; %bb.2:
	v_lshlrev_b32_e32 v13, 1, v11
	v_add_lshl_u32 v12, v11, s15, 1
	s_lshl_b32 s22, s15, 7
	v_lshl_or_b32 v10, v82, 9, v10
	s_cbranch_execz .LBB458_5
	s_branch .LBB458_6
.LBB458_3:
	s_waitcnt vmcnt(0)
	v_mov_b32_e32 v17, v25
	v_mov_b32_e32 v16, v24
	;; [unrolled: 1-line block ×5, first 2 shown]
	s_branch .LBB458_20
.LBB458_4:
                                        ; implicit-def: $vgpr12
                                        ; implicit-def: $vgpr13
                                        ; implicit-def: $sgpr22
	v_lshl_or_b32 v10, v82, 9, v10
.LBB458_5:
	v_or_b32_e32 v12, 0x100, v10
	s_movk_i32 s22, 0x4000
	v_mov_b32_e32 v13, v10
.LBB458_6:
	s_mul_hi_u32 s20, s14, s12
	s_mul_i32 s21, s58, s12
	s_add_i32 s20, s20, s21
	s_mul_i32 s21, s14, s12
	s_mul_i32 s23, s21, s3
	s_mul_hi_u32 s24, s21, s56
	s_add_i32 s23, s24, s23
	s_mul_i32 s20, s20, s56
	s_add_i32 s23, s23, s20
	s_mul_i32 s21, s21, s56
	s_ashr_i32 s64, s59, 31
	s_add_u32 s20, s21, s59
	s_addc_u32 s21, s23, s64
	s_lshl_b64 s[20:21], s[20:21], 8
	s_add_u32 s20, s4, s20
	s_addc_u32 s21, s5, s21
	s_and_b32 s21, s21, 0xffff
	s_mov_b32 s23, 0x20000
	s_movk_i32 s65, 0x80
	buffer_load_dwordx4 v[14:17], v13, s[20:23], 0 offen
	buffer_load_dwordx4 v[26:29], v13, s[20:23], s65 offen
	;; [unrolled: 1-line block ×4, first 2 shown]
	v_and_b32_e32 v12, 6, v0
	v_lshlrev_b32_e32 v39, 6, v80
	v_or_b32_e32 v41, 16, v77
	v_xor_b32_e32 v42, v82, v12
	v_and_b32_e32 v13, 1, v0
	s_mul_i32 s3, s3, s12
	s_mul_hi_u32 s20, s56, s12
	v_lshl_or_b32 v45, v77, 3, v39
	v_lshl_or_b32 v39, v41, 3, v39
	v_lshlrev_b32_e32 v42, 2, v42
	v_lshlrev_b32_e32 v38, 2, v77
	v_or_b32_e32 v90, 0xa000, v39
	v_or_b32_e32 v91, 0xb000, v39
	v_xor_b32_e32 v39, 0x440, v42
	v_cmp_eq_u32_e32 vcc, 0, v13
	s_add_i32 s69, s20, s3
	s_add_i32 s3, s51, s41
	v_xor_b32_e32 v43, v80, v38
	v_xor_b32_e32 v44, v81, v38
	v_cndmask_b32_e32 v13, v39, v42, vcc
	s_add_i32 s35, s3, s52
	s_add_i32 s3, s53, s50
	s_mov_b32 s67, 0x1000504
	v_lshlrev_b32_e32 v40, 8, v77
	v_lshlrev_b32_e32 v43, 1, v43
	;; [unrolled: 1-line block ×3, first 2 shown]
	v_lshl_or_b32 v12, v12, 10, v13
	s_add_i32 s37, s3, s54
	s_lshl_b64 s[20:21], s[34:35], 2
	s_mov_b32 s68, 0x3020706
	v_or_b32_e32 v88, 0xa000, v45
	v_or_b32_e32 v89, 0xb000, v45
	;; [unrolled: 1-line block ×4, first 2 shown]
	v_xor_b32_e32 v13, 8, v12
	v_xor_b32_e32 v40, 24, v12
	;; [unrolled: 1-line block ×4, first 2 shown]
	s_add_u32 s3, s10, s20
	v_xor_b32_e32 v39, 16, v12
	v_xor_b32_e32 v42, 32, v12
	;; [unrolled: 1-line block ×3, first 2 shown]
	v_add_u32_e32 v13, 0x80, v13
	v_add_u32_e32 v40, 0x80, v40
	;; [unrolled: 1-line block ×4, first 2 shown]
	s_addc_u32 s22, s11, s21
	s_lshl_b64 s[20:21], s[36:37], 2
	s_add_u32 s44, s3, s20
	s_movk_i32 s3, 0xf8
	s_addc_u32 s45, s22, s21
	s_lshl_b32 s26, s15, 7
	s_movk_i32 s24, 0x100
	v_mov_b32_e32 v71, 0
	v_lshlrev_b32_e32 v70, 4, v77
	v_cmp_gt_u32_e32 vcc, s24, v0
	v_lshlrev_b32_e32 v41, 8, v41
	v_ashrrev_i32_e32 v69, 31, v68
	s_mov_b32 s66, 0
	v_or_b32_e32 v94, v41, v43
	v_or_b32_e32 v95, v41, v44
	s_movk_i32 s35, 0x1000
	s_movk_i32 s22, 0x4000
	v_lshl_add_u64 v[72:73], v[68:69], 1, s[8:9]
	s_mov_b32 s37, 0x7060302
	v_mov_b32_e32 v118, 0x3fb8aa3b
	s_mov_b32 s71, 0
	s_waitcnt vmcnt(1)
	v_perm_b32 v48, v14, v30, s67
	s_waitcnt vmcnt(0)
	v_perm_b32 v49, v26, v34, s67
	v_perm_b32 v14, v14, v30, s68
	;; [unrolled: 1-line block ×15, first 2 shown]
	ds_write2st64_b32 v12, v48, v49 offset0:32 offset1:64
	ds_write2st64_b32 v13, v14, v26 offset0:32 offset1:64
	;; [unrolled: 1-line block ×8, first 2 shown]
	v_or_b32_e32 v12, v61, v77
	v_lshlrev_b32_e32 v12, 3, v12
	v_lshrrev_b32_e32 v15, 5, v63
	v_and_or_b32 v15, v12, s3, v15
	v_lshlrev_b32_e32 v15, 4, v15
	v_lshlrev_b32_e32 v17, 11, v1
	v_and_b32_e32 v12, 0x78, v12
	v_or_b32_e32 v28, 32, v15
	v_and_b32_e32 v14, 0x1000, v17
	v_lshrrev_b32_e32 v26, 1, v63
	v_xor_b32_e32 v28, v28, v12
	v_xor_b32_e32 v16, v15, v12
	v_and_b32_e32 v26, 8, v26
	v_or_b32_e32 v28, v28, v14
	v_or_b32_e32 v16, v16, v14
	v_lshlrev_b32_e32 v27, 7, v76
	v_xor_b32_e32 v98, v28, v26
	v_or_b32_e32 v28, 64, v15
	v_or_b32_e32 v15, 0x60, v15
	s_ashr_i32 s3, s2, 31
	v_xor_b32_e32 v96, v16, v26
	v_or_b32_e32 v16, v27, v38
	v_xor_b32_e32 v28, v28, v12
	v_xor_b32_e32 v12, v15, v12
	s_lshl_b64 s[20:21], s[2:3], 8
	v_lshlrev_b32_e32 v16, 1, v16
	v_or_b32_e32 v28, v28, v14
	v_or_b32_e32 v12, v12, v14
	s_add_u32 s20, s38, s20
	v_lshlrev_b32_e32 v14, 1, v77
	v_or_b32_e32 v97, 0xa000, v16
	v_or_b32_e32 v99, 0xa080, v16
	;; [unrolled: 1-line block ×4, first 2 shown]
	v_lshrrev_b32_e32 v16, 4, v0
	s_addc_u32 s21, s39, s21
	v_or_b32_e32 v15, 1, v14
	v_mov_b32_e32 v33, 0x4000
	v_mov_b32_e32 v34, 0x2000
	v_lshrrev_b32_e32 v35, 1, v0
	v_xor_b32_e32 v100, v28, v26
	v_xor_b32_e32 v101, v12, v26
	;; [unrolled: 1-line block ×4, first 2 shown]
	v_lshl_add_u64 v[14:15], s[20:21], 0, v[70:71]
	v_lshlrev_b32_e32 v70, 8, v16
	v_cndmask_b32_e32 v33, v33, v34, vcc
	v_lshlrev_b32_e32 v34, 3, v1
	v_and_b32_e32 v35, 24, v35
	v_lshl_or_b32 v104, v26, 3, v70
	v_and_b32_e32 v26, 8, v0
	v_xor_b32_e32 v36, v34, v35
	v_or_b32_e32 v37, 0x440, v36
	v_cmp_eq_u32_e32 vcc, 0, v26
	v_and_b32_e32 v16, 7, v0
	v_lshl_or_b32 v105, v30, 3, v70
	v_cndmask_b32_e32 v26, v37, v36, vcc
	v_lshlrev_b32_e32 v30, 3, v16
	v_lshlrev_b32_e32 v32, 2, v0
	v_or_b32_e32 v26, v26, v17
	v_xor_b32_e32 v36, v26, v30
	v_and_or_b32 v26, v32, 60, v27
	v_mov_b32_e32 v27, 0xb000
	v_lshl_or_b32 v106, v26, 1, v27
	v_or_b32_e32 v26, 32, v35
	v_xor_b32_e32 v26, v34, v26
	v_or_b32_e32 v27, 0x440, v26
	v_cndmask_b32_e32 v26, v27, v26, vcc
	v_or_b32_e32 v26, v26, v17
	v_xor_b32_e32 v27, v26, v30
	v_or_b32_e32 v26, 64, v35
	v_xor_b32_e32 v26, v34, v26
	v_xor_b32_e32 v38, 0x440, v26
	v_cndmask_b32_e32 v26, v38, v26, vcc
	v_or_b32_e32 v26, v26, v17
	v_xor_b32_e32 v38, v26, v30
	v_or_b32_e32 v26, 0x60, v35
	v_xor_b32_e32 v26, v34, v26
	v_xor_b32_e32 v34, 0x440, v26
	v_cndmask_b32_e32 v26, v34, v26, vcc
	v_lshrrev_b32_e32 v13, 2, v63
	v_or_b32_e32 v17, v26, v17
	v_and_b32_e32 v13, 12, v13
	v_xor_b32_e32 v17, v17, v30
	v_lshlrev_b32_e32 v12, 7, v80
	v_lshlrev_b32_e32 v28, 1, v11
	v_add_lshl_u32 v11, v11, s15, 1
	v_or_b32_e32 v29, 0x100, v10
	v_lshlrev_b32_e32 v31, 7, v16
	v_or_b32_e32 v16, v13, v61
	v_add_u32_e32 v37, v33, v36
	v_add_u32_e32 v32, v33, v27
	v_add_u32_e32 v39, v33, v38
	v_add_u32_e32 v30, v33, v17
	v_or3_b32 v26, v61, v13, 64
	v_add_u32_e32 v13, 0x4000, v36
	v_add_u32_e32 v27, 0x4000, v27
	;; [unrolled: 1-line block ×4, first 2 shown]
	v_cndmask_b32_e64 v107, v28, v10, s[0:1]
	v_cndmask_b32_e64 v108, v11, v29, s[0:1]
	v_lshl_add_u64 v[74:75], v[14:15], 0, v[70:71]
	s_add_i32 s3, s49, 63
	v_lshlrev_b32_e32 v70, 1, v12
	v_lshlrev_b32_e32 v69, 2, v16
	v_add_u32_e32 v109, v37, v31
	v_add_u32_e32 v110, v32, v31
	;; [unrolled: 1-line block ×4, first 2 shown]
	v_lshlrev_b32_e32 v113, 2, v26
	v_add_u32_e32 v114, v13, v31
	v_add_u32_e32 v115, v27, v31
	;; [unrolled: 1-line block ×4, first 2 shown]
	s_waitcnt lgkmcnt(0)
	s_barrier
.LBB458_7:                              ; =>This Inner Loop Header: Depth=1
	s_add_i32 s70, s71, 1
	s_cmp_lt_i32 s70, s57
	s_mov_b64 s[24:25], 0
	s_cselect_b64 s[46:47], -1, 0
	s_cmp_ge_i32 s70, s57
	s_mov_b64 s[20:21], 0
	s_cbranch_scc1 .LBB458_9
; %bb.8:                                ;   in Loop: Header=BB458_7 Depth=1
	s_add_i32 s0, s66, 64
	s_add_u32 s0, s42, s0
	s_addc_u32 s1, s43, 0
	s_lshl_b64 s[0:1], s[0:1], 8
	s_add_u32 s20, s6, s0
	s_addc_u32 s21, s7, s1
.LBB458_9:                              ;   in Loop: Header=BB458_7 Depth=1
	v_cndmask_b32_e64 v10, 0, 1, s[46:47]
	v_cmp_ne_u32_e64 s[0:1], 1, v10
	s_andn2_b64 vcc, exec, s[46:47]
	s_cbranch_vccnz .LBB458_11
; %bb.10:                               ;   in Loop: Header=BB458_7 Depth=1
	s_add_i32 s24, s66, 64
	s_add_u32 s24, s49, s24
	s_addc_u32 s25, s69, 0
	s_mul_i32 s27, s24, s58
	s_mul_hi_u32 s46, s24, s63
	s_add_i32 s27, s46, s27
	s_mul_i32 s25, s25, s63
	s_add_i32 s27, s27, s25
	s_mul_i32 s24, s24, s63
	s_add_u32 s24, s24, s59
	s_addc_u32 s25, s27, s64
	s_lshl_b64 s[24:25], s[24:25], 8
	s_add_u32 s24, s4, s24
	s_addc_u32 s25, s5, s25
.LBB458_11:                             ;   in Loop: Header=BB458_7 Depth=1
	v_perm_b32 v11, v5, v4, s37
	v_perm_b32 v10, v3, v2, s37
	;; [unrolled: 1-line block ×4, first 2 shown]
	ds_write_b64 v88, v[10:11]
	ds_write_b64 v89, v[12:13]
	ds_write_b64 v92, v[10:11]
	ds_write_b64 v93, v[12:13]
	v_perm_b32 v11, v21, v20, s37
	v_perm_b32 v10, v19, v18, s37
	;; [unrolled: 1-line block ×4, first 2 shown]
	ds_write_b64 v90, v[10:11]
	ds_write_b64 v91, v[12:13]
	;; [unrolled: 1-line block ×4, first 2 shown]
	s_waitcnt lgkmcnt(0)
	s_barrier
	ds_read_b64 v[14:15], v96 offset:24576
	ds_read2_b64 v[10:13], v97 offset1:16
	ds_read_b64 v[26:27], v99 offset:3072
	ds_read_b64 v[28:29], v97 offset:3072
	;; [unrolled: 1-line block ×3, first 2 shown]
	s_waitcnt lgkmcnt(3)
	v_mfma_f32_16x16x16_bf16 a[0:3], v[14:15], v[10:11], 0
	s_add_i32 s27, s66, 63
	s_mul_i32 s46, s27, s31
	s_mul_hi_u32 s47, s27, s30
	v_mfma_f32_16x16x16_bf16 a[4:7], v[14:15], v[12:13], 0
	ds_read2st64_b64 v[10:13], v97 offset0:2 offset1:4
	ds_read2st64_b64 v[14:17], v99 offset0:2 offset1:4
	s_add_i32 s47, s47, s46
	s_waitcnt lgkmcnt(1)
	v_mfma_f32_16x16x16_bf16 a[0:3], v[30:31], v[10:11], a[0:3]
	s_mul_i32 s46, s27, s30
	s_lshl_b64 s[46:47], s[46:47], 2
	s_add_u32 s46, s44, s46
	s_waitcnt lgkmcnt(0)
	v_mfma_f32_16x16x16_bf16 a[4:7], v[30:31], v[14:15], a[4:7]
	ds_read_b64 v[10:11], v100 offset:24576
	ds_read_b64 v[14:15], v101 offset:24576
	s_addc_u32 s47, s45, s47
	s_and_b64 vcc, exec, s[0:1]
	s_waitcnt lgkmcnt(1)
	v_mfma_f32_16x16x16_bf16 a[0:3], v[10:11], v[12:13], a[0:3]
	v_mov_b32_e32 v121, 0
	v_mov_b32_e32 v120, 0
	;; [unrolled: 1-line block ×3, first 2 shown]
	v_mfma_f32_16x16x16_bf16 a[4:7], v[10:11], v[16:17], a[4:7]
	v_mov_b32_e32 v10, 0
	v_mov_b32_e32 v11, 0
	;; [unrolled: 1-line block ×3, first 2 shown]
	s_waitcnt lgkmcnt(0)
	v_mfma_f32_16x16x16_bf16 a[0:3], v[14:15], v[28:29], a[0:3]
	v_mov_b32_e32 v13, 0
	v_mov_b32_e32 v16, 0
	;; [unrolled: 1-line block ×3, first 2 shown]
	v_mfma_f32_16x16x16_bf16 a[4:7], v[14:15], v[26:27], a[4:7]
	v_mov_b32_e32 v14, 0
	v_mov_b32_e32 v15, 0
	;; [unrolled: 1-line block ×10, first 2 shown]
	s_cbranch_vccnz .LBB458_13
; %bb.12:                               ;   in Loop: Header=BB458_7 Depth=1
	s_and_b32 s21, s21, 0xffff
	buffer_load_dwordx4 v[30:33], v84, s[20:23], 0 offen
	buffer_load_dwordx4 v[26:29], v84, s[20:23], s65 offen
	;; [unrolled: 1-line block ×4, first 2 shown]
	v_mov_b32_e32 v120, v86
	v_mov_b32_e32 v119, v87
.LBB458_13:                             ;   in Loop: Header=BB458_7 Depth=1
	ds_read_b64 v[38:39], v96 offset:32768
	ds_read2_b64 v[34:37], v102 offset1:16
	ds_read_b64 v[42:43], v98 offset:32768
	ds_read_b64 v[44:45], v100 offset:32768
	;; [unrolled: 1-line block ×3, first 2 shown]
	v_add_u32_e32 v48, s66, v80
	s_waitcnt lgkmcnt(3)
	v_mfma_f32_16x16x16_bf16 a[0:3], v[38:39], v[34:35], a[0:3]
	v_mul_lo_u32 v49, v48, s31
	v_mov_b32_e32 v122, 0
	v_mfma_f32_16x16x16_bf16 a[4:7], v[38:39], v[36:37], a[4:7]
	ds_read2st64_b64 v[34:37], v102 offset0:2 offset1:4
	ds_read2st64_b64 v[38:41], v103 offset0:2 offset1:4
	s_waitcnt lgkmcnt(1)
	v_mfma_f32_16x16x16_bf16 a[0:3], v[42:43], v[34:35], a[0:3]
	v_ashrrev_i32_e32 v34, 31, v48
	v_mul_lo_u32 v50, v34, s30
	v_mad_u64_u32 v[34:35], s[20:21], v48, s30, 0
	v_mfma_f32_16x16x16_bf16 a[0:3], v[44:45], v[36:37], a[0:3]
	v_add_u32_e32 v36, 1, v48
	v_ashrrev_i32_e32 v37, 31, v36
	v_add3_u32 v35, v35, v49, v50
	s_waitcnt lgkmcnt(0)
	v_mfma_f32_16x16x16_bf16 a[4:7], v[42:43], v[38:39], a[4:7]
	v_mul_lo_u32 v38, v37, s30
	v_mul_lo_u32 v39, v36, s31
	v_mad_u64_u32 v[36:37], s[20:21], v36, s30, 0
	v_add3_u32 v37, v37, v39, v38
	v_add_u32_e32 v38, 2, v48
	v_ashrrev_i32_e32 v39, 31, v38
	v_mul_lo_u32 v42, v39, s30
	v_mul_lo_u32 v43, v38, s31
	v_mad_u64_u32 v[38:39], s[20:21], v38, s30, 0
	v_add3_u32 v39, v39, v43, v42
	v_add_u32_e32 v42, 3, v48
	v_ashrrev_i32_e32 v43, 31, v42
	v_mul_lo_u32 v48, v43, s30
	v_mul_lo_u32 v49, v42, s31
	v_mad_u64_u32 v[42:43], s[20:21], v42, s30, 0
	s_add_u32 s20, s42, s66
	s_addc_u32 s21, s43, 0
	s_lshl_b64 s[20:21], s[20:21], 8
	v_lshl_add_u64 v[34:35], v[34:35], 2, s[44:45]
	v_lshl_add_u64 v[36:37], v[36:37], 2, s[44:45]
	v_add3_u32 v43, v43, v49, v48
	v_lshl_add_u64 v[48:49], v[72:73], 0, s[20:21]
	v_lshl_add_u64 v[38:39], v[38:39], 2, s[44:45]
	;; [unrolled: 1-line block ×3, first 2 shown]
	global_load_dword v50, v[34:35], off
	global_load_ushort v51, v[48:49], off offset:256
	global_load_ushort v52, v[48:49], off
	global_load_ushort v53, v[48:49], off offset:768
	global_load_ushort v54, v[48:49], off offset:512
	v_lshl_add_u64 v[34:35], v[42:43], 2, s[44:45]
	global_load_dword v55, v[36:37], off
	global_load_dword v56, v[38:39], off
	;; [unrolled: 1-line block ×3, first 2 shown]
	ds_read_b64 v[34:35], v102 offset:3072
	ds_read_b64 v[36:37], v103 offset:3072
	global_load_ushort v58, v[48:49], off offset:800
	global_load_ushort v59, v[48:49], off offset:544
	;; [unrolled: 1-line block ×3, first 2 shown]
	s_nop 0
	global_load_ushort v48, v[48:49], off offset:32
	s_load_dword s20, s[46:47], 0x0
	v_mfma_f32_16x16x16_bf16 a[4:7], v[44:45], v[40:41], a[4:7]
	s_and_b64 vcc, exec, s[0:1]
	v_mov_b32_e32 v49, 0
	s_waitcnt vmcnt(11) lgkmcnt(0)
	v_sub_f32_e32 v44, s20, v50
	v_mfma_f32_16x16x16_bf16 a[0:3], v[46:47], v[34:35], a[0:3]
	v_mul_f32_e32 v44, 0x3fb8aa3b, v44
	v_exp_f32_e32 v44, v44
	s_waitcnt vmcnt(6)
	v_sub_f32_e32 v45, s20, v55
	v_mfma_f32_16x16x16_bf16 a[4:7], v[46:47], v[36:37], a[4:7]
	s_waitcnt vmcnt(5)
	v_sub_f32_e32 v46, s20, v56
	s_waitcnt vmcnt(4)
	v_sub_f32_e32 v47, s20, v57
	v_mul_f32_e32 v45, 0x3fb8aa3b, v45
	v_mul_f32_e32 v46, 0x3fb8aa3b, v46
	;; [unrolled: 1-line block ×3, first 2 shown]
	v_exp_f32_e32 v45, v45
	v_exp_f32_e32 v46, v46
	;; [unrolled: 1-line block ×3, first 2 shown]
	v_accvgpr_read_b32 v39, a1
	v_accvgpr_read_b32 v35, a3
	;; [unrolled: 1-line block ×4, first 2 shown]
	v_lshlrev_b32_e32 v41, 16, v51
	v_lshlrev_b32_e32 v40, 16, v52
	v_lshlrev_b32_e32 v43, 16, v53
	v_lshlrev_b32_e32 v42, 16, v54
	v_pk_add_f32 v[38:39], v[40:41], v[38:39] neg_lo:[0,1] neg_hi:[0,1]
	v_pk_add_f32 v[34:35], v[42:43], v[34:35] neg_lo:[0,1] neg_hi:[0,1]
	v_pk_mul_f32 v[38:39], v[44:45], v[38:39]
	v_pk_mul_f32 v[34:35], v[46:47], v[34:35]
	v_accvgpr_read_b32 v41, a5
	v_perm_b32 v35, v35, v34, s37
	v_perm_b32 v34, v39, v38, s37
	s_waitcnt vmcnt(1)
	v_lshlrev_b32_e32 v39, 16, v60
	s_waitcnt vmcnt(0)
	v_lshlrev_b32_e32 v38, 16, v48
	v_accvgpr_read_b32 v40, a4
	v_accvgpr_read_b32 v37, a7
	;; [unrolled: 1-line block ×3, first 2 shown]
	v_pk_add_f32 v[38:39], v[38:39], v[40:41] neg_lo:[0,1] neg_hi:[0,1]
	v_lshlrev_b32_e32 v41, 16, v58
	v_lshlrev_b32_e32 v40, 16, v59
	v_pk_add_f32 v[36:37], v[40:41], v[36:37] neg_lo:[0,1] neg_hi:[0,1]
	v_pk_mul_f32 v[38:39], v[44:45], v[38:39]
	v_pk_mul_f32 v[36:37], v[46:47], v[36:37]
	v_mov_b32_e32 v40, 0
	v_perm_b32 v37, v37, v36, s37
	v_perm_b32 v36, v39, v38, s37
	ds_write2_b64 v89, v[34:35], v[36:37] offset1:16
	v_mov_b32_e32 v34, 0
	v_mov_b32_e32 v35, 0
	;; [unrolled: 1-line block ×14, first 2 shown]
	s_cbranch_vccnz .LBB458_15
; %bb.14:                               ;   in Loop: Header=BB458_7 Depth=1
	s_and_b32 s25, s25, 0xffff
	s_mov_b32 s27, s23
	buffer_load_dwordx4 v[46:49], v107, s[24:27], 0 offen
	buffer_load_dwordx4 v[38:41], v107, s[24:27], s65 offen
	;; [unrolled: 1-line block ×4, first 2 shown]
	v_mov_b32_e32 v121, v83
	v_mov_b32_e32 v122, v82
.LBB458_15:                             ;   in Loop: Header=BB458_7 Depth=1
	s_waitcnt lgkmcnt(0)
	s_barrier
	ds_read_b64 v[54:55], v109
	ds_read_b64 v[128:129], v106
	;; [unrolled: 1-line block ×5, first 2 shown]
	ds_read_b64 v[142:143], v103 offset:3072
	ds_read2_b64 v[50:53], v102 offset0:16 offset1:128
	s_waitcnt lgkmcnt(5)
	v_mfma_f32_16x16x16_bf16 a[0:3], v[54:55], v[128:129], 0
	ds_read2st64_b64 v[56:59], v103 offset0:2 offset1:4
	s_add_i32 s21, s60, s71
	s_mul_hi_i32 s25, s21, s13
	s_waitcnt lgkmcnt(1)
	v_mfma_f32_16x16x16_bf16 a[4:7], v[54:55], v[50:51], 0
	ds_read_b64 v[54:55], v114
	s_mul_i32 s21, s21, s13
	s_add_u32 s24, s21, s33
	s_waitcnt lgkmcnt(1)
	v_mfma_f32_16x16x16_bf16 a[4:7], v[130:131], v[56:57], a[4:7]
	s_addc_u32 s25, s25, s48
	s_add_i32 s21, s3, s66
	s_lshl_b64 s[24:25], s[24:25], 15
	s_mul_hi_i32 s27, s21, s13
	s_mul_i32 s21, s21, s13
	s_add_u32 s46, s21, s33
	v_mfma_f32_16x16x16_bf16 a[8:11], v[132:133], v[58:59], a[4:7]
	s_addc_u32 s47, s27, s48
	ds_read2st64_b64 v[124:127], v102 offset0:4 offset1:6
	s_lshl_b64 s[46:47], s[46:47], 9
	s_waitcnt lgkmcnt(1)
	v_mfma_f32_16x16x16_bf16 a[4:7], v[54:55], v[128:129], 0
	s_add_u32 s46, s16, s46
	s_addc_u32 s47, s17, s47
	v_mfma_f32_16x16x16_bf16 a[0:3], v[130:131], v[52:53], a[0:3]
	ds_read_b64 v[130:131], v115
	ds_read_b64 v[138:139], v116
	;; [unrolled: 1-line block ×3, first 2 shown]
	v_mfma_f32_16x16x16_bf16 a[12:15], v[54:55], v[50:51], 0
	s_waitcnt lgkmcnt(2)
	v_mfma_f32_16x16x16_bf16 a[4:7], v[130:131], v[52:53], a[4:7]
	global_load_dwordx4 v[50:53], v113, s[46:47]
	v_mfma_f32_16x16x16_bf16 a[12:15], v[130:131], v[56:57], a[12:15]
	global_load_dwordx4 v[54:57], v69, s[46:47]
	ds_read2st64_b64 v[128:131], v104 offset1:8
	s_waitcnt lgkmcnt(0)
	v_mov_b32_e32 v136, v128
	v_mfma_f32_16x16x16_bf16 a[0:3], v[132:133], v[124:125], a[0:3]
	ds_read2st64_b64 v[132:135], v105 offset1:8
	v_mov_b32_e32 v137, v129
	v_mfma_f32_16x16x16_bf16 a[16:19], v[138:139], v[124:125], a[4:7]
	v_lshl_add_u64 v[124:125], v[74:75], 0, s[24:25]
	v_mfma_f32_16x16x16_bf16 a[20:23], v[138:139], v[58:59], a[12:15]
	v_add_co_u32_e32 v58, vcc, s35, v124
	s_waitcnt lgkmcnt(0)
	v_mov_b32_e32 v138, v132
	v_mfma_f32_16x16x16_bf16 a[4:7], v[140:141], v[126:127], a[0:3]
	v_mov_b32_e32 v139, v133
	v_mov_b32_e32 v132, v130
	;; [unrolled: 1-line block ×3, first 2 shown]
	v_mfma_f32_16x16x16_bf16 a[8:11], v[140:141], v[142:143], a[8:11]
	v_addc_co_u32_e32 v59, vcc, 0, v125, vcc
	global_store_dwordx4 v[58:59], v[132:135], off
	v_mfma_f32_16x16x16_bf16 a[12:15], v[144:145], v[126:127], a[16:19]
	s_and_b64 vcc, exec, s[0:1]
	global_store_dwordx4 v[124:125], v[136:139], off
	s_waitcnt vmcnt(3)
	v_mov_b32_e32 v60, v53
	v_mfma_f32_16x16x16_bf16 a[0:3], v[144:145], v[142:143], a[20:23]
	v_mov_b32_e32 v59, v52
	v_mov_b32_e32 v58, v51
	s_cbranch_vccnz .LBB458_17
; %bb.16:                               ;   in Loop: Header=BB458_7 Depth=1
	v_lshrrev_b32_e32 v51, 3, v121
	v_and_b32_e32 v51, 6, v51
	v_xor_b32_e32 v52, v51, v122
	v_lshlrev_b32_e32 v52, 2, v52
	v_and_b32_e32 v53, 8, v121
	v_xor_b32_e32 v121, 0x440, v52
	v_cmp_eq_u32_e32 vcc, 0, v53
	v_perm_b32 v53, v38, v34, s67
	s_nop 0
	v_cndmask_b32_e32 v52, v121, v52, vcc
	v_lshl_or_b32 v51, v51, 10, v52
	v_perm_b32 v52, v46, v42, s67
	s_barrier
	ds_write2st64_b32 v51, v52, v53 offset0:32 offset1:64
	v_xor_b32_e32 v52, 8, v51
	v_perm_b32 v42, v46, v42, s68
	v_perm_b32 v34, v38, v34, s68
	v_add_u32_e32 v38, 0x80, v52
	ds_write2st64_b32 v38, v42, v34 offset0:32 offset1:64
	v_xor_b32_e32 v34, 16, v51
	v_perm_b32 v38, v47, v43, s67
	v_perm_b32 v42, v39, v35, s67
	ds_write2st64_b32 v34, v38, v42 offset0:33 offset1:65
	v_xor_b32_e32 v34, 24, v51
	v_perm_b32 v38, v47, v43, s68
	v_perm_b32 v35, v39, v35, s68
	v_add_u32_e32 v34, 0x80, v34
	ds_write2st64_b32 v34, v38, v35 offset0:33 offset1:65
	v_xor_b32_e32 v34, 32, v51
	v_perm_b32 v35, v48, v44, s67
	v_perm_b32 v38, v40, v36, s67
	;; [unrolled: 9-line block ×3, first 2 shown]
	ds_write2st64_b32 v34, v35, v36 offset0:35 offset1:67
	v_xor_b32_e32 v34, 56, v51
	v_perm_b32 v35, v49, v45, s68
	v_perm_b32 v36, v41, v37, s68
	v_add_u32_e32 v34, 0x80, v34
	ds_write2st64_b32 v34, v35, v36 offset0:35 offset1:67
	ds_write_b64 v120, v[30:31] offset:24576
	v_xor_b32_e32 v30, 8, v120
	ds_write_b64 v30, v[32:33] offset:24576
	ds_write_b64 v120, v[26:27] offset:32768
	;; [unrolled: 1-line block ×4, first 2 shown]
	v_xor_b32_e32 v14, 8, v119
	ds_write_b64 v14, v[16:17] offset:24576
	ds_write_b64 v119, v[10:11] offset:32768
	;; [unrolled: 1-line block ×3, first 2 shown]
.LBB458_17:                             ;   in Loop: Header=BB458_7 Depth=1
	v_mul_f32_e32 v14, s20, v118
	v_exp_f32_e32 v34, v14
	s_waitcnt vmcnt(2)
	v_mul_f32_e32 v14, 0x3fb8aa3b, v54
	v_exp_f32_e32 v36, v14
	v_mul_f32_e32 v14, 0x3fb8aa3b, v55
	v_exp_f32_e32 v37, v14
	v_mul_f32_e32 v14, 0x3fb8aa3b, v56
	v_exp_f32_e32 v38, v14
	v_mul_f32_e32 v14, 0x3fb8aa3b, v57
	v_exp_f32_e32 v39, v14
	v_accvgpr_read_b32 v29, a7
	v_accvgpr_read_b32 v27, a5
	;; [unrolled: 1-line block ×4, first 2 shown]
	v_pk_mul_f32 v[36:37], v[34:35], v[36:37] op_sel_hi:[0,1]
	v_accvgpr_read_b32 v12, a10
	v_pk_fma_f32 v[2:3], v[2:3], v[36:37], v[26:27]
	v_pk_mul_f32 v[26:27], v[34:35], v[38:39] op_sel_hi:[0,1]
	v_accvgpr_read_b32 v28, a6
	v_accvgpr_read_b32 v11, a9
	;; [unrolled: 1-line block ×3, first 2 shown]
	v_fma_f32 v20, v20, v26, v12
	v_mul_f32_e32 v12, 0x3fb8aa3b, v59
	v_pk_fma_f32 v[4:5], v[4:5], v[26:27], v[28:29]
	v_fma_f32 v18, v18, v36, v10
	v_fma_f32 v19, v19, v37, v11
	v_mul_f32_e32 v10, 0x3fb8aa3b, v50
	v_mul_f32_e32 v11, 0x3fb8aa3b, v58
	v_exp_f32_e32 v28, v12
	v_mul_f32_e32 v12, 0x3fb8aa3b, v60
	v_exp_f32_e32 v10, v10
	v_exp_f32_e32 v11, v11
	;; [unrolled: 1-line block ×3, first 2 shown]
	v_accvgpr_read_b32 v33, a15
	v_accvgpr_read_b32 v17, a3
	;; [unrolled: 1-line block ×8, first 2 shown]
	v_fmac_f32_e32 v13, v21, v27
	v_pk_mul_f32 v[10:11], v[34:35], v[10:11] op_sel_hi:[0,1]
	v_pk_mul_f32 v[26:27], v[34:35], v[28:29] op_sel_hi:[0,1]
	s_add_i32 s66, s66, 64
	v_pk_fma_f32 v[6:7], v[6:7], v[10:11], v[30:31]
	v_pk_fma_f32 v[8:9], v[8:9], v[26:27], v[32:33]
	v_fma_f32 v22, v22, v10, v14
	v_fma_f32 v23, v23, v11, v15
	v_fma_f32 v24, v24, v26, v16
	s_cmp_eq_u32 s57, s70
	v_fmac_f32_e32 v17, v25, v27
	s_cbranch_scc1 .LBB458_19
; %bb.18:                               ;   in Loop: Header=BB458_7 Depth=1
	s_mov_b32 s71, s70
	v_mov_b32_e32 v21, v13
	v_mov_b32_e32 v25, v17
	s_branch .LBB458_7
.LBB458_19:
	v_mov_b32_e32 v16, v24
	v_mov_b32_e32 v15, v23
	;; [unrolled: 1-line block ×3, first 2 shown]
.LBB458_20:
	s_lshl_b32 s43, s57, 6
	s_sub_i32 s46, s12, s43
	v_mov_b32_e32 v12, v20
	v_mov_b32_e32 v11, v19
	;; [unrolled: 1-line block ×3, first 2 shown]
	s_cmp_gt_i32 s46, 0
	s_cbranch_scc0 .LBB458_85
; %bb.21:
	s_ashr_i32 s3, s43, 31
	s_cmpk_lg_i32 s15, 0x80
	s_cselect_b64 s[26:27], -1, 0
	s_and_b64 vcc, exec, s[26:27]
	s_cbranch_vccz .LBB458_23
; %bb.22:
	s_mul_hi_i32 s0, s56, s12
	s_add_u32 s1, s49, s43
	s_addc_u32 s0, s0, s3
	s_mul_i32 s20, s1, s58
	s_mul_hi_u32 s21, s1, s14
	s_add_i32 s20, s21, s20
	s_mul_i32 s0, s0, s14
	s_add_i32 s20, s20, s0
	s_mul_i32 s1, s1, s14
	s_ashr_i32 s0, s59, 31
	s_add_u32 s44, s1, s59
	s_addc_u32 s45, s20, s0
	s_cbranch_execz .LBB458_24
	s_branch .LBB458_25
.LBB458_23:
                                        ; implicit-def: $sgpr44_sgpr45
.LBB458_24:
	s_mul_hi_i32 s0, s56, s14
	s_mul_i32 s56, s56, s14
	s_ashr_i32 s1, s59, 31
	s_add_u32 s14, s56, s59
	s_addc_u32 s0, s0, s1
	s_mul_i32 s1, s14, s55
	s_mul_hi_u32 s20, s14, s12
	s_add_i32 s1, s20, s1
	s_mul_i32 s0, s0, s12
	s_add_i32 s1, s1, s0
	s_mul_i32 s14, s14, s12
	s_add_u32 s44, s14, s43
	s_addc_u32 s45, s1, s3
.LBB458_25:
	s_mul_i32 s0, s40, s55
	s_add_i32 s0, s62, s0
	s_add_i32 s14, s60, s57
	;; [unrolled: 1-line block ×3, first 2 shown]
	s_add_u32 s0, s42, s43
	v_lshlrev_b32_e32 v22, 5, v80
	v_lshlrev_b32_e32 v38, 2, v77
	s_addc_u32 s1, s1, s3
	s_mov_b32 s3, 0x7060302
	v_or_b32_e32 v25, v22, v38
	v_xor_b32_e32 v23, v80, v38
	v_perm_b32 v19, v5, v4, s3
	v_perm_b32 v18, v3, v2, s3
	;; [unrolled: 1-line block ×4, first 2 shown]
	v_lshlrev_b32_e32 v25, 1, v25
	v_xor_b32_e32 v24, v81, v38
	ds_write2st64_b64 v25, v[18:19], v[20:21] offset0:80 offset1:88
	v_lshlrev_b32_e32 v23, 1, v23
	v_lshlrev_b32_e32 v25, 8, v77
	s_lshl_b64 s[24:25], s[0:1], 8
	v_or_b32_e32 v26, v23, v25
	v_lshlrev_b32_e32 v24, 1, v24
	s_add_u32 s0, s6, s24
	ds_write_b64 v26, v[18:19]
	v_or_b32_e32 v18, v24, v25
	s_addc_u32 s1, s7, s25
	ds_write_b64 v18, v[20:21]
	v_perm_b32 v19, v13, v12, s3
	v_perm_b32 v18, v11, v10, s3
	;; [unrolled: 1-line block ×4, first 2 shown]
	v_or_b32_e32 v25, 16, v77
	s_mul_hi_i32 s3, s14, s13
	s_mul_i32 s14, s14, s13
	v_lshlrev_b32_e32 v35, 2, v25
	s_add_u32 s6, s14, s33
	v_or_b32_e32 v22, v22, v35
	s_addc_u32 s7, s3, s48
	v_lshlrev_b32_e32 v22, 1, v22
	s_ashr_i32 s3, s2, 31
	s_lshl_b64 s[6:7], s[6:7], 15
	ds_write2st64_b64 v22, v[18:19], v[20:21] offset0:80 offset1:88
	v_lshlrev_b32_e32 v22, 8, v25
	s_add_u32 s6, s38, s6
	v_or_b32_e32 v23, v23, v22
	s_addc_u32 s7, s39, s7
	s_lshl_b64 s[2:3], s[2:3], 8
	ds_write_b64 v23, v[18:19]
	v_or_b32_e32 v18, v24, v22
	s_add_u32 s2, s6, s2
	ds_write_b64 v18, v[20:21]
	v_lshrrev_b32_e32 v18, 4, v0
	s_addc_u32 s3, s7, s3
	v_lshlrev_b32_e32 v19, 1, v77
	v_lshlrev_b32_e32 v26, 4, v77
	v_mov_b32_e32 v27, 0
	v_or_b32_e32 v20, 1, v19
	v_xor_b32_e32 v19, v18, v19
	v_lshl_add_u64 v[28:29], s[2:3], 0, v[26:27]
	v_lshlrev_b32_e32 v26, 8, v18
	v_xor_b32_e32 v22, v20, v18
	v_lshl_or_b32 v18, v19, 3, v26
	s_waitcnt lgkmcnt(0)
	s_barrier
	ds_read2st64_b64 v[18:21], v18 offset1:8
	v_lshl_or_b32 v22, v22, 3, v26
	ds_read2st64_b64 v[22:25], v22 offset1:8
	v_lshl_add_u64 v[30:31], v[28:29], 0, v[26:27]
	s_movk_i32 s2, 0x1000
	s_waitcnt lgkmcnt(1)
	v_mov_b32_e32 v26, v18
	v_add_co_u32_e32 v18, vcc, s2, v30
	s_cmp_lg_u32 s46, 64
	v_mov_b32_e32 v27, v19
	v_addc_co_u32_e32 v19, vcc, 0, v31, vcc
	s_cselect_b64 s[6:7], -1, 0
	v_lshl_or_b32 v42, v1, 3, v79
	s_waitcnt lgkmcnt(0)
	v_mov_b32_e32 v28, v22
	v_mov_b32_e32 v29, v23
	;; [unrolled: 1-line block ×4, first 2 shown]
	s_mov_b32 s20, 0
	v_or_b32_e32 v36, 32, v42
	v_and_b32_e32 v34, 56, v78
	s_and_b64 vcc, exec, s[6:7]
	global_store_dwordx4 v[30:31], v[26:29], off
	global_store_dwordx4 v[18:19], v[22:25], off
	s_cbranch_vccz .LBB458_31
; %bb.26:
	s_mov_b32 s22, s20
	s_mov_b32 s23, s20
	;; [unrolled: 1-line block ×3, first 2 shown]
	v_mov_b64_e32 v[24:25], s[22:23]
	v_mov_b64_e32 v[22:23], s[20:21]
	v_mov_b64_e32 v[18:19], v[22:23]
	v_cmp_gt_i32_e32 vcc, s46, v42
	v_mov_b64_e32 v[20:21], v[24:25]
	s_and_saveexec_b64 s[2:3], vcc
	s_cbranch_execz .LBB458_28
; %bb.27:
	v_lshlrev_b32_e32 v18, 8, v42
	v_mov_b32_e32 v19, 0
	v_lshl_add_u64 v[20:21], s[0:1], 0, v[18:19]
	v_lshlrev_b32_e32 v18, 1, v34
	v_lshl_add_u64 v[26:27], v[20:21], 0, v[18:19]
	global_load_dwordx4 v[22:25], v[26:27], off
	global_load_dwordx4 v[18:21], v[26:27], off offset:128
.LBB458_28:
	s_or_b64 exec, exec, s[2:3]
	s_mov_b32 s22, s20
	s_mov_b32 s23, s20
	;; [unrolled: 1-line block ×3, first 2 shown]
	v_mov_b64_e32 v[32:33], s[22:23]
	v_mov_b64_e32 v[30:31], s[20:21]
	;; [unrolled: 1-line block ×3, first 2 shown]
	v_cmp_gt_i32_e32 vcc, s46, v36
	v_lshlrev_b32_e32 v37, 7, v36
	v_mov_b64_e32 v[28:29], v[32:33]
	s_and_saveexec_b64 s[2:3], vcc
	s_cbranch_execz .LBB458_30
; %bb.29:
	v_lshlrev_b32_e32 v26, 1, v37
	v_mov_b32_e32 v27, 0
	v_lshl_add_u64 v[28:29], s[0:1], 0, v[26:27]
	v_lshlrev_b32_e32 v26, 1, v34
	v_lshl_add_u64 v[40:41], v[28:29], 0, v[26:27]
	global_load_dwordx4 v[30:33], v[40:41], off
	global_load_dwordx4 v[26:29], v[40:41], off offset:128
.LBB458_30:
	s_or_b64 exec, exec, s[2:3]
	v_lshrrev_b32_e32 v39, 3, v34
	v_lshlrev_b32_e32 v40, 3, v42
	v_or_b32_e32 v39, v40, v39
	v_lshlrev_b32_e32 v39, 4, v39
	v_and_b32_e32 v40, 0x78, v40
	v_xor_b32_e32 v39, v39, v40
	s_branch .LBB458_33
.LBB458_31:
                                        ; implicit-def: $vgpr39
                                        ; implicit-def: $vgpr37
                                        ; implicit-def: $vgpr22_vgpr23_vgpr24_vgpr25
                                        ; implicit-def: $vgpr18_vgpr19_vgpr20_vgpr21
                                        ; implicit-def: $vgpr30_vgpr31_vgpr32_vgpr33
                                        ; implicit-def: $vgpr26_vgpr27_vgpr28_vgpr29
	s_cbranch_execz .LBB458_33
; %bb.32:
	s_waitcnt vmcnt(0)
	v_lshlrev_b32_e32 v18, 1, v34
	v_lshl_or_b32 v37, v42, 8, v18
	s_and_b32 s1, s1, 0xffff
	s_mov_b32 s3, 0x20000
	s_movk_i32 s2, 0x4000
	v_lshl_or_b32 v39, v36, 8, v18
	s_movk_i32 s14, 0x80
	buffer_load_dwordx4 v[22:25], v37, s[0:3], 0 offen
	buffer_load_dwordx4 v[18:21], v37, s[0:3], s14 offen
	;; [unrolled: 1-line block ×4, first 2 shown]
	v_lshrrev_b32_e32 v37, 3, v34
	v_lshlrev_b32_e32 v39, 3, v42
	v_or_b32_e32 v37, v39, v37
	v_lshlrev_b32_e32 v37, 4, v37
	v_and_b32_e32 v39, 0x78, v39
	v_xor_b32_e32 v39, v37, v39
	v_lshlrev_b32_e32 v37, 7, v36
.LBB458_33:
	s_lshl_b64 s[0:1], s[44:45], 8
	s_add_u32 s4, s4, s0
	s_movk_i32 s0, 0x1000
	v_and_or_b32 v36, v37, s0, v39
	s_waitcnt vmcnt(1)
	ds_write_b64 v39, v[22:23] offset:24576
	v_xor_b32_e32 v22, 8, v39
	ds_write_b64 v22, v[24:25] offset:24576
	s_waitcnt vmcnt(0)
	ds_write_b64 v39, v[18:19] offset:32768
	ds_write_b64 v22, v[20:21] offset:32768
	;; [unrolled: 1-line block ×3, first 2 shown]
	v_xor_b32_e32 v18, 8, v36
	ds_write_b64 v18, v[32:33] offset:24576
	ds_write_b64 v36, v[26:27] offset:32768
	;; [unrolled: 1-line block ×3, first 2 shown]
	v_or_b32_e32 v18, v61, v77
	v_lshlrev_b32_e32 v18, 3, v18
	v_lshrrev_b32_e32 v19, 5, v63
	s_movk_i32 s2, 0xf8
	v_and_or_b32 v19, v18, s2, v19
	v_lshlrev_b32_e32 v23, 4, v19
	v_lshlrev_b32_e32 v39, 11, v1
	v_and_b32_e32 v24, 0x78, v18
	v_or_b32_e32 v26, 32, v23
	v_and_b32_e32 v22, 0x1000, v39
	v_lshrrev_b32_e32 v19, 1, v63
	v_xor_b32_e32 v26, v26, v24
	v_xor_b32_e32 v18, v23, v24
	v_and_b32_e32 v25, 8, v19
	v_or_b32_e32 v26, v26, v22
	v_or_b32_e32 v18, v18, v22
	v_xor_b32_e32 v44, v26, v25
	v_or_b32_e32 v26, 64, v23
	v_xor_b32_e32 v43, v18, v25
	v_xor_b32_e32 v26, v26, v24
	s_waitcnt lgkmcnt(0)
	s_barrier
	v_or_b32_e32 v28, v26, v22
	ds_read_b64 v[26:27], v43 offset:24576
	v_lshl_or_b32 v36, v76, 7, v38
	v_lshlrev_b32_e32 v40, 1, v36
	v_add_u32_e32 v18, 0xa000, v40
	ds_read2_b64 v[18:21], v18 offset1:16
	v_or_b32_e32 v23, 0x60, v23
	v_xor_b32_e32 v23, v23, v24
	s_waitcnt lgkmcnt(0)
	v_mfma_f32_16x16x16_bf16 a[0:3], v[26:27], v[18:19], 0
	v_or_b32_e32 v18, 64, v36
	v_or_b32_e32 v22, v23, v22
	v_lshlrev_b32_e32 v41, 1, v18
	v_xor_b32_e32 v45, v28, v25
	v_xor_b32_e32 v46, v22, v25
	ds_read_b64 v[28:29], v44 offset:24576
	ds_read_b64 v[30:31], v45 offset:24576
	;; [unrolled: 1-line block ×3, first 2 shown]
	v_mfma_f32_16x16x16_bf16 a[4:7], v[26:27], v[20:21], 0
	ds_read2st64_b64 v[18:21], v41 offset0:82 offset1:84
	ds_read2st64_b64 v[22:25], v40 offset0:82 offset1:84
	s_addc_u32 s5, s5, s1
	s_add_i32 s0, s51, s41
	s_add_i32 s14, s12, -1
	s_add_i32 s35, s0, s52
	s_add_i32 s0, s53, s50
	;; [unrolled: 1-line block ×3, first 2 shown]
	s_ashr_i32 s0, s14, 31
	s_mul_i32 s1, s14, s31
	s_mul_hi_u32 s2, s14, s30
	s_add_i32 s1, s2, s1
	s_mul_i32 s0, s0, s30
	s_waitcnt lgkmcnt(1)
	v_mfma_f32_16x16x16_bf16 a[4:7], v[28:29], v[18:19], a[4:7]
	s_add_i32 s1, s1, s0
	s_lshl_b64 s[2:3], s[34:35], 2
	s_add_u32 s10, s10, s2
	s_waitcnt lgkmcnt(0)
	v_mfma_f32_16x16x16_bf16 a[0:3], v[28:29], v[22:23], a[0:3]
	s_addc_u32 s11, s11, s3
	s_lshl_b64 s[2:3], s[36:37], 2
	s_mul_i32 s0, s14, s30
	s_add_u32 s10, s10, s2
	ds_read_b64 v[18:19], v40 offset:44032
	v_mfma_f32_16x16x16_bf16 a[4:7], v[30:31], v[20:21], a[4:7]
	ds_read_b64 v[20:21], v41 offset:44032
	s_addc_u32 s11, s11, s3
	s_lshl_b64 s[0:1], s[0:1], 2
	v_mfma_f32_16x16x16_bf16 a[0:3], v[30:31], v[24:25], a[0:3]
	s_add_u32 s0, s10, s0
	s_addc_u32 s1, s11, s1
	s_load_dword s12, s[0:1], 0x0
	s_waitcnt lgkmcnt(0)
	v_mfma_f32_16x16x16_bf16 a[0:3], v[32:33], v[18:19], a[0:3]
	s_and_b64 vcc, exec, s[26:27]
	v_mfma_f32_16x16x16_bf16 a[4:7], v[32:33], v[20:21], a[4:7]
	s_cbranch_vccz .LBB458_44
; %bb.34:
	v_lshlrev_b32_e32 v36, 1, v42
	s_and_b64 vcc, exec, s[6:7]
	s_cbranch_vccz .LBB458_45
; %bb.35:
	v_cmp_gt_i32_e32 vcc, s46, v36
	v_mov_b32_e32 v22, 0
	v_mov_b32_e32 v18, 0
	;; [unrolled: 1-line block ×5, first 2 shown]
	s_and_saveexec_b64 s[0:1], vcc
	s_cbranch_execz .LBB458_37
; %bb.36:
	v_mad_i64_i32 v[18:19], s[2:3], s15, v36, 0
	v_lshl_add_u64 v[18:19], v[18:19], 1, s[4:5]
	v_lshlrev_b32_e32 v20, 1, v34
	v_mov_b32_e32 v21, 0
	v_lshl_add_u64 v[18:19], v[18:19], 0, v[20:21]
	global_load_dwordx4 v[18:21], v[18:19], off
.LBB458_37:
	s_or_b64 exec, exec, s[0:1]
	v_or_b32_e32 v37, 1, v36
	v_cmp_gt_i32_e64 s[0:1], s46, v37
	v_mov_b32_e32 v23, 0
	v_mov_b32_e32 v24, 0
	;; [unrolled: 1-line block ×3, first 2 shown]
	s_and_saveexec_b64 s[2:3], s[0:1]
	s_cbranch_execz .LBB458_39
; %bb.38:
	v_mad_i64_i32 v[22:23], s[20:21], s15, v37, 0
	v_lshl_add_u64 v[22:23], v[22:23], 1, s[4:5]
	v_lshlrev_b32_e32 v24, 1, v34
	v_mov_b32_e32 v25, 0
	v_lshl_add_u64 v[22:23], v[22:23], 0, v[24:25]
	global_load_dwordx4 v[22:25], v[22:23], off
.LBB458_39:
	s_or_b64 exec, exec, s[2:3]
	v_mov_b32_e32 v33, 0
	v_mov_b32_e32 v26, 0
	;; [unrolled: 1-line block ×5, first 2 shown]
	s_and_saveexec_b64 s[2:3], vcc
	s_cbranch_execz .LBB458_41
; %bb.40:
	v_mad_i64_i32 v[26:27], s[20:21], s15, v36, 0
	v_lshl_add_u64 v[26:27], v[26:27], 1, s[4:5]
	v_lshlrev_b32_e32 v28, 1, v34
	v_mov_b32_e32 v29, 0
	v_lshl_add_u64 v[26:27], v[26:27], 0, v[28:29]
	global_load_dwordx4 v[26:29], v[26:27], off offset:128
.LBB458_41:
	s_or_b64 exec, exec, s[2:3]
	v_mov_b32_e32 v32, 0
	v_mov_b32_e32 v31, 0
	;; [unrolled: 1-line block ×3, first 2 shown]
	s_and_saveexec_b64 s[2:3], s[0:1]
	s_cbranch_execz .LBB458_43
; %bb.42:
	v_mad_i64_i32 v[30:31], s[0:1], s15, v37, 0
	v_lshl_add_u64 v[30:31], v[30:31], 1, s[4:5]
	v_lshlrev_b32_e32 v32, 1, v34
	v_mov_b32_e32 v33, 0
	v_lshl_add_u64 v[30:31], v[30:31], 0, v[32:33]
	global_load_dwordx4 v[30:33], v[30:31], off offset:128
.LBB458_43:
	s_or_b64 exec, exec, s[2:3]
	s_branch .LBB458_47
.LBB458_44:
                                        ; implicit-def: $vgpr21
                                        ; implicit-def: $vgpr25
                                        ; implicit-def: $vgpr29
                                        ; implicit-def: $vgpr33
	v_lshrrev_b32_e32 v47, 2, v63
	s_branch .LBB458_48
.LBB458_45:
                                        ; implicit-def: $vgpr21
                                        ; implicit-def: $vgpr25
                                        ; implicit-def: $vgpr29
                                        ; implicit-def: $vgpr33
	s_cbranch_execz .LBB458_47
; %bb.46:
	s_waitcnt vmcnt(0)
	v_mad_u64_u32 v[18:19], s[0:1], v36, s15, v[34:35]
	v_lshlrev_b32_e32 v36, 1, v18
	s_lshl_b32 s2, s15, 7
	s_and_b32 s1, s5, 0xffff
	s_mov_b32 s3, 0x20000
	s_mov_b32 s0, s4
	v_add_lshl_u32 v37, v18, s15, 1
	s_movk_i32 s15, 0x80
	buffer_load_dwordx4 v[18:21], v36, s[0:3], 0 offen
	buffer_load_dwordx4 v[26:29], v36, s[0:3], s15 offen
	buffer_load_dwordx4 v[22:25], v37, s[0:3], 0 offen
	buffer_load_dwordx4 v[30:33], v37, s[0:3], s15 offen
.LBB458_47:
	v_lshrrev_b32_e32 v47, 2, v63
	s_cbranch_execnz .LBB458_60
.LBB458_48:
	s_and_b64 vcc, exec, s[6:7]
	s_cbranch_vccz .LBB458_58
; %bb.49:
	s_waitcnt vmcnt(0)
	v_lshlrev_b32_e32 v23, 1, v42
	v_cmp_gt_i32_e32 vcc, s46, v23
	v_mov_b32_e32 v22, 0
	v_lshlrev_b32_e32 v30, 9, v42
	v_mov_b32_e32 v18, 0
	v_mov_b32_e32 v19, 0
	;; [unrolled: 1-line block ×4, first 2 shown]
	s_and_saveexec_b64 s[0:1], vcc
	s_cbranch_execz .LBB458_51
; %bb.50:
	v_mov_b32_e32 v31, 0
	v_lshl_add_u64 v[18:19], s[4:5], 0, v[30:31]
	v_lshlrev_b32_e32 v20, 1, v34
	v_mov_b32_e32 v21, v31
	v_lshl_add_u64 v[18:19], v[18:19], 0, v[20:21]
	global_load_dwordx4 v[18:21], v[18:19], off
.LBB458_51:
	s_or_b64 exec, exec, s[0:1]
	v_or_b32_e32 v23, 1, v23
	v_cmp_gt_i32_e64 s[0:1], s46, v23
	v_lshlrev_b32_e32 v36, 8, v23
	v_mov_b32_e32 v23, 0
	v_mov_b32_e32 v24, 0
	;; [unrolled: 1-line block ×3, first 2 shown]
	s_and_saveexec_b64 s[2:3], s[0:1]
	s_cbranch_execz .LBB458_53
; %bb.52:
	v_mov_b32_e32 v37, 0
	v_lshl_add_u64 v[22:23], s[4:5], 0, v[36:37]
	v_lshlrev_b32_e32 v24, 1, v34
	v_mov_b32_e32 v25, v37
	v_lshl_add_u64 v[22:23], v[22:23], 0, v[24:25]
	global_load_dwordx4 v[22:25], v[22:23], off
.LBB458_53:
	s_or_b64 exec, exec, s[2:3]
	v_mov_b32_e32 v33, 0
	v_mov_b32_e32 v26, 0
	;; [unrolled: 1-line block ×5, first 2 shown]
	s_and_saveexec_b64 s[2:3], vcc
	s_cbranch_execz .LBB458_55
; %bb.54:
	v_mov_b32_e32 v31, 0
	v_lshl_add_u64 v[26:27], s[4:5], 0, v[30:31]
	v_lshlrev_b32_e32 v30, 1, v34
	v_lshl_add_u64 v[26:27], v[26:27], 0, v[30:31]
	global_load_dwordx4 v[26:29], v[26:27], off offset:128
.LBB458_55:
	s_or_b64 exec, exec, s[2:3]
	v_mov_b32_e32 v32, 0
	v_mov_b32_e32 v31, 0
	;; [unrolled: 1-line block ×3, first 2 shown]
	s_and_saveexec_b64 s[2:3], s[0:1]
	s_cbranch_execz .LBB458_57
; %bb.56:
	v_mov_b32_e32 v37, 0
	v_lshl_add_u64 v[30:31], s[4:5], 0, v[36:37]
	v_lshlrev_b32_e32 v36, 1, v34
	v_lshl_add_u64 v[30:31], v[30:31], 0, v[36:37]
	global_load_dwordx4 v[30:33], v[30:31], off offset:128
.LBB458_57:
	s_or_b64 exec, exec, s[2:3]
	s_branch .LBB458_60
.LBB458_58:
                                        ; implicit-def: $vgpr21
                                        ; implicit-def: $vgpr25
                                        ; implicit-def: $vgpr29
                                        ; implicit-def: $vgpr33
	s_cbranch_execz .LBB458_60
; %bb.59:
	s_waitcnt vmcnt(0)
	v_lshlrev_b32_e32 v18, 1, v34
	v_lshl_or_b32 v34, v42, 9, v18
	s_and_b32 s5, s5, 0xffff
	s_mov_b32 s7, 0x20000
	s_movk_i32 s6, 0x4000
	s_movk_i32 s0, 0x80
	buffer_load_dwordx4 v[18:21], v34, s[4:7], 0 offen
	buffer_load_dwordx4 v[22:25], v34, s[4:7], 0 offen offset:256
	buffer_load_dwordx4 v[26:29], v34, s[4:7], s0 offen
	buffer_load_dwordx4 v[30:33], v34, s[4:7], s0 offen offset:256
.LBB458_60:
	ds_read_b64 v[36:37], v43 offset:32768
	v_add_u32_e32 v34, 0xb000, v40
	ds_read2_b64 v[48:51], v34 offset1:16
	ds_read_b64 v[56:57], v44 offset:32768
	ds_read_b64 v[44:45], v45 offset:32768
	;; [unrolled: 1-line block ×3, first 2 shown]
	ds_read2st64_b64 v[52:55], v41 offset0:90 offset1:92
	v_and_b32_e32 v43, 6, v0
	v_and_b32_e32 v34, 12, v47
	v_xor_b32_e32 v42, v42, v43
	v_lshlrev_b32_e32 v42, 2, v42
	s_mov_b32 s0, 0x1000504
	s_waitcnt lgkmcnt(4)
	v_mfma_f32_16x16x16_bf16 a[0:3], v[36:37], v[48:49], a[0:3]
	s_mov_b32 s1, 0x3020706
	v_mfma_f32_16x16x16_bf16 a[4:7], v[36:37], v[50:51], a[4:7]
	ds_read2st64_b64 v[48:51], v40 offset0:90 offset1:92
	ds_read_b64 v[36:37], v40 offset:48128
	ds_read_b64 v[46:47], v41 offset:48128
	s_waitcnt lgkmcnt(2)
	v_mfma_f32_16x16x16_bf16 a[0:3], v[56:57], v[48:49], a[0:3]
	v_and_b32_e32 v48, 1, v0
	v_xor_b32_e32 v49, 0x440, v42
	v_cmp_eq_u32_e32 vcc, 0, v48
	v_mfma_f32_16x16x16_bf16 a[4:7], v[56:57], v[52:53], a[4:7]
	s_nop 0
	v_cndmask_b32_e32 v42, v49, v42, vcc
	v_lshl_or_b32 v42, v43, 10, v42
	v_mfma_f32_16x16x16_bf16 a[0:3], v[44:45], v[50:51], a[0:3]
	v_mfma_f32_16x16x16_bf16 a[8:11], v[44:45], v[54:55], a[4:7]
	s_waitcnt lgkmcnt(1)
	v_mfma_f32_16x16x16_bf16 a[4:7], v[58:59], v[36:37], a[0:3]
	s_waitcnt vmcnt(0)
	v_perm_b32 v36, v18, v22, s0
	v_perm_b32 v37, v26, v30, s0
	ds_write2st64_b32 v42, v36, v37 offset0:32 offset1:64
	v_xor_b32_e32 v36, 8, v42
	v_perm_b32 v18, v18, v22, s1
	v_perm_b32 v22, v26, v30, s1
	v_add_u32_e32 v26, 0x80, v36
	ds_write2st64_b32 v26, v18, v22 offset0:32 offset1:64
	v_xor_b32_e32 v18, 16, v42
	v_perm_b32 v22, v19, v23, s0
	v_perm_b32 v26, v27, v31, s0
	ds_write2st64_b32 v18, v22, v26 offset0:33 offset1:65
	v_xor_b32_e32 v18, 24, v42
	v_perm_b32 v19, v19, v23, s1
	v_perm_b32 v22, v27, v31, s1
	v_add_u32_e32 v18, 0x80, v18
	ds_write2st64_b32 v18, v19, v22 offset0:33 offset1:65
	v_xor_b32_e32 v18, 32, v42
	v_perm_b32 v19, v20, v24, s0
	v_perm_b32 v22, v28, v32, s0
	ds_write2st64_b32 v18, v19, v22 offset0:34 offset1:66
	v_xor_b32_e32 v18, 40, v42
	s_waitcnt lgkmcnt(5)
	v_mfma_f32_16x16x16_bf16 a[0:3], v[58:59], v[46:47], a[8:11]
	v_perm_b32 v19, v20, v24, s1
	v_perm_b32 v20, v28, v32, s1
	v_add_u32_e32 v18, 0x80, v18
	ds_write2st64_b32 v18, v19, v20 offset0:34 offset1:66
	v_xor_b32_e32 v18, 48, v42
	v_perm_b32 v19, v21, v25, s0
	v_perm_b32 v20, v29, v33, s0
	ds_write2st64_b32 v18, v19, v20 offset0:35 offset1:67
	v_xor_b32_e32 v18, 56, v42
	v_or_b32_e32 v32, v34, v61
	v_perm_b32 v19, v21, v25, s1
	v_perm_b32 v20, v29, v33, s1
	v_add_u32_e32 v18, 0x80, v18
	v_cmp_gt_i32_e32 vcc, s46, v32
	v_mov_b32_e32 v33, 0
	v_mov_b32_e32 v37, 0
	ds_write2st64_b32 v18, v19, v20 offset0:35 offset1:67
	s_and_saveexec_b64 s[0:1], vcc
	s_cbranch_execz .LBB458_62
; %bb.61:
	v_add_u32_e32 v18, s43, v32
	v_ashrrev_i32_e32 v19, 31, v18
	v_mul_lo_u32 v20, v19, s30
	v_mul_lo_u32 v21, v18, s31
	v_mad_u64_u32 v[18:19], s[2:3], v18, s30, 0
	v_add3_u32 v19, v19, v21, v20
	v_lshl_add_u64 v[18:19], v[18:19], 2, s[10:11]
	global_load_dword v18, v[18:19], off
	s_waitcnt vmcnt(0)
	v_sub_f32_e32 v18, s12, v18
	v_mul_f32_e32 v18, 0x3fb8aa3b, v18
	v_exp_f32_e32 v37, v18
.LBB458_62:
	s_or_b64 exec, exec, s[0:1]
	v_or_b32_e32 v26, 1, v32
	v_cmp_gt_i32_e64 s[0:1], s46, v26
	s_and_saveexec_b64 s[2:3], s[0:1]
	s_cbranch_execz .LBB458_64
; %bb.63:
	v_add_u32_e32 v18, s43, v26
	v_ashrrev_i32_e32 v19, 31, v18
	v_mul_lo_u32 v20, v19, s30
	v_mul_lo_u32 v21, v18, s31
	v_mad_u64_u32 v[18:19], s[4:5], v18, s30, 0
	v_add3_u32 v19, v19, v21, v20
	v_lshl_add_u64 v[18:19], v[18:19], 2, s[10:11]
	global_load_dword v18, v[18:19], off
	s_waitcnt vmcnt(0)
	v_sub_f32_e32 v18, s12, v18
	v_mul_f32_e32 v18, 0x3fb8aa3b, v18
	v_exp_f32_e32 v33, v18
.LBB458_64:
	s_or_b64 exec, exec, s[2:3]
	v_or_b32_e32 v27, 2, v32
	v_cmp_gt_i32_e64 s[2:3], s46, v27
	v_mov_b32_e32 v36, 0
	v_mov_b32_e32 v42, 0
	s_and_saveexec_b64 s[4:5], s[2:3]
	s_cbranch_execz .LBB458_66
; %bb.65:
	v_add_u32_e32 v18, s43, v27
	v_ashrrev_i32_e32 v19, 31, v18
	v_mul_lo_u32 v20, v19, s30
	v_mul_lo_u32 v21, v18, s31
	v_mad_u64_u32 v[18:19], s[6:7], v18, s30, 0
	v_add3_u32 v19, v19, v21, v20
	v_lshl_add_u64 v[18:19], v[18:19], 2, s[10:11]
	global_load_dword v18, v[18:19], off
	s_waitcnt vmcnt(0)
	v_sub_f32_e32 v18, s12, v18
	v_mul_f32_e32 v18, 0x3fb8aa3b, v18
	v_exp_f32_e32 v42, v18
.LBB458_66:
	s_or_b64 exec, exec, s[4:5]
	v_or_b32_e32 v43, 3, v32
	v_cmp_gt_i32_e64 s[4:5], s46, v43
	s_and_saveexec_b64 s[6:7], s[4:5]
	s_cbranch_execz .LBB458_68
; %bb.67:
	v_add_u32_e32 v18, s43, v43
	v_ashrrev_i32_e32 v19, 31, v18
	v_mul_lo_u32 v20, v19, s30
	v_mul_lo_u32 v21, v18, s31
	v_mad_u64_u32 v[18:19], s[20:21], v18, s30, 0
	v_add3_u32 v19, v19, v21, v20
	v_lshl_add_u64 v[18:19], v[18:19], 2, s[10:11]
	global_load_dword v18, v[18:19], off
	s_waitcnt vmcnt(0)
	v_sub_f32_e32 v18, s12, v18
	v_mul_f32_e32 v18, 0x3fb8aa3b, v18
	v_exp_f32_e32 v36, v18
.LBB458_68:
	s_or_b64 exec, exec, s[6:7]
	s_add_u32 s6, s8, s24
	v_accvgpr_read_b32 v21, a7
	s_addc_u32 s7, s9, s25
	v_ashrrev_i32_e32 v69, 31, v68
	v_accvgpr_read_b32 v20, a6
	v_accvgpr_read_b32 v19, a5
	;; [unrolled: 1-line block ×3, first 2 shown]
	v_lshl_add_u64 v[22:23], v[68:69], 1, s[6:7]
	v_mov_b32_e32 v29, 0
	v_lshlrev_b32_e32 v24, 8, v32
	v_mov_b32_e32 v25, 0
	s_and_saveexec_b64 s[6:7], vcc
	s_cbranch_execz .LBB458_70
; %bb.69:
	v_mov_b32_e32 v25, 0
	v_lshl_add_u64 v[30:31], v[22:23], 0, v[24:25]
	global_load_ushort v25, v[30:31], off
	s_waitcnt vmcnt(0)
	v_lshlrev_b32_e32 v25, 16, v25
	v_sub_f32_e32 v18, v25, v18
	v_mul_f32_e32 v18, v37, v18
	v_lshrrev_b32_e32 v25, 16, v18
.LBB458_70:
	s_or_b64 exec, exec, s[6:7]
	v_lshlrev_b32_e32 v28, 8, v26
	s_and_saveexec_b64 s[6:7], s[0:1]
	s_cbranch_execz .LBB458_72
; %bb.71:
	v_mov_b32_e32 v29, 0
	v_lshl_add_u64 v[30:31], v[22:23], 0, v[28:29]
	global_load_ushort v18, v[30:31], off
	s_waitcnt vmcnt(0)
	v_lshlrev_b32_e32 v18, 16, v18
	v_sub_f32_e32 v18, v18, v19
	v_mul_f32_e32 v18, v33, v18
	v_lshrrev_b32_e32 v29, 16, v18
.LBB458_72:
	s_or_b64 exec, exec, s[6:7]
	v_mov_b32_e32 v44, 0
	v_lshlrev_b32_e32 v30, 8, v27
	v_mov_b32_e32 v31, 0
	s_and_saveexec_b64 s[6:7], s[2:3]
	s_cbranch_execz .LBB458_74
; %bb.73:
	v_mov_b32_e32 v31, 0
	v_lshl_add_u64 v[18:19], v[22:23], 0, v[30:31]
	global_load_ushort v18, v[18:19], off
	s_waitcnt vmcnt(0)
	v_lshlrev_b32_e32 v18, 16, v18
	v_sub_f32_e32 v18, v18, v20
	v_mul_f32_e32 v18, v42, v18
	v_lshrrev_b32_e32 v31, 16, v18
.LBB458_74:
	s_or_b64 exec, exec, s[6:7]
	v_lshlrev_b32_e32 v26, 8, v43
	s_and_saveexec_b64 s[6:7], s[4:5]
	s_cbranch_execz .LBB458_76
; %bb.75:
	v_mov_b32_e32 v27, 0
	v_lshl_add_u64 v[18:19], v[22:23], 0, v[26:27]
	global_load_ushort v18, v[18:19], off
	s_waitcnt vmcnt(0)
	v_lshlrev_b32_e32 v18, 16, v18
	v_sub_f32_e32 v18, v18, v21
	v_mul_f32_e32 v18, v36, v18
	v_lshrrev_b32_e32 v44, 16, v18
.LBB458_76:
	s_or_b64 exec, exec, s[6:7]
	v_lshlrev_b32_e32 v43, 5, v32
	s_mov_b32 s6, 0x5040100
	v_perm_b32 v45, v44, v31, s6
	v_perm_b32 v44, v29, v25, s6
	v_or_b32_e32 v25, v43, v38
	v_accvgpr_read_b32 v21, a3
	v_lshlrev_b32_e32 v25, 1, v25
	v_accvgpr_read_b32 v20, a2
	v_accvgpr_read_b32 v19, a1
	;; [unrolled: 1-line block ×3, first 2 shown]
	ds_write_b64 v25, v[44:45] offset:45056
	v_mov_b32_e32 v29, 0
	v_mov_b32_e32 v25, 0
	s_and_saveexec_b64 s[6:7], vcc
	s_cbranch_execz .LBB458_78
; %bb.77:
	v_mov_b32_e32 v25, 0
	v_lshl_add_u64 v[24:25], v[22:23], 0, v[24:25]
	global_load_ushort v24, v[24:25], off offset:32
	s_waitcnt vmcnt(0)
	v_lshlrev_b32_e32 v24, 16, v24
	v_sub_f32_e32 v18, v24, v18
	v_mul_f32_e32 v18, v37, v18
	v_lshrrev_b32_e32 v25, 16, v18
.LBB458_78:
	s_or_b64 exec, exec, s[6:7]
	s_and_saveexec_b64 s[6:7], s[0:1]
	s_cbranch_execz .LBB458_80
; %bb.79:
	v_mov_b32_e32 v29, 0
	v_lshl_add_u64 v[28:29], v[22:23], 0, v[28:29]
	global_load_ushort v18, v[28:29], off offset:32
	s_waitcnt vmcnt(0)
	v_lshlrev_b32_e32 v18, 16, v18
	v_sub_f32_e32 v18, v18, v19
	v_mul_f32_e32 v18, v33, v18
	v_lshrrev_b32_e32 v29, 16, v18
.LBB458_80:
	s_or_b64 exec, exec, s[6:7]
	v_mov_b32_e32 v24, 0
	v_mov_b32_e32 v28, 0
	s_and_saveexec_b64 s[0:1], s[2:3]
	s_cbranch_execz .LBB458_82
; %bb.81:
	v_mov_b32_e32 v31, 0
	v_lshl_add_u64 v[18:19], v[22:23], 0, v[30:31]
	global_load_ushort v18, v[18:19], off offset:32
	s_waitcnt vmcnt(0)
	v_lshlrev_b32_e32 v18, 16, v18
	v_sub_f32_e32 v18, v18, v20
	v_mul_f32_e32 v18, v42, v18
	v_lshrrev_b32_e32 v28, 16, v18
.LBB458_82:
	s_or_b64 exec, exec, s[0:1]
	v_or_b32_e32 v19, 0xb000, v40
	v_or_b32_e32 v18, 0xb000, v41
	s_and_saveexec_b64 s[0:1], s[4:5]
	s_cbranch_execz .LBB458_84
; %bb.83:
	v_mov_b32_e32 v27, 0
	v_lshl_add_u64 v[22:23], v[22:23], 0, v[26:27]
	global_load_ushort v20, v[22:23], off offset:32
	s_waitcnt vmcnt(0)
	v_lshlrev_b32_e32 v20, 16, v20
	v_sub_f32_e32 v20, v20, v21
	v_mul_f32_e32 v20, v36, v20
	v_lshrrev_b32_e32 v24, 16, v20
.LBB458_84:
	s_or_b64 exec, exec, s[0:1]
	s_mov_b32 s0, 0x5040100
	v_or_b32_e32 v22, v43, v35
	v_perm_b32 v21, v24, v28, s0
	v_perm_b32 v20, v29, v25, s0
	v_lshlrev_b32_e32 v22, 1, v22
	s_movk_i32 s2, 0x100
	ds_write_b64 v22, v[20:21] offset:45056
	v_and_b32_e32 v20, 7, v0
	v_and_b32_e32 v21, 8, v0
	v_cmp_gt_u32_e32 vcc, s2, v0
	v_lshrrev_b32_e32 v0, 1, v0
	v_lshlrev_b32_e32 v26, 3, v20
	v_lshlrev_b32_e32 v48, 7, v20
	v_mov_b32_e32 v20, 0x4000
	v_mov_b32_e32 v22, 0x2000
	v_lshlrev_b32_e32 v24, 3, v1
	v_and_b32_e32 v0, 24, v0
	v_cndmask_b32_e32 v27, v20, v22, vcc
	v_xor_b32_e32 v20, v24, v0
	v_or_b32_e32 v22, 0x440, v20
	v_cmp_eq_u32_e32 vcc, 0, v21
	v_or_b32_e32 v28, 32, v0
	v_xor_b32_e32 v28, v24, v28
	v_cndmask_b32_e32 v20, v22, v20, vcc
	v_or_b32_e32 v20, v20, v39
	v_xor_b32_e32 v49, v20, v26
	v_or_b32_e32 v29, 0x440, v28
	v_add3_u32 v25, v27, v49, v48
	v_cndmask_b32_e32 v28, v29, v28, vcc
	v_or_b32_e32 v29, 64, v0
	v_or_b32_e32 v0, 0x60, v0
	s_waitcnt lgkmcnt(0)
	s_barrier
	v_xor_b32_e32 v29, v24, v29
	v_xor_b32_e32 v0, v24, v0
	ds_read_b64 v[24:25], v25
	v_xor_b32_e32 v30, 0x440, v29
	ds_read2_b64 v[20:23], v19 offset1:16
	v_cndmask_b32_e32 v29, v30, v29, vcc
	v_xor_b32_e32 v30, 0x440, v0
	v_or_b32_e32 v28, v28, v39
	v_or_b32_e32 v29, v29, v39
	v_cndmask_b32_e32 v0, v30, v0, vcc
	s_add_i32 s0, s14, s49
	v_xor_b32_e32 v50, v28, v26
	v_xor_b32_e32 v51, v29, v26
	v_or_b32_e32 v0, v0, v39
	s_mul_hi_i32 s1, s0, s13
	v_add3_u32 v28, v27, v50, v48
	v_add3_u32 v29, v27, v51, v48
	v_xor_b32_e32 v52, v0, v26
	s_mul_i32 s0, s0, s13
	v_add3_u32 v0, v27, v52, v48
	ds_read_b64 v[26:27], v28
	ds_read_b64 v[40:41], v29
	ds_read_b64 v[42:43], v0
	s_add_u32 s0, s0, s33
	ds_read2st64_b64 v[28:31], v19 offset0:2 offset1:4
	ds_read2st64_b64 v[36:39], v18 offset0:2 offset1:4
	s_waitcnt lgkmcnt(5)
	v_mfma_f32_16x16x16_bf16 a[0:3], v[24:25], v[20:21], 0
	s_addc_u32 s1, s1, s48
	s_lshl_b64 s[0:1], s[0:1], 9
	s_add_u32 s0, s16, s0
	v_mfma_f32_16x16x16_bf16 a[4:7], v[24:25], v[22:23], 0
	s_addc_u32 s1, s17, s1
	v_lshlrev_b32_e32 v0, 2, v32
	ds_read_b64 v[44:45], v19 offset:3072
	ds_read_b64 v[46:47], v18 offset:3072
	s_waitcnt lgkmcnt(3)
	v_mfma_f32_16x16x16_bf16 a[0:3], v[26:27], v[28:29], a[0:3]
	s_waitcnt lgkmcnt(2)
	v_mfma_f32_16x16x16_bf16 a[4:7], v[26:27], v[36:37], a[4:7]
	global_load_dwordx4 v[24:27], v0, s[0:1]
	v_lshlrev_b32_e32 v0, 6, v1
	v_lshlrev_b32_e32 v1, 2, v34
	v_or3_b32 v0, v0, v1, s2
	global_load_dwordx4 v[32:35], v0, s[0:1]
	v_mfma_f32_16x16x16_bf16 a[0:3], v[40:41], v[30:31], a[0:3]
	v_mov_b32_e32 v0, 0x3fb8aa3b
	v_mul_f32_e32 v0, s12, v0
	s_waitcnt vmcnt(1)
	v_mul_f32_e32 v18, 0x3fb8aa3b, v26
	v_mfma_f32_16x16x16_bf16 a[4:7], v[40:41], v[38:39], a[4:7]
	v_exp_f32_e32 v40, v0
	v_mul_f32_e32 v0, 0x3fb8aa3b, v24
	v_exp_f32_e32 v24, v18
	s_waitcnt lgkmcnt(1)
	v_mfma_f32_16x16x16_bf16 a[0:3], v[42:43], v[44:45], a[0:3]
	v_add_u32_e32 v18, v49, v48
	v_mul_f32_e32 v19, 0x3fb8aa3b, v27
	v_mul_f32_e32 v1, 0x3fb8aa3b, v25
	v_exp_f32_e32 v0, v0
	v_exp_f32_e32 v1, v1
	;; [unrolled: 1-line block ×3, first 2 shown]
	v_pk_mul_f32 v[0:1], v[40:41], v[0:1] op_sel_hi:[0,1]
	v_accvgpr_read_b32 v27, a3
	v_accvgpr_read_b32 v26, a2
	s_waitcnt lgkmcnt(0)
	v_mfma_f32_16x16x16_bf16 a[2:5], v[42:43], v[46:47], a[4:7]
	ds_read_b64 v[42:43], v18 offset:16384
	v_accvgpr_read_b32 v19, a1
	v_accvgpr_read_b32 v18, a0
	v_pk_fma_f32 v[18:19], v[2:3], v[0:1], v[18:19]
	v_add_u32_e32 v2, v50, v48
	v_add_u32_e32 v50, v52, v48
	s_waitcnt lgkmcnt(0)
	v_mfma_f32_16x16x16_bf16 a[6:9], v[42:43], v[20:21], 0
	v_add_u32_e32 v41, v51, v48
	ds_read_b64 v[2:3], v2 offset:16384
	ds_read_b64 v[48:49], v41 offset:16384
	;; [unrolled: 1-line block ×3, first 2 shown]
	v_pk_mul_f32 v[24:25], v[40:41], v[24:25] op_sel_hi:[0,1]
	v_pk_fma_f32 v[20:21], v[4:5], v[24:25], v[26:27]
	v_accvgpr_read_b32 v4, a2
	v_mfma_f32_16x16x16_bf16 a[10:13], v[42:43], v[22:23], 0
	v_fma_f32 v26, v10, v0, v4
	v_accvgpr_read_b32 v0, a3
	v_fma_f32 v27, v11, v1, v0
	s_waitcnt lgkmcnt(2)
	v_mfma_f32_16x16x16_bf16 a[0:3], v[2:3], v[28:29], a[6:9]
	v_accvgpr_read_b32 v0, a4
	v_accvgpr_read_b32 v29, a5
	v_fma_f32 v28, v12, v24, v0
	v_mfma_f32_16x16x16_bf16 a[4:7], v[2:3], v[36:37], a[10:13]
	s_waitcnt vmcnt(0)
	v_mov_b32_e32 v0, v33
	v_mov_b32_e32 v1, v34
	;; [unrolled: 1-line block ×3, first 2 shown]
	s_waitcnt lgkmcnt(1)
	v_mfma_f32_16x16x16_bf16 a[0:3], v[48:49], v[30:31], a[0:3]
	v_mul_f32_e32 v0, 0x3fb8aa3b, v0
	v_exp_f32_e32 v5, v0
	v_mul_f32_e32 v0, 0x3fb8aa3b, v1
	v_mfma_f32_16x16x16_bf16 a[4:7], v[48:49], v[38:39], a[4:7]
	v_mul_f32_e32 v1, 0x3fb8aa3b, v2
	v_mul_f32_e32 v3, 0x3fb8aa3b, v32
	v_exp_f32_e32 v0, v0
	s_waitcnt lgkmcnt(0)
	v_mfma_f32_16x16x16_bf16 a[0:3], v[50:51], v[44:45], a[0:3]
	v_exp_f32_e32 v1, v1
	v_exp_f32_e32 v4, v3
	v_fmac_f32_e32 v29, v13, v25
	v_pk_mul_f32 v[0:1], v[40:41], v[0:1] op_sel_hi:[0,1]
	v_pk_mul_f32 v[4:5], v[40:41], v[4:5] op_sel_hi:[0,1]
	s_nop 1
	v_accvgpr_read_b32 v3, a3
	v_accvgpr_read_b32 v2, a2
	v_mfma_f32_16x16x16_bf16 a[2:5], v[50:51], v[46:47], a[4:7]
	v_pk_fma_f32 v[24:25], v[8:9], v[0:1], v[2:3]
	v_accvgpr_read_b32 v11, a1
	v_accvgpr_read_b32 v10, a0
	v_pk_fma_f32 v[22:23], v[6:7], v[4:5], v[10:11]
	s_nop 2
	v_accvgpr_read_b32 v2, a2
	v_fma_f32 v30, v14, v4, v2
	v_accvgpr_read_b32 v2, a3
	v_fma_f32 v31, v15, v5, v2
	v_accvgpr_read_b32 v2, a4
	v_accvgpr_read_b32 v33, a5
	v_fma_f32 v32, v16, v0, v2
	v_fmac_f32_e32 v33, v17, v1
	v_mov_b64_e32 v[2:3], v[18:19]
	v_mov_b64_e32 v[4:5], v[20:21]
	;; [unrolled: 1-line block ×8, first 2 shown]
.LBB458_85:
	s_add_u32 s0, s18, s28
	s_addc_u32 s1, s19, s29
	v_lshl_add_u64 v[0:1], v[66:67], 2, s[0:1]
	v_mov_b32_e32 v63, 0
	v_lshl_add_u64 v[0:1], v[0:1], 0, v[62:63]
	global_store_dwordx4 v[0:1], v[2:5], off
	global_store_dwordx4 v[0:1], v[6:9], off offset:256
	v_lshl_add_u64 v[0:1], v[64:65], 2, s[0:1]
	v_lshl_add_u64 v[0:1], v[0:1], 0, v[62:63]
	global_store_dwordx4 v[0:1], v[10:13], off
	global_store_dwordx4 v[0:1], v[14:17], off offset:256
	s_endpgm
	.section	.rodata,"a",@progbits
	.p2align	6, 0x0
	.amdhsa_kernel _ZN12_GLOBAL__N_139chunk_gated_delta_rule_fwd_h_hip_kernelILi32ELb1ELb1ELb0ELb0ELb0ELb1ELb1ELb0EEEvPK12hip_bfloat16S3_S3_PKfS5_PKvPS1_S8_PvPKiSB_iiiiilll
		.amdhsa_group_segment_fixed_size 49152
		.amdhsa_private_segment_fixed_size 0
		.amdhsa_kernarg_size 136
		.amdhsa_user_sgpr_count 2
		.amdhsa_user_sgpr_dispatch_ptr 0
		.amdhsa_user_sgpr_queue_ptr 0
		.amdhsa_user_sgpr_kernarg_segment_ptr 1
		.amdhsa_user_sgpr_dispatch_id 0
		.amdhsa_user_sgpr_kernarg_preload_length 0
		.amdhsa_user_sgpr_kernarg_preload_offset 0
		.amdhsa_user_sgpr_private_segment_size 0
		.amdhsa_uses_dynamic_stack 0
		.amdhsa_enable_private_segment 0
		.amdhsa_system_sgpr_workgroup_id_x 1
		.amdhsa_system_sgpr_workgroup_id_y 1
		.amdhsa_system_sgpr_workgroup_id_z 0
		.amdhsa_system_sgpr_workgroup_info 0
		.amdhsa_system_vgpr_workitem_id 0
		.amdhsa_next_free_vgpr 172
		.amdhsa_next_free_sgpr 72
		.amdhsa_accum_offset 148
		.amdhsa_reserve_vcc 1
		.amdhsa_float_round_mode_32 0
		.amdhsa_float_round_mode_16_64 0
		.amdhsa_float_denorm_mode_32 3
		.amdhsa_float_denorm_mode_16_64 3
		.amdhsa_dx10_clamp 1
		.amdhsa_ieee_mode 1
		.amdhsa_fp16_overflow 0
		.amdhsa_tg_split 0
		.amdhsa_exception_fp_ieee_invalid_op 0
		.amdhsa_exception_fp_denorm_src 0
		.amdhsa_exception_fp_ieee_div_zero 0
		.amdhsa_exception_fp_ieee_overflow 0
		.amdhsa_exception_fp_ieee_underflow 0
		.amdhsa_exception_fp_ieee_inexact 0
		.amdhsa_exception_int_div_zero 0
	.end_amdhsa_kernel
	.section	.text._ZN12_GLOBAL__N_139chunk_gated_delta_rule_fwd_h_hip_kernelILi32ELb1ELb1ELb0ELb0ELb0ELb1ELb1ELb0EEEvPK12hip_bfloat16S3_S3_PKfS5_PKvPS1_S8_PvPKiSB_iiiiilll,"axG",@progbits,_ZN12_GLOBAL__N_139chunk_gated_delta_rule_fwd_h_hip_kernelILi32ELb1ELb1ELb0ELb0ELb0ELb1ELb1ELb0EEEvPK12hip_bfloat16S3_S3_PKfS5_PKvPS1_S8_PvPKiSB_iiiiilll,comdat
.Lfunc_end458:
	.size	_ZN12_GLOBAL__N_139chunk_gated_delta_rule_fwd_h_hip_kernelILi32ELb1ELb1ELb0ELb0ELb0ELb1ELb1ELb0EEEvPK12hip_bfloat16S3_S3_PKfS5_PKvPS1_S8_PvPKiSB_iiiiilll, .Lfunc_end458-_ZN12_GLOBAL__N_139chunk_gated_delta_rule_fwd_h_hip_kernelILi32ELb1ELb1ELb0ELb0ELb0ELb1ELb1ELb0EEEvPK12hip_bfloat16S3_S3_PKfS5_PKvPS1_S8_PvPKiSB_iiiiilll
                                        ; -- End function
	.section	.AMDGPU.csdata,"",@progbits
; Kernel info:
; codeLenInByte = 9780
; NumSgprs: 78
; NumVgprs: 146
; NumAgprs: 24
; TotalNumVgprs: 172
; ScratchSize: 0
; MemoryBound: 0
; FloatMode: 240
; IeeeMode: 1
; LDSByteSize: 49152 bytes/workgroup (compile time only)
; SGPRBlocks: 9
; VGPRBlocks: 21
; NumSGPRsForWavesPerEU: 78
; NumVGPRsForWavesPerEU: 172
; AccumOffset: 148
; Occupancy: 1
; WaveLimiterHint : 1
; COMPUTE_PGM_RSRC2:SCRATCH_EN: 0
; COMPUTE_PGM_RSRC2:USER_SGPR: 2
; COMPUTE_PGM_RSRC2:TRAP_HANDLER: 0
; COMPUTE_PGM_RSRC2:TGID_X_EN: 1
; COMPUTE_PGM_RSRC2:TGID_Y_EN: 1
; COMPUTE_PGM_RSRC2:TGID_Z_EN: 0
; COMPUTE_PGM_RSRC2:TIDIG_COMP_CNT: 0
; COMPUTE_PGM_RSRC3_GFX90A:ACCUM_OFFSET: 36
; COMPUTE_PGM_RSRC3_GFX90A:TG_SPLIT: 0
	.section	.text._ZN12_GLOBAL__N_139chunk_gated_delta_rule_fwd_h_hip_kernelILi32ELb1ELb0ELb1ELb0ELb0ELb1ELb1ELb0EEEvPK12hip_bfloat16S3_S3_PKfS5_PKvPS1_S8_PvPKiSB_iiiiilll,"axG",@progbits,_ZN12_GLOBAL__N_139chunk_gated_delta_rule_fwd_h_hip_kernelILi32ELb1ELb0ELb1ELb0ELb0ELb1ELb1ELb0EEEvPK12hip_bfloat16S3_S3_PKfS5_PKvPS1_S8_PvPKiSB_iiiiilll,comdat
	.globl	_ZN12_GLOBAL__N_139chunk_gated_delta_rule_fwd_h_hip_kernelILi32ELb1ELb0ELb1ELb0ELb0ELb1ELb1ELb0EEEvPK12hip_bfloat16S3_S3_PKfS5_PKvPS1_S8_PvPKiSB_iiiiilll ; -- Begin function _ZN12_GLOBAL__N_139chunk_gated_delta_rule_fwd_h_hip_kernelILi32ELb1ELb0ELb1ELb0ELb0ELb1ELb1ELb0EEEvPK12hip_bfloat16S3_S3_PKfS5_PKvPS1_S8_PvPKiSB_iiiiilll
	.p2align	8
	.type	_ZN12_GLOBAL__N_139chunk_gated_delta_rule_fwd_h_hip_kernelILi32ELb1ELb0ELb1ELb0ELb0ELb1ELb1ELb0EEEvPK12hip_bfloat16S3_S3_PKfS5_PKvPS1_S8_PvPKiSB_iiiiilll,@function
_ZN12_GLOBAL__N_139chunk_gated_delta_rule_fwd_h_hip_kernelILi32ELb1ELb0ELb1ELb0ELb0ELb1ELb1ELb0EEEvPK12hip_bfloat16S3_S3_PKfS5_PKvPS1_S8_PvPKiSB_iiiiilll: ; @_ZN12_GLOBAL__N_139chunk_gated_delta_rule_fwd_h_hip_kernelILi32ELb1ELb0ELb1ELb0ELb0ELb1ELb1ELb0EEEvPK12hip_bfloat16S3_S3_PKfS5_PKvPS1_S8_PvPKiSB_iiiiilll
; %bb.0:
	s_load_dwordx4 s[12:15], s[0:1], 0x5c
	s_load_dwordx4 s[20:23], s[0:1], 0x70
	s_abs_i32 s6, s3
	s_ashr_i32 s5, s3, 31
	s_load_dwordx4 s[16:19], s[0:1], 0x28
	s_load_dwordx2 s[28:29], s[0:1], 0x38
	s_waitcnt lgkmcnt(0)
	s_abs_i32 s4, s13
	v_cvt_f32_u32_e32 v1, s4
	s_sub_i32 s8, 0, s4
	s_ashr_i32 s7, s13, 31
	s_xor_b32 s5, s5, s7
	v_rcp_iflag_f32_e32 v1, v1
	v_and_b32_e32 v74, 15, v0
	v_lshrrev_b32_e32 v72, 6, v0
	v_bfe_u32 v73, v0, 4, 2
	v_mul_f32_e32 v1, 0x4f7ffffe, v1
	v_cvt_u32_f32_e32 v1, v1
	v_mov_b32_e32 v7, 0
	v_and_b32_e32 v61, 63, v0
	v_lshrrev_b32_e32 v76, 3, v61
	v_readfirstlane_b32 s9, v1
	s_mul_i32 s8, s8, s9
	s_mul_hi_u32 s8, s9, s8
	s_add_i32 s9, s9, s8
	s_mul_hi_u32 s8, s6, s9
	s_mul_i32 s9, s8, s4
	s_sub_i32 s6, s6, s9
	s_add_i32 s10, s8, 1
	s_sub_i32 s9, s6, s4
	s_cmp_ge_u32 s6, s4
	s_cselect_b32 s8, s10, s8
	s_cselect_b32 s6, s9, s6
	s_add_i32 s9, s8, 1
	s_cmp_ge_u32 s6, s4
	s_cselect_b32 s6, s9, s8
	s_xor_b32 s6, s6, s5
	s_add_i32 s8, s12, 63
	s_sub_i32 s52, s6, s5
	s_ashr_i32 s9, s8, 31
	s_mul_i32 s5, s52, s13
	s_sub_i32 s50, s3, s5
	s_lshr_b32 s3, s9, 26
	s_add_i32 s8, s8, s3
	s_abs_i32 s3, s14
	v_cvt_f32_u32_e32 v1, s3
	s_ashr_i32 s51, s12, 31
	s_lshr_b32 s6, s51, 26
	s_add_i32 s6, s12, s6
	v_rcp_iflag_f32_e32 v1, v1
	s_ashr_i32 s55, s14, 31
	s_ashr_i32 s53, s6, 6
	s_lshl_b32 s38, s2, 5
	v_mul_f32_e32 v1, 0x4f7ffffe, v1
	v_cvt_u32_f32_e32 v1, v1
	s_xor_b32 s2, s7, s55
	s_sub_i32 s6, 0, s3
	s_ashr_i32 s25, s8, 6
	v_readfirstlane_b32 s7, v1
	s_mul_i32 s6, s6, s7
	s_mul_hi_u32 s6, s7, s6
	s_add_i32 s7, s7, s6
	s_mul_hi_u32 s6, s4, s7
	s_mul_i32 s7, s6, s3
	s_sub_i32 s4, s4, s7
	s_add_i32 s7, s6, 1
	s_sub_i32 s8, s4, s3
	s_cmp_ge_u32 s4, s3
	s_cselect_b32 s6, s7, s6
	s_cselect_b32 s4, s8, s4
	s_add_i32 s7, s6, 1
	s_cmp_ge_u32 s4, s3
	s_cselect_b32 s3, s7, s6
	s_xor_b32 s3, s3, s2
	s_sub_i32 s2, s3, s2
	s_abs_i32 s3, s2
	v_cvt_f32_u32_e32 v1, s3
	s_sub_i32 s6, 0, s3
	s_abs_i32 s4, s50
	s_xor_b32 s2, s50, s2
	v_rcp_iflag_f32_e32 v1, v1
	s_ashr_i32 s2, s2, 31
	v_or_b32_e32 v62, s38, v74
	v_lshlrev_b32_e32 v2, 7, v62
	v_mul_f32_e32 v1, 0x4f7ffffe, v1
	v_cvt_u32_f32_e32 v1, v1
	v_ashrrev_i32_e32 v3, 31, v2
	s_mul_i32 s57, s52, s25
	v_lshlrev_b32_e32 v75, 3, v0
	v_readfirstlane_b32 s7, v1
	s_mul_i32 s6, s6, s7
	s_mul_hi_u32 s6, s7, s6
	s_add_i32 s7, s7, s6
	s_mul_hi_u32 s6, s4, s7
	s_mul_i32 s7, s6, s3
	s_sub_i32 s4, s4, s7
	s_add_i32 s7, s6, 1
	s_sub_i32 s8, s4, s3
	s_cmp_ge_u32 s4, s3
	s_cselect_b32 s6, s7, s6
	s_cselect_b32 s4, s8, s4
	s_add_i32 s7, s6, 1
	s_cmp_ge_u32 s4, s3
	s_cselect_b32 s3, s7, s6
	s_xor_b32 s3, s3, s2
	s_sub_i32 s56, s3, s2
	s_ashr_i32 s24, s52, 31
	s_ashr_i32 s54, s50, 31
	s_mul_hi_i32 s2, s52, s13
	s_add_u32 s40, s5, s50
	s_addc_u32 s41, s2, s54
	s_lshl_b64 s[2:3], s[40:41], 16
	s_add_u32 s2, s16, s2
	s_addc_u32 s3, s17, s3
	v_lshlrev_b32_e32 v1, 4, v72
	v_lshl_add_u64 v[4:5], v[2:3], 2, s[2:3]
	v_or_b32_e32 v2, 0x800, v2
	v_lshl_or_b32 v77, v73, 2, v1
	v_ashrrev_i32_e32 v3, 31, v2
	v_lshlrev_b32_e32 v6, 2, v77
	v_lshl_add_u64 v[2:3], v[2:3], 2, s[2:3]
	v_lshl_add_u64 v[4:5], v[4:5], 0, v[6:7]
	;; [unrolled: 1-line block ×3, first 2 shown]
	global_load_dwordx4 v[14:17], v[4:5], off
	global_load_dwordx4 v[10:13], v[4:5], off offset:256
	global_load_dwordx4 v[6:9], v[18:19], off
	s_nop 0
	global_load_dwordx4 v[2:5], v[18:19], off offset:256
	s_load_dwordx8 s[4:11], s[0:1], 0x0
	s_load_dwordx2 s[30:31], s[0:1], 0x80
	v_or_b32_e32 v78, 64, v77
	s_cmp_lt_i32 s12, 64
	s_mul_i32 s58, s41, s12
	s_mul_hi_u32 s59, s40, s12
	s_mul_i32 s16, s40, s12
	s_mul_i32 s33, s52, s21
	s_mul_hi_u32 s46, s52, s20
	s_mul_i32 s47, s24, s20
	s_mul_i32 s34, s52, s20
	;; [unrolled: 1-line block ×3, first 2 shown]
	s_mul_hi_u32 s48, s50, s22
	s_mul_i32 s49, s54, s22
	s_mul_i32 s36, s50, s22
	s_cbranch_scc1 .LBB459_3
; %bb.1:
	s_add_i32 s17, s59, s58
	s_lshl_b64 s[2:3], s[16:17], 8
	v_and_b32_e32 v80, 56, v75
	s_waitcnt lgkmcnt(0)
	s_add_u32 s20, s6, s2
	v_lshl_or_b32 v79, v72, 3, v76
	v_lshlrev_b32_e32 v18, 1, v80
	s_addc_u32 s2, s7, s3
	v_lshl_or_b32 v81, v79, 8, v18
	s_and_b32 s21, s2, 0xffff
	s_mov_b32 s23, 0x20000
	s_movk_i32 s22, 0x4000
	s_movk_i32 s2, 0x80
	v_or_b32_e32 v82, 0x2000, v81
	buffer_load_dwordx4 v[20:23], v81, s[20:23], 0 offen
	buffer_load_dwordx4 v[24:27], v81, s[20:23], s2 offen
	;; [unrolled: 1-line block ×4, first 2 shown]
	v_lshlrev_b32_e32 v19, 3, v79
	v_and_or_b32 v37, v0, 7, v19
	v_and_b32_e32 v19, 0x78, v19
	v_lshlrev_b32_e32 v37, 4, v37
	v_xor_b32_e32 v83, v37, v19
	v_mul_lo_u32 v36, v79, s15
	v_or_b32_e32 v84, 0x1000, v83
	v_xor_b32_e32 v19, 8, v83
	s_cmpk_eq_i32 s15, 0x80
	s_mov_b32 s60, s14
	v_xor_b32_e32 v37, 8, v84
	s_cselect_b64 s[2:3], -1, 0
	s_cmpk_lg_i32 s15, 0x80
	s_waitcnt vmcnt(3)
	ds_write_b64 v83, v[20:21] offset:24576
	ds_write_b64 v19, v[22:23] offset:24576
	s_waitcnt vmcnt(2)
	ds_write_b64 v83, v[24:25] offset:32768
	ds_write_b64 v19, v[26:27] offset:32768
	;; [unrolled: 3-line block ×4, first 2 shown]
	v_lshl_add_u32 v19, v36, 1, v80
	s_cbranch_scc0 .LBB459_29
; %bb.2:
	v_lshlrev_b32_e32 v21, 1, v19
	v_add_lshl_u32 v20, v19, s15, 1
	s_lshl_b32 s22, s15, 7
	s_load_dwordx2 s[42:43], s[0:1], 0x20
	v_lshl_or_b32 v18, v79, 9, v18
	s_cbranch_execz .LBB459_30
	s_branch .LBB459_31
.LBB459_3:
	s_waitcnt vmcnt(0)
	v_mov_b32_e32 v25, v5
	v_mov_b32_e32 v21, v9
.LBB459_4:
	s_lshl_b32 s26, s53, 6
	s_sub_i32 s27, s12, s26
	s_cmp_gt_i32 s27, 0
	s_cbranch_scc0 .LBB459_84
; %bb.5:
	s_ashr_i32 s2, s26, 31
	s_cmpk_lg_i32 s15, 0x80
	s_cselect_b64 s[22:23], -1, 0
	s_and_b64 vcc, exec, s[22:23]
	s_cbranch_vccz .LBB459_7
; %bb.6:
	s_mul_i32 s1, s52, s12
	s_mul_hi_i32 s0, s52, s12
	s_add_u32 s1, s1, s26
	s_addc_u32 s0, s0, s2
	s_mul_i32 s3, s1, s55
	s_mul_hi_u32 s17, s1, s14
	s_add_i32 s3, s17, s3
	s_mul_i32 s0, s0, s14
	s_add_i32 s3, s3, s0
	s_mul_i32 s1, s1, s14
	s_ashr_i32 s0, s56, 31
	s_add_u32 s24, s1, s56
	s_addc_u32 s25, s3, s0
	s_cbranch_execz .LBB459_8
	s_branch .LBB459_9
.LBB459_7:
                                        ; implicit-def: $sgpr24_sgpr25
.LBB459_8:
	s_mul_hi_i32 s0, s52, s14
	s_mul_i32 s52, s52, s14
	s_ashr_i32 s1, s56, 31
	s_add_u32 s3, s52, s56
	s_addc_u32 s0, s0, s1
	s_mul_i32 s1, s3, s51
	s_mul_hi_u32 s14, s3, s12
	s_add_i32 s1, s14, s1
	s_mul_i32 s0, s0, s12
	s_add_i32 s1, s1, s0
	s_mul_i32 s3, s3, s12
	s_add_u32 s24, s3, s26
	s_addc_u32 s25, s1, s2
.LBB459_9:
	s_mul_i32 s0, s40, s51
	s_add_i32 s0, s59, s0
	s_add_i32 s3, s57, s53
	;; [unrolled: 1-line block ×3, first 2 shown]
	s_add_u32 s0, s16, s26
	s_addc_u32 s1, s1, s2
	v_lshlrev_b32_e32 v18, 5, v77
	v_lshlrev_b32_e32 v22, 2, v74
	s_mov_b32 s2, 0x7060302
	v_perm_b32 v13, v13, v12, s2
	v_perm_b32 v12, v11, v10, s2
	v_or_b32_e32 v10, v18, v22
	v_xor_b32_e32 v5, v77, v22
	v_perm_b32 v17, v17, v16, s2
	v_perm_b32 v16, v15, v14, s2
	v_lshlrev_b32_e32 v10, 1, v10
	ds_write2st64_b64 v10, v[16:17], v[12:13] offset0:80 offset1:88
	v_lshlrev_b32_e32 v10, 1, v5
	v_lshlrev_b32_e32 v5, 8, v74
	s_lshl_b64 s[20:21], s[0:1], 8
	v_xor_b32_e32 v9, v78, v22
	v_or_b32_e32 v11, v10, v5
	s_waitcnt lgkmcnt(0)
	s_add_u32 s0, s6, s20
	ds_write_b64 v11, v[16:17]
	v_lshlrev_b32_e32 v11, 1, v9
	s_addc_u32 s1, s7, s21
	v_or_b32_e32 v5, v11, v5
	s_mul_hi_i32 s6, s3, s13
	s_mul_i32 s3, s3, s13
	ds_write_b64 v5, v[12:13]
	v_perm_b32 v9, v21, v8, s2
	v_perm_b32 v8, v7, v6, s2
	;; [unrolled: 1-line block ×4, first 2 shown]
	s_add_u32 s2, s3, s50
	v_or_b32_e32 v2, 16, v74
	s_addc_u32 s3, s6, s54
	v_lshlrev_b32_e32 v19, 2, v2
	s_ashr_i32 s39, s38, 31
	s_lshl_b64 s[2:3], s[2:3], 15
	v_or_b32_e32 v3, v18, v19
	s_add_u32 s6, s18, s2
	v_lshlrev_b32_e32 v3, 1, v3
	v_lshlrev_b32_e32 v2, 8, v2
	s_addc_u32 s7, s19, s3
	s_lshl_b64 s[2:3], s[38:39], 8
	ds_write2st64_b64 v3, v[8:9], v[4:5] offset0:80 offset1:88
	v_or_b32_e32 v3, v10, v2
	v_or_b32_e32 v2, v11, v2
	s_add_u32 s2, s6, s2
	ds_write_b64 v3, v[8:9]
	ds_write_b64 v2, v[4:5]
	v_lshrrev_b32_e32 v2, 4, v0
	s_addc_u32 s3, s7, s3
	v_lshlrev_b32_e32 v3, 1, v74
	v_lshlrev_b32_e32 v10, 4, v74
	v_mov_b32_e32 v11, 0
	v_or_b32_e32 v4, 1, v3
	v_xor_b32_e32 v3, v2, v3
	v_lshl_add_u64 v[12:13], s[2:3], 0, v[10:11]
	v_lshlrev_b32_e32 v10, 8, v2
	v_xor_b32_e32 v6, v4, v2
	v_lshl_or_b32 v2, v3, 3, v10
	s_waitcnt lgkmcnt(0)
	s_barrier
	ds_read2st64_b64 v[2:5], v2 offset1:8
	v_lshl_or_b32 v6, v6, 3, v10
	ds_read2st64_b64 v[6:9], v6 offset1:8
	v_lshl_add_u64 v[14:15], v[12:13], 0, v[10:11]
	s_movk_i32 s2, 0x1000
	s_waitcnt lgkmcnt(1)
	v_mov_b32_e32 v10, v2
	v_add_co_u32_e32 v2, vcc, s2, v14
	s_cmp_lg_u32 s27, 64
	v_mov_b32_e32 v11, v3
	v_addc_co_u32_e32 v3, vcc, 0, v15, vcc
	s_cselect_b64 s[6:7], -1, 0
	v_lshl_or_b32 v23, v72, 3, v76
	s_waitcnt lgkmcnt(0)
	v_mov_b32_e32 v12, v6
	v_mov_b32_e32 v13, v7
	;; [unrolled: 1-line block ×4, first 2 shown]
	s_mov_b32 s16, 0
	v_or_b32_e32 v20, 32, v23
	v_and_b32_e32 v18, 56, v75
	s_and_b64 vcc, exec, s[6:7]
	global_store_dwordx4 v[14:15], v[10:13], off
	global_store_dwordx4 v[2:3], v[6:9], off
	s_cbranch_vccz .LBB459_15
; %bb.10:
	s_mov_b32 s17, s16
	s_mov_b32 s18, s16
	;; [unrolled: 1-line block ×3, first 2 shown]
	v_mov_b64_e32 v[6:7], s[16:17]
	v_mov_b64_e32 v[8:9], s[18:19]
	;; [unrolled: 1-line block ×3, first 2 shown]
	v_cmp_gt_i32_e32 vcc, s27, v23
	v_mov_b64_e32 v[4:5], v[8:9]
	s_and_saveexec_b64 s[2:3], vcc
	s_cbranch_execz .LBB459_12
; %bb.11:
	v_lshlrev_b32_e32 v2, 8, v23
	v_mov_b32_e32 v3, 0
	v_lshl_add_u64 v[4:5], s[0:1], 0, v[2:3]
	v_lshlrev_b32_e32 v2, 1, v18
	v_lshl_add_u64 v[10:11], v[4:5], 0, v[2:3]
	global_load_dwordx4 v[6:9], v[10:11], off
	global_load_dwordx4 v[2:5], v[10:11], off offset:128
.LBB459_12:
	s_or_b64 exec, exec, s[2:3]
	s_mov_b32 s17, s16
	s_mov_b32 s18, s16
	;; [unrolled: 1-line block ×3, first 2 shown]
	v_mov_b64_e32 v[14:15], s[16:17]
	v_mov_b64_e32 v[16:17], s[18:19]
	;; [unrolled: 1-line block ×3, first 2 shown]
	v_cmp_gt_i32_e32 vcc, s27, v20
	v_lshlrev_b32_e32 v21, 7, v20
	v_mov_b64_e32 v[12:13], v[16:17]
	s_and_saveexec_b64 s[2:3], vcc
	s_cbranch_execz .LBB459_14
; %bb.13:
	v_lshlrev_b32_e32 v10, 1, v21
	v_mov_b32_e32 v11, 0
	v_lshl_add_u64 v[12:13], s[0:1], 0, v[10:11]
	v_lshlrev_b32_e32 v10, 1, v18
	v_lshl_add_u64 v[24:25], v[12:13], 0, v[10:11]
	global_load_dwordx4 v[14:17], v[24:25], off
	global_load_dwordx4 v[10:13], v[24:25], off offset:128
.LBB459_14:
	s_or_b64 exec, exec, s[2:3]
	v_lshrrev_b32_e32 v24, 3, v18
	v_lshlrev_b32_e32 v25, 3, v23
	v_or_b32_e32 v24, v25, v24
	v_lshlrev_b32_e32 v24, 4, v24
	v_and_b32_e32 v25, 0x78, v25
	v_xor_b32_e32 v24, v24, v25
	s_branch .LBB459_17
.LBB459_15:
                                        ; implicit-def: $vgpr24
                                        ; implicit-def: $vgpr21
                                        ; implicit-def: $vgpr6_vgpr7_vgpr8_vgpr9
                                        ; implicit-def: $vgpr2_vgpr3_vgpr4_vgpr5
                                        ; implicit-def: $vgpr14_vgpr15_vgpr16_vgpr17
                                        ; implicit-def: $vgpr10_vgpr11_vgpr12_vgpr13
	s_cbranch_execz .LBB459_17
; %bb.16:
	s_waitcnt vmcnt(0)
	v_lshlrev_b32_e32 v2, 1, v18
	v_lshl_or_b32 v21, v23, 8, v2
	s_and_b32 s1, s1, 0xffff
	s_mov_b32 s3, 0x20000
	s_movk_i32 s2, 0x4000
	v_lshl_or_b32 v24, v20, 8, v2
	s_movk_i32 s13, 0x80
	buffer_load_dwordx4 v[6:9], v21, s[0:3], 0 offen
	buffer_load_dwordx4 v[2:5], v21, s[0:3], s13 offen
	;; [unrolled: 1-line block ×4, first 2 shown]
	v_lshrrev_b32_e32 v21, 3, v18
	v_lshlrev_b32_e32 v24, 3, v23
	v_or_b32_e32 v21, v24, v21
	v_lshlrev_b32_e32 v21, 4, v21
	v_and_b32_e32 v24, 0x78, v24
	v_xor_b32_e32 v24, v21, v24
	v_lshlrev_b32_e32 v21, 7, v20
.LBB459_17:
	s_lshl_b64 s[0:1], s[24:25], 8
	s_add_u32 s4, s4, s0
	s_movk_i32 s0, 0x1000
	v_and_or_b32 v20, v21, s0, v24
	s_waitcnt vmcnt(1)
	ds_write_b64 v24, v[6:7] offset:24576
	v_xor_b32_e32 v6, 8, v24
	ds_write_b64 v6, v[8:9] offset:24576
	s_waitcnt vmcnt(0)
	ds_write_b64 v24, v[2:3] offset:32768
	ds_write_b64 v6, v[4:5] offset:32768
	;; [unrolled: 1-line block ×3, first 2 shown]
	v_xor_b32_e32 v2, 8, v20
	ds_write_b64 v2, v[16:17] offset:24576
	ds_write_b64 v20, v[10:11] offset:32768
	;; [unrolled: 1-line block ×3, first 2 shown]
	v_or_b32_e32 v2, v1, v74
	v_lshlrev_b32_e32 v3, 11, v72
	v_lshlrev_b32_e32 v2, 3, v2
	v_and_b32_e32 v6, 0x1000, v3
	v_lshrrev_b32_e32 v3, 5, v61
	s_movk_i32 s3, 0xf8
	v_and_or_b32 v3, v2, s3, v3
	v_lshlrev_b32_e32 v7, 4, v3
	v_and_b32_e32 v8, 0x78, v2
	v_or_b32_e32 v10, 32, v7
	v_lshrrev_b32_e32 v3, 1, v61
	v_xor_b32_e32 v10, v10, v8
	v_xor_b32_e32 v2, v7, v8
	v_and_b32_e32 v9, 8, v3
	v_or_b32_e32 v10, v10, v6
	v_or_b32_e32 v2, v2, v6
	v_xor_b32_e32 v26, v10, v9
	v_or_b32_e32 v10, 64, v7
	v_xor_b32_e32 v25, v2, v9
	v_xor_b32_e32 v10, v10, v8
	s_waitcnt lgkmcnt(0)
	s_barrier
	v_or_b32_e32 v12, v10, v6
	ds_read_b64 v[10:11], v25 offset:24576
	v_lshl_or_b32 v20, v73, 7, v22
	v_lshlrev_b32_e32 v24, 1, v20
	v_add_u32_e32 v2, 0xa000, v24
	ds_read2_b64 v[2:5], v2 offset1:16
	v_or_b32_e32 v7, 0x60, v7
	v_xor_b32_e32 v7, v7, v8
	s_waitcnt lgkmcnt(0)
	v_mfma_f32_16x16x16_bf16 a[0:3], v[10:11], v[2:3], 0
	v_or_b32_e32 v2, 64, v20
	v_or_b32_e32 v6, v7, v6
	v_lshlrev_b32_e32 v29, 1, v2
	v_xor_b32_e32 v27, v12, v9
	v_xor_b32_e32 v28, v6, v9
	ds_read_b64 v[12:13], v26 offset:24576
	ds_read_b64 v[14:15], v27 offset:24576
	;; [unrolled: 1-line block ×3, first 2 shown]
	v_mfma_f32_16x16x16_bf16 a[4:7], v[10:11], v[4:5], 0
	ds_read2st64_b64 v[2:5], v29 offset0:82 offset1:84
	ds_read2st64_b64 v[6:9], v24 offset0:82 offset1:84
	s_addc_u32 s5, s5, s1
	s_add_i32 s1, s46, s33
	s_add_i32 s0, s12, -1
	s_add_i32 s35, s1, s47
	s_add_i32 s1, s48, s41
	;; [unrolled: 1-line block ×3, first 2 shown]
	s_ashr_i32 s1, s0, 31
	s_mul_i32 s2, s0, s31
	s_mul_hi_u32 s3, s0, s30
	s_add_i32 s2, s3, s2
	s_mul_i32 s1, s1, s30
	s_waitcnt lgkmcnt(1)
	v_mfma_f32_16x16x16_bf16 a[4:7], v[12:13], v[2:3], a[4:7]
	s_add_i32 s1, s2, s1
	s_lshl_b64 s[2:3], s[34:35], 2
	s_add_u32 s10, s10, s2
	s_waitcnt lgkmcnt(0)
	v_mfma_f32_16x16x16_bf16 a[0:3], v[12:13], v[6:7], a[0:3]
	s_addc_u32 s11, s11, s3
	s_lshl_b64 s[2:3], s[36:37], 2
	s_mul_i32 s0, s0, s30
	s_add_u32 s10, s10, s2
	ds_read_b64 v[2:3], v24 offset:44032
	v_mfma_f32_16x16x16_bf16 a[4:7], v[14:15], v[4:5], a[4:7]
	ds_read_b64 v[4:5], v29 offset:44032
	s_addc_u32 s11, s11, s3
	s_lshl_b64 s[0:1], s[0:1], 2
	v_mfma_f32_16x16x16_bf16 a[0:3], v[14:15], v[8:9], a[0:3]
	s_add_u32 s0, s10, s0
	s_addc_u32 s1, s11, s1
	s_load_dword s12, s[0:1], 0x0
	s_waitcnt lgkmcnt(0)
	v_mfma_f32_16x16x16_bf16 a[0:3], v[16:17], v[2:3], a[0:3]
	s_and_b64 vcc, exec, s[22:23]
	v_mfma_f32_16x16x16_bf16 a[4:7], v[16:17], v[4:5], a[4:7]
	s_cbranch_vccz .LBB459_28
; %bb.18:
	v_lshlrev_b32_e32 v20, 1, v23
	s_and_b64 vcc, exec, s[6:7]
	s_cbranch_vccz .LBB459_44
; %bb.19:
	v_cmp_gt_i32_e32 vcc, s27, v20
	v_mov_b32_e32 v6, 0
	v_mov_b32_e32 v2, 0
	v_mov_b32_e32 v3, 0
	v_mov_b32_e32 v4, 0
	v_mov_b32_e32 v5, 0
	s_and_saveexec_b64 s[0:1], vcc
	s_cbranch_execz .LBB459_21
; %bb.20:
	v_mad_i64_i32 v[2:3], s[2:3], s15, v20, 0
	v_lshl_add_u64 v[2:3], v[2:3], 1, s[4:5]
	v_lshlrev_b32_e32 v4, 1, v18
	v_mov_b32_e32 v5, 0
	v_lshl_add_u64 v[2:3], v[2:3], 0, v[4:5]
	global_load_dwordx4 v[2:5], v[2:3], off
.LBB459_21:
	s_or_b64 exec, exec, s[0:1]
	v_or_b32_e32 v21, 1, v20
	v_cmp_gt_i32_e64 s[0:1], s27, v21
	v_mov_b32_e32 v7, 0
	v_mov_b32_e32 v8, 0
	v_mov_b32_e32 v9, 0
	s_and_saveexec_b64 s[2:3], s[0:1]
	s_cbranch_execz .LBB459_23
; %bb.22:
	v_mad_i64_i32 v[6:7], s[16:17], s15, v21, 0
	v_lshl_add_u64 v[6:7], v[6:7], 1, s[4:5]
	v_lshlrev_b32_e32 v8, 1, v18
	v_mov_b32_e32 v9, 0
	v_lshl_add_u64 v[6:7], v[6:7], 0, v[8:9]
	global_load_dwordx4 v[6:9], v[6:7], off
.LBB459_23:
	s_or_b64 exec, exec, s[2:3]
	v_mov_b32_e32 v17, 0
	v_mov_b32_e32 v10, 0
	;; [unrolled: 1-line block ×5, first 2 shown]
	s_and_saveexec_b64 s[2:3], vcc
	s_cbranch_execz .LBB459_25
; %bb.24:
	v_mad_i64_i32 v[10:11], s[16:17], s15, v20, 0
	v_lshl_add_u64 v[10:11], v[10:11], 1, s[4:5]
	v_lshlrev_b32_e32 v12, 1, v18
	v_mov_b32_e32 v13, 0
	v_lshl_add_u64 v[10:11], v[10:11], 0, v[12:13]
	global_load_dwordx4 v[10:13], v[10:11], off offset:128
.LBB459_25:
	s_or_b64 exec, exec, s[2:3]
	v_mov_b32_e32 v16, 0
	v_mov_b32_e32 v15, 0
	;; [unrolled: 1-line block ×3, first 2 shown]
	s_and_saveexec_b64 s[2:3], s[0:1]
	s_cbranch_execz .LBB459_27
; %bb.26:
	v_mad_i64_i32 v[14:15], s[0:1], s15, v21, 0
	v_lshl_add_u64 v[14:15], v[14:15], 1, s[4:5]
	v_lshlrev_b32_e32 v16, 1, v18
	v_mov_b32_e32 v17, 0
	v_lshl_add_u64 v[14:15], v[14:15], 0, v[16:17]
	global_load_dwordx4 v[14:17], v[14:15], off offset:128
.LBB459_27:
	s_or_b64 exec, exec, s[2:3]
	s_branch .LBB459_46
.LBB459_28:
                                        ; implicit-def: $vgpr5
                                        ; implicit-def: $vgpr9
                                        ; implicit-def: $vgpr13
                                        ; implicit-def: $vgpr17
	v_lshrrev_b32_e32 v30, 2, v61
	s_branch .LBB459_47
.LBB459_29:
                                        ; implicit-def: $vgpr20
                                        ; implicit-def: $vgpr21
                                        ; implicit-def: $sgpr22
	s_load_dwordx2 s[42:43], s[0:1], 0x20
	v_lshl_or_b32 v18, v79, 9, v18
.LBB459_30:
	v_or_b32_e32 v20, 0x100, v18
	s_movk_i32 s22, 0x4000
	v_mov_b32_e32 v21, v18
.LBB459_31:
	s_mul_hi_u32 s0, s14, s12
	s_mul_i32 s1, s55, s12
	s_add_i32 s0, s0, s1
	s_mul_i32 s1, s14, s12
	s_mul_i32 s20, s1, s24
	s_mul_hi_u32 s21, s1, s52
	s_add_i32 s20, s21, s20
	s_mul_i32 s0, s0, s52
	s_add_i32 s20, s20, s0
	s_mul_i32 s1, s1, s52
	s_ashr_i32 s61, s56, 31
	s_add_u32 s0, s1, s56
	s_addc_u32 s1, s20, s61
	s_lshl_b64 s[0:1], s[0:1], 8
	s_add_u32 s20, s4, s0
	s_addc_u32 s0, s5, s1
	s_and_b32 s21, s0, 0xffff
	s_movk_i32 s62, 0x80
	buffer_load_dwordx4 v[22:25], v21, s[20:23], 0 offen
	buffer_load_dwordx4 v[26:29], v21, s[20:23], s62 offen
	;; [unrolled: 1-line block ×4, first 2 shown]
	v_and_b32_e32 v20, 6, v0
	v_lshlrev_b32_e32 v39, 6, v77
	v_or_b32_e32 v41, 16, v74
	v_xor_b32_e32 v42, v79, v20
	v_and_b32_e32 v21, 1, v0
	v_lshl_or_b32 v45, v74, 3, v39
	v_lshl_or_b32 v39, v41, 3, v39
	v_lshlrev_b32_e32 v42, 2, v42
	s_mul_i32 s24, s24, s12
	s_mul_hi_u32 s0, s52, s12
	v_lshlrev_b32_e32 v38, 2, v74
	v_or_b32_e32 v87, 0xa000, v39
	v_or_b32_e32 v88, 0xb000, v39
	v_xor_b32_e32 v39, 0x440, v42
	v_cmp_eq_u32_e32 vcc, 0, v21
	v_xor_b32_e32 v43, v77, v38
	v_xor_b32_e32 v44, v78, v38
	v_cndmask_b32_e32 v21, v39, v42, vcc
	s_add_i32 s67, s0, s24
	s_add_i32 s0, s46, s33
	s_mov_b32 s65, 0x1000504
	v_lshlrev_b32_e32 v40, 8, v74
	v_lshlrev_b32_e32 v43, 1, v43
	;; [unrolled: 1-line block ×3, first 2 shown]
	v_lshl_or_b32 v20, v20, 10, v21
	s_add_i32 s35, s0, s47
	s_add_i32 s0, s48, s41
	s_mov_b32 s66, 0x3020706
	v_or_b32_e32 v85, 0xa000, v45
	v_or_b32_e32 v86, 0xb000, v45
	;; [unrolled: 1-line block ×4, first 2 shown]
	v_xor_b32_e32 v21, 8, v20
	v_xor_b32_e32 v40, 24, v20
	;; [unrolled: 1-line block ×4, first 2 shown]
	s_add_i32 s37, s0, s49
	s_lshl_b64 s[0:1], s[34:35], 2
	v_xor_b32_e32 v39, 16, v20
	v_xor_b32_e32 v42, 32, v20
	;; [unrolled: 1-line block ×3, first 2 shown]
	v_add_u32_e32 v21, 0x80, v21
	v_add_u32_e32 v40, 0x80, v40
	;; [unrolled: 1-line block ×4, first 2 shown]
	s_add_u32 s20, s10, s0
	s_addc_u32 s21, s11, s1
	s_lshl_b64 s[0:1], s[36:37], 2
	s_add_u32 s44, s20, s0
	s_movk_i32 s0, 0xf8
	s_addc_u32 s45, s21, s1
	s_ashr_i32 s39, s38, 31
	s_lshl_b32 s26, s15, 7
	s_movk_i32 s20, 0x100
	v_mov_b32_e32 v65, 0
	v_lshlrev_b32_e32 v64, 4, v74
	v_cmp_gt_u32_e32 vcc, s20, v0
	v_ashrrev_i32_e32 v63, 31, v62
	s_mul_i32 s63, s52, s12
	s_mov_b32 s64, 0
	s_movk_i32 s35, 0x1000
	s_movk_i32 s22, 0x4000
	v_mov_b32_e32 v115, 0x3fb8aa3b
	s_mov_b32 s69, 0
	s_waitcnt vmcnt(1)
	v_perm_b32 v48, v22, v30, s65
	s_waitcnt vmcnt(0)
	v_perm_b32 v49, v26, v34, s65
	v_perm_b32 v22, v22, v30, s66
	v_perm_b32 v26, v26, v34, s66
	v_perm_b32 v30, v23, v31, s65
	v_perm_b32 v34, v27, v35, s65
	v_perm_b32 v23, v23, v31, s66
	v_perm_b32 v27, v27, v35, s66
	v_perm_b32 v31, v24, v32, s65
	v_perm_b32 v35, v28, v36, s65
	v_perm_b32 v24, v24, v32, s66
	v_perm_b32 v28, v28, v36, s66
	v_perm_b32 v32, v25, v33, s65
	v_perm_b32 v36, v29, v37, s65
	v_perm_b32 v25, v25, v33, s66
	v_perm_b32 v29, v29, v37, s66
	ds_write2st64_b32 v20, v48, v49 offset0:32 offset1:64
	ds_write2st64_b32 v21, v22, v26 offset0:32 offset1:64
	ds_write2st64_b32 v39, v30, v34 offset0:33 offset1:65
	ds_write2st64_b32 v40, v23, v27 offset0:33 offset1:65
	ds_write2st64_b32 v42, v31, v35 offset0:34 offset1:66
	ds_write2st64_b32 v45, v24, v28 offset0:34 offset1:66
	ds_write2st64_b32 v46, v32, v36 offset0:35 offset1:67
	ds_write2st64_b32 v47, v25, v29 offset0:35 offset1:67
	v_lshlrev_b32_e32 v20, 8, v41
	v_or_b32_e32 v91, v20, v43
	v_or_b32_e32 v92, v20, v44
	;; [unrolled: 1-line block ×3, first 2 shown]
	v_lshlrev_b32_e32 v20, 3, v20
	v_lshrrev_b32_e32 v23, 5, v61
	v_and_or_b32 v23, v20, s0, v23
	v_lshlrev_b32_e32 v23, 4, v23
	v_lshlrev_b32_e32 v25, 11, v72
	v_and_b32_e32 v20, 0x78, v20
	v_or_b32_e32 v28, 32, v23
	v_and_b32_e32 v22, 0x1000, v25
	v_lshrrev_b32_e32 v26, 1, v61
	v_xor_b32_e32 v28, v28, v20
	v_xor_b32_e32 v24, v23, v20
	v_and_b32_e32 v26, 8, v26
	v_or_b32_e32 v28, v28, v22
	v_or_b32_e32 v24, v24, v22
	v_lshlrev_b32_e32 v27, 7, v73
	v_xor_b32_e32 v95, v28, v26
	v_or_b32_e32 v28, 64, v23
	v_or_b32_e32 v23, 0x60, v23
	v_xor_b32_e32 v93, v24, v26
	v_or_b32_e32 v24, v27, v38
	v_xor_b32_e32 v28, v28, v20
	v_xor_b32_e32 v20, v23, v20
	s_lshl_b64 s[0:1], s[38:39], 8
	v_lshlrev_b32_e32 v24, 1, v24
	v_or_b32_e32 v28, v28, v22
	v_or_b32_e32 v20, v20, v22
	s_add_u32 s0, s18, s0
	v_lshlrev_b32_e32 v22, 1, v74
	v_or_b32_e32 v94, 0xa000, v24
	v_or_b32_e32 v96, 0xa080, v24
	;; [unrolled: 1-line block ×4, first 2 shown]
	v_lshrrev_b32_e32 v24, 4, v0
	s_addc_u32 s1, s19, s1
	v_or_b32_e32 v23, 1, v22
	v_mov_b32_e32 v33, 0x4000
	v_mov_b32_e32 v34, 0x2000
	v_lshrrev_b32_e32 v35, 1, v0
	v_xor_b32_e32 v97, v28, v26
	v_xor_b32_e32 v98, v20, v26
	;; [unrolled: 1-line block ×4, first 2 shown]
	v_lshl_add_u64 v[22:23], s[0:1], 0, v[64:65]
	v_lshlrev_b32_e32 v64, 8, v24
	v_cndmask_b32_e32 v33, v33, v34, vcc
	v_lshlrev_b32_e32 v34, 3, v72
	v_and_b32_e32 v35, 24, v35
	v_lshl_or_b32 v101, v26, 3, v64
	v_and_b32_e32 v26, 8, v0
	v_xor_b32_e32 v36, v34, v35
	v_or_b32_e32 v37, 0x440, v36
	v_cmp_eq_u32_e32 vcc, 0, v26
	v_and_b32_e32 v24, 7, v0
	v_lshl_or_b32 v102, v30, 3, v64
	v_cndmask_b32_e32 v26, v37, v36, vcc
	v_lshlrev_b32_e32 v30, 3, v24
	v_lshlrev_b32_e32 v32, 2, v0
	v_or_b32_e32 v26, v26, v25
	v_xor_b32_e32 v36, v26, v30
	v_and_or_b32 v26, v32, 60, v27
	v_mov_b32_e32 v27, 0xb000
	v_lshl_or_b32 v103, v26, 1, v27
	v_or_b32_e32 v26, 32, v35
	v_xor_b32_e32 v26, v34, v26
	v_or_b32_e32 v27, 0x440, v26
	v_cndmask_b32_e32 v26, v27, v26, vcc
	v_or_b32_e32 v26, v26, v25
	v_xor_b32_e32 v27, v26, v30
	v_or_b32_e32 v26, 64, v35
	v_xor_b32_e32 v26, v34, v26
	v_xor_b32_e32 v38, 0x440, v26
	v_cndmask_b32_e32 v26, v38, v26, vcc
	v_or_b32_e32 v26, v26, v25
	v_xor_b32_e32 v38, v26, v30
	v_or_b32_e32 v26, 0x60, v35
	v_xor_b32_e32 v26, v34, v26
	v_xor_b32_e32 v34, 0x440, v26
	v_cndmask_b32_e32 v26, v34, v26, vcc
	v_lshrrev_b32_e32 v21, 2, v61
	v_or_b32_e32 v25, v26, v25
	v_and_b32_e32 v21, 12, v21
	v_lshlrev_b32_e32 v28, 1, v19
	v_add_lshl_u32 v19, v19, s15, 1
	v_or_b32_e32 v29, 0x100, v18
	v_xor_b32_e32 v25, v25, v30
	v_lshlrev_b32_e32 v20, 7, v77
	v_lshlrev_b32_e32 v31, 7, v24
	v_or_b32_e32 v24, v21, v1
	v_add_u32_e32 v37, v33, v36
	v_add_u32_e32 v32, v33, v27
	;; [unrolled: 1-line block ×4, first 2 shown]
	v_or3_b32 v26, v1, v21, 64
	v_add_u32_e32 v21, 0x4000, v36
	v_add_u32_e32 v27, 0x4000, v27
	;; [unrolled: 1-line block ×4, first 2 shown]
	v_cndmask_b32_e64 v104, v28, v18, s[2:3]
	v_cndmask_b32_e64 v105, v19, v29, s[2:3]
	v_lshlrev_b64 v[18:19], 1, v[62:63]
	v_lshl_add_u64 v[66:67], s[8:9], 0, v[18:19]
	v_lshl_add_u64 v[68:69], s[28:29], 0, v[18:19]
	;; [unrolled: 1-line block ×3, first 2 shown]
	s_add_i32 s37, s63, 63
	s_mov_b32 s39, 0x7060302
	v_lshlrev_b32_e32 v64, 1, v20
	v_lshlrev_b32_e32 v63, 2, v24
	v_add_u32_e32 v106, v37, v31
	v_add_u32_e32 v107, v32, v31
	;; [unrolled: 1-line block ×4, first 2 shown]
	v_lshlrev_b32_e32 v110, 2, v26
	v_add_u32_e32 v111, v21, v31
	v_add_u32_e32 v112, v27, v31
	;; [unrolled: 1-line block ×4, first 2 shown]
	s_waitcnt lgkmcnt(0)
	s_barrier
.LBB459_32:                             ; =>This Inner Loop Header: Depth=1
	s_add_i32 s68, s69, 1
	s_cmp_lt_i32 s68, s53
	s_mov_b64 s[24:25], 0
	s_cselect_b64 s[2:3], -1, 0
	s_cmp_ge_i32 s68, s53
	s_mov_b64 s[20:21], 0
	s_cbranch_scc1 .LBB459_34
; %bb.33:                               ;   in Loop: Header=BB459_32 Depth=1
	s_add_i32 s0, s64, 64
	s_add_u32 s0, s16, s0
	s_addc_u32 s1, s17, 0
	s_lshl_b64 s[0:1], s[0:1], 8
	s_add_u32 s20, s6, s0
	s_addc_u32 s21, s7, s1
.LBB459_34:                             ;   in Loop: Header=BB459_32 Depth=1
	v_cndmask_b32_e64 v18, 0, 1, s[2:3]
	v_cmp_ne_u32_e64 s[0:1], 1, v18
	s_andn2_b64 vcc, exec, s[2:3]
	s_cbranch_vccnz .LBB459_36
; %bb.35:                               ;   in Loop: Header=BB459_32 Depth=1
	s_add_i32 s2, s64, 64
	s_add_u32 s2, s63, s2
	s_addc_u32 s3, s67, 0
	s_mul_i32 s24, s2, s55
	s_mul_hi_u32 s25, s2, s60
	s_add_i32 s24, s25, s24
	s_mul_i32 s3, s3, s60
	s_add_i32 s24, s24, s3
	s_mul_i32 s2, s2, s60
	s_add_u32 s2, s2, s56
	s_addc_u32 s3, s24, s61
	s_lshl_b64 s[2:3], s[2:3], 8
	s_add_u32 s24, s4, s2
	s_addc_u32 s25, s5, s3
.LBB459_36:                             ;   in Loop: Header=BB459_32 Depth=1
	v_perm_b32 v19, v17, v16, s39
	v_perm_b32 v18, v15, v14, s39
	;; [unrolled: 1-line block ×4, first 2 shown]
	ds_write_b64 v85, v[18:19]
	ds_write_b64 v86, v[20:21]
	;; [unrolled: 1-line block ×4, first 2 shown]
	v_perm_b32 v19, v9, v8, s39
	v_perm_b32 v18, v7, v6, s39
	;; [unrolled: 1-line block ×4, first 2 shown]
	ds_write_b64 v87, v[18:19]
	ds_write_b64 v88, v[20:21]
	;; [unrolled: 1-line block ×4, first 2 shown]
	s_waitcnt lgkmcnt(0)
	s_barrier
	ds_read_b64 v[22:23], v93 offset:24576
	ds_read2_b64 v[18:21], v94 offset1:16
	ds_read_b64 v[26:27], v96 offset:3072
	ds_read_b64 v[28:29], v94 offset:3072
	;; [unrolled: 1-line block ×3, first 2 shown]
	s_waitcnt lgkmcnt(3)
	v_mfma_f32_16x16x16_bf16 a[0:3], v[22:23], v[18:19], 0
	s_add_i32 s2, s64, 63
	s_mul_i32 s3, s2, s31
	s_mul_hi_u32 s27, s2, s30
	v_mfma_f32_16x16x16_bf16 a[4:7], v[22:23], v[20:21], 0
	ds_read2st64_b64 v[18:21], v94 offset0:2 offset1:4
	ds_read2st64_b64 v[22:25], v96 offset0:2 offset1:4
	s_add_i32 s3, s27, s3
	s_waitcnt lgkmcnt(1)
	v_mfma_f32_16x16x16_bf16 a[0:3], v[30:31], v[18:19], a[0:3]
	s_mul_i32 s2, s2, s30
	s_lshl_b64 s[2:3], s[2:3], 2
	s_add_u32 s2, s44, s2
	s_waitcnt lgkmcnt(0)
	v_mfma_f32_16x16x16_bf16 a[4:7], v[30:31], v[22:23], a[4:7]
	ds_read_b64 v[18:19], v97 offset:24576
	ds_read_b64 v[22:23], v98 offset:24576
	s_addc_u32 s3, s45, s3
	s_and_b64 vcc, exec, s[0:1]
	s_waitcnt lgkmcnt(1)
	v_mfma_f32_16x16x16_bf16 a[0:3], v[18:19], v[20:21], a[0:3]
	v_mov_b32_e32 v118, 0
	v_mov_b32_e32 v117, 0
	;; [unrolled: 1-line block ×3, first 2 shown]
	v_mfma_f32_16x16x16_bf16 a[8:11], v[18:19], v[24:25], a[4:7]
	v_mov_b32_e32 v18, 0
	v_mov_b32_e32 v19, 0
	;; [unrolled: 1-line block ×3, first 2 shown]
	s_waitcnt lgkmcnt(0)
	v_mfma_f32_16x16x16_bf16 a[4:7], v[22:23], v[28:29], a[0:3]
	v_mov_b32_e32 v21, 0
	v_mov_b32_e32 v24, 0
	;; [unrolled: 1-line block ×3, first 2 shown]
	v_mfma_f32_16x16x16_bf16 a[0:3], v[22:23], v[26:27], a[8:11]
	v_mov_b32_e32 v22, 0
	v_mov_b32_e32 v23, 0
	;; [unrolled: 1-line block ×10, first 2 shown]
	s_cbranch_vccnz .LBB459_38
; %bb.37:                               ;   in Loop: Header=BB459_32 Depth=1
	s_and_b32 s21, s21, 0xffff
	buffer_load_dwordx4 v[30:33], v81, s[20:23], 0 offen
	buffer_load_dwordx4 v[26:29], v81, s[20:23], s62 offen
	buffer_load_dwordx4 v[22:25], v82, s[20:23], 0 offen
	buffer_load_dwordx4 v[18:21], v82, s[20:23], s62 offen
	v_mov_b32_e32 v117, v83
	v_mov_b32_e32 v116, v84
.LBB459_38:                             ;   in Loop: Header=BB459_32 Depth=1
	ds_read_b64 v[42:43], v93 offset:32768
	ds_read2_b64 v[34:37], v99 offset1:16
	ds_read_b64 v[44:45], v95 offset:32768
	ds_read_b64 v[46:47], v97 offset:32768
	;; [unrolled: 1-line block ×3, first 2 shown]
	v_add_u32_e32 v50, s64, v77
	s_waitcnt lgkmcnt(3)
	v_mfma_f32_16x16x16_bf16 a[4:7], v[42:43], v[34:35], a[4:7]
	v_ashrrev_i32_e32 v34, 31, v50
	ds_read2st64_b64 v[38:41], v99 offset0:2 offset1:4
	v_mfma_f32_16x16x16_bf16 a[0:3], v[42:43], v[36:37], a[0:3]
	v_mul_lo_u32 v36, v34, s30
	v_mul_lo_u32 v37, v50, s31
	v_mad_u64_u32 v[34:35], s[20:21], v50, s30, 0
	v_add3_u32 v35, v35, v37, v36
	v_add_u32_e32 v36, 1, v50
	v_ashrrev_i32_e32 v37, 31, v36
	v_mul_lo_u32 v42, v37, s30
	v_mul_lo_u32 v43, v36, s31
	v_mad_u64_u32 v[36:37], s[20:21], v36, s30, 0
	v_add3_u32 v37, v37, v43, v42
	v_add_u32_e32 v42, 2, v50
	v_ashrrev_i32_e32 v43, 31, v42
	v_mul_lo_u32 v51, v43, s30
	v_mul_lo_u32 v52, v42, s31
	v_mad_u64_u32 v[42:43], s[20:21], v42, s30, 0
	v_add_u32_e32 v50, 3, v50
	v_add3_u32 v43, v43, v52, v51
	v_ashrrev_i32_e32 v51, 31, v50
	v_mul_lo_u32 v52, v51, s30
	v_mul_lo_u32 v53, v50, s31
	v_mad_u64_u32 v[50:51], s[20:21], v50, s30, 0
	s_add_u32 s20, s16, s64
	s_addc_u32 s21, s17, 0
	s_lshl_b64 s[20:21], s[20:21], 8
	v_lshl_add_u64 v[34:35], v[34:35], 2, s[44:45]
	v_lshl_add_u64 v[36:37], v[36:37], 2, s[44:45]
	v_add3_u32 v51, v51, v53, v52
	v_lshl_add_u64 v[52:53], v[66:67], 0, s[20:21]
	v_lshl_add_u64 v[42:43], v[42:43], 2, s[44:45]
	;; [unrolled: 1-line block ×3, first 2 shown]
	global_load_dword v54, v[34:35], off
	global_load_ushort v55, v[52:53], off offset:256
	global_load_ushort v56, v[52:53], off
	v_lshl_add_u64 v[34:35], v[50:51], 2, s[44:45]
	global_load_dword v50, v[36:37], off
	global_load_dword v51, v[42:43], off
	;; [unrolled: 1-line block ×3, first 2 shown]
	ds_read2st64_b64 v[34:37], v100 offset0:2 offset1:4
	global_load_ushort v58, v[52:53], off offset:768
	global_load_ushort v59, v[52:53], off offset:512
	global_load_ushort v60, v[52:53], off offset:800
	global_load_ushort v119, v[52:53], off offset:544
	global_load_ushort v120, v[52:53], off offset:288
	s_nop 0
	global_load_ushort v52, v[52:53], off offset:32
	s_waitcnt lgkmcnt(1)
	v_mfma_f32_16x16x16_bf16 a[4:7], v[44:45], v[38:39], a[4:7]
	s_and_b64 vcc, exec, s[0:1]
	s_waitcnt vmcnt(10)
	v_lshlrev_b32_e32 v43, 16, v55
	s_waitcnt lgkmcnt(0)
	v_mfma_f32_16x16x16_bf16 a[0:3], v[44:45], v[34:35], a[0:3]
	s_waitcnt vmcnt(9)
	v_lshlrev_b32_e32 v42, 16, v56
	v_mfma_f32_16x16x16_bf16 a[4:7], v[46:47], v[40:41], a[4:7]
	v_mfma_f32_16x16x16_bf16 a[0:3], v[46:47], v[36:37], a[0:3]
	ds_read_b64 v[34:35], v99 offset:3072
	ds_read_b64 v[36:37], v100 offset:3072
	s_load_dword s2, s[2:3], 0x0
	s_waitcnt lgkmcnt(0)
	v_sub_f32_e32 v44, s2, v54
	v_mfma_f32_16x16x16_bf16 a[4:7], v[48:49], v[34:35], a[4:7]
	v_mul_f32_e32 v44, 0x3fb8aa3b, v44
	s_waitcnt vmcnt(8)
	v_sub_f32_e32 v45, s2, v50
	s_waitcnt vmcnt(7)
	v_sub_f32_e32 v46, s2, v51
	;; [unrolled: 2-line block ×3, first 2 shown]
	v_mfma_f32_16x16x16_bf16 a[0:3], v[48:49], v[36:37], a[0:3]
	v_lshl_add_u64 v[34:35], v[68:69], 0, s[20:21]
	v_lshl_add_u64 v[34:35], v[34:35], 0, v[64:65]
	v_accvgpr_read_b32 v41, a5
	v_accvgpr_read_b32 v40, a4
	v_pk_add_f32 v[40:41], v[42:43], v[40:41] neg_lo:[0,1] neg_hi:[0,1]
	v_exp_f32_e32 v42, v44
	v_mul_f32_e32 v43, 0x3fb8aa3b, v45
	v_mul_f32_e32 v44, 0x3fb8aa3b, v46
	;; [unrolled: 1-line block ×3, first 2 shown]
	v_exp_f32_e32 v43, v43
	v_exp_f32_e32 v44, v44
	;; [unrolled: 1-line block ×3, first 2 shown]
	v_accvgpr_read_b32 v37, a7
	v_accvgpr_read_b32 v36, a6
	s_waitcnt vmcnt(5)
	v_lshlrev_b32_e32 v47, 16, v58
	s_waitcnt vmcnt(4)
	v_lshlrev_b32_e32 v46, 16, v59
	v_pk_add_f32 v[36:37], v[46:47], v[36:37] neg_lo:[0,1] neg_hi:[0,1]
	global_store_short_d16_hi v[34:35], v40, off
	global_store_short_d16_hi v[34:35], v41, off offset:256
	global_store_short_d16_hi v[34:35], v36, off offset:512
	;; [unrolled: 1-line block ×3, first 2 shown]
	v_pk_mul_f32 v[40:41], v[42:43], v[40:41]
	v_pk_mul_f32 v[36:37], v[44:45], v[36:37]
	v_accvgpr_read_b32 v47, a1
	v_perm_b32 v37, v37, v36, s39
	v_perm_b32 v36, v41, v40, s39
	s_waitcnt vmcnt(5)
	v_lshlrev_b32_e32 v41, 16, v120
	s_waitcnt vmcnt(4)
	v_lshlrev_b32_e32 v40, 16, v52
	v_accvgpr_read_b32 v46, a0
	v_accvgpr_read_b32 v39, a3
	;; [unrolled: 1-line block ×3, first 2 shown]
	v_pk_add_f32 v[40:41], v[40:41], v[46:47] neg_lo:[0,1] neg_hi:[0,1]
	v_lshlrev_b32_e32 v47, 16, v60
	v_lshlrev_b32_e32 v46, 16, v119
	v_pk_add_f32 v[38:39], v[46:47], v[38:39] neg_lo:[0,1] neg_hi:[0,1]
	global_store_short_d16_hi v[34:35], v40, off offset:32
	global_store_short_d16_hi v[34:35], v41, off offset:288
	;; [unrolled: 1-line block ×4, first 2 shown]
	v_pk_mul_f32 v[34:35], v[42:43], v[40:41]
	v_pk_mul_f32 v[38:39], v[44:45], v[38:39]
	v_mov_b32_e32 v119, 0
	v_perm_b32 v39, v39, v38, s39
	v_perm_b32 v38, v35, v34, s39
	ds_write2_b64 v86, v[36:37], v[38:39] offset1:16
	v_mov_b32_e32 v34, 0
	v_mov_b32_e32 v35, 0
	;; [unrolled: 1-line block ×16, first 2 shown]
	s_cbranch_vccnz .LBB459_40
; %bb.39:                               ;   in Loop: Header=BB459_32 Depth=1
	s_and_b32 s25, s25, 0xffff
	s_mov_b32 s27, s23
	buffer_load_dwordx4 v[46:49], v104, s[24:27], 0 offen
	buffer_load_dwordx4 v[38:41], v104, s[24:27], s62 offen
	;; [unrolled: 1-line block ×4, first 2 shown]
	v_mov_b32_e32 v118, v80
	v_mov_b32_e32 v119, v79
.LBB459_40:                             ;   in Loop: Header=BB459_32 Depth=1
	s_waitcnt lgkmcnt(0)
	s_barrier
	ds_read_b64 v[54:55], v106
	ds_read_b64 v[124:125], v103
	;; [unrolled: 1-line block ×5, first 2 shown]
	ds_read_b64 v[138:139], v100 offset:3072
	ds_read2_b64 v[50:53], v99 offset0:16 offset1:128
	s_waitcnt lgkmcnt(5)
	v_mfma_f32_16x16x16_bf16 a[0:3], v[54:55], v[124:125], 0
	ds_read2st64_b64 v[56:59], v100 offset0:2 offset1:4
	s_add_i32 s3, s57, s69
	s_mul_hi_i32 s21, s3, s13
	s_waitcnt lgkmcnt(1)
	v_mfma_f32_16x16x16_bf16 a[4:7], v[54:55], v[50:51], 0
	ds_read_b64 v[54:55], v111
	s_mul_i32 s3, s3, s13
	s_add_u32 s20, s3, s50
	s_waitcnt lgkmcnt(1)
	v_mfma_f32_16x16x16_bf16 a[4:7], v[126:127], v[56:57], a[4:7]
	s_addc_u32 s21, s21, s54
	s_add_i32 s3, s37, s64
	s_lshl_b64 s[20:21], s[20:21], 15
	s_mul_hi_i32 s25, s3, s13
	s_mul_i32 s3, s3, s13
	s_add_u32 s24, s3, s50
	v_mfma_f32_16x16x16_bf16 a[8:11], v[128:129], v[58:59], a[4:7]
	s_addc_u32 s25, s25, s54
	ds_read2st64_b64 v[120:123], v99 offset0:4 offset1:6
	s_lshl_b64 s[24:25], s[24:25], 9
	s_waitcnt lgkmcnt(1)
	v_mfma_f32_16x16x16_bf16 a[4:7], v[54:55], v[124:125], 0
	s_add_u32 s24, s42, s24
	s_addc_u32 s25, s43, s25
	v_mfma_f32_16x16x16_bf16 a[0:3], v[126:127], v[52:53], a[0:3]
	ds_read_b64 v[126:127], v112
	ds_read_b64 v[134:135], v113
	;; [unrolled: 1-line block ×3, first 2 shown]
	v_mfma_f32_16x16x16_bf16 a[12:15], v[54:55], v[50:51], 0
	s_waitcnt lgkmcnt(2)
	v_mfma_f32_16x16x16_bf16 a[4:7], v[126:127], v[52:53], a[4:7]
	global_load_dwordx4 v[50:53], v110, s[24:25]
	v_mfma_f32_16x16x16_bf16 a[12:15], v[126:127], v[56:57], a[12:15]
	global_load_dwordx4 v[54:57], v63, s[24:25]
	ds_read2st64_b64 v[124:127], v101 offset1:8
	s_waitcnt lgkmcnt(0)
	v_mov_b32_e32 v132, v124
	v_mfma_f32_16x16x16_bf16 a[0:3], v[128:129], v[120:121], a[0:3]
	ds_read2st64_b64 v[128:131], v102 offset1:8
	v_mov_b32_e32 v133, v125
	v_mfma_f32_16x16x16_bf16 a[16:19], v[134:135], v[120:121], a[4:7]
	v_lshl_add_u64 v[120:121], v[70:71], 0, s[20:21]
	v_mfma_f32_16x16x16_bf16 a[20:23], v[134:135], v[58:59], a[12:15]
	v_add_co_u32_e32 v58, vcc, s35, v120
	s_waitcnt lgkmcnt(0)
	v_mov_b32_e32 v134, v128
	v_mfma_f32_16x16x16_bf16 a[4:7], v[136:137], v[122:123], a[0:3]
	v_mov_b32_e32 v135, v129
	v_mov_b32_e32 v128, v126
	v_mov_b32_e32 v129, v127
	v_mfma_f32_16x16x16_bf16 a[8:11], v[136:137], v[138:139], a[8:11]
	v_addc_co_u32_e32 v59, vcc, 0, v121, vcc
	global_store_dwordx4 v[58:59], v[128:131], off
	v_mfma_f32_16x16x16_bf16 a[12:15], v[140:141], v[122:123], a[16:19]
	s_and_b64 vcc, exec, s[0:1]
	global_store_dwordx4 v[120:121], v[132:135], off
	s_waitcnt vmcnt(3)
	v_mov_b32_e32 v60, v53
	v_mfma_f32_16x16x16_bf16 a[0:3], v[140:141], v[138:139], a[20:23]
	v_mov_b32_e32 v59, v52
	v_mov_b32_e32 v58, v51
	s_cbranch_vccnz .LBB459_42
; %bb.41:                               ;   in Loop: Header=BB459_32 Depth=1
	v_lshrrev_b32_e32 v51, 3, v118
	v_and_b32_e32 v51, 6, v51
	v_xor_b32_e32 v52, v51, v119
	v_lshlrev_b32_e32 v52, 2, v52
	v_and_b32_e32 v53, 8, v118
	v_xor_b32_e32 v118, 0x440, v52
	v_cmp_eq_u32_e32 vcc, 0, v53
	v_perm_b32 v53, v38, v34, s65
	s_nop 0
	v_cndmask_b32_e32 v52, v118, v52, vcc
	v_lshl_or_b32 v51, v51, 10, v52
	v_perm_b32 v52, v46, v42, s65
	s_barrier
	ds_write2st64_b32 v51, v52, v53 offset0:32 offset1:64
	v_xor_b32_e32 v52, 8, v51
	v_perm_b32 v42, v46, v42, s66
	v_perm_b32 v34, v38, v34, s66
	v_add_u32_e32 v38, 0x80, v52
	ds_write2st64_b32 v38, v42, v34 offset0:32 offset1:64
	v_xor_b32_e32 v34, 16, v51
	v_perm_b32 v38, v47, v43, s65
	v_perm_b32 v42, v39, v35, s65
	ds_write2st64_b32 v34, v38, v42 offset0:33 offset1:65
	v_xor_b32_e32 v34, 24, v51
	v_perm_b32 v38, v47, v43, s66
	v_perm_b32 v35, v39, v35, s66
	v_add_u32_e32 v34, 0x80, v34
	ds_write2st64_b32 v34, v38, v35 offset0:33 offset1:65
	v_xor_b32_e32 v34, 32, v51
	v_perm_b32 v35, v48, v44, s65
	v_perm_b32 v38, v40, v36, s65
	;; [unrolled: 9-line block ×3, first 2 shown]
	ds_write2st64_b32 v34, v35, v36 offset0:35 offset1:67
	v_xor_b32_e32 v34, 56, v51
	v_perm_b32 v35, v49, v45, s66
	v_perm_b32 v36, v41, v37, s66
	v_add_u32_e32 v34, 0x80, v34
	ds_write2st64_b32 v34, v35, v36 offset0:35 offset1:67
	ds_write_b64 v117, v[30:31] offset:24576
	v_xor_b32_e32 v30, 8, v117
	ds_write_b64 v30, v[32:33] offset:24576
	ds_write_b64 v117, v[26:27] offset:32768
	;; [unrolled: 1-line block ×4, first 2 shown]
	v_xor_b32_e32 v22, 8, v116
	ds_write_b64 v22, v[24:25] offset:24576
	ds_write_b64 v116, v[18:19] offset:32768
	ds_write_b64 v22, v[20:21] offset:32768
.LBB459_42:                             ;   in Loop: Header=BB459_32 Depth=1
	v_mul_f32_e32 v22, s2, v115
	v_exp_f32_e32 v34, v22
	s_waitcnt vmcnt(2)
	v_mul_f32_e32 v22, 0x3fb8aa3b, v54
	v_exp_f32_e32 v36, v22
	v_mul_f32_e32 v22, 0x3fb8aa3b, v55
	v_exp_f32_e32 v37, v22
	;; [unrolled: 2-line block ×4, first 2 shown]
	v_accvgpr_read_b32 v29, a7
	v_accvgpr_read_b32 v27, a5
	;; [unrolled: 1-line block ×4, first 2 shown]
	v_pk_mul_f32 v[36:37], v[34:35], v[36:37] op_sel_hi:[0,1]
	v_accvgpr_read_b32 v20, a10
	v_pk_fma_f32 v[14:15], v[14:15], v[36:37], v[26:27]
	v_pk_mul_f32 v[26:27], v[34:35], v[38:39] op_sel_hi:[0,1]
	v_accvgpr_read_b32 v28, a6
	v_accvgpr_read_b32 v19, a9
	;; [unrolled: 1-line block ×3, first 2 shown]
	v_fma_f32 v8, v8, v26, v20
	v_mul_f32_e32 v20, 0x3fb8aa3b, v59
	v_pk_fma_f32 v[16:17], v[16:17], v[26:27], v[28:29]
	v_fma_f32 v6, v6, v36, v18
	v_fma_f32 v7, v7, v37, v19
	v_mul_f32_e32 v18, 0x3fb8aa3b, v50
	v_mul_f32_e32 v19, 0x3fb8aa3b, v58
	v_exp_f32_e32 v28, v20
	v_mul_f32_e32 v20, 0x3fb8aa3b, v60
	v_exp_f32_e32 v18, v18
	v_exp_f32_e32 v19, v19
	;; [unrolled: 1-line block ×3, first 2 shown]
	v_accvgpr_read_b32 v33, a15
	v_accvgpr_read_b32 v25, a3
	;; [unrolled: 1-line block ×8, first 2 shown]
	v_fmac_f32_e32 v21, v9, v27
	v_pk_mul_f32 v[18:19], v[34:35], v[18:19] op_sel_hi:[0,1]
	v_pk_mul_f32 v[26:27], v[34:35], v[28:29] op_sel_hi:[0,1]
	s_add_i32 s64, s64, 64
	v_pk_fma_f32 v[10:11], v[10:11], v[18:19], v[30:31]
	v_pk_fma_f32 v[12:13], v[12:13], v[26:27], v[32:33]
	v_fma_f32 v2, v2, v18, v22
	v_fma_f32 v3, v3, v19, v23
	;; [unrolled: 1-line block ×3, first 2 shown]
	s_cmp_eq_u32 s53, s68
	v_fmac_f32_e32 v25, v5, v27
	s_cbranch_scc1 .LBB459_4
; %bb.43:                               ;   in Loop: Header=BB459_32 Depth=1
	s_mov_b32 s69, s68
	v_mov_b32_e32 v9, v21
	v_mov_b32_e32 v5, v25
	s_branch .LBB459_32
.LBB459_44:
                                        ; implicit-def: $vgpr5
                                        ; implicit-def: $vgpr9
                                        ; implicit-def: $vgpr13
                                        ; implicit-def: $vgpr17
	s_cbranch_execz .LBB459_46
; %bb.45:
	s_waitcnt vmcnt(0)
	v_mad_u64_u32 v[2:3], s[0:1], v20, s15, v[18:19]
	v_lshlrev_b32_e32 v20, 1, v2
	s_lshl_b32 s2, s15, 7
	s_and_b32 s1, s5, 0xffff
	s_mov_b32 s3, 0x20000
	s_mov_b32 s0, s4
	v_add_lshl_u32 v21, v2, s15, 1
	s_movk_i32 s13, 0x80
	buffer_load_dwordx4 v[2:5], v20, s[0:3], 0 offen
	buffer_load_dwordx4 v[10:13], v20, s[0:3], s13 offen
	;; [unrolled: 1-line block ×4, first 2 shown]
.LBB459_46:
	v_lshrrev_b32_e32 v30, 2, v61
	s_cbranch_execnz .LBB459_59
.LBB459_47:
	s_and_b64 vcc, exec, s[6:7]
	s_cbranch_vccz .LBB459_57
; %bb.48:
	s_waitcnt vmcnt(0)
	v_lshlrev_b32_e32 v7, 1, v23
	v_cmp_gt_i32_e32 vcc, s27, v7
	v_mov_b32_e32 v6, 0
	v_lshlrev_b32_e32 v14, 9, v23
	v_mov_b32_e32 v2, 0
	v_mov_b32_e32 v3, 0
	;; [unrolled: 1-line block ×4, first 2 shown]
	s_and_saveexec_b64 s[0:1], vcc
	s_cbranch_execz .LBB459_50
; %bb.49:
	v_mov_b32_e32 v15, 0
	v_lshl_add_u64 v[2:3], s[4:5], 0, v[14:15]
	v_lshlrev_b32_e32 v4, 1, v18
	v_mov_b32_e32 v5, v15
	v_lshl_add_u64 v[2:3], v[2:3], 0, v[4:5]
	global_load_dwordx4 v[2:5], v[2:3], off
.LBB459_50:
	s_or_b64 exec, exec, s[0:1]
	v_or_b32_e32 v7, 1, v7
	v_cmp_gt_i32_e64 s[0:1], s27, v7
	v_lshlrev_b32_e32 v20, 8, v7
	v_mov_b32_e32 v7, 0
	v_mov_b32_e32 v8, 0
	;; [unrolled: 1-line block ×3, first 2 shown]
	s_and_saveexec_b64 s[2:3], s[0:1]
	s_cbranch_execz .LBB459_52
; %bb.51:
	v_mov_b32_e32 v21, 0
	v_lshl_add_u64 v[6:7], s[4:5], 0, v[20:21]
	v_lshlrev_b32_e32 v8, 1, v18
	v_mov_b32_e32 v9, v21
	v_lshl_add_u64 v[6:7], v[6:7], 0, v[8:9]
	global_load_dwordx4 v[6:9], v[6:7], off
.LBB459_52:
	s_or_b64 exec, exec, s[2:3]
	v_mov_b32_e32 v17, 0
	v_mov_b32_e32 v10, 0
	;; [unrolled: 1-line block ×5, first 2 shown]
	s_and_saveexec_b64 s[2:3], vcc
	s_cbranch_execz .LBB459_54
; %bb.53:
	v_mov_b32_e32 v15, 0
	v_lshl_add_u64 v[10:11], s[4:5], 0, v[14:15]
	v_lshlrev_b32_e32 v14, 1, v18
	v_lshl_add_u64 v[10:11], v[10:11], 0, v[14:15]
	global_load_dwordx4 v[10:13], v[10:11], off offset:128
.LBB459_54:
	s_or_b64 exec, exec, s[2:3]
	v_mov_b32_e32 v16, 0
	v_mov_b32_e32 v15, 0
	;; [unrolled: 1-line block ×3, first 2 shown]
	s_and_saveexec_b64 s[2:3], s[0:1]
	s_cbranch_execz .LBB459_56
; %bb.55:
	v_mov_b32_e32 v21, 0
	v_lshl_add_u64 v[14:15], s[4:5], 0, v[20:21]
	v_lshlrev_b32_e32 v20, 1, v18
	v_lshl_add_u64 v[14:15], v[14:15], 0, v[20:21]
	global_load_dwordx4 v[14:17], v[14:15], off offset:128
.LBB459_56:
	s_or_b64 exec, exec, s[2:3]
	s_branch .LBB459_59
.LBB459_57:
                                        ; implicit-def: $vgpr5
                                        ; implicit-def: $vgpr9
                                        ; implicit-def: $vgpr13
                                        ; implicit-def: $vgpr17
	s_cbranch_execz .LBB459_59
; %bb.58:
	s_waitcnt vmcnt(0)
	v_lshlrev_b32_e32 v2, 1, v18
	v_lshl_or_b32 v18, v23, 9, v2
	s_and_b32 s5, s5, 0xffff
	s_mov_b32 s7, 0x20000
	s_movk_i32 s6, 0x4000
	s_movk_i32 s0, 0x80
	buffer_load_dwordx4 v[2:5], v18, s[4:7], 0 offen
	buffer_load_dwordx4 v[6:9], v18, s[4:7], 0 offen offset:256
	buffer_load_dwordx4 v[10:13], v18, s[4:7], s0 offen
	buffer_load_dwordx4 v[14:17], v18, s[4:7], s0 offen offset:256
.LBB459_59:
	ds_read_b64 v[20:21], v25 offset:32768
	v_add_u32_e32 v18, 0xb000, v24
	ds_read2_b64 v[32:35], v18 offset1:16
	ds_read_b64 v[40:41], v26 offset:32768
	ds_read_b64 v[26:27], v27 offset:32768
	;; [unrolled: 1-line block ×3, first 2 shown]
	v_and_b32_e32 v18, 6, v0
	v_xor_b32_e32 v23, v23, v18
	v_lshlrev_b32_e32 v23, 2, v23
	v_and_b32_e32 v0, 1, v0
	v_xor_b32_e32 v28, 0x440, v23
	v_cmp_eq_u32_e32 vcc, 0, v0
	s_waitcnt lgkmcnt(3)
	v_mfma_f32_16x16x16_bf16 a[0:3], v[20:21], v[32:33], a[0:3]
	s_mov_b32 s0, 0x1000504
	v_cndmask_b32_e32 v0, v28, v23, vcc
	v_lshl_or_b32 v0, v18, 10, v0
	v_mfma_f32_16x16x16_bf16 a[4:7], v[20:21], v[34:35], a[4:7]
	ds_read2st64_b64 v[32:35], v24 offset0:90 offset1:92
	ds_read2st64_b64 v[36:39], v29 offset0:90 offset1:92
	ds_read_b64 v[20:21], v24 offset:48128
	ds_read_b64 v[24:25], v29 offset:48128
	s_waitcnt vmcnt(0)
	v_perm_b32 v18, v2, v6, s0
	s_waitcnt lgkmcnt(3)
	v_mfma_f32_16x16x16_bf16 a[0:3], v[40:41], v[32:33], a[0:3]
	s_mov_b32 s1, 0x3020706
	v_perm_b32 v2, v2, v6, s1
	v_perm_b32 v6, v10, v14, s1
	s_waitcnt lgkmcnt(2)
	v_mfma_f32_16x16x16_bf16 a[4:7], v[40:41], v[36:37], a[4:7]
	v_mfma_f32_16x16x16_bf16 a[0:3], v[26:27], v[34:35], a[0:3]
	;; [unrolled: 1-line block ×3, first 2 shown]
	s_waitcnt lgkmcnt(1)
	v_mfma_f32_16x16x16_bf16 a[4:7], v[42:43], v[20:21], a[0:3]
	v_perm_b32 v20, v10, v14, s0
	ds_write2st64_b32 v0, v18, v20 offset0:32 offset1:64
	v_xor_b32_e32 v18, 8, v0
	v_add_u32_e32 v10, 0x80, v18
	ds_write2st64_b32 v10, v2, v6 offset0:32 offset1:64
	v_xor_b32_e32 v2, 16, v0
	v_perm_b32 v6, v3, v7, s0
	v_perm_b32 v10, v11, v15, s0
	ds_write2st64_b32 v2, v6, v10 offset0:33 offset1:65
	v_xor_b32_e32 v2, 24, v0
	v_perm_b32 v3, v3, v7, s1
	v_perm_b32 v6, v11, v15, s1
	v_add_u32_e32 v2, 0x80, v2
	ds_write2st64_b32 v2, v3, v6 offset0:33 offset1:65
	v_xor_b32_e32 v2, 32, v0
	v_perm_b32 v3, v4, v8, s0
	v_perm_b32 v6, v12, v16, s0
	s_waitcnt lgkmcnt(4)
	v_mfma_f32_16x16x16_bf16 a[0:3], v[42:43], v[24:25], a[8:11]
	ds_write2st64_b32 v2, v3, v6 offset0:34 offset1:66
	v_xor_b32_e32 v2, 40, v0
	v_perm_b32 v3, v4, v8, s1
	v_perm_b32 v4, v12, v16, s1
	v_add_u32_e32 v2, 0x80, v2
	ds_write2st64_b32 v2, v3, v4 offset0:34 offset1:66
	v_xor_b32_e32 v2, 48, v0
	v_perm_b32 v3, v5, v9, s0
	v_perm_b32 v4, v13, v17, s0
	v_xor_b32_e32 v0, 56, v0
	v_and_or_b32 v21, v30, 12, v1
	ds_write2st64_b32 v2, v3, v4 offset0:35 offset1:67
	v_perm_b32 v2, v5, v9, s1
	v_perm_b32 v3, v13, v17, s1
	v_add_u32_e32 v0, 0x80, v0
	v_cmp_gt_i32_e32 vcc, s27, v21
	v_mov_b32_e32 v16, 0
	v_mov_b32_e32 v18, 0
	ds_write2st64_b32 v0, v2, v3 offset0:35 offset1:67
	s_and_saveexec_b64 s[0:1], vcc
	s_cbranch_execz .LBB459_61
; %bb.60:
	v_add_u32_e32 v0, s26, v21
	v_ashrrev_i32_e32 v1, 31, v0
	v_mul_lo_u32 v2, v1, s30
	v_mul_lo_u32 v3, v0, s31
	v_mad_u64_u32 v[0:1], s[2:3], v0, s30, 0
	v_add3_u32 v1, v1, v3, v2
	v_lshl_add_u64 v[0:1], v[0:1], 2, s[10:11]
	global_load_dword v0, v[0:1], off
	s_waitcnt vmcnt(0)
	v_sub_f32_e32 v0, s12, v0
	v_mul_f32_e32 v0, 0x3fb8aa3b, v0
	v_exp_f32_e32 v18, v0
.LBB459_61:
	s_or_b64 exec, exec, s[0:1]
	v_or_b32_e32 v10, 1, v21
	v_cmp_gt_i32_e64 s[0:1], s27, v10
	s_and_saveexec_b64 s[2:3], s[0:1]
	s_cbranch_execz .LBB459_63
; %bb.62:
	v_add_u32_e32 v0, s26, v10
	v_ashrrev_i32_e32 v1, 31, v0
	v_mul_lo_u32 v2, v1, s30
	v_mul_lo_u32 v3, v0, s31
	v_mad_u64_u32 v[0:1], s[4:5], v0, s30, 0
	v_add3_u32 v1, v1, v3, v2
	v_lshl_add_u64 v[0:1], v[0:1], 2, s[10:11]
	global_load_dword v0, v[0:1], off
	s_waitcnt vmcnt(0)
	v_sub_f32_e32 v0, s12, v0
	v_mul_f32_e32 v0, 0x3fb8aa3b, v0
	v_exp_f32_e32 v16, v0
.LBB459_63:
	s_or_b64 exec, exec, s[2:3]
	v_or_b32_e32 v12, 2, v21
	v_cmp_gt_i32_e64 s[2:3], s27, v12
	v_mov_b32_e32 v17, 0
	v_mov_b32_e32 v20, 0
	s_and_saveexec_b64 s[4:5], s[2:3]
	s_cbranch_execz .LBB459_65
; %bb.64:
	v_add_u32_e32 v0, s26, v12
	v_ashrrev_i32_e32 v1, 31, v0
	v_mul_lo_u32 v2, v1, s30
	v_mul_lo_u32 v3, v0, s31
	v_mad_u64_u32 v[0:1], s[6:7], v0, s30, 0
	v_add3_u32 v1, v1, v3, v2
	v_lshl_add_u64 v[0:1], v[0:1], 2, s[10:11]
	global_load_dword v0, v[0:1], off
	s_waitcnt vmcnt(0)
	v_sub_f32_e32 v0, s12, v0
	v_mul_f32_e32 v0, 0x3fb8aa3b, v0
	v_exp_f32_e32 v20, v0
.LBB459_65:
	s_or_b64 exec, exec, s[4:5]
	v_or_b32_e32 v14, 3, v21
	v_cmp_gt_i32_e64 s[4:5], s27, v14
	s_and_saveexec_b64 s[6:7], s[4:5]
	s_cbranch_execz .LBB459_67
; %bb.66:
	v_add_u32_e32 v0, s26, v14
	v_ashrrev_i32_e32 v1, 31, v0
	v_mul_lo_u32 v2, v1, s30
	v_mul_lo_u32 v3, v0, s31
	v_mad_u64_u32 v[0:1], s[14:15], v0, s30, 0
	v_add3_u32 v1, v1, v3, v2
	v_lshl_add_u64 v[0:1], v[0:1], 2, s[10:11]
	global_load_dword v0, v[0:1], off
	s_waitcnt vmcnt(0)
	v_sub_f32_e32 v0, s12, v0
	v_mul_f32_e32 v0, 0x3fb8aa3b, v0
	v_exp_f32_e32 v17, v0
.LBB459_67:
	s_or_b64 exec, exec, s[6:7]
	s_add_u32 s6, s8, s20
	s_addc_u32 s7, s9, s21
	s_add_u32 s8, s28, s20
	v_ashrrev_i32_e32 v63, 31, v62
	v_accvgpr_read_b32 v0, a4
	s_addc_u32 s9, s29, s21
	v_lshlrev_b64 v[4:5], 1, v[62:63]
	v_accvgpr_read_b32 v1, a5
	v_accvgpr_read_b32 v2, a6
	;; [unrolled: 1-line block ×3, first 2 shown]
	v_lshl_add_u64 v[6:7], s[6:7], 0, v[4:5]
	v_lshl_add_u64 v[4:5], s[8:9], 0, v[4:5]
	v_mov_b32_e32 v11, 0
	v_lshlrev_b32_e32 v8, 8, v21
	v_mov_b32_e32 v9, 0
	s_and_saveexec_b64 s[6:7], vcc
	s_cbranch_execz .LBB459_69
; %bb.68:
	v_mov_b32_e32 v9, 0
	v_lshl_add_u64 v[24:25], v[6:7], 0, v[8:9]
	global_load_ushort v13, v[24:25], off
	v_lshl_add_u64 v[24:25], v[4:5], 0, v[8:9]
	s_waitcnt vmcnt(0)
	v_lshlrev_b32_e32 v9, 16, v13
	v_sub_f32_e32 v0, v9, v0
	global_store_short_d16_hi v[24:25], v0, off
	v_mul_f32_e32 v0, v18, v0
	v_lshrrev_b32_e32 v9, 16, v0
.LBB459_69:
	s_or_b64 exec, exec, s[6:7]
	v_lshlrev_b32_e32 v10, 8, v10
	s_and_saveexec_b64 s[6:7], s[0:1]
	s_cbranch_execz .LBB459_71
; %bb.70:
	v_mov_b32_e32 v11, 0
	v_lshl_add_u64 v[24:25], v[6:7], 0, v[10:11]
	global_load_ushort v0, v[24:25], off
	v_lshl_add_u64 v[24:25], v[4:5], 0, v[10:11]
	s_waitcnt vmcnt(0)
	v_lshlrev_b32_e32 v0, 16, v0
	v_sub_f32_e32 v0, v0, v1
	global_store_short_d16_hi v[24:25], v0, off
	v_mul_f32_e32 v0, v16, v0
	v_lshrrev_b32_e32 v11, 16, v0
.LBB459_71:
	s_or_b64 exec, exec, s[6:7]
	v_mov_b32_e32 v15, 0
	v_lshlrev_b32_e32 v12, 8, v12
	v_mov_b32_e32 v13, 0
	s_and_saveexec_b64 s[6:7], s[2:3]
	s_cbranch_execz .LBB459_73
; %bb.72:
	v_mov_b32_e32 v13, 0
	v_lshl_add_u64 v[0:1], v[6:7], 0, v[12:13]
	global_load_ushort v23, v[0:1], off
	v_lshl_add_u64 v[0:1], v[4:5], 0, v[12:13]
	s_waitcnt vmcnt(0)
	v_lshlrev_b32_e32 v13, 16, v23
	v_sub_f32_e32 v2, v13, v2
	global_store_short_d16_hi v[0:1], v2, off
	v_mul_f32_e32 v0, v20, v2
	v_lshrrev_b32_e32 v13, 16, v0
.LBB459_73:
	s_or_b64 exec, exec, s[6:7]
	v_lshlrev_b32_e32 v14, 8, v14
	s_and_saveexec_b64 s[6:7], s[4:5]
	s_cbranch_execz .LBB459_75
; %bb.74:
	v_mov_b32_e32 v15, 0
	v_lshl_add_u64 v[0:1], v[6:7], 0, v[14:15]
	global_load_ushort v2, v[0:1], off
	v_lshl_add_u64 v[0:1], v[4:5], 0, v[14:15]
	s_waitcnt vmcnt(0)
	v_lshlrev_b32_e32 v2, 16, v2
	v_sub_f32_e32 v2, v2, v3
	global_store_short_d16_hi v[0:1], v2, off
	v_mul_f32_e32 v0, v17, v2
	v_lshrrev_b32_e32 v15, 16, v0
.LBB459_75:
	s_or_b64 exec, exec, s[6:7]
	v_lshlrev_b32_e32 v21, 5, v21
	s_mov_b32 s6, 0x5040100
	v_perm_b32 v24, v11, v9, s6
	v_or_b32_e32 v9, v21, v22
	v_accvgpr_read_b32 v0, a0
	v_perm_b32 v25, v15, v13, s6
	v_lshlrev_b32_e32 v9, 1, v9
	v_accvgpr_read_b32 v1, a1
	v_accvgpr_read_b32 v2, a2
	;; [unrolled: 1-line block ×3, first 2 shown]
	ds_write_b64 v9, v[24:25] offset:45056
	v_mov_b32_e32 v11, 0
	v_mov_b32_e32 v9, 0
	s_and_saveexec_b64 s[6:7], vcc
	s_cbranch_execz .LBB459_77
; %bb.76:
	v_mov_b32_e32 v9, 0
	v_lshl_add_u64 v[22:23], v[6:7], 0, v[8:9]
	global_load_ushort v13, v[22:23], off offset:32
	v_lshl_add_u64 v[8:9], v[4:5], 0, v[8:9]
	s_waitcnt vmcnt(0)
	v_lshlrev_b32_e32 v13, 16, v13
	v_sub_f32_e32 v0, v13, v0
	global_store_short_d16_hi v[8:9], v0, off offset:32
	v_mul_f32_e32 v0, v18, v0
	v_lshrrev_b32_e32 v9, 16, v0
.LBB459_77:
	s_or_b64 exec, exec, s[6:7]
	s_and_saveexec_b64 s[6:7], s[0:1]
	s_cbranch_execz .LBB459_79
; %bb.78:
	v_mov_b32_e32 v11, 0
	v_lshl_add_u64 v[22:23], v[6:7], 0, v[10:11]
	global_load_ushort v0, v[22:23], off offset:32
	v_lshl_add_u64 v[10:11], v[4:5], 0, v[10:11]
	s_waitcnt vmcnt(0)
	v_lshlrev_b32_e32 v0, 16, v0
	v_sub_f32_e32 v0, v0, v1
	global_store_short_d16_hi v[10:11], v0, off offset:32
	v_mul_f32_e32 v0, v16, v0
	v_lshrrev_b32_e32 v11, 16, v0
.LBB459_79:
	s_or_b64 exec, exec, s[6:7]
	v_mov_b32_e32 v0, 0
	v_mov_b32_e32 v1, 0
	s_and_saveexec_b64 s[0:1], s[2:3]
	s_cbranch_execz .LBB459_81
; %bb.80:
	v_mov_b32_e32 v13, 0
	v_lshl_add_u64 v[22:23], v[6:7], 0, v[12:13]
	global_load_ushort v1, v[22:23], off offset:32
	v_lshl_add_u64 v[12:13], v[4:5], 0, v[12:13]
	s_waitcnt vmcnt(0)
	v_lshlrev_b32_e32 v1, 16, v1
	v_sub_f32_e32 v1, v1, v2
	global_store_short_d16_hi v[12:13], v1, off offset:32
	v_mul_f32_e32 v1, v20, v1
	v_lshrrev_b32_e32 v1, 16, v1
.LBB459_81:
	s_or_b64 exec, exec, s[0:1]
	s_and_saveexec_b64 s[0:1], s[4:5]
	s_cbranch_execz .LBB459_83
; %bb.82:
	v_mov_b32_e32 v15, 0
	v_lshl_add_u64 v[6:7], v[6:7], 0, v[14:15]
	global_load_ushort v0, v[6:7], off offset:32
	v_lshl_add_u64 v[4:5], v[4:5], 0, v[14:15]
	s_waitcnt vmcnt(0)
	v_lshlrev_b32_e32 v0, 16, v0
	v_sub_f32_e32 v0, v0, v3
	global_store_short_d16_hi v[4:5], v0, off offset:32
	v_mul_f32_e32 v0, v17, v0
	v_lshrrev_b32_e32 v0, 16, v0
.LBB459_83:
	s_or_b64 exec, exec, s[0:1]
	s_mov_b32 s0, 0x5040100
	v_or_b32_e32 v2, v21, v19
	v_perm_b32 v1, v0, v1, s0
	v_perm_b32 v0, v11, v9, s0
	v_lshlrev_b32_e32 v2, 1, v2
	ds_write_b64 v2, v[0:1] offset:45056
	s_waitcnt lgkmcnt(0)
	s_barrier
.LBB459_84:
	s_endpgm
	.section	.rodata,"a",@progbits
	.p2align	6, 0x0
	.amdhsa_kernel _ZN12_GLOBAL__N_139chunk_gated_delta_rule_fwd_h_hip_kernelILi32ELb1ELb0ELb1ELb0ELb0ELb1ELb1ELb0EEEvPK12hip_bfloat16S3_S3_PKfS5_PKvPS1_S8_PvPKiSB_iiiiilll
		.amdhsa_group_segment_fixed_size 49152
		.amdhsa_private_segment_fixed_size 0
		.amdhsa_kernarg_size 136
		.amdhsa_user_sgpr_count 2
		.amdhsa_user_sgpr_dispatch_ptr 0
		.amdhsa_user_sgpr_queue_ptr 0
		.amdhsa_user_sgpr_kernarg_segment_ptr 1
		.amdhsa_user_sgpr_dispatch_id 0
		.amdhsa_user_sgpr_kernarg_preload_length 0
		.amdhsa_user_sgpr_kernarg_preload_offset 0
		.amdhsa_user_sgpr_private_segment_size 0
		.amdhsa_uses_dynamic_stack 0
		.amdhsa_enable_private_segment 0
		.amdhsa_system_sgpr_workgroup_id_x 1
		.amdhsa_system_sgpr_workgroup_id_y 1
		.amdhsa_system_sgpr_workgroup_id_z 0
		.amdhsa_system_sgpr_workgroup_info 0
		.amdhsa_system_vgpr_workitem_id 0
		.amdhsa_next_free_vgpr 168
		.amdhsa_next_free_sgpr 70
		.amdhsa_accum_offset 144
		.amdhsa_reserve_vcc 1
		.amdhsa_float_round_mode_32 0
		.amdhsa_float_round_mode_16_64 0
		.amdhsa_float_denorm_mode_32 3
		.amdhsa_float_denorm_mode_16_64 3
		.amdhsa_dx10_clamp 1
		.amdhsa_ieee_mode 1
		.amdhsa_fp16_overflow 0
		.amdhsa_tg_split 0
		.amdhsa_exception_fp_ieee_invalid_op 0
		.amdhsa_exception_fp_denorm_src 0
		.amdhsa_exception_fp_ieee_div_zero 0
		.amdhsa_exception_fp_ieee_overflow 0
		.amdhsa_exception_fp_ieee_underflow 0
		.amdhsa_exception_fp_ieee_inexact 0
		.amdhsa_exception_int_div_zero 0
	.end_amdhsa_kernel
	.section	.text._ZN12_GLOBAL__N_139chunk_gated_delta_rule_fwd_h_hip_kernelILi32ELb1ELb0ELb1ELb0ELb0ELb1ELb1ELb0EEEvPK12hip_bfloat16S3_S3_PKfS5_PKvPS1_S8_PvPKiSB_iiiiilll,"axG",@progbits,_ZN12_GLOBAL__N_139chunk_gated_delta_rule_fwd_h_hip_kernelILi32ELb1ELb0ELb1ELb0ELb0ELb1ELb1ELb0EEEvPK12hip_bfloat16S3_S3_PKfS5_PKvPS1_S8_PvPKiSB_iiiiilll,comdat
.Lfunc_end459:
	.size	_ZN12_GLOBAL__N_139chunk_gated_delta_rule_fwd_h_hip_kernelILi32ELb1ELb0ELb1ELb0ELb0ELb1ELb1ELb0EEEvPK12hip_bfloat16S3_S3_PKfS5_PKvPS1_S8_PvPKiSB_iiiiilll, .Lfunc_end459-_ZN12_GLOBAL__N_139chunk_gated_delta_rule_fwd_h_hip_kernelILi32ELb1ELb0ELb1ELb0ELb0ELb1ELb1ELb0EEEvPK12hip_bfloat16S3_S3_PKfS5_PKvPS1_S8_PvPKiSB_iiiiilll
                                        ; -- End function
	.section	.AMDGPU.csdata,"",@progbits
; Kernel info:
; codeLenInByte = 8944
; NumSgprs: 76
; NumVgprs: 142
; NumAgprs: 24
; TotalNumVgprs: 168
; ScratchSize: 0
; MemoryBound: 0
; FloatMode: 240
; IeeeMode: 1
; LDSByteSize: 49152 bytes/workgroup (compile time only)
; SGPRBlocks: 9
; VGPRBlocks: 20
; NumSGPRsForWavesPerEU: 76
; NumVGPRsForWavesPerEU: 168
; AccumOffset: 144
; Occupancy: 1
; WaveLimiterHint : 1
; COMPUTE_PGM_RSRC2:SCRATCH_EN: 0
; COMPUTE_PGM_RSRC2:USER_SGPR: 2
; COMPUTE_PGM_RSRC2:TRAP_HANDLER: 0
; COMPUTE_PGM_RSRC2:TGID_X_EN: 1
; COMPUTE_PGM_RSRC2:TGID_Y_EN: 1
; COMPUTE_PGM_RSRC2:TGID_Z_EN: 0
; COMPUTE_PGM_RSRC2:TIDIG_COMP_CNT: 0
; COMPUTE_PGM_RSRC3_GFX90A:ACCUM_OFFSET: 35
; COMPUTE_PGM_RSRC3_GFX90A:TG_SPLIT: 0
	.section	.text._ZN12_GLOBAL__N_139chunk_gated_delta_rule_fwd_h_hip_kernelILi32ELb1ELb0ELb0ELb0ELb0ELb1ELb1ELb0EEEvPK12hip_bfloat16S3_S3_PKfS5_PKvPS1_S8_PvPKiSB_iiiiilll,"axG",@progbits,_ZN12_GLOBAL__N_139chunk_gated_delta_rule_fwd_h_hip_kernelILi32ELb1ELb0ELb0ELb0ELb0ELb1ELb1ELb0EEEvPK12hip_bfloat16S3_S3_PKfS5_PKvPS1_S8_PvPKiSB_iiiiilll,comdat
	.globl	_ZN12_GLOBAL__N_139chunk_gated_delta_rule_fwd_h_hip_kernelILi32ELb1ELb0ELb0ELb0ELb0ELb1ELb1ELb0EEEvPK12hip_bfloat16S3_S3_PKfS5_PKvPS1_S8_PvPKiSB_iiiiilll ; -- Begin function _ZN12_GLOBAL__N_139chunk_gated_delta_rule_fwd_h_hip_kernelILi32ELb1ELb0ELb0ELb0ELb0ELb1ELb1ELb0EEEvPK12hip_bfloat16S3_S3_PKfS5_PKvPS1_S8_PvPKiSB_iiiiilll
	.p2align	8
	.type	_ZN12_GLOBAL__N_139chunk_gated_delta_rule_fwd_h_hip_kernelILi32ELb1ELb0ELb0ELb0ELb0ELb1ELb1ELb0EEEvPK12hip_bfloat16S3_S3_PKfS5_PKvPS1_S8_PvPKiSB_iiiiilll,@function
_ZN12_GLOBAL__N_139chunk_gated_delta_rule_fwd_h_hip_kernelILi32ELb1ELb0ELb0ELb0ELb0ELb1ELb1ELb0EEEvPK12hip_bfloat16S3_S3_PKfS5_PKvPS1_S8_PvPKiSB_iiiiilll: ; @_ZN12_GLOBAL__N_139chunk_gated_delta_rule_fwd_h_hip_kernelILi32ELb1ELb0ELb0ELb0ELb0ELb1ELb1ELb0EEEvPK12hip_bfloat16S3_S3_PKfS5_PKvPS1_S8_PvPKiSB_iiiiilll
; %bb.0:
	s_load_dwordx4 s[12:15], s[0:1], 0x5c
	s_load_dwordx4 s[16:19], s[0:1], 0x28
	s_abs_i32 s6, s3
	s_ashr_i32 s5, s3, 31
	v_and_b32_e32 v72, 15, v0
	s_waitcnt lgkmcnt(0)
	s_abs_i32 s4, s13
	v_cvt_f32_u32_e32 v1, s4
	s_sub_i32 s8, 0, s4
	s_ashr_i32 s7, s13, 31
	s_xor_b32 s5, s5, s7
	v_rcp_iflag_f32_e32 v1, v1
	v_lshrrev_b32_e32 v70, 6, v0
	v_bfe_u32 v71, v0, 4, 2
	v_mov_b32_e32 v7, 0
	v_mul_f32_e32 v1, 0x4f7ffffe, v1
	v_cvt_u32_f32_e32 v1, v1
	v_and_b32_e32 v61, 63, v0
	v_lshrrev_b32_e32 v74, 3, v61
	v_lshlrev_b32_e32 v73, 3, v0
	v_readfirstlane_b32 s9, v1
	s_mul_i32 s8, s8, s9
	s_mul_hi_u32 s8, s9, s8
	s_add_i32 s9, s9, s8
	s_mul_hi_u32 s8, s6, s9
	s_mul_i32 s9, s8, s4
	s_sub_i32 s6, s6, s9
	s_add_i32 s10, s8, 1
	s_sub_i32 s9, s6, s4
	s_cmp_ge_u32 s6, s4
	s_cselect_b32 s8, s10, s8
	s_cselect_b32 s6, s9, s6
	s_add_i32 s9, s8, 1
	s_cmp_ge_u32 s6, s4
	s_cselect_b32 s6, s9, s8
	s_xor_b32 s6, s6, s5
	s_sub_i32 s50, s6, s5
	s_mul_i32 s6, s50, s13
	s_sub_i32 s48, s3, s6
	s_abs_i32 s3, s14
	v_cvt_f32_u32_e32 v1, s3
	s_add_i32 s8, s12, 63
	s_ashr_i32 s9, s8, 31
	s_lshr_b32 s5, s9, 26
	v_rcp_iflag_f32_e32 v1, v1
	s_ashr_i32 s49, s12, 31
	s_add_i32 s8, s8, s5
	s_lshr_b32 s5, s49, 26
	v_mul_f32_e32 v1, 0x4f7ffffe, v1
	v_cvt_u32_f32_e32 v1, v1
	s_add_i32 s5, s12, s5
	s_ashr_i32 s53, s14, 31
	s_ashr_i32 s51, s5, 6
	s_lshl_b32 s36, s2, 5
	s_xor_b32 s2, s7, s53
	s_sub_i32 s5, 0, s3
	v_readfirstlane_b32 s7, v1
	s_mul_i32 s5, s5, s7
	s_mul_hi_u32 s5, s7, s5
	s_add_i32 s7, s7, s5
	s_mul_hi_u32 s5, s4, s7
	s_mul_i32 s7, s5, s3
	s_sub_i32 s4, s4, s7
	s_ashr_i32 s25, s8, 6
	s_add_i32 s7, s5, 1
	s_sub_i32 s8, s4, s3
	s_cmp_ge_u32 s4, s3
	s_cselect_b32 s5, s7, s5
	s_cselect_b32 s4, s8, s4
	s_add_i32 s7, s5, 1
	s_cmp_ge_u32 s4, s3
	s_cselect_b32 s3, s7, s5
	s_xor_b32 s3, s3, s2
	s_sub_i32 s2, s3, s2
	s_abs_i32 s3, s2
	v_cvt_f32_u32_e32 v1, s3
	s_sub_i32 s5, 0, s3
	s_abs_i32 s4, s48
	s_xor_b32 s2, s48, s2
	v_rcp_iflag_f32_e32 v1, v1
	s_ashr_i32 s2, s2, 31
	v_or_b32_e32 v62, s36, v72
	v_lshlrev_b32_e32 v2, 7, v62
	v_mul_f32_e32 v1, 0x4f7ffffe, v1
	v_cvt_u32_f32_e32 v1, v1
	v_ashrrev_i32_e32 v3, 31, v2
	s_mul_i32 s55, s50, s25
	v_readfirstlane_b32 s7, v1
	s_mul_i32 s5, s5, s7
	s_mul_hi_u32 s5, s7, s5
	s_add_i32 s7, s7, s5
	s_mul_hi_u32 s5, s4, s7
	s_mul_i32 s7, s5, s3
	s_sub_i32 s4, s4, s7
	s_add_i32 s7, s5, 1
	s_sub_i32 s8, s4, s3
	s_cmp_ge_u32 s4, s3
	s_cselect_b32 s5, s7, s5
	s_cselect_b32 s4, s8, s4
	s_add_i32 s7, s5, 1
	s_cmp_ge_u32 s4, s3
	s_cselect_b32 s3, s7, s5
	s_xor_b32 s3, s3, s2
	s_sub_i32 s54, s3, s2
	s_ashr_i32 s24, s50, 31
	s_ashr_i32 s52, s48, 31
	s_mul_hi_i32 s2, s50, s13
	s_add_u32 s38, s6, s48
	s_addc_u32 s39, s2, s52
	s_lshl_b64 s[2:3], s[38:39], 16
	s_add_u32 s2, s16, s2
	s_addc_u32 s3, s17, s3
	v_lshlrev_b32_e32 v1, 4, v70
	v_lshl_add_u64 v[4:5], v[2:3], 2, s[2:3]
	v_or_b32_e32 v2, 0x800, v2
	v_lshl_or_b32 v75, v71, 2, v1
	v_ashrrev_i32_e32 v3, 31, v2
	v_lshlrev_b32_e32 v6, 2, v75
	v_lshl_add_u64 v[2:3], v[2:3], 2, s[2:3]
	v_lshl_add_u64 v[4:5], v[4:5], 0, v[6:7]
	;; [unrolled: 1-line block ×3, first 2 shown]
	global_load_dwordx4 v[14:17], v[4:5], off
	global_load_dwordx4 v[10:13], v[4:5], off offset:256
	global_load_dwordx4 v[6:9], v[18:19], off
	s_nop 0
	global_load_dwordx4 v[2:5], v[18:19], off offset:256
	s_load_dwordx8 s[4:11], s[0:1], 0x0
	s_load_dwordx2 s[28:29], s[0:1], 0x80
	s_load_dwordx4 s[20:23], s[0:1], 0x70
	v_or_b32_e32 v76, 64, v75
	s_cmp_lt_i32 s12, 64
	s_mul_i32 s56, s39, s12
	s_mul_hi_u32 s57, s38, s12
	s_mul_i32 s16, s38, s12
	s_waitcnt lgkmcnt(0)
	s_mul_i32 s33, s50, s21
	s_mul_hi_u32 s44, s50, s20
	s_mul_i32 s45, s24, s20
	s_mul_i32 s30, s50, s20
	;; [unrolled: 1-line block ×3, first 2 shown]
	s_mul_hi_u32 s46, s48, s22
	s_mul_i32 s47, s52, s22
	s_mul_i32 s34, s48, s22
	s_cbranch_scc1 .LBB460_3
; %bb.1:
	s_add_i32 s17, s57, s56
	s_lshl_b64 s[2:3], s[16:17], 8
	v_and_b32_e32 v78, 56, v73
	s_add_u32 s20, s6, s2
	v_lshl_or_b32 v77, v70, 3, v74
	v_lshlrev_b32_e32 v18, 1, v78
	s_addc_u32 s2, s7, s3
	v_lshl_or_b32 v79, v77, 8, v18
	s_and_b32 s21, s2, 0xffff
	s_mov_b32 s23, 0x20000
	s_movk_i32 s22, 0x4000
	s_movk_i32 s2, 0x80
	v_or_b32_e32 v80, 0x2000, v79
	buffer_load_dwordx4 v[20:23], v79, s[20:23], 0 offen
	buffer_load_dwordx4 v[24:27], v79, s[20:23], s2 offen
	;; [unrolled: 1-line block ×4, first 2 shown]
	v_lshlrev_b32_e32 v19, 3, v77
	v_and_or_b32 v37, v0, 7, v19
	v_and_b32_e32 v19, 0x78, v19
	v_lshlrev_b32_e32 v37, 4, v37
	v_xor_b32_e32 v81, v37, v19
	v_mul_lo_u32 v36, v77, s15
	v_or_b32_e32 v82, 0x1000, v81
	v_xor_b32_e32 v19, 8, v81
	s_cmpk_eq_i32 s15, 0x80
	s_mov_b32 s58, s14
	v_xor_b32_e32 v37, 8, v82
	s_cselect_b64 s[2:3], -1, 0
	s_cmpk_lg_i32 s15, 0x80
	s_waitcnt vmcnt(3)
	ds_write_b64 v81, v[20:21] offset:24576
	ds_write_b64 v19, v[22:23] offset:24576
	s_waitcnt vmcnt(2)
	ds_write_b64 v81, v[24:25] offset:32768
	ds_write_b64 v19, v[26:27] offset:32768
	;; [unrolled: 3-line block ×4, first 2 shown]
	v_lshl_add_u32 v19, v36, 1, v78
	s_cbranch_scc0 .LBB460_29
; %bb.2:
	v_lshlrev_b32_e32 v21, 1, v19
	v_add_lshl_u32 v20, v19, s15, 1
	s_lshl_b32 s22, s15, 7
	s_load_dwordx2 s[40:41], s[0:1], 0x20
	v_lshl_or_b32 v18, v77, 9, v18
	s_cbranch_execz .LBB460_30
	s_branch .LBB460_31
.LBB460_3:
	s_waitcnt vmcnt(0)
	v_mov_b32_e32 v25, v5
	v_mov_b32_e32 v21, v9
.LBB460_4:
	s_lshl_b32 s26, s51, 6
	s_sub_i32 s27, s12, s26
	s_cmp_gt_i32 s27, 0
	s_cbranch_scc0 .LBB460_84
; %bb.5:
	s_ashr_i32 s2, s26, 31
	s_cmpk_lg_i32 s15, 0x80
	s_cselect_b64 s[22:23], -1, 0
	s_and_b64 vcc, exec, s[22:23]
	s_cbranch_vccz .LBB460_7
; %bb.6:
	s_mul_i32 s1, s50, s12
	s_mul_hi_i32 s0, s50, s12
	s_add_u32 s1, s1, s26
	s_addc_u32 s0, s0, s2
	s_mul_i32 s3, s1, s53
	s_mul_hi_u32 s17, s1, s14
	s_add_i32 s3, s17, s3
	s_mul_i32 s0, s0, s14
	s_add_i32 s3, s3, s0
	s_mul_i32 s1, s1, s14
	s_ashr_i32 s0, s54, 31
	s_add_u32 s24, s1, s54
	s_addc_u32 s25, s3, s0
	s_cbranch_execz .LBB460_8
	s_branch .LBB460_9
.LBB460_7:
                                        ; implicit-def: $sgpr24_sgpr25
.LBB460_8:
	s_mul_hi_i32 s0, s50, s14
	s_mul_i32 s50, s50, s14
	s_ashr_i32 s1, s54, 31
	s_add_u32 s3, s50, s54
	s_addc_u32 s0, s0, s1
	s_mul_i32 s1, s3, s49
	s_mul_hi_u32 s14, s3, s12
	s_add_i32 s1, s14, s1
	s_mul_i32 s0, s0, s12
	s_add_i32 s1, s1, s0
	s_mul_i32 s3, s3, s12
	s_add_u32 s24, s3, s26
	s_addc_u32 s25, s1, s2
.LBB460_9:
	s_mul_i32 s0, s38, s49
	s_add_i32 s0, s57, s0
	s_add_i32 s3, s55, s51
	;; [unrolled: 1-line block ×3, first 2 shown]
	s_add_u32 s0, s16, s26
	s_addc_u32 s1, s1, s2
	v_lshlrev_b32_e32 v18, 5, v75
	v_lshlrev_b32_e32 v22, 2, v72
	s_mov_b32 s2, 0x7060302
	v_perm_b32 v13, v13, v12, s2
	v_perm_b32 v12, v11, v10, s2
	v_or_b32_e32 v10, v18, v22
	v_xor_b32_e32 v5, v75, v22
	v_perm_b32 v17, v17, v16, s2
	v_perm_b32 v16, v15, v14, s2
	v_lshlrev_b32_e32 v10, 1, v10
	ds_write2st64_b64 v10, v[16:17], v[12:13] offset0:80 offset1:88
	v_lshlrev_b32_e32 v10, 1, v5
	v_lshlrev_b32_e32 v5, 8, v72
	s_lshl_b64 s[20:21], s[0:1], 8
	v_xor_b32_e32 v9, v76, v22
	v_or_b32_e32 v11, v10, v5
	s_add_u32 s0, s6, s20
	ds_write_b64 v11, v[16:17]
	v_lshlrev_b32_e32 v11, 1, v9
	s_addc_u32 s1, s7, s21
	v_or_b32_e32 v5, v11, v5
	s_mul_hi_i32 s6, s3, s13
	s_mul_i32 s3, s3, s13
	ds_write_b64 v5, v[12:13]
	v_perm_b32 v9, v21, v8, s2
	v_perm_b32 v8, v7, v6, s2
	;; [unrolled: 1-line block ×4, first 2 shown]
	s_add_u32 s2, s3, s48
	v_or_b32_e32 v2, 16, v72
	s_addc_u32 s3, s6, s52
	v_lshlrev_b32_e32 v19, 2, v2
	s_ashr_i32 s37, s36, 31
	s_lshl_b64 s[2:3], s[2:3], 15
	v_or_b32_e32 v3, v18, v19
	s_add_u32 s6, s18, s2
	v_lshlrev_b32_e32 v3, 1, v3
	v_lshlrev_b32_e32 v2, 8, v2
	s_addc_u32 s7, s19, s3
	s_lshl_b64 s[2:3], s[36:37], 8
	ds_write2st64_b64 v3, v[8:9], v[4:5] offset0:80 offset1:88
	v_or_b32_e32 v3, v10, v2
	v_or_b32_e32 v2, v11, v2
	s_add_u32 s2, s6, s2
	ds_write_b64 v3, v[8:9]
	ds_write_b64 v2, v[4:5]
	v_lshrrev_b32_e32 v2, 4, v0
	s_addc_u32 s3, s7, s3
	v_lshlrev_b32_e32 v3, 1, v72
	v_lshlrev_b32_e32 v10, 4, v72
	v_mov_b32_e32 v11, 0
	v_or_b32_e32 v4, 1, v3
	v_xor_b32_e32 v3, v2, v3
	v_lshl_add_u64 v[12:13], s[2:3], 0, v[10:11]
	v_lshlrev_b32_e32 v10, 8, v2
	v_xor_b32_e32 v6, v4, v2
	v_lshl_or_b32 v2, v3, 3, v10
	s_waitcnt lgkmcnt(0)
	s_barrier
	ds_read2st64_b64 v[2:5], v2 offset1:8
	v_lshl_or_b32 v6, v6, 3, v10
	ds_read2st64_b64 v[6:9], v6 offset1:8
	v_lshl_add_u64 v[14:15], v[12:13], 0, v[10:11]
	s_movk_i32 s2, 0x1000
	s_waitcnt lgkmcnt(1)
	v_mov_b32_e32 v10, v2
	v_add_co_u32_e32 v2, vcc, s2, v14
	s_cmp_lg_u32 s27, 64
	v_mov_b32_e32 v11, v3
	v_addc_co_u32_e32 v3, vcc, 0, v15, vcc
	s_cselect_b64 s[6:7], -1, 0
	v_lshl_or_b32 v23, v70, 3, v74
	s_waitcnt lgkmcnt(0)
	v_mov_b32_e32 v12, v6
	v_mov_b32_e32 v13, v7
	;; [unrolled: 1-line block ×4, first 2 shown]
	s_mov_b32 s16, 0
	v_or_b32_e32 v20, 32, v23
	v_and_b32_e32 v18, 56, v73
	s_and_b64 vcc, exec, s[6:7]
	global_store_dwordx4 v[14:15], v[10:13], off
	global_store_dwordx4 v[2:3], v[6:9], off
	s_cbranch_vccz .LBB460_15
; %bb.10:
	s_mov_b32 s17, s16
	s_mov_b32 s18, s16
	;; [unrolled: 1-line block ×3, first 2 shown]
	v_mov_b64_e32 v[6:7], s[16:17]
	v_mov_b64_e32 v[8:9], s[18:19]
	;; [unrolled: 1-line block ×3, first 2 shown]
	v_cmp_gt_i32_e32 vcc, s27, v23
	v_mov_b64_e32 v[4:5], v[8:9]
	s_and_saveexec_b64 s[2:3], vcc
	s_cbranch_execz .LBB460_12
; %bb.11:
	v_lshlrev_b32_e32 v2, 8, v23
	v_mov_b32_e32 v3, 0
	v_lshl_add_u64 v[4:5], s[0:1], 0, v[2:3]
	v_lshlrev_b32_e32 v2, 1, v18
	v_lshl_add_u64 v[10:11], v[4:5], 0, v[2:3]
	global_load_dwordx4 v[6:9], v[10:11], off
	global_load_dwordx4 v[2:5], v[10:11], off offset:128
.LBB460_12:
	s_or_b64 exec, exec, s[2:3]
	s_mov_b32 s17, s16
	s_mov_b32 s18, s16
	;; [unrolled: 1-line block ×3, first 2 shown]
	v_mov_b64_e32 v[14:15], s[16:17]
	v_mov_b64_e32 v[16:17], s[18:19]
	;; [unrolled: 1-line block ×3, first 2 shown]
	v_cmp_gt_i32_e32 vcc, s27, v20
	v_lshlrev_b32_e32 v21, 7, v20
	v_mov_b64_e32 v[12:13], v[16:17]
	s_and_saveexec_b64 s[2:3], vcc
	s_cbranch_execz .LBB460_14
; %bb.13:
	v_lshlrev_b32_e32 v10, 1, v21
	v_mov_b32_e32 v11, 0
	v_lshl_add_u64 v[12:13], s[0:1], 0, v[10:11]
	v_lshlrev_b32_e32 v10, 1, v18
	v_lshl_add_u64 v[24:25], v[12:13], 0, v[10:11]
	global_load_dwordx4 v[14:17], v[24:25], off
	global_load_dwordx4 v[10:13], v[24:25], off offset:128
.LBB460_14:
	s_or_b64 exec, exec, s[2:3]
	v_lshrrev_b32_e32 v24, 3, v18
	v_lshlrev_b32_e32 v25, 3, v23
	v_or_b32_e32 v24, v25, v24
	v_lshlrev_b32_e32 v24, 4, v24
	v_and_b32_e32 v25, 0x78, v25
	v_xor_b32_e32 v24, v24, v25
	s_branch .LBB460_17
.LBB460_15:
                                        ; implicit-def: $vgpr24
                                        ; implicit-def: $vgpr21
                                        ; implicit-def: $vgpr6_vgpr7_vgpr8_vgpr9
                                        ; implicit-def: $vgpr2_vgpr3_vgpr4_vgpr5
                                        ; implicit-def: $vgpr14_vgpr15_vgpr16_vgpr17
                                        ; implicit-def: $vgpr10_vgpr11_vgpr12_vgpr13
	s_cbranch_execz .LBB460_17
; %bb.16:
	s_waitcnt vmcnt(0)
	v_lshlrev_b32_e32 v2, 1, v18
	v_lshl_or_b32 v21, v23, 8, v2
	s_and_b32 s1, s1, 0xffff
	s_mov_b32 s3, 0x20000
	s_movk_i32 s2, 0x4000
	v_lshl_or_b32 v24, v20, 8, v2
	s_movk_i32 s13, 0x80
	buffer_load_dwordx4 v[6:9], v21, s[0:3], 0 offen
	buffer_load_dwordx4 v[2:5], v21, s[0:3], s13 offen
	;; [unrolled: 1-line block ×4, first 2 shown]
	v_lshrrev_b32_e32 v21, 3, v18
	v_lshlrev_b32_e32 v24, 3, v23
	v_or_b32_e32 v21, v24, v21
	v_lshlrev_b32_e32 v21, 4, v21
	v_and_b32_e32 v24, 0x78, v24
	v_xor_b32_e32 v24, v21, v24
	v_lshlrev_b32_e32 v21, 7, v20
.LBB460_17:
	s_lshl_b64 s[0:1], s[24:25], 8
	s_add_u32 s4, s4, s0
	s_movk_i32 s0, 0x1000
	v_and_or_b32 v20, v21, s0, v24
	s_waitcnt vmcnt(1)
	ds_write_b64 v24, v[6:7] offset:24576
	v_xor_b32_e32 v6, 8, v24
	ds_write_b64 v6, v[8:9] offset:24576
	s_waitcnt vmcnt(0)
	ds_write_b64 v24, v[2:3] offset:32768
	ds_write_b64 v6, v[4:5] offset:32768
	;; [unrolled: 1-line block ×3, first 2 shown]
	v_xor_b32_e32 v2, 8, v20
	ds_write_b64 v2, v[16:17] offset:24576
	ds_write_b64 v20, v[10:11] offset:32768
	;; [unrolled: 1-line block ×3, first 2 shown]
	v_or_b32_e32 v2, v1, v72
	v_lshlrev_b32_e32 v3, 11, v70
	v_lshlrev_b32_e32 v2, 3, v2
	v_and_b32_e32 v6, 0x1000, v3
	v_lshrrev_b32_e32 v3, 5, v61
	s_movk_i32 s3, 0xf8
	v_and_or_b32 v3, v2, s3, v3
	v_lshlrev_b32_e32 v7, 4, v3
	v_and_b32_e32 v8, 0x78, v2
	v_or_b32_e32 v10, 32, v7
	v_lshrrev_b32_e32 v3, 1, v61
	v_xor_b32_e32 v10, v10, v8
	v_xor_b32_e32 v2, v7, v8
	v_and_b32_e32 v9, 8, v3
	v_or_b32_e32 v10, v10, v6
	v_or_b32_e32 v2, v2, v6
	v_xor_b32_e32 v26, v10, v9
	v_or_b32_e32 v10, 64, v7
	v_xor_b32_e32 v25, v2, v9
	v_xor_b32_e32 v10, v10, v8
	s_waitcnt lgkmcnt(0)
	s_barrier
	v_or_b32_e32 v12, v10, v6
	ds_read_b64 v[10:11], v25 offset:24576
	v_lshl_or_b32 v20, v71, 7, v22
	v_lshlrev_b32_e32 v24, 1, v20
	v_add_u32_e32 v2, 0xa000, v24
	ds_read2_b64 v[2:5], v2 offset1:16
	v_or_b32_e32 v7, 0x60, v7
	v_xor_b32_e32 v7, v7, v8
	s_waitcnt lgkmcnt(0)
	v_mfma_f32_16x16x16_bf16 a[0:3], v[10:11], v[2:3], 0
	v_or_b32_e32 v2, 64, v20
	v_or_b32_e32 v6, v7, v6
	v_lshlrev_b32_e32 v29, 1, v2
	v_xor_b32_e32 v27, v12, v9
	v_xor_b32_e32 v28, v6, v9
	ds_read_b64 v[12:13], v26 offset:24576
	ds_read_b64 v[14:15], v27 offset:24576
	;; [unrolled: 1-line block ×3, first 2 shown]
	v_mfma_f32_16x16x16_bf16 a[4:7], v[10:11], v[4:5], 0
	ds_read2st64_b64 v[2:5], v29 offset0:82 offset1:84
	ds_read2st64_b64 v[6:9], v24 offset0:82 offset1:84
	s_addc_u32 s5, s5, s1
	s_add_i32 s1, s44, s33
	s_add_i32 s0, s12, -1
	s_add_i32 s31, s1, s45
	s_add_i32 s1, s46, s39
	;; [unrolled: 1-line block ×3, first 2 shown]
	s_ashr_i32 s1, s0, 31
	s_mul_i32 s2, s0, s29
	s_mul_hi_u32 s3, s0, s28
	s_add_i32 s2, s3, s2
	s_mul_i32 s1, s1, s28
	s_waitcnt lgkmcnt(1)
	v_mfma_f32_16x16x16_bf16 a[4:7], v[12:13], v[2:3], a[4:7]
	s_add_i32 s1, s2, s1
	s_lshl_b64 s[2:3], s[30:31], 2
	s_add_u32 s10, s10, s2
	s_waitcnt lgkmcnt(0)
	v_mfma_f32_16x16x16_bf16 a[0:3], v[12:13], v[6:7], a[0:3]
	s_addc_u32 s11, s11, s3
	s_lshl_b64 s[2:3], s[34:35], 2
	s_mul_i32 s0, s0, s28
	s_add_u32 s10, s10, s2
	ds_read_b64 v[2:3], v24 offset:44032
	v_mfma_f32_16x16x16_bf16 a[4:7], v[14:15], v[4:5], a[4:7]
	ds_read_b64 v[4:5], v29 offset:44032
	s_addc_u32 s11, s11, s3
	s_lshl_b64 s[0:1], s[0:1], 2
	v_mfma_f32_16x16x16_bf16 a[0:3], v[14:15], v[8:9], a[0:3]
	s_add_u32 s0, s10, s0
	s_addc_u32 s1, s11, s1
	s_load_dword s12, s[0:1], 0x0
	s_waitcnt lgkmcnt(0)
	v_mfma_f32_16x16x16_bf16 a[0:3], v[16:17], v[2:3], a[0:3]
	s_and_b64 vcc, exec, s[22:23]
	v_mfma_f32_16x16x16_bf16 a[4:7], v[16:17], v[4:5], a[4:7]
	s_cbranch_vccz .LBB460_28
; %bb.18:
	v_lshlrev_b32_e32 v20, 1, v23
	s_and_b64 vcc, exec, s[6:7]
	s_cbranch_vccz .LBB460_44
; %bb.19:
	v_cmp_gt_i32_e32 vcc, s27, v20
	v_mov_b32_e32 v6, 0
	v_mov_b32_e32 v2, 0
	v_mov_b32_e32 v3, 0
	v_mov_b32_e32 v4, 0
	v_mov_b32_e32 v5, 0
	s_and_saveexec_b64 s[0:1], vcc
	s_cbranch_execz .LBB460_21
; %bb.20:
	v_mad_i64_i32 v[2:3], s[2:3], s15, v20, 0
	v_lshl_add_u64 v[2:3], v[2:3], 1, s[4:5]
	v_lshlrev_b32_e32 v4, 1, v18
	v_mov_b32_e32 v5, 0
	v_lshl_add_u64 v[2:3], v[2:3], 0, v[4:5]
	global_load_dwordx4 v[2:5], v[2:3], off
.LBB460_21:
	s_or_b64 exec, exec, s[0:1]
	v_or_b32_e32 v21, 1, v20
	v_cmp_gt_i32_e64 s[0:1], s27, v21
	v_mov_b32_e32 v7, 0
	v_mov_b32_e32 v8, 0
	;; [unrolled: 1-line block ×3, first 2 shown]
	s_and_saveexec_b64 s[2:3], s[0:1]
	s_cbranch_execz .LBB460_23
; %bb.22:
	v_mad_i64_i32 v[6:7], s[16:17], s15, v21, 0
	v_lshl_add_u64 v[6:7], v[6:7], 1, s[4:5]
	v_lshlrev_b32_e32 v8, 1, v18
	v_mov_b32_e32 v9, 0
	v_lshl_add_u64 v[6:7], v[6:7], 0, v[8:9]
	global_load_dwordx4 v[6:9], v[6:7], off
.LBB460_23:
	s_or_b64 exec, exec, s[2:3]
	v_mov_b32_e32 v17, 0
	v_mov_b32_e32 v10, 0
	;; [unrolled: 1-line block ×5, first 2 shown]
	s_and_saveexec_b64 s[2:3], vcc
	s_cbranch_execz .LBB460_25
; %bb.24:
	v_mad_i64_i32 v[10:11], s[16:17], s15, v20, 0
	v_lshl_add_u64 v[10:11], v[10:11], 1, s[4:5]
	v_lshlrev_b32_e32 v12, 1, v18
	v_mov_b32_e32 v13, 0
	v_lshl_add_u64 v[10:11], v[10:11], 0, v[12:13]
	global_load_dwordx4 v[10:13], v[10:11], off offset:128
.LBB460_25:
	s_or_b64 exec, exec, s[2:3]
	v_mov_b32_e32 v16, 0
	v_mov_b32_e32 v15, 0
	;; [unrolled: 1-line block ×3, first 2 shown]
	s_and_saveexec_b64 s[2:3], s[0:1]
	s_cbranch_execz .LBB460_27
; %bb.26:
	v_mad_i64_i32 v[14:15], s[0:1], s15, v21, 0
	v_lshl_add_u64 v[14:15], v[14:15], 1, s[4:5]
	v_lshlrev_b32_e32 v16, 1, v18
	v_mov_b32_e32 v17, 0
	v_lshl_add_u64 v[14:15], v[14:15], 0, v[16:17]
	global_load_dwordx4 v[14:17], v[14:15], off offset:128
.LBB460_27:
	s_or_b64 exec, exec, s[2:3]
	s_branch .LBB460_46
.LBB460_28:
                                        ; implicit-def: $vgpr5
                                        ; implicit-def: $vgpr9
                                        ; implicit-def: $vgpr13
                                        ; implicit-def: $vgpr17
	v_lshrrev_b32_e32 v30, 2, v61
	s_branch .LBB460_47
.LBB460_29:
                                        ; implicit-def: $vgpr20
                                        ; implicit-def: $vgpr21
                                        ; implicit-def: $sgpr22
	s_load_dwordx2 s[40:41], s[0:1], 0x20
	v_lshl_or_b32 v18, v77, 9, v18
.LBB460_30:
	v_or_b32_e32 v20, 0x100, v18
	s_movk_i32 s22, 0x4000
	v_mov_b32_e32 v21, v18
.LBB460_31:
	s_mul_hi_u32 s0, s14, s12
	s_mul_i32 s1, s53, s12
	s_add_i32 s0, s0, s1
	s_mul_i32 s1, s14, s12
	s_mul_i32 s20, s1, s24
	s_mul_hi_u32 s21, s1, s50
	s_add_i32 s20, s21, s20
	s_mul_i32 s0, s0, s50
	s_add_i32 s20, s20, s0
	s_mul_i32 s1, s1, s50
	s_ashr_i32 s59, s54, 31
	s_add_u32 s0, s1, s54
	s_addc_u32 s1, s20, s59
	s_lshl_b64 s[0:1], s[0:1], 8
	s_add_u32 s20, s4, s0
	s_addc_u32 s0, s5, s1
	s_and_b32 s21, s0, 0xffff
	s_movk_i32 s60, 0x80
	buffer_load_dwordx4 v[22:25], v21, s[20:23], 0 offen
	buffer_load_dwordx4 v[26:29], v21, s[20:23], s60 offen
	;; [unrolled: 1-line block ×4, first 2 shown]
	v_and_b32_e32 v20, 6, v0
	v_lshlrev_b32_e32 v39, 6, v75
	v_or_b32_e32 v41, 16, v72
	v_xor_b32_e32 v42, v77, v20
	v_and_b32_e32 v21, 1, v0
	v_lshl_or_b32 v45, v72, 3, v39
	v_lshl_or_b32 v39, v41, 3, v39
	v_lshlrev_b32_e32 v42, 2, v42
	s_mul_i32 s24, s24, s12
	s_mul_hi_u32 s0, s50, s12
	v_lshlrev_b32_e32 v38, 2, v72
	v_or_b32_e32 v85, 0xa000, v39
	v_or_b32_e32 v86, 0xb000, v39
	v_xor_b32_e32 v39, 0x440, v42
	v_cmp_eq_u32_e32 vcc, 0, v21
	v_xor_b32_e32 v43, v75, v38
	v_xor_b32_e32 v44, v76, v38
	v_cndmask_b32_e32 v21, v39, v42, vcc
	s_add_i32 s65, s0, s24
	s_add_i32 s0, s44, s33
	s_mov_b32 s63, 0x1000504
	v_lshlrev_b32_e32 v40, 8, v72
	v_lshlrev_b32_e32 v43, 1, v43
	;; [unrolled: 1-line block ×3, first 2 shown]
	v_lshl_or_b32 v20, v20, 10, v21
	s_add_i32 s31, s0, s45
	s_add_i32 s0, s46, s39
	s_mov_b32 s64, 0x3020706
	v_or_b32_e32 v83, 0xa000, v45
	v_or_b32_e32 v84, 0xb000, v45
	;; [unrolled: 1-line block ×4, first 2 shown]
	v_xor_b32_e32 v21, 8, v20
	v_xor_b32_e32 v40, 24, v20
	;; [unrolled: 1-line block ×4, first 2 shown]
	s_add_i32 s35, s0, s47
	s_lshl_b64 s[0:1], s[30:31], 2
	v_xor_b32_e32 v39, 16, v20
	v_xor_b32_e32 v42, 32, v20
	;; [unrolled: 1-line block ×3, first 2 shown]
	v_add_u32_e32 v21, 0x80, v21
	v_add_u32_e32 v40, 0x80, v40
	;; [unrolled: 1-line block ×4, first 2 shown]
	s_add_u32 s20, s10, s0
	s_addc_u32 s21, s11, s1
	s_lshl_b64 s[0:1], s[34:35], 2
	s_add_u32 s42, s20, s0
	s_movk_i32 s0, 0xf8
	s_addc_u32 s43, s21, s1
	s_ashr_i32 s37, s36, 31
	s_lshl_b32 s26, s15, 7
	s_movk_i32 s20, 0x100
	v_mov_b32_e32 v65, 0
	v_lshlrev_b32_e32 v64, 4, v72
	v_cmp_gt_u32_e32 vcc, s20, v0
	s_mul_i32 s61, s50, s12
	v_ashrrev_i32_e32 v63, 31, v62
	s_mov_b32 s62, 0
	s_movk_i32 s31, 0x1000
	s_movk_i32 s22, 0x4000
	v_lshl_add_u64 v[66:67], v[62:63], 1, s[8:9]
	v_mov_b32_e32 v113, 0x3fb8aa3b
	s_mov_b32 s67, 0
	s_waitcnt vmcnt(1)
	v_perm_b32 v48, v22, v30, s63
	s_waitcnt vmcnt(0)
	v_perm_b32 v49, v26, v34, s63
	v_perm_b32 v22, v22, v30, s64
	;; [unrolled: 1-line block ×15, first 2 shown]
	ds_write2st64_b32 v20, v48, v49 offset0:32 offset1:64
	ds_write2st64_b32 v21, v22, v26 offset0:32 offset1:64
	;; [unrolled: 1-line block ×8, first 2 shown]
	v_lshlrev_b32_e32 v20, 8, v41
	v_or_b32_e32 v89, v20, v43
	v_or_b32_e32 v90, v20, v44
	;; [unrolled: 1-line block ×3, first 2 shown]
	v_lshlrev_b32_e32 v20, 3, v20
	v_lshrrev_b32_e32 v23, 5, v61
	v_and_or_b32 v23, v20, s0, v23
	v_lshlrev_b32_e32 v23, 4, v23
	v_lshlrev_b32_e32 v25, 11, v70
	v_and_b32_e32 v20, 0x78, v20
	v_or_b32_e32 v28, 32, v23
	v_and_b32_e32 v22, 0x1000, v25
	v_lshrrev_b32_e32 v26, 1, v61
	v_xor_b32_e32 v28, v28, v20
	v_xor_b32_e32 v24, v23, v20
	v_and_b32_e32 v26, 8, v26
	v_or_b32_e32 v28, v28, v22
	v_or_b32_e32 v24, v24, v22
	v_lshlrev_b32_e32 v27, 7, v71
	v_xor_b32_e32 v93, v28, v26
	v_or_b32_e32 v28, 64, v23
	v_or_b32_e32 v23, 0x60, v23
	v_xor_b32_e32 v91, v24, v26
	v_or_b32_e32 v24, v27, v38
	v_xor_b32_e32 v28, v28, v20
	v_xor_b32_e32 v20, v23, v20
	s_lshl_b64 s[0:1], s[36:37], 8
	v_lshlrev_b32_e32 v24, 1, v24
	v_or_b32_e32 v28, v28, v22
	v_or_b32_e32 v20, v20, v22
	s_add_u32 s0, s18, s0
	v_lshlrev_b32_e32 v22, 1, v72
	v_or_b32_e32 v92, 0xa000, v24
	v_or_b32_e32 v94, 0xa080, v24
	;; [unrolled: 1-line block ×4, first 2 shown]
	v_lshrrev_b32_e32 v24, 4, v0
	s_addc_u32 s1, s19, s1
	v_or_b32_e32 v23, 1, v22
	v_mov_b32_e32 v33, 0x4000
	v_mov_b32_e32 v34, 0x2000
	v_lshrrev_b32_e32 v35, 1, v0
	v_xor_b32_e32 v95, v28, v26
	v_xor_b32_e32 v96, v20, v26
	;; [unrolled: 1-line block ×4, first 2 shown]
	v_lshl_add_u64 v[22:23], s[0:1], 0, v[64:65]
	v_lshlrev_b32_e32 v64, 8, v24
	v_cndmask_b32_e32 v33, v33, v34, vcc
	v_lshlrev_b32_e32 v34, 3, v70
	v_and_b32_e32 v35, 24, v35
	v_lshl_or_b32 v99, v26, 3, v64
	v_and_b32_e32 v26, 8, v0
	v_xor_b32_e32 v36, v34, v35
	v_or_b32_e32 v37, 0x440, v36
	v_cmp_eq_u32_e32 vcc, 0, v26
	v_and_b32_e32 v24, 7, v0
	v_lshl_or_b32 v100, v30, 3, v64
	v_cndmask_b32_e32 v26, v37, v36, vcc
	v_lshlrev_b32_e32 v30, 3, v24
	v_lshlrev_b32_e32 v32, 2, v0
	v_or_b32_e32 v26, v26, v25
	v_xor_b32_e32 v36, v26, v30
	v_and_or_b32 v26, v32, 60, v27
	v_mov_b32_e32 v27, 0xb000
	v_lshl_or_b32 v101, v26, 1, v27
	v_or_b32_e32 v26, 32, v35
	v_xor_b32_e32 v26, v34, v26
	v_or_b32_e32 v27, 0x440, v26
	v_cndmask_b32_e32 v26, v27, v26, vcc
	v_or_b32_e32 v26, v26, v25
	v_xor_b32_e32 v27, v26, v30
	v_or_b32_e32 v26, 64, v35
	v_xor_b32_e32 v26, v34, v26
	v_xor_b32_e32 v38, 0x440, v26
	v_cndmask_b32_e32 v26, v38, v26, vcc
	v_or_b32_e32 v26, v26, v25
	v_xor_b32_e32 v38, v26, v30
	v_or_b32_e32 v26, 0x60, v35
	v_xor_b32_e32 v26, v34, v26
	v_xor_b32_e32 v34, 0x440, v26
	v_cndmask_b32_e32 v26, v34, v26, vcc
	v_lshrrev_b32_e32 v21, 2, v61
	v_or_b32_e32 v25, v26, v25
	v_and_b32_e32 v21, 12, v21
	v_xor_b32_e32 v25, v25, v30
	v_lshlrev_b32_e32 v20, 7, v75
	v_lshlrev_b32_e32 v28, 1, v19
	v_add_lshl_u32 v19, v19, s15, 1
	v_or_b32_e32 v29, 0x100, v18
	v_lshlrev_b32_e32 v31, 7, v24
	v_or_b32_e32 v24, v21, v1
	v_add_u32_e32 v37, v33, v36
	v_add_u32_e32 v32, v33, v27
	;; [unrolled: 1-line block ×4, first 2 shown]
	v_or3_b32 v26, v1, v21, 64
	v_add_u32_e32 v21, 0x4000, v36
	v_add_u32_e32 v27, 0x4000, v27
	;; [unrolled: 1-line block ×4, first 2 shown]
	v_cndmask_b32_e64 v102, v28, v18, s[2:3]
	v_cndmask_b32_e64 v103, v19, v29, s[2:3]
	v_lshl_add_u64 v[68:69], v[22:23], 0, v[64:65]
	s_add_i32 s35, s61, 63
	s_mov_b32 s37, 0x7060302
	v_lshlrev_b32_e32 v64, 1, v20
	v_lshlrev_b32_e32 v63, 2, v24
	v_add_u32_e32 v104, v37, v31
	v_add_u32_e32 v105, v32, v31
	;; [unrolled: 1-line block ×4, first 2 shown]
	v_lshlrev_b32_e32 v108, 2, v26
	v_add_u32_e32 v109, v21, v31
	v_add_u32_e32 v110, v27, v31
	;; [unrolled: 1-line block ×4, first 2 shown]
	s_waitcnt lgkmcnt(0)
	s_barrier
.LBB460_32:                             ; =>This Inner Loop Header: Depth=1
	s_add_i32 s66, s67, 1
	s_cmp_lt_i32 s66, s51
	s_mov_b64 s[24:25], 0
	s_cselect_b64 s[2:3], -1, 0
	s_cmp_ge_i32 s66, s51
	s_mov_b64 s[20:21], 0
	s_cbranch_scc1 .LBB460_34
; %bb.33:                               ;   in Loop: Header=BB460_32 Depth=1
	s_add_i32 s0, s62, 64
	s_add_u32 s0, s16, s0
	s_addc_u32 s1, s17, 0
	s_lshl_b64 s[0:1], s[0:1], 8
	s_add_u32 s20, s6, s0
	s_addc_u32 s21, s7, s1
.LBB460_34:                             ;   in Loop: Header=BB460_32 Depth=1
	v_cndmask_b32_e64 v18, 0, 1, s[2:3]
	v_cmp_ne_u32_e64 s[0:1], 1, v18
	s_andn2_b64 vcc, exec, s[2:3]
	s_cbranch_vccnz .LBB460_36
; %bb.35:                               ;   in Loop: Header=BB460_32 Depth=1
	s_add_i32 s2, s62, 64
	s_add_u32 s2, s61, s2
	s_addc_u32 s3, s65, 0
	s_mul_i32 s24, s2, s53
	s_mul_hi_u32 s25, s2, s58
	s_add_i32 s24, s25, s24
	s_mul_i32 s3, s3, s58
	s_add_i32 s24, s24, s3
	s_mul_i32 s2, s2, s58
	s_add_u32 s2, s2, s54
	s_addc_u32 s3, s24, s59
	s_lshl_b64 s[2:3], s[2:3], 8
	s_add_u32 s24, s4, s2
	s_addc_u32 s25, s5, s3
.LBB460_36:                             ;   in Loop: Header=BB460_32 Depth=1
	v_perm_b32 v19, v17, v16, s37
	v_perm_b32 v18, v15, v14, s37
	;; [unrolled: 1-line block ×4, first 2 shown]
	ds_write_b64 v83, v[18:19]
	ds_write_b64 v84, v[20:21]
	;; [unrolled: 1-line block ×4, first 2 shown]
	v_perm_b32 v19, v9, v8, s37
	v_perm_b32 v18, v7, v6, s37
	;; [unrolled: 1-line block ×4, first 2 shown]
	ds_write_b64 v85, v[18:19]
	ds_write_b64 v86, v[20:21]
	;; [unrolled: 1-line block ×4, first 2 shown]
	s_waitcnt lgkmcnt(0)
	s_barrier
	ds_read_b64 v[22:23], v91 offset:24576
	ds_read2_b64 v[18:21], v92 offset1:16
	ds_read_b64 v[26:27], v94 offset:3072
	ds_read_b64 v[28:29], v92 offset:3072
	;; [unrolled: 1-line block ×3, first 2 shown]
	s_waitcnt lgkmcnt(3)
	v_mfma_f32_16x16x16_bf16 a[0:3], v[22:23], v[18:19], 0
	s_add_i32 s2, s62, 63
	s_mul_i32 s3, s2, s29
	s_mul_hi_u32 s27, s2, s28
	v_mfma_f32_16x16x16_bf16 a[4:7], v[22:23], v[20:21], 0
	ds_read2st64_b64 v[18:21], v92 offset0:2 offset1:4
	ds_read2st64_b64 v[22:25], v94 offset0:2 offset1:4
	s_add_i32 s3, s27, s3
	s_waitcnt lgkmcnt(1)
	v_mfma_f32_16x16x16_bf16 a[0:3], v[30:31], v[18:19], a[0:3]
	s_mul_i32 s2, s2, s28
	s_lshl_b64 s[2:3], s[2:3], 2
	s_add_u32 s2, s42, s2
	s_waitcnt lgkmcnt(0)
	v_mfma_f32_16x16x16_bf16 a[4:7], v[30:31], v[22:23], a[4:7]
	ds_read_b64 v[18:19], v95 offset:24576
	ds_read_b64 v[22:23], v96 offset:24576
	s_addc_u32 s3, s43, s3
	s_and_b64 vcc, exec, s[0:1]
	s_waitcnt lgkmcnt(1)
	v_mfma_f32_16x16x16_bf16 a[0:3], v[18:19], v[20:21], a[0:3]
	v_mov_b32_e32 v116, 0
	v_mov_b32_e32 v115, 0
	;; [unrolled: 1-line block ×3, first 2 shown]
	v_mfma_f32_16x16x16_bf16 a[4:7], v[18:19], v[24:25], a[4:7]
	v_mov_b32_e32 v18, 0
	v_mov_b32_e32 v19, 0
	;; [unrolled: 1-line block ×3, first 2 shown]
	s_waitcnt lgkmcnt(0)
	v_mfma_f32_16x16x16_bf16 a[0:3], v[22:23], v[28:29], a[0:3]
	v_mov_b32_e32 v21, 0
	v_mov_b32_e32 v24, 0
	v_mov_b32_e32 v25, 0
	v_mfma_f32_16x16x16_bf16 a[4:7], v[22:23], v[26:27], a[4:7]
	v_mov_b32_e32 v22, 0
	v_mov_b32_e32 v23, 0
	;; [unrolled: 1-line block ×10, first 2 shown]
	s_cbranch_vccnz .LBB460_38
; %bb.37:                               ;   in Loop: Header=BB460_32 Depth=1
	s_and_b32 s21, s21, 0xffff
	buffer_load_dwordx4 v[30:33], v79, s[20:23], 0 offen
	buffer_load_dwordx4 v[26:29], v79, s[20:23], s60 offen
	;; [unrolled: 1-line block ×4, first 2 shown]
	v_mov_b32_e32 v115, v81
	v_mov_b32_e32 v114, v82
.LBB460_38:                             ;   in Loop: Header=BB460_32 Depth=1
	ds_read_b64 v[38:39], v91 offset:32768
	ds_read2_b64 v[34:37], v97 offset1:16
	ds_read_b64 v[42:43], v93 offset:32768
	ds_read_b64 v[44:45], v95 offset:32768
	;; [unrolled: 1-line block ×3, first 2 shown]
	v_add_u32_e32 v48, s62, v75
	s_waitcnt lgkmcnt(3)
	v_mfma_f32_16x16x16_bf16 a[0:3], v[38:39], v[34:35], a[0:3]
	v_mul_lo_u32 v49, v48, s29
	v_mov_b32_e32 v117, 0
	v_mfma_f32_16x16x16_bf16 a[4:7], v[38:39], v[36:37], a[4:7]
	ds_read2st64_b64 v[34:37], v97 offset0:2 offset1:4
	ds_read2st64_b64 v[38:41], v98 offset0:2 offset1:4
	s_waitcnt lgkmcnt(1)
	v_mfma_f32_16x16x16_bf16 a[0:3], v[42:43], v[34:35], a[0:3]
	v_ashrrev_i32_e32 v34, 31, v48
	v_mul_lo_u32 v50, v34, s28
	v_mad_u64_u32 v[34:35], s[20:21], v48, s28, 0
	v_mfma_f32_16x16x16_bf16 a[0:3], v[44:45], v[36:37], a[0:3]
	v_add_u32_e32 v36, 1, v48
	v_ashrrev_i32_e32 v37, 31, v36
	v_add3_u32 v35, v35, v49, v50
	s_waitcnt lgkmcnt(0)
	v_mfma_f32_16x16x16_bf16 a[4:7], v[42:43], v[38:39], a[4:7]
	v_mul_lo_u32 v38, v37, s28
	v_mul_lo_u32 v39, v36, s29
	v_mad_u64_u32 v[36:37], s[20:21], v36, s28, 0
	v_add3_u32 v37, v37, v39, v38
	v_add_u32_e32 v38, 2, v48
	v_ashrrev_i32_e32 v39, 31, v38
	v_mul_lo_u32 v42, v39, s28
	v_mul_lo_u32 v43, v38, s29
	v_mad_u64_u32 v[38:39], s[20:21], v38, s28, 0
	v_add3_u32 v39, v39, v43, v42
	v_add_u32_e32 v42, 3, v48
	v_ashrrev_i32_e32 v43, 31, v42
	v_mul_lo_u32 v48, v43, s28
	v_mul_lo_u32 v49, v42, s29
	v_mad_u64_u32 v[42:43], s[20:21], v42, s28, 0
	s_add_u32 s20, s16, s62
	s_addc_u32 s21, s17, 0
	s_lshl_b64 s[20:21], s[20:21], 8
	v_lshl_add_u64 v[34:35], v[34:35], 2, s[42:43]
	v_lshl_add_u64 v[36:37], v[36:37], 2, s[42:43]
	v_add3_u32 v43, v43, v49, v48
	v_lshl_add_u64 v[48:49], v[66:67], 0, s[20:21]
	v_lshl_add_u64 v[38:39], v[38:39], 2, s[42:43]
	;; [unrolled: 1-line block ×3, first 2 shown]
	global_load_dword v50, v[34:35], off
	global_load_ushort v51, v[48:49], off offset:256
	global_load_ushort v52, v[48:49], off
	global_load_ushort v53, v[48:49], off offset:768
	global_load_ushort v54, v[48:49], off offset:512
	v_lshl_add_u64 v[34:35], v[42:43], 2, s[42:43]
	global_load_dword v55, v[36:37], off
	global_load_dword v56, v[38:39], off
	;; [unrolled: 1-line block ×3, first 2 shown]
	ds_read_b64 v[34:35], v97 offset:3072
	ds_read_b64 v[36:37], v98 offset:3072
	global_load_ushort v58, v[48:49], off offset:800
	global_load_ushort v59, v[48:49], off offset:544
	global_load_ushort v60, v[48:49], off offset:288
	s_nop 0
	global_load_ushort v48, v[48:49], off offset:32
	s_load_dword s2, s[2:3], 0x0
	v_mfma_f32_16x16x16_bf16 a[4:7], v[44:45], v[40:41], a[4:7]
	s_and_b64 vcc, exec, s[0:1]
	v_mov_b32_e32 v49, 0
	s_waitcnt vmcnt(11) lgkmcnt(0)
	v_sub_f32_e32 v44, s2, v50
	v_mfma_f32_16x16x16_bf16 a[0:3], v[46:47], v[34:35], a[0:3]
	v_mul_f32_e32 v44, 0x3fb8aa3b, v44
	v_exp_f32_e32 v44, v44
	s_waitcnt vmcnt(6)
	v_sub_f32_e32 v45, s2, v55
	v_mfma_f32_16x16x16_bf16 a[4:7], v[46:47], v[36:37], a[4:7]
	s_waitcnt vmcnt(5)
	v_sub_f32_e32 v46, s2, v56
	s_waitcnt vmcnt(4)
	v_sub_f32_e32 v47, s2, v57
	v_mul_f32_e32 v45, 0x3fb8aa3b, v45
	v_mul_f32_e32 v46, 0x3fb8aa3b, v46
	;; [unrolled: 1-line block ×3, first 2 shown]
	v_exp_f32_e32 v45, v45
	v_exp_f32_e32 v46, v46
	;; [unrolled: 1-line block ×3, first 2 shown]
	v_accvgpr_read_b32 v39, a1
	v_accvgpr_read_b32 v35, a3
	;; [unrolled: 1-line block ×4, first 2 shown]
	v_lshlrev_b32_e32 v41, 16, v51
	v_lshlrev_b32_e32 v40, 16, v52
	;; [unrolled: 1-line block ×4, first 2 shown]
	v_pk_add_f32 v[38:39], v[40:41], v[38:39] neg_lo:[0,1] neg_hi:[0,1]
	v_pk_add_f32 v[34:35], v[42:43], v[34:35] neg_lo:[0,1] neg_hi:[0,1]
	v_pk_mul_f32 v[38:39], v[44:45], v[38:39]
	v_pk_mul_f32 v[34:35], v[46:47], v[34:35]
	v_accvgpr_read_b32 v41, a5
	v_perm_b32 v35, v35, v34, s37
	v_perm_b32 v34, v39, v38, s37
	s_waitcnt vmcnt(1)
	v_lshlrev_b32_e32 v39, 16, v60
	s_waitcnt vmcnt(0)
	v_lshlrev_b32_e32 v38, 16, v48
	v_accvgpr_read_b32 v40, a4
	v_accvgpr_read_b32 v37, a7
	;; [unrolled: 1-line block ×3, first 2 shown]
	v_pk_add_f32 v[38:39], v[38:39], v[40:41] neg_lo:[0,1] neg_hi:[0,1]
	v_lshlrev_b32_e32 v41, 16, v58
	v_lshlrev_b32_e32 v40, 16, v59
	v_pk_add_f32 v[36:37], v[40:41], v[36:37] neg_lo:[0,1] neg_hi:[0,1]
	v_pk_mul_f32 v[38:39], v[44:45], v[38:39]
	v_pk_mul_f32 v[36:37], v[46:47], v[36:37]
	v_mov_b32_e32 v40, 0
	v_perm_b32 v37, v37, v36, s37
	v_perm_b32 v36, v39, v38, s37
	ds_write2_b64 v84, v[34:35], v[36:37] offset1:16
	v_mov_b32_e32 v34, 0
	v_mov_b32_e32 v35, 0
	;; [unrolled: 1-line block ×14, first 2 shown]
	s_cbranch_vccnz .LBB460_40
; %bb.39:                               ;   in Loop: Header=BB460_32 Depth=1
	s_and_b32 s25, s25, 0xffff
	s_mov_b32 s27, s23
	buffer_load_dwordx4 v[46:49], v102, s[24:27], 0 offen
	buffer_load_dwordx4 v[38:41], v102, s[24:27], s60 offen
	;; [unrolled: 1-line block ×4, first 2 shown]
	v_mov_b32_e32 v116, v78
	v_mov_b32_e32 v117, v77
.LBB460_40:                             ;   in Loop: Header=BB460_32 Depth=1
	s_waitcnt lgkmcnt(0)
	s_barrier
	ds_read_b64 v[54:55], v104
	ds_read_b64 v[122:123], v101
	;; [unrolled: 1-line block ×5, first 2 shown]
	ds_read_b64 v[136:137], v98 offset:3072
	ds_read2_b64 v[50:53], v97 offset0:16 offset1:128
	s_waitcnt lgkmcnt(5)
	v_mfma_f32_16x16x16_bf16 a[0:3], v[54:55], v[122:123], 0
	ds_read2st64_b64 v[56:59], v98 offset0:2 offset1:4
	s_add_i32 s3, s55, s67
	s_mul_hi_i32 s21, s3, s13
	s_waitcnt lgkmcnt(1)
	v_mfma_f32_16x16x16_bf16 a[4:7], v[54:55], v[50:51], 0
	ds_read_b64 v[54:55], v109
	s_mul_i32 s3, s3, s13
	s_add_u32 s20, s3, s48
	s_waitcnt lgkmcnt(1)
	v_mfma_f32_16x16x16_bf16 a[4:7], v[124:125], v[56:57], a[4:7]
	s_addc_u32 s21, s21, s52
	s_add_i32 s3, s35, s62
	s_lshl_b64 s[20:21], s[20:21], 15
	s_mul_hi_i32 s25, s3, s13
	s_mul_i32 s3, s3, s13
	s_add_u32 s24, s3, s48
	v_mfma_f32_16x16x16_bf16 a[8:11], v[126:127], v[58:59], a[4:7]
	s_addc_u32 s25, s25, s52
	ds_read2st64_b64 v[118:121], v97 offset0:4 offset1:6
	s_lshl_b64 s[24:25], s[24:25], 9
	s_waitcnt lgkmcnt(1)
	v_mfma_f32_16x16x16_bf16 a[4:7], v[54:55], v[122:123], 0
	s_add_u32 s24, s40, s24
	s_addc_u32 s25, s41, s25
	v_mfma_f32_16x16x16_bf16 a[0:3], v[124:125], v[52:53], a[0:3]
	ds_read_b64 v[124:125], v110
	ds_read_b64 v[132:133], v111
	;; [unrolled: 1-line block ×3, first 2 shown]
	v_mfma_f32_16x16x16_bf16 a[12:15], v[54:55], v[50:51], 0
	s_waitcnt lgkmcnt(2)
	v_mfma_f32_16x16x16_bf16 a[4:7], v[124:125], v[52:53], a[4:7]
	global_load_dwordx4 v[50:53], v108, s[24:25]
	v_mfma_f32_16x16x16_bf16 a[12:15], v[124:125], v[56:57], a[12:15]
	global_load_dwordx4 v[54:57], v63, s[24:25]
	ds_read2st64_b64 v[122:125], v99 offset1:8
	s_waitcnt lgkmcnt(0)
	v_mov_b32_e32 v130, v122
	v_mfma_f32_16x16x16_bf16 a[0:3], v[126:127], v[118:119], a[0:3]
	ds_read2st64_b64 v[126:129], v100 offset1:8
	v_mov_b32_e32 v131, v123
	v_mfma_f32_16x16x16_bf16 a[16:19], v[132:133], v[118:119], a[4:7]
	v_lshl_add_u64 v[118:119], v[68:69], 0, s[20:21]
	v_mfma_f32_16x16x16_bf16 a[20:23], v[132:133], v[58:59], a[12:15]
	v_add_co_u32_e32 v58, vcc, s31, v118
	s_waitcnt lgkmcnt(0)
	v_mov_b32_e32 v132, v126
	v_mfma_f32_16x16x16_bf16 a[4:7], v[134:135], v[120:121], a[0:3]
	v_mov_b32_e32 v133, v127
	v_mov_b32_e32 v126, v124
	;; [unrolled: 1-line block ×3, first 2 shown]
	v_mfma_f32_16x16x16_bf16 a[8:11], v[134:135], v[136:137], a[8:11]
	v_addc_co_u32_e32 v59, vcc, 0, v119, vcc
	global_store_dwordx4 v[58:59], v[126:129], off
	v_mfma_f32_16x16x16_bf16 a[12:15], v[138:139], v[120:121], a[16:19]
	s_and_b64 vcc, exec, s[0:1]
	global_store_dwordx4 v[118:119], v[130:133], off
	s_waitcnt vmcnt(3)
	v_mov_b32_e32 v60, v53
	v_mfma_f32_16x16x16_bf16 a[0:3], v[138:139], v[136:137], a[20:23]
	v_mov_b32_e32 v59, v52
	v_mov_b32_e32 v58, v51
	s_cbranch_vccnz .LBB460_42
; %bb.41:                               ;   in Loop: Header=BB460_32 Depth=1
	v_lshrrev_b32_e32 v51, 3, v116
	v_and_b32_e32 v51, 6, v51
	v_xor_b32_e32 v52, v51, v117
	v_lshlrev_b32_e32 v52, 2, v52
	v_and_b32_e32 v53, 8, v116
	v_xor_b32_e32 v116, 0x440, v52
	v_cmp_eq_u32_e32 vcc, 0, v53
	v_perm_b32 v53, v38, v34, s63
	s_nop 0
	v_cndmask_b32_e32 v52, v116, v52, vcc
	v_lshl_or_b32 v51, v51, 10, v52
	v_perm_b32 v52, v46, v42, s63
	s_barrier
	ds_write2st64_b32 v51, v52, v53 offset0:32 offset1:64
	v_xor_b32_e32 v52, 8, v51
	v_perm_b32 v42, v46, v42, s64
	v_perm_b32 v34, v38, v34, s64
	v_add_u32_e32 v38, 0x80, v52
	ds_write2st64_b32 v38, v42, v34 offset0:32 offset1:64
	v_xor_b32_e32 v34, 16, v51
	v_perm_b32 v38, v47, v43, s63
	v_perm_b32 v42, v39, v35, s63
	ds_write2st64_b32 v34, v38, v42 offset0:33 offset1:65
	v_xor_b32_e32 v34, 24, v51
	v_perm_b32 v38, v47, v43, s64
	v_perm_b32 v35, v39, v35, s64
	v_add_u32_e32 v34, 0x80, v34
	ds_write2st64_b32 v34, v38, v35 offset0:33 offset1:65
	v_xor_b32_e32 v34, 32, v51
	v_perm_b32 v35, v48, v44, s63
	v_perm_b32 v38, v40, v36, s63
	;; [unrolled: 9-line block ×3, first 2 shown]
	ds_write2st64_b32 v34, v35, v36 offset0:35 offset1:67
	v_xor_b32_e32 v34, 56, v51
	v_perm_b32 v35, v49, v45, s64
	v_perm_b32 v36, v41, v37, s64
	v_add_u32_e32 v34, 0x80, v34
	ds_write2st64_b32 v34, v35, v36 offset0:35 offset1:67
	ds_write_b64 v115, v[30:31] offset:24576
	v_xor_b32_e32 v30, 8, v115
	ds_write_b64 v30, v[32:33] offset:24576
	ds_write_b64 v115, v[26:27] offset:32768
	;; [unrolled: 1-line block ×4, first 2 shown]
	v_xor_b32_e32 v22, 8, v114
	ds_write_b64 v22, v[24:25] offset:24576
	ds_write_b64 v114, v[18:19] offset:32768
	;; [unrolled: 1-line block ×3, first 2 shown]
.LBB460_42:                             ;   in Loop: Header=BB460_32 Depth=1
	v_mul_f32_e32 v22, s2, v113
	v_exp_f32_e32 v34, v22
	s_waitcnt vmcnt(2)
	v_mul_f32_e32 v22, 0x3fb8aa3b, v54
	v_exp_f32_e32 v36, v22
	v_mul_f32_e32 v22, 0x3fb8aa3b, v55
	v_exp_f32_e32 v37, v22
	;; [unrolled: 2-line block ×4, first 2 shown]
	v_accvgpr_read_b32 v29, a7
	v_accvgpr_read_b32 v27, a5
	v_accvgpr_read_b32 v26, a4
	v_accvgpr_read_b32 v21, a11
	v_pk_mul_f32 v[36:37], v[34:35], v[36:37] op_sel_hi:[0,1]
	v_accvgpr_read_b32 v20, a10
	v_pk_fma_f32 v[14:15], v[14:15], v[36:37], v[26:27]
	v_pk_mul_f32 v[26:27], v[34:35], v[38:39] op_sel_hi:[0,1]
	v_accvgpr_read_b32 v28, a6
	v_accvgpr_read_b32 v19, a9
	;; [unrolled: 1-line block ×3, first 2 shown]
	v_fma_f32 v8, v8, v26, v20
	v_mul_f32_e32 v20, 0x3fb8aa3b, v59
	v_pk_fma_f32 v[16:17], v[16:17], v[26:27], v[28:29]
	v_fma_f32 v6, v6, v36, v18
	v_fma_f32 v7, v7, v37, v19
	v_mul_f32_e32 v18, 0x3fb8aa3b, v50
	v_mul_f32_e32 v19, 0x3fb8aa3b, v58
	v_exp_f32_e32 v28, v20
	v_mul_f32_e32 v20, 0x3fb8aa3b, v60
	v_exp_f32_e32 v18, v18
	v_exp_f32_e32 v19, v19
	;; [unrolled: 1-line block ×3, first 2 shown]
	v_accvgpr_read_b32 v33, a15
	v_accvgpr_read_b32 v25, a3
	;; [unrolled: 1-line block ×8, first 2 shown]
	v_fmac_f32_e32 v21, v9, v27
	v_pk_mul_f32 v[18:19], v[34:35], v[18:19] op_sel_hi:[0,1]
	v_pk_mul_f32 v[26:27], v[34:35], v[28:29] op_sel_hi:[0,1]
	s_add_i32 s62, s62, 64
	v_pk_fma_f32 v[10:11], v[10:11], v[18:19], v[30:31]
	v_pk_fma_f32 v[12:13], v[12:13], v[26:27], v[32:33]
	v_fma_f32 v2, v2, v18, v22
	v_fma_f32 v3, v3, v19, v23
	;; [unrolled: 1-line block ×3, first 2 shown]
	s_cmp_eq_u32 s51, s66
	v_fmac_f32_e32 v25, v5, v27
	s_cbranch_scc1 .LBB460_4
; %bb.43:                               ;   in Loop: Header=BB460_32 Depth=1
	s_mov_b32 s67, s66
	v_mov_b32_e32 v9, v21
	v_mov_b32_e32 v5, v25
	s_branch .LBB460_32
.LBB460_44:
                                        ; implicit-def: $vgpr5
                                        ; implicit-def: $vgpr9
                                        ; implicit-def: $vgpr13
                                        ; implicit-def: $vgpr17
	s_cbranch_execz .LBB460_46
; %bb.45:
	s_waitcnt vmcnt(0)
	v_mad_u64_u32 v[2:3], s[0:1], v20, s15, v[18:19]
	v_lshlrev_b32_e32 v20, 1, v2
	s_lshl_b32 s2, s15, 7
	s_and_b32 s1, s5, 0xffff
	s_mov_b32 s3, 0x20000
	s_mov_b32 s0, s4
	v_add_lshl_u32 v21, v2, s15, 1
	s_movk_i32 s13, 0x80
	buffer_load_dwordx4 v[2:5], v20, s[0:3], 0 offen
	buffer_load_dwordx4 v[10:13], v20, s[0:3], s13 offen
	;; [unrolled: 1-line block ×4, first 2 shown]
.LBB460_46:
	v_lshrrev_b32_e32 v30, 2, v61
	s_cbranch_execnz .LBB460_59
.LBB460_47:
	s_and_b64 vcc, exec, s[6:7]
	s_cbranch_vccz .LBB460_57
; %bb.48:
	s_waitcnt vmcnt(0)
	v_lshlrev_b32_e32 v7, 1, v23
	v_cmp_gt_i32_e32 vcc, s27, v7
	v_mov_b32_e32 v6, 0
	v_lshlrev_b32_e32 v14, 9, v23
	v_mov_b32_e32 v2, 0
	v_mov_b32_e32 v3, 0
	;; [unrolled: 1-line block ×4, first 2 shown]
	s_and_saveexec_b64 s[0:1], vcc
	s_cbranch_execz .LBB460_50
; %bb.49:
	v_mov_b32_e32 v15, 0
	v_lshl_add_u64 v[2:3], s[4:5], 0, v[14:15]
	v_lshlrev_b32_e32 v4, 1, v18
	v_mov_b32_e32 v5, v15
	v_lshl_add_u64 v[2:3], v[2:3], 0, v[4:5]
	global_load_dwordx4 v[2:5], v[2:3], off
.LBB460_50:
	s_or_b64 exec, exec, s[0:1]
	v_or_b32_e32 v7, 1, v7
	v_cmp_gt_i32_e64 s[0:1], s27, v7
	v_lshlrev_b32_e32 v20, 8, v7
	v_mov_b32_e32 v7, 0
	v_mov_b32_e32 v8, 0
	;; [unrolled: 1-line block ×3, first 2 shown]
	s_and_saveexec_b64 s[2:3], s[0:1]
	s_cbranch_execz .LBB460_52
; %bb.51:
	v_mov_b32_e32 v21, 0
	v_lshl_add_u64 v[6:7], s[4:5], 0, v[20:21]
	v_lshlrev_b32_e32 v8, 1, v18
	v_mov_b32_e32 v9, v21
	v_lshl_add_u64 v[6:7], v[6:7], 0, v[8:9]
	global_load_dwordx4 v[6:9], v[6:7], off
.LBB460_52:
	s_or_b64 exec, exec, s[2:3]
	v_mov_b32_e32 v17, 0
	v_mov_b32_e32 v10, 0
	;; [unrolled: 1-line block ×5, first 2 shown]
	s_and_saveexec_b64 s[2:3], vcc
	s_cbranch_execz .LBB460_54
; %bb.53:
	v_mov_b32_e32 v15, 0
	v_lshl_add_u64 v[10:11], s[4:5], 0, v[14:15]
	v_lshlrev_b32_e32 v14, 1, v18
	v_lshl_add_u64 v[10:11], v[10:11], 0, v[14:15]
	global_load_dwordx4 v[10:13], v[10:11], off offset:128
.LBB460_54:
	s_or_b64 exec, exec, s[2:3]
	v_mov_b32_e32 v16, 0
	v_mov_b32_e32 v15, 0
	;; [unrolled: 1-line block ×3, first 2 shown]
	s_and_saveexec_b64 s[2:3], s[0:1]
	s_cbranch_execz .LBB460_56
; %bb.55:
	v_mov_b32_e32 v21, 0
	v_lshl_add_u64 v[14:15], s[4:5], 0, v[20:21]
	v_lshlrev_b32_e32 v20, 1, v18
	v_lshl_add_u64 v[14:15], v[14:15], 0, v[20:21]
	global_load_dwordx4 v[14:17], v[14:15], off offset:128
.LBB460_56:
	s_or_b64 exec, exec, s[2:3]
	s_branch .LBB460_59
.LBB460_57:
                                        ; implicit-def: $vgpr5
                                        ; implicit-def: $vgpr9
                                        ; implicit-def: $vgpr13
                                        ; implicit-def: $vgpr17
	s_cbranch_execz .LBB460_59
; %bb.58:
	s_waitcnt vmcnt(0)
	v_lshlrev_b32_e32 v2, 1, v18
	v_lshl_or_b32 v18, v23, 9, v2
	s_and_b32 s5, s5, 0xffff
	s_mov_b32 s7, 0x20000
	s_movk_i32 s6, 0x4000
	s_movk_i32 s0, 0x80
	buffer_load_dwordx4 v[2:5], v18, s[4:7], 0 offen
	buffer_load_dwordx4 v[6:9], v18, s[4:7], 0 offen offset:256
	buffer_load_dwordx4 v[10:13], v18, s[4:7], s0 offen
	buffer_load_dwordx4 v[14:17], v18, s[4:7], s0 offen offset:256
.LBB460_59:
	ds_read_b64 v[20:21], v25 offset:32768
	v_add_u32_e32 v18, 0xb000, v24
	ds_read2_b64 v[32:35], v18 offset1:16
	ds_read_b64 v[40:41], v26 offset:32768
	ds_read_b64 v[26:27], v27 offset:32768
	;; [unrolled: 1-line block ×3, first 2 shown]
	v_and_b32_e32 v18, 6, v0
	v_xor_b32_e32 v23, v23, v18
	v_lshlrev_b32_e32 v23, 2, v23
	v_and_b32_e32 v0, 1, v0
	v_xor_b32_e32 v28, 0x440, v23
	v_cmp_eq_u32_e32 vcc, 0, v0
	s_waitcnt lgkmcnt(3)
	v_mfma_f32_16x16x16_bf16 a[0:3], v[20:21], v[32:33], a[0:3]
	s_mov_b32 s0, 0x1000504
	v_cndmask_b32_e32 v0, v28, v23, vcc
	v_lshl_or_b32 v0, v18, 10, v0
	v_mfma_f32_16x16x16_bf16 a[4:7], v[20:21], v[34:35], a[4:7]
	ds_read2st64_b64 v[32:35], v24 offset0:90 offset1:92
	ds_read2st64_b64 v[36:39], v29 offset0:90 offset1:92
	ds_read_b64 v[20:21], v24 offset:48128
	ds_read_b64 v[24:25], v29 offset:48128
	s_waitcnt vmcnt(0)
	v_perm_b32 v18, v2, v6, s0
	s_waitcnt lgkmcnt(3)
	v_mfma_f32_16x16x16_bf16 a[0:3], v[40:41], v[32:33], a[0:3]
	s_mov_b32 s1, 0x3020706
	v_perm_b32 v2, v2, v6, s1
	v_perm_b32 v6, v10, v14, s1
	s_waitcnt lgkmcnt(2)
	v_mfma_f32_16x16x16_bf16 a[4:7], v[40:41], v[36:37], a[4:7]
	v_mfma_f32_16x16x16_bf16 a[0:3], v[26:27], v[34:35], a[0:3]
	;; [unrolled: 1-line block ×3, first 2 shown]
	s_waitcnt lgkmcnt(1)
	v_mfma_f32_16x16x16_bf16 a[4:7], v[42:43], v[20:21], a[0:3]
	v_perm_b32 v20, v10, v14, s0
	ds_write2st64_b32 v0, v18, v20 offset0:32 offset1:64
	v_xor_b32_e32 v18, 8, v0
	v_add_u32_e32 v10, 0x80, v18
	ds_write2st64_b32 v10, v2, v6 offset0:32 offset1:64
	v_xor_b32_e32 v2, 16, v0
	v_perm_b32 v6, v3, v7, s0
	v_perm_b32 v10, v11, v15, s0
	ds_write2st64_b32 v2, v6, v10 offset0:33 offset1:65
	v_xor_b32_e32 v2, 24, v0
	v_perm_b32 v3, v3, v7, s1
	v_perm_b32 v6, v11, v15, s1
	v_add_u32_e32 v2, 0x80, v2
	ds_write2st64_b32 v2, v3, v6 offset0:33 offset1:65
	v_xor_b32_e32 v2, 32, v0
	v_perm_b32 v3, v4, v8, s0
	v_perm_b32 v6, v12, v16, s0
	ds_write2st64_b32 v2, v3, v6 offset0:34 offset1:66
	v_xor_b32_e32 v2, 40, v0
	s_waitcnt lgkmcnt(5)
	v_mfma_f32_16x16x16_bf16 a[0:3], v[42:43], v[24:25], a[8:11]
	v_perm_b32 v3, v4, v8, s1
	v_perm_b32 v4, v12, v16, s1
	v_add_u32_e32 v2, 0x80, v2
	ds_write2st64_b32 v2, v3, v4 offset0:34 offset1:66
	v_xor_b32_e32 v2, 48, v0
	v_perm_b32 v3, v5, v9, s0
	v_perm_b32 v4, v13, v17, s0
	ds_write2st64_b32 v2, v3, v4 offset0:35 offset1:67
	v_xor_b32_e32 v0, 56, v0
	v_perm_b32 v3, v13, v17, s1
	v_and_or_b32 v17, v30, 12, v1
	v_perm_b32 v2, v5, v9, s1
	v_add_u32_e32 v0, 0x80, v0
	v_cmp_gt_i32_e32 vcc, s27, v17
	v_mov_b32_e32 v14, 0
	v_mov_b32_e32 v16, 0
	ds_write2st64_b32 v0, v2, v3 offset0:35 offset1:67
	s_and_saveexec_b64 s[0:1], vcc
	s_cbranch_execz .LBB460_61
; %bb.60:
	v_add_u32_e32 v0, s26, v17
	v_ashrrev_i32_e32 v1, 31, v0
	v_mul_lo_u32 v2, v1, s28
	v_mul_lo_u32 v3, v0, s29
	v_mad_u64_u32 v[0:1], s[2:3], v0, s28, 0
	v_add3_u32 v1, v1, v3, v2
	v_lshl_add_u64 v[0:1], v[0:1], 2, s[10:11]
	global_load_dword v0, v[0:1], off
	s_waitcnt vmcnt(0)
	v_sub_f32_e32 v0, s12, v0
	v_mul_f32_e32 v0, 0x3fb8aa3b, v0
	v_exp_f32_e32 v16, v0
.LBB460_61:
	s_or_b64 exec, exec, s[0:1]
	v_or_b32_e32 v8, 1, v17
	v_cmp_gt_i32_e64 s[0:1], s27, v8
	s_and_saveexec_b64 s[2:3], s[0:1]
	s_cbranch_execz .LBB460_63
; %bb.62:
	v_add_u32_e32 v0, s26, v8
	v_ashrrev_i32_e32 v1, 31, v0
	v_mul_lo_u32 v2, v1, s28
	v_mul_lo_u32 v3, v0, s29
	v_mad_u64_u32 v[0:1], s[4:5], v0, s28, 0
	v_add3_u32 v1, v1, v3, v2
	v_lshl_add_u64 v[0:1], v[0:1], 2, s[10:11]
	global_load_dword v0, v[0:1], off
	s_waitcnt vmcnt(0)
	v_sub_f32_e32 v0, s12, v0
	v_mul_f32_e32 v0, 0x3fb8aa3b, v0
	v_exp_f32_e32 v14, v0
.LBB460_63:
	s_or_b64 exec, exec, s[2:3]
	v_or_b32_e32 v10, 2, v17
	v_cmp_gt_i32_e64 s[2:3], s27, v10
	v_mov_b32_e32 v15, 0
	v_mov_b32_e32 v18, 0
	s_and_saveexec_b64 s[4:5], s[2:3]
	s_cbranch_execz .LBB460_65
; %bb.64:
	v_add_u32_e32 v0, s26, v10
	v_ashrrev_i32_e32 v1, 31, v0
	v_mul_lo_u32 v2, v1, s28
	v_mul_lo_u32 v3, v0, s29
	v_mad_u64_u32 v[0:1], s[6:7], v0, s28, 0
	v_add3_u32 v1, v1, v3, v2
	v_lshl_add_u64 v[0:1], v[0:1], 2, s[10:11]
	global_load_dword v0, v[0:1], off
	s_waitcnt vmcnt(0)
	v_sub_f32_e32 v0, s12, v0
	v_mul_f32_e32 v0, 0x3fb8aa3b, v0
	v_exp_f32_e32 v18, v0
.LBB460_65:
	s_or_b64 exec, exec, s[4:5]
	v_or_b32_e32 v12, 3, v17
	v_cmp_gt_i32_e64 s[4:5], s27, v12
	s_and_saveexec_b64 s[6:7], s[4:5]
	s_cbranch_execz .LBB460_67
; %bb.66:
	v_add_u32_e32 v0, s26, v12
	v_ashrrev_i32_e32 v1, 31, v0
	v_mul_lo_u32 v2, v1, s28
	v_mul_lo_u32 v3, v0, s29
	v_mad_u64_u32 v[0:1], s[14:15], v0, s28, 0
	v_add3_u32 v1, v1, v3, v2
	v_lshl_add_u64 v[0:1], v[0:1], 2, s[10:11]
	global_load_dword v0, v[0:1], off
	s_waitcnt vmcnt(0)
	v_sub_f32_e32 v0, s12, v0
	v_mul_f32_e32 v0, 0x3fb8aa3b, v0
	v_exp_f32_e32 v15, v0
.LBB460_67:
	s_or_b64 exec, exec, s[6:7]
	s_add_u32 s6, s8, s20
	v_accvgpr_read_b32 v0, a4
	s_addc_u32 s7, s9, s21
	v_ashrrev_i32_e32 v63, 31, v62
	v_accvgpr_read_b32 v1, a5
	v_accvgpr_read_b32 v2, a6
	;; [unrolled: 1-line block ×3, first 2 shown]
	v_lshl_add_u64 v[4:5], v[62:63], 1, s[6:7]
	v_mov_b32_e32 v9, 0
	v_lshlrev_b32_e32 v6, 8, v17
	v_mov_b32_e32 v7, 0
	s_and_saveexec_b64 s[6:7], vcc
	s_cbranch_execz .LBB460_69
; %bb.68:
	v_mov_b32_e32 v7, 0
	v_lshl_add_u64 v[20:21], v[4:5], 0, v[6:7]
	global_load_ushort v7, v[20:21], off
	s_waitcnt vmcnt(0)
	v_lshlrev_b32_e32 v7, 16, v7
	v_sub_f32_e32 v0, v7, v0
	v_mul_f32_e32 v0, v16, v0
	v_lshrrev_b32_e32 v7, 16, v0
.LBB460_69:
	s_or_b64 exec, exec, s[6:7]
	v_lshlrev_b32_e32 v8, 8, v8
	s_and_saveexec_b64 s[6:7], s[0:1]
	s_cbranch_execz .LBB460_71
; %bb.70:
	v_mov_b32_e32 v9, 0
	v_lshl_add_u64 v[20:21], v[4:5], 0, v[8:9]
	global_load_ushort v0, v[20:21], off
	s_waitcnt vmcnt(0)
	v_lshlrev_b32_e32 v0, 16, v0
	v_sub_f32_e32 v0, v0, v1
	v_mul_f32_e32 v0, v14, v0
	v_lshrrev_b32_e32 v9, 16, v0
.LBB460_71:
	s_or_b64 exec, exec, s[6:7]
	v_mov_b32_e32 v13, 0
	v_lshlrev_b32_e32 v10, 8, v10
	v_mov_b32_e32 v11, 0
	s_and_saveexec_b64 s[6:7], s[2:3]
	s_cbranch_execz .LBB460_73
; %bb.72:
	v_mov_b32_e32 v11, 0
	v_lshl_add_u64 v[0:1], v[4:5], 0, v[10:11]
	global_load_ushort v0, v[0:1], off
	s_waitcnt vmcnt(0)
	v_lshlrev_b32_e32 v0, 16, v0
	v_sub_f32_e32 v0, v0, v2
	v_mul_f32_e32 v0, v18, v0
	v_lshrrev_b32_e32 v11, 16, v0
.LBB460_73:
	s_or_b64 exec, exec, s[6:7]
	v_lshlrev_b32_e32 v12, 8, v12
	s_and_saveexec_b64 s[6:7], s[4:5]
	s_cbranch_execz .LBB460_75
; %bb.74:
	v_mov_b32_e32 v13, 0
	v_lshl_add_u64 v[0:1], v[4:5], 0, v[12:13]
	global_load_ushort v0, v[0:1], off
	s_waitcnt vmcnt(0)
	v_lshlrev_b32_e32 v0, 16, v0
	v_sub_f32_e32 v0, v0, v3
	v_mul_f32_e32 v0, v15, v0
	v_lshrrev_b32_e32 v13, 16, v0
.LBB460_75:
	s_or_b64 exec, exec, s[6:7]
	v_lshlrev_b32_e32 v17, 5, v17
	s_mov_b32 s6, 0x5040100
	v_perm_b32 v20, v9, v7, s6
	v_or_b32_e32 v7, v17, v22
	v_accvgpr_read_b32 v0, a0
	v_perm_b32 v21, v13, v11, s6
	v_lshlrev_b32_e32 v7, 1, v7
	v_accvgpr_read_b32 v1, a1
	v_accvgpr_read_b32 v2, a2
	;; [unrolled: 1-line block ×3, first 2 shown]
	ds_write_b64 v7, v[20:21] offset:45056
	v_mov_b32_e32 v9, 0
	v_mov_b32_e32 v7, 0
	s_and_saveexec_b64 s[6:7], vcc
	s_cbranch_execz .LBB460_77
; %bb.76:
	v_mov_b32_e32 v7, 0
	v_lshl_add_u64 v[6:7], v[4:5], 0, v[6:7]
	global_load_ushort v6, v[6:7], off offset:32
	s_waitcnt vmcnt(0)
	v_lshlrev_b32_e32 v6, 16, v6
	v_sub_f32_e32 v0, v6, v0
	v_mul_f32_e32 v0, v16, v0
	v_lshrrev_b32_e32 v7, 16, v0
.LBB460_77:
	s_or_b64 exec, exec, s[6:7]
	s_and_saveexec_b64 s[6:7], s[0:1]
	s_cbranch_execz .LBB460_79
; %bb.78:
	v_mov_b32_e32 v9, 0
	v_lshl_add_u64 v[8:9], v[4:5], 0, v[8:9]
	global_load_ushort v0, v[8:9], off offset:32
	s_waitcnt vmcnt(0)
	v_lshlrev_b32_e32 v0, 16, v0
	v_sub_f32_e32 v0, v0, v1
	v_mul_f32_e32 v0, v14, v0
	v_lshrrev_b32_e32 v9, 16, v0
.LBB460_79:
	s_or_b64 exec, exec, s[6:7]
	v_mov_b32_e32 v0, 0
	v_mov_b32_e32 v1, 0
	s_and_saveexec_b64 s[0:1], s[2:3]
	s_cbranch_execz .LBB460_81
; %bb.80:
	v_mov_b32_e32 v11, 0
	v_lshl_add_u64 v[10:11], v[4:5], 0, v[10:11]
	global_load_ushort v1, v[10:11], off offset:32
	s_waitcnt vmcnt(0)
	v_lshlrev_b32_e32 v1, 16, v1
	v_sub_f32_e32 v1, v1, v2
	v_mul_f32_e32 v1, v18, v1
	v_lshrrev_b32_e32 v1, 16, v1
.LBB460_81:
	s_or_b64 exec, exec, s[0:1]
	s_and_saveexec_b64 s[0:1], s[4:5]
	s_cbranch_execz .LBB460_83
; %bb.82:
	v_mov_b32_e32 v13, 0
	v_lshl_add_u64 v[4:5], v[4:5], 0, v[12:13]
	global_load_ushort v0, v[4:5], off offset:32
	s_waitcnt vmcnt(0)
	v_lshlrev_b32_e32 v0, 16, v0
	v_sub_f32_e32 v0, v0, v3
	v_mul_f32_e32 v0, v15, v0
	v_lshrrev_b32_e32 v0, 16, v0
.LBB460_83:
	s_or_b64 exec, exec, s[0:1]
	s_mov_b32 s0, 0x5040100
	v_or_b32_e32 v2, v17, v19
	v_perm_b32 v1, v0, v1, s0
	v_perm_b32 v0, v9, v7, s0
	v_lshlrev_b32_e32 v2, 1, v2
	ds_write_b64 v2, v[0:1] offset:45056
	s_waitcnt lgkmcnt(0)
	s_barrier
.LBB460_84:
	s_endpgm
	.section	.rodata,"a",@progbits
	.p2align	6, 0x0
	.amdhsa_kernel _ZN12_GLOBAL__N_139chunk_gated_delta_rule_fwd_h_hip_kernelILi32ELb1ELb0ELb0ELb0ELb0ELb1ELb1ELb0EEEvPK12hip_bfloat16S3_S3_PKfS5_PKvPS1_S8_PvPKiSB_iiiiilll
		.amdhsa_group_segment_fixed_size 49152
		.amdhsa_private_segment_fixed_size 0
		.amdhsa_kernarg_size 136
		.amdhsa_user_sgpr_count 2
		.amdhsa_user_sgpr_dispatch_ptr 0
		.amdhsa_user_sgpr_queue_ptr 0
		.amdhsa_user_sgpr_kernarg_segment_ptr 1
		.amdhsa_user_sgpr_dispatch_id 0
		.amdhsa_user_sgpr_kernarg_preload_length 0
		.amdhsa_user_sgpr_kernarg_preload_offset 0
		.amdhsa_user_sgpr_private_segment_size 0
		.amdhsa_uses_dynamic_stack 0
		.amdhsa_enable_private_segment 0
		.amdhsa_system_sgpr_workgroup_id_x 1
		.amdhsa_system_sgpr_workgroup_id_y 1
		.amdhsa_system_sgpr_workgroup_id_z 0
		.amdhsa_system_sgpr_workgroup_info 0
		.amdhsa_system_vgpr_workitem_id 0
		.amdhsa_next_free_vgpr 164
		.amdhsa_next_free_sgpr 68
		.amdhsa_accum_offset 140
		.amdhsa_reserve_vcc 1
		.amdhsa_float_round_mode_32 0
		.amdhsa_float_round_mode_16_64 0
		.amdhsa_float_denorm_mode_32 3
		.amdhsa_float_denorm_mode_16_64 3
		.amdhsa_dx10_clamp 1
		.amdhsa_ieee_mode 1
		.amdhsa_fp16_overflow 0
		.amdhsa_tg_split 0
		.amdhsa_exception_fp_ieee_invalid_op 0
		.amdhsa_exception_fp_denorm_src 0
		.amdhsa_exception_fp_ieee_div_zero 0
		.amdhsa_exception_fp_ieee_overflow 0
		.amdhsa_exception_fp_ieee_underflow 0
		.amdhsa_exception_fp_ieee_inexact 0
		.amdhsa_exception_int_div_zero 0
	.end_amdhsa_kernel
	.section	.text._ZN12_GLOBAL__N_139chunk_gated_delta_rule_fwd_h_hip_kernelILi32ELb1ELb0ELb0ELb0ELb0ELb1ELb1ELb0EEEvPK12hip_bfloat16S3_S3_PKfS5_PKvPS1_S8_PvPKiSB_iiiiilll,"axG",@progbits,_ZN12_GLOBAL__N_139chunk_gated_delta_rule_fwd_h_hip_kernelILi32ELb1ELb0ELb0ELb0ELb0ELb1ELb1ELb0EEEvPK12hip_bfloat16S3_S3_PKfS5_PKvPS1_S8_PvPKiSB_iiiiilll,comdat
.Lfunc_end460:
	.size	_ZN12_GLOBAL__N_139chunk_gated_delta_rule_fwd_h_hip_kernelILi32ELb1ELb0ELb0ELb0ELb0ELb1ELb1ELb0EEEvPK12hip_bfloat16S3_S3_PKfS5_PKvPS1_S8_PvPKiSB_iiiiilll, .Lfunc_end460-_ZN12_GLOBAL__N_139chunk_gated_delta_rule_fwd_h_hip_kernelILi32ELb1ELb0ELb0ELb0ELb0ELb1ELb1ELb0EEEvPK12hip_bfloat16S3_S3_PKfS5_PKvPS1_S8_PvPKiSB_iiiiilll
                                        ; -- End function
	.section	.AMDGPU.csdata,"",@progbits
; Kernel info:
; codeLenInByte = 8668
; NumSgprs: 74
; NumVgprs: 140
; NumAgprs: 24
; TotalNumVgprs: 164
; ScratchSize: 0
; MemoryBound: 0
; FloatMode: 240
; IeeeMode: 1
; LDSByteSize: 49152 bytes/workgroup (compile time only)
; SGPRBlocks: 9
; VGPRBlocks: 20
; NumSGPRsForWavesPerEU: 74
; NumVGPRsForWavesPerEU: 164
; AccumOffset: 140
; Occupancy: 1
; WaveLimiterHint : 1
; COMPUTE_PGM_RSRC2:SCRATCH_EN: 0
; COMPUTE_PGM_RSRC2:USER_SGPR: 2
; COMPUTE_PGM_RSRC2:TRAP_HANDLER: 0
; COMPUTE_PGM_RSRC2:TGID_X_EN: 1
; COMPUTE_PGM_RSRC2:TGID_Y_EN: 1
; COMPUTE_PGM_RSRC2:TGID_Z_EN: 0
; COMPUTE_PGM_RSRC2:TIDIG_COMP_CNT: 0
; COMPUTE_PGM_RSRC3_GFX90A:ACCUM_OFFSET: 34
; COMPUTE_PGM_RSRC3_GFX90A:TG_SPLIT: 0
	.section	.text._ZN12_GLOBAL__N_139chunk_gated_delta_rule_fwd_h_hip_kernelILi32ELb0ELb1ELb1ELb0ELb0ELb1ELb1ELb0EEEvPK12hip_bfloat16S3_S3_PKfS5_PKvPS1_S8_PvPKiSB_iiiiilll,"axG",@progbits,_ZN12_GLOBAL__N_139chunk_gated_delta_rule_fwd_h_hip_kernelILi32ELb0ELb1ELb1ELb0ELb0ELb1ELb1ELb0EEEvPK12hip_bfloat16S3_S3_PKfS5_PKvPS1_S8_PvPKiSB_iiiiilll,comdat
	.globl	_ZN12_GLOBAL__N_139chunk_gated_delta_rule_fwd_h_hip_kernelILi32ELb0ELb1ELb1ELb0ELb0ELb1ELb1ELb0EEEvPK12hip_bfloat16S3_S3_PKfS5_PKvPS1_S8_PvPKiSB_iiiiilll ; -- Begin function _ZN12_GLOBAL__N_139chunk_gated_delta_rule_fwd_h_hip_kernelILi32ELb0ELb1ELb1ELb0ELb0ELb1ELb1ELb0EEEvPK12hip_bfloat16S3_S3_PKfS5_PKvPS1_S8_PvPKiSB_iiiiilll
	.p2align	8
	.type	_ZN12_GLOBAL__N_139chunk_gated_delta_rule_fwd_h_hip_kernelILi32ELb0ELb1ELb1ELb0ELb0ELb1ELb1ELb0EEEvPK12hip_bfloat16S3_S3_PKfS5_PKvPS1_S8_PvPKiSB_iiiiilll,@function
_ZN12_GLOBAL__N_139chunk_gated_delta_rule_fwd_h_hip_kernelILi32ELb0ELb1ELb1ELb0ELb0ELb1ELb1ELb0EEEvPK12hip_bfloat16S3_S3_PKfS5_PKvPS1_S8_PvPKiSB_iiiiilll: ; @_ZN12_GLOBAL__N_139chunk_gated_delta_rule_fwd_h_hip_kernelILi32ELb0ELb1ELb1ELb0ELb0ELb1ELb1ELb0EEEvPK12hip_bfloat16S3_S3_PKfS5_PKvPS1_S8_PvPKiSB_iiiiilll
; %bb.0:
	s_load_dwordx4 s[12:15], s[0:1], 0x5c
	s_load_dwordx2 s[34:35], s[0:1], 0x40
	s_abs_i32 s22, s3
	s_ashr_i32 s21, s3, 31
	s_load_dwordx8 s[4:11], s[0:1], 0x0
	s_load_dwordx2 s[36:37], s[0:1], 0x20
	s_load_dwordx4 s[16:19], s[0:1], 0x30
	s_waitcnt lgkmcnt(0)
	s_abs_i32 s20, s13
	v_cvt_f32_u32_e32 v1, s20
	s_sub_i32 s24, 0, s20
	s_ashr_i32 s23, s13, 31
	s_xor_b32 s21, s21, s23
	v_rcp_iflag_f32_e32 v1, v1
	v_lshrrev_b32_e32 v53, 6, v0
	v_bfe_u32 v64, v0, 4, 2
	v_lshlrev_b32_e32 v62, 4, v53
	v_mul_f32_e32 v1, 0x4f7ffffe, v1
	v_cvt_u32_f32_e32 v1, v1
	v_lshlrev_b32_e32 v18, 2, v64
	v_and_b32_e32 v63, 63, v0
	v_mov_b32_e32 v17, 0
	v_readfirstlane_b32 s25, v1
	s_mul_i32 s24, s24, s25
	s_mul_hi_u32 s24, s25, s24
	s_add_i32 s25, s25, s24
	s_mul_hi_u32 s24, s22, s25
	s_mul_i32 s25, s24, s20
	s_sub_i32 s22, s22, s25
	s_add_i32 s25, s24, 1
	s_sub_i32 s26, s22, s20
	s_cmp_ge_u32 s22, s20
	s_cselect_b32 s24, s25, s24
	s_cselect_b32 s22, s26, s22
	s_add_i32 s25, s24, 1
	s_cmp_ge_u32 s22, s20
	s_cselect_b32 s22, s25, s24
	s_xor_b32 s22, s22, s21
	s_sub_i32 s52, s22, s21
	s_abs_i32 s21, s14
	v_cvt_f32_u32_e32 v1, s21
	s_ashr_i32 s51, s12, 31
	s_lshr_b32 s22, s51, 26
	s_add_i32 s22, s12, s22
	v_rcp_iflag_f32_e32 v1, v1
	s_ashr_i32 s54, s14, 31
	s_ashr_i32 s53, s22, 6
	s_xor_b32 s22, s23, s54
	v_mul_f32_e32 v1, 0x4f7ffffe, v1
	v_cvt_u32_f32_e32 v1, v1
	s_sub_i32 s23, 0, s21
	s_mul_i32 s50, s52, s13
	s_sub_i32 s33, s3, s50
	v_readfirstlane_b32 s24, v1
	s_mul_i32 s23, s23, s24
	s_mul_hi_u32 s23, s24, s23
	s_add_i32 s24, s24, s23
	s_mul_hi_u32 s23, s20, s24
	s_mul_i32 s24, s23, s21
	s_sub_i32 s20, s20, s24
	s_add_i32 s3, s12, 63
	s_add_i32 s24, s23, 1
	s_sub_i32 s25, s20, s21
	s_cmp_ge_u32 s20, s21
	s_cselect_b32 s23, s24, s23
	s_cselect_b32 s20, s25, s20
	s_add_i32 s24, s23, 1
	s_cmp_ge_u32 s20, s21
	s_cselect_b32 s20, s24, s23
	s_xor_b32 s20, s20, s22
	s_sub_i32 s24, s20, s22
	s_abs_i32 s25, s24
	v_cvt_f32_u32_e32 v1, s25
	s_load_dwordx2 s[38:39], s[0:1], 0x80
	s_load_dwordx4 s[20:23], s[0:1], 0x70
	s_xor_b32 s0, s33, s24
	s_sub_i32 s24, 0, s25
	v_rcp_iflag_f32_e32 v1, v1
	s_abs_i32 s1, s33
	s_ashr_i32 s0, s0, 31
	s_mul_i32 s48, s52, s12
	v_mul_f32_e32 v1, 0x4f7ffffe, v1
	v_cvt_u32_f32_e32 v1, v1
	v_and_b32_e32 v65, 15, v0
	s_mul_hi_i32 s56, s52, s13
	v_lshrrev_b32_e32 v67, 3, v63
	v_readfirstlane_b32 s26, v1
	s_mul_i32 s24, s24, s26
	s_mul_hi_u32 s24, s26, s24
	s_add_i32 s26, s26, s24
	s_mul_hi_u32 s24, s1, s26
	s_mul_i32 s26, s24, s25
	s_sub_i32 s1, s1, s26
	s_add_i32 s26, s24, 1
	s_sub_i32 s27, s1, s25
	s_cmp_ge_u32 s1, s25
	s_cselect_b32 s24, s26, s24
	s_cselect_b32 s1, s27, s1
	s_add_i32 s26, s24, 1
	s_cmp_ge_u32 s1, s25
	s_cselect_b32 s1, s26, s24
	s_xor_b32 s1, s1, s0
	s_sub_i32 s57, s1, s0
	s_ashr_i32 s0, s3, 31
	s_lshr_b32 s0, s0, 26
	s_add_i32 s3, s3, s0
	v_or_b32_e32 v1, v18, v62
	s_ashr_i32 s0, s3, 6
	s_lshl_b32 s2, s2, 5
	s_mul_i32 s55, s52, s0
	v_or_b32_e32 v68, 64, v1
	s_cmp_lt_i32 s12, 64
	v_lshlrev_b32_e32 v66, 3, v0
	s_waitcnt lgkmcnt(0)
	s_mul_i32 s21, s52, s21
	s_mul_hi_u32 s49, s52, s20
	s_mul_i32 s40, s52, s20
	v_mov_b32_e32 v16, v17
	v_mov_b32_e32 v15, v17
	;; [unrolled: 1-line block ×15, first 2 shown]
	s_cbranch_scc1 .LBB461_19
; %bb.1:
	s_ashr_i32 s3, s52, 31
	s_ashr_i32 s59, s33, 31
	s_add_u32 s0, s50, s33
	s_addc_u32 s1, s56, s59
	s_mul_i32 s1, s12, s1
	s_mul_hi_u32 s24, s12, s0
	s_add_i32 s43, s24, s1
	s_mul_i32 s42, s12, s0
	s_lshl_b64 s[0:1], s[42:43], 8
	v_and_b32_e32 v70, 56, v66
	s_add_u32 s24, s6, s0
	v_lshl_or_b32 v69, v53, 3, v67
	v_lshlrev_b32_e32 v2, 1, v70
	s_addc_u32 s0, s7, s1
	v_lshl_or_b32 v71, v69, 8, v2
	s_and_b32 s25, s0, 0xffff
	s_mov_b32 s27, 0x20000
	s_movk_i32 s26, 0x4000
	s_movk_i32 s0, 0x80
	v_or_b32_e32 v72, 0x2000, v71
	buffer_load_dwordx4 v[4:7], v71, s[24:27], 0 offen
	buffer_load_dwordx4 v[8:11], v71, s[24:27], s0 offen
	;; [unrolled: 1-line block ×4, first 2 shown]
	v_lshlrev_b32_e32 v3, 3, v69
	v_and_or_b32 v17, v0, 7, v3
	v_and_b32_e32 v3, 0x78, v3
	v_lshlrev_b32_e32 v17, 4, v17
	v_xor_b32_e32 v73, v17, v3
	v_mul_lo_u32 v16, v69, s15
	v_or_b32_e32 v74, 0x1000, v73
	v_xor_b32_e32 v3, 8, v73
	s_cmpk_eq_i32 s15, 0x80
	s_mov_b32 s58, s14
	v_xor_b32_e32 v17, 8, v74
	s_cselect_b64 s[0:1], -1, 0
	s_cmpk_lg_i32 s15, 0x80
	s_waitcnt vmcnt(3)
	ds_write_b64 v73, v[4:5] offset:24576
	ds_write_b64 v3, v[6:7] offset:24576
	s_waitcnt vmcnt(2)
	ds_write_b64 v73, v[8:9] offset:32768
	ds_write_b64 v3, v[10:11] offset:32768
	s_waitcnt vmcnt(1)
	ds_write_b64 v73, v[12:13] offset:28672
	ds_write_b64 v17, v[14:15] offset:24576
	s_waitcnt vmcnt(0)
	ds_write_b64 v73, v[20:21] offset:36864
	ds_write_b64 v17, v[22:23] offset:32768
	v_lshl_add_u32 v3, v16, 1, v70
	s_cbranch_scc0 .LBB461_3
; %bb.2:
	v_lshlrev_b32_e32 v5, 1, v3
	v_add_lshl_u32 v4, v3, s15, 1
	s_lshl_b32 s26, s15, 7
	v_lshl_or_b32 v2, v69, 9, v2
	s_cbranch_execz .LBB461_4
	s_branch .LBB461_5
.LBB461_3:
                                        ; implicit-def: $vgpr4
                                        ; implicit-def: $vgpr5
                                        ; implicit-def: $sgpr26
	v_lshl_or_b32 v2, v69, 9, v2
.LBB461_4:
	v_or_b32_e32 v4, 0x100, v2
	s_movk_i32 s26, 0x4000
	v_mov_b32_e32 v5, v2
.LBB461_5:
	s_mul_hi_u32 s24, s14, s12
	s_mul_i32 s25, s54, s12
	s_add_i32 s24, s24, s25
	s_mul_i32 s25, s14, s12
	s_mul_i32 s27, s25, s3
	s_mul_hi_u32 s28, s25, s52
	s_add_i32 s27, s28, s27
	s_mul_i32 s24, s24, s52
	s_add_i32 s27, s27, s24
	s_mul_i32 s25, s25, s52
	s_ashr_i32 s60, s57, 31
	s_add_u32 s24, s25, s57
	s_addc_u32 s25, s27, s60
	s_lshl_b64 s[24:25], s[24:25], 8
	s_add_u32 s24, s4, s24
	s_addc_u32 s25, s5, s25
	s_and_b32 s25, s25, 0xffff
	s_mov_b32 s27, 0x20000
	s_movk_i32 s61, 0x80
	buffer_load_dwordx4 v[6:9], v5, s[24:27], 0 offen
	buffer_load_dwordx4 v[10:13], v5, s[24:27], s61 offen
	;; [unrolled: 1-line block ×4, first 2 shown]
	v_and_b32_e32 v4, 6, v0
	s_mul_i32 s24, s3, s12
	s_mul_hi_u32 s25, s52, s12
	v_lshlrev_b32_e32 v24, 6, v1
	v_or_b32_e32 v26, 16, v65
	v_xor_b32_e32 v27, v69, v4
	v_and_b32_e32 v5, 1, v0
	v_lshl_or_b32 v30, v65, 3, v24
	v_lshl_or_b32 v24, v26, 3, v24
	v_lshlrev_b32_e32 v27, 2, v27
	s_add_i32 s65, s25, s24
	s_add_i32 s24, s49, s21
	s_mul_i32 s3, s3, s20
	v_lshlrev_b32_e32 v19, 2, v65
	v_or_b32_e32 v77, 0xa000, v24
	v_or_b32_e32 v78, 0xb000, v24
	v_xor_b32_e32 v24, 0x440, v27
	v_cmp_eq_u32_e32 vcc, 0, v5
	s_add_i32 s41, s24, s3
	s_mul_i32 s3, s33, s23
	s_mul_hi_u32 s24, s33, s22
	v_xor_b32_e32 v28, v1, v19
	v_xor_b32_e32 v29, v68, v19
	v_cndmask_b32_e32 v5, v24, v27, vcc
	s_add_i32 s3, s24, s3
	s_mul_i32 s24, s59, s22
	s_mov_b32 s63, 0x1000504
	v_lshlrev_b32_e32 v25, 8, v65
	v_lshlrev_b32_e32 v28, 1, v28
	;; [unrolled: 1-line block ×3, first 2 shown]
	v_lshl_or_b32 v4, v4, 10, v5
	s_add_i32 s25, s3, s24
	s_lshl_b64 s[28:29], s[40:41], 2
	s_mov_b32 s64, 0x3020706
	v_or_b32_e32 v75, 0xa000, v30
	v_or_b32_e32 v76, 0xb000, v30
	v_or_b32_e32 v79, v25, v28
	v_or_b32_e32 v80, v25, v29
	v_xor_b32_e32 v5, 8, v4
	v_xor_b32_e32 v25, 24, v4
	;; [unrolled: 1-line block ×4, first 2 shown]
	s_mul_i32 s24, s33, s22
	s_add_u32 s3, s10, s28
	v_xor_b32_e32 v24, 16, v4
	v_xor_b32_e32 v27, 32, v4
	;; [unrolled: 1-line block ×3, first 2 shown]
	v_add_u32_e32 v5, 0x80, v5
	v_add_u32_e32 v25, 0x80, v25
	;; [unrolled: 1-line block ×4, first 2 shown]
	s_addc_u32 s26, s11, s29
	s_lshl_b64 s[24:25], s[24:25], 2
	s_add_u32 s44, s3, s24
	s_movk_i32 s3, 0xf8
	s_addc_u32 s45, s26, s25
	s_lshl_b32 s30, s15, 7
	s_movk_i32 s28, 0x100
	v_mov_b32_e32 v55, 0
	v_lshlrev_b32_e32 v54, 4, v65
	v_cmp_gt_u32_e32 vcc, s28, v0
	v_lshlrev_b32_e32 v26, 8, v26
	v_or_b32_e32 v81, v26, v28
	v_or_b32_e32 v82, v26, v29
	s_mov_b32 s62, 0
	s_movk_i32 s41, 0x1000
	s_movk_i32 s26, 0x4000
	v_add_u32_e32 v96, v62, v18
	s_mov_b32 s66, 0x7060302
	v_mov_b32_e32 v107, 0x3fb8aa3b
	s_mov_b32 s68, 0
	v_mov_b32_e32 v108, v55
	v_mov_b32_e32 v109, v55
	;; [unrolled: 1-line block ×7, first 2 shown]
	s_waitcnt vmcnt(1)
	v_perm_b32 v33, v6, v14, s63
	s_waitcnt vmcnt(0)
	v_perm_b32 v34, v10, v20, s63
	v_perm_b32 v6, v6, v14, s64
	;; [unrolled: 1-line block ×15, first 2 shown]
	ds_write2st64_b32 v4, v33, v34 offset0:32 offset1:64
	ds_write2st64_b32 v5, v6, v10 offset0:32 offset1:64
	;; [unrolled: 1-line block ×8, first 2 shown]
	v_or_b32_e32 v4, v62, v65
	v_lshlrev_b32_e32 v4, 3, v4
	v_lshrrev_b32_e32 v6, 5, v63
	v_and_or_b32 v6, v4, s3, v6
	v_lshlrev_b32_e32 v6, 4, v6
	v_lshrrev_b32_e32 v5, 2, v63
	v_lshlrev_b32_e32 v11, 11, v53
	v_and_b32_e32 v4, 0x78, v4
	v_or_b32_e32 v10, 32, v6
	v_and_b32_e32 v7, 12, v5
	v_and_b32_e32 v5, 0x1000, v11
	v_xor_b32_e32 v8, v6, v4
	v_lshrrev_b32_e32 v9, 1, v63
	v_xor_b32_e32 v10, v10, v4
	v_or_b32_e32 v8, v8, v5
	v_and_b32_e32 v9, 8, v9
	v_lshlrev_b32_e32 v12, 7, v64
	v_or_b32_e32 v10, v10, v5
	v_xor_b32_e32 v83, v8, v9
	v_or_b32_e32 v8, v12, v19
	v_xor_b32_e32 v85, v10, v9
	v_or_b32_e32 v10, 64, v6
	v_or_b32_e32 v6, 0x60, v6
	s_ashr_i32 s3, s2, 31
	v_lshlrev_b32_e32 v8, 1, v8
	v_xor_b32_e32 v10, v10, v4
	v_xor_b32_e32 v4, v6, v4
	s_lshl_b64 s[24:25], s[2:3], 8
	v_or_b32_e32 v84, 0xa000, v8
	v_or_b32_e32 v86, 0xa080, v8
	;; [unrolled: 1-line block ×6, first 2 shown]
	s_add_u32 s24, s16, s24
	v_lshlrev_b32_e32 v8, 1, v65
	v_lshlrev_b32_e32 v19, 2, v0
	v_lshrrev_b32_e32 v22, 1, v0
	v_xor_b32_e32 v87, v10, v9
	v_xor_b32_e32 v88, v4, v9
	v_lshrrev_b32_e32 v10, 4, v0
	s_addc_u32 s25, s17, s25
	v_or_b32_e32 v9, 1, v8
	v_mov_b32_e32 v20, 0x4000
	v_mov_b32_e32 v21, 0x2000
	v_and_b32_e32 v22, 24, v22
	v_and_or_b32 v12, v19, 60, v12
	v_mov_b32_e32 v19, 0xb000
	v_xor_b32_e32 v15, v10, v8
	v_xor_b32_e32 v16, v9, v10
	v_lshl_add_u64 v[8:9], s[24:25], 0, v[54:55]
	v_lshlrev_b32_e32 v54, 8, v10
	v_cndmask_b32_e32 v20, v20, v21, vcc
	v_lshlrev_b32_e32 v21, 3, v53
	v_lshl_or_b32 v93, v12, 1, v19
	v_or_b32_e32 v12, 32, v22
	v_lshl_or_b32 v91, v15, 3, v54
	v_and_b32_e32 v15, 8, v0
	v_xor_b32_e32 v12, v21, v12
	v_cmp_eq_u32_e32 vcc, 0, v15
	v_or_b32_e32 v19, 0x440, v12
	v_and_b32_e32 v10, 7, v0
	v_cndmask_b32_e32 v12, v19, v12, vcc
	v_lshl_or_b32 v92, v16, 3, v54
	v_lshlrev_b32_e32 v16, 3, v10
	v_or_b32_e32 v12, v12, v11
	v_xor_b32_e32 v19, v12, v16
	v_or_b32_e32 v12, 64, v22
	v_xor_b32_e32 v12, v21, v12
	v_xor_b32_e32 v25, 0x440, v12
	v_cndmask_b32_e32 v12, v25, v12, vcc
	v_or_b32_e32 v12, v12, v11
	v_xor_b32_e32 v25, v12, v16
	v_or_b32_e32 v12, 0x60, v22
	v_xor_b32_e32 v23, v21, v22
	v_xor_b32_e32 v12, v21, v12
	v_or_b32_e32 v24, 0x440, v23
	v_xor_b32_e32 v21, 0x440, v12
	v_cndmask_b32_e32 v15, v24, v23, vcc
	v_cndmask_b32_e32 v12, v21, v12, vcc
	v_or_b32_e32 v4, s2, v65
	v_or_b32_e32 v15, v15, v11
	;; [unrolled: 1-line block ×3, first 2 shown]
	v_ashrrev_i32_e32 v5, 31, v4
	v_lshlrev_b32_e32 v13, 1, v3
	v_add_lshl_u32 v3, v3, s15, 1
	v_or_b32_e32 v14, 0x100, v2
	v_xor_b32_e32 v15, v15, v16
	v_xor_b32_e32 v11, v11, v16
	v_lshlrev_b32_e32 v6, 7, v1
	v_lshlrev_b32_e32 v17, 7, v10
	v_or_b32_e32 v10, v7, v62
	v_add_u32_e32 v23, v20, v15
	v_add_u32_e32 v24, v20, v19
	v_add_u32_e32 v26, v20, v25
	v_add_u32_e32 v16, v20, v11
	v_or3_b32 v12, v62, v7, 64
	v_add_u32_e32 v7, 0x4000, v15
	v_add_u32_e32 v15, 0x4000, v19
	;; [unrolled: 1-line block ×4, first 2 shown]
	v_cndmask_b32_e64 v94, v13, v2, s[0:1]
	v_cndmask_b32_e64 v95, v3, v14, s[0:1]
	v_lshlrev_b64 v[2:3], 1, v[4:5]
	v_lshl_add_u64 v[56:57], s[8:9], 0, v[2:3]
	v_lshl_add_u64 v[58:59], s[18:19], 0, v[2:3]
	;; [unrolled: 1-line block ×3, first 2 shown]
	s_add_i32 s3, s48, 63
	v_lshlrev_b32_e32 v54, 1, v6
	v_lshlrev_b32_e32 v97, 2, v10
	v_add_u32_e32 v98, v23, v17
	v_add_u32_e32 v99, v24, v17
	v_add_u32_e32 v100, v26, v17
	v_add_u32_e32 v101, v16, v17
	v_lshlrev_b32_e32 v102, 2, v12
	v_add_u32_e32 v103, v7, v17
	v_add_u32_e32 v104, v15, v17
	;; [unrolled: 1-line block ×4, first 2 shown]
	v_mov_b32_e32 v2, v55
	v_mov_b32_e32 v3, v55
	v_mov_b32_e32 v4, v55
	v_mov_b32_e32 v5, v55
	v_mov_b32_e32 v6, v55
	v_mov_b32_e32 v7, v55
	v_mov_b32_e32 v8, v55
	v_mov_b32_e32 v9, v55
	v_mov_b32_e32 v114, v55
	s_waitcnt lgkmcnt(0)
	s_barrier
.LBB461_6:                              ; =>This Inner Loop Header: Depth=1
	s_add_i32 s67, s68, 1
	s_cmp_lt_i32 s67, s53
	s_mov_b64 s[28:29], 0
	s_cselect_b64 s[46:47], -1, 0
	s_cmp_ge_i32 s67, s53
	s_mov_b64 s[24:25], 0
	s_cbranch_scc1 .LBB461_8
; %bb.7:                                ;   in Loop: Header=BB461_6 Depth=1
	s_add_i32 s0, s62, 64
	s_add_u32 s0, s42, s0
	s_addc_u32 s1, s43, 0
	s_lshl_b64 s[0:1], s[0:1], 8
	s_add_u32 s24, s6, s0
	s_addc_u32 s25, s7, s1
.LBB461_8:                              ;   in Loop: Header=BB461_6 Depth=1
	v_cndmask_b32_e64 v10, 0, 1, s[46:47]
	v_cmp_ne_u32_e64 s[0:1], 1, v10
	s_andn2_b64 vcc, exec, s[46:47]
	s_cbranch_vccnz .LBB461_10
; %bb.9:                                ;   in Loop: Header=BB461_6 Depth=1
	s_add_i32 s28, s62, 64
	s_add_u32 s28, s48, s28
	s_addc_u32 s29, s65, 0
	s_mul_i32 s31, s28, s54
	s_mul_hi_u32 s46, s28, s58
	s_add_i32 s31, s46, s31
	s_mul_i32 s29, s29, s58
	s_add_i32 s31, s31, s29
	s_mul_i32 s28, s28, s58
	s_add_u32 s28, s28, s57
	s_addc_u32 s29, s31, s60
	s_lshl_b64 s[28:29], s[28:29], 8
	s_add_u32 s28, s4, s28
	s_addc_u32 s29, s5, s29
.LBB461_10:                             ;   in Loop: Header=BB461_6 Depth=1
	v_perm_b32 v11, v5, v4, s66
	v_perm_b32 v10, v3, v2, s66
	;; [unrolled: 1-line block ×4, first 2 shown]
	ds_write_b64 v75, v[10:11]
	ds_write_b64 v76, v[12:13]
	;; [unrolled: 1-line block ×4, first 2 shown]
	v_perm_b32 v11, v115, v110, s66
	v_perm_b32 v10, v109, v108, s66
	;; [unrolled: 1-line block ×4, first 2 shown]
	ds_write_b64 v77, v[10:11]
	ds_write_b64 v78, v[12:13]
	;; [unrolled: 1-line block ×4, first 2 shown]
	s_waitcnt lgkmcnt(0)
	s_barrier
	ds_read_b64 v[14:15], v83 offset:24576
	ds_read2_b64 v[10:13], v84 offset1:16
	ds_read_b64 v[18:19], v86 offset:3072
	ds_read_b64 v[20:21], v84 offset:3072
	;; [unrolled: 1-line block ×3, first 2 shown]
	s_waitcnt lgkmcnt(3)
	v_mfma_f32_16x16x16_bf16 a[0:3], v[14:15], v[10:11], 0
	s_add_i32 s31, s62, 63
	s_mul_i32 s46, s31, s39
	s_mul_hi_u32 s47, s31, s38
	v_mfma_f32_16x16x16_bf16 a[4:7], v[14:15], v[12:13], 0
	ds_read2st64_b64 v[10:13], v84 offset0:2 offset1:4
	ds_read2st64_b64 v[14:17], v86 offset0:2 offset1:4
	s_add_i32 s47, s47, s46
	s_waitcnt lgkmcnt(1)
	v_mfma_f32_16x16x16_bf16 a[0:3], v[22:23], v[10:11], a[0:3]
	s_mul_i32 s46, s31, s38
	s_lshl_b64 s[46:47], s[46:47], 2
	s_add_u32 s46, s44, s46
	s_waitcnt lgkmcnt(0)
	v_mfma_f32_16x16x16_bf16 a[4:7], v[22:23], v[14:15], a[4:7]
	ds_read_b64 v[10:11], v87 offset:24576
	ds_read_b64 v[14:15], v88 offset:24576
	s_addc_u32 s47, s45, s47
	s_and_b64 vcc, exec, s[0:1]
	s_waitcnt lgkmcnt(1)
	v_mfma_f32_16x16x16_bf16 a[0:3], v[10:11], v[12:13], a[0:3]
	v_mov_b32_e32 v118, 0
	v_mov_b32_e32 v117, 0
	;; [unrolled: 1-line block ×3, first 2 shown]
	v_mfma_f32_16x16x16_bf16 a[8:11], v[10:11], v[16:17], a[4:7]
	v_mov_b32_e32 v10, 0
	v_mov_b32_e32 v11, 0
	;; [unrolled: 1-line block ×3, first 2 shown]
	s_waitcnt lgkmcnt(0)
	v_mfma_f32_16x16x16_bf16 a[4:7], v[14:15], v[20:21], a[0:3]
	v_mov_b32_e32 v13, 0
	v_mov_b32_e32 v16, 0
	;; [unrolled: 1-line block ×3, first 2 shown]
	v_mfma_f32_16x16x16_bf16 a[0:3], v[14:15], v[18:19], a[8:11]
	v_mov_b32_e32 v14, 0
	v_mov_b32_e32 v15, 0
	;; [unrolled: 1-line block ×10, first 2 shown]
	s_cbranch_vccnz .LBB461_12
; %bb.11:                               ;   in Loop: Header=BB461_6 Depth=1
	s_and_b32 s25, s25, 0xffff
	buffer_load_dwordx4 v[22:25], v71, s[24:27], 0 offen
	buffer_load_dwordx4 v[18:21], v71, s[24:27], s61 offen
	;; [unrolled: 1-line block ×4, first 2 shown]
	v_mov_b32_e32 v117, v73
	v_mov_b32_e32 v116, v74
.LBB461_12:                             ;   in Loop: Header=BB461_6 Depth=1
	ds_read_b64 v[34:35], v83 offset:32768
	ds_read2_b64 v[26:29], v89 offset1:16
	ds_read_b64 v[36:37], v85 offset:32768
	ds_read_b64 v[38:39], v87 offset:32768
	;; [unrolled: 1-line block ×3, first 2 shown]
	v_add_u32_e32 v42, s62, v96
	s_waitcnt lgkmcnt(3)
	v_mfma_f32_16x16x16_bf16 a[4:7], v[34:35], v[26:27], a[4:7]
	v_ashrrev_i32_e32 v26, 31, v42
	ds_read2st64_b64 v[30:33], v89 offset0:2 offset1:4
	v_mfma_f32_16x16x16_bf16 a[0:3], v[34:35], v[28:29], a[0:3]
	v_mul_lo_u32 v28, v26, s38
	v_mul_lo_u32 v29, v42, s39
	v_mad_u64_u32 v[26:27], s[24:25], v42, s38, 0
	v_add3_u32 v27, v27, v29, v28
	v_add_u32_e32 v28, 1, v42
	v_ashrrev_i32_e32 v29, 31, v28
	v_mul_lo_u32 v34, v29, s38
	v_mul_lo_u32 v35, v28, s39
	v_mad_u64_u32 v[28:29], s[24:25], v28, s38, 0
	v_add3_u32 v29, v29, v35, v34
	v_add_u32_e32 v34, 2, v42
	v_ashrrev_i32_e32 v35, 31, v34
	v_mul_lo_u32 v43, v35, s38
	v_mul_lo_u32 v44, v34, s39
	v_mad_u64_u32 v[34:35], s[24:25], v34, s38, 0
	v_add_u32_e32 v42, 3, v42
	v_add3_u32 v35, v35, v44, v43
	v_ashrrev_i32_e32 v43, 31, v42
	v_mul_lo_u32 v44, v43, s38
	v_mul_lo_u32 v45, v42, s39
	v_mad_u64_u32 v[42:43], s[24:25], v42, s38, 0
	s_add_u32 s24, s42, s62
	s_addc_u32 s25, s43, 0
	s_lshl_b64 s[70:71], s[24:25], 8
	v_lshl_add_u64 v[26:27], v[26:27], 2, s[44:45]
	v_lshl_add_u64 v[28:29], v[28:29], 2, s[44:45]
	v_add3_u32 v43, v43, v45, v44
	v_lshl_add_u64 v[44:45], v[56:57], 0, s[70:71]
	v_lshl_add_u64 v[34:35], v[34:35], 2, s[44:45]
	v_lshl_add_u64 v[44:45], v[44:45], 0, v[54:55]
	global_load_dword v46, v[26:27], off
	global_load_ushort v47, v[44:45], off offset:256
	global_load_ushort v48, v[44:45], off
	v_lshl_add_u64 v[26:27], v[42:43], 2, s[44:45]
	global_load_dword v42, v[28:29], off
	global_load_dword v43, v[34:35], off
	;; [unrolled: 1-line block ×3, first 2 shown]
	ds_read2st64_b64 v[26:29], v90 offset0:2 offset1:4
	global_load_ushort v50, v[44:45], off offset:768
	global_load_ushort v51, v[44:45], off offset:512
	;; [unrolled: 1-line block ×5, first 2 shown]
	s_nop 0
	global_load_ushort v44, v[44:45], off offset:32
	s_waitcnt lgkmcnt(1)
	v_mfma_f32_16x16x16_bf16 a[4:7], v[36:37], v[30:31], a[4:7]
	s_and_b64 vcc, exec, s[0:1]
	s_waitcnt vmcnt(10)
	v_lshlrev_b32_e32 v35, 16, v47
	s_waitcnt lgkmcnt(0)
	v_mfma_f32_16x16x16_bf16 a[0:3], v[36:37], v[26:27], a[0:3]
	s_waitcnt vmcnt(9)
	v_lshlrev_b32_e32 v34, 16, v48
	v_mfma_f32_16x16x16_bf16 a[4:7], v[38:39], v[32:33], a[4:7]
	v_mfma_f32_16x16x16_bf16 a[0:3], v[38:39], v[28:29], a[0:3]
	ds_read_b64 v[26:27], v89 offset:3072
	ds_read_b64 v[28:29], v90 offset:3072
	s_load_dword s24, s[46:47], 0x0
	s_waitcnt lgkmcnt(0)
	v_sub_f32_e32 v36, s24, v46
	v_mfma_f32_16x16x16_bf16 a[4:7], v[40:41], v[26:27], a[4:7]
	v_mul_f32_e32 v36, 0x3fb8aa3b, v36
	s_waitcnt vmcnt(8)
	v_sub_f32_e32 v37, s24, v42
	s_waitcnt vmcnt(7)
	v_sub_f32_e32 v38, s24, v43
	;; [unrolled: 2-line block ×3, first 2 shown]
	v_mfma_f32_16x16x16_bf16 a[0:3], v[40:41], v[28:29], a[0:3]
	v_lshl_add_u64 v[26:27], v[58:59], 0, s[70:71]
	v_lshl_add_u64 v[26:27], v[26:27], 0, v[54:55]
	v_accvgpr_read_b32 v33, a5
	v_accvgpr_read_b32 v32, a4
	v_pk_add_f32 v[32:33], v[34:35], v[32:33] neg_lo:[0,1] neg_hi:[0,1]
	v_exp_f32_e32 v34, v36
	v_mul_f32_e32 v35, 0x3fb8aa3b, v37
	v_mul_f32_e32 v36, 0x3fb8aa3b, v38
	;; [unrolled: 1-line block ×3, first 2 shown]
	v_exp_f32_e32 v35, v35
	v_exp_f32_e32 v36, v36
	;; [unrolled: 1-line block ×3, first 2 shown]
	v_accvgpr_read_b32 v29, a7
	v_accvgpr_read_b32 v28, a6
	s_waitcnt vmcnt(5)
	v_lshlrev_b32_e32 v39, 16, v50
	s_waitcnt vmcnt(4)
	v_lshlrev_b32_e32 v38, 16, v51
	v_pk_add_f32 v[28:29], v[38:39], v[28:29] neg_lo:[0,1] neg_hi:[0,1]
	global_store_short_d16_hi v[26:27], v32, off
	global_store_short_d16_hi v[26:27], v33, off offset:256
	global_store_short_d16_hi v[26:27], v28, off offset:512
	;; [unrolled: 1-line block ×3, first 2 shown]
	v_pk_mul_f32 v[32:33], v[34:35], v[32:33]
	v_pk_mul_f32 v[28:29], v[36:37], v[28:29]
	v_accvgpr_read_b32 v39, a1
	v_perm_b32 v29, v29, v28, s66
	v_perm_b32 v28, v33, v32, s66
	s_waitcnt vmcnt(5)
	v_lshlrev_b32_e32 v33, 16, v120
	s_waitcnt vmcnt(4)
	v_lshlrev_b32_e32 v32, 16, v44
	v_accvgpr_read_b32 v38, a0
	v_accvgpr_read_b32 v31, a3
	;; [unrolled: 1-line block ×3, first 2 shown]
	v_pk_add_f32 v[32:33], v[32:33], v[38:39] neg_lo:[0,1] neg_hi:[0,1]
	v_lshlrev_b32_e32 v39, 16, v52
	v_lshlrev_b32_e32 v38, 16, v119
	v_pk_add_f32 v[30:31], v[38:39], v[30:31] neg_lo:[0,1] neg_hi:[0,1]
	global_store_short_d16_hi v[26:27], v32, off offset:32
	global_store_short_d16_hi v[26:27], v33, off offset:288
	global_store_short_d16_hi v[26:27], v30, off offset:544
	global_store_short_d16_hi v[26:27], v31, off offset:800
	v_pk_mul_f32 v[26:27], v[34:35], v[32:33]
	v_pk_mul_f32 v[30:31], v[36:37], v[30:31]
	v_mov_b32_e32 v119, 0
	v_perm_b32 v31, v31, v30, s66
	v_perm_b32 v30, v27, v26, s66
	ds_write2_b64 v76, v[28:29], v[30:31] offset1:16
	v_mov_b32_e32 v26, 0
	v_mov_b32_e32 v27, 0
	;; [unrolled: 1-line block ×16, first 2 shown]
	s_cbranch_vccnz .LBB461_14
; %bb.13:                               ;   in Loop: Header=BB461_6 Depth=1
	s_and_b32 s29, s29, 0xffff
	s_mov_b32 s31, s27
	buffer_load_dwordx4 v[38:41], v94, s[28:31], 0 offen
	buffer_load_dwordx4 v[30:33], v94, s[28:31], s61 offen
	;; [unrolled: 1-line block ×4, first 2 shown]
	v_mov_b32_e32 v118, v70
	v_mov_b32_e32 v119, v69
.LBB461_14:                             ;   in Loop: Header=BB461_6 Depth=1
	s_waitcnt lgkmcnt(0)
	s_barrier
	ds_read_b64 v[46:47], v98
	ds_read_b64 v[124:125], v93
	ds_read_b64 v[126:127], v99
	ds_read_b64 v[128:129], v100
	ds_read_b64 v[136:137], v101
	ds_read_b64 v[138:139], v90 offset:3072
	ds_read2_b64 v[42:45], v89 offset0:16 offset1:128
	s_waitcnt lgkmcnt(5)
	v_mfma_f32_16x16x16_bf16 a[0:3], v[46:47], v[124:125], 0
	ds_read2st64_b64 v[48:51], v90 offset0:2 offset1:4
	s_add_i32 s25, s55, s68
	s_mul_hi_i32 s29, s25, s13
	s_waitcnt lgkmcnt(1)
	v_mfma_f32_16x16x16_bf16 a[4:7], v[46:47], v[42:43], 0
	ds_read_b64 v[46:47], v103
	s_mul_i32 s25, s25, s13
	s_add_u32 s28, s25, s33
	s_waitcnt lgkmcnt(1)
	v_mfma_f32_16x16x16_bf16 a[4:7], v[126:127], v[48:49], a[4:7]
	s_addc_u32 s29, s29, s59
	s_add_i32 s25, s3, s62
	s_lshl_b64 s[28:29], s[28:29], 15
	s_mul_hi_i32 s31, s25, s13
	s_mul_i32 s25, s25, s13
	s_add_u32 s46, s25, s33
	v_mfma_f32_16x16x16_bf16 a[8:11], v[128:129], v[50:51], a[4:7]
	s_addc_u32 s47, s31, s59
	ds_read2st64_b64 v[120:123], v89 offset0:4 offset1:6
	s_lshl_b64 s[46:47], s[46:47], 9
	s_waitcnt lgkmcnt(1)
	v_mfma_f32_16x16x16_bf16 a[4:7], v[46:47], v[124:125], 0
	s_add_u32 s46, s36, s46
	s_addc_u32 s47, s37, s47
	v_mfma_f32_16x16x16_bf16 a[0:3], v[126:127], v[44:45], a[0:3]
	ds_read_b64 v[126:127], v104
	ds_read_b64 v[134:135], v105
	;; [unrolled: 1-line block ×3, first 2 shown]
	v_mfma_f32_16x16x16_bf16 a[12:15], v[46:47], v[42:43], 0
	s_waitcnt lgkmcnt(2)
	v_mfma_f32_16x16x16_bf16 a[4:7], v[126:127], v[44:45], a[4:7]
	global_load_dwordx4 v[42:45], v102, s[46:47]
	v_mfma_f32_16x16x16_bf16 a[12:15], v[126:127], v[48:49], a[12:15]
	global_load_dwordx4 v[46:49], v97, s[46:47]
	ds_read2st64_b64 v[124:127], v91 offset1:8
	s_waitcnt lgkmcnt(0)
	v_mov_b32_e32 v132, v124
	v_mfma_f32_16x16x16_bf16 a[0:3], v[128:129], v[120:121], a[0:3]
	ds_read2st64_b64 v[128:131], v92 offset1:8
	v_mov_b32_e32 v133, v125
	v_mfma_f32_16x16x16_bf16 a[16:19], v[134:135], v[120:121], a[4:7]
	v_lshl_add_u64 v[120:121], v[60:61], 0, s[28:29]
	v_mfma_f32_16x16x16_bf16 a[20:23], v[134:135], v[50:51], a[12:15]
	v_add_co_u32_e32 v50, vcc, s41, v120
	s_waitcnt lgkmcnt(0)
	v_mov_b32_e32 v134, v128
	v_mfma_f32_16x16x16_bf16 a[4:7], v[136:137], v[122:123], a[0:3]
	v_mov_b32_e32 v135, v129
	v_mov_b32_e32 v128, v126
	;; [unrolled: 1-line block ×3, first 2 shown]
	v_mfma_f32_16x16x16_bf16 a[8:11], v[136:137], v[138:139], a[8:11]
	v_addc_co_u32_e32 v51, vcc, 0, v121, vcc
	global_store_dwordx4 v[50:51], v[128:131], off
	v_mfma_f32_16x16x16_bf16 a[12:15], v[140:141], v[122:123], a[16:19]
	s_and_b64 vcc, exec, s[0:1]
	global_store_dwordx4 v[120:121], v[132:135], off
	s_waitcnt vmcnt(3)
	v_mov_b32_e32 v52, v45
	v_mfma_f32_16x16x16_bf16 a[0:3], v[140:141], v[138:139], a[20:23]
	v_mov_b32_e32 v51, v44
	v_mov_b32_e32 v50, v43
	s_cbranch_vccnz .LBB461_16
; %bb.15:                               ;   in Loop: Header=BB461_6 Depth=1
	v_lshrrev_b32_e32 v43, 3, v118
	v_and_b32_e32 v43, 6, v43
	v_xor_b32_e32 v44, v43, v119
	v_lshlrev_b32_e32 v44, 2, v44
	v_and_b32_e32 v45, 8, v118
	v_xor_b32_e32 v118, 0x440, v44
	v_cmp_eq_u32_e32 vcc, 0, v45
	v_perm_b32 v45, v30, v26, s63
	s_nop 0
	v_cndmask_b32_e32 v44, v118, v44, vcc
	v_lshl_or_b32 v43, v43, 10, v44
	v_perm_b32 v44, v38, v34, s63
	s_barrier
	ds_write2st64_b32 v43, v44, v45 offset0:32 offset1:64
	v_xor_b32_e32 v44, 8, v43
	v_perm_b32 v34, v38, v34, s64
	v_perm_b32 v26, v30, v26, s64
	v_add_u32_e32 v30, 0x80, v44
	ds_write2st64_b32 v30, v34, v26 offset0:32 offset1:64
	v_xor_b32_e32 v26, 16, v43
	v_perm_b32 v30, v39, v35, s63
	v_perm_b32 v34, v31, v27, s63
	ds_write2st64_b32 v26, v30, v34 offset0:33 offset1:65
	v_xor_b32_e32 v26, 24, v43
	v_perm_b32 v30, v39, v35, s64
	v_perm_b32 v27, v31, v27, s64
	v_add_u32_e32 v26, 0x80, v26
	ds_write2st64_b32 v26, v30, v27 offset0:33 offset1:65
	v_xor_b32_e32 v26, 32, v43
	v_perm_b32 v27, v40, v36, s63
	v_perm_b32 v30, v32, v28, s63
	;; [unrolled: 9-line block ×3, first 2 shown]
	ds_write2st64_b32 v26, v27, v28 offset0:35 offset1:67
	v_xor_b32_e32 v26, 56, v43
	v_perm_b32 v27, v41, v37, s64
	v_perm_b32 v28, v33, v29, s64
	v_add_u32_e32 v26, 0x80, v26
	ds_write2st64_b32 v26, v27, v28 offset0:35 offset1:67
	ds_write_b64 v117, v[22:23] offset:24576
	v_xor_b32_e32 v22, 8, v117
	ds_write_b64 v22, v[24:25] offset:24576
	ds_write_b64 v117, v[18:19] offset:32768
	;; [unrolled: 1-line block ×4, first 2 shown]
	v_xor_b32_e32 v14, 8, v116
	ds_write_b64 v14, v[16:17] offset:24576
	ds_write_b64 v116, v[10:11] offset:32768
	;; [unrolled: 1-line block ×3, first 2 shown]
.LBB461_16:                             ;   in Loop: Header=BB461_6 Depth=1
	v_mul_f32_e32 v14, s24, v107
	v_exp_f32_e32 v26, v14
	s_waitcnt vmcnt(2)
	v_mul_f32_e32 v14, 0x3fb8aa3b, v46
	v_exp_f32_e32 v28, v14
	v_mul_f32_e32 v14, 0x3fb8aa3b, v47
	v_exp_f32_e32 v29, v14
	;; [unrolled: 2-line block ×4, first 2 shown]
	v_accvgpr_read_b32 v21, a7
	v_accvgpr_read_b32 v19, a5
	;; [unrolled: 1-line block ×4, first 2 shown]
	v_pk_mul_f32 v[28:29], v[26:27], v[28:29] op_sel_hi:[0,1]
	v_accvgpr_read_b32 v12, a10
	v_pk_fma_f32 v[2:3], v[2:3], v[28:29], v[18:19]
	v_pk_mul_f32 v[18:19], v[26:27], v[30:31] op_sel_hi:[0,1]
	v_accvgpr_read_b32 v20, a6
	v_accvgpr_read_b32 v11, a9
	;; [unrolled: 1-line block ×3, first 2 shown]
	v_fma_f32 v110, v110, v18, v12
	v_mul_f32_e32 v12, 0x3fb8aa3b, v51
	v_pk_fma_f32 v[4:5], v[4:5], v[18:19], v[20:21]
	v_fma_f32 v108, v108, v28, v10
	v_fma_f32 v109, v109, v29, v11
	v_mul_f32_e32 v10, 0x3fb8aa3b, v42
	v_mul_f32_e32 v11, 0x3fb8aa3b, v50
	v_exp_f32_e32 v20, v12
	v_mul_f32_e32 v12, 0x3fb8aa3b, v52
	v_exp_f32_e32 v10, v10
	v_exp_f32_e32 v11, v11
	;; [unrolled: 1-line block ×3, first 2 shown]
	v_accvgpr_read_b32 v25, a15
	v_accvgpr_read_b32 v17, a3
	;; [unrolled: 1-line block ×8, first 2 shown]
	v_fmac_f32_e32 v13, v115, v19
	v_pk_mul_f32 v[10:11], v[26:27], v[10:11] op_sel_hi:[0,1]
	v_pk_mul_f32 v[18:19], v[26:27], v[20:21] op_sel_hi:[0,1]
	s_add_i32 s62, s62, 64
	v_pk_fma_f32 v[6:7], v[6:7], v[10:11], v[22:23]
	v_pk_fma_f32 v[8:9], v[8:9], v[18:19], v[24:25]
	v_fma_f32 v111, v111, v10, v14
	v_fma_f32 v112, v112, v11, v15
	;; [unrolled: 1-line block ×3, first 2 shown]
	s_cmp_eq_u32 s53, s67
	v_fmac_f32_e32 v17, v114, v19
	s_cbranch_scc1 .LBB461_18
; %bb.17:                               ;   in Loop: Header=BB461_6 Depth=1
	s_mov_b32 s68, s67
	v_mov_b32_e32 v115, v13
	v_mov_b32_e32 v114, v17
	s_branch .LBB461_6
.LBB461_18:
	v_mov_b32_e32 v16, v113
	v_mov_b32_e32 v15, v112
	;; [unrolled: 1-line block ×6, first 2 shown]
.LBB461_19:
	s_lshl_b32 s46, s53, 6
	s_sub_i32 s47, s12, s46
	s_cmp_gt_i32 s47, 0
	v_or_b32_e32 v34, s2, v65
	s_cbranch_scc1 .LBB461_21
; %bb.20:
	s_ashr_i32 s0, s33, 31
	s_add_u32 s28, s50, s33
	s_addc_u32 s29, s56, s0
	v_or_b32_e32 v35, s2, v65
	s_cbranch_execz .LBB461_22
	s_branch .LBB461_86
.LBB461_21:
                                        ; implicit-def: $sgpr28_sgpr29
                                        ; implicit-def: $vgpr35
.LBB461_22:
	s_ashr_i32 s41, s52, 31
	s_ashr_i32 s3, s46, 31
	s_cmpk_lg_i32 s15, 0x80
	s_cselect_b64 s[42:43], -1, 0
	s_and_b64 vcc, exec, s[42:43]
	s_cbranch_vccz .LBB461_24
; %bb.23:
	s_mul_hi_i32 s0, s52, s12
	s_add_u32 s1, s48, s46
	s_addc_u32 s0, s0, s3
	s_mul_i32 s24, s1, s54
	s_mul_hi_u32 s25, s1, s14
	s_add_i32 s24, s25, s24
	s_mul_i32 s0, s0, s14
	s_add_i32 s24, s24, s0
	s_mul_i32 s1, s1, s14
	s_ashr_i32 s0, s57, 31
	s_add_u32 s44, s1, s57
	s_addc_u32 s45, s24, s0
	s_cbranch_execz .LBB461_25
	s_branch .LBB461_26
.LBB461_24:
                                        ; implicit-def: $sgpr44_sgpr45
.LBB461_25:
	s_mul_hi_i32 s0, s52, s14
	s_mul_i32 s52, s52, s14
	s_ashr_i32 s1, s57, 31
	s_add_u32 s14, s52, s57
	s_addc_u32 s0, s0, s1
	s_mul_i32 s1, s14, s51
	s_mul_hi_u32 s24, s14, s12
	s_add_i32 s1, s24, s1
	s_mul_i32 s0, s0, s12
	s_add_i32 s1, s1, s0
	s_mul_i32 s14, s14, s12
	s_add_u32 s44, s14, s46
	s_addc_u32 s45, s1, s3
.LBB461_26:
	s_add_i32 s24, s55, s53
	s_ashr_i32 s14, s33, 31
	s_add_u32 s28, s50, s33
	s_addc_u32 s29, s56, s14
	s_mul_i32 s0, s28, s51
	s_mul_hi_u32 s1, s28, s12
	s_add_i32 s0, s1, s0
	s_mul_i32 s1, s29, s12
	s_add_i32 s1, s0, s1
	s_mul_i32 s0, s28, s12
	s_add_u32 s0, s0, s46
	v_lshlrev_b32_e32 v22, 5, v1
	v_lshlrev_b32_e32 v40, 2, v65
	s_addc_u32 s1, s1, s3
	s_mov_b32 s3, 0x7060302
	v_or_b32_e32 v25, v22, v40
	v_xor_b32_e32 v23, v1, v40
	v_perm_b32 v19, v5, v4, s3
	v_perm_b32 v18, v3, v2, s3
	;; [unrolled: 1-line block ×4, first 2 shown]
	v_lshlrev_b32_e32 v25, 1, v25
	v_xor_b32_e32 v24, v68, v40
	ds_write2st64_b64 v25, v[18:19], v[20:21] offset0:80 offset1:88
	v_lshlrev_b32_e32 v23, 1, v23
	v_lshlrev_b32_e32 v25, 8, v65
	s_lshl_b64 s[30:31], s[0:1], 8
	v_or_b32_e32 v26, v23, v25
	v_lshlrev_b32_e32 v24, 1, v24
	s_add_u32 s0, s6, s30
	ds_write_b64 v26, v[18:19]
	v_or_b32_e32 v18, v24, v25
	s_addc_u32 s1, s7, s31
	ds_write_b64 v18, v[20:21]
	v_perm_b32 v19, v13, v12, s3
	v_perm_b32 v18, v11, v10, s3
	;; [unrolled: 1-line block ×4, first 2 shown]
	v_or_b32_e32 v25, 16, v65
	s_mul_hi_i32 s3, s24, s13
	s_mul_i32 s24, s24, s13
	v_lshlrev_b32_e32 v37, 2, v25
	s_add_u32 s6, s24, s33
	v_or_b32_e32 v22, v22, v37
	s_addc_u32 s7, s3, s14
	v_lshlrev_b32_e32 v22, 1, v22
	s_ashr_i32 s3, s2, 31
	s_lshl_b64 s[6:7], s[6:7], 15
	ds_write2st64_b64 v22, v[18:19], v[20:21] offset0:80 offset1:88
	v_lshlrev_b32_e32 v22, 8, v25
	s_add_u32 s6, s16, s6
	v_or_b32_e32 v23, v23, v22
	s_addc_u32 s7, s17, s7
	s_lshl_b64 s[2:3], s[2:3], 8
	ds_write_b64 v23, v[18:19]
	v_or_b32_e32 v18, v24, v22
	s_add_u32 s2, s6, s2
	ds_write_b64 v18, v[20:21]
	v_lshrrev_b32_e32 v18, 4, v0
	s_addc_u32 s3, s7, s3
	v_lshlrev_b32_e32 v19, 1, v65
	v_lshlrev_b32_e32 v26, 4, v65
	v_mov_b32_e32 v27, 0
	v_or_b32_e32 v20, 1, v19
	v_xor_b32_e32 v19, v18, v19
	v_lshl_add_u64 v[28:29], s[2:3], 0, v[26:27]
	v_lshlrev_b32_e32 v26, 8, v18
	v_xor_b32_e32 v22, v20, v18
	v_lshl_or_b32 v18, v19, 3, v26
	s_waitcnt lgkmcnt(0)
	s_barrier
	ds_read2st64_b64 v[18:21], v18 offset1:8
	v_lshl_or_b32 v22, v22, 3, v26
	ds_read2st64_b64 v[22:25], v22 offset1:8
	v_lshl_add_u64 v[30:31], v[28:29], 0, v[26:27]
	s_movk_i32 s2, 0x1000
	s_waitcnt lgkmcnt(1)
	v_mov_b32_e32 v26, v18
	v_add_co_u32_e32 v18, vcc, s2, v30
	s_cmp_lg_u32 s47, 64
	v_mov_b32_e32 v27, v19
	v_addc_co_u32_e32 v19, vcc, 0, v31, vcc
	s_cselect_b64 s[6:7], -1, 0
	v_lshl_or_b32 v35, v53, 3, v67
	s_waitcnt lgkmcnt(0)
	v_mov_b32_e32 v28, v22
	v_mov_b32_e32 v29, v23
	;; [unrolled: 1-line block ×4, first 2 shown]
	s_mov_b32 s24, 0
	v_or_b32_e32 v38, 32, v35
	v_and_b32_e32 v36, 56, v66
	s_and_b64 vcc, exec, s[6:7]
	global_store_dwordx4 v[30:31], v[26:29], off
	global_store_dwordx4 v[18:19], v[22:25], off
	s_cbranch_vccz .LBB461_32
; %bb.27:
	s_mov_b32 s25, s24
	s_mov_b32 s26, s24
	;; [unrolled: 1-line block ×3, first 2 shown]
	v_mov_b64_e32 v[22:23], s[24:25]
	v_mov_b64_e32 v[24:25], s[26:27]
	;; [unrolled: 1-line block ×3, first 2 shown]
	v_cmp_gt_i32_e32 vcc, s47, v35
	v_mov_b64_e32 v[20:21], v[24:25]
	s_and_saveexec_b64 s[2:3], vcc
	s_cbranch_execz .LBB461_29
; %bb.28:
	v_lshlrev_b32_e32 v18, 8, v35
	v_mov_b32_e32 v19, 0
	v_lshl_add_u64 v[20:21], s[0:1], 0, v[18:19]
	v_lshlrev_b32_e32 v18, 1, v36
	v_lshl_add_u64 v[26:27], v[20:21], 0, v[18:19]
	global_load_dwordx4 v[22:25], v[26:27], off
	global_load_dwordx4 v[18:21], v[26:27], off offset:128
.LBB461_29:
	s_or_b64 exec, exec, s[2:3]
	s_mov_b32 s26, s24
	s_mov_b32 s27, s24
	;; [unrolled: 1-line block ×3, first 2 shown]
	v_mov_b64_e32 v[32:33], s[26:27]
	v_mov_b64_e32 v[30:31], s[24:25]
	;; [unrolled: 1-line block ×3, first 2 shown]
	v_cmp_gt_i32_e32 vcc, s47, v38
	v_lshlrev_b32_e32 v39, 7, v38
	v_mov_b64_e32 v[28:29], v[32:33]
	s_and_saveexec_b64 s[2:3], vcc
	s_cbranch_execz .LBB461_31
; %bb.30:
	v_lshlrev_b32_e32 v26, 1, v39
	v_mov_b32_e32 v27, 0
	v_lshl_add_u64 v[28:29], s[0:1], 0, v[26:27]
	v_lshlrev_b32_e32 v26, 1, v36
	v_lshl_add_u64 v[42:43], v[28:29], 0, v[26:27]
	global_load_dwordx4 v[30:33], v[42:43], off
	global_load_dwordx4 v[26:29], v[42:43], off offset:128
.LBB461_31:
	s_or_b64 exec, exec, s[2:3]
	v_lshrrev_b32_e32 v41, 3, v36
	v_lshlrev_b32_e32 v42, 3, v35
	v_or_b32_e32 v41, v42, v41
	v_lshlrev_b32_e32 v41, 4, v41
	v_and_b32_e32 v42, 0x78, v42
	v_xor_b32_e32 v41, v41, v42
	s_branch .LBB461_34
.LBB461_32:
                                        ; implicit-def: $vgpr41
                                        ; implicit-def: $vgpr39
                                        ; implicit-def: $vgpr22_vgpr23_vgpr24_vgpr25
                                        ; implicit-def: $vgpr18_vgpr19_vgpr20_vgpr21
                                        ; implicit-def: $vgpr30_vgpr31_vgpr32_vgpr33
                                        ; implicit-def: $vgpr26_vgpr27_vgpr28_vgpr29
	s_cbranch_execz .LBB461_34
; %bb.33:
	s_waitcnt vmcnt(0)
	v_lshlrev_b32_e32 v18, 1, v36
	v_lshl_or_b32 v39, v35, 8, v18
	s_and_b32 s1, s1, 0xffff
	s_mov_b32 s3, 0x20000
	s_movk_i32 s2, 0x4000
	v_lshl_or_b32 v41, v38, 8, v18
	s_movk_i32 s16, 0x80
	buffer_load_dwordx4 v[22:25], v39, s[0:3], 0 offen
	buffer_load_dwordx4 v[18:21], v39, s[0:3], s16 offen
	;; [unrolled: 1-line block ×4, first 2 shown]
	v_lshrrev_b32_e32 v39, 3, v36
	v_lshlrev_b32_e32 v41, 3, v35
	v_or_b32_e32 v39, v41, v39
	v_lshlrev_b32_e32 v39, 4, v39
	v_and_b32_e32 v41, 0x78, v41
	v_xor_b32_e32 v41, v39, v41
	v_lshlrev_b32_e32 v39, 7, v38
.LBB461_34:
	s_lshl_b64 s[0:1], s[44:45], 8
	s_add_u32 s4, s4, s0
	s_movk_i32 s0, 0x1000
	v_and_or_b32 v38, v39, s0, v41
	s_waitcnt vmcnt(1)
	ds_write_b64 v41, v[22:23] offset:24576
	v_xor_b32_e32 v22, 8, v41
	ds_write_b64 v22, v[24:25] offset:24576
	s_waitcnt vmcnt(0)
	ds_write_b64 v41, v[18:19] offset:32768
	ds_write_b64 v22, v[20:21] offset:32768
	;; [unrolled: 1-line block ×3, first 2 shown]
	v_xor_b32_e32 v18, 8, v38
	ds_write_b64 v18, v[32:33] offset:24576
	ds_write_b64 v38, v[26:27] offset:32768
	ds_write_b64 v18, v[28:29] offset:32768
	v_or_b32_e32 v18, v62, v65
	s_addc_u32 s5, s5, s1
	s_add_i32 s16, s12, -1
	v_lshlrev_b32_e32 v18, 3, v18
	v_lshrrev_b32_e32 v19, 5, v63
	s_movk_i32 s12, 0xf8
	v_and_or_b32 v19, v18, s12, v19
	v_lshlrev_b32_e32 v23, 4, v19
	v_lshlrev_b32_e32 v41, 11, v53
	v_and_b32_e32 v24, 0x78, v18
	v_or_b32_e32 v26, 32, v23
	v_and_b32_e32 v22, 0x1000, v41
	v_lshrrev_b32_e32 v19, 1, v63
	v_xor_b32_e32 v26, v26, v24
	v_xor_b32_e32 v18, v23, v24
	v_and_b32_e32 v25, 8, v19
	v_or_b32_e32 v26, v26, v22
	v_or_b32_e32 v18, v18, v22
	v_xor_b32_e32 v45, v26, v25
	v_or_b32_e32 v26, 64, v23
	v_xor_b32_e32 v44, v18, v25
	v_xor_b32_e32 v26, v26, v24
	s_waitcnt lgkmcnt(0)
	s_barrier
	v_or_b32_e32 v28, v26, v22
	ds_read_b64 v[26:27], v44 offset:24576
	v_lshl_or_b32 v38, v64, 7, v40
	v_lshlrev_b32_e32 v42, 1, v38
	v_add_u32_e32 v18, 0xa000, v42
	ds_read2_b64 v[18:21], v18 offset1:16
	v_or_b32_e32 v23, 0x60, v23
	v_xor_b32_e32 v23, v23, v24
	s_waitcnt lgkmcnt(0)
	v_mfma_f32_16x16x16_bf16 a[0:3], v[26:27], v[18:19], 0
	v_or_b32_e32 v18, 64, v38
	v_or_b32_e32 v22, v23, v22
	v_lshlrev_b32_e32 v43, 1, v18
	v_xor_b32_e32 v46, v28, v25
	v_xor_b32_e32 v47, v22, v25
	ds_read_b64 v[28:29], v45 offset:24576
	ds_read_b64 v[30:31], v46 offset:24576
	;; [unrolled: 1-line block ×3, first 2 shown]
	v_mfma_f32_16x16x16_bf16 a[4:7], v[26:27], v[20:21], 0
	ds_read2st64_b64 v[18:21], v43 offset0:82 offset1:84
	ds_read2st64_b64 v[22:25], v42 offset0:82 offset1:84
	s_add_i32 s0, s49, s21
	s_mul_i32 s41, s41, s20
	s_add_i32 s41, s0, s41
	s_mul_i32 s0, s33, s23
	s_mul_hi_u32 s1, s33, s22
	s_ashr_i32 s2, s16, 31
	s_mul_i32 s3, s16, s39
	s_mul_hi_u32 s12, s16, s38
	s_add_i32 s0, s1, s0
	s_mul_i32 s1, s14, s22
	s_add_i32 s3, s12, s3
	s_mul_i32 s2, s2, s38
	s_waitcnt lgkmcnt(1)
	v_mfma_f32_16x16x16_bf16 a[4:7], v[28:29], v[18:19], a[4:7]
	s_add_i32 s1, s0, s1
	s_add_i32 s3, s3, s2
	s_lshl_b64 s[20:21], s[40:41], 2
	s_waitcnt lgkmcnt(0)
	v_mfma_f32_16x16x16_bf16 a[0:3], v[28:29], v[22:23], a[0:3]
	s_mul_i32 s0, s33, s22
	s_add_u32 s10, s10, s20
	s_addc_u32 s11, s11, s21
	s_lshl_b64 s[0:1], s[0:1], 2
	s_mul_i32 s2, s16, s38
	s_add_u32 s10, s10, s0
	ds_read_b64 v[18:19], v42 offset:44032
	v_mfma_f32_16x16x16_bf16 a[4:7], v[30:31], v[20:21], a[4:7]
	ds_read_b64 v[20:21], v43 offset:44032
	s_addc_u32 s11, s11, s1
	s_lshl_b64 s[0:1], s[2:3], 2
	v_mfma_f32_16x16x16_bf16 a[0:3], v[30:31], v[24:25], a[0:3]
	s_add_u32 s0, s10, s0
	s_addc_u32 s1, s11, s1
	s_load_dword s12, s[0:1], 0x0
	s_waitcnt lgkmcnt(0)
	v_mfma_f32_16x16x16_bf16 a[0:3], v[32:33], v[18:19], a[0:3]
	s_and_b64 vcc, exec, s[42:43]
	v_mfma_f32_16x16x16_bf16 a[4:7], v[32:33], v[20:21], a[4:7]
	s_cbranch_vccz .LBB461_45
; %bb.35:
	v_lshlrev_b32_e32 v38, 1, v35
	s_and_b64 vcc, exec, s[6:7]
	s_cbranch_vccz .LBB461_46
; %bb.36:
	v_cmp_gt_i32_e32 vcc, s47, v38
	v_mov_b32_e32 v22, 0
	v_mov_b32_e32 v18, 0
	v_mov_b32_e32 v19, 0
	v_mov_b32_e32 v20, 0
	v_mov_b32_e32 v21, 0
	s_and_saveexec_b64 s[0:1], vcc
	s_cbranch_execz .LBB461_38
; %bb.37:
	v_mad_i64_i32 v[18:19], s[2:3], s15, v38, 0
	v_lshl_add_u64 v[18:19], v[18:19], 1, s[4:5]
	v_lshlrev_b32_e32 v20, 1, v36
	v_mov_b32_e32 v21, 0
	v_lshl_add_u64 v[18:19], v[18:19], 0, v[20:21]
	global_load_dwordx4 v[18:21], v[18:19], off
.LBB461_38:
	s_or_b64 exec, exec, s[0:1]
	v_or_b32_e32 v39, 1, v38
	v_cmp_gt_i32_e64 s[0:1], s47, v39
	v_mov_b32_e32 v23, 0
	v_mov_b32_e32 v24, 0
	;; [unrolled: 1-line block ×3, first 2 shown]
	s_and_saveexec_b64 s[2:3], s[0:1]
	s_cbranch_execz .LBB461_40
; %bb.39:
	v_mad_i64_i32 v[22:23], s[20:21], s15, v39, 0
	v_lshl_add_u64 v[22:23], v[22:23], 1, s[4:5]
	v_lshlrev_b32_e32 v24, 1, v36
	v_mov_b32_e32 v25, 0
	v_lshl_add_u64 v[22:23], v[22:23], 0, v[24:25]
	global_load_dwordx4 v[22:25], v[22:23], off
.LBB461_40:
	s_or_b64 exec, exec, s[2:3]
	v_mov_b32_e32 v33, 0
	v_mov_b32_e32 v26, 0
	;; [unrolled: 1-line block ×5, first 2 shown]
	s_and_saveexec_b64 s[2:3], vcc
	s_cbranch_execz .LBB461_42
; %bb.41:
	v_mad_i64_i32 v[26:27], s[20:21], s15, v38, 0
	v_lshl_add_u64 v[26:27], v[26:27], 1, s[4:5]
	v_lshlrev_b32_e32 v28, 1, v36
	v_mov_b32_e32 v29, 0
	v_lshl_add_u64 v[26:27], v[26:27], 0, v[28:29]
	global_load_dwordx4 v[26:29], v[26:27], off offset:128
.LBB461_42:
	s_or_b64 exec, exec, s[2:3]
	v_mov_b32_e32 v32, 0
	v_mov_b32_e32 v31, 0
	v_mov_b32_e32 v30, 0
	s_and_saveexec_b64 s[2:3], s[0:1]
	s_cbranch_execz .LBB461_44
; %bb.43:
	v_mad_i64_i32 v[30:31], s[0:1], s15, v39, 0
	v_lshl_add_u64 v[30:31], v[30:31], 1, s[4:5]
	v_lshlrev_b32_e32 v32, 1, v36
	v_mov_b32_e32 v33, 0
	v_lshl_add_u64 v[30:31], v[30:31], 0, v[32:33]
	global_load_dwordx4 v[30:33], v[30:31], off offset:128
.LBB461_44:
	s_or_b64 exec, exec, s[2:3]
	s_branch .LBB461_48
.LBB461_45:
                                        ; implicit-def: $vgpr21
                                        ; implicit-def: $vgpr25
                                        ; implicit-def: $vgpr29
                                        ; implicit-def: $vgpr33
	v_lshrrev_b32_e32 v48, 2, v63
	s_branch .LBB461_49
.LBB461_46:
                                        ; implicit-def: $vgpr21
                                        ; implicit-def: $vgpr25
                                        ; implicit-def: $vgpr29
                                        ; implicit-def: $vgpr33
	s_cbranch_execz .LBB461_48
; %bb.47:
	s_waitcnt vmcnt(0)
	v_mad_u64_u32 v[18:19], s[0:1], v38, s15, v[36:37]
	v_lshlrev_b32_e32 v38, 1, v18
	s_lshl_b32 s2, s15, 7
	s_and_b32 s1, s5, 0xffff
	s_mov_b32 s3, 0x20000
	s_mov_b32 s0, s4
	v_add_lshl_u32 v39, v18, s15, 1
	s_movk_i32 s15, 0x80
	buffer_load_dwordx4 v[18:21], v38, s[0:3], 0 offen
	buffer_load_dwordx4 v[26:29], v38, s[0:3], s15 offen
	;; [unrolled: 1-line block ×4, first 2 shown]
.LBB461_48:
	v_lshrrev_b32_e32 v48, 2, v63
	s_cbranch_execnz .LBB461_61
.LBB461_49:
	s_and_b64 vcc, exec, s[6:7]
	s_cbranch_vccz .LBB461_59
; %bb.50:
	s_waitcnt vmcnt(0)
	v_lshlrev_b32_e32 v23, 1, v35
	v_cmp_gt_i32_e32 vcc, s47, v23
	v_mov_b32_e32 v22, 0
	v_lshlrev_b32_e32 v30, 9, v35
	v_mov_b32_e32 v18, 0
	v_mov_b32_e32 v19, 0
	v_mov_b32_e32 v20, 0
	v_mov_b32_e32 v21, 0
	s_and_saveexec_b64 s[0:1], vcc
	s_cbranch_execz .LBB461_52
; %bb.51:
	v_mov_b32_e32 v31, 0
	v_lshl_add_u64 v[18:19], s[4:5], 0, v[30:31]
	v_lshlrev_b32_e32 v20, 1, v36
	v_mov_b32_e32 v21, v31
	v_lshl_add_u64 v[18:19], v[18:19], 0, v[20:21]
	global_load_dwordx4 v[18:21], v[18:19], off
.LBB461_52:
	s_or_b64 exec, exec, s[0:1]
	v_or_b32_e32 v23, 1, v23
	v_cmp_gt_i32_e64 s[0:1], s47, v23
	v_lshlrev_b32_e32 v38, 8, v23
	v_mov_b32_e32 v23, 0
	v_mov_b32_e32 v24, 0
	;; [unrolled: 1-line block ×3, first 2 shown]
	s_and_saveexec_b64 s[2:3], s[0:1]
	s_cbranch_execz .LBB461_54
; %bb.53:
	v_mov_b32_e32 v39, 0
	v_lshl_add_u64 v[22:23], s[4:5], 0, v[38:39]
	v_lshlrev_b32_e32 v24, 1, v36
	v_mov_b32_e32 v25, v39
	v_lshl_add_u64 v[22:23], v[22:23], 0, v[24:25]
	global_load_dwordx4 v[22:25], v[22:23], off
.LBB461_54:
	s_or_b64 exec, exec, s[2:3]
	v_mov_b32_e32 v33, 0
	v_mov_b32_e32 v26, 0
	;; [unrolled: 1-line block ×5, first 2 shown]
	s_and_saveexec_b64 s[2:3], vcc
	s_cbranch_execz .LBB461_56
; %bb.55:
	v_mov_b32_e32 v31, 0
	v_lshl_add_u64 v[26:27], s[4:5], 0, v[30:31]
	v_lshlrev_b32_e32 v30, 1, v36
	v_lshl_add_u64 v[26:27], v[26:27], 0, v[30:31]
	global_load_dwordx4 v[26:29], v[26:27], off offset:128
.LBB461_56:
	s_or_b64 exec, exec, s[2:3]
	v_mov_b32_e32 v32, 0
	v_mov_b32_e32 v31, 0
	;; [unrolled: 1-line block ×3, first 2 shown]
	s_and_saveexec_b64 s[2:3], s[0:1]
	s_cbranch_execz .LBB461_58
; %bb.57:
	v_mov_b32_e32 v39, 0
	v_lshl_add_u64 v[30:31], s[4:5], 0, v[38:39]
	v_lshlrev_b32_e32 v38, 1, v36
	v_lshl_add_u64 v[30:31], v[30:31], 0, v[38:39]
	global_load_dwordx4 v[30:33], v[30:31], off offset:128
.LBB461_58:
	s_or_b64 exec, exec, s[2:3]
	s_branch .LBB461_61
.LBB461_59:
                                        ; implicit-def: $vgpr21
                                        ; implicit-def: $vgpr25
                                        ; implicit-def: $vgpr29
                                        ; implicit-def: $vgpr33
	s_cbranch_execz .LBB461_61
; %bb.60:
	s_waitcnt vmcnt(0)
	v_lshlrev_b32_e32 v18, 1, v36
	v_lshl_or_b32 v36, v35, 9, v18
	s_and_b32 s5, s5, 0xffff
	s_mov_b32 s7, 0x20000
	s_movk_i32 s6, 0x4000
	s_movk_i32 s0, 0x80
	buffer_load_dwordx4 v[18:21], v36, s[4:7], 0 offen
	buffer_load_dwordx4 v[22:25], v36, s[4:7], 0 offen offset:256
	buffer_load_dwordx4 v[26:29], v36, s[4:7], s0 offen
	buffer_load_dwordx4 v[30:33], v36, s[4:7], s0 offen offset:256
.LBB461_61:
	ds_read_b64 v[38:39], v44 offset:32768
	v_add_u32_e32 v36, 0xb000, v42
	ds_read2_b64 v[54:57], v36 offset1:16
	ds_read_b64 v[50:51], v45 offset:32768
	ds_read_b64 v[58:59], v46 offset:32768
	;; [unrolled: 1-line block ×3, first 2 shown]
	ds_read2st64_b64 v[44:47], v42 offset0:90 offset1:92
	v_and_b32_e32 v36, 12, v48
	v_and_b32_e32 v48, 6, v0
	v_xor_b32_e32 v35, v35, v48
	v_lshlrev_b32_e32 v35, 2, v35
	s_mov_b32 s0, 0x1000504
	s_waitcnt lgkmcnt(4)
	v_mfma_f32_16x16x16_bf16 a[0:3], v[38:39], v[54:55], a[0:3]
	s_mov_b32 s1, 0x3020706
	v_mfma_f32_16x16x16_bf16 a[4:7], v[38:39], v[56:57], a[4:7]
	ds_read2st64_b64 v[54:57], v43 offset0:90 offset1:92
	s_waitcnt lgkmcnt(1)
	v_mfma_f32_16x16x16_bf16 a[0:3], v[50:51], v[44:45], a[0:3]
	ds_read_b64 v[38:39], v42 offset:48128
	ds_read_b64 v[44:45], v43 offset:48128
	s_waitcnt lgkmcnt(2)
	v_mfma_f32_16x16x16_bf16 a[4:7], v[50:51], v[54:55], a[4:7]
	v_mfma_f32_16x16x16_bf16 a[0:3], v[58:59], v[46:47], a[0:3]
	v_and_b32_e32 v46, 1, v0
	v_xor_b32_e32 v47, 0x440, v35
	v_cmp_eq_u32_e32 vcc, 0, v46
	v_mfma_f32_16x16x16_bf16 a[8:11], v[58:59], v[56:57], a[4:7]
	s_nop 0
	v_cndmask_b32_e32 v35, v47, v35, vcc
	v_lshl_or_b32 v35, v48, 10, v35
	s_waitcnt lgkmcnt(1)
	v_mfma_f32_16x16x16_bf16 a[4:7], v[60:61], v[38:39], a[0:3]
	s_waitcnt vmcnt(0)
	v_perm_b32 v38, v18, v22, s0
	v_perm_b32 v39, v26, v30, s0
	ds_write2st64_b32 v35, v38, v39 offset0:32 offset1:64
	v_xor_b32_e32 v38, 8, v35
	v_perm_b32 v18, v18, v22, s1
	v_perm_b32 v22, v26, v30, s1
	v_add_u32_e32 v26, 0x80, v38
	ds_write2st64_b32 v26, v18, v22 offset0:32 offset1:64
	v_xor_b32_e32 v18, 16, v35
	v_perm_b32 v22, v19, v23, s0
	v_perm_b32 v26, v27, v31, s0
	ds_write2st64_b32 v18, v22, v26 offset0:33 offset1:65
	v_xor_b32_e32 v18, 24, v35
	v_perm_b32 v19, v19, v23, s1
	v_perm_b32 v22, v27, v31, s1
	v_add_u32_e32 v18, 0x80, v18
	ds_write2st64_b32 v18, v19, v22 offset0:33 offset1:65
	v_xor_b32_e32 v18, 32, v35
	v_perm_b32 v19, v20, v24, s0
	v_perm_b32 v22, v28, v32, s0
	ds_write2st64_b32 v18, v19, v22 offset0:34 offset1:66
	v_xor_b32_e32 v18, 40, v35
	s_waitcnt lgkmcnt(5)
	v_mfma_f32_16x16x16_bf16 a[0:3], v[60:61], v[44:45], a[8:11]
	v_perm_b32 v19, v20, v24, s1
	v_perm_b32 v20, v28, v32, s1
	v_add_u32_e32 v18, 0x80, v18
	ds_write2st64_b32 v18, v19, v20 offset0:34 offset1:66
	v_xor_b32_e32 v18, 48, v35
	v_perm_b32 v19, v21, v25, s0
	v_perm_b32 v20, v29, v33, s0
	ds_write2st64_b32 v18, v19, v20 offset0:35 offset1:67
	v_xor_b32_e32 v18, 56, v35
	v_or_b32_e32 v38, v36, v62
	v_perm_b32 v19, v21, v25, s1
	v_perm_b32 v20, v29, v33, s1
	v_add_u32_e32 v18, 0x80, v18
	v_cmp_gt_i32_e32 vcc, s47, v38
	v_mov_b32_e32 v39, 0
	v_mov_b32_e32 v45, 0
	ds_write2st64_b32 v18, v19, v20 offset0:35 offset1:67
	s_and_saveexec_b64 s[0:1], vcc
	s_cbranch_execz .LBB461_63
; %bb.62:
	v_add_u32_e32 v18, s46, v38
	v_ashrrev_i32_e32 v19, 31, v18
	v_mul_lo_u32 v20, v19, s38
	v_mul_lo_u32 v21, v18, s39
	v_mad_u64_u32 v[18:19], s[2:3], v18, s38, 0
	v_add3_u32 v19, v19, v21, v20
	v_lshl_add_u64 v[18:19], v[18:19], 2, s[10:11]
	global_load_dword v18, v[18:19], off
	s_waitcnt vmcnt(0)
	v_sub_f32_e32 v18, s12, v18
	v_mul_f32_e32 v18, 0x3fb8aa3b, v18
	v_exp_f32_e32 v45, v18
.LBB461_63:
	s_or_b64 exec, exec, s[0:1]
	v_or_b32_e32 v29, 1, v38
	v_cmp_gt_i32_e64 s[0:1], s47, v29
	s_and_saveexec_b64 s[2:3], s[0:1]
	s_cbranch_execz .LBB461_65
; %bb.64:
	v_add_u32_e32 v18, s46, v29
	v_ashrrev_i32_e32 v19, 31, v18
	v_mul_lo_u32 v20, v19, s38
	v_mul_lo_u32 v21, v18, s39
	v_mad_u64_u32 v[18:19], s[4:5], v18, s38, 0
	v_add3_u32 v19, v19, v21, v20
	v_lshl_add_u64 v[18:19], v[18:19], 2, s[10:11]
	global_load_dword v18, v[18:19], off
	s_waitcnt vmcnt(0)
	v_sub_f32_e32 v18, s12, v18
	v_mul_f32_e32 v18, 0x3fb8aa3b, v18
	v_exp_f32_e32 v39, v18
.LBB461_65:
	s_or_b64 exec, exec, s[2:3]
	v_or_b32_e32 v28, 2, v38
	v_cmp_gt_i32_e64 s[2:3], s47, v28
	v_mov_b32_e32 v44, 0
	v_mov_b32_e32 v46, 0
	s_and_saveexec_b64 s[4:5], s[2:3]
	s_cbranch_execz .LBB461_67
; %bb.66:
	v_add_u32_e32 v18, s46, v28
	v_ashrrev_i32_e32 v19, 31, v18
	v_mul_lo_u32 v20, v19, s38
	v_mul_lo_u32 v21, v18, s39
	v_mad_u64_u32 v[18:19], s[6:7], v18, s38, 0
	v_add3_u32 v19, v19, v21, v20
	v_lshl_add_u64 v[18:19], v[18:19], 2, s[10:11]
	global_load_dword v18, v[18:19], off
	s_waitcnt vmcnt(0)
	v_sub_f32_e32 v18, s12, v18
	v_mul_f32_e32 v18, 0x3fb8aa3b, v18
	v_exp_f32_e32 v46, v18
.LBB461_67:
	s_or_b64 exec, exec, s[4:5]
	v_or_b32_e32 v47, 3, v38
	v_cmp_gt_i32_e64 s[4:5], s47, v47
	s_and_saveexec_b64 s[6:7], s[4:5]
	s_cbranch_execz .LBB461_69
; %bb.68:
	v_add_u32_e32 v18, s46, v47
	v_ashrrev_i32_e32 v19, 31, v18
	v_mul_lo_u32 v20, v19, s38
	v_mul_lo_u32 v21, v18, s39
	v_mad_u64_u32 v[18:19], s[20:21], v18, s38, 0
	v_add3_u32 v19, v19, v21, v20
	v_lshl_add_u64 v[18:19], v[18:19], 2, s[10:11]
	global_load_dword v18, v[18:19], off
	s_waitcnt vmcnt(0)
	v_sub_f32_e32 v18, s12, v18
	v_mul_f32_e32 v18, 0x3fb8aa3b, v18
	v_exp_f32_e32 v44, v18
.LBB461_69:
	s_or_b64 exec, exec, s[6:7]
	s_add_u32 s6, s8, s30
	s_addc_u32 s7, s9, s31
	s_add_u32 s8, s18, s30
	v_ashrrev_i32_e32 v35, 31, v34
	v_accvgpr_read_b32 v21, a7
	s_addc_u32 s9, s19, s31
	v_lshlrev_b64 v[22:23], 1, v[34:35]
	v_accvgpr_read_b32 v20, a6
	v_accvgpr_read_b32 v19, a5
	;; [unrolled: 1-line block ×3, first 2 shown]
	v_lshl_add_u64 v[24:25], s[6:7], 0, v[22:23]
	v_lshl_add_u64 v[22:23], s[8:9], 0, v[22:23]
	v_mov_b32_e32 v31, 0
	v_lshlrev_b32_e32 v26, 8, v38
	v_mov_b32_e32 v27, 0
	s_and_saveexec_b64 s[6:7], vcc
	s_cbranch_execz .LBB461_71
; %bb.70:
	v_mov_b32_e32 v27, 0
	v_lshl_add_u64 v[32:33], v[24:25], 0, v[26:27]
	global_load_ushort v30, v[32:33], off
	v_lshl_add_u64 v[32:33], v[22:23], 0, v[26:27]
	s_waitcnt vmcnt(0)
	v_lshlrev_b32_e32 v27, 16, v30
	v_sub_f32_e32 v18, v27, v18
	global_store_short_d16_hi v[32:33], v18, off
	v_mul_f32_e32 v18, v45, v18
	v_lshrrev_b32_e32 v27, 16, v18
.LBB461_71:
	s_or_b64 exec, exec, s[6:7]
	v_lshlrev_b32_e32 v30, 8, v29
	s_and_saveexec_b64 s[6:7], s[0:1]
	s_cbranch_execz .LBB461_73
; %bb.72:
	v_mov_b32_e32 v31, 0
	v_lshl_add_u64 v[32:33], v[24:25], 0, v[30:31]
	global_load_ushort v18, v[32:33], off
	v_lshl_add_u64 v[32:33], v[22:23], 0, v[30:31]
	s_waitcnt vmcnt(0)
	v_lshlrev_b32_e32 v18, 16, v18
	v_sub_f32_e32 v18, v18, v19
	global_store_short_d16_hi v[32:33], v18, off
	v_mul_f32_e32 v18, v39, v18
	v_lshrrev_b32_e32 v31, 16, v18
.LBB461_73:
	s_or_b64 exec, exec, s[6:7]
	v_mov_b32_e32 v29, 0
	v_lshlrev_b32_e32 v32, 8, v28
	v_mov_b32_e32 v33, 0
	s_and_saveexec_b64 s[6:7], s[2:3]
	s_cbranch_execz .LBB461_75
; %bb.74:
	v_mov_b32_e32 v33, 0
	v_lshl_add_u64 v[18:19], v[24:25], 0, v[32:33]
	global_load_ushort v28, v[18:19], off
	v_lshl_add_u64 v[18:19], v[22:23], 0, v[32:33]
	s_waitcnt vmcnt(0)
	v_lshlrev_b32_e32 v28, 16, v28
	v_sub_f32_e32 v20, v28, v20
	global_store_short_d16_hi v[18:19], v20, off
	v_mul_f32_e32 v18, v46, v20
	v_lshrrev_b32_e32 v33, 16, v18
.LBB461_75:
	s_or_b64 exec, exec, s[6:7]
	v_lshlrev_b32_e32 v28, 8, v47
	s_and_saveexec_b64 s[6:7], s[4:5]
	s_cbranch_execz .LBB461_77
; %bb.76:
	v_mov_b32_e32 v29, 0
	v_lshl_add_u64 v[18:19], v[24:25], 0, v[28:29]
	global_load_ushort v20, v[18:19], off
	v_lshl_add_u64 v[18:19], v[22:23], 0, v[28:29]
	s_waitcnt vmcnt(0)
	v_lshlrev_b32_e32 v20, 16, v20
	v_sub_f32_e32 v20, v20, v21
	global_store_short_d16_hi v[18:19], v20, off
	v_mul_f32_e32 v18, v44, v20
	v_lshrrev_b32_e32 v29, 16, v18
.LBB461_77:
	s_or_b64 exec, exec, s[6:7]
	v_lshlrev_b32_e32 v35, 5, v38
	s_mov_b32 s6, 0x5040100
	v_perm_b32 v48, v31, v27, s6
	v_or_b32_e32 v27, v35, v40
	v_accvgpr_read_b32 v21, a3
	v_perm_b32 v49, v29, v33, s6
	v_lshlrev_b32_e32 v27, 1, v27
	v_accvgpr_read_b32 v20, a2
	v_accvgpr_read_b32 v19, a1
	v_accvgpr_read_b32 v18, a0
	ds_write_b64 v27, v[48:49] offset:45056
	v_mov_b32_e32 v31, 0
	v_mov_b32_e32 v27, 0
	s_and_saveexec_b64 s[6:7], vcc
	s_cbranch_execz .LBB461_79
; %bb.78:
	v_mov_b32_e32 v27, 0
	v_lshl_add_u64 v[48:49], v[24:25], 0, v[26:27]
	global_load_ushort v29, v[48:49], off offset:32
	v_lshl_add_u64 v[26:27], v[22:23], 0, v[26:27]
	s_waitcnt vmcnt(0)
	v_lshlrev_b32_e32 v29, 16, v29
	v_sub_f32_e32 v18, v29, v18
	global_store_short_d16_hi v[26:27], v18, off offset:32
	v_mul_f32_e32 v18, v45, v18
	v_lshrrev_b32_e32 v27, 16, v18
.LBB461_79:
	s_or_b64 exec, exec, s[6:7]
	s_and_saveexec_b64 s[6:7], s[0:1]
	s_cbranch_execz .LBB461_81
; %bb.80:
	v_mov_b32_e32 v31, 0
	v_lshl_add_u64 v[48:49], v[24:25], 0, v[30:31]
	global_load_ushort v18, v[48:49], off offset:32
	v_lshl_add_u64 v[30:31], v[22:23], 0, v[30:31]
	s_waitcnt vmcnt(0)
	v_lshlrev_b32_e32 v18, 16, v18
	v_sub_f32_e32 v18, v18, v19
	global_store_short_d16_hi v[30:31], v18, off offset:32
	v_mul_f32_e32 v18, v39, v18
	v_lshrrev_b32_e32 v31, 16, v18
.LBB461_81:
	s_or_b64 exec, exec, s[6:7]
	v_mov_b32_e32 v26, 0
	v_mov_b32_e32 v30, 0
	s_and_saveexec_b64 s[0:1], s[2:3]
	s_cbranch_execz .LBB461_83
; %bb.82:
	v_mov_b32_e32 v33, 0
	v_lshl_add_u64 v[18:19], v[24:25], 0, v[32:33]
	global_load_ushort v29, v[18:19], off offset:32
	v_lshl_add_u64 v[18:19], v[22:23], 0, v[32:33]
	s_waitcnt vmcnt(0)
	v_lshlrev_b32_e32 v29, 16, v29
	v_sub_f32_e32 v20, v29, v20
	global_store_short_d16_hi v[18:19], v20, off offset:32
	v_mul_f32_e32 v18, v46, v20
	v_lshrrev_b32_e32 v30, 16, v18
.LBB461_83:
	s_or_b64 exec, exec, s[0:1]
	v_or_b32_e32 v19, 0xb000, v42
	v_or_b32_e32 v18, 0xb000, v43
	s_and_saveexec_b64 s[0:1], s[4:5]
	s_cbranch_execz .LBB461_85
; %bb.84:
	v_mov_b32_e32 v29, 0
	v_lshl_add_u64 v[24:25], v[24:25], 0, v[28:29]
	global_load_ushort v20, v[24:25], off offset:32
	v_lshl_add_u64 v[22:23], v[22:23], 0, v[28:29]
	s_waitcnt vmcnt(0)
	v_lshlrev_b32_e32 v20, 16, v20
	v_sub_f32_e32 v20, v20, v21
	global_store_short_d16_hi v[22:23], v20, off offset:32
	v_mul_f32_e32 v20, v44, v20
	v_lshrrev_b32_e32 v26, 16, v20
.LBB461_85:
	s_or_b64 exec, exec, s[0:1]
	s_mov_b32 s0, 0x5040100
	v_or_b32_e32 v22, v35, v37
	v_perm_b32 v21, v26, v30, s0
	v_perm_b32 v20, v31, v27, s0
	v_lshlrev_b32_e32 v22, 1, v22
	s_movk_i32 s2, 0x100
	ds_write_b64 v22, v[20:21] offset:45056
	v_and_b32_e32 v20, 7, v0
	v_and_b32_e32 v21, 8, v0
	v_cmp_gt_u32_e32 vcc, s2, v0
	v_lshrrev_b32_e32 v0, 1, v0
	v_lshlrev_b32_e32 v26, 3, v20
	v_lshlrev_b32_e32 v35, 7, v20
	v_mov_b32_e32 v20, 0x4000
	v_mov_b32_e32 v22, 0x2000
	v_lshlrev_b32_e32 v24, 3, v53
	v_and_b32_e32 v0, 24, v0
	v_cndmask_b32_e32 v27, v20, v22, vcc
	v_xor_b32_e32 v20, v24, v0
	v_or_b32_e32 v22, 0x440, v20
	v_cmp_eq_u32_e32 vcc, 0, v21
	v_or_b32_e32 v28, 32, v0
	v_xor_b32_e32 v28, v24, v28
	v_cndmask_b32_e32 v20, v22, v20, vcc
	v_or_b32_e32 v20, v20, v41
	v_xor_b32_e32 v48, v20, v26
	v_or_b32_e32 v29, 0x440, v28
	v_add3_u32 v25, v27, v48, v35
	v_cndmask_b32_e32 v28, v29, v28, vcc
	v_or_b32_e32 v29, 64, v0
	v_or_b32_e32 v0, 0x60, v0
	s_waitcnt lgkmcnt(0)
	s_barrier
	v_xor_b32_e32 v29, v24, v29
	v_xor_b32_e32 v0, v24, v0
	ds_read_b64 v[24:25], v25
	v_xor_b32_e32 v30, 0x440, v29
	ds_read2_b64 v[20:23], v19 offset1:16
	v_cndmask_b32_e32 v29, v30, v29, vcc
	v_xor_b32_e32 v30, 0x440, v0
	v_or_b32_e32 v28, v28, v41
	v_or_b32_e32 v29, v29, v41
	v_cndmask_b32_e32 v0, v30, v0, vcc
	s_add_i32 s0, s16, s48
	v_xor_b32_e32 v50, v28, v26
	v_xor_b32_e32 v51, v29, v26
	v_or_b32_e32 v0, v0, v41
	s_mul_hi_i32 s1, s0, s13
	v_add3_u32 v28, v27, v50, v35
	v_add3_u32 v29, v27, v51, v35
	v_xor_b32_e32 v52, v0, v26
	s_mul_i32 s0, s0, s13
	v_add3_u32 v0, v27, v52, v35
	ds_read_b64 v[26:27], v28
	ds_read_b64 v[32:33], v29
	;; [unrolled: 1-line block ×3, first 2 shown]
	s_add_u32 s0, s0, s33
	ds_read2st64_b64 v[28:31], v19 offset0:2 offset1:4
	ds_read2st64_b64 v[40:43], v18 offset0:2 offset1:4
	s_waitcnt lgkmcnt(5)
	v_mfma_f32_16x16x16_bf16 a[0:3], v[24:25], v[20:21], 0
	s_addc_u32 s1, s1, s14
	s_lshl_b64 s[0:1], s[0:1], 9
	s_add_u32 s0, s36, s0
	v_mfma_f32_16x16x16_bf16 a[4:7], v[24:25], v[22:23], 0
	s_addc_u32 s1, s37, s1
	v_lshlrev_b32_e32 v0, 2, v38
	v_lshlrev_b32_e32 v36, 2, v36
	s_waitcnt lgkmcnt(1)
	v_mfma_f32_16x16x16_bf16 a[0:3], v[26:27], v[28:29], a[0:3]
	ds_read_b64 v[46:47], v19 offset:3072
	s_waitcnt lgkmcnt(1)
	v_mfma_f32_16x16x16_bf16 a[4:7], v[26:27], v[40:41], a[4:7]
	global_load_dwordx4 v[24:27], v0, s[0:1]
	v_lshlrev_b32_e32 v0, 6, v53
	v_or3_b32 v0, v0, v36, s2
	global_load_dwordx4 v[36:39], v0, s[0:1]
	v_mfma_f32_16x16x16_bf16 a[0:3], v[32:33], v[30:31], a[0:3]
	v_mov_b32_e32 v0, 0x3fb8aa3b
	v_mul_f32_e32 v0, s12, v0
	v_exp_f32_e32 v0, v0
	v_mfma_f32_16x16x16_bf16 a[4:7], v[32:33], v[42:43], a[4:7]
	ds_read_b64 v[32:33], v18 offset:3072
	s_waitcnt vmcnt(1)
	v_mul_f32_e32 v18, 0x3fb8aa3b, v24
	v_mul_f32_e32 v19, 0x3fb8aa3b, v25
	s_waitcnt lgkmcnt(1)
	v_mfma_f32_16x16x16_bf16 a[0:3], v[44:45], v[46:47], a[0:3]
	v_exp_f32_e32 v18, v18
	v_exp_f32_e32 v19, v19
	v_mul_f32_e32 v24, 0x3fb8aa3b, v26
	v_mul_f32_e32 v25, 0x3fb8aa3b, v27
	v_exp_f32_e32 v24, v24
	v_exp_f32_e32 v25, v25
	s_nop 0
	v_accvgpr_read_b32 v27, a3
	v_accvgpr_read_b32 v26, a2
	s_waitcnt lgkmcnt(0)
	v_mfma_f32_16x16x16_bf16 a[2:5], v[44:45], v[32:33], a[4:7]
	v_pk_mul_f32 v[44:45], v[0:1], v[18:19] op_sel_hi:[0,1]
	v_add_u32_e32 v18, v48, v35
	ds_read_b64 v[48:49], v18 offset:16384
	v_accvgpr_read_b32 v19, a1
	v_accvgpr_read_b32 v18, a0
	v_pk_fma_f32 v[18:19], v[2:3], v[44:45], v[18:19]
	v_add_u32_e32 v2, v50, v35
	v_add_u32_e32 v50, v51, v35
	s_waitcnt lgkmcnt(0)
	v_mfma_f32_16x16x16_bf16 a[6:9], v[48:49], v[20:21], 0
	v_add_u32_e32 v35, v52, v35
	ds_read_b64 v[2:3], v2 offset:16384
	ds_read_b64 v[50:51], v50 offset:16384
	;; [unrolled: 1-line block ×3, first 2 shown]
	v_pk_mul_f32 v[24:25], v[0:1], v[24:25] op_sel_hi:[0,1]
	v_pk_fma_f32 v[20:21], v[4:5], v[24:25], v[26:27]
	v_accvgpr_read_b32 v4, a2
	v_mfma_f32_16x16x16_bf16 a[10:13], v[48:49], v[22:23], 0
	v_fma_f32 v26, v10, v44, v4
	v_accvgpr_read_b32 v4, a3
	v_fma_f32 v27, v11, v45, v4
	s_waitcnt lgkmcnt(2)
	v_mfma_f32_16x16x16_bf16 a[0:3], v[2:3], v[28:29], a[6:9]
	v_accvgpr_read_b32 v4, a4
	v_accvgpr_read_b32 v29, a5
	v_fma_f32 v28, v12, v24, v4
	v_mfma_f32_16x16x16_bf16 a[4:7], v[2:3], v[40:41], a[10:13]
	s_waitcnt vmcnt(0)
	v_mov_b32_e32 v2, v37
	v_mov_b32_e32 v3, v38
	;; [unrolled: 1-line block ×3, first 2 shown]
	s_waitcnt lgkmcnt(1)
	v_mfma_f32_16x16x16_bf16 a[0:3], v[50:51], v[30:31], a[0:3]
	v_mul_f32_e32 v2, 0x3fb8aa3b, v2
	v_mul_f32_e32 v5, 0x3fb8aa3b, v36
	v_exp_f32_e32 v11, v2
	v_mfma_f32_16x16x16_bf16 a[4:7], v[50:51], v[42:43], a[4:7]
	v_mul_f32_e32 v2, 0x3fb8aa3b, v3
	v_mul_f32_e32 v3, 0x3fb8aa3b, v4
	v_exp_f32_e32 v10, v5
	s_waitcnt lgkmcnt(0)
	v_mfma_f32_16x16x16_bf16 a[0:3], v[52:53], v[46:47], a[0:3]
	v_exp_f32_e32 v2, v2
	v_exp_f32_e32 v3, v3
	v_pk_mul_f32 v[10:11], v[0:1], v[10:11] op_sel_hi:[0,1]
	v_fmac_f32_e32 v29, v13, v25
	v_mov_b32_e32 v35, v34
	v_pk_mul_f32 v[2:3], v[0:1], v[2:3] op_sel_hi:[0,1]
	s_nop 0
	v_accvgpr_read_b32 v5, a3
	v_accvgpr_read_b32 v4, a2
	v_mfma_f32_16x16x16_bf16 a[2:5], v[52:53], v[32:33], a[4:7]
	v_accvgpr_read_b32 v13, a1
	v_accvgpr_read_b32 v12, a0
	v_pk_fma_f32 v[22:23], v[6:7], v[10:11], v[12:13]
	v_pk_fma_f32 v[24:25], v[8:9], v[2:3], v[4:5]
	s_nop 2
	v_accvgpr_read_b32 v0, a2
	v_fma_f32 v30, v14, v10, v0
	v_accvgpr_read_b32 v0, a3
	v_fma_f32 v31, v15, v11, v0
	v_accvgpr_read_b32 v0, a4
	v_accvgpr_read_b32 v33, a5
	v_fma_f32 v32, v16, v2, v0
	v_fmac_f32_e32 v33, v17, v3
	v_mov_b64_e32 v[2:3], v[18:19]
	v_mov_b64_e32 v[4:5], v[20:21]
	;; [unrolled: 1-line block ×8, first 2 shown]
.LBB461_86:
	s_lshl_b64 s[0:1], s[28:29], 16
	s_add_u32 s0, s34, s0
	v_lshlrev_b32_e32 v18, 7, v35
	s_addc_u32 s1, s35, s1
	v_ashrrev_i32_e32 v19, 31, v18
	v_lshl_add_u64 v[20:21], v[18:19], 2, s[0:1]
	v_lshlrev_b32_e32 v0, 2, v1
	v_mov_b32_e32 v1, 0
	v_lshl_add_u64 v[20:21], v[20:21], 0, v[0:1]
	global_store_dwordx4 v[20:21], v[2:5], off
	global_store_dwordx4 v[20:21], v[6:9], off offset:256
	s_nop 0
	v_or_b32_e32 v2, 0x800, v18
	v_ashrrev_i32_e32 v3, 31, v2
	v_lshl_add_u64 v[2:3], v[2:3], 2, s[0:1]
	v_lshl_add_u64 v[0:1], v[2:3], 0, v[0:1]
	global_store_dwordx4 v[0:1], v[10:13], off
	global_store_dwordx4 v[0:1], v[14:17], off offset:256
	s_endpgm
	.section	.rodata,"a",@progbits
	.p2align	6, 0x0
	.amdhsa_kernel _ZN12_GLOBAL__N_139chunk_gated_delta_rule_fwd_h_hip_kernelILi32ELb0ELb1ELb1ELb0ELb0ELb1ELb1ELb0EEEvPK12hip_bfloat16S3_S3_PKfS5_PKvPS1_S8_PvPKiSB_iiiiilll
		.amdhsa_group_segment_fixed_size 49152
		.amdhsa_private_segment_fixed_size 0
		.amdhsa_kernarg_size 136
		.amdhsa_user_sgpr_count 2
		.amdhsa_user_sgpr_dispatch_ptr 0
		.amdhsa_user_sgpr_queue_ptr 0
		.amdhsa_user_sgpr_kernarg_segment_ptr 1
		.amdhsa_user_sgpr_dispatch_id 0
		.amdhsa_user_sgpr_kernarg_preload_length 0
		.amdhsa_user_sgpr_kernarg_preload_offset 0
		.amdhsa_user_sgpr_private_segment_size 0
		.amdhsa_uses_dynamic_stack 0
		.amdhsa_enable_private_segment 0
		.amdhsa_system_sgpr_workgroup_id_x 1
		.amdhsa_system_sgpr_workgroup_id_y 1
		.amdhsa_system_sgpr_workgroup_id_z 0
		.amdhsa_system_sgpr_workgroup_info 0
		.amdhsa_system_vgpr_workitem_id 0
		.amdhsa_next_free_vgpr 168
		.amdhsa_next_free_sgpr 72
		.amdhsa_accum_offset 144
		.amdhsa_reserve_vcc 1
		.amdhsa_float_round_mode_32 0
		.amdhsa_float_round_mode_16_64 0
		.amdhsa_float_denorm_mode_32 3
		.amdhsa_float_denorm_mode_16_64 3
		.amdhsa_dx10_clamp 1
		.amdhsa_ieee_mode 1
		.amdhsa_fp16_overflow 0
		.amdhsa_tg_split 0
		.amdhsa_exception_fp_ieee_invalid_op 0
		.amdhsa_exception_fp_denorm_src 0
		.amdhsa_exception_fp_ieee_div_zero 0
		.amdhsa_exception_fp_ieee_overflow 0
		.amdhsa_exception_fp_ieee_underflow 0
		.amdhsa_exception_fp_ieee_inexact 0
		.amdhsa_exception_int_div_zero 0
	.end_amdhsa_kernel
	.section	.text._ZN12_GLOBAL__N_139chunk_gated_delta_rule_fwd_h_hip_kernelILi32ELb0ELb1ELb1ELb0ELb0ELb1ELb1ELb0EEEvPK12hip_bfloat16S3_S3_PKfS5_PKvPS1_S8_PvPKiSB_iiiiilll,"axG",@progbits,_ZN12_GLOBAL__N_139chunk_gated_delta_rule_fwd_h_hip_kernelILi32ELb0ELb1ELb1ELb0ELb0ELb1ELb1ELb0EEEvPK12hip_bfloat16S3_S3_PKfS5_PKvPS1_S8_PvPKiSB_iiiiilll,comdat
.Lfunc_end461:
	.size	_ZN12_GLOBAL__N_139chunk_gated_delta_rule_fwd_h_hip_kernelILi32ELb0ELb1ELb1ELb0ELb0ELb1ELb1ELb0EEEvPK12hip_bfloat16S3_S3_PKfS5_PKvPS1_S8_PvPKiSB_iiiiilll, .Lfunc_end461-_ZN12_GLOBAL__N_139chunk_gated_delta_rule_fwd_h_hip_kernelILi32ELb0ELb1ELb1ELb0ELb0ELb1ELb1ELb0EEEvPK12hip_bfloat16S3_S3_PKfS5_PKvPS1_S8_PvPKiSB_iiiiilll
                                        ; -- End function
	.section	.AMDGPU.csdata,"",@progbits
; Kernel info:
; codeLenInByte = 10160
; NumSgprs: 78
; NumVgprs: 142
; NumAgprs: 24
; TotalNumVgprs: 168
; ScratchSize: 0
; MemoryBound: 0
; FloatMode: 240
; IeeeMode: 1
; LDSByteSize: 49152 bytes/workgroup (compile time only)
; SGPRBlocks: 9
; VGPRBlocks: 20
; NumSGPRsForWavesPerEU: 78
; NumVGPRsForWavesPerEU: 168
; AccumOffset: 144
; Occupancy: 1
; WaveLimiterHint : 1
; COMPUTE_PGM_RSRC2:SCRATCH_EN: 0
; COMPUTE_PGM_RSRC2:USER_SGPR: 2
; COMPUTE_PGM_RSRC2:TRAP_HANDLER: 0
; COMPUTE_PGM_RSRC2:TGID_X_EN: 1
; COMPUTE_PGM_RSRC2:TGID_Y_EN: 1
; COMPUTE_PGM_RSRC2:TGID_Z_EN: 0
; COMPUTE_PGM_RSRC2:TIDIG_COMP_CNT: 0
; COMPUTE_PGM_RSRC3_GFX90A:ACCUM_OFFSET: 35
; COMPUTE_PGM_RSRC3_GFX90A:TG_SPLIT: 0
	.section	.text._ZN12_GLOBAL__N_139chunk_gated_delta_rule_fwd_h_hip_kernelILi32ELb0ELb1ELb0ELb0ELb0ELb1ELb1ELb0EEEvPK12hip_bfloat16S3_S3_PKfS5_PKvPS1_S8_PvPKiSB_iiiiilll,"axG",@progbits,_ZN12_GLOBAL__N_139chunk_gated_delta_rule_fwd_h_hip_kernelILi32ELb0ELb1ELb0ELb0ELb0ELb1ELb1ELb0EEEvPK12hip_bfloat16S3_S3_PKfS5_PKvPS1_S8_PvPKiSB_iiiiilll,comdat
	.globl	_ZN12_GLOBAL__N_139chunk_gated_delta_rule_fwd_h_hip_kernelILi32ELb0ELb1ELb0ELb0ELb0ELb1ELb1ELb0EEEvPK12hip_bfloat16S3_S3_PKfS5_PKvPS1_S8_PvPKiSB_iiiiilll ; -- Begin function _ZN12_GLOBAL__N_139chunk_gated_delta_rule_fwd_h_hip_kernelILi32ELb0ELb1ELb0ELb0ELb0ELb1ELb1ELb0EEEvPK12hip_bfloat16S3_S3_PKfS5_PKvPS1_S8_PvPKiSB_iiiiilll
	.p2align	8
	.type	_ZN12_GLOBAL__N_139chunk_gated_delta_rule_fwd_h_hip_kernelILi32ELb0ELb1ELb0ELb0ELb0ELb1ELb1ELb0EEEvPK12hip_bfloat16S3_S3_PKfS5_PKvPS1_S8_PvPKiSB_iiiiilll,@function
_ZN12_GLOBAL__N_139chunk_gated_delta_rule_fwd_h_hip_kernelILi32ELb0ELb1ELb0ELb0ELb0ELb1ELb1ELb0EEEvPK12hip_bfloat16S3_S3_PKfS5_PKvPS1_S8_PvPKiSB_iiiiilll: ; @_ZN12_GLOBAL__N_139chunk_gated_delta_rule_fwd_h_hip_kernelILi32ELb0ELb1ELb0ELb0ELb0ELb1ELb1ELb0EEEvPK12hip_bfloat16S3_S3_PKfS5_PKvPS1_S8_PvPKiSB_iiiiilll
; %bb.0:
	s_load_dwordx4 s[12:15], s[0:1], 0x5c
	s_load_dwordx4 s[16:19], s[0:1], 0x70
	s_abs_i32 s22, s3
	s_ashr_i32 s21, s3, 31
	s_load_dwordx8 s[4:11], s[0:1], 0x0
	s_load_dwordx2 s[30:31], s[0:1], 0x20
	s_waitcnt lgkmcnt(0)
	s_abs_i32 s20, s13
	v_cvt_f32_u32_e32 v1, s20
	s_sub_i32 s24, 0, s20
	s_ashr_i32 s23, s13, 31
	s_xor_b32 s21, s21, s23
	v_rcp_iflag_f32_e32 v1, v1
	s_load_dwordx2 s[28:29], s[0:1], 0x40
	s_load_dwordx2 s[38:39], s[0:1], 0x30
	;; [unrolled: 1-line block ×3, first 2 shown]
	v_lshrrev_b32_e32 v53, 6, v0
	v_mul_f32_e32 v1, 0x4f7ffffe, v1
	v_cvt_u32_f32_e32 v1, v1
	v_bfe_u32 v62, v0, 4, 2
	v_lshlrev_b32_e32 v60, 4, v53
	v_lshlrev_b32_e32 v18, 2, v62
	v_readfirstlane_b32 s25, v1
	s_mul_i32 s24, s24, s25
	s_mul_hi_u32 s24, s25, s24
	s_add_i32 s25, s25, s24
	s_mul_hi_u32 s24, s22, s25
	s_mul_i32 s25, s24, s20
	s_sub_i32 s22, s22, s25
	s_add_i32 s25, s24, 1
	s_sub_i32 s26, s22, s20
	s_cmp_ge_u32 s22, s20
	s_cselect_b32 s24, s25, s24
	s_cselect_b32 s22, s26, s22
	s_add_i32 s25, s24, 1
	s_cmp_ge_u32 s22, s20
	s_cselect_b32 s22, s25, s24
	s_xor_b32 s22, s22, s21
	s_sub_i32 s50, s22, s21
	s_abs_i32 s21, s14
	v_cvt_f32_u32_e32 v1, s21
	s_ashr_i32 s49, s12, 31
	s_lshr_b32 s22, s49, 26
	s_add_i32 s22, s12, s22
	v_rcp_iflag_f32_e32 v1, v1
	s_ashr_i32 s52, s14, 31
	s_ashr_i32 s51, s22, 6
	s_xor_b32 s22, s23, s52
	v_mul_f32_e32 v1, 0x4f7ffffe, v1
	v_cvt_u32_f32_e32 v1, v1
	s_sub_i32 s23, 0, s21
	s_mul_i32 s48, s50, s13
	s_sub_i32 s33, s3, s48
	v_readfirstlane_b32 s24, v1
	s_mul_i32 s23, s23, s24
	s_mul_hi_u32 s23, s24, s23
	s_add_i32 s24, s24, s23
	s_mul_hi_u32 s23, s20, s24
	s_mul_i32 s24, s23, s21
	s_sub_i32 s20, s20, s24
	s_add_i32 s3, s12, 63
	s_add_i32 s24, s23, 1
	s_sub_i32 s25, s20, s21
	s_cmp_ge_u32 s20, s21
	s_cselect_b32 s23, s24, s23
	s_cselect_b32 s20, s25, s20
	s_add_i32 s24, s23, 1
	s_cmp_ge_u32 s20, s21
	s_cselect_b32 s20, s24, s23
	s_xor_b32 s20, s20, s22
	s_sub_i32 s20, s20, s22
	s_abs_i32 s21, s20
	v_cvt_f32_u32_e32 v1, s21
	s_xor_b32 s0, s33, s20
	s_sub_i32 s20, 0, s21
	s_abs_i32 s1, s33
	v_rcp_iflag_f32_e32 v1, v1
	s_ashr_i32 s0, s0, 31
	v_and_b32_e32 v61, 63, v0
	v_mov_b32_e32 v17, 0
	v_mul_f32_e32 v1, 0x4f7ffffe, v1
	v_cvt_u32_f32_e32 v1, v1
	s_mul_i32 s46, s50, s12
	v_and_b32_e32 v63, 15, v0
	s_mul_hi_i32 s54, s50, s13
	v_readfirstlane_b32 s22, v1
	s_mul_i32 s20, s20, s22
	s_mul_hi_u32 s20, s22, s20
	s_add_i32 s22, s22, s20
	s_mul_hi_u32 s20, s1, s22
	s_mul_i32 s22, s20, s21
	s_sub_i32 s1, s1, s22
	s_add_i32 s22, s20, 1
	s_sub_i32 s23, s1, s21
	s_cmp_ge_u32 s1, s21
	s_cselect_b32 s20, s22, s20
	s_cselect_b32 s1, s23, s1
	s_add_i32 s22, s20, 1
	s_cmp_ge_u32 s1, s21
	s_cselect_b32 s1, s22, s20
	s_xor_b32 s1, s1, s0
	s_sub_i32 s55, s1, s0
	s_ashr_i32 s0, s3, 31
	s_lshr_b32 s0, s0, 26
	s_add_i32 s3, s3, s0
	v_or_b32_e32 v1, v18, v60
	s_ashr_i32 s0, s3, 6
	s_lshl_b32 s2, s2, 5
	s_mul_i32 s53, s50, s0
	v_or_b32_e32 v66, 64, v1
	s_cmp_lt_i32 s12, 64
	v_lshrrev_b32_e32 v65, 3, v61
	v_lshlrev_b32_e32 v64, 3, v0
	s_mul_i32 s17, s50, s17
	s_mul_hi_u32 s47, s50, s16
	s_mul_i32 s36, s50, s16
	v_mov_b32_e32 v16, v17
	v_mov_b32_e32 v15, v17
	;; [unrolled: 1-line block ×15, first 2 shown]
	s_cbranch_scc1 .LBB462_19
; %bb.1:
	s_ashr_i32 s3, s50, 31
	s_ashr_i32 s57, s33, 31
	s_add_u32 s0, s48, s33
	s_addc_u32 s1, s54, s57
	s_mul_i32 s1, s12, s1
	s_mul_hi_u32 s20, s12, s0
	s_add_i32 s41, s20, s1
	s_mul_i32 s40, s12, s0
	s_lshl_b64 s[0:1], s[40:41], 8
	v_and_b32_e32 v68, 56, v64
	s_add_u32 s20, s6, s0
	v_lshl_or_b32 v67, v53, 3, v65
	v_lshlrev_b32_e32 v2, 1, v68
	s_addc_u32 s0, s7, s1
	v_lshl_or_b32 v69, v67, 8, v2
	s_and_b32 s21, s0, 0xffff
	s_mov_b32 s23, 0x20000
	s_movk_i32 s22, 0x4000
	s_movk_i32 s0, 0x80
	v_or_b32_e32 v70, 0x2000, v69
	buffer_load_dwordx4 v[4:7], v69, s[20:23], 0 offen
	buffer_load_dwordx4 v[8:11], v69, s[20:23], s0 offen
	;; [unrolled: 1-line block ×4, first 2 shown]
	v_lshlrev_b32_e32 v3, 3, v67
	v_and_or_b32 v17, v0, 7, v3
	v_and_b32_e32 v3, 0x78, v3
	v_lshlrev_b32_e32 v17, 4, v17
	v_xor_b32_e32 v71, v17, v3
	v_mul_lo_u32 v16, v67, s15
	v_or_b32_e32 v72, 0x1000, v71
	v_xor_b32_e32 v3, 8, v71
	s_cmpk_eq_i32 s15, 0x80
	s_mov_b32 s56, s14
	v_xor_b32_e32 v17, 8, v72
	s_cselect_b64 s[0:1], -1, 0
	s_cmpk_lg_i32 s15, 0x80
	s_waitcnt vmcnt(3)
	ds_write_b64 v71, v[4:5] offset:24576
	ds_write_b64 v3, v[6:7] offset:24576
	s_waitcnt vmcnt(2)
	ds_write_b64 v71, v[8:9] offset:32768
	ds_write_b64 v3, v[10:11] offset:32768
	s_waitcnt vmcnt(1)
	ds_write_b64 v71, v[12:13] offset:28672
	ds_write_b64 v17, v[14:15] offset:24576
	s_waitcnt vmcnt(0)
	ds_write_b64 v71, v[20:21] offset:36864
	ds_write_b64 v17, v[22:23] offset:32768
	v_lshl_add_u32 v3, v16, 1, v68
	s_cbranch_scc0 .LBB462_3
; %bb.2:
	v_lshlrev_b32_e32 v5, 1, v3
	v_add_lshl_u32 v4, v3, s15, 1
	s_lshl_b32 s22, s15, 7
	v_lshl_or_b32 v2, v67, 9, v2
	s_cbranch_execz .LBB462_4
	s_branch .LBB462_5
.LBB462_3:
                                        ; implicit-def: $vgpr4
                                        ; implicit-def: $vgpr5
                                        ; implicit-def: $sgpr22
	v_lshl_or_b32 v2, v67, 9, v2
.LBB462_4:
	v_or_b32_e32 v4, 0x100, v2
	s_movk_i32 s22, 0x4000
	v_mov_b32_e32 v5, v2
.LBB462_5:
	s_mul_hi_u32 s20, s14, s12
	s_mul_i32 s21, s52, s12
	s_add_i32 s20, s20, s21
	s_mul_i32 s21, s14, s12
	s_mul_i32 s23, s21, s3
	s_mul_hi_u32 s24, s21, s50
	s_add_i32 s23, s24, s23
	s_mul_i32 s20, s20, s50
	s_add_i32 s23, s23, s20
	s_mul_i32 s21, s21, s50
	s_ashr_i32 s58, s55, 31
	s_add_u32 s20, s21, s55
	s_addc_u32 s21, s23, s58
	s_lshl_b64 s[20:21], s[20:21], 8
	s_add_u32 s20, s4, s20
	s_addc_u32 s21, s5, s21
	s_and_b32 s21, s21, 0xffff
	s_mov_b32 s23, 0x20000
	s_movk_i32 s59, 0x80
	buffer_load_dwordx4 v[6:9], v5, s[20:23], 0 offen
	buffer_load_dwordx4 v[10:13], v5, s[20:23], s59 offen
	;; [unrolled: 1-line block ×4, first 2 shown]
	v_and_b32_e32 v4, 6, v0
	s_mul_i32 s20, s3, s12
	s_mul_hi_u32 s21, s50, s12
	v_lshlrev_b32_e32 v24, 6, v1
	v_or_b32_e32 v26, 16, v63
	v_xor_b32_e32 v27, v67, v4
	v_and_b32_e32 v5, 1, v0
	v_lshl_or_b32 v30, v63, 3, v24
	v_lshl_or_b32 v24, v26, 3, v24
	v_lshlrev_b32_e32 v27, 2, v27
	s_add_i32 s63, s21, s20
	s_add_i32 s20, s47, s17
	s_mul_i32 s3, s3, s16
	v_lshlrev_b32_e32 v19, 2, v63
	v_or_b32_e32 v75, 0xa000, v24
	v_or_b32_e32 v76, 0xb000, v24
	v_xor_b32_e32 v24, 0x440, v27
	v_cmp_eq_u32_e32 vcc, 0, v5
	s_add_i32 s37, s20, s3
	s_mul_i32 s3, s33, s19
	s_mul_hi_u32 s20, s33, s18
	v_xor_b32_e32 v28, v1, v19
	v_xor_b32_e32 v29, v66, v19
	v_cndmask_b32_e32 v5, v24, v27, vcc
	s_add_i32 s3, s20, s3
	s_mul_i32 s20, s57, s18
	s_mov_b32 s61, 0x1000504
	v_lshlrev_b32_e32 v25, 8, v63
	v_lshlrev_b32_e32 v28, 1, v28
	;; [unrolled: 1-line block ×3, first 2 shown]
	v_lshl_or_b32 v4, v4, 10, v5
	s_add_i32 s21, s3, s20
	s_lshl_b64 s[24:25], s[36:37], 2
	s_mov_b32 s62, 0x3020706
	v_or_b32_e32 v73, 0xa000, v30
	v_or_b32_e32 v74, 0xb000, v30
	;; [unrolled: 1-line block ×4, first 2 shown]
	v_xor_b32_e32 v5, 8, v4
	v_xor_b32_e32 v25, 24, v4
	;; [unrolled: 1-line block ×4, first 2 shown]
	s_mul_i32 s20, s33, s18
	s_add_u32 s3, s10, s24
	v_xor_b32_e32 v24, 16, v4
	v_xor_b32_e32 v27, 32, v4
	;; [unrolled: 1-line block ×3, first 2 shown]
	v_add_u32_e32 v5, 0x80, v5
	v_add_u32_e32 v25, 0x80, v25
	;; [unrolled: 1-line block ×4, first 2 shown]
	s_addc_u32 s22, s11, s25
	s_lshl_b64 s[20:21], s[20:21], 2
	s_add_u32 s42, s3, s20
	s_movk_i32 s3, 0xf8
	s_addc_u32 s43, s22, s21
	s_lshl_b32 s26, s15, 7
	s_movk_i32 s24, 0x100
	v_mov_b32_e32 v55, 0
	v_lshlrev_b32_e32 v54, 4, v63
	v_cmp_gt_u32_e32 vcc, s24, v0
	v_lshlrev_b32_e32 v26, 8, v26
	v_or_b32_e32 v79, v26, v28
	v_or_b32_e32 v80, v26, v29
	s_mov_b32 s60, 0
	s_movk_i32 s37, 0x1000
	s_movk_i32 s22, 0x4000
	v_add_u32_e32 v94, v60, v18
	s_mov_b32 s64, 0x7060302
	v_mov_b32_e32 v105, 0x3fb8aa3b
	s_mov_b32 s66, 0
	v_mov_b32_e32 v106, v55
	v_mov_b32_e32 v107, v55
	;; [unrolled: 1-line block ×7, first 2 shown]
	s_waitcnt vmcnt(1)
	v_perm_b32 v33, v6, v14, s61
	s_waitcnt vmcnt(0)
	v_perm_b32 v34, v10, v20, s61
	v_perm_b32 v6, v6, v14, s62
	;; [unrolled: 1-line block ×15, first 2 shown]
	ds_write2st64_b32 v4, v33, v34 offset0:32 offset1:64
	ds_write2st64_b32 v5, v6, v10 offset0:32 offset1:64
	;; [unrolled: 1-line block ×8, first 2 shown]
	v_or_b32_e32 v4, v60, v63
	v_lshlrev_b32_e32 v4, 3, v4
	v_lshrrev_b32_e32 v6, 5, v61
	v_and_or_b32 v6, v4, s3, v6
	v_lshlrev_b32_e32 v6, 4, v6
	v_lshrrev_b32_e32 v5, 2, v61
	v_lshlrev_b32_e32 v11, 11, v53
	v_and_b32_e32 v4, 0x78, v4
	v_or_b32_e32 v10, 32, v6
	v_and_b32_e32 v7, 12, v5
	v_and_b32_e32 v5, 0x1000, v11
	v_xor_b32_e32 v8, v6, v4
	v_lshrrev_b32_e32 v9, 1, v61
	v_xor_b32_e32 v10, v10, v4
	v_or_b32_e32 v8, v8, v5
	v_and_b32_e32 v9, 8, v9
	v_lshlrev_b32_e32 v12, 7, v62
	v_or_b32_e32 v10, v10, v5
	v_xor_b32_e32 v81, v8, v9
	v_or_b32_e32 v8, v12, v19
	v_xor_b32_e32 v83, v10, v9
	v_or_b32_e32 v10, 64, v6
	v_or_b32_e32 v6, 0x60, v6
	s_ashr_i32 s3, s2, 31
	v_lshlrev_b32_e32 v8, 1, v8
	v_xor_b32_e32 v10, v10, v4
	v_xor_b32_e32 v4, v6, v4
	s_lshl_b64 s[20:21], s[2:3], 8
	v_or_b32_e32 v82, 0xa000, v8
	v_or_b32_e32 v84, 0xa080, v8
	;; [unrolled: 1-line block ×6, first 2 shown]
	s_waitcnt lgkmcnt(0)
	s_add_u32 s20, s38, s20
	v_lshlrev_b32_e32 v8, 1, v63
	v_lshlrev_b32_e32 v19, 2, v0
	v_lshrrev_b32_e32 v22, 1, v0
	v_xor_b32_e32 v85, v10, v9
	v_xor_b32_e32 v86, v4, v9
	v_lshrrev_b32_e32 v10, 4, v0
	s_addc_u32 s21, s39, s21
	v_or_b32_e32 v9, 1, v8
	v_mov_b32_e32 v20, 0x4000
	v_mov_b32_e32 v21, 0x2000
	v_and_b32_e32 v22, 24, v22
	v_and_or_b32 v12, v19, 60, v12
	v_mov_b32_e32 v19, 0xb000
	v_xor_b32_e32 v15, v10, v8
	v_xor_b32_e32 v16, v9, v10
	v_lshl_add_u64 v[8:9], s[20:21], 0, v[54:55]
	v_lshlrev_b32_e32 v54, 8, v10
	v_cndmask_b32_e32 v20, v20, v21, vcc
	v_lshlrev_b32_e32 v21, 3, v53
	v_lshl_or_b32 v91, v12, 1, v19
	v_or_b32_e32 v12, 32, v22
	v_lshl_or_b32 v89, v15, 3, v54
	v_and_b32_e32 v15, 8, v0
	v_xor_b32_e32 v12, v21, v12
	v_cmp_eq_u32_e32 vcc, 0, v15
	v_or_b32_e32 v19, 0x440, v12
	v_and_b32_e32 v10, 7, v0
	v_cndmask_b32_e32 v12, v19, v12, vcc
	v_lshl_or_b32 v90, v16, 3, v54
	v_lshlrev_b32_e32 v16, 3, v10
	v_or_b32_e32 v12, v12, v11
	v_xor_b32_e32 v19, v12, v16
	v_or_b32_e32 v12, 64, v22
	v_xor_b32_e32 v12, v21, v12
	v_xor_b32_e32 v25, 0x440, v12
	v_cndmask_b32_e32 v12, v25, v12, vcc
	v_or_b32_e32 v12, v12, v11
	v_xor_b32_e32 v25, v12, v16
	v_or_b32_e32 v12, 0x60, v22
	v_xor_b32_e32 v23, v21, v22
	v_xor_b32_e32 v12, v21, v12
	v_or_b32_e32 v24, 0x440, v23
	v_xor_b32_e32 v21, 0x440, v12
	v_cndmask_b32_e32 v15, v24, v23, vcc
	v_cndmask_b32_e32 v12, v21, v12, vcc
	v_or_b32_e32 v15, v15, v11
	v_or_b32_e32 v11, v12, v11
	;; [unrolled: 1-line block ×3, first 2 shown]
	v_xor_b32_e32 v15, v15, v16
	v_xor_b32_e32 v11, v11, v16
	v_lshlrev_b32_e32 v6, 7, v1
	v_ashrrev_i32_e32 v5, 31, v4
	v_lshlrev_b32_e32 v13, 1, v3
	v_add_lshl_u32 v3, v3, s15, 1
	v_or_b32_e32 v14, 0x100, v2
	v_lshlrev_b32_e32 v17, 7, v10
	v_or_b32_e32 v10, v7, v60
	v_add_u32_e32 v23, v20, v15
	v_add_u32_e32 v24, v20, v19
	v_add_u32_e32 v26, v20, v25
	v_add_u32_e32 v16, v20, v11
	v_or3_b32 v12, v60, v7, 64
	v_add_u32_e32 v7, 0x4000, v15
	v_add_u32_e32 v15, 0x4000, v19
	;; [unrolled: 1-line block ×4, first 2 shown]
	v_cndmask_b32_e64 v92, v13, v2, s[0:1]
	v_cndmask_b32_e64 v93, v3, v14, s[0:1]
	v_lshl_add_u64 v[56:57], v[4:5], 1, s[8:9]
	v_lshl_add_u64 v[58:59], v[8:9], 0, v[54:55]
	s_add_i32 s3, s46, 63
	v_lshlrev_b32_e32 v54, 1, v6
	v_lshlrev_b32_e32 v95, 2, v10
	v_add_u32_e32 v96, v23, v17
	v_add_u32_e32 v97, v24, v17
	v_add_u32_e32 v98, v26, v17
	v_add_u32_e32 v99, v16, v17
	v_lshlrev_b32_e32 v100, 2, v12
	v_add_u32_e32 v101, v7, v17
	v_add_u32_e32 v102, v15, v17
	;; [unrolled: 1-line block ×4, first 2 shown]
	v_mov_b32_e32 v2, v55
	v_mov_b32_e32 v3, v55
	;; [unrolled: 1-line block ×9, first 2 shown]
	s_barrier
.LBB462_6:                              ; =>This Inner Loop Header: Depth=1
	s_add_i32 s65, s66, 1
	s_cmp_lt_i32 s65, s51
	s_mov_b64 s[24:25], 0
	s_cselect_b64 s[44:45], -1, 0
	s_cmp_ge_i32 s65, s51
	s_mov_b64 s[20:21], 0
	s_cbranch_scc1 .LBB462_8
; %bb.7:                                ;   in Loop: Header=BB462_6 Depth=1
	s_add_i32 s0, s60, 64
	s_add_u32 s0, s40, s0
	s_addc_u32 s1, s41, 0
	s_lshl_b64 s[0:1], s[0:1], 8
	s_add_u32 s20, s6, s0
	s_addc_u32 s21, s7, s1
.LBB462_8:                              ;   in Loop: Header=BB462_6 Depth=1
	v_cndmask_b32_e64 v10, 0, 1, s[44:45]
	v_cmp_ne_u32_e64 s[0:1], 1, v10
	s_andn2_b64 vcc, exec, s[44:45]
	s_cbranch_vccnz .LBB462_10
; %bb.9:                                ;   in Loop: Header=BB462_6 Depth=1
	s_add_i32 s24, s60, 64
	s_add_u32 s24, s46, s24
	s_addc_u32 s25, s63, 0
	s_mul_i32 s27, s24, s52
	s_mul_hi_u32 s44, s24, s56
	s_add_i32 s27, s44, s27
	s_mul_i32 s25, s25, s56
	s_add_i32 s27, s27, s25
	s_mul_i32 s24, s24, s56
	s_add_u32 s24, s24, s55
	s_addc_u32 s25, s27, s58
	s_lshl_b64 s[24:25], s[24:25], 8
	s_add_u32 s24, s4, s24
	s_addc_u32 s25, s5, s25
.LBB462_10:                             ;   in Loop: Header=BB462_6 Depth=1
	v_perm_b32 v11, v5, v4, s64
	v_perm_b32 v10, v3, v2, s64
	;; [unrolled: 1-line block ×4, first 2 shown]
	ds_write_b64 v73, v[10:11]
	ds_write_b64 v74, v[12:13]
	ds_write_b64 v77, v[10:11]
	ds_write_b64 v78, v[12:13]
	v_perm_b32 v11, v113, v108, s64
	v_perm_b32 v10, v107, v106, s64
	;; [unrolled: 1-line block ×4, first 2 shown]
	ds_write_b64 v75, v[10:11]
	ds_write_b64 v76, v[12:13]
	;; [unrolled: 1-line block ×4, first 2 shown]
	s_waitcnt lgkmcnt(0)
	s_barrier
	ds_read_b64 v[14:15], v81 offset:24576
	ds_read2_b64 v[10:13], v82 offset1:16
	ds_read_b64 v[18:19], v84 offset:3072
	ds_read_b64 v[20:21], v82 offset:3072
	;; [unrolled: 1-line block ×3, first 2 shown]
	s_waitcnt lgkmcnt(3)
	v_mfma_f32_16x16x16_bf16 a[0:3], v[14:15], v[10:11], 0
	s_add_i32 s27, s60, 63
	s_mul_i32 s44, s27, s35
	s_mul_hi_u32 s45, s27, s34
	v_mfma_f32_16x16x16_bf16 a[4:7], v[14:15], v[12:13], 0
	ds_read2st64_b64 v[10:13], v82 offset0:2 offset1:4
	ds_read2st64_b64 v[14:17], v84 offset0:2 offset1:4
	s_add_i32 s45, s45, s44
	s_waitcnt lgkmcnt(1)
	v_mfma_f32_16x16x16_bf16 a[0:3], v[22:23], v[10:11], a[0:3]
	s_mul_i32 s44, s27, s34
	s_lshl_b64 s[44:45], s[44:45], 2
	s_add_u32 s44, s42, s44
	s_waitcnt lgkmcnt(0)
	v_mfma_f32_16x16x16_bf16 a[4:7], v[22:23], v[14:15], a[4:7]
	ds_read_b64 v[10:11], v85 offset:24576
	ds_read_b64 v[14:15], v86 offset:24576
	s_addc_u32 s45, s43, s45
	s_and_b64 vcc, exec, s[0:1]
	s_waitcnt lgkmcnt(1)
	v_mfma_f32_16x16x16_bf16 a[0:3], v[10:11], v[12:13], a[0:3]
	v_mov_b32_e32 v116, 0
	v_mov_b32_e32 v115, 0
	;; [unrolled: 1-line block ×3, first 2 shown]
	v_mfma_f32_16x16x16_bf16 a[4:7], v[10:11], v[16:17], a[4:7]
	v_mov_b32_e32 v10, 0
	v_mov_b32_e32 v11, 0
	;; [unrolled: 1-line block ×3, first 2 shown]
	s_waitcnt lgkmcnt(0)
	v_mfma_f32_16x16x16_bf16 a[0:3], v[14:15], v[20:21], a[0:3]
	v_mov_b32_e32 v13, 0
	v_mov_b32_e32 v16, 0
	;; [unrolled: 1-line block ×3, first 2 shown]
	v_mfma_f32_16x16x16_bf16 a[4:7], v[14:15], v[18:19], a[4:7]
	v_mov_b32_e32 v14, 0
	v_mov_b32_e32 v15, 0
	;; [unrolled: 1-line block ×10, first 2 shown]
	s_cbranch_vccnz .LBB462_12
; %bb.11:                               ;   in Loop: Header=BB462_6 Depth=1
	s_and_b32 s21, s21, 0xffff
	buffer_load_dwordx4 v[22:25], v69, s[20:23], 0 offen
	buffer_load_dwordx4 v[18:21], v69, s[20:23], s59 offen
	;; [unrolled: 1-line block ×4, first 2 shown]
	v_mov_b32_e32 v115, v71
	v_mov_b32_e32 v114, v72
.LBB462_12:                             ;   in Loop: Header=BB462_6 Depth=1
	ds_read_b64 v[30:31], v81 offset:32768
	ds_read2_b64 v[26:29], v87 offset1:16
	ds_read_b64 v[34:35], v83 offset:32768
	ds_read_b64 v[36:37], v85 offset:32768
	;; [unrolled: 1-line block ×3, first 2 shown]
	v_add_u32_e32 v40, s60, v94
	s_waitcnt lgkmcnt(3)
	v_mfma_f32_16x16x16_bf16 a[0:3], v[30:31], v[26:27], a[0:3]
	v_mul_lo_u32 v41, v40, s35
	v_mov_b32_e32 v117, 0
	v_mfma_f32_16x16x16_bf16 a[4:7], v[30:31], v[28:29], a[4:7]
	ds_read2st64_b64 v[26:29], v87 offset0:2 offset1:4
	ds_read2st64_b64 v[30:33], v88 offset0:2 offset1:4
	s_waitcnt lgkmcnt(1)
	v_mfma_f32_16x16x16_bf16 a[0:3], v[34:35], v[26:27], a[0:3]
	v_ashrrev_i32_e32 v26, 31, v40
	v_mul_lo_u32 v42, v26, s34
	v_mad_u64_u32 v[26:27], s[20:21], v40, s34, 0
	v_mfma_f32_16x16x16_bf16 a[0:3], v[36:37], v[28:29], a[0:3]
	v_add_u32_e32 v28, 1, v40
	v_ashrrev_i32_e32 v29, 31, v28
	v_add3_u32 v27, v27, v41, v42
	s_waitcnt lgkmcnt(0)
	v_mfma_f32_16x16x16_bf16 a[4:7], v[34:35], v[30:31], a[4:7]
	v_mul_lo_u32 v30, v29, s34
	v_mul_lo_u32 v31, v28, s35
	v_mad_u64_u32 v[28:29], s[20:21], v28, s34, 0
	v_add3_u32 v29, v29, v31, v30
	v_add_u32_e32 v30, 2, v40
	v_ashrrev_i32_e32 v31, 31, v30
	v_mul_lo_u32 v34, v31, s34
	v_mul_lo_u32 v35, v30, s35
	v_mad_u64_u32 v[30:31], s[20:21], v30, s34, 0
	v_add3_u32 v31, v31, v35, v34
	v_add_u32_e32 v34, 3, v40
	v_ashrrev_i32_e32 v35, 31, v34
	v_mul_lo_u32 v40, v35, s34
	v_mul_lo_u32 v41, v34, s35
	v_mad_u64_u32 v[34:35], s[20:21], v34, s34, 0
	s_add_u32 s20, s40, s60
	s_addc_u32 s21, s41, 0
	s_lshl_b64 s[20:21], s[20:21], 8
	v_lshl_add_u64 v[26:27], v[26:27], 2, s[42:43]
	v_lshl_add_u64 v[28:29], v[28:29], 2, s[42:43]
	v_add3_u32 v35, v35, v41, v40
	v_lshl_add_u64 v[40:41], v[56:57], 0, s[20:21]
	v_lshl_add_u64 v[30:31], v[30:31], 2, s[42:43]
	v_lshl_add_u64 v[40:41], v[40:41], 0, v[54:55]
	global_load_dword v42, v[26:27], off
	global_load_ushort v43, v[40:41], off offset:256
	global_load_ushort v44, v[40:41], off
	global_load_ushort v45, v[40:41], off offset:768
	global_load_ushort v46, v[40:41], off offset:512
	v_lshl_add_u64 v[26:27], v[34:35], 2, s[42:43]
	global_load_dword v47, v[28:29], off
	global_load_dword v48, v[30:31], off
	;; [unrolled: 1-line block ×3, first 2 shown]
	ds_read_b64 v[26:27], v87 offset:3072
	ds_read_b64 v[28:29], v88 offset:3072
	global_load_ushort v50, v[40:41], off offset:800
	global_load_ushort v51, v[40:41], off offset:544
	;; [unrolled: 1-line block ×3, first 2 shown]
	s_nop 0
	global_load_ushort v40, v[40:41], off offset:32
	s_load_dword s20, s[44:45], 0x0
	v_mfma_f32_16x16x16_bf16 a[4:7], v[36:37], v[32:33], a[4:7]
	s_and_b64 vcc, exec, s[0:1]
	v_mov_b32_e32 v41, 0
	s_waitcnt vmcnt(11) lgkmcnt(0)
	v_sub_f32_e32 v36, s20, v42
	v_mfma_f32_16x16x16_bf16 a[0:3], v[38:39], v[26:27], a[0:3]
	v_mul_f32_e32 v36, 0x3fb8aa3b, v36
	v_exp_f32_e32 v36, v36
	s_waitcnt vmcnt(6)
	v_sub_f32_e32 v37, s20, v47
	v_mfma_f32_16x16x16_bf16 a[4:7], v[38:39], v[28:29], a[4:7]
	s_waitcnt vmcnt(5)
	v_sub_f32_e32 v38, s20, v48
	s_waitcnt vmcnt(4)
	v_sub_f32_e32 v39, s20, v49
	v_mul_f32_e32 v37, 0x3fb8aa3b, v37
	v_mul_f32_e32 v38, 0x3fb8aa3b, v38
	;; [unrolled: 1-line block ×3, first 2 shown]
	v_exp_f32_e32 v37, v37
	v_exp_f32_e32 v38, v38
	;; [unrolled: 1-line block ×3, first 2 shown]
	v_accvgpr_read_b32 v31, a1
	v_accvgpr_read_b32 v27, a3
	;; [unrolled: 1-line block ×4, first 2 shown]
	v_lshlrev_b32_e32 v33, 16, v43
	v_lshlrev_b32_e32 v32, 16, v44
	;; [unrolled: 1-line block ×4, first 2 shown]
	v_pk_add_f32 v[30:31], v[32:33], v[30:31] neg_lo:[0,1] neg_hi:[0,1]
	v_pk_add_f32 v[26:27], v[34:35], v[26:27] neg_lo:[0,1] neg_hi:[0,1]
	v_pk_mul_f32 v[30:31], v[36:37], v[30:31]
	v_pk_mul_f32 v[26:27], v[38:39], v[26:27]
	v_accvgpr_read_b32 v33, a5
	v_perm_b32 v27, v27, v26, s64
	v_perm_b32 v26, v31, v30, s64
	s_waitcnt vmcnt(1)
	v_lshlrev_b32_e32 v31, 16, v52
	s_waitcnt vmcnt(0)
	v_lshlrev_b32_e32 v30, 16, v40
	v_accvgpr_read_b32 v32, a4
	v_accvgpr_read_b32 v29, a7
	;; [unrolled: 1-line block ×3, first 2 shown]
	v_pk_add_f32 v[30:31], v[30:31], v[32:33] neg_lo:[0,1] neg_hi:[0,1]
	v_lshlrev_b32_e32 v33, 16, v50
	v_lshlrev_b32_e32 v32, 16, v51
	v_pk_add_f32 v[28:29], v[32:33], v[28:29] neg_lo:[0,1] neg_hi:[0,1]
	v_pk_mul_f32 v[30:31], v[36:37], v[30:31]
	v_pk_mul_f32 v[28:29], v[38:39], v[28:29]
	v_mov_b32_e32 v32, 0
	v_perm_b32 v29, v29, v28, s64
	v_perm_b32 v28, v31, v30, s64
	ds_write2_b64 v74, v[26:27], v[28:29] offset1:16
	v_mov_b32_e32 v26, 0
	v_mov_b32_e32 v27, 0
	;; [unrolled: 1-line block ×14, first 2 shown]
	s_cbranch_vccnz .LBB462_14
; %bb.13:                               ;   in Loop: Header=BB462_6 Depth=1
	s_and_b32 s25, s25, 0xffff
	s_mov_b32 s27, s23
	buffer_load_dwordx4 v[38:41], v92, s[24:27], 0 offen
	buffer_load_dwordx4 v[30:33], v92, s[24:27], s59 offen
	;; [unrolled: 1-line block ×4, first 2 shown]
	v_mov_b32_e32 v116, v68
	v_mov_b32_e32 v117, v67
.LBB462_14:                             ;   in Loop: Header=BB462_6 Depth=1
	s_waitcnt lgkmcnt(0)
	s_barrier
	ds_read_b64 v[46:47], v96
	ds_read_b64 v[122:123], v91
	;; [unrolled: 1-line block ×5, first 2 shown]
	ds_read_b64 v[136:137], v88 offset:3072
	ds_read2_b64 v[42:45], v87 offset0:16 offset1:128
	s_waitcnt lgkmcnt(5)
	v_mfma_f32_16x16x16_bf16 a[0:3], v[46:47], v[122:123], 0
	ds_read2st64_b64 v[48:51], v88 offset0:2 offset1:4
	s_add_i32 s21, s53, s66
	s_mul_hi_i32 s25, s21, s13
	s_waitcnt lgkmcnt(1)
	v_mfma_f32_16x16x16_bf16 a[4:7], v[46:47], v[42:43], 0
	ds_read_b64 v[46:47], v101
	s_mul_i32 s21, s21, s13
	s_add_u32 s24, s21, s33
	s_waitcnt lgkmcnt(1)
	v_mfma_f32_16x16x16_bf16 a[4:7], v[124:125], v[48:49], a[4:7]
	s_addc_u32 s25, s25, s57
	s_add_i32 s21, s3, s60
	s_lshl_b64 s[24:25], s[24:25], 15
	s_mul_hi_i32 s27, s21, s13
	s_mul_i32 s21, s21, s13
	s_add_u32 s44, s21, s33
	v_mfma_f32_16x16x16_bf16 a[8:11], v[126:127], v[50:51], a[4:7]
	s_addc_u32 s45, s27, s57
	ds_read2st64_b64 v[118:121], v87 offset0:4 offset1:6
	s_lshl_b64 s[44:45], s[44:45], 9
	s_waitcnt lgkmcnt(1)
	v_mfma_f32_16x16x16_bf16 a[4:7], v[46:47], v[122:123], 0
	s_add_u32 s44, s30, s44
	s_addc_u32 s45, s31, s45
	v_mfma_f32_16x16x16_bf16 a[0:3], v[124:125], v[44:45], a[0:3]
	ds_read_b64 v[124:125], v102
	ds_read_b64 v[132:133], v103
	;; [unrolled: 1-line block ×3, first 2 shown]
	v_mfma_f32_16x16x16_bf16 a[12:15], v[46:47], v[42:43], 0
	s_waitcnt lgkmcnt(2)
	v_mfma_f32_16x16x16_bf16 a[4:7], v[124:125], v[44:45], a[4:7]
	global_load_dwordx4 v[42:45], v100, s[44:45]
	v_mfma_f32_16x16x16_bf16 a[12:15], v[124:125], v[48:49], a[12:15]
	global_load_dwordx4 v[46:49], v95, s[44:45]
	ds_read2st64_b64 v[122:125], v89 offset1:8
	s_waitcnt lgkmcnt(0)
	v_mov_b32_e32 v130, v122
	v_mfma_f32_16x16x16_bf16 a[0:3], v[126:127], v[118:119], a[0:3]
	ds_read2st64_b64 v[126:129], v90 offset1:8
	v_mov_b32_e32 v131, v123
	v_mfma_f32_16x16x16_bf16 a[16:19], v[132:133], v[118:119], a[4:7]
	v_lshl_add_u64 v[118:119], v[58:59], 0, s[24:25]
	v_mfma_f32_16x16x16_bf16 a[20:23], v[132:133], v[50:51], a[12:15]
	v_add_co_u32_e32 v50, vcc, s37, v118
	s_waitcnt lgkmcnt(0)
	v_mov_b32_e32 v132, v126
	v_mfma_f32_16x16x16_bf16 a[4:7], v[134:135], v[120:121], a[0:3]
	v_mov_b32_e32 v133, v127
	v_mov_b32_e32 v126, v124
	;; [unrolled: 1-line block ×3, first 2 shown]
	v_mfma_f32_16x16x16_bf16 a[8:11], v[134:135], v[136:137], a[8:11]
	v_addc_co_u32_e32 v51, vcc, 0, v119, vcc
	global_store_dwordx4 v[50:51], v[126:129], off
	v_mfma_f32_16x16x16_bf16 a[12:15], v[138:139], v[120:121], a[16:19]
	s_and_b64 vcc, exec, s[0:1]
	global_store_dwordx4 v[118:119], v[130:133], off
	s_waitcnt vmcnt(3)
	v_mov_b32_e32 v52, v45
	v_mfma_f32_16x16x16_bf16 a[0:3], v[138:139], v[136:137], a[20:23]
	v_mov_b32_e32 v51, v44
	v_mov_b32_e32 v50, v43
	s_cbranch_vccnz .LBB462_16
; %bb.15:                               ;   in Loop: Header=BB462_6 Depth=1
	v_lshrrev_b32_e32 v43, 3, v116
	v_and_b32_e32 v43, 6, v43
	v_xor_b32_e32 v44, v43, v117
	v_lshlrev_b32_e32 v44, 2, v44
	v_and_b32_e32 v45, 8, v116
	v_xor_b32_e32 v116, 0x440, v44
	v_cmp_eq_u32_e32 vcc, 0, v45
	v_perm_b32 v45, v30, v26, s61
	s_nop 0
	v_cndmask_b32_e32 v44, v116, v44, vcc
	v_lshl_or_b32 v43, v43, 10, v44
	v_perm_b32 v44, v38, v34, s61
	s_barrier
	ds_write2st64_b32 v43, v44, v45 offset0:32 offset1:64
	v_xor_b32_e32 v44, 8, v43
	v_perm_b32 v34, v38, v34, s62
	v_perm_b32 v26, v30, v26, s62
	v_add_u32_e32 v30, 0x80, v44
	ds_write2st64_b32 v30, v34, v26 offset0:32 offset1:64
	v_xor_b32_e32 v26, 16, v43
	v_perm_b32 v30, v39, v35, s61
	v_perm_b32 v34, v31, v27, s61
	ds_write2st64_b32 v26, v30, v34 offset0:33 offset1:65
	v_xor_b32_e32 v26, 24, v43
	v_perm_b32 v30, v39, v35, s62
	v_perm_b32 v27, v31, v27, s62
	v_add_u32_e32 v26, 0x80, v26
	ds_write2st64_b32 v26, v30, v27 offset0:33 offset1:65
	v_xor_b32_e32 v26, 32, v43
	v_perm_b32 v27, v40, v36, s61
	v_perm_b32 v30, v32, v28, s61
	;; [unrolled: 9-line block ×3, first 2 shown]
	ds_write2st64_b32 v26, v27, v28 offset0:35 offset1:67
	v_xor_b32_e32 v26, 56, v43
	v_perm_b32 v27, v41, v37, s62
	v_perm_b32 v28, v33, v29, s62
	v_add_u32_e32 v26, 0x80, v26
	ds_write2st64_b32 v26, v27, v28 offset0:35 offset1:67
	ds_write_b64 v115, v[22:23] offset:24576
	v_xor_b32_e32 v22, 8, v115
	ds_write_b64 v22, v[24:25] offset:24576
	ds_write_b64 v115, v[18:19] offset:32768
	;; [unrolled: 1-line block ×4, first 2 shown]
	v_xor_b32_e32 v14, 8, v114
	ds_write_b64 v14, v[16:17] offset:24576
	ds_write_b64 v114, v[10:11] offset:32768
	;; [unrolled: 1-line block ×3, first 2 shown]
.LBB462_16:                             ;   in Loop: Header=BB462_6 Depth=1
	v_mul_f32_e32 v14, s20, v105
	v_exp_f32_e32 v26, v14
	s_waitcnt vmcnt(2)
	v_mul_f32_e32 v14, 0x3fb8aa3b, v46
	v_exp_f32_e32 v28, v14
	v_mul_f32_e32 v14, 0x3fb8aa3b, v47
	v_exp_f32_e32 v29, v14
	;; [unrolled: 2-line block ×4, first 2 shown]
	v_accvgpr_read_b32 v21, a7
	v_accvgpr_read_b32 v19, a5
	;; [unrolled: 1-line block ×4, first 2 shown]
	v_pk_mul_f32 v[28:29], v[26:27], v[28:29] op_sel_hi:[0,1]
	v_accvgpr_read_b32 v12, a10
	v_pk_fma_f32 v[2:3], v[2:3], v[28:29], v[18:19]
	v_pk_mul_f32 v[18:19], v[26:27], v[30:31] op_sel_hi:[0,1]
	v_accvgpr_read_b32 v20, a6
	v_accvgpr_read_b32 v11, a9
	;; [unrolled: 1-line block ×3, first 2 shown]
	v_fma_f32 v108, v108, v18, v12
	v_mul_f32_e32 v12, 0x3fb8aa3b, v51
	v_pk_fma_f32 v[4:5], v[4:5], v[18:19], v[20:21]
	v_fma_f32 v106, v106, v28, v10
	v_fma_f32 v107, v107, v29, v11
	v_mul_f32_e32 v10, 0x3fb8aa3b, v42
	v_mul_f32_e32 v11, 0x3fb8aa3b, v50
	v_exp_f32_e32 v20, v12
	v_mul_f32_e32 v12, 0x3fb8aa3b, v52
	v_exp_f32_e32 v10, v10
	v_exp_f32_e32 v11, v11
	;; [unrolled: 1-line block ×3, first 2 shown]
	v_accvgpr_read_b32 v25, a15
	v_accvgpr_read_b32 v17, a3
	;; [unrolled: 1-line block ×8, first 2 shown]
	v_fmac_f32_e32 v13, v113, v19
	v_pk_mul_f32 v[10:11], v[26:27], v[10:11] op_sel_hi:[0,1]
	v_pk_mul_f32 v[18:19], v[26:27], v[20:21] op_sel_hi:[0,1]
	s_add_i32 s60, s60, 64
	v_pk_fma_f32 v[6:7], v[6:7], v[10:11], v[22:23]
	v_pk_fma_f32 v[8:9], v[8:9], v[18:19], v[24:25]
	v_fma_f32 v109, v109, v10, v14
	v_fma_f32 v110, v110, v11, v15
	;; [unrolled: 1-line block ×3, first 2 shown]
	s_cmp_eq_u32 s51, s65
	v_fmac_f32_e32 v17, v112, v19
	s_cbranch_scc1 .LBB462_18
; %bb.17:                               ;   in Loop: Header=BB462_6 Depth=1
	s_mov_b32 s66, s65
	v_mov_b32_e32 v113, v13
	v_mov_b32_e32 v112, v17
	s_branch .LBB462_6
.LBB462_18:
	v_mov_b32_e32 v16, v111
	v_mov_b32_e32 v15, v110
	;; [unrolled: 1-line block ×6, first 2 shown]
.LBB462_19:
	s_lshl_b32 s44, s51, 6
	s_sub_i32 s45, s12, s44
	s_cmp_gt_i32 s45, 0
	v_or_b32_e32 v34, s2, v63
	s_cbranch_scc1 .LBB462_21
; %bb.20:
	s_ashr_i32 s0, s33, 31
	s_add_u32 s24, s48, s33
	s_addc_u32 s25, s54, s0
	v_or_b32_e32 v35, s2, v63
	s_cbranch_execz .LBB462_22
	s_branch .LBB462_86
.LBB462_21:
                                        ; implicit-def: $sgpr24_sgpr25
                                        ; implicit-def: $vgpr35
.LBB462_22:
	s_ashr_i32 s37, s50, 31
	s_ashr_i32 s3, s44, 31
	s_cmpk_lg_i32 s15, 0x80
	s_cselect_b64 s[40:41], -1, 0
	s_and_b64 vcc, exec, s[40:41]
	s_cbranch_vccz .LBB462_24
; %bb.23:
	s_mul_hi_i32 s0, s50, s12
	s_add_u32 s1, s46, s44
	s_addc_u32 s0, s0, s3
	s_mul_i32 s20, s1, s52
	s_mul_hi_u32 s21, s1, s14
	s_add_i32 s20, s21, s20
	s_mul_i32 s0, s0, s14
	s_add_i32 s20, s20, s0
	s_mul_i32 s1, s1, s14
	s_ashr_i32 s0, s55, 31
	s_add_u32 s42, s1, s55
	s_addc_u32 s43, s20, s0
	s_cbranch_execz .LBB462_25
	s_branch .LBB462_26
.LBB462_24:
                                        ; implicit-def: $sgpr42_sgpr43
.LBB462_25:
	s_mul_hi_i32 s0, s50, s14
	s_mul_i32 s50, s50, s14
	s_ashr_i32 s1, s55, 31
	s_add_u32 s14, s50, s55
	s_addc_u32 s0, s0, s1
	s_mul_i32 s1, s14, s49
	s_mul_hi_u32 s20, s14, s12
	s_add_i32 s1, s20, s1
	s_mul_i32 s0, s0, s12
	s_add_i32 s1, s1, s0
	s_mul_i32 s14, s14, s12
	s_add_u32 s42, s14, s44
	s_addc_u32 s43, s1, s3
.LBB462_26:
	s_add_i32 s20, s53, s51
	s_ashr_i32 s14, s33, 31
	s_add_u32 s24, s48, s33
	s_addc_u32 s25, s54, s14
	s_mul_i32 s0, s24, s49
	s_mul_hi_u32 s1, s24, s12
	s_add_i32 s0, s1, s0
	s_mul_i32 s1, s25, s12
	s_add_i32 s1, s0, s1
	s_mul_i32 s0, s24, s12
	s_add_u32 s0, s0, s44
	v_lshlrev_b32_e32 v22, 5, v1
	v_lshlrev_b32_e32 v40, 2, v63
	s_addc_u32 s1, s1, s3
	s_mov_b32 s3, 0x7060302
	v_or_b32_e32 v25, v22, v40
	v_xor_b32_e32 v23, v1, v40
	v_perm_b32 v19, v5, v4, s3
	v_perm_b32 v18, v3, v2, s3
	;; [unrolled: 1-line block ×4, first 2 shown]
	v_lshlrev_b32_e32 v25, 1, v25
	v_xor_b32_e32 v24, v66, v40
	ds_write2st64_b64 v25, v[18:19], v[20:21] offset0:80 offset1:88
	v_lshlrev_b32_e32 v23, 1, v23
	v_lshlrev_b32_e32 v25, 8, v63
	s_lshl_b64 s[26:27], s[0:1], 8
	v_or_b32_e32 v26, v23, v25
	v_lshlrev_b32_e32 v24, 1, v24
	s_add_u32 s0, s6, s26
	ds_write_b64 v26, v[18:19]
	v_or_b32_e32 v18, v24, v25
	s_addc_u32 s1, s7, s27
	ds_write_b64 v18, v[20:21]
	v_perm_b32 v19, v13, v12, s3
	v_perm_b32 v18, v11, v10, s3
	;; [unrolled: 1-line block ×4, first 2 shown]
	v_or_b32_e32 v25, 16, v63
	s_mul_hi_i32 s3, s20, s13
	s_mul_i32 s20, s20, s13
	v_lshlrev_b32_e32 v37, 2, v25
	s_add_u32 s6, s20, s33
	v_or_b32_e32 v22, v22, v37
	s_addc_u32 s7, s3, s14
	v_lshlrev_b32_e32 v22, 1, v22
	s_ashr_i32 s3, s2, 31
	s_lshl_b64 s[6:7], s[6:7], 15
	ds_write2st64_b64 v22, v[18:19], v[20:21] offset0:80 offset1:88
	v_lshlrev_b32_e32 v22, 8, v25
	s_waitcnt lgkmcnt(0)
	s_add_u32 s6, s38, s6
	v_or_b32_e32 v23, v23, v22
	s_addc_u32 s7, s39, s7
	s_lshl_b64 s[2:3], s[2:3], 8
	ds_write_b64 v23, v[18:19]
	v_or_b32_e32 v18, v24, v22
	s_add_u32 s2, s6, s2
	ds_write_b64 v18, v[20:21]
	v_lshrrev_b32_e32 v18, 4, v0
	s_addc_u32 s3, s7, s3
	v_lshlrev_b32_e32 v19, 1, v63
	v_lshlrev_b32_e32 v26, 4, v63
	v_mov_b32_e32 v27, 0
	v_or_b32_e32 v20, 1, v19
	v_xor_b32_e32 v19, v18, v19
	v_lshl_add_u64 v[28:29], s[2:3], 0, v[26:27]
	v_lshlrev_b32_e32 v26, 8, v18
	v_xor_b32_e32 v22, v20, v18
	v_lshl_or_b32 v18, v19, 3, v26
	s_waitcnt lgkmcnt(0)
	s_barrier
	ds_read2st64_b64 v[18:21], v18 offset1:8
	v_lshl_or_b32 v22, v22, 3, v26
	ds_read2st64_b64 v[22:25], v22 offset1:8
	v_lshl_add_u64 v[30:31], v[28:29], 0, v[26:27]
	s_movk_i32 s2, 0x1000
	s_waitcnt lgkmcnt(1)
	v_mov_b32_e32 v26, v18
	v_add_co_u32_e32 v18, vcc, s2, v30
	s_cmp_lg_u32 s45, 64
	v_mov_b32_e32 v27, v19
	v_addc_co_u32_e32 v19, vcc, 0, v31, vcc
	s_cselect_b64 s[6:7], -1, 0
	v_lshl_or_b32 v35, v53, 3, v65
	s_waitcnt lgkmcnt(0)
	v_mov_b32_e32 v28, v22
	v_mov_b32_e32 v29, v23
	;; [unrolled: 1-line block ×4, first 2 shown]
	s_mov_b32 s20, 0
	v_or_b32_e32 v38, 32, v35
	v_and_b32_e32 v36, 56, v64
	s_and_b64 vcc, exec, s[6:7]
	global_store_dwordx4 v[30:31], v[26:29], off
	global_store_dwordx4 v[18:19], v[22:25], off
	s_cbranch_vccz .LBB462_32
; %bb.27:
	s_mov_b32 s22, s20
	s_mov_b32 s23, s20
	;; [unrolled: 1-line block ×3, first 2 shown]
	v_mov_b64_e32 v[24:25], s[22:23]
	v_mov_b64_e32 v[22:23], s[20:21]
	;; [unrolled: 1-line block ×3, first 2 shown]
	v_cmp_gt_i32_e32 vcc, s45, v35
	v_mov_b64_e32 v[20:21], v[24:25]
	s_and_saveexec_b64 s[2:3], vcc
	s_cbranch_execz .LBB462_29
; %bb.28:
	v_lshlrev_b32_e32 v18, 8, v35
	v_mov_b32_e32 v19, 0
	v_lshl_add_u64 v[20:21], s[0:1], 0, v[18:19]
	v_lshlrev_b32_e32 v18, 1, v36
	v_lshl_add_u64 v[26:27], v[20:21], 0, v[18:19]
	global_load_dwordx4 v[22:25], v[26:27], off
	global_load_dwordx4 v[18:21], v[26:27], off offset:128
.LBB462_29:
	s_or_b64 exec, exec, s[2:3]
	s_mov_b32 s22, s20
	s_mov_b32 s23, s20
	;; [unrolled: 1-line block ×3, first 2 shown]
	v_mov_b64_e32 v[32:33], s[22:23]
	v_mov_b64_e32 v[30:31], s[20:21]
	;; [unrolled: 1-line block ×3, first 2 shown]
	v_cmp_gt_i32_e32 vcc, s45, v38
	v_lshlrev_b32_e32 v39, 7, v38
	v_mov_b64_e32 v[28:29], v[32:33]
	s_and_saveexec_b64 s[2:3], vcc
	s_cbranch_execz .LBB462_31
; %bb.30:
	v_lshlrev_b32_e32 v26, 1, v39
	v_mov_b32_e32 v27, 0
	v_lshl_add_u64 v[28:29], s[0:1], 0, v[26:27]
	v_lshlrev_b32_e32 v26, 1, v36
	v_lshl_add_u64 v[42:43], v[28:29], 0, v[26:27]
	global_load_dwordx4 v[30:33], v[42:43], off
	global_load_dwordx4 v[26:29], v[42:43], off offset:128
.LBB462_31:
	s_or_b64 exec, exec, s[2:3]
	v_lshrrev_b32_e32 v41, 3, v36
	v_lshlrev_b32_e32 v42, 3, v35
	v_or_b32_e32 v41, v42, v41
	v_lshlrev_b32_e32 v41, 4, v41
	v_and_b32_e32 v42, 0x78, v42
	v_xor_b32_e32 v41, v41, v42
	s_branch .LBB462_34
.LBB462_32:
                                        ; implicit-def: $vgpr41
                                        ; implicit-def: $vgpr39
                                        ; implicit-def: $vgpr22_vgpr23_vgpr24_vgpr25
                                        ; implicit-def: $vgpr18_vgpr19_vgpr20_vgpr21
                                        ; implicit-def: $vgpr30_vgpr31_vgpr32_vgpr33
                                        ; implicit-def: $vgpr26_vgpr27_vgpr28_vgpr29
	s_cbranch_execz .LBB462_34
; %bb.33:
	s_waitcnt vmcnt(0)
	v_lshlrev_b32_e32 v18, 1, v36
	v_lshl_or_b32 v39, v35, 8, v18
	s_and_b32 s1, s1, 0xffff
	s_mov_b32 s3, 0x20000
	s_movk_i32 s2, 0x4000
	v_lshl_or_b32 v41, v38, 8, v18
	s_movk_i32 s20, 0x80
	buffer_load_dwordx4 v[22:25], v39, s[0:3], 0 offen
	buffer_load_dwordx4 v[18:21], v39, s[0:3], s20 offen
	;; [unrolled: 1-line block ×4, first 2 shown]
	v_lshrrev_b32_e32 v39, 3, v36
	v_lshlrev_b32_e32 v41, 3, v35
	v_or_b32_e32 v39, v41, v39
	v_lshlrev_b32_e32 v39, 4, v39
	v_and_b32_e32 v41, 0x78, v41
	v_xor_b32_e32 v41, v39, v41
	v_lshlrev_b32_e32 v39, 7, v38
.LBB462_34:
	s_lshl_b64 s[0:1], s[42:43], 8
	s_add_u32 s4, s4, s0
	s_movk_i32 s0, 0x1000
	v_and_or_b32 v38, v39, s0, v41
	s_waitcnt vmcnt(1)
	ds_write_b64 v41, v[22:23] offset:24576
	v_xor_b32_e32 v22, 8, v41
	ds_write_b64 v22, v[24:25] offset:24576
	s_waitcnt vmcnt(0)
	ds_write_b64 v41, v[18:19] offset:32768
	ds_write_b64 v22, v[20:21] offset:32768
	;; [unrolled: 1-line block ×3, first 2 shown]
	v_xor_b32_e32 v18, 8, v38
	ds_write_b64 v18, v[32:33] offset:24576
	ds_write_b64 v38, v[26:27] offset:32768
	;; [unrolled: 1-line block ×3, first 2 shown]
	v_or_b32_e32 v18, v60, v63
	s_addc_u32 s5, s5, s1
	s_add_i32 s20, s12, -1
	v_lshlrev_b32_e32 v18, 3, v18
	v_lshrrev_b32_e32 v19, 5, v61
	s_movk_i32 s12, 0xf8
	v_and_or_b32 v19, v18, s12, v19
	v_lshlrev_b32_e32 v23, 4, v19
	v_lshlrev_b32_e32 v41, 11, v53
	v_and_b32_e32 v24, 0x78, v18
	v_or_b32_e32 v26, 32, v23
	v_and_b32_e32 v22, 0x1000, v41
	v_lshrrev_b32_e32 v19, 1, v61
	v_xor_b32_e32 v26, v26, v24
	v_xor_b32_e32 v18, v23, v24
	v_and_b32_e32 v25, 8, v19
	v_or_b32_e32 v26, v26, v22
	v_or_b32_e32 v18, v18, v22
	v_xor_b32_e32 v45, v26, v25
	v_or_b32_e32 v26, 64, v23
	v_xor_b32_e32 v44, v18, v25
	v_xor_b32_e32 v26, v26, v24
	s_waitcnt lgkmcnt(0)
	s_barrier
	v_or_b32_e32 v28, v26, v22
	ds_read_b64 v[26:27], v44 offset:24576
	v_lshl_or_b32 v38, v62, 7, v40
	v_lshlrev_b32_e32 v42, 1, v38
	v_add_u32_e32 v18, 0xa000, v42
	ds_read2_b64 v[18:21], v18 offset1:16
	v_or_b32_e32 v23, 0x60, v23
	v_xor_b32_e32 v23, v23, v24
	s_waitcnt lgkmcnt(0)
	v_mfma_f32_16x16x16_bf16 a[0:3], v[26:27], v[18:19], 0
	v_or_b32_e32 v18, 64, v38
	v_or_b32_e32 v22, v23, v22
	v_lshlrev_b32_e32 v43, 1, v18
	v_xor_b32_e32 v46, v28, v25
	v_xor_b32_e32 v47, v22, v25
	ds_read_b64 v[28:29], v45 offset:24576
	ds_read_b64 v[30:31], v46 offset:24576
	;; [unrolled: 1-line block ×3, first 2 shown]
	v_mfma_f32_16x16x16_bf16 a[4:7], v[26:27], v[20:21], 0
	ds_read2st64_b64 v[18:21], v43 offset0:82 offset1:84
	ds_read2st64_b64 v[22:25], v42 offset0:82 offset1:84
	s_add_i32 s0, s47, s17
	s_mul_i32 s37, s37, s16
	s_add_i32 s37, s0, s37
	s_mul_i32 s0, s33, s19
	s_mul_hi_u32 s1, s33, s18
	s_ashr_i32 s2, s20, 31
	s_mul_i32 s3, s20, s35
	s_mul_hi_u32 s12, s20, s34
	s_add_i32 s0, s1, s0
	s_mul_i32 s1, s14, s18
	s_add_i32 s3, s12, s3
	s_mul_i32 s2, s2, s34
	s_waitcnt lgkmcnt(1)
	v_mfma_f32_16x16x16_bf16 a[4:7], v[28:29], v[18:19], a[4:7]
	s_add_i32 s1, s0, s1
	s_add_i32 s3, s3, s2
	s_lshl_b64 s[16:17], s[36:37], 2
	s_waitcnt lgkmcnt(0)
	v_mfma_f32_16x16x16_bf16 a[0:3], v[28:29], v[22:23], a[0:3]
	s_mul_i32 s0, s33, s18
	s_add_u32 s10, s10, s16
	s_addc_u32 s11, s11, s17
	s_lshl_b64 s[0:1], s[0:1], 2
	s_mul_i32 s2, s20, s34
	s_add_u32 s10, s10, s0
	ds_read_b64 v[18:19], v42 offset:44032
	v_mfma_f32_16x16x16_bf16 a[4:7], v[30:31], v[20:21], a[4:7]
	ds_read_b64 v[20:21], v43 offset:44032
	s_addc_u32 s11, s11, s1
	s_lshl_b64 s[0:1], s[2:3], 2
	v_mfma_f32_16x16x16_bf16 a[0:3], v[30:31], v[24:25], a[0:3]
	s_add_u32 s0, s10, s0
	s_addc_u32 s1, s11, s1
	s_load_dword s12, s[0:1], 0x0
	s_waitcnt lgkmcnt(0)
	v_mfma_f32_16x16x16_bf16 a[0:3], v[32:33], v[18:19], a[0:3]
	s_and_b64 vcc, exec, s[40:41]
	v_mfma_f32_16x16x16_bf16 a[4:7], v[32:33], v[20:21], a[4:7]
	s_cbranch_vccz .LBB462_45
; %bb.35:
	v_lshlrev_b32_e32 v38, 1, v35
	s_and_b64 vcc, exec, s[6:7]
	s_cbranch_vccz .LBB462_46
; %bb.36:
	v_cmp_gt_i32_e32 vcc, s45, v38
	v_mov_b32_e32 v22, 0
	v_mov_b32_e32 v18, 0
	;; [unrolled: 1-line block ×5, first 2 shown]
	s_and_saveexec_b64 s[0:1], vcc
	s_cbranch_execz .LBB462_38
; %bb.37:
	v_mad_i64_i32 v[18:19], s[2:3], s15, v38, 0
	v_lshl_add_u64 v[18:19], v[18:19], 1, s[4:5]
	v_lshlrev_b32_e32 v20, 1, v36
	v_mov_b32_e32 v21, 0
	v_lshl_add_u64 v[18:19], v[18:19], 0, v[20:21]
	global_load_dwordx4 v[18:21], v[18:19], off
.LBB462_38:
	s_or_b64 exec, exec, s[0:1]
	v_or_b32_e32 v39, 1, v38
	v_cmp_gt_i32_e64 s[0:1], s45, v39
	v_mov_b32_e32 v23, 0
	v_mov_b32_e32 v24, 0
	;; [unrolled: 1-line block ×3, first 2 shown]
	s_and_saveexec_b64 s[2:3], s[0:1]
	s_cbranch_execz .LBB462_40
; %bb.39:
	v_mad_i64_i32 v[22:23], s[16:17], s15, v39, 0
	v_lshl_add_u64 v[22:23], v[22:23], 1, s[4:5]
	v_lshlrev_b32_e32 v24, 1, v36
	v_mov_b32_e32 v25, 0
	v_lshl_add_u64 v[22:23], v[22:23], 0, v[24:25]
	global_load_dwordx4 v[22:25], v[22:23], off
.LBB462_40:
	s_or_b64 exec, exec, s[2:3]
	v_mov_b32_e32 v33, 0
	v_mov_b32_e32 v26, 0
	;; [unrolled: 1-line block ×5, first 2 shown]
	s_and_saveexec_b64 s[2:3], vcc
	s_cbranch_execz .LBB462_42
; %bb.41:
	v_mad_i64_i32 v[26:27], s[16:17], s15, v38, 0
	v_lshl_add_u64 v[26:27], v[26:27], 1, s[4:5]
	v_lshlrev_b32_e32 v28, 1, v36
	v_mov_b32_e32 v29, 0
	v_lshl_add_u64 v[26:27], v[26:27], 0, v[28:29]
	global_load_dwordx4 v[26:29], v[26:27], off offset:128
.LBB462_42:
	s_or_b64 exec, exec, s[2:3]
	v_mov_b32_e32 v32, 0
	v_mov_b32_e32 v31, 0
	;; [unrolled: 1-line block ×3, first 2 shown]
	s_and_saveexec_b64 s[2:3], s[0:1]
	s_cbranch_execz .LBB462_44
; %bb.43:
	v_mad_i64_i32 v[30:31], s[0:1], s15, v39, 0
	v_lshl_add_u64 v[30:31], v[30:31], 1, s[4:5]
	v_lshlrev_b32_e32 v32, 1, v36
	v_mov_b32_e32 v33, 0
	v_lshl_add_u64 v[30:31], v[30:31], 0, v[32:33]
	global_load_dwordx4 v[30:33], v[30:31], off offset:128
.LBB462_44:
	s_or_b64 exec, exec, s[2:3]
	s_branch .LBB462_48
.LBB462_45:
                                        ; implicit-def: $vgpr21
                                        ; implicit-def: $vgpr25
                                        ; implicit-def: $vgpr29
                                        ; implicit-def: $vgpr33
	v_lshrrev_b32_e32 v48, 2, v61
	s_branch .LBB462_49
.LBB462_46:
                                        ; implicit-def: $vgpr21
                                        ; implicit-def: $vgpr25
                                        ; implicit-def: $vgpr29
                                        ; implicit-def: $vgpr33
	s_cbranch_execz .LBB462_48
; %bb.47:
	s_waitcnt vmcnt(0)
	v_mad_u64_u32 v[18:19], s[0:1], v38, s15, v[36:37]
	v_lshlrev_b32_e32 v38, 1, v18
	s_lshl_b32 s2, s15, 7
	s_and_b32 s1, s5, 0xffff
	s_mov_b32 s3, 0x20000
	s_mov_b32 s0, s4
	v_add_lshl_u32 v39, v18, s15, 1
	s_movk_i32 s15, 0x80
	buffer_load_dwordx4 v[18:21], v38, s[0:3], 0 offen
	buffer_load_dwordx4 v[26:29], v38, s[0:3], s15 offen
	;; [unrolled: 1-line block ×4, first 2 shown]
.LBB462_48:
	v_lshrrev_b32_e32 v48, 2, v61
	s_cbranch_execnz .LBB462_61
.LBB462_49:
	s_and_b64 vcc, exec, s[6:7]
	s_cbranch_vccz .LBB462_59
; %bb.50:
	s_waitcnt vmcnt(0)
	v_lshlrev_b32_e32 v23, 1, v35
	v_cmp_gt_i32_e32 vcc, s45, v23
	v_mov_b32_e32 v22, 0
	v_lshlrev_b32_e32 v30, 9, v35
	v_mov_b32_e32 v18, 0
	v_mov_b32_e32 v19, 0
	v_mov_b32_e32 v20, 0
	v_mov_b32_e32 v21, 0
	s_and_saveexec_b64 s[0:1], vcc
	s_cbranch_execz .LBB462_52
; %bb.51:
	v_mov_b32_e32 v31, 0
	v_lshl_add_u64 v[18:19], s[4:5], 0, v[30:31]
	v_lshlrev_b32_e32 v20, 1, v36
	v_mov_b32_e32 v21, v31
	v_lshl_add_u64 v[18:19], v[18:19], 0, v[20:21]
	global_load_dwordx4 v[18:21], v[18:19], off
.LBB462_52:
	s_or_b64 exec, exec, s[0:1]
	v_or_b32_e32 v23, 1, v23
	v_cmp_gt_i32_e64 s[0:1], s45, v23
	v_lshlrev_b32_e32 v38, 8, v23
	v_mov_b32_e32 v23, 0
	v_mov_b32_e32 v24, 0
	;; [unrolled: 1-line block ×3, first 2 shown]
	s_and_saveexec_b64 s[2:3], s[0:1]
	s_cbranch_execz .LBB462_54
; %bb.53:
	v_mov_b32_e32 v39, 0
	v_lshl_add_u64 v[22:23], s[4:5], 0, v[38:39]
	v_lshlrev_b32_e32 v24, 1, v36
	v_mov_b32_e32 v25, v39
	v_lshl_add_u64 v[22:23], v[22:23], 0, v[24:25]
	global_load_dwordx4 v[22:25], v[22:23], off
.LBB462_54:
	s_or_b64 exec, exec, s[2:3]
	v_mov_b32_e32 v33, 0
	v_mov_b32_e32 v26, 0
	;; [unrolled: 1-line block ×5, first 2 shown]
	s_and_saveexec_b64 s[2:3], vcc
	s_cbranch_execz .LBB462_56
; %bb.55:
	v_mov_b32_e32 v31, 0
	v_lshl_add_u64 v[26:27], s[4:5], 0, v[30:31]
	v_lshlrev_b32_e32 v30, 1, v36
	v_lshl_add_u64 v[26:27], v[26:27], 0, v[30:31]
	global_load_dwordx4 v[26:29], v[26:27], off offset:128
.LBB462_56:
	s_or_b64 exec, exec, s[2:3]
	v_mov_b32_e32 v32, 0
	v_mov_b32_e32 v31, 0
	v_mov_b32_e32 v30, 0
	s_and_saveexec_b64 s[2:3], s[0:1]
	s_cbranch_execz .LBB462_58
; %bb.57:
	v_mov_b32_e32 v39, 0
	v_lshl_add_u64 v[30:31], s[4:5], 0, v[38:39]
	v_lshlrev_b32_e32 v38, 1, v36
	v_lshl_add_u64 v[30:31], v[30:31], 0, v[38:39]
	global_load_dwordx4 v[30:33], v[30:31], off offset:128
.LBB462_58:
	s_or_b64 exec, exec, s[2:3]
	s_branch .LBB462_61
.LBB462_59:
                                        ; implicit-def: $vgpr21
                                        ; implicit-def: $vgpr25
                                        ; implicit-def: $vgpr29
                                        ; implicit-def: $vgpr33
	s_cbranch_execz .LBB462_61
; %bb.60:
	s_waitcnt vmcnt(0)
	v_lshlrev_b32_e32 v18, 1, v36
	v_lshl_or_b32 v36, v35, 9, v18
	s_and_b32 s5, s5, 0xffff
	s_mov_b32 s7, 0x20000
	s_movk_i32 s6, 0x4000
	s_movk_i32 s0, 0x80
	buffer_load_dwordx4 v[18:21], v36, s[4:7], 0 offen
	buffer_load_dwordx4 v[22:25], v36, s[4:7], 0 offen offset:256
	buffer_load_dwordx4 v[26:29], v36, s[4:7], s0 offen
	buffer_load_dwordx4 v[30:33], v36, s[4:7], s0 offen offset:256
.LBB462_61:
	ds_read_b64 v[38:39], v44 offset:32768
	v_add_u32_e32 v36, 0xb000, v42
	ds_read2_b64 v[54:57], v36 offset1:16
	ds_read_b64 v[50:51], v45 offset:32768
	ds_read_b64 v[58:59], v46 offset:32768
	ds_read_b64 v[62:63], v47 offset:32768
	ds_read2st64_b64 v[44:47], v42 offset0:90 offset1:92
	v_and_b32_e32 v36, 12, v48
	v_and_b32_e32 v48, 6, v0
	v_xor_b32_e32 v35, v35, v48
	v_lshlrev_b32_e32 v35, 2, v35
	s_mov_b32 s0, 0x1000504
	s_waitcnt lgkmcnt(4)
	v_mfma_f32_16x16x16_bf16 a[0:3], v[38:39], v[54:55], a[0:3]
	s_mov_b32 s1, 0x3020706
	v_mfma_f32_16x16x16_bf16 a[4:7], v[38:39], v[56:57], a[4:7]
	ds_read2st64_b64 v[54:57], v43 offset0:90 offset1:92
	s_waitcnt lgkmcnt(1)
	v_mfma_f32_16x16x16_bf16 a[0:3], v[50:51], v[44:45], a[0:3]
	ds_read_b64 v[38:39], v42 offset:48128
	ds_read_b64 v[44:45], v43 offset:48128
	s_waitcnt lgkmcnt(2)
	v_mfma_f32_16x16x16_bf16 a[4:7], v[50:51], v[54:55], a[4:7]
	v_mfma_f32_16x16x16_bf16 a[0:3], v[58:59], v[46:47], a[0:3]
	v_and_b32_e32 v46, 1, v0
	v_xor_b32_e32 v47, 0x440, v35
	v_cmp_eq_u32_e32 vcc, 0, v46
	v_mfma_f32_16x16x16_bf16 a[8:11], v[58:59], v[56:57], a[4:7]
	s_nop 0
	v_cndmask_b32_e32 v35, v47, v35, vcc
	v_lshl_or_b32 v35, v48, 10, v35
	s_waitcnt lgkmcnt(1)
	v_mfma_f32_16x16x16_bf16 a[4:7], v[62:63], v[38:39], a[0:3]
	s_waitcnt vmcnt(0)
	v_perm_b32 v38, v18, v22, s0
	v_perm_b32 v39, v26, v30, s0
	ds_write2st64_b32 v35, v38, v39 offset0:32 offset1:64
	v_xor_b32_e32 v38, 8, v35
	v_perm_b32 v18, v18, v22, s1
	v_perm_b32 v22, v26, v30, s1
	v_add_u32_e32 v26, 0x80, v38
	ds_write2st64_b32 v26, v18, v22 offset0:32 offset1:64
	v_xor_b32_e32 v18, 16, v35
	v_perm_b32 v22, v19, v23, s0
	v_perm_b32 v26, v27, v31, s0
	ds_write2st64_b32 v18, v22, v26 offset0:33 offset1:65
	v_xor_b32_e32 v18, 24, v35
	v_perm_b32 v19, v19, v23, s1
	v_perm_b32 v22, v27, v31, s1
	v_add_u32_e32 v18, 0x80, v18
	ds_write2st64_b32 v18, v19, v22 offset0:33 offset1:65
	v_xor_b32_e32 v18, 32, v35
	v_perm_b32 v19, v20, v24, s0
	v_perm_b32 v22, v28, v32, s0
	ds_write2st64_b32 v18, v19, v22 offset0:34 offset1:66
	v_xor_b32_e32 v18, 40, v35
	s_waitcnt lgkmcnt(5)
	v_mfma_f32_16x16x16_bf16 a[0:3], v[62:63], v[44:45], a[8:11]
	v_perm_b32 v19, v20, v24, s1
	v_perm_b32 v20, v28, v32, s1
	v_add_u32_e32 v18, 0x80, v18
	ds_write2st64_b32 v18, v19, v20 offset0:34 offset1:66
	v_xor_b32_e32 v18, 48, v35
	v_perm_b32 v19, v21, v25, s0
	v_perm_b32 v20, v29, v33, s0
	ds_write2st64_b32 v18, v19, v20 offset0:35 offset1:67
	v_xor_b32_e32 v18, 56, v35
	v_or_b32_e32 v32, v36, v60
	v_perm_b32 v19, v21, v25, s1
	v_perm_b32 v20, v29, v33, s1
	v_add_u32_e32 v18, 0x80, v18
	v_cmp_gt_i32_e32 vcc, s45, v32
	v_mov_b32_e32 v33, 0
	v_mov_b32_e32 v39, 0
	ds_write2st64_b32 v18, v19, v20 offset0:35 offset1:67
	s_and_saveexec_b64 s[0:1], vcc
	s_cbranch_execz .LBB462_63
; %bb.62:
	v_add_u32_e32 v18, s44, v32
	v_ashrrev_i32_e32 v19, 31, v18
	v_mul_lo_u32 v20, v19, s34
	v_mul_lo_u32 v21, v18, s35
	v_mad_u64_u32 v[18:19], s[2:3], v18, s34, 0
	v_add3_u32 v19, v19, v21, v20
	v_lshl_add_u64 v[18:19], v[18:19], 2, s[10:11]
	global_load_dword v18, v[18:19], off
	s_waitcnt vmcnt(0)
	v_sub_f32_e32 v18, s12, v18
	v_mul_f32_e32 v18, 0x3fb8aa3b, v18
	v_exp_f32_e32 v39, v18
.LBB462_63:
	s_or_b64 exec, exec, s[0:1]
	v_or_b32_e32 v26, 1, v32
	v_cmp_gt_i32_e64 s[0:1], s45, v26
	s_and_saveexec_b64 s[2:3], s[0:1]
	s_cbranch_execz .LBB462_65
; %bb.64:
	v_add_u32_e32 v18, s44, v26
	v_ashrrev_i32_e32 v19, 31, v18
	v_mul_lo_u32 v20, v19, s34
	v_mul_lo_u32 v21, v18, s35
	v_mad_u64_u32 v[18:19], s[4:5], v18, s34, 0
	v_add3_u32 v19, v19, v21, v20
	v_lshl_add_u64 v[18:19], v[18:19], 2, s[10:11]
	global_load_dword v18, v[18:19], off
	s_waitcnt vmcnt(0)
	v_sub_f32_e32 v18, s12, v18
	v_mul_f32_e32 v18, 0x3fb8aa3b, v18
	v_exp_f32_e32 v33, v18
.LBB462_65:
	s_or_b64 exec, exec, s[2:3]
	v_or_b32_e32 v27, 2, v32
	v_cmp_gt_i32_e64 s[2:3], s45, v27
	v_mov_b32_e32 v38, 0
	v_mov_b32_e32 v44, 0
	s_and_saveexec_b64 s[4:5], s[2:3]
	s_cbranch_execz .LBB462_67
; %bb.66:
	v_add_u32_e32 v18, s44, v27
	v_ashrrev_i32_e32 v19, 31, v18
	v_mul_lo_u32 v20, v19, s34
	v_mul_lo_u32 v21, v18, s35
	v_mad_u64_u32 v[18:19], s[6:7], v18, s34, 0
	v_add3_u32 v19, v19, v21, v20
	v_lshl_add_u64 v[18:19], v[18:19], 2, s[10:11]
	global_load_dword v18, v[18:19], off
	s_waitcnt vmcnt(0)
	v_sub_f32_e32 v18, s12, v18
	v_mul_f32_e32 v18, 0x3fb8aa3b, v18
	v_exp_f32_e32 v44, v18
.LBB462_67:
	s_or_b64 exec, exec, s[4:5]
	v_or_b32_e32 v45, 3, v32
	v_cmp_gt_i32_e64 s[4:5], s45, v45
	s_and_saveexec_b64 s[6:7], s[4:5]
	s_cbranch_execz .LBB462_69
; %bb.68:
	v_add_u32_e32 v18, s44, v45
	v_ashrrev_i32_e32 v19, 31, v18
	v_mul_lo_u32 v20, v19, s34
	v_mul_lo_u32 v21, v18, s35
	v_mad_u64_u32 v[18:19], s[16:17], v18, s34, 0
	v_add3_u32 v19, v19, v21, v20
	v_lshl_add_u64 v[18:19], v[18:19], 2, s[10:11]
	global_load_dword v18, v[18:19], off
	s_waitcnt vmcnt(0)
	v_sub_f32_e32 v18, s12, v18
	v_mul_f32_e32 v18, 0x3fb8aa3b, v18
	v_exp_f32_e32 v38, v18
.LBB462_69:
	s_or_b64 exec, exec, s[6:7]
	s_add_u32 s6, s8, s26
	v_accvgpr_read_b32 v21, a7
	s_addc_u32 s7, s9, s27
	v_ashrrev_i32_e32 v35, 31, v34
	v_accvgpr_read_b32 v20, a6
	v_accvgpr_read_b32 v19, a5
	;; [unrolled: 1-line block ×3, first 2 shown]
	v_lshl_add_u64 v[22:23], v[34:35], 1, s[6:7]
	v_mov_b32_e32 v29, 0
	v_lshlrev_b32_e32 v24, 8, v32
	v_mov_b32_e32 v25, 0
	s_and_saveexec_b64 s[6:7], vcc
	s_cbranch_execz .LBB462_71
; %bb.70:
	v_mov_b32_e32 v25, 0
	v_lshl_add_u64 v[30:31], v[22:23], 0, v[24:25]
	global_load_ushort v25, v[30:31], off
	s_waitcnt vmcnt(0)
	v_lshlrev_b32_e32 v25, 16, v25
	v_sub_f32_e32 v18, v25, v18
	v_mul_f32_e32 v18, v39, v18
	v_lshrrev_b32_e32 v25, 16, v18
.LBB462_71:
	s_or_b64 exec, exec, s[6:7]
	v_lshlrev_b32_e32 v28, 8, v26
	s_and_saveexec_b64 s[6:7], s[0:1]
	s_cbranch_execz .LBB462_73
; %bb.72:
	v_mov_b32_e32 v29, 0
	v_lshl_add_u64 v[30:31], v[22:23], 0, v[28:29]
	global_load_ushort v18, v[30:31], off
	s_waitcnt vmcnt(0)
	v_lshlrev_b32_e32 v18, 16, v18
	v_sub_f32_e32 v18, v18, v19
	v_mul_f32_e32 v18, v33, v18
	v_lshrrev_b32_e32 v29, 16, v18
.LBB462_73:
	s_or_b64 exec, exec, s[6:7]
	v_mov_b32_e32 v46, 0
	v_lshlrev_b32_e32 v30, 8, v27
	v_mov_b32_e32 v31, 0
	s_and_saveexec_b64 s[6:7], s[2:3]
	s_cbranch_execz .LBB462_75
; %bb.74:
	v_mov_b32_e32 v31, 0
	v_lshl_add_u64 v[18:19], v[22:23], 0, v[30:31]
	global_load_ushort v18, v[18:19], off
	s_waitcnt vmcnt(0)
	v_lshlrev_b32_e32 v18, 16, v18
	v_sub_f32_e32 v18, v18, v20
	v_mul_f32_e32 v18, v44, v18
	v_lshrrev_b32_e32 v31, 16, v18
.LBB462_75:
	s_or_b64 exec, exec, s[6:7]
	v_lshlrev_b32_e32 v26, 8, v45
	s_and_saveexec_b64 s[6:7], s[4:5]
	s_cbranch_execz .LBB462_77
; %bb.76:
	v_mov_b32_e32 v27, 0
	v_lshl_add_u64 v[18:19], v[22:23], 0, v[26:27]
	global_load_ushort v18, v[18:19], off
	s_waitcnt vmcnt(0)
	v_lshlrev_b32_e32 v18, 16, v18
	v_sub_f32_e32 v18, v18, v21
	v_mul_f32_e32 v18, v38, v18
	v_lshrrev_b32_e32 v46, 16, v18
.LBB462_77:
	s_or_b64 exec, exec, s[6:7]
	v_lshlrev_b32_e32 v35, 5, v32
	s_mov_b32 s6, 0x5040100
	v_perm_b32 v47, v46, v31, s6
	v_perm_b32 v46, v29, v25, s6
	v_or_b32_e32 v25, v35, v40
	v_accvgpr_read_b32 v21, a3
	v_lshlrev_b32_e32 v25, 1, v25
	v_accvgpr_read_b32 v20, a2
	v_accvgpr_read_b32 v19, a1
	;; [unrolled: 1-line block ×3, first 2 shown]
	ds_write_b64 v25, v[46:47] offset:45056
	v_mov_b32_e32 v29, 0
	v_mov_b32_e32 v25, 0
	s_and_saveexec_b64 s[6:7], vcc
	s_cbranch_execz .LBB462_79
; %bb.78:
	v_mov_b32_e32 v25, 0
	v_lshl_add_u64 v[24:25], v[22:23], 0, v[24:25]
	global_load_ushort v24, v[24:25], off offset:32
	s_waitcnt vmcnt(0)
	v_lshlrev_b32_e32 v24, 16, v24
	v_sub_f32_e32 v18, v24, v18
	v_mul_f32_e32 v18, v39, v18
	v_lshrrev_b32_e32 v25, 16, v18
.LBB462_79:
	s_or_b64 exec, exec, s[6:7]
	s_and_saveexec_b64 s[6:7], s[0:1]
	s_cbranch_execz .LBB462_81
; %bb.80:
	v_mov_b32_e32 v29, 0
	v_lshl_add_u64 v[28:29], v[22:23], 0, v[28:29]
	global_load_ushort v18, v[28:29], off offset:32
	s_waitcnt vmcnt(0)
	v_lshlrev_b32_e32 v18, 16, v18
	v_sub_f32_e32 v18, v18, v19
	v_mul_f32_e32 v18, v33, v18
	v_lshrrev_b32_e32 v29, 16, v18
.LBB462_81:
	s_or_b64 exec, exec, s[6:7]
	v_mov_b32_e32 v24, 0
	v_mov_b32_e32 v28, 0
	s_and_saveexec_b64 s[0:1], s[2:3]
	s_cbranch_execz .LBB462_83
; %bb.82:
	v_mov_b32_e32 v31, 0
	v_lshl_add_u64 v[18:19], v[22:23], 0, v[30:31]
	global_load_ushort v18, v[18:19], off offset:32
	s_waitcnt vmcnt(0)
	v_lshlrev_b32_e32 v18, 16, v18
	v_sub_f32_e32 v18, v18, v20
	v_mul_f32_e32 v18, v44, v18
	v_lshrrev_b32_e32 v28, 16, v18
.LBB462_83:
	s_or_b64 exec, exec, s[0:1]
	v_or_b32_e32 v19, 0xb000, v42
	v_or_b32_e32 v18, 0xb000, v43
	s_and_saveexec_b64 s[0:1], s[4:5]
	s_cbranch_execz .LBB462_85
; %bb.84:
	v_mov_b32_e32 v27, 0
	v_lshl_add_u64 v[22:23], v[22:23], 0, v[26:27]
	global_load_ushort v20, v[22:23], off offset:32
	s_waitcnt vmcnt(0)
	v_lshlrev_b32_e32 v20, 16, v20
	v_sub_f32_e32 v20, v20, v21
	v_mul_f32_e32 v20, v38, v20
	v_lshrrev_b32_e32 v24, 16, v20
.LBB462_85:
	s_or_b64 exec, exec, s[0:1]
	s_mov_b32 s0, 0x5040100
	v_or_b32_e32 v22, v35, v37
	v_perm_b32 v21, v24, v28, s0
	v_perm_b32 v20, v29, v25, s0
	v_lshlrev_b32_e32 v22, 1, v22
	s_movk_i32 s2, 0x100
	ds_write_b64 v22, v[20:21] offset:45056
	v_and_b32_e32 v20, 7, v0
	v_and_b32_e32 v21, 8, v0
	v_cmp_gt_u32_e32 vcc, s2, v0
	v_lshrrev_b32_e32 v0, 1, v0
	v_lshlrev_b32_e32 v26, 3, v20
	v_lshlrev_b32_e32 v35, 7, v20
	v_mov_b32_e32 v20, 0x4000
	v_mov_b32_e32 v22, 0x2000
	v_lshlrev_b32_e32 v24, 3, v53
	v_and_b32_e32 v0, 24, v0
	v_cndmask_b32_e32 v27, v20, v22, vcc
	v_xor_b32_e32 v20, v24, v0
	v_or_b32_e32 v22, 0x440, v20
	v_cmp_eq_u32_e32 vcc, 0, v21
	v_or_b32_e32 v28, 32, v0
	v_xor_b32_e32 v28, v24, v28
	v_cndmask_b32_e32 v20, v22, v20, vcc
	v_or_b32_e32 v20, v20, v41
	v_xor_b32_e32 v50, v20, v26
	v_or_b32_e32 v29, 0x440, v28
	v_add3_u32 v25, v27, v50, v35
	v_cndmask_b32_e32 v28, v29, v28, vcc
	v_or_b32_e32 v29, 64, v0
	v_or_b32_e32 v0, 0x60, v0
	s_waitcnt lgkmcnt(0)
	s_barrier
	v_xor_b32_e32 v29, v24, v29
	v_xor_b32_e32 v0, v24, v0
	ds_read_b64 v[24:25], v25
	v_xor_b32_e32 v30, 0x440, v29
	ds_read2_b64 v[20:23], v19 offset1:16
	v_cndmask_b32_e32 v29, v30, v29, vcc
	v_xor_b32_e32 v30, 0x440, v0
	v_or_b32_e32 v28, v28, v41
	v_or_b32_e32 v29, v29, v41
	v_cndmask_b32_e32 v0, v30, v0, vcc
	s_add_i32 s0, s20, s46
	v_xor_b32_e32 v51, v28, v26
	v_xor_b32_e32 v52, v29, v26
	v_or_b32_e32 v0, v0, v41
	s_mul_hi_i32 s1, s0, s13
	v_add3_u32 v28, v27, v51, v35
	v_add3_u32 v29, v27, v52, v35
	v_xor_b32_e32 v54, v0, v26
	s_mul_i32 s0, s0, s13
	v_add3_u32 v0, v27, v54, v35
	ds_read_b64 v[26:27], v28
	ds_read_b64 v[46:47], v29
	;; [unrolled: 1-line block ×3, first 2 shown]
	s_add_u32 s0, s0, s33
	ds_read2st64_b64 v[28:31], v19 offset0:2 offset1:4
	ds_read2st64_b64 v[38:41], v18 offset0:2 offset1:4
	s_waitcnt lgkmcnt(5)
	v_mfma_f32_16x16x16_bf16 a[0:3], v[24:25], v[20:21], 0
	s_addc_u32 s1, s1, s14
	s_lshl_b64 s[0:1], s[0:1], 9
	s_add_u32 s0, s30, s0
	v_mfma_f32_16x16x16_bf16 a[4:7], v[24:25], v[22:23], 0
	s_addc_u32 s1, s31, s1
	v_lshlrev_b32_e32 v0, 2, v32
	v_lshlrev_b32_e32 v32, 2, v36
	s_waitcnt lgkmcnt(1)
	v_mfma_f32_16x16x16_bf16 a[0:3], v[26:27], v[28:29], a[0:3]
	ds_read_b64 v[36:37], v18 offset:3072
	s_waitcnt lgkmcnt(1)
	v_mfma_f32_16x16x16_bf16 a[4:7], v[26:27], v[38:39], a[4:7]
	global_load_dwordx4 v[24:27], v0, s[0:1]
	v_lshlrev_b32_e32 v0, 6, v53
	v_or3_b32 v0, v0, v32, s2
	global_load_dwordx4 v[42:45], v0, s[0:1]
	ds_read_b64 v[32:33], v19 offset:3072
	v_mfma_f32_16x16x16_bf16 a[0:3], v[46:47], v[30:31], a[0:3]
	v_mov_b32_e32 v0, 0x3fb8aa3b
	v_mul_f32_e32 v0, s12, v0
	v_exp_f32_e32 v0, v0
	v_mfma_f32_16x16x16_bf16 a[4:7], v[46:47], v[40:41], a[4:7]
	s_waitcnt vmcnt(1)
	v_mul_f32_e32 v18, 0x3fb8aa3b, v24
	v_mul_f32_e32 v19, 0x3fb8aa3b, v25
	v_exp_f32_e32 v18, v18
	v_exp_f32_e32 v19, v19
	s_waitcnt lgkmcnt(0)
	v_mfma_f32_16x16x16_bf16 a[0:3], v[48:49], v[32:33], a[0:3]
	v_mul_f32_e32 v24, 0x3fb8aa3b, v26
	v_mul_f32_e32 v25, 0x3fb8aa3b, v27
	v_pk_mul_f32 v[46:47], v[0:1], v[18:19] op_sel_hi:[0,1]
	v_add_u32_e32 v18, v50, v35
	v_exp_f32_e32 v24, v24
	v_exp_f32_e32 v25, v25
	v_add_u32_e32 v50, v52, v35
	v_accvgpr_read_b32 v27, a3
	v_accvgpr_read_b32 v26, a2
	v_mfma_f32_16x16x16_bf16 a[2:5], v[48:49], v[36:37], a[4:7]
	ds_read_b64 v[48:49], v18 offset:16384
	v_accvgpr_read_b32 v19, a1
	v_accvgpr_read_b32 v18, a0
	v_pk_fma_f32 v[18:19], v[2:3], v[46:47], v[18:19]
	v_add_u32_e32 v2, v51, v35
	s_waitcnt lgkmcnt(0)
	v_mfma_f32_16x16x16_bf16 a[6:9], v[48:49], v[20:21], 0
	v_add_u32_e32 v35, v54, v35
	ds_read_b64 v[2:3], v2 offset:16384
	ds_read_b64 v[50:51], v50 offset:16384
	;; [unrolled: 1-line block ×3, first 2 shown]
	v_pk_mul_f32 v[24:25], v[0:1], v[24:25] op_sel_hi:[0,1]
	v_pk_fma_f32 v[20:21], v[4:5], v[24:25], v[26:27]
	v_accvgpr_read_b32 v4, a2
	v_mfma_f32_16x16x16_bf16 a[10:13], v[48:49], v[22:23], 0
	v_fma_f32 v26, v10, v46, v4
	v_accvgpr_read_b32 v4, a3
	v_fma_f32 v27, v11, v47, v4
	s_waitcnt lgkmcnt(2)
	v_mfma_f32_16x16x16_bf16 a[0:3], v[2:3], v[28:29], a[6:9]
	v_accvgpr_read_b32 v4, a4
	v_accvgpr_read_b32 v29, a5
	v_fma_f32 v28, v12, v24, v4
	v_mfma_f32_16x16x16_bf16 a[4:7], v[2:3], v[38:39], a[10:13]
	s_waitcnt vmcnt(0)
	v_mov_b32_e32 v2, v43
	v_mov_b32_e32 v3, v44
	;; [unrolled: 1-line block ×3, first 2 shown]
	s_waitcnt lgkmcnt(1)
	v_mfma_f32_16x16x16_bf16 a[0:3], v[50:51], v[30:31], a[0:3]
	v_mul_f32_e32 v2, 0x3fb8aa3b, v2
	v_mul_f32_e32 v5, 0x3fb8aa3b, v42
	v_exp_f32_e32 v11, v2
	v_mfma_f32_16x16x16_bf16 a[4:7], v[50:51], v[40:41], a[4:7]
	v_mul_f32_e32 v2, 0x3fb8aa3b, v3
	v_mul_f32_e32 v3, 0x3fb8aa3b, v4
	v_exp_f32_e32 v10, v5
	s_waitcnt lgkmcnt(0)
	v_mfma_f32_16x16x16_bf16 a[0:3], v[52:53], v[32:33], a[0:3]
	v_exp_f32_e32 v2, v2
	v_exp_f32_e32 v3, v3
	v_pk_mul_f32 v[10:11], v[0:1], v[10:11] op_sel_hi:[0,1]
	v_fmac_f32_e32 v29, v13, v25
	v_mov_b32_e32 v35, v34
	v_pk_mul_f32 v[2:3], v[0:1], v[2:3] op_sel_hi:[0,1]
	s_nop 0
	v_accvgpr_read_b32 v5, a3
	v_accvgpr_read_b32 v4, a2
	v_mfma_f32_16x16x16_bf16 a[2:5], v[52:53], v[36:37], a[4:7]
	v_accvgpr_read_b32 v13, a1
	v_accvgpr_read_b32 v12, a0
	v_pk_fma_f32 v[22:23], v[6:7], v[10:11], v[12:13]
	v_pk_fma_f32 v[24:25], v[8:9], v[2:3], v[4:5]
	s_nop 2
	v_accvgpr_read_b32 v0, a2
	v_fma_f32 v30, v14, v10, v0
	v_accvgpr_read_b32 v0, a3
	v_fma_f32 v31, v15, v11, v0
	v_accvgpr_read_b32 v0, a4
	v_accvgpr_read_b32 v33, a5
	v_fma_f32 v32, v16, v2, v0
	v_fmac_f32_e32 v33, v17, v3
	v_mov_b64_e32 v[2:3], v[18:19]
	v_mov_b64_e32 v[4:5], v[20:21]
	;; [unrolled: 1-line block ×8, first 2 shown]
.LBB462_86:
	s_lshl_b64 s[0:1], s[24:25], 16
	s_waitcnt lgkmcnt(0)
	s_add_u32 s0, s28, s0
	v_lshlrev_b32_e32 v18, 7, v35
	s_addc_u32 s1, s29, s1
	v_ashrrev_i32_e32 v19, 31, v18
	v_lshl_add_u64 v[20:21], v[18:19], 2, s[0:1]
	v_lshlrev_b32_e32 v0, 2, v1
	v_mov_b32_e32 v1, 0
	v_lshl_add_u64 v[20:21], v[20:21], 0, v[0:1]
	global_store_dwordx4 v[20:21], v[2:5], off
	global_store_dwordx4 v[20:21], v[6:9], off offset:256
	s_nop 0
	v_or_b32_e32 v2, 0x800, v18
	v_ashrrev_i32_e32 v3, 31, v2
	v_lshl_add_u64 v[2:3], v[2:3], 2, s[0:1]
	v_lshl_add_u64 v[0:1], v[2:3], 0, v[0:1]
	global_store_dwordx4 v[0:1], v[10:13], off
	global_store_dwordx4 v[0:1], v[14:17], off offset:256
	s_endpgm
	.section	.rodata,"a",@progbits
	.p2align	6, 0x0
	.amdhsa_kernel _ZN12_GLOBAL__N_139chunk_gated_delta_rule_fwd_h_hip_kernelILi32ELb0ELb1ELb0ELb0ELb0ELb1ELb1ELb0EEEvPK12hip_bfloat16S3_S3_PKfS5_PKvPS1_S8_PvPKiSB_iiiiilll
		.amdhsa_group_segment_fixed_size 49152
		.amdhsa_private_segment_fixed_size 0
		.amdhsa_kernarg_size 136
		.amdhsa_user_sgpr_count 2
		.amdhsa_user_sgpr_dispatch_ptr 0
		.amdhsa_user_sgpr_queue_ptr 0
		.amdhsa_user_sgpr_kernarg_segment_ptr 1
		.amdhsa_user_sgpr_dispatch_id 0
		.amdhsa_user_sgpr_kernarg_preload_length 0
		.amdhsa_user_sgpr_kernarg_preload_offset 0
		.amdhsa_user_sgpr_private_segment_size 0
		.amdhsa_uses_dynamic_stack 0
		.amdhsa_enable_private_segment 0
		.amdhsa_system_sgpr_workgroup_id_x 1
		.amdhsa_system_sgpr_workgroup_id_y 1
		.amdhsa_system_sgpr_workgroup_id_z 0
		.amdhsa_system_sgpr_workgroup_info 0
		.amdhsa_system_vgpr_workitem_id 0
		.amdhsa_next_free_vgpr 164
		.amdhsa_next_free_sgpr 67
		.amdhsa_accum_offset 140
		.amdhsa_reserve_vcc 1
		.amdhsa_float_round_mode_32 0
		.amdhsa_float_round_mode_16_64 0
		.amdhsa_float_denorm_mode_32 3
		.amdhsa_float_denorm_mode_16_64 3
		.amdhsa_dx10_clamp 1
		.amdhsa_ieee_mode 1
		.amdhsa_fp16_overflow 0
		.amdhsa_tg_split 0
		.amdhsa_exception_fp_ieee_invalid_op 0
		.amdhsa_exception_fp_denorm_src 0
		.amdhsa_exception_fp_ieee_div_zero 0
		.amdhsa_exception_fp_ieee_overflow 0
		.amdhsa_exception_fp_ieee_underflow 0
		.amdhsa_exception_fp_ieee_inexact 0
		.amdhsa_exception_int_div_zero 0
	.end_amdhsa_kernel
	.section	.text._ZN12_GLOBAL__N_139chunk_gated_delta_rule_fwd_h_hip_kernelILi32ELb0ELb1ELb0ELb0ELb0ELb1ELb1ELb0EEEvPK12hip_bfloat16S3_S3_PKfS5_PKvPS1_S8_PvPKiSB_iiiiilll,"axG",@progbits,_ZN12_GLOBAL__N_139chunk_gated_delta_rule_fwd_h_hip_kernelILi32ELb0ELb1ELb0ELb0ELb0ELb1ELb1ELb0EEEvPK12hip_bfloat16S3_S3_PKfS5_PKvPS1_S8_PvPKiSB_iiiiilll,comdat
.Lfunc_end462:
	.size	_ZN12_GLOBAL__N_139chunk_gated_delta_rule_fwd_h_hip_kernelILi32ELb0ELb1ELb0ELb0ELb0ELb1ELb1ELb0EEEvPK12hip_bfloat16S3_S3_PKfS5_PKvPS1_S8_PvPKiSB_iiiiilll, .Lfunc_end462-_ZN12_GLOBAL__N_139chunk_gated_delta_rule_fwd_h_hip_kernelILi32ELb0ELb1ELb0ELb0ELb0ELb1ELb1ELb0EEEvPK12hip_bfloat16S3_S3_PKfS5_PKvPS1_S8_PvPKiSB_iiiiilll
                                        ; -- End function
	.section	.AMDGPU.csdata,"",@progbits
; Kernel info:
; codeLenInByte = 9892
; NumSgprs: 73
; NumVgprs: 140
; NumAgprs: 24
; TotalNumVgprs: 164
; ScratchSize: 0
; MemoryBound: 0
; FloatMode: 240
; IeeeMode: 1
; LDSByteSize: 49152 bytes/workgroup (compile time only)
; SGPRBlocks: 9
; VGPRBlocks: 20
; NumSGPRsForWavesPerEU: 73
; NumVGPRsForWavesPerEU: 164
; AccumOffset: 140
; Occupancy: 1
; WaveLimiterHint : 1
; COMPUTE_PGM_RSRC2:SCRATCH_EN: 0
; COMPUTE_PGM_RSRC2:USER_SGPR: 2
; COMPUTE_PGM_RSRC2:TRAP_HANDLER: 0
; COMPUTE_PGM_RSRC2:TGID_X_EN: 1
; COMPUTE_PGM_RSRC2:TGID_Y_EN: 1
; COMPUTE_PGM_RSRC2:TGID_Z_EN: 0
; COMPUTE_PGM_RSRC2:TIDIG_COMP_CNT: 0
; COMPUTE_PGM_RSRC3_GFX90A:ACCUM_OFFSET: 34
; COMPUTE_PGM_RSRC3_GFX90A:TG_SPLIT: 0
	.section	.text._ZN12_GLOBAL__N_139chunk_gated_delta_rule_fwd_h_hip_kernelILi32ELb0ELb0ELb1ELb0ELb0ELb1ELb1ELb0EEEvPK12hip_bfloat16S3_S3_PKfS5_PKvPS1_S8_PvPKiSB_iiiiilll,"axG",@progbits,_ZN12_GLOBAL__N_139chunk_gated_delta_rule_fwd_h_hip_kernelILi32ELb0ELb0ELb1ELb0ELb0ELb1ELb1ELb0EEEvPK12hip_bfloat16S3_S3_PKfS5_PKvPS1_S8_PvPKiSB_iiiiilll,comdat
	.globl	_ZN12_GLOBAL__N_139chunk_gated_delta_rule_fwd_h_hip_kernelILi32ELb0ELb0ELb1ELb0ELb0ELb1ELb1ELb0EEEvPK12hip_bfloat16S3_S3_PKfS5_PKvPS1_S8_PvPKiSB_iiiiilll ; -- Begin function _ZN12_GLOBAL__N_139chunk_gated_delta_rule_fwd_h_hip_kernelILi32ELb0ELb0ELb1ELb0ELb0ELb1ELb1ELb0EEEvPK12hip_bfloat16S3_S3_PKfS5_PKvPS1_S8_PvPKiSB_iiiiilll
	.p2align	8
	.type	_ZN12_GLOBAL__N_139chunk_gated_delta_rule_fwd_h_hip_kernelILi32ELb0ELb0ELb1ELb0ELb0ELb1ELb1ELb0EEEvPK12hip_bfloat16S3_S3_PKfS5_PKvPS1_S8_PvPKiSB_iiiiilll,@function
_ZN12_GLOBAL__N_139chunk_gated_delta_rule_fwd_h_hip_kernelILi32ELb0ELb0ELb1ELb0ELb0ELb1ELb1ELb0EEEvPK12hip_bfloat16S3_S3_PKfS5_PKvPS1_S8_PvPKiSB_iiiiilll: ; @_ZN12_GLOBAL__N_139chunk_gated_delta_rule_fwd_h_hip_kernelILi32ELb0ELb0ELb1ELb0ELb0ELb1ELb1ELb0EEEvPK12hip_bfloat16S3_S3_PKfS5_PKvPS1_S8_PvPKiSB_iiiiilll
; %bb.0:
	s_load_dwordx4 s[16:19], s[0:1], 0x5c
	s_load_dwordx4 s[12:15], s[0:1], 0x30
	s_abs_i32 s22, s3
	s_ashr_i32 s21, s3, 31
	s_load_dwordx8 s[4:11], s[0:1], 0x0
	s_waitcnt lgkmcnt(0)
	s_abs_i32 s20, s17
	v_cvt_f32_u32_e32 v1, s20
	s_sub_i32 s24, 0, s20
	s_ashr_i32 s23, s17, 31
	s_xor_b32 s21, s21, s23
	v_rcp_iflag_f32_e32 v1, v1
	v_lshrrev_b32_e32 v63, 6, v0
	v_bfe_u32 v64, v0, 4, 2
	v_lshlrev_b32_e32 v2, 2, v64
	v_mul_f32_e32 v1, 0x4f7ffffe, v1
	v_cvt_u32_f32_e32 v1, v1
	v_and_b32_e32 v62, 63, v0
	v_mov_b32_e32 v5, 0
	v_and_b32_e32 v45, 15, v0
	v_readfirstlane_b32 s25, v1
	s_mul_i32 s24, s24, s25
	s_mul_hi_u32 s24, s25, s24
	s_add_i32 s25, s25, s24
	s_mul_hi_u32 s24, s22, s25
	s_mul_i32 s25, s24, s20
	s_sub_i32 s22, s22, s25
	s_add_i32 s26, s24, 1
	s_sub_i32 s25, s22, s20
	s_cmp_ge_u32 s22, s20
	s_cselect_b32 s24, s26, s24
	s_cselect_b32 s22, s25, s22
	s_add_i32 s25, s24, 1
	s_cmp_ge_u32 s22, s20
	s_cselect_b32 s22, s25, s24
	s_abs_i32 s24, s18
	v_cvt_f32_u32_e32 v1, s24
	s_xor_b32 s22, s22, s21
	s_ashr_i32 s48, s16, 31
	s_sub_i32 s50, s22, s21
	v_rcp_iflag_f32_e32 v1, v1
	s_lshr_b32 s21, s48, 26
	s_add_i32 s21, s16, s21
	s_ashr_i32 s51, s18, 31
	v_mul_f32_e32 v1, 0x4f7ffffe, v1
	v_cvt_u32_f32_e32 v1, v1
	s_ashr_i32 s49, s21, 6
	s_xor_b32 s21, s23, s51
	s_sub_i32 s22, 0, s24
	v_readfirstlane_b32 s23, v1
	s_mul_i32 s22, s22, s23
	s_mul_hi_u32 s22, s23, s22
	s_add_i32 s23, s23, s22
	s_mul_hi_u32 s22, s20, s23
	s_mul_i32 s23, s22, s24
	s_mul_i32 s47, s50, s17
	s_sub_i32 s20, s20, s23
	s_sub_i32 s33, s3, s47
	s_add_i32 s3, s16, 63
	s_add_i32 s23, s22, 1
	s_sub_i32 s25, s20, s24
	s_cmp_ge_u32 s20, s24
	s_cselect_b32 s22, s23, s22
	s_cselect_b32 s20, s25, s20
	s_add_i32 s23, s22, 1
	s_cmp_ge_u32 s20, s24
	s_cselect_b32 s20, s23, s22
	s_xor_b32 s20, s20, s21
	s_sub_i32 s24, s20, s21
	s_abs_i32 s25, s24
	v_cvt_f32_u32_e32 v1, s25
	s_sub_i32 s27, 0, s25
	s_abs_i32 s26, s33
	s_xor_b32 s24, s33, s24
	v_rcp_iflag_f32_e32 v1, v1
	s_ashr_i32 s24, s24, 31
	s_load_dwordx2 s[34:35], s[0:1], 0x80
	s_load_dwordx4 s[20:23], s[0:1], 0x70
	s_mul_hi_i32 s53, s50, s17
	v_mul_f32_e32 v1, 0x4f7ffffe, v1
	v_cvt_u32_f32_e32 v1, v1
	v_lshrrev_b32_e32 v66, 3, v62
	v_lshlrev_b32_e32 v65, 3, v0
	s_waitcnt lgkmcnt(0)
	s_mul_i32 s21, s50, s21
	v_readfirstlane_b32 s28, v1
	s_mul_i32 s27, s27, s28
	s_mul_hi_u32 s27, s28, s27
	s_add_i32 s28, s28, s27
	s_mul_hi_u32 s27, s26, s28
	s_mul_i32 s28, s27, s25
	s_sub_i32 s26, s26, s28
	s_add_i32 s28, s27, 1
	s_sub_i32 s29, s26, s25
	s_cmp_ge_u32 s26, s25
	s_cselect_b32 s27, s28, s27
	s_cselect_b32 s26, s29, s26
	s_add_i32 s28, s27, 1
	s_cmp_ge_u32 s26, s25
	s_cselect_b32 s25, s28, s27
	s_xor_b32 s25, s25, s24
	s_sub_i32 s54, s25, s24
	s_ashr_i32 s24, s3, 31
	s_lshr_b32 s24, s24, 26
	v_lshlrev_b32_e32 v1, 4, v63
	s_add_i32 s3, s3, s24
	v_or_b32_e32 v67, v2, v1
	s_ashr_i32 s3, s3, 6
	s_lshl_b32 s36, s2, 5
	s_mul_i32 s52, s50, s3
	v_or_b32_e32 v68, 64, v67
	s_cmp_lt_i32 s16, 64
	s_mul_hi_u32 s46, s50, s20
	s_mul_i32 s38, s50, s20
	v_mov_b32_e32 v85, 0
	v_mov_b32_e32 v83, 0
	;; [unrolled: 1-line block ×15, first 2 shown]
	s_cbranch_scc1 .LBB463_18
; %bb.1:
	s_ashr_i32 s28, s50, 31
	s_ashr_i32 s56, s33, 31
	s_add_u32 s2, s47, s33
	s_addc_u32 s3, s53, s56
	s_mul_i32 s3, s16, s3
	s_mul_hi_u32 s24, s16, s2
	s_add_i32 s41, s24, s3
	s_mul_i32 s40, s16, s2
	s_lshl_b64 s[2:3], s[40:41], 8
	v_and_b32_e32 v70, 56, v65
	s_add_u32 s24, s6, s2
	v_lshl_or_b32 v69, v63, 3, v66
	v_lshlrev_b32_e32 v3, 1, v70
	s_addc_u32 s2, s7, s3
	v_lshl_or_b32 v71, v69, 8, v3
	s_and_b32 s25, s2, 0xffff
	s_mov_b32 s27, 0x20000
	s_movk_i32 s26, 0x4000
	s_movk_i32 s2, 0x80
	v_or_b32_e32 v72, 0x2000, v71
	buffer_load_dwordx4 v[4:7], v71, s[24:27], 0 offen
	buffer_load_dwordx4 v[8:11], v71, s[24:27], s2 offen
	;; [unrolled: 1-line block ×4, first 2 shown]
	v_lshlrev_b32_e32 v20, 3, v69
	v_and_or_b32 v22, v0, 7, v20
	v_and_b32_e32 v20, 0x78, v20
	v_lshlrev_b32_e32 v22, 4, v22
	v_xor_b32_e32 v73, v22, v20
	v_mul_lo_u32 v21, v69, s19
	v_or_b32_e32 v74, 0x1000, v73
	s_cmpk_eq_i32 s19, 0x80
	s_mov_b32 s55, s18
	v_xor_b32_e32 v20, 8, v73
	v_xor_b32_e32 v22, 8, v74
	s_cselect_b64 s[2:3], -1, 0
	s_cmpk_lg_i32 s19, 0x80
	s_waitcnt vmcnt(3)
	ds_write_b64 v73, v[4:5] offset:24576
	ds_write_b64 v20, v[6:7] offset:24576
	s_waitcnt vmcnt(2)
	ds_write_b64 v73, v[8:9] offset:32768
	ds_write_b64 v20, v[10:11] offset:32768
	;; [unrolled: 3-line block ×4, first 2 shown]
	v_lshl_add_u32 v4, v21, 1, v70
	s_cbranch_scc0 .LBB463_3
; %bb.2:
	v_lshlrev_b32_e32 v6, 1, v4
	v_add_lshl_u32 v5, v4, s19, 1
	s_lshl_b32 s26, s19, 7
	s_load_dwordx2 s[42:43], s[0:1], 0x20
	v_lshl_or_b32 v3, v69, 9, v3
	s_cbranch_execz .LBB463_4
	s_branch .LBB463_5
.LBB463_3:
                                        ; implicit-def: $vgpr5
                                        ; implicit-def: $vgpr6
                                        ; implicit-def: $sgpr26
	s_load_dwordx2 s[42:43], s[0:1], 0x20
	v_lshl_or_b32 v3, v69, 9, v3
.LBB463_4:
	v_or_b32_e32 v5, 0x100, v3
	s_movk_i32 s26, 0x4000
	v_mov_b32_e32 v6, v3
.LBB463_5:
	s_mul_hi_u32 s0, s18, s16
	s_mul_i32 s1, s51, s16
	s_add_i32 s0, s0, s1
	s_mul_i32 s1, s18, s16
	s_mul_i32 s24, s1, s28
	s_mul_hi_u32 s25, s1, s50
	s_add_i32 s24, s25, s24
	s_mul_i32 s0, s0, s50
	s_add_i32 s24, s24, s0
	s_mul_i32 s1, s1, s50
	s_ashr_i32 s57, s54, 31
	s_add_u32 s0, s1, s54
	s_addc_u32 s1, s24, s57
	s_lshl_b64 s[0:1], s[0:1], 8
	s_add_u32 s24, s4, s0
	s_addc_u32 s0, s5, s1
	s_and_b32 s25, s0, 0xffff
	s_movk_i32 s58, 0x80
	buffer_load_dwordx4 v[8:11], v6, s[24:27], 0 offen
	buffer_load_dwordx4 v[12:15], v6, s[24:27], s58 offen
	;; [unrolled: 1-line block ×4, first 2 shown]
	v_and_b32_e32 v5, 6, v0
	v_lshlrev_b32_e32 v24, 6, v67
	v_or_b32_e32 v26, 16, v45
	v_xor_b32_e32 v27, v69, v5
	v_and_b32_e32 v6, 1, v0
	s_mul_i32 s0, s28, s16
	s_mul_hi_u32 s1, s50, s16
	v_lshl_or_b32 v30, v45, 3, v24
	v_lshl_or_b32 v24, v26, 3, v24
	v_lshlrev_b32_e32 v27, 2, v27
	v_lshlrev_b32_e32 v7, 2, v45
	v_or_b32_e32 v77, 0xa000, v24
	v_or_b32_e32 v78, 0xb000, v24
	v_xor_b32_e32 v24, 0x440, v27
	v_cmp_eq_u32_e32 vcc, 0, v6
	s_add_i32 s63, s1, s0
	s_add_i32 s0, s46, s21
	s_mul_i32 s28, s28, s20
	v_xor_b32_e32 v28, v67, v7
	v_xor_b32_e32 v29, v68, v7
	v_cndmask_b32_e32 v6, v24, v27, vcc
	s_add_i32 s39, s0, s28
	s_mul_i32 s0, s33, s23
	s_mul_hi_u32 s1, s33, s22
	s_mov_b32 s61, 0x1000504
	v_lshlrev_b32_e32 v25, 8, v45
	v_lshlrev_b32_e32 v28, 1, v28
	;; [unrolled: 1-line block ×3, first 2 shown]
	v_lshl_or_b32 v5, v5, 10, v6
	s_add_i32 s0, s1, s0
	s_mul_i32 s1, s56, s22
	s_mov_b32 s62, 0x3020706
	v_or_b32_e32 v75, 0xa000, v30
	v_or_b32_e32 v76, 0xb000, v30
	;; [unrolled: 1-line block ×4, first 2 shown]
	v_xor_b32_e32 v6, 8, v5
	v_xor_b32_e32 v25, 24, v5
	;; [unrolled: 1-line block ×4, first 2 shown]
	s_add_i32 s1, s0, s1
	s_lshl_b64 s[24:25], s[38:39], 2
	v_xor_b32_e32 v24, 16, v5
	v_xor_b32_e32 v27, 32, v5
	;; [unrolled: 1-line block ×3, first 2 shown]
	v_add_u32_e32 v6, 0x80, v6
	v_add_u32_e32 v25, 0x80, v25
	;; [unrolled: 1-line block ×4, first 2 shown]
	s_mul_i32 s0, s33, s22
	s_add_u32 s24, s10, s24
	s_addc_u32 s25, s11, s25
	s_lshl_b64 s[0:1], s[0:1], 2
	s_add_u32 s44, s24, s0
	s_movk_i32 s0, 0xf8
	s_addc_u32 s45, s25, s1
	s_ashr_i32 s37, s36, 31
	s_lshl_b32 s30, s19, 7
	s_movk_i32 s24, 0x100
	v_mov_b32_e32 v55, 0
	v_lshlrev_b32_e32 v54, 4, v45
	v_cmp_gt_u32_e32 vcc, s24, v0
	s_mul_i32 s59, s50, s16
	s_mov_b32 s60, 0
	s_movk_i32 s39, 0x1000
	s_movk_i32 s26, 0x4000
	v_add_u32_e32 v102, v1, v2
	s_mov_b32 s64, 0x7060302
	v_mov_b32_e32 v113, 0x3fb8aa3b
	s_mov_b32 s66, 0
	v_mov_b32_e32 v50, v55
	v_mov_b32_e32 v51, v55
	;; [unrolled: 1-line block ×8, first 2 shown]
	s_waitcnt vmcnt(1)
	v_perm_b32 v33, v8, v16, s61
	s_waitcnt vmcnt(0)
	v_perm_b32 v34, v12, v20, s61
	v_perm_b32 v8, v8, v16, s62
	;; [unrolled: 1-line block ×15, first 2 shown]
	ds_write2st64_b32 v5, v33, v34 offset0:32 offset1:64
	ds_write2st64_b32 v6, v8, v12 offset0:32 offset1:64
	;; [unrolled: 1-line block ×8, first 2 shown]
	v_lshlrev_b32_e32 v5, 8, v26
	v_or_b32_e32 v81, v5, v28
	v_or_b32_e32 v82, v5, v29
	;; [unrolled: 1-line block ×3, first 2 shown]
	v_lshlrev_b32_e32 v5, 3, v5
	v_lshrrev_b32_e32 v8, 5, v62
	v_and_or_b32 v8, v5, s0, v8
	v_lshrrev_b32_e32 v6, 2, v62
	v_lshlrev_b32_e32 v11, 11, v63
	v_lshlrev_b32_e32 v8, 4, v8
	v_and_b32_e32 v5, 0x78, v5
	v_and_b32_e32 v9, 12, v6
	;; [unrolled: 1-line block ×3, first 2 shown]
	v_xor_b32_e32 v10, v8, v5
	v_lshrrev_b32_e32 v12, 1, v62
	v_or_b32_e32 v10, v10, v6
	v_and_b32_e32 v12, 8, v12
	v_xor_b32_e32 v89, v10, v12
	v_or_b32_e32 v10, 32, v8
	v_xor_b32_e32 v10, v10, v5
	v_or_b32_e32 v10, v10, v6
	;; [unrolled: 2-line block ×3, first 2 shown]
	v_or_b32_e32 v8, 0x60, v8
	v_xor_b32_e32 v10, v10, v5
	v_xor_b32_e32 v5, v8, v5
	s_lshl_b64 s[0:1], s[36:37], 8
	v_or_b32_e32 v10, v10, v6
	v_or_b32_e32 v5, v5, v6
	v_lshlrev_b32_e32 v14, 1, v4
	v_add_lshl_u32 v15, v4, s19, 1
	s_add_u32 s0, s12, s0
	v_lshlrev_b32_e32 v4, 1, v45
	v_xor_b32_e32 v93, v10, v12
	v_xor_b32_e32 v94, v5, v12
	v_lshrrev_b32_e32 v10, 4, v0
	s_addc_u32 s1, s13, s1
	v_or_b32_e32 v5, 1, v4
	v_mov_b32_e32 v20, 0x4000
	v_mov_b32_e32 v21, 0x2000
	v_lshrrev_b32_e32 v22, 1, v0
	v_xor_b32_e32 v12, v10, v4
	v_xor_b32_e32 v17, v5, v10
	v_lshl_add_u64 v[4:5], s[0:1], 0, v[54:55]
	v_lshlrev_b32_e32 v54, 8, v10
	v_cndmask_b32_e32 v20, v20, v21, vcc
	v_lshlrev_b32_e32 v21, 3, v63
	v_and_b32_e32 v22, 24, v22
	v_lshl_or_b32 v97, v12, 3, v54
	v_and_b32_e32 v12, 8, v0
	v_xor_b32_e32 v23, v21, v22
	v_or_b32_e32 v24, 0x440, v23
	v_cmp_eq_u32_e32 vcc, 0, v12
	v_and_b32_e32 v10, 7, v0
	v_lshlrev_b32_e32 v13, 7, v64
	v_cndmask_b32_e32 v12, v24, v23, vcc
	v_lshl_or_b32 v98, v17, 3, v54
	v_lshlrev_b32_e32 v17, 3, v10
	v_lshlrev_b32_e32 v19, 2, v0
	v_or_b32_e32 v12, v12, v11
	v_or_b32_e32 v7, v13, v7
	v_xor_b32_e32 v23, v12, v17
	v_and_or_b32 v12, v19, 60, v13
	v_mov_b32_e32 v13, 0xb000
	v_lshl_or_b32 v99, v12, 1, v13
	v_or_b32_e32 v12, 32, v22
	v_xor_b32_e32 v12, v21, v12
	v_or_b32_e32 v13, 0x440, v12
	v_cndmask_b32_e32 v12, v13, v12, vcc
	v_or_b32_e32 v12, v12, v11
	v_xor_b32_e32 v13, v12, v17
	v_or_b32_e32 v12, 64, v22
	v_xor_b32_e32 v12, v21, v12
	v_xor_b32_e32 v25, 0x440, v12
	v_cndmask_b32_e32 v12, v25, v12, vcc
	v_or_b32_e32 v12, v12, v11
	v_xor_b32_e32 v25, v12, v17
	v_or_b32_e32 v12, 0x60, v22
	v_xor_b32_e32 v12, v21, v12
	v_xor_b32_e32 v21, 0x440, v12
	v_cndmask_b32_e32 v12, v21, v12, vcc
	v_lshlrev_b32_e32 v7, 1, v7
	v_or_b32_e32 v6, s36, v45
	v_or_b32_e32 v11, v12, v11
	;; [unrolled: 1-line block ×6, first 2 shown]
	v_ashrrev_i32_e32 v7, 31, v6
	v_xor_b32_e32 v11, v11, v17
	v_lshlrev_b32_e32 v8, 7, v67
	v_or_b32_e32 v16, 0x100, v3
	v_lshlrev_b32_e32 v18, 7, v10
	v_or_b32_e32 v10, v9, v1
	v_add_u32_e32 v24, v20, v23
	v_add_u32_e32 v19, v20, v13
	;; [unrolled: 1-line block ×4, first 2 shown]
	v_or3_b32 v12, v1, v9, 64
	v_add_u32_e32 v9, 0x4000, v23
	v_add_u32_e32 v13, 0x4000, v13
	;; [unrolled: 1-line block ×4, first 2 shown]
	v_lshlrev_b64 v[6:7], 1, v[6:7]
	v_cndmask_b32_e64 v100, v14, v3, s[2:3]
	v_cndmask_b32_e64 v101, v15, v16, s[2:3]
	v_lshl_add_u64 v[56:57], s[8:9], 0, v[6:7]
	v_lshl_add_u64 v[58:59], s[14:15], 0, v[6:7]
	;; [unrolled: 1-line block ×3, first 2 shown]
	s_add_i32 s37, s59, 63
	v_lshlrev_b32_e32 v54, 1, v8
	v_lshlrev_b32_e32 v103, 2, v10
	v_add_u32_e32 v104, v24, v18
	v_add_u32_e32 v105, v19, v18
	;; [unrolled: 1-line block ×4, first 2 shown]
	v_lshlrev_b32_e32 v108, 2, v12
	v_add_u32_e32 v109, v9, v18
	v_add_u32_e32 v110, v13, v18
	;; [unrolled: 1-line block ×4, first 2 shown]
	v_mov_b32_e32 v87, v55
	v_mov_b32_e32 v86, v55
	;; [unrolled: 1-line block ×8, first 2 shown]
	s_waitcnt lgkmcnt(0)
	s_barrier
.LBB463_6:                              ; =>This Inner Loop Header: Depth=1
	s_add_i32 s65, s66, 1
	s_cmp_lt_i32 s65, s49
	s_mov_b64 s[28:29], 0
	s_cselect_b64 s[2:3], -1, 0
	s_cmp_ge_i32 s65, s49
	s_mov_b64 s[24:25], 0
	s_cbranch_scc1 .LBB463_8
; %bb.7:                                ;   in Loop: Header=BB463_6 Depth=1
	s_add_i32 s0, s60, 64
	s_add_u32 s0, s40, s0
	s_addc_u32 s1, s41, 0
	s_lshl_b64 s[0:1], s[0:1], 8
	s_add_u32 s24, s6, s0
	s_addc_u32 s25, s7, s1
.LBB463_8:                              ;   in Loop: Header=BB463_6 Depth=1
	v_cndmask_b32_e64 v2, 0, 1, s[2:3]
	v_cmp_ne_u32_e64 s[0:1], 1, v2
	s_andn2_b64 vcc, exec, s[2:3]
	s_cbranch_vccnz .LBB463_10
; %bb.9:                                ;   in Loop: Header=BB463_6 Depth=1
	s_add_i32 s2, s60, 64
	s_add_u32 s2, s59, s2
	s_addc_u32 s3, s63, 0
	s_mul_i32 s28, s2, s51
	s_mul_hi_u32 s29, s2, s55
	s_add_i32 s28, s29, s28
	s_mul_i32 s3, s3, s55
	s_add_i32 s28, s28, s3
	s_mul_i32 s2, s2, s55
	s_add_u32 s2, s2, s54
	s_addc_u32 s3, s28, s57
	s_lshl_b64 s[2:3], s[2:3], 8
	s_add_u32 s28, s4, s2
	s_addc_u32 s29, s5, s3
.LBB463_10:                             ;   in Loop: Header=BB463_6 Depth=1
	v_perm_b32 v3, v53, v52, s64
	v_perm_b32 v2, v51, v50, s64
	;; [unrolled: 1-line block ×4, first 2 shown]
	ds_write_b64 v75, v[2:3]
	ds_write_b64 v76, v[4:5]
	;; [unrolled: 1-line block ×4, first 2 shown]
	v_perm_b32 v3, v115, v88, s64
	v_perm_b32 v2, v86, v87, s64
	;; [unrolled: 1-line block ×4, first 2 shown]
	ds_write_b64 v77, v[2:3]
	ds_write_b64 v78, v[4:5]
	;; [unrolled: 1-line block ×4, first 2 shown]
	s_waitcnt lgkmcnt(0)
	s_barrier
	ds_read_b64 v[6:7], v89 offset:24576
	ds_read2_b64 v[2:5], v90 offset1:16
	ds_read_b64 v[10:11], v92 offset:3072
	ds_read_b64 v[12:13], v90 offset:3072
	ds_read_b64 v[14:15], v91 offset:24576
	s_waitcnt lgkmcnt(3)
	v_mfma_f32_16x16x16_bf16 a[0:3], v[6:7], v[2:3], 0
	s_add_i32 s2, s60, 63
	s_mul_i32 s3, s2, s35
	s_mul_hi_u32 s31, s2, s34
	v_mfma_f32_16x16x16_bf16 a[4:7], v[6:7], v[4:5], 0
	ds_read2st64_b64 v[2:5], v90 offset0:2 offset1:4
	ds_read2st64_b64 v[6:9], v92 offset0:2 offset1:4
	s_add_i32 s3, s31, s3
	s_waitcnt lgkmcnt(1)
	v_mfma_f32_16x16x16_bf16 a[0:3], v[14:15], v[2:3], a[0:3]
	s_mul_i32 s2, s2, s34
	s_lshl_b64 s[2:3], s[2:3], 2
	s_add_u32 s2, s44, s2
	s_waitcnt lgkmcnt(0)
	v_mfma_f32_16x16x16_bf16 a[4:7], v[14:15], v[6:7], a[4:7]
	ds_read_b64 v[2:3], v93 offset:24576
	ds_read_b64 v[6:7], v94 offset:24576
	s_addc_u32 s3, s45, s3
	s_and_b64 vcc, exec, s[0:1]
	s_waitcnt lgkmcnt(1)
	v_mfma_f32_16x16x16_bf16 a[0:3], v[2:3], v[4:5], a[0:3]
	v_mov_b32_e32 v118, 0
	v_mov_b32_e32 v117, 0
	;; [unrolled: 1-line block ×3, first 2 shown]
	v_mfma_f32_16x16x16_bf16 a[8:11], v[2:3], v[8:9], a[4:7]
	v_mov_b32_e32 v2, 0
	v_mov_b32_e32 v3, 0
	;; [unrolled: 1-line block ×3, first 2 shown]
	s_waitcnt lgkmcnt(0)
	v_mfma_f32_16x16x16_bf16 a[4:7], v[6:7], v[12:13], a[0:3]
	v_mov_b32_e32 v5, 0
	v_mov_b32_e32 v8, 0
	;; [unrolled: 1-line block ×3, first 2 shown]
	v_mfma_f32_16x16x16_bf16 a[0:3], v[6:7], v[10:11], a[8:11]
	v_mov_b32_e32 v6, 0
	v_mov_b32_e32 v7, 0
	;; [unrolled: 1-line block ×10, first 2 shown]
	s_cbranch_vccnz .LBB463_12
; %bb.11:                               ;   in Loop: Header=BB463_6 Depth=1
	s_and_b32 s25, s25, 0xffff
	buffer_load_dwordx4 v[14:17], v71, s[24:27], 0 offen
	buffer_load_dwordx4 v[10:13], v71, s[24:27], s58 offen
	;; [unrolled: 1-line block ×4, first 2 shown]
	v_mov_b32_e32 v117, v73
	v_mov_b32_e32 v116, v74
.LBB463_12:                             ;   in Loop: Header=BB463_6 Depth=1
	ds_read_b64 v[26:27], v89 offset:32768
	ds_read2_b64 v[18:21], v95 offset1:16
	ds_read_b64 v[28:29], v91 offset:32768
	ds_read_b64 v[30:31], v93 offset:32768
	;; [unrolled: 1-line block ×3, first 2 shown]
	v_add_u32_e32 v34, s60, v102
	s_waitcnt lgkmcnt(3)
	v_mfma_f32_16x16x16_bf16 a[4:7], v[26:27], v[18:19], a[4:7]
	v_ashrrev_i32_e32 v18, 31, v34
	ds_read2st64_b64 v[22:25], v95 offset0:2 offset1:4
	v_mfma_f32_16x16x16_bf16 a[0:3], v[26:27], v[20:21], a[0:3]
	v_mul_lo_u32 v20, v18, s34
	v_mul_lo_u32 v21, v34, s35
	v_mad_u64_u32 v[18:19], s[24:25], v34, s34, 0
	v_add3_u32 v19, v19, v21, v20
	v_add_u32_e32 v20, 1, v34
	v_ashrrev_i32_e32 v21, 31, v20
	v_mul_lo_u32 v26, v21, s34
	v_mul_lo_u32 v27, v20, s35
	v_mad_u64_u32 v[20:21], s[24:25], v20, s34, 0
	v_add3_u32 v21, v21, v27, v26
	v_add_u32_e32 v26, 2, v34
	v_ashrrev_i32_e32 v27, 31, v26
	v_mul_lo_u32 v35, v27, s34
	v_mul_lo_u32 v36, v26, s35
	v_mad_u64_u32 v[26:27], s[24:25], v26, s34, 0
	v_add_u32_e32 v34, 3, v34
	v_add3_u32 v27, v27, v36, v35
	v_ashrrev_i32_e32 v35, 31, v34
	v_mul_lo_u32 v36, v35, s34
	v_mul_lo_u32 v37, v34, s35
	v_mad_u64_u32 v[34:35], s[24:25], v34, s34, 0
	s_add_u32 s24, s40, s60
	s_addc_u32 s25, s41, 0
	s_lshl_b64 s[24:25], s[24:25], 8
	v_lshl_add_u64 v[18:19], v[18:19], 2, s[44:45]
	v_lshl_add_u64 v[20:21], v[20:21], 2, s[44:45]
	v_add3_u32 v35, v35, v37, v36
	v_lshl_add_u64 v[36:37], v[56:57], 0, s[24:25]
	v_lshl_add_u64 v[26:27], v[26:27], 2, s[44:45]
	v_lshl_add_u64 v[36:37], v[36:37], 0, v[54:55]
	global_load_dword v38, v[18:19], off
	global_load_ushort v39, v[36:37], off offset:256
	global_load_ushort v40, v[36:37], off
	v_lshl_add_u64 v[18:19], v[34:35], 2, s[44:45]
	global_load_dword v34, v[20:21], off
	global_load_dword v35, v[26:27], off
	;; [unrolled: 1-line block ×3, first 2 shown]
	ds_read2st64_b64 v[18:21], v96 offset0:2 offset1:4
	global_load_ushort v42, v[36:37], off offset:768
	global_load_ushort v43, v[36:37], off offset:512
	global_load_ushort v44, v[36:37], off offset:800
	global_load_ushort v119, v[36:37], off offset:544
	global_load_ushort v120, v[36:37], off offset:288
	s_nop 0
	global_load_ushort v36, v[36:37], off offset:32
	s_waitcnt lgkmcnt(1)
	v_mfma_f32_16x16x16_bf16 a[4:7], v[28:29], v[22:23], a[4:7]
	s_and_b64 vcc, exec, s[0:1]
	s_waitcnt vmcnt(10)
	v_lshlrev_b32_e32 v27, 16, v39
	s_waitcnt lgkmcnt(0)
	v_mfma_f32_16x16x16_bf16 a[0:3], v[28:29], v[18:19], a[0:3]
	s_waitcnt vmcnt(9)
	v_lshlrev_b32_e32 v26, 16, v40
	v_mfma_f32_16x16x16_bf16 a[4:7], v[30:31], v[24:25], a[4:7]
	v_mfma_f32_16x16x16_bf16 a[0:3], v[30:31], v[20:21], a[0:3]
	ds_read_b64 v[18:19], v95 offset:3072
	ds_read_b64 v[20:21], v96 offset:3072
	s_load_dword s2, s[2:3], 0x0
	s_waitcnt lgkmcnt(0)
	v_sub_f32_e32 v28, s2, v38
	v_mfma_f32_16x16x16_bf16 a[4:7], v[32:33], v[18:19], a[4:7]
	v_mul_f32_e32 v28, 0x3fb8aa3b, v28
	s_waitcnt vmcnt(8)
	v_sub_f32_e32 v29, s2, v34
	s_waitcnt vmcnt(7)
	v_sub_f32_e32 v30, s2, v35
	;; [unrolled: 2-line block ×3, first 2 shown]
	v_mfma_f32_16x16x16_bf16 a[0:3], v[32:33], v[20:21], a[0:3]
	v_lshl_add_u64 v[18:19], v[58:59], 0, s[24:25]
	v_lshl_add_u64 v[18:19], v[18:19], 0, v[54:55]
	v_accvgpr_read_b32 v25, a5
	v_accvgpr_read_b32 v24, a4
	v_pk_add_f32 v[24:25], v[26:27], v[24:25] neg_lo:[0,1] neg_hi:[0,1]
	v_exp_f32_e32 v26, v28
	v_mul_f32_e32 v27, 0x3fb8aa3b, v29
	v_mul_f32_e32 v28, 0x3fb8aa3b, v30
	;; [unrolled: 1-line block ×3, first 2 shown]
	v_exp_f32_e32 v27, v27
	v_exp_f32_e32 v28, v28
	;; [unrolled: 1-line block ×3, first 2 shown]
	v_accvgpr_read_b32 v21, a7
	v_accvgpr_read_b32 v20, a6
	s_waitcnt vmcnt(5)
	v_lshlrev_b32_e32 v31, 16, v42
	s_waitcnt vmcnt(4)
	v_lshlrev_b32_e32 v30, 16, v43
	v_pk_add_f32 v[20:21], v[30:31], v[20:21] neg_lo:[0,1] neg_hi:[0,1]
	global_store_short_d16_hi v[18:19], v24, off
	global_store_short_d16_hi v[18:19], v25, off offset:256
	global_store_short_d16_hi v[18:19], v20, off offset:512
	;; [unrolled: 1-line block ×3, first 2 shown]
	v_pk_mul_f32 v[24:25], v[26:27], v[24:25]
	v_pk_mul_f32 v[20:21], v[28:29], v[20:21]
	v_accvgpr_read_b32 v31, a1
	v_perm_b32 v21, v21, v20, s64
	v_perm_b32 v20, v25, v24, s64
	s_waitcnt vmcnt(5)
	v_lshlrev_b32_e32 v25, 16, v120
	s_waitcnt vmcnt(4)
	v_lshlrev_b32_e32 v24, 16, v36
	v_accvgpr_read_b32 v30, a0
	v_accvgpr_read_b32 v23, a3
	;; [unrolled: 1-line block ×3, first 2 shown]
	v_pk_add_f32 v[24:25], v[24:25], v[30:31] neg_lo:[0,1] neg_hi:[0,1]
	v_lshlrev_b32_e32 v31, 16, v44
	v_lshlrev_b32_e32 v30, 16, v119
	v_pk_add_f32 v[22:23], v[30:31], v[22:23] neg_lo:[0,1] neg_hi:[0,1]
	global_store_short_d16_hi v[18:19], v24, off offset:32
	global_store_short_d16_hi v[18:19], v25, off offset:288
	;; [unrolled: 1-line block ×4, first 2 shown]
	v_pk_mul_f32 v[18:19], v[26:27], v[24:25]
	v_pk_mul_f32 v[22:23], v[28:29], v[22:23]
	v_mov_b32_e32 v119, 0
	v_perm_b32 v23, v23, v22, s64
	v_perm_b32 v22, v19, v18, s64
	ds_write2_b64 v76, v[20:21], v[22:23] offset1:16
	v_mov_b32_e32 v18, 0
	v_mov_b32_e32 v19, 0
	;; [unrolled: 1-line block ×16, first 2 shown]
	s_cbranch_vccnz .LBB463_14
; %bb.13:                               ;   in Loop: Header=BB463_6 Depth=1
	s_and_b32 s29, s29, 0xffff
	s_mov_b32 s31, s27
	buffer_load_dwordx4 v[30:33], v100, s[28:31], 0 offen
	buffer_load_dwordx4 v[22:25], v100, s[28:31], s58 offen
	;; [unrolled: 1-line block ×4, first 2 shown]
	v_mov_b32_e32 v118, v70
	v_mov_b32_e32 v119, v69
.LBB463_14:                             ;   in Loop: Header=BB463_6 Depth=1
	s_waitcnt lgkmcnt(0)
	s_barrier
	ds_read_b64 v[38:39], v104
	ds_read_b64 v[124:125], v99
	;; [unrolled: 1-line block ×5, first 2 shown]
	ds_read_b64 v[138:139], v96 offset:3072
	ds_read2_b64 v[34:37], v95 offset0:16 offset1:128
	s_waitcnt lgkmcnt(5)
	v_mfma_f32_16x16x16_bf16 a[0:3], v[38:39], v[124:125], 0
	ds_read2st64_b64 v[40:43], v96 offset0:2 offset1:4
	s_add_i32 s3, s52, s66
	s_mul_hi_i32 s25, s3, s17
	s_waitcnt lgkmcnt(1)
	v_mfma_f32_16x16x16_bf16 a[4:7], v[38:39], v[34:35], 0
	ds_read_b64 v[38:39], v109
	s_mul_i32 s3, s3, s17
	s_add_u32 s24, s3, s33
	s_waitcnt lgkmcnt(1)
	v_mfma_f32_16x16x16_bf16 a[4:7], v[126:127], v[40:41], a[4:7]
	s_addc_u32 s25, s25, s56
	s_add_i32 s3, s37, s60
	s_lshl_b64 s[24:25], s[24:25], 15
	s_mul_hi_i32 s29, s3, s17
	s_mul_i32 s3, s3, s17
	s_add_u32 s28, s3, s33
	v_mfma_f32_16x16x16_bf16 a[8:11], v[128:129], v[42:43], a[4:7]
	s_addc_u32 s29, s29, s56
	ds_read2st64_b64 v[120:123], v95 offset0:4 offset1:6
	s_lshl_b64 s[28:29], s[28:29], 9
	s_waitcnt lgkmcnt(1)
	v_mfma_f32_16x16x16_bf16 a[4:7], v[38:39], v[124:125], 0
	s_add_u32 s28, s42, s28
	s_addc_u32 s29, s43, s29
	v_mfma_f32_16x16x16_bf16 a[0:3], v[126:127], v[36:37], a[0:3]
	ds_read_b64 v[126:127], v110
	ds_read_b64 v[134:135], v111
	;; [unrolled: 1-line block ×3, first 2 shown]
	v_mfma_f32_16x16x16_bf16 a[12:15], v[38:39], v[34:35], 0
	s_waitcnt lgkmcnt(2)
	v_mfma_f32_16x16x16_bf16 a[4:7], v[126:127], v[36:37], a[4:7]
	global_load_dwordx4 v[34:37], v108, s[28:29]
	v_mfma_f32_16x16x16_bf16 a[12:15], v[126:127], v[40:41], a[12:15]
	global_load_dwordx4 v[38:41], v103, s[28:29]
	ds_read2st64_b64 v[124:127], v97 offset1:8
	s_waitcnt lgkmcnt(0)
	v_mov_b32_e32 v132, v124
	v_mfma_f32_16x16x16_bf16 a[0:3], v[128:129], v[120:121], a[0:3]
	ds_read2st64_b64 v[128:131], v98 offset1:8
	v_mov_b32_e32 v133, v125
	v_mfma_f32_16x16x16_bf16 a[16:19], v[134:135], v[120:121], a[4:7]
	v_lshl_add_u64 v[120:121], v[60:61], 0, s[24:25]
	v_mfma_f32_16x16x16_bf16 a[20:23], v[134:135], v[42:43], a[12:15]
	v_add_co_u32_e32 v42, vcc, s39, v120
	s_waitcnt lgkmcnt(0)
	v_mov_b32_e32 v134, v128
	v_mfma_f32_16x16x16_bf16 a[4:7], v[136:137], v[122:123], a[0:3]
	v_mov_b32_e32 v135, v129
	v_mov_b32_e32 v128, v126
	v_mov_b32_e32 v129, v127
	v_mfma_f32_16x16x16_bf16 a[8:11], v[136:137], v[138:139], a[8:11]
	v_addc_co_u32_e32 v43, vcc, 0, v121, vcc
	global_store_dwordx4 v[42:43], v[128:131], off
	v_mfma_f32_16x16x16_bf16 a[12:15], v[140:141], v[122:123], a[16:19]
	s_and_b64 vcc, exec, s[0:1]
	global_store_dwordx4 v[120:121], v[132:135], off
	s_waitcnt vmcnt(3)
	v_mov_b32_e32 v44, v37
	v_mfma_f32_16x16x16_bf16 a[0:3], v[140:141], v[138:139], a[20:23]
	v_mov_b32_e32 v43, v36
	v_mov_b32_e32 v42, v35
	s_cbranch_vccnz .LBB463_16
; %bb.15:                               ;   in Loop: Header=BB463_6 Depth=1
	v_lshrrev_b32_e32 v35, 3, v118
	v_and_b32_e32 v35, 6, v35
	v_xor_b32_e32 v36, v35, v119
	v_lshlrev_b32_e32 v36, 2, v36
	v_and_b32_e32 v37, 8, v118
	v_xor_b32_e32 v118, 0x440, v36
	v_cmp_eq_u32_e32 vcc, 0, v37
	v_perm_b32 v37, v22, v18, s61
	s_nop 0
	v_cndmask_b32_e32 v36, v118, v36, vcc
	v_lshl_or_b32 v35, v35, 10, v36
	v_perm_b32 v36, v30, v26, s61
	s_barrier
	ds_write2st64_b32 v35, v36, v37 offset0:32 offset1:64
	v_xor_b32_e32 v36, 8, v35
	v_perm_b32 v26, v30, v26, s62
	v_perm_b32 v18, v22, v18, s62
	v_add_u32_e32 v22, 0x80, v36
	ds_write2st64_b32 v22, v26, v18 offset0:32 offset1:64
	v_xor_b32_e32 v18, 16, v35
	v_perm_b32 v22, v31, v27, s61
	v_perm_b32 v26, v23, v19, s61
	ds_write2st64_b32 v18, v22, v26 offset0:33 offset1:65
	v_xor_b32_e32 v18, 24, v35
	v_perm_b32 v22, v31, v27, s62
	v_perm_b32 v19, v23, v19, s62
	v_add_u32_e32 v18, 0x80, v18
	ds_write2st64_b32 v18, v22, v19 offset0:33 offset1:65
	v_xor_b32_e32 v18, 32, v35
	v_perm_b32 v19, v32, v28, s61
	v_perm_b32 v22, v24, v20, s61
	;; [unrolled: 9-line block ×3, first 2 shown]
	ds_write2st64_b32 v18, v19, v20 offset0:35 offset1:67
	v_xor_b32_e32 v18, 56, v35
	v_perm_b32 v19, v33, v29, s62
	v_perm_b32 v20, v25, v21, s62
	v_add_u32_e32 v18, 0x80, v18
	ds_write2st64_b32 v18, v19, v20 offset0:35 offset1:67
	ds_write_b64 v117, v[14:15] offset:24576
	v_xor_b32_e32 v14, 8, v117
	ds_write_b64 v14, v[16:17] offset:24576
	ds_write_b64 v117, v[10:11] offset:32768
	;; [unrolled: 1-line block ×4, first 2 shown]
	v_xor_b32_e32 v6, 8, v116
	ds_write_b64 v6, v[8:9] offset:24576
	ds_write_b64 v116, v[2:3] offset:32768
	;; [unrolled: 1-line block ×3, first 2 shown]
.LBB463_16:                             ;   in Loop: Header=BB463_6 Depth=1
	v_mul_f32_e32 v2, s2, v113
	v_exp_f32_e32 v18, v2
	s_waitcnt vmcnt(2)
	v_mul_f32_e32 v2, 0x3fb8aa3b, v38
	v_exp_f32_e32 v20, v2
	v_mul_f32_e32 v2, 0x3fb8aa3b, v39
	v_exp_f32_e32 v21, v2
	;; [unrolled: 2-line block ×4, first 2 shown]
	v_accvgpr_read_b32 v13, a7
	v_accvgpr_read_b32 v11, a5
	;; [unrolled: 1-line block ×4, first 2 shown]
	v_pk_mul_f32 v[20:21], v[18:19], v[20:21] op_sel_hi:[0,1]
	v_accvgpr_read_b32 v8, a10
	v_pk_fma_f32 v[50:51], v[50:51], v[20:21], v[10:11]
	v_pk_mul_f32 v[10:11], v[18:19], v[22:23] op_sel_hi:[0,1]
	v_accvgpr_read_b32 v12, a6
	v_accvgpr_read_b32 v7, a9
	v_fma_f32 v88, v88, v10, v8
	v_mul_f32_e32 v8, 0x3fb8aa3b, v43
	v_pk_fma_f32 v[52:53], v[52:53], v[10:11], v[12:13]
	v_fma_f32 v87, v87, v20, v6
	v_fma_f32 v86, v86, v21, v7
	v_mul_f32_e32 v6, 0x3fb8aa3b, v34
	v_mul_f32_e32 v7, 0x3fb8aa3b, v42
	v_exp_f32_e32 v12, v8
	v_mul_f32_e32 v8, 0x3fb8aa3b, v44
	v_exp_f32_e32 v6, v6
	v_exp_f32_e32 v7, v7
	;; [unrolled: 1-line block ×3, first 2 shown]
	v_accvgpr_read_b32 v9, a11
	v_accvgpr_read_b32 v17, a15
	;; [unrolled: 1-line block ×9, first 2 shown]
	v_fmac_f32_e32 v9, v115, v11
	v_pk_mul_f32 v[6:7], v[18:19], v[6:7] op_sel_hi:[0,1]
	v_pk_mul_f32 v[10:11], v[18:19], v[12:13] op_sel_hi:[0,1]
	s_add_i32 s60, s60, 64
	v_pk_fma_f32 v[46:47], v[46:47], v[6:7], v[14:15]
	v_pk_fma_f32 v[48:49], v[48:49], v[10:11], v[16:17]
	v_fma_f32 v84, v84, v6, v2
	v_fma_f32 v83, v83, v7, v3
	;; [unrolled: 1-line block ×3, first 2 shown]
	s_cmp_eq_u32 s49, s65
	v_fmac_f32_e32 v5, v114, v11
	s_cbranch_scc1 .LBB463_18
; %bb.17:                               ;   in Loop: Header=BB463_6 Depth=1
	s_mov_b32 s66, s65
	v_mov_b32_e32 v115, v9
	v_mov_b32_e32 v114, v5
	s_branch .LBB463_6
.LBB463_18:
	s_lshl_b32 s42, s49, 6
	s_sub_i32 s43, s16, s42
	s_cmp_gt_i32 s43, 0
	s_cbranch_scc0 .LBB463_83
; %bb.19:
	s_ashr_i32 s39, s50, 31
	s_ashr_i32 s2, s42, 31
	s_cmpk_lg_i32 s19, 0x80
	s_cselect_b64 s[30:31], -1, 0
	s_and_b64 vcc, exec, s[30:31]
	s_cbranch_vccz .LBB463_21
; %bb.20:
	s_mul_i32 s1, s50, s16
	s_mul_hi_i32 s0, s50, s16
	s_add_u32 s1, s1, s42
	s_addc_u32 s0, s0, s2
	s_mul_i32 s3, s1, s51
	s_mul_hi_u32 s24, s1, s18
	s_add_i32 s3, s24, s3
	s_mul_i32 s0, s0, s18
	s_add_i32 s3, s3, s0
	s_mul_i32 s1, s1, s18
	s_ashr_i32 s0, s54, 31
	s_add_u32 s40, s1, s54
	s_addc_u32 s41, s3, s0
	s_cbranch_execz .LBB463_22
	s_branch .LBB463_23
.LBB463_21:
                                        ; implicit-def: $sgpr40_sgpr41
.LBB463_22:
	s_mul_hi_i32 s0, s50, s18
	s_mul_i32 s50, s50, s18
	s_ashr_i32 s1, s54, 31
	s_add_u32 s3, s50, s54
	s_addc_u32 s0, s0, s1
	s_mul_i32 s1, s3, s48
	s_mul_hi_u32 s18, s3, s16
	s_add_i32 s1, s18, s1
	s_mul_i32 s0, s0, s16
	s_add_i32 s1, s1, s0
	s_mul_i32 s3, s3, s16
	s_add_u32 s40, s3, s42
	s_addc_u32 s41, s1, s2
.LBB463_23:
	s_add_i32 s3, s52, s49
	s_ashr_i32 s18, s33, 31
	s_add_u32 s0, s47, s33
	s_addc_u32 s1, s53, s18
	s_mul_i32 s24, s0, s48
	s_mul_hi_u32 s25, s0, s16
	s_add_i32 s24, s25, s24
	s_mul_i32 s1, s1, s16
	s_add_i32 s24, s24, s1
	s_mul_i32 s0, s0, s16
	s_add_u32 s0, s0, s42
	v_lshlrev_b32_e32 v8, 5, v67
	v_lshlrev_b32_e32 v22, 2, v45
	s_addc_u32 s1, s24, s2
	s_mov_b32 s2, 0x7060302
	v_or_b32_e32 v11, v8, v22
	v_xor_b32_e32 v4, v67, v22
	v_perm_b32 v3, v53, v52, s2
	v_perm_b32 v2, v51, v50, s2
	;; [unrolled: 1-line block ×4, first 2 shown]
	v_lshlrev_b32_e32 v11, 1, v11
	s_lshl_b64 s[28:29], s[0:1], 8
	v_xor_b32_e32 v10, v68, v22
	ds_write2st64_b64 v11, v[2:3], v[6:7] offset0:80 offset1:88
	v_lshlrev_b32_e32 v11, 1, v4
	v_lshlrev_b32_e32 v4, 8, v45
	s_add_u32 s0, s6, s28
	v_or_b32_e32 v12, v11, v4
	v_lshlrev_b32_e32 v10, 1, v10
	s_addc_u32 s1, s7, s29
	ds_write_b64 v12, v[2:3]
	v_or_b32_e32 v2, v10, v4
	s_mul_hi_i32 s6, s3, s17
	s_mul_i32 s3, s3, s17
	ds_write_b64 v2, v[6:7]
	v_perm_b32 v3, v9, v88, s2
	v_perm_b32 v2, v86, v87, s2
	;; [unrolled: 1-line block ×4, first 2 shown]
	v_or_b32_e32 v6, 16, v45
	s_add_u32 s2, s3, s33
	v_lshlrev_b32_e32 v19, 2, v6
	s_addc_u32 s3, s6, s18
	v_or_b32_e32 v7, v8, v19
	s_ashr_i32 s37, s36, 31
	s_lshl_b64 s[2:3], s[2:3], 15
	v_lshlrev_b32_e32 v7, 1, v7
	v_lshlrev_b32_e32 v6, 8, v6
	s_add_u32 s6, s12, s2
	ds_write2st64_b64 v7, v[2:3], v[4:5] offset0:80 offset1:88
	v_or_b32_e32 v7, v11, v6
	s_addc_u32 s7, s13, s3
	s_lshl_b64 s[2:3], s[36:37], 8
	ds_write_b64 v7, v[2:3]
	v_or_b32_e32 v2, v10, v6
	s_add_u32 s2, s6, s2
	ds_write_b64 v2, v[4:5]
	v_lshrrev_b32_e32 v2, 4, v0
	s_addc_u32 s3, s7, s3
	v_lshlrev_b32_e32 v3, 1, v45
	v_lshlrev_b32_e32 v10, 4, v45
	v_mov_b32_e32 v11, 0
	v_or_b32_e32 v4, 1, v3
	v_xor_b32_e32 v3, v2, v3
	v_lshl_add_u64 v[12:13], s[2:3], 0, v[10:11]
	v_lshlrev_b32_e32 v10, 8, v2
	v_xor_b32_e32 v6, v4, v2
	v_lshl_or_b32 v2, v3, 3, v10
	s_waitcnt lgkmcnt(0)
	s_barrier
	ds_read2st64_b64 v[2:5], v2 offset1:8
	v_lshl_or_b32 v6, v6, 3, v10
	ds_read2st64_b64 v[6:9], v6 offset1:8
	v_lshl_add_u64 v[14:15], v[12:13], 0, v[10:11]
	s_movk_i32 s2, 0x1000
	s_waitcnt lgkmcnt(1)
	v_mov_b32_e32 v10, v2
	v_add_co_u32_e32 v2, vcc, s2, v14
	s_cmp_lg_u32 s43, 64
	v_mov_b32_e32 v11, v3
	v_addc_co_u32_e32 v3, vcc, 0, v15, vcc
	s_cselect_b64 s[6:7], -1, 0
	v_lshl_or_b32 v23, v63, 3, v66
	s_waitcnt lgkmcnt(0)
	v_mov_b32_e32 v12, v6
	v_mov_b32_e32 v13, v7
	;; [unrolled: 1-line block ×4, first 2 shown]
	s_mov_b32 s24, 0
	v_or_b32_e32 v20, 32, v23
	v_and_b32_e32 v18, 56, v65
	s_and_b64 vcc, exec, s[6:7]
	global_store_dwordx4 v[14:15], v[10:13], off
	global_store_dwordx4 v[2:3], v[6:9], off
	s_cbranch_vccz .LBB463_29
; %bb.24:
	s_mov_b32 s25, s24
	s_mov_b32 s26, s24
	;; [unrolled: 1-line block ×3, first 2 shown]
	v_mov_b64_e32 v[6:7], s[24:25]
	v_mov_b64_e32 v[8:9], s[26:27]
	;; [unrolled: 1-line block ×3, first 2 shown]
	v_cmp_gt_i32_e32 vcc, s43, v23
	v_mov_b64_e32 v[4:5], v[8:9]
	s_and_saveexec_b64 s[2:3], vcc
	s_cbranch_execz .LBB463_26
; %bb.25:
	v_lshlrev_b32_e32 v2, 8, v23
	v_mov_b32_e32 v3, 0
	v_lshl_add_u64 v[4:5], s[0:1], 0, v[2:3]
	v_lshlrev_b32_e32 v2, 1, v18
	v_lshl_add_u64 v[10:11], v[4:5], 0, v[2:3]
	global_load_dwordx4 v[6:9], v[10:11], off
	global_load_dwordx4 v[2:5], v[10:11], off offset:128
.LBB463_26:
	s_or_b64 exec, exec, s[2:3]
	s_mov_b32 s25, s24
	s_mov_b32 s26, s24
	;; [unrolled: 1-line block ×3, first 2 shown]
	v_mov_b64_e32 v[14:15], s[24:25]
	v_mov_b64_e32 v[16:17], s[26:27]
	;; [unrolled: 1-line block ×3, first 2 shown]
	v_cmp_gt_i32_e32 vcc, s43, v20
	v_lshlrev_b32_e32 v21, 7, v20
	v_mov_b64_e32 v[12:13], v[16:17]
	s_and_saveexec_b64 s[2:3], vcc
	s_cbranch_execz .LBB463_28
; %bb.27:
	v_lshlrev_b32_e32 v10, 1, v21
	v_mov_b32_e32 v11, 0
	v_lshl_add_u64 v[12:13], s[0:1], 0, v[10:11]
	v_lshlrev_b32_e32 v10, 1, v18
	v_lshl_add_u64 v[24:25], v[12:13], 0, v[10:11]
	global_load_dwordx4 v[14:17], v[24:25], off
	global_load_dwordx4 v[10:13], v[24:25], off offset:128
.LBB463_28:
	s_or_b64 exec, exec, s[2:3]
	v_lshrrev_b32_e32 v24, 3, v18
	v_lshlrev_b32_e32 v25, 3, v23
	v_or_b32_e32 v24, v25, v24
	v_lshlrev_b32_e32 v24, 4, v24
	v_and_b32_e32 v25, 0x78, v25
	v_xor_b32_e32 v24, v24, v25
	s_branch .LBB463_31
.LBB463_29:
                                        ; implicit-def: $vgpr24
                                        ; implicit-def: $vgpr21
                                        ; implicit-def: $vgpr6_vgpr7_vgpr8_vgpr9
                                        ; implicit-def: $vgpr2_vgpr3_vgpr4_vgpr5
                                        ; implicit-def: $vgpr14_vgpr15_vgpr16_vgpr17
                                        ; implicit-def: $vgpr10_vgpr11_vgpr12_vgpr13
	s_cbranch_execz .LBB463_31
; %bb.30:
	s_waitcnt vmcnt(0)
	v_lshlrev_b32_e32 v2, 1, v18
	v_lshl_or_b32 v21, v23, 8, v2
	s_and_b32 s1, s1, 0xffff
	s_mov_b32 s3, 0x20000
	s_movk_i32 s2, 0x4000
	v_lshl_or_b32 v24, v20, 8, v2
	s_movk_i32 s12, 0x80
	buffer_load_dwordx4 v[6:9], v21, s[0:3], 0 offen
	buffer_load_dwordx4 v[2:5], v21, s[0:3], s12 offen
	;; [unrolled: 1-line block ×4, first 2 shown]
	v_lshrrev_b32_e32 v21, 3, v18
	v_lshlrev_b32_e32 v24, 3, v23
	v_or_b32_e32 v21, v24, v21
	v_lshlrev_b32_e32 v21, 4, v21
	v_and_b32_e32 v24, 0x78, v24
	v_xor_b32_e32 v24, v21, v24
	v_lshlrev_b32_e32 v21, 7, v20
.LBB463_31:
	s_lshl_b64 s[0:1], s[40:41], 8
	s_add_u32 s4, s4, s0
	s_movk_i32 s0, 0x1000
	v_and_or_b32 v20, v21, s0, v24
	s_waitcnt vmcnt(1)
	ds_write_b64 v24, v[6:7] offset:24576
	v_xor_b32_e32 v6, 8, v24
	ds_write_b64 v6, v[8:9] offset:24576
	s_waitcnt vmcnt(0)
	ds_write_b64 v24, v[2:3] offset:32768
	ds_write_b64 v6, v[4:5] offset:32768
	;; [unrolled: 1-line block ×3, first 2 shown]
	v_xor_b32_e32 v2, 8, v20
	ds_write_b64 v2, v[16:17] offset:24576
	ds_write_b64 v20, v[10:11] offset:32768
	;; [unrolled: 1-line block ×3, first 2 shown]
	v_or_b32_e32 v2, v1, v45
	v_lshlrev_b32_e32 v3, 11, v63
	v_lshlrev_b32_e32 v2, 3, v2
	v_and_b32_e32 v6, 0x1000, v3
	v_lshrrev_b32_e32 v3, 5, v62
	s_movk_i32 s13, 0xf8
	v_and_or_b32 v3, v2, s13, v3
	v_lshlrev_b32_e32 v7, 4, v3
	v_and_b32_e32 v8, 0x78, v2
	v_or_b32_e32 v10, 32, v7
	v_lshrrev_b32_e32 v3, 1, v62
	v_xor_b32_e32 v10, v10, v8
	v_xor_b32_e32 v2, v7, v8
	v_and_b32_e32 v9, 8, v3
	v_or_b32_e32 v10, v10, v6
	v_or_b32_e32 v2, v2, v6
	v_xor_b32_e32 v26, v10, v9
	v_or_b32_e32 v10, 64, v7
	v_xor_b32_e32 v25, v2, v9
	v_xor_b32_e32 v10, v10, v8
	s_waitcnt lgkmcnt(0)
	s_barrier
	v_or_b32_e32 v12, v10, v6
	ds_read_b64 v[10:11], v25 offset:24576
	v_lshl_or_b32 v20, v64, 7, v22
	v_lshlrev_b32_e32 v24, 1, v20
	v_add_u32_e32 v2, 0xa000, v24
	ds_read2_b64 v[2:5], v2 offset1:16
	v_or_b32_e32 v7, 0x60, v7
	v_xor_b32_e32 v7, v7, v8
	s_waitcnt lgkmcnt(0)
	v_mfma_f32_16x16x16_bf16 a[0:3], v[10:11], v[2:3], 0
	v_or_b32_e32 v2, 64, v20
	v_or_b32_e32 v6, v7, v6
	v_lshlrev_b32_e32 v29, 1, v2
	v_xor_b32_e32 v27, v12, v9
	v_xor_b32_e32 v28, v6, v9
	ds_read_b64 v[12:13], v26 offset:24576
	ds_read_b64 v[14:15], v27 offset:24576
	;; [unrolled: 1-line block ×3, first 2 shown]
	v_mfma_f32_16x16x16_bf16 a[4:7], v[10:11], v[4:5], 0
	ds_read2st64_b64 v[2:5], v29 offset0:82 offset1:84
	ds_read2st64_b64 v[6:9], v24 offset0:82 offset1:84
	s_addc_u32 s5, s5, s1
	s_add_i32 s2, s16, -1
	s_add_i32 s0, s46, s21
	s_mul_i32 s39, s39, s20
	s_add_i32 s39, s0, s39
	s_mul_i32 s0, s33, s23
	s_mul_hi_u32 s1, s33, s22
	s_ashr_i32 s3, s2, 31
	s_mul_i32 s12, s2, s35
	s_mul_hi_u32 s13, s2, s34
	s_add_i32 s0, s1, s0
	s_mul_i32 s1, s18, s22
	s_add_i32 s12, s13, s12
	s_mul_i32 s3, s3, s34
	s_waitcnt lgkmcnt(1)
	v_mfma_f32_16x16x16_bf16 a[4:7], v[12:13], v[2:3], a[4:7]
	s_add_i32 s1, s0, s1
	s_add_i32 s3, s12, s3
	s_lshl_b64 s[12:13], s[38:39], 2
	s_waitcnt lgkmcnt(0)
	v_mfma_f32_16x16x16_bf16 a[0:3], v[12:13], v[6:7], a[0:3]
	s_mul_i32 s0, s33, s22
	s_add_u32 s10, s10, s12
	s_addc_u32 s11, s11, s13
	s_lshl_b64 s[0:1], s[0:1], 2
	s_mul_i32 s2, s2, s34
	s_add_u32 s10, s10, s0
	ds_read_b64 v[2:3], v24 offset:44032
	v_mfma_f32_16x16x16_bf16 a[4:7], v[14:15], v[4:5], a[4:7]
	ds_read_b64 v[4:5], v29 offset:44032
	s_addc_u32 s11, s11, s1
	s_lshl_b64 s[0:1], s[2:3], 2
	v_mfma_f32_16x16x16_bf16 a[0:3], v[14:15], v[8:9], a[0:3]
	s_add_u32 s0, s10, s0
	s_addc_u32 s1, s11, s1
	s_load_dword s12, s[0:1], 0x0
	s_waitcnt lgkmcnt(0)
	v_mfma_f32_16x16x16_bf16 a[0:3], v[16:17], v[2:3], a[0:3]
	s_and_b64 vcc, exec, s[30:31]
	v_mfma_f32_16x16x16_bf16 a[4:7], v[16:17], v[4:5], a[4:7]
	s_cbranch_vccz .LBB463_42
; %bb.32:
	v_lshlrev_b32_e32 v20, 1, v23
	s_and_b64 vcc, exec, s[6:7]
	s_cbranch_vccz .LBB463_43
; %bb.33:
	v_cmp_gt_i32_e32 vcc, s43, v20
	v_mov_b32_e32 v6, 0
	v_mov_b32_e32 v2, 0
	;; [unrolled: 1-line block ×5, first 2 shown]
	s_and_saveexec_b64 s[0:1], vcc
	s_cbranch_execz .LBB463_35
; %bb.34:
	v_mad_i64_i32 v[2:3], s[2:3], s19, v20, 0
	v_lshl_add_u64 v[2:3], v[2:3], 1, s[4:5]
	v_lshlrev_b32_e32 v4, 1, v18
	v_mov_b32_e32 v5, 0
	v_lshl_add_u64 v[2:3], v[2:3], 0, v[4:5]
	global_load_dwordx4 v[2:5], v[2:3], off
.LBB463_35:
	s_or_b64 exec, exec, s[0:1]
	v_or_b32_e32 v21, 1, v20
	v_cmp_gt_i32_e64 s[0:1], s43, v21
	v_mov_b32_e32 v7, 0
	v_mov_b32_e32 v8, 0
	;; [unrolled: 1-line block ×3, first 2 shown]
	s_and_saveexec_b64 s[2:3], s[0:1]
	s_cbranch_execz .LBB463_37
; %bb.36:
	v_mad_i64_i32 v[6:7], s[16:17], s19, v21, 0
	v_lshl_add_u64 v[6:7], v[6:7], 1, s[4:5]
	v_lshlrev_b32_e32 v8, 1, v18
	v_mov_b32_e32 v9, 0
	v_lshl_add_u64 v[6:7], v[6:7], 0, v[8:9]
	global_load_dwordx4 v[6:9], v[6:7], off
.LBB463_37:
	s_or_b64 exec, exec, s[2:3]
	v_mov_b32_e32 v17, 0
	v_mov_b32_e32 v10, 0
	;; [unrolled: 1-line block ×5, first 2 shown]
	s_and_saveexec_b64 s[2:3], vcc
	s_cbranch_execz .LBB463_39
; %bb.38:
	v_mad_i64_i32 v[10:11], s[16:17], s19, v20, 0
	v_lshl_add_u64 v[10:11], v[10:11], 1, s[4:5]
	v_lshlrev_b32_e32 v12, 1, v18
	v_mov_b32_e32 v13, 0
	v_lshl_add_u64 v[10:11], v[10:11], 0, v[12:13]
	global_load_dwordx4 v[10:13], v[10:11], off offset:128
.LBB463_39:
	s_or_b64 exec, exec, s[2:3]
	v_mov_b32_e32 v16, 0
	v_mov_b32_e32 v15, 0
	;; [unrolled: 1-line block ×3, first 2 shown]
	s_and_saveexec_b64 s[2:3], s[0:1]
	s_cbranch_execz .LBB463_41
; %bb.40:
	v_mad_i64_i32 v[14:15], s[0:1], s19, v21, 0
	v_lshl_add_u64 v[14:15], v[14:15], 1, s[4:5]
	v_lshlrev_b32_e32 v16, 1, v18
	v_mov_b32_e32 v17, 0
	v_lshl_add_u64 v[14:15], v[14:15], 0, v[16:17]
	global_load_dwordx4 v[14:17], v[14:15], off offset:128
.LBB463_41:
	s_or_b64 exec, exec, s[2:3]
	s_branch .LBB463_45
.LBB463_42:
                                        ; implicit-def: $vgpr5
                                        ; implicit-def: $vgpr9
                                        ; implicit-def: $vgpr13
                                        ; implicit-def: $vgpr17
	v_lshrrev_b32_e32 v30, 2, v62
	s_branch .LBB463_46
.LBB463_43:
                                        ; implicit-def: $vgpr5
                                        ; implicit-def: $vgpr9
                                        ; implicit-def: $vgpr13
                                        ; implicit-def: $vgpr17
	s_cbranch_execz .LBB463_45
; %bb.44:
	s_waitcnt vmcnt(0)
	v_mad_u64_u32 v[2:3], s[0:1], v20, s19, v[18:19]
	v_lshlrev_b32_e32 v20, 1, v2
	s_lshl_b32 s2, s19, 7
	s_and_b32 s1, s5, 0xffff
	s_mov_b32 s3, 0x20000
	s_mov_b32 s0, s4
	v_add_lshl_u32 v21, v2, s19, 1
	s_movk_i32 s13, 0x80
	buffer_load_dwordx4 v[2:5], v20, s[0:3], 0 offen
	buffer_load_dwordx4 v[10:13], v20, s[0:3], s13 offen
	;; [unrolled: 1-line block ×4, first 2 shown]
.LBB463_45:
	v_lshrrev_b32_e32 v30, 2, v62
	s_cbranch_execnz .LBB463_58
.LBB463_46:
	s_and_b64 vcc, exec, s[6:7]
	s_cbranch_vccz .LBB463_56
; %bb.47:
	s_waitcnt vmcnt(0)
	v_lshlrev_b32_e32 v7, 1, v23
	v_cmp_gt_i32_e32 vcc, s43, v7
	v_mov_b32_e32 v6, 0
	v_lshlrev_b32_e32 v14, 9, v23
	v_mov_b32_e32 v2, 0
	v_mov_b32_e32 v3, 0
	;; [unrolled: 1-line block ×4, first 2 shown]
	s_and_saveexec_b64 s[0:1], vcc
	s_cbranch_execz .LBB463_49
; %bb.48:
	v_mov_b32_e32 v15, 0
	v_lshl_add_u64 v[2:3], s[4:5], 0, v[14:15]
	v_lshlrev_b32_e32 v4, 1, v18
	v_mov_b32_e32 v5, v15
	v_lshl_add_u64 v[2:3], v[2:3], 0, v[4:5]
	global_load_dwordx4 v[2:5], v[2:3], off
.LBB463_49:
	s_or_b64 exec, exec, s[0:1]
	v_or_b32_e32 v7, 1, v7
	v_cmp_gt_i32_e64 s[0:1], s43, v7
	v_lshlrev_b32_e32 v20, 8, v7
	v_mov_b32_e32 v7, 0
	v_mov_b32_e32 v8, 0
	;; [unrolled: 1-line block ×3, first 2 shown]
	s_and_saveexec_b64 s[2:3], s[0:1]
	s_cbranch_execz .LBB463_51
; %bb.50:
	v_mov_b32_e32 v21, 0
	v_lshl_add_u64 v[6:7], s[4:5], 0, v[20:21]
	v_lshlrev_b32_e32 v8, 1, v18
	v_mov_b32_e32 v9, v21
	v_lshl_add_u64 v[6:7], v[6:7], 0, v[8:9]
	global_load_dwordx4 v[6:9], v[6:7], off
.LBB463_51:
	s_or_b64 exec, exec, s[2:3]
	v_mov_b32_e32 v17, 0
	v_mov_b32_e32 v10, 0
	v_mov_b32_e32 v11, 0
	v_mov_b32_e32 v12, 0
	v_mov_b32_e32 v13, 0
	s_and_saveexec_b64 s[2:3], vcc
	s_cbranch_execz .LBB463_53
; %bb.52:
	v_mov_b32_e32 v15, 0
	v_lshl_add_u64 v[10:11], s[4:5], 0, v[14:15]
	v_lshlrev_b32_e32 v14, 1, v18
	v_lshl_add_u64 v[10:11], v[10:11], 0, v[14:15]
	global_load_dwordx4 v[10:13], v[10:11], off offset:128
.LBB463_53:
	s_or_b64 exec, exec, s[2:3]
	v_mov_b32_e32 v16, 0
	v_mov_b32_e32 v15, 0
	;; [unrolled: 1-line block ×3, first 2 shown]
	s_and_saveexec_b64 s[2:3], s[0:1]
	s_cbranch_execz .LBB463_55
; %bb.54:
	v_mov_b32_e32 v21, 0
	v_lshl_add_u64 v[14:15], s[4:5], 0, v[20:21]
	v_lshlrev_b32_e32 v20, 1, v18
	v_lshl_add_u64 v[14:15], v[14:15], 0, v[20:21]
	global_load_dwordx4 v[14:17], v[14:15], off offset:128
.LBB463_55:
	s_or_b64 exec, exec, s[2:3]
	s_branch .LBB463_58
.LBB463_56:
                                        ; implicit-def: $vgpr5
                                        ; implicit-def: $vgpr9
                                        ; implicit-def: $vgpr13
                                        ; implicit-def: $vgpr17
	s_cbranch_execz .LBB463_58
; %bb.57:
	s_waitcnt vmcnt(0)
	v_lshlrev_b32_e32 v2, 1, v18
	v_lshl_or_b32 v18, v23, 9, v2
	s_and_b32 s5, s5, 0xffff
	s_mov_b32 s7, 0x20000
	s_movk_i32 s6, 0x4000
	s_movk_i32 s0, 0x80
	buffer_load_dwordx4 v[2:5], v18, s[4:7], 0 offen
	buffer_load_dwordx4 v[6:9], v18, s[4:7], 0 offen offset:256
	buffer_load_dwordx4 v[10:13], v18, s[4:7], s0 offen
	buffer_load_dwordx4 v[14:17], v18, s[4:7], s0 offen offset:256
.LBB463_58:
	ds_read_b64 v[20:21], v25 offset:32768
	v_add_u32_e32 v18, 0xb000, v24
	ds_read2_b64 v[32:35], v18 offset1:16
	ds_read_b64 v[40:41], v26 offset:32768
	ds_read_b64 v[26:27], v27 offset:32768
	;; [unrolled: 1-line block ×3, first 2 shown]
	v_and_b32_e32 v18, 6, v0
	v_xor_b32_e32 v23, v23, v18
	v_lshlrev_b32_e32 v23, 2, v23
	v_and_b32_e32 v0, 1, v0
	v_xor_b32_e32 v28, 0x440, v23
	v_cmp_eq_u32_e32 vcc, 0, v0
	s_waitcnt lgkmcnt(3)
	v_mfma_f32_16x16x16_bf16 a[0:3], v[20:21], v[32:33], a[0:3]
	s_mov_b32 s0, 0x1000504
	v_cndmask_b32_e32 v0, v28, v23, vcc
	v_lshl_or_b32 v0, v18, 10, v0
	v_mfma_f32_16x16x16_bf16 a[4:7], v[20:21], v[34:35], a[4:7]
	ds_read2st64_b64 v[32:35], v24 offset0:90 offset1:92
	ds_read2st64_b64 v[36:39], v29 offset0:90 offset1:92
	ds_read_b64 v[20:21], v24 offset:48128
	ds_read_b64 v[24:25], v29 offset:48128
	s_waitcnt vmcnt(0)
	v_perm_b32 v18, v2, v6, s0
	s_waitcnt lgkmcnt(3)
	v_mfma_f32_16x16x16_bf16 a[0:3], v[40:41], v[32:33], a[0:3]
	s_mov_b32 s1, 0x3020706
	v_perm_b32 v2, v2, v6, s1
	v_perm_b32 v6, v10, v14, s1
	s_waitcnt lgkmcnt(2)
	v_mfma_f32_16x16x16_bf16 a[4:7], v[40:41], v[36:37], a[4:7]
	v_mfma_f32_16x16x16_bf16 a[0:3], v[26:27], v[34:35], a[0:3]
	v_mfma_f32_16x16x16_bf16 a[8:11], v[26:27], v[38:39], a[4:7]
	s_waitcnt lgkmcnt(1)
	v_mfma_f32_16x16x16_bf16 a[4:7], v[42:43], v[20:21], a[0:3]
	v_perm_b32 v20, v10, v14, s0
	ds_write2st64_b32 v0, v18, v20 offset0:32 offset1:64
	v_xor_b32_e32 v18, 8, v0
	v_add_u32_e32 v10, 0x80, v18
	ds_write2st64_b32 v10, v2, v6 offset0:32 offset1:64
	v_xor_b32_e32 v2, 16, v0
	v_perm_b32 v6, v3, v7, s0
	v_perm_b32 v10, v11, v15, s0
	ds_write2st64_b32 v2, v6, v10 offset0:33 offset1:65
	v_xor_b32_e32 v2, 24, v0
	v_perm_b32 v3, v3, v7, s1
	v_perm_b32 v6, v11, v15, s1
	v_add_u32_e32 v2, 0x80, v2
	ds_write2st64_b32 v2, v3, v6 offset0:33 offset1:65
	v_xor_b32_e32 v2, 32, v0
	v_perm_b32 v3, v4, v8, s0
	v_perm_b32 v6, v12, v16, s0
	s_waitcnt lgkmcnt(4)
	v_mfma_f32_16x16x16_bf16 a[0:3], v[42:43], v[24:25], a[8:11]
	ds_write2st64_b32 v2, v3, v6 offset0:34 offset1:66
	v_xor_b32_e32 v2, 40, v0
	v_perm_b32 v3, v4, v8, s1
	v_perm_b32 v4, v12, v16, s1
	v_add_u32_e32 v2, 0x80, v2
	ds_write2st64_b32 v2, v3, v4 offset0:34 offset1:66
	v_xor_b32_e32 v2, 48, v0
	v_perm_b32 v3, v5, v9, s0
	v_perm_b32 v4, v13, v17, s0
	v_xor_b32_e32 v0, 56, v0
	v_and_or_b32 v21, v30, 12, v1
	ds_write2st64_b32 v2, v3, v4 offset0:35 offset1:67
	v_perm_b32 v2, v5, v9, s1
	v_perm_b32 v3, v13, v17, s1
	v_add_u32_e32 v0, 0x80, v0
	v_cmp_gt_i32_e32 vcc, s43, v21
	v_mov_b32_e32 v16, 0
	v_mov_b32_e32 v18, 0
	ds_write2st64_b32 v0, v2, v3 offset0:35 offset1:67
	s_and_saveexec_b64 s[0:1], vcc
	s_cbranch_execz .LBB463_60
; %bb.59:
	v_add_u32_e32 v0, s42, v21
	v_ashrrev_i32_e32 v1, 31, v0
	v_mul_lo_u32 v2, v1, s34
	v_mul_lo_u32 v3, v0, s35
	v_mad_u64_u32 v[0:1], s[2:3], v0, s34, 0
	v_add3_u32 v1, v1, v3, v2
	v_lshl_add_u64 v[0:1], v[0:1], 2, s[10:11]
	global_load_dword v0, v[0:1], off
	s_waitcnt vmcnt(0)
	v_sub_f32_e32 v0, s12, v0
	v_mul_f32_e32 v0, 0x3fb8aa3b, v0
	v_exp_f32_e32 v18, v0
.LBB463_60:
	s_or_b64 exec, exec, s[0:1]
	v_or_b32_e32 v10, 1, v21
	v_cmp_gt_i32_e64 s[0:1], s43, v10
	s_and_saveexec_b64 s[2:3], s[0:1]
	s_cbranch_execz .LBB463_62
; %bb.61:
	v_add_u32_e32 v0, s42, v10
	v_ashrrev_i32_e32 v1, 31, v0
	v_mul_lo_u32 v2, v1, s34
	v_mul_lo_u32 v3, v0, s35
	v_mad_u64_u32 v[0:1], s[4:5], v0, s34, 0
	v_add3_u32 v1, v1, v3, v2
	v_lshl_add_u64 v[0:1], v[0:1], 2, s[10:11]
	global_load_dword v0, v[0:1], off
	s_waitcnt vmcnt(0)
	v_sub_f32_e32 v0, s12, v0
	v_mul_f32_e32 v0, 0x3fb8aa3b, v0
	v_exp_f32_e32 v16, v0
.LBB463_62:
	s_or_b64 exec, exec, s[2:3]
	v_or_b32_e32 v12, 2, v21
	v_cmp_gt_i32_e64 s[2:3], s43, v12
	v_mov_b32_e32 v17, 0
	v_mov_b32_e32 v20, 0
	s_and_saveexec_b64 s[4:5], s[2:3]
	s_cbranch_execz .LBB463_64
; %bb.63:
	v_add_u32_e32 v0, s42, v12
	v_ashrrev_i32_e32 v1, 31, v0
	v_mul_lo_u32 v2, v1, s34
	v_mul_lo_u32 v3, v0, s35
	v_mad_u64_u32 v[0:1], s[6:7], v0, s34, 0
	v_add3_u32 v1, v1, v3, v2
	v_lshl_add_u64 v[0:1], v[0:1], 2, s[10:11]
	global_load_dword v0, v[0:1], off
	s_waitcnt vmcnt(0)
	v_sub_f32_e32 v0, s12, v0
	v_mul_f32_e32 v0, 0x3fb8aa3b, v0
	v_exp_f32_e32 v20, v0
.LBB463_64:
	s_or_b64 exec, exec, s[4:5]
	v_or_b32_e32 v14, 3, v21
	v_cmp_gt_i32_e64 s[4:5], s43, v14
	s_and_saveexec_b64 s[6:7], s[4:5]
	s_cbranch_execz .LBB463_66
; %bb.65:
	v_add_u32_e32 v0, s42, v14
	v_ashrrev_i32_e32 v1, 31, v0
	v_mul_lo_u32 v2, v1, s34
	v_mul_lo_u32 v3, v0, s35
	v_mad_u64_u32 v[0:1], s[16:17], v0, s34, 0
	v_add3_u32 v1, v1, v3, v2
	v_lshl_add_u64 v[0:1], v[0:1], 2, s[10:11]
	global_load_dword v0, v[0:1], off
	s_waitcnt vmcnt(0)
	v_sub_f32_e32 v0, s12, v0
	v_mul_f32_e32 v0, 0x3fb8aa3b, v0
	v_exp_f32_e32 v17, v0
.LBB463_66:
	s_or_b64 exec, exec, s[6:7]
	s_add_u32 s6, s8, s28
	v_or_b32_e32 v4, s36, v45
	s_addc_u32 s7, s9, s29
	s_add_u32 s8, s14, s28
	v_ashrrev_i32_e32 v5, 31, v4
	v_accvgpr_read_b32 v0, a4
	s_addc_u32 s9, s15, s29
	v_lshlrev_b64 v[4:5], 1, v[4:5]
	v_accvgpr_read_b32 v1, a5
	v_accvgpr_read_b32 v2, a6
	v_accvgpr_read_b32 v3, a7
	v_lshl_add_u64 v[6:7], s[6:7], 0, v[4:5]
	v_lshl_add_u64 v[4:5], s[8:9], 0, v[4:5]
	v_mov_b32_e32 v11, 0
	v_lshlrev_b32_e32 v8, 8, v21
	v_mov_b32_e32 v9, 0
	s_and_saveexec_b64 s[6:7], vcc
	s_cbranch_execz .LBB463_68
; %bb.67:
	v_mov_b32_e32 v9, 0
	v_lshl_add_u64 v[24:25], v[6:7], 0, v[8:9]
	global_load_ushort v13, v[24:25], off
	v_lshl_add_u64 v[24:25], v[4:5], 0, v[8:9]
	s_waitcnt vmcnt(0)
	v_lshlrev_b32_e32 v9, 16, v13
	v_sub_f32_e32 v0, v9, v0
	global_store_short_d16_hi v[24:25], v0, off
	v_mul_f32_e32 v0, v18, v0
	v_lshrrev_b32_e32 v9, 16, v0
.LBB463_68:
	s_or_b64 exec, exec, s[6:7]
	v_lshlrev_b32_e32 v10, 8, v10
	s_and_saveexec_b64 s[6:7], s[0:1]
	s_cbranch_execz .LBB463_70
; %bb.69:
	v_mov_b32_e32 v11, 0
	v_lshl_add_u64 v[24:25], v[6:7], 0, v[10:11]
	global_load_ushort v0, v[24:25], off
	v_lshl_add_u64 v[24:25], v[4:5], 0, v[10:11]
	s_waitcnt vmcnt(0)
	v_lshlrev_b32_e32 v0, 16, v0
	v_sub_f32_e32 v0, v0, v1
	global_store_short_d16_hi v[24:25], v0, off
	v_mul_f32_e32 v0, v16, v0
	v_lshrrev_b32_e32 v11, 16, v0
.LBB463_70:
	s_or_b64 exec, exec, s[6:7]
	v_mov_b32_e32 v15, 0
	v_lshlrev_b32_e32 v12, 8, v12
	v_mov_b32_e32 v13, 0
	s_and_saveexec_b64 s[6:7], s[2:3]
	s_cbranch_execz .LBB463_72
; %bb.71:
	v_mov_b32_e32 v13, 0
	v_lshl_add_u64 v[0:1], v[6:7], 0, v[12:13]
	global_load_ushort v23, v[0:1], off
	v_lshl_add_u64 v[0:1], v[4:5], 0, v[12:13]
	s_waitcnt vmcnt(0)
	v_lshlrev_b32_e32 v13, 16, v23
	v_sub_f32_e32 v2, v13, v2
	global_store_short_d16_hi v[0:1], v2, off
	v_mul_f32_e32 v0, v20, v2
	v_lshrrev_b32_e32 v13, 16, v0
.LBB463_72:
	s_or_b64 exec, exec, s[6:7]
	v_lshlrev_b32_e32 v14, 8, v14
	s_and_saveexec_b64 s[6:7], s[4:5]
	s_cbranch_execz .LBB463_74
; %bb.73:
	v_mov_b32_e32 v15, 0
	v_lshl_add_u64 v[0:1], v[6:7], 0, v[14:15]
	global_load_ushort v2, v[0:1], off
	v_lshl_add_u64 v[0:1], v[4:5], 0, v[14:15]
	s_waitcnt vmcnt(0)
	v_lshlrev_b32_e32 v2, 16, v2
	v_sub_f32_e32 v2, v2, v3
	global_store_short_d16_hi v[0:1], v2, off
	v_mul_f32_e32 v0, v17, v2
	v_lshrrev_b32_e32 v15, 16, v0
.LBB463_74:
	s_or_b64 exec, exec, s[6:7]
	v_lshlrev_b32_e32 v21, 5, v21
	s_mov_b32 s6, 0x5040100
	v_perm_b32 v24, v11, v9, s6
	v_or_b32_e32 v9, v21, v22
	v_accvgpr_read_b32 v0, a0
	v_perm_b32 v25, v15, v13, s6
	v_lshlrev_b32_e32 v9, 1, v9
	v_accvgpr_read_b32 v1, a1
	v_accvgpr_read_b32 v2, a2
	;; [unrolled: 1-line block ×3, first 2 shown]
	ds_write_b64 v9, v[24:25] offset:45056
	v_mov_b32_e32 v11, 0
	v_mov_b32_e32 v9, 0
	s_and_saveexec_b64 s[6:7], vcc
	s_cbranch_execz .LBB463_76
; %bb.75:
	v_mov_b32_e32 v9, 0
	v_lshl_add_u64 v[22:23], v[6:7], 0, v[8:9]
	global_load_ushort v13, v[22:23], off offset:32
	v_lshl_add_u64 v[8:9], v[4:5], 0, v[8:9]
	s_waitcnt vmcnt(0)
	v_lshlrev_b32_e32 v13, 16, v13
	v_sub_f32_e32 v0, v13, v0
	global_store_short_d16_hi v[8:9], v0, off offset:32
	v_mul_f32_e32 v0, v18, v0
	v_lshrrev_b32_e32 v9, 16, v0
.LBB463_76:
	s_or_b64 exec, exec, s[6:7]
	s_and_saveexec_b64 s[6:7], s[0:1]
	s_cbranch_execz .LBB463_78
; %bb.77:
	v_mov_b32_e32 v11, 0
	v_lshl_add_u64 v[22:23], v[6:7], 0, v[10:11]
	global_load_ushort v0, v[22:23], off offset:32
	v_lshl_add_u64 v[10:11], v[4:5], 0, v[10:11]
	s_waitcnt vmcnt(0)
	v_lshlrev_b32_e32 v0, 16, v0
	v_sub_f32_e32 v0, v0, v1
	global_store_short_d16_hi v[10:11], v0, off offset:32
	v_mul_f32_e32 v0, v16, v0
	v_lshrrev_b32_e32 v11, 16, v0
.LBB463_78:
	s_or_b64 exec, exec, s[6:7]
	v_mov_b32_e32 v0, 0
	v_mov_b32_e32 v1, 0
	s_and_saveexec_b64 s[0:1], s[2:3]
	s_cbranch_execz .LBB463_80
; %bb.79:
	v_mov_b32_e32 v13, 0
	v_lshl_add_u64 v[22:23], v[6:7], 0, v[12:13]
	global_load_ushort v1, v[22:23], off offset:32
	v_lshl_add_u64 v[12:13], v[4:5], 0, v[12:13]
	s_waitcnt vmcnt(0)
	v_lshlrev_b32_e32 v1, 16, v1
	v_sub_f32_e32 v1, v1, v2
	global_store_short_d16_hi v[12:13], v1, off offset:32
	v_mul_f32_e32 v1, v20, v1
	v_lshrrev_b32_e32 v1, 16, v1
.LBB463_80:
	s_or_b64 exec, exec, s[0:1]
	s_and_saveexec_b64 s[0:1], s[4:5]
	s_cbranch_execz .LBB463_82
; %bb.81:
	v_mov_b32_e32 v15, 0
	v_lshl_add_u64 v[6:7], v[6:7], 0, v[14:15]
	global_load_ushort v0, v[6:7], off offset:32
	v_lshl_add_u64 v[4:5], v[4:5], 0, v[14:15]
	s_waitcnt vmcnt(0)
	v_lshlrev_b32_e32 v0, 16, v0
	v_sub_f32_e32 v0, v0, v3
	global_store_short_d16_hi v[4:5], v0, off offset:32
	v_mul_f32_e32 v0, v17, v0
	v_lshrrev_b32_e32 v0, 16, v0
.LBB463_82:
	s_or_b64 exec, exec, s[0:1]
	s_mov_b32 s0, 0x5040100
	v_or_b32_e32 v2, v21, v19
	v_perm_b32 v1, v0, v1, s0
	v_perm_b32 v0, v11, v9, s0
	v_lshlrev_b32_e32 v2, 1, v2
	ds_write_b64 v2, v[0:1] offset:45056
	s_waitcnt lgkmcnt(0)
	s_barrier
.LBB463_83:
	s_endpgm
	.section	.rodata,"a",@progbits
	.p2align	6, 0x0
	.amdhsa_kernel _ZN12_GLOBAL__N_139chunk_gated_delta_rule_fwd_h_hip_kernelILi32ELb0ELb0ELb1ELb0ELb0ELb1ELb1ELb0EEEvPK12hip_bfloat16S3_S3_PKfS5_PKvPS1_S8_PvPKiSB_iiiiilll
		.amdhsa_group_segment_fixed_size 49152
		.amdhsa_private_segment_fixed_size 0
		.amdhsa_kernarg_size 136
		.amdhsa_user_sgpr_count 2
		.amdhsa_user_sgpr_dispatch_ptr 0
		.amdhsa_user_sgpr_queue_ptr 0
		.amdhsa_user_sgpr_kernarg_segment_ptr 1
		.amdhsa_user_sgpr_dispatch_id 0
		.amdhsa_user_sgpr_kernarg_preload_length 0
		.amdhsa_user_sgpr_kernarg_preload_offset 0
		.amdhsa_user_sgpr_private_segment_size 0
		.amdhsa_uses_dynamic_stack 0
		.amdhsa_enable_private_segment 0
		.amdhsa_system_sgpr_workgroup_id_x 1
		.amdhsa_system_sgpr_workgroup_id_y 1
		.amdhsa_system_sgpr_workgroup_id_z 0
		.amdhsa_system_sgpr_workgroup_info 0
		.amdhsa_system_vgpr_workitem_id 0
		.amdhsa_next_free_vgpr 168
		.amdhsa_next_free_sgpr 67
		.amdhsa_accum_offset 144
		.amdhsa_reserve_vcc 1
		.amdhsa_float_round_mode_32 0
		.amdhsa_float_round_mode_16_64 0
		.amdhsa_float_denorm_mode_32 3
		.amdhsa_float_denorm_mode_16_64 3
		.amdhsa_dx10_clamp 1
		.amdhsa_ieee_mode 1
		.amdhsa_fp16_overflow 0
		.amdhsa_tg_split 0
		.amdhsa_exception_fp_ieee_invalid_op 0
		.amdhsa_exception_fp_denorm_src 0
		.amdhsa_exception_fp_ieee_div_zero 0
		.amdhsa_exception_fp_ieee_overflow 0
		.amdhsa_exception_fp_ieee_underflow 0
		.amdhsa_exception_fp_ieee_inexact 0
		.amdhsa_exception_int_div_zero 0
	.end_amdhsa_kernel
	.section	.text._ZN12_GLOBAL__N_139chunk_gated_delta_rule_fwd_h_hip_kernelILi32ELb0ELb0ELb1ELb0ELb0ELb1ELb1ELb0EEEvPK12hip_bfloat16S3_S3_PKfS5_PKvPS1_S8_PvPKiSB_iiiiilll,"axG",@progbits,_ZN12_GLOBAL__N_139chunk_gated_delta_rule_fwd_h_hip_kernelILi32ELb0ELb0ELb1ELb0ELb0ELb1ELb1ELb0EEEvPK12hip_bfloat16S3_S3_PKfS5_PKvPS1_S8_PvPKiSB_iiiiilll,comdat
.Lfunc_end463:
	.size	_ZN12_GLOBAL__N_139chunk_gated_delta_rule_fwd_h_hip_kernelILi32ELb0ELb0ELb1ELb0ELb0ELb1ELb1ELb0EEEvPK12hip_bfloat16S3_S3_PKfS5_PKvPS1_S8_PvPKiSB_iiiiilll, .Lfunc_end463-_ZN12_GLOBAL__N_139chunk_gated_delta_rule_fwd_h_hip_kernelILi32ELb0ELb0ELb1ELb0ELb0ELb1ELb1ELb0EEEvPK12hip_bfloat16S3_S3_PKfS5_PKvPS1_S8_PvPKiSB_iiiiilll
                                        ; -- End function
	.section	.AMDGPU.csdata,"",@progbits
; Kernel info:
; codeLenInByte = 8996
; NumSgprs: 73
; NumVgprs: 142
; NumAgprs: 24
; TotalNumVgprs: 168
; ScratchSize: 0
; MemoryBound: 0
; FloatMode: 240
; IeeeMode: 1
; LDSByteSize: 49152 bytes/workgroup (compile time only)
; SGPRBlocks: 9
; VGPRBlocks: 20
; NumSGPRsForWavesPerEU: 73
; NumVGPRsForWavesPerEU: 168
; AccumOffset: 144
; Occupancy: 1
; WaveLimiterHint : 1
; COMPUTE_PGM_RSRC2:SCRATCH_EN: 0
; COMPUTE_PGM_RSRC2:USER_SGPR: 2
; COMPUTE_PGM_RSRC2:TRAP_HANDLER: 0
; COMPUTE_PGM_RSRC2:TGID_X_EN: 1
; COMPUTE_PGM_RSRC2:TGID_Y_EN: 1
; COMPUTE_PGM_RSRC2:TGID_Z_EN: 0
; COMPUTE_PGM_RSRC2:TIDIG_COMP_CNT: 0
; COMPUTE_PGM_RSRC3_GFX90A:ACCUM_OFFSET: 35
; COMPUTE_PGM_RSRC3_GFX90A:TG_SPLIT: 0
	.section	.text._ZN12_GLOBAL__N_139chunk_gated_delta_rule_fwd_h_hip_kernelILi32ELb0ELb0ELb0ELb0ELb0ELb1ELb1ELb0EEEvPK12hip_bfloat16S3_S3_PKfS5_PKvPS1_S8_PvPKiSB_iiiiilll,"axG",@progbits,_ZN12_GLOBAL__N_139chunk_gated_delta_rule_fwd_h_hip_kernelILi32ELb0ELb0ELb0ELb0ELb0ELb1ELb1ELb0EEEvPK12hip_bfloat16S3_S3_PKfS5_PKvPS1_S8_PvPKiSB_iiiiilll,comdat
	.globl	_ZN12_GLOBAL__N_139chunk_gated_delta_rule_fwd_h_hip_kernelILi32ELb0ELb0ELb0ELb0ELb0ELb1ELb1ELb0EEEvPK12hip_bfloat16S3_S3_PKfS5_PKvPS1_S8_PvPKiSB_iiiiilll ; -- Begin function _ZN12_GLOBAL__N_139chunk_gated_delta_rule_fwd_h_hip_kernelILi32ELb0ELb0ELb0ELb0ELb0ELb1ELb1ELb0EEEvPK12hip_bfloat16S3_S3_PKfS5_PKvPS1_S8_PvPKiSB_iiiiilll
	.p2align	8
	.type	_ZN12_GLOBAL__N_139chunk_gated_delta_rule_fwd_h_hip_kernelILi32ELb0ELb0ELb0ELb0ELb0ELb1ELb1ELb0EEEvPK12hip_bfloat16S3_S3_PKfS5_PKvPS1_S8_PvPKiSB_iiiiilll,@function
_ZN12_GLOBAL__N_139chunk_gated_delta_rule_fwd_h_hip_kernelILi32ELb0ELb0ELb0ELb0ELb0ELb1ELb1ELb0EEEvPK12hip_bfloat16S3_S3_PKfS5_PKvPS1_S8_PvPKiSB_iiiiilll: ; @_ZN12_GLOBAL__N_139chunk_gated_delta_rule_fwd_h_hip_kernelILi32ELb0ELb0ELb0ELb0ELb0ELb1ELb1ELb0EEEvPK12hip_bfloat16S3_S3_PKfS5_PKvPS1_S8_PvPKiSB_iiiiilll
; %bb.0:
	s_load_dwordx4 s[12:15], s[0:1], 0x5c
	s_load_dwordx2 s[36:37], s[0:1], 0x30
	s_abs_i32 s18, s3
	s_ashr_i32 s17, s3, 31
	s_load_dwordx8 s[4:11], s[0:1], 0x0
	s_waitcnt lgkmcnt(0)
	s_abs_i32 s16, s13
	v_cvt_f32_u32_e32 v1, s16
	s_sub_i32 s20, 0, s16
	s_ashr_i32 s19, s13, 31
	s_xor_b32 s17, s17, s19
	v_rcp_iflag_f32_e32 v1, v1
	v_lshrrev_b32_e32 v61, 6, v0
	v_bfe_u32 v62, v0, 4, 2
	v_lshlrev_b32_e32 v2, 2, v62
	v_mul_f32_e32 v1, 0x4f7ffffe, v1
	v_cvt_u32_f32_e32 v1, v1
	v_and_b32_e32 v60, 63, v0
	v_mov_b32_e32 v5, 0
	v_and_b32_e32 v45, 15, v0
	v_readfirstlane_b32 s21, v1
	s_mul_i32 s20, s20, s21
	s_mul_hi_u32 s20, s21, s20
	s_add_i32 s21, s21, s20
	s_mul_hi_u32 s20, s18, s21
	s_mul_i32 s21, s20, s16
	s_sub_i32 s18, s18, s21
	s_add_i32 s22, s20, 1
	s_sub_i32 s21, s18, s16
	s_cmp_ge_u32 s18, s16
	s_cselect_b32 s20, s22, s20
	s_cselect_b32 s18, s21, s18
	s_add_i32 s21, s20, 1
	s_cmp_ge_u32 s18, s16
	s_cselect_b32 s18, s21, s20
	s_abs_i32 s20, s14
	v_cvt_f32_u32_e32 v1, s20
	s_xor_b32 s18, s18, s17
	s_ashr_i32 s46, s12, 31
	s_sub_i32 s48, s18, s17
	v_rcp_iflag_f32_e32 v1, v1
	s_lshr_b32 s17, s46, 26
	s_add_i32 s17, s12, s17
	s_ashr_i32 s49, s14, 31
	v_mul_f32_e32 v1, 0x4f7ffffe, v1
	v_cvt_u32_f32_e32 v1, v1
	s_ashr_i32 s47, s17, 6
	s_xor_b32 s17, s19, s49
	s_sub_i32 s18, 0, s20
	v_readfirstlane_b32 s19, v1
	s_mul_i32 s18, s18, s19
	s_mul_hi_u32 s18, s19, s18
	s_add_i32 s19, s19, s18
	s_mul_hi_u32 s18, s16, s19
	s_mul_i32 s19, s18, s20
	s_mul_i32 s45, s48, s13
	s_sub_i32 s16, s16, s19
	s_sub_i32 s33, s3, s45
	s_add_i32 s3, s12, 63
	s_add_i32 s19, s18, 1
	s_sub_i32 s21, s16, s20
	s_cmp_ge_u32 s16, s20
	s_cselect_b32 s18, s19, s18
	s_cselect_b32 s16, s21, s16
	s_add_i32 s19, s18, 1
	s_cmp_ge_u32 s16, s20
	s_cselect_b32 s16, s19, s18
	s_xor_b32 s16, s16, s17
	s_sub_i32 s20, s16, s17
	s_abs_i32 s21, s20
	v_cvt_f32_u32_e32 v1, s21
	s_sub_i32 s23, 0, s21
	s_abs_i32 s22, s33
	s_xor_b32 s20, s33, s20
	v_rcp_iflag_f32_e32 v1, v1
	s_ashr_i32 s20, s20, 31
	s_load_dwordx2 s[28:29], s[0:1], 0x80
	s_load_dwordx4 s[16:19], s[0:1], 0x70
	s_mul_hi_i32 s51, s48, s13
	v_mul_f32_e32 v1, 0x4f7ffffe, v1
	v_cvt_u32_f32_e32 v1, v1
	v_lshrrev_b32_e32 v64, 3, v60
	v_lshlrev_b32_e32 v63, 3, v0
	s_waitcnt lgkmcnt(0)
	s_mul_i32 s17, s48, s17
	v_readfirstlane_b32 s24, v1
	s_mul_i32 s23, s23, s24
	s_mul_hi_u32 s23, s24, s23
	s_add_i32 s24, s24, s23
	s_mul_hi_u32 s23, s22, s24
	s_mul_i32 s24, s23, s21
	s_sub_i32 s22, s22, s24
	s_add_i32 s24, s23, 1
	s_sub_i32 s25, s22, s21
	s_cmp_ge_u32 s22, s21
	s_cselect_b32 s23, s24, s23
	s_cselect_b32 s22, s25, s22
	s_add_i32 s24, s23, 1
	s_cmp_ge_u32 s22, s21
	s_cselect_b32 s21, s24, s23
	s_xor_b32 s21, s21, s20
	s_sub_i32 s52, s21, s20
	s_ashr_i32 s20, s3, 31
	s_lshr_b32 s20, s20, 26
	v_lshlrev_b32_e32 v1, 4, v61
	s_add_i32 s3, s3, s20
	v_or_b32_e32 v65, v2, v1
	s_ashr_i32 s3, s3, 6
	s_lshl_b32 s30, s2, 5
	s_mul_i32 s50, s48, s3
	v_or_b32_e32 v66, 64, v65
	s_cmp_lt_i32 s12, 64
	s_mul_hi_u32 s44, s48, s16
	s_mul_i32 s34, s48, s16
	v_mov_b32_e32 v83, 0
	v_mov_b32_e32 v81, 0
	;; [unrolled: 1-line block ×15, first 2 shown]
	s_cbranch_scc1 .LBB464_18
; %bb.1:
	s_ashr_i32 s24, s48, 31
	s_ashr_i32 s54, s33, 31
	s_add_u32 s2, s45, s33
	s_addc_u32 s3, s51, s54
	s_mul_i32 s3, s12, s3
	s_mul_hi_u32 s20, s12, s2
	s_add_i32 s39, s20, s3
	s_mul_i32 s38, s12, s2
	s_lshl_b64 s[2:3], s[38:39], 8
	v_and_b32_e32 v68, 56, v63
	s_add_u32 s20, s6, s2
	v_lshl_or_b32 v67, v61, 3, v64
	v_lshlrev_b32_e32 v3, 1, v68
	s_addc_u32 s2, s7, s3
	v_lshl_or_b32 v69, v67, 8, v3
	s_and_b32 s21, s2, 0xffff
	s_mov_b32 s23, 0x20000
	s_movk_i32 s22, 0x4000
	s_movk_i32 s2, 0x80
	v_or_b32_e32 v70, 0x2000, v69
	buffer_load_dwordx4 v[4:7], v69, s[20:23], 0 offen
	buffer_load_dwordx4 v[8:11], v69, s[20:23], s2 offen
	;; [unrolled: 1-line block ×4, first 2 shown]
	v_lshlrev_b32_e32 v20, 3, v67
	v_and_or_b32 v22, v0, 7, v20
	v_and_b32_e32 v20, 0x78, v20
	v_lshlrev_b32_e32 v22, 4, v22
	v_xor_b32_e32 v71, v22, v20
	v_mul_lo_u32 v21, v67, s15
	v_or_b32_e32 v72, 0x1000, v71
	s_cmpk_eq_i32 s15, 0x80
	s_mov_b32 s53, s14
	v_xor_b32_e32 v20, 8, v71
	v_xor_b32_e32 v22, 8, v72
	s_cselect_b64 s[2:3], -1, 0
	s_cmpk_lg_i32 s15, 0x80
	s_waitcnt vmcnt(3)
	ds_write_b64 v71, v[4:5] offset:24576
	ds_write_b64 v20, v[6:7] offset:24576
	s_waitcnt vmcnt(2)
	ds_write_b64 v71, v[8:9] offset:32768
	ds_write_b64 v20, v[10:11] offset:32768
	;; [unrolled: 3-line block ×4, first 2 shown]
	v_lshl_add_u32 v4, v21, 1, v68
	s_cbranch_scc0 .LBB464_3
; %bb.2:
	v_lshlrev_b32_e32 v6, 1, v4
	v_add_lshl_u32 v5, v4, s15, 1
	s_lshl_b32 s22, s15, 7
	s_load_dwordx2 s[40:41], s[0:1], 0x20
	v_lshl_or_b32 v3, v67, 9, v3
	s_cbranch_execz .LBB464_4
	s_branch .LBB464_5
.LBB464_3:
                                        ; implicit-def: $vgpr5
                                        ; implicit-def: $vgpr6
                                        ; implicit-def: $sgpr22
	s_load_dwordx2 s[40:41], s[0:1], 0x20
	v_lshl_or_b32 v3, v67, 9, v3
.LBB464_4:
	v_or_b32_e32 v5, 0x100, v3
	s_movk_i32 s22, 0x4000
	v_mov_b32_e32 v6, v3
.LBB464_5:
	s_mul_hi_u32 s0, s14, s12
	s_mul_i32 s1, s49, s12
	s_add_i32 s0, s0, s1
	s_mul_i32 s1, s14, s12
	s_mul_i32 s20, s1, s24
	s_mul_hi_u32 s21, s1, s48
	s_add_i32 s20, s21, s20
	s_mul_i32 s0, s0, s48
	s_add_i32 s20, s20, s0
	s_mul_i32 s1, s1, s48
	s_ashr_i32 s55, s52, 31
	s_add_u32 s0, s1, s52
	s_addc_u32 s1, s20, s55
	s_lshl_b64 s[0:1], s[0:1], 8
	s_add_u32 s20, s4, s0
	s_addc_u32 s0, s5, s1
	s_and_b32 s21, s0, 0xffff
	s_movk_i32 s56, 0x80
	buffer_load_dwordx4 v[8:11], v6, s[20:23], 0 offen
	buffer_load_dwordx4 v[12:15], v6, s[20:23], s56 offen
	;; [unrolled: 1-line block ×4, first 2 shown]
	v_and_b32_e32 v5, 6, v0
	v_lshlrev_b32_e32 v24, 6, v65
	v_or_b32_e32 v26, 16, v45
	v_xor_b32_e32 v27, v67, v5
	v_and_b32_e32 v6, 1, v0
	s_mul_i32 s0, s24, s12
	s_mul_hi_u32 s1, s48, s12
	v_lshl_or_b32 v30, v45, 3, v24
	v_lshl_or_b32 v24, v26, 3, v24
	v_lshlrev_b32_e32 v27, 2, v27
	v_lshlrev_b32_e32 v7, 2, v45
	v_or_b32_e32 v75, 0xa000, v24
	v_or_b32_e32 v76, 0xb000, v24
	v_xor_b32_e32 v24, 0x440, v27
	v_cmp_eq_u32_e32 vcc, 0, v6
	s_add_i32 s61, s1, s0
	s_add_i32 s0, s44, s17
	s_mul_i32 s24, s24, s16
	v_xor_b32_e32 v28, v65, v7
	v_xor_b32_e32 v29, v66, v7
	v_cndmask_b32_e32 v6, v24, v27, vcc
	s_add_i32 s35, s0, s24
	s_mul_i32 s0, s33, s19
	s_mul_hi_u32 s1, s33, s18
	s_mov_b32 s59, 0x1000504
	v_lshlrev_b32_e32 v25, 8, v45
	v_lshlrev_b32_e32 v28, 1, v28
	;; [unrolled: 1-line block ×3, first 2 shown]
	v_lshl_or_b32 v5, v5, 10, v6
	s_add_i32 s0, s1, s0
	s_mul_i32 s1, s54, s18
	s_mov_b32 s60, 0x3020706
	v_or_b32_e32 v73, 0xa000, v30
	v_or_b32_e32 v74, 0xb000, v30
	;; [unrolled: 1-line block ×4, first 2 shown]
	v_xor_b32_e32 v6, 8, v5
	v_xor_b32_e32 v25, 24, v5
	v_xor_b32_e32 v30, 40, v5
	v_xor_b32_e32 v32, 56, v5
	s_add_i32 s1, s0, s1
	s_lshl_b64 s[20:21], s[34:35], 2
	v_xor_b32_e32 v24, 16, v5
	v_xor_b32_e32 v27, 32, v5
	;; [unrolled: 1-line block ×3, first 2 shown]
	v_add_u32_e32 v6, 0x80, v6
	v_add_u32_e32 v25, 0x80, v25
	;; [unrolled: 1-line block ×4, first 2 shown]
	s_mul_i32 s0, s33, s18
	s_add_u32 s20, s10, s20
	s_addc_u32 s21, s11, s21
	s_lshl_b64 s[0:1], s[0:1], 2
	s_add_u32 s42, s20, s0
	s_movk_i32 s0, 0xf8
	s_addc_u32 s43, s21, s1
	s_ashr_i32 s31, s30, 31
	s_lshl_b32 s26, s15, 7
	s_movk_i32 s20, 0x100
	v_mov_b32_e32 v55, 0
	v_lshlrev_b32_e32 v54, 4, v45
	v_cmp_gt_u32_e32 vcc, s20, v0
	s_mul_i32 s57, s48, s12
	s_mov_b32 s58, 0
	s_movk_i32 s35, 0x1000
	s_movk_i32 s22, 0x4000
	v_add_u32_e32 v100, v1, v2
	s_mov_b32 s62, 0x7060302
	v_mov_b32_e32 v111, 0x3fb8aa3b
	s_mov_b32 s64, 0
	v_mov_b32_e32 v50, v55
	v_mov_b32_e32 v51, v55
	;; [unrolled: 1-line block ×8, first 2 shown]
	s_waitcnt vmcnt(1)
	v_perm_b32 v33, v8, v16, s59
	s_waitcnt vmcnt(0)
	v_perm_b32 v34, v12, v20, s59
	v_perm_b32 v8, v8, v16, s60
	;; [unrolled: 1-line block ×15, first 2 shown]
	ds_write2st64_b32 v5, v33, v34 offset0:32 offset1:64
	ds_write2st64_b32 v6, v8, v12 offset0:32 offset1:64
	;; [unrolled: 1-line block ×8, first 2 shown]
	v_lshlrev_b32_e32 v5, 8, v26
	v_or_b32_e32 v79, v5, v28
	v_or_b32_e32 v80, v5, v29
	;; [unrolled: 1-line block ×3, first 2 shown]
	v_lshlrev_b32_e32 v5, 3, v5
	v_lshrrev_b32_e32 v8, 5, v60
	v_and_or_b32 v8, v5, s0, v8
	v_lshrrev_b32_e32 v6, 2, v60
	v_lshlrev_b32_e32 v11, 11, v61
	v_lshlrev_b32_e32 v8, 4, v8
	v_and_b32_e32 v5, 0x78, v5
	v_and_b32_e32 v9, 12, v6
	;; [unrolled: 1-line block ×3, first 2 shown]
	v_xor_b32_e32 v10, v8, v5
	v_lshrrev_b32_e32 v12, 1, v60
	v_or_b32_e32 v10, v10, v6
	v_and_b32_e32 v12, 8, v12
	v_xor_b32_e32 v87, v10, v12
	v_or_b32_e32 v10, 32, v8
	v_xor_b32_e32 v10, v10, v5
	v_or_b32_e32 v10, v10, v6
	;; [unrolled: 2-line block ×3, first 2 shown]
	v_or_b32_e32 v8, 0x60, v8
	v_xor_b32_e32 v10, v10, v5
	v_xor_b32_e32 v5, v8, v5
	s_lshl_b64 s[0:1], s[30:31], 8
	v_or_b32_e32 v10, v10, v6
	v_or_b32_e32 v5, v5, v6
	v_lshlrev_b32_e32 v14, 1, v4
	v_add_lshl_u32 v15, v4, s15, 1
	s_add_u32 s0, s36, s0
	v_lshlrev_b32_e32 v4, 1, v45
	v_xor_b32_e32 v91, v10, v12
	v_xor_b32_e32 v92, v5, v12
	v_lshrrev_b32_e32 v10, 4, v0
	s_addc_u32 s1, s37, s1
	v_or_b32_e32 v5, 1, v4
	v_mov_b32_e32 v20, 0x4000
	v_mov_b32_e32 v21, 0x2000
	v_lshrrev_b32_e32 v22, 1, v0
	v_xor_b32_e32 v12, v10, v4
	v_xor_b32_e32 v17, v5, v10
	v_lshl_add_u64 v[4:5], s[0:1], 0, v[54:55]
	v_lshlrev_b32_e32 v54, 8, v10
	v_cndmask_b32_e32 v20, v20, v21, vcc
	v_lshlrev_b32_e32 v21, 3, v61
	v_and_b32_e32 v22, 24, v22
	v_lshl_or_b32 v95, v12, 3, v54
	v_and_b32_e32 v12, 8, v0
	v_xor_b32_e32 v23, v21, v22
	v_or_b32_e32 v24, 0x440, v23
	v_cmp_eq_u32_e32 vcc, 0, v12
	v_and_b32_e32 v10, 7, v0
	v_lshlrev_b32_e32 v13, 7, v62
	v_cndmask_b32_e32 v12, v24, v23, vcc
	v_lshl_or_b32 v96, v17, 3, v54
	v_lshlrev_b32_e32 v17, 3, v10
	v_lshlrev_b32_e32 v19, 2, v0
	v_or_b32_e32 v12, v12, v11
	v_or_b32_e32 v7, v13, v7
	v_xor_b32_e32 v23, v12, v17
	v_and_or_b32 v12, v19, 60, v13
	v_mov_b32_e32 v13, 0xb000
	v_lshl_or_b32 v97, v12, 1, v13
	v_or_b32_e32 v12, 32, v22
	v_xor_b32_e32 v12, v21, v12
	v_or_b32_e32 v13, 0x440, v12
	v_cndmask_b32_e32 v12, v13, v12, vcc
	v_or_b32_e32 v12, v12, v11
	v_xor_b32_e32 v13, v12, v17
	v_or_b32_e32 v12, 64, v22
	v_xor_b32_e32 v12, v21, v12
	v_xor_b32_e32 v25, 0x440, v12
	v_cndmask_b32_e32 v12, v25, v12, vcc
	v_or_b32_e32 v12, v12, v11
	v_xor_b32_e32 v25, v12, v17
	v_or_b32_e32 v12, 0x60, v22
	v_xor_b32_e32 v12, v21, v12
	v_xor_b32_e32 v21, 0x440, v12
	v_cndmask_b32_e32 v12, v21, v12, vcc
	v_or_b32_e32 v11, v12, v11
	v_lshlrev_b32_e32 v7, 1, v7
	v_or_b32_e32 v6, s30, v45
	v_xor_b32_e32 v11, v11, v17
	v_or_b32_e32 v88, 0xa000, v7
	v_or_b32_e32 v90, 0xa080, v7
	;; [unrolled: 1-line block ×4, first 2 shown]
	v_lshlrev_b32_e32 v8, 7, v65
	v_ashrrev_i32_e32 v7, 31, v6
	v_or_b32_e32 v16, 0x100, v3
	v_lshlrev_b32_e32 v18, 7, v10
	v_or_b32_e32 v10, v9, v1
	v_add_u32_e32 v24, v20, v23
	v_add_u32_e32 v19, v20, v13
	;; [unrolled: 1-line block ×4, first 2 shown]
	v_or3_b32 v12, v1, v9, 64
	v_add_u32_e32 v9, 0x4000, v23
	v_add_u32_e32 v13, 0x4000, v13
	;; [unrolled: 1-line block ×4, first 2 shown]
	v_cndmask_b32_e64 v98, v14, v3, s[2:3]
	v_cndmask_b32_e64 v99, v15, v16, s[2:3]
	v_lshl_add_u64 v[56:57], v[6:7], 1, s[8:9]
	v_lshl_add_u64 v[58:59], v[4:5], 0, v[54:55]
	s_add_i32 s31, s57, 63
	v_lshlrev_b32_e32 v54, 1, v8
	v_lshlrev_b32_e32 v101, 2, v10
	v_add_u32_e32 v102, v24, v18
	v_add_u32_e32 v103, v19, v18
	;; [unrolled: 1-line block ×4, first 2 shown]
	v_lshlrev_b32_e32 v106, 2, v12
	v_add_u32_e32 v107, v9, v18
	v_add_u32_e32 v108, v13, v18
	;; [unrolled: 1-line block ×4, first 2 shown]
	v_mov_b32_e32 v85, v55
	v_mov_b32_e32 v84, v55
	v_mov_b32_e32 v86, v55
	v_mov_b32_e32 v113, v55
	v_mov_b32_e32 v82, v55
	v_mov_b32_e32 v81, v55
	v_mov_b32_e32 v83, v55
	v_mov_b32_e32 v112, v55
	s_waitcnt lgkmcnt(0)
	s_barrier
.LBB464_6:                              ; =>This Inner Loop Header: Depth=1
	s_add_i32 s63, s64, 1
	s_cmp_lt_i32 s63, s47
	s_mov_b64 s[24:25], 0
	s_cselect_b64 s[2:3], -1, 0
	s_cmp_ge_i32 s63, s47
	s_mov_b64 s[20:21], 0
	s_cbranch_scc1 .LBB464_8
; %bb.7:                                ;   in Loop: Header=BB464_6 Depth=1
	s_add_i32 s0, s58, 64
	s_add_u32 s0, s38, s0
	s_addc_u32 s1, s39, 0
	s_lshl_b64 s[0:1], s[0:1], 8
	s_add_u32 s20, s6, s0
	s_addc_u32 s21, s7, s1
.LBB464_8:                              ;   in Loop: Header=BB464_6 Depth=1
	v_cndmask_b32_e64 v2, 0, 1, s[2:3]
	v_cmp_ne_u32_e64 s[0:1], 1, v2
	s_andn2_b64 vcc, exec, s[2:3]
	s_cbranch_vccnz .LBB464_10
; %bb.9:                                ;   in Loop: Header=BB464_6 Depth=1
	s_add_i32 s2, s58, 64
	s_add_u32 s2, s57, s2
	s_addc_u32 s3, s61, 0
	s_mul_i32 s24, s2, s49
	s_mul_hi_u32 s25, s2, s53
	s_add_i32 s24, s25, s24
	s_mul_i32 s3, s3, s53
	s_add_i32 s24, s24, s3
	s_mul_i32 s2, s2, s53
	s_add_u32 s2, s2, s52
	s_addc_u32 s3, s24, s55
	s_lshl_b64 s[2:3], s[2:3], 8
	s_add_u32 s24, s4, s2
	s_addc_u32 s25, s5, s3
.LBB464_10:                             ;   in Loop: Header=BB464_6 Depth=1
	v_perm_b32 v3, v53, v52, s62
	v_perm_b32 v2, v51, v50, s62
	;; [unrolled: 1-line block ×4, first 2 shown]
	ds_write_b64 v73, v[2:3]
	ds_write_b64 v74, v[4:5]
	;; [unrolled: 1-line block ×4, first 2 shown]
	v_perm_b32 v3, v113, v86, s62
	v_perm_b32 v2, v84, v85, s62
	;; [unrolled: 1-line block ×4, first 2 shown]
	ds_write_b64 v75, v[2:3]
	ds_write_b64 v76, v[4:5]
	;; [unrolled: 1-line block ×4, first 2 shown]
	s_waitcnt lgkmcnt(0)
	s_barrier
	ds_read_b64 v[6:7], v87 offset:24576
	ds_read2_b64 v[2:5], v88 offset1:16
	ds_read_b64 v[10:11], v90 offset:3072
	ds_read_b64 v[12:13], v88 offset:3072
	;; [unrolled: 1-line block ×3, first 2 shown]
	s_waitcnt lgkmcnt(3)
	v_mfma_f32_16x16x16_bf16 a[0:3], v[6:7], v[2:3], 0
	s_add_i32 s2, s58, 63
	s_mul_i32 s3, s2, s29
	s_mul_hi_u32 s27, s2, s28
	v_mfma_f32_16x16x16_bf16 a[4:7], v[6:7], v[4:5], 0
	ds_read2st64_b64 v[2:5], v88 offset0:2 offset1:4
	ds_read2st64_b64 v[6:9], v90 offset0:2 offset1:4
	s_add_i32 s3, s27, s3
	s_waitcnt lgkmcnt(1)
	v_mfma_f32_16x16x16_bf16 a[0:3], v[14:15], v[2:3], a[0:3]
	s_mul_i32 s2, s2, s28
	s_lshl_b64 s[2:3], s[2:3], 2
	s_add_u32 s2, s42, s2
	s_waitcnt lgkmcnt(0)
	v_mfma_f32_16x16x16_bf16 a[4:7], v[14:15], v[6:7], a[4:7]
	ds_read_b64 v[2:3], v91 offset:24576
	ds_read_b64 v[6:7], v92 offset:24576
	s_addc_u32 s3, s43, s3
	s_and_b64 vcc, exec, s[0:1]
	s_waitcnt lgkmcnt(1)
	v_mfma_f32_16x16x16_bf16 a[0:3], v[2:3], v[4:5], a[0:3]
	v_mov_b32_e32 v116, 0
	v_mov_b32_e32 v115, 0
	v_mov_b32_e32 v114, 0
	v_mfma_f32_16x16x16_bf16 a[4:7], v[2:3], v[8:9], a[4:7]
	v_mov_b32_e32 v2, 0
	v_mov_b32_e32 v3, 0
	;; [unrolled: 1-line block ×3, first 2 shown]
	s_waitcnt lgkmcnt(0)
	v_mfma_f32_16x16x16_bf16 a[0:3], v[6:7], v[12:13], a[0:3]
	v_mov_b32_e32 v5, 0
	v_mov_b32_e32 v8, 0
	;; [unrolled: 1-line block ×3, first 2 shown]
	v_mfma_f32_16x16x16_bf16 a[4:7], v[6:7], v[10:11], a[4:7]
	v_mov_b32_e32 v6, 0
	v_mov_b32_e32 v7, 0
	;; [unrolled: 1-line block ×10, first 2 shown]
	s_cbranch_vccnz .LBB464_12
; %bb.11:                               ;   in Loop: Header=BB464_6 Depth=1
	s_and_b32 s21, s21, 0xffff
	buffer_load_dwordx4 v[14:17], v69, s[20:23], 0 offen
	buffer_load_dwordx4 v[10:13], v69, s[20:23], s56 offen
	;; [unrolled: 1-line block ×4, first 2 shown]
	v_mov_b32_e32 v115, v71
	v_mov_b32_e32 v114, v72
.LBB464_12:                             ;   in Loop: Header=BB464_6 Depth=1
	ds_read_b64 v[22:23], v87 offset:32768
	ds_read2_b64 v[18:21], v93 offset1:16
	ds_read_b64 v[26:27], v89 offset:32768
	ds_read_b64 v[28:29], v91 offset:32768
	;; [unrolled: 1-line block ×3, first 2 shown]
	v_add_u32_e32 v32, s58, v100
	s_waitcnt lgkmcnt(3)
	v_mfma_f32_16x16x16_bf16 a[0:3], v[22:23], v[18:19], a[0:3]
	v_mul_lo_u32 v33, v32, s29
	v_mov_b32_e32 v117, 0
	v_mfma_f32_16x16x16_bf16 a[4:7], v[22:23], v[20:21], a[4:7]
	ds_read2st64_b64 v[18:21], v93 offset0:2 offset1:4
	ds_read2st64_b64 v[22:25], v94 offset0:2 offset1:4
	s_waitcnt lgkmcnt(1)
	v_mfma_f32_16x16x16_bf16 a[0:3], v[26:27], v[18:19], a[0:3]
	v_ashrrev_i32_e32 v18, 31, v32
	v_mul_lo_u32 v34, v18, s28
	v_mad_u64_u32 v[18:19], s[20:21], v32, s28, 0
	v_mfma_f32_16x16x16_bf16 a[0:3], v[28:29], v[20:21], a[0:3]
	v_add_u32_e32 v20, 1, v32
	v_ashrrev_i32_e32 v21, 31, v20
	v_add3_u32 v19, v19, v33, v34
	s_waitcnt lgkmcnt(0)
	v_mfma_f32_16x16x16_bf16 a[4:7], v[26:27], v[22:23], a[4:7]
	v_mul_lo_u32 v22, v21, s28
	v_mul_lo_u32 v23, v20, s29
	v_mad_u64_u32 v[20:21], s[20:21], v20, s28, 0
	v_add3_u32 v21, v21, v23, v22
	v_add_u32_e32 v22, 2, v32
	v_ashrrev_i32_e32 v23, 31, v22
	v_mul_lo_u32 v26, v23, s28
	v_mul_lo_u32 v27, v22, s29
	v_mad_u64_u32 v[22:23], s[20:21], v22, s28, 0
	v_add3_u32 v23, v23, v27, v26
	v_add_u32_e32 v26, 3, v32
	v_ashrrev_i32_e32 v27, 31, v26
	v_mul_lo_u32 v32, v27, s28
	v_mul_lo_u32 v33, v26, s29
	v_mad_u64_u32 v[26:27], s[20:21], v26, s28, 0
	s_add_u32 s20, s38, s58
	s_addc_u32 s21, s39, 0
	s_lshl_b64 s[20:21], s[20:21], 8
	v_lshl_add_u64 v[18:19], v[18:19], 2, s[42:43]
	v_lshl_add_u64 v[20:21], v[20:21], 2, s[42:43]
	v_add3_u32 v27, v27, v33, v32
	v_lshl_add_u64 v[32:33], v[56:57], 0, s[20:21]
	v_lshl_add_u64 v[22:23], v[22:23], 2, s[42:43]
	;; [unrolled: 1-line block ×3, first 2 shown]
	global_load_dword v34, v[18:19], off
	global_load_ushort v35, v[32:33], off offset:256
	global_load_ushort v36, v[32:33], off
	global_load_ushort v37, v[32:33], off offset:768
	global_load_ushort v38, v[32:33], off offset:512
	v_lshl_add_u64 v[18:19], v[26:27], 2, s[42:43]
	global_load_dword v39, v[20:21], off
	global_load_dword v40, v[22:23], off
	;; [unrolled: 1-line block ×3, first 2 shown]
	ds_read_b64 v[18:19], v93 offset:3072
	ds_read_b64 v[20:21], v94 offset:3072
	global_load_ushort v42, v[32:33], off offset:800
	global_load_ushort v43, v[32:33], off offset:544
	;; [unrolled: 1-line block ×3, first 2 shown]
	s_nop 0
	global_load_ushort v32, v[32:33], off offset:32
	s_load_dword s2, s[2:3], 0x0
	v_mfma_f32_16x16x16_bf16 a[4:7], v[28:29], v[24:25], a[4:7]
	s_and_b64 vcc, exec, s[0:1]
	v_mov_b32_e32 v33, 0
	s_waitcnt vmcnt(11) lgkmcnt(0)
	v_sub_f32_e32 v28, s2, v34
	v_mfma_f32_16x16x16_bf16 a[0:3], v[30:31], v[18:19], a[0:3]
	v_mul_f32_e32 v28, 0x3fb8aa3b, v28
	v_exp_f32_e32 v28, v28
	s_waitcnt vmcnt(6)
	v_sub_f32_e32 v29, s2, v39
	v_mfma_f32_16x16x16_bf16 a[4:7], v[30:31], v[20:21], a[4:7]
	s_waitcnt vmcnt(5)
	v_sub_f32_e32 v30, s2, v40
	s_waitcnt vmcnt(4)
	v_sub_f32_e32 v31, s2, v41
	v_mul_f32_e32 v29, 0x3fb8aa3b, v29
	v_mul_f32_e32 v30, 0x3fb8aa3b, v30
	;; [unrolled: 1-line block ×3, first 2 shown]
	v_exp_f32_e32 v29, v29
	v_exp_f32_e32 v30, v30
	;; [unrolled: 1-line block ×3, first 2 shown]
	v_accvgpr_read_b32 v23, a1
	v_accvgpr_read_b32 v19, a3
	;; [unrolled: 1-line block ×4, first 2 shown]
	v_lshlrev_b32_e32 v25, 16, v35
	v_lshlrev_b32_e32 v24, 16, v36
	;; [unrolled: 1-line block ×4, first 2 shown]
	v_pk_add_f32 v[22:23], v[24:25], v[22:23] neg_lo:[0,1] neg_hi:[0,1]
	v_pk_add_f32 v[18:19], v[26:27], v[18:19] neg_lo:[0,1] neg_hi:[0,1]
	v_pk_mul_f32 v[22:23], v[28:29], v[22:23]
	v_pk_mul_f32 v[18:19], v[30:31], v[18:19]
	v_accvgpr_read_b32 v25, a5
	v_perm_b32 v19, v19, v18, s62
	v_perm_b32 v18, v23, v22, s62
	s_waitcnt vmcnt(1)
	v_lshlrev_b32_e32 v23, 16, v44
	s_waitcnt vmcnt(0)
	v_lshlrev_b32_e32 v22, 16, v32
	v_accvgpr_read_b32 v24, a4
	v_accvgpr_read_b32 v21, a7
	;; [unrolled: 1-line block ×3, first 2 shown]
	v_pk_add_f32 v[22:23], v[22:23], v[24:25] neg_lo:[0,1] neg_hi:[0,1]
	v_lshlrev_b32_e32 v25, 16, v42
	v_lshlrev_b32_e32 v24, 16, v43
	v_pk_add_f32 v[20:21], v[24:25], v[20:21] neg_lo:[0,1] neg_hi:[0,1]
	v_pk_mul_f32 v[22:23], v[28:29], v[22:23]
	v_pk_mul_f32 v[20:21], v[30:31], v[20:21]
	v_mov_b32_e32 v24, 0
	v_perm_b32 v21, v21, v20, s62
	v_perm_b32 v20, v23, v22, s62
	ds_write2_b64 v74, v[18:19], v[20:21] offset1:16
	v_mov_b32_e32 v18, 0
	v_mov_b32_e32 v19, 0
	;; [unrolled: 1-line block ×14, first 2 shown]
	s_cbranch_vccnz .LBB464_14
; %bb.13:                               ;   in Loop: Header=BB464_6 Depth=1
	s_and_b32 s25, s25, 0xffff
	s_mov_b32 s27, s23
	buffer_load_dwordx4 v[30:33], v98, s[24:27], 0 offen
	buffer_load_dwordx4 v[22:25], v98, s[24:27], s56 offen
	;; [unrolled: 1-line block ×4, first 2 shown]
	v_mov_b32_e32 v116, v68
	v_mov_b32_e32 v117, v67
.LBB464_14:                             ;   in Loop: Header=BB464_6 Depth=1
	s_waitcnt lgkmcnt(0)
	s_barrier
	ds_read_b64 v[38:39], v102
	ds_read_b64 v[122:123], v97
	;; [unrolled: 1-line block ×5, first 2 shown]
	ds_read_b64 v[136:137], v94 offset:3072
	ds_read2_b64 v[34:37], v93 offset0:16 offset1:128
	s_waitcnt lgkmcnt(5)
	v_mfma_f32_16x16x16_bf16 a[0:3], v[38:39], v[122:123], 0
	ds_read2st64_b64 v[40:43], v94 offset0:2 offset1:4
	s_add_i32 s3, s50, s64
	s_mul_hi_i32 s21, s3, s13
	s_waitcnt lgkmcnt(1)
	v_mfma_f32_16x16x16_bf16 a[4:7], v[38:39], v[34:35], 0
	ds_read_b64 v[38:39], v107
	s_mul_i32 s3, s3, s13
	s_add_u32 s20, s3, s33
	s_waitcnt lgkmcnt(1)
	v_mfma_f32_16x16x16_bf16 a[4:7], v[124:125], v[40:41], a[4:7]
	s_addc_u32 s21, s21, s54
	s_add_i32 s3, s31, s58
	s_lshl_b64 s[20:21], s[20:21], 15
	s_mul_hi_i32 s25, s3, s13
	s_mul_i32 s3, s3, s13
	s_add_u32 s24, s3, s33
	v_mfma_f32_16x16x16_bf16 a[8:11], v[126:127], v[42:43], a[4:7]
	s_addc_u32 s25, s25, s54
	ds_read2st64_b64 v[118:121], v93 offset0:4 offset1:6
	s_lshl_b64 s[24:25], s[24:25], 9
	s_waitcnt lgkmcnt(1)
	v_mfma_f32_16x16x16_bf16 a[4:7], v[38:39], v[122:123], 0
	s_add_u32 s24, s40, s24
	s_addc_u32 s25, s41, s25
	v_mfma_f32_16x16x16_bf16 a[0:3], v[124:125], v[36:37], a[0:3]
	ds_read_b64 v[124:125], v108
	ds_read_b64 v[132:133], v109
	;; [unrolled: 1-line block ×3, first 2 shown]
	v_mfma_f32_16x16x16_bf16 a[12:15], v[38:39], v[34:35], 0
	s_waitcnt lgkmcnt(2)
	v_mfma_f32_16x16x16_bf16 a[4:7], v[124:125], v[36:37], a[4:7]
	global_load_dwordx4 v[34:37], v106, s[24:25]
	v_mfma_f32_16x16x16_bf16 a[12:15], v[124:125], v[40:41], a[12:15]
	global_load_dwordx4 v[38:41], v101, s[24:25]
	ds_read2st64_b64 v[122:125], v95 offset1:8
	s_waitcnt lgkmcnt(0)
	v_mov_b32_e32 v130, v122
	v_mfma_f32_16x16x16_bf16 a[0:3], v[126:127], v[118:119], a[0:3]
	ds_read2st64_b64 v[126:129], v96 offset1:8
	v_mov_b32_e32 v131, v123
	v_mfma_f32_16x16x16_bf16 a[16:19], v[132:133], v[118:119], a[4:7]
	v_lshl_add_u64 v[118:119], v[58:59], 0, s[20:21]
	v_mfma_f32_16x16x16_bf16 a[20:23], v[132:133], v[42:43], a[12:15]
	v_add_co_u32_e32 v42, vcc, s35, v118
	s_waitcnt lgkmcnt(0)
	v_mov_b32_e32 v132, v126
	v_mfma_f32_16x16x16_bf16 a[4:7], v[134:135], v[120:121], a[0:3]
	v_mov_b32_e32 v133, v127
	v_mov_b32_e32 v126, v124
	;; [unrolled: 1-line block ×3, first 2 shown]
	v_mfma_f32_16x16x16_bf16 a[8:11], v[134:135], v[136:137], a[8:11]
	v_addc_co_u32_e32 v43, vcc, 0, v119, vcc
	global_store_dwordx4 v[42:43], v[126:129], off
	v_mfma_f32_16x16x16_bf16 a[12:15], v[138:139], v[120:121], a[16:19]
	s_and_b64 vcc, exec, s[0:1]
	global_store_dwordx4 v[118:119], v[130:133], off
	s_waitcnt vmcnt(3)
	v_mov_b32_e32 v44, v37
	v_mfma_f32_16x16x16_bf16 a[0:3], v[138:139], v[136:137], a[20:23]
	v_mov_b32_e32 v43, v36
	v_mov_b32_e32 v42, v35
	s_cbranch_vccnz .LBB464_16
; %bb.15:                               ;   in Loop: Header=BB464_6 Depth=1
	v_lshrrev_b32_e32 v35, 3, v116
	v_and_b32_e32 v35, 6, v35
	v_xor_b32_e32 v36, v35, v117
	v_lshlrev_b32_e32 v36, 2, v36
	v_and_b32_e32 v37, 8, v116
	v_xor_b32_e32 v116, 0x440, v36
	v_cmp_eq_u32_e32 vcc, 0, v37
	v_perm_b32 v37, v22, v18, s59
	s_nop 0
	v_cndmask_b32_e32 v36, v116, v36, vcc
	v_lshl_or_b32 v35, v35, 10, v36
	v_perm_b32 v36, v30, v26, s59
	s_barrier
	ds_write2st64_b32 v35, v36, v37 offset0:32 offset1:64
	v_xor_b32_e32 v36, 8, v35
	v_perm_b32 v26, v30, v26, s60
	v_perm_b32 v18, v22, v18, s60
	v_add_u32_e32 v22, 0x80, v36
	ds_write2st64_b32 v22, v26, v18 offset0:32 offset1:64
	v_xor_b32_e32 v18, 16, v35
	v_perm_b32 v22, v31, v27, s59
	v_perm_b32 v26, v23, v19, s59
	ds_write2st64_b32 v18, v22, v26 offset0:33 offset1:65
	v_xor_b32_e32 v18, 24, v35
	v_perm_b32 v22, v31, v27, s60
	v_perm_b32 v19, v23, v19, s60
	v_add_u32_e32 v18, 0x80, v18
	ds_write2st64_b32 v18, v22, v19 offset0:33 offset1:65
	v_xor_b32_e32 v18, 32, v35
	v_perm_b32 v19, v32, v28, s59
	v_perm_b32 v22, v24, v20, s59
	;; [unrolled: 9-line block ×3, first 2 shown]
	ds_write2st64_b32 v18, v19, v20 offset0:35 offset1:67
	v_xor_b32_e32 v18, 56, v35
	v_perm_b32 v19, v33, v29, s60
	v_perm_b32 v20, v25, v21, s60
	v_add_u32_e32 v18, 0x80, v18
	ds_write2st64_b32 v18, v19, v20 offset0:35 offset1:67
	ds_write_b64 v115, v[14:15] offset:24576
	v_xor_b32_e32 v14, 8, v115
	ds_write_b64 v14, v[16:17] offset:24576
	ds_write_b64 v115, v[10:11] offset:32768
	;; [unrolled: 1-line block ×4, first 2 shown]
	v_xor_b32_e32 v6, 8, v114
	ds_write_b64 v6, v[8:9] offset:24576
	ds_write_b64 v114, v[2:3] offset:32768
	;; [unrolled: 1-line block ×3, first 2 shown]
.LBB464_16:                             ;   in Loop: Header=BB464_6 Depth=1
	v_mul_f32_e32 v2, s2, v111
	v_exp_f32_e32 v18, v2
	s_waitcnt vmcnt(2)
	v_mul_f32_e32 v2, 0x3fb8aa3b, v38
	v_exp_f32_e32 v20, v2
	v_mul_f32_e32 v2, 0x3fb8aa3b, v39
	v_exp_f32_e32 v21, v2
	;; [unrolled: 2-line block ×4, first 2 shown]
	v_accvgpr_read_b32 v13, a7
	v_accvgpr_read_b32 v11, a5
	;; [unrolled: 1-line block ×4, first 2 shown]
	v_pk_mul_f32 v[20:21], v[18:19], v[20:21] op_sel_hi:[0,1]
	v_accvgpr_read_b32 v8, a10
	v_pk_fma_f32 v[50:51], v[50:51], v[20:21], v[10:11]
	v_pk_mul_f32 v[10:11], v[18:19], v[22:23] op_sel_hi:[0,1]
	v_accvgpr_read_b32 v12, a6
	v_accvgpr_read_b32 v7, a9
	v_fma_f32 v86, v86, v10, v8
	v_mul_f32_e32 v8, 0x3fb8aa3b, v43
	v_pk_fma_f32 v[52:53], v[52:53], v[10:11], v[12:13]
	v_fma_f32 v85, v85, v20, v6
	v_fma_f32 v84, v84, v21, v7
	v_mul_f32_e32 v6, 0x3fb8aa3b, v34
	v_mul_f32_e32 v7, 0x3fb8aa3b, v42
	v_exp_f32_e32 v12, v8
	v_mul_f32_e32 v8, 0x3fb8aa3b, v44
	v_exp_f32_e32 v6, v6
	v_exp_f32_e32 v7, v7
	;; [unrolled: 1-line block ×3, first 2 shown]
	v_accvgpr_read_b32 v9, a11
	v_accvgpr_read_b32 v17, a15
	;; [unrolled: 1-line block ×9, first 2 shown]
	v_fmac_f32_e32 v9, v113, v11
	v_pk_mul_f32 v[6:7], v[18:19], v[6:7] op_sel_hi:[0,1]
	v_pk_mul_f32 v[10:11], v[18:19], v[12:13] op_sel_hi:[0,1]
	s_add_i32 s58, s58, 64
	v_pk_fma_f32 v[46:47], v[46:47], v[6:7], v[14:15]
	v_pk_fma_f32 v[48:49], v[48:49], v[10:11], v[16:17]
	v_fma_f32 v82, v82, v6, v2
	v_fma_f32 v81, v81, v7, v3
	v_fma_f32 v83, v83, v10, v4
	s_cmp_eq_u32 s47, s63
	v_fmac_f32_e32 v5, v112, v11
	s_cbranch_scc1 .LBB464_18
; %bb.17:                               ;   in Loop: Header=BB464_6 Depth=1
	s_mov_b32 s64, s63
	v_mov_b32_e32 v113, v9
	v_mov_b32_e32 v112, v5
	s_branch .LBB464_6
.LBB464_18:
	s_lshl_b32 s40, s47, 6
	s_sub_i32 s41, s12, s40
	s_cmp_gt_i32 s41, 0
	s_cbranch_scc0 .LBB464_83
; %bb.19:
	s_ashr_i32 s35, s48, 31
	s_ashr_i32 s2, s40, 31
	s_cmpk_lg_i32 s15, 0x80
	s_cselect_b64 s[26:27], -1, 0
	s_and_b64 vcc, exec, s[26:27]
	s_cbranch_vccz .LBB464_21
; %bb.20:
	s_mul_i32 s1, s48, s12
	s_mul_hi_i32 s0, s48, s12
	s_add_u32 s1, s1, s40
	s_addc_u32 s0, s0, s2
	s_mul_i32 s3, s1, s49
	s_mul_hi_u32 s20, s1, s14
	s_add_i32 s3, s20, s3
	s_mul_i32 s0, s0, s14
	s_add_i32 s3, s3, s0
	s_mul_i32 s1, s1, s14
	s_ashr_i32 s0, s52, 31
	s_add_u32 s38, s1, s52
	s_addc_u32 s39, s3, s0
	s_cbranch_execz .LBB464_22
	s_branch .LBB464_23
.LBB464_21:
                                        ; implicit-def: $sgpr38_sgpr39
.LBB464_22:
	s_mul_hi_i32 s0, s48, s14
	s_mul_i32 s48, s48, s14
	s_ashr_i32 s1, s52, 31
	s_add_u32 s3, s48, s52
	s_addc_u32 s0, s0, s1
	s_mul_i32 s1, s3, s46
	s_mul_hi_u32 s14, s3, s12
	s_add_i32 s1, s14, s1
	s_mul_i32 s0, s0, s12
	s_add_i32 s1, s1, s0
	s_mul_i32 s3, s3, s12
	s_add_u32 s38, s3, s40
	s_addc_u32 s39, s1, s2
.LBB464_23:
	s_add_i32 s3, s50, s47
	s_ashr_i32 s14, s33, 31
	s_add_u32 s0, s45, s33
	s_addc_u32 s1, s51, s14
	s_mul_i32 s20, s0, s46
	s_mul_hi_u32 s21, s0, s12
	s_add_i32 s20, s21, s20
	s_mul_i32 s1, s1, s12
	s_add_i32 s20, s20, s1
	s_mul_i32 s0, s0, s12
	s_add_u32 s0, s0, s40
	v_lshlrev_b32_e32 v8, 5, v65
	v_lshlrev_b32_e32 v22, 2, v45
	s_addc_u32 s1, s20, s2
	s_mov_b32 s2, 0x7060302
	v_or_b32_e32 v11, v8, v22
	v_xor_b32_e32 v4, v65, v22
	v_perm_b32 v3, v53, v52, s2
	v_perm_b32 v2, v51, v50, s2
	v_perm_b32 v7, v49, v48, s2
	v_perm_b32 v6, v47, v46, s2
	v_lshlrev_b32_e32 v11, 1, v11
	s_lshl_b64 s[24:25], s[0:1], 8
	v_xor_b32_e32 v10, v66, v22
	ds_write2st64_b64 v11, v[2:3], v[6:7] offset0:80 offset1:88
	v_lshlrev_b32_e32 v11, 1, v4
	v_lshlrev_b32_e32 v4, 8, v45
	s_add_u32 s0, s6, s24
	v_or_b32_e32 v12, v11, v4
	v_lshlrev_b32_e32 v10, 1, v10
	s_addc_u32 s1, s7, s25
	ds_write_b64 v12, v[2:3]
	v_or_b32_e32 v2, v10, v4
	s_mul_hi_i32 s6, s3, s13
	s_mul_i32 s3, s3, s13
	ds_write_b64 v2, v[6:7]
	v_perm_b32 v3, v9, v86, s2
	v_perm_b32 v2, v84, v85, s2
	;; [unrolled: 1-line block ×4, first 2 shown]
	v_or_b32_e32 v6, 16, v45
	s_add_u32 s2, s3, s33
	v_lshlrev_b32_e32 v19, 2, v6
	s_addc_u32 s3, s6, s14
	v_or_b32_e32 v7, v8, v19
	s_ashr_i32 s31, s30, 31
	s_lshl_b64 s[2:3], s[2:3], 15
	v_lshlrev_b32_e32 v7, 1, v7
	v_lshlrev_b32_e32 v6, 8, v6
	s_add_u32 s6, s36, s2
	ds_write2st64_b64 v7, v[2:3], v[4:5] offset0:80 offset1:88
	v_or_b32_e32 v7, v11, v6
	s_addc_u32 s7, s37, s3
	s_lshl_b64 s[2:3], s[30:31], 8
	ds_write_b64 v7, v[2:3]
	v_or_b32_e32 v2, v10, v6
	s_add_u32 s2, s6, s2
	ds_write_b64 v2, v[4:5]
	v_lshrrev_b32_e32 v2, 4, v0
	s_addc_u32 s3, s7, s3
	v_lshlrev_b32_e32 v3, 1, v45
	v_lshlrev_b32_e32 v10, 4, v45
	v_mov_b32_e32 v11, 0
	v_or_b32_e32 v4, 1, v3
	v_xor_b32_e32 v3, v2, v3
	v_lshl_add_u64 v[12:13], s[2:3], 0, v[10:11]
	v_lshlrev_b32_e32 v10, 8, v2
	v_xor_b32_e32 v6, v4, v2
	v_lshl_or_b32 v2, v3, 3, v10
	s_waitcnt lgkmcnt(0)
	s_barrier
	ds_read2st64_b64 v[2:5], v2 offset1:8
	v_lshl_or_b32 v6, v6, 3, v10
	ds_read2st64_b64 v[6:9], v6 offset1:8
	v_lshl_add_u64 v[14:15], v[12:13], 0, v[10:11]
	s_movk_i32 s2, 0x1000
	s_waitcnt lgkmcnt(1)
	v_mov_b32_e32 v10, v2
	v_add_co_u32_e32 v2, vcc, s2, v14
	s_cmp_lg_u32 s41, 64
	v_mov_b32_e32 v11, v3
	v_addc_co_u32_e32 v3, vcc, 0, v15, vcc
	s_cselect_b64 s[6:7], -1, 0
	v_lshl_or_b32 v23, v61, 3, v64
	s_waitcnt lgkmcnt(0)
	v_mov_b32_e32 v12, v6
	v_mov_b32_e32 v13, v7
	;; [unrolled: 1-line block ×4, first 2 shown]
	s_mov_b32 s20, 0
	v_or_b32_e32 v20, 32, v23
	v_and_b32_e32 v18, 56, v63
	s_and_b64 vcc, exec, s[6:7]
	global_store_dwordx4 v[14:15], v[10:13], off
	global_store_dwordx4 v[2:3], v[6:9], off
	s_cbranch_vccz .LBB464_29
; %bb.24:
	s_mov_b32 s21, s20
	s_mov_b32 s22, s20
	;; [unrolled: 1-line block ×3, first 2 shown]
	v_mov_b64_e32 v[6:7], s[20:21]
	v_mov_b64_e32 v[8:9], s[22:23]
	;; [unrolled: 1-line block ×3, first 2 shown]
	v_cmp_gt_i32_e32 vcc, s41, v23
	v_mov_b64_e32 v[4:5], v[8:9]
	s_and_saveexec_b64 s[2:3], vcc
	s_cbranch_execz .LBB464_26
; %bb.25:
	v_lshlrev_b32_e32 v2, 8, v23
	v_mov_b32_e32 v3, 0
	v_lshl_add_u64 v[4:5], s[0:1], 0, v[2:3]
	v_lshlrev_b32_e32 v2, 1, v18
	v_lshl_add_u64 v[10:11], v[4:5], 0, v[2:3]
	global_load_dwordx4 v[6:9], v[10:11], off
	global_load_dwordx4 v[2:5], v[10:11], off offset:128
.LBB464_26:
	s_or_b64 exec, exec, s[2:3]
	s_mov_b32 s21, s20
	s_mov_b32 s22, s20
	;; [unrolled: 1-line block ×3, first 2 shown]
	v_mov_b64_e32 v[14:15], s[20:21]
	v_mov_b64_e32 v[16:17], s[22:23]
	;; [unrolled: 1-line block ×3, first 2 shown]
	v_cmp_gt_i32_e32 vcc, s41, v20
	v_lshlrev_b32_e32 v21, 7, v20
	v_mov_b64_e32 v[12:13], v[16:17]
	s_and_saveexec_b64 s[2:3], vcc
	s_cbranch_execz .LBB464_28
; %bb.27:
	v_lshlrev_b32_e32 v10, 1, v21
	v_mov_b32_e32 v11, 0
	v_lshl_add_u64 v[12:13], s[0:1], 0, v[10:11]
	v_lshlrev_b32_e32 v10, 1, v18
	v_lshl_add_u64 v[24:25], v[12:13], 0, v[10:11]
	global_load_dwordx4 v[14:17], v[24:25], off
	global_load_dwordx4 v[10:13], v[24:25], off offset:128
.LBB464_28:
	s_or_b64 exec, exec, s[2:3]
	v_lshrrev_b32_e32 v24, 3, v18
	v_lshlrev_b32_e32 v25, 3, v23
	v_or_b32_e32 v24, v25, v24
	v_lshlrev_b32_e32 v24, 4, v24
	v_and_b32_e32 v25, 0x78, v25
	v_xor_b32_e32 v24, v24, v25
	s_branch .LBB464_31
.LBB464_29:
                                        ; implicit-def: $vgpr24
                                        ; implicit-def: $vgpr21
                                        ; implicit-def: $vgpr6_vgpr7_vgpr8_vgpr9
                                        ; implicit-def: $vgpr2_vgpr3_vgpr4_vgpr5
                                        ; implicit-def: $vgpr14_vgpr15_vgpr16_vgpr17
                                        ; implicit-def: $vgpr10_vgpr11_vgpr12_vgpr13
	s_cbranch_execz .LBB464_31
; %bb.30:
	s_waitcnt vmcnt(0)
	v_lshlrev_b32_e32 v2, 1, v18
	v_lshl_or_b32 v21, v23, 8, v2
	s_and_b32 s1, s1, 0xffff
	s_mov_b32 s3, 0x20000
	s_movk_i32 s2, 0x4000
	v_lshl_or_b32 v24, v20, 8, v2
	s_movk_i32 s13, 0x80
	buffer_load_dwordx4 v[6:9], v21, s[0:3], 0 offen
	buffer_load_dwordx4 v[2:5], v21, s[0:3], s13 offen
	;; [unrolled: 1-line block ×4, first 2 shown]
	v_lshrrev_b32_e32 v21, 3, v18
	v_lshlrev_b32_e32 v24, 3, v23
	v_or_b32_e32 v21, v24, v21
	v_lshlrev_b32_e32 v21, 4, v21
	v_and_b32_e32 v24, 0x78, v24
	v_xor_b32_e32 v24, v21, v24
	v_lshlrev_b32_e32 v21, 7, v20
.LBB464_31:
	s_lshl_b64 s[0:1], s[38:39], 8
	s_add_u32 s4, s4, s0
	s_movk_i32 s0, 0x1000
	v_and_or_b32 v20, v21, s0, v24
	s_waitcnt vmcnt(1)
	ds_write_b64 v24, v[6:7] offset:24576
	v_xor_b32_e32 v6, 8, v24
	ds_write_b64 v6, v[8:9] offset:24576
	s_waitcnt vmcnt(0)
	ds_write_b64 v24, v[2:3] offset:32768
	ds_write_b64 v6, v[4:5] offset:32768
	;; [unrolled: 1-line block ×3, first 2 shown]
	v_xor_b32_e32 v2, 8, v20
	ds_write_b64 v2, v[16:17] offset:24576
	ds_write_b64 v20, v[10:11] offset:32768
	ds_write_b64 v2, v[12:13] offset:32768
	v_or_b32_e32 v2, v1, v45
	v_lshlrev_b32_e32 v3, 11, v61
	v_lshlrev_b32_e32 v2, 3, v2
	v_and_b32_e32 v6, 0x1000, v3
	v_lshrrev_b32_e32 v3, 5, v60
	s_movk_i32 s13, 0xf8
	v_and_or_b32 v3, v2, s13, v3
	v_lshlrev_b32_e32 v7, 4, v3
	v_and_b32_e32 v8, 0x78, v2
	v_or_b32_e32 v10, 32, v7
	v_lshrrev_b32_e32 v3, 1, v60
	v_xor_b32_e32 v10, v10, v8
	v_xor_b32_e32 v2, v7, v8
	v_and_b32_e32 v9, 8, v3
	v_or_b32_e32 v10, v10, v6
	v_or_b32_e32 v2, v2, v6
	v_xor_b32_e32 v26, v10, v9
	v_or_b32_e32 v10, 64, v7
	v_xor_b32_e32 v25, v2, v9
	v_xor_b32_e32 v10, v10, v8
	s_waitcnt lgkmcnt(0)
	s_barrier
	v_or_b32_e32 v12, v10, v6
	ds_read_b64 v[10:11], v25 offset:24576
	v_lshl_or_b32 v20, v62, 7, v22
	v_lshlrev_b32_e32 v24, 1, v20
	v_add_u32_e32 v2, 0xa000, v24
	ds_read2_b64 v[2:5], v2 offset1:16
	v_or_b32_e32 v7, 0x60, v7
	v_xor_b32_e32 v7, v7, v8
	s_waitcnt lgkmcnt(0)
	v_mfma_f32_16x16x16_bf16 a[0:3], v[10:11], v[2:3], 0
	v_or_b32_e32 v2, 64, v20
	v_or_b32_e32 v6, v7, v6
	v_lshlrev_b32_e32 v29, 1, v2
	v_xor_b32_e32 v27, v12, v9
	v_xor_b32_e32 v28, v6, v9
	ds_read_b64 v[12:13], v26 offset:24576
	ds_read_b64 v[14:15], v27 offset:24576
	;; [unrolled: 1-line block ×3, first 2 shown]
	v_mfma_f32_16x16x16_bf16 a[4:7], v[10:11], v[4:5], 0
	ds_read2st64_b64 v[2:5], v29 offset0:82 offset1:84
	ds_read2st64_b64 v[6:9], v24 offset0:82 offset1:84
	s_addc_u32 s5, s5, s1
	s_add_i32 s2, s12, -1
	s_add_i32 s0, s44, s17
	s_mul_i32 s35, s35, s16
	s_add_i32 s35, s0, s35
	s_mul_i32 s0, s33, s19
	s_mul_hi_u32 s1, s33, s18
	s_ashr_i32 s3, s2, 31
	s_mul_i32 s12, s2, s29
	s_mul_hi_u32 s13, s2, s28
	s_add_i32 s0, s1, s0
	s_mul_i32 s1, s14, s18
	s_add_i32 s12, s13, s12
	s_mul_i32 s3, s3, s28
	s_waitcnt lgkmcnt(1)
	v_mfma_f32_16x16x16_bf16 a[4:7], v[12:13], v[2:3], a[4:7]
	s_add_i32 s1, s0, s1
	s_add_i32 s3, s12, s3
	s_lshl_b64 s[12:13], s[34:35], 2
	s_waitcnt lgkmcnt(0)
	v_mfma_f32_16x16x16_bf16 a[0:3], v[12:13], v[6:7], a[0:3]
	s_mul_i32 s0, s33, s18
	s_add_u32 s10, s10, s12
	s_addc_u32 s11, s11, s13
	s_lshl_b64 s[0:1], s[0:1], 2
	s_mul_i32 s2, s2, s28
	s_add_u32 s10, s10, s0
	ds_read_b64 v[2:3], v24 offset:44032
	v_mfma_f32_16x16x16_bf16 a[4:7], v[14:15], v[4:5], a[4:7]
	ds_read_b64 v[4:5], v29 offset:44032
	s_addc_u32 s11, s11, s1
	s_lshl_b64 s[0:1], s[2:3], 2
	v_mfma_f32_16x16x16_bf16 a[0:3], v[14:15], v[8:9], a[0:3]
	s_add_u32 s0, s10, s0
	s_addc_u32 s1, s11, s1
	s_load_dword s12, s[0:1], 0x0
	s_waitcnt lgkmcnt(0)
	v_mfma_f32_16x16x16_bf16 a[0:3], v[16:17], v[2:3], a[0:3]
	s_and_b64 vcc, exec, s[26:27]
	v_mfma_f32_16x16x16_bf16 a[4:7], v[16:17], v[4:5], a[4:7]
	s_cbranch_vccz .LBB464_42
; %bb.32:
	v_lshlrev_b32_e32 v20, 1, v23
	s_and_b64 vcc, exec, s[6:7]
	s_cbranch_vccz .LBB464_43
; %bb.33:
	v_cmp_gt_i32_e32 vcc, s41, v20
	v_mov_b32_e32 v6, 0
	v_mov_b32_e32 v2, 0
	;; [unrolled: 1-line block ×5, first 2 shown]
	s_and_saveexec_b64 s[0:1], vcc
	s_cbranch_execz .LBB464_35
; %bb.34:
	v_mad_i64_i32 v[2:3], s[2:3], s15, v20, 0
	v_lshl_add_u64 v[2:3], v[2:3], 1, s[4:5]
	v_lshlrev_b32_e32 v4, 1, v18
	v_mov_b32_e32 v5, 0
	v_lshl_add_u64 v[2:3], v[2:3], 0, v[4:5]
	global_load_dwordx4 v[2:5], v[2:3], off
.LBB464_35:
	s_or_b64 exec, exec, s[0:1]
	v_or_b32_e32 v21, 1, v20
	v_cmp_gt_i32_e64 s[0:1], s41, v21
	v_mov_b32_e32 v7, 0
	v_mov_b32_e32 v8, 0
	;; [unrolled: 1-line block ×3, first 2 shown]
	s_and_saveexec_b64 s[2:3], s[0:1]
	s_cbranch_execz .LBB464_37
; %bb.36:
	v_mad_i64_i32 v[6:7], s[16:17], s15, v21, 0
	v_lshl_add_u64 v[6:7], v[6:7], 1, s[4:5]
	v_lshlrev_b32_e32 v8, 1, v18
	v_mov_b32_e32 v9, 0
	v_lshl_add_u64 v[6:7], v[6:7], 0, v[8:9]
	global_load_dwordx4 v[6:9], v[6:7], off
.LBB464_37:
	s_or_b64 exec, exec, s[2:3]
	v_mov_b32_e32 v17, 0
	v_mov_b32_e32 v10, 0
	;; [unrolled: 1-line block ×5, first 2 shown]
	s_and_saveexec_b64 s[2:3], vcc
	s_cbranch_execz .LBB464_39
; %bb.38:
	v_mad_i64_i32 v[10:11], s[16:17], s15, v20, 0
	v_lshl_add_u64 v[10:11], v[10:11], 1, s[4:5]
	v_lshlrev_b32_e32 v12, 1, v18
	v_mov_b32_e32 v13, 0
	v_lshl_add_u64 v[10:11], v[10:11], 0, v[12:13]
	global_load_dwordx4 v[10:13], v[10:11], off offset:128
.LBB464_39:
	s_or_b64 exec, exec, s[2:3]
	v_mov_b32_e32 v16, 0
	v_mov_b32_e32 v15, 0
	;; [unrolled: 1-line block ×3, first 2 shown]
	s_and_saveexec_b64 s[2:3], s[0:1]
	s_cbranch_execz .LBB464_41
; %bb.40:
	v_mad_i64_i32 v[14:15], s[0:1], s15, v21, 0
	v_lshl_add_u64 v[14:15], v[14:15], 1, s[4:5]
	v_lshlrev_b32_e32 v16, 1, v18
	v_mov_b32_e32 v17, 0
	v_lshl_add_u64 v[14:15], v[14:15], 0, v[16:17]
	global_load_dwordx4 v[14:17], v[14:15], off offset:128
.LBB464_41:
	s_or_b64 exec, exec, s[2:3]
	s_branch .LBB464_45
.LBB464_42:
                                        ; implicit-def: $vgpr5
                                        ; implicit-def: $vgpr9
                                        ; implicit-def: $vgpr13
                                        ; implicit-def: $vgpr17
	v_lshrrev_b32_e32 v30, 2, v60
	s_branch .LBB464_46
.LBB464_43:
                                        ; implicit-def: $vgpr5
                                        ; implicit-def: $vgpr9
                                        ; implicit-def: $vgpr13
                                        ; implicit-def: $vgpr17
	s_cbranch_execz .LBB464_45
; %bb.44:
	s_waitcnt vmcnt(0)
	v_mad_u64_u32 v[2:3], s[0:1], v20, s15, v[18:19]
	v_lshlrev_b32_e32 v20, 1, v2
	s_lshl_b32 s2, s15, 7
	s_and_b32 s1, s5, 0xffff
	s_mov_b32 s3, 0x20000
	s_mov_b32 s0, s4
	v_add_lshl_u32 v21, v2, s15, 1
	s_movk_i32 s13, 0x80
	buffer_load_dwordx4 v[2:5], v20, s[0:3], 0 offen
	buffer_load_dwordx4 v[10:13], v20, s[0:3], s13 offen
	;; [unrolled: 1-line block ×4, first 2 shown]
.LBB464_45:
	v_lshrrev_b32_e32 v30, 2, v60
	s_cbranch_execnz .LBB464_58
.LBB464_46:
	s_and_b64 vcc, exec, s[6:7]
	s_cbranch_vccz .LBB464_56
; %bb.47:
	s_waitcnt vmcnt(0)
	v_lshlrev_b32_e32 v7, 1, v23
	v_cmp_gt_i32_e32 vcc, s41, v7
	v_mov_b32_e32 v6, 0
	v_lshlrev_b32_e32 v14, 9, v23
	v_mov_b32_e32 v2, 0
	v_mov_b32_e32 v3, 0
	;; [unrolled: 1-line block ×4, first 2 shown]
	s_and_saveexec_b64 s[0:1], vcc
	s_cbranch_execz .LBB464_49
; %bb.48:
	v_mov_b32_e32 v15, 0
	v_lshl_add_u64 v[2:3], s[4:5], 0, v[14:15]
	v_lshlrev_b32_e32 v4, 1, v18
	v_mov_b32_e32 v5, v15
	v_lshl_add_u64 v[2:3], v[2:3], 0, v[4:5]
	global_load_dwordx4 v[2:5], v[2:3], off
.LBB464_49:
	s_or_b64 exec, exec, s[0:1]
	v_or_b32_e32 v7, 1, v7
	v_cmp_gt_i32_e64 s[0:1], s41, v7
	v_lshlrev_b32_e32 v20, 8, v7
	v_mov_b32_e32 v7, 0
	v_mov_b32_e32 v8, 0
	;; [unrolled: 1-line block ×3, first 2 shown]
	s_and_saveexec_b64 s[2:3], s[0:1]
	s_cbranch_execz .LBB464_51
; %bb.50:
	v_mov_b32_e32 v21, 0
	v_lshl_add_u64 v[6:7], s[4:5], 0, v[20:21]
	v_lshlrev_b32_e32 v8, 1, v18
	v_mov_b32_e32 v9, v21
	v_lshl_add_u64 v[6:7], v[6:7], 0, v[8:9]
	global_load_dwordx4 v[6:9], v[6:7], off
.LBB464_51:
	s_or_b64 exec, exec, s[2:3]
	v_mov_b32_e32 v17, 0
	v_mov_b32_e32 v10, 0
	;; [unrolled: 1-line block ×5, first 2 shown]
	s_and_saveexec_b64 s[2:3], vcc
	s_cbranch_execz .LBB464_53
; %bb.52:
	v_mov_b32_e32 v15, 0
	v_lshl_add_u64 v[10:11], s[4:5], 0, v[14:15]
	v_lshlrev_b32_e32 v14, 1, v18
	v_lshl_add_u64 v[10:11], v[10:11], 0, v[14:15]
	global_load_dwordx4 v[10:13], v[10:11], off offset:128
.LBB464_53:
	s_or_b64 exec, exec, s[2:3]
	v_mov_b32_e32 v16, 0
	v_mov_b32_e32 v15, 0
	;; [unrolled: 1-line block ×3, first 2 shown]
	s_and_saveexec_b64 s[2:3], s[0:1]
	s_cbranch_execz .LBB464_55
; %bb.54:
	v_mov_b32_e32 v21, 0
	v_lshl_add_u64 v[14:15], s[4:5], 0, v[20:21]
	v_lshlrev_b32_e32 v20, 1, v18
	v_lshl_add_u64 v[14:15], v[14:15], 0, v[20:21]
	global_load_dwordx4 v[14:17], v[14:15], off offset:128
.LBB464_55:
	s_or_b64 exec, exec, s[2:3]
	s_branch .LBB464_58
.LBB464_56:
                                        ; implicit-def: $vgpr5
                                        ; implicit-def: $vgpr9
                                        ; implicit-def: $vgpr13
                                        ; implicit-def: $vgpr17
	s_cbranch_execz .LBB464_58
; %bb.57:
	s_waitcnt vmcnt(0)
	v_lshlrev_b32_e32 v2, 1, v18
	v_lshl_or_b32 v18, v23, 9, v2
	s_and_b32 s5, s5, 0xffff
	s_mov_b32 s7, 0x20000
	s_movk_i32 s6, 0x4000
	s_movk_i32 s0, 0x80
	buffer_load_dwordx4 v[2:5], v18, s[4:7], 0 offen
	buffer_load_dwordx4 v[6:9], v18, s[4:7], 0 offen offset:256
	buffer_load_dwordx4 v[10:13], v18, s[4:7], s0 offen
	buffer_load_dwordx4 v[14:17], v18, s[4:7], s0 offen offset:256
.LBB464_58:
	ds_read_b64 v[20:21], v25 offset:32768
	v_add_u32_e32 v18, 0xb000, v24
	ds_read2_b64 v[32:35], v18 offset1:16
	ds_read_b64 v[40:41], v26 offset:32768
	ds_read_b64 v[26:27], v27 offset:32768
	;; [unrolled: 1-line block ×3, first 2 shown]
	v_and_b32_e32 v18, 6, v0
	v_xor_b32_e32 v23, v23, v18
	v_lshlrev_b32_e32 v23, 2, v23
	v_and_b32_e32 v0, 1, v0
	v_xor_b32_e32 v28, 0x440, v23
	v_cmp_eq_u32_e32 vcc, 0, v0
	s_waitcnt lgkmcnt(3)
	v_mfma_f32_16x16x16_bf16 a[0:3], v[20:21], v[32:33], a[0:3]
	s_mov_b32 s0, 0x1000504
	v_cndmask_b32_e32 v0, v28, v23, vcc
	v_lshl_or_b32 v0, v18, 10, v0
	v_mfma_f32_16x16x16_bf16 a[4:7], v[20:21], v[34:35], a[4:7]
	ds_read2st64_b64 v[32:35], v24 offset0:90 offset1:92
	ds_read2st64_b64 v[36:39], v29 offset0:90 offset1:92
	ds_read_b64 v[20:21], v24 offset:48128
	ds_read_b64 v[24:25], v29 offset:48128
	s_waitcnt vmcnt(0)
	v_perm_b32 v18, v2, v6, s0
	s_waitcnt lgkmcnt(3)
	v_mfma_f32_16x16x16_bf16 a[0:3], v[40:41], v[32:33], a[0:3]
	s_mov_b32 s1, 0x3020706
	v_perm_b32 v2, v2, v6, s1
	v_perm_b32 v6, v10, v14, s1
	s_waitcnt lgkmcnt(2)
	v_mfma_f32_16x16x16_bf16 a[4:7], v[40:41], v[36:37], a[4:7]
	v_mfma_f32_16x16x16_bf16 a[0:3], v[26:27], v[34:35], a[0:3]
	;; [unrolled: 1-line block ×3, first 2 shown]
	s_waitcnt lgkmcnt(1)
	v_mfma_f32_16x16x16_bf16 a[4:7], v[42:43], v[20:21], a[0:3]
	v_perm_b32 v20, v10, v14, s0
	ds_write2st64_b32 v0, v18, v20 offset0:32 offset1:64
	v_xor_b32_e32 v18, 8, v0
	v_add_u32_e32 v10, 0x80, v18
	ds_write2st64_b32 v10, v2, v6 offset0:32 offset1:64
	v_xor_b32_e32 v2, 16, v0
	v_perm_b32 v6, v3, v7, s0
	v_perm_b32 v10, v11, v15, s0
	ds_write2st64_b32 v2, v6, v10 offset0:33 offset1:65
	v_xor_b32_e32 v2, 24, v0
	v_perm_b32 v3, v3, v7, s1
	v_perm_b32 v6, v11, v15, s1
	v_add_u32_e32 v2, 0x80, v2
	ds_write2st64_b32 v2, v3, v6 offset0:33 offset1:65
	v_xor_b32_e32 v2, 32, v0
	v_perm_b32 v3, v4, v8, s0
	v_perm_b32 v6, v12, v16, s0
	ds_write2st64_b32 v2, v3, v6 offset0:34 offset1:66
	v_xor_b32_e32 v2, 40, v0
	s_waitcnt lgkmcnt(5)
	v_mfma_f32_16x16x16_bf16 a[0:3], v[42:43], v[24:25], a[8:11]
	v_perm_b32 v3, v4, v8, s1
	v_perm_b32 v4, v12, v16, s1
	v_add_u32_e32 v2, 0x80, v2
	ds_write2st64_b32 v2, v3, v4 offset0:34 offset1:66
	v_xor_b32_e32 v2, 48, v0
	v_perm_b32 v3, v5, v9, s0
	v_perm_b32 v4, v13, v17, s0
	ds_write2st64_b32 v2, v3, v4 offset0:35 offset1:67
	v_xor_b32_e32 v0, 56, v0
	v_perm_b32 v3, v13, v17, s1
	v_and_or_b32 v17, v30, 12, v1
	v_perm_b32 v2, v5, v9, s1
	v_add_u32_e32 v0, 0x80, v0
	v_cmp_gt_i32_e32 vcc, s41, v17
	v_mov_b32_e32 v14, 0
	v_mov_b32_e32 v16, 0
	ds_write2st64_b32 v0, v2, v3 offset0:35 offset1:67
	s_and_saveexec_b64 s[0:1], vcc
	s_cbranch_execz .LBB464_60
; %bb.59:
	v_add_u32_e32 v0, s40, v17
	v_ashrrev_i32_e32 v1, 31, v0
	v_mul_lo_u32 v2, v1, s28
	v_mul_lo_u32 v3, v0, s29
	v_mad_u64_u32 v[0:1], s[2:3], v0, s28, 0
	v_add3_u32 v1, v1, v3, v2
	v_lshl_add_u64 v[0:1], v[0:1], 2, s[10:11]
	global_load_dword v0, v[0:1], off
	s_waitcnt vmcnt(0)
	v_sub_f32_e32 v0, s12, v0
	v_mul_f32_e32 v0, 0x3fb8aa3b, v0
	v_exp_f32_e32 v16, v0
.LBB464_60:
	s_or_b64 exec, exec, s[0:1]
	v_or_b32_e32 v8, 1, v17
	v_cmp_gt_i32_e64 s[0:1], s41, v8
	s_and_saveexec_b64 s[2:3], s[0:1]
	s_cbranch_execz .LBB464_62
; %bb.61:
	v_add_u32_e32 v0, s40, v8
	v_ashrrev_i32_e32 v1, 31, v0
	v_mul_lo_u32 v2, v1, s28
	v_mul_lo_u32 v3, v0, s29
	v_mad_u64_u32 v[0:1], s[4:5], v0, s28, 0
	v_add3_u32 v1, v1, v3, v2
	v_lshl_add_u64 v[0:1], v[0:1], 2, s[10:11]
	global_load_dword v0, v[0:1], off
	s_waitcnt vmcnt(0)
	v_sub_f32_e32 v0, s12, v0
	v_mul_f32_e32 v0, 0x3fb8aa3b, v0
	v_exp_f32_e32 v14, v0
.LBB464_62:
	s_or_b64 exec, exec, s[2:3]
	v_or_b32_e32 v10, 2, v17
	v_cmp_gt_i32_e64 s[2:3], s41, v10
	v_mov_b32_e32 v15, 0
	v_mov_b32_e32 v18, 0
	s_and_saveexec_b64 s[4:5], s[2:3]
	s_cbranch_execz .LBB464_64
; %bb.63:
	v_add_u32_e32 v0, s40, v10
	v_ashrrev_i32_e32 v1, 31, v0
	v_mul_lo_u32 v2, v1, s28
	v_mul_lo_u32 v3, v0, s29
	v_mad_u64_u32 v[0:1], s[6:7], v0, s28, 0
	v_add3_u32 v1, v1, v3, v2
	v_lshl_add_u64 v[0:1], v[0:1], 2, s[10:11]
	global_load_dword v0, v[0:1], off
	s_waitcnt vmcnt(0)
	v_sub_f32_e32 v0, s12, v0
	v_mul_f32_e32 v0, 0x3fb8aa3b, v0
	v_exp_f32_e32 v18, v0
.LBB464_64:
	s_or_b64 exec, exec, s[4:5]
	v_or_b32_e32 v12, 3, v17
	v_cmp_gt_i32_e64 s[4:5], s41, v12
	s_and_saveexec_b64 s[6:7], s[4:5]
	s_cbranch_execz .LBB464_66
; %bb.65:
	v_add_u32_e32 v0, s40, v12
	v_ashrrev_i32_e32 v1, 31, v0
	v_mul_lo_u32 v2, v1, s28
	v_mul_lo_u32 v3, v0, s29
	v_mad_u64_u32 v[0:1], s[14:15], v0, s28, 0
	v_add3_u32 v1, v1, v3, v2
	v_lshl_add_u64 v[0:1], v[0:1], 2, s[10:11]
	global_load_dword v0, v[0:1], off
	s_waitcnt vmcnt(0)
	v_sub_f32_e32 v0, s12, v0
	v_mul_f32_e32 v0, 0x3fb8aa3b, v0
	v_exp_f32_e32 v15, v0
.LBB464_66:
	s_or_b64 exec, exec, s[6:7]
	v_or_b32_e32 v4, s30, v45
	s_add_u32 s6, s8, s24
	v_accvgpr_read_b32 v0, a4
	s_addc_u32 s7, s9, s25
	v_ashrrev_i32_e32 v5, 31, v4
	v_accvgpr_read_b32 v1, a5
	v_accvgpr_read_b32 v2, a6
	;; [unrolled: 1-line block ×3, first 2 shown]
	v_lshl_add_u64 v[4:5], v[4:5], 1, s[6:7]
	v_mov_b32_e32 v9, 0
	v_lshlrev_b32_e32 v6, 8, v17
	v_mov_b32_e32 v7, 0
	s_and_saveexec_b64 s[6:7], vcc
	s_cbranch_execz .LBB464_68
; %bb.67:
	v_mov_b32_e32 v7, 0
	v_lshl_add_u64 v[20:21], v[4:5], 0, v[6:7]
	global_load_ushort v7, v[20:21], off
	s_waitcnt vmcnt(0)
	v_lshlrev_b32_e32 v7, 16, v7
	v_sub_f32_e32 v0, v7, v0
	v_mul_f32_e32 v0, v16, v0
	v_lshrrev_b32_e32 v7, 16, v0
.LBB464_68:
	s_or_b64 exec, exec, s[6:7]
	v_lshlrev_b32_e32 v8, 8, v8
	s_and_saveexec_b64 s[6:7], s[0:1]
	s_cbranch_execz .LBB464_70
; %bb.69:
	v_mov_b32_e32 v9, 0
	v_lshl_add_u64 v[20:21], v[4:5], 0, v[8:9]
	global_load_ushort v0, v[20:21], off
	s_waitcnt vmcnt(0)
	v_lshlrev_b32_e32 v0, 16, v0
	v_sub_f32_e32 v0, v0, v1
	v_mul_f32_e32 v0, v14, v0
	v_lshrrev_b32_e32 v9, 16, v0
.LBB464_70:
	s_or_b64 exec, exec, s[6:7]
	v_mov_b32_e32 v13, 0
	v_lshlrev_b32_e32 v10, 8, v10
	v_mov_b32_e32 v11, 0
	s_and_saveexec_b64 s[6:7], s[2:3]
	s_cbranch_execz .LBB464_72
; %bb.71:
	v_mov_b32_e32 v11, 0
	v_lshl_add_u64 v[0:1], v[4:5], 0, v[10:11]
	global_load_ushort v0, v[0:1], off
	s_waitcnt vmcnt(0)
	v_lshlrev_b32_e32 v0, 16, v0
	v_sub_f32_e32 v0, v0, v2
	v_mul_f32_e32 v0, v18, v0
	v_lshrrev_b32_e32 v11, 16, v0
.LBB464_72:
	s_or_b64 exec, exec, s[6:7]
	v_lshlrev_b32_e32 v12, 8, v12
	s_and_saveexec_b64 s[6:7], s[4:5]
	s_cbranch_execz .LBB464_74
; %bb.73:
	v_mov_b32_e32 v13, 0
	v_lshl_add_u64 v[0:1], v[4:5], 0, v[12:13]
	global_load_ushort v0, v[0:1], off
	s_waitcnt vmcnt(0)
	v_lshlrev_b32_e32 v0, 16, v0
	v_sub_f32_e32 v0, v0, v3
	v_mul_f32_e32 v0, v15, v0
	v_lshrrev_b32_e32 v13, 16, v0
.LBB464_74:
	s_or_b64 exec, exec, s[6:7]
	v_lshlrev_b32_e32 v17, 5, v17
	s_mov_b32 s6, 0x5040100
	v_perm_b32 v20, v9, v7, s6
	v_or_b32_e32 v7, v17, v22
	v_accvgpr_read_b32 v0, a0
	v_perm_b32 v21, v13, v11, s6
	v_lshlrev_b32_e32 v7, 1, v7
	v_accvgpr_read_b32 v1, a1
	v_accvgpr_read_b32 v2, a2
	;; [unrolled: 1-line block ×3, first 2 shown]
	ds_write_b64 v7, v[20:21] offset:45056
	v_mov_b32_e32 v9, 0
	v_mov_b32_e32 v7, 0
	s_and_saveexec_b64 s[6:7], vcc
	s_cbranch_execz .LBB464_76
; %bb.75:
	v_mov_b32_e32 v7, 0
	v_lshl_add_u64 v[6:7], v[4:5], 0, v[6:7]
	global_load_ushort v6, v[6:7], off offset:32
	s_waitcnt vmcnt(0)
	v_lshlrev_b32_e32 v6, 16, v6
	v_sub_f32_e32 v0, v6, v0
	v_mul_f32_e32 v0, v16, v0
	v_lshrrev_b32_e32 v7, 16, v0
.LBB464_76:
	s_or_b64 exec, exec, s[6:7]
	s_and_saveexec_b64 s[6:7], s[0:1]
	s_cbranch_execz .LBB464_78
; %bb.77:
	v_mov_b32_e32 v9, 0
	v_lshl_add_u64 v[8:9], v[4:5], 0, v[8:9]
	global_load_ushort v0, v[8:9], off offset:32
	s_waitcnt vmcnt(0)
	v_lshlrev_b32_e32 v0, 16, v0
	v_sub_f32_e32 v0, v0, v1
	v_mul_f32_e32 v0, v14, v0
	v_lshrrev_b32_e32 v9, 16, v0
.LBB464_78:
	s_or_b64 exec, exec, s[6:7]
	v_mov_b32_e32 v0, 0
	v_mov_b32_e32 v1, 0
	s_and_saveexec_b64 s[0:1], s[2:3]
	s_cbranch_execz .LBB464_80
; %bb.79:
	v_mov_b32_e32 v11, 0
	v_lshl_add_u64 v[10:11], v[4:5], 0, v[10:11]
	global_load_ushort v1, v[10:11], off offset:32
	s_waitcnt vmcnt(0)
	v_lshlrev_b32_e32 v1, 16, v1
	v_sub_f32_e32 v1, v1, v2
	v_mul_f32_e32 v1, v18, v1
	v_lshrrev_b32_e32 v1, 16, v1
.LBB464_80:
	s_or_b64 exec, exec, s[0:1]
	s_and_saveexec_b64 s[0:1], s[4:5]
	s_cbranch_execz .LBB464_82
; %bb.81:
	v_mov_b32_e32 v13, 0
	v_lshl_add_u64 v[4:5], v[4:5], 0, v[12:13]
	global_load_ushort v0, v[4:5], off offset:32
	s_waitcnt vmcnt(0)
	v_lshlrev_b32_e32 v0, 16, v0
	v_sub_f32_e32 v0, v0, v3
	v_mul_f32_e32 v0, v15, v0
	v_lshrrev_b32_e32 v0, 16, v0
.LBB464_82:
	s_or_b64 exec, exec, s[0:1]
	s_mov_b32 s0, 0x5040100
	v_or_b32_e32 v2, v17, v19
	v_perm_b32 v1, v0, v1, s0
	v_perm_b32 v0, v9, v7, s0
	v_lshlrev_b32_e32 v2, 1, v2
	ds_write_b64 v2, v[0:1] offset:45056
	s_waitcnt lgkmcnt(0)
	s_barrier
.LBB464_83:
	s_endpgm
	.section	.rodata,"a",@progbits
	.p2align	6, 0x0
	.amdhsa_kernel _ZN12_GLOBAL__N_139chunk_gated_delta_rule_fwd_h_hip_kernelILi32ELb0ELb0ELb0ELb0ELb0ELb1ELb1ELb0EEEvPK12hip_bfloat16S3_S3_PKfS5_PKvPS1_S8_PvPKiSB_iiiiilll
		.amdhsa_group_segment_fixed_size 49152
		.amdhsa_private_segment_fixed_size 0
		.amdhsa_kernarg_size 136
		.amdhsa_user_sgpr_count 2
		.amdhsa_user_sgpr_dispatch_ptr 0
		.amdhsa_user_sgpr_queue_ptr 0
		.amdhsa_user_sgpr_kernarg_segment_ptr 1
		.amdhsa_user_sgpr_dispatch_id 0
		.amdhsa_user_sgpr_kernarg_preload_length 0
		.amdhsa_user_sgpr_kernarg_preload_offset 0
		.amdhsa_user_sgpr_private_segment_size 0
		.amdhsa_uses_dynamic_stack 0
		.amdhsa_enable_private_segment 0
		.amdhsa_system_sgpr_workgroup_id_x 1
		.amdhsa_system_sgpr_workgroup_id_y 1
		.amdhsa_system_sgpr_workgroup_id_z 0
		.amdhsa_system_sgpr_workgroup_info 0
		.amdhsa_system_vgpr_workitem_id 0
		.amdhsa_next_free_vgpr 164
		.amdhsa_next_free_sgpr 65
		.amdhsa_accum_offset 140
		.amdhsa_reserve_vcc 1
		.amdhsa_float_round_mode_32 0
		.amdhsa_float_round_mode_16_64 0
		.amdhsa_float_denorm_mode_32 3
		.amdhsa_float_denorm_mode_16_64 3
		.amdhsa_dx10_clamp 1
		.amdhsa_ieee_mode 1
		.amdhsa_fp16_overflow 0
		.amdhsa_tg_split 0
		.amdhsa_exception_fp_ieee_invalid_op 0
		.amdhsa_exception_fp_denorm_src 0
		.amdhsa_exception_fp_ieee_div_zero 0
		.amdhsa_exception_fp_ieee_overflow 0
		.amdhsa_exception_fp_ieee_underflow 0
		.amdhsa_exception_fp_ieee_inexact 0
		.amdhsa_exception_int_div_zero 0
	.end_amdhsa_kernel
	.section	.text._ZN12_GLOBAL__N_139chunk_gated_delta_rule_fwd_h_hip_kernelILi32ELb0ELb0ELb0ELb0ELb0ELb1ELb1ELb0EEEvPK12hip_bfloat16S3_S3_PKfS5_PKvPS1_S8_PvPKiSB_iiiiilll,"axG",@progbits,_ZN12_GLOBAL__N_139chunk_gated_delta_rule_fwd_h_hip_kernelILi32ELb0ELb0ELb0ELb0ELb0ELb1ELb1ELb0EEEvPK12hip_bfloat16S3_S3_PKfS5_PKvPS1_S8_PvPKiSB_iiiiilll,comdat
.Lfunc_end464:
	.size	_ZN12_GLOBAL__N_139chunk_gated_delta_rule_fwd_h_hip_kernelILi32ELb0ELb0ELb0ELb0ELb0ELb1ELb1ELb0EEEvPK12hip_bfloat16S3_S3_PKfS5_PKvPS1_S8_PvPKiSB_iiiiilll, .Lfunc_end464-_ZN12_GLOBAL__N_139chunk_gated_delta_rule_fwd_h_hip_kernelILi32ELb0ELb0ELb0ELb0ELb0ELb1ELb1ELb0EEEvPK12hip_bfloat16S3_S3_PKfS5_PKvPS1_S8_PvPKiSB_iiiiilll
                                        ; -- End function
	.section	.AMDGPU.csdata,"",@progbits
; Kernel info:
; codeLenInByte = 8732
; NumSgprs: 71
; NumVgprs: 140
; NumAgprs: 24
; TotalNumVgprs: 164
; ScratchSize: 0
; MemoryBound: 0
; FloatMode: 240
; IeeeMode: 1
; LDSByteSize: 49152 bytes/workgroup (compile time only)
; SGPRBlocks: 8
; VGPRBlocks: 20
; NumSGPRsForWavesPerEU: 71
; NumVGPRsForWavesPerEU: 164
; AccumOffset: 140
; Occupancy: 1
; WaveLimiterHint : 1
; COMPUTE_PGM_RSRC2:SCRATCH_EN: 0
; COMPUTE_PGM_RSRC2:USER_SGPR: 2
; COMPUTE_PGM_RSRC2:TRAP_HANDLER: 0
; COMPUTE_PGM_RSRC2:TGID_X_EN: 1
; COMPUTE_PGM_RSRC2:TGID_Y_EN: 1
; COMPUTE_PGM_RSRC2:TGID_Z_EN: 0
; COMPUTE_PGM_RSRC2:TIDIG_COMP_CNT: 0
; COMPUTE_PGM_RSRC3_GFX90A:ACCUM_OFFSET: 34
; COMPUTE_PGM_RSRC3_GFX90A:TG_SPLIT: 0
	.section	.text._ZN12_GLOBAL__N_139chunk_gated_delta_rule_fwd_h_hip_kernelILi32ELb1ELb1ELb1ELb1ELb0ELb1ELb0ELb0EEEvPK12hip_bfloat16S3_S3_PKfS5_PKvPS1_S8_PvPKiSB_iiiiilll,"axG",@progbits,_ZN12_GLOBAL__N_139chunk_gated_delta_rule_fwd_h_hip_kernelILi32ELb1ELb1ELb1ELb1ELb0ELb1ELb0ELb0EEEvPK12hip_bfloat16S3_S3_PKfS5_PKvPS1_S8_PvPKiSB_iiiiilll,comdat
	.globl	_ZN12_GLOBAL__N_139chunk_gated_delta_rule_fwd_h_hip_kernelILi32ELb1ELb1ELb1ELb1ELb0ELb1ELb0ELb0EEEvPK12hip_bfloat16S3_S3_PKfS5_PKvPS1_S8_PvPKiSB_iiiiilll ; -- Begin function _ZN12_GLOBAL__N_139chunk_gated_delta_rule_fwd_h_hip_kernelILi32ELb1ELb1ELb1ELb1ELb0ELb1ELb0ELb0EEEvPK12hip_bfloat16S3_S3_PKfS5_PKvPS1_S8_PvPKiSB_iiiiilll
	.p2align	8
	.type	_ZN12_GLOBAL__N_139chunk_gated_delta_rule_fwd_h_hip_kernelILi32ELb1ELb1ELb1ELb1ELb0ELb1ELb0ELb0EEEvPK12hip_bfloat16S3_S3_PKfS5_PKvPS1_S8_PvPKiSB_iiiiilll,@function
_ZN12_GLOBAL__N_139chunk_gated_delta_rule_fwd_h_hip_kernelILi32ELb1ELb1ELb1ELb1ELb0ELb1ELb0ELb0EEEvPK12hip_bfloat16S3_S3_PKfS5_PKvPS1_S8_PvPKiSB_iiiiilll: ; @_ZN12_GLOBAL__N_139chunk_gated_delta_rule_fwd_h_hip_kernelILi32ELb1ELb1ELb1ELb1ELb0ELb1ELb0ELb0EEEvPK12hip_bfloat16S3_S3_PKfS5_PKvPS1_S8_PvPKiSB_iiiiilll
; %bb.0:
	s_load_dwordx4 s[28:31], s[0:1], 0x5c
	s_load_dwordx4 s[4:7], s[0:1], 0x70
	s_abs_i32 s11, s3
	s_ashr_i32 s10, s3, 31
	s_load_dwordx4 s[24:27], s[0:1], 0x40
	s_load_dwordx2 s[8:9], s[0:1], 0x50
	s_waitcnt lgkmcnt(0)
	s_abs_i32 s14, s29
	v_cvt_f32_u32_e32 v1, s14
	s_sub_i32 s12, 0, s14
	s_ashr_i32 s15, s29, 31
	s_xor_b32 s10, s10, s15
	v_rcp_iflag_f32_e32 v1, v1
	v_and_b32_e32 v79, 15, v0
	v_bfe_u32 v78, v0, 4, 2
	v_mov_b32_e32 v63, 0
	v_mul_f32_e32 v1, 0x4f7ffffe, v1
	v_cvt_u32_f32_e32 v1, v1
	v_lshlrev_b32_e32 v80, 3, v0
	v_readfirstlane_b32 s13, v1
	s_mul_i32 s12, s12, s13
	s_mul_hi_u32 s12, s13, s12
	s_add_i32 s13, s13, s12
	s_mul_hi_u32 s12, s11, s13
	s_mul_i32 s13, s12, s14
	s_sub_i32 s11, s11, s13
	s_add_i32 s16, s12, 1
	s_sub_i32 s13, s11, s14
	s_cmp_ge_u32 s11, s14
	s_cselect_b32 s12, s16, s12
	s_cselect_b32 s11, s13, s11
	s_add_i32 s13, s12, 1
	s_cmp_ge_u32 s11, s14
	s_cselect_b32 s11, s13, s12
	s_xor_b32 s11, s11, s10
	s_sub_i32 s36, s11, s10
	s_mul_i32 s16, s36, s29
	s_ashr_i32 s37, s36, 31
	s_sub_i32 s33, s3, s16
	s_lshl_b64 s[10:11], s[36:37], 2
	s_add_u32 s12, s26, s10
	s_addc_u32 s13, s27, s11
	s_add_u32 s38, s8, s10
	s_addc_u32 s39, s9, s11
	s_abs_i32 s3, s30
	v_cvt_f32_u32_e32 v1, s3
	s_load_dwordx2 s[34:35], s[12:13], 0x0
	s_sub_i32 s9, 0, s3
	s_lshl_b32 s2, s2, 5
	v_rcp_iflag_f32_e32 v1, v1
	v_or_b32_e32 v68, s2, v79
	s_waitcnt lgkmcnt(0)
	s_sub_i32 s56, s35, s34
	s_ashr_i32 s8, s56, 31
	v_mul_f32_e32 v1, 0x4f7ffffe, v1
	v_cvt_u32_f32_e32 v1, v1
	s_lshr_b32 s8, s8, 26
	s_add_i32 s8, s56, s8
	s_ashr_i32 s55, s8, 6
	v_readfirstlane_b32 s10, v1
	s_mul_i32 s9, s9, s10
	s_mul_hi_u32 s9, s10, s9
	s_add_i32 s10, s10, s9
	s_mul_hi_u32 s9, s14, s10
	s_mul_i32 s10, s9, s3
	s_ashr_i32 s8, s30, 31
	s_sub_i32 s10, s14, s10
	s_xor_b32 s8, s15, s8
	s_add_i32 s11, s9, 1
	s_sub_i32 s12, s10, s3
	s_cmp_ge_u32 s10, s3
	s_cselect_b32 s9, s11, s9
	s_cselect_b32 s10, s12, s10
	s_add_i32 s11, s9, 1
	s_cmp_ge_u32 s10, s3
	s_cselect_b32 s3, s11, s9
	s_xor_b32 s3, s3, s8
	s_sub_i32 s3, s3, s8
	s_abs_i32 s17, s3
	v_cvt_f32_u32_e32 v1, s17
	s_sub_i32 s19, 0, s17
	s_abs_i32 s18, s33
	s_xor_b32 s3, s33, s3
	v_rcp_iflag_f32_e32 v2, v1
	s_ashr_i32 s3, s3, 31
	s_load_dwordx8 s[8:15], s[0:1], 0x20
	v_lshrrev_b32_e32 v1, 6, v0
	v_mul_f32_e32 v2, 0x4f7ffffe, v2
	v_cvt_u32_f32_e32 v2, v2
	v_lshlrev_b32_e32 v61, 4, v1
	v_lshlrev_b32_e32 v66, 7, v68
	v_lshl_or_b32 v82, v78, 2, v61
	v_readfirstlane_b32 s20, v2
	s_mul_i32 s19, s19, s20
	s_mul_hi_u32 s19, s20, s19
	s_add_i32 s20, s20, s19
	s_mul_hi_u32 s19, s18, s20
	s_mul_i32 s20, s19, s17
	s_sub_i32 s18, s18, s20
	s_add_i32 s20, s19, 1
	s_sub_i32 s21, s18, s17
	s_cmp_ge_u32 s18, s17
	s_cselect_b32 s19, s20, s19
	s_cselect_b32 s18, s21, s18
	s_add_i32 s20, s19, 1
	s_cmp_ge_u32 s18, s17
	s_cselect_b32 s17, s20, s19
	s_xor_b32 s17, s17, s3
	s_sub_i32 s57, s17, s3
	s_ashr_i32 s48, s33, 31
	s_mul_hi_i32 s3, s36, s29
	s_add_u32 s16, s16, s33
	s_addc_u32 s17, s3, s48
	s_lshl_b64 s[26:27], s[16:17], 16
	s_waitcnt lgkmcnt(0)
	s_add_u32 s10, s10, s26
	s_addc_u32 s11, s11, s27
	v_ashrrev_i32_e32 v67, 31, v66
	v_lshl_add_u64 v[2:3], v[66:67], 2, s[10:11]
	v_lshlrev_b32_e32 v62, 2, v82
	v_or_b32_e32 v64, 0x800, v66
	v_lshl_add_u64 v[10:11], v[2:3], 0, v[62:63]
	v_ashrrev_i32_e32 v65, 31, v64
	global_load_dwordx4 v[2:5], v[10:11], off
	global_load_dwordx4 v[6:9], v[10:11], off offset:256
	v_lshl_add_u64 v[10:11], v[64:65], 2, s[10:11]
	v_lshl_add_u64 v[10:11], v[10:11], 0, v[62:63]
	global_load_dwordx4 v[18:21], v[10:11], off
	global_load_dwordx4 v[22:25], v[10:11], off offset:256
	s_load_dwordx8 s[16:23], s[0:1], 0x0
	s_load_dwordx2 s[10:11], s[0:1], 0x80
	s_load_dword s58, s[38:39], 0x0
	v_and_b32_e32 v63, 63, v0
	v_or_b32_e32 v83, 64, v82
	s_cmp_lt_i32 s56, 64
	s_mul_hi_i32 s59, s33, s28
	s_mul_i32 s60, s33, s28
	v_lshrrev_b32_e32 v81, 3, v63
	s_mul_i32 s49, s36, s5
	s_mul_hi_u32 s51, s36, s4
	s_mul_i32 s52, s37, s4
	s_mul_i32 s40, s36, s4
	;; [unrolled: 1-line block ×3, first 2 shown]
	s_mul_hi_u32 s53, s33, s6
	s_mul_i32 s54, s48, s6
	s_mul_i32 s42, s33, s6
	s_cbranch_scc1 .LBB465_3
; %bb.1:
	s_ashr_i32 s1, s34, 31
	s_add_u32 s0, s60, s34
	s_addc_u32 s1, s59, s1
	s_lshl_b64 s[0:1], s[0:1], 8
	v_and_b32_e32 v85, 56, v80
	s_waitcnt lgkmcnt(0)
	s_add_u32 s4, s18, s0
	v_lshl_or_b32 v84, v1, 3, v81
	v_lshlrev_b32_e32 v10, 1, v85
	s_addc_u32 s0, s19, s1
	v_lshl_or_b32 v86, v84, 8, v10
	s_and_b32 s5, s0, 0xffff
	s_mov_b32 s7, 0x20000
	s_movk_i32 s6, 0x4000
	s_movk_i32 s0, 0x80
	v_or_b32_e32 v87, 0x2000, v86
	buffer_load_dwordx4 v[12:15], v86, s[4:7], 0 offen
	buffer_load_dwordx4 v[26:29], v86, s[4:7], s0 offen
	;; [unrolled: 1-line block ×4, first 2 shown]
	v_lshlrev_b32_e32 v11, 3, v84
	v_and_or_b32 v17, v0, 7, v11
	v_and_b32_e32 v11, 0x78, v11
	v_lshlrev_b32_e32 v17, 4, v17
	v_xor_b32_e32 v88, v17, v11
	v_mul_lo_u32 v16, v84, s31
	v_or_b32_e32 v89, 0x1000, v88
	v_xor_b32_e32 v11, 8, v88
	s_cmpk_eq_i32 s31, 0x80
	s_mov_b32 s61, s34
	v_xor_b32_e32 v17, 8, v89
	s_cselect_b64 s[0:1], -1, 0
	s_cmpk_lg_i32 s31, 0x80
	s_waitcnt vmcnt(3)
	ds_write_b64 v88, v[12:13] offset:24576
	ds_write_b64 v11, v[14:15] offset:24576
	s_waitcnt vmcnt(2)
	ds_write_b64 v88, v[26:27] offset:32768
	ds_write_b64 v11, v[28:29] offset:32768
	s_waitcnt vmcnt(1)
	ds_write_b64 v88, v[30:31] offset:28672
	ds_write_b64 v17, v[32:33] offset:24576
	s_waitcnt vmcnt(0)
	ds_write_b64 v88, v[34:35] offset:36864
	ds_write_b64 v17, v[36:37] offset:32768
	v_lshl_add_u32 v11, v16, 1, v85
	s_cbranch_scc0 .LBB465_4
; %bb.2:
	v_lshlrev_b32_e32 v13, 1, v11
	v_add_lshl_u32 v12, v11, s31, 1
	s_lshl_b32 s6, s31, 7
	v_lshl_or_b32 v10, v84, 9, v10
	s_cbranch_execz .LBB465_5
	s_branch .LBB465_6
.LBB465_3:
	s_waitcnt vmcnt(0)
	v_mov_b32_e32 v17, v25
	v_mov_b32_e32 v16, v24
	;; [unrolled: 1-line block ×5, first 2 shown]
	s_branch .LBB465_20
.LBB465_4:
                                        ; implicit-def: $vgpr12
                                        ; implicit-def: $vgpr13
                                        ; implicit-def: $sgpr6
	v_lshl_or_b32 v10, v84, 9, v10
.LBB465_5:
	v_or_b32_e32 v12, 0x100, v10
	s_movk_i32 s6, 0x4000
	v_mov_b32_e32 v13, v10
.LBB465_6:
	s_mul_i32 s4, s34, s30
	s_ashr_i32 s62, s57, 31
	s_mul_hi_i32 s3, s34, s30
	s_add_u32 s4, s4, s57
	s_addc_u32 s5, s3, s62
	s_lshl_b64 s[4:5], s[4:5], 8
	s_add_u32 s4, s16, s4
	s_addc_u32 s3, s17, s5
	s_and_b32 s5, s3, 0xffff
	s_movk_i32 s63, 0x80
	buffer_load_dwordx4 v[14:17], v13, s[4:7], 0 offen
	buffer_load_dwordx4 v[26:29], v13, s[4:7], s63 offen
	;; [unrolled: 1-line block ×4, first 2 shown]
	v_and_b32_e32 v12, 6, v0
	v_lshlrev_b32_e32 v39, 6, v82
	v_or_b32_e32 v41, 16, v79
	v_xor_b32_e32 v42, v84, v12
	v_and_b32_e32 v13, 1, v0
	v_lshl_or_b32 v45, v79, 3, v39
	v_lshl_or_b32 v39, v41, 3, v39
	v_lshlrev_b32_e32 v42, 2, v42
	v_lshlrev_b32_e32 v38, 2, v79
	v_or_b32_e32 v92, 0xa000, v39
	v_or_b32_e32 v93, 0xb000, v39
	v_xor_b32_e32 v39, 0x440, v42
	v_cmp_eq_u32_e32 vcc, 0, v13
	s_add_i32 s3, s51, s49
	v_xor_b32_e32 v43, v82, v38
	v_xor_b32_e32 v44, v83, v38
	v_cndmask_b32_e32 v13, v39, v42, vcc
	s_add_i32 s4, s53, s50
	s_add_i32 s41, s3, s52
	s_mov_b32 s64, 0x1000504
	v_lshlrev_b32_e32 v40, 8, v79
	v_lshlrev_b32_e32 v41, 8, v41
	;; [unrolled: 1-line block ×4, first 2 shown]
	v_lshl_or_b32 v12, v12, 10, v13
	s_add_i32 s43, s4, s54
	s_lshl_b64 s[4:5], s[40:41], 2
	s_mov_b32 s65, 0x3020706
	v_or_b32_e32 v90, 0xa000, v45
	v_or_b32_e32 v91, 0xb000, v45
	;; [unrolled: 1-line block ×5, first 2 shown]
	v_xor_b32_e32 v13, 8, v12
	v_xor_b32_e32 v40, 24, v12
	;; [unrolled: 1-line block ×4, first 2 shown]
	s_add_u32 s3, s22, s4
	v_or_b32_e32 v96, v41, v43
	v_xor_b32_e32 v39, 16, v12
	v_xor_b32_e32 v41, 32, v12
	;; [unrolled: 1-line block ×3, first 2 shown]
	v_add_u32_e32 v13, 0x80, v13
	v_add_u32_e32 v40, 0x80, v40
	;; [unrolled: 1-line block ×4, first 2 shown]
	s_addc_u32 s6, s23, s5
	s_lshl_b64 s[4:5], s[42:43], 2
	s_add_u32 s44, s3, s4
	s_movk_i32 s3, 0xf8
	s_addc_u32 s45, s6, s5
	s_lshl_b32 s38, s31, 7
	s_movk_i32 s36, 0x100
	v_mov_b32_e32 v71, 0
	v_lshlrev_b32_e32 v70, 4, v79
	v_cmp_gt_u32_e32 vcc, s36, v0
	v_ashrrev_i32_e32 v69, 31, v68
	s_mov_b32 s66, 0
	s_movk_i32 s41, 0x1000
	s_movk_i32 s6, 0x4000
	v_mov_b32_e32 v120, 0x3fb8aa3b
	s_waitcnt vmcnt(1)
	v_perm_b32 v45, v14, v30, s64
	s_waitcnt vmcnt(0)
	v_perm_b32 v46, v26, v34, s64
	v_perm_b32 v14, v14, v30, s65
	;; [unrolled: 1-line block ×15, first 2 shown]
	ds_write2st64_b32 v12, v45, v46 offset0:32 offset1:64
	ds_write2st64_b32 v13, v14, v26 offset0:32 offset1:64
	;; [unrolled: 1-line block ×8, first 2 shown]
	v_or_b32_e32 v12, v61, v79
	v_lshlrev_b32_e32 v12, 3, v12
	v_lshrrev_b32_e32 v15, 5, v63
	v_and_or_b32 v15, v12, s3, v15
	v_lshlrev_b32_e32 v15, 4, v15
	v_lshlrev_b32_e32 v17, 11, v1
	v_and_b32_e32 v12, 0x78, v12
	v_or_b32_e32 v28, 32, v15
	v_and_b32_e32 v14, 0x1000, v17
	v_lshrrev_b32_e32 v26, 1, v63
	v_xor_b32_e32 v28, v28, v12
	v_xor_b32_e32 v16, v15, v12
	v_and_b32_e32 v26, 8, v26
	v_or_b32_e32 v28, v28, v14
	v_or_b32_e32 v16, v16, v14
	v_lshlrev_b32_e32 v27, 7, v78
	v_xor_b32_e32 v100, v28, v26
	v_or_b32_e32 v28, 64, v15
	v_or_b32_e32 v15, 0x60, v15
	s_ashr_i32 s3, s2, 31
	v_xor_b32_e32 v98, v16, v26
	v_or_b32_e32 v16, v27, v38
	v_xor_b32_e32 v28, v28, v12
	v_xor_b32_e32 v12, v15, v12
	s_lshl_b64 s[4:5], s[2:3], 8
	v_lshlrev_b32_e32 v16, 1, v16
	v_or_b32_e32 v28, v28, v14
	v_or_b32_e32 v12, v12, v14
	s_add_u32 s4, s12, s4
	v_lshlrev_b32_e32 v14, 1, v79
	v_or_b32_e32 v99, 0xa000, v16
	v_or_b32_e32 v101, 0xa080, v16
	;; [unrolled: 1-line block ×4, first 2 shown]
	v_lshrrev_b32_e32 v16, 4, v0
	s_addc_u32 s5, s13, s5
	v_or_b32_e32 v15, 1, v14
	v_mov_b32_e32 v33, 0x4000
	v_mov_b32_e32 v34, 0x2000
	v_lshrrev_b32_e32 v35, 1, v0
	v_xor_b32_e32 v102, v28, v26
	v_xor_b32_e32 v103, v12, v26
	;; [unrolled: 1-line block ×4, first 2 shown]
	v_lshl_add_u64 v[14:15], s[4:5], 0, v[70:71]
	v_lshlrev_b32_e32 v70, 8, v16
	v_cndmask_b32_e32 v33, v33, v34, vcc
	v_lshlrev_b32_e32 v34, 3, v1
	v_and_b32_e32 v35, 24, v35
	v_lshl_or_b32 v106, v26, 3, v70
	v_and_b32_e32 v26, 8, v0
	v_xor_b32_e32 v36, v34, v35
	v_or_b32_e32 v37, 0x440, v36
	v_cmp_eq_u32_e32 vcc, 0, v26
	v_and_b32_e32 v16, 7, v0
	v_lshl_or_b32 v107, v30, 3, v70
	v_cndmask_b32_e32 v26, v37, v36, vcc
	v_lshlrev_b32_e32 v30, 3, v16
	v_lshlrev_b32_e32 v32, 2, v0
	v_or_b32_e32 v26, v26, v17
	v_xor_b32_e32 v36, v26, v30
	v_and_or_b32 v26, v32, 60, v27
	v_mov_b32_e32 v27, 0xb000
	v_lshl_or_b32 v108, v26, 1, v27
	v_or_b32_e32 v26, 32, v35
	v_xor_b32_e32 v26, v34, v26
	v_or_b32_e32 v27, 0x440, v26
	v_cndmask_b32_e32 v26, v27, v26, vcc
	v_or_b32_e32 v26, v26, v17
	v_xor_b32_e32 v27, v26, v30
	v_or_b32_e32 v26, 64, v35
	v_xor_b32_e32 v26, v34, v26
	v_xor_b32_e32 v38, 0x440, v26
	v_cndmask_b32_e32 v26, v38, v26, vcc
	v_or_b32_e32 v26, v26, v17
	v_xor_b32_e32 v38, v26, v30
	v_or_b32_e32 v26, 0x60, v35
	v_xor_b32_e32 v26, v34, v26
	v_xor_b32_e32 v34, 0x440, v26
	v_cndmask_b32_e32 v26, v34, v26, vcc
	v_lshrrev_b32_e32 v13, 2, v63
	v_or_b32_e32 v17, v26, v17
	v_and_b32_e32 v13, 12, v13
	v_lshlrev_b32_e32 v28, 1, v11
	v_add_lshl_u32 v11, v11, s31, 1
	v_or_b32_e32 v29, 0x100, v10
	v_xor_b32_e32 v17, v17, v30
	v_lshlrev_b32_e32 v12, 7, v82
	v_lshlrev_b32_e32 v31, 7, v16
	v_or_b32_e32 v16, v13, v61
	v_add_u32_e32 v37, v33, v36
	v_add_u32_e32 v32, v33, v27
	;; [unrolled: 1-line block ×4, first 2 shown]
	v_or3_b32 v26, v61, v13, 64
	v_add_u32_e32 v13, 0x4000, v36
	v_add_u32_e32 v27, 0x4000, v27
	;; [unrolled: 1-line block ×4, first 2 shown]
	v_cndmask_b32_e64 v109, v28, v10, s[0:1]
	v_cndmask_b32_e64 v110, v11, v29, s[0:1]
	v_lshlrev_b64 v[10:11], 1, v[68:69]
	v_lshl_add_u64 v[72:73], s[20:21], 0, v[10:11]
	v_lshl_add_u64 v[74:75], s[14:15], 0, v[10:11]
	;; [unrolled: 1-line block ×3, first 2 shown]
	s_mov_b32 s3, 0x7060302
	v_lshlrev_b32_e32 v70, 1, v12
	v_lshlrev_b32_e32 v69, 2, v16
	v_add_u32_e32 v111, v37, v31
	v_add_u32_e32 v112, v32, v31
	;; [unrolled: 1-line block ×4, first 2 shown]
	v_lshlrev_b32_e32 v115, 2, v26
	v_add_u32_e32 v116, v13, v31
	v_add_u32_e32 v117, v27, v31
	;; [unrolled: 1-line block ×4, first 2 shown]
	s_waitcnt lgkmcnt(0)
	s_barrier
.LBB465_7:                              ; =>This Inner Loop Header: Depth=1
	s_add_i32 s43, s66, 1
	s_cmp_lt_i32 s43, s55
	s_mov_b64 s[36:37], 0
	s_cselect_b64 s[46:47], -1, 0
	s_cmp_ge_i32 s43, s55
	s_mov_b64 s[4:5], 0
	s_cbranch_scc1 .LBB465_9
; %bb.8:                                ;   in Loop: Header=BB465_7 Depth=1
	s_add_i32 s0, s61, 64
	s_ashr_i32 s1, s0, 31
	s_add_u32 s0, s60, s0
	s_addc_u32 s1, s59, s1
	s_lshl_b64 s[0:1], s[0:1], 8
	s_add_u32 s4, s18, s0
	s_addc_u32 s5, s19, s1
.LBB465_9:                              ;   in Loop: Header=BB465_7 Depth=1
	v_cndmask_b32_e64 v10, 0, 1, s[46:47]
	v_cmp_ne_u32_e64 s[0:1], 1, v10
	s_andn2_b64 vcc, exec, s[46:47]
	s_cbranch_vccnz .LBB465_11
; %bb.10:                               ;   in Loop: Header=BB465_7 Depth=1
	s_add_i32 s36, s61, 64
	s_mul_hi_i32 s37, s36, s30
	s_mul_i32 s36, s36, s30
	s_add_u32 s36, s36, s57
	s_addc_u32 s37, s37, s62
	s_lshl_b64 s[36:37], s[36:37], 8
	s_add_u32 s36, s16, s36
	s_addc_u32 s37, s17, s37
.LBB465_11:                             ;   in Loop: Header=BB465_7 Depth=1
	v_perm_b32 v11, v5, v4, s3
	v_perm_b32 v10, v3, v2, s3
	;; [unrolled: 1-line block ×4, first 2 shown]
	ds_write_b64 v90, v[10:11]
	ds_write_b64 v91, v[12:13]
	;; [unrolled: 1-line block ×4, first 2 shown]
	v_perm_b32 v11, v21, v20, s3
	v_perm_b32 v10, v19, v18, s3
	;; [unrolled: 1-line block ×4, first 2 shown]
	ds_write_b64 v92, v[10:11]
	ds_write_b64 v93, v[12:13]
	;; [unrolled: 1-line block ×4, first 2 shown]
	s_waitcnt lgkmcnt(0)
	s_barrier
	ds_read_b64 v[14:15], v98 offset:24576
	ds_read2_b64 v[10:13], v99 offset1:16
	ds_read_b64 v[26:27], v101 offset:3072
	ds_read_b64 v[28:29], v99 offset:3072
	;; [unrolled: 1-line block ×3, first 2 shown]
	s_waitcnt lgkmcnt(3)
	v_mfma_f32_16x16x16_bf16 a[0:3], v[14:15], v[10:11], 0
	s_add_i32 s67, s61, 63
	s_ashr_i32 s39, s67, 31
	s_mul_i32 s46, s67, s11
	v_mfma_f32_16x16x16_bf16 a[4:7], v[14:15], v[12:13], 0
	ds_read2st64_b64 v[10:13], v99 offset0:2 offset1:4
	s_mul_hi_u32 s47, s67, s10
	s_add_i32 s46, s47, s46
	s_waitcnt lgkmcnt(0)
	v_mfma_f32_16x16x16_bf16 a[0:3], v[30:31], v[10:11], a[0:3]
	ds_read2st64_b64 v[14:17], v101 offset0:2 offset1:4
	ds_read_b64 v[10:11], v102 offset:24576
	s_mul_i32 s39, s39, s10
	s_add_i32 s47, s46, s39
	s_waitcnt lgkmcnt(1)
	v_mfma_f32_16x16x16_bf16 a[4:7], v[30:31], v[14:15], a[4:7]
	ds_read_b64 v[14:15], v103 offset:24576
	s_mul_i32 s46, s67, s10
	s_lshl_b64 s[46:47], s[46:47], 2
	s_waitcnt lgkmcnt(1)
	v_mfma_f32_16x16x16_bf16 a[0:3], v[10:11], v[12:13], a[0:3]
	s_add_u32 s46, s44, s46
	s_addc_u32 s47, s45, s47
	s_and_b64 vcc, exec, s[0:1]
	v_mfma_f32_16x16x16_bf16 a[8:11], v[10:11], v[16:17], a[4:7]
	v_mov_b32_e32 v123, 0
	v_mov_b32_e32 v122, 0
	;; [unrolled: 1-line block ×3, first 2 shown]
	s_waitcnt lgkmcnt(0)
	v_mfma_f32_16x16x16_bf16 a[4:7], v[14:15], v[28:29], a[0:3]
	v_mov_b32_e32 v10, 0
	v_mov_b32_e32 v11, 0
	;; [unrolled: 1-line block ×3, first 2 shown]
	v_mfma_f32_16x16x16_bf16 a[0:3], v[14:15], v[26:27], a[8:11]
	v_mov_b32_e32 v13, 0
	v_mov_b32_e32 v14, 0
	;; [unrolled: 1-line block ×13, first 2 shown]
	s_cbranch_vccnz .LBB465_13
; %bb.12:                               ;   in Loop: Header=BB465_7 Depth=1
	s_and_b32 s5, s5, 0xffff
	buffer_load_dwordx4 v[30:33], v86, s[4:7], 0 offen
	buffer_load_dwordx4 v[26:29], v86, s[4:7], s63 offen
	;; [unrolled: 1-line block ×4, first 2 shown]
	v_mov_b32_e32 v122, v88
	v_mov_b32_e32 v121, v89
.LBB465_13:                             ;   in Loop: Header=BB465_7 Depth=1
	ds_read_b64 v[42:43], v98 offset:32768
	ds_read2_b64 v[34:37], v104 offset1:16
	ds_read_b64 v[44:45], v100 offset:32768
	ds_read_b64 v[46:47], v102 offset:32768
	;; [unrolled: 1-line block ×3, first 2 shown]
	v_add_u32_e32 v50, s61, v82
	s_waitcnt lgkmcnt(3)
	v_mfma_f32_16x16x16_bf16 a[4:7], v[42:43], v[34:35], a[4:7]
	v_ashrrev_i32_e32 v34, 31, v50
	ds_read2st64_b64 v[38:41], v104 offset0:2 offset1:4
	v_mfma_f32_16x16x16_bf16 a[0:3], v[42:43], v[36:37], a[0:3]
	v_mul_lo_u32 v36, v34, s10
	v_mul_lo_u32 v37, v50, s11
	v_mad_u64_u32 v[34:35], s[4:5], v50, s10, 0
	v_add3_u32 v35, v35, v37, v36
	v_add_u32_e32 v36, 1, v50
	v_ashrrev_i32_e32 v37, 31, v36
	v_mul_lo_u32 v42, v37, s10
	v_mul_lo_u32 v43, v36, s11
	v_mad_u64_u32 v[36:37], s[4:5], v36, s10, 0
	v_add3_u32 v37, v37, v43, v42
	v_add_u32_e32 v42, 2, v50
	v_ashrrev_i32_e32 v43, 31, v42
	v_mul_lo_u32 v51, v43, s10
	v_mul_lo_u32 v52, v42, s11
	v_mad_u64_u32 v[42:43], s[4:5], v42, s10, 0
	v_add_u32_e32 v50, 3, v50
	v_add3_u32 v43, v43, v52, v51
	v_ashrrev_i32_e32 v51, 31, v50
	v_mul_lo_u32 v52, v51, s10
	v_mul_lo_u32 v53, v50, s11
	v_mad_u64_u32 v[50:51], s[4:5], v50, s10, 0
	s_ashr_i32 s5, s61, 31
	v_add3_u32 v51, v51, v53, v52
	s_add_u32 s4, s60, s61
	v_lshl_add_u64 v[34:35], v[34:35], 2, s[44:45]
	v_lshl_add_u64 v[50:51], v[50:51], 2, s[44:45]
	s_addc_u32 s5, s59, s5
	v_lshl_add_u64 v[36:37], v[36:37], 2, s[44:45]
	v_lshl_add_u64 v[42:43], v[42:43], 2, s[44:45]
	global_load_dword v52, v[34:35], off
	global_load_dword v53, v[36:37], off
	;; [unrolled: 1-line block ×3, first 2 shown]
	s_nop 0
	global_load_dword v50, v[50:51], off
	s_lshl_b64 s[68:69], s[4:5], 8
	v_lshl_add_u64 v[34:35], v[72:73], 0, s[68:69]
	v_lshl_add_u64 v[42:43], v[34:35], 0, v[70:71]
	global_load_ushort v51, v[42:43], off offset:256
	global_load_ushort v55, v[42:43], off
	ds_read2st64_b64 v[34:37], v105 offset0:2 offset1:4
	global_load_ushort v56, v[42:43], off offset:768
	global_load_ushort v57, v[42:43], off offset:512
	;; [unrolled: 1-line block ×6, first 2 shown]
	s_waitcnt lgkmcnt(1)
	v_mfma_f32_16x16x16_bf16 a[4:7], v[44:45], v[38:39], a[4:7]
	s_and_b64 vcc, exec, s[0:1]
	s_waitcnt vmcnt(7)
	v_lshlrev_b32_e32 v43, 16, v51
	s_waitcnt lgkmcnt(0)
	v_mfma_f32_16x16x16_bf16 a[0:3], v[44:45], v[34:35], a[0:3]
	v_mfma_f32_16x16x16_bf16 a[4:7], v[46:47], v[40:41], a[4:7]
	;; [unrolled: 1-line block ×3, first 2 shown]
	ds_read_b64 v[34:35], v104 offset:3072
	ds_read_b64 v[36:37], v105 offset:3072
	s_load_dword s4, s[46:47], 0x0
	s_waitcnt lgkmcnt(0)
	v_sub_f32_e32 v42, s4, v52
	v_mfma_f32_16x16x16_bf16 a[4:7], v[48:49], v[34:35], a[4:7]
	v_sub_f32_e32 v45, s4, v53
	v_sub_f32_e32 v46, s4, v54
	;; [unrolled: 1-line block ×3, first 2 shown]
	v_mul_f32_e32 v44, 0x3fb8aa3b, v42
	v_mul_f32_e32 v45, 0x3fb8aa3b, v45
	;; [unrolled: 1-line block ×4, first 2 shown]
	v_mfma_f32_16x16x16_bf16 a[0:3], v[48:49], v[36:37], a[0:3]
	v_accvgpr_read_b32 v41, a5
	v_exp_f32_e32 v44, v44
	v_exp_f32_e32 v45, v45
	v_exp_f32_e32 v46, v46
	v_exp_f32_e32 v47, v47
	v_accvgpr_read_b32 v40, a4
	s_waitcnt vmcnt(6)
	v_lshlrev_b32_e32 v42, 16, v55
	v_lshl_add_u64 v[34:35], v[74:75], 0, s[68:69]
	v_accvgpr_read_b32 v37, a7
	v_accvgpr_read_b32 v36, a6
	v_pk_add_f32 v[40:41], v[42:43], v[40:41] neg_lo:[0,1] neg_hi:[0,1]
	s_waitcnt vmcnt(5)
	v_lshlrev_b32_e32 v43, 16, v56
	s_waitcnt vmcnt(4)
	v_lshlrev_b32_e32 v42, 16, v57
	v_lshl_add_u64 v[34:35], v[34:35], 0, v[70:71]
	v_pk_add_f32 v[36:37], v[42:43], v[36:37] neg_lo:[0,1] neg_hi:[0,1]
	global_store_short_d16_hi v[34:35], v40, off
	global_store_short_d16_hi v[34:35], v41, off offset:256
	global_store_short_d16_hi v[34:35], v36, off offset:512
	;; [unrolled: 1-line block ×3, first 2 shown]
	v_pk_mul_f32 v[40:41], v[44:45], v[40:41]
	v_pk_mul_f32 v[36:37], v[46:47], v[36:37]
	v_accvgpr_read_b32 v43, a1
	v_perm_b32 v37, v37, v36, s3
	v_perm_b32 v36, v41, v40, s3
	s_waitcnt vmcnt(5)
	v_lshlrev_b32_e32 v41, 16, v60
	s_waitcnt vmcnt(4)
	v_lshlrev_b32_e32 v40, 16, v124
	v_accvgpr_read_b32 v42, a0
	v_accvgpr_read_b32 v39, a3
	;; [unrolled: 1-line block ×3, first 2 shown]
	v_pk_add_f32 v[40:41], v[40:41], v[42:43] neg_lo:[0,1] neg_hi:[0,1]
	v_lshlrev_b32_e32 v43, 16, v58
	v_lshlrev_b32_e32 v42, 16, v59
	v_pk_add_f32 v[38:39], v[42:43], v[38:39] neg_lo:[0,1] neg_hi:[0,1]
	global_store_short_d16_hi v[34:35], v40, off offset:32
	global_store_short_d16_hi v[34:35], v41, off offset:288
	;; [unrolled: 1-line block ×4, first 2 shown]
	v_pk_mul_f32 v[34:35], v[44:45], v[40:41]
	v_pk_mul_f32 v[38:39], v[46:47], v[38:39]
	v_mov_b32_e32 v124, 0
	v_perm_b32 v39, v39, v38, s3
	v_perm_b32 v38, v35, v34, s3
	ds_write2_b64 v91, v[36:37], v[38:39] offset1:16
	v_mov_b32_e32 v34, 0
	v_mov_b32_e32 v35, 0
	;; [unrolled: 1-line block ×16, first 2 shown]
	s_cbranch_vccnz .LBB465_15
; %bb.14:                               ;   in Loop: Header=BB465_7 Depth=1
	s_and_b32 s37, s37, 0xffff
	s_mov_b32 s39, s7
	buffer_load_dwordx4 v[46:49], v109, s[36:39], 0 offen
	buffer_load_dwordx4 v[38:41], v109, s[36:39], s63 offen
	;; [unrolled: 1-line block ×4, first 2 shown]
	v_mov_b32_e32 v123, v85
	v_mov_b32_e32 v124, v84
.LBB465_15:                             ;   in Loop: Header=BB465_7 Depth=1
	s_waitcnt lgkmcnt(0)
	s_barrier
	ds_read_b64 v[54:55], v111
	ds_read_b64 v[130:131], v108
	;; [unrolled: 1-line block ×5, first 2 shown]
	ds_read_b64 v[144:145], v105 offset:3072
	ds_read2_b64 v[50:53], v104 offset0:16 offset1:128
	s_waitcnt lgkmcnt(5)
	v_mfma_f32_16x16x16_bf16 a[0:3], v[54:55], v[130:131], 0
	ds_read2st64_b64 v[56:59], v105 offset0:2 offset1:4
	s_add_i32 s5, s58, s66
	s_mul_hi_i32 s37, s5, s29
	s_waitcnt lgkmcnt(1)
	v_mfma_f32_16x16x16_bf16 a[4:7], v[54:55], v[50:51], 0
	ds_read_b64 v[54:55], v116
	s_mul_i32 s5, s5, s29
	s_add_u32 s36, s5, s33
	s_waitcnt lgkmcnt(1)
	v_mfma_f32_16x16x16_bf16 a[4:7], v[132:133], v[56:57], a[4:7]
	s_addc_u32 s37, s37, s48
	s_lshl_b64 s[36:37], s[36:37], 15
	s_mul_i32 s39, s67, s29
	s_mul_hi_i32 s5, s67, s29
	s_add_u32 s46, s39, s33
	v_mfma_f32_16x16x16_bf16 a[8:11], v[134:135], v[58:59], a[4:7]
	s_addc_u32 s47, s5, s48
	ds_read2st64_b64 v[126:129], v104 offset0:4 offset1:6
	s_lshl_b64 s[46:47], s[46:47], 9
	s_waitcnt lgkmcnt(1)
	v_mfma_f32_16x16x16_bf16 a[4:7], v[54:55], v[130:131], 0
	s_add_u32 s46, s8, s46
	s_addc_u32 s47, s9, s47
	v_mfma_f32_16x16x16_bf16 a[0:3], v[132:133], v[52:53], a[0:3]
	ds_read_b64 v[132:133], v117
	ds_read_b64 v[140:141], v118
	;; [unrolled: 1-line block ×3, first 2 shown]
	v_mfma_f32_16x16x16_bf16 a[12:15], v[54:55], v[50:51], 0
	s_waitcnt lgkmcnt(2)
	v_mfma_f32_16x16x16_bf16 a[4:7], v[132:133], v[52:53], a[4:7]
	global_load_dwordx4 v[50:53], v115, s[46:47]
	v_mfma_f32_16x16x16_bf16 a[12:15], v[132:133], v[56:57], a[12:15]
	global_load_dwordx4 v[54:57], v69, s[46:47]
	ds_read2st64_b64 v[130:133], v106 offset1:8
	s_waitcnt lgkmcnt(0)
	v_mov_b32_e32 v138, v130
	v_mfma_f32_16x16x16_bf16 a[0:3], v[134:135], v[126:127], a[0:3]
	ds_read2st64_b64 v[134:137], v107 offset1:8
	v_mov_b32_e32 v139, v131
	v_mfma_f32_16x16x16_bf16 a[16:19], v[140:141], v[126:127], a[4:7]
	v_lshl_add_u64 v[126:127], v[76:77], 0, s[36:37]
	v_mfma_f32_16x16x16_bf16 a[20:23], v[140:141], v[58:59], a[12:15]
	v_add_co_u32_e32 v58, vcc, s41, v126
	s_waitcnt lgkmcnt(0)
	v_mov_b32_e32 v140, v134
	v_mfma_f32_16x16x16_bf16 a[4:7], v[142:143], v[128:129], a[0:3]
	v_mov_b32_e32 v141, v135
	v_mov_b32_e32 v134, v132
	;; [unrolled: 1-line block ×3, first 2 shown]
	v_mfma_f32_16x16x16_bf16 a[8:11], v[142:143], v[144:145], a[8:11]
	v_addc_co_u32_e32 v59, vcc, 0, v127, vcc
	global_store_dwordx4 v[58:59], v[134:137], off
	v_mfma_f32_16x16x16_bf16 a[12:15], v[146:147], v[128:129], a[16:19]
	s_and_b64 vcc, exec, s[0:1]
	global_store_dwordx4 v[126:127], v[138:141], off
	s_waitcnt vmcnt(3)
	v_mov_b32_e32 v60, v53
	v_mfma_f32_16x16x16_bf16 a[0:3], v[146:147], v[144:145], a[20:23]
	v_mov_b32_e32 v59, v52
	v_mov_b32_e32 v58, v51
	s_cbranch_vccnz .LBB465_17
; %bb.16:                               ;   in Loop: Header=BB465_7 Depth=1
	v_lshrrev_b32_e32 v51, 3, v123
	v_and_b32_e32 v51, 6, v51
	v_xor_b32_e32 v52, v51, v124
	v_lshlrev_b32_e32 v52, 2, v52
	v_and_b32_e32 v53, 8, v123
	v_xor_b32_e32 v123, 0x440, v52
	v_cmp_eq_u32_e32 vcc, 0, v53
	v_perm_b32 v53, v38, v34, s64
	s_nop 0
	v_cndmask_b32_e32 v52, v123, v52, vcc
	v_lshl_or_b32 v51, v51, 10, v52
	v_perm_b32 v52, v46, v42, s64
	s_barrier
	ds_write2st64_b32 v51, v52, v53 offset0:32 offset1:64
	v_xor_b32_e32 v52, 8, v51
	v_perm_b32 v42, v46, v42, s65
	v_perm_b32 v34, v38, v34, s65
	v_add_u32_e32 v38, 0x80, v52
	ds_write2st64_b32 v38, v42, v34 offset0:32 offset1:64
	v_xor_b32_e32 v34, 16, v51
	v_perm_b32 v38, v47, v43, s64
	v_perm_b32 v42, v39, v35, s64
	ds_write2st64_b32 v34, v38, v42 offset0:33 offset1:65
	v_xor_b32_e32 v34, 24, v51
	v_perm_b32 v38, v47, v43, s65
	v_perm_b32 v35, v39, v35, s65
	v_add_u32_e32 v34, 0x80, v34
	ds_write2st64_b32 v34, v38, v35 offset0:33 offset1:65
	v_xor_b32_e32 v34, 32, v51
	v_perm_b32 v35, v48, v44, s64
	v_perm_b32 v38, v40, v36, s64
	;; [unrolled: 9-line block ×3, first 2 shown]
	ds_write2st64_b32 v34, v35, v36 offset0:35 offset1:67
	v_xor_b32_e32 v34, 56, v51
	v_perm_b32 v35, v49, v45, s65
	v_perm_b32 v36, v41, v37, s65
	v_add_u32_e32 v34, 0x80, v34
	ds_write2st64_b32 v34, v35, v36 offset0:35 offset1:67
	ds_write_b64 v122, v[30:31] offset:24576
	v_xor_b32_e32 v30, 8, v122
	ds_write_b64 v30, v[32:33] offset:24576
	ds_write_b64 v122, v[26:27] offset:32768
	;; [unrolled: 1-line block ×4, first 2 shown]
	v_xor_b32_e32 v14, 8, v121
	ds_write_b64 v14, v[16:17] offset:24576
	ds_write_b64 v121, v[10:11] offset:32768
	;; [unrolled: 1-line block ×3, first 2 shown]
.LBB465_17:                             ;   in Loop: Header=BB465_7 Depth=1
	v_mul_f32_e32 v14, s4, v120
	v_exp_f32_e32 v34, v14
	s_waitcnt vmcnt(2)
	v_mul_f32_e32 v14, 0x3fb8aa3b, v54
	v_exp_f32_e32 v36, v14
	v_mul_f32_e32 v14, 0x3fb8aa3b, v55
	v_exp_f32_e32 v37, v14
	;; [unrolled: 2-line block ×4, first 2 shown]
	v_accvgpr_read_b32 v29, a7
	v_accvgpr_read_b32 v27, a5
	;; [unrolled: 1-line block ×4, first 2 shown]
	v_pk_mul_f32 v[36:37], v[34:35], v[36:37] op_sel_hi:[0,1]
	v_accvgpr_read_b32 v12, a10
	v_pk_fma_f32 v[2:3], v[2:3], v[36:37], v[26:27]
	v_pk_mul_f32 v[26:27], v[34:35], v[38:39] op_sel_hi:[0,1]
	v_accvgpr_read_b32 v28, a6
	v_accvgpr_read_b32 v11, a9
	;; [unrolled: 1-line block ×3, first 2 shown]
	v_fma_f32 v20, v20, v26, v12
	v_mul_f32_e32 v12, 0x3fb8aa3b, v59
	v_pk_fma_f32 v[4:5], v[4:5], v[26:27], v[28:29]
	v_fma_f32 v18, v18, v36, v10
	v_fma_f32 v19, v19, v37, v11
	v_mul_f32_e32 v10, 0x3fb8aa3b, v50
	v_mul_f32_e32 v11, 0x3fb8aa3b, v58
	v_exp_f32_e32 v28, v12
	v_mul_f32_e32 v12, 0x3fb8aa3b, v60
	v_exp_f32_e32 v10, v10
	v_exp_f32_e32 v11, v11
	;; [unrolled: 1-line block ×3, first 2 shown]
	v_accvgpr_read_b32 v33, a15
	v_accvgpr_read_b32 v17, a3
	;; [unrolled: 1-line block ×8, first 2 shown]
	v_fmac_f32_e32 v13, v21, v27
	v_pk_mul_f32 v[10:11], v[34:35], v[10:11] op_sel_hi:[0,1]
	v_pk_mul_f32 v[26:27], v[34:35], v[28:29] op_sel_hi:[0,1]
	s_add_i32 s61, s61, 64
	v_pk_fma_f32 v[6:7], v[6:7], v[10:11], v[30:31]
	v_pk_fma_f32 v[8:9], v[8:9], v[26:27], v[32:33]
	v_fma_f32 v22, v22, v10, v14
	v_fma_f32 v23, v23, v11, v15
	;; [unrolled: 1-line block ×3, first 2 shown]
	s_cmp_eq_u32 s55, s43
	v_fmac_f32_e32 v17, v25, v27
	s_cbranch_scc1 .LBB465_19
; %bb.18:                               ;   in Loop: Header=BB465_7 Depth=1
	s_mov_b32 s66, s43
	v_mov_b32_e32 v21, v13
	v_mov_b32_e32 v25, v17
	s_branch .LBB465_7
.LBB465_19:
	v_mov_b32_e32 v16, v24
	v_mov_b32_e32 v15, v23
	;; [unrolled: 1-line block ×3, first 2 shown]
.LBB465_20:
	s_lshl_b32 s0, s55, 6
	s_sub_i32 s46, s56, s0
	v_mov_b32_e32 v12, v20
	v_mov_b32_e32 v11, v19
	;; [unrolled: 1-line block ×3, first 2 shown]
	s_cmp_gt_i32 s46, 0
	s_cbranch_scc0 .LBB465_85
; %bb.21:
	s_add_i32 s34, s0, s34
	s_ashr_i32 s3, s34, 31
	s_cmpk_lg_i32 s31, 0x80
	s_cselect_b64 s[38:39], -1, 0
	s_and_b64 vcc, exec, s[38:39]
	s_cbranch_vccz .LBB465_23
; %bb.22:
	s_mul_i32 s1, s34, s30
	s_ashr_i32 s4, s57, 31
	s_mul_hi_i32 s0, s34, s30
	s_add_u32 s44, s1, s57
	s_addc_u32 s45, s0, s4
	s_cbranch_execz .LBB465_24
	s_branch .LBB465_25
.LBB465_23:
                                        ; implicit-def: $sgpr44_sgpr45
.LBB465_24:
	s_mul_i32 s1, s57, s28
	s_mul_hi_i32 s0, s57, s28
	s_add_u32 s44, s1, s34
	s_addc_u32 s45, s0, s3
.LBB465_25:
	s_waitcnt lgkmcnt(0)
	s_add_i32 s4, s55, s58
	s_add_u32 s0, s60, s34
	v_lshlrev_b32_e32 v22, 5, v82
	v_lshlrev_b32_e32 v38, 2, v79
	s_addc_u32 s1, s59, s3
	s_mov_b32 s3, 0x7060302
	v_or_b32_e32 v25, v22, v38
	v_xor_b32_e32 v23, v82, v38
	v_perm_b32 v19, v5, v4, s3
	v_perm_b32 v18, v3, v2, s3
	;; [unrolled: 1-line block ×4, first 2 shown]
	v_lshlrev_b32_e32 v25, 1, v25
	v_xor_b32_e32 v24, v83, v38
	ds_write2st64_b64 v25, v[18:19], v[20:21] offset0:80 offset1:88
	v_lshlrev_b32_e32 v23, 1, v23
	v_lshlrev_b32_e32 v25, 8, v79
	s_lshl_b64 s[36:37], s[0:1], 8
	v_or_b32_e32 v26, v23, v25
	v_lshlrev_b32_e32 v24, 1, v24
	s_add_u32 s0, s18, s36
	ds_write_b64 v26, v[18:19]
	v_or_b32_e32 v18, v24, v25
	s_addc_u32 s1, s19, s37
	ds_write_b64 v18, v[20:21]
	v_perm_b32 v19, v13, v12, s3
	v_perm_b32 v18, v11, v10, s3
	v_perm_b32 v21, v17, v16, s3
	v_perm_b32 v20, v15, v14, s3
	v_or_b32_e32 v25, 16, v79
	s_mul_hi_i32 s3, s4, s29
	s_mul_i32 s4, s4, s29
	v_lshlrev_b32_e32 v35, 2, v25
	s_add_u32 s4, s4, s33
	v_or_b32_e32 v22, v22, v35
	s_addc_u32 s5, s3, s48
	v_lshlrev_b32_e32 v22, 1, v22
	s_ashr_i32 s3, s2, 31
	s_lshl_b64 s[4:5], s[4:5], 15
	ds_write2st64_b64 v22, v[18:19], v[20:21] offset0:80 offset1:88
	v_lshlrev_b32_e32 v22, 8, v25
	s_add_u32 s4, s12, s4
	v_or_b32_e32 v23, v23, v22
	s_addc_u32 s5, s13, s5
	s_lshl_b64 s[2:3], s[2:3], 8
	ds_write_b64 v23, v[18:19]
	v_or_b32_e32 v18, v24, v22
	s_add_u32 s2, s4, s2
	ds_write_b64 v18, v[20:21]
	v_lshrrev_b32_e32 v18, 4, v0
	s_addc_u32 s3, s5, s3
	v_lshlrev_b32_e32 v19, 1, v79
	v_lshlrev_b32_e32 v26, 4, v79
	v_mov_b32_e32 v27, 0
	v_or_b32_e32 v20, 1, v19
	v_xor_b32_e32 v19, v18, v19
	v_lshl_add_u64 v[28:29], s[2:3], 0, v[26:27]
	v_lshlrev_b32_e32 v26, 8, v18
	v_xor_b32_e32 v22, v20, v18
	v_lshl_or_b32 v18, v19, 3, v26
	s_waitcnt lgkmcnt(0)
	s_barrier
	ds_read2st64_b64 v[18:21], v18 offset1:8
	v_lshl_or_b32 v22, v22, 3, v26
	ds_read2st64_b64 v[22:25], v22 offset1:8
	v_lshl_add_u64 v[30:31], v[28:29], 0, v[26:27]
	s_movk_i32 s2, 0x1000
	s_waitcnt lgkmcnt(1)
	v_mov_b32_e32 v26, v18
	v_add_co_u32_e32 v18, vcc, s2, v30
	s_cmp_lg_u32 s46, 64
	v_mov_b32_e32 v27, v19
	v_addc_co_u32_e32 v19, vcc, 0, v31, vcc
	s_cselect_b64 s[18:19], -1, 0
	v_lshl_or_b32 v42, v1, 3, v81
	s_waitcnt lgkmcnt(0)
	v_mov_b32_e32 v28, v22
	v_mov_b32_e32 v29, v23
	v_mov_b32_e32 v22, v20
	v_mov_b32_e32 v23, v21
	s_mov_b32 s4, 0
	v_or_b32_e32 v36, 32, v42
	v_and_b32_e32 v34, 56, v80
	s_and_b64 vcc, exec, s[18:19]
	global_store_dwordx4 v[30:31], v[26:29], off
	global_store_dwordx4 v[18:19], v[22:25], off
	s_cbranch_vccz .LBB465_31
; %bb.26:
	s_mov_b32 s6, s4
	s_mov_b32 s7, s4
	s_mov_b32 s5, s4
	v_mov_b64_e32 v[24:25], s[6:7]
	v_mov_b64_e32 v[22:23], s[4:5]
	;; [unrolled: 1-line block ×3, first 2 shown]
	v_cmp_gt_i32_e32 vcc, s46, v42
	v_mov_b64_e32 v[20:21], v[24:25]
	s_and_saveexec_b64 s[2:3], vcc
	s_cbranch_execz .LBB465_28
; %bb.27:
	v_lshlrev_b32_e32 v18, 8, v42
	v_mov_b32_e32 v19, 0
	v_lshl_add_u64 v[20:21], s[0:1], 0, v[18:19]
	v_lshlrev_b32_e32 v18, 1, v34
	v_lshl_add_u64 v[26:27], v[20:21], 0, v[18:19]
	global_load_dwordx4 v[22:25], v[26:27], off
	global_load_dwordx4 v[18:21], v[26:27], off offset:128
.LBB465_28:
	s_or_b64 exec, exec, s[2:3]
	s_mov_b32 s6, s4
	s_mov_b32 s7, s4
	;; [unrolled: 1-line block ×3, first 2 shown]
	v_mov_b64_e32 v[32:33], s[6:7]
	v_mov_b64_e32 v[30:31], s[4:5]
	;; [unrolled: 1-line block ×3, first 2 shown]
	v_cmp_gt_i32_e32 vcc, s46, v36
	v_lshlrev_b32_e32 v37, 7, v36
	v_mov_b64_e32 v[28:29], v[32:33]
	s_and_saveexec_b64 s[2:3], vcc
	s_cbranch_execz .LBB465_30
; %bb.29:
	v_lshlrev_b32_e32 v26, 1, v37
	v_mov_b32_e32 v27, 0
	v_lshl_add_u64 v[28:29], s[0:1], 0, v[26:27]
	v_lshlrev_b32_e32 v26, 1, v34
	v_lshl_add_u64 v[40:41], v[28:29], 0, v[26:27]
	global_load_dwordx4 v[30:33], v[40:41], off
	global_load_dwordx4 v[26:29], v[40:41], off offset:128
.LBB465_30:
	s_or_b64 exec, exec, s[2:3]
	v_lshrrev_b32_e32 v39, 3, v34
	v_lshlrev_b32_e32 v40, 3, v42
	v_or_b32_e32 v39, v40, v39
	v_lshlrev_b32_e32 v39, 4, v39
	v_and_b32_e32 v40, 0x78, v40
	v_xor_b32_e32 v39, v39, v40
	s_branch .LBB465_33
.LBB465_31:
                                        ; implicit-def: $vgpr39
                                        ; implicit-def: $vgpr37
                                        ; implicit-def: $vgpr22_vgpr23_vgpr24_vgpr25
                                        ; implicit-def: $vgpr18_vgpr19_vgpr20_vgpr21
                                        ; implicit-def: $vgpr30_vgpr31_vgpr32_vgpr33
                                        ; implicit-def: $vgpr26_vgpr27_vgpr28_vgpr29
	s_cbranch_execz .LBB465_33
; %bb.32:
	s_waitcnt vmcnt(0)
	v_lshlrev_b32_e32 v18, 1, v34
	v_lshl_or_b32 v37, v42, 8, v18
	s_and_b32 s1, s1, 0xffff
	s_mov_b32 s3, 0x20000
	s_movk_i32 s2, 0x4000
	v_lshl_or_b32 v39, v36, 8, v18
	s_movk_i32 s4, 0x80
	buffer_load_dwordx4 v[22:25], v37, s[0:3], 0 offen
	buffer_load_dwordx4 v[18:21], v37, s[0:3], s4 offen
	;; [unrolled: 1-line block ×4, first 2 shown]
	v_lshrrev_b32_e32 v37, 3, v34
	v_lshlrev_b32_e32 v39, 3, v42
	v_or_b32_e32 v37, v39, v37
	v_lshlrev_b32_e32 v37, 4, v37
	v_and_b32_e32 v39, 0x78, v39
	v_xor_b32_e32 v39, v37, v39
	v_lshlrev_b32_e32 v37, 7, v36
.LBB465_33:
	s_lshl_b64 s[0:1], s[44:45], 8
	s_add_u32 s4, s16, s0
	s_movk_i32 s0, 0x1000
	v_and_or_b32 v36, v37, s0, v39
	s_waitcnt vmcnt(1)
	ds_write_b64 v39, v[22:23] offset:24576
	v_xor_b32_e32 v22, 8, v39
	ds_write_b64 v22, v[24:25] offset:24576
	s_waitcnt vmcnt(0)
	ds_write_b64 v39, v[18:19] offset:32768
	ds_write_b64 v22, v[20:21] offset:32768
	;; [unrolled: 1-line block ×3, first 2 shown]
	v_xor_b32_e32 v18, 8, v36
	ds_write_b64 v18, v[32:33] offset:24576
	ds_write_b64 v36, v[26:27] offset:32768
	;; [unrolled: 1-line block ×3, first 2 shown]
	v_or_b32_e32 v18, v61, v79
	v_lshlrev_b32_e32 v18, 3, v18
	v_lshrrev_b32_e32 v19, 5, v63
	s_movk_i32 s2, 0xf8
	v_and_or_b32 v19, v18, s2, v19
	v_lshlrev_b32_e32 v23, 4, v19
	v_lshlrev_b32_e32 v39, 11, v1
	v_and_b32_e32 v24, 0x78, v18
	v_or_b32_e32 v26, 32, v23
	v_and_b32_e32 v22, 0x1000, v39
	v_lshrrev_b32_e32 v19, 1, v63
	v_xor_b32_e32 v26, v26, v24
	v_xor_b32_e32 v18, v23, v24
	v_and_b32_e32 v25, 8, v19
	v_or_b32_e32 v26, v26, v22
	v_or_b32_e32 v18, v18, v22
	v_xor_b32_e32 v44, v26, v25
	v_or_b32_e32 v26, 64, v23
	v_xor_b32_e32 v43, v18, v25
	v_xor_b32_e32 v26, v26, v24
	s_waitcnt lgkmcnt(0)
	s_barrier
	v_or_b32_e32 v28, v26, v22
	ds_read_b64 v[26:27], v43 offset:24576
	v_lshl_or_b32 v36, v78, 7, v38
	v_lshlrev_b32_e32 v40, 1, v36
	v_add_u32_e32 v18, 0xa000, v40
	ds_read2_b64 v[18:21], v18 offset1:16
	v_or_b32_e32 v23, 0x60, v23
	v_xor_b32_e32 v23, v23, v24
	s_waitcnt lgkmcnt(0)
	v_mfma_f32_16x16x16_bf16 a[0:3], v[26:27], v[18:19], 0
	v_or_b32_e32 v18, 64, v36
	v_or_b32_e32 v22, v23, v22
	v_lshlrev_b32_e32 v41, 1, v18
	v_xor_b32_e32 v45, v28, v25
	v_xor_b32_e32 v46, v22, v25
	ds_read_b64 v[28:29], v44 offset:24576
	ds_read_b64 v[30:31], v45 offset:24576
	;; [unrolled: 1-line block ×3, first 2 shown]
	v_mfma_f32_16x16x16_bf16 a[4:7], v[26:27], v[20:21], 0
	ds_read2st64_b64 v[18:21], v41 offset0:82 offset1:84
	ds_read2st64_b64 v[22:25], v40 offset0:82 offset1:84
	s_addc_u32 s5, s17, s1
	s_add_i32 s0, s51, s49
	s_add_i32 s16, s35, -1
	s_add_i32 s41, s0, s52
	s_add_i32 s0, s53, s50
	;; [unrolled: 1-line block ×3, first 2 shown]
	s_ashr_i32 s0, s16, 31
	s_mul_i32 s1, s16, s11
	s_mul_hi_u32 s2, s16, s10
	s_add_i32 s1, s2, s1
	s_mul_i32 s0, s0, s10
	s_waitcnt lgkmcnt(1)
	v_mfma_f32_16x16x16_bf16 a[4:7], v[28:29], v[18:19], a[4:7]
	s_add_i32 s1, s1, s0
	s_lshl_b64 s[2:3], s[40:41], 2
	s_add_u32 s6, s22, s2
	s_waitcnt lgkmcnt(0)
	v_mfma_f32_16x16x16_bf16 a[0:3], v[28:29], v[22:23], a[0:3]
	s_addc_u32 s7, s23, s3
	s_lshl_b64 s[2:3], s[42:43], 2
	s_mul_i32 s0, s16, s10
	s_add_u32 s12, s6, s2
	ds_read_b64 v[18:19], v40 offset:44032
	v_mfma_f32_16x16x16_bf16 a[4:7], v[30:31], v[20:21], a[4:7]
	ds_read_b64 v[20:21], v41 offset:44032
	s_addc_u32 s13, s7, s3
	s_lshl_b64 s[0:1], s[0:1], 2
	v_mfma_f32_16x16x16_bf16 a[0:3], v[30:31], v[24:25], a[0:3]
	s_add_u32 s0, s12, s0
	s_addc_u32 s1, s13, s1
	s_load_dword s17, s[0:1], 0x0
	s_waitcnt lgkmcnt(0)
	v_mfma_f32_16x16x16_bf16 a[0:3], v[32:33], v[18:19], a[0:3]
	s_and_b64 vcc, exec, s[38:39]
	v_mfma_f32_16x16x16_bf16 a[4:7], v[32:33], v[20:21], a[4:7]
	s_cbranch_vccz .LBB465_44
; %bb.34:
	v_lshlrev_b32_e32 v36, 1, v42
	s_and_b64 vcc, exec, s[18:19]
	s_cbranch_vccz .LBB465_45
; %bb.35:
	v_cmp_gt_i32_e32 vcc, s46, v36
	v_mov_b32_e32 v22, 0
	v_mov_b32_e32 v18, 0
	;; [unrolled: 1-line block ×5, first 2 shown]
	s_and_saveexec_b64 s[0:1], vcc
	s_cbranch_execz .LBB465_37
; %bb.36:
	v_mad_i64_i32 v[18:19], s[2:3], s31, v36, 0
	v_lshl_add_u64 v[18:19], v[18:19], 1, s[4:5]
	v_lshlrev_b32_e32 v20, 1, v34
	v_mov_b32_e32 v21, 0
	v_lshl_add_u64 v[18:19], v[18:19], 0, v[20:21]
	global_load_dwordx4 v[18:21], v[18:19], off
.LBB465_37:
	s_or_b64 exec, exec, s[0:1]
	v_or_b32_e32 v37, 1, v36
	v_cmp_gt_i32_e64 s[0:1], s46, v37
	v_mov_b32_e32 v23, 0
	v_mov_b32_e32 v24, 0
	;; [unrolled: 1-line block ×3, first 2 shown]
	s_and_saveexec_b64 s[2:3], s[0:1]
	s_cbranch_execz .LBB465_39
; %bb.38:
	v_mad_i64_i32 v[22:23], s[6:7], s31, v37, 0
	v_lshl_add_u64 v[22:23], v[22:23], 1, s[4:5]
	v_lshlrev_b32_e32 v24, 1, v34
	v_mov_b32_e32 v25, 0
	v_lshl_add_u64 v[22:23], v[22:23], 0, v[24:25]
	global_load_dwordx4 v[22:25], v[22:23], off
.LBB465_39:
	s_or_b64 exec, exec, s[2:3]
	v_mov_b32_e32 v33, 0
	v_mov_b32_e32 v26, 0
	;; [unrolled: 1-line block ×5, first 2 shown]
	s_and_saveexec_b64 s[2:3], vcc
	s_cbranch_execz .LBB465_41
; %bb.40:
	v_mad_i64_i32 v[26:27], s[6:7], s31, v36, 0
	v_lshl_add_u64 v[26:27], v[26:27], 1, s[4:5]
	v_lshlrev_b32_e32 v28, 1, v34
	v_mov_b32_e32 v29, 0
	v_lshl_add_u64 v[26:27], v[26:27], 0, v[28:29]
	global_load_dwordx4 v[26:29], v[26:27], off offset:128
.LBB465_41:
	s_or_b64 exec, exec, s[2:3]
	v_mov_b32_e32 v32, 0
	v_mov_b32_e32 v31, 0
	;; [unrolled: 1-line block ×3, first 2 shown]
	s_and_saveexec_b64 s[2:3], s[0:1]
	s_cbranch_execz .LBB465_43
; %bb.42:
	v_mad_i64_i32 v[30:31], s[0:1], s31, v37, 0
	v_lshl_add_u64 v[30:31], v[30:31], 1, s[4:5]
	v_lshlrev_b32_e32 v32, 1, v34
	v_mov_b32_e32 v33, 0
	v_lshl_add_u64 v[30:31], v[30:31], 0, v[32:33]
	global_load_dwordx4 v[30:33], v[30:31], off offset:128
.LBB465_43:
	s_or_b64 exec, exec, s[2:3]
	s_branch .LBB465_47
.LBB465_44:
                                        ; implicit-def: $vgpr21
                                        ; implicit-def: $vgpr25
                                        ; implicit-def: $vgpr29
                                        ; implicit-def: $vgpr33
	v_lshrrev_b32_e32 v47, 2, v63
	s_branch .LBB465_48
.LBB465_45:
                                        ; implicit-def: $vgpr21
                                        ; implicit-def: $vgpr25
                                        ; implicit-def: $vgpr29
                                        ; implicit-def: $vgpr33
	s_cbranch_execz .LBB465_47
; %bb.46:
	s_waitcnt vmcnt(0)
	v_mad_u64_u32 v[18:19], s[0:1], v36, s31, v[34:35]
	v_lshlrev_b32_e32 v36, 1, v18
	s_lshl_b32 s2, s31, 7
	s_and_b32 s1, s5, 0xffff
	s_mov_b32 s3, 0x20000
	s_mov_b32 s0, s4
	v_add_lshl_u32 v37, v18, s31, 1
	s_movk_i32 s6, 0x80
	buffer_load_dwordx4 v[18:21], v36, s[0:3], 0 offen
	buffer_load_dwordx4 v[26:29], v36, s[0:3], s6 offen
	;; [unrolled: 1-line block ×4, first 2 shown]
.LBB465_47:
	v_lshrrev_b32_e32 v47, 2, v63
	s_cbranch_execnz .LBB465_60
.LBB465_48:
	s_and_b64 vcc, exec, s[18:19]
	s_cbranch_vccz .LBB465_58
; %bb.49:
	s_waitcnt vmcnt(0)
	v_lshlrev_b32_e32 v23, 1, v42
	v_cmp_gt_i32_e32 vcc, s46, v23
	v_mov_b32_e32 v22, 0
	v_lshlrev_b32_e32 v30, 9, v42
	v_mov_b32_e32 v18, 0
	v_mov_b32_e32 v19, 0
	;; [unrolled: 1-line block ×4, first 2 shown]
	s_and_saveexec_b64 s[0:1], vcc
	s_cbranch_execz .LBB465_51
; %bb.50:
	v_mov_b32_e32 v31, 0
	v_lshl_add_u64 v[18:19], s[4:5], 0, v[30:31]
	v_lshlrev_b32_e32 v20, 1, v34
	v_mov_b32_e32 v21, v31
	v_lshl_add_u64 v[18:19], v[18:19], 0, v[20:21]
	global_load_dwordx4 v[18:21], v[18:19], off
.LBB465_51:
	s_or_b64 exec, exec, s[0:1]
	v_or_b32_e32 v23, 1, v23
	v_cmp_gt_i32_e64 s[0:1], s46, v23
	v_lshlrev_b32_e32 v36, 8, v23
	v_mov_b32_e32 v23, 0
	v_mov_b32_e32 v24, 0
	;; [unrolled: 1-line block ×3, first 2 shown]
	s_and_saveexec_b64 s[2:3], s[0:1]
	s_cbranch_execz .LBB465_53
; %bb.52:
	v_mov_b32_e32 v37, 0
	v_lshl_add_u64 v[22:23], s[4:5], 0, v[36:37]
	v_lshlrev_b32_e32 v24, 1, v34
	v_mov_b32_e32 v25, v37
	v_lshl_add_u64 v[22:23], v[22:23], 0, v[24:25]
	global_load_dwordx4 v[22:25], v[22:23], off
.LBB465_53:
	s_or_b64 exec, exec, s[2:3]
	v_mov_b32_e32 v33, 0
	v_mov_b32_e32 v26, 0
	;; [unrolled: 1-line block ×5, first 2 shown]
	s_and_saveexec_b64 s[2:3], vcc
	s_cbranch_execz .LBB465_55
; %bb.54:
	v_mov_b32_e32 v31, 0
	v_lshl_add_u64 v[26:27], s[4:5], 0, v[30:31]
	v_lshlrev_b32_e32 v30, 1, v34
	v_lshl_add_u64 v[26:27], v[26:27], 0, v[30:31]
	global_load_dwordx4 v[26:29], v[26:27], off offset:128
.LBB465_55:
	s_or_b64 exec, exec, s[2:3]
	v_mov_b32_e32 v32, 0
	v_mov_b32_e32 v31, 0
	;; [unrolled: 1-line block ×3, first 2 shown]
	s_and_saveexec_b64 s[2:3], s[0:1]
	s_cbranch_execz .LBB465_57
; %bb.56:
	v_mov_b32_e32 v37, 0
	v_lshl_add_u64 v[30:31], s[4:5], 0, v[36:37]
	v_lshlrev_b32_e32 v36, 1, v34
	v_lshl_add_u64 v[30:31], v[30:31], 0, v[36:37]
	global_load_dwordx4 v[30:33], v[30:31], off offset:128
.LBB465_57:
	s_or_b64 exec, exec, s[2:3]
	s_branch .LBB465_60
.LBB465_58:
                                        ; implicit-def: $vgpr21
                                        ; implicit-def: $vgpr25
                                        ; implicit-def: $vgpr29
                                        ; implicit-def: $vgpr33
	s_cbranch_execz .LBB465_60
; %bb.59:
	s_waitcnt vmcnt(0)
	v_lshlrev_b32_e32 v18, 1, v34
	v_lshl_or_b32 v34, v42, 9, v18
	s_and_b32 s5, s5, 0xffff
	s_mov_b32 s7, 0x20000
	s_movk_i32 s6, 0x4000
	s_movk_i32 s0, 0x80
	buffer_load_dwordx4 v[18:21], v34, s[4:7], 0 offen
	buffer_load_dwordx4 v[22:25], v34, s[4:7], 0 offen offset:256
	buffer_load_dwordx4 v[26:29], v34, s[4:7], s0 offen
	buffer_load_dwordx4 v[30:33], v34, s[4:7], s0 offen offset:256
.LBB465_60:
	ds_read_b64 v[36:37], v43 offset:32768
	v_add_u32_e32 v34, 0xb000, v40
	ds_read2_b64 v[48:51], v34 offset1:16
	ds_read_b64 v[56:57], v44 offset:32768
	ds_read_b64 v[44:45], v45 offset:32768
	;; [unrolled: 1-line block ×3, first 2 shown]
	ds_read2st64_b64 v[52:55], v41 offset0:90 offset1:92
	v_and_b32_e32 v43, 6, v0
	v_and_b32_e32 v34, 12, v47
	v_xor_b32_e32 v42, v42, v43
	v_lshlrev_b32_e32 v42, 2, v42
	s_mov_b32 s0, 0x1000504
	s_waitcnt lgkmcnt(4)
	v_mfma_f32_16x16x16_bf16 a[0:3], v[36:37], v[48:49], a[0:3]
	s_mov_b32 s1, 0x3020706
	v_mfma_f32_16x16x16_bf16 a[4:7], v[36:37], v[50:51], a[4:7]
	ds_read2st64_b64 v[48:51], v40 offset0:90 offset1:92
	ds_read_b64 v[36:37], v40 offset:48128
	ds_read_b64 v[46:47], v41 offset:48128
	s_waitcnt lgkmcnt(2)
	v_mfma_f32_16x16x16_bf16 a[0:3], v[56:57], v[48:49], a[0:3]
	v_and_b32_e32 v48, 1, v0
	v_xor_b32_e32 v49, 0x440, v42
	v_cmp_eq_u32_e32 vcc, 0, v48
	v_mfma_f32_16x16x16_bf16 a[4:7], v[56:57], v[52:53], a[4:7]
	s_nop 0
	v_cndmask_b32_e32 v42, v49, v42, vcc
	v_lshl_or_b32 v42, v43, 10, v42
	v_mfma_f32_16x16x16_bf16 a[0:3], v[44:45], v[50:51], a[0:3]
	v_mov_b32_e32 v43, 0
	v_mfma_f32_16x16x16_bf16 a[8:11], v[44:45], v[54:55], a[4:7]
	s_waitcnt lgkmcnt(1)
	v_mfma_f32_16x16x16_bf16 a[4:7], v[58:59], v[36:37], a[0:3]
	s_waitcnt vmcnt(0)
	v_perm_b32 v36, v18, v22, s0
	v_perm_b32 v37, v26, v30, s0
	ds_write2st64_b32 v42, v36, v37 offset0:32 offset1:64
	v_xor_b32_e32 v36, 8, v42
	v_perm_b32 v18, v18, v22, s1
	v_perm_b32 v22, v26, v30, s1
	v_add_u32_e32 v26, 0x80, v36
	ds_write2st64_b32 v26, v18, v22 offset0:32 offset1:64
	v_xor_b32_e32 v18, 16, v42
	v_perm_b32 v22, v19, v23, s0
	v_perm_b32 v26, v27, v31, s0
	ds_write2st64_b32 v18, v22, v26 offset0:33 offset1:65
	v_xor_b32_e32 v18, 24, v42
	v_perm_b32 v19, v19, v23, s1
	v_perm_b32 v22, v27, v31, s1
	v_add_u32_e32 v18, 0x80, v18
	ds_write2st64_b32 v18, v19, v22 offset0:33 offset1:65
	v_xor_b32_e32 v18, 32, v42
	v_perm_b32 v19, v20, v24, s0
	v_perm_b32 v22, v28, v32, s0
	ds_write2st64_b32 v18, v19, v22 offset0:34 offset1:66
	v_xor_b32_e32 v18, 40, v42
	s_waitcnt lgkmcnt(5)
	v_mfma_f32_16x16x16_bf16 a[0:3], v[58:59], v[46:47], a[8:11]
	v_perm_b32 v19, v20, v24, s1
	v_perm_b32 v20, v28, v32, s1
	v_add_u32_e32 v18, 0x80, v18
	ds_write2st64_b32 v18, v19, v20 offset0:34 offset1:66
	v_xor_b32_e32 v18, 48, v42
	v_perm_b32 v19, v21, v25, s0
	v_perm_b32 v20, v29, v33, s0
	ds_write2st64_b32 v18, v19, v20 offset0:35 offset1:67
	v_xor_b32_e32 v18, 56, v42
	v_or_b32_e32 v36, v34, v61
	v_perm_b32 v19, v21, v25, s1
	v_perm_b32 v20, v29, v33, s1
	v_add_u32_e32 v18, 0x80, v18
	v_cmp_gt_i32_e32 vcc, s46, v36
	v_mov_b32_e32 v37, 0
	ds_write2st64_b32 v18, v19, v20 offset0:35 offset1:67
	s_and_saveexec_b64 s[0:1], vcc
	s_cbranch_execz .LBB465_62
; %bb.61:
	v_add_u32_e32 v18, s34, v36
	v_ashrrev_i32_e32 v19, 31, v18
	v_mul_lo_u32 v20, v19, s10
	v_mul_lo_u32 v21, v18, s11
	v_mad_u64_u32 v[18:19], s[2:3], v18, s10, 0
	v_add3_u32 v19, v19, v21, v20
	v_lshl_add_u64 v[18:19], v[18:19], 2, s[12:13]
	global_load_dword v18, v[18:19], off
	s_waitcnt vmcnt(0)
	v_sub_f32_e32 v18, s17, v18
	v_mul_f32_e32 v18, 0x3fb8aa3b, v18
	v_exp_f32_e32 v43, v18
.LBB465_62:
	s_or_b64 exec, exec, s[0:1]
	v_or_b32_e32 v29, 1, v36
	v_cmp_gt_i32_e64 s[0:1], s46, v29
	s_and_saveexec_b64 s[2:3], s[0:1]
	s_cbranch_execz .LBB465_64
; %bb.63:
	v_add_u32_e32 v18, s34, v29
	v_ashrrev_i32_e32 v19, 31, v18
	v_mul_lo_u32 v20, v19, s10
	v_mul_lo_u32 v21, v18, s11
	v_mad_u64_u32 v[18:19], s[4:5], v18, s10, 0
	v_add3_u32 v19, v19, v21, v20
	v_lshl_add_u64 v[18:19], v[18:19], 2, s[12:13]
	global_load_dword v18, v[18:19], off
	s_waitcnt vmcnt(0)
	v_sub_f32_e32 v18, s17, v18
	v_mul_f32_e32 v18, 0x3fb8aa3b, v18
	v_exp_f32_e32 v37, v18
.LBB465_64:
	s_or_b64 exec, exec, s[2:3]
	v_or_b32_e32 v28, 2, v36
	v_cmp_gt_i32_e64 s[2:3], s46, v28
	v_mov_b32_e32 v42, 0
	v_mov_b32_e32 v44, 0
	s_and_saveexec_b64 s[4:5], s[2:3]
	s_cbranch_execz .LBB465_66
; %bb.65:
	v_add_u32_e32 v18, s34, v28
	v_ashrrev_i32_e32 v19, 31, v18
	v_mul_lo_u32 v20, v19, s10
	v_mul_lo_u32 v21, v18, s11
	v_mad_u64_u32 v[18:19], s[6:7], v18, s10, 0
	v_add3_u32 v19, v19, v21, v20
	v_lshl_add_u64 v[18:19], v[18:19], 2, s[12:13]
	global_load_dword v18, v[18:19], off
	s_waitcnt vmcnt(0)
	v_sub_f32_e32 v18, s17, v18
	v_mul_f32_e32 v18, 0x3fb8aa3b, v18
	v_exp_f32_e32 v44, v18
.LBB465_66:
	s_or_b64 exec, exec, s[4:5]
	v_or_b32_e32 v45, 3, v36
	v_cmp_gt_i32_e64 s[4:5], s46, v45
	s_and_saveexec_b64 s[6:7], s[4:5]
	s_cbranch_execz .LBB465_68
; %bb.67:
	v_add_u32_e32 v18, s34, v45
	v_ashrrev_i32_e32 v19, 31, v18
	v_mul_lo_u32 v20, v19, s10
	v_mul_lo_u32 v21, v18, s11
	v_mad_u64_u32 v[18:19], s[10:11], v18, s10, 0
	v_add3_u32 v19, v19, v21, v20
	v_lshl_add_u64 v[18:19], v[18:19], 2, s[12:13]
	global_load_dword v18, v[18:19], off
	s_waitcnt vmcnt(0)
	v_sub_f32_e32 v18, s17, v18
	v_mul_f32_e32 v18, 0x3fb8aa3b, v18
	v_exp_f32_e32 v42, v18
.LBB465_68:
	s_or_b64 exec, exec, s[6:7]
	s_add_u32 s6, s20, s36
	s_addc_u32 s7, s21, s37
	s_add_u32 s10, s14, s36
	v_ashrrev_i32_e32 v69, 31, v68
	v_accvgpr_read_b32 v21, a7
	s_addc_u32 s11, s15, s37
	v_lshlrev_b64 v[22:23], 1, v[68:69]
	v_accvgpr_read_b32 v20, a6
	v_accvgpr_read_b32 v19, a5
	;; [unrolled: 1-line block ×3, first 2 shown]
	v_lshl_add_u64 v[24:25], s[6:7], 0, v[22:23]
	v_lshl_add_u64 v[22:23], s[10:11], 0, v[22:23]
	v_mov_b32_e32 v31, 0
	v_lshlrev_b32_e32 v26, 8, v36
	v_mov_b32_e32 v27, 0
	s_and_saveexec_b64 s[6:7], vcc
	s_cbranch_execz .LBB465_70
; %bb.69:
	v_mov_b32_e32 v27, 0
	v_lshl_add_u64 v[32:33], v[24:25], 0, v[26:27]
	global_load_ushort v30, v[32:33], off
	v_lshl_add_u64 v[32:33], v[22:23], 0, v[26:27]
	s_waitcnt vmcnt(0)
	v_lshlrev_b32_e32 v27, 16, v30
	v_sub_f32_e32 v18, v27, v18
	global_store_short_d16_hi v[32:33], v18, off
	v_mul_f32_e32 v18, v43, v18
	v_lshrrev_b32_e32 v27, 16, v18
.LBB465_70:
	s_or_b64 exec, exec, s[6:7]
	v_lshlrev_b32_e32 v30, 8, v29
	s_and_saveexec_b64 s[6:7], s[0:1]
	s_cbranch_execz .LBB465_72
; %bb.71:
	v_mov_b32_e32 v31, 0
	v_lshl_add_u64 v[32:33], v[24:25], 0, v[30:31]
	global_load_ushort v18, v[32:33], off
	v_lshl_add_u64 v[32:33], v[22:23], 0, v[30:31]
	s_waitcnt vmcnt(0)
	v_lshlrev_b32_e32 v18, 16, v18
	v_sub_f32_e32 v18, v18, v19
	global_store_short_d16_hi v[32:33], v18, off
	v_mul_f32_e32 v18, v37, v18
	v_lshrrev_b32_e32 v31, 16, v18
.LBB465_72:
	s_or_b64 exec, exec, s[6:7]
	v_mov_b32_e32 v29, 0
	v_lshlrev_b32_e32 v32, 8, v28
	v_mov_b32_e32 v33, 0
	s_and_saveexec_b64 s[6:7], s[2:3]
	s_cbranch_execz .LBB465_74
; %bb.73:
	v_mov_b32_e32 v33, 0
	v_lshl_add_u64 v[18:19], v[24:25], 0, v[32:33]
	global_load_ushort v28, v[18:19], off
	v_lshl_add_u64 v[18:19], v[22:23], 0, v[32:33]
	s_waitcnt vmcnt(0)
	v_lshlrev_b32_e32 v28, 16, v28
	v_sub_f32_e32 v20, v28, v20
	global_store_short_d16_hi v[18:19], v20, off
	v_mul_f32_e32 v18, v44, v20
	v_lshrrev_b32_e32 v33, 16, v18
.LBB465_74:
	s_or_b64 exec, exec, s[6:7]
	v_lshlrev_b32_e32 v28, 8, v45
	s_and_saveexec_b64 s[6:7], s[4:5]
	s_cbranch_execz .LBB465_76
; %bb.75:
	v_mov_b32_e32 v29, 0
	v_lshl_add_u64 v[18:19], v[24:25], 0, v[28:29]
	global_load_ushort v20, v[18:19], off
	v_lshl_add_u64 v[18:19], v[22:23], 0, v[28:29]
	s_waitcnt vmcnt(0)
	v_lshlrev_b32_e32 v20, 16, v20
	v_sub_f32_e32 v20, v20, v21
	global_store_short_d16_hi v[18:19], v20, off
	v_mul_f32_e32 v18, v42, v20
	v_lshrrev_b32_e32 v29, 16, v18
.LBB465_76:
	s_or_b64 exec, exec, s[6:7]
	v_lshlrev_b32_e32 v45, 5, v36
	s_mov_b32 s6, 0x5040100
	v_perm_b32 v46, v31, v27, s6
	v_or_b32_e32 v27, v45, v38
	v_accvgpr_read_b32 v21, a3
	v_perm_b32 v47, v29, v33, s6
	v_lshlrev_b32_e32 v27, 1, v27
	v_accvgpr_read_b32 v20, a2
	v_accvgpr_read_b32 v19, a1
	;; [unrolled: 1-line block ×3, first 2 shown]
	ds_write_b64 v27, v[46:47] offset:45056
	v_mov_b32_e32 v31, 0
	v_mov_b32_e32 v27, 0
	s_and_saveexec_b64 s[6:7], vcc
	s_cbranch_execz .LBB465_78
; %bb.77:
	v_mov_b32_e32 v27, 0
	v_lshl_add_u64 v[46:47], v[24:25], 0, v[26:27]
	global_load_ushort v29, v[46:47], off offset:32
	v_lshl_add_u64 v[26:27], v[22:23], 0, v[26:27]
	s_waitcnt vmcnt(0)
	v_lshlrev_b32_e32 v29, 16, v29
	v_sub_f32_e32 v18, v29, v18
	global_store_short_d16_hi v[26:27], v18, off offset:32
	v_mul_f32_e32 v18, v43, v18
	v_lshrrev_b32_e32 v27, 16, v18
.LBB465_78:
	s_or_b64 exec, exec, s[6:7]
	s_and_saveexec_b64 s[6:7], s[0:1]
	s_cbranch_execz .LBB465_80
; %bb.79:
	v_mov_b32_e32 v31, 0
	v_lshl_add_u64 v[46:47], v[24:25], 0, v[30:31]
	global_load_ushort v18, v[46:47], off offset:32
	v_lshl_add_u64 v[30:31], v[22:23], 0, v[30:31]
	s_waitcnt vmcnt(0)
	v_lshlrev_b32_e32 v18, 16, v18
	v_sub_f32_e32 v18, v18, v19
	global_store_short_d16_hi v[30:31], v18, off offset:32
	v_mul_f32_e32 v18, v37, v18
	v_lshrrev_b32_e32 v31, 16, v18
.LBB465_80:
	s_or_b64 exec, exec, s[6:7]
	v_mov_b32_e32 v26, 0
	v_mov_b32_e32 v30, 0
	s_and_saveexec_b64 s[0:1], s[2:3]
	s_cbranch_execz .LBB465_82
; %bb.81:
	v_mov_b32_e32 v33, 0
	v_lshl_add_u64 v[18:19], v[24:25], 0, v[32:33]
	global_load_ushort v29, v[18:19], off offset:32
	v_lshl_add_u64 v[18:19], v[22:23], 0, v[32:33]
	s_waitcnt vmcnt(0)
	v_lshlrev_b32_e32 v29, 16, v29
	v_sub_f32_e32 v20, v29, v20
	global_store_short_d16_hi v[18:19], v20, off offset:32
	v_mul_f32_e32 v18, v44, v20
	v_lshrrev_b32_e32 v30, 16, v18
.LBB465_82:
	s_or_b64 exec, exec, s[0:1]
	v_or_b32_e32 v19, 0xb000, v40
	v_or_b32_e32 v18, 0xb000, v41
	s_and_saveexec_b64 s[0:1], s[4:5]
	s_cbranch_execz .LBB465_84
; %bb.83:
	v_mov_b32_e32 v29, 0
	v_lshl_add_u64 v[24:25], v[24:25], 0, v[28:29]
	global_load_ushort v20, v[24:25], off offset:32
	v_lshl_add_u64 v[22:23], v[22:23], 0, v[28:29]
	s_waitcnt vmcnt(0)
	v_lshlrev_b32_e32 v20, 16, v20
	v_sub_f32_e32 v20, v20, v21
	global_store_short_d16_hi v[22:23], v20, off offset:32
	v_mul_f32_e32 v20, v42, v20
	v_lshrrev_b32_e32 v26, 16, v20
.LBB465_84:
	s_or_b64 exec, exec, s[0:1]
	s_mov_b32 s0, 0x5040100
	v_or_b32_e32 v22, v45, v35
	v_perm_b32 v21, v26, v30, s0
	v_perm_b32 v20, v31, v27, s0
	v_lshlrev_b32_e32 v22, 1, v22
	s_movk_i32 s2, 0x100
	ds_write_b64 v22, v[20:21] offset:45056
	v_and_b32_e32 v20, 7, v0
	v_and_b32_e32 v21, 8, v0
	v_cmp_gt_u32_e32 vcc, s2, v0
	v_lshrrev_b32_e32 v0, 1, v0
	v_lshlrev_b32_e32 v26, 3, v20
	v_lshlrev_b32_e32 v48, 7, v20
	v_mov_b32_e32 v20, 0x4000
	v_mov_b32_e32 v22, 0x2000
	v_lshlrev_b32_e32 v24, 3, v1
	v_and_b32_e32 v0, 24, v0
	v_cndmask_b32_e32 v27, v20, v22, vcc
	v_xor_b32_e32 v20, v24, v0
	v_or_b32_e32 v22, 0x440, v20
	v_cmp_eq_u32_e32 vcc, 0, v21
	v_or_b32_e32 v28, 32, v0
	v_xor_b32_e32 v28, v24, v28
	v_cndmask_b32_e32 v20, v22, v20, vcc
	v_or_b32_e32 v20, v20, v39
	v_xor_b32_e32 v49, v20, v26
	v_or_b32_e32 v29, 0x440, v28
	v_add3_u32 v25, v27, v49, v48
	v_cndmask_b32_e32 v28, v29, v28, vcc
	v_or_b32_e32 v29, 64, v0
	v_or_b32_e32 v0, 0x60, v0
	s_waitcnt lgkmcnt(0)
	s_barrier
	v_xor_b32_e32 v29, v24, v29
	v_xor_b32_e32 v0, v24, v0
	ds_read_b64 v[24:25], v25
	v_xor_b32_e32 v30, 0x440, v29
	ds_read2_b64 v[20:23], v19 offset1:16
	v_cndmask_b32_e32 v29, v30, v29, vcc
	v_xor_b32_e32 v30, 0x440, v0
	v_or_b32_e32 v28, v28, v39
	v_or_b32_e32 v29, v29, v39
	v_cndmask_b32_e32 v0, v30, v0, vcc
	v_xor_b32_e32 v50, v28, v26
	v_xor_b32_e32 v51, v29, v26
	v_or_b32_e32 v0, v0, v39
	v_add3_u32 v28, v27, v50, v48
	v_add3_u32 v29, v27, v51, v48
	v_xor_b32_e32 v52, v0, v26
	s_mul_i32 s0, s16, s29
	s_mul_hi_i32 s1, s16, s29
	v_add3_u32 v0, v27, v52, v48
	ds_read_b64 v[26:27], v28
	ds_read_b64 v[42:43], v29
	;; [unrolled: 1-line block ×3, first 2 shown]
	s_add_u32 s0, s0, s33
	ds_read2st64_b64 v[28:31], v19 offset0:2 offset1:4
	ds_read2st64_b64 v[38:41], v18 offset0:2 offset1:4
	s_waitcnt lgkmcnt(5)
	v_mfma_f32_16x16x16_bf16 a[0:3], v[24:25], v[20:21], 0
	s_addc_u32 s1, s1, s48
	s_lshl_b64 s[0:1], s[0:1], 9
	s_add_u32 s0, s8, s0
	v_mfma_f32_16x16x16_bf16 a[4:7], v[24:25], v[22:23], 0
	s_addc_u32 s1, s9, s1
	v_lshlrev_b32_e32 v0, 2, v36
	ds_read_b64 v[36:37], v19 offset:3072
	ds_read_b64 v[46:47], v18 offset:3072
	s_waitcnt lgkmcnt(3)
	v_mfma_f32_16x16x16_bf16 a[0:3], v[26:27], v[28:29], a[0:3]
	s_waitcnt lgkmcnt(2)
	v_mfma_f32_16x16x16_bf16 a[4:7], v[26:27], v[38:39], a[4:7]
	global_load_dwordx4 v[24:27], v0, s[0:1]
	v_lshlrev_b32_e32 v0, 6, v1
	v_lshlrev_b32_e32 v1, 2, v34
	v_or3_b32 v0, v0, v1, s2
	global_load_dwordx4 v[32:35], v0, s[0:1]
	v_mfma_f32_16x16x16_bf16 a[0:3], v[42:43], v[30:31], a[0:3]
	v_mov_b32_e32 v0, 0x3fb8aa3b
	v_mul_f32_e32 v0, s17, v0
	s_waitcnt vmcnt(1)
	v_mul_f32_e32 v18, 0x3fb8aa3b, v26
	v_mfma_f32_16x16x16_bf16 a[4:7], v[42:43], v[40:41], a[4:7]
	v_exp_f32_e32 v42, v0
	v_mul_f32_e32 v0, 0x3fb8aa3b, v24
	v_exp_f32_e32 v24, v18
	s_waitcnt lgkmcnt(1)
	v_mfma_f32_16x16x16_bf16 a[0:3], v[44:45], v[36:37], a[0:3]
	v_add_u32_e32 v18, v49, v48
	v_mul_f32_e32 v19, 0x3fb8aa3b, v27
	v_mul_f32_e32 v1, 0x3fb8aa3b, v25
	v_exp_f32_e32 v0, v0
	v_exp_f32_e32 v1, v1
	;; [unrolled: 1-line block ×3, first 2 shown]
	v_pk_mul_f32 v[0:1], v[42:43], v[0:1] op_sel_hi:[0,1]
	v_accvgpr_read_b32 v27, a3
	v_accvgpr_read_b32 v26, a2
	s_waitcnt lgkmcnt(0)
	v_mfma_f32_16x16x16_bf16 a[2:5], v[44:45], v[46:47], a[4:7]
	ds_read_b64 v[44:45], v18 offset:16384
	v_accvgpr_read_b32 v19, a1
	v_accvgpr_read_b32 v18, a0
	v_pk_fma_f32 v[18:19], v[2:3], v[0:1], v[18:19]
	v_add_u32_e32 v2, v50, v48
	v_add_u32_e32 v50, v52, v48
	s_waitcnt lgkmcnt(0)
	v_mfma_f32_16x16x16_bf16 a[6:9], v[44:45], v[20:21], 0
	v_add_u32_e32 v43, v51, v48
	ds_read_b64 v[2:3], v2 offset:16384
	ds_read_b64 v[48:49], v43 offset:16384
	ds_read_b64 v[50:51], v50 offset:16384
	v_pk_mul_f32 v[24:25], v[42:43], v[24:25] op_sel_hi:[0,1]
	v_pk_fma_f32 v[20:21], v[4:5], v[24:25], v[26:27]
	v_accvgpr_read_b32 v4, a2
	v_mfma_f32_16x16x16_bf16 a[10:13], v[44:45], v[22:23], 0
	v_fma_f32 v26, v10, v0, v4
	v_accvgpr_read_b32 v0, a3
	v_fma_f32 v27, v11, v1, v0
	s_waitcnt lgkmcnt(2)
	v_mfma_f32_16x16x16_bf16 a[0:3], v[2:3], v[28:29], a[6:9]
	v_accvgpr_read_b32 v0, a4
	v_accvgpr_read_b32 v29, a5
	v_fma_f32 v28, v12, v24, v0
	v_mfma_f32_16x16x16_bf16 a[4:7], v[2:3], v[38:39], a[10:13]
	s_waitcnt vmcnt(0)
	v_mov_b32_e32 v0, v33
	v_mov_b32_e32 v1, v34
	;; [unrolled: 1-line block ×3, first 2 shown]
	s_waitcnt lgkmcnt(1)
	v_mfma_f32_16x16x16_bf16 a[0:3], v[48:49], v[30:31], a[0:3]
	v_mul_f32_e32 v0, 0x3fb8aa3b, v0
	v_exp_f32_e32 v5, v0
	v_mul_f32_e32 v0, 0x3fb8aa3b, v1
	v_mfma_f32_16x16x16_bf16 a[4:7], v[48:49], v[40:41], a[4:7]
	v_mul_f32_e32 v1, 0x3fb8aa3b, v2
	v_mul_f32_e32 v3, 0x3fb8aa3b, v32
	v_exp_f32_e32 v0, v0
	s_waitcnt lgkmcnt(0)
	v_mfma_f32_16x16x16_bf16 a[0:3], v[50:51], v[36:37], a[0:3]
	v_exp_f32_e32 v1, v1
	v_exp_f32_e32 v4, v3
	v_fmac_f32_e32 v29, v13, v25
	v_pk_mul_f32 v[0:1], v[42:43], v[0:1] op_sel_hi:[0,1]
	v_pk_mul_f32 v[4:5], v[42:43], v[4:5] op_sel_hi:[0,1]
	s_nop 1
	v_accvgpr_read_b32 v3, a3
	v_accvgpr_read_b32 v2, a2
	v_mfma_f32_16x16x16_bf16 a[2:5], v[50:51], v[46:47], a[4:7]
	v_pk_fma_f32 v[24:25], v[8:9], v[0:1], v[2:3]
	v_accvgpr_read_b32 v11, a1
	v_accvgpr_read_b32 v10, a0
	v_pk_fma_f32 v[22:23], v[6:7], v[4:5], v[10:11]
	s_nop 2
	v_accvgpr_read_b32 v2, a2
	v_fma_f32 v30, v14, v4, v2
	v_accvgpr_read_b32 v2, a3
	v_fma_f32 v31, v15, v5, v2
	v_accvgpr_read_b32 v2, a4
	v_accvgpr_read_b32 v33, a5
	v_fma_f32 v32, v16, v0, v2
	v_fmac_f32_e32 v33, v17, v1
	v_mov_b64_e32 v[2:3], v[18:19]
	v_mov_b64_e32 v[4:5], v[20:21]
	v_mov_b64_e32 v[6:7], v[22:23]
	v_mov_b64_e32 v[8:9], v[24:25]
	v_mov_b64_e32 v[10:11], v[26:27]
	v_mov_b64_e32 v[12:13], v[28:29]
	v_mov_b64_e32 v[14:15], v[30:31]
	v_mov_b64_e32 v[16:17], v[32:33]
.LBB465_85:
	s_add_u32 s0, s24, s26
	s_addc_u32 s1, s25, s27
	v_lshl_add_u64 v[0:1], v[66:67], 2, s[0:1]
	v_mov_b32_e32 v63, 0
	v_lshl_add_u64 v[0:1], v[0:1], 0, v[62:63]
	global_store_dwordx4 v[0:1], v[2:5], off
	global_store_dwordx4 v[0:1], v[6:9], off offset:256
	v_lshl_add_u64 v[0:1], v[64:65], 2, s[0:1]
	v_lshl_add_u64 v[0:1], v[0:1], 0, v[62:63]
	global_store_dwordx4 v[0:1], v[10:13], off
	global_store_dwordx4 v[0:1], v[14:17], off offset:256
	s_endpgm
	.section	.rodata,"a",@progbits
	.p2align	6, 0x0
	.amdhsa_kernel _ZN12_GLOBAL__N_139chunk_gated_delta_rule_fwd_h_hip_kernelILi32ELb1ELb1ELb1ELb1ELb0ELb1ELb0ELb0EEEvPK12hip_bfloat16S3_S3_PKfS5_PKvPS1_S8_PvPKiSB_iiiiilll
		.amdhsa_group_segment_fixed_size 49152
		.amdhsa_private_segment_fixed_size 0
		.amdhsa_kernarg_size 136
		.amdhsa_user_sgpr_count 2
		.amdhsa_user_sgpr_dispatch_ptr 0
		.amdhsa_user_sgpr_queue_ptr 0
		.amdhsa_user_sgpr_kernarg_segment_ptr 1
		.amdhsa_user_sgpr_dispatch_id 0
		.amdhsa_user_sgpr_kernarg_preload_length 0
		.amdhsa_user_sgpr_kernarg_preload_offset 0
		.amdhsa_user_sgpr_private_segment_size 0
		.amdhsa_uses_dynamic_stack 0
		.amdhsa_enable_private_segment 0
		.amdhsa_system_sgpr_workgroup_id_x 1
		.amdhsa_system_sgpr_workgroup_id_y 1
		.amdhsa_system_sgpr_workgroup_id_z 0
		.amdhsa_system_sgpr_workgroup_info 0
		.amdhsa_system_vgpr_workitem_id 0
		.amdhsa_next_free_vgpr 172
		.amdhsa_next_free_sgpr 70
		.amdhsa_accum_offset 148
		.amdhsa_reserve_vcc 1
		.amdhsa_float_round_mode_32 0
		.amdhsa_float_round_mode_16_64 0
		.amdhsa_float_denorm_mode_32 3
		.amdhsa_float_denorm_mode_16_64 3
		.amdhsa_dx10_clamp 1
		.amdhsa_ieee_mode 1
		.amdhsa_fp16_overflow 0
		.amdhsa_tg_split 0
		.amdhsa_exception_fp_ieee_invalid_op 0
		.amdhsa_exception_fp_denorm_src 0
		.amdhsa_exception_fp_ieee_div_zero 0
		.amdhsa_exception_fp_ieee_overflow 0
		.amdhsa_exception_fp_ieee_underflow 0
		.amdhsa_exception_fp_ieee_inexact 0
		.amdhsa_exception_int_div_zero 0
	.end_amdhsa_kernel
	.section	.text._ZN12_GLOBAL__N_139chunk_gated_delta_rule_fwd_h_hip_kernelILi32ELb1ELb1ELb1ELb1ELb0ELb1ELb0ELb0EEEvPK12hip_bfloat16S3_S3_PKfS5_PKvPS1_S8_PvPKiSB_iiiiilll,"axG",@progbits,_ZN12_GLOBAL__N_139chunk_gated_delta_rule_fwd_h_hip_kernelILi32ELb1ELb1ELb1ELb1ELb0ELb1ELb0ELb0EEEvPK12hip_bfloat16S3_S3_PKfS5_PKvPS1_S8_PvPKiSB_iiiiilll,comdat
.Lfunc_end465:
	.size	_ZN12_GLOBAL__N_139chunk_gated_delta_rule_fwd_h_hip_kernelILi32ELb1ELb1ELb1ELb1ELb0ELb1ELb0ELb0EEEvPK12hip_bfloat16S3_S3_PKfS5_PKvPS1_S8_PvPKiSB_iiiiilll, .Lfunc_end465-_ZN12_GLOBAL__N_139chunk_gated_delta_rule_fwd_h_hip_kernelILi32ELb1ELb1ELb1ELb1ELb0ELb1ELb0ELb0EEEvPK12hip_bfloat16S3_S3_PKfS5_PKvPS1_S8_PvPKiSB_iiiiilll
                                        ; -- End function
	.section	.AMDGPU.csdata,"",@progbits
; Kernel info:
; codeLenInByte = 9912
; NumSgprs: 76
; NumVgprs: 148
; NumAgprs: 24
; TotalNumVgprs: 172
; ScratchSize: 0
; MemoryBound: 0
; FloatMode: 240
; IeeeMode: 1
; LDSByteSize: 49152 bytes/workgroup (compile time only)
; SGPRBlocks: 9
; VGPRBlocks: 21
; NumSGPRsForWavesPerEU: 76
; NumVGPRsForWavesPerEU: 172
; AccumOffset: 148
; Occupancy: 1
; WaveLimiterHint : 1
; COMPUTE_PGM_RSRC2:SCRATCH_EN: 0
; COMPUTE_PGM_RSRC2:USER_SGPR: 2
; COMPUTE_PGM_RSRC2:TRAP_HANDLER: 0
; COMPUTE_PGM_RSRC2:TGID_X_EN: 1
; COMPUTE_PGM_RSRC2:TGID_Y_EN: 1
; COMPUTE_PGM_RSRC2:TGID_Z_EN: 0
; COMPUTE_PGM_RSRC2:TIDIG_COMP_CNT: 0
; COMPUTE_PGM_RSRC3_GFX90A:ACCUM_OFFSET: 36
; COMPUTE_PGM_RSRC3_GFX90A:TG_SPLIT: 0
	.section	.text._ZN12_GLOBAL__N_139chunk_gated_delta_rule_fwd_h_hip_kernelILi32ELb1ELb1ELb0ELb1ELb0ELb1ELb0ELb0EEEvPK12hip_bfloat16S3_S3_PKfS5_PKvPS1_S8_PvPKiSB_iiiiilll,"axG",@progbits,_ZN12_GLOBAL__N_139chunk_gated_delta_rule_fwd_h_hip_kernelILi32ELb1ELb1ELb0ELb1ELb0ELb1ELb0ELb0EEEvPK12hip_bfloat16S3_S3_PKfS5_PKvPS1_S8_PvPKiSB_iiiiilll,comdat
	.globl	_ZN12_GLOBAL__N_139chunk_gated_delta_rule_fwd_h_hip_kernelILi32ELb1ELb1ELb0ELb1ELb0ELb1ELb0ELb0EEEvPK12hip_bfloat16S3_S3_PKfS5_PKvPS1_S8_PvPKiSB_iiiiilll ; -- Begin function _ZN12_GLOBAL__N_139chunk_gated_delta_rule_fwd_h_hip_kernelILi32ELb1ELb1ELb0ELb1ELb0ELb1ELb0ELb0EEEvPK12hip_bfloat16S3_S3_PKfS5_PKvPS1_S8_PvPKiSB_iiiiilll
	.p2align	8
	.type	_ZN12_GLOBAL__N_139chunk_gated_delta_rule_fwd_h_hip_kernelILi32ELb1ELb1ELb0ELb1ELb0ELb1ELb0ELb0EEEvPK12hip_bfloat16S3_S3_PKfS5_PKvPS1_S8_PvPKiSB_iiiiilll,@function
_ZN12_GLOBAL__N_139chunk_gated_delta_rule_fwd_h_hip_kernelILi32ELb1ELb1ELb0ELb1ELb0ELb1ELb0ELb0EEEvPK12hip_bfloat16S3_S3_PKfS5_PKvPS1_S8_PvPKiSB_iiiiilll: ; @_ZN12_GLOBAL__N_139chunk_gated_delta_rule_fwd_h_hip_kernelILi32ELb1ELb1ELb0ELb1ELb0ELb1ELb0ELb0EEEvPK12hip_bfloat16S3_S3_PKfS5_PKvPS1_S8_PvPKiSB_iiiiilll
; %bb.0:
	s_load_dwordx4 s[16:19], s[0:1], 0x5c
	s_load_dwordx4 s[24:27], s[0:1], 0x70
	s_abs_i32 s7, s3
	s_ashr_i32 s6, s3, 31
	s_load_dwordx4 s[12:15], s[0:1], 0x40
	s_load_dwordx2 s[4:5], s[0:1], 0x50
	s_waitcnt lgkmcnt(0)
	s_abs_i32 s10, s17
	v_cvt_f32_u32_e32 v1, s10
	s_sub_i32 s8, 0, s10
	s_ashr_i32 s11, s17, 31
	s_xor_b32 s6, s6, s11
	v_rcp_iflag_f32_e32 v1, v1
	v_and_b32_e32 v77, 15, v0
	v_bfe_u32 v76, v0, 4, 2
	v_mov_b32_e32 v63, 0
	v_mul_f32_e32 v1, 0x4f7ffffe, v1
	v_cvt_u32_f32_e32 v1, v1
	v_lshlrev_b32_e32 v78, 3, v0
	v_readfirstlane_b32 s9, v1
	s_mul_i32 s8, s8, s9
	s_mul_hi_u32 s8, s9, s8
	s_add_i32 s9, s9, s8
	s_mul_hi_u32 s8, s7, s9
	s_mul_i32 s9, s8, s10
	s_sub_i32 s7, s7, s9
	s_add_i32 s20, s8, 1
	s_sub_i32 s9, s7, s10
	s_cmp_ge_u32 s7, s10
	s_cselect_b32 s8, s20, s8
	s_cselect_b32 s7, s9, s7
	s_add_i32 s9, s8, 1
	s_cmp_ge_u32 s7, s10
	s_cselect_b32 s7, s9, s8
	s_xor_b32 s7, s7, s6
	s_sub_i32 s28, s7, s6
	s_mul_i32 s36, s28, s17
	s_ashr_i32 s29, s28, 31
	s_sub_i32 s33, s3, s36
	s_lshl_b64 s[6:7], s[28:29], 2
	s_add_u32 s8, s14, s6
	s_addc_u32 s9, s15, s7
	s_add_u32 s30, s4, s6
	s_addc_u32 s31, s5, s7
	s_abs_i32 s3, s18
	v_cvt_f32_u32_e32 v1, s3
	s_load_dwordx2 s[34:35], s[8:9], 0x0
	s_sub_i32 s5, 0, s3
	s_lshl_b32 s2, s2, 5
	v_rcp_iflag_f32_e32 v1, v1
	s_load_dwordx4 s[20:23], s[0:1], 0x20
	s_load_dwordx2 s[40:41], s[0:1], 0x30
	s_waitcnt lgkmcnt(0)
	s_sub_i32 s54, s35, s34
	s_ashr_i32 s4, s54, 31
	v_mul_f32_e32 v1, 0x4f7ffffe, v1
	v_cvt_u32_f32_e32 v1, v1
	s_lshr_b32 s4, s4, 26
	s_add_i32 s4, s54, s4
	s_ashr_i32 s53, s4, 6
	v_readfirstlane_b32 s6, v1
	s_mul_i32 s5, s5, s6
	s_mul_hi_u32 s5, s6, s5
	s_add_i32 s6, s6, s5
	s_mul_hi_u32 s5, s10, s6
	s_mul_i32 s6, s5, s3
	s_ashr_i32 s4, s18, 31
	s_sub_i32 s6, s10, s6
	s_xor_b32 s4, s11, s4
	s_add_i32 s7, s5, 1
	s_sub_i32 s8, s6, s3
	s_cmp_ge_u32 s6, s3
	s_cselect_b32 s5, s7, s5
	s_cselect_b32 s6, s8, s6
	s_add_i32 s7, s5, 1
	s_cmp_ge_u32 s6, s3
	s_cselect_b32 s3, s7, s5
	s_xor_b32 s3, s3, s4
	s_sub_i32 s3, s3, s4
	s_abs_i32 s4, s3
	v_cvt_f32_u32_e32 v1, s4
	s_sub_i32 s6, 0, s4
	s_abs_i32 s5, s33
	s_xor_b32 s3, s33, s3
	v_rcp_iflag_f32_e32 v2, v1
	s_ashr_i32 s3, s3, 31
	v_lshrrev_b32_e32 v1, 6, v0
	v_or_b32_e32 v68, s2, v77
	v_mul_f32_e32 v2, 0x4f7ffffe, v2
	v_cvt_u32_f32_e32 v2, v2
	v_lshlrev_b32_e32 v61, 4, v1
	v_lshlrev_b32_e32 v66, 7, v68
	v_lshl_or_b32 v80, v76, 2, v61
	v_readfirstlane_b32 s7, v2
	s_mul_i32 s6, s6, s7
	s_mul_hi_u32 s6, s7, s6
	s_add_i32 s7, s7, s6
	s_mul_hi_u32 s6, s5, s7
	s_mul_i32 s7, s6, s4
	s_sub_i32 s5, s5, s7
	s_add_i32 s7, s6, 1
	s_sub_i32 s8, s5, s4
	s_cmp_ge_u32 s5, s4
	s_cselect_b32 s6, s7, s6
	s_cselect_b32 s5, s8, s5
	s_add_i32 s7, s6, 1
	s_cmp_ge_u32 s5, s4
	s_cselect_b32 s4, s7, s6
	s_xor_b32 s4, s4, s3
	s_sub_i32 s55, s4, s3
	s_ashr_i32 s46, s33, 31
	s_mul_hi_i32 s3, s28, s17
	s_add_u32 s4, s36, s33
	s_addc_u32 s5, s3, s46
	s_lshl_b64 s[14:15], s[4:5], 16
	s_add_u32 s4, s22, s14
	s_addc_u32 s5, s23, s15
	v_ashrrev_i32_e32 v67, 31, v66
	v_lshl_add_u64 v[2:3], v[66:67], 2, s[4:5]
	v_lshlrev_b32_e32 v62, 2, v80
	v_or_b32_e32 v64, 0x800, v66
	v_lshl_add_u64 v[10:11], v[2:3], 0, v[62:63]
	v_ashrrev_i32_e32 v65, 31, v64
	global_load_dwordx4 v[2:5], v[10:11], off
	global_load_dwordx4 v[6:9], v[10:11], off offset:256
	v_lshl_add_u64 v[10:11], v[64:65], 2, s[4:5]
	v_lshl_add_u64 v[10:11], v[10:11], 0, v[62:63]
	global_load_dwordx4 v[18:21], v[10:11], off
	global_load_dwordx4 v[22:25], v[10:11], off offset:256
	s_load_dwordx8 s[4:11], s[0:1], 0x0
	s_load_dwordx2 s[22:23], s[0:1], 0x80
	s_load_dword s56, s[30:31], 0x0
	v_and_b32_e32 v63, 63, v0
	v_or_b32_e32 v81, 64, v80
	s_cmp_lt_i32 s54, 64
	s_mul_hi_i32 s57, s33, s16
	s_mul_i32 s58, s33, s16
	v_lshrrev_b32_e32 v79, 3, v63
	s_mul_i32 s47, s28, s25
	s_mul_hi_u32 s49, s28, s24
	s_mul_i32 s50, s29, s24
	s_mul_i32 s36, s28, s24
	;; [unrolled: 1-line block ×3, first 2 shown]
	s_mul_hi_u32 s51, s33, s26
	s_mul_i32 s52, s46, s26
	s_mul_i32 s38, s33, s26
	s_cbranch_scc1 .LBB466_3
; %bb.1:
	s_ashr_i32 s1, s34, 31
	s_add_u32 s0, s58, s34
	s_addc_u32 s1, s57, s1
	s_lshl_b64 s[0:1], s[0:1], 8
	v_and_b32_e32 v83, 56, v78
	s_waitcnt lgkmcnt(0)
	s_add_u32 s24, s6, s0
	v_lshl_or_b32 v82, v1, 3, v79
	v_lshlrev_b32_e32 v10, 1, v83
	s_addc_u32 s0, s7, s1
	v_lshl_or_b32 v84, v82, 8, v10
	s_and_b32 s25, s0, 0xffff
	s_mov_b32 s27, 0x20000
	s_movk_i32 s26, 0x4000
	s_movk_i32 s0, 0x80
	v_or_b32_e32 v85, 0x2000, v84
	buffer_load_dwordx4 v[12:15], v84, s[24:27], 0 offen
	buffer_load_dwordx4 v[26:29], v84, s[24:27], s0 offen
	;; [unrolled: 1-line block ×4, first 2 shown]
	v_lshlrev_b32_e32 v11, 3, v82
	v_and_or_b32 v17, v0, 7, v11
	v_and_b32_e32 v11, 0x78, v11
	v_lshlrev_b32_e32 v17, 4, v17
	v_xor_b32_e32 v86, v17, v11
	v_mul_lo_u32 v16, v82, s19
	v_or_b32_e32 v87, 0x1000, v86
	v_xor_b32_e32 v11, 8, v86
	s_cmpk_eq_i32 s19, 0x80
	s_mov_b32 s59, s34
	v_xor_b32_e32 v17, 8, v87
	s_cselect_b64 s[0:1], -1, 0
	s_cmpk_lg_i32 s19, 0x80
	s_waitcnt vmcnt(3)
	ds_write_b64 v86, v[12:13] offset:24576
	ds_write_b64 v11, v[14:15] offset:24576
	s_waitcnt vmcnt(2)
	ds_write_b64 v86, v[26:27] offset:32768
	ds_write_b64 v11, v[28:29] offset:32768
	;; [unrolled: 3-line block ×4, first 2 shown]
	v_lshl_add_u32 v11, v16, 1, v83
	s_cbranch_scc0 .LBB466_4
; %bb.2:
	v_lshlrev_b32_e32 v13, 1, v11
	v_add_lshl_u32 v12, v11, s19, 1
	s_lshl_b32 s26, s19, 7
	v_lshl_or_b32 v10, v82, 9, v10
	s_cbranch_execz .LBB466_5
	s_branch .LBB466_6
.LBB466_3:
	s_waitcnt vmcnt(0)
	v_mov_b32_e32 v17, v25
	v_mov_b32_e32 v16, v24
	;; [unrolled: 1-line block ×5, first 2 shown]
	s_branch .LBB466_20
.LBB466_4:
                                        ; implicit-def: $vgpr12
                                        ; implicit-def: $vgpr13
                                        ; implicit-def: $sgpr26
	v_lshl_or_b32 v10, v82, 9, v10
.LBB466_5:
	v_or_b32_e32 v12, 0x100, v10
	s_movk_i32 s26, 0x4000
	v_mov_b32_e32 v13, v10
.LBB466_6:
	s_mul_i32 s24, s34, s18
	s_ashr_i32 s60, s55, 31
	s_mul_hi_i32 s3, s34, s18
	s_add_u32 s24, s24, s55
	s_addc_u32 s25, s3, s60
	s_lshl_b64 s[24:25], s[24:25], 8
	s_add_u32 s24, s4, s24
	s_addc_u32 s3, s5, s25
	s_and_b32 s25, s3, 0xffff
	s_movk_i32 s61, 0x80
	buffer_load_dwordx4 v[14:17], v13, s[24:27], 0 offen
	buffer_load_dwordx4 v[26:29], v13, s[24:27], s61 offen
	;; [unrolled: 1-line block ×4, first 2 shown]
	v_and_b32_e32 v12, 6, v0
	v_lshlrev_b32_e32 v39, 6, v80
	v_or_b32_e32 v41, 16, v77
	v_xor_b32_e32 v42, v82, v12
	v_and_b32_e32 v13, 1, v0
	v_lshl_or_b32 v45, v77, 3, v39
	v_lshl_or_b32 v39, v41, 3, v39
	v_lshlrev_b32_e32 v42, 2, v42
	v_lshlrev_b32_e32 v38, 2, v77
	v_or_b32_e32 v90, 0xa000, v39
	v_or_b32_e32 v91, 0xb000, v39
	v_xor_b32_e32 v39, 0x440, v42
	v_cmp_eq_u32_e32 vcc, 0, v13
	s_add_i32 s3, s49, s47
	v_xor_b32_e32 v43, v80, v38
	v_xor_b32_e32 v44, v81, v38
	v_cndmask_b32_e32 v13, v39, v42, vcc
	s_add_i32 s24, s51, s48
	s_add_i32 s37, s3, s50
	s_mov_b32 s62, 0x1000504
	v_lshlrev_b32_e32 v40, 8, v77
	v_lshlrev_b32_e32 v41, 8, v41
	;; [unrolled: 1-line block ×4, first 2 shown]
	v_lshl_or_b32 v12, v12, 10, v13
	s_add_i32 s39, s24, s52
	s_lshl_b64 s[24:25], s[36:37], 2
	s_mov_b32 s63, 0x3020706
	v_or_b32_e32 v88, 0xa000, v45
	v_or_b32_e32 v89, 0xb000, v45
	;; [unrolled: 1-line block ×5, first 2 shown]
	v_xor_b32_e32 v13, 8, v12
	v_xor_b32_e32 v40, 24, v12
	;; [unrolled: 1-line block ×4, first 2 shown]
	s_add_u32 s3, s10, s24
	v_or_b32_e32 v94, v41, v43
	v_xor_b32_e32 v39, 16, v12
	v_xor_b32_e32 v41, 32, v12
	;; [unrolled: 1-line block ×3, first 2 shown]
	v_add_u32_e32 v13, 0x80, v13
	v_add_u32_e32 v40, 0x80, v40
	;; [unrolled: 1-line block ×4, first 2 shown]
	s_addc_u32 s26, s11, s25
	s_lshl_b64 s[24:25], s[38:39], 2
	s_add_u32 s42, s3, s24
	s_movk_i32 s3, 0xf8
	s_addc_u32 s43, s26, s25
	s_lshl_b32 s30, s19, 7
	s_movk_i32 s28, 0x100
	v_mov_b32_e32 v71, 0
	v_lshlrev_b32_e32 v70, 4, v77
	v_cmp_gt_u32_e32 vcc, s28, v0
	v_ashrrev_i32_e32 v69, 31, v68
	s_mov_b32 s64, 0
	s_movk_i32 s37, 0x1000
	s_movk_i32 s26, 0x4000
	v_lshl_add_u64 v[72:73], v[68:69], 1, s[8:9]
	v_mov_b32_e32 v118, 0x3fb8aa3b
	s_waitcnt vmcnt(1)
	v_perm_b32 v45, v14, v30, s62
	s_waitcnt vmcnt(0)
	v_perm_b32 v46, v26, v34, s62
	v_perm_b32 v14, v14, v30, s63
	;; [unrolled: 1-line block ×15, first 2 shown]
	ds_write2st64_b32 v12, v45, v46 offset0:32 offset1:64
	ds_write2st64_b32 v13, v14, v26 offset0:32 offset1:64
	;; [unrolled: 1-line block ×8, first 2 shown]
	v_or_b32_e32 v12, v61, v77
	v_lshlrev_b32_e32 v12, 3, v12
	v_lshrrev_b32_e32 v15, 5, v63
	v_and_or_b32 v15, v12, s3, v15
	v_lshlrev_b32_e32 v15, 4, v15
	v_lshlrev_b32_e32 v17, 11, v1
	v_and_b32_e32 v12, 0x78, v12
	v_or_b32_e32 v28, 32, v15
	v_and_b32_e32 v14, 0x1000, v17
	v_lshrrev_b32_e32 v26, 1, v63
	v_xor_b32_e32 v28, v28, v12
	v_xor_b32_e32 v16, v15, v12
	v_and_b32_e32 v26, 8, v26
	v_or_b32_e32 v28, v28, v14
	v_or_b32_e32 v16, v16, v14
	v_lshlrev_b32_e32 v27, 7, v76
	v_xor_b32_e32 v98, v28, v26
	v_or_b32_e32 v28, 64, v15
	v_or_b32_e32 v15, 0x60, v15
	s_ashr_i32 s3, s2, 31
	v_xor_b32_e32 v96, v16, v26
	v_or_b32_e32 v16, v27, v38
	v_xor_b32_e32 v28, v28, v12
	v_xor_b32_e32 v12, v15, v12
	s_lshl_b64 s[24:25], s[2:3], 8
	v_lshlrev_b32_e32 v16, 1, v16
	v_or_b32_e32 v28, v28, v14
	v_or_b32_e32 v12, v12, v14
	s_add_u32 s24, s40, s24
	v_lshlrev_b32_e32 v14, 1, v77
	v_or_b32_e32 v97, 0xa000, v16
	v_or_b32_e32 v99, 0xa080, v16
	;; [unrolled: 1-line block ×4, first 2 shown]
	v_lshrrev_b32_e32 v16, 4, v0
	s_addc_u32 s25, s41, s25
	v_or_b32_e32 v15, 1, v14
	v_mov_b32_e32 v33, 0x4000
	v_mov_b32_e32 v34, 0x2000
	v_lshrrev_b32_e32 v35, 1, v0
	v_xor_b32_e32 v100, v28, v26
	v_xor_b32_e32 v101, v12, v26
	;; [unrolled: 1-line block ×4, first 2 shown]
	v_lshl_add_u64 v[14:15], s[24:25], 0, v[70:71]
	v_lshlrev_b32_e32 v70, 8, v16
	v_cndmask_b32_e32 v33, v33, v34, vcc
	v_lshlrev_b32_e32 v34, 3, v1
	v_and_b32_e32 v35, 24, v35
	v_lshl_or_b32 v104, v26, 3, v70
	v_and_b32_e32 v26, 8, v0
	v_xor_b32_e32 v36, v34, v35
	v_or_b32_e32 v37, 0x440, v36
	v_cmp_eq_u32_e32 vcc, 0, v26
	v_and_b32_e32 v16, 7, v0
	v_lshl_or_b32 v105, v30, 3, v70
	v_cndmask_b32_e32 v26, v37, v36, vcc
	v_lshlrev_b32_e32 v30, 3, v16
	v_lshlrev_b32_e32 v32, 2, v0
	v_or_b32_e32 v26, v26, v17
	v_xor_b32_e32 v36, v26, v30
	v_and_or_b32 v26, v32, 60, v27
	v_mov_b32_e32 v27, 0xb000
	v_lshl_or_b32 v106, v26, 1, v27
	v_or_b32_e32 v26, 32, v35
	v_xor_b32_e32 v26, v34, v26
	v_or_b32_e32 v27, 0x440, v26
	v_cndmask_b32_e32 v26, v27, v26, vcc
	v_or_b32_e32 v26, v26, v17
	v_xor_b32_e32 v27, v26, v30
	v_or_b32_e32 v26, 64, v35
	v_xor_b32_e32 v26, v34, v26
	v_xor_b32_e32 v38, 0x440, v26
	v_cndmask_b32_e32 v26, v38, v26, vcc
	v_or_b32_e32 v26, v26, v17
	v_xor_b32_e32 v38, v26, v30
	v_or_b32_e32 v26, 0x60, v35
	v_xor_b32_e32 v26, v34, v26
	v_xor_b32_e32 v34, 0x440, v26
	v_cndmask_b32_e32 v26, v34, v26, vcc
	v_lshrrev_b32_e32 v13, 2, v63
	v_or_b32_e32 v17, v26, v17
	v_and_b32_e32 v13, 12, v13
	v_xor_b32_e32 v17, v17, v30
	v_lshlrev_b32_e32 v12, 7, v80
	v_lshlrev_b32_e32 v28, 1, v11
	v_add_lshl_u32 v11, v11, s19, 1
	v_or_b32_e32 v29, 0x100, v10
	v_lshlrev_b32_e32 v31, 7, v16
	v_or_b32_e32 v16, v13, v61
	v_add_u32_e32 v37, v33, v36
	v_add_u32_e32 v32, v33, v27
	;; [unrolled: 1-line block ×4, first 2 shown]
	v_or3_b32 v26, v61, v13, 64
	v_add_u32_e32 v13, 0x4000, v36
	v_add_u32_e32 v27, 0x4000, v27
	;; [unrolled: 1-line block ×4, first 2 shown]
	v_cndmask_b32_e64 v107, v28, v10, s[0:1]
	v_cndmask_b32_e64 v108, v11, v29, s[0:1]
	v_lshl_add_u64 v[74:75], v[14:15], 0, v[70:71]
	s_mov_b32 s3, 0x7060302
	v_lshlrev_b32_e32 v70, 1, v12
	v_lshlrev_b32_e32 v69, 2, v16
	v_add_u32_e32 v109, v37, v31
	v_add_u32_e32 v110, v32, v31
	;; [unrolled: 1-line block ×4, first 2 shown]
	v_lshlrev_b32_e32 v113, 2, v26
	v_add_u32_e32 v114, v13, v31
	v_add_u32_e32 v115, v27, v31
	v_add_u32_e32 v116, v33, v31
	v_add_u32_e32 v117, v17, v31
	s_waitcnt lgkmcnt(0)
	s_barrier
.LBB466_7:                              ; =>This Inner Loop Header: Depth=1
	s_add_i32 s39, s64, 1
	s_cmp_lt_i32 s39, s53
	s_mov_b64 s[28:29], 0
	s_cselect_b64 s[44:45], -1, 0
	s_cmp_ge_i32 s39, s53
	s_mov_b64 s[24:25], 0
	s_cbranch_scc1 .LBB466_9
; %bb.8:                                ;   in Loop: Header=BB466_7 Depth=1
	s_add_i32 s0, s59, 64
	s_ashr_i32 s1, s0, 31
	s_add_u32 s0, s58, s0
	s_addc_u32 s1, s57, s1
	s_lshl_b64 s[0:1], s[0:1], 8
	s_add_u32 s24, s6, s0
	s_addc_u32 s25, s7, s1
.LBB466_9:                              ;   in Loop: Header=BB466_7 Depth=1
	v_cndmask_b32_e64 v10, 0, 1, s[44:45]
	v_cmp_ne_u32_e64 s[0:1], 1, v10
	s_andn2_b64 vcc, exec, s[44:45]
	s_cbranch_vccnz .LBB466_11
; %bb.10:                               ;   in Loop: Header=BB466_7 Depth=1
	s_add_i32 s28, s59, 64
	s_mul_hi_i32 s29, s28, s18
	s_mul_i32 s28, s28, s18
	s_add_u32 s28, s28, s55
	s_addc_u32 s29, s29, s60
	s_lshl_b64 s[28:29], s[28:29], 8
	s_add_u32 s28, s4, s28
	s_addc_u32 s29, s5, s29
.LBB466_11:                             ;   in Loop: Header=BB466_7 Depth=1
	v_perm_b32 v11, v5, v4, s3
	v_perm_b32 v10, v3, v2, s3
	;; [unrolled: 1-line block ×4, first 2 shown]
	ds_write_b64 v88, v[10:11]
	ds_write_b64 v89, v[12:13]
	;; [unrolled: 1-line block ×4, first 2 shown]
	v_perm_b32 v11, v21, v20, s3
	v_perm_b32 v10, v19, v18, s3
	v_perm_b32 v13, v25, v24, s3
	v_perm_b32 v12, v23, v22, s3
	ds_write_b64 v90, v[10:11]
	ds_write_b64 v91, v[12:13]
	;; [unrolled: 1-line block ×4, first 2 shown]
	s_waitcnt lgkmcnt(0)
	s_barrier
	ds_read_b64 v[14:15], v96 offset:24576
	ds_read2_b64 v[10:13], v97 offset1:16
	ds_read_b64 v[26:27], v99 offset:3072
	ds_read_b64 v[28:29], v97 offset:3072
	;; [unrolled: 1-line block ×3, first 2 shown]
	s_waitcnt lgkmcnt(3)
	v_mfma_f32_16x16x16_bf16 a[0:3], v[14:15], v[10:11], 0
	s_add_i32 s65, s59, 63
	s_ashr_i32 s31, s65, 31
	s_mul_i32 s44, s65, s23
	v_mfma_f32_16x16x16_bf16 a[4:7], v[14:15], v[12:13], 0
	ds_read2st64_b64 v[10:13], v97 offset0:2 offset1:4
	s_mul_hi_u32 s45, s65, s22
	s_add_i32 s44, s45, s44
	s_waitcnt lgkmcnt(0)
	v_mfma_f32_16x16x16_bf16 a[0:3], v[30:31], v[10:11], a[0:3]
	ds_read2st64_b64 v[14:17], v99 offset0:2 offset1:4
	ds_read_b64 v[10:11], v100 offset:24576
	s_mul_i32 s31, s31, s22
	s_add_i32 s45, s44, s31
	s_waitcnt lgkmcnt(1)
	v_mfma_f32_16x16x16_bf16 a[4:7], v[30:31], v[14:15], a[4:7]
	ds_read_b64 v[14:15], v101 offset:24576
	s_mul_i32 s44, s65, s22
	s_lshl_b64 s[44:45], s[44:45], 2
	s_waitcnt lgkmcnt(1)
	v_mfma_f32_16x16x16_bf16 a[0:3], v[10:11], v[12:13], a[0:3]
	s_add_u32 s44, s42, s44
	s_addc_u32 s45, s43, s45
	s_and_b64 vcc, exec, s[0:1]
	v_mfma_f32_16x16x16_bf16 a[4:7], v[10:11], v[16:17], a[4:7]
	v_mov_b32_e32 v121, 0
	v_mov_b32_e32 v120, 0
	v_mov_b32_e32 v119, 0
	s_waitcnt lgkmcnt(0)
	v_mfma_f32_16x16x16_bf16 a[0:3], v[14:15], v[28:29], a[0:3]
	v_mov_b32_e32 v10, 0
	v_mov_b32_e32 v11, 0
	;; [unrolled: 1-line block ×3, first 2 shown]
	v_mfma_f32_16x16x16_bf16 a[4:7], v[14:15], v[26:27], a[4:7]
	v_mov_b32_e32 v13, 0
	v_mov_b32_e32 v14, 0
	v_mov_b32_e32 v15, 0
	v_mov_b32_e32 v16, 0
	v_mov_b32_e32 v17, 0
	v_mov_b32_e32 v26, 0
	v_mov_b32_e32 v27, 0
	v_mov_b32_e32 v28, 0
	v_mov_b32_e32 v29, 0
	v_mov_b32_e32 v30, 0
	v_mov_b32_e32 v31, 0
	v_mov_b32_e32 v32, 0
	v_mov_b32_e32 v33, 0
	s_cbranch_vccnz .LBB466_13
; %bb.12:                               ;   in Loop: Header=BB466_7 Depth=1
	s_and_b32 s25, s25, 0xffff
	buffer_load_dwordx4 v[30:33], v84, s[24:27], 0 offen
	buffer_load_dwordx4 v[26:29], v84, s[24:27], s61 offen
	;; [unrolled: 1-line block ×4, first 2 shown]
	v_mov_b32_e32 v120, v86
	v_mov_b32_e32 v119, v87
.LBB466_13:                             ;   in Loop: Header=BB466_7 Depth=1
	ds_read_b64 v[38:39], v96 offset:32768
	ds_read2_b64 v[34:37], v102 offset1:16
	ds_read_b64 v[42:43], v98 offset:32768
	ds_read_b64 v[44:45], v100 offset:32768
	;; [unrolled: 1-line block ×3, first 2 shown]
	v_add_u32_e32 v48, s59, v80
	s_waitcnt lgkmcnt(3)
	v_mfma_f32_16x16x16_bf16 a[0:3], v[38:39], v[34:35], a[0:3]
	v_mul_lo_u32 v49, v48, s23
	v_mov_b32_e32 v122, 0
	v_mfma_f32_16x16x16_bf16 a[4:7], v[38:39], v[36:37], a[4:7]
	ds_read2st64_b64 v[34:37], v102 offset0:2 offset1:4
	ds_read2st64_b64 v[38:41], v103 offset0:2 offset1:4
	s_waitcnt lgkmcnt(1)
	v_mfma_f32_16x16x16_bf16 a[0:3], v[42:43], v[34:35], a[0:3]
	v_ashrrev_i32_e32 v34, 31, v48
	v_mul_lo_u32 v50, v34, s22
	v_mad_u64_u32 v[34:35], s[24:25], v48, s22, 0
	v_mfma_f32_16x16x16_bf16 a[0:3], v[44:45], v[36:37], a[0:3]
	v_add_u32_e32 v36, 1, v48
	v_ashrrev_i32_e32 v37, 31, v36
	v_add3_u32 v35, v35, v49, v50
	s_waitcnt lgkmcnt(0)
	v_mfma_f32_16x16x16_bf16 a[4:7], v[42:43], v[38:39], a[4:7]
	v_mul_lo_u32 v38, v37, s22
	v_mul_lo_u32 v39, v36, s23
	v_mad_u64_u32 v[36:37], s[24:25], v36, s22, 0
	v_add3_u32 v37, v37, v39, v38
	v_add_u32_e32 v38, 2, v48
	v_ashrrev_i32_e32 v39, 31, v38
	v_mul_lo_u32 v42, v39, s22
	v_mul_lo_u32 v43, v38, s23
	v_mad_u64_u32 v[38:39], s[24:25], v38, s22, 0
	v_add3_u32 v39, v39, v43, v42
	v_add_u32_e32 v42, 3, v48
	v_ashrrev_i32_e32 v43, 31, v42
	v_mul_lo_u32 v48, v43, s22
	v_mul_lo_u32 v49, v42, s23
	v_mad_u64_u32 v[42:43], s[24:25], v42, s22, 0
	v_add3_u32 v43, v43, v49, v48
	s_ashr_i32 s25, s59, 31
	v_lshl_add_u64 v[34:35], v[34:35], 2, s[42:43]
	v_lshl_add_u64 v[42:43], v[42:43], 2, s[42:43]
	s_add_u32 s24, s58, s59
	v_lshl_add_u64 v[36:37], v[36:37], 2, s[42:43]
	v_lshl_add_u64 v[38:39], v[38:39], 2, s[42:43]
	global_load_dword v48, v[34:35], off
	global_load_dword v49, v[36:37], off
	;; [unrolled: 1-line block ×3, first 2 shown]
	s_nop 0
	global_load_dword v42, v[42:43], off
	s_addc_u32 s25, s57, s25
	s_lshl_b64 s[24:25], s[24:25], 8
	v_lshl_add_u64 v[34:35], v[72:73], 0, s[24:25]
	v_lshl_add_u64 v[34:35], v[34:35], 0, v[70:71]
	global_load_ushort v43, v[34:35], off offset:256
	global_load_ushort v51, v[34:35], off
	global_load_ushort v52, v[34:35], off offset:768
	global_load_ushort v53, v[34:35], off offset:512
	ds_read_b64 v[36:37], v102 offset:3072
	ds_read_b64 v[38:39], v103 offset:3072
	global_load_ushort v54, v[34:35], off offset:800
	global_load_ushort v55, v[34:35], off offset:544
	;; [unrolled: 1-line block ×4, first 2 shown]
	s_load_dword s24, s[44:45], 0x0
	v_mfma_f32_16x16x16_bf16 a[4:7], v[44:45], v[40:41], a[4:7]
	s_and_b64 vcc, exec, s[0:1]
	s_waitcnt vmcnt(11) lgkmcnt(0)
	v_sub_f32_e32 v40, s24, v48
	v_mfma_f32_16x16x16_bf16 a[0:3], v[46:47], v[36:37], a[0:3]
	s_waitcnt vmcnt(10)
	v_sub_f32_e32 v45, s24, v49
	v_mul_f32_e32 v44, 0x3fb8aa3b, v40
	v_mul_f32_e32 v45, 0x3fb8aa3b, v45
	v_mfma_f32_16x16x16_bf16 a[4:7], v[46:47], v[38:39], a[4:7]
	s_waitcnt vmcnt(9)
	v_sub_f32_e32 v46, s24, v50
	s_waitcnt vmcnt(8)
	v_sub_f32_e32 v47, s24, v42
	v_mul_f32_e32 v46, 0x3fb8aa3b, v46
	v_mul_f32_e32 v47, 0x3fb8aa3b, v47
	v_exp_f32_e32 v44, v44
	v_exp_f32_e32 v45, v45
	;; [unrolled: 1-line block ×4, first 2 shown]
	v_accvgpr_read_b32 v39, a1
	v_accvgpr_read_b32 v35, a3
	;; [unrolled: 1-line block ×4, first 2 shown]
	s_waitcnt vmcnt(7)
	v_lshlrev_b32_e32 v41, 16, v43
	s_waitcnt vmcnt(6)
	v_lshlrev_b32_e32 v40, 16, v51
	;; [unrolled: 2-line block ×4, first 2 shown]
	v_pk_add_f32 v[38:39], v[40:41], v[38:39] neg_lo:[0,1] neg_hi:[0,1]
	v_pk_add_f32 v[34:35], v[42:43], v[34:35] neg_lo:[0,1] neg_hi:[0,1]
	v_pk_mul_f32 v[38:39], v[44:45], v[38:39]
	v_pk_mul_f32 v[34:35], v[46:47], v[34:35]
	v_accvgpr_read_b32 v41, a5
	v_perm_b32 v35, v35, v34, s3
	v_perm_b32 v34, v39, v38, s3
	s_waitcnt vmcnt(1)
	v_lshlrev_b32_e32 v39, 16, v56
	s_waitcnt vmcnt(0)
	v_lshlrev_b32_e32 v38, 16, v57
	v_accvgpr_read_b32 v40, a4
	v_accvgpr_read_b32 v37, a7
	;; [unrolled: 1-line block ×3, first 2 shown]
	v_pk_add_f32 v[38:39], v[38:39], v[40:41] neg_lo:[0,1] neg_hi:[0,1]
	v_lshlrev_b32_e32 v41, 16, v54
	v_lshlrev_b32_e32 v40, 16, v55
	v_pk_add_f32 v[36:37], v[40:41], v[36:37] neg_lo:[0,1] neg_hi:[0,1]
	v_pk_mul_f32 v[38:39], v[44:45], v[38:39]
	v_pk_mul_f32 v[36:37], v[46:47], v[36:37]
	v_mov_b32_e32 v40, 0
	v_perm_b32 v37, v37, v36, s3
	v_perm_b32 v36, v39, v38, s3
	ds_write2_b64 v89, v[34:35], v[36:37] offset1:16
	v_mov_b32_e32 v34, 0
	v_mov_b32_e32 v35, 0
	;; [unrolled: 1-line block ×15, first 2 shown]
	s_cbranch_vccnz .LBB466_15
; %bb.14:                               ;   in Loop: Header=BB466_7 Depth=1
	s_and_b32 s29, s29, 0xffff
	s_mov_b32 s31, s27
	buffer_load_dwordx4 v[46:49], v107, s[28:31], 0 offen
	buffer_load_dwordx4 v[38:41], v107, s[28:31], s61 offen
	;; [unrolled: 1-line block ×4, first 2 shown]
	v_mov_b32_e32 v121, v83
	v_mov_b32_e32 v122, v82
.LBB466_15:                             ;   in Loop: Header=BB466_7 Depth=1
	s_waitcnt lgkmcnt(0)
	s_barrier
	ds_read_b64 v[54:55], v109
	ds_read_b64 v[128:129], v106
	;; [unrolled: 1-line block ×5, first 2 shown]
	ds_read_b64 v[142:143], v103 offset:3072
	ds_read2_b64 v[50:53], v102 offset0:16 offset1:128
	s_waitcnt lgkmcnt(5)
	v_mfma_f32_16x16x16_bf16 a[0:3], v[54:55], v[128:129], 0
	ds_read2st64_b64 v[56:59], v103 offset0:2 offset1:4
	s_add_i32 s25, s56, s64
	s_mul_hi_i32 s29, s25, s17
	s_waitcnt lgkmcnt(1)
	v_mfma_f32_16x16x16_bf16 a[4:7], v[54:55], v[50:51], 0
	ds_read_b64 v[54:55], v114
	s_mul_i32 s25, s25, s17
	s_add_u32 s28, s25, s33
	s_waitcnt lgkmcnt(1)
	v_mfma_f32_16x16x16_bf16 a[4:7], v[130:131], v[56:57], a[4:7]
	s_addc_u32 s29, s29, s46
	s_lshl_b64 s[28:29], s[28:29], 15
	s_mul_i32 s31, s65, s17
	s_mul_hi_i32 s25, s65, s17
	s_add_u32 s44, s31, s33
	v_mfma_f32_16x16x16_bf16 a[8:11], v[132:133], v[58:59], a[4:7]
	s_addc_u32 s45, s25, s46
	ds_read2st64_b64 v[124:127], v102 offset0:4 offset1:6
	s_lshl_b64 s[44:45], s[44:45], 9
	s_waitcnt lgkmcnt(1)
	v_mfma_f32_16x16x16_bf16 a[4:7], v[54:55], v[128:129], 0
	s_add_u32 s44, s20, s44
	s_addc_u32 s45, s21, s45
	v_mfma_f32_16x16x16_bf16 a[0:3], v[130:131], v[52:53], a[0:3]
	ds_read_b64 v[130:131], v115
	ds_read_b64 v[138:139], v116
	ds_read_b64 v[144:145], v117
	v_mfma_f32_16x16x16_bf16 a[12:15], v[54:55], v[50:51], 0
	s_waitcnt lgkmcnt(2)
	v_mfma_f32_16x16x16_bf16 a[4:7], v[130:131], v[52:53], a[4:7]
	global_load_dwordx4 v[50:53], v113, s[44:45]
	v_mfma_f32_16x16x16_bf16 a[12:15], v[130:131], v[56:57], a[12:15]
	global_load_dwordx4 v[54:57], v69, s[44:45]
	ds_read2st64_b64 v[128:131], v104 offset1:8
	s_waitcnt lgkmcnt(0)
	v_mov_b32_e32 v136, v128
	v_mfma_f32_16x16x16_bf16 a[0:3], v[132:133], v[124:125], a[0:3]
	ds_read2st64_b64 v[132:135], v105 offset1:8
	v_mov_b32_e32 v137, v129
	v_mfma_f32_16x16x16_bf16 a[16:19], v[138:139], v[124:125], a[4:7]
	v_lshl_add_u64 v[124:125], v[74:75], 0, s[28:29]
	v_mfma_f32_16x16x16_bf16 a[20:23], v[138:139], v[58:59], a[12:15]
	v_add_co_u32_e32 v58, vcc, s37, v124
	s_waitcnt lgkmcnt(0)
	v_mov_b32_e32 v138, v132
	v_mfma_f32_16x16x16_bf16 a[4:7], v[140:141], v[126:127], a[0:3]
	v_mov_b32_e32 v139, v133
	v_mov_b32_e32 v132, v130
	;; [unrolled: 1-line block ×3, first 2 shown]
	v_mfma_f32_16x16x16_bf16 a[8:11], v[140:141], v[142:143], a[8:11]
	v_addc_co_u32_e32 v59, vcc, 0, v125, vcc
	global_store_dwordx4 v[58:59], v[132:135], off
	v_mfma_f32_16x16x16_bf16 a[12:15], v[144:145], v[126:127], a[16:19]
	s_and_b64 vcc, exec, s[0:1]
	global_store_dwordx4 v[124:125], v[136:139], off
	s_waitcnt vmcnt(3)
	v_mov_b32_e32 v60, v53
	v_mfma_f32_16x16x16_bf16 a[0:3], v[144:145], v[142:143], a[20:23]
	v_mov_b32_e32 v59, v52
	v_mov_b32_e32 v58, v51
	s_cbranch_vccnz .LBB466_17
; %bb.16:                               ;   in Loop: Header=BB466_7 Depth=1
	v_lshrrev_b32_e32 v51, 3, v121
	v_and_b32_e32 v51, 6, v51
	v_xor_b32_e32 v52, v51, v122
	v_lshlrev_b32_e32 v52, 2, v52
	v_and_b32_e32 v53, 8, v121
	v_xor_b32_e32 v121, 0x440, v52
	v_cmp_eq_u32_e32 vcc, 0, v53
	v_perm_b32 v53, v38, v34, s62
	s_nop 0
	v_cndmask_b32_e32 v52, v121, v52, vcc
	v_lshl_or_b32 v51, v51, 10, v52
	v_perm_b32 v52, v46, v42, s62
	s_barrier
	ds_write2st64_b32 v51, v52, v53 offset0:32 offset1:64
	v_xor_b32_e32 v52, 8, v51
	v_perm_b32 v42, v46, v42, s63
	v_perm_b32 v34, v38, v34, s63
	v_add_u32_e32 v38, 0x80, v52
	ds_write2st64_b32 v38, v42, v34 offset0:32 offset1:64
	v_xor_b32_e32 v34, 16, v51
	v_perm_b32 v38, v47, v43, s62
	v_perm_b32 v42, v39, v35, s62
	ds_write2st64_b32 v34, v38, v42 offset0:33 offset1:65
	v_xor_b32_e32 v34, 24, v51
	v_perm_b32 v38, v47, v43, s63
	v_perm_b32 v35, v39, v35, s63
	v_add_u32_e32 v34, 0x80, v34
	ds_write2st64_b32 v34, v38, v35 offset0:33 offset1:65
	v_xor_b32_e32 v34, 32, v51
	v_perm_b32 v35, v48, v44, s62
	v_perm_b32 v38, v40, v36, s62
	;; [unrolled: 9-line block ×3, first 2 shown]
	ds_write2st64_b32 v34, v35, v36 offset0:35 offset1:67
	v_xor_b32_e32 v34, 56, v51
	v_perm_b32 v35, v49, v45, s63
	v_perm_b32 v36, v41, v37, s63
	v_add_u32_e32 v34, 0x80, v34
	ds_write2st64_b32 v34, v35, v36 offset0:35 offset1:67
	ds_write_b64 v120, v[30:31] offset:24576
	v_xor_b32_e32 v30, 8, v120
	ds_write_b64 v30, v[32:33] offset:24576
	ds_write_b64 v120, v[26:27] offset:32768
	ds_write_b64 v30, v[28:29] offset:32768
	ds_write_b64 v119, v[14:15] offset:24576
	v_xor_b32_e32 v14, 8, v119
	ds_write_b64 v14, v[16:17] offset:24576
	ds_write_b64 v119, v[10:11] offset:32768
	;; [unrolled: 1-line block ×3, first 2 shown]
.LBB466_17:                             ;   in Loop: Header=BB466_7 Depth=1
	v_mul_f32_e32 v14, s24, v118
	v_exp_f32_e32 v34, v14
	s_waitcnt vmcnt(2)
	v_mul_f32_e32 v14, 0x3fb8aa3b, v54
	v_exp_f32_e32 v36, v14
	v_mul_f32_e32 v14, 0x3fb8aa3b, v55
	v_exp_f32_e32 v37, v14
	;; [unrolled: 2-line block ×4, first 2 shown]
	v_accvgpr_read_b32 v29, a7
	v_accvgpr_read_b32 v27, a5
	;; [unrolled: 1-line block ×4, first 2 shown]
	v_pk_mul_f32 v[36:37], v[34:35], v[36:37] op_sel_hi:[0,1]
	v_accvgpr_read_b32 v12, a10
	v_pk_fma_f32 v[2:3], v[2:3], v[36:37], v[26:27]
	v_pk_mul_f32 v[26:27], v[34:35], v[38:39] op_sel_hi:[0,1]
	v_accvgpr_read_b32 v28, a6
	v_accvgpr_read_b32 v11, a9
	;; [unrolled: 1-line block ×3, first 2 shown]
	v_fma_f32 v20, v20, v26, v12
	v_mul_f32_e32 v12, 0x3fb8aa3b, v59
	v_pk_fma_f32 v[4:5], v[4:5], v[26:27], v[28:29]
	v_fma_f32 v18, v18, v36, v10
	v_fma_f32 v19, v19, v37, v11
	v_mul_f32_e32 v10, 0x3fb8aa3b, v50
	v_mul_f32_e32 v11, 0x3fb8aa3b, v58
	v_exp_f32_e32 v28, v12
	v_mul_f32_e32 v12, 0x3fb8aa3b, v60
	v_exp_f32_e32 v10, v10
	v_exp_f32_e32 v11, v11
	;; [unrolled: 1-line block ×3, first 2 shown]
	v_accvgpr_read_b32 v33, a15
	v_accvgpr_read_b32 v17, a3
	;; [unrolled: 1-line block ×8, first 2 shown]
	v_fmac_f32_e32 v13, v21, v27
	v_pk_mul_f32 v[10:11], v[34:35], v[10:11] op_sel_hi:[0,1]
	v_pk_mul_f32 v[26:27], v[34:35], v[28:29] op_sel_hi:[0,1]
	s_add_i32 s59, s59, 64
	v_pk_fma_f32 v[6:7], v[6:7], v[10:11], v[30:31]
	v_pk_fma_f32 v[8:9], v[8:9], v[26:27], v[32:33]
	v_fma_f32 v22, v22, v10, v14
	v_fma_f32 v23, v23, v11, v15
	;; [unrolled: 1-line block ×3, first 2 shown]
	s_cmp_eq_u32 s53, s39
	v_fmac_f32_e32 v17, v25, v27
	s_cbranch_scc1 .LBB466_19
; %bb.18:                               ;   in Loop: Header=BB466_7 Depth=1
	s_mov_b32 s64, s39
	v_mov_b32_e32 v21, v13
	v_mov_b32_e32 v25, v17
	s_branch .LBB466_7
.LBB466_19:
	v_mov_b32_e32 v16, v24
	v_mov_b32_e32 v15, v23
	;; [unrolled: 1-line block ×3, first 2 shown]
.LBB466_20:
	s_lshl_b32 s0, s53, 6
	s_sub_i32 s44, s54, s0
	v_mov_b32_e32 v12, v20
	v_mov_b32_e32 v11, v19
	;; [unrolled: 1-line block ×3, first 2 shown]
	s_cmp_gt_i32 s44, 0
	s_cbranch_scc0 .LBB466_85
; %bb.21:
	s_add_i32 s34, s0, s34
	s_ashr_i32 s3, s34, 31
	s_cmpk_lg_i32 s19, 0x80
	s_cselect_b64 s[30:31], -1, 0
	s_and_b64 vcc, exec, s[30:31]
	s_cbranch_vccz .LBB466_23
; %bb.22:
	s_mul_hi_i32 s0, s34, s18
	s_mul_i32 s1, s34, s18
	s_ashr_i32 s18, s55, 31
	s_add_u32 s42, s1, s55
	s_addc_u32 s43, s0, s18
	s_cbranch_execz .LBB466_24
	s_branch .LBB466_25
.LBB466_23:
                                        ; implicit-def: $sgpr42_sgpr43
.LBB466_24:
	s_mul_i32 s1, s55, s16
	s_mul_hi_i32 s0, s55, s16
	s_add_u32 s42, s1, s34
	s_addc_u32 s43, s0, s3
.LBB466_25:
	s_waitcnt lgkmcnt(0)
	s_add_i32 s16, s53, s56
	s_add_u32 s0, s58, s34
	v_lshlrev_b32_e32 v22, 5, v80
	v_lshlrev_b32_e32 v38, 2, v77
	s_addc_u32 s1, s57, s3
	s_mov_b32 s3, 0x7060302
	v_or_b32_e32 v25, v22, v38
	v_xor_b32_e32 v23, v80, v38
	v_perm_b32 v19, v5, v4, s3
	v_perm_b32 v18, v3, v2, s3
	;; [unrolled: 1-line block ×4, first 2 shown]
	v_lshlrev_b32_e32 v25, 1, v25
	v_xor_b32_e32 v24, v81, v38
	ds_write2st64_b64 v25, v[18:19], v[20:21] offset0:80 offset1:88
	v_lshlrev_b32_e32 v23, 1, v23
	v_lshlrev_b32_e32 v25, 8, v77
	s_lshl_b64 s[28:29], s[0:1], 8
	v_or_b32_e32 v26, v23, v25
	v_lshlrev_b32_e32 v24, 1, v24
	s_add_u32 s0, s6, s28
	ds_write_b64 v26, v[18:19]
	v_or_b32_e32 v18, v24, v25
	s_addc_u32 s1, s7, s29
	ds_write_b64 v18, v[20:21]
	v_perm_b32 v19, v13, v12, s3
	v_perm_b32 v18, v11, v10, s3
	;; [unrolled: 1-line block ×4, first 2 shown]
	v_or_b32_e32 v25, 16, v77
	s_mul_hi_i32 s3, s16, s17
	s_mul_i32 s16, s16, s17
	v_lshlrev_b32_e32 v35, 2, v25
	s_add_u32 s6, s16, s33
	v_or_b32_e32 v22, v22, v35
	s_addc_u32 s7, s3, s46
	v_lshlrev_b32_e32 v22, 1, v22
	s_ashr_i32 s3, s2, 31
	s_lshl_b64 s[6:7], s[6:7], 15
	ds_write2st64_b64 v22, v[18:19], v[20:21] offset0:80 offset1:88
	v_lshlrev_b32_e32 v22, 8, v25
	s_add_u32 s6, s40, s6
	v_or_b32_e32 v23, v23, v22
	s_addc_u32 s7, s41, s7
	s_lshl_b64 s[2:3], s[2:3], 8
	ds_write_b64 v23, v[18:19]
	v_or_b32_e32 v18, v24, v22
	s_add_u32 s2, s6, s2
	ds_write_b64 v18, v[20:21]
	v_lshrrev_b32_e32 v18, 4, v0
	s_addc_u32 s3, s7, s3
	v_lshlrev_b32_e32 v19, 1, v77
	v_lshlrev_b32_e32 v26, 4, v77
	v_mov_b32_e32 v27, 0
	v_or_b32_e32 v20, 1, v19
	v_xor_b32_e32 v19, v18, v19
	v_lshl_add_u64 v[28:29], s[2:3], 0, v[26:27]
	v_lshlrev_b32_e32 v26, 8, v18
	v_xor_b32_e32 v22, v20, v18
	v_lshl_or_b32 v18, v19, 3, v26
	s_waitcnt lgkmcnt(0)
	s_barrier
	ds_read2st64_b64 v[18:21], v18 offset1:8
	v_lshl_or_b32 v22, v22, 3, v26
	ds_read2st64_b64 v[22:25], v22 offset1:8
	v_lshl_add_u64 v[30:31], v[28:29], 0, v[26:27]
	s_movk_i32 s2, 0x1000
	s_waitcnt lgkmcnt(1)
	v_mov_b32_e32 v26, v18
	v_add_co_u32_e32 v18, vcc, s2, v30
	s_cmp_lg_u32 s44, 64
	v_mov_b32_e32 v27, v19
	v_addc_co_u32_e32 v19, vcc, 0, v31, vcc
	s_cselect_b64 s[6:7], -1, 0
	v_lshl_or_b32 v42, v1, 3, v79
	s_waitcnt lgkmcnt(0)
	v_mov_b32_e32 v28, v22
	v_mov_b32_e32 v29, v23
	;; [unrolled: 1-line block ×4, first 2 shown]
	s_mov_b32 s24, 0
	v_or_b32_e32 v36, 32, v42
	v_and_b32_e32 v34, 56, v78
	s_and_b64 vcc, exec, s[6:7]
	global_store_dwordx4 v[30:31], v[26:29], off
	global_store_dwordx4 v[18:19], v[22:25], off
	s_cbranch_vccz .LBB466_31
; %bb.26:
	s_mov_b32 s25, s24
	s_mov_b32 s26, s24
	;; [unrolled: 1-line block ×3, first 2 shown]
	v_mov_b64_e32 v[22:23], s[24:25]
	v_mov_b64_e32 v[24:25], s[26:27]
	v_mov_b64_e32 v[18:19], v[22:23]
	v_cmp_gt_i32_e32 vcc, s44, v42
	v_mov_b64_e32 v[20:21], v[24:25]
	s_and_saveexec_b64 s[2:3], vcc
	s_cbranch_execz .LBB466_28
; %bb.27:
	v_lshlrev_b32_e32 v18, 8, v42
	v_mov_b32_e32 v19, 0
	v_lshl_add_u64 v[20:21], s[0:1], 0, v[18:19]
	v_lshlrev_b32_e32 v18, 1, v34
	v_lshl_add_u64 v[26:27], v[20:21], 0, v[18:19]
	global_load_dwordx4 v[22:25], v[26:27], off
	global_load_dwordx4 v[18:21], v[26:27], off offset:128
.LBB466_28:
	s_or_b64 exec, exec, s[2:3]
	s_mov_b32 s26, s24
	s_mov_b32 s27, s24
	;; [unrolled: 1-line block ×3, first 2 shown]
	v_mov_b64_e32 v[32:33], s[26:27]
	v_mov_b64_e32 v[30:31], s[24:25]
	v_mov_b64_e32 v[26:27], v[30:31]
	v_cmp_gt_i32_e32 vcc, s44, v36
	v_lshlrev_b32_e32 v37, 7, v36
	v_mov_b64_e32 v[28:29], v[32:33]
	s_and_saveexec_b64 s[2:3], vcc
	s_cbranch_execz .LBB466_30
; %bb.29:
	v_lshlrev_b32_e32 v26, 1, v37
	v_mov_b32_e32 v27, 0
	v_lshl_add_u64 v[28:29], s[0:1], 0, v[26:27]
	v_lshlrev_b32_e32 v26, 1, v34
	v_lshl_add_u64 v[40:41], v[28:29], 0, v[26:27]
	global_load_dwordx4 v[30:33], v[40:41], off
	global_load_dwordx4 v[26:29], v[40:41], off offset:128
.LBB466_30:
	s_or_b64 exec, exec, s[2:3]
	v_lshrrev_b32_e32 v39, 3, v34
	v_lshlrev_b32_e32 v40, 3, v42
	v_or_b32_e32 v39, v40, v39
	v_lshlrev_b32_e32 v39, 4, v39
	v_and_b32_e32 v40, 0x78, v40
	v_xor_b32_e32 v39, v39, v40
	s_branch .LBB466_33
.LBB466_31:
                                        ; implicit-def: $vgpr39
                                        ; implicit-def: $vgpr37
                                        ; implicit-def: $vgpr22_vgpr23_vgpr24_vgpr25
                                        ; implicit-def: $vgpr18_vgpr19_vgpr20_vgpr21
                                        ; implicit-def: $vgpr30_vgpr31_vgpr32_vgpr33
                                        ; implicit-def: $vgpr26_vgpr27_vgpr28_vgpr29
	s_cbranch_execz .LBB466_33
; %bb.32:
	s_waitcnt vmcnt(0)
	v_lshlrev_b32_e32 v18, 1, v34
	v_lshl_or_b32 v37, v42, 8, v18
	s_and_b32 s1, s1, 0xffff
	s_mov_b32 s3, 0x20000
	s_movk_i32 s2, 0x4000
	v_lshl_or_b32 v39, v36, 8, v18
	s_movk_i32 s16, 0x80
	buffer_load_dwordx4 v[22:25], v37, s[0:3], 0 offen
	buffer_load_dwordx4 v[18:21], v37, s[0:3], s16 offen
	;; [unrolled: 1-line block ×4, first 2 shown]
	v_lshrrev_b32_e32 v37, 3, v34
	v_lshlrev_b32_e32 v39, 3, v42
	v_or_b32_e32 v37, v39, v37
	v_lshlrev_b32_e32 v37, 4, v37
	v_and_b32_e32 v39, 0x78, v39
	v_xor_b32_e32 v39, v37, v39
	v_lshlrev_b32_e32 v37, 7, v36
.LBB466_33:
	s_lshl_b64 s[0:1], s[42:43], 8
	s_add_u32 s4, s4, s0
	s_movk_i32 s0, 0x1000
	v_and_or_b32 v36, v37, s0, v39
	s_waitcnt vmcnt(1)
	ds_write_b64 v39, v[22:23] offset:24576
	v_xor_b32_e32 v22, 8, v39
	ds_write_b64 v22, v[24:25] offset:24576
	s_waitcnt vmcnt(0)
	ds_write_b64 v39, v[18:19] offset:32768
	ds_write_b64 v22, v[20:21] offset:32768
	;; [unrolled: 1-line block ×3, first 2 shown]
	v_xor_b32_e32 v18, 8, v36
	ds_write_b64 v18, v[32:33] offset:24576
	ds_write_b64 v36, v[26:27] offset:32768
	;; [unrolled: 1-line block ×3, first 2 shown]
	v_or_b32_e32 v18, v61, v77
	v_lshlrev_b32_e32 v18, 3, v18
	v_lshrrev_b32_e32 v19, 5, v63
	s_movk_i32 s2, 0xf8
	v_and_or_b32 v19, v18, s2, v19
	v_lshlrev_b32_e32 v23, 4, v19
	v_lshlrev_b32_e32 v39, 11, v1
	v_and_b32_e32 v24, 0x78, v18
	v_or_b32_e32 v26, 32, v23
	v_and_b32_e32 v22, 0x1000, v39
	v_lshrrev_b32_e32 v19, 1, v63
	v_xor_b32_e32 v26, v26, v24
	v_xor_b32_e32 v18, v23, v24
	v_and_b32_e32 v25, 8, v19
	v_or_b32_e32 v26, v26, v22
	v_or_b32_e32 v18, v18, v22
	v_xor_b32_e32 v44, v26, v25
	v_or_b32_e32 v26, 64, v23
	v_xor_b32_e32 v43, v18, v25
	v_xor_b32_e32 v26, v26, v24
	s_waitcnt lgkmcnt(0)
	s_barrier
	v_or_b32_e32 v28, v26, v22
	ds_read_b64 v[26:27], v43 offset:24576
	v_lshl_or_b32 v36, v76, 7, v38
	v_lshlrev_b32_e32 v40, 1, v36
	v_add_u32_e32 v18, 0xa000, v40
	ds_read2_b64 v[18:21], v18 offset1:16
	v_or_b32_e32 v23, 0x60, v23
	v_xor_b32_e32 v23, v23, v24
	s_waitcnt lgkmcnt(0)
	v_mfma_f32_16x16x16_bf16 a[0:3], v[26:27], v[18:19], 0
	v_or_b32_e32 v18, 64, v36
	v_or_b32_e32 v22, v23, v22
	v_lshlrev_b32_e32 v41, 1, v18
	v_xor_b32_e32 v45, v28, v25
	v_xor_b32_e32 v46, v22, v25
	ds_read_b64 v[28:29], v44 offset:24576
	ds_read_b64 v[30:31], v45 offset:24576
	;; [unrolled: 1-line block ×3, first 2 shown]
	v_mfma_f32_16x16x16_bf16 a[4:7], v[26:27], v[20:21], 0
	ds_read2st64_b64 v[18:21], v41 offset0:82 offset1:84
	ds_read2st64_b64 v[22:25], v40 offset0:82 offset1:84
	s_addc_u32 s5, s5, s1
	s_add_i32 s0, s49, s47
	s_add_i32 s16, s35, -1
	s_add_i32 s37, s0, s50
	s_add_i32 s0, s51, s48
	;; [unrolled: 1-line block ×3, first 2 shown]
	s_ashr_i32 s0, s16, 31
	s_mul_i32 s1, s16, s23
	s_mul_hi_u32 s2, s16, s22
	s_add_i32 s1, s2, s1
	s_mul_i32 s0, s0, s22
	s_waitcnt lgkmcnt(1)
	v_mfma_f32_16x16x16_bf16 a[4:7], v[28:29], v[18:19], a[4:7]
	s_add_i32 s1, s1, s0
	s_lshl_b64 s[2:3], s[36:37], 2
	s_add_u32 s10, s10, s2
	s_waitcnt lgkmcnt(0)
	v_mfma_f32_16x16x16_bf16 a[0:3], v[28:29], v[22:23], a[0:3]
	s_addc_u32 s11, s11, s3
	s_lshl_b64 s[2:3], s[38:39], 2
	s_mul_i32 s0, s16, s22
	s_add_u32 s10, s10, s2
	ds_read_b64 v[18:19], v40 offset:44032
	v_mfma_f32_16x16x16_bf16 a[4:7], v[30:31], v[20:21], a[4:7]
	ds_read_b64 v[20:21], v41 offset:44032
	s_addc_u32 s11, s11, s3
	s_lshl_b64 s[0:1], s[0:1], 2
	v_mfma_f32_16x16x16_bf16 a[0:3], v[30:31], v[24:25], a[0:3]
	s_add_u32 s0, s10, s0
	s_addc_u32 s1, s11, s1
	s_load_dword s18, s[0:1], 0x0
	s_waitcnt lgkmcnt(0)
	v_mfma_f32_16x16x16_bf16 a[0:3], v[32:33], v[18:19], a[0:3]
	s_and_b64 vcc, exec, s[30:31]
	v_mfma_f32_16x16x16_bf16 a[4:7], v[32:33], v[20:21], a[4:7]
	s_cbranch_vccz .LBB466_44
; %bb.34:
	v_lshlrev_b32_e32 v36, 1, v42
	s_and_b64 vcc, exec, s[6:7]
	s_cbranch_vccz .LBB466_45
; %bb.35:
	v_cmp_gt_i32_e32 vcc, s44, v36
	v_mov_b32_e32 v22, 0
	v_mov_b32_e32 v18, 0
	;; [unrolled: 1-line block ×5, first 2 shown]
	s_and_saveexec_b64 s[0:1], vcc
	s_cbranch_execz .LBB466_37
; %bb.36:
	v_mad_i64_i32 v[18:19], s[2:3], s19, v36, 0
	v_lshl_add_u64 v[18:19], v[18:19], 1, s[4:5]
	v_lshlrev_b32_e32 v20, 1, v34
	v_mov_b32_e32 v21, 0
	v_lshl_add_u64 v[18:19], v[18:19], 0, v[20:21]
	global_load_dwordx4 v[18:21], v[18:19], off
.LBB466_37:
	s_or_b64 exec, exec, s[0:1]
	v_or_b32_e32 v37, 1, v36
	v_cmp_gt_i32_e64 s[0:1], s44, v37
	v_mov_b32_e32 v23, 0
	v_mov_b32_e32 v24, 0
	;; [unrolled: 1-line block ×3, first 2 shown]
	s_and_saveexec_b64 s[2:3], s[0:1]
	s_cbranch_execz .LBB466_39
; %bb.38:
	v_mad_i64_i32 v[22:23], s[24:25], s19, v37, 0
	v_lshl_add_u64 v[22:23], v[22:23], 1, s[4:5]
	v_lshlrev_b32_e32 v24, 1, v34
	v_mov_b32_e32 v25, 0
	v_lshl_add_u64 v[22:23], v[22:23], 0, v[24:25]
	global_load_dwordx4 v[22:25], v[22:23], off
.LBB466_39:
	s_or_b64 exec, exec, s[2:3]
	v_mov_b32_e32 v33, 0
	v_mov_b32_e32 v26, 0
	;; [unrolled: 1-line block ×5, first 2 shown]
	s_and_saveexec_b64 s[2:3], vcc
	s_cbranch_execz .LBB466_41
; %bb.40:
	v_mad_i64_i32 v[26:27], s[24:25], s19, v36, 0
	v_lshl_add_u64 v[26:27], v[26:27], 1, s[4:5]
	v_lshlrev_b32_e32 v28, 1, v34
	v_mov_b32_e32 v29, 0
	v_lshl_add_u64 v[26:27], v[26:27], 0, v[28:29]
	global_load_dwordx4 v[26:29], v[26:27], off offset:128
.LBB466_41:
	s_or_b64 exec, exec, s[2:3]
	v_mov_b32_e32 v32, 0
	v_mov_b32_e32 v31, 0
	;; [unrolled: 1-line block ×3, first 2 shown]
	s_and_saveexec_b64 s[2:3], s[0:1]
	s_cbranch_execz .LBB466_43
; %bb.42:
	v_mad_i64_i32 v[30:31], s[0:1], s19, v37, 0
	v_lshl_add_u64 v[30:31], v[30:31], 1, s[4:5]
	v_lshlrev_b32_e32 v32, 1, v34
	v_mov_b32_e32 v33, 0
	v_lshl_add_u64 v[30:31], v[30:31], 0, v[32:33]
	global_load_dwordx4 v[30:33], v[30:31], off offset:128
.LBB466_43:
	s_or_b64 exec, exec, s[2:3]
	s_branch .LBB466_47
.LBB466_44:
                                        ; implicit-def: $vgpr21
                                        ; implicit-def: $vgpr25
                                        ; implicit-def: $vgpr29
                                        ; implicit-def: $vgpr33
	v_lshrrev_b32_e32 v47, 2, v63
	s_branch .LBB466_48
.LBB466_45:
                                        ; implicit-def: $vgpr21
                                        ; implicit-def: $vgpr25
                                        ; implicit-def: $vgpr29
                                        ; implicit-def: $vgpr33
	s_cbranch_execz .LBB466_47
; %bb.46:
	s_waitcnt vmcnt(0)
	v_mad_u64_u32 v[18:19], s[0:1], v36, s19, v[34:35]
	v_lshlrev_b32_e32 v36, 1, v18
	s_lshl_b32 s2, s19, 7
	s_and_b32 s1, s5, 0xffff
	s_mov_b32 s3, 0x20000
	s_mov_b32 s0, s4
	v_add_lshl_u32 v37, v18, s19, 1
	s_movk_i32 s19, 0x80
	buffer_load_dwordx4 v[18:21], v36, s[0:3], 0 offen
	buffer_load_dwordx4 v[26:29], v36, s[0:3], s19 offen
	buffer_load_dwordx4 v[22:25], v37, s[0:3], 0 offen
	buffer_load_dwordx4 v[30:33], v37, s[0:3], s19 offen
.LBB466_47:
	v_lshrrev_b32_e32 v47, 2, v63
	s_cbranch_execnz .LBB466_60
.LBB466_48:
	s_and_b64 vcc, exec, s[6:7]
	s_cbranch_vccz .LBB466_58
; %bb.49:
	s_waitcnt vmcnt(0)
	v_lshlrev_b32_e32 v23, 1, v42
	v_cmp_gt_i32_e32 vcc, s44, v23
	v_mov_b32_e32 v22, 0
	v_lshlrev_b32_e32 v30, 9, v42
	v_mov_b32_e32 v18, 0
	v_mov_b32_e32 v19, 0
	;; [unrolled: 1-line block ×4, first 2 shown]
	s_and_saveexec_b64 s[0:1], vcc
	s_cbranch_execz .LBB466_51
; %bb.50:
	v_mov_b32_e32 v31, 0
	v_lshl_add_u64 v[18:19], s[4:5], 0, v[30:31]
	v_lshlrev_b32_e32 v20, 1, v34
	v_mov_b32_e32 v21, v31
	v_lshl_add_u64 v[18:19], v[18:19], 0, v[20:21]
	global_load_dwordx4 v[18:21], v[18:19], off
.LBB466_51:
	s_or_b64 exec, exec, s[0:1]
	v_or_b32_e32 v23, 1, v23
	v_cmp_gt_i32_e64 s[0:1], s44, v23
	v_lshlrev_b32_e32 v36, 8, v23
	v_mov_b32_e32 v23, 0
	v_mov_b32_e32 v24, 0
	;; [unrolled: 1-line block ×3, first 2 shown]
	s_and_saveexec_b64 s[2:3], s[0:1]
	s_cbranch_execz .LBB466_53
; %bb.52:
	v_mov_b32_e32 v37, 0
	v_lshl_add_u64 v[22:23], s[4:5], 0, v[36:37]
	v_lshlrev_b32_e32 v24, 1, v34
	v_mov_b32_e32 v25, v37
	v_lshl_add_u64 v[22:23], v[22:23], 0, v[24:25]
	global_load_dwordx4 v[22:25], v[22:23], off
.LBB466_53:
	s_or_b64 exec, exec, s[2:3]
	v_mov_b32_e32 v33, 0
	v_mov_b32_e32 v26, 0
	;; [unrolled: 1-line block ×5, first 2 shown]
	s_and_saveexec_b64 s[2:3], vcc
	s_cbranch_execz .LBB466_55
; %bb.54:
	v_mov_b32_e32 v31, 0
	v_lshl_add_u64 v[26:27], s[4:5], 0, v[30:31]
	v_lshlrev_b32_e32 v30, 1, v34
	v_lshl_add_u64 v[26:27], v[26:27], 0, v[30:31]
	global_load_dwordx4 v[26:29], v[26:27], off offset:128
.LBB466_55:
	s_or_b64 exec, exec, s[2:3]
	v_mov_b32_e32 v32, 0
	v_mov_b32_e32 v31, 0
	;; [unrolled: 1-line block ×3, first 2 shown]
	s_and_saveexec_b64 s[2:3], s[0:1]
	s_cbranch_execz .LBB466_57
; %bb.56:
	v_mov_b32_e32 v37, 0
	v_lshl_add_u64 v[30:31], s[4:5], 0, v[36:37]
	v_lshlrev_b32_e32 v36, 1, v34
	v_lshl_add_u64 v[30:31], v[30:31], 0, v[36:37]
	global_load_dwordx4 v[30:33], v[30:31], off offset:128
.LBB466_57:
	s_or_b64 exec, exec, s[2:3]
	s_branch .LBB466_60
.LBB466_58:
                                        ; implicit-def: $vgpr21
                                        ; implicit-def: $vgpr25
                                        ; implicit-def: $vgpr29
                                        ; implicit-def: $vgpr33
	s_cbranch_execz .LBB466_60
; %bb.59:
	s_waitcnt vmcnt(0)
	v_lshlrev_b32_e32 v18, 1, v34
	v_lshl_or_b32 v34, v42, 9, v18
	s_and_b32 s5, s5, 0xffff
	s_mov_b32 s7, 0x20000
	s_movk_i32 s6, 0x4000
	s_movk_i32 s0, 0x80
	buffer_load_dwordx4 v[18:21], v34, s[4:7], 0 offen
	buffer_load_dwordx4 v[22:25], v34, s[4:7], 0 offen offset:256
	buffer_load_dwordx4 v[26:29], v34, s[4:7], s0 offen
	buffer_load_dwordx4 v[30:33], v34, s[4:7], s0 offen offset:256
.LBB466_60:
	ds_read_b64 v[36:37], v43 offset:32768
	v_add_u32_e32 v34, 0xb000, v40
	ds_read2_b64 v[48:51], v34 offset1:16
	ds_read_b64 v[56:57], v44 offset:32768
	ds_read_b64 v[44:45], v45 offset:32768
	;; [unrolled: 1-line block ×3, first 2 shown]
	ds_read2st64_b64 v[52:55], v41 offset0:90 offset1:92
	v_and_b32_e32 v43, 6, v0
	v_and_b32_e32 v34, 12, v47
	v_xor_b32_e32 v42, v42, v43
	v_lshlrev_b32_e32 v42, 2, v42
	s_mov_b32 s0, 0x1000504
	s_waitcnt lgkmcnt(4)
	v_mfma_f32_16x16x16_bf16 a[0:3], v[36:37], v[48:49], a[0:3]
	s_mov_b32 s1, 0x3020706
	v_mfma_f32_16x16x16_bf16 a[4:7], v[36:37], v[50:51], a[4:7]
	ds_read2st64_b64 v[48:51], v40 offset0:90 offset1:92
	ds_read_b64 v[36:37], v40 offset:48128
	ds_read_b64 v[46:47], v41 offset:48128
	s_waitcnt lgkmcnt(2)
	v_mfma_f32_16x16x16_bf16 a[0:3], v[56:57], v[48:49], a[0:3]
	v_and_b32_e32 v48, 1, v0
	v_xor_b32_e32 v49, 0x440, v42
	v_cmp_eq_u32_e32 vcc, 0, v48
	v_mfma_f32_16x16x16_bf16 a[4:7], v[56:57], v[52:53], a[4:7]
	s_nop 0
	v_cndmask_b32_e32 v42, v49, v42, vcc
	v_lshl_or_b32 v42, v43, 10, v42
	v_mfma_f32_16x16x16_bf16 a[0:3], v[44:45], v[50:51], a[0:3]
	v_mfma_f32_16x16x16_bf16 a[8:11], v[44:45], v[54:55], a[4:7]
	s_waitcnt lgkmcnt(1)
	v_mfma_f32_16x16x16_bf16 a[4:7], v[58:59], v[36:37], a[0:3]
	s_waitcnt vmcnt(0)
	v_perm_b32 v36, v18, v22, s0
	v_perm_b32 v37, v26, v30, s0
	ds_write2st64_b32 v42, v36, v37 offset0:32 offset1:64
	v_xor_b32_e32 v36, 8, v42
	v_perm_b32 v18, v18, v22, s1
	v_perm_b32 v22, v26, v30, s1
	v_add_u32_e32 v26, 0x80, v36
	ds_write2st64_b32 v26, v18, v22 offset0:32 offset1:64
	v_xor_b32_e32 v18, 16, v42
	v_perm_b32 v22, v19, v23, s0
	v_perm_b32 v26, v27, v31, s0
	ds_write2st64_b32 v18, v22, v26 offset0:33 offset1:65
	v_xor_b32_e32 v18, 24, v42
	v_perm_b32 v19, v19, v23, s1
	v_perm_b32 v22, v27, v31, s1
	v_add_u32_e32 v18, 0x80, v18
	ds_write2st64_b32 v18, v19, v22 offset0:33 offset1:65
	v_xor_b32_e32 v18, 32, v42
	v_perm_b32 v19, v20, v24, s0
	v_perm_b32 v22, v28, v32, s0
	ds_write2st64_b32 v18, v19, v22 offset0:34 offset1:66
	v_xor_b32_e32 v18, 40, v42
	s_waitcnt lgkmcnt(5)
	v_mfma_f32_16x16x16_bf16 a[0:3], v[58:59], v[46:47], a[8:11]
	v_perm_b32 v19, v20, v24, s1
	v_perm_b32 v20, v28, v32, s1
	v_add_u32_e32 v18, 0x80, v18
	ds_write2st64_b32 v18, v19, v20 offset0:34 offset1:66
	v_xor_b32_e32 v18, 48, v42
	v_perm_b32 v19, v21, v25, s0
	v_perm_b32 v20, v29, v33, s0
	ds_write2st64_b32 v18, v19, v20 offset0:35 offset1:67
	v_xor_b32_e32 v18, 56, v42
	v_or_b32_e32 v32, v34, v61
	v_perm_b32 v19, v21, v25, s1
	v_perm_b32 v20, v29, v33, s1
	v_add_u32_e32 v18, 0x80, v18
	v_cmp_gt_i32_e32 vcc, s44, v32
	v_mov_b32_e32 v33, 0
	v_mov_b32_e32 v37, 0
	ds_write2st64_b32 v18, v19, v20 offset0:35 offset1:67
	s_and_saveexec_b64 s[0:1], vcc
	s_cbranch_execz .LBB466_62
; %bb.61:
	v_add_u32_e32 v18, s34, v32
	v_ashrrev_i32_e32 v19, 31, v18
	v_mul_lo_u32 v20, v19, s22
	v_mul_lo_u32 v21, v18, s23
	v_mad_u64_u32 v[18:19], s[2:3], v18, s22, 0
	v_add3_u32 v19, v19, v21, v20
	v_lshl_add_u64 v[18:19], v[18:19], 2, s[10:11]
	global_load_dword v18, v[18:19], off
	s_waitcnt vmcnt(0)
	v_sub_f32_e32 v18, s18, v18
	v_mul_f32_e32 v18, 0x3fb8aa3b, v18
	v_exp_f32_e32 v37, v18
.LBB466_62:
	s_or_b64 exec, exec, s[0:1]
	v_or_b32_e32 v26, 1, v32
	v_cmp_gt_i32_e64 s[0:1], s44, v26
	s_and_saveexec_b64 s[2:3], s[0:1]
	s_cbranch_execz .LBB466_64
; %bb.63:
	v_add_u32_e32 v18, s34, v26
	v_ashrrev_i32_e32 v19, 31, v18
	v_mul_lo_u32 v20, v19, s22
	v_mul_lo_u32 v21, v18, s23
	v_mad_u64_u32 v[18:19], s[4:5], v18, s22, 0
	v_add3_u32 v19, v19, v21, v20
	v_lshl_add_u64 v[18:19], v[18:19], 2, s[10:11]
	global_load_dword v18, v[18:19], off
	s_waitcnt vmcnt(0)
	v_sub_f32_e32 v18, s18, v18
	v_mul_f32_e32 v18, 0x3fb8aa3b, v18
	v_exp_f32_e32 v33, v18
.LBB466_64:
	s_or_b64 exec, exec, s[2:3]
	v_or_b32_e32 v27, 2, v32
	v_cmp_gt_i32_e64 s[2:3], s44, v27
	v_mov_b32_e32 v36, 0
	v_mov_b32_e32 v42, 0
	s_and_saveexec_b64 s[4:5], s[2:3]
	s_cbranch_execz .LBB466_66
; %bb.65:
	v_add_u32_e32 v18, s34, v27
	v_ashrrev_i32_e32 v19, 31, v18
	v_mul_lo_u32 v20, v19, s22
	v_mul_lo_u32 v21, v18, s23
	v_mad_u64_u32 v[18:19], s[6:7], v18, s22, 0
	v_add3_u32 v19, v19, v21, v20
	v_lshl_add_u64 v[18:19], v[18:19], 2, s[10:11]
	global_load_dword v18, v[18:19], off
	s_waitcnt vmcnt(0)
	v_sub_f32_e32 v18, s18, v18
	v_mul_f32_e32 v18, 0x3fb8aa3b, v18
	v_exp_f32_e32 v42, v18
.LBB466_66:
	s_or_b64 exec, exec, s[4:5]
	v_or_b32_e32 v43, 3, v32
	v_cmp_gt_i32_e64 s[4:5], s44, v43
	s_and_saveexec_b64 s[6:7], s[4:5]
	s_cbranch_execz .LBB466_68
; %bb.67:
	v_add_u32_e32 v18, s34, v43
	v_ashrrev_i32_e32 v19, 31, v18
	v_mul_lo_u32 v20, v19, s22
	v_mul_lo_u32 v21, v18, s23
	v_mad_u64_u32 v[18:19], s[22:23], v18, s22, 0
	v_add3_u32 v19, v19, v21, v20
	v_lshl_add_u64 v[18:19], v[18:19], 2, s[10:11]
	global_load_dword v18, v[18:19], off
	s_waitcnt vmcnt(0)
	v_sub_f32_e32 v18, s18, v18
	v_mul_f32_e32 v18, 0x3fb8aa3b, v18
	v_exp_f32_e32 v36, v18
.LBB466_68:
	s_or_b64 exec, exec, s[6:7]
	s_add_u32 s6, s8, s28
	v_accvgpr_read_b32 v21, a7
	s_addc_u32 s7, s9, s29
	v_ashrrev_i32_e32 v69, 31, v68
	v_accvgpr_read_b32 v20, a6
	v_accvgpr_read_b32 v19, a5
	;; [unrolled: 1-line block ×3, first 2 shown]
	v_lshl_add_u64 v[22:23], v[68:69], 1, s[6:7]
	v_mov_b32_e32 v29, 0
	v_lshlrev_b32_e32 v24, 8, v32
	v_mov_b32_e32 v25, 0
	s_and_saveexec_b64 s[6:7], vcc
	s_cbranch_execz .LBB466_70
; %bb.69:
	v_mov_b32_e32 v25, 0
	v_lshl_add_u64 v[30:31], v[22:23], 0, v[24:25]
	global_load_ushort v25, v[30:31], off
	s_waitcnt vmcnt(0)
	v_lshlrev_b32_e32 v25, 16, v25
	v_sub_f32_e32 v18, v25, v18
	v_mul_f32_e32 v18, v37, v18
	v_lshrrev_b32_e32 v25, 16, v18
.LBB466_70:
	s_or_b64 exec, exec, s[6:7]
	v_lshlrev_b32_e32 v28, 8, v26
	s_and_saveexec_b64 s[6:7], s[0:1]
	s_cbranch_execz .LBB466_72
; %bb.71:
	v_mov_b32_e32 v29, 0
	v_lshl_add_u64 v[30:31], v[22:23], 0, v[28:29]
	global_load_ushort v18, v[30:31], off
	s_waitcnt vmcnt(0)
	v_lshlrev_b32_e32 v18, 16, v18
	v_sub_f32_e32 v18, v18, v19
	v_mul_f32_e32 v18, v33, v18
	v_lshrrev_b32_e32 v29, 16, v18
.LBB466_72:
	s_or_b64 exec, exec, s[6:7]
	v_mov_b32_e32 v44, 0
	v_lshlrev_b32_e32 v30, 8, v27
	v_mov_b32_e32 v31, 0
	s_and_saveexec_b64 s[6:7], s[2:3]
	s_cbranch_execz .LBB466_74
; %bb.73:
	v_mov_b32_e32 v31, 0
	v_lshl_add_u64 v[18:19], v[22:23], 0, v[30:31]
	global_load_ushort v18, v[18:19], off
	s_waitcnt vmcnt(0)
	v_lshlrev_b32_e32 v18, 16, v18
	v_sub_f32_e32 v18, v18, v20
	v_mul_f32_e32 v18, v42, v18
	v_lshrrev_b32_e32 v31, 16, v18
.LBB466_74:
	s_or_b64 exec, exec, s[6:7]
	v_lshlrev_b32_e32 v26, 8, v43
	s_and_saveexec_b64 s[6:7], s[4:5]
	s_cbranch_execz .LBB466_76
; %bb.75:
	v_mov_b32_e32 v27, 0
	v_lshl_add_u64 v[18:19], v[22:23], 0, v[26:27]
	global_load_ushort v18, v[18:19], off
	s_waitcnt vmcnt(0)
	v_lshlrev_b32_e32 v18, 16, v18
	v_sub_f32_e32 v18, v18, v21
	v_mul_f32_e32 v18, v36, v18
	v_lshrrev_b32_e32 v44, 16, v18
.LBB466_76:
	s_or_b64 exec, exec, s[6:7]
	v_lshlrev_b32_e32 v43, 5, v32
	s_mov_b32 s6, 0x5040100
	v_perm_b32 v45, v44, v31, s6
	v_perm_b32 v44, v29, v25, s6
	v_or_b32_e32 v25, v43, v38
	v_accvgpr_read_b32 v21, a3
	v_lshlrev_b32_e32 v25, 1, v25
	v_accvgpr_read_b32 v20, a2
	v_accvgpr_read_b32 v19, a1
	;; [unrolled: 1-line block ×3, first 2 shown]
	ds_write_b64 v25, v[44:45] offset:45056
	v_mov_b32_e32 v29, 0
	v_mov_b32_e32 v25, 0
	s_and_saveexec_b64 s[6:7], vcc
	s_cbranch_execz .LBB466_78
; %bb.77:
	v_mov_b32_e32 v25, 0
	v_lshl_add_u64 v[24:25], v[22:23], 0, v[24:25]
	global_load_ushort v24, v[24:25], off offset:32
	s_waitcnt vmcnt(0)
	v_lshlrev_b32_e32 v24, 16, v24
	v_sub_f32_e32 v18, v24, v18
	v_mul_f32_e32 v18, v37, v18
	v_lshrrev_b32_e32 v25, 16, v18
.LBB466_78:
	s_or_b64 exec, exec, s[6:7]
	s_and_saveexec_b64 s[6:7], s[0:1]
	s_cbranch_execz .LBB466_80
; %bb.79:
	v_mov_b32_e32 v29, 0
	v_lshl_add_u64 v[28:29], v[22:23], 0, v[28:29]
	global_load_ushort v18, v[28:29], off offset:32
	s_waitcnt vmcnt(0)
	v_lshlrev_b32_e32 v18, 16, v18
	v_sub_f32_e32 v18, v18, v19
	v_mul_f32_e32 v18, v33, v18
	v_lshrrev_b32_e32 v29, 16, v18
.LBB466_80:
	s_or_b64 exec, exec, s[6:7]
	v_mov_b32_e32 v24, 0
	v_mov_b32_e32 v28, 0
	s_and_saveexec_b64 s[0:1], s[2:3]
	s_cbranch_execz .LBB466_82
; %bb.81:
	v_mov_b32_e32 v31, 0
	v_lshl_add_u64 v[18:19], v[22:23], 0, v[30:31]
	global_load_ushort v18, v[18:19], off offset:32
	s_waitcnt vmcnt(0)
	v_lshlrev_b32_e32 v18, 16, v18
	v_sub_f32_e32 v18, v18, v20
	v_mul_f32_e32 v18, v42, v18
	v_lshrrev_b32_e32 v28, 16, v18
.LBB466_82:
	s_or_b64 exec, exec, s[0:1]
	v_or_b32_e32 v19, 0xb000, v40
	v_or_b32_e32 v18, 0xb000, v41
	s_and_saveexec_b64 s[0:1], s[4:5]
	s_cbranch_execz .LBB466_84
; %bb.83:
	v_mov_b32_e32 v27, 0
	v_lshl_add_u64 v[22:23], v[22:23], 0, v[26:27]
	global_load_ushort v20, v[22:23], off offset:32
	s_waitcnt vmcnt(0)
	v_lshlrev_b32_e32 v20, 16, v20
	v_sub_f32_e32 v20, v20, v21
	v_mul_f32_e32 v20, v36, v20
	v_lshrrev_b32_e32 v24, 16, v20
.LBB466_84:
	s_or_b64 exec, exec, s[0:1]
	s_mov_b32 s0, 0x5040100
	v_or_b32_e32 v22, v43, v35
	v_perm_b32 v21, v24, v28, s0
	v_perm_b32 v20, v29, v25, s0
	v_lshlrev_b32_e32 v22, 1, v22
	s_movk_i32 s2, 0x100
	ds_write_b64 v22, v[20:21] offset:45056
	v_and_b32_e32 v20, 7, v0
	v_and_b32_e32 v21, 8, v0
	v_cmp_gt_u32_e32 vcc, s2, v0
	v_lshrrev_b32_e32 v0, 1, v0
	v_lshlrev_b32_e32 v26, 3, v20
	v_lshlrev_b32_e32 v48, 7, v20
	v_mov_b32_e32 v20, 0x4000
	v_mov_b32_e32 v22, 0x2000
	v_lshlrev_b32_e32 v24, 3, v1
	v_and_b32_e32 v0, 24, v0
	v_cndmask_b32_e32 v27, v20, v22, vcc
	v_xor_b32_e32 v20, v24, v0
	v_or_b32_e32 v22, 0x440, v20
	v_cmp_eq_u32_e32 vcc, 0, v21
	v_or_b32_e32 v28, 32, v0
	v_xor_b32_e32 v28, v24, v28
	v_cndmask_b32_e32 v20, v22, v20, vcc
	v_or_b32_e32 v20, v20, v39
	v_xor_b32_e32 v49, v20, v26
	v_or_b32_e32 v29, 0x440, v28
	v_add3_u32 v25, v27, v49, v48
	v_cndmask_b32_e32 v28, v29, v28, vcc
	v_or_b32_e32 v29, 64, v0
	v_or_b32_e32 v0, 0x60, v0
	s_waitcnt lgkmcnt(0)
	s_barrier
	v_xor_b32_e32 v29, v24, v29
	v_xor_b32_e32 v0, v24, v0
	ds_read_b64 v[24:25], v25
	v_xor_b32_e32 v30, 0x440, v29
	ds_read2_b64 v[20:23], v19 offset1:16
	v_cndmask_b32_e32 v29, v30, v29, vcc
	v_xor_b32_e32 v30, 0x440, v0
	v_or_b32_e32 v28, v28, v39
	v_or_b32_e32 v29, v29, v39
	v_cndmask_b32_e32 v0, v30, v0, vcc
	v_xor_b32_e32 v50, v28, v26
	v_xor_b32_e32 v51, v29, v26
	v_or_b32_e32 v0, v0, v39
	v_add3_u32 v28, v27, v50, v48
	v_add3_u32 v29, v27, v51, v48
	v_xor_b32_e32 v52, v0, v26
	s_mul_i32 s0, s16, s17
	s_mul_hi_i32 s1, s16, s17
	v_add3_u32 v0, v27, v52, v48
	ds_read_b64 v[26:27], v28
	ds_read_b64 v[40:41], v29
	;; [unrolled: 1-line block ×3, first 2 shown]
	s_add_u32 s0, s0, s33
	ds_read2st64_b64 v[28:31], v19 offset0:2 offset1:4
	ds_read2st64_b64 v[36:39], v18 offset0:2 offset1:4
	s_waitcnt lgkmcnt(5)
	v_mfma_f32_16x16x16_bf16 a[0:3], v[24:25], v[20:21], 0
	s_addc_u32 s1, s1, s46
	s_lshl_b64 s[0:1], s[0:1], 9
	s_add_u32 s0, s20, s0
	v_mfma_f32_16x16x16_bf16 a[4:7], v[24:25], v[22:23], 0
	s_addc_u32 s1, s21, s1
	v_lshlrev_b32_e32 v0, 2, v32
	ds_read_b64 v[44:45], v19 offset:3072
	ds_read_b64 v[46:47], v18 offset:3072
	s_waitcnt lgkmcnt(3)
	v_mfma_f32_16x16x16_bf16 a[0:3], v[26:27], v[28:29], a[0:3]
	s_waitcnt lgkmcnt(2)
	v_mfma_f32_16x16x16_bf16 a[4:7], v[26:27], v[36:37], a[4:7]
	global_load_dwordx4 v[24:27], v0, s[0:1]
	v_lshlrev_b32_e32 v0, 6, v1
	v_lshlrev_b32_e32 v1, 2, v34
	v_or3_b32 v0, v0, v1, s2
	global_load_dwordx4 v[32:35], v0, s[0:1]
	v_mfma_f32_16x16x16_bf16 a[0:3], v[40:41], v[30:31], a[0:3]
	v_mov_b32_e32 v0, 0x3fb8aa3b
	v_mul_f32_e32 v0, s18, v0
	s_waitcnt vmcnt(1)
	v_mul_f32_e32 v18, 0x3fb8aa3b, v26
	v_mfma_f32_16x16x16_bf16 a[4:7], v[40:41], v[38:39], a[4:7]
	v_exp_f32_e32 v40, v0
	v_mul_f32_e32 v0, 0x3fb8aa3b, v24
	v_exp_f32_e32 v24, v18
	s_waitcnt lgkmcnt(1)
	v_mfma_f32_16x16x16_bf16 a[0:3], v[42:43], v[44:45], a[0:3]
	v_add_u32_e32 v18, v49, v48
	v_mul_f32_e32 v19, 0x3fb8aa3b, v27
	v_mul_f32_e32 v1, 0x3fb8aa3b, v25
	v_exp_f32_e32 v0, v0
	v_exp_f32_e32 v1, v1
	v_exp_f32_e32 v25, v19
	v_pk_mul_f32 v[0:1], v[40:41], v[0:1] op_sel_hi:[0,1]
	v_accvgpr_read_b32 v27, a3
	v_accvgpr_read_b32 v26, a2
	s_waitcnt lgkmcnt(0)
	v_mfma_f32_16x16x16_bf16 a[2:5], v[42:43], v[46:47], a[4:7]
	ds_read_b64 v[42:43], v18 offset:16384
	v_accvgpr_read_b32 v19, a1
	v_accvgpr_read_b32 v18, a0
	v_pk_fma_f32 v[18:19], v[2:3], v[0:1], v[18:19]
	v_add_u32_e32 v2, v50, v48
	v_add_u32_e32 v50, v52, v48
	s_waitcnt lgkmcnt(0)
	v_mfma_f32_16x16x16_bf16 a[6:9], v[42:43], v[20:21], 0
	v_add_u32_e32 v41, v51, v48
	ds_read_b64 v[2:3], v2 offset:16384
	ds_read_b64 v[48:49], v41 offset:16384
	;; [unrolled: 1-line block ×3, first 2 shown]
	v_pk_mul_f32 v[24:25], v[40:41], v[24:25] op_sel_hi:[0,1]
	v_pk_fma_f32 v[20:21], v[4:5], v[24:25], v[26:27]
	v_accvgpr_read_b32 v4, a2
	v_mfma_f32_16x16x16_bf16 a[10:13], v[42:43], v[22:23], 0
	v_fma_f32 v26, v10, v0, v4
	v_accvgpr_read_b32 v0, a3
	v_fma_f32 v27, v11, v1, v0
	s_waitcnt lgkmcnt(2)
	v_mfma_f32_16x16x16_bf16 a[0:3], v[2:3], v[28:29], a[6:9]
	v_accvgpr_read_b32 v0, a4
	v_accvgpr_read_b32 v29, a5
	v_fma_f32 v28, v12, v24, v0
	v_mfma_f32_16x16x16_bf16 a[4:7], v[2:3], v[36:37], a[10:13]
	s_waitcnt vmcnt(0)
	v_mov_b32_e32 v0, v33
	v_mov_b32_e32 v1, v34
	;; [unrolled: 1-line block ×3, first 2 shown]
	s_waitcnt lgkmcnt(1)
	v_mfma_f32_16x16x16_bf16 a[0:3], v[48:49], v[30:31], a[0:3]
	v_mul_f32_e32 v0, 0x3fb8aa3b, v0
	v_exp_f32_e32 v5, v0
	v_mul_f32_e32 v0, 0x3fb8aa3b, v1
	v_mfma_f32_16x16x16_bf16 a[4:7], v[48:49], v[38:39], a[4:7]
	v_mul_f32_e32 v1, 0x3fb8aa3b, v2
	v_mul_f32_e32 v3, 0x3fb8aa3b, v32
	v_exp_f32_e32 v0, v0
	s_waitcnt lgkmcnt(0)
	v_mfma_f32_16x16x16_bf16 a[0:3], v[50:51], v[44:45], a[0:3]
	v_exp_f32_e32 v1, v1
	v_exp_f32_e32 v4, v3
	v_fmac_f32_e32 v29, v13, v25
	v_pk_mul_f32 v[0:1], v[40:41], v[0:1] op_sel_hi:[0,1]
	v_pk_mul_f32 v[4:5], v[40:41], v[4:5] op_sel_hi:[0,1]
	s_nop 1
	v_accvgpr_read_b32 v3, a3
	v_accvgpr_read_b32 v2, a2
	v_mfma_f32_16x16x16_bf16 a[2:5], v[50:51], v[46:47], a[4:7]
	v_pk_fma_f32 v[24:25], v[8:9], v[0:1], v[2:3]
	v_accvgpr_read_b32 v11, a1
	v_accvgpr_read_b32 v10, a0
	v_pk_fma_f32 v[22:23], v[6:7], v[4:5], v[10:11]
	s_nop 2
	v_accvgpr_read_b32 v2, a2
	v_fma_f32 v30, v14, v4, v2
	v_accvgpr_read_b32 v2, a3
	v_fma_f32 v31, v15, v5, v2
	v_accvgpr_read_b32 v2, a4
	v_accvgpr_read_b32 v33, a5
	v_fma_f32 v32, v16, v0, v2
	v_fmac_f32_e32 v33, v17, v1
	v_mov_b64_e32 v[2:3], v[18:19]
	v_mov_b64_e32 v[4:5], v[20:21]
	;; [unrolled: 1-line block ×8, first 2 shown]
.LBB466_85:
	s_add_u32 s0, s12, s14
	s_addc_u32 s1, s13, s15
	v_lshl_add_u64 v[0:1], v[66:67], 2, s[0:1]
	v_mov_b32_e32 v63, 0
	v_lshl_add_u64 v[0:1], v[0:1], 0, v[62:63]
	global_store_dwordx4 v[0:1], v[2:5], off
	global_store_dwordx4 v[0:1], v[6:9], off offset:256
	v_lshl_add_u64 v[0:1], v[64:65], 2, s[0:1]
	v_lshl_add_u64 v[0:1], v[0:1], 0, v[62:63]
	global_store_dwordx4 v[0:1], v[10:13], off
	global_store_dwordx4 v[0:1], v[14:17], off offset:256
	s_endpgm
	.section	.rodata,"a",@progbits
	.p2align	6, 0x0
	.amdhsa_kernel _ZN12_GLOBAL__N_139chunk_gated_delta_rule_fwd_h_hip_kernelILi32ELb1ELb1ELb0ELb1ELb0ELb1ELb0ELb0EEEvPK12hip_bfloat16S3_S3_PKfS5_PKvPS1_S8_PvPKiSB_iiiiilll
		.amdhsa_group_segment_fixed_size 49152
		.amdhsa_private_segment_fixed_size 0
		.amdhsa_kernarg_size 136
		.amdhsa_user_sgpr_count 2
		.amdhsa_user_sgpr_dispatch_ptr 0
		.amdhsa_user_sgpr_queue_ptr 0
		.amdhsa_user_sgpr_kernarg_segment_ptr 1
		.amdhsa_user_sgpr_dispatch_id 0
		.amdhsa_user_sgpr_kernarg_preload_length 0
		.amdhsa_user_sgpr_kernarg_preload_offset 0
		.amdhsa_user_sgpr_private_segment_size 0
		.amdhsa_uses_dynamic_stack 0
		.amdhsa_enable_private_segment 0
		.amdhsa_system_sgpr_workgroup_id_x 1
		.amdhsa_system_sgpr_workgroup_id_y 1
		.amdhsa_system_sgpr_workgroup_id_z 0
		.amdhsa_system_sgpr_workgroup_info 0
		.amdhsa_system_vgpr_workitem_id 0
		.amdhsa_next_free_vgpr 172
		.amdhsa_next_free_sgpr 66
		.amdhsa_accum_offset 148
		.amdhsa_reserve_vcc 1
		.amdhsa_float_round_mode_32 0
		.amdhsa_float_round_mode_16_64 0
		.amdhsa_float_denorm_mode_32 3
		.amdhsa_float_denorm_mode_16_64 3
		.amdhsa_dx10_clamp 1
		.amdhsa_ieee_mode 1
		.amdhsa_fp16_overflow 0
		.amdhsa_tg_split 0
		.amdhsa_exception_fp_ieee_invalid_op 0
		.amdhsa_exception_fp_denorm_src 0
		.amdhsa_exception_fp_ieee_div_zero 0
		.amdhsa_exception_fp_ieee_overflow 0
		.amdhsa_exception_fp_ieee_underflow 0
		.amdhsa_exception_fp_ieee_inexact 0
		.amdhsa_exception_int_div_zero 0
	.end_amdhsa_kernel
	.section	.text._ZN12_GLOBAL__N_139chunk_gated_delta_rule_fwd_h_hip_kernelILi32ELb1ELb1ELb0ELb1ELb0ELb1ELb0ELb0EEEvPK12hip_bfloat16S3_S3_PKfS5_PKvPS1_S8_PvPKiSB_iiiiilll,"axG",@progbits,_ZN12_GLOBAL__N_139chunk_gated_delta_rule_fwd_h_hip_kernelILi32ELb1ELb1ELb0ELb1ELb0ELb1ELb0ELb0EEEvPK12hip_bfloat16S3_S3_PKfS5_PKvPS1_S8_PvPKiSB_iiiiilll,comdat
.Lfunc_end466:
	.size	_ZN12_GLOBAL__N_139chunk_gated_delta_rule_fwd_h_hip_kernelILi32ELb1ELb1ELb0ELb1ELb0ELb1ELb0ELb0EEEvPK12hip_bfloat16S3_S3_PKfS5_PKvPS1_S8_PvPKiSB_iiiiilll, .Lfunc_end466-_ZN12_GLOBAL__N_139chunk_gated_delta_rule_fwd_h_hip_kernelILi32ELb1ELb1ELb0ELb1ELb0ELb1ELb0ELb0EEEvPK12hip_bfloat16S3_S3_PKfS5_PKvPS1_S8_PvPKiSB_iiiiilll
                                        ; -- End function
	.section	.AMDGPU.csdata,"",@progbits
; Kernel info:
; codeLenInByte = 9680
; NumSgprs: 72
; NumVgprs: 146
; NumAgprs: 24
; TotalNumVgprs: 172
; ScratchSize: 0
; MemoryBound: 0
; FloatMode: 240
; IeeeMode: 1
; LDSByteSize: 49152 bytes/workgroup (compile time only)
; SGPRBlocks: 8
; VGPRBlocks: 21
; NumSGPRsForWavesPerEU: 72
; NumVGPRsForWavesPerEU: 172
; AccumOffset: 148
; Occupancy: 1
; WaveLimiterHint : 1
; COMPUTE_PGM_RSRC2:SCRATCH_EN: 0
; COMPUTE_PGM_RSRC2:USER_SGPR: 2
; COMPUTE_PGM_RSRC2:TRAP_HANDLER: 0
; COMPUTE_PGM_RSRC2:TGID_X_EN: 1
; COMPUTE_PGM_RSRC2:TGID_Y_EN: 1
; COMPUTE_PGM_RSRC2:TGID_Z_EN: 0
; COMPUTE_PGM_RSRC2:TIDIG_COMP_CNT: 0
; COMPUTE_PGM_RSRC3_GFX90A:ACCUM_OFFSET: 36
; COMPUTE_PGM_RSRC3_GFX90A:TG_SPLIT: 0
	.section	.text._ZN12_GLOBAL__N_139chunk_gated_delta_rule_fwd_h_hip_kernelILi32ELb1ELb0ELb1ELb1ELb0ELb1ELb0ELb0EEEvPK12hip_bfloat16S3_S3_PKfS5_PKvPS1_S8_PvPKiSB_iiiiilll,"axG",@progbits,_ZN12_GLOBAL__N_139chunk_gated_delta_rule_fwd_h_hip_kernelILi32ELb1ELb0ELb1ELb1ELb0ELb1ELb0ELb0EEEvPK12hip_bfloat16S3_S3_PKfS5_PKvPS1_S8_PvPKiSB_iiiiilll,comdat
	.globl	_ZN12_GLOBAL__N_139chunk_gated_delta_rule_fwd_h_hip_kernelILi32ELb1ELb0ELb1ELb1ELb0ELb1ELb0ELb0EEEvPK12hip_bfloat16S3_S3_PKfS5_PKvPS1_S8_PvPKiSB_iiiiilll ; -- Begin function _ZN12_GLOBAL__N_139chunk_gated_delta_rule_fwd_h_hip_kernelILi32ELb1ELb0ELb1ELb1ELb0ELb1ELb0ELb0EEEvPK12hip_bfloat16S3_S3_PKfS5_PKvPS1_S8_PvPKiSB_iiiiilll
	.p2align	8
	.type	_ZN12_GLOBAL__N_139chunk_gated_delta_rule_fwd_h_hip_kernelILi32ELb1ELb0ELb1ELb1ELb0ELb1ELb0ELb0EEEvPK12hip_bfloat16S3_S3_PKfS5_PKvPS1_S8_PvPKiSB_iiiiilll,@function
_ZN12_GLOBAL__N_139chunk_gated_delta_rule_fwd_h_hip_kernelILi32ELb1ELb0ELb1ELb1ELb0ELb1ELb0ELb0EEEvPK12hip_bfloat16S3_S3_PKfS5_PKvPS1_S8_PvPKiSB_iiiiilll: ; @_ZN12_GLOBAL__N_139chunk_gated_delta_rule_fwd_h_hip_kernelILi32ELb1ELb0ELb1ELb1ELb0ELb1ELb0ELb0EEEvPK12hip_bfloat16S3_S3_PKfS5_PKvPS1_S8_PvPKiSB_iiiiilll
; %bb.0:
	s_load_dwordx4 s[12:15], s[0:1], 0x5c
	s_load_dwordx4 s[4:7], s[0:1], 0x48
	s_abs_i32 s9, s3
	s_ashr_i32 s8, s3, 31
	v_and_b32_e32 v74, 15, v0
	s_waitcnt lgkmcnt(0)
	s_abs_i32 s10, s13
	v_cvt_f32_u32_e32 v1, s10
	s_sub_i32 s16, 0, s10
	s_ashr_i32 s11, s13, 31
	s_xor_b32 s8, s8, s11
	v_rcp_iflag_f32_e32 v1, v1
	v_lshrrev_b32_e32 v72, 6, v0
	v_bfe_u32 v73, v0, 4, 2
	v_mov_b32_e32 v7, 0
	v_mul_f32_e32 v1, 0x4f7ffffe, v1
	v_cvt_u32_f32_e32 v1, v1
	v_and_b32_e32 v61, 63, v0
	v_lshrrev_b32_e32 v76, 3, v61
	v_lshlrev_b32_e32 v75, 3, v0
	v_readfirstlane_b32 s17, v1
	s_mul_i32 s16, s16, s17
	s_mul_hi_u32 s16, s17, s16
	s_add_i32 s17, s17, s16
	s_mul_hi_u32 s16, s9, s17
	s_mul_i32 s17, s16, s10
	s_sub_i32 s9, s9, s17
	s_add_i32 s18, s16, 1
	s_sub_i32 s17, s9, s10
	s_cmp_ge_u32 s9, s10
	s_cselect_b32 s16, s18, s16
	s_cselect_b32 s9, s17, s9
	s_add_i32 s17, s16, 1
	s_cmp_ge_u32 s9, s10
	s_cselect_b32 s9, s17, s16
	s_xor_b32 s9, s9, s8
	s_sub_i32 s20, s9, s8
	s_mul_i32 s24, s20, s13
	s_ashr_i32 s21, s20, 31
	s_sub_i32 s49, s3, s24
	s_lshl_b64 s[8:9], s[20:21], 2
	s_add_u32 s4, s4, s8
	s_addc_u32 s5, s5, s9
	s_add_u32 s22, s6, s8
	s_addc_u32 s23, s7, s9
	s_abs_i32 s3, s14
	v_cvt_f32_u32_e32 v1, s3
	s_load_dwordx2 s[34:35], s[4:5], 0x0
	s_lshl_b32 s40, s2, 5
	s_ashr_i32 s2, s14, 31
	v_rcp_iflag_f32_e32 v1, v1
	s_xor_b32 s2, s11, s2
	s_waitcnt lgkmcnt(0)
	s_sub_i32 s52, s35, s34
	s_ashr_i32 s4, s52, 31
	v_mul_f32_e32 v1, 0x4f7ffffe, v1
	v_cvt_u32_f32_e32 v1, v1
	s_lshr_b32 s4, s4, 26
	s_add_i32 s4, s52, s4
	s_ashr_i32 s50, s4, 6
	s_sub_i32 s4, 0, s3
	v_readfirstlane_b32 s5, v1
	s_mul_i32 s4, s4, s5
	s_mul_hi_u32 s4, s5, s4
	s_add_i32 s5, s5, s4
	s_mul_hi_u32 s4, s10, s5
	s_mul_i32 s5, s4, s3
	s_sub_i32 s5, s10, s5
	s_add_i32 s6, s4, 1
	s_sub_i32 s7, s5, s3
	s_cmp_ge_u32 s5, s3
	s_cselect_b32 s4, s6, s4
	s_cselect_b32 s5, s7, s5
	s_add_i32 s6, s4, 1
	s_cmp_ge_u32 s5, s3
	s_cselect_b32 s3, s6, s4
	s_xor_b32 s3, s3, s2
	s_sub_i32 s2, s3, s2
	s_abs_i32 s3, s2
	v_cvt_f32_u32_e32 v1, s3
	s_sub_i32 s5, 0, s3
	s_abs_i32 s4, s49
	s_xor_b32 s2, s49, s2
	v_rcp_iflag_f32_e32 v1, v1
	s_ashr_i32 s2, s2, 31
	s_load_dwordx4 s[16:19], s[0:1], 0x28
	s_load_dwordx2 s[28:29], s[0:1], 0x38
	v_or_b32_e32 v62, s40, v74
	v_mul_f32_e32 v1, 0x4f7ffffe, v1
	v_cvt_u32_f32_e32 v1, v1
	v_lshlrev_b32_e32 v2, 7, v62
	v_ashrrev_i32_e32 v3, 31, v2
	s_mul_hi_i32 s55, s49, s12
	v_readfirstlane_b32 s6, v1
	s_mul_i32 s5, s5, s6
	s_mul_hi_u32 s5, s6, s5
	s_add_i32 s6, s6, s5
	s_mul_hi_u32 s5, s4, s6
	s_mul_i32 s6, s5, s3
	s_sub_i32 s4, s4, s6
	s_add_i32 s6, s5, 1
	s_sub_i32 s7, s4, s3
	s_cmp_ge_u32 s4, s3
	s_cselect_b32 s5, s6, s5
	s_cselect_b32 s4, s7, s4
	s_add_i32 s6, s5, 1
	s_cmp_ge_u32 s4, s3
	s_cselect_b32 s3, s6, s5
	s_xor_b32 s3, s3, s2
	s_sub_i32 s53, s3, s2
	s_ashr_i32 s51, s49, 31
	s_mul_hi_i32 s3, s20, s13
	s_add_u32 s2, s24, s49
	s_addc_u32 s3, s3, s51
	s_lshl_b64 s[2:3], s[2:3], 16
	s_waitcnt lgkmcnt(0)
	s_add_u32 s2, s16, s2
	s_addc_u32 s3, s17, s3
	v_lshlrev_b32_e32 v1, 4, v72
	v_lshl_add_u64 v[4:5], v[2:3], 2, s[2:3]
	v_or_b32_e32 v2, 0x800, v2
	v_lshl_or_b32 v77, v73, 2, v1
	v_ashrrev_i32_e32 v3, 31, v2
	v_lshlrev_b32_e32 v6, 2, v77
	v_lshl_add_u64 v[2:3], v[2:3], 2, s[2:3]
	v_lshl_add_u64 v[4:5], v[4:5], 0, v[6:7]
	;; [unrolled: 1-line block ×3, first 2 shown]
	global_load_dwordx4 v[14:17], v[4:5], off
	global_load_dwordx4 v[10:13], v[4:5], off offset:256
	global_load_dwordx4 v[6:9], v[18:19], off
	s_nop 0
	global_load_dwordx4 v[2:5], v[18:19], off offset:256
	s_load_dwordx8 s[4:11], s[0:1], 0x0
	s_load_dwordx2 s[30:31], s[0:1], 0x80
	s_load_dwordx4 s[24:27], s[0:1], 0x70
	s_load_dword s54, s[22:23], 0x0
	v_or_b32_e32 v78, 64, v77
	s_cmp_lt_i32 s52, 64
	s_mul_i32 s56, s49, s12
	s_waitcnt lgkmcnt(0)
	s_mul_i32 s33, s20, s25
	s_mul_hi_u32 s45, s20, s24
	s_mul_i32 s46, s21, s24
	s_mul_i32 s36, s20, s24
	;; [unrolled: 1-line block ×3, first 2 shown]
	s_mul_hi_u32 s47, s49, s26
	s_mul_i32 s48, s51, s26
	s_mul_i32 s38, s49, s26
	s_cbranch_scc1 .LBB467_3
; %bb.1:
	s_ashr_i32 s3, s34, 31
	s_add_u32 s2, s56, s34
	s_addc_u32 s3, s55, s3
	s_lshl_b64 s[2:3], s[2:3], 8
	v_and_b32_e32 v80, 56, v75
	s_add_u32 s20, s6, s2
	v_lshl_or_b32 v79, v72, 3, v76
	v_lshlrev_b32_e32 v18, 1, v80
	s_addc_u32 s2, s7, s3
	v_lshl_or_b32 v81, v79, 8, v18
	s_and_b32 s21, s2, 0xffff
	s_mov_b32 s23, 0x20000
	s_movk_i32 s22, 0x4000
	s_movk_i32 s2, 0x80
	v_or_b32_e32 v82, 0x2000, v81
	buffer_load_dwordx4 v[20:23], v81, s[20:23], 0 offen
	buffer_load_dwordx4 v[24:27], v81, s[20:23], s2 offen
	buffer_load_dwordx4 v[28:31], v82, s[20:23], 0 offen
	buffer_load_dwordx4 v[32:35], v82, s[20:23], s2 offen
	v_lshlrev_b32_e32 v19, 3, v79
	v_and_or_b32 v37, v0, 7, v19
	v_and_b32_e32 v19, 0x78, v19
	v_lshlrev_b32_e32 v37, 4, v37
	v_xor_b32_e32 v83, v37, v19
	v_mul_lo_u32 v36, v79, s15
	v_or_b32_e32 v84, 0x1000, v83
	v_xor_b32_e32 v19, 8, v83
	s_cmpk_eq_i32 s15, 0x80
	s_mov_b32 s57, s34
	v_xor_b32_e32 v37, 8, v84
	s_cselect_b64 s[2:3], -1, 0
	s_cmpk_lg_i32 s15, 0x80
	s_waitcnt vmcnt(3)
	ds_write_b64 v83, v[20:21] offset:24576
	ds_write_b64 v19, v[22:23] offset:24576
	s_waitcnt vmcnt(2)
	ds_write_b64 v83, v[24:25] offset:32768
	ds_write_b64 v19, v[26:27] offset:32768
	;; [unrolled: 3-line block ×4, first 2 shown]
	v_lshl_add_u32 v19, v36, 1, v80
	s_cbranch_scc0 .LBB467_29
; %bb.2:
	v_lshlrev_b32_e32 v21, 1, v19
	v_add_lshl_u32 v20, v19, s15, 1
	s_lshl_b32 s22, s15, 7
	s_load_dwordx2 s[16:17], s[0:1], 0x20
	v_lshl_or_b32 v18, v79, 9, v18
	s_cbranch_execz .LBB467_30
	s_branch .LBB467_31
.LBB467_3:
	s_waitcnt vmcnt(0)
	v_mov_b32_e32 v25, v5
	v_mov_b32_e32 v21, v9
.LBB467_4:
	s_lshl_b32 s26, s50, 6
	s_sub_i32 s27, s52, s26
	s_cmp_gt_i32 s27, 0
	s_cbranch_scc0 .LBB467_84
; %bb.5:
	s_add_i32 s26, s26, s34
	s_ashr_i32 s2, s26, 31
	s_cmpk_lg_i32 s15, 0x80
	s_cselect_b64 s[22:23], -1, 0
	s_and_b64 vcc, exec, s[22:23]
	s_cbranch_vccz .LBB467_7
; %bb.6:
	s_mul_i32 s1, s26, s14
	s_ashr_i32 s3, s53, 31
	s_mul_hi_i32 s0, s26, s14
	s_add_u32 s24, s1, s53
	s_addc_u32 s25, s0, s3
	s_cbranch_execz .LBB467_8
	s_branch .LBB467_9
.LBB467_7:
                                        ; implicit-def: $sgpr24_sgpr25
.LBB467_8:
	s_mul_i32 s1, s53, s12
	s_mul_hi_i32 s0, s53, s12
	s_add_u32 s24, s1, s26
	s_addc_u32 s25, s0, s2
.LBB467_9:
	s_add_i32 s3, s50, s54
	s_add_u32 s0, s56, s26
	s_addc_u32 s1, s55, s2
	v_lshlrev_b32_e32 v18, 5, v77
	v_lshlrev_b32_e32 v22, 2, v74
	s_mov_b32 s2, 0x7060302
	v_perm_b32 v13, v13, v12, s2
	v_perm_b32 v12, v11, v10, s2
	v_or_b32_e32 v10, v18, v22
	v_xor_b32_e32 v5, v77, v22
	v_perm_b32 v17, v17, v16, s2
	v_perm_b32 v16, v15, v14, s2
	v_lshlrev_b32_e32 v10, 1, v10
	ds_write2st64_b64 v10, v[16:17], v[12:13] offset0:80 offset1:88
	v_lshlrev_b32_e32 v10, 1, v5
	v_lshlrev_b32_e32 v5, 8, v74
	s_lshl_b64 s[20:21], s[0:1], 8
	v_xor_b32_e32 v9, v78, v22
	v_or_b32_e32 v11, v10, v5
	s_add_u32 s0, s6, s20
	ds_write_b64 v11, v[16:17]
	v_lshlrev_b32_e32 v11, 1, v9
	s_addc_u32 s1, s7, s21
	v_or_b32_e32 v5, v11, v5
	s_mul_hi_i32 s6, s3, s13
	s_mul_i32 s3, s3, s13
	ds_write_b64 v5, v[12:13]
	v_perm_b32 v9, v21, v8, s2
	v_perm_b32 v8, v7, v6, s2
	;; [unrolled: 1-line block ×4, first 2 shown]
	s_add_u32 s2, s3, s49
	v_or_b32_e32 v2, 16, v74
	s_addc_u32 s3, s6, s51
	v_lshlrev_b32_e32 v19, 2, v2
	s_ashr_i32 s41, s40, 31
	s_lshl_b64 s[2:3], s[2:3], 15
	v_or_b32_e32 v3, v18, v19
	s_add_u32 s6, s18, s2
	v_lshlrev_b32_e32 v3, 1, v3
	v_lshlrev_b32_e32 v2, 8, v2
	s_addc_u32 s7, s19, s3
	s_lshl_b64 s[2:3], s[40:41], 8
	ds_write2st64_b64 v3, v[8:9], v[4:5] offset0:80 offset1:88
	v_or_b32_e32 v3, v10, v2
	v_or_b32_e32 v2, v11, v2
	s_add_u32 s2, s6, s2
	ds_write_b64 v3, v[8:9]
	ds_write_b64 v2, v[4:5]
	v_lshrrev_b32_e32 v2, 4, v0
	s_addc_u32 s3, s7, s3
	v_lshlrev_b32_e32 v3, 1, v74
	v_lshlrev_b32_e32 v10, 4, v74
	v_mov_b32_e32 v11, 0
	v_or_b32_e32 v4, 1, v3
	v_xor_b32_e32 v3, v2, v3
	v_lshl_add_u64 v[12:13], s[2:3], 0, v[10:11]
	v_lshlrev_b32_e32 v10, 8, v2
	v_xor_b32_e32 v6, v4, v2
	v_lshl_or_b32 v2, v3, 3, v10
	s_waitcnt lgkmcnt(0)
	s_barrier
	ds_read2st64_b64 v[2:5], v2 offset1:8
	v_lshl_or_b32 v6, v6, 3, v10
	ds_read2st64_b64 v[6:9], v6 offset1:8
	v_lshl_add_u64 v[14:15], v[12:13], 0, v[10:11]
	s_movk_i32 s2, 0x1000
	s_waitcnt lgkmcnt(1)
	v_mov_b32_e32 v10, v2
	v_add_co_u32_e32 v2, vcc, s2, v14
	s_cmp_lg_u32 s27, 64
	v_mov_b32_e32 v11, v3
	v_addc_co_u32_e32 v3, vcc, 0, v15, vcc
	s_cselect_b64 s[6:7], -1, 0
	v_lshl_or_b32 v23, v72, 3, v76
	s_waitcnt lgkmcnt(0)
	v_mov_b32_e32 v12, v6
	v_mov_b32_e32 v13, v7
	;; [unrolled: 1-line block ×4, first 2 shown]
	s_mov_b32 s16, 0
	v_or_b32_e32 v20, 32, v23
	v_and_b32_e32 v18, 56, v75
	s_and_b64 vcc, exec, s[6:7]
	global_store_dwordx4 v[14:15], v[10:13], off
	global_store_dwordx4 v[2:3], v[6:9], off
	s_cbranch_vccz .LBB467_15
; %bb.10:
	s_mov_b32 s17, s16
	s_mov_b32 s18, s16
	;; [unrolled: 1-line block ×3, first 2 shown]
	v_mov_b64_e32 v[6:7], s[16:17]
	v_mov_b64_e32 v[8:9], s[18:19]
	;; [unrolled: 1-line block ×3, first 2 shown]
	v_cmp_gt_i32_e32 vcc, s27, v23
	v_mov_b64_e32 v[4:5], v[8:9]
	s_and_saveexec_b64 s[2:3], vcc
	s_cbranch_execz .LBB467_12
; %bb.11:
	v_lshlrev_b32_e32 v2, 8, v23
	v_mov_b32_e32 v3, 0
	v_lshl_add_u64 v[4:5], s[0:1], 0, v[2:3]
	v_lshlrev_b32_e32 v2, 1, v18
	v_lshl_add_u64 v[10:11], v[4:5], 0, v[2:3]
	global_load_dwordx4 v[6:9], v[10:11], off
	global_load_dwordx4 v[2:5], v[10:11], off offset:128
.LBB467_12:
	s_or_b64 exec, exec, s[2:3]
	s_mov_b32 s17, s16
	s_mov_b32 s18, s16
	;; [unrolled: 1-line block ×3, first 2 shown]
	v_mov_b64_e32 v[14:15], s[16:17]
	v_mov_b64_e32 v[16:17], s[18:19]
	;; [unrolled: 1-line block ×3, first 2 shown]
	v_cmp_gt_i32_e32 vcc, s27, v20
	v_lshlrev_b32_e32 v21, 7, v20
	v_mov_b64_e32 v[12:13], v[16:17]
	s_and_saveexec_b64 s[2:3], vcc
	s_cbranch_execz .LBB467_14
; %bb.13:
	v_lshlrev_b32_e32 v10, 1, v21
	v_mov_b32_e32 v11, 0
	v_lshl_add_u64 v[12:13], s[0:1], 0, v[10:11]
	v_lshlrev_b32_e32 v10, 1, v18
	v_lshl_add_u64 v[24:25], v[12:13], 0, v[10:11]
	global_load_dwordx4 v[14:17], v[24:25], off
	global_load_dwordx4 v[10:13], v[24:25], off offset:128
.LBB467_14:
	s_or_b64 exec, exec, s[2:3]
	v_lshrrev_b32_e32 v24, 3, v18
	v_lshlrev_b32_e32 v25, 3, v23
	v_or_b32_e32 v24, v25, v24
	v_lshlrev_b32_e32 v24, 4, v24
	v_and_b32_e32 v25, 0x78, v25
	v_xor_b32_e32 v24, v24, v25
	s_branch .LBB467_17
.LBB467_15:
                                        ; implicit-def: $vgpr24
                                        ; implicit-def: $vgpr21
                                        ; implicit-def: $vgpr6_vgpr7_vgpr8_vgpr9
                                        ; implicit-def: $vgpr2_vgpr3_vgpr4_vgpr5
                                        ; implicit-def: $vgpr14_vgpr15_vgpr16_vgpr17
                                        ; implicit-def: $vgpr10_vgpr11_vgpr12_vgpr13
	s_cbranch_execz .LBB467_17
; %bb.16:
	s_waitcnt vmcnt(0)
	v_lshlrev_b32_e32 v2, 1, v18
	v_lshl_or_b32 v21, v23, 8, v2
	s_and_b32 s1, s1, 0xffff
	s_mov_b32 s3, 0x20000
	s_movk_i32 s2, 0x4000
	v_lshl_or_b32 v24, v20, 8, v2
	s_movk_i32 s12, 0x80
	buffer_load_dwordx4 v[6:9], v21, s[0:3], 0 offen
	buffer_load_dwordx4 v[2:5], v21, s[0:3], s12 offen
	;; [unrolled: 1-line block ×4, first 2 shown]
	v_lshrrev_b32_e32 v21, 3, v18
	v_lshlrev_b32_e32 v24, 3, v23
	v_or_b32_e32 v21, v24, v21
	v_lshlrev_b32_e32 v21, 4, v21
	v_and_b32_e32 v24, 0x78, v24
	v_xor_b32_e32 v24, v21, v24
	v_lshlrev_b32_e32 v21, 7, v20
.LBB467_17:
	s_lshl_b64 s[0:1], s[24:25], 8
	s_add_u32 s4, s4, s0
	s_movk_i32 s0, 0x1000
	v_and_or_b32 v20, v21, s0, v24
	s_waitcnt vmcnt(1)
	ds_write_b64 v24, v[6:7] offset:24576
	v_xor_b32_e32 v6, 8, v24
	ds_write_b64 v6, v[8:9] offset:24576
	s_waitcnt vmcnt(0)
	ds_write_b64 v24, v[2:3] offset:32768
	ds_write_b64 v6, v[4:5] offset:32768
	;; [unrolled: 1-line block ×3, first 2 shown]
	v_xor_b32_e32 v2, 8, v20
	ds_write_b64 v2, v[16:17] offset:24576
	ds_write_b64 v20, v[10:11] offset:32768
	;; [unrolled: 1-line block ×3, first 2 shown]
	v_or_b32_e32 v2, v1, v74
	v_lshlrev_b32_e32 v3, 11, v72
	v_lshlrev_b32_e32 v2, 3, v2
	v_and_b32_e32 v6, 0x1000, v3
	v_lshrrev_b32_e32 v3, 5, v61
	s_movk_i32 s3, 0xf8
	v_and_or_b32 v3, v2, s3, v3
	v_lshlrev_b32_e32 v7, 4, v3
	v_and_b32_e32 v8, 0x78, v2
	v_or_b32_e32 v10, 32, v7
	v_lshrrev_b32_e32 v3, 1, v61
	v_xor_b32_e32 v10, v10, v8
	v_xor_b32_e32 v2, v7, v8
	v_and_b32_e32 v9, 8, v3
	v_or_b32_e32 v10, v10, v6
	v_or_b32_e32 v2, v2, v6
	v_xor_b32_e32 v26, v10, v9
	v_or_b32_e32 v10, 64, v7
	v_xor_b32_e32 v25, v2, v9
	v_xor_b32_e32 v10, v10, v8
	s_waitcnt lgkmcnt(0)
	s_barrier
	v_or_b32_e32 v12, v10, v6
	ds_read_b64 v[10:11], v25 offset:24576
	v_lshl_or_b32 v20, v73, 7, v22
	v_lshlrev_b32_e32 v24, 1, v20
	v_add_u32_e32 v2, 0xa000, v24
	ds_read2_b64 v[2:5], v2 offset1:16
	v_or_b32_e32 v7, 0x60, v7
	v_xor_b32_e32 v7, v7, v8
	s_waitcnt lgkmcnt(0)
	v_mfma_f32_16x16x16_bf16 a[0:3], v[10:11], v[2:3], 0
	v_or_b32_e32 v2, 64, v20
	v_or_b32_e32 v6, v7, v6
	v_lshlrev_b32_e32 v29, 1, v2
	v_xor_b32_e32 v27, v12, v9
	v_xor_b32_e32 v28, v6, v9
	ds_read_b64 v[12:13], v26 offset:24576
	ds_read_b64 v[14:15], v27 offset:24576
	;; [unrolled: 1-line block ×3, first 2 shown]
	v_mfma_f32_16x16x16_bf16 a[4:7], v[10:11], v[4:5], 0
	ds_read2st64_b64 v[2:5], v29 offset0:82 offset1:84
	ds_read2st64_b64 v[6:9], v24 offset0:82 offset1:84
	s_addc_u32 s5, s5, s1
	s_add_i32 s1, s45, s33
	s_add_i32 s0, s35, -1
	s_add_i32 s37, s1, s46
	s_add_i32 s1, s47, s44
	;; [unrolled: 1-line block ×3, first 2 shown]
	s_ashr_i32 s1, s0, 31
	s_mul_i32 s2, s0, s31
	s_mul_hi_u32 s3, s0, s30
	s_add_i32 s2, s3, s2
	s_mul_i32 s1, s1, s30
	s_waitcnt lgkmcnt(1)
	v_mfma_f32_16x16x16_bf16 a[4:7], v[12:13], v[2:3], a[4:7]
	s_add_i32 s1, s2, s1
	s_lshl_b64 s[2:3], s[36:37], 2
	s_add_u32 s10, s10, s2
	s_waitcnt lgkmcnt(0)
	v_mfma_f32_16x16x16_bf16 a[0:3], v[12:13], v[6:7], a[0:3]
	s_addc_u32 s11, s11, s3
	s_lshl_b64 s[2:3], s[38:39], 2
	s_mul_i32 s0, s0, s30
	s_add_u32 s10, s10, s2
	ds_read_b64 v[2:3], v24 offset:44032
	v_mfma_f32_16x16x16_bf16 a[4:7], v[14:15], v[4:5], a[4:7]
	ds_read_b64 v[4:5], v29 offset:44032
	s_addc_u32 s11, s11, s3
	s_lshl_b64 s[0:1], s[0:1], 2
	v_mfma_f32_16x16x16_bf16 a[0:3], v[14:15], v[8:9], a[0:3]
	s_add_u32 s0, s10, s0
	s_addc_u32 s1, s11, s1
	s_load_dword s12, s[0:1], 0x0
	s_waitcnt lgkmcnt(0)
	v_mfma_f32_16x16x16_bf16 a[0:3], v[16:17], v[2:3], a[0:3]
	s_and_b64 vcc, exec, s[22:23]
	v_mfma_f32_16x16x16_bf16 a[4:7], v[16:17], v[4:5], a[4:7]
	s_cbranch_vccz .LBB467_28
; %bb.18:
	v_lshlrev_b32_e32 v20, 1, v23
	s_and_b64 vcc, exec, s[6:7]
	s_cbranch_vccz .LBB467_44
; %bb.19:
	v_cmp_gt_i32_e32 vcc, s27, v20
	v_mov_b32_e32 v6, 0
	v_mov_b32_e32 v2, 0
	;; [unrolled: 1-line block ×5, first 2 shown]
	s_and_saveexec_b64 s[0:1], vcc
	s_cbranch_execz .LBB467_21
; %bb.20:
	v_mad_i64_i32 v[2:3], s[2:3], s15, v20, 0
	v_lshl_add_u64 v[2:3], v[2:3], 1, s[4:5]
	v_lshlrev_b32_e32 v4, 1, v18
	v_mov_b32_e32 v5, 0
	v_lshl_add_u64 v[2:3], v[2:3], 0, v[4:5]
	global_load_dwordx4 v[2:5], v[2:3], off
.LBB467_21:
	s_or_b64 exec, exec, s[0:1]
	v_or_b32_e32 v21, 1, v20
	v_cmp_gt_i32_e64 s[0:1], s27, v21
	v_mov_b32_e32 v7, 0
	v_mov_b32_e32 v8, 0
	v_mov_b32_e32 v9, 0
	s_and_saveexec_b64 s[2:3], s[0:1]
	s_cbranch_execz .LBB467_23
; %bb.22:
	v_mad_i64_i32 v[6:7], s[16:17], s15, v21, 0
	v_lshl_add_u64 v[6:7], v[6:7], 1, s[4:5]
	v_lshlrev_b32_e32 v8, 1, v18
	v_mov_b32_e32 v9, 0
	v_lshl_add_u64 v[6:7], v[6:7], 0, v[8:9]
	global_load_dwordx4 v[6:9], v[6:7], off
.LBB467_23:
	s_or_b64 exec, exec, s[2:3]
	v_mov_b32_e32 v17, 0
	v_mov_b32_e32 v10, 0
	;; [unrolled: 1-line block ×5, first 2 shown]
	s_and_saveexec_b64 s[2:3], vcc
	s_cbranch_execz .LBB467_25
; %bb.24:
	v_mad_i64_i32 v[10:11], s[16:17], s15, v20, 0
	v_lshl_add_u64 v[10:11], v[10:11], 1, s[4:5]
	v_lshlrev_b32_e32 v12, 1, v18
	v_mov_b32_e32 v13, 0
	v_lshl_add_u64 v[10:11], v[10:11], 0, v[12:13]
	global_load_dwordx4 v[10:13], v[10:11], off offset:128
.LBB467_25:
	s_or_b64 exec, exec, s[2:3]
	v_mov_b32_e32 v16, 0
	v_mov_b32_e32 v15, 0
	;; [unrolled: 1-line block ×3, first 2 shown]
	s_and_saveexec_b64 s[2:3], s[0:1]
	s_cbranch_execz .LBB467_27
; %bb.26:
	v_mad_i64_i32 v[14:15], s[0:1], s15, v21, 0
	v_lshl_add_u64 v[14:15], v[14:15], 1, s[4:5]
	v_lshlrev_b32_e32 v16, 1, v18
	v_mov_b32_e32 v17, 0
	v_lshl_add_u64 v[14:15], v[14:15], 0, v[16:17]
	global_load_dwordx4 v[14:17], v[14:15], off offset:128
.LBB467_27:
	s_or_b64 exec, exec, s[2:3]
	s_branch .LBB467_46
.LBB467_28:
                                        ; implicit-def: $vgpr5
                                        ; implicit-def: $vgpr9
                                        ; implicit-def: $vgpr13
                                        ; implicit-def: $vgpr17
	v_lshrrev_b32_e32 v30, 2, v61
	s_branch .LBB467_47
.LBB467_29:
                                        ; implicit-def: $vgpr20
                                        ; implicit-def: $vgpr21
                                        ; implicit-def: $sgpr22
	s_load_dwordx2 s[16:17], s[0:1], 0x20
	v_lshl_or_b32 v18, v79, 9, v18
.LBB467_30:
	v_or_b32_e32 v20, 0x100, v18
	s_movk_i32 s22, 0x4000
	v_mov_b32_e32 v21, v18
.LBB467_31:
	s_mul_i32 s0, s34, s14
	s_ashr_i32 s58, s53, 31
	s_mul_hi_i32 s1, s34, s14
	s_add_u32 s0, s0, s53
	s_addc_u32 s1, s1, s58
	s_lshl_b64 s[0:1], s[0:1], 8
	s_add_u32 s20, s4, s0
	s_addc_u32 s0, s5, s1
	s_and_b32 s21, s0, 0xffff
	s_movk_i32 s59, 0x80
	buffer_load_dwordx4 v[22:25], v21, s[20:23], 0 offen
	buffer_load_dwordx4 v[26:29], v21, s[20:23], s59 offen
	;; [unrolled: 1-line block ×4, first 2 shown]
	v_and_b32_e32 v20, 6, v0
	v_lshlrev_b32_e32 v39, 6, v77
	v_or_b32_e32 v41, 16, v74
	v_xor_b32_e32 v42, v79, v20
	v_and_b32_e32 v21, 1, v0
	v_lshl_or_b32 v45, v74, 3, v39
	v_lshl_or_b32 v39, v41, 3, v39
	v_lshlrev_b32_e32 v42, 2, v42
	v_lshlrev_b32_e32 v38, 2, v74
	v_or_b32_e32 v87, 0xa000, v39
	v_or_b32_e32 v88, 0xb000, v39
	v_xor_b32_e32 v39, 0x440, v42
	v_cmp_eq_u32_e32 vcc, 0, v21
	s_add_i32 s0, s45, s33
	v_xor_b32_e32 v43, v77, v38
	v_xor_b32_e32 v44, v78, v38
	v_cndmask_b32_e32 v21, v39, v42, vcc
	s_add_i32 s1, s47, s44
	s_add_i32 s37, s0, s46
	s_mov_b32 s60, 0x1000504
	v_lshlrev_b32_e32 v40, 8, v74
	v_lshlrev_b32_e32 v41, 8, v41
	;; [unrolled: 1-line block ×4, first 2 shown]
	v_lshl_or_b32 v20, v20, 10, v21
	s_add_i32 s39, s1, s48
	s_lshl_b64 s[0:1], s[36:37], 2
	s_mov_b32 s61, 0x3020706
	v_or_b32_e32 v85, 0xa000, v45
	v_or_b32_e32 v86, 0xb000, v45
	;; [unrolled: 1-line block ×5, first 2 shown]
	v_xor_b32_e32 v21, 8, v20
	v_xor_b32_e32 v40, 24, v20
	;; [unrolled: 1-line block ×4, first 2 shown]
	s_add_u32 s20, s10, s0
	v_or_b32_e32 v91, v41, v43
	v_xor_b32_e32 v39, 16, v20
	v_xor_b32_e32 v41, 32, v20
	v_xor_b32_e32 v43, 48, v20
	v_add_u32_e32 v21, 0x80, v21
	v_add_u32_e32 v40, 0x80, v40
	;; [unrolled: 1-line block ×4, first 2 shown]
	s_addc_u32 s21, s11, s1
	s_lshl_b64 s[0:1], s[38:39], 2
	s_add_u32 s42, s20, s0
	s_movk_i32 s0, 0xf8
	s_addc_u32 s43, s21, s1
	s_ashr_i32 s41, s40, 31
	s_lshl_b32 s26, s15, 7
	s_movk_i32 s20, 0x100
	v_mov_b32_e32 v65, 0
	v_lshlrev_b32_e32 v64, 4, v74
	v_cmp_gt_u32_e32 vcc, s20, v0
	v_ashrrev_i32_e32 v63, 31, v62
	s_mov_b32 s62, 0
	s_movk_i32 s37, 0x1000
	s_movk_i32 s22, 0x4000
	s_mov_b32 s39, 0x7060302
	v_mov_b32_e32 v115, 0x3fb8aa3b
	s_waitcnt vmcnt(1)
	v_perm_b32 v45, v22, v30, s60
	s_waitcnt vmcnt(0)
	v_perm_b32 v46, v26, v34, s60
	v_perm_b32 v22, v22, v30, s61
	;; [unrolled: 1-line block ×15, first 2 shown]
	ds_write2st64_b32 v20, v45, v46 offset0:32 offset1:64
	ds_write2st64_b32 v21, v22, v26 offset0:32 offset1:64
	;; [unrolled: 1-line block ×8, first 2 shown]
	v_or_b32_e32 v20, v1, v74
	v_lshlrev_b32_e32 v20, 3, v20
	v_lshrrev_b32_e32 v23, 5, v61
	v_and_or_b32 v23, v20, s0, v23
	v_lshlrev_b32_e32 v23, 4, v23
	v_lshlrev_b32_e32 v25, 11, v72
	v_and_b32_e32 v20, 0x78, v20
	v_or_b32_e32 v28, 32, v23
	v_and_b32_e32 v22, 0x1000, v25
	v_lshrrev_b32_e32 v26, 1, v61
	v_xor_b32_e32 v28, v28, v20
	v_xor_b32_e32 v24, v23, v20
	v_and_b32_e32 v26, 8, v26
	v_or_b32_e32 v28, v28, v22
	v_or_b32_e32 v24, v24, v22
	v_lshlrev_b32_e32 v27, 7, v73
	v_xor_b32_e32 v95, v28, v26
	v_or_b32_e32 v28, 64, v23
	v_or_b32_e32 v23, 0x60, v23
	v_xor_b32_e32 v93, v24, v26
	v_or_b32_e32 v24, v27, v38
	v_xor_b32_e32 v28, v28, v20
	v_xor_b32_e32 v20, v23, v20
	s_lshl_b64 s[0:1], s[40:41], 8
	v_lshlrev_b32_e32 v24, 1, v24
	v_or_b32_e32 v28, v28, v22
	v_or_b32_e32 v20, v20, v22
	s_add_u32 s0, s18, s0
	v_lshlrev_b32_e32 v22, 1, v74
	v_or_b32_e32 v94, 0xa000, v24
	v_or_b32_e32 v96, 0xa080, v24
	;; [unrolled: 1-line block ×4, first 2 shown]
	v_lshrrev_b32_e32 v24, 4, v0
	s_addc_u32 s1, s19, s1
	v_or_b32_e32 v23, 1, v22
	v_mov_b32_e32 v33, 0x4000
	v_mov_b32_e32 v34, 0x2000
	v_lshrrev_b32_e32 v35, 1, v0
	v_xor_b32_e32 v97, v28, v26
	v_xor_b32_e32 v98, v20, v26
	v_xor_b32_e32 v26, v24, v22
	v_xor_b32_e32 v30, v23, v24
	v_lshl_add_u64 v[22:23], s[0:1], 0, v[64:65]
	v_lshlrev_b32_e32 v64, 8, v24
	v_cndmask_b32_e32 v33, v33, v34, vcc
	v_lshlrev_b32_e32 v34, 3, v72
	v_and_b32_e32 v35, 24, v35
	v_lshl_or_b32 v101, v26, 3, v64
	v_and_b32_e32 v26, 8, v0
	v_xor_b32_e32 v36, v34, v35
	v_or_b32_e32 v37, 0x440, v36
	v_cmp_eq_u32_e32 vcc, 0, v26
	v_and_b32_e32 v24, 7, v0
	v_lshl_or_b32 v102, v30, 3, v64
	v_cndmask_b32_e32 v26, v37, v36, vcc
	v_lshlrev_b32_e32 v30, 3, v24
	v_lshlrev_b32_e32 v32, 2, v0
	v_or_b32_e32 v26, v26, v25
	v_xor_b32_e32 v36, v26, v30
	v_and_or_b32 v26, v32, 60, v27
	v_mov_b32_e32 v27, 0xb000
	v_lshl_or_b32 v103, v26, 1, v27
	v_or_b32_e32 v26, 32, v35
	v_xor_b32_e32 v26, v34, v26
	v_or_b32_e32 v27, 0x440, v26
	v_cndmask_b32_e32 v26, v27, v26, vcc
	v_or_b32_e32 v26, v26, v25
	v_xor_b32_e32 v27, v26, v30
	v_or_b32_e32 v26, 64, v35
	v_xor_b32_e32 v26, v34, v26
	v_xor_b32_e32 v38, 0x440, v26
	v_cndmask_b32_e32 v26, v38, v26, vcc
	v_or_b32_e32 v26, v26, v25
	v_xor_b32_e32 v38, v26, v30
	v_or_b32_e32 v26, 0x60, v35
	v_xor_b32_e32 v26, v34, v26
	v_xor_b32_e32 v34, 0x440, v26
	v_cndmask_b32_e32 v26, v34, v26, vcc
	v_lshrrev_b32_e32 v21, 2, v61
	v_or_b32_e32 v25, v26, v25
	v_and_b32_e32 v21, 12, v21
	v_lshlrev_b32_e32 v28, 1, v19
	v_add_lshl_u32 v19, v19, s15, 1
	v_or_b32_e32 v29, 0x100, v18
	v_xor_b32_e32 v25, v25, v30
	v_lshlrev_b32_e32 v20, 7, v77
	v_lshlrev_b32_e32 v31, 7, v24
	v_or_b32_e32 v24, v21, v1
	v_add_u32_e32 v37, v33, v36
	v_add_u32_e32 v32, v33, v27
	;; [unrolled: 1-line block ×4, first 2 shown]
	v_or3_b32 v26, v1, v21, 64
	v_add_u32_e32 v21, 0x4000, v36
	v_add_u32_e32 v27, 0x4000, v27
	;; [unrolled: 1-line block ×4, first 2 shown]
	v_cndmask_b32_e64 v104, v28, v18, s[2:3]
	v_cndmask_b32_e64 v105, v19, v29, s[2:3]
	v_lshlrev_b64 v[18:19], 1, v[62:63]
	v_lshl_add_u64 v[66:67], s[8:9], 0, v[18:19]
	v_lshl_add_u64 v[68:69], s[28:29], 0, v[18:19]
	;; [unrolled: 1-line block ×3, first 2 shown]
	v_lshlrev_b32_e32 v64, 1, v20
	v_lshlrev_b32_e32 v63, 2, v24
	v_add_u32_e32 v106, v37, v31
	v_add_u32_e32 v107, v32, v31
	;; [unrolled: 1-line block ×4, first 2 shown]
	v_lshlrev_b32_e32 v110, 2, v26
	v_add_u32_e32 v111, v21, v31
	v_add_u32_e32 v112, v27, v31
	;; [unrolled: 1-line block ×4, first 2 shown]
	s_waitcnt lgkmcnt(0)
	s_barrier
.LBB467_32:                             ; =>This Inner Loop Header: Depth=1
	s_add_i32 s41, s62, 1
	s_cmp_lt_i32 s41, s50
	s_mov_b64 s[24:25], 0
	s_cselect_b64 s[2:3], -1, 0
	s_cmp_ge_i32 s41, s50
	s_mov_b64 s[20:21], 0
	s_cbranch_scc1 .LBB467_34
; %bb.33:                               ;   in Loop: Header=BB467_32 Depth=1
	s_add_i32 s0, s57, 64
	s_ashr_i32 s1, s0, 31
	s_add_u32 s0, s56, s0
	s_addc_u32 s1, s55, s1
	s_lshl_b64 s[0:1], s[0:1], 8
	s_add_u32 s20, s6, s0
	s_addc_u32 s21, s7, s1
.LBB467_34:                             ;   in Loop: Header=BB467_32 Depth=1
	v_cndmask_b32_e64 v18, 0, 1, s[2:3]
	v_cmp_ne_u32_e64 s[0:1], 1, v18
	s_andn2_b64 vcc, exec, s[2:3]
	s_cbranch_vccnz .LBB467_36
; %bb.35:                               ;   in Loop: Header=BB467_32 Depth=1
	s_add_i32 s2, s57, 64
	s_mul_hi_i32 s3, s2, s14
	s_mul_i32 s2, s2, s14
	s_add_u32 s2, s2, s53
	s_addc_u32 s3, s3, s58
	s_lshl_b64 s[2:3], s[2:3], 8
	s_add_u32 s24, s4, s2
	s_addc_u32 s25, s5, s3
.LBB467_36:                             ;   in Loop: Header=BB467_32 Depth=1
	v_perm_b32 v19, v17, v16, s39
	v_perm_b32 v18, v15, v14, s39
	;; [unrolled: 1-line block ×4, first 2 shown]
	ds_write_b64 v85, v[18:19]
	ds_write_b64 v86, v[20:21]
	;; [unrolled: 1-line block ×4, first 2 shown]
	v_perm_b32 v19, v9, v8, s39
	v_perm_b32 v18, v7, v6, s39
	v_perm_b32 v21, v5, v4, s39
	v_perm_b32 v20, v3, v2, s39
	ds_write_b64 v87, v[18:19]
	ds_write_b64 v88, v[20:21]
	;; [unrolled: 1-line block ×4, first 2 shown]
	s_waitcnt lgkmcnt(0)
	s_barrier
	ds_read_b64 v[22:23], v93 offset:24576
	ds_read2_b64 v[18:21], v94 offset1:16
	ds_read_b64 v[26:27], v96 offset:3072
	ds_read_b64 v[28:29], v94 offset:3072
	ds_read_b64 v[30:31], v95 offset:24576
	s_waitcnt lgkmcnt(3)
	v_mfma_f32_16x16x16_bf16 a[0:3], v[22:23], v[18:19], 0
	s_add_i32 s63, s57, 63
	s_ashr_i32 s2, s63, 31
	s_mul_i32 s3, s63, s31
	v_mfma_f32_16x16x16_bf16 a[4:7], v[22:23], v[20:21], 0
	ds_read2st64_b64 v[18:21], v94 offset0:2 offset1:4
	s_mul_hi_u32 s27, s63, s30
	s_add_i32 s3, s27, s3
	s_waitcnt lgkmcnt(0)
	v_mfma_f32_16x16x16_bf16 a[0:3], v[30:31], v[18:19], a[0:3]
	ds_read2st64_b64 v[22:25], v96 offset0:2 offset1:4
	ds_read_b64 v[18:19], v97 offset:24576
	s_mul_i32 s2, s2, s30
	s_add_i32 s3, s3, s2
	s_waitcnt lgkmcnt(1)
	v_mfma_f32_16x16x16_bf16 a[4:7], v[30:31], v[22:23], a[4:7]
	ds_read_b64 v[22:23], v98 offset:24576
	s_mul_i32 s2, s63, s30
	s_lshl_b64 s[2:3], s[2:3], 2
	s_waitcnt lgkmcnt(1)
	v_mfma_f32_16x16x16_bf16 a[0:3], v[18:19], v[20:21], a[0:3]
	s_add_u32 s2, s42, s2
	s_addc_u32 s3, s43, s3
	s_and_b64 vcc, exec, s[0:1]
	v_mfma_f32_16x16x16_bf16 a[8:11], v[18:19], v[24:25], a[4:7]
	v_mov_b32_e32 v118, 0
	v_mov_b32_e32 v117, 0
	v_mov_b32_e32 v116, 0
	s_waitcnt lgkmcnt(0)
	v_mfma_f32_16x16x16_bf16 a[4:7], v[22:23], v[28:29], a[0:3]
	v_mov_b32_e32 v18, 0
	v_mov_b32_e32 v19, 0
	;; [unrolled: 1-line block ×3, first 2 shown]
	v_mfma_f32_16x16x16_bf16 a[0:3], v[22:23], v[26:27], a[8:11]
	v_mov_b32_e32 v21, 0
	v_mov_b32_e32 v22, 0
	;; [unrolled: 1-line block ×13, first 2 shown]
	s_cbranch_vccnz .LBB467_38
; %bb.37:                               ;   in Loop: Header=BB467_32 Depth=1
	s_and_b32 s21, s21, 0xffff
	buffer_load_dwordx4 v[30:33], v81, s[20:23], 0 offen
	buffer_load_dwordx4 v[26:29], v81, s[20:23], s59 offen
	;; [unrolled: 1-line block ×4, first 2 shown]
	v_mov_b32_e32 v117, v83
	v_mov_b32_e32 v116, v84
.LBB467_38:                             ;   in Loop: Header=BB467_32 Depth=1
	ds_read_b64 v[42:43], v93 offset:32768
	ds_read2_b64 v[34:37], v99 offset1:16
	ds_read_b64 v[44:45], v95 offset:32768
	ds_read_b64 v[46:47], v97 offset:32768
	;; [unrolled: 1-line block ×3, first 2 shown]
	v_add_u32_e32 v50, s57, v77
	s_waitcnt lgkmcnt(3)
	v_mfma_f32_16x16x16_bf16 a[4:7], v[42:43], v[34:35], a[4:7]
	v_ashrrev_i32_e32 v34, 31, v50
	ds_read2st64_b64 v[38:41], v99 offset0:2 offset1:4
	v_mfma_f32_16x16x16_bf16 a[0:3], v[42:43], v[36:37], a[0:3]
	v_mul_lo_u32 v36, v34, s30
	v_mul_lo_u32 v37, v50, s31
	v_mad_u64_u32 v[34:35], s[20:21], v50, s30, 0
	v_add3_u32 v35, v35, v37, v36
	v_add_u32_e32 v36, 1, v50
	v_ashrrev_i32_e32 v37, 31, v36
	v_mul_lo_u32 v42, v37, s30
	v_mul_lo_u32 v43, v36, s31
	v_mad_u64_u32 v[36:37], s[20:21], v36, s30, 0
	v_add3_u32 v37, v37, v43, v42
	v_add_u32_e32 v42, 2, v50
	v_ashrrev_i32_e32 v43, 31, v42
	v_mul_lo_u32 v51, v43, s30
	v_mul_lo_u32 v52, v42, s31
	v_mad_u64_u32 v[42:43], s[20:21], v42, s30, 0
	v_add_u32_e32 v50, 3, v50
	v_add3_u32 v43, v43, v52, v51
	v_ashrrev_i32_e32 v51, 31, v50
	v_mul_lo_u32 v52, v51, s30
	v_mul_lo_u32 v53, v50, s31
	v_mad_u64_u32 v[50:51], s[20:21], v50, s30, 0
	s_ashr_i32 s21, s57, 31
	v_add3_u32 v51, v51, v53, v52
	s_add_u32 s20, s56, s57
	v_lshl_add_u64 v[34:35], v[34:35], 2, s[42:43]
	v_lshl_add_u64 v[50:51], v[50:51], 2, s[42:43]
	s_addc_u32 s21, s55, s21
	v_lshl_add_u64 v[36:37], v[36:37], 2, s[42:43]
	v_lshl_add_u64 v[42:43], v[42:43], 2, s[42:43]
	global_load_dword v52, v[34:35], off
	global_load_dword v53, v[36:37], off
	;; [unrolled: 1-line block ×3, first 2 shown]
	s_nop 0
	global_load_dword v50, v[50:51], off
	s_lshl_b64 s[20:21], s[20:21], 8
	v_lshl_add_u64 v[34:35], v[66:67], 0, s[20:21]
	v_lshl_add_u64 v[42:43], v[34:35], 0, v[64:65]
	global_load_ushort v51, v[42:43], off offset:256
	global_load_ushort v55, v[42:43], off
	ds_read2st64_b64 v[34:37], v100 offset0:2 offset1:4
	global_load_ushort v56, v[42:43], off offset:768
	global_load_ushort v57, v[42:43], off offset:512
	;; [unrolled: 1-line block ×6, first 2 shown]
	s_waitcnt lgkmcnt(1)
	v_mfma_f32_16x16x16_bf16 a[4:7], v[44:45], v[38:39], a[4:7]
	s_and_b64 vcc, exec, s[0:1]
	s_waitcnt vmcnt(7)
	v_lshlrev_b32_e32 v43, 16, v51
	s_waitcnt lgkmcnt(0)
	v_mfma_f32_16x16x16_bf16 a[0:3], v[44:45], v[34:35], a[0:3]
	v_mfma_f32_16x16x16_bf16 a[4:7], v[46:47], v[40:41], a[4:7]
	v_mfma_f32_16x16x16_bf16 a[0:3], v[46:47], v[36:37], a[0:3]
	ds_read_b64 v[34:35], v99 offset:3072
	ds_read_b64 v[36:37], v100 offset:3072
	s_load_dword s2, s[2:3], 0x0
	s_waitcnt lgkmcnt(0)
	v_sub_f32_e32 v42, s2, v52
	v_mfma_f32_16x16x16_bf16 a[4:7], v[48:49], v[34:35], a[4:7]
	v_sub_f32_e32 v45, s2, v53
	v_sub_f32_e32 v46, s2, v54
	v_sub_f32_e32 v47, s2, v50
	v_mul_f32_e32 v44, 0x3fb8aa3b, v42
	v_mul_f32_e32 v45, 0x3fb8aa3b, v45
	;; [unrolled: 1-line block ×4, first 2 shown]
	v_mfma_f32_16x16x16_bf16 a[0:3], v[48:49], v[36:37], a[0:3]
	v_accvgpr_read_b32 v41, a5
	v_exp_f32_e32 v44, v44
	v_exp_f32_e32 v45, v45
	;; [unrolled: 1-line block ×4, first 2 shown]
	v_accvgpr_read_b32 v40, a4
	s_waitcnt vmcnt(6)
	v_lshlrev_b32_e32 v42, 16, v55
	v_lshl_add_u64 v[34:35], v[68:69], 0, s[20:21]
	v_accvgpr_read_b32 v37, a7
	v_accvgpr_read_b32 v36, a6
	v_pk_add_f32 v[40:41], v[42:43], v[40:41] neg_lo:[0,1] neg_hi:[0,1]
	s_waitcnt vmcnt(5)
	v_lshlrev_b32_e32 v43, 16, v56
	s_waitcnt vmcnt(4)
	v_lshlrev_b32_e32 v42, 16, v57
	v_lshl_add_u64 v[34:35], v[34:35], 0, v[64:65]
	v_pk_add_f32 v[36:37], v[42:43], v[36:37] neg_lo:[0,1] neg_hi:[0,1]
	global_store_short_d16_hi v[34:35], v40, off
	global_store_short_d16_hi v[34:35], v41, off offset:256
	global_store_short_d16_hi v[34:35], v36, off offset:512
	;; [unrolled: 1-line block ×3, first 2 shown]
	v_pk_mul_f32 v[40:41], v[44:45], v[40:41]
	v_pk_mul_f32 v[36:37], v[46:47], v[36:37]
	v_accvgpr_read_b32 v43, a1
	v_perm_b32 v37, v37, v36, s39
	v_perm_b32 v36, v41, v40, s39
	s_waitcnt vmcnt(5)
	v_lshlrev_b32_e32 v41, 16, v60
	s_waitcnt vmcnt(4)
	v_lshlrev_b32_e32 v40, 16, v119
	v_accvgpr_read_b32 v42, a0
	v_accvgpr_read_b32 v39, a3
	v_accvgpr_read_b32 v38, a2
	v_pk_add_f32 v[40:41], v[40:41], v[42:43] neg_lo:[0,1] neg_hi:[0,1]
	v_lshlrev_b32_e32 v43, 16, v58
	v_lshlrev_b32_e32 v42, 16, v59
	v_pk_add_f32 v[38:39], v[42:43], v[38:39] neg_lo:[0,1] neg_hi:[0,1]
	global_store_short_d16_hi v[34:35], v40, off offset:32
	global_store_short_d16_hi v[34:35], v41, off offset:288
	;; [unrolled: 1-line block ×4, first 2 shown]
	v_pk_mul_f32 v[34:35], v[44:45], v[40:41]
	v_pk_mul_f32 v[38:39], v[46:47], v[38:39]
	v_mov_b32_e32 v119, 0
	v_perm_b32 v39, v39, v38, s39
	v_perm_b32 v38, v35, v34, s39
	ds_write2_b64 v86, v[36:37], v[38:39] offset1:16
	v_mov_b32_e32 v34, 0
	v_mov_b32_e32 v35, 0
	;; [unrolled: 1-line block ×16, first 2 shown]
	s_cbranch_vccnz .LBB467_40
; %bb.39:                               ;   in Loop: Header=BB467_32 Depth=1
	s_and_b32 s25, s25, 0xffff
	s_mov_b32 s27, s23
	buffer_load_dwordx4 v[46:49], v104, s[24:27], 0 offen
	buffer_load_dwordx4 v[38:41], v104, s[24:27], s59 offen
	;; [unrolled: 1-line block ×4, first 2 shown]
	v_mov_b32_e32 v118, v80
	v_mov_b32_e32 v119, v79
.LBB467_40:                             ;   in Loop: Header=BB467_32 Depth=1
	s_waitcnt lgkmcnt(0)
	s_barrier
	ds_read_b64 v[54:55], v106
	ds_read_b64 v[124:125], v103
	;; [unrolled: 1-line block ×5, first 2 shown]
	ds_read_b64 v[138:139], v100 offset:3072
	ds_read2_b64 v[50:53], v99 offset0:16 offset1:128
	s_waitcnt lgkmcnt(5)
	v_mfma_f32_16x16x16_bf16 a[0:3], v[54:55], v[124:125], 0
	ds_read2st64_b64 v[56:59], v100 offset0:2 offset1:4
	s_add_i32 s3, s54, s62
	s_mul_hi_i32 s21, s3, s13
	s_waitcnt lgkmcnt(1)
	v_mfma_f32_16x16x16_bf16 a[4:7], v[54:55], v[50:51], 0
	ds_read_b64 v[54:55], v111
	s_mul_i32 s3, s3, s13
	s_add_u32 s20, s3, s49
	s_waitcnt lgkmcnt(1)
	v_mfma_f32_16x16x16_bf16 a[4:7], v[126:127], v[56:57], a[4:7]
	s_addc_u32 s21, s21, s51
	s_lshl_b64 s[20:21], s[20:21], 15
	s_mul_i32 s24, s63, s13
	s_mul_hi_i32 s3, s63, s13
	s_add_u32 s24, s24, s49
	v_mfma_f32_16x16x16_bf16 a[8:11], v[128:129], v[58:59], a[4:7]
	s_addc_u32 s25, s3, s51
	ds_read2st64_b64 v[120:123], v99 offset0:4 offset1:6
	s_lshl_b64 s[24:25], s[24:25], 9
	s_waitcnt lgkmcnt(1)
	v_mfma_f32_16x16x16_bf16 a[4:7], v[54:55], v[124:125], 0
	s_add_u32 s24, s16, s24
	s_addc_u32 s25, s17, s25
	v_mfma_f32_16x16x16_bf16 a[0:3], v[126:127], v[52:53], a[0:3]
	ds_read_b64 v[126:127], v112
	ds_read_b64 v[134:135], v113
	ds_read_b64 v[140:141], v114
	v_mfma_f32_16x16x16_bf16 a[12:15], v[54:55], v[50:51], 0
	s_waitcnt lgkmcnt(2)
	v_mfma_f32_16x16x16_bf16 a[4:7], v[126:127], v[52:53], a[4:7]
	global_load_dwordx4 v[50:53], v110, s[24:25]
	v_mfma_f32_16x16x16_bf16 a[12:15], v[126:127], v[56:57], a[12:15]
	global_load_dwordx4 v[54:57], v63, s[24:25]
	ds_read2st64_b64 v[124:127], v101 offset1:8
	s_waitcnt lgkmcnt(0)
	v_mov_b32_e32 v132, v124
	v_mfma_f32_16x16x16_bf16 a[0:3], v[128:129], v[120:121], a[0:3]
	ds_read2st64_b64 v[128:131], v102 offset1:8
	v_mov_b32_e32 v133, v125
	v_mfma_f32_16x16x16_bf16 a[16:19], v[134:135], v[120:121], a[4:7]
	v_lshl_add_u64 v[120:121], v[70:71], 0, s[20:21]
	v_mfma_f32_16x16x16_bf16 a[20:23], v[134:135], v[58:59], a[12:15]
	v_add_co_u32_e32 v58, vcc, s37, v120
	s_waitcnt lgkmcnt(0)
	v_mov_b32_e32 v134, v128
	v_mfma_f32_16x16x16_bf16 a[4:7], v[136:137], v[122:123], a[0:3]
	v_mov_b32_e32 v135, v129
	v_mov_b32_e32 v128, v126
	;; [unrolled: 1-line block ×3, first 2 shown]
	v_mfma_f32_16x16x16_bf16 a[8:11], v[136:137], v[138:139], a[8:11]
	v_addc_co_u32_e32 v59, vcc, 0, v121, vcc
	global_store_dwordx4 v[58:59], v[128:131], off
	v_mfma_f32_16x16x16_bf16 a[12:15], v[140:141], v[122:123], a[16:19]
	s_and_b64 vcc, exec, s[0:1]
	global_store_dwordx4 v[120:121], v[132:135], off
	s_waitcnt vmcnt(3)
	v_mov_b32_e32 v60, v53
	v_mfma_f32_16x16x16_bf16 a[0:3], v[140:141], v[138:139], a[20:23]
	v_mov_b32_e32 v59, v52
	v_mov_b32_e32 v58, v51
	s_cbranch_vccnz .LBB467_42
; %bb.41:                               ;   in Loop: Header=BB467_32 Depth=1
	v_lshrrev_b32_e32 v51, 3, v118
	v_and_b32_e32 v51, 6, v51
	v_xor_b32_e32 v52, v51, v119
	v_lshlrev_b32_e32 v52, 2, v52
	v_and_b32_e32 v53, 8, v118
	v_xor_b32_e32 v118, 0x440, v52
	v_cmp_eq_u32_e32 vcc, 0, v53
	v_perm_b32 v53, v38, v34, s60
	s_nop 0
	v_cndmask_b32_e32 v52, v118, v52, vcc
	v_lshl_or_b32 v51, v51, 10, v52
	v_perm_b32 v52, v46, v42, s60
	s_barrier
	ds_write2st64_b32 v51, v52, v53 offset0:32 offset1:64
	v_xor_b32_e32 v52, 8, v51
	v_perm_b32 v42, v46, v42, s61
	v_perm_b32 v34, v38, v34, s61
	v_add_u32_e32 v38, 0x80, v52
	ds_write2st64_b32 v38, v42, v34 offset0:32 offset1:64
	v_xor_b32_e32 v34, 16, v51
	v_perm_b32 v38, v47, v43, s60
	v_perm_b32 v42, v39, v35, s60
	ds_write2st64_b32 v34, v38, v42 offset0:33 offset1:65
	v_xor_b32_e32 v34, 24, v51
	v_perm_b32 v38, v47, v43, s61
	v_perm_b32 v35, v39, v35, s61
	v_add_u32_e32 v34, 0x80, v34
	ds_write2st64_b32 v34, v38, v35 offset0:33 offset1:65
	v_xor_b32_e32 v34, 32, v51
	v_perm_b32 v35, v48, v44, s60
	v_perm_b32 v38, v40, v36, s60
	;; [unrolled: 9-line block ×3, first 2 shown]
	ds_write2st64_b32 v34, v35, v36 offset0:35 offset1:67
	v_xor_b32_e32 v34, 56, v51
	v_perm_b32 v35, v49, v45, s61
	v_perm_b32 v36, v41, v37, s61
	v_add_u32_e32 v34, 0x80, v34
	ds_write2st64_b32 v34, v35, v36 offset0:35 offset1:67
	ds_write_b64 v117, v[30:31] offset:24576
	v_xor_b32_e32 v30, 8, v117
	ds_write_b64 v30, v[32:33] offset:24576
	ds_write_b64 v117, v[26:27] offset:32768
	;; [unrolled: 1-line block ×4, first 2 shown]
	v_xor_b32_e32 v22, 8, v116
	ds_write_b64 v22, v[24:25] offset:24576
	ds_write_b64 v116, v[18:19] offset:32768
	;; [unrolled: 1-line block ×3, first 2 shown]
.LBB467_42:                             ;   in Loop: Header=BB467_32 Depth=1
	v_mul_f32_e32 v22, s2, v115
	v_exp_f32_e32 v34, v22
	s_waitcnt vmcnt(2)
	v_mul_f32_e32 v22, 0x3fb8aa3b, v54
	v_exp_f32_e32 v36, v22
	v_mul_f32_e32 v22, 0x3fb8aa3b, v55
	v_exp_f32_e32 v37, v22
	;; [unrolled: 2-line block ×4, first 2 shown]
	v_accvgpr_read_b32 v29, a7
	v_accvgpr_read_b32 v27, a5
	;; [unrolled: 1-line block ×4, first 2 shown]
	v_pk_mul_f32 v[36:37], v[34:35], v[36:37] op_sel_hi:[0,1]
	v_accvgpr_read_b32 v20, a10
	v_pk_fma_f32 v[14:15], v[14:15], v[36:37], v[26:27]
	v_pk_mul_f32 v[26:27], v[34:35], v[38:39] op_sel_hi:[0,1]
	v_accvgpr_read_b32 v28, a6
	v_accvgpr_read_b32 v19, a9
	;; [unrolled: 1-line block ×3, first 2 shown]
	v_fma_f32 v8, v8, v26, v20
	v_mul_f32_e32 v20, 0x3fb8aa3b, v59
	v_pk_fma_f32 v[16:17], v[16:17], v[26:27], v[28:29]
	v_fma_f32 v6, v6, v36, v18
	v_fma_f32 v7, v7, v37, v19
	v_mul_f32_e32 v18, 0x3fb8aa3b, v50
	v_mul_f32_e32 v19, 0x3fb8aa3b, v58
	v_exp_f32_e32 v28, v20
	v_mul_f32_e32 v20, 0x3fb8aa3b, v60
	v_exp_f32_e32 v18, v18
	v_exp_f32_e32 v19, v19
	;; [unrolled: 1-line block ×3, first 2 shown]
	v_accvgpr_read_b32 v33, a15
	v_accvgpr_read_b32 v25, a3
	;; [unrolled: 1-line block ×8, first 2 shown]
	v_fmac_f32_e32 v21, v9, v27
	v_pk_mul_f32 v[18:19], v[34:35], v[18:19] op_sel_hi:[0,1]
	v_pk_mul_f32 v[26:27], v[34:35], v[28:29] op_sel_hi:[0,1]
	s_add_i32 s57, s57, 64
	v_pk_fma_f32 v[10:11], v[10:11], v[18:19], v[30:31]
	v_pk_fma_f32 v[12:13], v[12:13], v[26:27], v[32:33]
	v_fma_f32 v2, v2, v18, v22
	v_fma_f32 v3, v3, v19, v23
	;; [unrolled: 1-line block ×3, first 2 shown]
	s_cmp_eq_u32 s50, s41
	v_fmac_f32_e32 v25, v5, v27
	s_cbranch_scc1 .LBB467_4
; %bb.43:                               ;   in Loop: Header=BB467_32 Depth=1
	s_mov_b32 s62, s41
	v_mov_b32_e32 v9, v21
	v_mov_b32_e32 v5, v25
	s_branch .LBB467_32
.LBB467_44:
                                        ; implicit-def: $vgpr5
                                        ; implicit-def: $vgpr9
                                        ; implicit-def: $vgpr13
                                        ; implicit-def: $vgpr17
	s_cbranch_execz .LBB467_46
; %bb.45:
	s_waitcnt vmcnt(0)
	v_mad_u64_u32 v[2:3], s[0:1], v20, s15, v[18:19]
	v_lshlrev_b32_e32 v20, 1, v2
	s_lshl_b32 s2, s15, 7
	s_and_b32 s1, s5, 0xffff
	s_mov_b32 s3, 0x20000
	s_mov_b32 s0, s4
	v_add_lshl_u32 v21, v2, s15, 1
	s_movk_i32 s13, 0x80
	buffer_load_dwordx4 v[2:5], v20, s[0:3], 0 offen
	buffer_load_dwordx4 v[10:13], v20, s[0:3], s13 offen
	;; [unrolled: 1-line block ×4, first 2 shown]
.LBB467_46:
	v_lshrrev_b32_e32 v30, 2, v61
	s_cbranch_execnz .LBB467_59
.LBB467_47:
	s_and_b64 vcc, exec, s[6:7]
	s_cbranch_vccz .LBB467_57
; %bb.48:
	s_waitcnt vmcnt(0)
	v_lshlrev_b32_e32 v7, 1, v23
	v_cmp_gt_i32_e32 vcc, s27, v7
	v_mov_b32_e32 v6, 0
	v_lshlrev_b32_e32 v14, 9, v23
	v_mov_b32_e32 v2, 0
	v_mov_b32_e32 v3, 0
	;; [unrolled: 1-line block ×4, first 2 shown]
	s_and_saveexec_b64 s[0:1], vcc
	s_cbranch_execz .LBB467_50
; %bb.49:
	v_mov_b32_e32 v15, 0
	v_lshl_add_u64 v[2:3], s[4:5], 0, v[14:15]
	v_lshlrev_b32_e32 v4, 1, v18
	v_mov_b32_e32 v5, v15
	v_lshl_add_u64 v[2:3], v[2:3], 0, v[4:5]
	global_load_dwordx4 v[2:5], v[2:3], off
.LBB467_50:
	s_or_b64 exec, exec, s[0:1]
	v_or_b32_e32 v7, 1, v7
	v_cmp_gt_i32_e64 s[0:1], s27, v7
	v_lshlrev_b32_e32 v20, 8, v7
	v_mov_b32_e32 v7, 0
	v_mov_b32_e32 v8, 0
	v_mov_b32_e32 v9, 0
	s_and_saveexec_b64 s[2:3], s[0:1]
	s_cbranch_execz .LBB467_52
; %bb.51:
	v_mov_b32_e32 v21, 0
	v_lshl_add_u64 v[6:7], s[4:5], 0, v[20:21]
	v_lshlrev_b32_e32 v8, 1, v18
	v_mov_b32_e32 v9, v21
	v_lshl_add_u64 v[6:7], v[6:7], 0, v[8:9]
	global_load_dwordx4 v[6:9], v[6:7], off
.LBB467_52:
	s_or_b64 exec, exec, s[2:3]
	v_mov_b32_e32 v17, 0
	v_mov_b32_e32 v10, 0
	;; [unrolled: 1-line block ×5, first 2 shown]
	s_and_saveexec_b64 s[2:3], vcc
	s_cbranch_execz .LBB467_54
; %bb.53:
	v_mov_b32_e32 v15, 0
	v_lshl_add_u64 v[10:11], s[4:5], 0, v[14:15]
	v_lshlrev_b32_e32 v14, 1, v18
	v_lshl_add_u64 v[10:11], v[10:11], 0, v[14:15]
	global_load_dwordx4 v[10:13], v[10:11], off offset:128
.LBB467_54:
	s_or_b64 exec, exec, s[2:3]
	v_mov_b32_e32 v16, 0
	v_mov_b32_e32 v15, 0
	;; [unrolled: 1-line block ×3, first 2 shown]
	s_and_saveexec_b64 s[2:3], s[0:1]
	s_cbranch_execz .LBB467_56
; %bb.55:
	v_mov_b32_e32 v21, 0
	v_lshl_add_u64 v[14:15], s[4:5], 0, v[20:21]
	v_lshlrev_b32_e32 v20, 1, v18
	v_lshl_add_u64 v[14:15], v[14:15], 0, v[20:21]
	global_load_dwordx4 v[14:17], v[14:15], off offset:128
.LBB467_56:
	s_or_b64 exec, exec, s[2:3]
	s_branch .LBB467_59
.LBB467_57:
                                        ; implicit-def: $vgpr5
                                        ; implicit-def: $vgpr9
                                        ; implicit-def: $vgpr13
                                        ; implicit-def: $vgpr17
	s_cbranch_execz .LBB467_59
; %bb.58:
	s_waitcnt vmcnt(0)
	v_lshlrev_b32_e32 v2, 1, v18
	v_lshl_or_b32 v18, v23, 9, v2
	s_and_b32 s5, s5, 0xffff
	s_mov_b32 s7, 0x20000
	s_movk_i32 s6, 0x4000
	s_movk_i32 s0, 0x80
	buffer_load_dwordx4 v[2:5], v18, s[4:7], 0 offen
	buffer_load_dwordx4 v[6:9], v18, s[4:7], 0 offen offset:256
	buffer_load_dwordx4 v[10:13], v18, s[4:7], s0 offen
	buffer_load_dwordx4 v[14:17], v18, s[4:7], s0 offen offset:256
.LBB467_59:
	ds_read_b64 v[20:21], v25 offset:32768
	v_add_u32_e32 v18, 0xb000, v24
	ds_read2_b64 v[32:35], v18 offset1:16
	ds_read_b64 v[40:41], v26 offset:32768
	ds_read_b64 v[26:27], v27 offset:32768
	;; [unrolled: 1-line block ×3, first 2 shown]
	v_and_b32_e32 v18, 6, v0
	v_xor_b32_e32 v23, v23, v18
	v_lshlrev_b32_e32 v23, 2, v23
	v_and_b32_e32 v0, 1, v0
	v_xor_b32_e32 v28, 0x440, v23
	v_cmp_eq_u32_e32 vcc, 0, v0
	s_waitcnt lgkmcnt(3)
	v_mfma_f32_16x16x16_bf16 a[0:3], v[20:21], v[32:33], a[0:3]
	s_mov_b32 s0, 0x1000504
	v_cndmask_b32_e32 v0, v28, v23, vcc
	v_lshl_or_b32 v0, v18, 10, v0
	v_mfma_f32_16x16x16_bf16 a[4:7], v[20:21], v[34:35], a[4:7]
	ds_read2st64_b64 v[32:35], v24 offset0:90 offset1:92
	ds_read2st64_b64 v[36:39], v29 offset0:90 offset1:92
	ds_read_b64 v[20:21], v24 offset:48128
	ds_read_b64 v[24:25], v29 offset:48128
	s_waitcnt vmcnt(0)
	v_perm_b32 v18, v2, v6, s0
	s_waitcnt lgkmcnt(3)
	v_mfma_f32_16x16x16_bf16 a[0:3], v[40:41], v[32:33], a[0:3]
	s_mov_b32 s1, 0x3020706
	v_perm_b32 v2, v2, v6, s1
	v_perm_b32 v6, v10, v14, s1
	s_waitcnt lgkmcnt(2)
	v_mfma_f32_16x16x16_bf16 a[4:7], v[40:41], v[36:37], a[4:7]
	v_mfma_f32_16x16x16_bf16 a[0:3], v[26:27], v[34:35], a[0:3]
	;; [unrolled: 1-line block ×3, first 2 shown]
	s_waitcnt lgkmcnt(1)
	v_mfma_f32_16x16x16_bf16 a[4:7], v[42:43], v[20:21], a[0:3]
	v_perm_b32 v20, v10, v14, s0
	ds_write2st64_b32 v0, v18, v20 offset0:32 offset1:64
	v_xor_b32_e32 v18, 8, v0
	v_add_u32_e32 v10, 0x80, v18
	ds_write2st64_b32 v10, v2, v6 offset0:32 offset1:64
	v_xor_b32_e32 v2, 16, v0
	v_perm_b32 v6, v3, v7, s0
	v_perm_b32 v10, v11, v15, s0
	ds_write2st64_b32 v2, v6, v10 offset0:33 offset1:65
	v_xor_b32_e32 v2, 24, v0
	v_perm_b32 v3, v3, v7, s1
	v_perm_b32 v6, v11, v15, s1
	v_add_u32_e32 v2, 0x80, v2
	ds_write2st64_b32 v2, v3, v6 offset0:33 offset1:65
	v_xor_b32_e32 v2, 32, v0
	v_perm_b32 v3, v4, v8, s0
	v_perm_b32 v6, v12, v16, s0
	s_waitcnt lgkmcnt(4)
	v_mfma_f32_16x16x16_bf16 a[0:3], v[42:43], v[24:25], a[8:11]
	ds_write2st64_b32 v2, v3, v6 offset0:34 offset1:66
	v_xor_b32_e32 v2, 40, v0
	v_perm_b32 v3, v4, v8, s1
	v_perm_b32 v4, v12, v16, s1
	v_add_u32_e32 v2, 0x80, v2
	ds_write2st64_b32 v2, v3, v4 offset0:34 offset1:66
	v_xor_b32_e32 v2, 48, v0
	v_perm_b32 v3, v5, v9, s0
	v_perm_b32 v4, v13, v17, s0
	v_xor_b32_e32 v0, 56, v0
	v_and_or_b32 v21, v30, 12, v1
	ds_write2st64_b32 v2, v3, v4 offset0:35 offset1:67
	v_perm_b32 v2, v5, v9, s1
	v_perm_b32 v3, v13, v17, s1
	v_add_u32_e32 v0, 0x80, v0
	v_cmp_gt_i32_e32 vcc, s27, v21
	v_mov_b32_e32 v16, 0
	v_mov_b32_e32 v18, 0
	ds_write2st64_b32 v0, v2, v3 offset0:35 offset1:67
	s_and_saveexec_b64 s[0:1], vcc
	s_cbranch_execz .LBB467_61
; %bb.60:
	v_add_u32_e32 v0, s26, v21
	v_ashrrev_i32_e32 v1, 31, v0
	v_mul_lo_u32 v2, v1, s30
	v_mul_lo_u32 v3, v0, s31
	v_mad_u64_u32 v[0:1], s[2:3], v0, s30, 0
	v_add3_u32 v1, v1, v3, v2
	v_lshl_add_u64 v[0:1], v[0:1], 2, s[10:11]
	global_load_dword v0, v[0:1], off
	s_waitcnt vmcnt(0)
	v_sub_f32_e32 v0, s12, v0
	v_mul_f32_e32 v0, 0x3fb8aa3b, v0
	v_exp_f32_e32 v18, v0
.LBB467_61:
	s_or_b64 exec, exec, s[0:1]
	v_or_b32_e32 v10, 1, v21
	v_cmp_gt_i32_e64 s[0:1], s27, v10
	s_and_saveexec_b64 s[2:3], s[0:1]
	s_cbranch_execz .LBB467_63
; %bb.62:
	v_add_u32_e32 v0, s26, v10
	v_ashrrev_i32_e32 v1, 31, v0
	v_mul_lo_u32 v2, v1, s30
	v_mul_lo_u32 v3, v0, s31
	v_mad_u64_u32 v[0:1], s[4:5], v0, s30, 0
	v_add3_u32 v1, v1, v3, v2
	v_lshl_add_u64 v[0:1], v[0:1], 2, s[10:11]
	global_load_dword v0, v[0:1], off
	s_waitcnt vmcnt(0)
	v_sub_f32_e32 v0, s12, v0
	v_mul_f32_e32 v0, 0x3fb8aa3b, v0
	v_exp_f32_e32 v16, v0
.LBB467_63:
	s_or_b64 exec, exec, s[2:3]
	v_or_b32_e32 v12, 2, v21
	v_cmp_gt_i32_e64 s[2:3], s27, v12
	v_mov_b32_e32 v17, 0
	v_mov_b32_e32 v20, 0
	s_and_saveexec_b64 s[4:5], s[2:3]
	s_cbranch_execz .LBB467_65
; %bb.64:
	v_add_u32_e32 v0, s26, v12
	v_ashrrev_i32_e32 v1, 31, v0
	v_mul_lo_u32 v2, v1, s30
	v_mul_lo_u32 v3, v0, s31
	v_mad_u64_u32 v[0:1], s[6:7], v0, s30, 0
	v_add3_u32 v1, v1, v3, v2
	v_lshl_add_u64 v[0:1], v[0:1], 2, s[10:11]
	global_load_dword v0, v[0:1], off
	s_waitcnt vmcnt(0)
	v_sub_f32_e32 v0, s12, v0
	v_mul_f32_e32 v0, 0x3fb8aa3b, v0
	v_exp_f32_e32 v20, v0
.LBB467_65:
	s_or_b64 exec, exec, s[4:5]
	v_or_b32_e32 v14, 3, v21
	v_cmp_gt_i32_e64 s[4:5], s27, v14
	s_and_saveexec_b64 s[6:7], s[4:5]
	s_cbranch_execz .LBB467_67
; %bb.66:
	v_add_u32_e32 v0, s26, v14
	v_ashrrev_i32_e32 v1, 31, v0
	v_mul_lo_u32 v2, v1, s30
	v_mul_lo_u32 v3, v0, s31
	v_mad_u64_u32 v[0:1], s[14:15], v0, s30, 0
	v_add3_u32 v1, v1, v3, v2
	v_lshl_add_u64 v[0:1], v[0:1], 2, s[10:11]
	global_load_dword v0, v[0:1], off
	s_waitcnt vmcnt(0)
	v_sub_f32_e32 v0, s12, v0
	v_mul_f32_e32 v0, 0x3fb8aa3b, v0
	v_exp_f32_e32 v17, v0
.LBB467_67:
	s_or_b64 exec, exec, s[6:7]
	s_add_u32 s6, s8, s20
	s_addc_u32 s7, s9, s21
	s_add_u32 s8, s28, s20
	v_ashrrev_i32_e32 v63, 31, v62
	v_accvgpr_read_b32 v0, a4
	s_addc_u32 s9, s29, s21
	v_lshlrev_b64 v[4:5], 1, v[62:63]
	v_accvgpr_read_b32 v1, a5
	v_accvgpr_read_b32 v2, a6
	;; [unrolled: 1-line block ×3, first 2 shown]
	v_lshl_add_u64 v[6:7], s[6:7], 0, v[4:5]
	v_lshl_add_u64 v[4:5], s[8:9], 0, v[4:5]
	v_mov_b32_e32 v11, 0
	v_lshlrev_b32_e32 v8, 8, v21
	v_mov_b32_e32 v9, 0
	s_and_saveexec_b64 s[6:7], vcc
	s_cbranch_execz .LBB467_69
; %bb.68:
	v_mov_b32_e32 v9, 0
	v_lshl_add_u64 v[24:25], v[6:7], 0, v[8:9]
	global_load_ushort v13, v[24:25], off
	v_lshl_add_u64 v[24:25], v[4:5], 0, v[8:9]
	s_waitcnt vmcnt(0)
	v_lshlrev_b32_e32 v9, 16, v13
	v_sub_f32_e32 v0, v9, v0
	global_store_short_d16_hi v[24:25], v0, off
	v_mul_f32_e32 v0, v18, v0
	v_lshrrev_b32_e32 v9, 16, v0
.LBB467_69:
	s_or_b64 exec, exec, s[6:7]
	v_lshlrev_b32_e32 v10, 8, v10
	s_and_saveexec_b64 s[6:7], s[0:1]
	s_cbranch_execz .LBB467_71
; %bb.70:
	v_mov_b32_e32 v11, 0
	v_lshl_add_u64 v[24:25], v[6:7], 0, v[10:11]
	global_load_ushort v0, v[24:25], off
	v_lshl_add_u64 v[24:25], v[4:5], 0, v[10:11]
	s_waitcnt vmcnt(0)
	v_lshlrev_b32_e32 v0, 16, v0
	v_sub_f32_e32 v0, v0, v1
	global_store_short_d16_hi v[24:25], v0, off
	v_mul_f32_e32 v0, v16, v0
	v_lshrrev_b32_e32 v11, 16, v0
.LBB467_71:
	s_or_b64 exec, exec, s[6:7]
	v_mov_b32_e32 v15, 0
	v_lshlrev_b32_e32 v12, 8, v12
	v_mov_b32_e32 v13, 0
	s_and_saveexec_b64 s[6:7], s[2:3]
	s_cbranch_execz .LBB467_73
; %bb.72:
	v_mov_b32_e32 v13, 0
	v_lshl_add_u64 v[0:1], v[6:7], 0, v[12:13]
	global_load_ushort v23, v[0:1], off
	v_lshl_add_u64 v[0:1], v[4:5], 0, v[12:13]
	s_waitcnt vmcnt(0)
	v_lshlrev_b32_e32 v13, 16, v23
	v_sub_f32_e32 v2, v13, v2
	global_store_short_d16_hi v[0:1], v2, off
	v_mul_f32_e32 v0, v20, v2
	v_lshrrev_b32_e32 v13, 16, v0
.LBB467_73:
	s_or_b64 exec, exec, s[6:7]
	v_lshlrev_b32_e32 v14, 8, v14
	s_and_saveexec_b64 s[6:7], s[4:5]
	s_cbranch_execz .LBB467_75
; %bb.74:
	v_mov_b32_e32 v15, 0
	v_lshl_add_u64 v[0:1], v[6:7], 0, v[14:15]
	global_load_ushort v2, v[0:1], off
	v_lshl_add_u64 v[0:1], v[4:5], 0, v[14:15]
	s_waitcnt vmcnt(0)
	v_lshlrev_b32_e32 v2, 16, v2
	v_sub_f32_e32 v2, v2, v3
	global_store_short_d16_hi v[0:1], v2, off
	v_mul_f32_e32 v0, v17, v2
	v_lshrrev_b32_e32 v15, 16, v0
.LBB467_75:
	s_or_b64 exec, exec, s[6:7]
	v_lshlrev_b32_e32 v21, 5, v21
	s_mov_b32 s6, 0x5040100
	v_perm_b32 v24, v11, v9, s6
	v_or_b32_e32 v9, v21, v22
	v_accvgpr_read_b32 v0, a0
	v_perm_b32 v25, v15, v13, s6
	v_lshlrev_b32_e32 v9, 1, v9
	v_accvgpr_read_b32 v1, a1
	v_accvgpr_read_b32 v2, a2
	v_accvgpr_read_b32 v3, a3
	ds_write_b64 v9, v[24:25] offset:45056
	v_mov_b32_e32 v11, 0
	v_mov_b32_e32 v9, 0
	s_and_saveexec_b64 s[6:7], vcc
	s_cbranch_execz .LBB467_77
; %bb.76:
	v_mov_b32_e32 v9, 0
	v_lshl_add_u64 v[22:23], v[6:7], 0, v[8:9]
	global_load_ushort v13, v[22:23], off offset:32
	v_lshl_add_u64 v[8:9], v[4:5], 0, v[8:9]
	s_waitcnt vmcnt(0)
	v_lshlrev_b32_e32 v13, 16, v13
	v_sub_f32_e32 v0, v13, v0
	global_store_short_d16_hi v[8:9], v0, off offset:32
	v_mul_f32_e32 v0, v18, v0
	v_lshrrev_b32_e32 v9, 16, v0
.LBB467_77:
	s_or_b64 exec, exec, s[6:7]
	s_and_saveexec_b64 s[6:7], s[0:1]
	s_cbranch_execz .LBB467_79
; %bb.78:
	v_mov_b32_e32 v11, 0
	v_lshl_add_u64 v[22:23], v[6:7], 0, v[10:11]
	global_load_ushort v0, v[22:23], off offset:32
	v_lshl_add_u64 v[10:11], v[4:5], 0, v[10:11]
	s_waitcnt vmcnt(0)
	v_lshlrev_b32_e32 v0, 16, v0
	v_sub_f32_e32 v0, v0, v1
	global_store_short_d16_hi v[10:11], v0, off offset:32
	v_mul_f32_e32 v0, v16, v0
	v_lshrrev_b32_e32 v11, 16, v0
.LBB467_79:
	s_or_b64 exec, exec, s[6:7]
	v_mov_b32_e32 v0, 0
	v_mov_b32_e32 v1, 0
	s_and_saveexec_b64 s[0:1], s[2:3]
	s_cbranch_execz .LBB467_81
; %bb.80:
	v_mov_b32_e32 v13, 0
	v_lshl_add_u64 v[22:23], v[6:7], 0, v[12:13]
	global_load_ushort v1, v[22:23], off offset:32
	v_lshl_add_u64 v[12:13], v[4:5], 0, v[12:13]
	s_waitcnt vmcnt(0)
	v_lshlrev_b32_e32 v1, 16, v1
	v_sub_f32_e32 v1, v1, v2
	global_store_short_d16_hi v[12:13], v1, off offset:32
	v_mul_f32_e32 v1, v20, v1
	v_lshrrev_b32_e32 v1, 16, v1
.LBB467_81:
	s_or_b64 exec, exec, s[0:1]
	s_and_saveexec_b64 s[0:1], s[4:5]
	s_cbranch_execz .LBB467_83
; %bb.82:
	v_mov_b32_e32 v15, 0
	v_lshl_add_u64 v[6:7], v[6:7], 0, v[14:15]
	global_load_ushort v0, v[6:7], off offset:32
	v_lshl_add_u64 v[4:5], v[4:5], 0, v[14:15]
	s_waitcnt vmcnt(0)
	v_lshlrev_b32_e32 v0, 16, v0
	v_sub_f32_e32 v0, v0, v3
	global_store_short_d16_hi v[4:5], v0, off offset:32
	v_mul_f32_e32 v0, v17, v0
	v_lshrrev_b32_e32 v0, 16, v0
.LBB467_83:
	s_or_b64 exec, exec, s[0:1]
	s_mov_b32 s0, 0x5040100
	v_or_b32_e32 v2, v21, v19
	v_perm_b32 v1, v0, v1, s0
	v_perm_b32 v0, v11, v9, s0
	v_lshlrev_b32_e32 v2, 1, v2
	ds_write_b64 v2, v[0:1] offset:45056
	s_waitcnt lgkmcnt(0)
	s_barrier
.LBB467_84:
	s_endpgm
	.section	.rodata,"a",@progbits
	.p2align	6, 0x0
	.amdhsa_kernel _ZN12_GLOBAL__N_139chunk_gated_delta_rule_fwd_h_hip_kernelILi32ELb1ELb0ELb1ELb1ELb0ELb1ELb0ELb0EEEvPK12hip_bfloat16S3_S3_PKfS5_PKvPS1_S8_PvPKiSB_iiiiilll
		.amdhsa_group_segment_fixed_size 49152
		.amdhsa_private_segment_fixed_size 0
		.amdhsa_kernarg_size 136
		.amdhsa_user_sgpr_count 2
		.amdhsa_user_sgpr_dispatch_ptr 0
		.amdhsa_user_sgpr_queue_ptr 0
		.amdhsa_user_sgpr_kernarg_segment_ptr 1
		.amdhsa_user_sgpr_dispatch_id 0
		.amdhsa_user_sgpr_kernarg_preload_length 0
		.amdhsa_user_sgpr_kernarg_preload_offset 0
		.amdhsa_user_sgpr_private_segment_size 0
		.amdhsa_uses_dynamic_stack 0
		.amdhsa_enable_private_segment 0
		.amdhsa_system_sgpr_workgroup_id_x 1
		.amdhsa_system_sgpr_workgroup_id_y 1
		.amdhsa_system_sgpr_workgroup_id_z 0
		.amdhsa_system_sgpr_workgroup_info 0
		.amdhsa_system_vgpr_workitem_id 0
		.amdhsa_next_free_vgpr 168
		.amdhsa_next_free_sgpr 64
		.amdhsa_accum_offset 144
		.amdhsa_reserve_vcc 1
		.amdhsa_float_round_mode_32 0
		.amdhsa_float_round_mode_16_64 0
		.amdhsa_float_denorm_mode_32 3
		.amdhsa_float_denorm_mode_16_64 3
		.amdhsa_dx10_clamp 1
		.amdhsa_ieee_mode 1
		.amdhsa_fp16_overflow 0
		.amdhsa_tg_split 0
		.amdhsa_exception_fp_ieee_invalid_op 0
		.amdhsa_exception_fp_denorm_src 0
		.amdhsa_exception_fp_ieee_div_zero 0
		.amdhsa_exception_fp_ieee_overflow 0
		.amdhsa_exception_fp_ieee_underflow 0
		.amdhsa_exception_fp_ieee_inexact 0
		.amdhsa_exception_int_div_zero 0
	.end_amdhsa_kernel
	.section	.text._ZN12_GLOBAL__N_139chunk_gated_delta_rule_fwd_h_hip_kernelILi32ELb1ELb0ELb1ELb1ELb0ELb1ELb0ELb0EEEvPK12hip_bfloat16S3_S3_PKfS5_PKvPS1_S8_PvPKiSB_iiiiilll,"axG",@progbits,_ZN12_GLOBAL__N_139chunk_gated_delta_rule_fwd_h_hip_kernelILi32ELb1ELb0ELb1ELb1ELb0ELb1ELb0ELb0EEEvPK12hip_bfloat16S3_S3_PKfS5_PKvPS1_S8_PvPKiSB_iiiiilll,comdat
.Lfunc_end467:
	.size	_ZN12_GLOBAL__N_139chunk_gated_delta_rule_fwd_h_hip_kernelILi32ELb1ELb0ELb1ELb1ELb0ELb1ELb0ELb0EEEvPK12hip_bfloat16S3_S3_PKfS5_PKvPS1_S8_PvPKiSB_iiiiilll, .Lfunc_end467-_ZN12_GLOBAL__N_139chunk_gated_delta_rule_fwd_h_hip_kernelILi32ELb1ELb0ELb1ELb1ELb0ELb1ELb0ELb0EEEvPK12hip_bfloat16S3_S3_PKfS5_PKvPS1_S8_PvPKiSB_iiiiilll
                                        ; -- End function
	.section	.AMDGPU.csdata,"",@progbits
; Kernel info:
; codeLenInByte = 8824
; NumSgprs: 70
; NumVgprs: 142
; NumAgprs: 24
; TotalNumVgprs: 168
; ScratchSize: 0
; MemoryBound: 0
; FloatMode: 240
; IeeeMode: 1
; LDSByteSize: 49152 bytes/workgroup (compile time only)
; SGPRBlocks: 8
; VGPRBlocks: 20
; NumSGPRsForWavesPerEU: 70
; NumVGPRsForWavesPerEU: 168
; AccumOffset: 144
; Occupancy: 1
; WaveLimiterHint : 1
; COMPUTE_PGM_RSRC2:SCRATCH_EN: 0
; COMPUTE_PGM_RSRC2:USER_SGPR: 2
; COMPUTE_PGM_RSRC2:TRAP_HANDLER: 0
; COMPUTE_PGM_RSRC2:TGID_X_EN: 1
; COMPUTE_PGM_RSRC2:TGID_Y_EN: 1
; COMPUTE_PGM_RSRC2:TGID_Z_EN: 0
; COMPUTE_PGM_RSRC2:TIDIG_COMP_CNT: 0
; COMPUTE_PGM_RSRC3_GFX90A:ACCUM_OFFSET: 35
; COMPUTE_PGM_RSRC3_GFX90A:TG_SPLIT: 0
	.section	.text._ZN12_GLOBAL__N_139chunk_gated_delta_rule_fwd_h_hip_kernelILi32ELb1ELb0ELb0ELb1ELb0ELb1ELb0ELb0EEEvPK12hip_bfloat16S3_S3_PKfS5_PKvPS1_S8_PvPKiSB_iiiiilll,"axG",@progbits,_ZN12_GLOBAL__N_139chunk_gated_delta_rule_fwd_h_hip_kernelILi32ELb1ELb0ELb0ELb1ELb0ELb1ELb0ELb0EEEvPK12hip_bfloat16S3_S3_PKfS5_PKvPS1_S8_PvPKiSB_iiiiilll,comdat
	.globl	_ZN12_GLOBAL__N_139chunk_gated_delta_rule_fwd_h_hip_kernelILi32ELb1ELb0ELb0ELb1ELb0ELb1ELb0ELb0EEEvPK12hip_bfloat16S3_S3_PKfS5_PKvPS1_S8_PvPKiSB_iiiiilll ; -- Begin function _ZN12_GLOBAL__N_139chunk_gated_delta_rule_fwd_h_hip_kernelILi32ELb1ELb0ELb0ELb1ELb0ELb1ELb0ELb0EEEvPK12hip_bfloat16S3_S3_PKfS5_PKvPS1_S8_PvPKiSB_iiiiilll
	.p2align	8
	.type	_ZN12_GLOBAL__N_139chunk_gated_delta_rule_fwd_h_hip_kernelILi32ELb1ELb0ELb0ELb1ELb0ELb1ELb0ELb0EEEvPK12hip_bfloat16S3_S3_PKfS5_PKvPS1_S8_PvPKiSB_iiiiilll,@function
_ZN12_GLOBAL__N_139chunk_gated_delta_rule_fwd_h_hip_kernelILi32ELb1ELb0ELb0ELb1ELb0ELb1ELb0ELb0EEEvPK12hip_bfloat16S3_S3_PKfS5_PKvPS1_S8_PvPKiSB_iiiiilll: ; @_ZN12_GLOBAL__N_139chunk_gated_delta_rule_fwd_h_hip_kernelILi32ELb1ELb0ELb0ELb1ELb0ELb1ELb0ELb0EEEvPK12hip_bfloat16S3_S3_PKfS5_PKvPS1_S8_PvPKiSB_iiiiilll
; %bb.0:
	s_load_dwordx4 s[12:15], s[0:1], 0x5c
	s_load_dwordx4 s[20:23], s[0:1], 0x70
	s_abs_i32 s9, s3
	s_ashr_i32 s8, s3, 31
	s_load_dwordx4 s[4:7], s[0:1], 0x48
	s_waitcnt lgkmcnt(0)
	s_abs_i32 s10, s13
	v_cvt_f32_u32_e32 v1, s10
	s_sub_i32 s16, 0, s10
	s_ashr_i32 s11, s13, 31
	s_xor_b32 s8, s8, s11
	v_rcp_iflag_f32_e32 v1, v1
	v_and_b32_e32 v72, 15, v0
	v_lshrrev_b32_e32 v70, 6, v0
	v_bfe_u32 v71, v0, 4, 2
	v_mul_f32_e32 v1, 0x4f7ffffe, v1
	v_cvt_u32_f32_e32 v1, v1
	v_mov_b32_e32 v7, 0
	v_and_b32_e32 v61, 63, v0
	v_lshrrev_b32_e32 v74, 3, v61
	v_readfirstlane_b32 s17, v1
	s_mul_i32 s16, s16, s17
	s_mul_hi_u32 s16, s17, s16
	s_add_i32 s17, s17, s16
	s_mul_hi_u32 s16, s9, s17
	s_mul_i32 s17, s16, s10
	s_sub_i32 s9, s9, s17
	s_add_i32 s18, s16, 1
	s_sub_i32 s17, s9, s10
	s_cmp_ge_u32 s9, s10
	s_cselect_b32 s16, s18, s16
	s_cselect_b32 s9, s17, s9
	s_add_i32 s17, s16, 1
	s_cmp_ge_u32 s9, s10
	s_cselect_b32 s9, s17, s16
	s_load_dwordx4 s[16:19], s[0:1], 0x28
	s_xor_b32 s9, s9, s8
	s_sub_i32 s24, s9, s8
	s_mul_i32 s28, s24, s13
	s_ashr_i32 s25, s24, 31
	s_sub_i32 s47, s3, s28
	s_lshl_b64 s[8:9], s[24:25], 2
	s_add_u32 s4, s4, s8
	s_addc_u32 s5, s5, s9
	s_add_u32 s26, s6, s8
	s_addc_u32 s27, s7, s9
	s_abs_i32 s3, s14
	v_cvt_f32_u32_e32 v1, s3
	s_load_dwordx2 s[30:31], s[4:5], 0x0
	s_lshl_b32 s38, s2, 5
	s_ashr_i32 s2, s14, 31
	v_rcp_iflag_f32_e32 v1, v1
	s_xor_b32 s2, s11, s2
	s_waitcnt lgkmcnt(0)
	s_sub_i32 s50, s31, s30
	s_ashr_i32 s4, s50, 31
	v_mul_f32_e32 v1, 0x4f7ffffe, v1
	v_cvt_u32_f32_e32 v1, v1
	s_lshr_b32 s4, s4, 26
	s_add_i32 s4, s50, s4
	s_ashr_i32 s48, s4, 6
	s_sub_i32 s4, 0, s3
	v_readfirstlane_b32 s5, v1
	s_mul_i32 s4, s4, s5
	s_mul_hi_u32 s4, s5, s4
	s_add_i32 s5, s5, s4
	s_mul_hi_u32 s4, s10, s5
	s_mul_i32 s5, s4, s3
	s_sub_i32 s5, s10, s5
	s_add_i32 s6, s4, 1
	s_sub_i32 s7, s5, s3
	s_cmp_ge_u32 s5, s3
	s_cselect_b32 s4, s6, s4
	s_cselect_b32 s5, s7, s5
	s_add_i32 s6, s4, 1
	s_cmp_ge_u32 s5, s3
	s_cselect_b32 s3, s6, s4
	s_xor_b32 s3, s3, s2
	s_sub_i32 s2, s3, s2
	s_abs_i32 s3, s2
	v_cvt_f32_u32_e32 v1, s3
	s_sub_i32 s5, 0, s3
	s_abs_i32 s4, s47
	s_xor_b32 s2, s47, s2
	v_rcp_iflag_f32_e32 v1, v1
	s_ashr_i32 s2, s2, 31
	v_or_b32_e32 v62, s38, v72
	v_lshlrev_b32_e32 v2, 7, v62
	v_mul_f32_e32 v1, 0x4f7ffffe, v1
	v_cvt_u32_f32_e32 v1, v1
	v_ashrrev_i32_e32 v3, 31, v2
	s_mul_hi_i32 s53, s47, s12
	s_mul_i32 s54, s47, s12
	v_readfirstlane_b32 s6, v1
	s_mul_i32 s5, s5, s6
	s_mul_hi_u32 s5, s6, s5
	s_add_i32 s6, s6, s5
	s_mul_hi_u32 s5, s4, s6
	s_mul_i32 s6, s5, s3
	s_sub_i32 s4, s4, s6
	s_add_i32 s6, s5, 1
	s_sub_i32 s7, s4, s3
	s_cmp_ge_u32 s4, s3
	s_cselect_b32 s5, s6, s5
	s_cselect_b32 s4, s7, s4
	s_add_i32 s6, s5, 1
	s_cmp_ge_u32 s4, s3
	s_cselect_b32 s3, s6, s5
	s_xor_b32 s3, s3, s2
	s_sub_i32 s51, s3, s2
	s_ashr_i32 s49, s47, 31
	s_mul_hi_i32 s3, s24, s13
	s_add_u32 s2, s28, s47
	s_addc_u32 s3, s3, s49
	s_lshl_b64 s[2:3], s[2:3], 16
	s_add_u32 s2, s16, s2
	s_addc_u32 s3, s17, s3
	v_lshlrev_b32_e32 v1, 4, v70
	v_lshl_add_u64 v[4:5], v[2:3], 2, s[2:3]
	v_or_b32_e32 v2, 0x800, v2
	v_lshl_or_b32 v75, v71, 2, v1
	v_ashrrev_i32_e32 v3, 31, v2
	v_lshlrev_b32_e32 v6, 2, v75
	v_lshl_add_u64 v[2:3], v[2:3], 2, s[2:3]
	v_lshl_add_u64 v[4:5], v[4:5], 0, v[6:7]
	;; [unrolled: 1-line block ×3, first 2 shown]
	global_load_dwordx4 v[14:17], v[4:5], off
	global_load_dwordx4 v[10:13], v[4:5], off offset:256
	global_load_dwordx4 v[6:9], v[18:19], off
	s_nop 0
	global_load_dwordx4 v[2:5], v[18:19], off offset:256
	s_load_dwordx8 s[4:11], s[0:1], 0x0
	s_load_dwordx2 s[28:29], s[0:1], 0x80
	s_load_dword s52, s[26:27], 0x0
	v_or_b32_e32 v76, 64, v75
	s_cmp_lt_i32 s50, 64
	v_lshlrev_b32_e32 v73, 3, v0
	s_mul_i32 s33, s24, s21
	s_mul_hi_u32 s43, s24, s20
	s_mul_i32 s44, s25, s20
	s_mul_i32 s34, s24, s20
	;; [unrolled: 1-line block ×3, first 2 shown]
	s_mul_hi_u32 s45, s47, s22
	s_mul_i32 s46, s49, s22
	s_mul_i32 s36, s47, s22
	s_cbranch_scc1 .LBB468_3
; %bb.1:
	s_ashr_i32 s3, s30, 31
	s_add_u32 s2, s54, s30
	s_addc_u32 s3, s53, s3
	s_lshl_b64 s[2:3], s[2:3], 8
	v_and_b32_e32 v78, 56, v73
	s_waitcnt lgkmcnt(0)
	s_add_u32 s20, s6, s2
	v_lshl_or_b32 v77, v70, 3, v74
	v_lshlrev_b32_e32 v18, 1, v78
	s_addc_u32 s2, s7, s3
	v_lshl_or_b32 v79, v77, 8, v18
	s_and_b32 s21, s2, 0xffff
	s_mov_b32 s23, 0x20000
	s_movk_i32 s22, 0x4000
	s_movk_i32 s2, 0x80
	v_or_b32_e32 v80, 0x2000, v79
	buffer_load_dwordx4 v[20:23], v79, s[20:23], 0 offen
	buffer_load_dwordx4 v[24:27], v79, s[20:23], s2 offen
	;; [unrolled: 1-line block ×4, first 2 shown]
	v_lshlrev_b32_e32 v19, 3, v77
	v_and_or_b32 v37, v0, 7, v19
	v_and_b32_e32 v19, 0x78, v19
	v_lshlrev_b32_e32 v37, 4, v37
	v_xor_b32_e32 v81, v37, v19
	v_mul_lo_u32 v36, v77, s15
	v_or_b32_e32 v82, 0x1000, v81
	v_xor_b32_e32 v19, 8, v81
	s_cmpk_eq_i32 s15, 0x80
	s_mov_b32 s55, s30
	v_xor_b32_e32 v37, 8, v82
	s_cselect_b64 s[2:3], -1, 0
	s_cmpk_lg_i32 s15, 0x80
	s_waitcnt vmcnt(3)
	ds_write_b64 v81, v[20:21] offset:24576
	ds_write_b64 v19, v[22:23] offset:24576
	s_waitcnt vmcnt(2)
	ds_write_b64 v81, v[24:25] offset:32768
	ds_write_b64 v19, v[26:27] offset:32768
	;; [unrolled: 3-line block ×4, first 2 shown]
	v_lshl_add_u32 v19, v36, 1, v78
	s_cbranch_scc0 .LBB468_29
; %bb.2:
	v_lshlrev_b32_e32 v21, 1, v19
	v_add_lshl_u32 v20, v19, s15, 1
	s_lshl_b32 s22, s15, 7
	s_load_dwordx2 s[16:17], s[0:1], 0x20
	v_lshl_or_b32 v18, v77, 9, v18
	s_cbranch_execz .LBB468_30
	s_branch .LBB468_31
.LBB468_3:
	s_waitcnt vmcnt(0)
	v_mov_b32_e32 v25, v5
	v_mov_b32_e32 v21, v9
.LBB468_4:
	s_lshl_b32 s26, s48, 6
	s_sub_i32 s27, s50, s26
	s_cmp_gt_i32 s27, 0
	s_cbranch_scc0 .LBB468_84
; %bb.5:
	s_add_i32 s26, s26, s30
	s_ashr_i32 s2, s26, 31
	s_cmpk_lg_i32 s15, 0x80
	s_cselect_b64 s[22:23], -1, 0
	s_and_b64 vcc, exec, s[22:23]
	s_cbranch_vccz .LBB468_7
; %bb.6:
	s_mul_i32 s1, s26, s14
	s_ashr_i32 s3, s51, 31
	s_mul_hi_i32 s0, s26, s14
	s_add_u32 s24, s1, s51
	s_addc_u32 s25, s0, s3
	s_cbranch_execz .LBB468_8
	s_branch .LBB468_9
.LBB468_7:
                                        ; implicit-def: $sgpr24_sgpr25
.LBB468_8:
	s_mul_i32 s1, s51, s12
	s_mul_hi_i32 s0, s51, s12
	s_add_u32 s24, s1, s26
	s_addc_u32 s25, s0, s2
.LBB468_9:
	s_waitcnt lgkmcnt(0)
	s_add_i32 s3, s48, s52
	s_add_u32 s0, s54, s26
	s_addc_u32 s1, s53, s2
	v_lshlrev_b32_e32 v18, 5, v75
	v_lshlrev_b32_e32 v22, 2, v72
	s_mov_b32 s2, 0x7060302
	v_perm_b32 v13, v13, v12, s2
	v_perm_b32 v12, v11, v10, s2
	v_or_b32_e32 v10, v18, v22
	v_xor_b32_e32 v5, v75, v22
	v_perm_b32 v17, v17, v16, s2
	v_perm_b32 v16, v15, v14, s2
	v_lshlrev_b32_e32 v10, 1, v10
	ds_write2st64_b64 v10, v[16:17], v[12:13] offset0:80 offset1:88
	v_lshlrev_b32_e32 v10, 1, v5
	v_lshlrev_b32_e32 v5, 8, v72
	s_lshl_b64 s[20:21], s[0:1], 8
	v_xor_b32_e32 v9, v76, v22
	v_or_b32_e32 v11, v10, v5
	s_add_u32 s0, s6, s20
	ds_write_b64 v11, v[16:17]
	v_lshlrev_b32_e32 v11, 1, v9
	s_addc_u32 s1, s7, s21
	v_or_b32_e32 v5, v11, v5
	s_mul_hi_i32 s6, s3, s13
	s_mul_i32 s3, s3, s13
	ds_write_b64 v5, v[12:13]
	v_perm_b32 v9, v21, v8, s2
	v_perm_b32 v8, v7, v6, s2
	;; [unrolled: 1-line block ×4, first 2 shown]
	s_add_u32 s2, s3, s47
	v_or_b32_e32 v2, 16, v72
	s_addc_u32 s3, s6, s49
	v_lshlrev_b32_e32 v19, 2, v2
	s_ashr_i32 s39, s38, 31
	s_lshl_b64 s[2:3], s[2:3], 15
	v_or_b32_e32 v3, v18, v19
	s_add_u32 s6, s18, s2
	v_lshlrev_b32_e32 v3, 1, v3
	v_lshlrev_b32_e32 v2, 8, v2
	s_addc_u32 s7, s19, s3
	s_lshl_b64 s[2:3], s[38:39], 8
	ds_write2st64_b64 v3, v[8:9], v[4:5] offset0:80 offset1:88
	v_or_b32_e32 v3, v10, v2
	v_or_b32_e32 v2, v11, v2
	s_add_u32 s2, s6, s2
	ds_write_b64 v3, v[8:9]
	ds_write_b64 v2, v[4:5]
	v_lshrrev_b32_e32 v2, 4, v0
	s_addc_u32 s3, s7, s3
	v_lshlrev_b32_e32 v3, 1, v72
	v_lshlrev_b32_e32 v10, 4, v72
	v_mov_b32_e32 v11, 0
	v_or_b32_e32 v4, 1, v3
	v_xor_b32_e32 v3, v2, v3
	v_lshl_add_u64 v[12:13], s[2:3], 0, v[10:11]
	v_lshlrev_b32_e32 v10, 8, v2
	v_xor_b32_e32 v6, v4, v2
	v_lshl_or_b32 v2, v3, 3, v10
	s_waitcnt lgkmcnt(0)
	s_barrier
	ds_read2st64_b64 v[2:5], v2 offset1:8
	v_lshl_or_b32 v6, v6, 3, v10
	ds_read2st64_b64 v[6:9], v6 offset1:8
	v_lshl_add_u64 v[14:15], v[12:13], 0, v[10:11]
	s_movk_i32 s2, 0x1000
	s_waitcnt lgkmcnt(1)
	v_mov_b32_e32 v10, v2
	v_add_co_u32_e32 v2, vcc, s2, v14
	s_cmp_lg_u32 s27, 64
	v_mov_b32_e32 v11, v3
	v_addc_co_u32_e32 v3, vcc, 0, v15, vcc
	s_cselect_b64 s[6:7], -1, 0
	v_lshl_or_b32 v23, v70, 3, v74
	s_waitcnt lgkmcnt(0)
	v_mov_b32_e32 v12, v6
	v_mov_b32_e32 v13, v7
	;; [unrolled: 1-line block ×4, first 2 shown]
	s_mov_b32 s16, 0
	v_or_b32_e32 v20, 32, v23
	v_and_b32_e32 v18, 56, v73
	s_and_b64 vcc, exec, s[6:7]
	global_store_dwordx4 v[14:15], v[10:13], off
	global_store_dwordx4 v[2:3], v[6:9], off
	s_cbranch_vccz .LBB468_15
; %bb.10:
	s_mov_b32 s17, s16
	s_mov_b32 s18, s16
	;; [unrolled: 1-line block ×3, first 2 shown]
	v_mov_b64_e32 v[6:7], s[16:17]
	v_mov_b64_e32 v[8:9], s[18:19]
	;; [unrolled: 1-line block ×3, first 2 shown]
	v_cmp_gt_i32_e32 vcc, s27, v23
	v_mov_b64_e32 v[4:5], v[8:9]
	s_and_saveexec_b64 s[2:3], vcc
	s_cbranch_execz .LBB468_12
; %bb.11:
	v_lshlrev_b32_e32 v2, 8, v23
	v_mov_b32_e32 v3, 0
	v_lshl_add_u64 v[4:5], s[0:1], 0, v[2:3]
	v_lshlrev_b32_e32 v2, 1, v18
	v_lshl_add_u64 v[10:11], v[4:5], 0, v[2:3]
	global_load_dwordx4 v[6:9], v[10:11], off
	global_load_dwordx4 v[2:5], v[10:11], off offset:128
.LBB468_12:
	s_or_b64 exec, exec, s[2:3]
	s_mov_b32 s17, s16
	s_mov_b32 s18, s16
	;; [unrolled: 1-line block ×3, first 2 shown]
	v_mov_b64_e32 v[14:15], s[16:17]
	v_mov_b64_e32 v[16:17], s[18:19]
	;; [unrolled: 1-line block ×3, first 2 shown]
	v_cmp_gt_i32_e32 vcc, s27, v20
	v_lshlrev_b32_e32 v21, 7, v20
	v_mov_b64_e32 v[12:13], v[16:17]
	s_and_saveexec_b64 s[2:3], vcc
	s_cbranch_execz .LBB468_14
; %bb.13:
	v_lshlrev_b32_e32 v10, 1, v21
	v_mov_b32_e32 v11, 0
	v_lshl_add_u64 v[12:13], s[0:1], 0, v[10:11]
	v_lshlrev_b32_e32 v10, 1, v18
	v_lshl_add_u64 v[24:25], v[12:13], 0, v[10:11]
	global_load_dwordx4 v[14:17], v[24:25], off
	global_load_dwordx4 v[10:13], v[24:25], off offset:128
.LBB468_14:
	s_or_b64 exec, exec, s[2:3]
	v_lshrrev_b32_e32 v24, 3, v18
	v_lshlrev_b32_e32 v25, 3, v23
	v_or_b32_e32 v24, v25, v24
	v_lshlrev_b32_e32 v24, 4, v24
	v_and_b32_e32 v25, 0x78, v25
	v_xor_b32_e32 v24, v24, v25
	s_branch .LBB468_17
.LBB468_15:
                                        ; implicit-def: $vgpr24
                                        ; implicit-def: $vgpr21
                                        ; implicit-def: $vgpr6_vgpr7_vgpr8_vgpr9
                                        ; implicit-def: $vgpr2_vgpr3_vgpr4_vgpr5
                                        ; implicit-def: $vgpr14_vgpr15_vgpr16_vgpr17
                                        ; implicit-def: $vgpr10_vgpr11_vgpr12_vgpr13
	s_cbranch_execz .LBB468_17
; %bb.16:
	s_waitcnt vmcnt(0)
	v_lshlrev_b32_e32 v2, 1, v18
	v_lshl_or_b32 v21, v23, 8, v2
	s_and_b32 s1, s1, 0xffff
	s_mov_b32 s3, 0x20000
	s_movk_i32 s2, 0x4000
	v_lshl_or_b32 v24, v20, 8, v2
	s_movk_i32 s12, 0x80
	buffer_load_dwordx4 v[6:9], v21, s[0:3], 0 offen
	buffer_load_dwordx4 v[2:5], v21, s[0:3], s12 offen
	;; [unrolled: 1-line block ×4, first 2 shown]
	v_lshrrev_b32_e32 v21, 3, v18
	v_lshlrev_b32_e32 v24, 3, v23
	v_or_b32_e32 v21, v24, v21
	v_lshlrev_b32_e32 v21, 4, v21
	v_and_b32_e32 v24, 0x78, v24
	v_xor_b32_e32 v24, v21, v24
	v_lshlrev_b32_e32 v21, 7, v20
.LBB468_17:
	s_lshl_b64 s[0:1], s[24:25], 8
	s_add_u32 s4, s4, s0
	s_movk_i32 s0, 0x1000
	v_and_or_b32 v20, v21, s0, v24
	s_waitcnt vmcnt(1)
	ds_write_b64 v24, v[6:7] offset:24576
	v_xor_b32_e32 v6, 8, v24
	ds_write_b64 v6, v[8:9] offset:24576
	s_waitcnt vmcnt(0)
	ds_write_b64 v24, v[2:3] offset:32768
	ds_write_b64 v6, v[4:5] offset:32768
	ds_write_b64 v20, v[14:15] offset:24576
	v_xor_b32_e32 v2, 8, v20
	ds_write_b64 v2, v[16:17] offset:24576
	ds_write_b64 v20, v[10:11] offset:32768
	;; [unrolled: 1-line block ×3, first 2 shown]
	v_or_b32_e32 v2, v1, v72
	v_lshlrev_b32_e32 v3, 11, v70
	v_lshlrev_b32_e32 v2, 3, v2
	v_and_b32_e32 v6, 0x1000, v3
	v_lshrrev_b32_e32 v3, 5, v61
	s_movk_i32 s3, 0xf8
	v_and_or_b32 v3, v2, s3, v3
	v_lshlrev_b32_e32 v7, 4, v3
	v_and_b32_e32 v8, 0x78, v2
	v_or_b32_e32 v10, 32, v7
	v_lshrrev_b32_e32 v3, 1, v61
	v_xor_b32_e32 v10, v10, v8
	v_xor_b32_e32 v2, v7, v8
	v_and_b32_e32 v9, 8, v3
	v_or_b32_e32 v10, v10, v6
	v_or_b32_e32 v2, v2, v6
	v_xor_b32_e32 v26, v10, v9
	v_or_b32_e32 v10, 64, v7
	v_xor_b32_e32 v25, v2, v9
	v_xor_b32_e32 v10, v10, v8
	s_waitcnt lgkmcnt(0)
	s_barrier
	v_or_b32_e32 v12, v10, v6
	ds_read_b64 v[10:11], v25 offset:24576
	v_lshl_or_b32 v20, v71, 7, v22
	v_lshlrev_b32_e32 v24, 1, v20
	v_add_u32_e32 v2, 0xa000, v24
	ds_read2_b64 v[2:5], v2 offset1:16
	v_or_b32_e32 v7, 0x60, v7
	v_xor_b32_e32 v7, v7, v8
	s_waitcnt lgkmcnt(0)
	v_mfma_f32_16x16x16_bf16 a[0:3], v[10:11], v[2:3], 0
	v_or_b32_e32 v2, 64, v20
	v_or_b32_e32 v6, v7, v6
	v_lshlrev_b32_e32 v29, 1, v2
	v_xor_b32_e32 v27, v12, v9
	v_xor_b32_e32 v28, v6, v9
	ds_read_b64 v[12:13], v26 offset:24576
	ds_read_b64 v[14:15], v27 offset:24576
	;; [unrolled: 1-line block ×3, first 2 shown]
	v_mfma_f32_16x16x16_bf16 a[4:7], v[10:11], v[4:5], 0
	ds_read2st64_b64 v[2:5], v29 offset0:82 offset1:84
	ds_read2st64_b64 v[6:9], v24 offset0:82 offset1:84
	s_addc_u32 s5, s5, s1
	s_add_i32 s1, s43, s33
	s_add_i32 s0, s31, -1
	s_add_i32 s35, s1, s44
	s_add_i32 s1, s45, s42
	s_add_i32 s37, s1, s46
	s_ashr_i32 s1, s0, 31
	s_mul_i32 s2, s0, s29
	s_mul_hi_u32 s3, s0, s28
	s_add_i32 s2, s3, s2
	s_mul_i32 s1, s1, s28
	s_waitcnt lgkmcnt(1)
	v_mfma_f32_16x16x16_bf16 a[4:7], v[12:13], v[2:3], a[4:7]
	s_add_i32 s1, s2, s1
	s_lshl_b64 s[2:3], s[34:35], 2
	s_add_u32 s10, s10, s2
	s_waitcnt lgkmcnt(0)
	v_mfma_f32_16x16x16_bf16 a[0:3], v[12:13], v[6:7], a[0:3]
	s_addc_u32 s11, s11, s3
	s_lshl_b64 s[2:3], s[36:37], 2
	s_mul_i32 s0, s0, s28
	s_add_u32 s10, s10, s2
	ds_read_b64 v[2:3], v24 offset:44032
	v_mfma_f32_16x16x16_bf16 a[4:7], v[14:15], v[4:5], a[4:7]
	ds_read_b64 v[4:5], v29 offset:44032
	s_addc_u32 s11, s11, s3
	s_lshl_b64 s[0:1], s[0:1], 2
	v_mfma_f32_16x16x16_bf16 a[0:3], v[14:15], v[8:9], a[0:3]
	s_add_u32 s0, s10, s0
	s_addc_u32 s1, s11, s1
	s_load_dword s12, s[0:1], 0x0
	s_waitcnt lgkmcnt(0)
	v_mfma_f32_16x16x16_bf16 a[0:3], v[16:17], v[2:3], a[0:3]
	s_and_b64 vcc, exec, s[22:23]
	v_mfma_f32_16x16x16_bf16 a[4:7], v[16:17], v[4:5], a[4:7]
	s_cbranch_vccz .LBB468_28
; %bb.18:
	v_lshlrev_b32_e32 v20, 1, v23
	s_and_b64 vcc, exec, s[6:7]
	s_cbranch_vccz .LBB468_44
; %bb.19:
	v_cmp_gt_i32_e32 vcc, s27, v20
	v_mov_b32_e32 v6, 0
	v_mov_b32_e32 v2, 0
	;; [unrolled: 1-line block ×5, first 2 shown]
	s_and_saveexec_b64 s[0:1], vcc
	s_cbranch_execz .LBB468_21
; %bb.20:
	v_mad_i64_i32 v[2:3], s[2:3], s15, v20, 0
	v_lshl_add_u64 v[2:3], v[2:3], 1, s[4:5]
	v_lshlrev_b32_e32 v4, 1, v18
	v_mov_b32_e32 v5, 0
	v_lshl_add_u64 v[2:3], v[2:3], 0, v[4:5]
	global_load_dwordx4 v[2:5], v[2:3], off
.LBB468_21:
	s_or_b64 exec, exec, s[0:1]
	v_or_b32_e32 v21, 1, v20
	v_cmp_gt_i32_e64 s[0:1], s27, v21
	v_mov_b32_e32 v7, 0
	v_mov_b32_e32 v8, 0
	;; [unrolled: 1-line block ×3, first 2 shown]
	s_and_saveexec_b64 s[2:3], s[0:1]
	s_cbranch_execz .LBB468_23
; %bb.22:
	v_mad_i64_i32 v[6:7], s[16:17], s15, v21, 0
	v_lshl_add_u64 v[6:7], v[6:7], 1, s[4:5]
	v_lshlrev_b32_e32 v8, 1, v18
	v_mov_b32_e32 v9, 0
	v_lshl_add_u64 v[6:7], v[6:7], 0, v[8:9]
	global_load_dwordx4 v[6:9], v[6:7], off
.LBB468_23:
	s_or_b64 exec, exec, s[2:3]
	v_mov_b32_e32 v17, 0
	v_mov_b32_e32 v10, 0
	;; [unrolled: 1-line block ×5, first 2 shown]
	s_and_saveexec_b64 s[2:3], vcc
	s_cbranch_execz .LBB468_25
; %bb.24:
	v_mad_i64_i32 v[10:11], s[16:17], s15, v20, 0
	v_lshl_add_u64 v[10:11], v[10:11], 1, s[4:5]
	v_lshlrev_b32_e32 v12, 1, v18
	v_mov_b32_e32 v13, 0
	v_lshl_add_u64 v[10:11], v[10:11], 0, v[12:13]
	global_load_dwordx4 v[10:13], v[10:11], off offset:128
.LBB468_25:
	s_or_b64 exec, exec, s[2:3]
	v_mov_b32_e32 v16, 0
	v_mov_b32_e32 v15, 0
	;; [unrolled: 1-line block ×3, first 2 shown]
	s_and_saveexec_b64 s[2:3], s[0:1]
	s_cbranch_execz .LBB468_27
; %bb.26:
	v_mad_i64_i32 v[14:15], s[0:1], s15, v21, 0
	v_lshl_add_u64 v[14:15], v[14:15], 1, s[4:5]
	v_lshlrev_b32_e32 v16, 1, v18
	v_mov_b32_e32 v17, 0
	v_lshl_add_u64 v[14:15], v[14:15], 0, v[16:17]
	global_load_dwordx4 v[14:17], v[14:15], off offset:128
.LBB468_27:
	s_or_b64 exec, exec, s[2:3]
	s_branch .LBB468_46
.LBB468_28:
                                        ; implicit-def: $vgpr5
                                        ; implicit-def: $vgpr9
                                        ; implicit-def: $vgpr13
                                        ; implicit-def: $vgpr17
	v_lshrrev_b32_e32 v30, 2, v61
	s_branch .LBB468_47
.LBB468_29:
                                        ; implicit-def: $vgpr20
                                        ; implicit-def: $vgpr21
                                        ; implicit-def: $sgpr22
	s_load_dwordx2 s[16:17], s[0:1], 0x20
	v_lshl_or_b32 v18, v77, 9, v18
.LBB468_30:
	v_or_b32_e32 v20, 0x100, v18
	s_movk_i32 s22, 0x4000
	v_mov_b32_e32 v21, v18
.LBB468_31:
	s_mul_i32 s0, s30, s14
	s_ashr_i32 s56, s51, 31
	s_mul_hi_i32 s1, s30, s14
	s_add_u32 s0, s0, s51
	s_addc_u32 s1, s1, s56
	s_lshl_b64 s[0:1], s[0:1], 8
	s_add_u32 s20, s4, s0
	s_addc_u32 s0, s5, s1
	s_and_b32 s21, s0, 0xffff
	s_movk_i32 s57, 0x80
	buffer_load_dwordx4 v[22:25], v21, s[20:23], 0 offen
	buffer_load_dwordx4 v[26:29], v21, s[20:23], s57 offen
	;; [unrolled: 1-line block ×4, first 2 shown]
	v_and_b32_e32 v20, 6, v0
	v_lshlrev_b32_e32 v39, 6, v75
	v_or_b32_e32 v41, 16, v72
	v_xor_b32_e32 v42, v77, v20
	v_and_b32_e32 v21, 1, v0
	v_lshl_or_b32 v45, v72, 3, v39
	v_lshl_or_b32 v39, v41, 3, v39
	v_lshlrev_b32_e32 v42, 2, v42
	v_lshlrev_b32_e32 v38, 2, v72
	v_or_b32_e32 v85, 0xa000, v39
	v_or_b32_e32 v86, 0xb000, v39
	v_xor_b32_e32 v39, 0x440, v42
	v_cmp_eq_u32_e32 vcc, 0, v21
	s_add_i32 s0, s43, s33
	v_xor_b32_e32 v43, v75, v38
	v_xor_b32_e32 v44, v76, v38
	v_cndmask_b32_e32 v21, v39, v42, vcc
	s_add_i32 s1, s45, s42
	s_add_i32 s35, s0, s44
	s_mov_b32 s58, 0x1000504
	v_lshlrev_b32_e32 v40, 8, v72
	v_lshlrev_b32_e32 v41, 8, v41
	;; [unrolled: 1-line block ×4, first 2 shown]
	v_lshl_or_b32 v20, v20, 10, v21
	s_add_i32 s37, s1, s46
	s_lshl_b64 s[0:1], s[34:35], 2
	s_mov_b32 s59, 0x3020706
	v_or_b32_e32 v83, 0xa000, v45
	v_or_b32_e32 v84, 0xb000, v45
	v_or_b32_e32 v87, v40, v43
	v_or_b32_e32 v88, v40, v44
	v_or_b32_e32 v90, v41, v44
	v_xor_b32_e32 v21, 8, v20
	v_xor_b32_e32 v40, 24, v20
	;; [unrolled: 1-line block ×4, first 2 shown]
	s_add_u32 s20, s10, s0
	v_or_b32_e32 v89, v41, v43
	v_xor_b32_e32 v39, 16, v20
	v_xor_b32_e32 v41, 32, v20
	v_xor_b32_e32 v43, 48, v20
	v_add_u32_e32 v21, 0x80, v21
	v_add_u32_e32 v40, 0x80, v40
	;; [unrolled: 1-line block ×4, first 2 shown]
	s_addc_u32 s21, s11, s1
	s_lshl_b64 s[0:1], s[36:37], 2
	s_add_u32 s40, s20, s0
	s_movk_i32 s0, 0xf8
	s_addc_u32 s41, s21, s1
	s_ashr_i32 s39, s38, 31
	s_lshl_b32 s26, s15, 7
	s_movk_i32 s20, 0x100
	v_mov_b32_e32 v65, 0
	v_lshlrev_b32_e32 v64, 4, v72
	v_cmp_gt_u32_e32 vcc, s20, v0
	v_ashrrev_i32_e32 v63, 31, v62
	s_mov_b32 s60, 0
	s_movk_i32 s35, 0x1000
	s_movk_i32 s22, 0x4000
	v_lshl_add_u64 v[66:67], v[62:63], 1, s[8:9]
	s_mov_b32 s37, 0x7060302
	v_mov_b32_e32 v113, 0x3fb8aa3b
	s_waitcnt vmcnt(1)
	v_perm_b32 v45, v22, v30, s58
	s_waitcnt vmcnt(0)
	v_perm_b32 v46, v26, v34, s58
	v_perm_b32 v22, v22, v30, s59
	v_perm_b32 v26, v26, v34, s59
	v_perm_b32 v30, v23, v31, s58
	v_perm_b32 v34, v27, v35, s58
	v_perm_b32 v23, v23, v31, s59
	v_perm_b32 v27, v27, v35, s59
	v_perm_b32 v31, v24, v32, s58
	v_perm_b32 v35, v28, v36, s58
	v_perm_b32 v24, v24, v32, s59
	v_perm_b32 v28, v28, v36, s59
	v_perm_b32 v32, v25, v33, s58
	v_perm_b32 v36, v29, v37, s58
	v_perm_b32 v25, v25, v33, s59
	v_perm_b32 v29, v29, v37, s59
	ds_write2st64_b32 v20, v45, v46 offset0:32 offset1:64
	ds_write2st64_b32 v21, v22, v26 offset0:32 offset1:64
	;; [unrolled: 1-line block ×8, first 2 shown]
	v_or_b32_e32 v20, v1, v72
	v_lshlrev_b32_e32 v20, 3, v20
	v_lshrrev_b32_e32 v23, 5, v61
	v_and_or_b32 v23, v20, s0, v23
	v_lshlrev_b32_e32 v23, 4, v23
	v_lshlrev_b32_e32 v25, 11, v70
	v_and_b32_e32 v20, 0x78, v20
	v_or_b32_e32 v28, 32, v23
	v_and_b32_e32 v22, 0x1000, v25
	v_lshrrev_b32_e32 v26, 1, v61
	v_xor_b32_e32 v28, v28, v20
	v_xor_b32_e32 v24, v23, v20
	v_and_b32_e32 v26, 8, v26
	v_or_b32_e32 v28, v28, v22
	v_or_b32_e32 v24, v24, v22
	v_lshlrev_b32_e32 v27, 7, v71
	v_xor_b32_e32 v93, v28, v26
	v_or_b32_e32 v28, 64, v23
	v_or_b32_e32 v23, 0x60, v23
	v_xor_b32_e32 v91, v24, v26
	v_or_b32_e32 v24, v27, v38
	v_xor_b32_e32 v28, v28, v20
	v_xor_b32_e32 v20, v23, v20
	s_lshl_b64 s[0:1], s[38:39], 8
	v_lshlrev_b32_e32 v24, 1, v24
	v_or_b32_e32 v28, v28, v22
	v_or_b32_e32 v20, v20, v22
	s_add_u32 s0, s18, s0
	v_lshlrev_b32_e32 v22, 1, v72
	v_or_b32_e32 v92, 0xa000, v24
	v_or_b32_e32 v94, 0xa080, v24
	;; [unrolled: 1-line block ×4, first 2 shown]
	v_lshrrev_b32_e32 v24, 4, v0
	s_addc_u32 s1, s19, s1
	v_or_b32_e32 v23, 1, v22
	v_mov_b32_e32 v33, 0x4000
	v_mov_b32_e32 v34, 0x2000
	v_lshrrev_b32_e32 v35, 1, v0
	v_xor_b32_e32 v95, v28, v26
	v_xor_b32_e32 v96, v20, v26
	;; [unrolled: 1-line block ×4, first 2 shown]
	v_lshl_add_u64 v[22:23], s[0:1], 0, v[64:65]
	v_lshlrev_b32_e32 v64, 8, v24
	v_cndmask_b32_e32 v33, v33, v34, vcc
	v_lshlrev_b32_e32 v34, 3, v70
	v_and_b32_e32 v35, 24, v35
	v_lshl_or_b32 v99, v26, 3, v64
	v_and_b32_e32 v26, 8, v0
	v_xor_b32_e32 v36, v34, v35
	v_or_b32_e32 v37, 0x440, v36
	v_cmp_eq_u32_e32 vcc, 0, v26
	v_and_b32_e32 v24, 7, v0
	v_lshl_or_b32 v100, v30, 3, v64
	v_cndmask_b32_e32 v26, v37, v36, vcc
	v_lshlrev_b32_e32 v30, 3, v24
	v_lshlrev_b32_e32 v32, 2, v0
	v_or_b32_e32 v26, v26, v25
	v_xor_b32_e32 v36, v26, v30
	v_and_or_b32 v26, v32, 60, v27
	v_mov_b32_e32 v27, 0xb000
	v_lshl_or_b32 v101, v26, 1, v27
	v_or_b32_e32 v26, 32, v35
	v_xor_b32_e32 v26, v34, v26
	v_or_b32_e32 v27, 0x440, v26
	v_cndmask_b32_e32 v26, v27, v26, vcc
	v_or_b32_e32 v26, v26, v25
	v_xor_b32_e32 v27, v26, v30
	v_or_b32_e32 v26, 64, v35
	v_xor_b32_e32 v26, v34, v26
	v_xor_b32_e32 v38, 0x440, v26
	v_cndmask_b32_e32 v26, v38, v26, vcc
	v_or_b32_e32 v26, v26, v25
	v_xor_b32_e32 v38, v26, v30
	v_or_b32_e32 v26, 0x60, v35
	v_xor_b32_e32 v26, v34, v26
	v_xor_b32_e32 v34, 0x440, v26
	v_cndmask_b32_e32 v26, v34, v26, vcc
	v_lshrrev_b32_e32 v21, 2, v61
	v_or_b32_e32 v25, v26, v25
	v_and_b32_e32 v21, 12, v21
	v_xor_b32_e32 v25, v25, v30
	v_lshlrev_b32_e32 v20, 7, v75
	v_lshlrev_b32_e32 v28, 1, v19
	v_add_lshl_u32 v19, v19, s15, 1
	v_or_b32_e32 v29, 0x100, v18
	v_lshlrev_b32_e32 v31, 7, v24
	v_or_b32_e32 v24, v21, v1
	v_add_u32_e32 v37, v33, v36
	v_add_u32_e32 v32, v33, v27
	;; [unrolled: 1-line block ×4, first 2 shown]
	v_or3_b32 v26, v1, v21, 64
	v_add_u32_e32 v21, 0x4000, v36
	v_add_u32_e32 v27, 0x4000, v27
	;; [unrolled: 1-line block ×4, first 2 shown]
	v_cndmask_b32_e64 v102, v28, v18, s[2:3]
	v_cndmask_b32_e64 v103, v19, v29, s[2:3]
	v_lshl_add_u64 v[68:69], v[22:23], 0, v[64:65]
	v_lshlrev_b32_e32 v64, 1, v20
	v_lshlrev_b32_e32 v63, 2, v24
	v_add_u32_e32 v104, v37, v31
	v_add_u32_e32 v105, v32, v31
	;; [unrolled: 1-line block ×4, first 2 shown]
	v_lshlrev_b32_e32 v108, 2, v26
	v_add_u32_e32 v109, v21, v31
	v_add_u32_e32 v110, v27, v31
	;; [unrolled: 1-line block ×4, first 2 shown]
	s_waitcnt lgkmcnt(0)
	s_barrier
.LBB468_32:                             ; =>This Inner Loop Header: Depth=1
	s_add_i32 s39, s60, 1
	s_cmp_lt_i32 s39, s48
	s_mov_b64 s[24:25], 0
	s_cselect_b64 s[2:3], -1, 0
	s_cmp_ge_i32 s39, s48
	s_mov_b64 s[20:21], 0
	s_cbranch_scc1 .LBB468_34
; %bb.33:                               ;   in Loop: Header=BB468_32 Depth=1
	s_add_i32 s0, s55, 64
	s_ashr_i32 s1, s0, 31
	s_add_u32 s0, s54, s0
	s_addc_u32 s1, s53, s1
	s_lshl_b64 s[0:1], s[0:1], 8
	s_add_u32 s20, s6, s0
	s_addc_u32 s21, s7, s1
.LBB468_34:                             ;   in Loop: Header=BB468_32 Depth=1
	v_cndmask_b32_e64 v18, 0, 1, s[2:3]
	v_cmp_ne_u32_e64 s[0:1], 1, v18
	s_andn2_b64 vcc, exec, s[2:3]
	s_cbranch_vccnz .LBB468_36
; %bb.35:                               ;   in Loop: Header=BB468_32 Depth=1
	s_add_i32 s2, s55, 64
	s_mul_hi_i32 s3, s2, s14
	s_mul_i32 s2, s2, s14
	s_add_u32 s2, s2, s51
	s_addc_u32 s3, s3, s56
	s_lshl_b64 s[2:3], s[2:3], 8
	s_add_u32 s24, s4, s2
	s_addc_u32 s25, s5, s3
.LBB468_36:                             ;   in Loop: Header=BB468_32 Depth=1
	v_perm_b32 v19, v17, v16, s37
	v_perm_b32 v18, v15, v14, s37
	;; [unrolled: 1-line block ×4, first 2 shown]
	ds_write_b64 v83, v[18:19]
	ds_write_b64 v84, v[20:21]
	;; [unrolled: 1-line block ×4, first 2 shown]
	v_perm_b32 v19, v9, v8, s37
	v_perm_b32 v18, v7, v6, s37
	;; [unrolled: 1-line block ×4, first 2 shown]
	ds_write_b64 v85, v[18:19]
	ds_write_b64 v86, v[20:21]
	;; [unrolled: 1-line block ×4, first 2 shown]
	s_waitcnt lgkmcnt(0)
	s_barrier
	ds_read_b64 v[22:23], v91 offset:24576
	ds_read2_b64 v[18:21], v92 offset1:16
	ds_read_b64 v[26:27], v94 offset:3072
	ds_read_b64 v[28:29], v92 offset:3072
	;; [unrolled: 1-line block ×3, first 2 shown]
	s_waitcnt lgkmcnt(3)
	v_mfma_f32_16x16x16_bf16 a[0:3], v[22:23], v[18:19], 0
	s_add_i32 s61, s55, 63
	s_ashr_i32 s2, s61, 31
	s_mul_i32 s3, s61, s29
	v_mfma_f32_16x16x16_bf16 a[4:7], v[22:23], v[20:21], 0
	ds_read2st64_b64 v[18:21], v92 offset0:2 offset1:4
	s_mul_hi_u32 s27, s61, s28
	s_add_i32 s3, s27, s3
	s_waitcnt lgkmcnt(0)
	v_mfma_f32_16x16x16_bf16 a[0:3], v[30:31], v[18:19], a[0:3]
	ds_read2st64_b64 v[22:25], v94 offset0:2 offset1:4
	ds_read_b64 v[18:19], v95 offset:24576
	s_mul_i32 s2, s2, s28
	s_add_i32 s3, s3, s2
	s_waitcnt lgkmcnt(1)
	v_mfma_f32_16x16x16_bf16 a[4:7], v[30:31], v[22:23], a[4:7]
	ds_read_b64 v[22:23], v96 offset:24576
	s_mul_i32 s2, s61, s28
	s_lshl_b64 s[2:3], s[2:3], 2
	s_waitcnt lgkmcnt(1)
	v_mfma_f32_16x16x16_bf16 a[0:3], v[18:19], v[20:21], a[0:3]
	s_add_u32 s2, s40, s2
	s_addc_u32 s3, s41, s3
	s_and_b64 vcc, exec, s[0:1]
	v_mfma_f32_16x16x16_bf16 a[4:7], v[18:19], v[24:25], a[4:7]
	v_mov_b32_e32 v116, 0
	v_mov_b32_e32 v115, 0
	;; [unrolled: 1-line block ×3, first 2 shown]
	s_waitcnt lgkmcnt(0)
	v_mfma_f32_16x16x16_bf16 a[0:3], v[22:23], v[28:29], a[0:3]
	v_mov_b32_e32 v18, 0
	v_mov_b32_e32 v19, 0
	;; [unrolled: 1-line block ×3, first 2 shown]
	v_mfma_f32_16x16x16_bf16 a[4:7], v[22:23], v[26:27], a[4:7]
	v_mov_b32_e32 v21, 0
	v_mov_b32_e32 v22, 0
	;; [unrolled: 1-line block ×13, first 2 shown]
	s_cbranch_vccnz .LBB468_38
; %bb.37:                               ;   in Loop: Header=BB468_32 Depth=1
	s_and_b32 s21, s21, 0xffff
	buffer_load_dwordx4 v[30:33], v79, s[20:23], 0 offen
	buffer_load_dwordx4 v[26:29], v79, s[20:23], s57 offen
	;; [unrolled: 1-line block ×4, first 2 shown]
	v_mov_b32_e32 v115, v81
	v_mov_b32_e32 v114, v82
.LBB468_38:                             ;   in Loop: Header=BB468_32 Depth=1
	ds_read_b64 v[38:39], v91 offset:32768
	ds_read2_b64 v[34:37], v97 offset1:16
	ds_read_b64 v[42:43], v93 offset:32768
	ds_read_b64 v[44:45], v95 offset:32768
	;; [unrolled: 1-line block ×3, first 2 shown]
	v_add_u32_e32 v48, s55, v75
	s_waitcnt lgkmcnt(3)
	v_mfma_f32_16x16x16_bf16 a[0:3], v[38:39], v[34:35], a[0:3]
	v_mul_lo_u32 v49, v48, s29
	v_mov_b32_e32 v117, 0
	v_mfma_f32_16x16x16_bf16 a[4:7], v[38:39], v[36:37], a[4:7]
	ds_read2st64_b64 v[34:37], v97 offset0:2 offset1:4
	ds_read2st64_b64 v[38:41], v98 offset0:2 offset1:4
	s_waitcnt lgkmcnt(1)
	v_mfma_f32_16x16x16_bf16 a[0:3], v[42:43], v[34:35], a[0:3]
	v_ashrrev_i32_e32 v34, 31, v48
	v_mul_lo_u32 v50, v34, s28
	v_mad_u64_u32 v[34:35], s[20:21], v48, s28, 0
	v_mfma_f32_16x16x16_bf16 a[0:3], v[44:45], v[36:37], a[0:3]
	v_add_u32_e32 v36, 1, v48
	v_ashrrev_i32_e32 v37, 31, v36
	v_add3_u32 v35, v35, v49, v50
	s_waitcnt lgkmcnt(0)
	v_mfma_f32_16x16x16_bf16 a[4:7], v[42:43], v[38:39], a[4:7]
	v_mul_lo_u32 v38, v37, s28
	v_mul_lo_u32 v39, v36, s29
	v_mad_u64_u32 v[36:37], s[20:21], v36, s28, 0
	v_add3_u32 v37, v37, v39, v38
	v_add_u32_e32 v38, 2, v48
	v_ashrrev_i32_e32 v39, 31, v38
	v_mul_lo_u32 v42, v39, s28
	v_mul_lo_u32 v43, v38, s29
	v_mad_u64_u32 v[38:39], s[20:21], v38, s28, 0
	v_add3_u32 v39, v39, v43, v42
	v_add_u32_e32 v42, 3, v48
	v_ashrrev_i32_e32 v43, 31, v42
	v_mul_lo_u32 v48, v43, s28
	v_mul_lo_u32 v49, v42, s29
	v_mad_u64_u32 v[42:43], s[20:21], v42, s28, 0
	v_add3_u32 v43, v43, v49, v48
	s_ashr_i32 s21, s55, 31
	v_lshl_add_u64 v[34:35], v[34:35], 2, s[40:41]
	v_lshl_add_u64 v[42:43], v[42:43], 2, s[40:41]
	s_add_u32 s20, s54, s55
	v_lshl_add_u64 v[36:37], v[36:37], 2, s[40:41]
	v_lshl_add_u64 v[38:39], v[38:39], 2, s[40:41]
	global_load_dword v48, v[34:35], off
	global_load_dword v49, v[36:37], off
	;; [unrolled: 1-line block ×3, first 2 shown]
	s_nop 0
	global_load_dword v42, v[42:43], off
	s_addc_u32 s21, s53, s21
	s_lshl_b64 s[20:21], s[20:21], 8
	v_lshl_add_u64 v[34:35], v[66:67], 0, s[20:21]
	v_lshl_add_u64 v[34:35], v[34:35], 0, v[64:65]
	global_load_ushort v43, v[34:35], off offset:256
	global_load_ushort v51, v[34:35], off
	global_load_ushort v52, v[34:35], off offset:768
	global_load_ushort v53, v[34:35], off offset:512
	ds_read_b64 v[36:37], v97 offset:3072
	ds_read_b64 v[38:39], v98 offset:3072
	global_load_ushort v54, v[34:35], off offset:800
	global_load_ushort v55, v[34:35], off offset:544
	global_load_ushort v56, v[34:35], off offset:288
	global_load_ushort v57, v[34:35], off offset:32
	s_load_dword s2, s[2:3], 0x0
	v_mfma_f32_16x16x16_bf16 a[4:7], v[44:45], v[40:41], a[4:7]
	s_and_b64 vcc, exec, s[0:1]
	s_waitcnt vmcnt(11) lgkmcnt(0)
	v_sub_f32_e32 v40, s2, v48
	v_mfma_f32_16x16x16_bf16 a[0:3], v[46:47], v[36:37], a[0:3]
	s_waitcnt vmcnt(10)
	v_sub_f32_e32 v45, s2, v49
	v_mul_f32_e32 v44, 0x3fb8aa3b, v40
	v_mul_f32_e32 v45, 0x3fb8aa3b, v45
	v_mfma_f32_16x16x16_bf16 a[4:7], v[46:47], v[38:39], a[4:7]
	s_waitcnt vmcnt(9)
	v_sub_f32_e32 v46, s2, v50
	s_waitcnt vmcnt(8)
	v_sub_f32_e32 v47, s2, v42
	v_mul_f32_e32 v46, 0x3fb8aa3b, v46
	v_mul_f32_e32 v47, 0x3fb8aa3b, v47
	v_exp_f32_e32 v44, v44
	v_exp_f32_e32 v45, v45
	;; [unrolled: 1-line block ×4, first 2 shown]
	v_accvgpr_read_b32 v39, a1
	v_accvgpr_read_b32 v35, a3
	;; [unrolled: 1-line block ×4, first 2 shown]
	s_waitcnt vmcnt(7)
	v_lshlrev_b32_e32 v41, 16, v43
	s_waitcnt vmcnt(6)
	v_lshlrev_b32_e32 v40, 16, v51
	;; [unrolled: 2-line block ×4, first 2 shown]
	v_pk_add_f32 v[38:39], v[40:41], v[38:39] neg_lo:[0,1] neg_hi:[0,1]
	v_pk_add_f32 v[34:35], v[42:43], v[34:35] neg_lo:[0,1] neg_hi:[0,1]
	v_pk_mul_f32 v[38:39], v[44:45], v[38:39]
	v_pk_mul_f32 v[34:35], v[46:47], v[34:35]
	v_accvgpr_read_b32 v41, a5
	v_perm_b32 v35, v35, v34, s37
	v_perm_b32 v34, v39, v38, s37
	s_waitcnt vmcnt(1)
	v_lshlrev_b32_e32 v39, 16, v56
	s_waitcnt vmcnt(0)
	v_lshlrev_b32_e32 v38, 16, v57
	v_accvgpr_read_b32 v40, a4
	v_accvgpr_read_b32 v37, a7
	;; [unrolled: 1-line block ×3, first 2 shown]
	v_pk_add_f32 v[38:39], v[38:39], v[40:41] neg_lo:[0,1] neg_hi:[0,1]
	v_lshlrev_b32_e32 v41, 16, v54
	v_lshlrev_b32_e32 v40, 16, v55
	v_pk_add_f32 v[36:37], v[40:41], v[36:37] neg_lo:[0,1] neg_hi:[0,1]
	v_pk_mul_f32 v[38:39], v[44:45], v[38:39]
	v_pk_mul_f32 v[36:37], v[46:47], v[36:37]
	v_mov_b32_e32 v40, 0
	v_perm_b32 v37, v37, v36, s37
	v_perm_b32 v36, v39, v38, s37
	ds_write2_b64 v84, v[34:35], v[36:37] offset1:16
	v_mov_b32_e32 v34, 0
	v_mov_b32_e32 v35, 0
	;; [unrolled: 1-line block ×15, first 2 shown]
	s_cbranch_vccnz .LBB468_40
; %bb.39:                               ;   in Loop: Header=BB468_32 Depth=1
	s_and_b32 s25, s25, 0xffff
	s_mov_b32 s27, s23
	buffer_load_dwordx4 v[46:49], v102, s[24:27], 0 offen
	buffer_load_dwordx4 v[38:41], v102, s[24:27], s57 offen
	;; [unrolled: 1-line block ×4, first 2 shown]
	v_mov_b32_e32 v116, v78
	v_mov_b32_e32 v117, v77
.LBB468_40:                             ;   in Loop: Header=BB468_32 Depth=1
	s_waitcnt lgkmcnt(0)
	s_barrier
	ds_read_b64 v[54:55], v104
	ds_read_b64 v[122:123], v101
	;; [unrolled: 1-line block ×5, first 2 shown]
	ds_read_b64 v[136:137], v98 offset:3072
	ds_read2_b64 v[50:53], v97 offset0:16 offset1:128
	s_waitcnt lgkmcnt(5)
	v_mfma_f32_16x16x16_bf16 a[0:3], v[54:55], v[122:123], 0
	ds_read2st64_b64 v[56:59], v98 offset0:2 offset1:4
	s_add_i32 s3, s52, s60
	s_mul_hi_i32 s21, s3, s13
	s_waitcnt lgkmcnt(1)
	v_mfma_f32_16x16x16_bf16 a[4:7], v[54:55], v[50:51], 0
	ds_read_b64 v[54:55], v109
	s_mul_i32 s3, s3, s13
	s_add_u32 s20, s3, s47
	s_waitcnt lgkmcnt(1)
	v_mfma_f32_16x16x16_bf16 a[4:7], v[124:125], v[56:57], a[4:7]
	s_addc_u32 s21, s21, s49
	s_lshl_b64 s[20:21], s[20:21], 15
	s_mul_i32 s24, s61, s13
	s_mul_hi_i32 s3, s61, s13
	s_add_u32 s24, s24, s47
	v_mfma_f32_16x16x16_bf16 a[8:11], v[126:127], v[58:59], a[4:7]
	s_addc_u32 s25, s3, s49
	ds_read2st64_b64 v[118:121], v97 offset0:4 offset1:6
	s_lshl_b64 s[24:25], s[24:25], 9
	s_waitcnt lgkmcnt(1)
	v_mfma_f32_16x16x16_bf16 a[4:7], v[54:55], v[122:123], 0
	s_add_u32 s24, s16, s24
	s_addc_u32 s25, s17, s25
	v_mfma_f32_16x16x16_bf16 a[0:3], v[124:125], v[52:53], a[0:3]
	ds_read_b64 v[124:125], v110
	ds_read_b64 v[132:133], v111
	ds_read_b64 v[138:139], v112
	v_mfma_f32_16x16x16_bf16 a[12:15], v[54:55], v[50:51], 0
	s_waitcnt lgkmcnt(2)
	v_mfma_f32_16x16x16_bf16 a[4:7], v[124:125], v[52:53], a[4:7]
	global_load_dwordx4 v[50:53], v108, s[24:25]
	v_mfma_f32_16x16x16_bf16 a[12:15], v[124:125], v[56:57], a[12:15]
	global_load_dwordx4 v[54:57], v63, s[24:25]
	ds_read2st64_b64 v[122:125], v99 offset1:8
	s_waitcnt lgkmcnt(0)
	v_mov_b32_e32 v130, v122
	v_mfma_f32_16x16x16_bf16 a[0:3], v[126:127], v[118:119], a[0:3]
	ds_read2st64_b64 v[126:129], v100 offset1:8
	v_mov_b32_e32 v131, v123
	v_mfma_f32_16x16x16_bf16 a[16:19], v[132:133], v[118:119], a[4:7]
	v_lshl_add_u64 v[118:119], v[68:69], 0, s[20:21]
	v_mfma_f32_16x16x16_bf16 a[20:23], v[132:133], v[58:59], a[12:15]
	v_add_co_u32_e32 v58, vcc, s35, v118
	s_waitcnt lgkmcnt(0)
	v_mov_b32_e32 v132, v126
	v_mfma_f32_16x16x16_bf16 a[4:7], v[134:135], v[120:121], a[0:3]
	v_mov_b32_e32 v133, v127
	v_mov_b32_e32 v126, v124
	v_mov_b32_e32 v127, v125
	v_mfma_f32_16x16x16_bf16 a[8:11], v[134:135], v[136:137], a[8:11]
	v_addc_co_u32_e32 v59, vcc, 0, v119, vcc
	global_store_dwordx4 v[58:59], v[126:129], off
	v_mfma_f32_16x16x16_bf16 a[12:15], v[138:139], v[120:121], a[16:19]
	s_and_b64 vcc, exec, s[0:1]
	global_store_dwordx4 v[118:119], v[130:133], off
	s_waitcnt vmcnt(3)
	v_mov_b32_e32 v60, v53
	v_mfma_f32_16x16x16_bf16 a[0:3], v[138:139], v[136:137], a[20:23]
	v_mov_b32_e32 v59, v52
	v_mov_b32_e32 v58, v51
	s_cbranch_vccnz .LBB468_42
; %bb.41:                               ;   in Loop: Header=BB468_32 Depth=1
	v_lshrrev_b32_e32 v51, 3, v116
	v_and_b32_e32 v51, 6, v51
	v_xor_b32_e32 v52, v51, v117
	v_lshlrev_b32_e32 v52, 2, v52
	v_and_b32_e32 v53, 8, v116
	v_xor_b32_e32 v116, 0x440, v52
	v_cmp_eq_u32_e32 vcc, 0, v53
	v_perm_b32 v53, v38, v34, s58
	s_nop 0
	v_cndmask_b32_e32 v52, v116, v52, vcc
	v_lshl_or_b32 v51, v51, 10, v52
	v_perm_b32 v52, v46, v42, s58
	s_barrier
	ds_write2st64_b32 v51, v52, v53 offset0:32 offset1:64
	v_xor_b32_e32 v52, 8, v51
	v_perm_b32 v42, v46, v42, s59
	v_perm_b32 v34, v38, v34, s59
	v_add_u32_e32 v38, 0x80, v52
	ds_write2st64_b32 v38, v42, v34 offset0:32 offset1:64
	v_xor_b32_e32 v34, 16, v51
	v_perm_b32 v38, v47, v43, s58
	v_perm_b32 v42, v39, v35, s58
	ds_write2st64_b32 v34, v38, v42 offset0:33 offset1:65
	v_xor_b32_e32 v34, 24, v51
	v_perm_b32 v38, v47, v43, s59
	v_perm_b32 v35, v39, v35, s59
	v_add_u32_e32 v34, 0x80, v34
	ds_write2st64_b32 v34, v38, v35 offset0:33 offset1:65
	v_xor_b32_e32 v34, 32, v51
	v_perm_b32 v35, v48, v44, s58
	v_perm_b32 v38, v40, v36, s58
	;; [unrolled: 9-line block ×3, first 2 shown]
	ds_write2st64_b32 v34, v35, v36 offset0:35 offset1:67
	v_xor_b32_e32 v34, 56, v51
	v_perm_b32 v35, v49, v45, s59
	v_perm_b32 v36, v41, v37, s59
	v_add_u32_e32 v34, 0x80, v34
	ds_write2st64_b32 v34, v35, v36 offset0:35 offset1:67
	ds_write_b64 v115, v[30:31] offset:24576
	v_xor_b32_e32 v30, 8, v115
	ds_write_b64 v30, v[32:33] offset:24576
	ds_write_b64 v115, v[26:27] offset:32768
	;; [unrolled: 1-line block ×4, first 2 shown]
	v_xor_b32_e32 v22, 8, v114
	ds_write_b64 v22, v[24:25] offset:24576
	ds_write_b64 v114, v[18:19] offset:32768
	;; [unrolled: 1-line block ×3, first 2 shown]
.LBB468_42:                             ;   in Loop: Header=BB468_32 Depth=1
	v_mul_f32_e32 v22, s2, v113
	v_exp_f32_e32 v34, v22
	s_waitcnt vmcnt(2)
	v_mul_f32_e32 v22, 0x3fb8aa3b, v54
	v_exp_f32_e32 v36, v22
	v_mul_f32_e32 v22, 0x3fb8aa3b, v55
	v_exp_f32_e32 v37, v22
	;; [unrolled: 2-line block ×4, first 2 shown]
	v_accvgpr_read_b32 v29, a7
	v_accvgpr_read_b32 v27, a5
	;; [unrolled: 1-line block ×4, first 2 shown]
	v_pk_mul_f32 v[36:37], v[34:35], v[36:37] op_sel_hi:[0,1]
	v_accvgpr_read_b32 v20, a10
	v_pk_fma_f32 v[14:15], v[14:15], v[36:37], v[26:27]
	v_pk_mul_f32 v[26:27], v[34:35], v[38:39] op_sel_hi:[0,1]
	v_accvgpr_read_b32 v28, a6
	v_accvgpr_read_b32 v19, a9
	;; [unrolled: 1-line block ×3, first 2 shown]
	v_fma_f32 v8, v8, v26, v20
	v_mul_f32_e32 v20, 0x3fb8aa3b, v59
	v_pk_fma_f32 v[16:17], v[16:17], v[26:27], v[28:29]
	v_fma_f32 v6, v6, v36, v18
	v_fma_f32 v7, v7, v37, v19
	v_mul_f32_e32 v18, 0x3fb8aa3b, v50
	v_mul_f32_e32 v19, 0x3fb8aa3b, v58
	v_exp_f32_e32 v28, v20
	v_mul_f32_e32 v20, 0x3fb8aa3b, v60
	v_exp_f32_e32 v18, v18
	v_exp_f32_e32 v19, v19
	;; [unrolled: 1-line block ×3, first 2 shown]
	v_accvgpr_read_b32 v33, a15
	v_accvgpr_read_b32 v25, a3
	;; [unrolled: 1-line block ×8, first 2 shown]
	v_fmac_f32_e32 v21, v9, v27
	v_pk_mul_f32 v[18:19], v[34:35], v[18:19] op_sel_hi:[0,1]
	v_pk_mul_f32 v[26:27], v[34:35], v[28:29] op_sel_hi:[0,1]
	s_add_i32 s55, s55, 64
	v_pk_fma_f32 v[10:11], v[10:11], v[18:19], v[30:31]
	v_pk_fma_f32 v[12:13], v[12:13], v[26:27], v[32:33]
	v_fma_f32 v2, v2, v18, v22
	v_fma_f32 v3, v3, v19, v23
	;; [unrolled: 1-line block ×3, first 2 shown]
	s_cmp_eq_u32 s48, s39
	v_fmac_f32_e32 v25, v5, v27
	s_cbranch_scc1 .LBB468_4
; %bb.43:                               ;   in Loop: Header=BB468_32 Depth=1
	s_mov_b32 s60, s39
	v_mov_b32_e32 v9, v21
	v_mov_b32_e32 v5, v25
	s_branch .LBB468_32
.LBB468_44:
                                        ; implicit-def: $vgpr5
                                        ; implicit-def: $vgpr9
                                        ; implicit-def: $vgpr13
                                        ; implicit-def: $vgpr17
	s_cbranch_execz .LBB468_46
; %bb.45:
	s_waitcnt vmcnt(0)
	v_mad_u64_u32 v[2:3], s[0:1], v20, s15, v[18:19]
	v_lshlrev_b32_e32 v20, 1, v2
	s_lshl_b32 s2, s15, 7
	s_and_b32 s1, s5, 0xffff
	s_mov_b32 s3, 0x20000
	s_mov_b32 s0, s4
	v_add_lshl_u32 v21, v2, s15, 1
	s_movk_i32 s13, 0x80
	buffer_load_dwordx4 v[2:5], v20, s[0:3], 0 offen
	buffer_load_dwordx4 v[10:13], v20, s[0:3], s13 offen
	;; [unrolled: 1-line block ×4, first 2 shown]
.LBB468_46:
	v_lshrrev_b32_e32 v30, 2, v61
	s_cbranch_execnz .LBB468_59
.LBB468_47:
	s_and_b64 vcc, exec, s[6:7]
	s_cbranch_vccz .LBB468_57
; %bb.48:
	s_waitcnt vmcnt(0)
	v_lshlrev_b32_e32 v7, 1, v23
	v_cmp_gt_i32_e32 vcc, s27, v7
	v_mov_b32_e32 v6, 0
	v_lshlrev_b32_e32 v14, 9, v23
	v_mov_b32_e32 v2, 0
	v_mov_b32_e32 v3, 0
	;; [unrolled: 1-line block ×4, first 2 shown]
	s_and_saveexec_b64 s[0:1], vcc
	s_cbranch_execz .LBB468_50
; %bb.49:
	v_mov_b32_e32 v15, 0
	v_lshl_add_u64 v[2:3], s[4:5], 0, v[14:15]
	v_lshlrev_b32_e32 v4, 1, v18
	v_mov_b32_e32 v5, v15
	v_lshl_add_u64 v[2:3], v[2:3], 0, v[4:5]
	global_load_dwordx4 v[2:5], v[2:3], off
.LBB468_50:
	s_or_b64 exec, exec, s[0:1]
	v_or_b32_e32 v7, 1, v7
	v_cmp_gt_i32_e64 s[0:1], s27, v7
	v_lshlrev_b32_e32 v20, 8, v7
	v_mov_b32_e32 v7, 0
	v_mov_b32_e32 v8, 0
	;; [unrolled: 1-line block ×3, first 2 shown]
	s_and_saveexec_b64 s[2:3], s[0:1]
	s_cbranch_execz .LBB468_52
; %bb.51:
	v_mov_b32_e32 v21, 0
	v_lshl_add_u64 v[6:7], s[4:5], 0, v[20:21]
	v_lshlrev_b32_e32 v8, 1, v18
	v_mov_b32_e32 v9, v21
	v_lshl_add_u64 v[6:7], v[6:7], 0, v[8:9]
	global_load_dwordx4 v[6:9], v[6:7], off
.LBB468_52:
	s_or_b64 exec, exec, s[2:3]
	v_mov_b32_e32 v17, 0
	v_mov_b32_e32 v10, 0
	;; [unrolled: 1-line block ×5, first 2 shown]
	s_and_saveexec_b64 s[2:3], vcc
	s_cbranch_execz .LBB468_54
; %bb.53:
	v_mov_b32_e32 v15, 0
	v_lshl_add_u64 v[10:11], s[4:5], 0, v[14:15]
	v_lshlrev_b32_e32 v14, 1, v18
	v_lshl_add_u64 v[10:11], v[10:11], 0, v[14:15]
	global_load_dwordx4 v[10:13], v[10:11], off offset:128
.LBB468_54:
	s_or_b64 exec, exec, s[2:3]
	v_mov_b32_e32 v16, 0
	v_mov_b32_e32 v15, 0
	;; [unrolled: 1-line block ×3, first 2 shown]
	s_and_saveexec_b64 s[2:3], s[0:1]
	s_cbranch_execz .LBB468_56
; %bb.55:
	v_mov_b32_e32 v21, 0
	v_lshl_add_u64 v[14:15], s[4:5], 0, v[20:21]
	v_lshlrev_b32_e32 v20, 1, v18
	v_lshl_add_u64 v[14:15], v[14:15], 0, v[20:21]
	global_load_dwordx4 v[14:17], v[14:15], off offset:128
.LBB468_56:
	s_or_b64 exec, exec, s[2:3]
	s_branch .LBB468_59
.LBB468_57:
                                        ; implicit-def: $vgpr5
                                        ; implicit-def: $vgpr9
                                        ; implicit-def: $vgpr13
                                        ; implicit-def: $vgpr17
	s_cbranch_execz .LBB468_59
; %bb.58:
	s_waitcnt vmcnt(0)
	v_lshlrev_b32_e32 v2, 1, v18
	v_lshl_or_b32 v18, v23, 9, v2
	s_and_b32 s5, s5, 0xffff
	s_mov_b32 s7, 0x20000
	s_movk_i32 s6, 0x4000
	s_movk_i32 s0, 0x80
	buffer_load_dwordx4 v[2:5], v18, s[4:7], 0 offen
	buffer_load_dwordx4 v[6:9], v18, s[4:7], 0 offen offset:256
	buffer_load_dwordx4 v[10:13], v18, s[4:7], s0 offen
	buffer_load_dwordx4 v[14:17], v18, s[4:7], s0 offen offset:256
.LBB468_59:
	ds_read_b64 v[20:21], v25 offset:32768
	v_add_u32_e32 v18, 0xb000, v24
	ds_read2_b64 v[32:35], v18 offset1:16
	ds_read_b64 v[40:41], v26 offset:32768
	ds_read_b64 v[26:27], v27 offset:32768
	;; [unrolled: 1-line block ×3, first 2 shown]
	v_and_b32_e32 v18, 6, v0
	v_xor_b32_e32 v23, v23, v18
	v_lshlrev_b32_e32 v23, 2, v23
	v_and_b32_e32 v0, 1, v0
	v_xor_b32_e32 v28, 0x440, v23
	v_cmp_eq_u32_e32 vcc, 0, v0
	s_waitcnt lgkmcnt(3)
	v_mfma_f32_16x16x16_bf16 a[0:3], v[20:21], v[32:33], a[0:3]
	s_mov_b32 s0, 0x1000504
	v_cndmask_b32_e32 v0, v28, v23, vcc
	v_lshl_or_b32 v0, v18, 10, v0
	v_mfma_f32_16x16x16_bf16 a[4:7], v[20:21], v[34:35], a[4:7]
	ds_read2st64_b64 v[32:35], v24 offset0:90 offset1:92
	ds_read2st64_b64 v[36:39], v29 offset0:90 offset1:92
	ds_read_b64 v[20:21], v24 offset:48128
	ds_read_b64 v[24:25], v29 offset:48128
	s_waitcnt vmcnt(0)
	v_perm_b32 v18, v2, v6, s0
	s_waitcnt lgkmcnt(3)
	v_mfma_f32_16x16x16_bf16 a[0:3], v[40:41], v[32:33], a[0:3]
	s_mov_b32 s1, 0x3020706
	v_perm_b32 v2, v2, v6, s1
	v_perm_b32 v6, v10, v14, s1
	s_waitcnt lgkmcnt(2)
	v_mfma_f32_16x16x16_bf16 a[4:7], v[40:41], v[36:37], a[4:7]
	v_mfma_f32_16x16x16_bf16 a[0:3], v[26:27], v[34:35], a[0:3]
	;; [unrolled: 1-line block ×3, first 2 shown]
	s_waitcnt lgkmcnt(1)
	v_mfma_f32_16x16x16_bf16 a[4:7], v[42:43], v[20:21], a[0:3]
	v_perm_b32 v20, v10, v14, s0
	ds_write2st64_b32 v0, v18, v20 offset0:32 offset1:64
	v_xor_b32_e32 v18, 8, v0
	v_add_u32_e32 v10, 0x80, v18
	ds_write2st64_b32 v10, v2, v6 offset0:32 offset1:64
	v_xor_b32_e32 v2, 16, v0
	v_perm_b32 v6, v3, v7, s0
	v_perm_b32 v10, v11, v15, s0
	ds_write2st64_b32 v2, v6, v10 offset0:33 offset1:65
	v_xor_b32_e32 v2, 24, v0
	v_perm_b32 v3, v3, v7, s1
	v_perm_b32 v6, v11, v15, s1
	v_add_u32_e32 v2, 0x80, v2
	ds_write2st64_b32 v2, v3, v6 offset0:33 offset1:65
	v_xor_b32_e32 v2, 32, v0
	v_perm_b32 v3, v4, v8, s0
	v_perm_b32 v6, v12, v16, s0
	ds_write2st64_b32 v2, v3, v6 offset0:34 offset1:66
	v_xor_b32_e32 v2, 40, v0
	s_waitcnt lgkmcnt(5)
	v_mfma_f32_16x16x16_bf16 a[0:3], v[42:43], v[24:25], a[8:11]
	v_perm_b32 v3, v4, v8, s1
	v_perm_b32 v4, v12, v16, s1
	v_add_u32_e32 v2, 0x80, v2
	ds_write2st64_b32 v2, v3, v4 offset0:34 offset1:66
	v_xor_b32_e32 v2, 48, v0
	v_perm_b32 v3, v5, v9, s0
	v_perm_b32 v4, v13, v17, s0
	ds_write2st64_b32 v2, v3, v4 offset0:35 offset1:67
	v_xor_b32_e32 v0, 56, v0
	v_perm_b32 v3, v13, v17, s1
	v_and_or_b32 v17, v30, 12, v1
	v_perm_b32 v2, v5, v9, s1
	v_add_u32_e32 v0, 0x80, v0
	v_cmp_gt_i32_e32 vcc, s27, v17
	v_mov_b32_e32 v14, 0
	v_mov_b32_e32 v16, 0
	ds_write2st64_b32 v0, v2, v3 offset0:35 offset1:67
	s_and_saveexec_b64 s[0:1], vcc
	s_cbranch_execz .LBB468_61
; %bb.60:
	v_add_u32_e32 v0, s26, v17
	v_ashrrev_i32_e32 v1, 31, v0
	v_mul_lo_u32 v2, v1, s28
	v_mul_lo_u32 v3, v0, s29
	v_mad_u64_u32 v[0:1], s[2:3], v0, s28, 0
	v_add3_u32 v1, v1, v3, v2
	v_lshl_add_u64 v[0:1], v[0:1], 2, s[10:11]
	global_load_dword v0, v[0:1], off
	s_waitcnt vmcnt(0)
	v_sub_f32_e32 v0, s12, v0
	v_mul_f32_e32 v0, 0x3fb8aa3b, v0
	v_exp_f32_e32 v16, v0
.LBB468_61:
	s_or_b64 exec, exec, s[0:1]
	v_or_b32_e32 v8, 1, v17
	v_cmp_gt_i32_e64 s[0:1], s27, v8
	s_and_saveexec_b64 s[2:3], s[0:1]
	s_cbranch_execz .LBB468_63
; %bb.62:
	v_add_u32_e32 v0, s26, v8
	v_ashrrev_i32_e32 v1, 31, v0
	v_mul_lo_u32 v2, v1, s28
	v_mul_lo_u32 v3, v0, s29
	v_mad_u64_u32 v[0:1], s[4:5], v0, s28, 0
	v_add3_u32 v1, v1, v3, v2
	v_lshl_add_u64 v[0:1], v[0:1], 2, s[10:11]
	global_load_dword v0, v[0:1], off
	s_waitcnt vmcnt(0)
	v_sub_f32_e32 v0, s12, v0
	v_mul_f32_e32 v0, 0x3fb8aa3b, v0
	v_exp_f32_e32 v14, v0
.LBB468_63:
	s_or_b64 exec, exec, s[2:3]
	v_or_b32_e32 v10, 2, v17
	v_cmp_gt_i32_e64 s[2:3], s27, v10
	v_mov_b32_e32 v15, 0
	v_mov_b32_e32 v18, 0
	s_and_saveexec_b64 s[4:5], s[2:3]
	s_cbranch_execz .LBB468_65
; %bb.64:
	v_add_u32_e32 v0, s26, v10
	v_ashrrev_i32_e32 v1, 31, v0
	v_mul_lo_u32 v2, v1, s28
	v_mul_lo_u32 v3, v0, s29
	v_mad_u64_u32 v[0:1], s[6:7], v0, s28, 0
	v_add3_u32 v1, v1, v3, v2
	v_lshl_add_u64 v[0:1], v[0:1], 2, s[10:11]
	global_load_dword v0, v[0:1], off
	s_waitcnt vmcnt(0)
	v_sub_f32_e32 v0, s12, v0
	v_mul_f32_e32 v0, 0x3fb8aa3b, v0
	v_exp_f32_e32 v18, v0
.LBB468_65:
	s_or_b64 exec, exec, s[4:5]
	v_or_b32_e32 v12, 3, v17
	v_cmp_gt_i32_e64 s[4:5], s27, v12
	s_and_saveexec_b64 s[6:7], s[4:5]
	s_cbranch_execz .LBB468_67
; %bb.66:
	v_add_u32_e32 v0, s26, v12
	v_ashrrev_i32_e32 v1, 31, v0
	v_mul_lo_u32 v2, v1, s28
	v_mul_lo_u32 v3, v0, s29
	v_mad_u64_u32 v[0:1], s[14:15], v0, s28, 0
	v_add3_u32 v1, v1, v3, v2
	v_lshl_add_u64 v[0:1], v[0:1], 2, s[10:11]
	global_load_dword v0, v[0:1], off
	s_waitcnt vmcnt(0)
	v_sub_f32_e32 v0, s12, v0
	v_mul_f32_e32 v0, 0x3fb8aa3b, v0
	v_exp_f32_e32 v15, v0
.LBB468_67:
	s_or_b64 exec, exec, s[6:7]
	s_add_u32 s6, s8, s20
	v_accvgpr_read_b32 v0, a4
	s_addc_u32 s7, s9, s21
	v_ashrrev_i32_e32 v63, 31, v62
	v_accvgpr_read_b32 v1, a5
	v_accvgpr_read_b32 v2, a6
	;; [unrolled: 1-line block ×3, first 2 shown]
	v_lshl_add_u64 v[4:5], v[62:63], 1, s[6:7]
	v_mov_b32_e32 v9, 0
	v_lshlrev_b32_e32 v6, 8, v17
	v_mov_b32_e32 v7, 0
	s_and_saveexec_b64 s[6:7], vcc
	s_cbranch_execz .LBB468_69
; %bb.68:
	v_mov_b32_e32 v7, 0
	v_lshl_add_u64 v[20:21], v[4:5], 0, v[6:7]
	global_load_ushort v7, v[20:21], off
	s_waitcnt vmcnt(0)
	v_lshlrev_b32_e32 v7, 16, v7
	v_sub_f32_e32 v0, v7, v0
	v_mul_f32_e32 v0, v16, v0
	v_lshrrev_b32_e32 v7, 16, v0
.LBB468_69:
	s_or_b64 exec, exec, s[6:7]
	v_lshlrev_b32_e32 v8, 8, v8
	s_and_saveexec_b64 s[6:7], s[0:1]
	s_cbranch_execz .LBB468_71
; %bb.70:
	v_mov_b32_e32 v9, 0
	v_lshl_add_u64 v[20:21], v[4:5], 0, v[8:9]
	global_load_ushort v0, v[20:21], off
	s_waitcnt vmcnt(0)
	v_lshlrev_b32_e32 v0, 16, v0
	v_sub_f32_e32 v0, v0, v1
	v_mul_f32_e32 v0, v14, v0
	v_lshrrev_b32_e32 v9, 16, v0
.LBB468_71:
	s_or_b64 exec, exec, s[6:7]
	v_mov_b32_e32 v13, 0
	v_lshlrev_b32_e32 v10, 8, v10
	v_mov_b32_e32 v11, 0
	s_and_saveexec_b64 s[6:7], s[2:3]
	s_cbranch_execz .LBB468_73
; %bb.72:
	v_mov_b32_e32 v11, 0
	v_lshl_add_u64 v[0:1], v[4:5], 0, v[10:11]
	global_load_ushort v0, v[0:1], off
	s_waitcnt vmcnt(0)
	v_lshlrev_b32_e32 v0, 16, v0
	v_sub_f32_e32 v0, v0, v2
	v_mul_f32_e32 v0, v18, v0
	v_lshrrev_b32_e32 v11, 16, v0
.LBB468_73:
	s_or_b64 exec, exec, s[6:7]
	v_lshlrev_b32_e32 v12, 8, v12
	s_and_saveexec_b64 s[6:7], s[4:5]
	s_cbranch_execz .LBB468_75
; %bb.74:
	v_mov_b32_e32 v13, 0
	v_lshl_add_u64 v[0:1], v[4:5], 0, v[12:13]
	global_load_ushort v0, v[0:1], off
	s_waitcnt vmcnt(0)
	v_lshlrev_b32_e32 v0, 16, v0
	v_sub_f32_e32 v0, v0, v3
	v_mul_f32_e32 v0, v15, v0
	v_lshrrev_b32_e32 v13, 16, v0
.LBB468_75:
	s_or_b64 exec, exec, s[6:7]
	v_lshlrev_b32_e32 v17, 5, v17
	s_mov_b32 s6, 0x5040100
	v_perm_b32 v20, v9, v7, s6
	v_or_b32_e32 v7, v17, v22
	v_accvgpr_read_b32 v0, a0
	v_perm_b32 v21, v13, v11, s6
	v_lshlrev_b32_e32 v7, 1, v7
	v_accvgpr_read_b32 v1, a1
	v_accvgpr_read_b32 v2, a2
	;; [unrolled: 1-line block ×3, first 2 shown]
	ds_write_b64 v7, v[20:21] offset:45056
	v_mov_b32_e32 v9, 0
	v_mov_b32_e32 v7, 0
	s_and_saveexec_b64 s[6:7], vcc
	s_cbranch_execz .LBB468_77
; %bb.76:
	v_mov_b32_e32 v7, 0
	v_lshl_add_u64 v[6:7], v[4:5], 0, v[6:7]
	global_load_ushort v6, v[6:7], off offset:32
	s_waitcnt vmcnt(0)
	v_lshlrev_b32_e32 v6, 16, v6
	v_sub_f32_e32 v0, v6, v0
	v_mul_f32_e32 v0, v16, v0
	v_lshrrev_b32_e32 v7, 16, v0
.LBB468_77:
	s_or_b64 exec, exec, s[6:7]
	s_and_saveexec_b64 s[6:7], s[0:1]
	s_cbranch_execz .LBB468_79
; %bb.78:
	v_mov_b32_e32 v9, 0
	v_lshl_add_u64 v[8:9], v[4:5], 0, v[8:9]
	global_load_ushort v0, v[8:9], off offset:32
	s_waitcnt vmcnt(0)
	v_lshlrev_b32_e32 v0, 16, v0
	v_sub_f32_e32 v0, v0, v1
	v_mul_f32_e32 v0, v14, v0
	v_lshrrev_b32_e32 v9, 16, v0
.LBB468_79:
	s_or_b64 exec, exec, s[6:7]
	v_mov_b32_e32 v0, 0
	v_mov_b32_e32 v1, 0
	s_and_saveexec_b64 s[0:1], s[2:3]
	s_cbranch_execz .LBB468_81
; %bb.80:
	v_mov_b32_e32 v11, 0
	v_lshl_add_u64 v[10:11], v[4:5], 0, v[10:11]
	global_load_ushort v1, v[10:11], off offset:32
	s_waitcnt vmcnt(0)
	v_lshlrev_b32_e32 v1, 16, v1
	v_sub_f32_e32 v1, v1, v2
	v_mul_f32_e32 v1, v18, v1
	v_lshrrev_b32_e32 v1, 16, v1
.LBB468_81:
	s_or_b64 exec, exec, s[0:1]
	s_and_saveexec_b64 s[0:1], s[4:5]
	s_cbranch_execz .LBB468_83
; %bb.82:
	v_mov_b32_e32 v13, 0
	v_lshl_add_u64 v[4:5], v[4:5], 0, v[12:13]
	global_load_ushort v0, v[4:5], off offset:32
	s_waitcnt vmcnt(0)
	v_lshlrev_b32_e32 v0, 16, v0
	v_sub_f32_e32 v0, v0, v3
	v_mul_f32_e32 v0, v15, v0
	v_lshrrev_b32_e32 v0, 16, v0
.LBB468_83:
	s_or_b64 exec, exec, s[0:1]
	s_mov_b32 s0, 0x5040100
	v_or_b32_e32 v2, v17, v19
	v_perm_b32 v1, v0, v1, s0
	v_perm_b32 v0, v9, v7, s0
	v_lshlrev_b32_e32 v2, 1, v2
	ds_write_b64 v2, v[0:1] offset:45056
	s_waitcnt lgkmcnt(0)
	s_barrier
.LBB468_84:
	s_endpgm
	.section	.rodata,"a",@progbits
	.p2align	6, 0x0
	.amdhsa_kernel _ZN12_GLOBAL__N_139chunk_gated_delta_rule_fwd_h_hip_kernelILi32ELb1ELb0ELb0ELb1ELb0ELb1ELb0ELb0EEEvPK12hip_bfloat16S3_S3_PKfS5_PKvPS1_S8_PvPKiSB_iiiiilll
		.amdhsa_group_segment_fixed_size 49152
		.amdhsa_private_segment_fixed_size 0
		.amdhsa_kernarg_size 136
		.amdhsa_user_sgpr_count 2
		.amdhsa_user_sgpr_dispatch_ptr 0
		.amdhsa_user_sgpr_queue_ptr 0
		.amdhsa_user_sgpr_kernarg_segment_ptr 1
		.amdhsa_user_sgpr_dispatch_id 0
		.amdhsa_user_sgpr_kernarg_preload_length 0
		.amdhsa_user_sgpr_kernarg_preload_offset 0
		.amdhsa_user_sgpr_private_segment_size 0
		.amdhsa_uses_dynamic_stack 0
		.amdhsa_enable_private_segment 0
		.amdhsa_system_sgpr_workgroup_id_x 1
		.amdhsa_system_sgpr_workgroup_id_y 1
		.amdhsa_system_sgpr_workgroup_id_z 0
		.amdhsa_system_sgpr_workgroup_info 0
		.amdhsa_system_vgpr_workitem_id 0
		.amdhsa_next_free_vgpr 164
		.amdhsa_next_free_sgpr 62
		.amdhsa_accum_offset 140
		.amdhsa_reserve_vcc 1
		.amdhsa_float_round_mode_32 0
		.amdhsa_float_round_mode_16_64 0
		.amdhsa_float_denorm_mode_32 3
		.amdhsa_float_denorm_mode_16_64 3
		.amdhsa_dx10_clamp 1
		.amdhsa_ieee_mode 1
		.amdhsa_fp16_overflow 0
		.amdhsa_tg_split 0
		.amdhsa_exception_fp_ieee_invalid_op 0
		.amdhsa_exception_fp_denorm_src 0
		.amdhsa_exception_fp_ieee_div_zero 0
		.amdhsa_exception_fp_ieee_overflow 0
		.amdhsa_exception_fp_ieee_underflow 0
		.amdhsa_exception_fp_ieee_inexact 0
		.amdhsa_exception_int_div_zero 0
	.end_amdhsa_kernel
	.section	.text._ZN12_GLOBAL__N_139chunk_gated_delta_rule_fwd_h_hip_kernelILi32ELb1ELb0ELb0ELb1ELb0ELb1ELb0ELb0EEEvPK12hip_bfloat16S3_S3_PKfS5_PKvPS1_S8_PvPKiSB_iiiiilll,"axG",@progbits,_ZN12_GLOBAL__N_139chunk_gated_delta_rule_fwd_h_hip_kernelILi32ELb1ELb0ELb0ELb1ELb0ELb1ELb0ELb0EEEvPK12hip_bfloat16S3_S3_PKfS5_PKvPS1_S8_PvPKiSB_iiiiilll,comdat
.Lfunc_end468:
	.size	_ZN12_GLOBAL__N_139chunk_gated_delta_rule_fwd_h_hip_kernelILi32ELb1ELb0ELb0ELb1ELb0ELb1ELb0ELb0EEEvPK12hip_bfloat16S3_S3_PKfS5_PKvPS1_S8_PvPKiSB_iiiiilll, .Lfunc_end468-_ZN12_GLOBAL__N_139chunk_gated_delta_rule_fwd_h_hip_kernelILi32ELb1ELb0ELb0ELb1ELb0ELb1ELb0ELb0EEEvPK12hip_bfloat16S3_S3_PKfS5_PKvPS1_S8_PvPKiSB_iiiiilll
                                        ; -- End function
	.section	.AMDGPU.csdata,"",@progbits
; Kernel info:
; codeLenInByte = 8580
; NumSgprs: 68
; NumVgprs: 140
; NumAgprs: 24
; TotalNumVgprs: 164
; ScratchSize: 0
; MemoryBound: 0
; FloatMode: 240
; IeeeMode: 1
; LDSByteSize: 49152 bytes/workgroup (compile time only)
; SGPRBlocks: 8
; VGPRBlocks: 20
; NumSGPRsForWavesPerEU: 68
; NumVGPRsForWavesPerEU: 164
; AccumOffset: 140
; Occupancy: 1
; WaveLimiterHint : 1
; COMPUTE_PGM_RSRC2:SCRATCH_EN: 0
; COMPUTE_PGM_RSRC2:USER_SGPR: 2
; COMPUTE_PGM_RSRC2:TRAP_HANDLER: 0
; COMPUTE_PGM_RSRC2:TGID_X_EN: 1
; COMPUTE_PGM_RSRC2:TGID_Y_EN: 1
; COMPUTE_PGM_RSRC2:TGID_Z_EN: 0
; COMPUTE_PGM_RSRC2:TIDIG_COMP_CNT: 0
; COMPUTE_PGM_RSRC3_GFX90A:ACCUM_OFFSET: 34
; COMPUTE_PGM_RSRC3_GFX90A:TG_SPLIT: 0
	.section	.text._ZN12_GLOBAL__N_139chunk_gated_delta_rule_fwd_h_hip_kernelILi32ELb0ELb1ELb1ELb1ELb0ELb1ELb0ELb0EEEvPK12hip_bfloat16S3_S3_PKfS5_PKvPS1_S8_PvPKiSB_iiiiilll,"axG",@progbits,_ZN12_GLOBAL__N_139chunk_gated_delta_rule_fwd_h_hip_kernelILi32ELb0ELb1ELb1ELb1ELb0ELb1ELb0ELb0EEEvPK12hip_bfloat16S3_S3_PKfS5_PKvPS1_S8_PvPKiSB_iiiiilll,comdat
	.globl	_ZN12_GLOBAL__N_139chunk_gated_delta_rule_fwd_h_hip_kernelILi32ELb0ELb1ELb1ELb1ELb0ELb1ELb0ELb0EEEvPK12hip_bfloat16S3_S3_PKfS5_PKvPS1_S8_PvPKiSB_iiiiilll ; -- Begin function _ZN12_GLOBAL__N_139chunk_gated_delta_rule_fwd_h_hip_kernelILi32ELb0ELb1ELb1ELb1ELb0ELb1ELb0ELb0EEEvPK12hip_bfloat16S3_S3_PKfS5_PKvPS1_S8_PvPKiSB_iiiiilll
	.p2align	8
	.type	_ZN12_GLOBAL__N_139chunk_gated_delta_rule_fwd_h_hip_kernelILi32ELb0ELb1ELb1ELb1ELb0ELb1ELb0ELb0EEEvPK12hip_bfloat16S3_S3_PKfS5_PKvPS1_S8_PvPKiSB_iiiiilll,@function
_ZN12_GLOBAL__N_139chunk_gated_delta_rule_fwd_h_hip_kernelILi32ELb0ELb1ELb1ELb1ELb0ELb1ELb0ELb0EEEvPK12hip_bfloat16S3_S3_PKfS5_PKvPS1_S8_PvPKiSB_iiiiilll: ; @_ZN12_GLOBAL__N_139chunk_gated_delta_rule_fwd_h_hip_kernelILi32ELb0ELb1ELb1ELb1ELb0ELb1ELb0ELb0EEEvPK12hip_bfloat16S3_S3_PKfS5_PKvPS1_S8_PvPKiSB_iiiiilll
; %bb.0:
	s_load_dwordx4 s[20:23], s[0:1], 0x5c
	s_load_dwordx2 s[40:41], s[0:1], 0x20
	s_abs_i32 s27, s3
	s_ashr_i32 s26, s3, 31
	s_load_dwordx2 s[24:25], s[0:1], 0x50
	s_load_dwordx8 s[4:11], s[0:1], 0x30
	s_load_dwordx8 s[12:19], s[0:1], 0x0
	s_waitcnt lgkmcnt(0)
	s_abs_i32 s30, s21
	v_cvt_f32_u32_e32 v1, s30
	s_sub_i32 s28, 0, s30
	s_ashr_i32 s33, s21, 31
	s_xor_b32 s26, s26, s33
	v_rcp_iflag_f32_e32 v1, v1
	v_lshrrev_b32_e32 v53, 6, v0
	v_bfe_u32 v64, v0, 4, 2
	v_lshlrev_b32_e32 v62, 4, v53
	v_mul_f32_e32 v1, 0x4f7ffffe, v1
	v_cvt_u32_f32_e32 v1, v1
	v_lshlrev_b32_e32 v18, 2, v64
	v_and_b32_e32 v63, 63, v0
	v_mov_b32_e32 v17, 0
	v_readfirstlane_b32 s29, v1
	s_mul_i32 s28, s28, s29
	s_mul_hi_u32 s28, s29, s28
	s_add_i32 s29, s29, s28
	s_mul_hi_u32 s28, s27, s29
	s_mul_i32 s29, s28, s30
	s_sub_i32 s27, s27, s29
	s_add_i32 s31, s28, 1
	s_sub_i32 s29, s27, s30
	s_cmp_ge_u32 s27, s30
	s_cselect_b32 s28, s31, s28
	s_cselect_b32 s27, s29, s27
	s_add_i32 s29, s28, 1
	s_cmp_ge_u32 s27, s30
	s_cselect_b32 s27, s29, s28
	s_xor_b32 s27, s27, s26
	s_sub_i32 s34, s27, s26
	s_mul_i32 s26, s34, s21
	s_ashr_i32 s35, s34, 31
	s_sub_i32 s48, s3, s26
	s_lshl_b64 s[26:27], s[34:35], 2
	s_add_u32 s10, s10, s26
	s_addc_u32 s11, s11, s27
	s_add_u32 s28, s24, s26
	s_addc_u32 s29, s25, s27
	s_abs_i32 s3, s22
	v_cvt_f32_u32_e32 v1, s3
	s_load_dwordx2 s[42:43], s[10:11], 0x0
	s_sub_i32 s11, 0, s3
	s_mov_b32 s49, s21
	v_rcp_iflag_f32_e32 v1, v1
	v_and_b32_e32 v65, 15, v0
	s_waitcnt lgkmcnt(0)
	s_sub_i32 s58, s43, s42
	s_ashr_i32 s10, s58, 31
	v_mul_f32_e32 v1, 0x4f7ffffe, v1
	v_cvt_u32_f32_e32 v1, v1
	s_lshr_b32 s10, s10, 26
	s_add_i32 s10, s58, s10
	s_ashr_i32 s53, s10, 6
	v_readfirstlane_b32 s24, v1
	s_mul_i32 s11, s11, s24
	s_mul_hi_u32 s11, s24, s11
	s_add_i32 s24, s24, s11
	s_mul_hi_u32 s11, s30, s24
	s_mul_i32 s24, s11, s3
	s_ashr_i32 s10, s22, 31
	s_sub_i32 s24, s30, s24
	s_xor_b32 s10, s33, s10
	s_add_i32 s25, s11, 1
	s_sub_i32 s26, s24, s3
	s_cmp_ge_u32 s24, s3
	s_cselect_b32 s11, s25, s11
	s_cselect_b32 s24, s26, s24
	s_add_i32 s25, s11, 1
	s_cmp_ge_u32 s24, s3
	s_cselect_b32 s3, s25, s11
	s_xor_b32 s3, s3, s10
	s_sub_i32 s3, s3, s10
	s_abs_i32 s30, s3
	v_cvt_f32_u32_e32 v1, s30
	s_load_dwordx2 s[10:11], s[0:1], 0x80
	s_load_dwordx4 s[24:27], s[0:1], 0x70
	s_load_dword s54, s[28:29], 0x0
	s_xor_b32 s0, s48, s3
	v_rcp_iflag_f32_e32 v1, v1
	s_sub_i32 s3, 0, s30
	s_abs_i32 s1, s48
	s_ashr_i32 s0, s0, 31
	v_mul_f32_e32 v1, 0x4f7ffffe, v1
	v_cvt_u32_f32_e32 v1, v1
	s_mul_hi_i32 s55, s48, s20
	s_mul_i32 s56, s48, s20
	v_lshrrev_b32_e32 v67, 3, v63
	v_readfirstlane_b32 s28, v1
	s_mul_i32 s3, s3, s28
	s_mul_hi_u32 s3, s28, s3
	s_add_i32 s28, s28, s3
	s_mul_hi_u32 s3, s1, s28
	s_mul_i32 s28, s3, s30
	s_sub_i32 s1, s1, s28
	s_add_i32 s28, s3, 1
	s_sub_i32 s29, s1, s30
	s_cmp_ge_u32 s1, s30
	s_cselect_b32 s3, s28, s3
	s_cselect_b32 s1, s29, s1
	s_add_i32 s28, s3, 1
	s_cmp_ge_u32 s1, s30
	s_cselect_b32 s1, s28, s3
	s_xor_b32 s1, s1, s0
	s_sub_i32 s57, s1, s0
	v_or_b32_e32 v1, v18, v62
	s_lshl_b32 s2, s2, 5
	v_or_b32_e32 v68, 64, v1
	s_cmp_lt_i32 s58, 64
	v_lshlrev_b32_e32 v66, 3, v0
	s_waitcnt lgkmcnt(0)
	s_mul_i32 s50, s34, s25
	s_mul_hi_u32 s51, s34, s24
	s_mul_i32 s52, s35, s24
	s_mul_i32 s24, s34, s24
	v_mov_b32_e32 v16, v17
	v_mov_b32_e32 v15, v17
	;; [unrolled: 1-line block ×15, first 2 shown]
	s_cbranch_scc1 .LBB469_19
; %bb.1:
	s_ashr_i32 s60, s48, 31
	s_ashr_i32 s1, s42, 31
	s_add_u32 s0, s56, s42
	s_addc_u32 s1, s55, s1
	s_lshl_b64 s[0:1], s[0:1], 8
	v_and_b32_e32 v70, 56, v66
	s_add_u32 s28, s14, s0
	v_lshl_or_b32 v69, v53, 3, v67
	v_lshlrev_b32_e32 v2, 1, v70
	s_addc_u32 s0, s15, s1
	v_lshl_or_b32 v71, v69, 8, v2
	s_and_b32 s29, s0, 0xffff
	s_mov_b32 s31, 0x20000
	s_movk_i32 s30, 0x4000
	s_movk_i32 s0, 0x80
	v_or_b32_e32 v72, 0x2000, v71
	buffer_load_dwordx4 v[4:7], v71, s[28:31], 0 offen
	buffer_load_dwordx4 v[8:11], v71, s[28:31], s0 offen
	;; [unrolled: 1-line block ×4, first 2 shown]
	v_lshlrev_b32_e32 v3, 3, v69
	v_and_or_b32 v17, v0, 7, v3
	v_and_b32_e32 v3, 0x78, v3
	v_lshlrev_b32_e32 v17, 4, v17
	v_xor_b32_e32 v73, v17, v3
	v_mul_lo_u32 v16, v69, s23
	v_or_b32_e32 v74, 0x1000, v73
	v_xor_b32_e32 v3, 8, v73
	s_cmpk_eq_i32 s23, 0x80
	s_mov_b32 s59, s42
	v_xor_b32_e32 v17, 8, v74
	s_cselect_b64 s[0:1], -1, 0
	s_cmpk_lg_i32 s23, 0x80
	s_waitcnt vmcnt(3)
	ds_write_b64 v73, v[4:5] offset:24576
	ds_write_b64 v3, v[6:7] offset:24576
	s_waitcnt vmcnt(2)
	ds_write_b64 v73, v[8:9] offset:32768
	ds_write_b64 v3, v[10:11] offset:32768
	;; [unrolled: 3-line block ×4, first 2 shown]
	v_lshl_add_u32 v3, v16, 1, v70
	s_cbranch_scc0 .LBB469_3
; %bb.2:
	v_lshlrev_b32_e32 v5, 1, v3
	v_add_lshl_u32 v4, v3, s23, 1
	s_lshl_b32 s30, s23, 7
	v_lshl_or_b32 v2, v69, 9, v2
	s_cbranch_execz .LBB469_4
	s_branch .LBB469_5
.LBB469_3:
                                        ; implicit-def: $vgpr4
                                        ; implicit-def: $vgpr5
                                        ; implicit-def: $sgpr30
	v_lshl_or_b32 v2, v69, 9, v2
.LBB469_4:
	v_or_b32_e32 v4, 0x100, v2
	s_movk_i32 s30, 0x4000
	v_mov_b32_e32 v5, v2
.LBB469_5:
	s_mul_i32 s25, s42, s22
	s_ashr_i32 s61, s57, 31
	s_mul_hi_i32 s3, s42, s22
	s_add_u32 s28, s25, s57
	s_addc_u32 s29, s3, s61
	s_lshl_b64 s[28:29], s[28:29], 8
	s_add_u32 s28, s12, s28
	s_addc_u32 s3, s13, s29
	s_and_b32 s29, s3, 0xffff
	s_movk_i32 s62, 0x80
	buffer_load_dwordx4 v[6:9], v5, s[28:31], 0 offen
	buffer_load_dwordx4 v[10:13], v5, s[28:31], s62 offen
	;; [unrolled: 1-line block ×4, first 2 shown]
	v_and_b32_e32 v4, 6, v0
	v_lshlrev_b32_e32 v24, 6, v1
	v_or_b32_e32 v26, 16, v65
	v_xor_b32_e32 v27, v69, v4
	v_and_b32_e32 v5, 1, v0
	v_lshl_or_b32 v30, v65, 3, v24
	v_lshl_or_b32 v24, v26, 3, v24
	v_lshlrev_b32_e32 v27, 2, v27
	v_lshlrev_b32_e32 v19, 2, v65
	s_mul_i32 s3, s48, s27
	s_mul_hi_u32 s25, s48, s26
	v_or_b32_e32 v77, 0xa000, v24
	v_or_b32_e32 v78, 0xb000, v24
	v_xor_b32_e32 v24, 0x440, v27
	v_cmp_eq_u32_e32 vcc, 0, v5
	s_add_i32 s29, s51, s50
	s_mul_i32 s28, s60, s26
	v_xor_b32_e32 v28, v1, v19
	v_xor_b32_e32 v29, v68, v19
	v_cndmask_b32_e32 v5, v24, v27, vcc
	s_add_i32 s3, s25, s3
	s_add_i32 s25, s29, s52
	s_mov_b32 s63, 0x1000504
	v_lshlrev_b32_e32 v25, 8, v65
	v_lshlrev_b32_e32 v26, 8, v26
	;; [unrolled: 1-line block ×4, first 2 shown]
	v_lshl_or_b32 v4, v4, 10, v5
	s_add_i32 s29, s3, s28
	s_lshl_b64 s[36:37], s[24:25], 2
	s_mov_b32 s64, 0x3020706
	v_or_b32_e32 v75, 0xa000, v30
	v_or_b32_e32 v76, 0xb000, v30
	v_or_b32_e32 v79, v25, v28
	v_or_b32_e32 v80, v25, v29
	v_or_b32_e32 v82, v26, v29
	v_xor_b32_e32 v5, 8, v4
	v_xor_b32_e32 v25, 24, v4
	;; [unrolled: 1-line block ×4, first 2 shown]
	s_mul_i32 s28, s48, s26
	s_add_u32 s3, s18, s36
	v_or_b32_e32 v81, v26, v28
	v_xor_b32_e32 v24, 16, v4
	v_xor_b32_e32 v26, 32, v4
	v_xor_b32_e32 v28, 48, v4
	v_add_u32_e32 v5, 0x80, v5
	v_add_u32_e32 v25, 0x80, v25
	;; [unrolled: 1-line block ×4, first 2 shown]
	s_addc_u32 s25, s19, s37
	s_lshl_b64 s[28:29], s[28:29], 2
	s_add_u32 s44, s3, s28
	s_movk_i32 s3, 0xf8
	s_addc_u32 s45, s25, s29
	s_lshl_b32 s38, s23, 7
	s_movk_i32 s36, 0x100
	v_mov_b32_e32 v55, 0
	v_lshlrev_b32_e32 v54, 4, v65
	v_cmp_gt_u32_e32 vcc, s36, v0
	s_mov_b32 s65, 0
	s_movk_i32 s25, 0x1000
	s_movk_i32 s30, 0x4000
	v_add_u32_e32 v96, v62, v18
	v_mov_b32_e32 v107, 0x3fb8aa3b
	v_mov_b32_e32 v108, v55
	;; [unrolled: 1-line block ×9, first 2 shown]
	s_waitcnt vmcnt(1)
	v_perm_b32 v30, v6, v14, s63
	s_waitcnt vmcnt(0)
	v_perm_b32 v31, v10, v20, s63
	v_perm_b32 v6, v6, v14, s64
	;; [unrolled: 1-line block ×15, first 2 shown]
	ds_write2st64_b32 v4, v30, v31 offset0:32 offset1:64
	ds_write2st64_b32 v5, v6, v10 offset0:32 offset1:64
	ds_write2st64_b32 v24, v14, v20 offset0:33 offset1:65
	ds_write2st64_b32 v25, v7, v11 offset0:33 offset1:65
	ds_write2st64_b32 v26, v15, v21 offset0:34 offset1:66
	ds_write2st64_b32 v27, v8, v12 offset0:34 offset1:66
	ds_write2st64_b32 v28, v16, v22 offset0:35 offset1:67
	ds_write2st64_b32 v29, v9, v13 offset0:35 offset1:67
	v_or_b32_e32 v4, v62, v65
	v_lshlrev_b32_e32 v4, 3, v4
	v_lshrrev_b32_e32 v6, 5, v63
	v_and_or_b32 v6, v4, s3, v6
	v_lshlrev_b32_e32 v6, 4, v6
	v_lshrrev_b32_e32 v5, 2, v63
	v_lshlrev_b32_e32 v11, 11, v53
	v_and_b32_e32 v4, 0x78, v4
	v_or_b32_e32 v10, 32, v6
	v_and_b32_e32 v7, 12, v5
	v_and_b32_e32 v5, 0x1000, v11
	v_xor_b32_e32 v8, v6, v4
	v_lshrrev_b32_e32 v9, 1, v63
	v_xor_b32_e32 v10, v10, v4
	v_or_b32_e32 v8, v8, v5
	v_and_b32_e32 v9, 8, v9
	v_lshlrev_b32_e32 v12, 7, v64
	v_or_b32_e32 v10, v10, v5
	v_xor_b32_e32 v83, v8, v9
	v_or_b32_e32 v8, v12, v19
	v_xor_b32_e32 v85, v10, v9
	v_or_b32_e32 v10, 64, v6
	v_or_b32_e32 v6, 0x60, v6
	s_ashr_i32 s3, s2, 31
	v_lshlrev_b32_e32 v8, 1, v8
	v_xor_b32_e32 v10, v10, v4
	v_xor_b32_e32 v4, v6, v4
	s_lshl_b64 s[28:29], s[2:3], 8
	v_or_b32_e32 v84, 0xa000, v8
	v_or_b32_e32 v86, 0xa080, v8
	;; [unrolled: 1-line block ×6, first 2 shown]
	s_add_u32 s28, s4, s28
	v_lshlrev_b32_e32 v8, 1, v65
	v_lshlrev_b32_e32 v19, 2, v0
	v_lshrrev_b32_e32 v22, 1, v0
	v_xor_b32_e32 v87, v10, v9
	v_xor_b32_e32 v88, v4, v9
	v_lshrrev_b32_e32 v10, 4, v0
	s_addc_u32 s29, s5, s29
	v_or_b32_e32 v9, 1, v8
	v_mov_b32_e32 v20, 0x4000
	v_mov_b32_e32 v21, 0x2000
	v_and_b32_e32 v22, 24, v22
	v_and_or_b32 v12, v19, 60, v12
	v_mov_b32_e32 v19, 0xb000
	v_xor_b32_e32 v15, v10, v8
	v_xor_b32_e32 v16, v9, v10
	v_lshl_add_u64 v[8:9], s[28:29], 0, v[54:55]
	v_lshlrev_b32_e32 v54, 8, v10
	v_cndmask_b32_e32 v20, v20, v21, vcc
	v_lshlrev_b32_e32 v21, 3, v53
	v_lshl_or_b32 v93, v12, 1, v19
	v_or_b32_e32 v12, 32, v22
	v_lshl_or_b32 v91, v15, 3, v54
	v_and_b32_e32 v15, 8, v0
	v_xor_b32_e32 v12, v21, v12
	v_cmp_eq_u32_e32 vcc, 0, v15
	v_or_b32_e32 v19, 0x440, v12
	v_and_b32_e32 v10, 7, v0
	v_cndmask_b32_e32 v12, v19, v12, vcc
	v_lshl_or_b32 v92, v16, 3, v54
	v_lshlrev_b32_e32 v16, 3, v10
	v_or_b32_e32 v12, v12, v11
	v_xor_b32_e32 v19, v12, v16
	v_or_b32_e32 v12, 64, v22
	v_xor_b32_e32 v12, v21, v12
	v_xor_b32_e32 v25, 0x440, v12
	v_cndmask_b32_e32 v12, v25, v12, vcc
	v_or_b32_e32 v12, v12, v11
	v_xor_b32_e32 v25, v12, v16
	v_or_b32_e32 v12, 0x60, v22
	v_xor_b32_e32 v23, v21, v22
	v_xor_b32_e32 v12, v21, v12
	v_or_b32_e32 v24, 0x440, v23
	v_xor_b32_e32 v21, 0x440, v12
	v_cndmask_b32_e32 v15, v24, v23, vcc
	v_cndmask_b32_e32 v12, v21, v12, vcc
	v_or_b32_e32 v4, s2, v65
	v_or_b32_e32 v15, v15, v11
	;; [unrolled: 1-line block ×3, first 2 shown]
	v_ashrrev_i32_e32 v5, 31, v4
	v_lshlrev_b32_e32 v13, 1, v3
	v_add_lshl_u32 v3, v3, s23, 1
	v_or_b32_e32 v14, 0x100, v2
	v_xor_b32_e32 v15, v15, v16
	v_xor_b32_e32 v11, v11, v16
	v_lshlrev_b32_e32 v6, 7, v1
	v_lshlrev_b32_e32 v17, 7, v10
	v_or_b32_e32 v10, v7, v62
	v_add_u32_e32 v23, v20, v15
	v_add_u32_e32 v24, v20, v19
	;; [unrolled: 1-line block ×4, first 2 shown]
	v_or3_b32 v12, v62, v7, 64
	v_add_u32_e32 v7, 0x4000, v15
	v_add_u32_e32 v15, 0x4000, v19
	;; [unrolled: 1-line block ×4, first 2 shown]
	v_cndmask_b32_e64 v94, v13, v2, s[0:1]
	v_cndmask_b32_e64 v95, v3, v14, s[0:1]
	v_lshlrev_b64 v[2:3], 1, v[4:5]
	v_lshl_add_u64 v[56:57], s[16:17], 0, v[2:3]
	v_lshl_add_u64 v[58:59], s[6:7], 0, v[2:3]
	;; [unrolled: 1-line block ×3, first 2 shown]
	s_mov_b32 s3, 0x7060302
	v_lshlrev_b32_e32 v54, 1, v6
	v_lshlrev_b32_e32 v97, 2, v10
	v_add_u32_e32 v98, v23, v17
	v_add_u32_e32 v99, v24, v17
	;; [unrolled: 1-line block ×4, first 2 shown]
	v_lshlrev_b32_e32 v102, 2, v12
	v_add_u32_e32 v103, v7, v17
	v_add_u32_e32 v104, v15, v17
	;; [unrolled: 1-line block ×4, first 2 shown]
	v_mov_b32_e32 v2, v55
	v_mov_b32_e32 v3, v55
	;; [unrolled: 1-line block ×8, first 2 shown]
	s_waitcnt lgkmcnt(0)
	s_barrier
.LBB469_6:                              ; =>This Inner Loop Header: Depth=1
	s_add_i32 s66, s65, 1
	s_cmp_lt_i32 s66, s53
	s_mov_b64 s[36:37], 0
	s_cselect_b64 s[46:47], -1, 0
	s_cmp_ge_i32 s66, s53
	s_mov_b64 s[28:29], 0
	s_cbranch_scc1 .LBB469_8
; %bb.7:                                ;   in Loop: Header=BB469_6 Depth=1
	s_add_i32 s0, s59, 64
	s_ashr_i32 s1, s0, 31
	s_add_u32 s0, s56, s0
	s_addc_u32 s1, s55, s1
	s_lshl_b64 s[0:1], s[0:1], 8
	s_add_u32 s28, s14, s0
	s_addc_u32 s29, s15, s1
.LBB469_8:                              ;   in Loop: Header=BB469_6 Depth=1
	v_cndmask_b32_e64 v10, 0, 1, s[46:47]
	v_cmp_ne_u32_e64 s[0:1], 1, v10
	s_andn2_b64 vcc, exec, s[46:47]
	s_cbranch_vccnz .LBB469_10
; %bb.9:                                ;   in Loop: Header=BB469_6 Depth=1
	s_add_i32 s36, s59, 64
	s_mul_hi_i32 s37, s36, s22
	s_mul_i32 s36, s36, s22
	s_add_u32 s36, s36, s57
	s_addc_u32 s37, s37, s61
	s_lshl_b64 s[36:37], s[36:37], 8
	s_add_u32 s36, s12, s36
	s_addc_u32 s37, s13, s37
.LBB469_10:                             ;   in Loop: Header=BB469_6 Depth=1
	v_perm_b32 v11, v5, v4, s3
	v_perm_b32 v10, v3, v2, s3
	;; [unrolled: 1-line block ×4, first 2 shown]
	ds_write_b64 v75, v[10:11]
	ds_write_b64 v76, v[12:13]
	ds_write_b64 v79, v[10:11]
	ds_write_b64 v80, v[12:13]
	v_perm_b32 v11, v115, v110, s3
	v_perm_b32 v10, v109, v108, s3
	;; [unrolled: 1-line block ×4, first 2 shown]
	ds_write_b64 v77, v[10:11]
	ds_write_b64 v78, v[12:13]
	;; [unrolled: 1-line block ×4, first 2 shown]
	s_waitcnt lgkmcnt(0)
	s_barrier
	ds_read_b64 v[14:15], v83 offset:24576
	ds_read2_b64 v[10:13], v84 offset1:16
	ds_read_b64 v[18:19], v86 offset:3072
	ds_read_b64 v[20:21], v84 offset:3072
	;; [unrolled: 1-line block ×3, first 2 shown]
	s_waitcnt lgkmcnt(3)
	v_mfma_f32_16x16x16_bf16 a[0:3], v[14:15], v[10:11], 0
	s_add_i32 s67, s59, 63
	s_ashr_i32 s39, s67, 31
	s_mul_i32 s46, s67, s11
	v_mfma_f32_16x16x16_bf16 a[4:7], v[14:15], v[12:13], 0
	ds_read2st64_b64 v[10:13], v84 offset0:2 offset1:4
	s_mul_hi_u32 s47, s67, s10
	s_add_i32 s46, s47, s46
	s_waitcnt lgkmcnt(0)
	v_mfma_f32_16x16x16_bf16 a[0:3], v[22:23], v[10:11], a[0:3]
	ds_read2st64_b64 v[14:17], v86 offset0:2 offset1:4
	ds_read_b64 v[10:11], v87 offset:24576
	s_mul_i32 s39, s39, s10
	s_add_i32 s47, s46, s39
	s_waitcnt lgkmcnt(1)
	v_mfma_f32_16x16x16_bf16 a[4:7], v[22:23], v[14:15], a[4:7]
	ds_read_b64 v[14:15], v88 offset:24576
	s_mul_i32 s46, s67, s10
	s_lshl_b64 s[46:47], s[46:47], 2
	s_waitcnt lgkmcnt(1)
	v_mfma_f32_16x16x16_bf16 a[0:3], v[10:11], v[12:13], a[0:3]
	s_add_u32 s46, s44, s46
	s_addc_u32 s47, s45, s47
	s_and_b64 vcc, exec, s[0:1]
	v_mfma_f32_16x16x16_bf16 a[8:11], v[10:11], v[16:17], a[4:7]
	v_mov_b32_e32 v118, 0
	v_mov_b32_e32 v117, 0
	;; [unrolled: 1-line block ×3, first 2 shown]
	s_waitcnt lgkmcnt(0)
	v_mfma_f32_16x16x16_bf16 a[4:7], v[14:15], v[20:21], a[0:3]
	v_mov_b32_e32 v10, 0
	v_mov_b32_e32 v11, 0
	;; [unrolled: 1-line block ×3, first 2 shown]
	v_mfma_f32_16x16x16_bf16 a[0:3], v[14:15], v[18:19], a[8:11]
	v_mov_b32_e32 v13, 0
	v_mov_b32_e32 v14, 0
	;; [unrolled: 1-line block ×13, first 2 shown]
	s_cbranch_vccnz .LBB469_12
; %bb.11:                               ;   in Loop: Header=BB469_6 Depth=1
	s_and_b32 s29, s29, 0xffff
	buffer_load_dwordx4 v[22:25], v71, s[28:31], 0 offen
	buffer_load_dwordx4 v[18:21], v71, s[28:31], s62 offen
	;; [unrolled: 1-line block ×4, first 2 shown]
	v_mov_b32_e32 v117, v73
	v_mov_b32_e32 v116, v74
.LBB469_12:                             ;   in Loop: Header=BB469_6 Depth=1
	ds_read_b64 v[34:35], v83 offset:32768
	ds_read2_b64 v[26:29], v89 offset1:16
	ds_read_b64 v[36:37], v85 offset:32768
	ds_read_b64 v[38:39], v87 offset:32768
	;; [unrolled: 1-line block ×3, first 2 shown]
	v_add_u32_e32 v42, s59, v96
	s_waitcnt lgkmcnt(3)
	v_mfma_f32_16x16x16_bf16 a[4:7], v[34:35], v[26:27], a[4:7]
	v_ashrrev_i32_e32 v26, 31, v42
	ds_read2st64_b64 v[30:33], v89 offset0:2 offset1:4
	v_mfma_f32_16x16x16_bf16 a[0:3], v[34:35], v[28:29], a[0:3]
	v_mul_lo_u32 v28, v26, s10
	v_mul_lo_u32 v29, v42, s11
	v_mad_u64_u32 v[26:27], s[28:29], v42, s10, 0
	v_add3_u32 v27, v27, v29, v28
	v_add_u32_e32 v28, 1, v42
	v_ashrrev_i32_e32 v29, 31, v28
	v_mul_lo_u32 v34, v29, s10
	v_mul_lo_u32 v35, v28, s11
	v_mad_u64_u32 v[28:29], s[28:29], v28, s10, 0
	v_add3_u32 v29, v29, v35, v34
	v_add_u32_e32 v34, 2, v42
	v_ashrrev_i32_e32 v35, 31, v34
	v_mul_lo_u32 v43, v35, s10
	v_mul_lo_u32 v44, v34, s11
	v_mad_u64_u32 v[34:35], s[28:29], v34, s10, 0
	v_add_u32_e32 v42, 3, v42
	v_add3_u32 v35, v35, v44, v43
	v_ashrrev_i32_e32 v43, 31, v42
	v_mul_lo_u32 v44, v43, s10
	v_mul_lo_u32 v45, v42, s11
	v_mad_u64_u32 v[42:43], s[28:29], v42, s10, 0
	s_ashr_i32 s29, s59, 31
	v_add3_u32 v43, v43, v45, v44
	s_add_u32 s28, s56, s59
	v_lshl_add_u64 v[26:27], v[26:27], 2, s[44:45]
	v_lshl_add_u64 v[42:43], v[42:43], 2, s[44:45]
	s_addc_u32 s29, s55, s29
	v_lshl_add_u64 v[28:29], v[28:29], 2, s[44:45]
	v_lshl_add_u64 v[34:35], v[34:35], 2, s[44:45]
	global_load_dword v44, v[26:27], off
	global_load_dword v45, v[28:29], off
	;; [unrolled: 1-line block ×3, first 2 shown]
	s_nop 0
	global_load_dword v42, v[42:43], off
	s_lshl_b64 s[68:69], s[28:29], 8
	v_lshl_add_u64 v[26:27], v[56:57], 0, s[68:69]
	v_lshl_add_u64 v[34:35], v[26:27], 0, v[54:55]
	global_load_ushort v43, v[34:35], off offset:256
	global_load_ushort v47, v[34:35], off
	ds_read2st64_b64 v[26:29], v90 offset0:2 offset1:4
	global_load_ushort v48, v[34:35], off offset:768
	global_load_ushort v49, v[34:35], off offset:512
	;; [unrolled: 1-line block ×6, first 2 shown]
	s_waitcnt lgkmcnt(1)
	v_mfma_f32_16x16x16_bf16 a[4:7], v[36:37], v[30:31], a[4:7]
	s_and_b64 vcc, exec, s[0:1]
	s_waitcnt vmcnt(7)
	v_lshlrev_b32_e32 v35, 16, v43
	s_waitcnt lgkmcnt(0)
	v_mfma_f32_16x16x16_bf16 a[0:3], v[36:37], v[26:27], a[0:3]
	v_mfma_f32_16x16x16_bf16 a[4:7], v[38:39], v[32:33], a[4:7]
	;; [unrolled: 1-line block ×3, first 2 shown]
	ds_read_b64 v[26:27], v89 offset:3072
	ds_read_b64 v[28:29], v90 offset:3072
	s_load_dword s28, s[46:47], 0x0
	s_waitcnt lgkmcnt(0)
	v_sub_f32_e32 v34, s28, v44
	v_mfma_f32_16x16x16_bf16 a[4:7], v[40:41], v[26:27], a[4:7]
	v_sub_f32_e32 v37, s28, v45
	v_sub_f32_e32 v38, s28, v46
	;; [unrolled: 1-line block ×3, first 2 shown]
	v_mul_f32_e32 v36, 0x3fb8aa3b, v34
	v_mul_f32_e32 v37, 0x3fb8aa3b, v37
	;; [unrolled: 1-line block ×4, first 2 shown]
	v_mfma_f32_16x16x16_bf16 a[0:3], v[40:41], v[28:29], a[0:3]
	v_accvgpr_read_b32 v33, a5
	v_exp_f32_e32 v36, v36
	v_exp_f32_e32 v37, v37
	;; [unrolled: 1-line block ×4, first 2 shown]
	v_accvgpr_read_b32 v32, a4
	s_waitcnt vmcnt(6)
	v_lshlrev_b32_e32 v34, 16, v47
	v_lshl_add_u64 v[26:27], v[58:59], 0, s[68:69]
	v_accvgpr_read_b32 v29, a7
	v_accvgpr_read_b32 v28, a6
	v_pk_add_f32 v[32:33], v[34:35], v[32:33] neg_lo:[0,1] neg_hi:[0,1]
	s_waitcnt vmcnt(5)
	v_lshlrev_b32_e32 v35, 16, v48
	s_waitcnt vmcnt(4)
	v_lshlrev_b32_e32 v34, 16, v49
	v_lshl_add_u64 v[26:27], v[26:27], 0, v[54:55]
	v_pk_add_f32 v[28:29], v[34:35], v[28:29] neg_lo:[0,1] neg_hi:[0,1]
	global_store_short_d16_hi v[26:27], v32, off
	global_store_short_d16_hi v[26:27], v33, off offset:256
	global_store_short_d16_hi v[26:27], v28, off offset:512
	;; [unrolled: 1-line block ×3, first 2 shown]
	v_pk_mul_f32 v[32:33], v[36:37], v[32:33]
	v_pk_mul_f32 v[28:29], v[38:39], v[28:29]
	v_accvgpr_read_b32 v35, a1
	v_perm_b32 v29, v29, v28, s3
	v_perm_b32 v28, v33, v32, s3
	s_waitcnt vmcnt(5)
	v_lshlrev_b32_e32 v33, 16, v52
	s_waitcnt vmcnt(4)
	v_lshlrev_b32_e32 v32, 16, v119
	v_accvgpr_read_b32 v34, a0
	v_accvgpr_read_b32 v31, a3
	;; [unrolled: 1-line block ×3, first 2 shown]
	v_pk_add_f32 v[32:33], v[32:33], v[34:35] neg_lo:[0,1] neg_hi:[0,1]
	v_lshlrev_b32_e32 v35, 16, v50
	v_lshlrev_b32_e32 v34, 16, v51
	v_pk_add_f32 v[30:31], v[34:35], v[30:31] neg_lo:[0,1] neg_hi:[0,1]
	global_store_short_d16_hi v[26:27], v32, off offset:32
	global_store_short_d16_hi v[26:27], v33, off offset:288
	;; [unrolled: 1-line block ×4, first 2 shown]
	v_pk_mul_f32 v[26:27], v[36:37], v[32:33]
	v_pk_mul_f32 v[30:31], v[38:39], v[30:31]
	v_mov_b32_e32 v119, 0
	v_perm_b32 v31, v31, v30, s3
	v_perm_b32 v30, v27, v26, s3
	ds_write2_b64 v76, v[28:29], v[30:31] offset1:16
	v_mov_b32_e32 v26, 0
	v_mov_b32_e32 v27, 0
	;; [unrolled: 1-line block ×16, first 2 shown]
	s_cbranch_vccnz .LBB469_14
; %bb.13:                               ;   in Loop: Header=BB469_6 Depth=1
	s_and_b32 s37, s37, 0xffff
	s_mov_b32 s39, s31
	buffer_load_dwordx4 v[38:41], v94, s[36:39], 0 offen
	buffer_load_dwordx4 v[30:33], v94, s[36:39], s62 offen
	;; [unrolled: 1-line block ×4, first 2 shown]
	v_mov_b32_e32 v118, v70
	v_mov_b32_e32 v119, v69
.LBB469_14:                             ;   in Loop: Header=BB469_6 Depth=1
	s_waitcnt lgkmcnt(0)
	s_barrier
	ds_read_b64 v[46:47], v98
	ds_read_b64 v[124:125], v93
	;; [unrolled: 1-line block ×5, first 2 shown]
	ds_read_b64 v[138:139], v90 offset:3072
	ds_read2_b64 v[42:45], v89 offset0:16 offset1:128
	s_waitcnt lgkmcnt(5)
	v_mfma_f32_16x16x16_bf16 a[0:3], v[46:47], v[124:125], 0
	ds_read2st64_b64 v[48:51], v90 offset0:2 offset1:4
	s_add_i32 s29, s54, s65
	s_mul_hi_i32 s37, s29, s49
	s_waitcnt lgkmcnt(1)
	v_mfma_f32_16x16x16_bf16 a[4:7], v[46:47], v[42:43], 0
	ds_read_b64 v[46:47], v103
	s_mul_i32 s29, s29, s49
	s_add_u32 s36, s29, s48
	s_waitcnt lgkmcnt(1)
	v_mfma_f32_16x16x16_bf16 a[4:7], v[126:127], v[48:49], a[4:7]
	s_addc_u32 s37, s37, s60
	s_lshl_b64 s[36:37], s[36:37], 15
	s_mul_i32 s39, s67, s49
	s_mul_hi_i32 s29, s67, s49
	s_add_u32 s46, s39, s48
	v_mfma_f32_16x16x16_bf16 a[8:11], v[128:129], v[50:51], a[4:7]
	s_addc_u32 s47, s29, s60
	ds_read2st64_b64 v[120:123], v89 offset0:4 offset1:6
	s_lshl_b64 s[46:47], s[46:47], 9
	s_waitcnt lgkmcnt(1)
	v_mfma_f32_16x16x16_bf16 a[4:7], v[46:47], v[124:125], 0
	s_add_u32 s46, s40, s46
	s_addc_u32 s47, s41, s47
	v_mfma_f32_16x16x16_bf16 a[0:3], v[126:127], v[44:45], a[0:3]
	ds_read_b64 v[126:127], v104
	ds_read_b64 v[134:135], v105
	;; [unrolled: 1-line block ×3, first 2 shown]
	v_mfma_f32_16x16x16_bf16 a[12:15], v[46:47], v[42:43], 0
	s_waitcnt lgkmcnt(2)
	v_mfma_f32_16x16x16_bf16 a[4:7], v[126:127], v[44:45], a[4:7]
	global_load_dwordx4 v[42:45], v102, s[46:47]
	v_mfma_f32_16x16x16_bf16 a[12:15], v[126:127], v[48:49], a[12:15]
	global_load_dwordx4 v[46:49], v97, s[46:47]
	ds_read2st64_b64 v[124:127], v91 offset1:8
	s_waitcnt lgkmcnt(0)
	v_mov_b32_e32 v132, v124
	v_mfma_f32_16x16x16_bf16 a[0:3], v[128:129], v[120:121], a[0:3]
	ds_read2st64_b64 v[128:131], v92 offset1:8
	v_mov_b32_e32 v133, v125
	v_mfma_f32_16x16x16_bf16 a[16:19], v[134:135], v[120:121], a[4:7]
	v_lshl_add_u64 v[120:121], v[60:61], 0, s[36:37]
	v_mfma_f32_16x16x16_bf16 a[20:23], v[134:135], v[50:51], a[12:15]
	v_add_co_u32_e32 v50, vcc, s25, v120
	s_waitcnt lgkmcnt(0)
	v_mov_b32_e32 v134, v128
	v_mfma_f32_16x16x16_bf16 a[4:7], v[136:137], v[122:123], a[0:3]
	v_mov_b32_e32 v135, v129
	v_mov_b32_e32 v128, v126
	;; [unrolled: 1-line block ×3, first 2 shown]
	v_mfma_f32_16x16x16_bf16 a[8:11], v[136:137], v[138:139], a[8:11]
	v_addc_co_u32_e32 v51, vcc, 0, v121, vcc
	global_store_dwordx4 v[50:51], v[128:131], off
	v_mfma_f32_16x16x16_bf16 a[12:15], v[140:141], v[122:123], a[16:19]
	s_and_b64 vcc, exec, s[0:1]
	global_store_dwordx4 v[120:121], v[132:135], off
	s_waitcnt vmcnt(3)
	v_mov_b32_e32 v52, v45
	v_mfma_f32_16x16x16_bf16 a[0:3], v[140:141], v[138:139], a[20:23]
	v_mov_b32_e32 v51, v44
	v_mov_b32_e32 v50, v43
	s_cbranch_vccnz .LBB469_16
; %bb.15:                               ;   in Loop: Header=BB469_6 Depth=1
	v_lshrrev_b32_e32 v43, 3, v118
	v_and_b32_e32 v43, 6, v43
	v_xor_b32_e32 v44, v43, v119
	v_lshlrev_b32_e32 v44, 2, v44
	v_and_b32_e32 v45, 8, v118
	v_xor_b32_e32 v118, 0x440, v44
	v_cmp_eq_u32_e32 vcc, 0, v45
	v_perm_b32 v45, v30, v26, s63
	s_nop 0
	v_cndmask_b32_e32 v44, v118, v44, vcc
	v_lshl_or_b32 v43, v43, 10, v44
	v_perm_b32 v44, v38, v34, s63
	s_barrier
	ds_write2st64_b32 v43, v44, v45 offset0:32 offset1:64
	v_xor_b32_e32 v44, 8, v43
	v_perm_b32 v34, v38, v34, s64
	v_perm_b32 v26, v30, v26, s64
	v_add_u32_e32 v30, 0x80, v44
	ds_write2st64_b32 v30, v34, v26 offset0:32 offset1:64
	v_xor_b32_e32 v26, 16, v43
	v_perm_b32 v30, v39, v35, s63
	v_perm_b32 v34, v31, v27, s63
	ds_write2st64_b32 v26, v30, v34 offset0:33 offset1:65
	v_xor_b32_e32 v26, 24, v43
	v_perm_b32 v30, v39, v35, s64
	v_perm_b32 v27, v31, v27, s64
	v_add_u32_e32 v26, 0x80, v26
	ds_write2st64_b32 v26, v30, v27 offset0:33 offset1:65
	v_xor_b32_e32 v26, 32, v43
	v_perm_b32 v27, v40, v36, s63
	v_perm_b32 v30, v32, v28, s63
	;; [unrolled: 9-line block ×3, first 2 shown]
	ds_write2st64_b32 v26, v27, v28 offset0:35 offset1:67
	v_xor_b32_e32 v26, 56, v43
	v_perm_b32 v27, v41, v37, s64
	v_perm_b32 v28, v33, v29, s64
	v_add_u32_e32 v26, 0x80, v26
	ds_write2st64_b32 v26, v27, v28 offset0:35 offset1:67
	ds_write_b64 v117, v[22:23] offset:24576
	v_xor_b32_e32 v22, 8, v117
	ds_write_b64 v22, v[24:25] offset:24576
	ds_write_b64 v117, v[18:19] offset:32768
	ds_write_b64 v22, v[20:21] offset:32768
	ds_write_b64 v116, v[14:15] offset:24576
	v_xor_b32_e32 v14, 8, v116
	ds_write_b64 v14, v[16:17] offset:24576
	ds_write_b64 v116, v[10:11] offset:32768
	;; [unrolled: 1-line block ×3, first 2 shown]
.LBB469_16:                             ;   in Loop: Header=BB469_6 Depth=1
	v_mul_f32_e32 v14, s28, v107
	v_exp_f32_e32 v26, v14
	s_waitcnt vmcnt(2)
	v_mul_f32_e32 v14, 0x3fb8aa3b, v46
	v_exp_f32_e32 v28, v14
	v_mul_f32_e32 v14, 0x3fb8aa3b, v47
	v_exp_f32_e32 v29, v14
	;; [unrolled: 2-line block ×4, first 2 shown]
	v_accvgpr_read_b32 v21, a7
	v_accvgpr_read_b32 v19, a5
	v_accvgpr_read_b32 v18, a4
	v_accvgpr_read_b32 v13, a11
	v_pk_mul_f32 v[28:29], v[26:27], v[28:29] op_sel_hi:[0,1]
	v_accvgpr_read_b32 v12, a10
	v_pk_fma_f32 v[2:3], v[2:3], v[28:29], v[18:19]
	v_pk_mul_f32 v[18:19], v[26:27], v[30:31] op_sel_hi:[0,1]
	v_accvgpr_read_b32 v20, a6
	v_accvgpr_read_b32 v11, a9
	v_accvgpr_read_b32 v10, a8
	v_fma_f32 v110, v110, v18, v12
	v_mul_f32_e32 v12, 0x3fb8aa3b, v51
	v_pk_fma_f32 v[4:5], v[4:5], v[18:19], v[20:21]
	v_fma_f32 v108, v108, v28, v10
	v_fma_f32 v109, v109, v29, v11
	v_mul_f32_e32 v10, 0x3fb8aa3b, v42
	v_mul_f32_e32 v11, 0x3fb8aa3b, v50
	v_exp_f32_e32 v20, v12
	v_mul_f32_e32 v12, 0x3fb8aa3b, v52
	v_exp_f32_e32 v10, v10
	v_exp_f32_e32 v11, v11
	;; [unrolled: 1-line block ×3, first 2 shown]
	v_accvgpr_read_b32 v25, a15
	v_accvgpr_read_b32 v17, a3
	;; [unrolled: 1-line block ×8, first 2 shown]
	v_fmac_f32_e32 v13, v115, v19
	v_pk_mul_f32 v[10:11], v[26:27], v[10:11] op_sel_hi:[0,1]
	v_pk_mul_f32 v[18:19], v[26:27], v[20:21] op_sel_hi:[0,1]
	s_add_i32 s59, s59, 64
	v_pk_fma_f32 v[6:7], v[6:7], v[10:11], v[22:23]
	v_pk_fma_f32 v[8:9], v[8:9], v[18:19], v[24:25]
	v_fma_f32 v111, v111, v10, v14
	v_fma_f32 v112, v112, v11, v15
	;; [unrolled: 1-line block ×3, first 2 shown]
	s_cmp_eq_u32 s53, s66
	v_fmac_f32_e32 v17, v114, v19
	s_cbranch_scc1 .LBB469_18
; %bb.17:                               ;   in Loop: Header=BB469_6 Depth=1
	s_mov_b32 s65, s66
	v_mov_b32_e32 v115, v13
	v_mov_b32_e32 v114, v17
	s_branch .LBB469_6
.LBB469_18:
	v_mov_b32_e32 v16, v113
	v_mov_b32_e32 v15, v112
	;; [unrolled: 1-line block ×6, first 2 shown]
.LBB469_19:
	s_lshl_b32 s3, s53, 6
	s_sub_i32 s58, s58, s3
	s_cmp_gt_i32 s58, 0
	v_or_b32_e32 v34, s2, v65
	s_cbranch_scc1 .LBB469_21
; %bb.20:
	s_ashr_i32 s37, s48, 31
	v_or_b32_e32 v35, s2, v65
	s_cbranch_execz .LBB469_22
	s_branch .LBB469_86
.LBB469_21:
                                        ; implicit-def: $vgpr35
                                        ; implicit-def: $sgpr36_sgpr37
.LBB469_22:
	s_add_i32 s36, s3, s42
	s_ashr_i32 s3, s36, 31
	s_cmpk_lg_i32 s23, 0x80
	s_cselect_b64 s[44:45], -1, 0
	s_and_b64 vcc, exec, s[44:45]
	s_cbranch_vccz .LBB469_24
; %bb.23:
	s_mul_hi_i32 s0, s36, s22
	s_mul_i32 s1, s36, s22
	s_ashr_i32 s22, s57, 31
	s_add_u32 s46, s1, s57
	s_addc_u32 s47, s0, s22
	s_cbranch_execz .LBB469_25
	s_branch .LBB469_26
.LBB469_24:
                                        ; implicit-def: $sgpr46_sgpr47
.LBB469_25:
	s_mul_i32 s1, s57, s20
	s_mul_hi_i32 s0, s57, s20
	s_add_u32 s46, s1, s36
	s_addc_u32 s47, s0, s3
.LBB469_26:
	s_add_i32 s20, s53, s54
	s_ashr_i32 s37, s48, 31
	s_add_u32 s0, s56, s36
	v_lshlrev_b32_e32 v22, 5, v1
	v_lshlrev_b32_e32 v40, 2, v65
	s_addc_u32 s1, s55, s3
	s_mov_b32 s3, 0x7060302
	v_or_b32_e32 v25, v22, v40
	v_xor_b32_e32 v23, v1, v40
	v_perm_b32 v19, v5, v4, s3
	v_perm_b32 v18, v3, v2, s3
	;; [unrolled: 1-line block ×4, first 2 shown]
	v_lshlrev_b32_e32 v25, 1, v25
	v_xor_b32_e32 v24, v68, v40
	ds_write2st64_b64 v25, v[18:19], v[20:21] offset0:80 offset1:88
	v_lshlrev_b32_e32 v23, 1, v23
	v_lshlrev_b32_e32 v25, 8, v65
	s_lshl_b64 s[38:39], s[0:1], 8
	v_or_b32_e32 v26, v23, v25
	v_lshlrev_b32_e32 v24, 1, v24
	s_add_u32 s0, s14, s38
	ds_write_b64 v26, v[18:19]
	v_or_b32_e32 v18, v24, v25
	s_addc_u32 s1, s15, s39
	ds_write_b64 v18, v[20:21]
	v_perm_b32 v19, v13, v12, s3
	v_perm_b32 v18, v11, v10, s3
	;; [unrolled: 1-line block ×4, first 2 shown]
	v_or_b32_e32 v25, 16, v65
	s_mul_hi_i32 s3, s20, s21
	s_mul_i32 s20, s20, s21
	v_lshlrev_b32_e32 v37, 2, v25
	s_add_u32 s14, s20, s48
	v_or_b32_e32 v22, v22, v37
	s_addc_u32 s15, s3, s37
	v_lshlrev_b32_e32 v22, 1, v22
	s_ashr_i32 s3, s2, 31
	s_lshl_b64 s[14:15], s[14:15], 15
	ds_write2st64_b64 v22, v[18:19], v[20:21] offset0:80 offset1:88
	v_lshlrev_b32_e32 v22, 8, v25
	s_add_u32 s4, s4, s14
	v_or_b32_e32 v23, v23, v22
	s_addc_u32 s5, s5, s15
	s_lshl_b64 s[2:3], s[2:3], 8
	ds_write_b64 v23, v[18:19]
	v_or_b32_e32 v18, v24, v22
	s_add_u32 s2, s4, s2
	ds_write_b64 v18, v[20:21]
	v_lshrrev_b32_e32 v18, 4, v0
	s_addc_u32 s3, s5, s3
	v_lshlrev_b32_e32 v19, 1, v65
	v_lshlrev_b32_e32 v26, 4, v65
	v_mov_b32_e32 v27, 0
	v_or_b32_e32 v20, 1, v19
	v_xor_b32_e32 v19, v18, v19
	v_lshl_add_u64 v[28:29], s[2:3], 0, v[26:27]
	v_lshlrev_b32_e32 v26, 8, v18
	v_xor_b32_e32 v22, v20, v18
	v_lshl_or_b32 v18, v19, 3, v26
	s_waitcnt lgkmcnt(0)
	s_barrier
	ds_read2st64_b64 v[18:21], v18 offset1:8
	v_lshl_or_b32 v22, v22, 3, v26
	ds_read2st64_b64 v[22:25], v22 offset1:8
	v_lshl_add_u64 v[30:31], v[28:29], 0, v[26:27]
	s_movk_i32 s2, 0x1000
	s_waitcnt lgkmcnt(1)
	v_mov_b32_e32 v26, v18
	v_add_co_u32_e32 v18, vcc, s2, v30
	s_cmp_lg_u32 s58, 64
	v_mov_b32_e32 v27, v19
	v_addc_co_u32_e32 v19, vcc, 0, v31, vcc
	s_cselect_b64 s[4:5], -1, 0
	v_lshl_or_b32 v35, v53, 3, v67
	s_waitcnt lgkmcnt(0)
	v_mov_b32_e32 v28, v22
	v_mov_b32_e32 v29, v23
	v_mov_b32_e32 v22, v20
	v_mov_b32_e32 v23, v21
	s_mov_b32 s28, 0
	v_or_b32_e32 v38, 32, v35
	v_and_b32_e32 v36, 56, v66
	s_and_b64 vcc, exec, s[4:5]
	global_store_dwordx4 v[30:31], v[26:29], off
	global_store_dwordx4 v[18:19], v[22:25], off
	s_cbranch_vccz .LBB469_32
; %bb.27:
	s_mov_b32 s29, s28
	s_mov_b32 s30, s28
	;; [unrolled: 1-line block ×3, first 2 shown]
	v_mov_b64_e32 v[22:23], s[28:29]
	v_mov_b64_e32 v[24:25], s[30:31]
	;; [unrolled: 1-line block ×3, first 2 shown]
	v_cmp_gt_i32_e32 vcc, s58, v35
	v_mov_b64_e32 v[20:21], v[24:25]
	s_and_saveexec_b64 s[2:3], vcc
	s_cbranch_execz .LBB469_29
; %bb.28:
	v_lshlrev_b32_e32 v18, 8, v35
	v_mov_b32_e32 v19, 0
	v_lshl_add_u64 v[20:21], s[0:1], 0, v[18:19]
	v_lshlrev_b32_e32 v18, 1, v36
	v_lshl_add_u64 v[26:27], v[20:21], 0, v[18:19]
	global_load_dwordx4 v[22:25], v[26:27], off
	global_load_dwordx4 v[18:21], v[26:27], off offset:128
.LBB469_29:
	s_or_b64 exec, exec, s[2:3]
	s_mov_b32 s30, s28
	s_mov_b32 s31, s28
	;; [unrolled: 1-line block ×3, first 2 shown]
	v_mov_b64_e32 v[32:33], s[30:31]
	v_mov_b64_e32 v[30:31], s[28:29]
	;; [unrolled: 1-line block ×3, first 2 shown]
	v_cmp_gt_i32_e32 vcc, s58, v38
	v_lshlrev_b32_e32 v39, 7, v38
	v_mov_b64_e32 v[28:29], v[32:33]
	s_and_saveexec_b64 s[2:3], vcc
	s_cbranch_execz .LBB469_31
; %bb.30:
	v_lshlrev_b32_e32 v26, 1, v39
	v_mov_b32_e32 v27, 0
	v_lshl_add_u64 v[28:29], s[0:1], 0, v[26:27]
	v_lshlrev_b32_e32 v26, 1, v36
	v_lshl_add_u64 v[42:43], v[28:29], 0, v[26:27]
	global_load_dwordx4 v[30:33], v[42:43], off
	global_load_dwordx4 v[26:29], v[42:43], off offset:128
.LBB469_31:
	s_or_b64 exec, exec, s[2:3]
	v_lshrrev_b32_e32 v41, 3, v36
	v_lshlrev_b32_e32 v42, 3, v35
	v_or_b32_e32 v41, v42, v41
	v_lshlrev_b32_e32 v41, 4, v41
	v_and_b32_e32 v42, 0x78, v42
	v_xor_b32_e32 v41, v41, v42
	s_branch .LBB469_34
.LBB469_32:
                                        ; implicit-def: $vgpr41
                                        ; implicit-def: $vgpr39
                                        ; implicit-def: $vgpr22_vgpr23_vgpr24_vgpr25
                                        ; implicit-def: $vgpr18_vgpr19_vgpr20_vgpr21
                                        ; implicit-def: $vgpr30_vgpr31_vgpr32_vgpr33
                                        ; implicit-def: $vgpr26_vgpr27_vgpr28_vgpr29
	s_cbranch_execz .LBB469_34
; %bb.33:
	s_waitcnt vmcnt(0)
	v_lshlrev_b32_e32 v18, 1, v36
	v_lshl_or_b32 v39, v35, 8, v18
	s_and_b32 s1, s1, 0xffff
	s_mov_b32 s3, 0x20000
	s_movk_i32 s2, 0x4000
	v_lshl_or_b32 v41, v38, 8, v18
	s_movk_i32 s14, 0x80
	buffer_load_dwordx4 v[22:25], v39, s[0:3], 0 offen
	buffer_load_dwordx4 v[18:21], v39, s[0:3], s14 offen
	;; [unrolled: 1-line block ×4, first 2 shown]
	v_lshrrev_b32_e32 v39, 3, v36
	v_lshlrev_b32_e32 v41, 3, v35
	v_or_b32_e32 v39, v41, v39
	v_lshlrev_b32_e32 v39, 4, v39
	v_and_b32_e32 v41, 0x78, v41
	v_xor_b32_e32 v41, v39, v41
	v_lshlrev_b32_e32 v39, 7, v38
.LBB469_34:
	s_lshl_b64 s[0:1], s[46:47], 8
	s_add_u32 s12, s12, s0
	s_movk_i32 s0, 0x1000
	v_and_or_b32 v38, v39, s0, v41
	s_waitcnt vmcnt(1)
	ds_write_b64 v41, v[22:23] offset:24576
	v_xor_b32_e32 v22, 8, v41
	ds_write_b64 v22, v[24:25] offset:24576
	s_waitcnt vmcnt(0)
	ds_write_b64 v41, v[18:19] offset:32768
	ds_write_b64 v22, v[20:21] offset:32768
	;; [unrolled: 1-line block ×3, first 2 shown]
	v_xor_b32_e32 v18, 8, v38
	ds_write_b64 v18, v[32:33] offset:24576
	ds_write_b64 v38, v[26:27] offset:32768
	;; [unrolled: 1-line block ×3, first 2 shown]
	v_or_b32_e32 v18, v62, v65
	v_lshlrev_b32_e32 v18, 3, v18
	v_lshrrev_b32_e32 v19, 5, v63
	s_movk_i32 s14, 0xf8
	v_and_or_b32 v19, v18, s14, v19
	v_lshlrev_b32_e32 v23, 4, v19
	v_lshlrev_b32_e32 v41, 11, v53
	v_and_b32_e32 v24, 0x78, v18
	v_or_b32_e32 v26, 32, v23
	v_and_b32_e32 v22, 0x1000, v41
	v_lshrrev_b32_e32 v19, 1, v63
	v_xor_b32_e32 v26, v26, v24
	v_xor_b32_e32 v18, v23, v24
	v_and_b32_e32 v25, 8, v19
	v_or_b32_e32 v26, v26, v22
	v_or_b32_e32 v18, v18, v22
	v_xor_b32_e32 v45, v26, v25
	v_or_b32_e32 v26, 64, v23
	v_xor_b32_e32 v44, v18, v25
	v_xor_b32_e32 v26, v26, v24
	s_waitcnt lgkmcnt(0)
	s_barrier
	v_or_b32_e32 v28, v26, v22
	ds_read_b64 v[26:27], v44 offset:24576
	v_lshl_or_b32 v38, v64, 7, v40
	v_lshlrev_b32_e32 v42, 1, v38
	v_add_u32_e32 v18, 0xa000, v42
	ds_read2_b64 v[18:21], v18 offset1:16
	v_or_b32_e32 v23, 0x60, v23
	v_xor_b32_e32 v23, v23, v24
	s_waitcnt lgkmcnt(0)
	v_mfma_f32_16x16x16_bf16 a[0:3], v[26:27], v[18:19], 0
	v_or_b32_e32 v18, 64, v38
	v_or_b32_e32 v22, v23, v22
	v_lshlrev_b32_e32 v43, 1, v18
	v_xor_b32_e32 v46, v28, v25
	v_xor_b32_e32 v47, v22, v25
	ds_read_b64 v[28:29], v45 offset:24576
	ds_read_b64 v[30:31], v46 offset:24576
	;; [unrolled: 1-line block ×3, first 2 shown]
	v_mfma_f32_16x16x16_bf16 a[4:7], v[26:27], v[20:21], 0
	ds_read2st64_b64 v[18:21], v43 offset0:82 offset1:84
	ds_read2st64_b64 v[22:25], v42 offset0:82 offset1:84
	s_addc_u32 s13, s13, s1
	s_add_i32 s20, s43, -1
	s_add_i32 s0, s51, s50
	s_add_i32 s25, s0, s52
	s_mul_i32 s0, s48, s27
	s_mul_hi_u32 s1, s48, s26
	s_ashr_i32 s2, s20, 31
	s_mul_i32 s3, s20, s11
	s_mul_hi_u32 s14, s20, s10
	s_add_i32 s0, s1, s0
	s_mul_i32 s1, s37, s26
	s_add_i32 s3, s14, s3
	s_mul_i32 s2, s2, s10
	s_waitcnt lgkmcnt(1)
	v_mfma_f32_16x16x16_bf16 a[4:7], v[28:29], v[18:19], a[4:7]
	s_add_i32 s1, s0, s1
	s_add_i32 s3, s3, s2
	s_lshl_b64 s[14:15], s[24:25], 2
	s_waitcnt lgkmcnt(0)
	v_mfma_f32_16x16x16_bf16 a[0:3], v[28:29], v[22:23], a[0:3]
	s_mul_i32 s0, s48, s26
	s_add_u32 s14, s18, s14
	s_addc_u32 s15, s19, s15
	s_lshl_b64 s[0:1], s[0:1], 2
	s_mul_i32 s2, s20, s10
	s_add_u32 s18, s14, s0
	ds_read_b64 v[18:19], v42 offset:44032
	v_mfma_f32_16x16x16_bf16 a[4:7], v[30:31], v[20:21], a[4:7]
	ds_read_b64 v[20:21], v43 offset:44032
	s_addc_u32 s19, s15, s1
	s_lshl_b64 s[0:1], s[2:3], 2
	v_mfma_f32_16x16x16_bf16 a[0:3], v[30:31], v[24:25], a[0:3]
	s_add_u32 s0, s18, s0
	s_addc_u32 s1, s19, s1
	s_load_dword s22, s[0:1], 0x0
	s_waitcnt lgkmcnt(0)
	v_mfma_f32_16x16x16_bf16 a[0:3], v[32:33], v[18:19], a[0:3]
	s_and_b64 vcc, exec, s[44:45]
	v_mfma_f32_16x16x16_bf16 a[4:7], v[32:33], v[20:21], a[4:7]
	s_cbranch_vccz .LBB469_45
; %bb.35:
	v_lshlrev_b32_e32 v38, 1, v35
	s_and_b64 vcc, exec, s[4:5]
	s_cbranch_vccz .LBB469_46
; %bb.36:
	v_cmp_gt_i32_e32 vcc, s58, v38
	v_mov_b32_e32 v22, 0
	v_mov_b32_e32 v18, 0
	;; [unrolled: 1-line block ×5, first 2 shown]
	s_and_saveexec_b64 s[0:1], vcc
	s_cbranch_execz .LBB469_38
; %bb.37:
	v_mad_i64_i32 v[18:19], s[2:3], s23, v38, 0
	v_lshl_add_u64 v[18:19], v[18:19], 1, s[12:13]
	v_lshlrev_b32_e32 v20, 1, v36
	v_mov_b32_e32 v21, 0
	v_lshl_add_u64 v[18:19], v[18:19], 0, v[20:21]
	global_load_dwordx4 v[18:21], v[18:19], off
.LBB469_38:
	s_or_b64 exec, exec, s[0:1]
	v_or_b32_e32 v39, 1, v38
	v_cmp_gt_i32_e64 s[0:1], s58, v39
	v_mov_b32_e32 v23, 0
	v_mov_b32_e32 v24, 0
	;; [unrolled: 1-line block ×3, first 2 shown]
	s_and_saveexec_b64 s[2:3], s[0:1]
	s_cbranch_execz .LBB469_40
; %bb.39:
	v_mad_i64_i32 v[22:23], s[14:15], s23, v39, 0
	v_lshl_add_u64 v[22:23], v[22:23], 1, s[12:13]
	v_lshlrev_b32_e32 v24, 1, v36
	v_mov_b32_e32 v25, 0
	v_lshl_add_u64 v[22:23], v[22:23], 0, v[24:25]
	global_load_dwordx4 v[22:25], v[22:23], off
.LBB469_40:
	s_or_b64 exec, exec, s[2:3]
	v_mov_b32_e32 v33, 0
	v_mov_b32_e32 v26, 0
	;; [unrolled: 1-line block ×5, first 2 shown]
	s_and_saveexec_b64 s[2:3], vcc
	s_cbranch_execz .LBB469_42
; %bb.41:
	v_mad_i64_i32 v[26:27], s[14:15], s23, v38, 0
	v_lshl_add_u64 v[26:27], v[26:27], 1, s[12:13]
	v_lshlrev_b32_e32 v28, 1, v36
	v_mov_b32_e32 v29, 0
	v_lshl_add_u64 v[26:27], v[26:27], 0, v[28:29]
	global_load_dwordx4 v[26:29], v[26:27], off offset:128
.LBB469_42:
	s_or_b64 exec, exec, s[2:3]
	v_mov_b32_e32 v32, 0
	v_mov_b32_e32 v31, 0
	;; [unrolled: 1-line block ×3, first 2 shown]
	s_and_saveexec_b64 s[2:3], s[0:1]
	s_cbranch_execz .LBB469_44
; %bb.43:
	v_mad_i64_i32 v[30:31], s[0:1], s23, v39, 0
	v_lshl_add_u64 v[30:31], v[30:31], 1, s[12:13]
	v_lshlrev_b32_e32 v32, 1, v36
	v_mov_b32_e32 v33, 0
	v_lshl_add_u64 v[30:31], v[30:31], 0, v[32:33]
	global_load_dwordx4 v[30:33], v[30:31], off offset:128
.LBB469_44:
	s_or_b64 exec, exec, s[2:3]
	s_branch .LBB469_48
.LBB469_45:
                                        ; implicit-def: $vgpr21
                                        ; implicit-def: $vgpr25
                                        ; implicit-def: $vgpr29
                                        ; implicit-def: $vgpr33
	v_lshrrev_b32_e32 v48, 2, v63
	s_branch .LBB469_49
.LBB469_46:
                                        ; implicit-def: $vgpr21
                                        ; implicit-def: $vgpr25
                                        ; implicit-def: $vgpr29
                                        ; implicit-def: $vgpr33
	s_cbranch_execz .LBB469_48
; %bb.47:
	s_waitcnt vmcnt(0)
	v_mad_u64_u32 v[18:19], s[0:1], v38, s23, v[36:37]
	v_lshlrev_b32_e32 v38, 1, v18
	s_lshl_b32 s2, s23, 7
	s_and_b32 s1, s13, 0xffff
	s_mov_b32 s3, 0x20000
	s_mov_b32 s0, s12
	v_add_lshl_u32 v39, v18, s23, 1
	s_movk_i32 s14, 0x80
	buffer_load_dwordx4 v[18:21], v38, s[0:3], 0 offen
	buffer_load_dwordx4 v[26:29], v38, s[0:3], s14 offen
	;; [unrolled: 1-line block ×4, first 2 shown]
.LBB469_48:
	v_lshrrev_b32_e32 v48, 2, v63
	s_cbranch_execnz .LBB469_61
.LBB469_49:
	s_and_b64 vcc, exec, s[4:5]
	s_cbranch_vccz .LBB469_59
; %bb.50:
	s_waitcnt vmcnt(0)
	v_lshlrev_b32_e32 v23, 1, v35
	v_cmp_gt_i32_e32 vcc, s58, v23
	v_mov_b32_e32 v22, 0
	v_lshlrev_b32_e32 v30, 9, v35
	v_mov_b32_e32 v18, 0
	v_mov_b32_e32 v19, 0
	;; [unrolled: 1-line block ×4, first 2 shown]
	s_and_saveexec_b64 s[0:1], vcc
	s_cbranch_execz .LBB469_52
; %bb.51:
	v_mov_b32_e32 v31, 0
	v_lshl_add_u64 v[18:19], s[12:13], 0, v[30:31]
	v_lshlrev_b32_e32 v20, 1, v36
	v_mov_b32_e32 v21, v31
	v_lshl_add_u64 v[18:19], v[18:19], 0, v[20:21]
	global_load_dwordx4 v[18:21], v[18:19], off
.LBB469_52:
	s_or_b64 exec, exec, s[0:1]
	v_or_b32_e32 v23, 1, v23
	v_cmp_gt_i32_e64 s[0:1], s58, v23
	v_lshlrev_b32_e32 v38, 8, v23
	v_mov_b32_e32 v23, 0
	v_mov_b32_e32 v24, 0
	;; [unrolled: 1-line block ×3, first 2 shown]
	s_and_saveexec_b64 s[2:3], s[0:1]
	s_cbranch_execz .LBB469_54
; %bb.53:
	v_mov_b32_e32 v39, 0
	v_lshl_add_u64 v[22:23], s[12:13], 0, v[38:39]
	v_lshlrev_b32_e32 v24, 1, v36
	v_mov_b32_e32 v25, v39
	v_lshl_add_u64 v[22:23], v[22:23], 0, v[24:25]
	global_load_dwordx4 v[22:25], v[22:23], off
.LBB469_54:
	s_or_b64 exec, exec, s[2:3]
	v_mov_b32_e32 v33, 0
	v_mov_b32_e32 v26, 0
	;; [unrolled: 1-line block ×5, first 2 shown]
	s_and_saveexec_b64 s[2:3], vcc
	s_cbranch_execz .LBB469_56
; %bb.55:
	v_mov_b32_e32 v31, 0
	v_lshl_add_u64 v[26:27], s[12:13], 0, v[30:31]
	v_lshlrev_b32_e32 v30, 1, v36
	v_lshl_add_u64 v[26:27], v[26:27], 0, v[30:31]
	global_load_dwordx4 v[26:29], v[26:27], off offset:128
.LBB469_56:
	s_or_b64 exec, exec, s[2:3]
	v_mov_b32_e32 v32, 0
	v_mov_b32_e32 v31, 0
	;; [unrolled: 1-line block ×3, first 2 shown]
	s_and_saveexec_b64 s[2:3], s[0:1]
	s_cbranch_execz .LBB469_58
; %bb.57:
	v_mov_b32_e32 v39, 0
	v_lshl_add_u64 v[30:31], s[12:13], 0, v[38:39]
	v_lshlrev_b32_e32 v38, 1, v36
	v_lshl_add_u64 v[30:31], v[30:31], 0, v[38:39]
	global_load_dwordx4 v[30:33], v[30:31], off offset:128
.LBB469_58:
	s_or_b64 exec, exec, s[2:3]
	s_branch .LBB469_61
.LBB469_59:
                                        ; implicit-def: $vgpr21
                                        ; implicit-def: $vgpr25
                                        ; implicit-def: $vgpr29
                                        ; implicit-def: $vgpr33
	s_cbranch_execz .LBB469_61
; %bb.60:
	s_waitcnt vmcnt(0)
	v_lshlrev_b32_e32 v18, 1, v36
	v_lshl_or_b32 v36, v35, 9, v18
	s_and_b32 s13, s13, 0xffff
	s_mov_b32 s15, 0x20000
	s_movk_i32 s14, 0x4000
	s_movk_i32 s0, 0x80
	buffer_load_dwordx4 v[18:21], v36, s[12:15], 0 offen
	buffer_load_dwordx4 v[22:25], v36, s[12:15], 0 offen offset:256
	buffer_load_dwordx4 v[26:29], v36, s[12:15], s0 offen
	buffer_load_dwordx4 v[30:33], v36, s[12:15], s0 offen offset:256
.LBB469_61:
	ds_read_b64 v[38:39], v44 offset:32768
	v_add_u32_e32 v36, 0xb000, v42
	ds_read2_b64 v[54:57], v36 offset1:16
	ds_read_b64 v[50:51], v45 offset:32768
	ds_read_b64 v[58:59], v46 offset:32768
	;; [unrolled: 1-line block ×3, first 2 shown]
	ds_read2st64_b64 v[44:47], v42 offset0:90 offset1:92
	v_and_b32_e32 v36, 12, v48
	v_and_b32_e32 v48, 6, v0
	v_xor_b32_e32 v35, v35, v48
	v_lshlrev_b32_e32 v35, 2, v35
	s_mov_b32 s0, 0x1000504
	s_waitcnt lgkmcnt(4)
	v_mfma_f32_16x16x16_bf16 a[0:3], v[38:39], v[54:55], a[0:3]
	s_mov_b32 s1, 0x3020706
	v_mfma_f32_16x16x16_bf16 a[4:7], v[38:39], v[56:57], a[4:7]
	ds_read2st64_b64 v[54:57], v43 offset0:90 offset1:92
	s_waitcnt lgkmcnt(1)
	v_mfma_f32_16x16x16_bf16 a[0:3], v[50:51], v[44:45], a[0:3]
	ds_read_b64 v[38:39], v42 offset:48128
	ds_read_b64 v[44:45], v43 offset:48128
	s_waitcnt lgkmcnt(2)
	v_mfma_f32_16x16x16_bf16 a[4:7], v[50:51], v[54:55], a[4:7]
	v_mfma_f32_16x16x16_bf16 a[0:3], v[58:59], v[46:47], a[0:3]
	v_and_b32_e32 v46, 1, v0
	v_xor_b32_e32 v47, 0x440, v35
	v_cmp_eq_u32_e32 vcc, 0, v46
	v_mfma_f32_16x16x16_bf16 a[8:11], v[58:59], v[56:57], a[4:7]
	s_nop 0
	v_cndmask_b32_e32 v35, v47, v35, vcc
	v_lshl_or_b32 v35, v48, 10, v35
	s_waitcnt lgkmcnt(1)
	v_mfma_f32_16x16x16_bf16 a[4:7], v[60:61], v[38:39], a[0:3]
	s_waitcnt vmcnt(0)
	v_perm_b32 v38, v18, v22, s0
	v_perm_b32 v39, v26, v30, s0
	ds_write2st64_b32 v35, v38, v39 offset0:32 offset1:64
	v_xor_b32_e32 v38, 8, v35
	v_perm_b32 v18, v18, v22, s1
	v_perm_b32 v22, v26, v30, s1
	v_add_u32_e32 v26, 0x80, v38
	ds_write2st64_b32 v26, v18, v22 offset0:32 offset1:64
	v_xor_b32_e32 v18, 16, v35
	v_perm_b32 v22, v19, v23, s0
	v_perm_b32 v26, v27, v31, s0
	ds_write2st64_b32 v18, v22, v26 offset0:33 offset1:65
	v_xor_b32_e32 v18, 24, v35
	v_perm_b32 v19, v19, v23, s1
	v_perm_b32 v22, v27, v31, s1
	v_add_u32_e32 v18, 0x80, v18
	ds_write2st64_b32 v18, v19, v22 offset0:33 offset1:65
	v_xor_b32_e32 v18, 32, v35
	v_perm_b32 v19, v20, v24, s0
	v_perm_b32 v22, v28, v32, s0
	ds_write2st64_b32 v18, v19, v22 offset0:34 offset1:66
	v_xor_b32_e32 v18, 40, v35
	s_waitcnt lgkmcnt(5)
	v_mfma_f32_16x16x16_bf16 a[0:3], v[60:61], v[44:45], a[8:11]
	v_perm_b32 v19, v20, v24, s1
	v_perm_b32 v20, v28, v32, s1
	v_add_u32_e32 v18, 0x80, v18
	ds_write2st64_b32 v18, v19, v20 offset0:34 offset1:66
	v_xor_b32_e32 v18, 48, v35
	v_perm_b32 v19, v21, v25, s0
	v_perm_b32 v20, v29, v33, s0
	ds_write2st64_b32 v18, v19, v20 offset0:35 offset1:67
	v_xor_b32_e32 v18, 56, v35
	v_or_b32_e32 v38, v36, v62
	v_perm_b32 v19, v21, v25, s1
	v_perm_b32 v20, v29, v33, s1
	v_add_u32_e32 v18, 0x80, v18
	v_cmp_gt_i32_e32 vcc, s58, v38
	v_mov_b32_e32 v44, 0
	v_mov_b32_e32 v45, 0
	ds_write2st64_b32 v18, v19, v20 offset0:35 offset1:67
	s_and_saveexec_b64 s[0:1], vcc
	s_cbranch_execz .LBB469_63
; %bb.62:
	v_add_u32_e32 v18, s36, v38
	v_ashrrev_i32_e32 v19, 31, v18
	v_mul_lo_u32 v20, v19, s10
	v_mul_lo_u32 v21, v18, s11
	v_mad_u64_u32 v[18:19], s[2:3], v18, s10, 0
	v_add3_u32 v19, v19, v21, v20
	v_lshl_add_u64 v[18:19], v[18:19], 2, s[18:19]
	global_load_dword v18, v[18:19], off
	s_waitcnt vmcnt(0)
	v_sub_f32_e32 v18, s22, v18
	v_mul_f32_e32 v18, 0x3fb8aa3b, v18
	v_exp_f32_e32 v45, v18
.LBB469_63:
	s_or_b64 exec, exec, s[0:1]
	v_or_b32_e32 v27, 1, v38
	v_cmp_gt_i32_e64 s[2:3], s58, v27
	s_and_saveexec_b64 s[0:1], s[2:3]
	s_cbranch_execz .LBB469_65
; %bb.64:
	v_add_u32_e32 v18, s36, v27
	v_ashrrev_i32_e32 v19, 31, v18
	v_mul_lo_u32 v20, v19, s10
	v_mul_lo_u32 v21, v18, s11
	v_mad_u64_u32 v[18:19], s[4:5], v18, s10, 0
	v_add3_u32 v19, v19, v21, v20
	v_lshl_add_u64 v[18:19], v[18:19], 2, s[18:19]
	global_load_dword v18, v[18:19], off
	s_waitcnt vmcnt(0)
	v_sub_f32_e32 v18, s22, v18
	v_mul_f32_e32 v18, 0x3fb8aa3b, v18
	v_exp_f32_e32 v44, v18
.LBB469_65:
	s_or_b64 exec, exec, s[0:1]
	v_or_b32_e32 v26, 2, v38
	v_cmp_gt_i32_e64 s[4:5], s58, v26
	v_mov_b32_e32 v39, 0
	v_mov_b32_e32 v46, 0
	s_and_saveexec_b64 s[0:1], s[4:5]
	s_cbranch_execz .LBB469_67
; %bb.66:
	v_add_u32_e32 v18, s36, v26
	v_ashrrev_i32_e32 v19, 31, v18
	v_mul_lo_u32 v20, v19, s10
	v_mul_lo_u32 v21, v18, s11
	v_mad_u64_u32 v[18:19], s[12:13], v18, s10, 0
	v_add3_u32 v19, v19, v21, v20
	v_lshl_add_u64 v[18:19], v[18:19], 2, s[18:19]
	global_load_dword v18, v[18:19], off
	s_waitcnt vmcnt(0)
	v_sub_f32_e32 v18, s22, v18
	v_mul_f32_e32 v18, 0x3fb8aa3b, v18
	v_exp_f32_e32 v46, v18
.LBB469_67:
	s_or_b64 exec, exec, s[0:1]
	v_or_b32_e32 v47, 3, v38
	v_cmp_gt_i32_e64 s[0:1], s58, v47
	s_and_saveexec_b64 s[12:13], s[0:1]
	s_cbranch_execz .LBB469_69
; %bb.68:
	v_add_u32_e32 v18, s36, v47
	v_ashrrev_i32_e32 v19, 31, v18
	v_mul_lo_u32 v20, v19, s10
	v_mul_lo_u32 v21, v18, s11
	v_mad_u64_u32 v[18:19], s[10:11], v18, s10, 0
	v_add3_u32 v19, v19, v21, v20
	v_lshl_add_u64 v[18:19], v[18:19], 2, s[18:19]
	global_load_dword v18, v[18:19], off
	s_waitcnt vmcnt(0)
	v_sub_f32_e32 v18, s22, v18
	v_mul_f32_e32 v18, 0x3fb8aa3b, v18
	v_exp_f32_e32 v39, v18
.LBB469_69:
	s_or_b64 exec, exec, s[12:13]
	s_add_u32 s10, s16, s38
	s_addc_u32 s11, s17, s39
	s_add_u32 s6, s6, s38
	v_ashrrev_i32_e32 v35, 31, v34
	v_accvgpr_read_b32 v21, a7
	s_addc_u32 s7, s7, s39
	v_lshlrev_b64 v[22:23], 1, v[34:35]
	v_accvgpr_read_b32 v20, a6
	v_accvgpr_read_b32 v19, a5
	;; [unrolled: 1-line block ×3, first 2 shown]
	v_lshl_add_u64 v[24:25], s[10:11], 0, v[22:23]
	v_lshl_add_u64 v[22:23], s[6:7], 0, v[22:23]
	v_mov_b32_e32 v31, 0
	v_lshlrev_b32_e32 v28, 8, v38
	v_mov_b32_e32 v29, 0
	s_and_saveexec_b64 s[6:7], vcc
	s_cbranch_execz .LBB469_71
; %bb.70:
	v_mov_b32_e32 v29, 0
	v_lshl_add_u64 v[32:33], v[24:25], 0, v[28:29]
	global_load_ushort v30, v[32:33], off
	v_lshl_add_u64 v[32:33], v[22:23], 0, v[28:29]
	s_waitcnt vmcnt(0)
	v_lshlrev_b32_e32 v29, 16, v30
	v_sub_f32_e32 v18, v29, v18
	global_store_short_d16_hi v[32:33], v18, off
	v_mul_f32_e32 v18, v45, v18
	v_lshrrev_b32_e32 v29, 16, v18
.LBB469_71:
	s_or_b64 exec, exec, s[6:7]
	v_lshlrev_b32_e32 v30, 8, v27
	s_and_saveexec_b64 s[6:7], s[2:3]
	s_cbranch_execz .LBB469_73
; %bb.72:
	v_mov_b32_e32 v31, 0
	v_lshl_add_u64 v[32:33], v[24:25], 0, v[30:31]
	global_load_ushort v18, v[32:33], off
	v_lshl_add_u64 v[32:33], v[22:23], 0, v[30:31]
	s_waitcnt vmcnt(0)
	v_lshlrev_b32_e32 v18, 16, v18
	v_sub_f32_e32 v18, v18, v19
	global_store_short_d16_hi v[32:33], v18, off
	v_mul_f32_e32 v18, v44, v18
	v_lshrrev_b32_e32 v31, 16, v18
.LBB469_73:
	s_or_b64 exec, exec, s[6:7]
	v_mov_b32_e32 v27, 0
	v_lshlrev_b32_e32 v32, 8, v26
	v_mov_b32_e32 v33, 0
	s_and_saveexec_b64 s[6:7], s[4:5]
	s_cbranch_execz .LBB469_75
; %bb.74:
	v_mov_b32_e32 v33, 0
	v_lshl_add_u64 v[18:19], v[24:25], 0, v[32:33]
	global_load_ushort v26, v[18:19], off
	v_lshl_add_u64 v[18:19], v[22:23], 0, v[32:33]
	s_waitcnt vmcnt(0)
	v_lshlrev_b32_e32 v26, 16, v26
	v_sub_f32_e32 v20, v26, v20
	global_store_short_d16_hi v[18:19], v20, off
	v_mul_f32_e32 v18, v46, v20
	v_lshrrev_b32_e32 v33, 16, v18
.LBB469_75:
	s_or_b64 exec, exec, s[6:7]
	v_lshlrev_b32_e32 v26, 8, v47
	s_and_saveexec_b64 s[6:7], s[0:1]
	s_cbranch_execz .LBB469_77
; %bb.76:
	v_mov_b32_e32 v27, 0
	v_lshl_add_u64 v[18:19], v[24:25], 0, v[26:27]
	global_load_ushort v20, v[18:19], off
	v_lshl_add_u64 v[18:19], v[22:23], 0, v[26:27]
	s_waitcnt vmcnt(0)
	v_lshlrev_b32_e32 v20, 16, v20
	v_sub_f32_e32 v20, v20, v21
	global_store_short_d16_hi v[18:19], v20, off
	v_mul_f32_e32 v18, v39, v20
	v_lshrrev_b32_e32 v27, 16, v18
.LBB469_77:
	s_or_b64 exec, exec, s[6:7]
	v_lshlrev_b32_e32 v35, 5, v38
	s_mov_b32 s6, 0x5040100
	v_accvgpr_read_b32 v21, a3
	v_perm_b32 v49, v27, v33, s6
	v_or_b32_e32 v27, v35, v40
	v_accvgpr_read_b32 v20, a2
	v_accvgpr_read_b32 v19, a1
	;; [unrolled: 1-line block ×3, first 2 shown]
	v_perm_b32 v48, v31, v29, s6
	v_lshlrev_b32_e32 v27, 1, v27
	v_mov_b32_e32 v31, 0
	v_mov_b32_e32 v29, 0
	ds_write_b64 v27, v[48:49] offset:45056
	s_and_saveexec_b64 s[6:7], vcc
	s_cbranch_execz .LBB469_79
; %bb.78:
	v_mov_b32_e32 v29, 0
	v_lshl_add_u64 v[48:49], v[24:25], 0, v[28:29]
	global_load_ushort v27, v[48:49], off offset:32
	v_lshl_add_u64 v[28:29], v[22:23], 0, v[28:29]
	s_waitcnt vmcnt(0)
	v_lshlrev_b32_e32 v27, 16, v27
	v_sub_f32_e32 v18, v27, v18
	global_store_short_d16_hi v[28:29], v18, off offset:32
	v_mul_f32_e32 v18, v45, v18
	v_lshrrev_b32_e32 v29, 16, v18
.LBB469_79:
	s_or_b64 exec, exec, s[6:7]
	s_and_saveexec_b64 s[6:7], s[2:3]
	s_cbranch_execz .LBB469_81
; %bb.80:
	v_mov_b32_e32 v31, 0
	v_lshl_add_u64 v[48:49], v[24:25], 0, v[30:31]
	global_load_ushort v18, v[48:49], off offset:32
	v_lshl_add_u64 v[30:31], v[22:23], 0, v[30:31]
	s_waitcnt vmcnt(0)
	v_lshlrev_b32_e32 v18, 16, v18
	v_sub_f32_e32 v18, v18, v19
	global_store_short_d16_hi v[30:31], v18, off offset:32
	v_mul_f32_e32 v18, v44, v18
	v_lshrrev_b32_e32 v31, 16, v18
.LBB469_81:
	s_or_b64 exec, exec, s[6:7]
	v_mov_b32_e32 v27, 0
	v_mov_b32_e32 v28, 0
	s_and_saveexec_b64 s[2:3], s[4:5]
	s_cbranch_execz .LBB469_83
; %bb.82:
	v_mov_b32_e32 v33, 0
	v_lshl_add_u64 v[18:19], v[24:25], 0, v[32:33]
	global_load_ushort v28, v[18:19], off offset:32
	v_lshl_add_u64 v[18:19], v[22:23], 0, v[32:33]
	s_waitcnt vmcnt(0)
	v_lshlrev_b32_e32 v28, 16, v28
	v_sub_f32_e32 v20, v28, v20
	global_store_short_d16_hi v[18:19], v20, off offset:32
	v_mul_f32_e32 v18, v46, v20
	v_lshrrev_b32_e32 v28, 16, v18
.LBB469_83:
	s_or_b64 exec, exec, s[2:3]
	v_or_b32_e32 v19, 0xb000, v42
	v_or_b32_e32 v18, 0xb000, v43
	s_and_saveexec_b64 s[2:3], s[0:1]
	s_cbranch_execz .LBB469_85
; %bb.84:
	v_mov_b32_e32 v27, 0
	v_lshl_add_u64 v[24:25], v[24:25], 0, v[26:27]
	global_load_ushort v20, v[24:25], off offset:32
	v_lshl_add_u64 v[22:23], v[22:23], 0, v[26:27]
	s_waitcnt vmcnt(0)
	v_lshlrev_b32_e32 v20, 16, v20
	v_sub_f32_e32 v20, v20, v21
	global_store_short_d16_hi v[22:23], v20, off offset:32
	v_mul_f32_e32 v20, v39, v20
	v_lshrrev_b32_e32 v27, 16, v20
.LBB469_85:
	s_or_b64 exec, exec, s[2:3]
	s_mov_b32 s0, 0x5040100
	v_or_b32_e32 v22, v35, v37
	v_perm_b32 v21, v27, v28, s0
	v_perm_b32 v20, v31, v29, s0
	v_lshlrev_b32_e32 v22, 1, v22
	s_movk_i32 s2, 0x100
	ds_write_b64 v22, v[20:21] offset:45056
	v_and_b32_e32 v20, 7, v0
	v_and_b32_e32 v21, 8, v0
	v_cmp_gt_u32_e32 vcc, s2, v0
	v_lshrrev_b32_e32 v0, 1, v0
	v_lshlrev_b32_e32 v26, 3, v20
	v_lshlrev_b32_e32 v35, 7, v20
	v_mov_b32_e32 v20, 0x4000
	v_mov_b32_e32 v22, 0x2000
	v_lshlrev_b32_e32 v24, 3, v53
	v_and_b32_e32 v0, 24, v0
	v_cndmask_b32_e32 v27, v20, v22, vcc
	v_xor_b32_e32 v20, v24, v0
	v_or_b32_e32 v22, 0x440, v20
	v_cmp_eq_u32_e32 vcc, 0, v21
	v_or_b32_e32 v28, 32, v0
	v_xor_b32_e32 v28, v24, v28
	v_cndmask_b32_e32 v20, v22, v20, vcc
	v_or_b32_e32 v20, v20, v41
	v_xor_b32_e32 v48, v20, v26
	v_or_b32_e32 v29, 0x440, v28
	v_add3_u32 v25, v27, v48, v35
	v_cndmask_b32_e32 v28, v29, v28, vcc
	v_or_b32_e32 v29, 64, v0
	v_or_b32_e32 v0, 0x60, v0
	s_waitcnt lgkmcnt(0)
	s_barrier
	v_xor_b32_e32 v29, v24, v29
	v_xor_b32_e32 v0, v24, v0
	ds_read_b64 v[24:25], v25
	v_xor_b32_e32 v30, 0x440, v29
	ds_read2_b64 v[20:23], v19 offset1:16
	v_cndmask_b32_e32 v29, v30, v29, vcc
	v_xor_b32_e32 v30, 0x440, v0
	v_or_b32_e32 v28, v28, v41
	v_or_b32_e32 v29, v29, v41
	v_cndmask_b32_e32 v0, v30, v0, vcc
	v_xor_b32_e32 v50, v28, v26
	v_xor_b32_e32 v51, v29, v26
	v_or_b32_e32 v0, v0, v41
	v_add3_u32 v28, v27, v50, v35
	v_add3_u32 v29, v27, v51, v35
	v_xor_b32_e32 v52, v0, v26
	s_mul_i32 s0, s20, s21
	s_mul_hi_i32 s1, s20, s21
	v_add3_u32 v0, v27, v52, v35
	ds_read_b64 v[26:27], v28
	ds_read_b64 v[32:33], v29
	ds_read_b64 v[44:45], v0
	s_add_u32 s0, s0, s48
	ds_read2st64_b64 v[28:31], v19 offset0:2 offset1:4
	ds_read2st64_b64 v[40:43], v18 offset0:2 offset1:4
	s_waitcnt lgkmcnt(5)
	v_mfma_f32_16x16x16_bf16 a[0:3], v[24:25], v[20:21], 0
	s_addc_u32 s1, s1, s37
	s_lshl_b64 s[0:1], s[0:1], 9
	s_add_u32 s0, s40, s0
	v_mfma_f32_16x16x16_bf16 a[4:7], v[24:25], v[22:23], 0
	s_addc_u32 s1, s41, s1
	v_lshlrev_b32_e32 v0, 2, v38
	v_lshlrev_b32_e32 v36, 2, v36
	s_waitcnt lgkmcnt(1)
	v_mfma_f32_16x16x16_bf16 a[0:3], v[26:27], v[28:29], a[0:3]
	ds_read_b64 v[46:47], v19 offset:3072
	s_waitcnt lgkmcnt(1)
	v_mfma_f32_16x16x16_bf16 a[4:7], v[26:27], v[40:41], a[4:7]
	global_load_dwordx4 v[24:27], v0, s[0:1]
	v_lshlrev_b32_e32 v0, 6, v53
	v_or3_b32 v0, v0, v36, s2
	global_load_dwordx4 v[36:39], v0, s[0:1]
	v_mfma_f32_16x16x16_bf16 a[0:3], v[32:33], v[30:31], a[0:3]
	v_mov_b32_e32 v0, 0x3fb8aa3b
	v_mul_f32_e32 v0, s22, v0
	v_exp_f32_e32 v0, v0
	v_mfma_f32_16x16x16_bf16 a[4:7], v[32:33], v[42:43], a[4:7]
	ds_read_b64 v[32:33], v18 offset:3072
	s_waitcnt vmcnt(1)
	v_mul_f32_e32 v18, 0x3fb8aa3b, v24
	v_mul_f32_e32 v19, 0x3fb8aa3b, v25
	s_waitcnt lgkmcnt(1)
	v_mfma_f32_16x16x16_bf16 a[0:3], v[44:45], v[46:47], a[0:3]
	v_exp_f32_e32 v18, v18
	v_exp_f32_e32 v19, v19
	v_mul_f32_e32 v24, 0x3fb8aa3b, v26
	v_mul_f32_e32 v25, 0x3fb8aa3b, v27
	v_exp_f32_e32 v24, v24
	v_exp_f32_e32 v25, v25
	s_nop 0
	v_accvgpr_read_b32 v27, a3
	v_accvgpr_read_b32 v26, a2
	s_waitcnt lgkmcnt(0)
	v_mfma_f32_16x16x16_bf16 a[2:5], v[44:45], v[32:33], a[4:7]
	v_pk_mul_f32 v[44:45], v[0:1], v[18:19] op_sel_hi:[0,1]
	v_add_u32_e32 v18, v48, v35
	ds_read_b64 v[48:49], v18 offset:16384
	v_accvgpr_read_b32 v19, a1
	v_accvgpr_read_b32 v18, a0
	v_pk_fma_f32 v[18:19], v[2:3], v[44:45], v[18:19]
	v_add_u32_e32 v2, v50, v35
	v_add_u32_e32 v50, v51, v35
	s_waitcnt lgkmcnt(0)
	v_mfma_f32_16x16x16_bf16 a[6:9], v[48:49], v[20:21], 0
	v_add_u32_e32 v35, v52, v35
	ds_read_b64 v[2:3], v2 offset:16384
	ds_read_b64 v[50:51], v50 offset:16384
	ds_read_b64 v[52:53], v35 offset:16384
	v_pk_mul_f32 v[24:25], v[0:1], v[24:25] op_sel_hi:[0,1]
	v_pk_fma_f32 v[20:21], v[4:5], v[24:25], v[26:27]
	v_accvgpr_read_b32 v4, a2
	v_mfma_f32_16x16x16_bf16 a[10:13], v[48:49], v[22:23], 0
	v_fma_f32 v26, v10, v44, v4
	v_accvgpr_read_b32 v4, a3
	v_fma_f32 v27, v11, v45, v4
	s_waitcnt lgkmcnt(2)
	v_mfma_f32_16x16x16_bf16 a[0:3], v[2:3], v[28:29], a[6:9]
	v_accvgpr_read_b32 v4, a4
	v_accvgpr_read_b32 v29, a5
	v_fma_f32 v28, v12, v24, v4
	v_mfma_f32_16x16x16_bf16 a[4:7], v[2:3], v[40:41], a[10:13]
	s_waitcnt vmcnt(0)
	v_mov_b32_e32 v2, v37
	v_mov_b32_e32 v3, v38
	v_mov_b32_e32 v4, v39
	s_waitcnt lgkmcnt(1)
	v_mfma_f32_16x16x16_bf16 a[0:3], v[50:51], v[30:31], a[0:3]
	v_mul_f32_e32 v2, 0x3fb8aa3b, v2
	v_mul_f32_e32 v5, 0x3fb8aa3b, v36
	v_exp_f32_e32 v11, v2
	v_mfma_f32_16x16x16_bf16 a[4:7], v[50:51], v[42:43], a[4:7]
	v_mul_f32_e32 v2, 0x3fb8aa3b, v3
	v_mul_f32_e32 v3, 0x3fb8aa3b, v4
	v_exp_f32_e32 v10, v5
	s_waitcnt lgkmcnt(0)
	v_mfma_f32_16x16x16_bf16 a[0:3], v[52:53], v[46:47], a[0:3]
	v_exp_f32_e32 v2, v2
	v_exp_f32_e32 v3, v3
	v_pk_mul_f32 v[10:11], v[0:1], v[10:11] op_sel_hi:[0,1]
	v_fmac_f32_e32 v29, v13, v25
	v_mov_b32_e32 v35, v34
	v_pk_mul_f32 v[2:3], v[0:1], v[2:3] op_sel_hi:[0,1]
	s_nop 0
	v_accvgpr_read_b32 v5, a3
	v_accvgpr_read_b32 v4, a2
	v_mfma_f32_16x16x16_bf16 a[2:5], v[52:53], v[32:33], a[4:7]
	v_accvgpr_read_b32 v13, a1
	v_accvgpr_read_b32 v12, a0
	v_pk_fma_f32 v[22:23], v[6:7], v[10:11], v[12:13]
	v_pk_fma_f32 v[24:25], v[8:9], v[2:3], v[4:5]
	s_nop 2
	v_accvgpr_read_b32 v0, a2
	v_fma_f32 v30, v14, v10, v0
	v_accvgpr_read_b32 v0, a3
	v_fma_f32 v31, v15, v11, v0
	v_accvgpr_read_b32 v0, a4
	v_accvgpr_read_b32 v33, a5
	v_fma_f32 v32, v16, v2, v0
	v_fmac_f32_e32 v33, v17, v3
	v_mov_b64_e32 v[2:3], v[18:19]
	v_mov_b64_e32 v[4:5], v[20:21]
	;; [unrolled: 1-line block ×8, first 2 shown]
.LBB469_86:
	s_mul_i32 s0, s49, s35
	s_mul_hi_u32 s1, s49, s34
	s_add_i32 s0, s1, s0
	s_mul_i32 s1, s33, s34
	s_add_i32 s1, s0, s1
	s_mul_i32 s0, s49, s34
	s_add_u32 s0, s0, s48
	s_addc_u32 s1, s1, s37
	s_lshl_b64 s[0:1], s[0:1], 16
	s_add_u32 s0, s8, s0
	v_lshlrev_b32_e32 v18, 7, v35
	s_addc_u32 s1, s9, s1
	v_ashrrev_i32_e32 v19, 31, v18
	v_lshl_add_u64 v[20:21], v[18:19], 2, s[0:1]
	v_lshlrev_b32_e32 v0, 2, v1
	v_mov_b32_e32 v1, 0
	v_lshl_add_u64 v[20:21], v[20:21], 0, v[0:1]
	global_store_dwordx4 v[20:21], v[2:5], off
	global_store_dwordx4 v[20:21], v[6:9], off offset:256
	s_nop 0
	v_or_b32_e32 v2, 0x800, v18
	v_ashrrev_i32_e32 v3, 31, v2
	v_lshl_add_u64 v[2:3], v[2:3], 2, s[0:1]
	v_lshl_add_u64 v[0:1], v[2:3], 0, v[0:1]
	global_store_dwordx4 v[0:1], v[10:13], off
	global_store_dwordx4 v[0:1], v[14:17], off offset:256
	s_endpgm
	.section	.rodata,"a",@progbits
	.p2align	6, 0x0
	.amdhsa_kernel _ZN12_GLOBAL__N_139chunk_gated_delta_rule_fwd_h_hip_kernelILi32ELb0ELb1ELb1ELb1ELb0ELb1ELb0ELb0EEEvPK12hip_bfloat16S3_S3_PKfS5_PKvPS1_S8_PvPKiSB_iiiiilll
		.amdhsa_group_segment_fixed_size 49152
		.amdhsa_private_segment_fixed_size 0
		.amdhsa_kernarg_size 136
		.amdhsa_user_sgpr_count 2
		.amdhsa_user_sgpr_dispatch_ptr 0
		.amdhsa_user_sgpr_queue_ptr 0
		.amdhsa_user_sgpr_kernarg_segment_ptr 1
		.amdhsa_user_sgpr_dispatch_id 0
		.amdhsa_user_sgpr_kernarg_preload_length 0
		.amdhsa_user_sgpr_kernarg_preload_offset 0
		.amdhsa_user_sgpr_private_segment_size 0
		.amdhsa_uses_dynamic_stack 0
		.amdhsa_enable_private_segment 0
		.amdhsa_system_sgpr_workgroup_id_x 1
		.amdhsa_system_sgpr_workgroup_id_y 1
		.amdhsa_system_sgpr_workgroup_id_z 0
		.amdhsa_system_sgpr_workgroup_info 0
		.amdhsa_system_vgpr_workitem_id 0
		.amdhsa_next_free_vgpr 168
		.amdhsa_next_free_sgpr 70
		.amdhsa_accum_offset 144
		.amdhsa_reserve_vcc 1
		.amdhsa_float_round_mode_32 0
		.amdhsa_float_round_mode_16_64 0
		.amdhsa_float_denorm_mode_32 3
		.amdhsa_float_denorm_mode_16_64 3
		.amdhsa_dx10_clamp 1
		.amdhsa_ieee_mode 1
		.amdhsa_fp16_overflow 0
		.amdhsa_tg_split 0
		.amdhsa_exception_fp_ieee_invalid_op 0
		.amdhsa_exception_fp_denorm_src 0
		.amdhsa_exception_fp_ieee_div_zero 0
		.amdhsa_exception_fp_ieee_overflow 0
		.amdhsa_exception_fp_ieee_underflow 0
		.amdhsa_exception_fp_ieee_inexact 0
		.amdhsa_exception_int_div_zero 0
	.end_amdhsa_kernel
	.section	.text._ZN12_GLOBAL__N_139chunk_gated_delta_rule_fwd_h_hip_kernelILi32ELb0ELb1ELb1ELb1ELb0ELb1ELb0ELb0EEEvPK12hip_bfloat16S3_S3_PKfS5_PKvPS1_S8_PvPKiSB_iiiiilll,"axG",@progbits,_ZN12_GLOBAL__N_139chunk_gated_delta_rule_fwd_h_hip_kernelILi32ELb0ELb1ELb1ELb1ELb0ELb1ELb0ELb0EEEvPK12hip_bfloat16S3_S3_PKfS5_PKvPS1_S8_PvPKiSB_iiiiilll,comdat
.Lfunc_end469:
	.size	_ZN12_GLOBAL__N_139chunk_gated_delta_rule_fwd_h_hip_kernelILi32ELb0ELb1ELb1ELb1ELb0ELb1ELb0ELb0EEEvPK12hip_bfloat16S3_S3_PKfS5_PKvPS1_S8_PvPKiSB_iiiiilll, .Lfunc_end469-_ZN12_GLOBAL__N_139chunk_gated_delta_rule_fwd_h_hip_kernelILi32ELb0ELb1ELb1ELb1ELb0ELb1ELb0ELb0EEEvPK12hip_bfloat16S3_S3_PKfS5_PKvPS1_S8_PvPKiSB_iiiiilll
                                        ; -- End function
	.section	.AMDGPU.csdata,"",@progbits
; Kernel info:
; codeLenInByte = 10012
; NumSgprs: 76
; NumVgprs: 142
; NumAgprs: 24
; TotalNumVgprs: 168
; ScratchSize: 0
; MemoryBound: 0
; FloatMode: 240
; IeeeMode: 1
; LDSByteSize: 49152 bytes/workgroup (compile time only)
; SGPRBlocks: 9
; VGPRBlocks: 20
; NumSGPRsForWavesPerEU: 76
; NumVGPRsForWavesPerEU: 168
; AccumOffset: 144
; Occupancy: 1
; WaveLimiterHint : 1
; COMPUTE_PGM_RSRC2:SCRATCH_EN: 0
; COMPUTE_PGM_RSRC2:USER_SGPR: 2
; COMPUTE_PGM_RSRC2:TRAP_HANDLER: 0
; COMPUTE_PGM_RSRC2:TGID_X_EN: 1
; COMPUTE_PGM_RSRC2:TGID_Y_EN: 1
; COMPUTE_PGM_RSRC2:TGID_Z_EN: 0
; COMPUTE_PGM_RSRC2:TIDIG_COMP_CNT: 0
; COMPUTE_PGM_RSRC3_GFX90A:ACCUM_OFFSET: 35
; COMPUTE_PGM_RSRC3_GFX90A:TG_SPLIT: 0
	.section	.text._ZN12_GLOBAL__N_139chunk_gated_delta_rule_fwd_h_hip_kernelILi32ELb0ELb1ELb0ELb1ELb0ELb1ELb0ELb0EEEvPK12hip_bfloat16S3_S3_PKfS5_PKvPS1_S8_PvPKiSB_iiiiilll,"axG",@progbits,_ZN12_GLOBAL__N_139chunk_gated_delta_rule_fwd_h_hip_kernelILi32ELb0ELb1ELb0ELb1ELb0ELb1ELb0ELb0EEEvPK12hip_bfloat16S3_S3_PKfS5_PKvPS1_S8_PvPKiSB_iiiiilll,comdat
	.globl	_ZN12_GLOBAL__N_139chunk_gated_delta_rule_fwd_h_hip_kernelILi32ELb0ELb1ELb0ELb1ELb0ELb1ELb0ELb0EEEvPK12hip_bfloat16S3_S3_PKfS5_PKvPS1_S8_PvPKiSB_iiiiilll ; -- Begin function _ZN12_GLOBAL__N_139chunk_gated_delta_rule_fwd_h_hip_kernelILi32ELb0ELb1ELb0ELb1ELb0ELb1ELb0ELb0EEEvPK12hip_bfloat16S3_S3_PKfS5_PKvPS1_S8_PvPKiSB_iiiiilll
	.p2align	8
	.type	_ZN12_GLOBAL__N_139chunk_gated_delta_rule_fwd_h_hip_kernelILi32ELb0ELb1ELb0ELb1ELb0ELb1ELb0ELb0EEEvPK12hip_bfloat16S3_S3_PKfS5_PKvPS1_S8_PvPKiSB_iiiiilll,@function
_ZN12_GLOBAL__N_139chunk_gated_delta_rule_fwd_h_hip_kernelILi32ELb0ELb1ELb0ELb1ELb0ELb1ELb0ELb0EEEvPK12hip_bfloat16S3_S3_PKfS5_PKvPS1_S8_PvPKiSB_iiiiilll: ; @_ZN12_GLOBAL__N_139chunk_gated_delta_rule_fwd_h_hip_kernelILi32ELb0ELb1ELb0ELb1ELb0ELb1ELb0ELb0EEEvPK12hip_bfloat16S3_S3_PKfS5_PKvPS1_S8_PvPKiSB_iiiiilll
; %bb.0:
	s_load_dwordx4 s[16:19], s[0:1], 0x5c
	s_load_dwordx4 s[20:23], s[0:1], 0x70
	s_abs_i32 s27, s3
	s_ashr_i32 s26, s3, 31
	s_load_dwordx8 s[4:11], s[0:1], 0x0
	s_load_dwordx2 s[36:37], s[0:1], 0x20
	s_load_dwordx2 s[40:41], s[0:1], 0x30
	s_waitcnt lgkmcnt(0)
	s_abs_i32 s28, s17
	v_cvt_f32_u32_e32 v1, s28
	s_sub_i32 s29, 0, s28
	s_ashr_i32 s33, s17, 31
	s_xor_b32 s26, s26, s33
	v_rcp_iflag_f32_e32 v1, v1
	s_load_dwordx4 s[12:15], s[0:1], 0x40
	s_load_dwordx2 s[24:25], s[0:1], 0x50
	v_lshrrev_b32_e32 v53, 6, v0
	v_bfe_u32 v62, v0, 4, 2
	v_mul_f32_e32 v1, 0x4f7ffffe, v1
	v_cvt_u32_f32_e32 v1, v1
	v_lshlrev_b32_e32 v60, 4, v53
	v_lshlrev_b32_e32 v18, 2, v62
	v_and_b32_e32 v61, 63, v0
	v_readfirstlane_b32 s30, v1
	s_mul_i32 s29, s29, s30
	s_mul_hi_u32 s29, s30, s29
	s_add_i32 s30, s30, s29
	s_mul_hi_u32 s29, s27, s30
	s_mul_i32 s30, s29, s28
	s_sub_i32 s27, s27, s30
	s_add_i32 s30, s29, 1
	s_sub_i32 s31, s27, s28
	s_cmp_ge_u32 s27, s28
	s_cselect_b32 s29, s30, s29
	s_cselect_b32 s27, s31, s27
	s_add_i32 s30, s29, 1
	s_cmp_ge_u32 s27, s28
	s_cselect_b32 s27, s30, s29
	s_xor_b32 s27, s27, s26
	s_sub_i32 s34, s27, s26
	s_mul_i32 s26, s34, s17
	s_ashr_i32 s35, s34, 31
	s_sub_i32 s46, s3, s26
	s_lshl_b64 s[26:27], s[34:35], 2
	s_waitcnt lgkmcnt(0)
	s_add_u32 s14, s14, s26
	s_addc_u32 s15, s15, s27
	s_add_u32 s24, s24, s26
	s_addc_u32 s25, s25, s27
	s_abs_i32 s3, s18
	v_cvt_f32_u32_e32 v1, s3
	s_load_dwordx2 s[38:39], s[14:15], 0x0
	s_sub_i32 s15, 0, s3
	s_load_dword s52, s[24:25], 0x0
	v_rcp_iflag_f32_e32 v1, v1
	v_mov_b32_e32 v17, 0
	s_waitcnt lgkmcnt(0)
	s_sub_i32 s56, s39, s38
	s_ashr_i32 s14, s56, 31
	v_mul_f32_e32 v1, 0x4f7ffffe, v1
	v_cvt_u32_f32_e32 v1, v1
	s_lshr_b32 s14, s14, 26
	s_add_i32 s14, s56, s14
	s_ashr_i32 s51, s14, 6
	v_readfirstlane_b32 s26, v1
	s_mul_i32 s15, s15, s26
	s_mul_hi_u32 s15, s26, s15
	s_add_i32 s26, s26, s15
	s_mul_hi_u32 s15, s28, s26
	s_mul_i32 s26, s15, s3
	s_ashr_i32 s14, s18, 31
	s_sub_i32 s26, s28, s26
	s_xor_b32 s14, s33, s14
	s_add_i32 s27, s15, 1
	s_sub_i32 s28, s26, s3
	s_cmp_ge_u32 s26, s3
	s_cselect_b32 s15, s27, s15
	s_cselect_b32 s26, s28, s26
	s_add_i32 s27, s15, 1
	s_cmp_ge_u32 s26, s3
	s_cselect_b32 s3, s27, s15
	s_xor_b32 s3, s3, s14
	s_sub_i32 s3, s3, s14
	s_abs_i32 s26, s3
	v_cvt_f32_u32_e32 v1, s26
	s_load_dwordx2 s[14:15], s[0:1], 0x80
	s_xor_b32 s0, s46, s3
	s_sub_i32 s3, 0, s26
	v_rcp_iflag_f32_e32 v1, v1
	s_abs_i32 s1, s46
	s_ashr_i32 s0, s0, 31
	s_mov_b32 s47, s17
	v_mul_f32_e32 v1, 0x4f7ffffe, v1
	v_cvt_u32_f32_e32 v1, v1
	v_and_b32_e32 v63, 15, v0
	s_mul_hi_i32 s53, s46, s16
	s_mul_i32 s54, s46, s16
	v_readfirstlane_b32 s24, v1
	s_mul_i32 s3, s3, s24
	s_mul_hi_u32 s3, s24, s3
	s_add_i32 s24, s24, s3
	s_mul_hi_u32 s3, s1, s24
	s_mul_i32 s24, s3, s26
	s_sub_i32 s1, s1, s24
	s_add_i32 s24, s3, 1
	s_sub_i32 s25, s1, s26
	s_cmp_ge_u32 s1, s26
	s_cselect_b32 s3, s24, s3
	s_cselect_b32 s1, s25, s1
	s_add_i32 s24, s3, 1
	s_cmp_ge_u32 s1, s26
	s_cselect_b32 s1, s24, s3
	s_xor_b32 s1, s1, s0
	s_sub_i32 s55, s1, s0
	v_or_b32_e32 v1, v18, v60
	s_lshl_b32 s2, s2, 5
	v_or_b32_e32 v66, 64, v1
	s_cmp_lt_i32 s56, 64
	v_lshrrev_b32_e32 v65, 3, v61
	v_lshlrev_b32_e32 v64, 3, v0
	s_mul_i32 s48, s34, s21
	s_mul_hi_u32 s49, s34, s20
	s_mul_i32 s50, s35, s20
	s_mul_i32 s20, s34, s20
	v_mov_b32_e32 v16, v17
	v_mov_b32_e32 v15, v17
	;; [unrolled: 1-line block ×15, first 2 shown]
	s_cbranch_scc1 .LBB470_19
; %bb.1:
	s_ashr_i32 s58, s46, 31
	s_ashr_i32 s1, s38, 31
	s_add_u32 s0, s54, s38
	s_addc_u32 s1, s53, s1
	s_lshl_b64 s[0:1], s[0:1], 8
	v_and_b32_e32 v68, 56, v64
	s_add_u32 s24, s6, s0
	v_lshl_or_b32 v67, v53, 3, v65
	v_lshlrev_b32_e32 v2, 1, v68
	s_addc_u32 s0, s7, s1
	v_lshl_or_b32 v69, v67, 8, v2
	s_and_b32 s25, s0, 0xffff
	s_mov_b32 s27, 0x20000
	s_movk_i32 s26, 0x4000
	s_movk_i32 s0, 0x80
	v_or_b32_e32 v70, 0x2000, v69
	buffer_load_dwordx4 v[4:7], v69, s[24:27], 0 offen
	buffer_load_dwordx4 v[8:11], v69, s[24:27], s0 offen
	buffer_load_dwordx4 v[12:15], v70, s[24:27], 0 offen
	buffer_load_dwordx4 v[20:23], v70, s[24:27], s0 offen
	v_lshlrev_b32_e32 v3, 3, v67
	v_and_or_b32 v17, v0, 7, v3
	v_and_b32_e32 v3, 0x78, v3
	v_lshlrev_b32_e32 v17, 4, v17
	v_xor_b32_e32 v71, v17, v3
	v_mul_lo_u32 v16, v67, s19
	v_or_b32_e32 v72, 0x1000, v71
	v_xor_b32_e32 v3, 8, v71
	s_cmpk_eq_i32 s19, 0x80
	s_mov_b32 s57, s38
	v_xor_b32_e32 v17, 8, v72
	s_cselect_b64 s[0:1], -1, 0
	s_cmpk_lg_i32 s19, 0x80
	s_waitcnt vmcnt(3)
	ds_write_b64 v71, v[4:5] offset:24576
	ds_write_b64 v3, v[6:7] offset:24576
	s_waitcnt vmcnt(2)
	ds_write_b64 v71, v[8:9] offset:32768
	ds_write_b64 v3, v[10:11] offset:32768
	;; [unrolled: 3-line block ×4, first 2 shown]
	v_lshl_add_u32 v3, v16, 1, v68
	s_cbranch_scc0 .LBB470_3
; %bb.2:
	v_lshlrev_b32_e32 v5, 1, v3
	v_add_lshl_u32 v4, v3, s19, 1
	s_lshl_b32 s26, s19, 7
	v_lshl_or_b32 v2, v67, 9, v2
	s_cbranch_execz .LBB470_4
	s_branch .LBB470_5
.LBB470_3:
                                        ; implicit-def: $vgpr4
                                        ; implicit-def: $vgpr5
                                        ; implicit-def: $sgpr26
	v_lshl_or_b32 v2, v67, 9, v2
.LBB470_4:
	v_or_b32_e32 v4, 0x100, v2
	s_movk_i32 s26, 0x4000
	v_mov_b32_e32 v5, v2
.LBB470_5:
	s_mul_i32 s21, s38, s18
	s_ashr_i32 s59, s55, 31
	s_mul_hi_i32 s3, s38, s18
	s_add_u32 s24, s21, s55
	s_addc_u32 s25, s3, s59
	s_lshl_b64 s[24:25], s[24:25], 8
	s_add_u32 s24, s4, s24
	s_addc_u32 s3, s5, s25
	s_and_b32 s25, s3, 0xffff
	s_movk_i32 s60, 0x80
	buffer_load_dwordx4 v[6:9], v5, s[24:27], 0 offen
	buffer_load_dwordx4 v[10:13], v5, s[24:27], s60 offen
	;; [unrolled: 1-line block ×4, first 2 shown]
	v_and_b32_e32 v4, 6, v0
	v_lshlrev_b32_e32 v24, 6, v1
	v_or_b32_e32 v26, 16, v63
	v_xor_b32_e32 v27, v67, v4
	v_and_b32_e32 v5, 1, v0
	v_lshl_or_b32 v30, v63, 3, v24
	v_lshl_or_b32 v24, v26, 3, v24
	v_lshlrev_b32_e32 v27, 2, v27
	v_lshlrev_b32_e32 v19, 2, v63
	s_mul_i32 s3, s46, s23
	s_mul_hi_u32 s21, s46, s22
	v_or_b32_e32 v75, 0xa000, v24
	v_or_b32_e32 v76, 0xb000, v24
	v_xor_b32_e32 v24, 0x440, v27
	v_cmp_eq_u32_e32 vcc, 0, v5
	s_add_i32 s25, s49, s48
	s_mul_i32 s24, s58, s22
	v_xor_b32_e32 v28, v1, v19
	v_xor_b32_e32 v29, v66, v19
	v_cndmask_b32_e32 v5, v24, v27, vcc
	s_add_i32 s3, s21, s3
	s_add_i32 s21, s25, s50
	s_mov_b32 s61, 0x1000504
	v_lshlrev_b32_e32 v25, 8, v63
	v_lshlrev_b32_e32 v26, 8, v26
	;; [unrolled: 1-line block ×4, first 2 shown]
	v_lshl_or_b32 v4, v4, 10, v5
	s_add_i32 s25, s3, s24
	s_lshl_b64 s[28:29], s[20:21], 2
	s_mov_b32 s62, 0x3020706
	v_or_b32_e32 v73, 0xa000, v30
	v_or_b32_e32 v74, 0xb000, v30
	;; [unrolled: 1-line block ×5, first 2 shown]
	v_xor_b32_e32 v5, 8, v4
	v_xor_b32_e32 v25, 24, v4
	;; [unrolled: 1-line block ×4, first 2 shown]
	s_mul_i32 s24, s46, s22
	s_add_u32 s3, s10, s28
	v_or_b32_e32 v79, v26, v28
	v_xor_b32_e32 v24, 16, v4
	v_xor_b32_e32 v26, 32, v4
	v_xor_b32_e32 v28, 48, v4
	v_add_u32_e32 v5, 0x80, v5
	v_add_u32_e32 v25, 0x80, v25
	;; [unrolled: 1-line block ×4, first 2 shown]
	s_addc_u32 s21, s11, s29
	s_lshl_b64 s[24:25], s[24:25], 2
	s_add_u32 s42, s3, s24
	s_movk_i32 s3, 0xf8
	s_addc_u32 s43, s21, s25
	s_lshl_b32 s30, s19, 7
	s_movk_i32 s28, 0x100
	v_mov_b32_e32 v55, 0
	v_lshlrev_b32_e32 v54, 4, v63
	v_cmp_gt_u32_e32 vcc, s28, v0
	s_mov_b32 s63, 0
	s_movk_i32 s21, 0x1000
	s_movk_i32 s26, 0x4000
	v_add_u32_e32 v94, v60, v18
	v_mov_b32_e32 v105, 0x3fb8aa3b
	v_mov_b32_e32 v106, v55
	;; [unrolled: 1-line block ×9, first 2 shown]
	s_waitcnt vmcnt(1)
	v_perm_b32 v30, v6, v14, s61
	s_waitcnt vmcnt(0)
	v_perm_b32 v31, v10, v20, s61
	v_perm_b32 v6, v6, v14, s62
	;; [unrolled: 1-line block ×15, first 2 shown]
	ds_write2st64_b32 v4, v30, v31 offset0:32 offset1:64
	ds_write2st64_b32 v5, v6, v10 offset0:32 offset1:64
	;; [unrolled: 1-line block ×8, first 2 shown]
	v_or_b32_e32 v4, v60, v63
	v_lshlrev_b32_e32 v4, 3, v4
	v_lshrrev_b32_e32 v6, 5, v61
	v_and_or_b32 v6, v4, s3, v6
	v_lshlrev_b32_e32 v6, 4, v6
	v_lshrrev_b32_e32 v5, 2, v61
	v_lshlrev_b32_e32 v11, 11, v53
	v_and_b32_e32 v4, 0x78, v4
	v_or_b32_e32 v10, 32, v6
	v_and_b32_e32 v7, 12, v5
	v_and_b32_e32 v5, 0x1000, v11
	v_xor_b32_e32 v8, v6, v4
	v_lshrrev_b32_e32 v9, 1, v61
	v_xor_b32_e32 v10, v10, v4
	v_or_b32_e32 v8, v8, v5
	v_and_b32_e32 v9, 8, v9
	v_lshlrev_b32_e32 v12, 7, v62
	v_or_b32_e32 v10, v10, v5
	v_xor_b32_e32 v81, v8, v9
	v_or_b32_e32 v8, v12, v19
	v_xor_b32_e32 v83, v10, v9
	v_or_b32_e32 v10, 64, v6
	v_or_b32_e32 v6, 0x60, v6
	s_ashr_i32 s3, s2, 31
	v_lshlrev_b32_e32 v8, 1, v8
	v_xor_b32_e32 v10, v10, v4
	v_xor_b32_e32 v4, v6, v4
	s_lshl_b64 s[24:25], s[2:3], 8
	v_or_b32_e32 v82, 0xa000, v8
	v_or_b32_e32 v84, 0xa080, v8
	v_or_b32_e32 v10, v10, v5
	v_or_b32_e32 v4, v4, v5
	v_or_b32_e32 v87, 0xb000, v8
	v_or_b32_e32 v88, 0xb080, v8
	s_add_u32 s24, s40, s24
	v_lshlrev_b32_e32 v8, 1, v63
	v_lshlrev_b32_e32 v19, 2, v0
	v_lshrrev_b32_e32 v22, 1, v0
	v_xor_b32_e32 v85, v10, v9
	v_xor_b32_e32 v86, v4, v9
	v_lshrrev_b32_e32 v10, 4, v0
	s_addc_u32 s25, s41, s25
	v_or_b32_e32 v9, 1, v8
	v_mov_b32_e32 v20, 0x4000
	v_mov_b32_e32 v21, 0x2000
	v_and_b32_e32 v22, 24, v22
	v_and_or_b32 v12, v19, 60, v12
	v_mov_b32_e32 v19, 0xb000
	v_xor_b32_e32 v15, v10, v8
	v_xor_b32_e32 v16, v9, v10
	v_lshl_add_u64 v[8:9], s[24:25], 0, v[54:55]
	v_lshlrev_b32_e32 v54, 8, v10
	v_cndmask_b32_e32 v20, v20, v21, vcc
	v_lshlrev_b32_e32 v21, 3, v53
	v_lshl_or_b32 v91, v12, 1, v19
	v_or_b32_e32 v12, 32, v22
	v_lshl_or_b32 v89, v15, 3, v54
	v_and_b32_e32 v15, 8, v0
	v_xor_b32_e32 v12, v21, v12
	v_cmp_eq_u32_e32 vcc, 0, v15
	v_or_b32_e32 v19, 0x440, v12
	v_and_b32_e32 v10, 7, v0
	v_cndmask_b32_e32 v12, v19, v12, vcc
	v_lshl_or_b32 v90, v16, 3, v54
	v_lshlrev_b32_e32 v16, 3, v10
	v_or_b32_e32 v12, v12, v11
	v_xor_b32_e32 v19, v12, v16
	v_or_b32_e32 v12, 64, v22
	v_xor_b32_e32 v12, v21, v12
	v_xor_b32_e32 v25, 0x440, v12
	v_cndmask_b32_e32 v12, v25, v12, vcc
	v_or_b32_e32 v12, v12, v11
	v_xor_b32_e32 v25, v12, v16
	v_or_b32_e32 v12, 0x60, v22
	v_xor_b32_e32 v23, v21, v22
	v_xor_b32_e32 v12, v21, v12
	v_or_b32_e32 v24, 0x440, v23
	v_xor_b32_e32 v21, 0x440, v12
	v_cndmask_b32_e32 v15, v24, v23, vcc
	v_cndmask_b32_e32 v12, v21, v12, vcc
	v_or_b32_e32 v15, v15, v11
	v_or_b32_e32 v11, v12, v11
	;; [unrolled: 1-line block ×3, first 2 shown]
	v_xor_b32_e32 v15, v15, v16
	v_xor_b32_e32 v11, v11, v16
	v_lshlrev_b32_e32 v6, 7, v1
	v_ashrrev_i32_e32 v5, 31, v4
	v_lshlrev_b32_e32 v13, 1, v3
	v_add_lshl_u32 v3, v3, s19, 1
	v_or_b32_e32 v14, 0x100, v2
	v_lshlrev_b32_e32 v17, 7, v10
	v_or_b32_e32 v10, v7, v60
	v_add_u32_e32 v23, v20, v15
	v_add_u32_e32 v24, v20, v19
	;; [unrolled: 1-line block ×4, first 2 shown]
	v_or3_b32 v12, v60, v7, 64
	v_add_u32_e32 v7, 0x4000, v15
	v_add_u32_e32 v15, 0x4000, v19
	;; [unrolled: 1-line block ×4, first 2 shown]
	v_cndmask_b32_e64 v92, v13, v2, s[0:1]
	v_cndmask_b32_e64 v93, v3, v14, s[0:1]
	v_lshl_add_u64 v[56:57], v[4:5], 1, s[8:9]
	v_lshl_add_u64 v[58:59], v[8:9], 0, v[54:55]
	s_mov_b32 s3, 0x7060302
	v_lshlrev_b32_e32 v54, 1, v6
	v_lshlrev_b32_e32 v95, 2, v10
	v_add_u32_e32 v96, v23, v17
	v_add_u32_e32 v97, v24, v17
	;; [unrolled: 1-line block ×4, first 2 shown]
	v_lshlrev_b32_e32 v100, 2, v12
	v_add_u32_e32 v101, v7, v17
	v_add_u32_e32 v102, v15, v17
	;; [unrolled: 1-line block ×4, first 2 shown]
	v_mov_b32_e32 v2, v55
	v_mov_b32_e32 v3, v55
	;; [unrolled: 1-line block ×8, first 2 shown]
	s_waitcnt lgkmcnt(0)
	s_barrier
.LBB470_6:                              ; =>This Inner Loop Header: Depth=1
	s_add_i32 s64, s63, 1
	s_cmp_lt_i32 s64, s51
	s_mov_b64 s[28:29], 0
	s_cselect_b64 s[44:45], -1, 0
	s_cmp_ge_i32 s64, s51
	s_mov_b64 s[24:25], 0
	s_cbranch_scc1 .LBB470_8
; %bb.7:                                ;   in Loop: Header=BB470_6 Depth=1
	s_add_i32 s0, s57, 64
	s_ashr_i32 s1, s0, 31
	s_add_u32 s0, s54, s0
	s_addc_u32 s1, s53, s1
	s_lshl_b64 s[0:1], s[0:1], 8
	s_add_u32 s24, s6, s0
	s_addc_u32 s25, s7, s1
.LBB470_8:                              ;   in Loop: Header=BB470_6 Depth=1
	v_cndmask_b32_e64 v10, 0, 1, s[44:45]
	v_cmp_ne_u32_e64 s[0:1], 1, v10
	s_andn2_b64 vcc, exec, s[44:45]
	s_cbranch_vccnz .LBB470_10
; %bb.9:                                ;   in Loop: Header=BB470_6 Depth=1
	s_add_i32 s28, s57, 64
	s_mul_hi_i32 s29, s28, s18
	s_mul_i32 s28, s28, s18
	s_add_u32 s28, s28, s55
	s_addc_u32 s29, s29, s59
	s_lshl_b64 s[28:29], s[28:29], 8
	s_add_u32 s28, s4, s28
	s_addc_u32 s29, s5, s29
.LBB470_10:                             ;   in Loop: Header=BB470_6 Depth=1
	v_perm_b32 v11, v5, v4, s3
	v_perm_b32 v10, v3, v2, s3
	v_perm_b32 v13, v9, v8, s3
	v_perm_b32 v12, v7, v6, s3
	ds_write_b64 v73, v[10:11]
	ds_write_b64 v74, v[12:13]
	ds_write_b64 v77, v[10:11]
	ds_write_b64 v78, v[12:13]
	v_perm_b32 v11, v113, v108, s3
	v_perm_b32 v10, v107, v106, s3
	;; [unrolled: 1-line block ×4, first 2 shown]
	ds_write_b64 v75, v[10:11]
	ds_write_b64 v76, v[12:13]
	;; [unrolled: 1-line block ×4, first 2 shown]
	s_waitcnt lgkmcnt(0)
	s_barrier
	ds_read_b64 v[14:15], v81 offset:24576
	ds_read2_b64 v[10:13], v82 offset1:16
	ds_read_b64 v[18:19], v84 offset:3072
	ds_read_b64 v[20:21], v82 offset:3072
	;; [unrolled: 1-line block ×3, first 2 shown]
	s_waitcnt lgkmcnt(3)
	v_mfma_f32_16x16x16_bf16 a[0:3], v[14:15], v[10:11], 0
	s_add_i32 s65, s57, 63
	s_ashr_i32 s31, s65, 31
	s_mul_i32 s44, s65, s15
	v_mfma_f32_16x16x16_bf16 a[4:7], v[14:15], v[12:13], 0
	ds_read2st64_b64 v[10:13], v82 offset0:2 offset1:4
	s_mul_hi_u32 s45, s65, s14
	s_add_i32 s44, s45, s44
	s_waitcnt lgkmcnt(0)
	v_mfma_f32_16x16x16_bf16 a[0:3], v[22:23], v[10:11], a[0:3]
	ds_read2st64_b64 v[14:17], v84 offset0:2 offset1:4
	ds_read_b64 v[10:11], v85 offset:24576
	s_mul_i32 s31, s31, s14
	s_add_i32 s45, s44, s31
	s_waitcnt lgkmcnt(1)
	v_mfma_f32_16x16x16_bf16 a[4:7], v[22:23], v[14:15], a[4:7]
	ds_read_b64 v[14:15], v86 offset:24576
	s_mul_i32 s44, s65, s14
	s_lshl_b64 s[44:45], s[44:45], 2
	s_waitcnt lgkmcnt(1)
	v_mfma_f32_16x16x16_bf16 a[0:3], v[10:11], v[12:13], a[0:3]
	s_add_u32 s44, s42, s44
	s_addc_u32 s45, s43, s45
	s_and_b64 vcc, exec, s[0:1]
	v_mfma_f32_16x16x16_bf16 a[4:7], v[10:11], v[16:17], a[4:7]
	v_mov_b32_e32 v116, 0
	v_mov_b32_e32 v115, 0
	;; [unrolled: 1-line block ×3, first 2 shown]
	s_waitcnt lgkmcnt(0)
	v_mfma_f32_16x16x16_bf16 a[0:3], v[14:15], v[20:21], a[0:3]
	v_mov_b32_e32 v10, 0
	v_mov_b32_e32 v11, 0
	v_mov_b32_e32 v12, 0
	v_mfma_f32_16x16x16_bf16 a[4:7], v[14:15], v[18:19], a[4:7]
	v_mov_b32_e32 v13, 0
	v_mov_b32_e32 v14, 0
	;; [unrolled: 1-line block ×13, first 2 shown]
	s_cbranch_vccnz .LBB470_12
; %bb.11:                               ;   in Loop: Header=BB470_6 Depth=1
	s_and_b32 s25, s25, 0xffff
	buffer_load_dwordx4 v[22:25], v69, s[24:27], 0 offen
	buffer_load_dwordx4 v[18:21], v69, s[24:27], s60 offen
	;; [unrolled: 1-line block ×4, first 2 shown]
	v_mov_b32_e32 v115, v71
	v_mov_b32_e32 v114, v72
.LBB470_12:                             ;   in Loop: Header=BB470_6 Depth=1
	ds_read_b64 v[30:31], v81 offset:32768
	ds_read2_b64 v[26:29], v87 offset1:16
	ds_read_b64 v[34:35], v83 offset:32768
	ds_read_b64 v[36:37], v85 offset:32768
	;; [unrolled: 1-line block ×3, first 2 shown]
	v_add_u32_e32 v40, s57, v94
	s_waitcnt lgkmcnt(3)
	v_mfma_f32_16x16x16_bf16 a[0:3], v[30:31], v[26:27], a[0:3]
	v_mul_lo_u32 v41, v40, s15
	v_mov_b32_e32 v117, 0
	v_mfma_f32_16x16x16_bf16 a[4:7], v[30:31], v[28:29], a[4:7]
	ds_read2st64_b64 v[26:29], v87 offset0:2 offset1:4
	ds_read2st64_b64 v[30:33], v88 offset0:2 offset1:4
	s_waitcnt lgkmcnt(1)
	v_mfma_f32_16x16x16_bf16 a[0:3], v[34:35], v[26:27], a[0:3]
	v_ashrrev_i32_e32 v26, 31, v40
	v_mul_lo_u32 v42, v26, s14
	v_mad_u64_u32 v[26:27], s[24:25], v40, s14, 0
	v_mfma_f32_16x16x16_bf16 a[0:3], v[36:37], v[28:29], a[0:3]
	v_add_u32_e32 v28, 1, v40
	v_ashrrev_i32_e32 v29, 31, v28
	v_add3_u32 v27, v27, v41, v42
	s_waitcnt lgkmcnt(0)
	v_mfma_f32_16x16x16_bf16 a[4:7], v[34:35], v[30:31], a[4:7]
	v_mul_lo_u32 v30, v29, s14
	v_mul_lo_u32 v31, v28, s15
	v_mad_u64_u32 v[28:29], s[24:25], v28, s14, 0
	v_add3_u32 v29, v29, v31, v30
	v_add_u32_e32 v30, 2, v40
	v_ashrrev_i32_e32 v31, 31, v30
	v_mul_lo_u32 v34, v31, s14
	v_mul_lo_u32 v35, v30, s15
	v_mad_u64_u32 v[30:31], s[24:25], v30, s14, 0
	v_add3_u32 v31, v31, v35, v34
	v_add_u32_e32 v34, 3, v40
	v_ashrrev_i32_e32 v35, 31, v34
	v_mul_lo_u32 v40, v35, s14
	v_mul_lo_u32 v41, v34, s15
	v_mad_u64_u32 v[34:35], s[24:25], v34, s14, 0
	v_add3_u32 v35, v35, v41, v40
	s_ashr_i32 s25, s57, 31
	v_lshl_add_u64 v[26:27], v[26:27], 2, s[42:43]
	v_lshl_add_u64 v[34:35], v[34:35], 2, s[42:43]
	s_add_u32 s24, s54, s57
	v_lshl_add_u64 v[28:29], v[28:29], 2, s[42:43]
	v_lshl_add_u64 v[30:31], v[30:31], 2, s[42:43]
	global_load_dword v40, v[26:27], off
	global_load_dword v41, v[28:29], off
	;; [unrolled: 1-line block ×3, first 2 shown]
	s_nop 0
	global_load_dword v34, v[34:35], off
	s_addc_u32 s25, s53, s25
	s_lshl_b64 s[24:25], s[24:25], 8
	v_lshl_add_u64 v[26:27], v[56:57], 0, s[24:25]
	v_lshl_add_u64 v[26:27], v[26:27], 0, v[54:55]
	global_load_ushort v35, v[26:27], off offset:256
	global_load_ushort v43, v[26:27], off
	global_load_ushort v44, v[26:27], off offset:768
	global_load_ushort v45, v[26:27], off offset:512
	ds_read_b64 v[28:29], v87 offset:3072
	ds_read_b64 v[30:31], v88 offset:3072
	global_load_ushort v46, v[26:27], off offset:800
	global_load_ushort v47, v[26:27], off offset:544
	;; [unrolled: 1-line block ×4, first 2 shown]
	s_load_dword s24, s[44:45], 0x0
	v_mfma_f32_16x16x16_bf16 a[4:7], v[36:37], v[32:33], a[4:7]
	s_and_b64 vcc, exec, s[0:1]
	s_waitcnt vmcnt(11) lgkmcnt(0)
	v_sub_f32_e32 v32, s24, v40
	v_mfma_f32_16x16x16_bf16 a[0:3], v[38:39], v[28:29], a[0:3]
	s_waitcnt vmcnt(10)
	v_sub_f32_e32 v37, s24, v41
	v_mul_f32_e32 v36, 0x3fb8aa3b, v32
	v_mul_f32_e32 v37, 0x3fb8aa3b, v37
	v_mfma_f32_16x16x16_bf16 a[4:7], v[38:39], v[30:31], a[4:7]
	s_waitcnt vmcnt(9)
	v_sub_f32_e32 v38, s24, v42
	s_waitcnt vmcnt(8)
	v_sub_f32_e32 v39, s24, v34
	v_mul_f32_e32 v38, 0x3fb8aa3b, v38
	v_mul_f32_e32 v39, 0x3fb8aa3b, v39
	v_exp_f32_e32 v36, v36
	v_exp_f32_e32 v37, v37
	;; [unrolled: 1-line block ×4, first 2 shown]
	v_accvgpr_read_b32 v31, a1
	v_accvgpr_read_b32 v27, a3
	;; [unrolled: 1-line block ×4, first 2 shown]
	s_waitcnt vmcnt(7)
	v_lshlrev_b32_e32 v33, 16, v35
	s_waitcnt vmcnt(6)
	v_lshlrev_b32_e32 v32, 16, v43
	;; [unrolled: 2-line block ×4, first 2 shown]
	v_pk_add_f32 v[30:31], v[32:33], v[30:31] neg_lo:[0,1] neg_hi:[0,1]
	v_pk_add_f32 v[26:27], v[34:35], v[26:27] neg_lo:[0,1] neg_hi:[0,1]
	v_pk_mul_f32 v[30:31], v[36:37], v[30:31]
	v_pk_mul_f32 v[26:27], v[38:39], v[26:27]
	v_accvgpr_read_b32 v33, a5
	v_perm_b32 v27, v27, v26, s3
	v_perm_b32 v26, v31, v30, s3
	s_waitcnt vmcnt(1)
	v_lshlrev_b32_e32 v31, 16, v48
	s_waitcnt vmcnt(0)
	v_lshlrev_b32_e32 v30, 16, v49
	v_accvgpr_read_b32 v32, a4
	v_accvgpr_read_b32 v29, a7
	;; [unrolled: 1-line block ×3, first 2 shown]
	v_pk_add_f32 v[30:31], v[30:31], v[32:33] neg_lo:[0,1] neg_hi:[0,1]
	v_lshlrev_b32_e32 v33, 16, v46
	v_lshlrev_b32_e32 v32, 16, v47
	v_pk_add_f32 v[28:29], v[32:33], v[28:29] neg_lo:[0,1] neg_hi:[0,1]
	v_pk_mul_f32 v[30:31], v[36:37], v[30:31]
	v_pk_mul_f32 v[28:29], v[38:39], v[28:29]
	v_mov_b32_e32 v32, 0
	v_perm_b32 v29, v29, v28, s3
	v_perm_b32 v28, v31, v30, s3
	ds_write2_b64 v74, v[26:27], v[28:29] offset1:16
	v_mov_b32_e32 v26, 0
	v_mov_b32_e32 v27, 0
	;; [unrolled: 1-line block ×15, first 2 shown]
	s_cbranch_vccnz .LBB470_14
; %bb.13:                               ;   in Loop: Header=BB470_6 Depth=1
	s_and_b32 s29, s29, 0xffff
	s_mov_b32 s31, s27
	buffer_load_dwordx4 v[38:41], v92, s[28:31], 0 offen
	buffer_load_dwordx4 v[30:33], v92, s[28:31], s60 offen
	;; [unrolled: 1-line block ×4, first 2 shown]
	v_mov_b32_e32 v116, v68
	v_mov_b32_e32 v117, v67
.LBB470_14:                             ;   in Loop: Header=BB470_6 Depth=1
	s_waitcnt lgkmcnt(0)
	s_barrier
	ds_read_b64 v[46:47], v96
	ds_read_b64 v[122:123], v91
	;; [unrolled: 1-line block ×5, first 2 shown]
	ds_read_b64 v[136:137], v88 offset:3072
	ds_read2_b64 v[42:45], v87 offset0:16 offset1:128
	s_waitcnt lgkmcnt(5)
	v_mfma_f32_16x16x16_bf16 a[0:3], v[46:47], v[122:123], 0
	ds_read2st64_b64 v[48:51], v88 offset0:2 offset1:4
	s_add_i32 s25, s52, s63
	s_mul_hi_i32 s29, s25, s47
	s_waitcnt lgkmcnt(1)
	v_mfma_f32_16x16x16_bf16 a[4:7], v[46:47], v[42:43], 0
	ds_read_b64 v[46:47], v101
	s_mul_i32 s25, s25, s47
	s_add_u32 s28, s25, s46
	s_waitcnt lgkmcnt(1)
	v_mfma_f32_16x16x16_bf16 a[4:7], v[124:125], v[48:49], a[4:7]
	s_addc_u32 s29, s29, s58
	s_lshl_b64 s[28:29], s[28:29], 15
	s_mul_i32 s31, s65, s47
	s_mul_hi_i32 s25, s65, s47
	s_add_u32 s44, s31, s46
	v_mfma_f32_16x16x16_bf16 a[8:11], v[126:127], v[50:51], a[4:7]
	s_addc_u32 s45, s25, s58
	ds_read2st64_b64 v[118:121], v87 offset0:4 offset1:6
	s_lshl_b64 s[44:45], s[44:45], 9
	s_waitcnt lgkmcnt(1)
	v_mfma_f32_16x16x16_bf16 a[4:7], v[46:47], v[122:123], 0
	s_add_u32 s44, s36, s44
	s_addc_u32 s45, s37, s45
	v_mfma_f32_16x16x16_bf16 a[0:3], v[124:125], v[44:45], a[0:3]
	ds_read_b64 v[124:125], v102
	ds_read_b64 v[132:133], v103
	;; [unrolled: 1-line block ×3, first 2 shown]
	v_mfma_f32_16x16x16_bf16 a[12:15], v[46:47], v[42:43], 0
	s_waitcnt lgkmcnt(2)
	v_mfma_f32_16x16x16_bf16 a[4:7], v[124:125], v[44:45], a[4:7]
	global_load_dwordx4 v[42:45], v100, s[44:45]
	v_mfma_f32_16x16x16_bf16 a[12:15], v[124:125], v[48:49], a[12:15]
	global_load_dwordx4 v[46:49], v95, s[44:45]
	ds_read2st64_b64 v[122:125], v89 offset1:8
	s_waitcnt lgkmcnt(0)
	v_mov_b32_e32 v130, v122
	v_mfma_f32_16x16x16_bf16 a[0:3], v[126:127], v[118:119], a[0:3]
	ds_read2st64_b64 v[126:129], v90 offset1:8
	v_mov_b32_e32 v131, v123
	v_mfma_f32_16x16x16_bf16 a[16:19], v[132:133], v[118:119], a[4:7]
	v_lshl_add_u64 v[118:119], v[58:59], 0, s[28:29]
	v_mfma_f32_16x16x16_bf16 a[20:23], v[132:133], v[50:51], a[12:15]
	v_add_co_u32_e32 v50, vcc, s21, v118
	s_waitcnt lgkmcnt(0)
	v_mov_b32_e32 v132, v126
	v_mfma_f32_16x16x16_bf16 a[4:7], v[134:135], v[120:121], a[0:3]
	v_mov_b32_e32 v133, v127
	v_mov_b32_e32 v126, v124
	;; [unrolled: 1-line block ×3, first 2 shown]
	v_mfma_f32_16x16x16_bf16 a[8:11], v[134:135], v[136:137], a[8:11]
	v_addc_co_u32_e32 v51, vcc, 0, v119, vcc
	global_store_dwordx4 v[50:51], v[126:129], off
	v_mfma_f32_16x16x16_bf16 a[12:15], v[138:139], v[120:121], a[16:19]
	s_and_b64 vcc, exec, s[0:1]
	global_store_dwordx4 v[118:119], v[130:133], off
	s_waitcnt vmcnt(3)
	v_mov_b32_e32 v52, v45
	v_mfma_f32_16x16x16_bf16 a[0:3], v[138:139], v[136:137], a[20:23]
	v_mov_b32_e32 v51, v44
	v_mov_b32_e32 v50, v43
	s_cbranch_vccnz .LBB470_16
; %bb.15:                               ;   in Loop: Header=BB470_6 Depth=1
	v_lshrrev_b32_e32 v43, 3, v116
	v_and_b32_e32 v43, 6, v43
	v_xor_b32_e32 v44, v43, v117
	v_lshlrev_b32_e32 v44, 2, v44
	v_and_b32_e32 v45, 8, v116
	v_xor_b32_e32 v116, 0x440, v44
	v_cmp_eq_u32_e32 vcc, 0, v45
	v_perm_b32 v45, v30, v26, s61
	s_nop 0
	v_cndmask_b32_e32 v44, v116, v44, vcc
	v_lshl_or_b32 v43, v43, 10, v44
	v_perm_b32 v44, v38, v34, s61
	s_barrier
	ds_write2st64_b32 v43, v44, v45 offset0:32 offset1:64
	v_xor_b32_e32 v44, 8, v43
	v_perm_b32 v34, v38, v34, s62
	v_perm_b32 v26, v30, v26, s62
	v_add_u32_e32 v30, 0x80, v44
	ds_write2st64_b32 v30, v34, v26 offset0:32 offset1:64
	v_xor_b32_e32 v26, 16, v43
	v_perm_b32 v30, v39, v35, s61
	v_perm_b32 v34, v31, v27, s61
	ds_write2st64_b32 v26, v30, v34 offset0:33 offset1:65
	v_xor_b32_e32 v26, 24, v43
	v_perm_b32 v30, v39, v35, s62
	v_perm_b32 v27, v31, v27, s62
	v_add_u32_e32 v26, 0x80, v26
	ds_write2st64_b32 v26, v30, v27 offset0:33 offset1:65
	v_xor_b32_e32 v26, 32, v43
	v_perm_b32 v27, v40, v36, s61
	v_perm_b32 v30, v32, v28, s61
	;; [unrolled: 9-line block ×3, first 2 shown]
	ds_write2st64_b32 v26, v27, v28 offset0:35 offset1:67
	v_xor_b32_e32 v26, 56, v43
	v_perm_b32 v27, v41, v37, s62
	v_perm_b32 v28, v33, v29, s62
	v_add_u32_e32 v26, 0x80, v26
	ds_write2st64_b32 v26, v27, v28 offset0:35 offset1:67
	ds_write_b64 v115, v[22:23] offset:24576
	v_xor_b32_e32 v22, 8, v115
	ds_write_b64 v22, v[24:25] offset:24576
	ds_write_b64 v115, v[18:19] offset:32768
	;; [unrolled: 1-line block ×4, first 2 shown]
	v_xor_b32_e32 v14, 8, v114
	ds_write_b64 v14, v[16:17] offset:24576
	ds_write_b64 v114, v[10:11] offset:32768
	;; [unrolled: 1-line block ×3, first 2 shown]
.LBB470_16:                             ;   in Loop: Header=BB470_6 Depth=1
	v_mul_f32_e32 v14, s24, v105
	v_exp_f32_e32 v26, v14
	s_waitcnt vmcnt(2)
	v_mul_f32_e32 v14, 0x3fb8aa3b, v46
	v_exp_f32_e32 v28, v14
	v_mul_f32_e32 v14, 0x3fb8aa3b, v47
	v_exp_f32_e32 v29, v14
	;; [unrolled: 2-line block ×4, first 2 shown]
	v_accvgpr_read_b32 v21, a7
	v_accvgpr_read_b32 v19, a5
	v_accvgpr_read_b32 v18, a4
	v_accvgpr_read_b32 v13, a11
	v_pk_mul_f32 v[28:29], v[26:27], v[28:29] op_sel_hi:[0,1]
	v_accvgpr_read_b32 v12, a10
	v_pk_fma_f32 v[2:3], v[2:3], v[28:29], v[18:19]
	v_pk_mul_f32 v[18:19], v[26:27], v[30:31] op_sel_hi:[0,1]
	v_accvgpr_read_b32 v20, a6
	v_accvgpr_read_b32 v11, a9
	v_accvgpr_read_b32 v10, a8
	v_fma_f32 v108, v108, v18, v12
	v_mul_f32_e32 v12, 0x3fb8aa3b, v51
	v_pk_fma_f32 v[4:5], v[4:5], v[18:19], v[20:21]
	v_fma_f32 v106, v106, v28, v10
	v_fma_f32 v107, v107, v29, v11
	v_mul_f32_e32 v10, 0x3fb8aa3b, v42
	v_mul_f32_e32 v11, 0x3fb8aa3b, v50
	v_exp_f32_e32 v20, v12
	v_mul_f32_e32 v12, 0x3fb8aa3b, v52
	v_exp_f32_e32 v10, v10
	v_exp_f32_e32 v11, v11
	;; [unrolled: 1-line block ×3, first 2 shown]
	v_accvgpr_read_b32 v25, a15
	v_accvgpr_read_b32 v17, a3
	v_accvgpr_read_b32 v24, a14
	v_accvgpr_read_b32 v23, a13
	v_accvgpr_read_b32 v22, a12
	v_accvgpr_read_b32 v16, a2
	v_accvgpr_read_b32 v15, a1
	v_accvgpr_read_b32 v14, a0
	v_fmac_f32_e32 v13, v113, v19
	v_pk_mul_f32 v[10:11], v[26:27], v[10:11] op_sel_hi:[0,1]
	v_pk_mul_f32 v[18:19], v[26:27], v[20:21] op_sel_hi:[0,1]
	s_add_i32 s57, s57, 64
	v_pk_fma_f32 v[6:7], v[6:7], v[10:11], v[22:23]
	v_pk_fma_f32 v[8:9], v[8:9], v[18:19], v[24:25]
	v_fma_f32 v109, v109, v10, v14
	v_fma_f32 v110, v110, v11, v15
	;; [unrolled: 1-line block ×3, first 2 shown]
	s_cmp_eq_u32 s51, s64
	v_fmac_f32_e32 v17, v112, v19
	s_cbranch_scc1 .LBB470_18
; %bb.17:                               ;   in Loop: Header=BB470_6 Depth=1
	s_mov_b32 s63, s64
	v_mov_b32_e32 v113, v13
	v_mov_b32_e32 v112, v17
	s_branch .LBB470_6
.LBB470_18:
	v_mov_b32_e32 v16, v111
	v_mov_b32_e32 v15, v110
	;; [unrolled: 1-line block ×6, first 2 shown]
.LBB470_19:
	s_lshl_b32 s3, s51, 6
	s_sub_i32 s56, s56, s3
	s_cmp_gt_i32 s56, 0
	v_or_b32_e32 v34, s2, v63
	s_cbranch_scc1 .LBB470_21
; %bb.20:
	s_ashr_i32 s29, s46, 31
	v_or_b32_e32 v35, s2, v63
	s_cbranch_execz .LBB470_22
	s_branch .LBB470_86
.LBB470_21:
                                        ; implicit-def: $vgpr35
                                        ; implicit-def: $sgpr28_sgpr29
.LBB470_22:
	s_add_i32 s28, s3, s38
	s_ashr_i32 s3, s28, 31
	s_cmpk_lg_i32 s19, 0x80
	s_cselect_b64 s[42:43], -1, 0
	s_and_b64 vcc, exec, s[42:43]
	s_cbranch_vccz .LBB470_24
; %bb.23:
	s_mul_hi_i32 s0, s28, s18
	s_mul_i32 s1, s28, s18
	s_ashr_i32 s18, s55, 31
	s_add_u32 s44, s1, s55
	s_addc_u32 s45, s0, s18
	s_cbranch_execz .LBB470_25
	s_branch .LBB470_26
.LBB470_24:
                                        ; implicit-def: $sgpr44_sgpr45
.LBB470_25:
	s_mul_i32 s1, s55, s16
	s_mul_hi_i32 s0, s55, s16
	s_add_u32 s44, s1, s28
	s_addc_u32 s45, s0, s3
.LBB470_26:
	s_add_i32 s16, s51, s52
	s_ashr_i32 s29, s46, 31
	s_add_u32 s0, s54, s28
	v_lshlrev_b32_e32 v22, 5, v1
	v_lshlrev_b32_e32 v40, 2, v63
	s_addc_u32 s1, s53, s3
	s_mov_b32 s3, 0x7060302
	v_or_b32_e32 v25, v22, v40
	v_xor_b32_e32 v23, v1, v40
	v_perm_b32 v19, v5, v4, s3
	v_perm_b32 v18, v3, v2, s3
	;; [unrolled: 1-line block ×4, first 2 shown]
	v_lshlrev_b32_e32 v25, 1, v25
	v_xor_b32_e32 v24, v66, v40
	ds_write2st64_b64 v25, v[18:19], v[20:21] offset0:80 offset1:88
	v_lshlrev_b32_e32 v23, 1, v23
	v_lshlrev_b32_e32 v25, 8, v63
	s_lshl_b64 s[30:31], s[0:1], 8
	v_or_b32_e32 v26, v23, v25
	v_lshlrev_b32_e32 v24, 1, v24
	s_add_u32 s0, s6, s30
	ds_write_b64 v26, v[18:19]
	v_or_b32_e32 v18, v24, v25
	s_addc_u32 s1, s7, s31
	ds_write_b64 v18, v[20:21]
	v_perm_b32 v19, v13, v12, s3
	v_perm_b32 v18, v11, v10, s3
	;; [unrolled: 1-line block ×4, first 2 shown]
	v_or_b32_e32 v25, 16, v63
	s_mul_hi_i32 s3, s16, s17
	s_mul_i32 s16, s16, s17
	v_lshlrev_b32_e32 v37, 2, v25
	s_add_u32 s6, s16, s46
	v_or_b32_e32 v22, v22, v37
	s_addc_u32 s7, s3, s29
	v_lshlrev_b32_e32 v22, 1, v22
	s_ashr_i32 s3, s2, 31
	s_lshl_b64 s[6:7], s[6:7], 15
	ds_write2st64_b64 v22, v[18:19], v[20:21] offset0:80 offset1:88
	v_lshlrev_b32_e32 v22, 8, v25
	s_add_u32 s6, s40, s6
	v_or_b32_e32 v23, v23, v22
	s_addc_u32 s7, s41, s7
	s_lshl_b64 s[2:3], s[2:3], 8
	ds_write_b64 v23, v[18:19]
	v_or_b32_e32 v18, v24, v22
	s_add_u32 s2, s6, s2
	ds_write_b64 v18, v[20:21]
	v_lshrrev_b32_e32 v18, 4, v0
	s_addc_u32 s3, s7, s3
	v_lshlrev_b32_e32 v19, 1, v63
	v_lshlrev_b32_e32 v26, 4, v63
	v_mov_b32_e32 v27, 0
	v_or_b32_e32 v20, 1, v19
	v_xor_b32_e32 v19, v18, v19
	v_lshl_add_u64 v[28:29], s[2:3], 0, v[26:27]
	v_lshlrev_b32_e32 v26, 8, v18
	v_xor_b32_e32 v22, v20, v18
	v_lshl_or_b32 v18, v19, 3, v26
	s_waitcnt lgkmcnt(0)
	s_barrier
	ds_read2st64_b64 v[18:21], v18 offset1:8
	v_lshl_or_b32 v22, v22, 3, v26
	ds_read2st64_b64 v[22:25], v22 offset1:8
	v_lshl_add_u64 v[30:31], v[28:29], 0, v[26:27]
	s_movk_i32 s2, 0x1000
	s_waitcnt lgkmcnt(1)
	v_mov_b32_e32 v26, v18
	v_add_co_u32_e32 v18, vcc, s2, v30
	s_cmp_lg_u32 s56, 64
	v_mov_b32_e32 v27, v19
	v_addc_co_u32_e32 v19, vcc, 0, v31, vcc
	s_cselect_b64 s[6:7], -1, 0
	v_lshl_or_b32 v35, v53, 3, v65
	s_waitcnt lgkmcnt(0)
	v_mov_b32_e32 v28, v22
	v_mov_b32_e32 v29, v23
	;; [unrolled: 1-line block ×4, first 2 shown]
	s_mov_b32 s24, 0
	v_or_b32_e32 v38, 32, v35
	v_and_b32_e32 v36, 56, v64
	s_and_b64 vcc, exec, s[6:7]
	global_store_dwordx4 v[30:31], v[26:29], off
	global_store_dwordx4 v[18:19], v[22:25], off
	s_cbranch_vccz .LBB470_32
; %bb.27:
	s_mov_b32 s25, s24
	s_mov_b32 s26, s24
	;; [unrolled: 1-line block ×3, first 2 shown]
	v_mov_b64_e32 v[22:23], s[24:25]
	v_mov_b64_e32 v[24:25], s[26:27]
	;; [unrolled: 1-line block ×3, first 2 shown]
	v_cmp_gt_i32_e32 vcc, s56, v35
	v_mov_b64_e32 v[20:21], v[24:25]
	s_and_saveexec_b64 s[2:3], vcc
	s_cbranch_execz .LBB470_29
; %bb.28:
	v_lshlrev_b32_e32 v18, 8, v35
	v_mov_b32_e32 v19, 0
	v_lshl_add_u64 v[20:21], s[0:1], 0, v[18:19]
	v_lshlrev_b32_e32 v18, 1, v36
	v_lshl_add_u64 v[26:27], v[20:21], 0, v[18:19]
	global_load_dwordx4 v[22:25], v[26:27], off
	global_load_dwordx4 v[18:21], v[26:27], off offset:128
.LBB470_29:
	s_or_b64 exec, exec, s[2:3]
	s_mov_b32 s26, s24
	s_mov_b32 s27, s24
	;; [unrolled: 1-line block ×3, first 2 shown]
	v_mov_b64_e32 v[32:33], s[26:27]
	v_mov_b64_e32 v[30:31], s[24:25]
	;; [unrolled: 1-line block ×3, first 2 shown]
	v_cmp_gt_i32_e32 vcc, s56, v38
	v_lshlrev_b32_e32 v39, 7, v38
	v_mov_b64_e32 v[28:29], v[32:33]
	s_and_saveexec_b64 s[2:3], vcc
	s_cbranch_execz .LBB470_31
; %bb.30:
	v_lshlrev_b32_e32 v26, 1, v39
	v_mov_b32_e32 v27, 0
	v_lshl_add_u64 v[28:29], s[0:1], 0, v[26:27]
	v_lshlrev_b32_e32 v26, 1, v36
	v_lshl_add_u64 v[42:43], v[28:29], 0, v[26:27]
	global_load_dwordx4 v[30:33], v[42:43], off
	global_load_dwordx4 v[26:29], v[42:43], off offset:128
.LBB470_31:
	s_or_b64 exec, exec, s[2:3]
	v_lshrrev_b32_e32 v41, 3, v36
	v_lshlrev_b32_e32 v42, 3, v35
	v_or_b32_e32 v41, v42, v41
	v_lshlrev_b32_e32 v41, 4, v41
	v_and_b32_e32 v42, 0x78, v42
	v_xor_b32_e32 v41, v41, v42
	s_branch .LBB470_34
.LBB470_32:
                                        ; implicit-def: $vgpr41
                                        ; implicit-def: $vgpr39
                                        ; implicit-def: $vgpr22_vgpr23_vgpr24_vgpr25
                                        ; implicit-def: $vgpr18_vgpr19_vgpr20_vgpr21
                                        ; implicit-def: $vgpr30_vgpr31_vgpr32_vgpr33
                                        ; implicit-def: $vgpr26_vgpr27_vgpr28_vgpr29
	s_cbranch_execz .LBB470_34
; %bb.33:
	s_waitcnt vmcnt(0)
	v_lshlrev_b32_e32 v18, 1, v36
	v_lshl_or_b32 v39, v35, 8, v18
	s_and_b32 s1, s1, 0xffff
	s_mov_b32 s3, 0x20000
	s_movk_i32 s2, 0x4000
	v_lshl_or_b32 v41, v38, 8, v18
	s_movk_i32 s16, 0x80
	buffer_load_dwordx4 v[22:25], v39, s[0:3], 0 offen
	buffer_load_dwordx4 v[18:21], v39, s[0:3], s16 offen
	buffer_load_dwordx4 v[30:33], v41, s[0:3], 0 offen
	buffer_load_dwordx4 v[26:29], v41, s[0:3], s16 offen
	v_lshrrev_b32_e32 v39, 3, v36
	v_lshlrev_b32_e32 v41, 3, v35
	v_or_b32_e32 v39, v41, v39
	v_lshlrev_b32_e32 v39, 4, v39
	v_and_b32_e32 v41, 0x78, v41
	v_xor_b32_e32 v41, v39, v41
	v_lshlrev_b32_e32 v39, 7, v38
.LBB470_34:
	s_lshl_b64 s[0:1], s[44:45], 8
	s_add_u32 s4, s4, s0
	s_movk_i32 s0, 0x1000
	v_and_or_b32 v38, v39, s0, v41
	s_waitcnt vmcnt(1)
	ds_write_b64 v41, v[22:23] offset:24576
	v_xor_b32_e32 v22, 8, v41
	ds_write_b64 v22, v[24:25] offset:24576
	s_waitcnt vmcnt(0)
	ds_write_b64 v41, v[18:19] offset:32768
	ds_write_b64 v22, v[20:21] offset:32768
	;; [unrolled: 1-line block ×3, first 2 shown]
	v_xor_b32_e32 v18, 8, v38
	ds_write_b64 v18, v[32:33] offset:24576
	ds_write_b64 v38, v[26:27] offset:32768
	;; [unrolled: 1-line block ×3, first 2 shown]
	v_or_b32_e32 v18, v60, v63
	v_lshlrev_b32_e32 v18, 3, v18
	v_lshrrev_b32_e32 v19, 5, v61
	s_movk_i32 s18, 0xf8
	v_and_or_b32 v19, v18, s18, v19
	v_lshlrev_b32_e32 v23, 4, v19
	v_lshlrev_b32_e32 v41, 11, v53
	v_and_b32_e32 v24, 0x78, v18
	v_or_b32_e32 v26, 32, v23
	v_and_b32_e32 v22, 0x1000, v41
	v_lshrrev_b32_e32 v19, 1, v61
	v_xor_b32_e32 v26, v26, v24
	v_xor_b32_e32 v18, v23, v24
	v_and_b32_e32 v25, 8, v19
	v_or_b32_e32 v26, v26, v22
	v_or_b32_e32 v18, v18, v22
	v_xor_b32_e32 v45, v26, v25
	v_or_b32_e32 v26, 64, v23
	v_xor_b32_e32 v44, v18, v25
	v_xor_b32_e32 v26, v26, v24
	s_waitcnt lgkmcnt(0)
	s_barrier
	v_or_b32_e32 v28, v26, v22
	ds_read_b64 v[26:27], v44 offset:24576
	v_lshl_or_b32 v38, v62, 7, v40
	v_lshlrev_b32_e32 v42, 1, v38
	v_add_u32_e32 v18, 0xa000, v42
	ds_read2_b64 v[18:21], v18 offset1:16
	v_or_b32_e32 v23, 0x60, v23
	v_xor_b32_e32 v23, v23, v24
	s_waitcnt lgkmcnt(0)
	v_mfma_f32_16x16x16_bf16 a[0:3], v[26:27], v[18:19], 0
	v_or_b32_e32 v18, 64, v38
	v_or_b32_e32 v22, v23, v22
	v_lshlrev_b32_e32 v43, 1, v18
	v_xor_b32_e32 v46, v28, v25
	v_xor_b32_e32 v47, v22, v25
	ds_read_b64 v[28:29], v45 offset:24576
	ds_read_b64 v[30:31], v46 offset:24576
	ds_read_b64 v[32:33], v47 offset:24576
	v_mfma_f32_16x16x16_bf16 a[4:7], v[26:27], v[20:21], 0
	ds_read2st64_b64 v[18:21], v43 offset0:82 offset1:84
	ds_read2st64_b64 v[22:25], v42 offset0:82 offset1:84
	s_addc_u32 s5, s5, s1
	s_add_i32 s16, s39, -1
	s_add_i32 s0, s49, s48
	s_add_i32 s21, s0, s50
	s_mul_i32 s0, s46, s23
	s_mul_hi_u32 s1, s46, s22
	s_ashr_i32 s2, s16, 31
	s_mul_i32 s3, s16, s15
	s_mul_hi_u32 s18, s16, s14
	s_add_i32 s0, s1, s0
	s_mul_i32 s1, s29, s22
	s_add_i32 s3, s18, s3
	s_mul_i32 s2, s2, s14
	s_waitcnt lgkmcnt(1)
	v_mfma_f32_16x16x16_bf16 a[4:7], v[28:29], v[18:19], a[4:7]
	s_add_i32 s1, s0, s1
	s_add_i32 s3, s3, s2
	s_lshl_b64 s[20:21], s[20:21], 2
	s_waitcnt lgkmcnt(0)
	v_mfma_f32_16x16x16_bf16 a[0:3], v[28:29], v[22:23], a[0:3]
	s_mul_i32 s0, s46, s22
	s_add_u32 s10, s10, s20
	s_addc_u32 s11, s11, s21
	s_lshl_b64 s[0:1], s[0:1], 2
	s_mul_i32 s2, s16, s14
	s_add_u32 s10, s10, s0
	ds_read_b64 v[18:19], v42 offset:44032
	v_mfma_f32_16x16x16_bf16 a[4:7], v[30:31], v[20:21], a[4:7]
	ds_read_b64 v[20:21], v43 offset:44032
	s_addc_u32 s11, s11, s1
	s_lshl_b64 s[0:1], s[2:3], 2
	v_mfma_f32_16x16x16_bf16 a[0:3], v[30:31], v[24:25], a[0:3]
	s_add_u32 s0, s10, s0
	s_addc_u32 s1, s11, s1
	s_load_dword s18, s[0:1], 0x0
	s_waitcnt lgkmcnt(0)
	v_mfma_f32_16x16x16_bf16 a[0:3], v[32:33], v[18:19], a[0:3]
	s_and_b64 vcc, exec, s[42:43]
	v_mfma_f32_16x16x16_bf16 a[4:7], v[32:33], v[20:21], a[4:7]
	s_cbranch_vccz .LBB470_45
; %bb.35:
	v_lshlrev_b32_e32 v38, 1, v35
	s_and_b64 vcc, exec, s[6:7]
	s_cbranch_vccz .LBB470_46
; %bb.36:
	v_cmp_gt_i32_e32 vcc, s56, v38
	v_mov_b32_e32 v22, 0
	v_mov_b32_e32 v18, 0
	;; [unrolled: 1-line block ×5, first 2 shown]
	s_and_saveexec_b64 s[0:1], vcc
	s_cbranch_execz .LBB470_38
; %bb.37:
	v_mad_i64_i32 v[18:19], s[2:3], s19, v38, 0
	v_lshl_add_u64 v[18:19], v[18:19], 1, s[4:5]
	v_lshlrev_b32_e32 v20, 1, v36
	v_mov_b32_e32 v21, 0
	v_lshl_add_u64 v[18:19], v[18:19], 0, v[20:21]
	global_load_dwordx4 v[18:21], v[18:19], off
.LBB470_38:
	s_or_b64 exec, exec, s[0:1]
	v_or_b32_e32 v39, 1, v38
	v_cmp_gt_i32_e64 s[0:1], s56, v39
	v_mov_b32_e32 v23, 0
	v_mov_b32_e32 v24, 0
	;; [unrolled: 1-line block ×3, first 2 shown]
	s_and_saveexec_b64 s[2:3], s[0:1]
	s_cbranch_execz .LBB470_40
; %bb.39:
	v_mad_i64_i32 v[22:23], s[20:21], s19, v39, 0
	v_lshl_add_u64 v[22:23], v[22:23], 1, s[4:5]
	v_lshlrev_b32_e32 v24, 1, v36
	v_mov_b32_e32 v25, 0
	v_lshl_add_u64 v[22:23], v[22:23], 0, v[24:25]
	global_load_dwordx4 v[22:25], v[22:23], off
.LBB470_40:
	s_or_b64 exec, exec, s[2:3]
	v_mov_b32_e32 v33, 0
	v_mov_b32_e32 v26, 0
	;; [unrolled: 1-line block ×5, first 2 shown]
	s_and_saveexec_b64 s[2:3], vcc
	s_cbranch_execz .LBB470_42
; %bb.41:
	v_mad_i64_i32 v[26:27], s[20:21], s19, v38, 0
	v_lshl_add_u64 v[26:27], v[26:27], 1, s[4:5]
	v_lshlrev_b32_e32 v28, 1, v36
	v_mov_b32_e32 v29, 0
	v_lshl_add_u64 v[26:27], v[26:27], 0, v[28:29]
	global_load_dwordx4 v[26:29], v[26:27], off offset:128
.LBB470_42:
	s_or_b64 exec, exec, s[2:3]
	v_mov_b32_e32 v32, 0
	v_mov_b32_e32 v31, 0
	;; [unrolled: 1-line block ×3, first 2 shown]
	s_and_saveexec_b64 s[2:3], s[0:1]
	s_cbranch_execz .LBB470_44
; %bb.43:
	v_mad_i64_i32 v[30:31], s[0:1], s19, v39, 0
	v_lshl_add_u64 v[30:31], v[30:31], 1, s[4:5]
	v_lshlrev_b32_e32 v32, 1, v36
	v_mov_b32_e32 v33, 0
	v_lshl_add_u64 v[30:31], v[30:31], 0, v[32:33]
	global_load_dwordx4 v[30:33], v[30:31], off offset:128
.LBB470_44:
	s_or_b64 exec, exec, s[2:3]
	s_branch .LBB470_48
.LBB470_45:
                                        ; implicit-def: $vgpr21
                                        ; implicit-def: $vgpr25
                                        ; implicit-def: $vgpr29
                                        ; implicit-def: $vgpr33
	v_lshrrev_b32_e32 v48, 2, v61
	s_branch .LBB470_49
.LBB470_46:
                                        ; implicit-def: $vgpr21
                                        ; implicit-def: $vgpr25
                                        ; implicit-def: $vgpr29
                                        ; implicit-def: $vgpr33
	s_cbranch_execz .LBB470_48
; %bb.47:
	s_waitcnt vmcnt(0)
	v_mad_u64_u32 v[18:19], s[0:1], v38, s19, v[36:37]
	v_lshlrev_b32_e32 v38, 1, v18
	s_lshl_b32 s2, s19, 7
	s_and_b32 s1, s5, 0xffff
	s_mov_b32 s3, 0x20000
	s_mov_b32 s0, s4
	v_add_lshl_u32 v39, v18, s19, 1
	s_movk_i32 s19, 0x80
	buffer_load_dwordx4 v[18:21], v38, s[0:3], 0 offen
	buffer_load_dwordx4 v[26:29], v38, s[0:3], s19 offen
	;; [unrolled: 1-line block ×4, first 2 shown]
.LBB470_48:
	v_lshrrev_b32_e32 v48, 2, v61
	s_cbranch_execnz .LBB470_61
.LBB470_49:
	s_and_b64 vcc, exec, s[6:7]
	s_cbranch_vccz .LBB470_59
; %bb.50:
	s_waitcnt vmcnt(0)
	v_lshlrev_b32_e32 v23, 1, v35
	v_cmp_gt_i32_e32 vcc, s56, v23
	v_mov_b32_e32 v22, 0
	v_lshlrev_b32_e32 v30, 9, v35
	v_mov_b32_e32 v18, 0
	v_mov_b32_e32 v19, 0
	;; [unrolled: 1-line block ×4, first 2 shown]
	s_and_saveexec_b64 s[0:1], vcc
	s_cbranch_execz .LBB470_52
; %bb.51:
	v_mov_b32_e32 v31, 0
	v_lshl_add_u64 v[18:19], s[4:5], 0, v[30:31]
	v_lshlrev_b32_e32 v20, 1, v36
	v_mov_b32_e32 v21, v31
	v_lshl_add_u64 v[18:19], v[18:19], 0, v[20:21]
	global_load_dwordx4 v[18:21], v[18:19], off
.LBB470_52:
	s_or_b64 exec, exec, s[0:1]
	v_or_b32_e32 v23, 1, v23
	v_cmp_gt_i32_e64 s[0:1], s56, v23
	v_lshlrev_b32_e32 v38, 8, v23
	v_mov_b32_e32 v23, 0
	v_mov_b32_e32 v24, 0
	;; [unrolled: 1-line block ×3, first 2 shown]
	s_and_saveexec_b64 s[2:3], s[0:1]
	s_cbranch_execz .LBB470_54
; %bb.53:
	v_mov_b32_e32 v39, 0
	v_lshl_add_u64 v[22:23], s[4:5], 0, v[38:39]
	v_lshlrev_b32_e32 v24, 1, v36
	v_mov_b32_e32 v25, v39
	v_lshl_add_u64 v[22:23], v[22:23], 0, v[24:25]
	global_load_dwordx4 v[22:25], v[22:23], off
.LBB470_54:
	s_or_b64 exec, exec, s[2:3]
	v_mov_b32_e32 v33, 0
	v_mov_b32_e32 v26, 0
	;; [unrolled: 1-line block ×5, first 2 shown]
	s_and_saveexec_b64 s[2:3], vcc
	s_cbranch_execz .LBB470_56
; %bb.55:
	v_mov_b32_e32 v31, 0
	v_lshl_add_u64 v[26:27], s[4:5], 0, v[30:31]
	v_lshlrev_b32_e32 v30, 1, v36
	v_lshl_add_u64 v[26:27], v[26:27], 0, v[30:31]
	global_load_dwordx4 v[26:29], v[26:27], off offset:128
.LBB470_56:
	s_or_b64 exec, exec, s[2:3]
	v_mov_b32_e32 v32, 0
	v_mov_b32_e32 v31, 0
	;; [unrolled: 1-line block ×3, first 2 shown]
	s_and_saveexec_b64 s[2:3], s[0:1]
	s_cbranch_execz .LBB470_58
; %bb.57:
	v_mov_b32_e32 v39, 0
	v_lshl_add_u64 v[30:31], s[4:5], 0, v[38:39]
	v_lshlrev_b32_e32 v38, 1, v36
	v_lshl_add_u64 v[30:31], v[30:31], 0, v[38:39]
	global_load_dwordx4 v[30:33], v[30:31], off offset:128
.LBB470_58:
	s_or_b64 exec, exec, s[2:3]
	s_branch .LBB470_61
.LBB470_59:
                                        ; implicit-def: $vgpr21
                                        ; implicit-def: $vgpr25
                                        ; implicit-def: $vgpr29
                                        ; implicit-def: $vgpr33
	s_cbranch_execz .LBB470_61
; %bb.60:
	s_waitcnt vmcnt(0)
	v_lshlrev_b32_e32 v18, 1, v36
	v_lshl_or_b32 v36, v35, 9, v18
	s_and_b32 s5, s5, 0xffff
	s_mov_b32 s7, 0x20000
	s_movk_i32 s6, 0x4000
	s_movk_i32 s0, 0x80
	buffer_load_dwordx4 v[18:21], v36, s[4:7], 0 offen
	buffer_load_dwordx4 v[22:25], v36, s[4:7], 0 offen offset:256
	buffer_load_dwordx4 v[26:29], v36, s[4:7], s0 offen
	buffer_load_dwordx4 v[30:33], v36, s[4:7], s0 offen offset:256
.LBB470_61:
	ds_read_b64 v[38:39], v44 offset:32768
	v_add_u32_e32 v36, 0xb000, v42
	ds_read2_b64 v[54:57], v36 offset1:16
	ds_read_b64 v[50:51], v45 offset:32768
	ds_read_b64 v[58:59], v46 offset:32768
	;; [unrolled: 1-line block ×3, first 2 shown]
	ds_read2st64_b64 v[44:47], v42 offset0:90 offset1:92
	v_and_b32_e32 v36, 12, v48
	v_and_b32_e32 v48, 6, v0
	v_xor_b32_e32 v35, v35, v48
	v_lshlrev_b32_e32 v35, 2, v35
	s_mov_b32 s0, 0x1000504
	s_waitcnt lgkmcnt(4)
	v_mfma_f32_16x16x16_bf16 a[0:3], v[38:39], v[54:55], a[0:3]
	s_mov_b32 s1, 0x3020706
	v_mfma_f32_16x16x16_bf16 a[4:7], v[38:39], v[56:57], a[4:7]
	ds_read2st64_b64 v[54:57], v43 offset0:90 offset1:92
	s_waitcnt lgkmcnt(1)
	v_mfma_f32_16x16x16_bf16 a[0:3], v[50:51], v[44:45], a[0:3]
	ds_read_b64 v[38:39], v42 offset:48128
	ds_read_b64 v[44:45], v43 offset:48128
	s_waitcnt lgkmcnt(2)
	v_mfma_f32_16x16x16_bf16 a[4:7], v[50:51], v[54:55], a[4:7]
	v_mfma_f32_16x16x16_bf16 a[0:3], v[58:59], v[46:47], a[0:3]
	v_and_b32_e32 v46, 1, v0
	v_xor_b32_e32 v47, 0x440, v35
	v_cmp_eq_u32_e32 vcc, 0, v46
	v_mfma_f32_16x16x16_bf16 a[8:11], v[58:59], v[56:57], a[4:7]
	s_nop 0
	v_cndmask_b32_e32 v35, v47, v35, vcc
	v_lshl_or_b32 v35, v48, 10, v35
	s_waitcnt lgkmcnt(1)
	v_mfma_f32_16x16x16_bf16 a[4:7], v[62:63], v[38:39], a[0:3]
	s_waitcnt vmcnt(0)
	v_perm_b32 v38, v18, v22, s0
	v_perm_b32 v39, v26, v30, s0
	ds_write2st64_b32 v35, v38, v39 offset0:32 offset1:64
	v_xor_b32_e32 v38, 8, v35
	v_perm_b32 v18, v18, v22, s1
	v_perm_b32 v22, v26, v30, s1
	v_add_u32_e32 v26, 0x80, v38
	ds_write2st64_b32 v26, v18, v22 offset0:32 offset1:64
	v_xor_b32_e32 v18, 16, v35
	v_perm_b32 v22, v19, v23, s0
	v_perm_b32 v26, v27, v31, s0
	ds_write2st64_b32 v18, v22, v26 offset0:33 offset1:65
	v_xor_b32_e32 v18, 24, v35
	v_perm_b32 v19, v19, v23, s1
	v_perm_b32 v22, v27, v31, s1
	v_add_u32_e32 v18, 0x80, v18
	ds_write2st64_b32 v18, v19, v22 offset0:33 offset1:65
	v_xor_b32_e32 v18, 32, v35
	v_perm_b32 v19, v20, v24, s0
	v_perm_b32 v22, v28, v32, s0
	ds_write2st64_b32 v18, v19, v22 offset0:34 offset1:66
	v_xor_b32_e32 v18, 40, v35
	s_waitcnt lgkmcnt(5)
	v_mfma_f32_16x16x16_bf16 a[0:3], v[62:63], v[44:45], a[8:11]
	v_perm_b32 v19, v20, v24, s1
	v_perm_b32 v20, v28, v32, s1
	v_add_u32_e32 v18, 0x80, v18
	ds_write2st64_b32 v18, v19, v20 offset0:34 offset1:66
	v_xor_b32_e32 v18, 48, v35
	v_perm_b32 v19, v21, v25, s0
	v_perm_b32 v20, v29, v33, s0
	ds_write2st64_b32 v18, v19, v20 offset0:35 offset1:67
	v_xor_b32_e32 v18, 56, v35
	v_or_b32_e32 v32, v36, v60
	v_perm_b32 v19, v21, v25, s1
	v_perm_b32 v20, v29, v33, s1
	v_add_u32_e32 v18, 0x80, v18
	v_cmp_gt_i32_e32 vcc, s56, v32
	v_mov_b32_e32 v33, 0
	v_mov_b32_e32 v39, 0
	ds_write2st64_b32 v18, v19, v20 offset0:35 offset1:67
	s_and_saveexec_b64 s[0:1], vcc
	s_cbranch_execz .LBB470_63
; %bb.62:
	v_add_u32_e32 v18, s28, v32
	v_ashrrev_i32_e32 v19, 31, v18
	v_mul_lo_u32 v20, v19, s14
	v_mul_lo_u32 v21, v18, s15
	v_mad_u64_u32 v[18:19], s[2:3], v18, s14, 0
	v_add3_u32 v19, v19, v21, v20
	v_lshl_add_u64 v[18:19], v[18:19], 2, s[10:11]
	global_load_dword v18, v[18:19], off
	s_waitcnt vmcnt(0)
	v_sub_f32_e32 v18, s18, v18
	v_mul_f32_e32 v18, 0x3fb8aa3b, v18
	v_exp_f32_e32 v39, v18
.LBB470_63:
	s_or_b64 exec, exec, s[0:1]
	v_or_b32_e32 v24, 1, v32
	v_cmp_gt_i32_e64 s[0:1], s56, v24
	s_and_saveexec_b64 s[2:3], s[0:1]
	s_cbranch_execz .LBB470_65
; %bb.64:
	v_add_u32_e32 v18, s28, v24
	v_ashrrev_i32_e32 v19, 31, v18
	v_mul_lo_u32 v20, v19, s14
	v_mul_lo_u32 v21, v18, s15
	v_mad_u64_u32 v[18:19], s[4:5], v18, s14, 0
	v_add3_u32 v19, v19, v21, v20
	v_lshl_add_u64 v[18:19], v[18:19], 2, s[10:11]
	global_load_dword v18, v[18:19], off
	s_waitcnt vmcnt(0)
	v_sub_f32_e32 v18, s18, v18
	v_mul_f32_e32 v18, 0x3fb8aa3b, v18
	v_exp_f32_e32 v33, v18
.LBB470_65:
	s_or_b64 exec, exec, s[2:3]
	v_or_b32_e32 v25, 2, v32
	v_cmp_gt_i32_e64 s[2:3], s56, v25
	v_mov_b32_e32 v38, 0
	v_mov_b32_e32 v44, 0
	s_and_saveexec_b64 s[4:5], s[2:3]
	s_cbranch_execz .LBB470_67
; %bb.66:
	v_add_u32_e32 v18, s28, v25
	v_ashrrev_i32_e32 v19, 31, v18
	v_mul_lo_u32 v20, v19, s14
	v_mul_lo_u32 v21, v18, s15
	v_mad_u64_u32 v[18:19], s[6:7], v18, s14, 0
	v_add3_u32 v19, v19, v21, v20
	v_lshl_add_u64 v[18:19], v[18:19], 2, s[10:11]
	global_load_dword v18, v[18:19], off
	s_waitcnt vmcnt(0)
	v_sub_f32_e32 v18, s18, v18
	v_mul_f32_e32 v18, 0x3fb8aa3b, v18
	v_exp_f32_e32 v44, v18
.LBB470_67:
	s_or_b64 exec, exec, s[4:5]
	v_or_b32_e32 v45, 3, v32
	v_cmp_gt_i32_e64 s[4:5], s56, v45
	s_and_saveexec_b64 s[6:7], s[4:5]
	s_cbranch_execz .LBB470_69
; %bb.68:
	v_add_u32_e32 v18, s28, v45
	v_ashrrev_i32_e32 v19, 31, v18
	v_mul_lo_u32 v20, v19, s14
	v_mul_lo_u32 v21, v18, s15
	v_mad_u64_u32 v[18:19], s[14:15], v18, s14, 0
	v_add3_u32 v19, v19, v21, v20
	v_lshl_add_u64 v[18:19], v[18:19], 2, s[10:11]
	global_load_dword v18, v[18:19], off
	s_waitcnt vmcnt(0)
	v_sub_f32_e32 v18, s18, v18
	v_mul_f32_e32 v18, 0x3fb8aa3b, v18
	v_exp_f32_e32 v38, v18
.LBB470_69:
	s_or_b64 exec, exec, s[6:7]
	s_add_u32 s6, s8, s30
	v_accvgpr_read_b32 v21, a7
	s_addc_u32 s7, s9, s31
	v_ashrrev_i32_e32 v35, 31, v34
	v_accvgpr_read_b32 v20, a6
	v_accvgpr_read_b32 v19, a5
	;; [unrolled: 1-line block ×3, first 2 shown]
	v_lshl_add_u64 v[22:23], v[34:35], 1, s[6:7]
	v_mov_b32_e32 v29, 0
	v_lshlrev_b32_e32 v26, 8, v32
	v_mov_b32_e32 v27, 0
	s_and_saveexec_b64 s[6:7], vcc
	s_cbranch_execz .LBB470_71
; %bb.70:
	v_mov_b32_e32 v27, 0
	v_lshl_add_u64 v[30:31], v[22:23], 0, v[26:27]
	global_load_ushort v27, v[30:31], off
	s_waitcnt vmcnt(0)
	v_lshlrev_b32_e32 v27, 16, v27
	v_sub_f32_e32 v18, v27, v18
	v_mul_f32_e32 v18, v39, v18
	v_lshrrev_b32_e32 v27, 16, v18
.LBB470_71:
	s_or_b64 exec, exec, s[6:7]
	v_lshlrev_b32_e32 v28, 8, v24
	s_and_saveexec_b64 s[6:7], s[0:1]
	s_cbranch_execz .LBB470_73
; %bb.72:
	v_mov_b32_e32 v29, 0
	v_lshl_add_u64 v[30:31], v[22:23], 0, v[28:29]
	global_load_ushort v18, v[30:31], off
	s_waitcnt vmcnt(0)
	v_lshlrev_b32_e32 v18, 16, v18
	v_sub_f32_e32 v18, v18, v19
	v_mul_f32_e32 v18, v33, v18
	v_lshrrev_b32_e32 v29, 16, v18
.LBB470_73:
	s_or_b64 exec, exec, s[6:7]
	v_mov_b32_e32 v46, 0
	v_lshlrev_b32_e32 v30, 8, v25
	v_mov_b32_e32 v31, 0
	s_and_saveexec_b64 s[6:7], s[2:3]
	s_cbranch_execz .LBB470_75
; %bb.74:
	v_mov_b32_e32 v31, 0
	v_lshl_add_u64 v[18:19], v[22:23], 0, v[30:31]
	global_load_ushort v18, v[18:19], off
	s_waitcnt vmcnt(0)
	v_lshlrev_b32_e32 v18, 16, v18
	v_sub_f32_e32 v18, v18, v20
	v_mul_f32_e32 v18, v44, v18
	v_lshrrev_b32_e32 v31, 16, v18
.LBB470_75:
	s_or_b64 exec, exec, s[6:7]
	v_lshlrev_b32_e32 v24, 8, v45
	s_and_saveexec_b64 s[6:7], s[4:5]
	s_cbranch_execz .LBB470_77
; %bb.76:
	v_mov_b32_e32 v25, 0
	v_lshl_add_u64 v[18:19], v[22:23], 0, v[24:25]
	global_load_ushort v18, v[18:19], off
	s_waitcnt vmcnt(0)
	v_lshlrev_b32_e32 v18, 16, v18
	v_sub_f32_e32 v18, v18, v21
	v_mul_f32_e32 v18, v38, v18
	v_lshrrev_b32_e32 v46, 16, v18
.LBB470_77:
	s_or_b64 exec, exec, s[6:7]
	v_lshlrev_b32_e32 v35, 5, v32
	v_accvgpr_read_b32 v21, a3
	s_mov_b32 s6, 0x5040100
	v_or_b32_e32 v25, v35, v40
	v_accvgpr_read_b32 v20, a2
	v_accvgpr_read_b32 v19, a1
	v_accvgpr_read_b32 v18, a0
	v_perm_b32 v47, v46, v31, s6
	v_perm_b32 v46, v29, v27, s6
	v_lshlrev_b32_e32 v25, 1, v25
	v_mov_b32_e32 v29, 0
	v_mov_b32_e32 v27, 0
	ds_write_b64 v25, v[46:47] offset:45056
	s_and_saveexec_b64 s[6:7], vcc
	s_cbranch_execz .LBB470_79
; %bb.78:
	v_mov_b32_e32 v27, 0
	v_lshl_add_u64 v[26:27], v[22:23], 0, v[26:27]
	global_load_ushort v25, v[26:27], off offset:32
	s_waitcnt vmcnt(0)
	v_lshlrev_b32_e32 v25, 16, v25
	v_sub_f32_e32 v18, v25, v18
	v_mul_f32_e32 v18, v39, v18
	v_lshrrev_b32_e32 v27, 16, v18
.LBB470_79:
	s_or_b64 exec, exec, s[6:7]
	s_and_saveexec_b64 s[6:7], s[0:1]
	s_cbranch_execz .LBB470_81
; %bb.80:
	v_mov_b32_e32 v29, 0
	v_lshl_add_u64 v[28:29], v[22:23], 0, v[28:29]
	global_load_ushort v18, v[28:29], off offset:32
	s_waitcnt vmcnt(0)
	v_lshlrev_b32_e32 v18, 16, v18
	v_sub_f32_e32 v18, v18, v19
	v_mul_f32_e32 v18, v33, v18
	v_lshrrev_b32_e32 v29, 16, v18
.LBB470_81:
	s_or_b64 exec, exec, s[6:7]
	v_mov_b32_e32 v25, 0
	v_mov_b32_e32 v26, 0
	s_and_saveexec_b64 s[0:1], s[2:3]
	s_cbranch_execz .LBB470_83
; %bb.82:
	v_mov_b32_e32 v31, 0
	v_lshl_add_u64 v[18:19], v[22:23], 0, v[30:31]
	global_load_ushort v18, v[18:19], off offset:32
	s_waitcnt vmcnt(0)
	v_lshlrev_b32_e32 v18, 16, v18
	v_sub_f32_e32 v18, v18, v20
	v_mul_f32_e32 v18, v44, v18
	v_lshrrev_b32_e32 v26, 16, v18
.LBB470_83:
	s_or_b64 exec, exec, s[0:1]
	v_or_b32_e32 v19, 0xb000, v42
	v_or_b32_e32 v18, 0xb000, v43
	s_and_saveexec_b64 s[0:1], s[4:5]
	s_cbranch_execz .LBB470_85
; %bb.84:
	v_mov_b32_e32 v25, 0
	v_lshl_add_u64 v[22:23], v[22:23], 0, v[24:25]
	global_load_ushort v20, v[22:23], off offset:32
	s_waitcnt vmcnt(0)
	v_lshlrev_b32_e32 v20, 16, v20
	v_sub_f32_e32 v20, v20, v21
	v_mul_f32_e32 v20, v38, v20
	v_lshrrev_b32_e32 v25, 16, v20
.LBB470_85:
	s_or_b64 exec, exec, s[0:1]
	s_mov_b32 s0, 0x5040100
	v_or_b32_e32 v22, v35, v37
	v_perm_b32 v21, v25, v26, s0
	v_perm_b32 v20, v29, v27, s0
	v_lshlrev_b32_e32 v22, 1, v22
	s_movk_i32 s2, 0x100
	ds_write_b64 v22, v[20:21] offset:45056
	v_and_b32_e32 v20, 7, v0
	v_and_b32_e32 v21, 8, v0
	v_cmp_gt_u32_e32 vcc, s2, v0
	v_lshrrev_b32_e32 v0, 1, v0
	v_lshlrev_b32_e32 v26, 3, v20
	v_lshlrev_b32_e32 v35, 7, v20
	v_mov_b32_e32 v20, 0x4000
	v_mov_b32_e32 v22, 0x2000
	v_lshlrev_b32_e32 v24, 3, v53
	v_and_b32_e32 v0, 24, v0
	v_cndmask_b32_e32 v27, v20, v22, vcc
	v_xor_b32_e32 v20, v24, v0
	v_or_b32_e32 v22, 0x440, v20
	v_cmp_eq_u32_e32 vcc, 0, v21
	v_or_b32_e32 v28, 32, v0
	v_xor_b32_e32 v28, v24, v28
	v_cndmask_b32_e32 v20, v22, v20, vcc
	v_or_b32_e32 v20, v20, v41
	v_xor_b32_e32 v50, v20, v26
	v_or_b32_e32 v29, 0x440, v28
	v_add3_u32 v25, v27, v50, v35
	v_cndmask_b32_e32 v28, v29, v28, vcc
	v_or_b32_e32 v29, 64, v0
	v_or_b32_e32 v0, 0x60, v0
	s_waitcnt lgkmcnt(0)
	s_barrier
	v_xor_b32_e32 v29, v24, v29
	v_xor_b32_e32 v0, v24, v0
	ds_read_b64 v[24:25], v25
	v_xor_b32_e32 v30, 0x440, v29
	ds_read2_b64 v[20:23], v19 offset1:16
	v_cndmask_b32_e32 v29, v30, v29, vcc
	v_xor_b32_e32 v30, 0x440, v0
	v_or_b32_e32 v28, v28, v41
	v_or_b32_e32 v29, v29, v41
	v_cndmask_b32_e32 v0, v30, v0, vcc
	v_xor_b32_e32 v51, v28, v26
	v_xor_b32_e32 v52, v29, v26
	v_or_b32_e32 v0, v0, v41
	v_add3_u32 v28, v27, v51, v35
	v_add3_u32 v29, v27, v52, v35
	v_xor_b32_e32 v54, v0, v26
	s_mul_i32 s0, s16, s17
	s_mul_hi_i32 s1, s16, s17
	v_add3_u32 v0, v27, v54, v35
	ds_read_b64 v[26:27], v28
	ds_read_b64 v[46:47], v29
	;; [unrolled: 1-line block ×3, first 2 shown]
	s_add_u32 s0, s0, s46
	ds_read2st64_b64 v[28:31], v19 offset0:2 offset1:4
	ds_read2st64_b64 v[38:41], v18 offset0:2 offset1:4
	s_waitcnt lgkmcnt(5)
	v_mfma_f32_16x16x16_bf16 a[0:3], v[24:25], v[20:21], 0
	s_addc_u32 s1, s1, s29
	s_lshl_b64 s[0:1], s[0:1], 9
	s_add_u32 s0, s36, s0
	v_mfma_f32_16x16x16_bf16 a[4:7], v[24:25], v[22:23], 0
	s_addc_u32 s1, s37, s1
	v_lshlrev_b32_e32 v0, 2, v32
	v_lshlrev_b32_e32 v32, 2, v36
	s_waitcnt lgkmcnt(1)
	v_mfma_f32_16x16x16_bf16 a[0:3], v[26:27], v[28:29], a[0:3]
	ds_read_b64 v[36:37], v18 offset:3072
	s_waitcnt lgkmcnt(1)
	v_mfma_f32_16x16x16_bf16 a[4:7], v[26:27], v[38:39], a[4:7]
	global_load_dwordx4 v[24:27], v0, s[0:1]
	v_lshlrev_b32_e32 v0, 6, v53
	v_or3_b32 v0, v0, v32, s2
	global_load_dwordx4 v[42:45], v0, s[0:1]
	ds_read_b64 v[32:33], v19 offset:3072
	v_mfma_f32_16x16x16_bf16 a[0:3], v[46:47], v[30:31], a[0:3]
	v_mov_b32_e32 v0, 0x3fb8aa3b
	v_mul_f32_e32 v0, s18, v0
	v_exp_f32_e32 v0, v0
	v_mfma_f32_16x16x16_bf16 a[4:7], v[46:47], v[40:41], a[4:7]
	s_waitcnt vmcnt(1)
	v_mul_f32_e32 v18, 0x3fb8aa3b, v24
	v_mul_f32_e32 v19, 0x3fb8aa3b, v25
	v_exp_f32_e32 v18, v18
	v_exp_f32_e32 v19, v19
	s_waitcnt lgkmcnt(0)
	v_mfma_f32_16x16x16_bf16 a[0:3], v[48:49], v[32:33], a[0:3]
	v_mul_f32_e32 v24, 0x3fb8aa3b, v26
	v_mul_f32_e32 v25, 0x3fb8aa3b, v27
	v_pk_mul_f32 v[46:47], v[0:1], v[18:19] op_sel_hi:[0,1]
	v_add_u32_e32 v18, v50, v35
	v_exp_f32_e32 v24, v24
	v_exp_f32_e32 v25, v25
	v_add_u32_e32 v50, v52, v35
	v_accvgpr_read_b32 v27, a3
	v_accvgpr_read_b32 v26, a2
	v_mfma_f32_16x16x16_bf16 a[2:5], v[48:49], v[36:37], a[4:7]
	ds_read_b64 v[48:49], v18 offset:16384
	v_accvgpr_read_b32 v19, a1
	v_accvgpr_read_b32 v18, a0
	v_pk_fma_f32 v[18:19], v[2:3], v[46:47], v[18:19]
	v_add_u32_e32 v2, v51, v35
	s_waitcnt lgkmcnt(0)
	v_mfma_f32_16x16x16_bf16 a[6:9], v[48:49], v[20:21], 0
	v_add_u32_e32 v35, v54, v35
	ds_read_b64 v[2:3], v2 offset:16384
	ds_read_b64 v[50:51], v50 offset:16384
	ds_read_b64 v[52:53], v35 offset:16384
	v_pk_mul_f32 v[24:25], v[0:1], v[24:25] op_sel_hi:[0,1]
	v_pk_fma_f32 v[20:21], v[4:5], v[24:25], v[26:27]
	v_accvgpr_read_b32 v4, a2
	v_mfma_f32_16x16x16_bf16 a[10:13], v[48:49], v[22:23], 0
	v_fma_f32 v26, v10, v46, v4
	v_accvgpr_read_b32 v4, a3
	v_fma_f32 v27, v11, v47, v4
	s_waitcnt lgkmcnt(2)
	v_mfma_f32_16x16x16_bf16 a[0:3], v[2:3], v[28:29], a[6:9]
	v_accvgpr_read_b32 v4, a4
	v_accvgpr_read_b32 v29, a5
	v_fma_f32 v28, v12, v24, v4
	v_mfma_f32_16x16x16_bf16 a[4:7], v[2:3], v[38:39], a[10:13]
	s_waitcnt vmcnt(0)
	v_mov_b32_e32 v2, v43
	v_mov_b32_e32 v3, v44
	;; [unrolled: 1-line block ×3, first 2 shown]
	s_waitcnt lgkmcnt(1)
	v_mfma_f32_16x16x16_bf16 a[0:3], v[50:51], v[30:31], a[0:3]
	v_mul_f32_e32 v2, 0x3fb8aa3b, v2
	v_mul_f32_e32 v5, 0x3fb8aa3b, v42
	v_exp_f32_e32 v11, v2
	v_mfma_f32_16x16x16_bf16 a[4:7], v[50:51], v[40:41], a[4:7]
	v_mul_f32_e32 v2, 0x3fb8aa3b, v3
	v_mul_f32_e32 v3, 0x3fb8aa3b, v4
	v_exp_f32_e32 v10, v5
	s_waitcnt lgkmcnt(0)
	v_mfma_f32_16x16x16_bf16 a[0:3], v[52:53], v[32:33], a[0:3]
	v_exp_f32_e32 v2, v2
	v_exp_f32_e32 v3, v3
	v_pk_mul_f32 v[10:11], v[0:1], v[10:11] op_sel_hi:[0,1]
	v_fmac_f32_e32 v29, v13, v25
	v_mov_b32_e32 v35, v34
	v_pk_mul_f32 v[2:3], v[0:1], v[2:3] op_sel_hi:[0,1]
	s_nop 0
	v_accvgpr_read_b32 v5, a3
	v_accvgpr_read_b32 v4, a2
	v_mfma_f32_16x16x16_bf16 a[2:5], v[52:53], v[36:37], a[4:7]
	v_accvgpr_read_b32 v13, a1
	v_accvgpr_read_b32 v12, a0
	v_pk_fma_f32 v[22:23], v[6:7], v[10:11], v[12:13]
	v_pk_fma_f32 v[24:25], v[8:9], v[2:3], v[4:5]
	s_nop 2
	v_accvgpr_read_b32 v0, a2
	v_fma_f32 v30, v14, v10, v0
	v_accvgpr_read_b32 v0, a3
	v_fma_f32 v31, v15, v11, v0
	v_accvgpr_read_b32 v0, a4
	v_accvgpr_read_b32 v33, a5
	v_fma_f32 v32, v16, v2, v0
	v_fmac_f32_e32 v33, v17, v3
	v_mov_b64_e32 v[2:3], v[18:19]
	v_mov_b64_e32 v[4:5], v[20:21]
	;; [unrolled: 1-line block ×8, first 2 shown]
.LBB470_86:
	s_mul_i32 s0, s47, s35
	s_mul_hi_u32 s1, s47, s34
	s_add_i32 s0, s1, s0
	s_mul_i32 s1, s33, s34
	s_add_i32 s1, s0, s1
	s_mul_i32 s0, s47, s34
	s_add_u32 s0, s0, s46
	s_addc_u32 s1, s1, s29
	s_lshl_b64 s[0:1], s[0:1], 16
	s_add_u32 s0, s12, s0
	v_lshlrev_b32_e32 v18, 7, v35
	s_addc_u32 s1, s13, s1
	v_ashrrev_i32_e32 v19, 31, v18
	v_lshl_add_u64 v[20:21], v[18:19], 2, s[0:1]
	v_lshlrev_b32_e32 v0, 2, v1
	v_mov_b32_e32 v1, 0
	v_lshl_add_u64 v[20:21], v[20:21], 0, v[0:1]
	global_store_dwordx4 v[20:21], v[2:5], off
	global_store_dwordx4 v[20:21], v[6:9], off offset:256
	s_nop 0
	v_or_b32_e32 v2, 0x800, v18
	v_ashrrev_i32_e32 v3, 31, v2
	v_lshl_add_u64 v[2:3], v[2:3], 2, s[0:1]
	v_lshl_add_u64 v[0:1], v[2:3], 0, v[0:1]
	global_store_dwordx4 v[0:1], v[10:13], off
	global_store_dwordx4 v[0:1], v[14:17], off offset:256
	s_endpgm
	.section	.rodata,"a",@progbits
	.p2align	6, 0x0
	.amdhsa_kernel _ZN12_GLOBAL__N_139chunk_gated_delta_rule_fwd_h_hip_kernelILi32ELb0ELb1ELb0ELb1ELb0ELb1ELb0ELb0EEEvPK12hip_bfloat16S3_S3_PKfS5_PKvPS1_S8_PvPKiSB_iiiiilll
		.amdhsa_group_segment_fixed_size 49152
		.amdhsa_private_segment_fixed_size 0
		.amdhsa_kernarg_size 136
		.amdhsa_user_sgpr_count 2
		.amdhsa_user_sgpr_dispatch_ptr 0
		.amdhsa_user_sgpr_queue_ptr 0
		.amdhsa_user_sgpr_kernarg_segment_ptr 1
		.amdhsa_user_sgpr_dispatch_id 0
		.amdhsa_user_sgpr_kernarg_preload_length 0
		.amdhsa_user_sgpr_kernarg_preload_offset 0
		.amdhsa_user_sgpr_private_segment_size 0
		.amdhsa_uses_dynamic_stack 0
		.amdhsa_enable_private_segment 0
		.amdhsa_system_sgpr_workgroup_id_x 1
		.amdhsa_system_sgpr_workgroup_id_y 1
		.amdhsa_system_sgpr_workgroup_id_z 0
		.amdhsa_system_sgpr_workgroup_info 0
		.amdhsa_system_vgpr_workitem_id 0
		.amdhsa_next_free_vgpr 164
		.amdhsa_next_free_sgpr 66
		.amdhsa_accum_offset 140
		.amdhsa_reserve_vcc 1
		.amdhsa_float_round_mode_32 0
		.amdhsa_float_round_mode_16_64 0
		.amdhsa_float_denorm_mode_32 3
		.amdhsa_float_denorm_mode_16_64 3
		.amdhsa_dx10_clamp 1
		.amdhsa_ieee_mode 1
		.amdhsa_fp16_overflow 0
		.amdhsa_tg_split 0
		.amdhsa_exception_fp_ieee_invalid_op 0
		.amdhsa_exception_fp_denorm_src 0
		.amdhsa_exception_fp_ieee_div_zero 0
		.amdhsa_exception_fp_ieee_overflow 0
		.amdhsa_exception_fp_ieee_underflow 0
		.amdhsa_exception_fp_ieee_inexact 0
		.amdhsa_exception_int_div_zero 0
	.end_amdhsa_kernel
	.section	.text._ZN12_GLOBAL__N_139chunk_gated_delta_rule_fwd_h_hip_kernelILi32ELb0ELb1ELb0ELb1ELb0ELb1ELb0ELb0EEEvPK12hip_bfloat16S3_S3_PKfS5_PKvPS1_S8_PvPKiSB_iiiiilll,"axG",@progbits,_ZN12_GLOBAL__N_139chunk_gated_delta_rule_fwd_h_hip_kernelILi32ELb0ELb1ELb0ELb1ELb0ELb1ELb0ELb0EEEvPK12hip_bfloat16S3_S3_PKfS5_PKvPS1_S8_PvPKiSB_iiiiilll,comdat
.Lfunc_end470:
	.size	_ZN12_GLOBAL__N_139chunk_gated_delta_rule_fwd_h_hip_kernelILi32ELb0ELb1ELb0ELb1ELb0ELb1ELb0ELb0EEEvPK12hip_bfloat16S3_S3_PKfS5_PKvPS1_S8_PvPKiSB_iiiiilll, .Lfunc_end470-_ZN12_GLOBAL__N_139chunk_gated_delta_rule_fwd_h_hip_kernelILi32ELb0ELb1ELb0ELb1ELb0ELb1ELb0ELb0EEEvPK12hip_bfloat16S3_S3_PKfS5_PKvPS1_S8_PvPKiSB_iiiiilll
                                        ; -- End function
	.section	.AMDGPU.csdata,"",@progbits
; Kernel info:
; codeLenInByte = 9776
; NumSgprs: 72
; NumVgprs: 140
; NumAgprs: 24
; TotalNumVgprs: 164
; ScratchSize: 0
; MemoryBound: 0
; FloatMode: 240
; IeeeMode: 1
; LDSByteSize: 49152 bytes/workgroup (compile time only)
; SGPRBlocks: 8
; VGPRBlocks: 20
; NumSGPRsForWavesPerEU: 72
; NumVGPRsForWavesPerEU: 164
; AccumOffset: 140
; Occupancy: 1
; WaveLimiterHint : 1
; COMPUTE_PGM_RSRC2:SCRATCH_EN: 0
; COMPUTE_PGM_RSRC2:USER_SGPR: 2
; COMPUTE_PGM_RSRC2:TRAP_HANDLER: 0
; COMPUTE_PGM_RSRC2:TGID_X_EN: 1
; COMPUTE_PGM_RSRC2:TGID_Y_EN: 1
; COMPUTE_PGM_RSRC2:TGID_Z_EN: 0
; COMPUTE_PGM_RSRC2:TIDIG_COMP_CNT: 0
; COMPUTE_PGM_RSRC3_GFX90A:ACCUM_OFFSET: 34
; COMPUTE_PGM_RSRC3_GFX90A:TG_SPLIT: 0
	.section	.text._ZN12_GLOBAL__N_139chunk_gated_delta_rule_fwd_h_hip_kernelILi32ELb0ELb0ELb1ELb1ELb0ELb1ELb0ELb0EEEvPK12hip_bfloat16S3_S3_PKfS5_PKvPS1_S8_PvPKiSB_iiiiilll,"axG",@progbits,_ZN12_GLOBAL__N_139chunk_gated_delta_rule_fwd_h_hip_kernelILi32ELb0ELb0ELb1ELb1ELb0ELb1ELb0ELb0EEEvPK12hip_bfloat16S3_S3_PKfS5_PKvPS1_S8_PvPKiSB_iiiiilll,comdat
	.globl	_ZN12_GLOBAL__N_139chunk_gated_delta_rule_fwd_h_hip_kernelILi32ELb0ELb0ELb1ELb1ELb0ELb1ELb0ELb0EEEvPK12hip_bfloat16S3_S3_PKfS5_PKvPS1_S8_PvPKiSB_iiiiilll ; -- Begin function _ZN12_GLOBAL__N_139chunk_gated_delta_rule_fwd_h_hip_kernelILi32ELb0ELb0ELb1ELb1ELb0ELb1ELb0ELb0EEEvPK12hip_bfloat16S3_S3_PKfS5_PKvPS1_S8_PvPKiSB_iiiiilll
	.p2align	8
	.type	_ZN12_GLOBAL__N_139chunk_gated_delta_rule_fwd_h_hip_kernelILi32ELb0ELb0ELb1ELb1ELb0ELb1ELb0ELb0EEEvPK12hip_bfloat16S3_S3_PKfS5_PKvPS1_S8_PvPKiSB_iiiiilll,@function
_ZN12_GLOBAL__N_139chunk_gated_delta_rule_fwd_h_hip_kernelILi32ELb0ELb0ELb1ELb1ELb0ELb1ELb0ELb0EEEvPK12hip_bfloat16S3_S3_PKfS5_PKvPS1_S8_PvPKiSB_iiiiilll: ; @_ZN12_GLOBAL__N_139chunk_gated_delta_rule_fwd_h_hip_kernelILi32ELb0ELb0ELb1ELb1ELb0ELb1ELb0ELb0EEEvPK12hip_bfloat16S3_S3_PKfS5_PKvPS1_S8_PvPKiSB_iiiiilll
; %bb.0:
	s_load_dwordx4 s[16:19], s[0:1], 0x5c
	s_load_dwordx4 s[20:23], s[0:1], 0x70
	s_abs_i32 s25, s3
	s_ashr_i32 s24, s3, 31
	s_load_dwordx4 s[12:15], s[0:1], 0x30
	s_load_dwordx4 s[28:31], s[0:1], 0x48
	s_waitcnt lgkmcnt(0)
	s_abs_i32 s34, s17
	v_cvt_f32_u32_e32 v1, s34
	s_sub_i32 s26, 0, s34
	s_ashr_i32 s35, s17, 31
	s_xor_b32 s24, s24, s35
	v_rcp_iflag_f32_e32 v1, v1
	s_load_dwordx8 s[4:11], s[0:1], 0x0
	v_lshrrev_b32_e32 v63, 6, v0
	v_bfe_u32 v64, v0, 4, 2
	v_mul_f32_e32 v1, 0x4f7ffffe, v1
	v_cvt_u32_f32_e32 v1, v1
	v_lshlrev_b32_e32 v2, 2, v64
	v_and_b32_e32 v62, 63, v0
	v_mov_b32_e32 v5, 0
	v_readfirstlane_b32 s27, v1
	s_mul_i32 s26, s26, s27
	s_mul_hi_u32 s26, s27, s26
	s_add_i32 s27, s27, s26
	s_mul_hi_u32 s26, s25, s27
	s_mul_i32 s27, s26, s34
	s_sub_i32 s25, s25, s27
	s_add_i32 s33, s26, 1
	s_sub_i32 s27, s25, s34
	s_cmp_ge_u32 s25, s34
	s_cselect_b32 s26, s33, s26
	s_cselect_b32 s25, s27, s25
	s_add_i32 s27, s26, 1
	s_cmp_ge_u32 s25, s34
	s_cselect_b32 s25, s27, s26
	s_xor_b32 s25, s25, s24
	s_sub_i32 s24, s25, s24
	s_mul_i32 s25, s24, s17
	s_sub_i32 s33, s3, s25
	s_ashr_i32 s25, s24, 31
	s_lshl_b64 s[26:27], s[24:25], 2
	s_add_u32 s28, s28, s26
	s_addc_u32 s29, s29, s27
	s_add_u32 s26, s30, s26
	s_addc_u32 s27, s31, s27
	s_abs_i32 s3, s18
	v_cvt_f32_u32_e32 v1, s3
	s_load_dwordx2 s[38:39], s[28:29], 0x0
	s_sub_i32 s29, 0, s3
	s_load_dword s48, s[26:27], 0x0
	v_rcp_iflag_f32_e32 v1, v1
	v_and_b32_e32 v45, 15, v0
	s_waitcnt lgkmcnt(0)
	s_sub_i32 s49, s39, s38
	s_ashr_i32 s28, s49, 31
	v_mul_f32_e32 v1, 0x4f7ffffe, v1
	v_cvt_u32_f32_e32 v1, v1
	s_lshr_b32 s28, s28, 26
	s_add_i32 s28, s49, s28
	s_ashr_i32 s47, s28, 6
	v_readfirstlane_b32 s30, v1
	s_mul_i32 s29, s29, s30
	s_mul_hi_u32 s29, s30, s29
	s_add_i32 s30, s30, s29
	s_mul_hi_u32 s29, s34, s30
	s_mul_i32 s30, s29, s3
	s_ashr_i32 s28, s18, 31
	s_sub_i32 s30, s34, s30
	s_xor_b32 s28, s35, s28
	s_add_i32 s31, s29, 1
	s_sub_i32 s34, s30, s3
	s_cmp_ge_u32 s30, s3
	s_cselect_b32 s29, s31, s29
	s_cselect_b32 s30, s34, s30
	s_add_i32 s31, s29, 1
	s_cmp_ge_u32 s30, s3
	s_cselect_b32 s3, s31, s29
	s_xor_b32 s3, s3, s28
	s_sub_i32 s3, s3, s28
	s_abs_i32 s28, s3
	v_cvt_f32_u32_e32 v1, s28
	s_sub_i32 s27, 0, s28
	s_abs_i32 s26, s33
	s_xor_b32 s3, s33, s3
	v_rcp_iflag_f32_e32 v1, v1
	s_ashr_i32 s3, s3, 31
	s_load_dwordx2 s[34:35], s[0:1], 0x80
	s_mul_hi_i32 s50, s33, s16
	v_mul_f32_e32 v1, 0x4f7ffffe, v1
	v_cvt_u32_f32_e32 v1, v1
	s_mul_i32 s51, s33, s16
	v_lshrrev_b32_e32 v66, 3, v62
	v_lshlrev_b32_e32 v65, 3, v0
	v_readfirstlane_b32 s29, v1
	s_mul_i32 s27, s27, s29
	s_mul_hi_u32 s27, s29, s27
	s_add_i32 s29, s29, s27
	s_mul_hi_u32 s27, s26, s29
	s_mul_i32 s29, s27, s28
	s_sub_i32 s26, s26, s29
	s_add_i32 s29, s27, 1
	s_sub_i32 s30, s26, s28
	s_cmp_ge_u32 s26, s28
	s_cselect_b32 s27, s29, s27
	s_cselect_b32 s26, s30, s26
	s_add_i32 s29, s27, 1
	s_cmp_ge_u32 s26, s28
	s_cselect_b32 s26, s29, s27
	s_xor_b32 s26, s26, s3
	v_lshlrev_b32_e32 v1, 4, v63
	s_sub_i32 s52, s26, s3
	v_or_b32_e32 v67, v2, v1
	s_lshl_b32 s36, s2, 5
	v_or_b32_e32 v68, 64, v67
	s_cmp_lt_i32 s49, 64
	s_mul_i32 s44, s24, s21
	s_mul_hi_u32 s45, s24, s20
	s_mul_i32 s46, s25, s20
	s_mul_i32 s20, s24, s20
	v_mov_b32_e32 v86, 0
	v_mov_b32_e32 v84, 0
	;; [unrolled: 1-line block ×15, first 2 shown]
	s_cbranch_scc1 .LBB471_18
; %bb.1:
	s_ashr_i32 s55, s33, 31
	s_ashr_i32 s3, s38, 31
	s_add_u32 s2, s51, s38
	s_addc_u32 s3, s50, s3
	s_lshl_b64 s[2:3], s[2:3], 8
	v_and_b32_e32 v70, 56, v65
	s_add_u32 s24, s6, s2
	v_lshl_or_b32 v69, v63, 3, v66
	v_lshlrev_b32_e32 v3, 1, v70
	s_addc_u32 s2, s7, s3
	v_lshl_or_b32 v71, v69, 8, v3
	s_and_b32 s25, s2, 0xffff
	s_mov_b32 s27, 0x20000
	s_movk_i32 s26, 0x4000
	s_movk_i32 s2, 0x80
	v_or_b32_e32 v72, 0x2000, v71
	buffer_load_dwordx4 v[4:7], v71, s[24:27], 0 offen
	buffer_load_dwordx4 v[8:11], v71, s[24:27], s2 offen
	;; [unrolled: 1-line block ×4, first 2 shown]
	v_lshlrev_b32_e32 v20, 3, v69
	v_and_or_b32 v22, v0, 7, v20
	v_and_b32_e32 v20, 0x78, v20
	v_lshlrev_b32_e32 v22, 4, v22
	v_xor_b32_e32 v73, v22, v20
	v_mul_lo_u32 v21, v69, s19
	v_or_b32_e32 v74, 0x1000, v73
	s_cmpk_eq_i32 s19, 0x80
	s_mov_b32 s53, s17
	s_mov_b32 s54, s38
	v_xor_b32_e32 v20, 8, v73
	v_xor_b32_e32 v22, 8, v74
	s_cselect_b64 s[2:3], -1, 0
	s_cmpk_lg_i32 s19, 0x80
	s_waitcnt vmcnt(3)
	ds_write_b64 v73, v[4:5] offset:24576
	ds_write_b64 v20, v[6:7] offset:24576
	s_waitcnt vmcnt(2)
	ds_write_b64 v73, v[8:9] offset:32768
	ds_write_b64 v20, v[10:11] offset:32768
	;; [unrolled: 3-line block ×4, first 2 shown]
	v_lshl_add_u32 v4, v21, 1, v70
	s_cbranch_scc0 .LBB471_3
; %bb.2:
	v_lshlrev_b32_e32 v6, 1, v4
	v_add_lshl_u32 v5, v4, s19, 1
	s_lshl_b32 s26, s19, 7
	s_load_dwordx2 s[40:41], s[0:1], 0x20
	v_lshl_or_b32 v3, v69, 9, v3
	s_cbranch_execz .LBB471_4
	s_branch .LBB471_5
.LBB471_3:
                                        ; implicit-def: $vgpr5
                                        ; implicit-def: $vgpr6
                                        ; implicit-def: $sgpr26
	s_load_dwordx2 s[40:41], s[0:1], 0x20
	v_lshl_or_b32 v3, v69, 9, v3
.LBB471_4:
	v_or_b32_e32 v5, 0x100, v3
	s_movk_i32 s26, 0x4000
	v_mov_b32_e32 v6, v3
.LBB471_5:
	s_mul_i32 s0, s38, s18
	s_ashr_i32 s56, s52, 31
	s_mul_hi_i32 s1, s38, s18
	s_add_u32 s0, s0, s52
	s_addc_u32 s1, s1, s56
	s_lshl_b64 s[0:1], s[0:1], 8
	s_add_u32 s24, s4, s0
	s_addc_u32 s0, s5, s1
	s_and_b32 s25, s0, 0xffff
	s_movk_i32 s57, 0x80
	buffer_load_dwordx4 v[8:11], v6, s[24:27], 0 offen
	buffer_load_dwordx4 v[12:15], v6, s[24:27], s57 offen
	buffer_load_dwordx4 v[16:19], v5, s[24:27], 0 offen
	buffer_load_dwordx4 v[20:23], v5, s[24:27], s57 offen
	v_and_b32_e32 v5, 6, v0
	v_lshlrev_b32_e32 v24, 6, v67
	v_or_b32_e32 v26, 16, v45
	v_xor_b32_e32 v27, v69, v5
	v_and_b32_e32 v6, 1, v0
	v_lshl_or_b32 v30, v45, 3, v24
	v_lshl_or_b32 v24, v26, 3, v24
	v_lshlrev_b32_e32 v27, 2, v27
	v_lshlrev_b32_e32 v7, 2, v45
	s_mul_i32 s0, s33, s23
	s_mul_hi_u32 s1, s33, s22
	v_or_b32_e32 v77, 0xa000, v24
	v_or_b32_e32 v78, 0xb000, v24
	v_xor_b32_e32 v24, 0x440, v27
	v_cmp_eq_u32_e32 vcc, 0, v6
	s_add_i32 s21, s45, s44
	s_mul_i32 s24, s55, s22
	v_xor_b32_e32 v28, v67, v7
	v_xor_b32_e32 v29, v68, v7
	v_cndmask_b32_e32 v6, v24, v27, vcc
	s_add_i32 s0, s1, s0
	s_add_i32 s21, s21, s46
	s_mov_b32 s58, 0x1000504
	v_lshlrev_b32_e32 v25, 8, v45
	v_lshlrev_b32_e32 v26, 8, v26
	v_lshlrev_b32_e32 v28, 1, v28
	v_lshlrev_b32_e32 v29, 1, v29
	v_lshl_or_b32 v5, v5, 10, v6
	s_add_i32 s1, s0, s24
	s_lshl_b64 s[24:25], s[20:21], 2
	s_mov_b32 s59, 0x3020706
	v_or_b32_e32 v75, 0xa000, v30
	v_or_b32_e32 v76, 0xb000, v30
	;; [unrolled: 1-line block ×5, first 2 shown]
	v_xor_b32_e32 v6, 8, v5
	v_xor_b32_e32 v25, 24, v5
	;; [unrolled: 1-line block ×4, first 2 shown]
	s_mul_i32 s0, s33, s22
	s_add_u32 s21, s10, s24
	v_or_b32_e32 v81, v26, v28
	v_xor_b32_e32 v24, 16, v5
	v_xor_b32_e32 v26, 32, v5
	;; [unrolled: 1-line block ×3, first 2 shown]
	v_add_u32_e32 v6, 0x80, v6
	v_add_u32_e32 v25, 0x80, v25
	v_add_u32_e32 v27, 0x80, v27
	v_add_u32_e32 v29, 0x80, v29
	s_addc_u32 s24, s11, s25
	s_lshl_b64 s[0:1], s[0:1], 2
	s_add_u32 s42, s21, s0
	s_movk_i32 s0, 0xf8
	s_addc_u32 s43, s24, s1
	s_ashr_i32 s37, s36, 31
	s_lshl_b32 s30, s19, 7
	s_movk_i32 s24, 0x100
	v_mov_b32_e32 v51, 0
	v_lshlrev_b32_e32 v50, 4, v45
	v_cmp_gt_u32_e32 vcc, s24, v0
	s_mov_b32 s60, 0
	s_movk_i32 s21, 0x1000
	s_movk_i32 s26, 0x4000
	v_add_u32_e32 v102, v1, v2
	v_mov_b32_e32 v113, 0x3fb8aa3b
	v_mov_b32_e32 v52, v51
	;; [unrolled: 1-line block ×13, first 2 shown]
	s_waitcnt vmcnt(1)
	v_perm_b32 v30, v8, v16, s58
	s_waitcnt vmcnt(0)
	v_perm_b32 v31, v12, v20, s58
	v_perm_b32 v8, v8, v16, s59
	;; [unrolled: 1-line block ×15, first 2 shown]
	ds_write2st64_b32 v5, v30, v31 offset0:32 offset1:64
	ds_write2st64_b32 v6, v8, v12 offset0:32 offset1:64
	;; [unrolled: 1-line block ×8, first 2 shown]
	v_or_b32_e32 v5, v1, v45
	v_lshlrev_b32_e32 v5, 3, v5
	v_lshrrev_b32_e32 v8, 5, v62
	v_and_or_b32 v8, v5, s0, v8
	v_lshrrev_b32_e32 v6, 2, v62
	v_lshlrev_b32_e32 v11, 11, v63
	v_lshlrev_b32_e32 v8, 4, v8
	v_and_b32_e32 v5, 0x78, v5
	v_and_b32_e32 v9, 12, v6
	;; [unrolled: 1-line block ×3, first 2 shown]
	v_xor_b32_e32 v10, v8, v5
	v_lshrrev_b32_e32 v12, 1, v62
	v_or_b32_e32 v10, v10, v6
	v_and_b32_e32 v12, 8, v12
	v_xor_b32_e32 v83, v10, v12
	v_or_b32_e32 v10, 32, v8
	v_xor_b32_e32 v10, v10, v5
	v_or_b32_e32 v10, v10, v6
	;; [unrolled: 2-line block ×3, first 2 shown]
	v_or_b32_e32 v8, 0x60, v8
	v_xor_b32_e32 v10, v10, v5
	v_xor_b32_e32 v5, v8, v5
	s_lshl_b64 s[0:1], s[36:37], 8
	v_or_b32_e32 v10, v10, v6
	v_or_b32_e32 v5, v5, v6
	v_lshlrev_b32_e32 v14, 1, v4
	v_add_lshl_u32 v15, v4, s19, 1
	s_add_u32 s0, s12, s0
	v_lshlrev_b32_e32 v4, 1, v45
	v_xor_b32_e32 v93, v10, v12
	v_xor_b32_e32 v94, v5, v12
	v_lshrrev_b32_e32 v10, 4, v0
	s_addc_u32 s1, s13, s1
	v_or_b32_e32 v5, 1, v4
	v_mov_b32_e32 v20, 0x4000
	v_mov_b32_e32 v21, 0x2000
	v_lshrrev_b32_e32 v22, 1, v0
	v_xor_b32_e32 v12, v10, v4
	v_xor_b32_e32 v17, v5, v10
	v_lshl_add_u64 v[4:5], s[0:1], 0, v[50:51]
	v_lshlrev_b32_e32 v50, 8, v10
	v_cndmask_b32_e32 v20, v20, v21, vcc
	v_lshlrev_b32_e32 v21, 3, v63
	v_and_b32_e32 v22, 24, v22
	v_lshl_or_b32 v97, v12, 3, v50
	v_and_b32_e32 v12, 8, v0
	v_xor_b32_e32 v23, v21, v22
	v_or_b32_e32 v24, 0x440, v23
	v_cmp_eq_u32_e32 vcc, 0, v12
	v_and_b32_e32 v10, 7, v0
	v_lshlrev_b32_e32 v13, 7, v64
	v_cndmask_b32_e32 v12, v24, v23, vcc
	v_lshl_or_b32 v98, v17, 3, v50
	v_lshlrev_b32_e32 v17, 3, v10
	v_lshlrev_b32_e32 v19, 2, v0
	v_or_b32_e32 v12, v12, v11
	v_or_b32_e32 v7, v13, v7
	v_xor_b32_e32 v23, v12, v17
	v_and_or_b32 v12, v19, 60, v13
	v_mov_b32_e32 v13, 0xb000
	v_lshl_or_b32 v99, v12, 1, v13
	v_or_b32_e32 v12, 32, v22
	v_xor_b32_e32 v12, v21, v12
	v_or_b32_e32 v13, 0x440, v12
	v_cndmask_b32_e32 v12, v13, v12, vcc
	v_or_b32_e32 v12, v12, v11
	v_xor_b32_e32 v13, v12, v17
	v_or_b32_e32 v12, 64, v22
	v_xor_b32_e32 v12, v21, v12
	v_xor_b32_e32 v25, 0x440, v12
	v_cndmask_b32_e32 v12, v25, v12, vcc
	v_or_b32_e32 v12, v12, v11
	v_xor_b32_e32 v25, v12, v17
	v_or_b32_e32 v12, 0x60, v22
	v_xor_b32_e32 v12, v21, v12
	v_xor_b32_e32 v21, 0x440, v12
	v_cndmask_b32_e32 v12, v21, v12, vcc
	v_lshlrev_b32_e32 v7, 1, v7
	v_or_b32_e32 v6, s36, v45
	v_or_b32_e32 v11, v12, v11
	;; [unrolled: 1-line block ×6, first 2 shown]
	v_ashrrev_i32_e32 v7, 31, v6
	v_xor_b32_e32 v11, v11, v17
	v_lshlrev_b32_e32 v8, 7, v67
	v_or_b32_e32 v16, 0x100, v3
	v_lshlrev_b32_e32 v18, 7, v10
	v_or_b32_e32 v10, v9, v1
	v_add_u32_e32 v24, v20, v23
	v_add_u32_e32 v19, v20, v13
	;; [unrolled: 1-line block ×4, first 2 shown]
	v_or3_b32 v12, v1, v9, 64
	v_add_u32_e32 v9, 0x4000, v23
	v_add_u32_e32 v13, 0x4000, v13
	;; [unrolled: 1-line block ×4, first 2 shown]
	v_lshlrev_b64 v[6:7], 1, v[6:7]
	v_cndmask_b32_e64 v100, v14, v3, s[2:3]
	v_cndmask_b32_e64 v101, v15, v16, s[2:3]
	v_lshl_add_u64 v[56:57], s[8:9], 0, v[6:7]
	v_lshl_add_u64 v[58:59], s[14:15], 0, v[6:7]
	;; [unrolled: 1-line block ×3, first 2 shown]
	s_mov_b32 s37, 0x7060302
	v_lshlrev_b32_e32 v50, 1, v8
	v_lshlrev_b32_e32 v103, 2, v10
	v_add_u32_e32 v104, v24, v18
	v_add_u32_e32 v105, v19, v18
	;; [unrolled: 1-line block ×4, first 2 shown]
	v_lshlrev_b32_e32 v108, 2, v12
	v_add_u32_e32 v109, v9, v18
	v_add_u32_e32 v110, v13, v18
	;; [unrolled: 1-line block ×4, first 2 shown]
	v_mov_b32_e32 v85, v51
	v_mov_b32_e32 v84, v51
	;; [unrolled: 1-line block ×4, first 2 shown]
	s_waitcnt lgkmcnt(0)
	s_barrier
.LBB471_6:                              ; =>This Inner Loop Header: Depth=1
	s_add_i32 s61, s60, 1
	s_cmp_lt_i32 s61, s47
	s_mov_b64 s[28:29], 0
	s_cselect_b64 s[2:3], -1, 0
	s_cmp_ge_i32 s61, s47
	s_mov_b64 s[24:25], 0
	s_cbranch_scc1 .LBB471_8
; %bb.7:                                ;   in Loop: Header=BB471_6 Depth=1
	s_add_i32 s0, s54, 64
	s_ashr_i32 s1, s0, 31
	s_add_u32 s0, s51, s0
	s_addc_u32 s1, s50, s1
	s_lshl_b64 s[0:1], s[0:1], 8
	s_add_u32 s24, s6, s0
	s_addc_u32 s25, s7, s1
.LBB471_8:                              ;   in Loop: Header=BB471_6 Depth=1
	v_cndmask_b32_e64 v2, 0, 1, s[2:3]
	v_cmp_ne_u32_e64 s[0:1], 1, v2
	s_andn2_b64 vcc, exec, s[2:3]
	s_cbranch_vccnz .LBB471_10
; %bb.9:                                ;   in Loop: Header=BB471_6 Depth=1
	s_add_i32 s2, s54, 64
	s_mul_hi_i32 s3, s2, s18
	s_mul_i32 s2, s2, s18
	s_add_u32 s2, s2, s52
	s_addc_u32 s3, s3, s56
	s_lshl_b64 s[2:3], s[2:3], 8
	s_add_u32 s28, s4, s2
	s_addc_u32 s29, s5, s3
.LBB471_10:                             ;   in Loop: Header=BB471_6 Depth=1
	v_perm_b32 v3, v55, v54, s37
	v_perm_b32 v2, v53, v52, s37
	;; [unrolled: 1-line block ×4, first 2 shown]
	ds_write_b64 v75, v[2:3]
	ds_write_b64 v76, v[4:5]
	ds_write_b64 v79, v[2:3]
	ds_write_b64 v80, v[4:5]
	v_perm_b32 v3, v115, v90, s37
	v_perm_b32 v2, v88, v89, s37
	;; [unrolled: 1-line block ×4, first 2 shown]
	ds_write_b64 v77, v[2:3]
	ds_write_b64 v78, v[4:5]
	;; [unrolled: 1-line block ×4, first 2 shown]
	s_waitcnt lgkmcnt(0)
	s_barrier
	ds_read_b64 v[6:7], v83 offset:24576
	ds_read2_b64 v[2:5], v87 offset1:16
	ds_read_b64 v[10:11], v92 offset:3072
	ds_read_b64 v[12:13], v87 offset:3072
	;; [unrolled: 1-line block ×3, first 2 shown]
	s_waitcnt lgkmcnt(3)
	v_mfma_f32_16x16x16_bf16 a[0:3], v[6:7], v[2:3], 0
	s_add_i32 s62, s54, 63
	s_ashr_i32 s2, s62, 31
	s_mul_i32 s3, s62, s35
	v_mfma_f32_16x16x16_bf16 a[4:7], v[6:7], v[4:5], 0
	ds_read2st64_b64 v[2:5], v87 offset0:2 offset1:4
	s_mul_hi_u32 s31, s62, s34
	s_add_i32 s3, s31, s3
	s_waitcnt lgkmcnt(0)
	v_mfma_f32_16x16x16_bf16 a[0:3], v[14:15], v[2:3], a[0:3]
	ds_read2st64_b64 v[6:9], v92 offset0:2 offset1:4
	ds_read_b64 v[2:3], v93 offset:24576
	s_mul_i32 s2, s2, s34
	s_add_i32 s3, s3, s2
	s_waitcnt lgkmcnt(1)
	v_mfma_f32_16x16x16_bf16 a[4:7], v[14:15], v[6:7], a[4:7]
	ds_read_b64 v[6:7], v94 offset:24576
	s_mul_i32 s2, s62, s34
	s_lshl_b64 s[2:3], s[2:3], 2
	s_waitcnt lgkmcnt(1)
	v_mfma_f32_16x16x16_bf16 a[0:3], v[2:3], v[4:5], a[0:3]
	s_add_u32 s2, s42, s2
	s_addc_u32 s3, s43, s3
	s_and_b64 vcc, exec, s[0:1]
	v_mfma_f32_16x16x16_bf16 a[8:11], v[2:3], v[8:9], a[4:7]
	v_mov_b32_e32 v118, 0
	v_mov_b32_e32 v117, 0
	;; [unrolled: 1-line block ×3, first 2 shown]
	s_waitcnt lgkmcnt(0)
	v_mfma_f32_16x16x16_bf16 a[4:7], v[6:7], v[12:13], a[0:3]
	v_mov_b32_e32 v2, 0
	v_mov_b32_e32 v3, 0
	;; [unrolled: 1-line block ×3, first 2 shown]
	v_mfma_f32_16x16x16_bf16 a[0:3], v[6:7], v[10:11], a[8:11]
	v_mov_b32_e32 v5, 0
	v_mov_b32_e32 v6, 0
	;; [unrolled: 1-line block ×13, first 2 shown]
	s_cbranch_vccnz .LBB471_12
; %bb.11:                               ;   in Loop: Header=BB471_6 Depth=1
	s_and_b32 s25, s25, 0xffff
	buffer_load_dwordx4 v[14:17], v71, s[24:27], 0 offen
	buffer_load_dwordx4 v[10:13], v71, s[24:27], s57 offen
	;; [unrolled: 1-line block ×4, first 2 shown]
	v_mov_b32_e32 v117, v73
	v_mov_b32_e32 v116, v74
.LBB471_12:                             ;   in Loop: Header=BB471_6 Depth=1
	ds_read_b64 v[26:27], v83 offset:32768
	ds_read2_b64 v[18:21], v95 offset1:16
	ds_read_b64 v[28:29], v91 offset:32768
	ds_read_b64 v[30:31], v93 offset:32768
	;; [unrolled: 1-line block ×3, first 2 shown]
	v_add_u32_e32 v34, s54, v102
	s_waitcnt lgkmcnt(3)
	v_mfma_f32_16x16x16_bf16 a[4:7], v[26:27], v[18:19], a[4:7]
	v_ashrrev_i32_e32 v18, 31, v34
	ds_read2st64_b64 v[22:25], v95 offset0:2 offset1:4
	v_mfma_f32_16x16x16_bf16 a[0:3], v[26:27], v[20:21], a[0:3]
	v_mul_lo_u32 v20, v18, s34
	v_mul_lo_u32 v21, v34, s35
	v_mad_u64_u32 v[18:19], s[24:25], v34, s34, 0
	v_add3_u32 v19, v19, v21, v20
	v_add_u32_e32 v20, 1, v34
	v_ashrrev_i32_e32 v21, 31, v20
	v_mul_lo_u32 v26, v21, s34
	v_mul_lo_u32 v27, v20, s35
	v_mad_u64_u32 v[20:21], s[24:25], v20, s34, 0
	v_add3_u32 v21, v21, v27, v26
	v_add_u32_e32 v26, 2, v34
	v_ashrrev_i32_e32 v27, 31, v26
	v_mul_lo_u32 v35, v27, s34
	v_mul_lo_u32 v36, v26, s35
	v_mad_u64_u32 v[26:27], s[24:25], v26, s34, 0
	v_add_u32_e32 v34, 3, v34
	v_add3_u32 v27, v27, v36, v35
	v_ashrrev_i32_e32 v35, 31, v34
	v_mul_lo_u32 v36, v35, s34
	v_mul_lo_u32 v37, v34, s35
	v_mad_u64_u32 v[34:35], s[24:25], v34, s34, 0
	s_ashr_i32 s25, s54, 31
	v_add3_u32 v35, v35, v37, v36
	s_add_u32 s24, s51, s54
	v_lshl_add_u64 v[18:19], v[18:19], 2, s[42:43]
	v_lshl_add_u64 v[34:35], v[34:35], 2, s[42:43]
	s_addc_u32 s25, s50, s25
	v_lshl_add_u64 v[20:21], v[20:21], 2, s[42:43]
	v_lshl_add_u64 v[26:27], v[26:27], 2, s[42:43]
	global_load_dword v36, v[18:19], off
	global_load_dword v37, v[20:21], off
	;; [unrolled: 1-line block ×3, first 2 shown]
	s_nop 0
	global_load_dword v34, v[34:35], off
	s_lshl_b64 s[24:25], s[24:25], 8
	v_lshl_add_u64 v[18:19], v[56:57], 0, s[24:25]
	v_lshl_add_u64 v[26:27], v[18:19], 0, v[50:51]
	global_load_ushort v35, v[26:27], off offset:256
	global_load_ushort v39, v[26:27], off
	ds_read2st64_b64 v[18:21], v96 offset0:2 offset1:4
	global_load_ushort v40, v[26:27], off offset:768
	global_load_ushort v41, v[26:27], off offset:512
	;; [unrolled: 1-line block ×6, first 2 shown]
	s_waitcnt lgkmcnt(1)
	v_mfma_f32_16x16x16_bf16 a[4:7], v[28:29], v[22:23], a[4:7]
	s_and_b64 vcc, exec, s[0:1]
	s_waitcnt vmcnt(7)
	v_lshlrev_b32_e32 v27, 16, v35
	s_waitcnt lgkmcnt(0)
	v_mfma_f32_16x16x16_bf16 a[0:3], v[28:29], v[18:19], a[0:3]
	v_mfma_f32_16x16x16_bf16 a[4:7], v[30:31], v[24:25], a[4:7]
	;; [unrolled: 1-line block ×3, first 2 shown]
	ds_read_b64 v[18:19], v95 offset:3072
	ds_read_b64 v[20:21], v96 offset:3072
	s_load_dword s2, s[2:3], 0x0
	s_waitcnt lgkmcnt(0)
	v_sub_f32_e32 v26, s2, v36
	v_mfma_f32_16x16x16_bf16 a[4:7], v[32:33], v[18:19], a[4:7]
	v_sub_f32_e32 v29, s2, v37
	v_sub_f32_e32 v30, s2, v38
	;; [unrolled: 1-line block ×3, first 2 shown]
	v_mul_f32_e32 v28, 0x3fb8aa3b, v26
	v_mul_f32_e32 v29, 0x3fb8aa3b, v29
	;; [unrolled: 1-line block ×4, first 2 shown]
	v_mfma_f32_16x16x16_bf16 a[0:3], v[32:33], v[20:21], a[0:3]
	v_accvgpr_read_b32 v25, a5
	v_exp_f32_e32 v28, v28
	v_exp_f32_e32 v29, v29
	;; [unrolled: 1-line block ×4, first 2 shown]
	v_accvgpr_read_b32 v24, a4
	s_waitcnt vmcnt(6)
	v_lshlrev_b32_e32 v26, 16, v39
	v_lshl_add_u64 v[18:19], v[58:59], 0, s[24:25]
	v_accvgpr_read_b32 v21, a7
	v_accvgpr_read_b32 v20, a6
	v_pk_add_f32 v[24:25], v[26:27], v[24:25] neg_lo:[0,1] neg_hi:[0,1]
	s_waitcnt vmcnt(5)
	v_lshlrev_b32_e32 v27, 16, v40
	s_waitcnt vmcnt(4)
	v_lshlrev_b32_e32 v26, 16, v41
	v_lshl_add_u64 v[18:19], v[18:19], 0, v[50:51]
	v_pk_add_f32 v[20:21], v[26:27], v[20:21] neg_lo:[0,1] neg_hi:[0,1]
	global_store_short_d16_hi v[18:19], v24, off
	global_store_short_d16_hi v[18:19], v25, off offset:256
	global_store_short_d16_hi v[18:19], v20, off offset:512
	;; [unrolled: 1-line block ×3, first 2 shown]
	v_pk_mul_f32 v[24:25], v[28:29], v[24:25]
	v_pk_mul_f32 v[20:21], v[30:31], v[20:21]
	v_accvgpr_read_b32 v27, a1
	v_perm_b32 v21, v21, v20, s37
	v_perm_b32 v20, v25, v24, s37
	s_waitcnt vmcnt(5)
	v_lshlrev_b32_e32 v25, 16, v44
	s_waitcnt vmcnt(4)
	v_lshlrev_b32_e32 v24, 16, v119
	v_accvgpr_read_b32 v26, a0
	v_accvgpr_read_b32 v23, a3
	;; [unrolled: 1-line block ×3, first 2 shown]
	v_pk_add_f32 v[24:25], v[24:25], v[26:27] neg_lo:[0,1] neg_hi:[0,1]
	v_lshlrev_b32_e32 v27, 16, v42
	v_lshlrev_b32_e32 v26, 16, v43
	v_pk_add_f32 v[22:23], v[26:27], v[22:23] neg_lo:[0,1] neg_hi:[0,1]
	global_store_short_d16_hi v[18:19], v24, off offset:32
	global_store_short_d16_hi v[18:19], v25, off offset:288
	global_store_short_d16_hi v[18:19], v22, off offset:544
	global_store_short_d16_hi v[18:19], v23, off offset:800
	v_pk_mul_f32 v[18:19], v[28:29], v[24:25]
	v_pk_mul_f32 v[22:23], v[30:31], v[22:23]
	v_mov_b32_e32 v119, 0
	v_perm_b32 v23, v23, v22, s37
	v_perm_b32 v22, v19, v18, s37
	ds_write2_b64 v76, v[20:21], v[22:23] offset1:16
	v_mov_b32_e32 v18, 0
	v_mov_b32_e32 v19, 0
	;; [unrolled: 1-line block ×16, first 2 shown]
	s_cbranch_vccnz .LBB471_14
; %bb.13:                               ;   in Loop: Header=BB471_6 Depth=1
	s_and_b32 s29, s29, 0xffff
	s_mov_b32 s31, s27
	buffer_load_dwordx4 v[30:33], v100, s[28:31], 0 offen
	buffer_load_dwordx4 v[22:25], v100, s[28:31], s57 offen
	;; [unrolled: 1-line block ×4, first 2 shown]
	v_mov_b32_e32 v118, v70
	v_mov_b32_e32 v119, v69
.LBB471_14:                             ;   in Loop: Header=BB471_6 Depth=1
	s_waitcnt lgkmcnt(0)
	s_barrier
	ds_read_b64 v[38:39], v104
	ds_read_b64 v[124:125], v99
	;; [unrolled: 1-line block ×5, first 2 shown]
	ds_read_b64 v[138:139], v96 offset:3072
	ds_read2_b64 v[34:37], v95 offset0:16 offset1:128
	s_waitcnt lgkmcnt(5)
	v_mfma_f32_16x16x16_bf16 a[0:3], v[38:39], v[124:125], 0
	ds_read2st64_b64 v[40:43], v96 offset0:2 offset1:4
	s_add_i32 s3, s48, s60
	s_mul_hi_i32 s25, s3, s53
	s_waitcnt lgkmcnt(1)
	v_mfma_f32_16x16x16_bf16 a[4:7], v[38:39], v[34:35], 0
	ds_read_b64 v[38:39], v109
	s_mul_i32 s3, s3, s53
	s_add_u32 s24, s3, s33
	s_waitcnt lgkmcnt(1)
	v_mfma_f32_16x16x16_bf16 a[4:7], v[126:127], v[40:41], a[4:7]
	s_addc_u32 s25, s25, s55
	s_lshl_b64 s[24:25], s[24:25], 15
	s_mul_i32 s28, s62, s53
	s_mul_hi_i32 s3, s62, s53
	s_add_u32 s28, s28, s33
	v_mfma_f32_16x16x16_bf16 a[8:11], v[128:129], v[42:43], a[4:7]
	s_addc_u32 s29, s3, s55
	ds_read2st64_b64 v[120:123], v95 offset0:4 offset1:6
	s_lshl_b64 s[28:29], s[28:29], 9
	s_waitcnt lgkmcnt(1)
	v_mfma_f32_16x16x16_bf16 a[4:7], v[38:39], v[124:125], 0
	s_add_u32 s28, s40, s28
	s_addc_u32 s29, s41, s29
	v_mfma_f32_16x16x16_bf16 a[0:3], v[126:127], v[36:37], a[0:3]
	ds_read_b64 v[126:127], v110
	ds_read_b64 v[134:135], v111
	;; [unrolled: 1-line block ×3, first 2 shown]
	v_mfma_f32_16x16x16_bf16 a[12:15], v[38:39], v[34:35], 0
	s_waitcnt lgkmcnt(2)
	v_mfma_f32_16x16x16_bf16 a[4:7], v[126:127], v[36:37], a[4:7]
	global_load_dwordx4 v[34:37], v108, s[28:29]
	v_mfma_f32_16x16x16_bf16 a[12:15], v[126:127], v[40:41], a[12:15]
	global_load_dwordx4 v[38:41], v103, s[28:29]
	ds_read2st64_b64 v[124:127], v97 offset1:8
	s_waitcnt lgkmcnt(0)
	v_mov_b32_e32 v132, v124
	v_mfma_f32_16x16x16_bf16 a[0:3], v[128:129], v[120:121], a[0:3]
	ds_read2st64_b64 v[128:131], v98 offset1:8
	v_mov_b32_e32 v133, v125
	v_mfma_f32_16x16x16_bf16 a[16:19], v[134:135], v[120:121], a[4:7]
	v_lshl_add_u64 v[120:121], v[60:61], 0, s[24:25]
	v_mfma_f32_16x16x16_bf16 a[20:23], v[134:135], v[42:43], a[12:15]
	v_add_co_u32_e32 v42, vcc, s21, v120
	s_waitcnt lgkmcnt(0)
	v_mov_b32_e32 v134, v128
	v_mfma_f32_16x16x16_bf16 a[4:7], v[136:137], v[122:123], a[0:3]
	v_mov_b32_e32 v135, v129
	v_mov_b32_e32 v128, v126
	;; [unrolled: 1-line block ×3, first 2 shown]
	v_mfma_f32_16x16x16_bf16 a[8:11], v[136:137], v[138:139], a[8:11]
	v_addc_co_u32_e32 v43, vcc, 0, v121, vcc
	global_store_dwordx4 v[42:43], v[128:131], off
	v_mfma_f32_16x16x16_bf16 a[12:15], v[140:141], v[122:123], a[16:19]
	s_and_b64 vcc, exec, s[0:1]
	global_store_dwordx4 v[120:121], v[132:135], off
	s_waitcnt vmcnt(3)
	v_mov_b32_e32 v44, v37
	v_mfma_f32_16x16x16_bf16 a[0:3], v[140:141], v[138:139], a[20:23]
	v_mov_b32_e32 v43, v36
	v_mov_b32_e32 v42, v35
	s_cbranch_vccnz .LBB471_16
; %bb.15:                               ;   in Loop: Header=BB471_6 Depth=1
	v_lshrrev_b32_e32 v35, 3, v118
	v_and_b32_e32 v35, 6, v35
	v_xor_b32_e32 v36, v35, v119
	v_lshlrev_b32_e32 v36, 2, v36
	v_and_b32_e32 v37, 8, v118
	v_xor_b32_e32 v118, 0x440, v36
	v_cmp_eq_u32_e32 vcc, 0, v37
	v_perm_b32 v37, v22, v18, s58
	s_nop 0
	v_cndmask_b32_e32 v36, v118, v36, vcc
	v_lshl_or_b32 v35, v35, 10, v36
	v_perm_b32 v36, v30, v26, s58
	s_barrier
	ds_write2st64_b32 v35, v36, v37 offset0:32 offset1:64
	v_xor_b32_e32 v36, 8, v35
	v_perm_b32 v26, v30, v26, s59
	v_perm_b32 v18, v22, v18, s59
	v_add_u32_e32 v22, 0x80, v36
	ds_write2st64_b32 v22, v26, v18 offset0:32 offset1:64
	v_xor_b32_e32 v18, 16, v35
	v_perm_b32 v22, v31, v27, s58
	v_perm_b32 v26, v23, v19, s58
	ds_write2st64_b32 v18, v22, v26 offset0:33 offset1:65
	v_xor_b32_e32 v18, 24, v35
	v_perm_b32 v22, v31, v27, s59
	v_perm_b32 v19, v23, v19, s59
	v_add_u32_e32 v18, 0x80, v18
	ds_write2st64_b32 v18, v22, v19 offset0:33 offset1:65
	v_xor_b32_e32 v18, 32, v35
	v_perm_b32 v19, v32, v28, s58
	v_perm_b32 v22, v24, v20, s58
	ds_write2st64_b32 v18, v19, v22 offset0:34 offset1:66
	v_xor_b32_e32 v18, 40, v35
	v_perm_b32 v19, v32, v28, s59
	v_perm_b32 v20, v24, v20, s59
	v_add_u32_e32 v18, 0x80, v18
	ds_write2st64_b32 v18, v19, v20 offset0:34 offset1:66
	v_xor_b32_e32 v18, 48, v35
	v_perm_b32 v19, v33, v29, s58
	v_perm_b32 v20, v25, v21, s58
	ds_write2st64_b32 v18, v19, v20 offset0:35 offset1:67
	v_xor_b32_e32 v18, 56, v35
	v_perm_b32 v19, v33, v29, s59
	v_perm_b32 v20, v25, v21, s59
	v_add_u32_e32 v18, 0x80, v18
	ds_write2st64_b32 v18, v19, v20 offset0:35 offset1:67
	ds_write_b64 v117, v[14:15] offset:24576
	v_xor_b32_e32 v14, 8, v117
	ds_write_b64 v14, v[16:17] offset:24576
	ds_write_b64 v117, v[10:11] offset:32768
	;; [unrolled: 1-line block ×4, first 2 shown]
	v_xor_b32_e32 v6, 8, v116
	ds_write_b64 v6, v[8:9] offset:24576
	ds_write_b64 v116, v[2:3] offset:32768
	ds_write_b64 v6, v[4:5] offset:32768
.LBB471_16:                             ;   in Loop: Header=BB471_6 Depth=1
	v_mul_f32_e32 v2, s2, v113
	v_exp_f32_e32 v18, v2
	s_waitcnt vmcnt(2)
	v_mul_f32_e32 v2, 0x3fb8aa3b, v38
	v_exp_f32_e32 v20, v2
	v_mul_f32_e32 v2, 0x3fb8aa3b, v39
	v_exp_f32_e32 v21, v2
	;; [unrolled: 2-line block ×4, first 2 shown]
	v_accvgpr_read_b32 v13, a7
	v_accvgpr_read_b32 v11, a5
	;; [unrolled: 1-line block ×4, first 2 shown]
	v_pk_mul_f32 v[20:21], v[18:19], v[20:21] op_sel_hi:[0,1]
	v_accvgpr_read_b32 v8, a10
	v_pk_fma_f32 v[52:53], v[52:53], v[20:21], v[10:11]
	v_pk_mul_f32 v[10:11], v[18:19], v[22:23] op_sel_hi:[0,1]
	v_accvgpr_read_b32 v12, a6
	v_accvgpr_read_b32 v7, a9
	v_fma_f32 v90, v90, v10, v8
	v_mul_f32_e32 v8, 0x3fb8aa3b, v43
	v_pk_fma_f32 v[54:55], v[54:55], v[10:11], v[12:13]
	v_fma_f32 v89, v89, v20, v6
	v_fma_f32 v88, v88, v21, v7
	v_mul_f32_e32 v6, 0x3fb8aa3b, v34
	v_mul_f32_e32 v7, 0x3fb8aa3b, v42
	v_exp_f32_e32 v12, v8
	v_mul_f32_e32 v8, 0x3fb8aa3b, v44
	v_exp_f32_e32 v6, v6
	v_exp_f32_e32 v7, v7
	;; [unrolled: 1-line block ×3, first 2 shown]
	v_accvgpr_read_b32 v9, a11
	v_accvgpr_read_b32 v17, a15
	;; [unrolled: 1-line block ×9, first 2 shown]
	v_fmac_f32_e32 v9, v115, v11
	v_pk_mul_f32 v[6:7], v[18:19], v[6:7] op_sel_hi:[0,1]
	v_pk_mul_f32 v[10:11], v[18:19], v[12:13] op_sel_hi:[0,1]
	s_add_i32 s54, s54, 64
	v_pk_fma_f32 v[46:47], v[46:47], v[6:7], v[14:15]
	v_pk_fma_f32 v[48:49], v[48:49], v[10:11], v[16:17]
	v_fma_f32 v85, v85, v6, v2
	v_fma_f32 v84, v84, v7, v3
	;; [unrolled: 1-line block ×3, first 2 shown]
	s_cmp_eq_u32 s47, s61
	v_fmac_f32_e32 v5, v114, v11
	s_cbranch_scc1 .LBB471_18
; %bb.17:                               ;   in Loop: Header=BB471_6 Depth=1
	s_mov_b32 s60, s61
	v_mov_b32_e32 v115, v9
	v_mov_b32_e32 v114, v5
	s_branch .LBB471_6
.LBB471_18:
	s_lshl_b32 s0, s47, 6
	s_sub_i32 s42, s49, s0
	s_cmp_gt_i32 s42, 0
	s_cbranch_scc0 .LBB471_83
; %bb.19:
	s_add_i32 s38, s0, s38
	s_ashr_i32 s2, s38, 31
	s_cmpk_lg_i32 s19, 0x80
	s_cselect_b64 s[30:31], -1, 0
	s_and_b64 vcc, exec, s[30:31]
	s_cbranch_vccz .LBB471_21
; %bb.20:
	s_mul_i32 s1, s38, s18
	s_ashr_i32 s3, s52, 31
	s_mul_hi_i32 s0, s38, s18
	s_add_u32 s40, s1, s52
	s_addc_u32 s41, s0, s3
	s_cbranch_execz .LBB471_22
	s_branch .LBB471_23
.LBB471_21:
                                        ; implicit-def: $sgpr40_sgpr41
.LBB471_22:
	s_mul_i32 s1, s52, s16
	s_mul_hi_i32 s0, s52, s16
	s_add_u32 s40, s1, s38
	s_addc_u32 s41, s0, s2
.LBB471_23:
	s_add_i32 s3, s47, s48
	s_ashr_i32 s16, s33, 31
	s_add_u32 s0, s51, s38
	v_lshlrev_b32_e32 v8, 5, v67
	v_lshlrev_b32_e32 v22, 2, v45
	s_addc_u32 s1, s50, s2
	s_mov_b32 s2, 0x7060302
	v_or_b32_e32 v11, v8, v22
	v_xor_b32_e32 v4, v67, v22
	v_perm_b32 v3, v55, v54, s2
	v_perm_b32 v2, v53, v52, s2
	;; [unrolled: 1-line block ×4, first 2 shown]
	v_lshlrev_b32_e32 v11, 1, v11
	s_lshl_b64 s[28:29], s[0:1], 8
	v_xor_b32_e32 v10, v68, v22
	ds_write2st64_b64 v11, v[2:3], v[6:7] offset0:80 offset1:88
	v_lshlrev_b32_e32 v11, 1, v4
	v_lshlrev_b32_e32 v4, 8, v45
	s_add_u32 s0, s6, s28
	v_or_b32_e32 v12, v11, v4
	v_lshlrev_b32_e32 v10, 1, v10
	s_addc_u32 s1, s7, s29
	ds_write_b64 v12, v[2:3]
	v_or_b32_e32 v2, v10, v4
	s_mul_hi_i32 s6, s3, s17
	s_mul_i32 s3, s3, s17
	ds_write_b64 v2, v[6:7]
	v_perm_b32 v3, v9, v90, s2
	v_perm_b32 v2, v88, v89, s2
	;; [unrolled: 1-line block ×4, first 2 shown]
	v_or_b32_e32 v6, 16, v45
	s_add_u32 s2, s3, s33
	v_lshlrev_b32_e32 v19, 2, v6
	s_addc_u32 s3, s6, s16
	v_or_b32_e32 v7, v8, v19
	s_ashr_i32 s37, s36, 31
	s_lshl_b64 s[2:3], s[2:3], 15
	v_lshlrev_b32_e32 v7, 1, v7
	v_lshlrev_b32_e32 v6, 8, v6
	s_add_u32 s6, s12, s2
	ds_write2st64_b64 v7, v[2:3], v[4:5] offset0:80 offset1:88
	v_or_b32_e32 v7, v11, v6
	s_addc_u32 s7, s13, s3
	s_lshl_b64 s[2:3], s[36:37], 8
	ds_write_b64 v7, v[2:3]
	v_or_b32_e32 v2, v10, v6
	s_add_u32 s2, s6, s2
	ds_write_b64 v2, v[4:5]
	v_lshrrev_b32_e32 v2, 4, v0
	s_addc_u32 s3, s7, s3
	v_lshlrev_b32_e32 v3, 1, v45
	v_lshlrev_b32_e32 v10, 4, v45
	v_mov_b32_e32 v11, 0
	v_or_b32_e32 v4, 1, v3
	v_xor_b32_e32 v3, v2, v3
	v_lshl_add_u64 v[12:13], s[2:3], 0, v[10:11]
	v_lshlrev_b32_e32 v10, 8, v2
	v_xor_b32_e32 v6, v4, v2
	v_lshl_or_b32 v2, v3, 3, v10
	s_waitcnt lgkmcnt(0)
	s_barrier
	ds_read2st64_b64 v[2:5], v2 offset1:8
	v_lshl_or_b32 v6, v6, 3, v10
	ds_read2st64_b64 v[6:9], v6 offset1:8
	v_lshl_add_u64 v[14:15], v[12:13], 0, v[10:11]
	s_movk_i32 s2, 0x1000
	s_waitcnt lgkmcnt(1)
	v_mov_b32_e32 v10, v2
	v_add_co_u32_e32 v2, vcc, s2, v14
	s_cmp_lg_u32 s42, 64
	v_mov_b32_e32 v11, v3
	v_addc_co_u32_e32 v3, vcc, 0, v15, vcc
	s_cselect_b64 s[6:7], -1, 0
	v_lshl_or_b32 v23, v63, 3, v66
	s_waitcnt lgkmcnt(0)
	v_mov_b32_e32 v12, v6
	v_mov_b32_e32 v13, v7
	;; [unrolled: 1-line block ×4, first 2 shown]
	s_mov_b32 s24, 0
	v_or_b32_e32 v20, 32, v23
	v_and_b32_e32 v18, 56, v65
	s_and_b64 vcc, exec, s[6:7]
	global_store_dwordx4 v[14:15], v[10:13], off
	global_store_dwordx4 v[2:3], v[6:9], off
	s_cbranch_vccz .LBB471_29
; %bb.24:
	s_mov_b32 s25, s24
	s_mov_b32 s26, s24
	;; [unrolled: 1-line block ×3, first 2 shown]
	v_mov_b64_e32 v[6:7], s[24:25]
	v_mov_b64_e32 v[8:9], s[26:27]
	;; [unrolled: 1-line block ×3, first 2 shown]
	v_cmp_gt_i32_e32 vcc, s42, v23
	v_mov_b64_e32 v[4:5], v[8:9]
	s_and_saveexec_b64 s[2:3], vcc
	s_cbranch_execz .LBB471_26
; %bb.25:
	v_lshlrev_b32_e32 v2, 8, v23
	v_mov_b32_e32 v3, 0
	v_lshl_add_u64 v[4:5], s[0:1], 0, v[2:3]
	v_lshlrev_b32_e32 v2, 1, v18
	v_lshl_add_u64 v[10:11], v[4:5], 0, v[2:3]
	global_load_dwordx4 v[6:9], v[10:11], off
	global_load_dwordx4 v[2:5], v[10:11], off offset:128
.LBB471_26:
	s_or_b64 exec, exec, s[2:3]
	s_mov_b32 s25, s24
	s_mov_b32 s26, s24
	;; [unrolled: 1-line block ×3, first 2 shown]
	v_mov_b64_e32 v[14:15], s[24:25]
	v_mov_b64_e32 v[16:17], s[26:27]
	;; [unrolled: 1-line block ×3, first 2 shown]
	v_cmp_gt_i32_e32 vcc, s42, v20
	v_lshlrev_b32_e32 v21, 7, v20
	v_mov_b64_e32 v[12:13], v[16:17]
	s_and_saveexec_b64 s[2:3], vcc
	s_cbranch_execz .LBB471_28
; %bb.27:
	v_lshlrev_b32_e32 v10, 1, v21
	v_mov_b32_e32 v11, 0
	v_lshl_add_u64 v[12:13], s[0:1], 0, v[10:11]
	v_lshlrev_b32_e32 v10, 1, v18
	v_lshl_add_u64 v[24:25], v[12:13], 0, v[10:11]
	global_load_dwordx4 v[14:17], v[24:25], off
	global_load_dwordx4 v[10:13], v[24:25], off offset:128
.LBB471_28:
	s_or_b64 exec, exec, s[2:3]
	v_lshrrev_b32_e32 v24, 3, v18
	v_lshlrev_b32_e32 v25, 3, v23
	v_or_b32_e32 v24, v25, v24
	v_lshlrev_b32_e32 v24, 4, v24
	v_and_b32_e32 v25, 0x78, v25
	v_xor_b32_e32 v24, v24, v25
	s_branch .LBB471_31
.LBB471_29:
                                        ; implicit-def: $vgpr24
                                        ; implicit-def: $vgpr21
                                        ; implicit-def: $vgpr6_vgpr7_vgpr8_vgpr9
                                        ; implicit-def: $vgpr2_vgpr3_vgpr4_vgpr5
                                        ; implicit-def: $vgpr14_vgpr15_vgpr16_vgpr17
                                        ; implicit-def: $vgpr10_vgpr11_vgpr12_vgpr13
	s_cbranch_execz .LBB471_31
; %bb.30:
	s_waitcnt vmcnt(0)
	v_lshlrev_b32_e32 v2, 1, v18
	v_lshl_or_b32 v21, v23, 8, v2
	s_and_b32 s1, s1, 0xffff
	s_mov_b32 s3, 0x20000
	s_movk_i32 s2, 0x4000
	v_lshl_or_b32 v24, v20, 8, v2
	s_movk_i32 s12, 0x80
	buffer_load_dwordx4 v[6:9], v21, s[0:3], 0 offen
	buffer_load_dwordx4 v[2:5], v21, s[0:3], s12 offen
	buffer_load_dwordx4 v[14:17], v24, s[0:3], 0 offen
	buffer_load_dwordx4 v[10:13], v24, s[0:3], s12 offen
	v_lshrrev_b32_e32 v21, 3, v18
	v_lshlrev_b32_e32 v24, 3, v23
	v_or_b32_e32 v21, v24, v21
	v_lshlrev_b32_e32 v21, 4, v21
	v_and_b32_e32 v24, 0x78, v24
	v_xor_b32_e32 v24, v21, v24
	v_lshlrev_b32_e32 v21, 7, v20
.LBB471_31:
	s_lshl_b64 s[0:1], s[40:41], 8
	s_add_u32 s4, s4, s0
	s_movk_i32 s0, 0x1000
	v_and_or_b32 v20, v21, s0, v24
	s_waitcnt vmcnt(1)
	ds_write_b64 v24, v[6:7] offset:24576
	v_xor_b32_e32 v6, 8, v24
	ds_write_b64 v6, v[8:9] offset:24576
	s_waitcnt vmcnt(0)
	ds_write_b64 v24, v[2:3] offset:32768
	ds_write_b64 v6, v[4:5] offset:32768
	;; [unrolled: 1-line block ×3, first 2 shown]
	v_xor_b32_e32 v2, 8, v20
	ds_write_b64 v2, v[16:17] offset:24576
	ds_write_b64 v20, v[10:11] offset:32768
	;; [unrolled: 1-line block ×3, first 2 shown]
	v_or_b32_e32 v2, v1, v45
	v_lshlrev_b32_e32 v3, 11, v63
	v_lshlrev_b32_e32 v2, 3, v2
	v_and_b32_e32 v6, 0x1000, v3
	v_lshrrev_b32_e32 v3, 5, v62
	s_movk_i32 s13, 0xf8
	v_and_or_b32 v3, v2, s13, v3
	v_lshlrev_b32_e32 v7, 4, v3
	v_and_b32_e32 v8, 0x78, v2
	v_or_b32_e32 v10, 32, v7
	v_lshrrev_b32_e32 v3, 1, v62
	v_xor_b32_e32 v10, v10, v8
	v_xor_b32_e32 v2, v7, v8
	v_and_b32_e32 v9, 8, v3
	v_or_b32_e32 v10, v10, v6
	v_or_b32_e32 v2, v2, v6
	v_xor_b32_e32 v26, v10, v9
	v_or_b32_e32 v10, 64, v7
	v_xor_b32_e32 v25, v2, v9
	v_xor_b32_e32 v10, v10, v8
	s_waitcnt lgkmcnt(0)
	s_barrier
	v_or_b32_e32 v12, v10, v6
	ds_read_b64 v[10:11], v25 offset:24576
	v_lshl_or_b32 v20, v64, 7, v22
	v_lshlrev_b32_e32 v24, 1, v20
	v_add_u32_e32 v2, 0xa000, v24
	ds_read2_b64 v[2:5], v2 offset1:16
	v_or_b32_e32 v7, 0x60, v7
	v_xor_b32_e32 v7, v7, v8
	s_waitcnt lgkmcnt(0)
	v_mfma_f32_16x16x16_bf16 a[0:3], v[10:11], v[2:3], 0
	v_or_b32_e32 v2, 64, v20
	v_or_b32_e32 v6, v7, v6
	v_lshlrev_b32_e32 v29, 1, v2
	v_xor_b32_e32 v27, v12, v9
	v_xor_b32_e32 v28, v6, v9
	ds_read_b64 v[12:13], v26 offset:24576
	ds_read_b64 v[14:15], v27 offset:24576
	;; [unrolled: 1-line block ×3, first 2 shown]
	v_mfma_f32_16x16x16_bf16 a[4:7], v[10:11], v[4:5], 0
	ds_read2st64_b64 v[2:5], v29 offset0:82 offset1:84
	ds_read2st64_b64 v[6:9], v24 offset0:82 offset1:84
	s_addc_u32 s5, s5, s1
	s_add_i32 s2, s39, -1
	s_add_i32 s0, s45, s44
	s_add_i32 s21, s0, s46
	s_mul_i32 s0, s33, s23
	s_mul_hi_u32 s1, s33, s22
	s_ashr_i32 s3, s2, 31
	s_mul_i32 s12, s2, s35
	s_mul_hi_u32 s13, s2, s34
	s_add_i32 s0, s1, s0
	s_mul_i32 s1, s16, s22
	s_add_i32 s12, s13, s12
	s_mul_i32 s3, s3, s34
	s_waitcnt lgkmcnt(1)
	v_mfma_f32_16x16x16_bf16 a[4:7], v[12:13], v[2:3], a[4:7]
	s_add_i32 s1, s0, s1
	s_add_i32 s3, s12, s3
	s_lshl_b64 s[12:13], s[20:21], 2
	s_waitcnt lgkmcnt(0)
	v_mfma_f32_16x16x16_bf16 a[0:3], v[12:13], v[6:7], a[0:3]
	s_mul_i32 s0, s33, s22
	s_add_u32 s10, s10, s12
	s_addc_u32 s11, s11, s13
	s_lshl_b64 s[0:1], s[0:1], 2
	s_mul_i32 s2, s2, s34
	s_add_u32 s10, s10, s0
	ds_read_b64 v[2:3], v24 offset:44032
	v_mfma_f32_16x16x16_bf16 a[4:7], v[14:15], v[4:5], a[4:7]
	ds_read_b64 v[4:5], v29 offset:44032
	s_addc_u32 s11, s11, s1
	s_lshl_b64 s[0:1], s[2:3], 2
	v_mfma_f32_16x16x16_bf16 a[0:3], v[14:15], v[8:9], a[0:3]
	s_add_u32 s0, s10, s0
	s_addc_u32 s1, s11, s1
	s_load_dword s12, s[0:1], 0x0
	s_waitcnt lgkmcnt(0)
	v_mfma_f32_16x16x16_bf16 a[0:3], v[16:17], v[2:3], a[0:3]
	s_and_b64 vcc, exec, s[30:31]
	v_mfma_f32_16x16x16_bf16 a[4:7], v[16:17], v[4:5], a[4:7]
	s_cbranch_vccz .LBB471_42
; %bb.32:
	v_lshlrev_b32_e32 v20, 1, v23
	s_and_b64 vcc, exec, s[6:7]
	s_cbranch_vccz .LBB471_43
; %bb.33:
	v_cmp_gt_i32_e32 vcc, s42, v20
	v_mov_b32_e32 v6, 0
	v_mov_b32_e32 v2, 0
	;; [unrolled: 1-line block ×5, first 2 shown]
	s_and_saveexec_b64 s[0:1], vcc
	s_cbranch_execz .LBB471_35
; %bb.34:
	v_mad_i64_i32 v[2:3], s[2:3], s19, v20, 0
	v_lshl_add_u64 v[2:3], v[2:3], 1, s[4:5]
	v_lshlrev_b32_e32 v4, 1, v18
	v_mov_b32_e32 v5, 0
	v_lshl_add_u64 v[2:3], v[2:3], 0, v[4:5]
	global_load_dwordx4 v[2:5], v[2:3], off
.LBB471_35:
	s_or_b64 exec, exec, s[0:1]
	v_or_b32_e32 v21, 1, v20
	v_cmp_gt_i32_e64 s[0:1], s42, v21
	v_mov_b32_e32 v7, 0
	v_mov_b32_e32 v8, 0
	;; [unrolled: 1-line block ×3, first 2 shown]
	s_and_saveexec_b64 s[2:3], s[0:1]
	s_cbranch_execz .LBB471_37
; %bb.36:
	v_mad_i64_i32 v[6:7], s[16:17], s19, v21, 0
	v_lshl_add_u64 v[6:7], v[6:7], 1, s[4:5]
	v_lshlrev_b32_e32 v8, 1, v18
	v_mov_b32_e32 v9, 0
	v_lshl_add_u64 v[6:7], v[6:7], 0, v[8:9]
	global_load_dwordx4 v[6:9], v[6:7], off
.LBB471_37:
	s_or_b64 exec, exec, s[2:3]
	v_mov_b32_e32 v17, 0
	v_mov_b32_e32 v10, 0
	v_mov_b32_e32 v11, 0
	v_mov_b32_e32 v12, 0
	v_mov_b32_e32 v13, 0
	s_and_saveexec_b64 s[2:3], vcc
	s_cbranch_execz .LBB471_39
; %bb.38:
	v_mad_i64_i32 v[10:11], s[16:17], s19, v20, 0
	v_lshl_add_u64 v[10:11], v[10:11], 1, s[4:5]
	v_lshlrev_b32_e32 v12, 1, v18
	v_mov_b32_e32 v13, 0
	v_lshl_add_u64 v[10:11], v[10:11], 0, v[12:13]
	global_load_dwordx4 v[10:13], v[10:11], off offset:128
.LBB471_39:
	s_or_b64 exec, exec, s[2:3]
	v_mov_b32_e32 v16, 0
	v_mov_b32_e32 v15, 0
	v_mov_b32_e32 v14, 0
	s_and_saveexec_b64 s[2:3], s[0:1]
	s_cbranch_execz .LBB471_41
; %bb.40:
	v_mad_i64_i32 v[14:15], s[0:1], s19, v21, 0
	v_lshl_add_u64 v[14:15], v[14:15], 1, s[4:5]
	v_lshlrev_b32_e32 v16, 1, v18
	v_mov_b32_e32 v17, 0
	v_lshl_add_u64 v[14:15], v[14:15], 0, v[16:17]
	global_load_dwordx4 v[14:17], v[14:15], off offset:128
.LBB471_41:
	s_or_b64 exec, exec, s[2:3]
	s_branch .LBB471_45
.LBB471_42:
                                        ; implicit-def: $vgpr5
                                        ; implicit-def: $vgpr9
                                        ; implicit-def: $vgpr13
                                        ; implicit-def: $vgpr17
	v_lshrrev_b32_e32 v30, 2, v62
	s_branch .LBB471_46
.LBB471_43:
                                        ; implicit-def: $vgpr5
                                        ; implicit-def: $vgpr9
                                        ; implicit-def: $vgpr13
                                        ; implicit-def: $vgpr17
	s_cbranch_execz .LBB471_45
; %bb.44:
	s_waitcnt vmcnt(0)
	v_mad_u64_u32 v[2:3], s[0:1], v20, s19, v[18:19]
	v_lshlrev_b32_e32 v20, 1, v2
	s_lshl_b32 s2, s19, 7
	s_and_b32 s1, s5, 0xffff
	s_mov_b32 s3, 0x20000
	s_mov_b32 s0, s4
	v_add_lshl_u32 v21, v2, s19, 1
	s_movk_i32 s13, 0x80
	buffer_load_dwordx4 v[2:5], v20, s[0:3], 0 offen
	buffer_load_dwordx4 v[10:13], v20, s[0:3], s13 offen
	;; [unrolled: 1-line block ×4, first 2 shown]
.LBB471_45:
	v_lshrrev_b32_e32 v30, 2, v62
	s_cbranch_execnz .LBB471_58
.LBB471_46:
	s_and_b64 vcc, exec, s[6:7]
	s_cbranch_vccz .LBB471_56
; %bb.47:
	s_waitcnt vmcnt(0)
	v_lshlrev_b32_e32 v7, 1, v23
	v_cmp_gt_i32_e32 vcc, s42, v7
	v_mov_b32_e32 v6, 0
	v_lshlrev_b32_e32 v14, 9, v23
	v_mov_b32_e32 v2, 0
	v_mov_b32_e32 v3, 0
	;; [unrolled: 1-line block ×4, first 2 shown]
	s_and_saveexec_b64 s[0:1], vcc
	s_cbranch_execz .LBB471_49
; %bb.48:
	v_mov_b32_e32 v15, 0
	v_lshl_add_u64 v[2:3], s[4:5], 0, v[14:15]
	v_lshlrev_b32_e32 v4, 1, v18
	v_mov_b32_e32 v5, v15
	v_lshl_add_u64 v[2:3], v[2:3], 0, v[4:5]
	global_load_dwordx4 v[2:5], v[2:3], off
.LBB471_49:
	s_or_b64 exec, exec, s[0:1]
	v_or_b32_e32 v7, 1, v7
	v_cmp_gt_i32_e64 s[0:1], s42, v7
	v_lshlrev_b32_e32 v20, 8, v7
	v_mov_b32_e32 v7, 0
	v_mov_b32_e32 v8, 0
	;; [unrolled: 1-line block ×3, first 2 shown]
	s_and_saveexec_b64 s[2:3], s[0:1]
	s_cbranch_execz .LBB471_51
; %bb.50:
	v_mov_b32_e32 v21, 0
	v_lshl_add_u64 v[6:7], s[4:5], 0, v[20:21]
	v_lshlrev_b32_e32 v8, 1, v18
	v_mov_b32_e32 v9, v21
	v_lshl_add_u64 v[6:7], v[6:7], 0, v[8:9]
	global_load_dwordx4 v[6:9], v[6:7], off
.LBB471_51:
	s_or_b64 exec, exec, s[2:3]
	v_mov_b32_e32 v17, 0
	v_mov_b32_e32 v10, 0
	v_mov_b32_e32 v11, 0
	v_mov_b32_e32 v12, 0
	v_mov_b32_e32 v13, 0
	s_and_saveexec_b64 s[2:3], vcc
	s_cbranch_execz .LBB471_53
; %bb.52:
	v_mov_b32_e32 v15, 0
	v_lshl_add_u64 v[10:11], s[4:5], 0, v[14:15]
	v_lshlrev_b32_e32 v14, 1, v18
	v_lshl_add_u64 v[10:11], v[10:11], 0, v[14:15]
	global_load_dwordx4 v[10:13], v[10:11], off offset:128
.LBB471_53:
	s_or_b64 exec, exec, s[2:3]
	v_mov_b32_e32 v16, 0
	v_mov_b32_e32 v15, 0
	;; [unrolled: 1-line block ×3, first 2 shown]
	s_and_saveexec_b64 s[2:3], s[0:1]
	s_cbranch_execz .LBB471_55
; %bb.54:
	v_mov_b32_e32 v21, 0
	v_lshl_add_u64 v[14:15], s[4:5], 0, v[20:21]
	v_lshlrev_b32_e32 v20, 1, v18
	v_lshl_add_u64 v[14:15], v[14:15], 0, v[20:21]
	global_load_dwordx4 v[14:17], v[14:15], off offset:128
.LBB471_55:
	s_or_b64 exec, exec, s[2:3]
	s_branch .LBB471_58
.LBB471_56:
                                        ; implicit-def: $vgpr5
                                        ; implicit-def: $vgpr9
                                        ; implicit-def: $vgpr13
                                        ; implicit-def: $vgpr17
	s_cbranch_execz .LBB471_58
; %bb.57:
	s_waitcnt vmcnt(0)
	v_lshlrev_b32_e32 v2, 1, v18
	v_lshl_or_b32 v18, v23, 9, v2
	s_and_b32 s5, s5, 0xffff
	s_mov_b32 s7, 0x20000
	s_movk_i32 s6, 0x4000
	s_movk_i32 s0, 0x80
	buffer_load_dwordx4 v[2:5], v18, s[4:7], 0 offen
	buffer_load_dwordx4 v[6:9], v18, s[4:7], 0 offen offset:256
	buffer_load_dwordx4 v[10:13], v18, s[4:7], s0 offen
	buffer_load_dwordx4 v[14:17], v18, s[4:7], s0 offen offset:256
.LBB471_58:
	ds_read_b64 v[20:21], v25 offset:32768
	v_add_u32_e32 v18, 0xb000, v24
	ds_read2_b64 v[32:35], v18 offset1:16
	ds_read_b64 v[40:41], v26 offset:32768
	ds_read_b64 v[26:27], v27 offset:32768
	;; [unrolled: 1-line block ×3, first 2 shown]
	v_and_b32_e32 v18, 6, v0
	v_xor_b32_e32 v23, v23, v18
	v_lshlrev_b32_e32 v23, 2, v23
	v_and_b32_e32 v0, 1, v0
	v_xor_b32_e32 v28, 0x440, v23
	v_cmp_eq_u32_e32 vcc, 0, v0
	s_waitcnt lgkmcnt(3)
	v_mfma_f32_16x16x16_bf16 a[0:3], v[20:21], v[32:33], a[0:3]
	s_mov_b32 s0, 0x1000504
	v_cndmask_b32_e32 v0, v28, v23, vcc
	v_lshl_or_b32 v0, v18, 10, v0
	v_mfma_f32_16x16x16_bf16 a[4:7], v[20:21], v[34:35], a[4:7]
	ds_read2st64_b64 v[32:35], v24 offset0:90 offset1:92
	ds_read2st64_b64 v[36:39], v29 offset0:90 offset1:92
	ds_read_b64 v[20:21], v24 offset:48128
	ds_read_b64 v[24:25], v29 offset:48128
	s_waitcnt vmcnt(0)
	v_perm_b32 v18, v2, v6, s0
	s_waitcnt lgkmcnt(3)
	v_mfma_f32_16x16x16_bf16 a[0:3], v[40:41], v[32:33], a[0:3]
	s_mov_b32 s1, 0x3020706
	v_perm_b32 v2, v2, v6, s1
	v_perm_b32 v6, v10, v14, s1
	s_waitcnt lgkmcnt(2)
	v_mfma_f32_16x16x16_bf16 a[4:7], v[40:41], v[36:37], a[4:7]
	v_mfma_f32_16x16x16_bf16 a[0:3], v[26:27], v[34:35], a[0:3]
	v_mfma_f32_16x16x16_bf16 a[8:11], v[26:27], v[38:39], a[4:7]
	s_waitcnt lgkmcnt(1)
	v_mfma_f32_16x16x16_bf16 a[4:7], v[42:43], v[20:21], a[0:3]
	v_perm_b32 v20, v10, v14, s0
	ds_write2st64_b32 v0, v18, v20 offset0:32 offset1:64
	v_xor_b32_e32 v18, 8, v0
	v_add_u32_e32 v10, 0x80, v18
	ds_write2st64_b32 v10, v2, v6 offset0:32 offset1:64
	v_xor_b32_e32 v2, 16, v0
	v_perm_b32 v6, v3, v7, s0
	v_perm_b32 v10, v11, v15, s0
	ds_write2st64_b32 v2, v6, v10 offset0:33 offset1:65
	v_xor_b32_e32 v2, 24, v0
	v_perm_b32 v3, v3, v7, s1
	v_perm_b32 v6, v11, v15, s1
	v_add_u32_e32 v2, 0x80, v2
	ds_write2st64_b32 v2, v3, v6 offset0:33 offset1:65
	v_xor_b32_e32 v2, 32, v0
	v_perm_b32 v3, v4, v8, s0
	v_perm_b32 v6, v12, v16, s0
	s_waitcnt lgkmcnt(4)
	v_mfma_f32_16x16x16_bf16 a[0:3], v[42:43], v[24:25], a[8:11]
	ds_write2st64_b32 v2, v3, v6 offset0:34 offset1:66
	v_xor_b32_e32 v2, 40, v0
	v_perm_b32 v3, v4, v8, s1
	v_perm_b32 v4, v12, v16, s1
	v_add_u32_e32 v2, 0x80, v2
	ds_write2st64_b32 v2, v3, v4 offset0:34 offset1:66
	v_xor_b32_e32 v2, 48, v0
	v_perm_b32 v3, v5, v9, s0
	v_perm_b32 v4, v13, v17, s0
	v_xor_b32_e32 v0, 56, v0
	v_and_or_b32 v21, v30, 12, v1
	ds_write2st64_b32 v2, v3, v4 offset0:35 offset1:67
	v_perm_b32 v2, v5, v9, s1
	v_perm_b32 v3, v13, v17, s1
	v_add_u32_e32 v0, 0x80, v0
	v_cmp_gt_i32_e32 vcc, s42, v21
	v_mov_b32_e32 v16, 0
	v_mov_b32_e32 v18, 0
	ds_write2st64_b32 v0, v2, v3 offset0:35 offset1:67
	s_and_saveexec_b64 s[0:1], vcc
	s_cbranch_execz .LBB471_60
; %bb.59:
	v_add_u32_e32 v0, s38, v21
	v_ashrrev_i32_e32 v1, 31, v0
	v_mul_lo_u32 v2, v1, s34
	v_mul_lo_u32 v3, v0, s35
	v_mad_u64_u32 v[0:1], s[2:3], v0, s34, 0
	v_add3_u32 v1, v1, v3, v2
	v_lshl_add_u64 v[0:1], v[0:1], 2, s[10:11]
	global_load_dword v0, v[0:1], off
	s_waitcnt vmcnt(0)
	v_sub_f32_e32 v0, s12, v0
	v_mul_f32_e32 v0, 0x3fb8aa3b, v0
	v_exp_f32_e32 v18, v0
.LBB471_60:
	s_or_b64 exec, exec, s[0:1]
	v_or_b32_e32 v10, 1, v21
	v_cmp_gt_i32_e64 s[0:1], s42, v10
	s_and_saveexec_b64 s[2:3], s[0:1]
	s_cbranch_execz .LBB471_62
; %bb.61:
	v_add_u32_e32 v0, s38, v10
	v_ashrrev_i32_e32 v1, 31, v0
	v_mul_lo_u32 v2, v1, s34
	v_mul_lo_u32 v3, v0, s35
	v_mad_u64_u32 v[0:1], s[4:5], v0, s34, 0
	v_add3_u32 v1, v1, v3, v2
	v_lshl_add_u64 v[0:1], v[0:1], 2, s[10:11]
	global_load_dword v0, v[0:1], off
	s_waitcnt vmcnt(0)
	v_sub_f32_e32 v0, s12, v0
	v_mul_f32_e32 v0, 0x3fb8aa3b, v0
	v_exp_f32_e32 v16, v0
.LBB471_62:
	s_or_b64 exec, exec, s[2:3]
	v_or_b32_e32 v12, 2, v21
	v_cmp_gt_i32_e64 s[2:3], s42, v12
	v_mov_b32_e32 v17, 0
	v_mov_b32_e32 v20, 0
	s_and_saveexec_b64 s[4:5], s[2:3]
	s_cbranch_execz .LBB471_64
; %bb.63:
	v_add_u32_e32 v0, s38, v12
	v_ashrrev_i32_e32 v1, 31, v0
	v_mul_lo_u32 v2, v1, s34
	v_mul_lo_u32 v3, v0, s35
	v_mad_u64_u32 v[0:1], s[6:7], v0, s34, 0
	v_add3_u32 v1, v1, v3, v2
	v_lshl_add_u64 v[0:1], v[0:1], 2, s[10:11]
	global_load_dword v0, v[0:1], off
	s_waitcnt vmcnt(0)
	v_sub_f32_e32 v0, s12, v0
	v_mul_f32_e32 v0, 0x3fb8aa3b, v0
	v_exp_f32_e32 v20, v0
.LBB471_64:
	s_or_b64 exec, exec, s[4:5]
	v_or_b32_e32 v14, 3, v21
	v_cmp_gt_i32_e64 s[4:5], s42, v14
	s_and_saveexec_b64 s[6:7], s[4:5]
	s_cbranch_execz .LBB471_66
; %bb.65:
	v_add_u32_e32 v0, s38, v14
	v_ashrrev_i32_e32 v1, 31, v0
	v_mul_lo_u32 v2, v1, s34
	v_mul_lo_u32 v3, v0, s35
	v_mad_u64_u32 v[0:1], s[16:17], v0, s34, 0
	v_add3_u32 v1, v1, v3, v2
	v_lshl_add_u64 v[0:1], v[0:1], 2, s[10:11]
	global_load_dword v0, v[0:1], off
	s_waitcnt vmcnt(0)
	v_sub_f32_e32 v0, s12, v0
	v_mul_f32_e32 v0, 0x3fb8aa3b, v0
	v_exp_f32_e32 v17, v0
.LBB471_66:
	s_or_b64 exec, exec, s[6:7]
	s_add_u32 s6, s8, s28
	v_or_b32_e32 v4, s36, v45
	s_addc_u32 s7, s9, s29
	s_add_u32 s8, s14, s28
	v_ashrrev_i32_e32 v5, 31, v4
	v_accvgpr_read_b32 v0, a4
	s_addc_u32 s9, s15, s29
	v_lshlrev_b64 v[4:5], 1, v[4:5]
	v_accvgpr_read_b32 v1, a5
	v_accvgpr_read_b32 v2, a6
	;; [unrolled: 1-line block ×3, first 2 shown]
	v_lshl_add_u64 v[6:7], s[6:7], 0, v[4:5]
	v_lshl_add_u64 v[4:5], s[8:9], 0, v[4:5]
	v_mov_b32_e32 v11, 0
	v_lshlrev_b32_e32 v8, 8, v21
	v_mov_b32_e32 v9, 0
	s_and_saveexec_b64 s[6:7], vcc
	s_cbranch_execz .LBB471_68
; %bb.67:
	v_mov_b32_e32 v9, 0
	v_lshl_add_u64 v[24:25], v[6:7], 0, v[8:9]
	global_load_ushort v13, v[24:25], off
	v_lshl_add_u64 v[24:25], v[4:5], 0, v[8:9]
	s_waitcnt vmcnt(0)
	v_lshlrev_b32_e32 v9, 16, v13
	v_sub_f32_e32 v0, v9, v0
	global_store_short_d16_hi v[24:25], v0, off
	v_mul_f32_e32 v0, v18, v0
	v_lshrrev_b32_e32 v9, 16, v0
.LBB471_68:
	s_or_b64 exec, exec, s[6:7]
	v_lshlrev_b32_e32 v10, 8, v10
	s_and_saveexec_b64 s[6:7], s[0:1]
	s_cbranch_execz .LBB471_70
; %bb.69:
	v_mov_b32_e32 v11, 0
	v_lshl_add_u64 v[24:25], v[6:7], 0, v[10:11]
	global_load_ushort v0, v[24:25], off
	v_lshl_add_u64 v[24:25], v[4:5], 0, v[10:11]
	s_waitcnt vmcnt(0)
	v_lshlrev_b32_e32 v0, 16, v0
	v_sub_f32_e32 v0, v0, v1
	global_store_short_d16_hi v[24:25], v0, off
	v_mul_f32_e32 v0, v16, v0
	v_lshrrev_b32_e32 v11, 16, v0
.LBB471_70:
	s_or_b64 exec, exec, s[6:7]
	v_mov_b32_e32 v15, 0
	v_lshlrev_b32_e32 v12, 8, v12
	v_mov_b32_e32 v13, 0
	s_and_saveexec_b64 s[6:7], s[2:3]
	s_cbranch_execz .LBB471_72
; %bb.71:
	v_mov_b32_e32 v13, 0
	v_lshl_add_u64 v[0:1], v[6:7], 0, v[12:13]
	global_load_ushort v23, v[0:1], off
	v_lshl_add_u64 v[0:1], v[4:5], 0, v[12:13]
	s_waitcnt vmcnt(0)
	v_lshlrev_b32_e32 v13, 16, v23
	v_sub_f32_e32 v2, v13, v2
	global_store_short_d16_hi v[0:1], v2, off
	v_mul_f32_e32 v0, v20, v2
	v_lshrrev_b32_e32 v13, 16, v0
.LBB471_72:
	s_or_b64 exec, exec, s[6:7]
	v_lshlrev_b32_e32 v14, 8, v14
	s_and_saveexec_b64 s[6:7], s[4:5]
	s_cbranch_execz .LBB471_74
; %bb.73:
	v_mov_b32_e32 v15, 0
	v_lshl_add_u64 v[0:1], v[6:7], 0, v[14:15]
	global_load_ushort v2, v[0:1], off
	v_lshl_add_u64 v[0:1], v[4:5], 0, v[14:15]
	s_waitcnt vmcnt(0)
	v_lshlrev_b32_e32 v2, 16, v2
	v_sub_f32_e32 v2, v2, v3
	global_store_short_d16_hi v[0:1], v2, off
	v_mul_f32_e32 v0, v17, v2
	v_lshrrev_b32_e32 v15, 16, v0
.LBB471_74:
	s_or_b64 exec, exec, s[6:7]
	v_lshlrev_b32_e32 v21, 5, v21
	s_mov_b32 s6, 0x5040100
	v_perm_b32 v24, v11, v9, s6
	v_or_b32_e32 v9, v21, v22
	v_accvgpr_read_b32 v0, a0
	v_perm_b32 v25, v15, v13, s6
	v_lshlrev_b32_e32 v9, 1, v9
	v_accvgpr_read_b32 v1, a1
	v_accvgpr_read_b32 v2, a2
	;; [unrolled: 1-line block ×3, first 2 shown]
	ds_write_b64 v9, v[24:25] offset:45056
	v_mov_b32_e32 v11, 0
	v_mov_b32_e32 v9, 0
	s_and_saveexec_b64 s[6:7], vcc
	s_cbranch_execz .LBB471_76
; %bb.75:
	v_mov_b32_e32 v9, 0
	v_lshl_add_u64 v[22:23], v[6:7], 0, v[8:9]
	global_load_ushort v13, v[22:23], off offset:32
	v_lshl_add_u64 v[8:9], v[4:5], 0, v[8:9]
	s_waitcnt vmcnt(0)
	v_lshlrev_b32_e32 v13, 16, v13
	v_sub_f32_e32 v0, v13, v0
	global_store_short_d16_hi v[8:9], v0, off offset:32
	v_mul_f32_e32 v0, v18, v0
	v_lshrrev_b32_e32 v9, 16, v0
.LBB471_76:
	s_or_b64 exec, exec, s[6:7]
	s_and_saveexec_b64 s[6:7], s[0:1]
	s_cbranch_execz .LBB471_78
; %bb.77:
	v_mov_b32_e32 v11, 0
	v_lshl_add_u64 v[22:23], v[6:7], 0, v[10:11]
	global_load_ushort v0, v[22:23], off offset:32
	v_lshl_add_u64 v[10:11], v[4:5], 0, v[10:11]
	s_waitcnt vmcnt(0)
	v_lshlrev_b32_e32 v0, 16, v0
	v_sub_f32_e32 v0, v0, v1
	global_store_short_d16_hi v[10:11], v0, off offset:32
	v_mul_f32_e32 v0, v16, v0
	v_lshrrev_b32_e32 v11, 16, v0
.LBB471_78:
	s_or_b64 exec, exec, s[6:7]
	v_mov_b32_e32 v0, 0
	v_mov_b32_e32 v1, 0
	s_and_saveexec_b64 s[0:1], s[2:3]
	s_cbranch_execz .LBB471_80
; %bb.79:
	v_mov_b32_e32 v13, 0
	v_lshl_add_u64 v[22:23], v[6:7], 0, v[12:13]
	global_load_ushort v1, v[22:23], off offset:32
	v_lshl_add_u64 v[12:13], v[4:5], 0, v[12:13]
	s_waitcnt vmcnt(0)
	v_lshlrev_b32_e32 v1, 16, v1
	v_sub_f32_e32 v1, v1, v2
	global_store_short_d16_hi v[12:13], v1, off offset:32
	v_mul_f32_e32 v1, v20, v1
	v_lshrrev_b32_e32 v1, 16, v1
.LBB471_80:
	s_or_b64 exec, exec, s[0:1]
	s_and_saveexec_b64 s[0:1], s[4:5]
	s_cbranch_execz .LBB471_82
; %bb.81:
	v_mov_b32_e32 v15, 0
	v_lshl_add_u64 v[6:7], v[6:7], 0, v[14:15]
	global_load_ushort v0, v[6:7], off offset:32
	v_lshl_add_u64 v[4:5], v[4:5], 0, v[14:15]
	s_waitcnt vmcnt(0)
	v_lshlrev_b32_e32 v0, 16, v0
	v_sub_f32_e32 v0, v0, v3
	global_store_short_d16_hi v[4:5], v0, off offset:32
	v_mul_f32_e32 v0, v17, v0
	v_lshrrev_b32_e32 v0, 16, v0
.LBB471_82:
	s_or_b64 exec, exec, s[0:1]
	s_mov_b32 s0, 0x5040100
	v_or_b32_e32 v2, v21, v19
	v_perm_b32 v1, v0, v1, s0
	v_perm_b32 v0, v11, v9, s0
	v_lshlrev_b32_e32 v2, 1, v2
	ds_write_b64 v2, v[0:1] offset:45056
	s_waitcnt lgkmcnt(0)
	s_barrier
.LBB471_83:
	s_endpgm
	.section	.rodata,"a",@progbits
	.p2align	6, 0x0
	.amdhsa_kernel _ZN12_GLOBAL__N_139chunk_gated_delta_rule_fwd_h_hip_kernelILi32ELb0ELb0ELb1ELb1ELb0ELb1ELb0ELb0EEEvPK12hip_bfloat16S3_S3_PKfS5_PKvPS1_S8_PvPKiSB_iiiiilll
		.amdhsa_group_segment_fixed_size 49152
		.amdhsa_private_segment_fixed_size 0
		.amdhsa_kernarg_size 136
		.amdhsa_user_sgpr_count 2
		.amdhsa_user_sgpr_dispatch_ptr 0
		.amdhsa_user_sgpr_queue_ptr 0
		.amdhsa_user_sgpr_kernarg_segment_ptr 1
		.amdhsa_user_sgpr_dispatch_id 0
		.amdhsa_user_sgpr_kernarg_preload_length 0
		.amdhsa_user_sgpr_kernarg_preload_offset 0
		.amdhsa_user_sgpr_private_segment_size 0
		.amdhsa_uses_dynamic_stack 0
		.amdhsa_enable_private_segment 0
		.amdhsa_system_sgpr_workgroup_id_x 1
		.amdhsa_system_sgpr_workgroup_id_y 1
		.amdhsa_system_sgpr_workgroup_id_z 0
		.amdhsa_system_sgpr_workgroup_info 0
		.amdhsa_system_vgpr_workitem_id 0
		.amdhsa_next_free_vgpr 168
		.amdhsa_next_free_sgpr 63
		.amdhsa_accum_offset 144
		.amdhsa_reserve_vcc 1
		.amdhsa_float_round_mode_32 0
		.amdhsa_float_round_mode_16_64 0
		.amdhsa_float_denorm_mode_32 3
		.amdhsa_float_denorm_mode_16_64 3
		.amdhsa_dx10_clamp 1
		.amdhsa_ieee_mode 1
		.amdhsa_fp16_overflow 0
		.amdhsa_tg_split 0
		.amdhsa_exception_fp_ieee_invalid_op 0
		.amdhsa_exception_fp_denorm_src 0
		.amdhsa_exception_fp_ieee_div_zero 0
		.amdhsa_exception_fp_ieee_overflow 0
		.amdhsa_exception_fp_ieee_underflow 0
		.amdhsa_exception_fp_ieee_inexact 0
		.amdhsa_exception_int_div_zero 0
	.end_amdhsa_kernel
	.section	.text._ZN12_GLOBAL__N_139chunk_gated_delta_rule_fwd_h_hip_kernelILi32ELb0ELb0ELb1ELb1ELb0ELb1ELb0ELb0EEEvPK12hip_bfloat16S3_S3_PKfS5_PKvPS1_S8_PvPKiSB_iiiiilll,"axG",@progbits,_ZN12_GLOBAL__N_139chunk_gated_delta_rule_fwd_h_hip_kernelILi32ELb0ELb0ELb1ELb1ELb0ELb1ELb0ELb0EEEvPK12hip_bfloat16S3_S3_PKfS5_PKvPS1_S8_PvPKiSB_iiiiilll,comdat
.Lfunc_end471:
	.size	_ZN12_GLOBAL__N_139chunk_gated_delta_rule_fwd_h_hip_kernelILi32ELb0ELb0ELb1ELb1ELb0ELb1ELb0ELb0EEEvPK12hip_bfloat16S3_S3_PKfS5_PKvPS1_S8_PvPKiSB_iiiiilll, .Lfunc_end471-_ZN12_GLOBAL__N_139chunk_gated_delta_rule_fwd_h_hip_kernelILi32ELb0ELb0ELb1ELb1ELb0ELb1ELb0ELb0EEEvPK12hip_bfloat16S3_S3_PKfS5_PKvPS1_S8_PvPKiSB_iiiiilll
                                        ; -- End function
	.section	.AMDGPU.csdata,"",@progbits
; Kernel info:
; codeLenInByte = 8836
; NumSgprs: 69
; NumVgprs: 142
; NumAgprs: 24
; TotalNumVgprs: 168
; ScratchSize: 0
; MemoryBound: 0
; FloatMode: 240
; IeeeMode: 1
; LDSByteSize: 49152 bytes/workgroup (compile time only)
; SGPRBlocks: 8
; VGPRBlocks: 20
; NumSGPRsForWavesPerEU: 69
; NumVGPRsForWavesPerEU: 168
; AccumOffset: 144
; Occupancy: 1
; WaveLimiterHint : 1
; COMPUTE_PGM_RSRC2:SCRATCH_EN: 0
; COMPUTE_PGM_RSRC2:USER_SGPR: 2
; COMPUTE_PGM_RSRC2:TRAP_HANDLER: 0
; COMPUTE_PGM_RSRC2:TGID_X_EN: 1
; COMPUTE_PGM_RSRC2:TGID_Y_EN: 1
; COMPUTE_PGM_RSRC2:TGID_Z_EN: 0
; COMPUTE_PGM_RSRC2:TIDIG_COMP_CNT: 0
; COMPUTE_PGM_RSRC3_GFX90A:ACCUM_OFFSET: 35
; COMPUTE_PGM_RSRC3_GFX90A:TG_SPLIT: 0
	.section	.text._ZN12_GLOBAL__N_139chunk_gated_delta_rule_fwd_h_hip_kernelILi32ELb0ELb0ELb0ELb1ELb0ELb1ELb0ELb0EEEvPK12hip_bfloat16S3_S3_PKfS5_PKvPS1_S8_PvPKiSB_iiiiilll,"axG",@progbits,_ZN12_GLOBAL__N_139chunk_gated_delta_rule_fwd_h_hip_kernelILi32ELb0ELb0ELb0ELb1ELb0ELb1ELb0ELb0EEEvPK12hip_bfloat16S3_S3_PKfS5_PKvPS1_S8_PvPKiSB_iiiiilll,comdat
	.globl	_ZN12_GLOBAL__N_139chunk_gated_delta_rule_fwd_h_hip_kernelILi32ELb0ELb0ELb0ELb1ELb0ELb1ELb0ELb0EEEvPK12hip_bfloat16S3_S3_PKfS5_PKvPS1_S8_PvPKiSB_iiiiilll ; -- Begin function _ZN12_GLOBAL__N_139chunk_gated_delta_rule_fwd_h_hip_kernelILi32ELb0ELb0ELb0ELb1ELb0ELb1ELb0ELb0EEEvPK12hip_bfloat16S3_S3_PKfS5_PKvPS1_S8_PvPKiSB_iiiiilll
	.p2align	8
	.type	_ZN12_GLOBAL__N_139chunk_gated_delta_rule_fwd_h_hip_kernelILi32ELb0ELb0ELb0ELb1ELb0ELb1ELb0ELb0EEEvPK12hip_bfloat16S3_S3_PKfS5_PKvPS1_S8_PvPKiSB_iiiiilll,@function
_ZN12_GLOBAL__N_139chunk_gated_delta_rule_fwd_h_hip_kernelILi32ELb0ELb0ELb0ELb1ELb0ELb1ELb0ELb0EEEvPK12hip_bfloat16S3_S3_PKfS5_PKvPS1_S8_PvPKiSB_iiiiilll: ; @_ZN12_GLOBAL__N_139chunk_gated_delta_rule_fwd_h_hip_kernelILi32ELb0ELb0ELb0ELb1ELb0ELb1ELb0ELb0EEEvPK12hip_bfloat16S3_S3_PKfS5_PKvPS1_S8_PvPKiSB_iiiiilll
; %bb.0:
	s_load_dwordx4 s[12:15], s[0:1], 0x5c
	s_load_dwordx4 s[16:19], s[0:1], 0x70
	s_abs_i32 s21, s3
	s_ashr_i32 s20, s3, 31
	s_load_dwordx2 s[36:37], s[0:1], 0x30
	s_load_dwordx4 s[24:27], s[0:1], 0x48
	s_waitcnt lgkmcnt(0)
	s_abs_i32 s28, s13
	v_cvt_f32_u32_e32 v1, s28
	s_sub_i32 s22, 0, s28
	s_ashr_i32 s29, s13, 31
	s_xor_b32 s20, s20, s29
	v_rcp_iflag_f32_e32 v1, v1
	s_load_dwordx8 s[4:11], s[0:1], 0x0
	v_lshrrev_b32_e32 v61, 6, v0
	v_bfe_u32 v62, v0, 4, 2
	v_mul_f32_e32 v1, 0x4f7ffffe, v1
	v_cvt_u32_f32_e32 v1, v1
	v_lshlrev_b32_e32 v2, 2, v62
	v_and_b32_e32 v60, 63, v0
	v_mov_b32_e32 v5, 0
	v_readfirstlane_b32 s23, v1
	s_mul_i32 s22, s22, s23
	s_mul_hi_u32 s22, s23, s22
	s_add_i32 s23, s23, s22
	s_mul_hi_u32 s22, s21, s23
	s_mul_i32 s23, s22, s28
	s_sub_i32 s21, s21, s23
	s_add_i32 s30, s22, 1
	s_sub_i32 s23, s21, s28
	s_cmp_ge_u32 s21, s28
	s_cselect_b32 s22, s30, s22
	s_cselect_b32 s21, s23, s21
	s_add_i32 s23, s22, 1
	s_cmp_ge_u32 s21, s28
	s_cselect_b32 s21, s23, s22
	s_xor_b32 s21, s21, s20
	s_sub_i32 s20, s21, s20
	s_mul_i32 s21, s20, s13
	s_sub_i32 s33, s3, s21
	s_ashr_i32 s21, s20, 31
	s_lshl_b64 s[22:23], s[20:21], 2
	s_add_u32 s24, s24, s22
	s_addc_u32 s25, s25, s23
	s_add_u32 s22, s26, s22
	s_addc_u32 s23, s27, s23
	s_abs_i32 s3, s14
	v_cvt_f32_u32_e32 v1, s3
	s_load_dwordx2 s[34:35], s[24:25], 0x0
	s_sub_i32 s25, 0, s3
	s_load_dword s46, s[22:23], 0x0
	v_rcp_iflag_f32_e32 v1, v1
	v_and_b32_e32 v45, 15, v0
	s_waitcnt lgkmcnt(0)
	s_sub_i32 s47, s35, s34
	s_ashr_i32 s24, s47, 31
	v_mul_f32_e32 v1, 0x4f7ffffe, v1
	v_cvt_u32_f32_e32 v1, v1
	s_lshr_b32 s24, s24, 26
	s_add_i32 s24, s47, s24
	s_ashr_i32 s45, s24, 6
	v_readfirstlane_b32 s26, v1
	s_mul_i32 s25, s25, s26
	s_mul_hi_u32 s25, s26, s25
	s_add_i32 s26, s26, s25
	s_mul_hi_u32 s25, s28, s26
	s_mul_i32 s26, s25, s3
	s_ashr_i32 s24, s14, 31
	s_sub_i32 s26, s28, s26
	s_xor_b32 s24, s29, s24
	s_add_i32 s27, s25, 1
	s_sub_i32 s28, s26, s3
	s_cmp_ge_u32 s26, s3
	s_cselect_b32 s25, s27, s25
	s_cselect_b32 s26, s28, s26
	s_add_i32 s27, s25, 1
	s_cmp_ge_u32 s26, s3
	s_cselect_b32 s3, s27, s25
	s_xor_b32 s3, s3, s24
	s_sub_i32 s3, s3, s24
	s_abs_i32 s24, s3
	v_cvt_f32_u32_e32 v1, s24
	s_sub_i32 s23, 0, s24
	s_abs_i32 s22, s33
	s_xor_b32 s3, s33, s3
	v_rcp_iflag_f32_e32 v1, v1
	s_ashr_i32 s3, s3, 31
	s_load_dwordx2 s[28:29], s[0:1], 0x80
	s_mul_hi_i32 s48, s33, s12
	v_mul_f32_e32 v1, 0x4f7ffffe, v1
	v_cvt_u32_f32_e32 v1, v1
	s_mul_i32 s49, s33, s12
	v_lshrrev_b32_e32 v64, 3, v60
	v_lshlrev_b32_e32 v63, 3, v0
	v_readfirstlane_b32 s25, v1
	s_mul_i32 s23, s23, s25
	s_mul_hi_u32 s23, s25, s23
	s_add_i32 s25, s25, s23
	s_mul_hi_u32 s23, s22, s25
	s_mul_i32 s25, s23, s24
	s_sub_i32 s22, s22, s25
	s_add_i32 s25, s23, 1
	s_sub_i32 s26, s22, s24
	s_cmp_ge_u32 s22, s24
	s_cselect_b32 s23, s25, s23
	s_cselect_b32 s22, s26, s22
	s_add_i32 s25, s23, 1
	s_cmp_ge_u32 s22, s24
	s_cselect_b32 s22, s25, s23
	s_xor_b32 s22, s22, s3
	v_lshlrev_b32_e32 v1, 4, v61
	s_sub_i32 s50, s22, s3
	v_or_b32_e32 v65, v2, v1
	s_lshl_b32 s30, s2, 5
	v_or_b32_e32 v66, 64, v65
	s_cmp_lt_i32 s47, 64
	s_mul_i32 s42, s20, s17
	s_mul_hi_u32 s43, s20, s16
	s_mul_i32 s44, s21, s16
	s_mul_i32 s16, s20, s16
	v_mov_b32_e32 v84, 0
	v_mov_b32_e32 v82, 0
	;; [unrolled: 1-line block ×15, first 2 shown]
	s_cbranch_scc1 .LBB472_18
; %bb.1:
	s_ashr_i32 s53, s33, 31
	s_ashr_i32 s3, s34, 31
	s_add_u32 s2, s49, s34
	s_addc_u32 s3, s48, s3
	s_lshl_b64 s[2:3], s[2:3], 8
	v_and_b32_e32 v68, 56, v63
	s_add_u32 s20, s6, s2
	v_lshl_or_b32 v67, v61, 3, v64
	v_lshlrev_b32_e32 v3, 1, v68
	s_addc_u32 s2, s7, s3
	v_lshl_or_b32 v69, v67, 8, v3
	s_and_b32 s21, s2, 0xffff
	s_mov_b32 s23, 0x20000
	s_movk_i32 s22, 0x4000
	s_movk_i32 s2, 0x80
	v_or_b32_e32 v70, 0x2000, v69
	buffer_load_dwordx4 v[4:7], v69, s[20:23], 0 offen
	buffer_load_dwordx4 v[8:11], v69, s[20:23], s2 offen
	;; [unrolled: 1-line block ×4, first 2 shown]
	v_lshlrev_b32_e32 v20, 3, v67
	v_and_or_b32 v22, v0, 7, v20
	v_and_b32_e32 v20, 0x78, v20
	v_lshlrev_b32_e32 v22, 4, v22
	v_xor_b32_e32 v71, v22, v20
	v_mul_lo_u32 v21, v67, s15
	v_or_b32_e32 v72, 0x1000, v71
	s_cmpk_eq_i32 s15, 0x80
	s_mov_b32 s51, s13
	s_mov_b32 s52, s34
	v_xor_b32_e32 v20, 8, v71
	v_xor_b32_e32 v22, 8, v72
	s_cselect_b64 s[2:3], -1, 0
	s_cmpk_lg_i32 s15, 0x80
	s_waitcnt vmcnt(3)
	ds_write_b64 v71, v[4:5] offset:24576
	ds_write_b64 v20, v[6:7] offset:24576
	s_waitcnt vmcnt(2)
	ds_write_b64 v71, v[8:9] offset:32768
	ds_write_b64 v20, v[10:11] offset:32768
	;; [unrolled: 3-line block ×4, first 2 shown]
	v_lshl_add_u32 v4, v21, 1, v68
	s_cbranch_scc0 .LBB472_3
; %bb.2:
	v_lshlrev_b32_e32 v6, 1, v4
	v_add_lshl_u32 v5, v4, s15, 1
	s_lshl_b32 s22, s15, 7
	s_load_dwordx2 s[38:39], s[0:1], 0x20
	v_lshl_or_b32 v3, v67, 9, v3
	s_cbranch_execz .LBB472_4
	s_branch .LBB472_5
.LBB472_3:
                                        ; implicit-def: $vgpr5
                                        ; implicit-def: $vgpr6
                                        ; implicit-def: $sgpr22
	s_load_dwordx2 s[38:39], s[0:1], 0x20
	v_lshl_or_b32 v3, v67, 9, v3
.LBB472_4:
	v_or_b32_e32 v5, 0x100, v3
	s_movk_i32 s22, 0x4000
	v_mov_b32_e32 v6, v3
.LBB472_5:
	s_mul_i32 s0, s34, s14
	s_ashr_i32 s54, s50, 31
	s_mul_hi_i32 s1, s34, s14
	s_add_u32 s0, s0, s50
	s_addc_u32 s1, s1, s54
	s_lshl_b64 s[0:1], s[0:1], 8
	s_add_u32 s20, s4, s0
	s_addc_u32 s0, s5, s1
	s_and_b32 s21, s0, 0xffff
	s_movk_i32 s55, 0x80
	buffer_load_dwordx4 v[8:11], v6, s[20:23], 0 offen
	buffer_load_dwordx4 v[12:15], v6, s[20:23], s55 offen
	;; [unrolled: 1-line block ×4, first 2 shown]
	v_and_b32_e32 v5, 6, v0
	v_lshlrev_b32_e32 v24, 6, v65
	v_or_b32_e32 v26, 16, v45
	v_xor_b32_e32 v27, v67, v5
	v_and_b32_e32 v6, 1, v0
	v_lshl_or_b32 v30, v45, 3, v24
	v_lshl_or_b32 v24, v26, 3, v24
	v_lshlrev_b32_e32 v27, 2, v27
	v_lshlrev_b32_e32 v7, 2, v45
	s_mul_i32 s0, s33, s19
	s_mul_hi_u32 s1, s33, s18
	v_or_b32_e32 v75, 0xa000, v24
	v_or_b32_e32 v76, 0xb000, v24
	v_xor_b32_e32 v24, 0x440, v27
	v_cmp_eq_u32_e32 vcc, 0, v6
	s_add_i32 s17, s43, s42
	s_mul_i32 s20, s53, s18
	v_xor_b32_e32 v28, v65, v7
	v_xor_b32_e32 v29, v66, v7
	v_cndmask_b32_e32 v6, v24, v27, vcc
	s_add_i32 s0, s1, s0
	s_add_i32 s17, s17, s44
	s_mov_b32 s56, 0x1000504
	v_lshlrev_b32_e32 v25, 8, v45
	v_lshlrev_b32_e32 v26, 8, v26
	;; [unrolled: 1-line block ×4, first 2 shown]
	v_lshl_or_b32 v5, v5, 10, v6
	s_add_i32 s1, s0, s20
	s_lshl_b64 s[20:21], s[16:17], 2
	s_mov_b32 s57, 0x3020706
	v_or_b32_e32 v73, 0xa000, v30
	v_or_b32_e32 v74, 0xb000, v30
	;; [unrolled: 1-line block ×5, first 2 shown]
	v_xor_b32_e32 v6, 8, v5
	v_xor_b32_e32 v25, 24, v5
	;; [unrolled: 1-line block ×4, first 2 shown]
	s_mul_i32 s0, s33, s18
	s_add_u32 s17, s10, s20
	v_or_b32_e32 v79, v26, v28
	v_xor_b32_e32 v24, 16, v5
	v_xor_b32_e32 v26, 32, v5
	;; [unrolled: 1-line block ×3, first 2 shown]
	v_add_u32_e32 v6, 0x80, v6
	v_add_u32_e32 v25, 0x80, v25
	;; [unrolled: 1-line block ×4, first 2 shown]
	s_addc_u32 s20, s11, s21
	s_lshl_b64 s[0:1], s[0:1], 2
	s_add_u32 s40, s17, s0
	s_movk_i32 s0, 0xf8
	s_addc_u32 s41, s20, s1
	s_ashr_i32 s31, s30, 31
	s_lshl_b32 s26, s15, 7
	s_movk_i32 s20, 0x100
	v_mov_b32_e32 v51, 0
	v_lshlrev_b32_e32 v50, 4, v45
	v_cmp_gt_u32_e32 vcc, s20, v0
	s_mov_b32 s58, 0
	s_movk_i32 s17, 0x1000
	s_movk_i32 s22, 0x4000
	v_add_u32_e32 v100, v1, v2
	v_mov_b32_e32 v111, 0x3fb8aa3b
	v_mov_b32_e32 v52, v51
	;; [unrolled: 1-line block ×13, first 2 shown]
	s_waitcnt vmcnt(1)
	v_perm_b32 v30, v8, v16, s56
	s_waitcnt vmcnt(0)
	v_perm_b32 v31, v12, v20, s56
	v_perm_b32 v8, v8, v16, s57
	;; [unrolled: 1-line block ×15, first 2 shown]
	ds_write2st64_b32 v5, v30, v31 offset0:32 offset1:64
	ds_write2st64_b32 v6, v8, v12 offset0:32 offset1:64
	;; [unrolled: 1-line block ×8, first 2 shown]
	v_or_b32_e32 v5, v1, v45
	v_lshlrev_b32_e32 v5, 3, v5
	v_lshrrev_b32_e32 v8, 5, v60
	v_and_or_b32 v8, v5, s0, v8
	v_lshrrev_b32_e32 v6, 2, v60
	v_lshlrev_b32_e32 v11, 11, v61
	v_lshlrev_b32_e32 v8, 4, v8
	v_and_b32_e32 v5, 0x78, v5
	v_and_b32_e32 v9, 12, v6
	;; [unrolled: 1-line block ×3, first 2 shown]
	v_xor_b32_e32 v10, v8, v5
	v_lshrrev_b32_e32 v12, 1, v60
	v_or_b32_e32 v10, v10, v6
	v_and_b32_e32 v12, 8, v12
	v_xor_b32_e32 v81, v10, v12
	v_or_b32_e32 v10, 32, v8
	v_xor_b32_e32 v10, v10, v5
	v_or_b32_e32 v10, v10, v6
	;; [unrolled: 2-line block ×3, first 2 shown]
	v_or_b32_e32 v8, 0x60, v8
	v_xor_b32_e32 v10, v10, v5
	v_xor_b32_e32 v5, v8, v5
	s_lshl_b64 s[0:1], s[30:31], 8
	v_or_b32_e32 v10, v10, v6
	v_or_b32_e32 v5, v5, v6
	v_lshlrev_b32_e32 v14, 1, v4
	v_add_lshl_u32 v15, v4, s15, 1
	s_add_u32 s0, s36, s0
	v_lshlrev_b32_e32 v4, 1, v45
	v_xor_b32_e32 v91, v10, v12
	v_xor_b32_e32 v92, v5, v12
	v_lshrrev_b32_e32 v10, 4, v0
	s_addc_u32 s1, s37, s1
	v_or_b32_e32 v5, 1, v4
	v_mov_b32_e32 v20, 0x4000
	v_mov_b32_e32 v21, 0x2000
	v_lshrrev_b32_e32 v22, 1, v0
	v_xor_b32_e32 v12, v10, v4
	v_xor_b32_e32 v17, v5, v10
	v_lshl_add_u64 v[4:5], s[0:1], 0, v[50:51]
	v_lshlrev_b32_e32 v50, 8, v10
	v_cndmask_b32_e32 v20, v20, v21, vcc
	v_lshlrev_b32_e32 v21, 3, v61
	v_and_b32_e32 v22, 24, v22
	v_lshl_or_b32 v95, v12, 3, v50
	v_and_b32_e32 v12, 8, v0
	v_xor_b32_e32 v23, v21, v22
	v_or_b32_e32 v24, 0x440, v23
	v_cmp_eq_u32_e32 vcc, 0, v12
	v_and_b32_e32 v10, 7, v0
	v_lshlrev_b32_e32 v13, 7, v62
	v_cndmask_b32_e32 v12, v24, v23, vcc
	v_lshl_or_b32 v96, v17, 3, v50
	v_lshlrev_b32_e32 v17, 3, v10
	v_lshlrev_b32_e32 v19, 2, v0
	v_or_b32_e32 v12, v12, v11
	v_or_b32_e32 v7, v13, v7
	v_xor_b32_e32 v23, v12, v17
	v_and_or_b32 v12, v19, 60, v13
	v_mov_b32_e32 v13, 0xb000
	v_lshl_or_b32 v97, v12, 1, v13
	v_or_b32_e32 v12, 32, v22
	v_xor_b32_e32 v12, v21, v12
	v_or_b32_e32 v13, 0x440, v12
	v_cndmask_b32_e32 v12, v13, v12, vcc
	v_or_b32_e32 v12, v12, v11
	v_xor_b32_e32 v13, v12, v17
	v_or_b32_e32 v12, 64, v22
	v_xor_b32_e32 v12, v21, v12
	v_xor_b32_e32 v25, 0x440, v12
	v_cndmask_b32_e32 v12, v25, v12, vcc
	v_or_b32_e32 v12, v12, v11
	v_xor_b32_e32 v25, v12, v17
	v_or_b32_e32 v12, 0x60, v22
	v_xor_b32_e32 v12, v21, v12
	v_xor_b32_e32 v21, 0x440, v12
	v_cndmask_b32_e32 v12, v21, v12, vcc
	v_or_b32_e32 v11, v12, v11
	v_lshlrev_b32_e32 v7, 1, v7
	v_or_b32_e32 v6, s30, v45
	v_xor_b32_e32 v11, v11, v17
	v_or_b32_e32 v85, 0xa000, v7
	v_or_b32_e32 v90, 0xa080, v7
	v_or_b32_e32 v93, 0xb000, v7
	v_or_b32_e32 v94, 0xb080, v7
	v_lshlrev_b32_e32 v8, 7, v65
	v_ashrrev_i32_e32 v7, 31, v6
	v_or_b32_e32 v16, 0x100, v3
	v_lshlrev_b32_e32 v18, 7, v10
	v_or_b32_e32 v10, v9, v1
	v_add_u32_e32 v24, v20, v23
	v_add_u32_e32 v19, v20, v13
	;; [unrolled: 1-line block ×4, first 2 shown]
	v_or3_b32 v12, v1, v9, 64
	v_add_u32_e32 v9, 0x4000, v23
	v_add_u32_e32 v13, 0x4000, v13
	;; [unrolled: 1-line block ×4, first 2 shown]
	v_cndmask_b32_e64 v98, v14, v3, s[2:3]
	v_cndmask_b32_e64 v99, v15, v16, s[2:3]
	v_lshl_add_u64 v[56:57], v[6:7], 1, s[8:9]
	v_lshl_add_u64 v[58:59], v[4:5], 0, v[50:51]
	s_mov_b32 s31, 0x7060302
	v_lshlrev_b32_e32 v50, 1, v8
	v_lshlrev_b32_e32 v101, 2, v10
	v_add_u32_e32 v102, v24, v18
	v_add_u32_e32 v103, v19, v18
	;; [unrolled: 1-line block ×4, first 2 shown]
	v_lshlrev_b32_e32 v106, 2, v12
	v_add_u32_e32 v107, v9, v18
	v_add_u32_e32 v108, v13, v18
	;; [unrolled: 1-line block ×4, first 2 shown]
	v_mov_b32_e32 v83, v51
	v_mov_b32_e32 v82, v51
	;; [unrolled: 1-line block ×4, first 2 shown]
	s_waitcnt lgkmcnt(0)
	s_barrier
.LBB472_6:                              ; =>This Inner Loop Header: Depth=1
	s_add_i32 s59, s58, 1
	s_cmp_lt_i32 s59, s45
	s_mov_b64 s[24:25], 0
	s_cselect_b64 s[2:3], -1, 0
	s_cmp_ge_i32 s59, s45
	s_mov_b64 s[20:21], 0
	s_cbranch_scc1 .LBB472_8
; %bb.7:                                ;   in Loop: Header=BB472_6 Depth=1
	s_add_i32 s0, s52, 64
	s_ashr_i32 s1, s0, 31
	s_add_u32 s0, s49, s0
	s_addc_u32 s1, s48, s1
	s_lshl_b64 s[0:1], s[0:1], 8
	s_add_u32 s20, s6, s0
	s_addc_u32 s21, s7, s1
.LBB472_8:                              ;   in Loop: Header=BB472_6 Depth=1
	v_cndmask_b32_e64 v2, 0, 1, s[2:3]
	v_cmp_ne_u32_e64 s[0:1], 1, v2
	s_andn2_b64 vcc, exec, s[2:3]
	s_cbranch_vccnz .LBB472_10
; %bb.9:                                ;   in Loop: Header=BB472_6 Depth=1
	s_add_i32 s2, s52, 64
	s_mul_hi_i32 s3, s2, s14
	s_mul_i32 s2, s2, s14
	s_add_u32 s2, s2, s50
	s_addc_u32 s3, s3, s54
	s_lshl_b64 s[2:3], s[2:3], 8
	s_add_u32 s24, s4, s2
	s_addc_u32 s25, s5, s3
.LBB472_10:                             ;   in Loop: Header=BB472_6 Depth=1
	v_perm_b32 v3, v55, v54, s31
	v_perm_b32 v2, v53, v52, s31
	;; [unrolled: 1-line block ×4, first 2 shown]
	ds_write_b64 v73, v[2:3]
	ds_write_b64 v74, v[4:5]
	;; [unrolled: 1-line block ×4, first 2 shown]
	v_perm_b32 v3, v113, v88, s31
	v_perm_b32 v2, v86, v87, s31
	;; [unrolled: 1-line block ×4, first 2 shown]
	ds_write_b64 v75, v[2:3]
	ds_write_b64 v76, v[4:5]
	;; [unrolled: 1-line block ×4, first 2 shown]
	s_waitcnt lgkmcnt(0)
	s_barrier
	ds_read_b64 v[6:7], v81 offset:24576
	ds_read2_b64 v[2:5], v85 offset1:16
	ds_read_b64 v[10:11], v90 offset:3072
	ds_read_b64 v[12:13], v85 offset:3072
	;; [unrolled: 1-line block ×3, first 2 shown]
	s_waitcnt lgkmcnt(3)
	v_mfma_f32_16x16x16_bf16 a[0:3], v[6:7], v[2:3], 0
	s_add_i32 s60, s52, 63
	s_ashr_i32 s2, s60, 31
	s_mul_i32 s3, s60, s29
	v_mfma_f32_16x16x16_bf16 a[4:7], v[6:7], v[4:5], 0
	ds_read2st64_b64 v[2:5], v85 offset0:2 offset1:4
	s_mul_hi_u32 s27, s60, s28
	s_add_i32 s3, s27, s3
	s_waitcnt lgkmcnt(0)
	v_mfma_f32_16x16x16_bf16 a[0:3], v[14:15], v[2:3], a[0:3]
	ds_read2st64_b64 v[6:9], v90 offset0:2 offset1:4
	ds_read_b64 v[2:3], v91 offset:24576
	s_mul_i32 s2, s2, s28
	s_add_i32 s3, s3, s2
	s_waitcnt lgkmcnt(1)
	v_mfma_f32_16x16x16_bf16 a[4:7], v[14:15], v[6:7], a[4:7]
	ds_read_b64 v[6:7], v92 offset:24576
	s_mul_i32 s2, s60, s28
	s_lshl_b64 s[2:3], s[2:3], 2
	s_waitcnt lgkmcnt(1)
	v_mfma_f32_16x16x16_bf16 a[0:3], v[2:3], v[4:5], a[0:3]
	s_add_u32 s2, s40, s2
	s_addc_u32 s3, s41, s3
	s_and_b64 vcc, exec, s[0:1]
	v_mfma_f32_16x16x16_bf16 a[4:7], v[2:3], v[8:9], a[4:7]
	v_mov_b32_e32 v116, 0
	v_mov_b32_e32 v115, 0
	;; [unrolled: 1-line block ×3, first 2 shown]
	s_waitcnt lgkmcnt(0)
	v_mfma_f32_16x16x16_bf16 a[0:3], v[6:7], v[12:13], a[0:3]
	v_mov_b32_e32 v2, 0
	v_mov_b32_e32 v3, 0
	;; [unrolled: 1-line block ×3, first 2 shown]
	v_mfma_f32_16x16x16_bf16 a[4:7], v[6:7], v[10:11], a[4:7]
	v_mov_b32_e32 v5, 0
	v_mov_b32_e32 v6, 0
	;; [unrolled: 1-line block ×13, first 2 shown]
	s_cbranch_vccnz .LBB472_12
; %bb.11:                               ;   in Loop: Header=BB472_6 Depth=1
	s_and_b32 s21, s21, 0xffff
	buffer_load_dwordx4 v[14:17], v69, s[20:23], 0 offen
	buffer_load_dwordx4 v[10:13], v69, s[20:23], s55 offen
	;; [unrolled: 1-line block ×4, first 2 shown]
	v_mov_b32_e32 v115, v71
	v_mov_b32_e32 v114, v72
.LBB472_12:                             ;   in Loop: Header=BB472_6 Depth=1
	ds_read_b64 v[22:23], v81 offset:32768
	ds_read2_b64 v[18:21], v93 offset1:16
	ds_read_b64 v[26:27], v89 offset:32768
	ds_read_b64 v[28:29], v91 offset:32768
	;; [unrolled: 1-line block ×3, first 2 shown]
	v_add_u32_e32 v32, s52, v100
	s_waitcnt lgkmcnt(3)
	v_mfma_f32_16x16x16_bf16 a[0:3], v[22:23], v[18:19], a[0:3]
	v_mul_lo_u32 v33, v32, s29
	v_mov_b32_e32 v117, 0
	v_mfma_f32_16x16x16_bf16 a[4:7], v[22:23], v[20:21], a[4:7]
	ds_read2st64_b64 v[18:21], v93 offset0:2 offset1:4
	ds_read2st64_b64 v[22:25], v94 offset0:2 offset1:4
	s_waitcnt lgkmcnt(1)
	v_mfma_f32_16x16x16_bf16 a[0:3], v[26:27], v[18:19], a[0:3]
	v_ashrrev_i32_e32 v18, 31, v32
	v_mul_lo_u32 v34, v18, s28
	v_mad_u64_u32 v[18:19], s[20:21], v32, s28, 0
	v_mfma_f32_16x16x16_bf16 a[0:3], v[28:29], v[20:21], a[0:3]
	v_add_u32_e32 v20, 1, v32
	v_ashrrev_i32_e32 v21, 31, v20
	v_add3_u32 v19, v19, v33, v34
	s_waitcnt lgkmcnt(0)
	v_mfma_f32_16x16x16_bf16 a[4:7], v[26:27], v[22:23], a[4:7]
	v_mul_lo_u32 v22, v21, s28
	v_mul_lo_u32 v23, v20, s29
	v_mad_u64_u32 v[20:21], s[20:21], v20, s28, 0
	v_add3_u32 v21, v21, v23, v22
	v_add_u32_e32 v22, 2, v32
	v_ashrrev_i32_e32 v23, 31, v22
	v_mul_lo_u32 v26, v23, s28
	v_mul_lo_u32 v27, v22, s29
	v_mad_u64_u32 v[22:23], s[20:21], v22, s28, 0
	v_add3_u32 v23, v23, v27, v26
	v_add_u32_e32 v26, 3, v32
	v_ashrrev_i32_e32 v27, 31, v26
	v_mul_lo_u32 v32, v27, s28
	v_mul_lo_u32 v33, v26, s29
	v_mad_u64_u32 v[26:27], s[20:21], v26, s28, 0
	v_add3_u32 v27, v27, v33, v32
	s_ashr_i32 s21, s52, 31
	v_lshl_add_u64 v[18:19], v[18:19], 2, s[40:41]
	v_lshl_add_u64 v[26:27], v[26:27], 2, s[40:41]
	s_add_u32 s20, s49, s52
	v_lshl_add_u64 v[20:21], v[20:21], 2, s[40:41]
	v_lshl_add_u64 v[22:23], v[22:23], 2, s[40:41]
	global_load_dword v32, v[18:19], off
	global_load_dword v33, v[20:21], off
	;; [unrolled: 1-line block ×3, first 2 shown]
	s_nop 0
	global_load_dword v26, v[26:27], off
	s_addc_u32 s21, s48, s21
	s_lshl_b64 s[20:21], s[20:21], 8
	v_lshl_add_u64 v[18:19], v[56:57], 0, s[20:21]
	v_lshl_add_u64 v[18:19], v[18:19], 0, v[50:51]
	global_load_ushort v27, v[18:19], off offset:256
	global_load_ushort v35, v[18:19], off
	global_load_ushort v36, v[18:19], off offset:768
	global_load_ushort v37, v[18:19], off offset:512
	ds_read_b64 v[20:21], v93 offset:3072
	ds_read_b64 v[22:23], v94 offset:3072
	global_load_ushort v38, v[18:19], off offset:800
	global_load_ushort v39, v[18:19], off offset:544
	global_load_ushort v40, v[18:19], off offset:288
	global_load_ushort v41, v[18:19], off offset:32
	s_load_dword s2, s[2:3], 0x0
	v_mfma_f32_16x16x16_bf16 a[4:7], v[28:29], v[24:25], a[4:7]
	s_and_b64 vcc, exec, s[0:1]
	s_waitcnt vmcnt(11) lgkmcnt(0)
	v_sub_f32_e32 v24, s2, v32
	v_mfma_f32_16x16x16_bf16 a[0:3], v[30:31], v[20:21], a[0:3]
	s_waitcnt vmcnt(10)
	v_sub_f32_e32 v29, s2, v33
	v_mul_f32_e32 v28, 0x3fb8aa3b, v24
	v_mul_f32_e32 v29, 0x3fb8aa3b, v29
	v_mfma_f32_16x16x16_bf16 a[4:7], v[30:31], v[22:23], a[4:7]
	s_waitcnt vmcnt(9)
	v_sub_f32_e32 v30, s2, v34
	s_waitcnt vmcnt(8)
	v_sub_f32_e32 v31, s2, v26
	v_mul_f32_e32 v30, 0x3fb8aa3b, v30
	v_mul_f32_e32 v31, 0x3fb8aa3b, v31
	v_exp_f32_e32 v28, v28
	v_exp_f32_e32 v29, v29
	v_exp_f32_e32 v30, v30
	v_exp_f32_e32 v31, v31
	v_accvgpr_read_b32 v23, a1
	v_accvgpr_read_b32 v19, a3
	;; [unrolled: 1-line block ×4, first 2 shown]
	s_waitcnt vmcnt(7)
	v_lshlrev_b32_e32 v25, 16, v27
	s_waitcnt vmcnt(6)
	v_lshlrev_b32_e32 v24, 16, v35
	;; [unrolled: 2-line block ×4, first 2 shown]
	v_pk_add_f32 v[22:23], v[24:25], v[22:23] neg_lo:[0,1] neg_hi:[0,1]
	v_pk_add_f32 v[18:19], v[26:27], v[18:19] neg_lo:[0,1] neg_hi:[0,1]
	v_pk_mul_f32 v[22:23], v[28:29], v[22:23]
	v_pk_mul_f32 v[18:19], v[30:31], v[18:19]
	v_accvgpr_read_b32 v25, a5
	v_perm_b32 v19, v19, v18, s31
	v_perm_b32 v18, v23, v22, s31
	s_waitcnt vmcnt(1)
	v_lshlrev_b32_e32 v23, 16, v40
	s_waitcnt vmcnt(0)
	v_lshlrev_b32_e32 v22, 16, v41
	v_accvgpr_read_b32 v24, a4
	v_accvgpr_read_b32 v21, a7
	;; [unrolled: 1-line block ×3, first 2 shown]
	v_pk_add_f32 v[22:23], v[22:23], v[24:25] neg_lo:[0,1] neg_hi:[0,1]
	v_lshlrev_b32_e32 v25, 16, v38
	v_lshlrev_b32_e32 v24, 16, v39
	v_pk_add_f32 v[20:21], v[24:25], v[20:21] neg_lo:[0,1] neg_hi:[0,1]
	v_pk_mul_f32 v[22:23], v[28:29], v[22:23]
	v_pk_mul_f32 v[20:21], v[30:31], v[20:21]
	v_mov_b32_e32 v24, 0
	v_perm_b32 v21, v21, v20, s31
	v_perm_b32 v20, v23, v22, s31
	ds_write2_b64 v74, v[18:19], v[20:21] offset1:16
	v_mov_b32_e32 v18, 0
	v_mov_b32_e32 v19, 0
	;; [unrolled: 1-line block ×15, first 2 shown]
	s_cbranch_vccnz .LBB472_14
; %bb.13:                               ;   in Loop: Header=BB472_6 Depth=1
	s_and_b32 s25, s25, 0xffff
	s_mov_b32 s27, s23
	buffer_load_dwordx4 v[30:33], v98, s[24:27], 0 offen
	buffer_load_dwordx4 v[22:25], v98, s[24:27], s55 offen
	;; [unrolled: 1-line block ×4, first 2 shown]
	v_mov_b32_e32 v116, v68
	v_mov_b32_e32 v117, v67
.LBB472_14:                             ;   in Loop: Header=BB472_6 Depth=1
	s_waitcnt lgkmcnt(0)
	s_barrier
	ds_read_b64 v[38:39], v102
	ds_read_b64 v[122:123], v97
	;; [unrolled: 1-line block ×5, first 2 shown]
	ds_read_b64 v[136:137], v94 offset:3072
	ds_read2_b64 v[34:37], v93 offset0:16 offset1:128
	s_waitcnt lgkmcnt(5)
	v_mfma_f32_16x16x16_bf16 a[0:3], v[38:39], v[122:123], 0
	ds_read2st64_b64 v[40:43], v94 offset0:2 offset1:4
	s_add_i32 s3, s46, s58
	s_mul_hi_i32 s21, s3, s51
	s_waitcnt lgkmcnt(1)
	v_mfma_f32_16x16x16_bf16 a[4:7], v[38:39], v[34:35], 0
	ds_read_b64 v[38:39], v107
	s_mul_i32 s3, s3, s51
	s_add_u32 s20, s3, s33
	s_waitcnt lgkmcnt(1)
	v_mfma_f32_16x16x16_bf16 a[4:7], v[124:125], v[40:41], a[4:7]
	s_addc_u32 s21, s21, s53
	s_lshl_b64 s[20:21], s[20:21], 15
	s_mul_i32 s24, s60, s51
	s_mul_hi_i32 s3, s60, s51
	s_add_u32 s24, s24, s33
	v_mfma_f32_16x16x16_bf16 a[8:11], v[126:127], v[42:43], a[4:7]
	s_addc_u32 s25, s3, s53
	ds_read2st64_b64 v[118:121], v93 offset0:4 offset1:6
	s_lshl_b64 s[24:25], s[24:25], 9
	s_waitcnt lgkmcnt(1)
	v_mfma_f32_16x16x16_bf16 a[4:7], v[38:39], v[122:123], 0
	s_add_u32 s24, s38, s24
	s_addc_u32 s25, s39, s25
	v_mfma_f32_16x16x16_bf16 a[0:3], v[124:125], v[36:37], a[0:3]
	ds_read_b64 v[124:125], v108
	ds_read_b64 v[132:133], v109
	ds_read_b64 v[138:139], v110
	v_mfma_f32_16x16x16_bf16 a[12:15], v[38:39], v[34:35], 0
	s_waitcnt lgkmcnt(2)
	v_mfma_f32_16x16x16_bf16 a[4:7], v[124:125], v[36:37], a[4:7]
	global_load_dwordx4 v[34:37], v106, s[24:25]
	v_mfma_f32_16x16x16_bf16 a[12:15], v[124:125], v[40:41], a[12:15]
	global_load_dwordx4 v[38:41], v101, s[24:25]
	ds_read2st64_b64 v[122:125], v95 offset1:8
	s_waitcnt lgkmcnt(0)
	v_mov_b32_e32 v130, v122
	v_mfma_f32_16x16x16_bf16 a[0:3], v[126:127], v[118:119], a[0:3]
	ds_read2st64_b64 v[126:129], v96 offset1:8
	v_mov_b32_e32 v131, v123
	v_mfma_f32_16x16x16_bf16 a[16:19], v[132:133], v[118:119], a[4:7]
	v_lshl_add_u64 v[118:119], v[58:59], 0, s[20:21]
	v_mfma_f32_16x16x16_bf16 a[20:23], v[132:133], v[42:43], a[12:15]
	v_add_co_u32_e32 v42, vcc, s17, v118
	s_waitcnt lgkmcnt(0)
	v_mov_b32_e32 v132, v126
	v_mfma_f32_16x16x16_bf16 a[4:7], v[134:135], v[120:121], a[0:3]
	v_mov_b32_e32 v133, v127
	v_mov_b32_e32 v126, v124
	;; [unrolled: 1-line block ×3, first 2 shown]
	v_mfma_f32_16x16x16_bf16 a[8:11], v[134:135], v[136:137], a[8:11]
	v_addc_co_u32_e32 v43, vcc, 0, v119, vcc
	global_store_dwordx4 v[42:43], v[126:129], off
	v_mfma_f32_16x16x16_bf16 a[12:15], v[138:139], v[120:121], a[16:19]
	s_and_b64 vcc, exec, s[0:1]
	global_store_dwordx4 v[118:119], v[130:133], off
	s_waitcnt vmcnt(3)
	v_mov_b32_e32 v44, v37
	v_mfma_f32_16x16x16_bf16 a[0:3], v[138:139], v[136:137], a[20:23]
	v_mov_b32_e32 v43, v36
	v_mov_b32_e32 v42, v35
	s_cbranch_vccnz .LBB472_16
; %bb.15:                               ;   in Loop: Header=BB472_6 Depth=1
	v_lshrrev_b32_e32 v35, 3, v116
	v_and_b32_e32 v35, 6, v35
	v_xor_b32_e32 v36, v35, v117
	v_lshlrev_b32_e32 v36, 2, v36
	v_and_b32_e32 v37, 8, v116
	v_xor_b32_e32 v116, 0x440, v36
	v_cmp_eq_u32_e32 vcc, 0, v37
	v_perm_b32 v37, v22, v18, s56
	s_nop 0
	v_cndmask_b32_e32 v36, v116, v36, vcc
	v_lshl_or_b32 v35, v35, 10, v36
	v_perm_b32 v36, v30, v26, s56
	s_barrier
	ds_write2st64_b32 v35, v36, v37 offset0:32 offset1:64
	v_xor_b32_e32 v36, 8, v35
	v_perm_b32 v26, v30, v26, s57
	v_perm_b32 v18, v22, v18, s57
	v_add_u32_e32 v22, 0x80, v36
	ds_write2st64_b32 v22, v26, v18 offset0:32 offset1:64
	v_xor_b32_e32 v18, 16, v35
	v_perm_b32 v22, v31, v27, s56
	v_perm_b32 v26, v23, v19, s56
	ds_write2st64_b32 v18, v22, v26 offset0:33 offset1:65
	v_xor_b32_e32 v18, 24, v35
	v_perm_b32 v22, v31, v27, s57
	v_perm_b32 v19, v23, v19, s57
	v_add_u32_e32 v18, 0x80, v18
	ds_write2st64_b32 v18, v22, v19 offset0:33 offset1:65
	v_xor_b32_e32 v18, 32, v35
	v_perm_b32 v19, v32, v28, s56
	v_perm_b32 v22, v24, v20, s56
	;; [unrolled: 9-line block ×3, first 2 shown]
	ds_write2st64_b32 v18, v19, v20 offset0:35 offset1:67
	v_xor_b32_e32 v18, 56, v35
	v_perm_b32 v19, v33, v29, s57
	v_perm_b32 v20, v25, v21, s57
	v_add_u32_e32 v18, 0x80, v18
	ds_write2st64_b32 v18, v19, v20 offset0:35 offset1:67
	ds_write_b64 v115, v[14:15] offset:24576
	v_xor_b32_e32 v14, 8, v115
	ds_write_b64 v14, v[16:17] offset:24576
	ds_write_b64 v115, v[10:11] offset:32768
	;; [unrolled: 1-line block ×4, first 2 shown]
	v_xor_b32_e32 v6, 8, v114
	ds_write_b64 v6, v[8:9] offset:24576
	ds_write_b64 v114, v[2:3] offset:32768
	;; [unrolled: 1-line block ×3, first 2 shown]
.LBB472_16:                             ;   in Loop: Header=BB472_6 Depth=1
	v_mul_f32_e32 v2, s2, v111
	v_exp_f32_e32 v18, v2
	s_waitcnt vmcnt(2)
	v_mul_f32_e32 v2, 0x3fb8aa3b, v38
	v_exp_f32_e32 v20, v2
	v_mul_f32_e32 v2, 0x3fb8aa3b, v39
	v_exp_f32_e32 v21, v2
	;; [unrolled: 2-line block ×4, first 2 shown]
	v_accvgpr_read_b32 v13, a7
	v_accvgpr_read_b32 v11, a5
	;; [unrolled: 1-line block ×4, first 2 shown]
	v_pk_mul_f32 v[20:21], v[18:19], v[20:21] op_sel_hi:[0,1]
	v_accvgpr_read_b32 v8, a10
	v_pk_fma_f32 v[52:53], v[52:53], v[20:21], v[10:11]
	v_pk_mul_f32 v[10:11], v[18:19], v[22:23] op_sel_hi:[0,1]
	v_accvgpr_read_b32 v12, a6
	v_accvgpr_read_b32 v7, a9
	v_fma_f32 v88, v88, v10, v8
	v_mul_f32_e32 v8, 0x3fb8aa3b, v43
	v_pk_fma_f32 v[54:55], v[54:55], v[10:11], v[12:13]
	v_fma_f32 v87, v87, v20, v6
	v_fma_f32 v86, v86, v21, v7
	v_mul_f32_e32 v6, 0x3fb8aa3b, v34
	v_mul_f32_e32 v7, 0x3fb8aa3b, v42
	v_exp_f32_e32 v12, v8
	v_mul_f32_e32 v8, 0x3fb8aa3b, v44
	v_exp_f32_e32 v6, v6
	v_exp_f32_e32 v7, v7
	;; [unrolled: 1-line block ×3, first 2 shown]
	v_accvgpr_read_b32 v9, a11
	v_accvgpr_read_b32 v17, a15
	;; [unrolled: 1-line block ×9, first 2 shown]
	v_fmac_f32_e32 v9, v113, v11
	v_pk_mul_f32 v[6:7], v[18:19], v[6:7] op_sel_hi:[0,1]
	v_pk_mul_f32 v[10:11], v[18:19], v[12:13] op_sel_hi:[0,1]
	s_add_i32 s52, s52, 64
	v_pk_fma_f32 v[46:47], v[46:47], v[6:7], v[14:15]
	v_pk_fma_f32 v[48:49], v[48:49], v[10:11], v[16:17]
	v_fma_f32 v83, v83, v6, v2
	v_fma_f32 v82, v82, v7, v3
	;; [unrolled: 1-line block ×3, first 2 shown]
	s_cmp_eq_u32 s45, s59
	v_fmac_f32_e32 v5, v112, v11
	s_cbranch_scc1 .LBB472_18
; %bb.17:                               ;   in Loop: Header=BB472_6 Depth=1
	s_mov_b32 s58, s59
	v_mov_b32_e32 v113, v9
	v_mov_b32_e32 v112, v5
	s_branch .LBB472_6
.LBB472_18:
	s_lshl_b32 s0, s45, 6
	s_sub_i32 s40, s47, s0
	s_cmp_gt_i32 s40, 0
	s_cbranch_scc0 .LBB472_83
; %bb.19:
	s_add_i32 s34, s0, s34
	s_ashr_i32 s2, s34, 31
	s_cmpk_lg_i32 s15, 0x80
	s_cselect_b64 s[26:27], -1, 0
	s_and_b64 vcc, exec, s[26:27]
	s_cbranch_vccz .LBB472_21
; %bb.20:
	s_mul_i32 s1, s34, s14
	s_ashr_i32 s3, s50, 31
	s_mul_hi_i32 s0, s34, s14
	s_add_u32 s38, s1, s50
	s_addc_u32 s39, s0, s3
	s_cbranch_execz .LBB472_22
	s_branch .LBB472_23
.LBB472_21:
                                        ; implicit-def: $sgpr38_sgpr39
.LBB472_22:
	s_mul_i32 s1, s50, s12
	s_mul_hi_i32 s0, s50, s12
	s_add_u32 s38, s1, s34
	s_addc_u32 s39, s0, s2
.LBB472_23:
	s_add_i32 s3, s45, s46
	s_ashr_i32 s12, s33, 31
	s_add_u32 s0, s49, s34
	v_lshlrev_b32_e32 v8, 5, v65
	v_lshlrev_b32_e32 v22, 2, v45
	s_addc_u32 s1, s48, s2
	s_mov_b32 s2, 0x7060302
	v_or_b32_e32 v11, v8, v22
	v_xor_b32_e32 v4, v65, v22
	v_perm_b32 v3, v55, v54, s2
	v_perm_b32 v2, v53, v52, s2
	;; [unrolled: 1-line block ×4, first 2 shown]
	v_lshlrev_b32_e32 v11, 1, v11
	s_lshl_b64 s[24:25], s[0:1], 8
	v_xor_b32_e32 v10, v66, v22
	ds_write2st64_b64 v11, v[2:3], v[6:7] offset0:80 offset1:88
	v_lshlrev_b32_e32 v11, 1, v4
	v_lshlrev_b32_e32 v4, 8, v45
	s_add_u32 s0, s6, s24
	v_or_b32_e32 v12, v11, v4
	v_lshlrev_b32_e32 v10, 1, v10
	s_addc_u32 s1, s7, s25
	ds_write_b64 v12, v[2:3]
	v_or_b32_e32 v2, v10, v4
	s_mul_hi_i32 s6, s3, s13
	s_mul_i32 s3, s3, s13
	ds_write_b64 v2, v[6:7]
	v_perm_b32 v3, v9, v88, s2
	v_perm_b32 v2, v86, v87, s2
	;; [unrolled: 1-line block ×4, first 2 shown]
	v_or_b32_e32 v6, 16, v45
	s_add_u32 s2, s3, s33
	v_lshlrev_b32_e32 v19, 2, v6
	s_addc_u32 s3, s6, s12
	v_or_b32_e32 v7, v8, v19
	s_ashr_i32 s31, s30, 31
	s_lshl_b64 s[2:3], s[2:3], 15
	v_lshlrev_b32_e32 v7, 1, v7
	v_lshlrev_b32_e32 v6, 8, v6
	s_add_u32 s6, s36, s2
	ds_write2st64_b64 v7, v[2:3], v[4:5] offset0:80 offset1:88
	v_or_b32_e32 v7, v11, v6
	s_addc_u32 s7, s37, s3
	s_lshl_b64 s[2:3], s[30:31], 8
	ds_write_b64 v7, v[2:3]
	v_or_b32_e32 v2, v10, v6
	s_add_u32 s2, s6, s2
	ds_write_b64 v2, v[4:5]
	v_lshrrev_b32_e32 v2, 4, v0
	s_addc_u32 s3, s7, s3
	v_lshlrev_b32_e32 v3, 1, v45
	v_lshlrev_b32_e32 v10, 4, v45
	v_mov_b32_e32 v11, 0
	v_or_b32_e32 v4, 1, v3
	v_xor_b32_e32 v3, v2, v3
	v_lshl_add_u64 v[12:13], s[2:3], 0, v[10:11]
	v_lshlrev_b32_e32 v10, 8, v2
	v_xor_b32_e32 v6, v4, v2
	v_lshl_or_b32 v2, v3, 3, v10
	s_waitcnt lgkmcnt(0)
	s_barrier
	ds_read2st64_b64 v[2:5], v2 offset1:8
	v_lshl_or_b32 v6, v6, 3, v10
	ds_read2st64_b64 v[6:9], v6 offset1:8
	v_lshl_add_u64 v[14:15], v[12:13], 0, v[10:11]
	s_movk_i32 s2, 0x1000
	s_waitcnt lgkmcnt(1)
	v_mov_b32_e32 v10, v2
	v_add_co_u32_e32 v2, vcc, s2, v14
	s_cmp_lg_u32 s40, 64
	v_mov_b32_e32 v11, v3
	v_addc_co_u32_e32 v3, vcc, 0, v15, vcc
	s_cselect_b64 s[6:7], -1, 0
	v_lshl_or_b32 v23, v61, 3, v64
	s_waitcnt lgkmcnt(0)
	v_mov_b32_e32 v12, v6
	v_mov_b32_e32 v13, v7
	;; [unrolled: 1-line block ×4, first 2 shown]
	s_mov_b32 s20, 0
	v_or_b32_e32 v20, 32, v23
	v_and_b32_e32 v18, 56, v63
	s_and_b64 vcc, exec, s[6:7]
	global_store_dwordx4 v[14:15], v[10:13], off
	global_store_dwordx4 v[2:3], v[6:9], off
	s_cbranch_vccz .LBB472_29
; %bb.24:
	s_mov_b32 s21, s20
	s_mov_b32 s22, s20
	;; [unrolled: 1-line block ×3, first 2 shown]
	v_mov_b64_e32 v[6:7], s[20:21]
	v_mov_b64_e32 v[8:9], s[22:23]
	;; [unrolled: 1-line block ×3, first 2 shown]
	v_cmp_gt_i32_e32 vcc, s40, v23
	v_mov_b64_e32 v[4:5], v[8:9]
	s_and_saveexec_b64 s[2:3], vcc
	s_cbranch_execz .LBB472_26
; %bb.25:
	v_lshlrev_b32_e32 v2, 8, v23
	v_mov_b32_e32 v3, 0
	v_lshl_add_u64 v[4:5], s[0:1], 0, v[2:3]
	v_lshlrev_b32_e32 v2, 1, v18
	v_lshl_add_u64 v[10:11], v[4:5], 0, v[2:3]
	global_load_dwordx4 v[6:9], v[10:11], off
	global_load_dwordx4 v[2:5], v[10:11], off offset:128
.LBB472_26:
	s_or_b64 exec, exec, s[2:3]
	s_mov_b32 s21, s20
	s_mov_b32 s22, s20
	;; [unrolled: 1-line block ×3, first 2 shown]
	v_mov_b64_e32 v[14:15], s[20:21]
	v_mov_b64_e32 v[16:17], s[22:23]
	;; [unrolled: 1-line block ×3, first 2 shown]
	v_cmp_gt_i32_e32 vcc, s40, v20
	v_lshlrev_b32_e32 v21, 7, v20
	v_mov_b64_e32 v[12:13], v[16:17]
	s_and_saveexec_b64 s[2:3], vcc
	s_cbranch_execz .LBB472_28
; %bb.27:
	v_lshlrev_b32_e32 v10, 1, v21
	v_mov_b32_e32 v11, 0
	v_lshl_add_u64 v[12:13], s[0:1], 0, v[10:11]
	v_lshlrev_b32_e32 v10, 1, v18
	v_lshl_add_u64 v[24:25], v[12:13], 0, v[10:11]
	global_load_dwordx4 v[14:17], v[24:25], off
	global_load_dwordx4 v[10:13], v[24:25], off offset:128
.LBB472_28:
	s_or_b64 exec, exec, s[2:3]
	v_lshrrev_b32_e32 v24, 3, v18
	v_lshlrev_b32_e32 v25, 3, v23
	v_or_b32_e32 v24, v25, v24
	v_lshlrev_b32_e32 v24, 4, v24
	v_and_b32_e32 v25, 0x78, v25
	v_xor_b32_e32 v24, v24, v25
	s_branch .LBB472_31
.LBB472_29:
                                        ; implicit-def: $vgpr24
                                        ; implicit-def: $vgpr21
                                        ; implicit-def: $vgpr6_vgpr7_vgpr8_vgpr9
                                        ; implicit-def: $vgpr2_vgpr3_vgpr4_vgpr5
                                        ; implicit-def: $vgpr14_vgpr15_vgpr16_vgpr17
                                        ; implicit-def: $vgpr10_vgpr11_vgpr12_vgpr13
	s_cbranch_execz .LBB472_31
; %bb.30:
	s_waitcnt vmcnt(0)
	v_lshlrev_b32_e32 v2, 1, v18
	v_lshl_or_b32 v21, v23, 8, v2
	s_and_b32 s1, s1, 0xffff
	s_mov_b32 s3, 0x20000
	s_movk_i32 s2, 0x4000
	v_lshl_or_b32 v24, v20, 8, v2
	s_movk_i32 s13, 0x80
	buffer_load_dwordx4 v[6:9], v21, s[0:3], 0 offen
	buffer_load_dwordx4 v[2:5], v21, s[0:3], s13 offen
	;; [unrolled: 1-line block ×4, first 2 shown]
	v_lshrrev_b32_e32 v21, 3, v18
	v_lshlrev_b32_e32 v24, 3, v23
	v_or_b32_e32 v21, v24, v21
	v_lshlrev_b32_e32 v21, 4, v21
	v_and_b32_e32 v24, 0x78, v24
	v_xor_b32_e32 v24, v21, v24
	v_lshlrev_b32_e32 v21, 7, v20
.LBB472_31:
	s_lshl_b64 s[0:1], s[38:39], 8
	s_add_u32 s4, s4, s0
	s_movk_i32 s0, 0x1000
	v_and_or_b32 v20, v21, s0, v24
	s_waitcnt vmcnt(1)
	ds_write_b64 v24, v[6:7] offset:24576
	v_xor_b32_e32 v6, 8, v24
	ds_write_b64 v6, v[8:9] offset:24576
	s_waitcnt vmcnt(0)
	ds_write_b64 v24, v[2:3] offset:32768
	ds_write_b64 v6, v[4:5] offset:32768
	;; [unrolled: 1-line block ×3, first 2 shown]
	v_xor_b32_e32 v2, 8, v20
	ds_write_b64 v2, v[16:17] offset:24576
	ds_write_b64 v20, v[10:11] offset:32768
	;; [unrolled: 1-line block ×3, first 2 shown]
	v_or_b32_e32 v2, v1, v45
	v_lshlrev_b32_e32 v3, 11, v61
	v_lshlrev_b32_e32 v2, 3, v2
	v_and_b32_e32 v6, 0x1000, v3
	v_lshrrev_b32_e32 v3, 5, v60
	s_movk_i32 s13, 0xf8
	v_and_or_b32 v3, v2, s13, v3
	v_lshlrev_b32_e32 v7, 4, v3
	v_and_b32_e32 v8, 0x78, v2
	v_or_b32_e32 v10, 32, v7
	v_lshrrev_b32_e32 v3, 1, v60
	v_xor_b32_e32 v10, v10, v8
	v_xor_b32_e32 v2, v7, v8
	v_and_b32_e32 v9, 8, v3
	v_or_b32_e32 v10, v10, v6
	v_or_b32_e32 v2, v2, v6
	v_xor_b32_e32 v26, v10, v9
	v_or_b32_e32 v10, 64, v7
	v_xor_b32_e32 v25, v2, v9
	v_xor_b32_e32 v10, v10, v8
	s_waitcnt lgkmcnt(0)
	s_barrier
	v_or_b32_e32 v12, v10, v6
	ds_read_b64 v[10:11], v25 offset:24576
	v_lshl_or_b32 v20, v62, 7, v22
	v_lshlrev_b32_e32 v24, 1, v20
	v_add_u32_e32 v2, 0xa000, v24
	ds_read2_b64 v[2:5], v2 offset1:16
	v_or_b32_e32 v7, 0x60, v7
	v_xor_b32_e32 v7, v7, v8
	s_waitcnt lgkmcnt(0)
	v_mfma_f32_16x16x16_bf16 a[0:3], v[10:11], v[2:3], 0
	v_or_b32_e32 v2, 64, v20
	v_or_b32_e32 v6, v7, v6
	v_lshlrev_b32_e32 v29, 1, v2
	v_xor_b32_e32 v27, v12, v9
	v_xor_b32_e32 v28, v6, v9
	ds_read_b64 v[12:13], v26 offset:24576
	ds_read_b64 v[14:15], v27 offset:24576
	;; [unrolled: 1-line block ×3, first 2 shown]
	v_mfma_f32_16x16x16_bf16 a[4:7], v[10:11], v[4:5], 0
	ds_read2st64_b64 v[2:5], v29 offset0:82 offset1:84
	ds_read2st64_b64 v[6:9], v24 offset0:82 offset1:84
	s_addc_u32 s5, s5, s1
	s_add_i32 s0, s43, s42
	s_add_i32 s2, s35, -1
	s_add_i32 s17, s0, s44
	s_mul_i32 s0, s33, s19
	s_mul_hi_u32 s1, s33, s18
	s_add_i32 s0, s1, s0
	s_mul_i32 s1, s12, s18
	s_ashr_i32 s3, s2, 31
	s_mul_i32 s12, s2, s29
	s_mul_hi_u32 s13, s2, s28
	s_add_i32 s12, s13, s12
	s_mul_i32 s3, s3, s28
	s_waitcnt lgkmcnt(1)
	v_mfma_f32_16x16x16_bf16 a[4:7], v[12:13], v[2:3], a[4:7]
	s_add_i32 s1, s0, s1
	s_add_i32 s3, s12, s3
	s_lshl_b64 s[12:13], s[16:17], 2
	s_waitcnt lgkmcnt(0)
	v_mfma_f32_16x16x16_bf16 a[0:3], v[12:13], v[6:7], a[0:3]
	s_mul_i32 s0, s33, s18
	s_add_u32 s10, s10, s12
	s_addc_u32 s11, s11, s13
	s_lshl_b64 s[0:1], s[0:1], 2
	s_mul_i32 s2, s2, s28
	s_add_u32 s10, s10, s0
	ds_read_b64 v[2:3], v24 offset:44032
	v_mfma_f32_16x16x16_bf16 a[4:7], v[14:15], v[4:5], a[4:7]
	ds_read_b64 v[4:5], v29 offset:44032
	s_addc_u32 s11, s11, s1
	s_lshl_b64 s[0:1], s[2:3], 2
	v_mfma_f32_16x16x16_bf16 a[0:3], v[14:15], v[8:9], a[0:3]
	s_add_u32 s0, s10, s0
	s_addc_u32 s1, s11, s1
	s_load_dword s12, s[0:1], 0x0
	s_waitcnt lgkmcnt(0)
	v_mfma_f32_16x16x16_bf16 a[0:3], v[16:17], v[2:3], a[0:3]
	s_and_b64 vcc, exec, s[26:27]
	v_mfma_f32_16x16x16_bf16 a[4:7], v[16:17], v[4:5], a[4:7]
	s_cbranch_vccz .LBB472_42
; %bb.32:
	v_lshlrev_b32_e32 v20, 1, v23
	s_and_b64 vcc, exec, s[6:7]
	s_cbranch_vccz .LBB472_43
; %bb.33:
	v_cmp_gt_i32_e32 vcc, s40, v20
	v_mov_b32_e32 v6, 0
	v_mov_b32_e32 v2, 0
	v_mov_b32_e32 v3, 0
	v_mov_b32_e32 v4, 0
	v_mov_b32_e32 v5, 0
	s_and_saveexec_b64 s[0:1], vcc
	s_cbranch_execz .LBB472_35
; %bb.34:
	v_mad_i64_i32 v[2:3], s[2:3], s15, v20, 0
	v_lshl_add_u64 v[2:3], v[2:3], 1, s[4:5]
	v_lshlrev_b32_e32 v4, 1, v18
	v_mov_b32_e32 v5, 0
	v_lshl_add_u64 v[2:3], v[2:3], 0, v[4:5]
	global_load_dwordx4 v[2:5], v[2:3], off
.LBB472_35:
	s_or_b64 exec, exec, s[0:1]
	v_or_b32_e32 v21, 1, v20
	v_cmp_gt_i32_e64 s[0:1], s40, v21
	v_mov_b32_e32 v7, 0
	v_mov_b32_e32 v8, 0
	;; [unrolled: 1-line block ×3, first 2 shown]
	s_and_saveexec_b64 s[2:3], s[0:1]
	s_cbranch_execz .LBB472_37
; %bb.36:
	v_mad_i64_i32 v[6:7], s[16:17], s15, v21, 0
	v_lshl_add_u64 v[6:7], v[6:7], 1, s[4:5]
	v_lshlrev_b32_e32 v8, 1, v18
	v_mov_b32_e32 v9, 0
	v_lshl_add_u64 v[6:7], v[6:7], 0, v[8:9]
	global_load_dwordx4 v[6:9], v[6:7], off
.LBB472_37:
	s_or_b64 exec, exec, s[2:3]
	v_mov_b32_e32 v17, 0
	v_mov_b32_e32 v10, 0
	;; [unrolled: 1-line block ×5, first 2 shown]
	s_and_saveexec_b64 s[2:3], vcc
	s_cbranch_execz .LBB472_39
; %bb.38:
	v_mad_i64_i32 v[10:11], s[16:17], s15, v20, 0
	v_lshl_add_u64 v[10:11], v[10:11], 1, s[4:5]
	v_lshlrev_b32_e32 v12, 1, v18
	v_mov_b32_e32 v13, 0
	v_lshl_add_u64 v[10:11], v[10:11], 0, v[12:13]
	global_load_dwordx4 v[10:13], v[10:11], off offset:128
.LBB472_39:
	s_or_b64 exec, exec, s[2:3]
	v_mov_b32_e32 v16, 0
	v_mov_b32_e32 v15, 0
	;; [unrolled: 1-line block ×3, first 2 shown]
	s_and_saveexec_b64 s[2:3], s[0:1]
	s_cbranch_execz .LBB472_41
; %bb.40:
	v_mad_i64_i32 v[14:15], s[0:1], s15, v21, 0
	v_lshl_add_u64 v[14:15], v[14:15], 1, s[4:5]
	v_lshlrev_b32_e32 v16, 1, v18
	v_mov_b32_e32 v17, 0
	v_lshl_add_u64 v[14:15], v[14:15], 0, v[16:17]
	global_load_dwordx4 v[14:17], v[14:15], off offset:128
.LBB472_41:
	s_or_b64 exec, exec, s[2:3]
	s_branch .LBB472_45
.LBB472_42:
                                        ; implicit-def: $vgpr5
                                        ; implicit-def: $vgpr9
                                        ; implicit-def: $vgpr13
                                        ; implicit-def: $vgpr17
	v_lshrrev_b32_e32 v30, 2, v60
	s_branch .LBB472_46
.LBB472_43:
                                        ; implicit-def: $vgpr5
                                        ; implicit-def: $vgpr9
                                        ; implicit-def: $vgpr13
                                        ; implicit-def: $vgpr17
	s_cbranch_execz .LBB472_45
; %bb.44:
	s_waitcnt vmcnt(0)
	v_mad_u64_u32 v[2:3], s[0:1], v20, s15, v[18:19]
	v_lshlrev_b32_e32 v20, 1, v2
	s_lshl_b32 s2, s15, 7
	s_and_b32 s1, s5, 0xffff
	s_mov_b32 s3, 0x20000
	s_mov_b32 s0, s4
	v_add_lshl_u32 v21, v2, s15, 1
	s_movk_i32 s13, 0x80
	buffer_load_dwordx4 v[2:5], v20, s[0:3], 0 offen
	buffer_load_dwordx4 v[10:13], v20, s[0:3], s13 offen
	;; [unrolled: 1-line block ×4, first 2 shown]
.LBB472_45:
	v_lshrrev_b32_e32 v30, 2, v60
	s_cbranch_execnz .LBB472_58
.LBB472_46:
	s_and_b64 vcc, exec, s[6:7]
	s_cbranch_vccz .LBB472_56
; %bb.47:
	s_waitcnt vmcnt(0)
	v_lshlrev_b32_e32 v7, 1, v23
	v_cmp_gt_i32_e32 vcc, s40, v7
	v_mov_b32_e32 v6, 0
	v_lshlrev_b32_e32 v14, 9, v23
	v_mov_b32_e32 v2, 0
	v_mov_b32_e32 v3, 0
	;; [unrolled: 1-line block ×4, first 2 shown]
	s_and_saveexec_b64 s[0:1], vcc
	s_cbranch_execz .LBB472_49
; %bb.48:
	v_mov_b32_e32 v15, 0
	v_lshl_add_u64 v[2:3], s[4:5], 0, v[14:15]
	v_lshlrev_b32_e32 v4, 1, v18
	v_mov_b32_e32 v5, v15
	v_lshl_add_u64 v[2:3], v[2:3], 0, v[4:5]
	global_load_dwordx4 v[2:5], v[2:3], off
.LBB472_49:
	s_or_b64 exec, exec, s[0:1]
	v_or_b32_e32 v7, 1, v7
	v_cmp_gt_i32_e64 s[0:1], s40, v7
	v_lshlrev_b32_e32 v20, 8, v7
	v_mov_b32_e32 v7, 0
	v_mov_b32_e32 v8, 0
	;; [unrolled: 1-line block ×3, first 2 shown]
	s_and_saveexec_b64 s[2:3], s[0:1]
	s_cbranch_execz .LBB472_51
; %bb.50:
	v_mov_b32_e32 v21, 0
	v_lshl_add_u64 v[6:7], s[4:5], 0, v[20:21]
	v_lshlrev_b32_e32 v8, 1, v18
	v_mov_b32_e32 v9, v21
	v_lshl_add_u64 v[6:7], v[6:7], 0, v[8:9]
	global_load_dwordx4 v[6:9], v[6:7], off
.LBB472_51:
	s_or_b64 exec, exec, s[2:3]
	v_mov_b32_e32 v17, 0
	v_mov_b32_e32 v10, 0
	;; [unrolled: 1-line block ×5, first 2 shown]
	s_and_saveexec_b64 s[2:3], vcc
	s_cbranch_execz .LBB472_53
; %bb.52:
	v_mov_b32_e32 v15, 0
	v_lshl_add_u64 v[10:11], s[4:5], 0, v[14:15]
	v_lshlrev_b32_e32 v14, 1, v18
	v_lshl_add_u64 v[10:11], v[10:11], 0, v[14:15]
	global_load_dwordx4 v[10:13], v[10:11], off offset:128
.LBB472_53:
	s_or_b64 exec, exec, s[2:3]
	v_mov_b32_e32 v16, 0
	v_mov_b32_e32 v15, 0
	;; [unrolled: 1-line block ×3, first 2 shown]
	s_and_saveexec_b64 s[2:3], s[0:1]
	s_cbranch_execz .LBB472_55
; %bb.54:
	v_mov_b32_e32 v21, 0
	v_lshl_add_u64 v[14:15], s[4:5], 0, v[20:21]
	v_lshlrev_b32_e32 v20, 1, v18
	v_lshl_add_u64 v[14:15], v[14:15], 0, v[20:21]
	global_load_dwordx4 v[14:17], v[14:15], off offset:128
.LBB472_55:
	s_or_b64 exec, exec, s[2:3]
	s_branch .LBB472_58
.LBB472_56:
                                        ; implicit-def: $vgpr5
                                        ; implicit-def: $vgpr9
                                        ; implicit-def: $vgpr13
                                        ; implicit-def: $vgpr17
	s_cbranch_execz .LBB472_58
; %bb.57:
	s_waitcnt vmcnt(0)
	v_lshlrev_b32_e32 v2, 1, v18
	v_lshl_or_b32 v18, v23, 9, v2
	s_and_b32 s5, s5, 0xffff
	s_mov_b32 s7, 0x20000
	s_movk_i32 s6, 0x4000
	s_movk_i32 s0, 0x80
	buffer_load_dwordx4 v[2:5], v18, s[4:7], 0 offen
	buffer_load_dwordx4 v[6:9], v18, s[4:7], 0 offen offset:256
	buffer_load_dwordx4 v[10:13], v18, s[4:7], s0 offen
	buffer_load_dwordx4 v[14:17], v18, s[4:7], s0 offen offset:256
.LBB472_58:
	ds_read_b64 v[20:21], v25 offset:32768
	v_add_u32_e32 v18, 0xb000, v24
	ds_read2_b64 v[32:35], v18 offset1:16
	ds_read_b64 v[40:41], v26 offset:32768
	ds_read_b64 v[26:27], v27 offset:32768
	;; [unrolled: 1-line block ×3, first 2 shown]
	v_and_b32_e32 v18, 6, v0
	v_xor_b32_e32 v23, v23, v18
	v_lshlrev_b32_e32 v23, 2, v23
	v_and_b32_e32 v0, 1, v0
	v_xor_b32_e32 v28, 0x440, v23
	v_cmp_eq_u32_e32 vcc, 0, v0
	s_waitcnt lgkmcnt(3)
	v_mfma_f32_16x16x16_bf16 a[0:3], v[20:21], v[32:33], a[0:3]
	s_mov_b32 s0, 0x1000504
	v_cndmask_b32_e32 v0, v28, v23, vcc
	v_lshl_or_b32 v0, v18, 10, v0
	v_mfma_f32_16x16x16_bf16 a[4:7], v[20:21], v[34:35], a[4:7]
	ds_read2st64_b64 v[32:35], v24 offset0:90 offset1:92
	ds_read2st64_b64 v[36:39], v29 offset0:90 offset1:92
	ds_read_b64 v[20:21], v24 offset:48128
	ds_read_b64 v[24:25], v29 offset:48128
	s_waitcnt vmcnt(0)
	v_perm_b32 v18, v2, v6, s0
	s_waitcnt lgkmcnt(3)
	v_mfma_f32_16x16x16_bf16 a[0:3], v[40:41], v[32:33], a[0:3]
	s_mov_b32 s1, 0x3020706
	v_perm_b32 v2, v2, v6, s1
	v_perm_b32 v6, v10, v14, s1
	s_waitcnt lgkmcnt(2)
	v_mfma_f32_16x16x16_bf16 a[4:7], v[40:41], v[36:37], a[4:7]
	v_mfma_f32_16x16x16_bf16 a[0:3], v[26:27], v[34:35], a[0:3]
	;; [unrolled: 1-line block ×3, first 2 shown]
	s_waitcnt lgkmcnt(1)
	v_mfma_f32_16x16x16_bf16 a[4:7], v[42:43], v[20:21], a[0:3]
	v_perm_b32 v20, v10, v14, s0
	ds_write2st64_b32 v0, v18, v20 offset0:32 offset1:64
	v_xor_b32_e32 v18, 8, v0
	v_add_u32_e32 v10, 0x80, v18
	ds_write2st64_b32 v10, v2, v6 offset0:32 offset1:64
	v_xor_b32_e32 v2, 16, v0
	v_perm_b32 v6, v3, v7, s0
	v_perm_b32 v10, v11, v15, s0
	ds_write2st64_b32 v2, v6, v10 offset0:33 offset1:65
	v_xor_b32_e32 v2, 24, v0
	v_perm_b32 v3, v3, v7, s1
	v_perm_b32 v6, v11, v15, s1
	v_add_u32_e32 v2, 0x80, v2
	ds_write2st64_b32 v2, v3, v6 offset0:33 offset1:65
	v_xor_b32_e32 v2, 32, v0
	v_perm_b32 v3, v4, v8, s0
	v_perm_b32 v6, v12, v16, s0
	ds_write2st64_b32 v2, v3, v6 offset0:34 offset1:66
	v_xor_b32_e32 v2, 40, v0
	s_waitcnt lgkmcnt(5)
	v_mfma_f32_16x16x16_bf16 a[0:3], v[42:43], v[24:25], a[8:11]
	v_perm_b32 v3, v4, v8, s1
	v_perm_b32 v4, v12, v16, s1
	v_add_u32_e32 v2, 0x80, v2
	ds_write2st64_b32 v2, v3, v4 offset0:34 offset1:66
	v_xor_b32_e32 v2, 48, v0
	v_perm_b32 v3, v5, v9, s0
	v_perm_b32 v4, v13, v17, s0
	ds_write2st64_b32 v2, v3, v4 offset0:35 offset1:67
	v_xor_b32_e32 v0, 56, v0
	v_perm_b32 v3, v13, v17, s1
	v_and_or_b32 v17, v30, 12, v1
	v_perm_b32 v2, v5, v9, s1
	v_add_u32_e32 v0, 0x80, v0
	v_cmp_gt_i32_e32 vcc, s40, v17
	v_mov_b32_e32 v14, 0
	v_mov_b32_e32 v16, 0
	ds_write2st64_b32 v0, v2, v3 offset0:35 offset1:67
	s_and_saveexec_b64 s[0:1], vcc
	s_cbranch_execz .LBB472_60
; %bb.59:
	v_add_u32_e32 v0, s34, v17
	v_ashrrev_i32_e32 v1, 31, v0
	v_mul_lo_u32 v2, v1, s28
	v_mul_lo_u32 v3, v0, s29
	v_mad_u64_u32 v[0:1], s[2:3], v0, s28, 0
	v_add3_u32 v1, v1, v3, v2
	v_lshl_add_u64 v[0:1], v[0:1], 2, s[10:11]
	global_load_dword v0, v[0:1], off
	s_waitcnt vmcnt(0)
	v_sub_f32_e32 v0, s12, v0
	v_mul_f32_e32 v0, 0x3fb8aa3b, v0
	v_exp_f32_e32 v16, v0
.LBB472_60:
	s_or_b64 exec, exec, s[0:1]
	v_or_b32_e32 v8, 1, v17
	v_cmp_gt_i32_e64 s[0:1], s40, v8
	s_and_saveexec_b64 s[2:3], s[0:1]
	s_cbranch_execz .LBB472_62
; %bb.61:
	v_add_u32_e32 v0, s34, v8
	v_ashrrev_i32_e32 v1, 31, v0
	v_mul_lo_u32 v2, v1, s28
	v_mul_lo_u32 v3, v0, s29
	v_mad_u64_u32 v[0:1], s[4:5], v0, s28, 0
	v_add3_u32 v1, v1, v3, v2
	v_lshl_add_u64 v[0:1], v[0:1], 2, s[10:11]
	global_load_dword v0, v[0:1], off
	s_waitcnt vmcnt(0)
	v_sub_f32_e32 v0, s12, v0
	v_mul_f32_e32 v0, 0x3fb8aa3b, v0
	v_exp_f32_e32 v14, v0
.LBB472_62:
	s_or_b64 exec, exec, s[2:3]
	v_or_b32_e32 v10, 2, v17
	v_cmp_gt_i32_e64 s[2:3], s40, v10
	v_mov_b32_e32 v15, 0
	v_mov_b32_e32 v18, 0
	s_and_saveexec_b64 s[4:5], s[2:3]
	s_cbranch_execz .LBB472_64
; %bb.63:
	v_add_u32_e32 v0, s34, v10
	v_ashrrev_i32_e32 v1, 31, v0
	v_mul_lo_u32 v2, v1, s28
	v_mul_lo_u32 v3, v0, s29
	v_mad_u64_u32 v[0:1], s[6:7], v0, s28, 0
	v_add3_u32 v1, v1, v3, v2
	v_lshl_add_u64 v[0:1], v[0:1], 2, s[10:11]
	global_load_dword v0, v[0:1], off
	s_waitcnt vmcnt(0)
	v_sub_f32_e32 v0, s12, v0
	v_mul_f32_e32 v0, 0x3fb8aa3b, v0
	v_exp_f32_e32 v18, v0
.LBB472_64:
	s_or_b64 exec, exec, s[4:5]
	v_or_b32_e32 v12, 3, v17
	v_cmp_gt_i32_e64 s[4:5], s40, v12
	s_and_saveexec_b64 s[6:7], s[4:5]
	s_cbranch_execz .LBB472_66
; %bb.65:
	v_add_u32_e32 v0, s34, v12
	v_ashrrev_i32_e32 v1, 31, v0
	v_mul_lo_u32 v2, v1, s28
	v_mul_lo_u32 v3, v0, s29
	v_mad_u64_u32 v[0:1], s[14:15], v0, s28, 0
	v_add3_u32 v1, v1, v3, v2
	v_lshl_add_u64 v[0:1], v[0:1], 2, s[10:11]
	global_load_dword v0, v[0:1], off
	s_waitcnt vmcnt(0)
	v_sub_f32_e32 v0, s12, v0
	v_mul_f32_e32 v0, 0x3fb8aa3b, v0
	v_exp_f32_e32 v15, v0
.LBB472_66:
	s_or_b64 exec, exec, s[6:7]
	v_or_b32_e32 v4, s30, v45
	s_add_u32 s6, s8, s24
	v_accvgpr_read_b32 v0, a4
	s_addc_u32 s7, s9, s25
	v_ashrrev_i32_e32 v5, 31, v4
	v_accvgpr_read_b32 v1, a5
	v_accvgpr_read_b32 v2, a6
	v_accvgpr_read_b32 v3, a7
	v_lshl_add_u64 v[4:5], v[4:5], 1, s[6:7]
	v_mov_b32_e32 v9, 0
	v_lshlrev_b32_e32 v6, 8, v17
	v_mov_b32_e32 v7, 0
	s_and_saveexec_b64 s[6:7], vcc
	s_cbranch_execz .LBB472_68
; %bb.67:
	v_mov_b32_e32 v7, 0
	v_lshl_add_u64 v[20:21], v[4:5], 0, v[6:7]
	global_load_ushort v7, v[20:21], off
	s_waitcnt vmcnt(0)
	v_lshlrev_b32_e32 v7, 16, v7
	v_sub_f32_e32 v0, v7, v0
	v_mul_f32_e32 v0, v16, v0
	v_lshrrev_b32_e32 v7, 16, v0
.LBB472_68:
	s_or_b64 exec, exec, s[6:7]
	v_lshlrev_b32_e32 v8, 8, v8
	s_and_saveexec_b64 s[6:7], s[0:1]
	s_cbranch_execz .LBB472_70
; %bb.69:
	v_mov_b32_e32 v9, 0
	v_lshl_add_u64 v[20:21], v[4:5], 0, v[8:9]
	global_load_ushort v0, v[20:21], off
	s_waitcnt vmcnt(0)
	v_lshlrev_b32_e32 v0, 16, v0
	v_sub_f32_e32 v0, v0, v1
	v_mul_f32_e32 v0, v14, v0
	v_lshrrev_b32_e32 v9, 16, v0
.LBB472_70:
	s_or_b64 exec, exec, s[6:7]
	v_mov_b32_e32 v13, 0
	v_lshlrev_b32_e32 v10, 8, v10
	v_mov_b32_e32 v11, 0
	s_and_saveexec_b64 s[6:7], s[2:3]
	s_cbranch_execz .LBB472_72
; %bb.71:
	v_mov_b32_e32 v11, 0
	v_lshl_add_u64 v[0:1], v[4:5], 0, v[10:11]
	global_load_ushort v0, v[0:1], off
	s_waitcnt vmcnt(0)
	v_lshlrev_b32_e32 v0, 16, v0
	v_sub_f32_e32 v0, v0, v2
	v_mul_f32_e32 v0, v18, v0
	v_lshrrev_b32_e32 v11, 16, v0
.LBB472_72:
	s_or_b64 exec, exec, s[6:7]
	v_lshlrev_b32_e32 v12, 8, v12
	s_and_saveexec_b64 s[6:7], s[4:5]
	s_cbranch_execz .LBB472_74
; %bb.73:
	v_mov_b32_e32 v13, 0
	v_lshl_add_u64 v[0:1], v[4:5], 0, v[12:13]
	global_load_ushort v0, v[0:1], off
	s_waitcnt vmcnt(0)
	v_lshlrev_b32_e32 v0, 16, v0
	v_sub_f32_e32 v0, v0, v3
	v_mul_f32_e32 v0, v15, v0
	v_lshrrev_b32_e32 v13, 16, v0
.LBB472_74:
	s_or_b64 exec, exec, s[6:7]
	v_lshlrev_b32_e32 v17, 5, v17
	s_mov_b32 s6, 0x5040100
	v_perm_b32 v20, v9, v7, s6
	v_or_b32_e32 v7, v17, v22
	v_accvgpr_read_b32 v0, a0
	v_perm_b32 v21, v13, v11, s6
	v_lshlrev_b32_e32 v7, 1, v7
	v_accvgpr_read_b32 v1, a1
	v_accvgpr_read_b32 v2, a2
	;; [unrolled: 1-line block ×3, first 2 shown]
	ds_write_b64 v7, v[20:21] offset:45056
	v_mov_b32_e32 v9, 0
	v_mov_b32_e32 v7, 0
	s_and_saveexec_b64 s[6:7], vcc
	s_cbranch_execz .LBB472_76
; %bb.75:
	v_mov_b32_e32 v7, 0
	v_lshl_add_u64 v[6:7], v[4:5], 0, v[6:7]
	global_load_ushort v6, v[6:7], off offset:32
	s_waitcnt vmcnt(0)
	v_lshlrev_b32_e32 v6, 16, v6
	v_sub_f32_e32 v0, v6, v0
	v_mul_f32_e32 v0, v16, v0
	v_lshrrev_b32_e32 v7, 16, v0
.LBB472_76:
	s_or_b64 exec, exec, s[6:7]
	s_and_saveexec_b64 s[6:7], s[0:1]
	s_cbranch_execz .LBB472_78
; %bb.77:
	v_mov_b32_e32 v9, 0
	v_lshl_add_u64 v[8:9], v[4:5], 0, v[8:9]
	global_load_ushort v0, v[8:9], off offset:32
	s_waitcnt vmcnt(0)
	v_lshlrev_b32_e32 v0, 16, v0
	v_sub_f32_e32 v0, v0, v1
	v_mul_f32_e32 v0, v14, v0
	v_lshrrev_b32_e32 v9, 16, v0
.LBB472_78:
	s_or_b64 exec, exec, s[6:7]
	v_mov_b32_e32 v0, 0
	v_mov_b32_e32 v1, 0
	s_and_saveexec_b64 s[0:1], s[2:3]
	s_cbranch_execz .LBB472_80
; %bb.79:
	v_mov_b32_e32 v11, 0
	v_lshl_add_u64 v[10:11], v[4:5], 0, v[10:11]
	global_load_ushort v1, v[10:11], off offset:32
	s_waitcnt vmcnt(0)
	v_lshlrev_b32_e32 v1, 16, v1
	v_sub_f32_e32 v1, v1, v2
	v_mul_f32_e32 v1, v18, v1
	v_lshrrev_b32_e32 v1, 16, v1
.LBB472_80:
	s_or_b64 exec, exec, s[0:1]
	s_and_saveexec_b64 s[0:1], s[4:5]
	s_cbranch_execz .LBB472_82
; %bb.81:
	v_mov_b32_e32 v13, 0
	v_lshl_add_u64 v[4:5], v[4:5], 0, v[12:13]
	global_load_ushort v0, v[4:5], off offset:32
	s_waitcnt vmcnt(0)
	v_lshlrev_b32_e32 v0, 16, v0
	v_sub_f32_e32 v0, v0, v3
	v_mul_f32_e32 v0, v15, v0
	v_lshrrev_b32_e32 v0, 16, v0
.LBB472_82:
	s_or_b64 exec, exec, s[0:1]
	s_mov_b32 s0, 0x5040100
	v_or_b32_e32 v2, v17, v19
	v_perm_b32 v1, v0, v1, s0
	v_perm_b32 v0, v9, v7, s0
	v_lshlrev_b32_e32 v2, 1, v2
	ds_write_b64 v2, v[0:1] offset:45056
	s_waitcnt lgkmcnt(0)
	s_barrier
.LBB472_83:
	s_endpgm
	.section	.rodata,"a",@progbits
	.p2align	6, 0x0
	.amdhsa_kernel _ZN12_GLOBAL__N_139chunk_gated_delta_rule_fwd_h_hip_kernelILi32ELb0ELb0ELb0ELb1ELb0ELb1ELb0ELb0EEEvPK12hip_bfloat16S3_S3_PKfS5_PKvPS1_S8_PvPKiSB_iiiiilll
		.amdhsa_group_segment_fixed_size 49152
		.amdhsa_private_segment_fixed_size 0
		.amdhsa_kernarg_size 136
		.amdhsa_user_sgpr_count 2
		.amdhsa_user_sgpr_dispatch_ptr 0
		.amdhsa_user_sgpr_queue_ptr 0
		.amdhsa_user_sgpr_kernarg_segment_ptr 1
		.amdhsa_user_sgpr_dispatch_id 0
		.amdhsa_user_sgpr_kernarg_preload_length 0
		.amdhsa_user_sgpr_kernarg_preload_offset 0
		.amdhsa_user_sgpr_private_segment_size 0
		.amdhsa_uses_dynamic_stack 0
		.amdhsa_enable_private_segment 0
		.amdhsa_system_sgpr_workgroup_id_x 1
		.amdhsa_system_sgpr_workgroup_id_y 1
		.amdhsa_system_sgpr_workgroup_id_z 0
		.amdhsa_system_sgpr_workgroup_info 0
		.amdhsa_system_vgpr_workitem_id 0
		.amdhsa_next_free_vgpr 164
		.amdhsa_next_free_sgpr 61
		.amdhsa_accum_offset 140
		.amdhsa_reserve_vcc 1
		.amdhsa_float_round_mode_32 0
		.amdhsa_float_round_mode_16_64 0
		.amdhsa_float_denorm_mode_32 3
		.amdhsa_float_denorm_mode_16_64 3
		.amdhsa_dx10_clamp 1
		.amdhsa_ieee_mode 1
		.amdhsa_fp16_overflow 0
		.amdhsa_tg_split 0
		.amdhsa_exception_fp_ieee_invalid_op 0
		.amdhsa_exception_fp_denorm_src 0
		.amdhsa_exception_fp_ieee_div_zero 0
		.amdhsa_exception_fp_ieee_overflow 0
		.amdhsa_exception_fp_ieee_underflow 0
		.amdhsa_exception_fp_ieee_inexact 0
		.amdhsa_exception_int_div_zero 0
	.end_amdhsa_kernel
	.section	.text._ZN12_GLOBAL__N_139chunk_gated_delta_rule_fwd_h_hip_kernelILi32ELb0ELb0ELb0ELb1ELb0ELb1ELb0ELb0EEEvPK12hip_bfloat16S3_S3_PKfS5_PKvPS1_S8_PvPKiSB_iiiiilll,"axG",@progbits,_ZN12_GLOBAL__N_139chunk_gated_delta_rule_fwd_h_hip_kernelILi32ELb0ELb0ELb0ELb1ELb0ELb1ELb0ELb0EEEvPK12hip_bfloat16S3_S3_PKfS5_PKvPS1_S8_PvPKiSB_iiiiilll,comdat
.Lfunc_end472:
	.size	_ZN12_GLOBAL__N_139chunk_gated_delta_rule_fwd_h_hip_kernelILi32ELb0ELb0ELb0ELb1ELb0ELb1ELb0ELb0EEEvPK12hip_bfloat16S3_S3_PKfS5_PKvPS1_S8_PvPKiSB_iiiiilll, .Lfunc_end472-_ZN12_GLOBAL__N_139chunk_gated_delta_rule_fwd_h_hip_kernelILi32ELb0ELb0ELb0ELb1ELb0ELb1ELb0ELb0EEEvPK12hip_bfloat16S3_S3_PKfS5_PKvPS1_S8_PvPKiSB_iiiiilll
                                        ; -- End function
	.section	.AMDGPU.csdata,"",@progbits
; Kernel info:
; codeLenInByte = 8600
; NumSgprs: 67
; NumVgprs: 140
; NumAgprs: 24
; TotalNumVgprs: 164
; ScratchSize: 0
; MemoryBound: 0
; FloatMode: 240
; IeeeMode: 1
; LDSByteSize: 49152 bytes/workgroup (compile time only)
; SGPRBlocks: 8
; VGPRBlocks: 20
; NumSGPRsForWavesPerEU: 67
; NumVGPRsForWavesPerEU: 164
; AccumOffset: 140
; Occupancy: 1
; WaveLimiterHint : 1
; COMPUTE_PGM_RSRC2:SCRATCH_EN: 0
; COMPUTE_PGM_RSRC2:USER_SGPR: 2
; COMPUTE_PGM_RSRC2:TRAP_HANDLER: 0
; COMPUTE_PGM_RSRC2:TGID_X_EN: 1
; COMPUTE_PGM_RSRC2:TGID_Y_EN: 1
; COMPUTE_PGM_RSRC2:TGID_Z_EN: 0
; COMPUTE_PGM_RSRC2:TIDIG_COMP_CNT: 0
; COMPUTE_PGM_RSRC3_GFX90A:ACCUM_OFFSET: 34
; COMPUTE_PGM_RSRC3_GFX90A:TG_SPLIT: 0
	.section	.text._ZN12_GLOBAL__N_139chunk_gated_delta_rule_fwd_h_hip_kernelILi32ELb1ELb1ELb1ELb0ELb0ELb1ELb0ELb0EEEvPK12hip_bfloat16S3_S3_PKfS5_PKvPS1_S8_PvPKiSB_iiiiilll,"axG",@progbits,_ZN12_GLOBAL__N_139chunk_gated_delta_rule_fwd_h_hip_kernelILi32ELb1ELb1ELb1ELb0ELb0ELb1ELb0ELb0EEEvPK12hip_bfloat16S3_S3_PKfS5_PKvPS1_S8_PvPKiSB_iiiiilll,comdat
	.globl	_ZN12_GLOBAL__N_139chunk_gated_delta_rule_fwd_h_hip_kernelILi32ELb1ELb1ELb1ELb0ELb0ELb1ELb0ELb0EEEvPK12hip_bfloat16S3_S3_PKfS5_PKvPS1_S8_PvPKiSB_iiiiilll ; -- Begin function _ZN12_GLOBAL__N_139chunk_gated_delta_rule_fwd_h_hip_kernelILi32ELb1ELb1ELb1ELb0ELb0ELb1ELb0ELb0EEEvPK12hip_bfloat16S3_S3_PKfS5_PKvPS1_S8_PvPKiSB_iiiiilll
	.p2align	8
	.type	_ZN12_GLOBAL__N_139chunk_gated_delta_rule_fwd_h_hip_kernelILi32ELb1ELb1ELb1ELb0ELb0ELb1ELb0ELb0EEEvPK12hip_bfloat16S3_S3_PKfS5_PKvPS1_S8_PvPKiSB_iiiiilll,@function
_ZN12_GLOBAL__N_139chunk_gated_delta_rule_fwd_h_hip_kernelILi32ELb1ELb1ELb1ELb0ELb0ELb1ELb0ELb0EEEvPK12hip_bfloat16S3_S3_PKfS5_PKvPS1_S8_PvPKiSB_iiiiilll: ; @_ZN12_GLOBAL__N_139chunk_gated_delta_rule_fwd_h_hip_kernelILi32ELb1ELb1ELb1ELb0ELb0ELb1ELb0ELb0EEEvPK12hip_bfloat16S3_S3_PKfS5_PKvPS1_S8_PvPKiSB_iiiiilll
; %bb.0:
	s_load_dwordx4 s[24:27], s[0:1], 0x5c
	s_abs_i32 s6, s3
	s_ashr_i32 s5, s3, 31
	v_and_b32_e32 v79, 15, v0
	v_bfe_u32 v78, v0, 4, 2
	s_waitcnt lgkmcnt(0)
	s_abs_i32 s4, s25
	v_cvt_f32_u32_e32 v1, s4
	s_sub_i32 s8, 0, s4
	s_ashr_i32 s7, s25, 31
	s_xor_b32 s5, s5, s7
	v_rcp_iflag_f32_e32 v1, v1
	v_mov_b32_e32 v63, 0
	v_lshlrev_b32_e32 v80, 3, v0
	v_mul_f32_e32 v1, 0x4f7ffffe, v1
	v_cvt_u32_f32_e32 v1, v1
	s_nop 0
	v_readfirstlane_b32 s9, v1
	s_mul_i32 s8, s8, s9
	s_mul_hi_u32 s8, s9, s8
	s_add_i32 s9, s9, s8
	s_mul_hi_u32 s8, s6, s9
	s_mul_i32 s9, s8, s4
	s_sub_i32 s6, s6, s9
	s_add_i32 s10, s8, 1
	s_sub_i32 s9, s6, s4
	s_cmp_ge_u32 s6, s4
	s_cselect_b32 s8, s10, s8
	s_cselect_b32 s6, s9, s6
	s_add_i32 s9, s8, 1
	s_cmp_ge_u32 s6, s4
	s_cselect_b32 s6, s9, s8
	s_xor_b32 s6, s6, s5
	s_sub_i32 s58, s6, s5
	s_mul_i32 s6, s58, s25
	s_sub_i32 s33, s3, s6
	s_abs_i32 s3, s26
	v_cvt_f32_u32_e32 v1, s3
	s_add_i32 s8, s24, 63
	s_ashr_i32 s9, s8, 31
	s_lshr_b32 s5, s9, 26
	v_rcp_iflag_f32_e32 v1, v1
	s_ashr_i32 s57, s24, 31
	s_add_i32 s8, s8, s5
	s_lshr_b32 s5, s57, 26
	v_mul_f32_e32 v1, 0x4f7ffffe, v1
	v_cvt_u32_f32_e32 v1, v1
	s_add_i32 s5, s24, s5
	s_ashr_i32 s60, s26, 31
	s_ashr_i32 s28, s8, 6
	;; [unrolled: 1-line block ×3, first 2 shown]
	s_xor_b32 s5, s7, s60
	s_sub_i32 s7, 0, s3
	v_readfirstlane_b32 s8, v1
	s_mul_i32 s7, s7, s8
	s_mul_hi_u32 s7, s8, s7
	s_add_i32 s8, s8, s7
	s_mul_hi_u32 s7, s4, s8
	s_mul_i32 s8, s7, s3
	s_sub_i32 s4, s4, s8
	s_lshl_b32 s2, s2, 5
	s_add_i32 s8, s7, 1
	s_sub_i32 s9, s4, s3
	s_cmp_ge_u32 s4, s3
	s_cselect_b32 s7, s8, s7
	s_cselect_b32 s4, s9, s4
	s_add_i32 s8, s7, 1
	s_cmp_ge_u32 s4, s3
	s_cselect_b32 s3, s8, s7
	s_xor_b32 s3, s3, s5
	s_sub_i32 s3, s3, s5
	s_abs_i32 s4, s3
	v_cvt_f32_u32_e32 v1, s4
	s_sub_i32 s7, 0, s4
	s_abs_i32 s5, s33
	s_xor_b32 s3, s33, s3
	v_rcp_iflag_f32_e32 v2, v1
	s_ashr_i32 s3, s3, 31
	s_load_dwordx8 s[8:15], s[0:1], 0x20
	v_lshrrev_b32_e32 v1, 6, v0
	v_mul_f32_e32 v2, 0x4f7ffffe, v2
	v_cvt_u32_f32_e32 v2, v2
	v_or_b32_e32 v68, s2, v79
	v_lshlrev_b32_e32 v61, 4, v1
	v_lshlrev_b32_e32 v66, 7, v68
	v_readfirstlane_b32 s16, v2
	s_mul_i32 s7, s7, s16
	s_mul_hi_u32 s7, s16, s7
	s_add_i32 s16, s16, s7
	s_mul_hi_u32 s7, s5, s16
	s_mul_i32 s16, s7, s4
	s_sub_i32 s5, s5, s16
	s_add_i32 s16, s7, 1
	s_sub_i32 s17, s5, s4
	s_cmp_ge_u32 s5, s4
	s_cselect_b32 s7, s16, s7
	s_cselect_b32 s5, s17, s5
	s_add_i32 s16, s7, 1
	s_cmp_ge_u32 s5, s4
	s_cselect_b32 s4, s16, s7
	s_xor_b32 s4, s4, s3
	s_sub_i32 s61, s4, s3
	s_ashr_i32 s3, s58, 31
	s_ashr_i32 s50, s33, 31
	s_mul_hi_i32 s4, s58, s25
	s_add_u32 s42, s6, s33
	s_addc_u32 s43, s4, s50
	s_lshl_b64 s[34:35], s[42:43], 16
	s_waitcnt lgkmcnt(0)
	s_add_u32 s4, s10, s34
	v_lshl_or_b32 v82, v78, 2, v61
	s_addc_u32 s5, s11, s35
	v_ashrrev_i32_e32 v67, 31, v66
	v_lshl_add_u64 v[2:3], v[66:67], 2, s[4:5]
	v_lshlrev_b32_e32 v62, 2, v82
	v_or_b32_e32 v64, 0x800, v66
	v_lshl_add_u64 v[10:11], v[2:3], 0, v[62:63]
	v_ashrrev_i32_e32 v65, 31, v64
	global_load_dwordx4 v[2:5], v[10:11], off
	global_load_dwordx4 v[6:9], v[10:11], off offset:256
	v_lshl_add_u64 v[10:11], v[64:65], 2, s[4:5]
	v_lshl_add_u64 v[10:11], v[10:11], 0, v[62:63]
	global_load_dwordx4 v[18:21], v[10:11], off
	global_load_dwordx4 v[22:25], v[10:11], off offset:256
	s_load_dwordx2 s[10:11], s[0:1], 0x40
	s_load_dwordx8 s[16:23], s[0:1], 0x0
	s_load_dwordx2 s[36:37], s[0:1], 0x80
	s_load_dwordx4 s[4:7], s[0:1], 0x70
	v_and_b32_e32 v63, 63, v0
	s_mul_i32 s51, s58, s24
	s_mul_i32 s62, s58, s28
	v_or_b32_e32 v83, 64, v82
	s_cmp_lt_i32 s24, 64
	v_lshrrev_b32_e32 v81, 3, v63
	s_mul_i32 s63, s43, s24
	s_mul_hi_u32 s64, s42, s24
	s_mul_i32 s44, s42, s24
	s_waitcnt lgkmcnt(0)
	s_mul_i32 s43, s58, s5
	s_mul_hi_u32 s53, s58, s4
	s_mul_i32 s54, s3, s4
	s_mul_i32 s38, s58, s4
	;; [unrolled: 1-line block ×3, first 2 shown]
	s_mul_hi_u32 s55, s33, s6
	s_mul_i32 s56, s50, s6
	s_mul_i32 s40, s33, s6
	s_cbranch_scc1 .LBB473_3
; %bb.1:
	s_add_i32 s45, s64, s63
	s_lshl_b64 s[0:1], s[44:45], 8
	v_and_b32_e32 v85, 56, v80
	s_add_u32 s4, s18, s0
	v_lshl_or_b32 v84, v1, 3, v81
	v_lshlrev_b32_e32 v10, 1, v85
	s_addc_u32 s0, s19, s1
	v_lshl_or_b32 v86, v84, 8, v10
	s_and_b32 s5, s0, 0xffff
	s_mov_b32 s7, 0x20000
	s_movk_i32 s6, 0x4000
	s_movk_i32 s0, 0x80
	v_or_b32_e32 v87, 0x2000, v86
	buffer_load_dwordx4 v[12:15], v86, s[4:7], 0 offen
	buffer_load_dwordx4 v[26:29], v86, s[4:7], s0 offen
	;; [unrolled: 1-line block ×4, first 2 shown]
	v_lshlrev_b32_e32 v11, 3, v84
	v_and_or_b32 v17, v0, 7, v11
	v_and_b32_e32 v11, 0x78, v11
	v_lshlrev_b32_e32 v17, 4, v17
	v_xor_b32_e32 v88, v17, v11
	v_mul_lo_u32 v16, v84, s27
	v_or_b32_e32 v89, 0x1000, v88
	v_xor_b32_e32 v11, 8, v88
	s_cmpk_eq_i32 s27, 0x80
	s_mov_b32 s65, s26
	v_xor_b32_e32 v17, 8, v89
	s_cselect_b64 s[0:1], -1, 0
	s_cmpk_lg_i32 s27, 0x80
	s_waitcnt vmcnt(3)
	ds_write_b64 v88, v[12:13] offset:24576
	ds_write_b64 v11, v[14:15] offset:24576
	s_waitcnt vmcnt(2)
	ds_write_b64 v88, v[26:27] offset:32768
	ds_write_b64 v11, v[28:29] offset:32768
	s_waitcnt vmcnt(1)
	ds_write_b64 v88, v[30:31] offset:28672
	ds_write_b64 v17, v[32:33] offset:24576
	s_waitcnt vmcnt(0)
	ds_write_b64 v88, v[34:35] offset:36864
	ds_write_b64 v17, v[36:37] offset:32768
	v_lshl_add_u32 v11, v16, 1, v85
	s_cbranch_scc0 .LBB473_4
; %bb.2:
	v_lshlrev_b32_e32 v13, 1, v11
	v_add_lshl_u32 v12, v11, s27, 1
	s_lshl_b32 s6, s27, 7
	v_lshl_or_b32 v10, v84, 9, v10
	s_cbranch_execz .LBB473_5
	s_branch .LBB473_6
.LBB473_3:
	s_waitcnt vmcnt(0)
	v_mov_b32_e32 v17, v25
	v_mov_b32_e32 v16, v24
	;; [unrolled: 1-line block ×5, first 2 shown]
	s_branch .LBB473_20
.LBB473_4:
                                        ; implicit-def: $vgpr12
                                        ; implicit-def: $vgpr13
                                        ; implicit-def: $sgpr6
	v_lshl_or_b32 v10, v84, 9, v10
.LBB473_5:
	v_or_b32_e32 v12, 0x100, v10
	s_movk_i32 s6, 0x4000
	v_mov_b32_e32 v13, v10
.LBB473_6:
	s_mul_hi_u32 s4, s26, s24
	s_mul_i32 s5, s60, s24
	s_add_i32 s4, s4, s5
	s_mul_i32 s5, s26, s24
	s_mul_i32 s7, s5, s3
	s_mul_hi_u32 s28, s5, s58
	s_add_i32 s7, s28, s7
	s_mul_i32 s4, s4, s58
	s_add_i32 s7, s7, s4
	s_mul_i32 s5, s5, s58
	s_ashr_i32 s66, s61, 31
	s_add_u32 s4, s5, s61
	s_addc_u32 s5, s7, s66
	s_lshl_b64 s[4:5], s[4:5], 8
	s_add_u32 s4, s16, s4
	s_addc_u32 s5, s17, s5
	s_and_b32 s5, s5, 0xffff
	s_mov_b32 s7, 0x20000
	s_movk_i32 s67, 0x80
	buffer_load_dwordx4 v[14:17], v13, s[4:7], 0 offen
	buffer_load_dwordx4 v[26:29], v13, s[4:7], s67 offen
	;; [unrolled: 1-line block ×4, first 2 shown]
	v_and_b32_e32 v12, 6, v0
	v_lshlrev_b32_e32 v39, 6, v82
	v_or_b32_e32 v41, 16, v79
	v_xor_b32_e32 v42, v84, v12
	v_and_b32_e32 v13, 1, v0
	s_mul_i32 s3, s3, s24
	s_mul_hi_u32 s4, s58, s24
	v_lshl_or_b32 v45, v79, 3, v39
	v_lshl_or_b32 v39, v41, 3, v39
	v_lshlrev_b32_e32 v42, 2, v42
	v_lshlrev_b32_e32 v38, 2, v79
	v_or_b32_e32 v92, 0xa000, v39
	v_or_b32_e32 v93, 0xb000, v39
	v_xor_b32_e32 v39, 0x440, v42
	v_cmp_eq_u32_e32 vcc, 0, v13
	s_add_i32 s71, s4, s3
	s_add_i32 s3, s53, s43
	v_xor_b32_e32 v43, v82, v38
	v_xor_b32_e32 v44, v83, v38
	v_cndmask_b32_e32 v13, v39, v42, vcc
	s_add_i32 s39, s3, s54
	s_add_i32 s3, s55, s52
	s_mov_b32 s69, 0x1000504
	v_lshlrev_b32_e32 v40, 8, v79
	v_lshlrev_b32_e32 v43, 1, v43
	;; [unrolled: 1-line block ×3, first 2 shown]
	v_lshl_or_b32 v12, v12, 10, v13
	s_add_i32 s41, s3, s56
	s_lshl_b64 s[4:5], s[38:39], 2
	s_mov_b32 s70, 0x3020706
	v_or_b32_e32 v90, 0xa000, v45
	v_or_b32_e32 v91, 0xb000, v45
	;; [unrolled: 1-line block ×4, first 2 shown]
	v_xor_b32_e32 v13, 8, v12
	v_xor_b32_e32 v40, 24, v12
	;; [unrolled: 1-line block ×4, first 2 shown]
	s_add_u32 s3, s22, s4
	v_xor_b32_e32 v39, 16, v12
	v_xor_b32_e32 v42, 32, v12
	;; [unrolled: 1-line block ×3, first 2 shown]
	v_add_u32_e32 v13, 0x80, v13
	v_add_u32_e32 v40, 0x80, v40
	;; [unrolled: 1-line block ×4, first 2 shown]
	s_addc_u32 s6, s23, s5
	s_lshl_b64 s[4:5], s[40:41], 2
	s_add_u32 s46, s3, s4
	s_movk_i32 s3, 0xf8
	s_addc_u32 s47, s6, s5
	s_lshl_b32 s30, s27, 7
	s_movk_i32 s28, 0x100
	v_mov_b32_e32 v71, 0
	v_lshlrev_b32_e32 v70, 4, v79
	v_cmp_gt_u32_e32 vcc, s28, v0
	v_ashrrev_i32_e32 v69, 31, v68
	v_lshlrev_b32_e32 v41, 8, v41
	s_mov_b32 s68, 0
	v_or_b32_e32 v96, v41, v43
	v_or_b32_e32 v97, v41, v44
	s_movk_i32 s39, 0x1000
	s_movk_i32 s6, 0x4000
	s_mov_b32 s41, 0x7060302
	v_mov_b32_e32 v120, 0x3fb8aa3b
	s_mov_b32 s73, 0
	s_waitcnt vmcnt(1)
	v_perm_b32 v48, v14, v30, s69
	s_waitcnt vmcnt(0)
	v_perm_b32 v49, v26, v34, s69
	v_perm_b32 v14, v14, v30, s70
	;; [unrolled: 1-line block ×15, first 2 shown]
	ds_write2st64_b32 v12, v48, v49 offset0:32 offset1:64
	ds_write2st64_b32 v13, v14, v26 offset0:32 offset1:64
	;; [unrolled: 1-line block ×8, first 2 shown]
	v_or_b32_e32 v12, v61, v79
	v_lshlrev_b32_e32 v12, 3, v12
	v_lshrrev_b32_e32 v15, 5, v63
	v_and_or_b32 v15, v12, s3, v15
	v_lshlrev_b32_e32 v15, 4, v15
	v_lshlrev_b32_e32 v17, 11, v1
	v_and_b32_e32 v12, 0x78, v12
	v_or_b32_e32 v28, 32, v15
	v_and_b32_e32 v14, 0x1000, v17
	v_lshrrev_b32_e32 v26, 1, v63
	v_xor_b32_e32 v28, v28, v12
	v_xor_b32_e32 v16, v15, v12
	v_and_b32_e32 v26, 8, v26
	v_or_b32_e32 v28, v28, v14
	v_or_b32_e32 v16, v16, v14
	v_lshlrev_b32_e32 v27, 7, v78
	v_xor_b32_e32 v100, v28, v26
	v_or_b32_e32 v28, 64, v15
	v_or_b32_e32 v15, 0x60, v15
	s_ashr_i32 s3, s2, 31
	v_xor_b32_e32 v98, v16, v26
	v_or_b32_e32 v16, v27, v38
	v_xor_b32_e32 v28, v28, v12
	v_xor_b32_e32 v12, v15, v12
	s_lshl_b64 s[4:5], s[2:3], 8
	v_lshlrev_b32_e32 v16, 1, v16
	v_or_b32_e32 v28, v28, v14
	v_or_b32_e32 v12, v12, v14
	s_add_u32 s4, s12, s4
	v_lshlrev_b32_e32 v14, 1, v79
	v_or_b32_e32 v99, 0xa000, v16
	v_or_b32_e32 v101, 0xa080, v16
	;; [unrolled: 1-line block ×4, first 2 shown]
	v_lshrrev_b32_e32 v16, 4, v0
	s_addc_u32 s5, s13, s5
	v_or_b32_e32 v15, 1, v14
	v_mov_b32_e32 v33, 0x4000
	v_mov_b32_e32 v34, 0x2000
	v_lshrrev_b32_e32 v35, 1, v0
	v_xor_b32_e32 v102, v28, v26
	v_xor_b32_e32 v103, v12, v26
	;; [unrolled: 1-line block ×4, first 2 shown]
	v_lshl_add_u64 v[14:15], s[4:5], 0, v[70:71]
	v_lshlrev_b32_e32 v70, 8, v16
	v_cndmask_b32_e32 v33, v33, v34, vcc
	v_lshlrev_b32_e32 v34, 3, v1
	v_and_b32_e32 v35, 24, v35
	v_lshl_or_b32 v106, v26, 3, v70
	v_and_b32_e32 v26, 8, v0
	v_xor_b32_e32 v36, v34, v35
	v_or_b32_e32 v37, 0x440, v36
	v_cmp_eq_u32_e32 vcc, 0, v26
	v_and_b32_e32 v16, 7, v0
	v_lshl_or_b32 v107, v30, 3, v70
	v_cndmask_b32_e32 v26, v37, v36, vcc
	v_lshlrev_b32_e32 v30, 3, v16
	v_lshlrev_b32_e32 v32, 2, v0
	v_or_b32_e32 v26, v26, v17
	v_xor_b32_e32 v36, v26, v30
	v_and_or_b32 v26, v32, 60, v27
	v_mov_b32_e32 v27, 0xb000
	v_lshl_or_b32 v108, v26, 1, v27
	v_or_b32_e32 v26, 32, v35
	v_xor_b32_e32 v26, v34, v26
	v_or_b32_e32 v27, 0x440, v26
	v_cndmask_b32_e32 v26, v27, v26, vcc
	v_or_b32_e32 v26, v26, v17
	v_xor_b32_e32 v27, v26, v30
	v_or_b32_e32 v26, 64, v35
	v_xor_b32_e32 v26, v34, v26
	v_xor_b32_e32 v38, 0x440, v26
	v_cndmask_b32_e32 v26, v38, v26, vcc
	v_or_b32_e32 v26, v26, v17
	v_xor_b32_e32 v38, v26, v30
	v_or_b32_e32 v26, 0x60, v35
	v_xor_b32_e32 v26, v34, v26
	v_xor_b32_e32 v34, 0x440, v26
	v_cndmask_b32_e32 v26, v34, v26, vcc
	v_lshrrev_b32_e32 v13, 2, v63
	v_or_b32_e32 v17, v26, v17
	v_and_b32_e32 v13, 12, v13
	v_lshlrev_b32_e32 v28, 1, v11
	v_add_lshl_u32 v11, v11, s27, 1
	v_or_b32_e32 v29, 0x100, v10
	v_xor_b32_e32 v17, v17, v30
	v_lshlrev_b32_e32 v12, 7, v82
	v_lshlrev_b32_e32 v31, 7, v16
	v_or_b32_e32 v16, v13, v61
	v_add_u32_e32 v37, v33, v36
	v_add_u32_e32 v32, v33, v27
	;; [unrolled: 1-line block ×4, first 2 shown]
	v_or3_b32 v26, v61, v13, 64
	v_add_u32_e32 v13, 0x4000, v36
	v_add_u32_e32 v27, 0x4000, v27
	;; [unrolled: 1-line block ×4, first 2 shown]
	v_cndmask_b32_e64 v109, v28, v10, s[0:1]
	v_cndmask_b32_e64 v110, v11, v29, s[0:1]
	v_lshlrev_b64 v[10:11], 1, v[68:69]
	v_lshl_add_u64 v[72:73], s[20:21], 0, v[10:11]
	v_lshl_add_u64 v[74:75], s[14:15], 0, v[10:11]
	;; [unrolled: 1-line block ×3, first 2 shown]
	s_add_i32 s3, s51, 63
	v_lshlrev_b32_e32 v70, 1, v12
	v_lshlrev_b32_e32 v69, 2, v16
	v_add_u32_e32 v111, v37, v31
	v_add_u32_e32 v112, v32, v31
	;; [unrolled: 1-line block ×4, first 2 shown]
	v_lshlrev_b32_e32 v115, 2, v26
	v_add_u32_e32 v116, v13, v31
	v_add_u32_e32 v117, v27, v31
	;; [unrolled: 1-line block ×4, first 2 shown]
	s_waitcnt lgkmcnt(0)
	s_barrier
.LBB473_7:                              ; =>This Inner Loop Header: Depth=1
	s_add_i32 s72, s73, 1
	s_cmp_lt_i32 s72, s59
	s_mov_b64 s[28:29], 0
	s_cselect_b64 s[48:49], -1, 0
	s_cmp_ge_i32 s72, s59
	s_mov_b64 s[4:5], 0
	s_cbranch_scc1 .LBB473_9
; %bb.8:                                ;   in Loop: Header=BB473_7 Depth=1
	s_add_i32 s0, s68, 64
	s_add_u32 s0, s44, s0
	s_addc_u32 s1, s45, 0
	s_lshl_b64 s[0:1], s[0:1], 8
	s_add_u32 s4, s18, s0
	s_addc_u32 s5, s19, s1
.LBB473_9:                              ;   in Loop: Header=BB473_7 Depth=1
	v_cndmask_b32_e64 v10, 0, 1, s[48:49]
	v_cmp_ne_u32_e64 s[0:1], 1, v10
	s_andn2_b64 vcc, exec, s[48:49]
	s_cbranch_vccnz .LBB473_11
; %bb.10:                               ;   in Loop: Header=BB473_7 Depth=1
	s_add_i32 s28, s68, 64
	s_add_u32 s28, s51, s28
	s_addc_u32 s29, s71, 0
	s_mul_i32 s31, s28, s60
	s_mul_hi_u32 s48, s28, s65
	s_add_i32 s31, s48, s31
	s_mul_i32 s29, s29, s65
	s_add_i32 s31, s31, s29
	s_mul_i32 s28, s28, s65
	s_add_u32 s28, s28, s61
	s_addc_u32 s29, s31, s66
	s_lshl_b64 s[28:29], s[28:29], 8
	s_add_u32 s28, s16, s28
	s_addc_u32 s29, s17, s29
.LBB473_11:                             ;   in Loop: Header=BB473_7 Depth=1
	v_perm_b32 v11, v5, v4, s41
	v_perm_b32 v10, v3, v2, s41
	;; [unrolled: 1-line block ×4, first 2 shown]
	ds_write_b64 v90, v[10:11]
	ds_write_b64 v91, v[12:13]
	;; [unrolled: 1-line block ×4, first 2 shown]
	v_perm_b32 v11, v21, v20, s41
	v_perm_b32 v10, v19, v18, s41
	;; [unrolled: 1-line block ×4, first 2 shown]
	ds_write_b64 v92, v[10:11]
	ds_write_b64 v93, v[12:13]
	;; [unrolled: 1-line block ×4, first 2 shown]
	s_waitcnt lgkmcnt(0)
	s_barrier
	ds_read_b64 v[14:15], v98 offset:24576
	ds_read2_b64 v[10:13], v99 offset1:16
	ds_read_b64 v[26:27], v101 offset:3072
	ds_read_b64 v[28:29], v99 offset:3072
	;; [unrolled: 1-line block ×3, first 2 shown]
	s_waitcnt lgkmcnt(3)
	v_mfma_f32_16x16x16_bf16 a[0:3], v[14:15], v[10:11], 0
	s_add_i32 s31, s68, 63
	s_mul_i32 s48, s31, s37
	s_mul_hi_u32 s49, s31, s36
	v_mfma_f32_16x16x16_bf16 a[4:7], v[14:15], v[12:13], 0
	ds_read2st64_b64 v[10:13], v99 offset0:2 offset1:4
	ds_read2st64_b64 v[14:17], v101 offset0:2 offset1:4
	s_add_i32 s49, s49, s48
	s_waitcnt lgkmcnt(1)
	v_mfma_f32_16x16x16_bf16 a[0:3], v[30:31], v[10:11], a[0:3]
	s_mul_i32 s48, s31, s36
	s_lshl_b64 s[48:49], s[48:49], 2
	s_add_u32 s48, s46, s48
	s_waitcnt lgkmcnt(0)
	v_mfma_f32_16x16x16_bf16 a[4:7], v[30:31], v[14:15], a[4:7]
	ds_read_b64 v[10:11], v102 offset:24576
	ds_read_b64 v[14:15], v103 offset:24576
	s_addc_u32 s49, s47, s49
	s_and_b64 vcc, exec, s[0:1]
	s_waitcnt lgkmcnt(1)
	v_mfma_f32_16x16x16_bf16 a[0:3], v[10:11], v[12:13], a[0:3]
	v_mov_b32_e32 v123, 0
	v_mov_b32_e32 v122, 0
	;; [unrolled: 1-line block ×3, first 2 shown]
	v_mfma_f32_16x16x16_bf16 a[8:11], v[10:11], v[16:17], a[4:7]
	v_mov_b32_e32 v10, 0
	v_mov_b32_e32 v11, 0
	;; [unrolled: 1-line block ×3, first 2 shown]
	s_waitcnt lgkmcnt(0)
	v_mfma_f32_16x16x16_bf16 a[4:7], v[14:15], v[28:29], a[0:3]
	v_mov_b32_e32 v13, 0
	v_mov_b32_e32 v16, 0
	;; [unrolled: 1-line block ×3, first 2 shown]
	v_mfma_f32_16x16x16_bf16 a[0:3], v[14:15], v[26:27], a[8:11]
	v_mov_b32_e32 v14, 0
	v_mov_b32_e32 v15, 0
	;; [unrolled: 1-line block ×10, first 2 shown]
	s_cbranch_vccnz .LBB473_13
; %bb.12:                               ;   in Loop: Header=BB473_7 Depth=1
	s_and_b32 s5, s5, 0xffff
	buffer_load_dwordx4 v[30:33], v86, s[4:7], 0 offen
	buffer_load_dwordx4 v[26:29], v86, s[4:7], s67 offen
	buffer_load_dwordx4 v[14:17], v87, s[4:7], 0 offen
	buffer_load_dwordx4 v[10:13], v87, s[4:7], s67 offen
	v_mov_b32_e32 v122, v88
	v_mov_b32_e32 v121, v89
.LBB473_13:                             ;   in Loop: Header=BB473_7 Depth=1
	ds_read_b64 v[42:43], v98 offset:32768
	ds_read2_b64 v[34:37], v104 offset1:16
	ds_read_b64 v[44:45], v100 offset:32768
	ds_read_b64 v[46:47], v102 offset:32768
	;; [unrolled: 1-line block ×3, first 2 shown]
	v_add_u32_e32 v50, s68, v82
	s_waitcnt lgkmcnt(3)
	v_mfma_f32_16x16x16_bf16 a[4:7], v[42:43], v[34:35], a[4:7]
	v_ashrrev_i32_e32 v34, 31, v50
	ds_read2st64_b64 v[38:41], v104 offset0:2 offset1:4
	v_mfma_f32_16x16x16_bf16 a[0:3], v[42:43], v[36:37], a[0:3]
	v_mul_lo_u32 v36, v34, s36
	v_mul_lo_u32 v37, v50, s37
	v_mad_u64_u32 v[34:35], s[4:5], v50, s36, 0
	v_add3_u32 v35, v35, v37, v36
	v_add_u32_e32 v36, 1, v50
	v_ashrrev_i32_e32 v37, 31, v36
	v_mul_lo_u32 v42, v37, s36
	v_mul_lo_u32 v43, v36, s37
	v_mad_u64_u32 v[36:37], s[4:5], v36, s36, 0
	v_add3_u32 v37, v37, v43, v42
	v_add_u32_e32 v42, 2, v50
	v_ashrrev_i32_e32 v43, 31, v42
	v_mul_lo_u32 v51, v43, s36
	v_mul_lo_u32 v52, v42, s37
	v_mad_u64_u32 v[42:43], s[4:5], v42, s36, 0
	v_add_u32_e32 v50, 3, v50
	v_add3_u32 v43, v43, v52, v51
	v_ashrrev_i32_e32 v51, 31, v50
	v_mul_lo_u32 v52, v51, s36
	v_mul_lo_u32 v53, v50, s37
	v_mad_u64_u32 v[50:51], s[4:5], v50, s36, 0
	s_add_u32 s4, s44, s68
	s_addc_u32 s5, s45, 0
	s_lshl_b64 s[74:75], s[4:5], 8
	v_lshl_add_u64 v[34:35], v[34:35], 2, s[46:47]
	v_lshl_add_u64 v[36:37], v[36:37], 2, s[46:47]
	v_add3_u32 v51, v51, v53, v52
	v_lshl_add_u64 v[52:53], v[72:73], 0, s[74:75]
	v_lshl_add_u64 v[42:43], v[42:43], 2, s[46:47]
	;; [unrolled: 1-line block ×3, first 2 shown]
	global_load_dword v54, v[34:35], off
	global_load_ushort v55, v[52:53], off offset:256
	global_load_ushort v56, v[52:53], off
	v_lshl_add_u64 v[34:35], v[50:51], 2, s[46:47]
	global_load_dword v50, v[36:37], off
	global_load_dword v51, v[42:43], off
	;; [unrolled: 1-line block ×3, first 2 shown]
	ds_read2st64_b64 v[34:37], v105 offset0:2 offset1:4
	global_load_ushort v58, v[52:53], off offset:768
	global_load_ushort v59, v[52:53], off offset:512
	;; [unrolled: 1-line block ×5, first 2 shown]
	s_nop 0
	global_load_ushort v52, v[52:53], off offset:32
	s_waitcnt lgkmcnt(1)
	v_mfma_f32_16x16x16_bf16 a[4:7], v[44:45], v[38:39], a[4:7]
	s_and_b64 vcc, exec, s[0:1]
	s_waitcnt vmcnt(10)
	v_lshlrev_b32_e32 v43, 16, v55
	s_waitcnt lgkmcnt(0)
	v_mfma_f32_16x16x16_bf16 a[0:3], v[44:45], v[34:35], a[0:3]
	s_waitcnt vmcnt(9)
	v_lshlrev_b32_e32 v42, 16, v56
	v_mfma_f32_16x16x16_bf16 a[4:7], v[46:47], v[40:41], a[4:7]
	v_mfma_f32_16x16x16_bf16 a[0:3], v[46:47], v[36:37], a[0:3]
	ds_read_b64 v[34:35], v104 offset:3072
	ds_read_b64 v[36:37], v105 offset:3072
	s_load_dword s4, s[48:49], 0x0
	s_waitcnt lgkmcnt(0)
	v_sub_f32_e32 v44, s4, v54
	v_mfma_f32_16x16x16_bf16 a[4:7], v[48:49], v[34:35], a[4:7]
	v_mul_f32_e32 v44, 0x3fb8aa3b, v44
	s_waitcnt vmcnt(8)
	v_sub_f32_e32 v45, s4, v50
	s_waitcnt vmcnt(7)
	v_sub_f32_e32 v46, s4, v51
	;; [unrolled: 2-line block ×3, first 2 shown]
	v_mfma_f32_16x16x16_bf16 a[0:3], v[48:49], v[36:37], a[0:3]
	v_lshl_add_u64 v[34:35], v[74:75], 0, s[74:75]
	v_lshl_add_u64 v[34:35], v[34:35], 0, v[70:71]
	v_accvgpr_read_b32 v41, a5
	v_accvgpr_read_b32 v40, a4
	v_pk_add_f32 v[40:41], v[42:43], v[40:41] neg_lo:[0,1] neg_hi:[0,1]
	v_exp_f32_e32 v42, v44
	v_mul_f32_e32 v43, 0x3fb8aa3b, v45
	v_mul_f32_e32 v44, 0x3fb8aa3b, v46
	;; [unrolled: 1-line block ×3, first 2 shown]
	v_exp_f32_e32 v43, v43
	v_exp_f32_e32 v44, v44
	;; [unrolled: 1-line block ×3, first 2 shown]
	v_accvgpr_read_b32 v37, a7
	v_accvgpr_read_b32 v36, a6
	s_waitcnt vmcnt(5)
	v_lshlrev_b32_e32 v47, 16, v58
	s_waitcnt vmcnt(4)
	v_lshlrev_b32_e32 v46, 16, v59
	v_pk_add_f32 v[36:37], v[46:47], v[36:37] neg_lo:[0,1] neg_hi:[0,1]
	global_store_short_d16_hi v[34:35], v40, off
	global_store_short_d16_hi v[34:35], v41, off offset:256
	global_store_short_d16_hi v[34:35], v36, off offset:512
	;; [unrolled: 1-line block ×3, first 2 shown]
	v_pk_mul_f32 v[40:41], v[42:43], v[40:41]
	v_pk_mul_f32 v[36:37], v[44:45], v[36:37]
	v_accvgpr_read_b32 v47, a1
	v_perm_b32 v37, v37, v36, s41
	v_perm_b32 v36, v41, v40, s41
	s_waitcnt vmcnt(5)
	v_lshlrev_b32_e32 v41, 16, v125
	s_waitcnt vmcnt(4)
	v_lshlrev_b32_e32 v40, 16, v52
	v_accvgpr_read_b32 v46, a0
	v_accvgpr_read_b32 v39, a3
	;; [unrolled: 1-line block ×3, first 2 shown]
	v_pk_add_f32 v[40:41], v[40:41], v[46:47] neg_lo:[0,1] neg_hi:[0,1]
	v_lshlrev_b32_e32 v47, 16, v60
	v_lshlrev_b32_e32 v46, 16, v124
	v_pk_add_f32 v[38:39], v[46:47], v[38:39] neg_lo:[0,1] neg_hi:[0,1]
	global_store_short_d16_hi v[34:35], v40, off offset:32
	global_store_short_d16_hi v[34:35], v41, off offset:288
	;; [unrolled: 1-line block ×4, first 2 shown]
	v_pk_mul_f32 v[34:35], v[42:43], v[40:41]
	v_pk_mul_f32 v[38:39], v[44:45], v[38:39]
	v_mov_b32_e32 v124, 0
	v_perm_b32 v39, v39, v38, s41
	v_perm_b32 v38, v35, v34, s41
	ds_write2_b64 v91, v[36:37], v[38:39] offset1:16
	v_mov_b32_e32 v34, 0
	v_mov_b32_e32 v35, 0
	;; [unrolled: 1-line block ×16, first 2 shown]
	s_cbranch_vccnz .LBB473_15
; %bb.14:                               ;   in Loop: Header=BB473_7 Depth=1
	s_and_b32 s29, s29, 0xffff
	s_mov_b32 s31, s7
	buffer_load_dwordx4 v[46:49], v109, s[28:31], 0 offen
	buffer_load_dwordx4 v[38:41], v109, s[28:31], s67 offen
	;; [unrolled: 1-line block ×4, first 2 shown]
	v_mov_b32_e32 v123, v85
	v_mov_b32_e32 v124, v84
.LBB473_15:                             ;   in Loop: Header=BB473_7 Depth=1
	s_waitcnt lgkmcnt(0)
	s_barrier
	ds_read_b64 v[54:55], v111
	ds_read_b64 v[130:131], v108
	;; [unrolled: 1-line block ×5, first 2 shown]
	ds_read_b64 v[144:145], v105 offset:3072
	ds_read2_b64 v[50:53], v104 offset0:16 offset1:128
	s_waitcnt lgkmcnt(5)
	v_mfma_f32_16x16x16_bf16 a[0:3], v[54:55], v[130:131], 0
	ds_read2st64_b64 v[56:59], v105 offset0:2 offset1:4
	s_add_i32 s5, s62, s73
	s_mul_hi_i32 s29, s5, s25
	s_waitcnt lgkmcnt(1)
	v_mfma_f32_16x16x16_bf16 a[4:7], v[54:55], v[50:51], 0
	ds_read_b64 v[54:55], v116
	s_mul_i32 s5, s5, s25
	s_add_u32 s28, s5, s33
	s_waitcnt lgkmcnt(1)
	v_mfma_f32_16x16x16_bf16 a[4:7], v[132:133], v[56:57], a[4:7]
	s_addc_u32 s29, s29, s50
	s_add_i32 s5, s3, s68
	s_lshl_b64 s[28:29], s[28:29], 15
	s_mul_hi_i32 s31, s5, s25
	s_mul_i32 s5, s5, s25
	s_add_u32 s48, s5, s33
	v_mfma_f32_16x16x16_bf16 a[8:11], v[134:135], v[58:59], a[4:7]
	s_addc_u32 s49, s31, s50
	ds_read2st64_b64 v[126:129], v104 offset0:4 offset1:6
	s_lshl_b64 s[48:49], s[48:49], 9
	s_waitcnt lgkmcnt(1)
	v_mfma_f32_16x16x16_bf16 a[4:7], v[54:55], v[130:131], 0
	s_add_u32 s48, s8, s48
	s_addc_u32 s49, s9, s49
	v_mfma_f32_16x16x16_bf16 a[0:3], v[132:133], v[52:53], a[0:3]
	ds_read_b64 v[132:133], v117
	ds_read_b64 v[140:141], v118
	;; [unrolled: 1-line block ×3, first 2 shown]
	v_mfma_f32_16x16x16_bf16 a[12:15], v[54:55], v[50:51], 0
	s_waitcnt lgkmcnt(2)
	v_mfma_f32_16x16x16_bf16 a[4:7], v[132:133], v[52:53], a[4:7]
	global_load_dwordx4 v[50:53], v115, s[48:49]
	v_mfma_f32_16x16x16_bf16 a[12:15], v[132:133], v[56:57], a[12:15]
	global_load_dwordx4 v[54:57], v69, s[48:49]
	ds_read2st64_b64 v[130:133], v106 offset1:8
	s_waitcnt lgkmcnt(0)
	v_mov_b32_e32 v138, v130
	v_mfma_f32_16x16x16_bf16 a[0:3], v[134:135], v[126:127], a[0:3]
	ds_read2st64_b64 v[134:137], v107 offset1:8
	v_mov_b32_e32 v139, v131
	v_mfma_f32_16x16x16_bf16 a[16:19], v[140:141], v[126:127], a[4:7]
	v_lshl_add_u64 v[126:127], v[76:77], 0, s[28:29]
	v_mfma_f32_16x16x16_bf16 a[20:23], v[140:141], v[58:59], a[12:15]
	v_add_co_u32_e32 v58, vcc, s39, v126
	s_waitcnt lgkmcnt(0)
	v_mov_b32_e32 v140, v134
	v_mfma_f32_16x16x16_bf16 a[4:7], v[142:143], v[128:129], a[0:3]
	v_mov_b32_e32 v141, v135
	v_mov_b32_e32 v134, v132
	;; [unrolled: 1-line block ×3, first 2 shown]
	v_mfma_f32_16x16x16_bf16 a[8:11], v[142:143], v[144:145], a[8:11]
	v_addc_co_u32_e32 v59, vcc, 0, v127, vcc
	global_store_dwordx4 v[58:59], v[134:137], off
	v_mfma_f32_16x16x16_bf16 a[12:15], v[146:147], v[128:129], a[16:19]
	s_and_b64 vcc, exec, s[0:1]
	global_store_dwordx4 v[126:127], v[138:141], off
	s_waitcnt vmcnt(3)
	v_mov_b32_e32 v60, v53
	v_mfma_f32_16x16x16_bf16 a[0:3], v[146:147], v[144:145], a[20:23]
	v_mov_b32_e32 v59, v52
	v_mov_b32_e32 v58, v51
	s_cbranch_vccnz .LBB473_17
; %bb.16:                               ;   in Loop: Header=BB473_7 Depth=1
	v_lshrrev_b32_e32 v51, 3, v123
	v_and_b32_e32 v51, 6, v51
	v_xor_b32_e32 v52, v51, v124
	v_lshlrev_b32_e32 v52, 2, v52
	v_and_b32_e32 v53, 8, v123
	v_xor_b32_e32 v123, 0x440, v52
	v_cmp_eq_u32_e32 vcc, 0, v53
	v_perm_b32 v53, v38, v34, s69
	s_nop 0
	v_cndmask_b32_e32 v52, v123, v52, vcc
	v_lshl_or_b32 v51, v51, 10, v52
	v_perm_b32 v52, v46, v42, s69
	s_barrier
	ds_write2st64_b32 v51, v52, v53 offset0:32 offset1:64
	v_xor_b32_e32 v52, 8, v51
	v_perm_b32 v42, v46, v42, s70
	v_perm_b32 v34, v38, v34, s70
	v_add_u32_e32 v38, 0x80, v52
	ds_write2st64_b32 v38, v42, v34 offset0:32 offset1:64
	v_xor_b32_e32 v34, 16, v51
	v_perm_b32 v38, v47, v43, s69
	v_perm_b32 v42, v39, v35, s69
	ds_write2st64_b32 v34, v38, v42 offset0:33 offset1:65
	v_xor_b32_e32 v34, 24, v51
	v_perm_b32 v38, v47, v43, s70
	v_perm_b32 v35, v39, v35, s70
	v_add_u32_e32 v34, 0x80, v34
	ds_write2st64_b32 v34, v38, v35 offset0:33 offset1:65
	v_xor_b32_e32 v34, 32, v51
	v_perm_b32 v35, v48, v44, s69
	v_perm_b32 v38, v40, v36, s69
	;; [unrolled: 9-line block ×3, first 2 shown]
	ds_write2st64_b32 v34, v35, v36 offset0:35 offset1:67
	v_xor_b32_e32 v34, 56, v51
	v_perm_b32 v35, v49, v45, s70
	v_perm_b32 v36, v41, v37, s70
	v_add_u32_e32 v34, 0x80, v34
	ds_write2st64_b32 v34, v35, v36 offset0:35 offset1:67
	ds_write_b64 v122, v[30:31] offset:24576
	v_xor_b32_e32 v30, 8, v122
	ds_write_b64 v30, v[32:33] offset:24576
	ds_write_b64 v122, v[26:27] offset:32768
	;; [unrolled: 1-line block ×4, first 2 shown]
	v_xor_b32_e32 v14, 8, v121
	ds_write_b64 v14, v[16:17] offset:24576
	ds_write_b64 v121, v[10:11] offset:32768
	;; [unrolled: 1-line block ×3, first 2 shown]
.LBB473_17:                             ;   in Loop: Header=BB473_7 Depth=1
	v_mul_f32_e32 v14, s4, v120
	v_exp_f32_e32 v34, v14
	s_waitcnt vmcnt(2)
	v_mul_f32_e32 v14, 0x3fb8aa3b, v54
	v_exp_f32_e32 v36, v14
	v_mul_f32_e32 v14, 0x3fb8aa3b, v55
	v_exp_f32_e32 v37, v14
	;; [unrolled: 2-line block ×4, first 2 shown]
	v_accvgpr_read_b32 v29, a7
	v_accvgpr_read_b32 v27, a5
	;; [unrolled: 1-line block ×4, first 2 shown]
	v_pk_mul_f32 v[36:37], v[34:35], v[36:37] op_sel_hi:[0,1]
	v_accvgpr_read_b32 v12, a10
	v_pk_fma_f32 v[2:3], v[2:3], v[36:37], v[26:27]
	v_pk_mul_f32 v[26:27], v[34:35], v[38:39] op_sel_hi:[0,1]
	v_accvgpr_read_b32 v28, a6
	v_accvgpr_read_b32 v11, a9
	;; [unrolled: 1-line block ×3, first 2 shown]
	v_fma_f32 v20, v20, v26, v12
	v_mul_f32_e32 v12, 0x3fb8aa3b, v59
	v_pk_fma_f32 v[4:5], v[4:5], v[26:27], v[28:29]
	v_fma_f32 v18, v18, v36, v10
	v_fma_f32 v19, v19, v37, v11
	v_mul_f32_e32 v10, 0x3fb8aa3b, v50
	v_mul_f32_e32 v11, 0x3fb8aa3b, v58
	v_exp_f32_e32 v28, v12
	v_mul_f32_e32 v12, 0x3fb8aa3b, v60
	v_exp_f32_e32 v10, v10
	v_exp_f32_e32 v11, v11
	;; [unrolled: 1-line block ×3, first 2 shown]
	v_accvgpr_read_b32 v33, a15
	v_accvgpr_read_b32 v17, a3
	;; [unrolled: 1-line block ×8, first 2 shown]
	v_fmac_f32_e32 v13, v21, v27
	v_pk_mul_f32 v[10:11], v[34:35], v[10:11] op_sel_hi:[0,1]
	v_pk_mul_f32 v[26:27], v[34:35], v[28:29] op_sel_hi:[0,1]
	s_add_i32 s68, s68, 64
	v_pk_fma_f32 v[6:7], v[6:7], v[10:11], v[30:31]
	v_pk_fma_f32 v[8:9], v[8:9], v[26:27], v[32:33]
	v_fma_f32 v22, v22, v10, v14
	v_fma_f32 v23, v23, v11, v15
	;; [unrolled: 1-line block ×3, first 2 shown]
	s_cmp_eq_u32 s59, s72
	v_fmac_f32_e32 v17, v25, v27
	s_cbranch_scc1 .LBB473_19
; %bb.18:                               ;   in Loop: Header=BB473_7 Depth=1
	s_mov_b32 s73, s72
	v_mov_b32_e32 v21, v13
	v_mov_b32_e32 v25, v17
	s_branch .LBB473_7
.LBB473_19:
	v_mov_b32_e32 v16, v24
	v_mov_b32_e32 v15, v23
	;; [unrolled: 1-line block ×3, first 2 shown]
.LBB473_20:
	s_lshl_b32 s45, s59, 6
	s_sub_i32 s48, s24, s45
	v_mov_b32_e32 v12, v20
	v_mov_b32_e32 v11, v19
	;; [unrolled: 1-line block ×3, first 2 shown]
	s_cmp_gt_i32 s48, 0
	s_cbranch_scc0 .LBB473_85
; %bb.21:
	s_ashr_i32 s3, s45, 31
	s_cmpk_lg_i32 s27, 0x80
	s_cselect_b64 s[30:31], -1, 0
	s_and_b64 vcc, exec, s[30:31]
	s_cbranch_vccz .LBB473_23
; %bb.22:
	s_mul_hi_i32 s0, s58, s24
	s_add_u32 s1, s51, s45
	s_addc_u32 s0, s0, s3
	s_mul_i32 s4, s1, s60
	s_mul_hi_u32 s5, s1, s26
	s_add_i32 s4, s5, s4
	s_mul_i32 s0, s0, s26
	s_add_i32 s4, s4, s0
	s_mul_i32 s1, s1, s26
	s_ashr_i32 s0, s61, 31
	s_add_u32 s46, s1, s61
	s_addc_u32 s47, s4, s0
	s_cbranch_execz .LBB473_24
	s_branch .LBB473_25
.LBB473_23:
                                        ; implicit-def: $sgpr46_sgpr47
.LBB473_24:
	s_mul_hi_i32 s0, s58, s26
	s_mul_i32 s58, s58, s26
	s_ashr_i32 s1, s61, 31
	s_add_u32 s4, s58, s61
	s_addc_u32 s0, s0, s1
	s_mul_i32 s1, s4, s57
	s_mul_hi_u32 s5, s4, s24
	s_add_i32 s1, s5, s1
	s_mul_i32 s0, s0, s24
	s_add_i32 s1, s1, s0
	s_mul_i32 s4, s4, s24
	s_add_u32 s46, s4, s45
	s_addc_u32 s47, s1, s3
.LBB473_25:
	s_mul_i32 s0, s42, s57
	s_add_i32 s0, s64, s0
	s_add_i32 s4, s62, s59
	;; [unrolled: 1-line block ×3, first 2 shown]
	s_add_u32 s0, s44, s45
	v_lshlrev_b32_e32 v22, 5, v82
	v_lshlrev_b32_e32 v38, 2, v79
	s_addc_u32 s1, s1, s3
	s_mov_b32 s3, 0x7060302
	v_or_b32_e32 v25, v22, v38
	v_xor_b32_e32 v23, v82, v38
	v_perm_b32 v19, v5, v4, s3
	v_perm_b32 v18, v3, v2, s3
	;; [unrolled: 1-line block ×4, first 2 shown]
	v_lshlrev_b32_e32 v25, 1, v25
	v_xor_b32_e32 v24, v83, v38
	ds_write2st64_b64 v25, v[18:19], v[20:21] offset0:80 offset1:88
	v_lshlrev_b32_e32 v23, 1, v23
	v_lshlrev_b32_e32 v25, 8, v79
	s_lshl_b64 s[28:29], s[0:1], 8
	v_or_b32_e32 v26, v23, v25
	v_lshlrev_b32_e32 v24, 1, v24
	s_add_u32 s0, s18, s28
	ds_write_b64 v26, v[18:19]
	v_or_b32_e32 v18, v24, v25
	s_addc_u32 s1, s19, s29
	ds_write_b64 v18, v[20:21]
	v_perm_b32 v19, v13, v12, s3
	v_perm_b32 v18, v11, v10, s3
	;; [unrolled: 1-line block ×4, first 2 shown]
	v_or_b32_e32 v25, 16, v79
	s_mul_hi_i32 s3, s4, s25
	s_mul_i32 s4, s4, s25
	v_lshlrev_b32_e32 v35, 2, v25
	s_add_u32 s4, s4, s33
	v_or_b32_e32 v22, v22, v35
	s_addc_u32 s5, s3, s50
	v_lshlrev_b32_e32 v22, 1, v22
	s_ashr_i32 s3, s2, 31
	s_lshl_b64 s[4:5], s[4:5], 15
	ds_write2st64_b64 v22, v[18:19], v[20:21] offset0:80 offset1:88
	v_lshlrev_b32_e32 v22, 8, v25
	s_add_u32 s4, s12, s4
	v_or_b32_e32 v23, v23, v22
	s_addc_u32 s5, s13, s5
	s_lshl_b64 s[2:3], s[2:3], 8
	ds_write_b64 v23, v[18:19]
	v_or_b32_e32 v18, v24, v22
	s_add_u32 s2, s4, s2
	ds_write_b64 v18, v[20:21]
	v_lshrrev_b32_e32 v18, 4, v0
	s_addc_u32 s3, s5, s3
	v_lshlrev_b32_e32 v19, 1, v79
	v_lshlrev_b32_e32 v26, 4, v79
	v_mov_b32_e32 v27, 0
	v_or_b32_e32 v20, 1, v19
	v_xor_b32_e32 v19, v18, v19
	v_lshl_add_u64 v[28:29], s[2:3], 0, v[26:27]
	v_lshlrev_b32_e32 v26, 8, v18
	v_xor_b32_e32 v22, v20, v18
	v_lshl_or_b32 v18, v19, 3, v26
	s_waitcnt lgkmcnt(0)
	s_barrier
	ds_read2st64_b64 v[18:21], v18 offset1:8
	v_lshl_or_b32 v22, v22, 3, v26
	ds_read2st64_b64 v[22:25], v22 offset1:8
	v_lshl_add_u64 v[30:31], v[28:29], 0, v[26:27]
	s_movk_i32 s2, 0x1000
	s_waitcnt lgkmcnt(1)
	v_mov_b32_e32 v26, v18
	v_add_co_u32_e32 v18, vcc, s2, v30
	s_cmp_lg_u32 s48, 64
	v_mov_b32_e32 v27, v19
	v_addc_co_u32_e32 v19, vcc, 0, v31, vcc
	s_cselect_b64 s[18:19], -1, 0
	v_lshl_or_b32 v42, v1, 3, v81
	s_waitcnt lgkmcnt(0)
	v_mov_b32_e32 v28, v22
	v_mov_b32_e32 v29, v23
	;; [unrolled: 1-line block ×4, first 2 shown]
	s_mov_b32 s4, 0
	v_or_b32_e32 v36, 32, v42
	v_and_b32_e32 v34, 56, v80
	s_and_b64 vcc, exec, s[18:19]
	global_store_dwordx4 v[30:31], v[26:29], off
	global_store_dwordx4 v[18:19], v[22:25], off
	s_cbranch_vccz .LBB473_31
; %bb.26:
	s_mov_b32 s6, s4
	s_mov_b32 s7, s4
	;; [unrolled: 1-line block ×3, first 2 shown]
	v_mov_b64_e32 v[24:25], s[6:7]
	v_mov_b64_e32 v[22:23], s[4:5]
	;; [unrolled: 1-line block ×3, first 2 shown]
	v_cmp_gt_i32_e32 vcc, s48, v42
	v_mov_b64_e32 v[20:21], v[24:25]
	s_and_saveexec_b64 s[2:3], vcc
	s_cbranch_execz .LBB473_28
; %bb.27:
	v_lshlrev_b32_e32 v18, 8, v42
	v_mov_b32_e32 v19, 0
	v_lshl_add_u64 v[20:21], s[0:1], 0, v[18:19]
	v_lshlrev_b32_e32 v18, 1, v34
	v_lshl_add_u64 v[26:27], v[20:21], 0, v[18:19]
	global_load_dwordx4 v[22:25], v[26:27], off
	global_load_dwordx4 v[18:21], v[26:27], off offset:128
.LBB473_28:
	s_or_b64 exec, exec, s[2:3]
	s_mov_b32 s6, s4
	s_mov_b32 s7, s4
	;; [unrolled: 1-line block ×3, first 2 shown]
	v_mov_b64_e32 v[32:33], s[6:7]
	v_mov_b64_e32 v[30:31], s[4:5]
	;; [unrolled: 1-line block ×3, first 2 shown]
	v_cmp_gt_i32_e32 vcc, s48, v36
	v_lshlrev_b32_e32 v37, 7, v36
	v_mov_b64_e32 v[28:29], v[32:33]
	s_and_saveexec_b64 s[2:3], vcc
	s_cbranch_execz .LBB473_30
; %bb.29:
	v_lshlrev_b32_e32 v26, 1, v37
	v_mov_b32_e32 v27, 0
	v_lshl_add_u64 v[28:29], s[0:1], 0, v[26:27]
	v_lshlrev_b32_e32 v26, 1, v34
	v_lshl_add_u64 v[40:41], v[28:29], 0, v[26:27]
	global_load_dwordx4 v[30:33], v[40:41], off
	global_load_dwordx4 v[26:29], v[40:41], off offset:128
.LBB473_30:
	s_or_b64 exec, exec, s[2:3]
	v_lshrrev_b32_e32 v39, 3, v34
	v_lshlrev_b32_e32 v40, 3, v42
	v_or_b32_e32 v39, v40, v39
	v_lshlrev_b32_e32 v39, 4, v39
	v_and_b32_e32 v40, 0x78, v40
	v_xor_b32_e32 v39, v39, v40
	s_branch .LBB473_33
.LBB473_31:
                                        ; implicit-def: $vgpr39
                                        ; implicit-def: $vgpr37
                                        ; implicit-def: $vgpr22_vgpr23_vgpr24_vgpr25
                                        ; implicit-def: $vgpr18_vgpr19_vgpr20_vgpr21
                                        ; implicit-def: $vgpr30_vgpr31_vgpr32_vgpr33
                                        ; implicit-def: $vgpr26_vgpr27_vgpr28_vgpr29
	s_cbranch_execz .LBB473_33
; %bb.32:
	s_waitcnt vmcnt(0)
	v_lshlrev_b32_e32 v18, 1, v34
	v_lshl_or_b32 v37, v42, 8, v18
	s_and_b32 s1, s1, 0xffff
	s_mov_b32 s3, 0x20000
	s_movk_i32 s2, 0x4000
	v_lshl_or_b32 v39, v36, 8, v18
	s_movk_i32 s4, 0x80
	buffer_load_dwordx4 v[22:25], v37, s[0:3], 0 offen
	buffer_load_dwordx4 v[18:21], v37, s[0:3], s4 offen
	;; [unrolled: 1-line block ×4, first 2 shown]
	v_lshrrev_b32_e32 v37, 3, v34
	v_lshlrev_b32_e32 v39, 3, v42
	v_or_b32_e32 v37, v39, v37
	v_lshlrev_b32_e32 v37, 4, v37
	v_and_b32_e32 v39, 0x78, v39
	v_xor_b32_e32 v39, v37, v39
	v_lshlrev_b32_e32 v37, 7, v36
.LBB473_33:
	s_lshl_b64 s[0:1], s[46:47], 8
	s_add_u32 s4, s16, s0
	s_movk_i32 s0, 0x1000
	v_and_or_b32 v36, v37, s0, v39
	s_waitcnt vmcnt(1)
	ds_write_b64 v39, v[22:23] offset:24576
	v_xor_b32_e32 v22, 8, v39
	ds_write_b64 v22, v[24:25] offset:24576
	s_waitcnt vmcnt(0)
	ds_write_b64 v39, v[18:19] offset:32768
	ds_write_b64 v22, v[20:21] offset:32768
	;; [unrolled: 1-line block ×3, first 2 shown]
	v_xor_b32_e32 v18, 8, v36
	ds_write_b64 v18, v[32:33] offset:24576
	ds_write_b64 v36, v[26:27] offset:32768
	;; [unrolled: 1-line block ×3, first 2 shown]
	v_or_b32_e32 v18, v61, v79
	v_lshlrev_b32_e32 v18, 3, v18
	v_lshrrev_b32_e32 v19, 5, v63
	s_movk_i32 s2, 0xf8
	v_and_or_b32 v19, v18, s2, v19
	v_lshlrev_b32_e32 v23, 4, v19
	v_lshlrev_b32_e32 v39, 11, v1
	v_and_b32_e32 v24, 0x78, v18
	v_or_b32_e32 v26, 32, v23
	v_and_b32_e32 v22, 0x1000, v39
	v_lshrrev_b32_e32 v19, 1, v63
	v_xor_b32_e32 v26, v26, v24
	v_xor_b32_e32 v18, v23, v24
	v_and_b32_e32 v25, 8, v19
	v_or_b32_e32 v26, v26, v22
	v_or_b32_e32 v18, v18, v22
	v_xor_b32_e32 v44, v26, v25
	v_or_b32_e32 v26, 64, v23
	v_xor_b32_e32 v43, v18, v25
	v_xor_b32_e32 v26, v26, v24
	s_waitcnt lgkmcnt(0)
	s_barrier
	v_or_b32_e32 v28, v26, v22
	ds_read_b64 v[26:27], v43 offset:24576
	v_lshl_or_b32 v36, v78, 7, v38
	v_lshlrev_b32_e32 v40, 1, v36
	v_add_u32_e32 v18, 0xa000, v40
	ds_read2_b64 v[18:21], v18 offset1:16
	v_or_b32_e32 v23, 0x60, v23
	v_xor_b32_e32 v23, v23, v24
	s_waitcnt lgkmcnt(0)
	v_mfma_f32_16x16x16_bf16 a[0:3], v[26:27], v[18:19], 0
	v_or_b32_e32 v18, 64, v36
	v_or_b32_e32 v22, v23, v22
	v_lshlrev_b32_e32 v41, 1, v18
	v_xor_b32_e32 v45, v28, v25
	v_xor_b32_e32 v46, v22, v25
	ds_read_b64 v[28:29], v44 offset:24576
	ds_read_b64 v[30:31], v45 offset:24576
	;; [unrolled: 1-line block ×3, first 2 shown]
	v_mfma_f32_16x16x16_bf16 a[4:7], v[26:27], v[20:21], 0
	ds_read2st64_b64 v[18:21], v41 offset0:82 offset1:84
	ds_read2st64_b64 v[22:25], v40 offset0:82 offset1:84
	s_addc_u32 s5, s17, s1
	s_add_i32 s0, s53, s43
	s_add_i32 s17, s24, -1
	s_add_i32 s39, s0, s54
	s_add_i32 s0, s55, s52
	;; [unrolled: 1-line block ×3, first 2 shown]
	s_ashr_i32 s0, s17, 31
	s_mul_i32 s1, s17, s37
	s_mul_hi_u32 s2, s17, s36
	s_add_i32 s1, s2, s1
	s_mul_i32 s0, s0, s36
	s_waitcnt lgkmcnt(1)
	v_mfma_f32_16x16x16_bf16 a[4:7], v[28:29], v[18:19], a[4:7]
	s_add_i32 s1, s1, s0
	s_lshl_b64 s[2:3], s[38:39], 2
	s_add_u32 s6, s22, s2
	s_waitcnt lgkmcnt(0)
	v_mfma_f32_16x16x16_bf16 a[0:3], v[28:29], v[22:23], a[0:3]
	s_addc_u32 s7, s23, s3
	s_lshl_b64 s[2:3], s[40:41], 2
	s_mul_i32 s0, s17, s36
	s_add_u32 s12, s6, s2
	ds_read_b64 v[18:19], v40 offset:44032
	v_mfma_f32_16x16x16_bf16 a[4:7], v[30:31], v[20:21], a[4:7]
	ds_read_b64 v[20:21], v41 offset:44032
	s_addc_u32 s13, s7, s3
	s_lshl_b64 s[0:1], s[0:1], 2
	v_mfma_f32_16x16x16_bf16 a[0:3], v[30:31], v[24:25], a[0:3]
	s_add_u32 s0, s12, s0
	s_addc_u32 s1, s13, s1
	s_load_dword s16, s[0:1], 0x0
	s_waitcnt lgkmcnt(0)
	v_mfma_f32_16x16x16_bf16 a[0:3], v[32:33], v[18:19], a[0:3]
	s_and_b64 vcc, exec, s[30:31]
	v_mfma_f32_16x16x16_bf16 a[4:7], v[32:33], v[20:21], a[4:7]
	s_cbranch_vccz .LBB473_44
; %bb.34:
	v_lshlrev_b32_e32 v36, 1, v42
	s_and_b64 vcc, exec, s[18:19]
	s_cbranch_vccz .LBB473_45
; %bb.35:
	v_cmp_gt_i32_e32 vcc, s48, v36
	v_mov_b32_e32 v22, 0
	v_mov_b32_e32 v18, 0
	;; [unrolled: 1-line block ×5, first 2 shown]
	s_and_saveexec_b64 s[0:1], vcc
	s_cbranch_execz .LBB473_37
; %bb.36:
	v_mad_i64_i32 v[18:19], s[2:3], s27, v36, 0
	v_lshl_add_u64 v[18:19], v[18:19], 1, s[4:5]
	v_lshlrev_b32_e32 v20, 1, v34
	v_mov_b32_e32 v21, 0
	v_lshl_add_u64 v[18:19], v[18:19], 0, v[20:21]
	global_load_dwordx4 v[18:21], v[18:19], off
.LBB473_37:
	s_or_b64 exec, exec, s[0:1]
	v_or_b32_e32 v37, 1, v36
	v_cmp_gt_i32_e64 s[0:1], s48, v37
	v_mov_b32_e32 v23, 0
	v_mov_b32_e32 v24, 0
	;; [unrolled: 1-line block ×3, first 2 shown]
	s_and_saveexec_b64 s[2:3], s[0:1]
	s_cbranch_execz .LBB473_39
; %bb.38:
	v_mad_i64_i32 v[22:23], s[6:7], s27, v37, 0
	v_lshl_add_u64 v[22:23], v[22:23], 1, s[4:5]
	v_lshlrev_b32_e32 v24, 1, v34
	v_mov_b32_e32 v25, 0
	v_lshl_add_u64 v[22:23], v[22:23], 0, v[24:25]
	global_load_dwordx4 v[22:25], v[22:23], off
.LBB473_39:
	s_or_b64 exec, exec, s[2:3]
	v_mov_b32_e32 v33, 0
	v_mov_b32_e32 v26, 0
	;; [unrolled: 1-line block ×5, first 2 shown]
	s_and_saveexec_b64 s[2:3], vcc
	s_cbranch_execz .LBB473_41
; %bb.40:
	v_mad_i64_i32 v[26:27], s[6:7], s27, v36, 0
	v_lshl_add_u64 v[26:27], v[26:27], 1, s[4:5]
	v_lshlrev_b32_e32 v28, 1, v34
	v_mov_b32_e32 v29, 0
	v_lshl_add_u64 v[26:27], v[26:27], 0, v[28:29]
	global_load_dwordx4 v[26:29], v[26:27], off offset:128
.LBB473_41:
	s_or_b64 exec, exec, s[2:3]
	v_mov_b32_e32 v32, 0
	v_mov_b32_e32 v31, 0
	;; [unrolled: 1-line block ×3, first 2 shown]
	s_and_saveexec_b64 s[2:3], s[0:1]
	s_cbranch_execz .LBB473_43
; %bb.42:
	v_mad_i64_i32 v[30:31], s[0:1], s27, v37, 0
	v_lshl_add_u64 v[30:31], v[30:31], 1, s[4:5]
	v_lshlrev_b32_e32 v32, 1, v34
	v_mov_b32_e32 v33, 0
	v_lshl_add_u64 v[30:31], v[30:31], 0, v[32:33]
	global_load_dwordx4 v[30:33], v[30:31], off offset:128
.LBB473_43:
	s_or_b64 exec, exec, s[2:3]
	s_branch .LBB473_47
.LBB473_44:
                                        ; implicit-def: $vgpr21
                                        ; implicit-def: $vgpr25
                                        ; implicit-def: $vgpr29
                                        ; implicit-def: $vgpr33
	v_lshrrev_b32_e32 v47, 2, v63
	s_branch .LBB473_48
.LBB473_45:
                                        ; implicit-def: $vgpr21
                                        ; implicit-def: $vgpr25
                                        ; implicit-def: $vgpr29
                                        ; implicit-def: $vgpr33
	s_cbranch_execz .LBB473_47
; %bb.46:
	s_waitcnt vmcnt(0)
	v_mad_u64_u32 v[18:19], s[0:1], v36, s27, v[34:35]
	v_lshlrev_b32_e32 v36, 1, v18
	s_lshl_b32 s2, s27, 7
	s_and_b32 s1, s5, 0xffff
	s_mov_b32 s3, 0x20000
	s_mov_b32 s0, s4
	v_add_lshl_u32 v37, v18, s27, 1
	s_movk_i32 s6, 0x80
	buffer_load_dwordx4 v[18:21], v36, s[0:3], 0 offen
	buffer_load_dwordx4 v[26:29], v36, s[0:3], s6 offen
	;; [unrolled: 1-line block ×4, first 2 shown]
.LBB473_47:
	v_lshrrev_b32_e32 v47, 2, v63
	s_cbranch_execnz .LBB473_60
.LBB473_48:
	s_and_b64 vcc, exec, s[18:19]
	s_cbranch_vccz .LBB473_58
; %bb.49:
	s_waitcnt vmcnt(0)
	v_lshlrev_b32_e32 v23, 1, v42
	v_cmp_gt_i32_e32 vcc, s48, v23
	v_mov_b32_e32 v22, 0
	v_lshlrev_b32_e32 v30, 9, v42
	v_mov_b32_e32 v18, 0
	v_mov_b32_e32 v19, 0
	;; [unrolled: 1-line block ×4, first 2 shown]
	s_and_saveexec_b64 s[0:1], vcc
	s_cbranch_execz .LBB473_51
; %bb.50:
	v_mov_b32_e32 v31, 0
	v_lshl_add_u64 v[18:19], s[4:5], 0, v[30:31]
	v_lshlrev_b32_e32 v20, 1, v34
	v_mov_b32_e32 v21, v31
	v_lshl_add_u64 v[18:19], v[18:19], 0, v[20:21]
	global_load_dwordx4 v[18:21], v[18:19], off
.LBB473_51:
	s_or_b64 exec, exec, s[0:1]
	v_or_b32_e32 v23, 1, v23
	v_cmp_gt_i32_e64 s[0:1], s48, v23
	v_lshlrev_b32_e32 v36, 8, v23
	v_mov_b32_e32 v23, 0
	v_mov_b32_e32 v24, 0
	;; [unrolled: 1-line block ×3, first 2 shown]
	s_and_saveexec_b64 s[2:3], s[0:1]
	s_cbranch_execz .LBB473_53
; %bb.52:
	v_mov_b32_e32 v37, 0
	v_lshl_add_u64 v[22:23], s[4:5], 0, v[36:37]
	v_lshlrev_b32_e32 v24, 1, v34
	v_mov_b32_e32 v25, v37
	v_lshl_add_u64 v[22:23], v[22:23], 0, v[24:25]
	global_load_dwordx4 v[22:25], v[22:23], off
.LBB473_53:
	s_or_b64 exec, exec, s[2:3]
	v_mov_b32_e32 v33, 0
	v_mov_b32_e32 v26, 0
	;; [unrolled: 1-line block ×5, first 2 shown]
	s_and_saveexec_b64 s[2:3], vcc
	s_cbranch_execz .LBB473_55
; %bb.54:
	v_mov_b32_e32 v31, 0
	v_lshl_add_u64 v[26:27], s[4:5], 0, v[30:31]
	v_lshlrev_b32_e32 v30, 1, v34
	v_lshl_add_u64 v[26:27], v[26:27], 0, v[30:31]
	global_load_dwordx4 v[26:29], v[26:27], off offset:128
.LBB473_55:
	s_or_b64 exec, exec, s[2:3]
	v_mov_b32_e32 v32, 0
	v_mov_b32_e32 v31, 0
	;; [unrolled: 1-line block ×3, first 2 shown]
	s_and_saveexec_b64 s[2:3], s[0:1]
	s_cbranch_execz .LBB473_57
; %bb.56:
	v_mov_b32_e32 v37, 0
	v_lshl_add_u64 v[30:31], s[4:5], 0, v[36:37]
	v_lshlrev_b32_e32 v36, 1, v34
	v_lshl_add_u64 v[30:31], v[30:31], 0, v[36:37]
	global_load_dwordx4 v[30:33], v[30:31], off offset:128
.LBB473_57:
	s_or_b64 exec, exec, s[2:3]
	s_branch .LBB473_60
.LBB473_58:
                                        ; implicit-def: $vgpr21
                                        ; implicit-def: $vgpr25
                                        ; implicit-def: $vgpr29
                                        ; implicit-def: $vgpr33
	s_cbranch_execz .LBB473_60
; %bb.59:
	s_waitcnt vmcnt(0)
	v_lshlrev_b32_e32 v18, 1, v34
	v_lshl_or_b32 v34, v42, 9, v18
	s_and_b32 s5, s5, 0xffff
	s_mov_b32 s7, 0x20000
	s_movk_i32 s6, 0x4000
	s_movk_i32 s0, 0x80
	buffer_load_dwordx4 v[18:21], v34, s[4:7], 0 offen
	buffer_load_dwordx4 v[22:25], v34, s[4:7], 0 offen offset:256
	buffer_load_dwordx4 v[26:29], v34, s[4:7], s0 offen
	buffer_load_dwordx4 v[30:33], v34, s[4:7], s0 offen offset:256
.LBB473_60:
	ds_read_b64 v[36:37], v43 offset:32768
	v_add_u32_e32 v34, 0xb000, v40
	ds_read2_b64 v[48:51], v34 offset1:16
	ds_read_b64 v[56:57], v44 offset:32768
	ds_read_b64 v[44:45], v45 offset:32768
	;; [unrolled: 1-line block ×3, first 2 shown]
	ds_read2st64_b64 v[52:55], v41 offset0:90 offset1:92
	v_and_b32_e32 v43, 6, v0
	v_and_b32_e32 v34, 12, v47
	v_xor_b32_e32 v42, v42, v43
	v_lshlrev_b32_e32 v42, 2, v42
	s_mov_b32 s0, 0x1000504
	s_waitcnt lgkmcnt(4)
	v_mfma_f32_16x16x16_bf16 a[0:3], v[36:37], v[48:49], a[0:3]
	s_mov_b32 s1, 0x3020706
	v_mfma_f32_16x16x16_bf16 a[4:7], v[36:37], v[50:51], a[4:7]
	ds_read2st64_b64 v[48:51], v40 offset0:90 offset1:92
	ds_read_b64 v[36:37], v40 offset:48128
	ds_read_b64 v[46:47], v41 offset:48128
	s_waitcnt lgkmcnt(2)
	v_mfma_f32_16x16x16_bf16 a[0:3], v[56:57], v[48:49], a[0:3]
	v_and_b32_e32 v48, 1, v0
	v_xor_b32_e32 v49, 0x440, v42
	v_cmp_eq_u32_e32 vcc, 0, v48
	v_mfma_f32_16x16x16_bf16 a[4:7], v[56:57], v[52:53], a[4:7]
	s_nop 0
	v_cndmask_b32_e32 v42, v49, v42, vcc
	v_lshl_or_b32 v42, v43, 10, v42
	v_mfma_f32_16x16x16_bf16 a[0:3], v[44:45], v[50:51], a[0:3]
	v_mov_b32_e32 v43, 0
	v_mfma_f32_16x16x16_bf16 a[8:11], v[44:45], v[54:55], a[4:7]
	s_waitcnt lgkmcnt(1)
	v_mfma_f32_16x16x16_bf16 a[4:7], v[58:59], v[36:37], a[0:3]
	s_waitcnt vmcnt(0)
	v_perm_b32 v36, v18, v22, s0
	v_perm_b32 v37, v26, v30, s0
	ds_write2st64_b32 v42, v36, v37 offset0:32 offset1:64
	v_xor_b32_e32 v36, 8, v42
	v_perm_b32 v18, v18, v22, s1
	v_perm_b32 v22, v26, v30, s1
	v_add_u32_e32 v26, 0x80, v36
	ds_write2st64_b32 v26, v18, v22 offset0:32 offset1:64
	v_xor_b32_e32 v18, 16, v42
	v_perm_b32 v22, v19, v23, s0
	v_perm_b32 v26, v27, v31, s0
	ds_write2st64_b32 v18, v22, v26 offset0:33 offset1:65
	v_xor_b32_e32 v18, 24, v42
	v_perm_b32 v19, v19, v23, s1
	v_perm_b32 v22, v27, v31, s1
	v_add_u32_e32 v18, 0x80, v18
	ds_write2st64_b32 v18, v19, v22 offset0:33 offset1:65
	v_xor_b32_e32 v18, 32, v42
	v_perm_b32 v19, v20, v24, s0
	v_perm_b32 v22, v28, v32, s0
	ds_write2st64_b32 v18, v19, v22 offset0:34 offset1:66
	v_xor_b32_e32 v18, 40, v42
	s_waitcnt lgkmcnt(5)
	v_mfma_f32_16x16x16_bf16 a[0:3], v[58:59], v[46:47], a[8:11]
	v_perm_b32 v19, v20, v24, s1
	v_perm_b32 v20, v28, v32, s1
	v_add_u32_e32 v18, 0x80, v18
	ds_write2st64_b32 v18, v19, v20 offset0:34 offset1:66
	v_xor_b32_e32 v18, 48, v42
	v_perm_b32 v19, v21, v25, s0
	v_perm_b32 v20, v29, v33, s0
	ds_write2st64_b32 v18, v19, v20 offset0:35 offset1:67
	v_xor_b32_e32 v18, 56, v42
	v_or_b32_e32 v36, v34, v61
	v_perm_b32 v19, v21, v25, s1
	v_perm_b32 v20, v29, v33, s1
	v_add_u32_e32 v18, 0x80, v18
	v_cmp_gt_i32_e32 vcc, s48, v36
	v_mov_b32_e32 v37, 0
	ds_write2st64_b32 v18, v19, v20 offset0:35 offset1:67
	s_and_saveexec_b64 s[0:1], vcc
	s_cbranch_execz .LBB473_62
; %bb.61:
	v_add_u32_e32 v18, s45, v36
	v_ashrrev_i32_e32 v19, 31, v18
	v_mul_lo_u32 v20, v19, s36
	v_mul_lo_u32 v21, v18, s37
	v_mad_u64_u32 v[18:19], s[2:3], v18, s36, 0
	v_add3_u32 v19, v19, v21, v20
	v_lshl_add_u64 v[18:19], v[18:19], 2, s[12:13]
	global_load_dword v18, v[18:19], off
	s_waitcnt vmcnt(0)
	v_sub_f32_e32 v18, s16, v18
	v_mul_f32_e32 v18, 0x3fb8aa3b, v18
	v_exp_f32_e32 v43, v18
.LBB473_62:
	s_or_b64 exec, exec, s[0:1]
	v_or_b32_e32 v29, 1, v36
	v_cmp_gt_i32_e64 s[0:1], s48, v29
	s_and_saveexec_b64 s[2:3], s[0:1]
	s_cbranch_execz .LBB473_64
; %bb.63:
	v_add_u32_e32 v18, s45, v29
	v_ashrrev_i32_e32 v19, 31, v18
	v_mul_lo_u32 v20, v19, s36
	v_mul_lo_u32 v21, v18, s37
	v_mad_u64_u32 v[18:19], s[4:5], v18, s36, 0
	v_add3_u32 v19, v19, v21, v20
	v_lshl_add_u64 v[18:19], v[18:19], 2, s[12:13]
	global_load_dword v18, v[18:19], off
	s_waitcnt vmcnt(0)
	v_sub_f32_e32 v18, s16, v18
	v_mul_f32_e32 v18, 0x3fb8aa3b, v18
	v_exp_f32_e32 v37, v18
.LBB473_64:
	s_or_b64 exec, exec, s[2:3]
	v_or_b32_e32 v28, 2, v36
	v_cmp_gt_i32_e64 s[2:3], s48, v28
	v_mov_b32_e32 v42, 0
	v_mov_b32_e32 v44, 0
	s_and_saveexec_b64 s[4:5], s[2:3]
	s_cbranch_execz .LBB473_66
; %bb.65:
	v_add_u32_e32 v18, s45, v28
	v_ashrrev_i32_e32 v19, 31, v18
	v_mul_lo_u32 v20, v19, s36
	v_mul_lo_u32 v21, v18, s37
	v_mad_u64_u32 v[18:19], s[6:7], v18, s36, 0
	v_add3_u32 v19, v19, v21, v20
	v_lshl_add_u64 v[18:19], v[18:19], 2, s[12:13]
	global_load_dword v18, v[18:19], off
	s_waitcnt vmcnt(0)
	v_sub_f32_e32 v18, s16, v18
	v_mul_f32_e32 v18, 0x3fb8aa3b, v18
	v_exp_f32_e32 v44, v18
.LBB473_66:
	s_or_b64 exec, exec, s[4:5]
	v_or_b32_e32 v45, 3, v36
	v_cmp_gt_i32_e64 s[4:5], s48, v45
	s_and_saveexec_b64 s[6:7], s[4:5]
	s_cbranch_execz .LBB473_68
; %bb.67:
	v_add_u32_e32 v18, s45, v45
	v_ashrrev_i32_e32 v19, 31, v18
	v_mul_lo_u32 v20, v19, s36
	v_mul_lo_u32 v21, v18, s37
	v_mad_u64_u32 v[18:19], s[18:19], v18, s36, 0
	v_add3_u32 v19, v19, v21, v20
	v_lshl_add_u64 v[18:19], v[18:19], 2, s[12:13]
	global_load_dword v18, v[18:19], off
	s_waitcnt vmcnt(0)
	v_sub_f32_e32 v18, s16, v18
	v_mul_f32_e32 v18, 0x3fb8aa3b, v18
	v_exp_f32_e32 v42, v18
.LBB473_68:
	s_or_b64 exec, exec, s[6:7]
	s_add_u32 s6, s20, s28
	s_addc_u32 s7, s21, s29
	s_add_u32 s12, s14, s28
	v_ashrrev_i32_e32 v69, 31, v68
	v_accvgpr_read_b32 v21, a7
	s_addc_u32 s13, s15, s29
	v_lshlrev_b64 v[22:23], 1, v[68:69]
	v_accvgpr_read_b32 v20, a6
	v_accvgpr_read_b32 v19, a5
	;; [unrolled: 1-line block ×3, first 2 shown]
	v_lshl_add_u64 v[24:25], s[6:7], 0, v[22:23]
	v_lshl_add_u64 v[22:23], s[12:13], 0, v[22:23]
	v_mov_b32_e32 v31, 0
	v_lshlrev_b32_e32 v26, 8, v36
	v_mov_b32_e32 v27, 0
	s_and_saveexec_b64 s[6:7], vcc
	s_cbranch_execz .LBB473_70
; %bb.69:
	v_mov_b32_e32 v27, 0
	v_lshl_add_u64 v[32:33], v[24:25], 0, v[26:27]
	global_load_ushort v30, v[32:33], off
	v_lshl_add_u64 v[32:33], v[22:23], 0, v[26:27]
	s_waitcnt vmcnt(0)
	v_lshlrev_b32_e32 v27, 16, v30
	v_sub_f32_e32 v18, v27, v18
	global_store_short_d16_hi v[32:33], v18, off
	v_mul_f32_e32 v18, v43, v18
	v_lshrrev_b32_e32 v27, 16, v18
.LBB473_70:
	s_or_b64 exec, exec, s[6:7]
	v_lshlrev_b32_e32 v30, 8, v29
	s_and_saveexec_b64 s[6:7], s[0:1]
	s_cbranch_execz .LBB473_72
; %bb.71:
	v_mov_b32_e32 v31, 0
	v_lshl_add_u64 v[32:33], v[24:25], 0, v[30:31]
	global_load_ushort v18, v[32:33], off
	v_lshl_add_u64 v[32:33], v[22:23], 0, v[30:31]
	s_waitcnt vmcnt(0)
	v_lshlrev_b32_e32 v18, 16, v18
	v_sub_f32_e32 v18, v18, v19
	global_store_short_d16_hi v[32:33], v18, off
	v_mul_f32_e32 v18, v37, v18
	v_lshrrev_b32_e32 v31, 16, v18
.LBB473_72:
	s_or_b64 exec, exec, s[6:7]
	v_mov_b32_e32 v29, 0
	v_lshlrev_b32_e32 v32, 8, v28
	v_mov_b32_e32 v33, 0
	s_and_saveexec_b64 s[6:7], s[2:3]
	s_cbranch_execz .LBB473_74
; %bb.73:
	v_mov_b32_e32 v33, 0
	v_lshl_add_u64 v[18:19], v[24:25], 0, v[32:33]
	global_load_ushort v28, v[18:19], off
	v_lshl_add_u64 v[18:19], v[22:23], 0, v[32:33]
	s_waitcnt vmcnt(0)
	v_lshlrev_b32_e32 v28, 16, v28
	v_sub_f32_e32 v20, v28, v20
	global_store_short_d16_hi v[18:19], v20, off
	v_mul_f32_e32 v18, v44, v20
	v_lshrrev_b32_e32 v33, 16, v18
.LBB473_74:
	s_or_b64 exec, exec, s[6:7]
	v_lshlrev_b32_e32 v28, 8, v45
	s_and_saveexec_b64 s[6:7], s[4:5]
	s_cbranch_execz .LBB473_76
; %bb.75:
	v_mov_b32_e32 v29, 0
	v_lshl_add_u64 v[18:19], v[24:25], 0, v[28:29]
	global_load_ushort v20, v[18:19], off
	v_lshl_add_u64 v[18:19], v[22:23], 0, v[28:29]
	s_waitcnt vmcnt(0)
	v_lshlrev_b32_e32 v20, 16, v20
	v_sub_f32_e32 v20, v20, v21
	global_store_short_d16_hi v[18:19], v20, off
	v_mul_f32_e32 v18, v42, v20
	v_lshrrev_b32_e32 v29, 16, v18
.LBB473_76:
	s_or_b64 exec, exec, s[6:7]
	v_lshlrev_b32_e32 v45, 5, v36
	s_mov_b32 s6, 0x5040100
	v_perm_b32 v46, v31, v27, s6
	v_or_b32_e32 v27, v45, v38
	v_accvgpr_read_b32 v21, a3
	v_perm_b32 v47, v29, v33, s6
	v_lshlrev_b32_e32 v27, 1, v27
	v_accvgpr_read_b32 v20, a2
	v_accvgpr_read_b32 v19, a1
	;; [unrolled: 1-line block ×3, first 2 shown]
	ds_write_b64 v27, v[46:47] offset:45056
	v_mov_b32_e32 v31, 0
	v_mov_b32_e32 v27, 0
	s_and_saveexec_b64 s[6:7], vcc
	s_cbranch_execz .LBB473_78
; %bb.77:
	v_mov_b32_e32 v27, 0
	v_lshl_add_u64 v[46:47], v[24:25], 0, v[26:27]
	global_load_ushort v29, v[46:47], off offset:32
	v_lshl_add_u64 v[26:27], v[22:23], 0, v[26:27]
	s_waitcnt vmcnt(0)
	v_lshlrev_b32_e32 v29, 16, v29
	v_sub_f32_e32 v18, v29, v18
	global_store_short_d16_hi v[26:27], v18, off offset:32
	v_mul_f32_e32 v18, v43, v18
	v_lshrrev_b32_e32 v27, 16, v18
.LBB473_78:
	s_or_b64 exec, exec, s[6:7]
	s_and_saveexec_b64 s[6:7], s[0:1]
	s_cbranch_execz .LBB473_80
; %bb.79:
	v_mov_b32_e32 v31, 0
	v_lshl_add_u64 v[46:47], v[24:25], 0, v[30:31]
	global_load_ushort v18, v[46:47], off offset:32
	v_lshl_add_u64 v[30:31], v[22:23], 0, v[30:31]
	s_waitcnt vmcnt(0)
	v_lshlrev_b32_e32 v18, 16, v18
	v_sub_f32_e32 v18, v18, v19
	global_store_short_d16_hi v[30:31], v18, off offset:32
	v_mul_f32_e32 v18, v37, v18
	v_lshrrev_b32_e32 v31, 16, v18
.LBB473_80:
	s_or_b64 exec, exec, s[6:7]
	v_mov_b32_e32 v26, 0
	v_mov_b32_e32 v30, 0
	s_and_saveexec_b64 s[0:1], s[2:3]
	s_cbranch_execz .LBB473_82
; %bb.81:
	v_mov_b32_e32 v33, 0
	v_lshl_add_u64 v[18:19], v[24:25], 0, v[32:33]
	global_load_ushort v29, v[18:19], off offset:32
	v_lshl_add_u64 v[18:19], v[22:23], 0, v[32:33]
	s_waitcnt vmcnt(0)
	v_lshlrev_b32_e32 v29, 16, v29
	v_sub_f32_e32 v20, v29, v20
	global_store_short_d16_hi v[18:19], v20, off offset:32
	v_mul_f32_e32 v18, v44, v20
	v_lshrrev_b32_e32 v30, 16, v18
.LBB473_82:
	s_or_b64 exec, exec, s[0:1]
	v_or_b32_e32 v19, 0xb000, v40
	v_or_b32_e32 v18, 0xb000, v41
	s_and_saveexec_b64 s[0:1], s[4:5]
	s_cbranch_execz .LBB473_84
; %bb.83:
	v_mov_b32_e32 v29, 0
	v_lshl_add_u64 v[24:25], v[24:25], 0, v[28:29]
	global_load_ushort v20, v[24:25], off offset:32
	v_lshl_add_u64 v[22:23], v[22:23], 0, v[28:29]
	s_waitcnt vmcnt(0)
	v_lshlrev_b32_e32 v20, 16, v20
	v_sub_f32_e32 v20, v20, v21
	global_store_short_d16_hi v[22:23], v20, off offset:32
	v_mul_f32_e32 v20, v42, v20
	v_lshrrev_b32_e32 v26, 16, v20
.LBB473_84:
	s_or_b64 exec, exec, s[0:1]
	s_mov_b32 s0, 0x5040100
	v_or_b32_e32 v22, v45, v35
	v_perm_b32 v21, v26, v30, s0
	v_perm_b32 v20, v31, v27, s0
	v_lshlrev_b32_e32 v22, 1, v22
	s_movk_i32 s2, 0x100
	ds_write_b64 v22, v[20:21] offset:45056
	v_and_b32_e32 v20, 7, v0
	v_and_b32_e32 v21, 8, v0
	v_cmp_gt_u32_e32 vcc, s2, v0
	v_lshrrev_b32_e32 v0, 1, v0
	v_lshlrev_b32_e32 v26, 3, v20
	v_lshlrev_b32_e32 v48, 7, v20
	v_mov_b32_e32 v20, 0x4000
	v_mov_b32_e32 v22, 0x2000
	v_lshlrev_b32_e32 v24, 3, v1
	v_and_b32_e32 v0, 24, v0
	v_cndmask_b32_e32 v27, v20, v22, vcc
	v_xor_b32_e32 v20, v24, v0
	v_or_b32_e32 v22, 0x440, v20
	v_cmp_eq_u32_e32 vcc, 0, v21
	v_or_b32_e32 v28, 32, v0
	v_xor_b32_e32 v28, v24, v28
	v_cndmask_b32_e32 v20, v22, v20, vcc
	v_or_b32_e32 v20, v20, v39
	v_xor_b32_e32 v49, v20, v26
	v_or_b32_e32 v29, 0x440, v28
	v_add3_u32 v25, v27, v49, v48
	v_cndmask_b32_e32 v28, v29, v28, vcc
	v_or_b32_e32 v29, 64, v0
	v_or_b32_e32 v0, 0x60, v0
	s_waitcnt lgkmcnt(0)
	s_barrier
	v_xor_b32_e32 v29, v24, v29
	v_xor_b32_e32 v0, v24, v0
	ds_read_b64 v[24:25], v25
	v_xor_b32_e32 v30, 0x440, v29
	ds_read2_b64 v[20:23], v19 offset1:16
	v_cndmask_b32_e32 v29, v30, v29, vcc
	v_xor_b32_e32 v30, 0x440, v0
	v_or_b32_e32 v28, v28, v39
	v_or_b32_e32 v29, v29, v39
	v_cndmask_b32_e32 v0, v30, v0, vcc
	s_add_i32 s0, s17, s51
	v_xor_b32_e32 v50, v28, v26
	v_xor_b32_e32 v51, v29, v26
	v_or_b32_e32 v0, v0, v39
	s_mul_hi_i32 s1, s0, s25
	v_add3_u32 v28, v27, v50, v48
	v_add3_u32 v29, v27, v51, v48
	v_xor_b32_e32 v52, v0, v26
	s_mul_i32 s0, s0, s25
	v_add3_u32 v0, v27, v52, v48
	ds_read_b64 v[26:27], v28
	ds_read_b64 v[42:43], v29
	ds_read_b64 v[44:45], v0
	s_add_u32 s0, s0, s33
	ds_read2st64_b64 v[28:31], v19 offset0:2 offset1:4
	ds_read2st64_b64 v[38:41], v18 offset0:2 offset1:4
	s_waitcnt lgkmcnt(5)
	v_mfma_f32_16x16x16_bf16 a[0:3], v[24:25], v[20:21], 0
	s_addc_u32 s1, s1, s50
	s_lshl_b64 s[0:1], s[0:1], 9
	s_add_u32 s0, s8, s0
	v_mfma_f32_16x16x16_bf16 a[4:7], v[24:25], v[22:23], 0
	s_addc_u32 s1, s9, s1
	v_lshlrev_b32_e32 v0, 2, v36
	ds_read_b64 v[36:37], v19 offset:3072
	ds_read_b64 v[46:47], v18 offset:3072
	s_waitcnt lgkmcnt(3)
	v_mfma_f32_16x16x16_bf16 a[0:3], v[26:27], v[28:29], a[0:3]
	s_waitcnt lgkmcnt(2)
	v_mfma_f32_16x16x16_bf16 a[4:7], v[26:27], v[38:39], a[4:7]
	global_load_dwordx4 v[24:27], v0, s[0:1]
	v_lshlrev_b32_e32 v0, 6, v1
	v_lshlrev_b32_e32 v1, 2, v34
	v_or3_b32 v0, v0, v1, s2
	global_load_dwordx4 v[32:35], v0, s[0:1]
	v_mfma_f32_16x16x16_bf16 a[0:3], v[42:43], v[30:31], a[0:3]
	v_mov_b32_e32 v0, 0x3fb8aa3b
	v_mul_f32_e32 v0, s16, v0
	s_waitcnt vmcnt(1)
	v_mul_f32_e32 v18, 0x3fb8aa3b, v26
	v_mfma_f32_16x16x16_bf16 a[4:7], v[42:43], v[40:41], a[4:7]
	v_exp_f32_e32 v42, v0
	v_mul_f32_e32 v0, 0x3fb8aa3b, v24
	v_exp_f32_e32 v24, v18
	s_waitcnt lgkmcnt(1)
	v_mfma_f32_16x16x16_bf16 a[0:3], v[44:45], v[36:37], a[0:3]
	v_add_u32_e32 v18, v49, v48
	v_mul_f32_e32 v19, 0x3fb8aa3b, v27
	v_mul_f32_e32 v1, 0x3fb8aa3b, v25
	v_exp_f32_e32 v0, v0
	v_exp_f32_e32 v1, v1
	;; [unrolled: 1-line block ×3, first 2 shown]
	v_pk_mul_f32 v[0:1], v[42:43], v[0:1] op_sel_hi:[0,1]
	v_accvgpr_read_b32 v27, a3
	v_accvgpr_read_b32 v26, a2
	s_waitcnt lgkmcnt(0)
	v_mfma_f32_16x16x16_bf16 a[2:5], v[44:45], v[46:47], a[4:7]
	ds_read_b64 v[44:45], v18 offset:16384
	v_accvgpr_read_b32 v19, a1
	v_accvgpr_read_b32 v18, a0
	v_pk_fma_f32 v[18:19], v[2:3], v[0:1], v[18:19]
	v_add_u32_e32 v2, v50, v48
	v_add_u32_e32 v50, v52, v48
	s_waitcnt lgkmcnt(0)
	v_mfma_f32_16x16x16_bf16 a[6:9], v[44:45], v[20:21], 0
	v_add_u32_e32 v43, v51, v48
	ds_read_b64 v[2:3], v2 offset:16384
	ds_read_b64 v[48:49], v43 offset:16384
	;; [unrolled: 1-line block ×3, first 2 shown]
	v_pk_mul_f32 v[24:25], v[42:43], v[24:25] op_sel_hi:[0,1]
	v_pk_fma_f32 v[20:21], v[4:5], v[24:25], v[26:27]
	v_accvgpr_read_b32 v4, a2
	v_mfma_f32_16x16x16_bf16 a[10:13], v[44:45], v[22:23], 0
	v_fma_f32 v26, v10, v0, v4
	v_accvgpr_read_b32 v0, a3
	v_fma_f32 v27, v11, v1, v0
	s_waitcnt lgkmcnt(2)
	v_mfma_f32_16x16x16_bf16 a[0:3], v[2:3], v[28:29], a[6:9]
	v_accvgpr_read_b32 v0, a4
	v_accvgpr_read_b32 v29, a5
	v_fma_f32 v28, v12, v24, v0
	v_mfma_f32_16x16x16_bf16 a[4:7], v[2:3], v[38:39], a[10:13]
	s_waitcnt vmcnt(0)
	v_mov_b32_e32 v0, v33
	v_mov_b32_e32 v1, v34
	;; [unrolled: 1-line block ×3, first 2 shown]
	s_waitcnt lgkmcnt(1)
	v_mfma_f32_16x16x16_bf16 a[0:3], v[48:49], v[30:31], a[0:3]
	v_mul_f32_e32 v0, 0x3fb8aa3b, v0
	v_exp_f32_e32 v5, v0
	v_mul_f32_e32 v0, 0x3fb8aa3b, v1
	v_mfma_f32_16x16x16_bf16 a[4:7], v[48:49], v[40:41], a[4:7]
	v_mul_f32_e32 v1, 0x3fb8aa3b, v2
	v_mul_f32_e32 v3, 0x3fb8aa3b, v32
	v_exp_f32_e32 v0, v0
	s_waitcnt lgkmcnt(0)
	v_mfma_f32_16x16x16_bf16 a[0:3], v[50:51], v[36:37], a[0:3]
	v_exp_f32_e32 v1, v1
	v_exp_f32_e32 v4, v3
	v_fmac_f32_e32 v29, v13, v25
	v_pk_mul_f32 v[0:1], v[42:43], v[0:1] op_sel_hi:[0,1]
	v_pk_mul_f32 v[4:5], v[42:43], v[4:5] op_sel_hi:[0,1]
	s_nop 1
	v_accvgpr_read_b32 v3, a3
	v_accvgpr_read_b32 v2, a2
	v_mfma_f32_16x16x16_bf16 a[2:5], v[50:51], v[46:47], a[4:7]
	v_pk_fma_f32 v[24:25], v[8:9], v[0:1], v[2:3]
	v_accvgpr_read_b32 v11, a1
	v_accvgpr_read_b32 v10, a0
	v_pk_fma_f32 v[22:23], v[6:7], v[4:5], v[10:11]
	s_nop 2
	v_accvgpr_read_b32 v2, a2
	v_fma_f32 v30, v14, v4, v2
	v_accvgpr_read_b32 v2, a3
	v_fma_f32 v31, v15, v5, v2
	v_accvgpr_read_b32 v2, a4
	v_accvgpr_read_b32 v33, a5
	v_fma_f32 v32, v16, v0, v2
	v_fmac_f32_e32 v33, v17, v1
	v_mov_b64_e32 v[2:3], v[18:19]
	v_mov_b64_e32 v[4:5], v[20:21]
	;; [unrolled: 1-line block ×8, first 2 shown]
.LBB473_85:
	s_add_u32 s0, s10, s34
	s_addc_u32 s1, s11, s35
	v_lshl_add_u64 v[0:1], v[66:67], 2, s[0:1]
	v_mov_b32_e32 v63, 0
	v_lshl_add_u64 v[0:1], v[0:1], 0, v[62:63]
	global_store_dwordx4 v[0:1], v[2:5], off
	global_store_dwordx4 v[0:1], v[6:9], off offset:256
	v_lshl_add_u64 v[0:1], v[64:65], 2, s[0:1]
	v_lshl_add_u64 v[0:1], v[0:1], 0, v[62:63]
	global_store_dwordx4 v[0:1], v[10:13], off
	global_store_dwordx4 v[0:1], v[14:17], off offset:256
	s_endpgm
	.section	.rodata,"a",@progbits
	.p2align	6, 0x0
	.amdhsa_kernel _ZN12_GLOBAL__N_139chunk_gated_delta_rule_fwd_h_hip_kernelILi32ELb1ELb1ELb1ELb0ELb0ELb1ELb0ELb0EEEvPK12hip_bfloat16S3_S3_PKfS5_PKvPS1_S8_PvPKiSB_iiiiilll
		.amdhsa_group_segment_fixed_size 49152
		.amdhsa_private_segment_fixed_size 0
		.amdhsa_kernarg_size 136
		.amdhsa_user_sgpr_count 2
		.amdhsa_user_sgpr_dispatch_ptr 0
		.amdhsa_user_sgpr_queue_ptr 0
		.amdhsa_user_sgpr_kernarg_segment_ptr 1
		.amdhsa_user_sgpr_dispatch_id 0
		.amdhsa_user_sgpr_kernarg_preload_length 0
		.amdhsa_user_sgpr_kernarg_preload_offset 0
		.amdhsa_user_sgpr_private_segment_size 0
		.amdhsa_uses_dynamic_stack 0
		.amdhsa_enable_private_segment 0
		.amdhsa_system_sgpr_workgroup_id_x 1
		.amdhsa_system_sgpr_workgroup_id_y 1
		.amdhsa_system_sgpr_workgroup_id_z 0
		.amdhsa_system_sgpr_workgroup_info 0
		.amdhsa_system_vgpr_workitem_id 0
		.amdhsa_next_free_vgpr 172
		.amdhsa_next_free_sgpr 76
		.amdhsa_accum_offset 148
		.amdhsa_reserve_vcc 1
		.amdhsa_float_round_mode_32 0
		.amdhsa_float_round_mode_16_64 0
		.amdhsa_float_denorm_mode_32 3
		.amdhsa_float_denorm_mode_16_64 3
		.amdhsa_dx10_clamp 1
		.amdhsa_ieee_mode 1
		.amdhsa_fp16_overflow 0
		.amdhsa_tg_split 0
		.amdhsa_exception_fp_ieee_invalid_op 0
		.amdhsa_exception_fp_denorm_src 0
		.amdhsa_exception_fp_ieee_div_zero 0
		.amdhsa_exception_fp_ieee_overflow 0
		.amdhsa_exception_fp_ieee_underflow 0
		.amdhsa_exception_fp_ieee_inexact 0
		.amdhsa_exception_int_div_zero 0
	.end_amdhsa_kernel
	.section	.text._ZN12_GLOBAL__N_139chunk_gated_delta_rule_fwd_h_hip_kernelILi32ELb1ELb1ELb1ELb0ELb0ELb1ELb0ELb0EEEvPK12hip_bfloat16S3_S3_PKfS5_PKvPS1_S8_PvPKiSB_iiiiilll,"axG",@progbits,_ZN12_GLOBAL__N_139chunk_gated_delta_rule_fwd_h_hip_kernelILi32ELb1ELb1ELb1ELb0ELb0ELb1ELb0ELb0EEEvPK12hip_bfloat16S3_S3_PKfS5_PKvPS1_S8_PvPKiSB_iiiiilll,comdat
.Lfunc_end473:
	.size	_ZN12_GLOBAL__N_139chunk_gated_delta_rule_fwd_h_hip_kernelILi32ELb1ELb1ELb1ELb0ELb0ELb1ELb0ELb0EEEvPK12hip_bfloat16S3_S3_PKfS5_PKvPS1_S8_PvPKiSB_iiiiilll, .Lfunc_end473-_ZN12_GLOBAL__N_139chunk_gated_delta_rule_fwd_h_hip_kernelILi32ELb1ELb1ELb1ELb0ELb0ELb1ELb0ELb0EEEvPK12hip_bfloat16S3_S3_PKfS5_PKvPS1_S8_PvPKiSB_iiiiilll
                                        ; -- End function
	.section	.AMDGPU.csdata,"",@progbits
; Kernel info:
; codeLenInByte = 10040
; NumSgprs: 82
; NumVgprs: 148
; NumAgprs: 24
; TotalNumVgprs: 172
; ScratchSize: 0
; MemoryBound: 0
; FloatMode: 240
; IeeeMode: 1
; LDSByteSize: 49152 bytes/workgroup (compile time only)
; SGPRBlocks: 10
; VGPRBlocks: 21
; NumSGPRsForWavesPerEU: 82
; NumVGPRsForWavesPerEU: 172
; AccumOffset: 148
; Occupancy: 1
; WaveLimiterHint : 1
; COMPUTE_PGM_RSRC2:SCRATCH_EN: 0
; COMPUTE_PGM_RSRC2:USER_SGPR: 2
; COMPUTE_PGM_RSRC2:TRAP_HANDLER: 0
; COMPUTE_PGM_RSRC2:TGID_X_EN: 1
; COMPUTE_PGM_RSRC2:TGID_Y_EN: 1
; COMPUTE_PGM_RSRC2:TGID_Z_EN: 0
; COMPUTE_PGM_RSRC2:TIDIG_COMP_CNT: 0
; COMPUTE_PGM_RSRC3_GFX90A:ACCUM_OFFSET: 36
; COMPUTE_PGM_RSRC3_GFX90A:TG_SPLIT: 0
	.section	.text._ZN12_GLOBAL__N_139chunk_gated_delta_rule_fwd_h_hip_kernelILi32ELb1ELb1ELb0ELb0ELb0ELb1ELb0ELb0EEEvPK12hip_bfloat16S3_S3_PKfS5_PKvPS1_S8_PvPKiSB_iiiiilll,"axG",@progbits,_ZN12_GLOBAL__N_139chunk_gated_delta_rule_fwd_h_hip_kernelILi32ELb1ELb1ELb0ELb0ELb0ELb1ELb0ELb0EEEvPK12hip_bfloat16S3_S3_PKfS5_PKvPS1_S8_PvPKiSB_iiiiilll,comdat
	.globl	_ZN12_GLOBAL__N_139chunk_gated_delta_rule_fwd_h_hip_kernelILi32ELb1ELb1ELb0ELb0ELb0ELb1ELb0ELb0EEEvPK12hip_bfloat16S3_S3_PKfS5_PKvPS1_S8_PvPKiSB_iiiiilll ; -- Begin function _ZN12_GLOBAL__N_139chunk_gated_delta_rule_fwd_h_hip_kernelILi32ELb1ELb1ELb0ELb0ELb0ELb1ELb0ELb0EEEvPK12hip_bfloat16S3_S3_PKfS5_PKvPS1_S8_PvPKiSB_iiiiilll
	.p2align	8
	.type	_ZN12_GLOBAL__N_139chunk_gated_delta_rule_fwd_h_hip_kernelILi32ELb1ELb1ELb0ELb0ELb0ELb1ELb0ELb0EEEvPK12hip_bfloat16S3_S3_PKfS5_PKvPS1_S8_PvPKiSB_iiiiilll,@function
_ZN12_GLOBAL__N_139chunk_gated_delta_rule_fwd_h_hip_kernelILi32ELb1ELb1ELb0ELb0ELb0ELb1ELb0ELb0EEEvPK12hip_bfloat16S3_S3_PKfS5_PKvPS1_S8_PvPKiSB_iiiiilll: ; @_ZN12_GLOBAL__N_139chunk_gated_delta_rule_fwd_h_hip_kernelILi32ELb1ELb1ELb0ELb0ELb0ELb1ELb0ELb0EEEvPK12hip_bfloat16S3_S3_PKfS5_PKvPS1_S8_PvPKiSB_iiiiilll
; %bb.0:
	s_load_dwordx4 s[12:15], s[0:1], 0x5c
	s_abs_i32 s6, s3
	s_ashr_i32 s5, s3, 31
	s_load_dwordx4 s[16:19], s[0:1], 0x20
	s_load_dwordx2 s[38:39], s[0:1], 0x30
	v_and_b32_e32 v77, 15, v0
	s_waitcnt lgkmcnt(0)
	s_abs_i32 s4, s13
	v_cvt_f32_u32_e32 v1, s4
	s_sub_i32 s8, 0, s4
	s_ashr_i32 s7, s13, 31
	s_xor_b32 s5, s5, s7
	v_rcp_iflag_f32_e32 v1, v1
	v_bfe_u32 v76, v0, 4, 2
	v_mov_b32_e32 v63, 0
	v_lshlrev_b32_e32 v78, 3, v0
	v_mul_f32_e32 v1, 0x4f7ffffe, v1
	v_cvt_u32_f32_e32 v1, v1
	s_nop 0
	v_readfirstlane_b32 s9, v1
	s_mul_i32 s8, s8, s9
	s_mul_hi_u32 s8, s9, s8
	s_add_i32 s9, s9, s8
	s_mul_hi_u32 s8, s6, s9
	s_mul_i32 s9, s8, s4
	s_sub_i32 s6, s6, s9
	s_add_i32 s10, s8, 1
	s_sub_i32 s9, s6, s4
	s_cmp_ge_u32 s6, s4
	s_cselect_b32 s8, s10, s8
	s_cselect_b32 s6, s9, s6
	s_add_i32 s9, s8, 1
	s_cmp_ge_u32 s6, s4
	s_cselect_b32 s6, s9, s8
	s_xor_b32 s6, s6, s5
	s_sub_i32 s56, s6, s5
	s_mul_i32 s6, s56, s13
	s_sub_i32 s33, s3, s6
	s_abs_i32 s3, s14
	v_cvt_f32_u32_e32 v1, s3
	s_add_i32 s8, s12, 63
	s_ashr_i32 s9, s8, 31
	s_lshr_b32 s5, s9, 26
	v_rcp_iflag_f32_e32 v1, v1
	s_ashr_i32 s55, s12, 31
	s_add_i32 s8, s8, s5
	s_lshr_b32 s5, s55, 26
	v_mul_f32_e32 v1, 0x4f7ffffe, v1
	v_cvt_u32_f32_e32 v1, v1
	s_add_i32 s5, s12, s5
	s_ashr_i32 s58, s14, 31
	s_ashr_i32 s24, s8, 6
	;; [unrolled: 1-line block ×3, first 2 shown]
	s_xor_b32 s5, s7, s58
	s_sub_i32 s7, 0, s3
	v_readfirstlane_b32 s8, v1
	s_mul_i32 s7, s7, s8
	s_mul_hi_u32 s7, s8, s7
	s_add_i32 s8, s8, s7
	s_mul_hi_u32 s7, s4, s8
	s_mul_i32 s8, s7, s3
	s_sub_i32 s4, s4, s8
	s_lshl_b32 s2, s2, 5
	s_add_i32 s8, s7, 1
	s_sub_i32 s9, s4, s3
	s_cmp_ge_u32 s4, s3
	s_cselect_b32 s7, s8, s7
	s_cselect_b32 s4, s9, s4
	s_add_i32 s8, s7, 1
	s_cmp_ge_u32 s4, s3
	s_cselect_b32 s3, s8, s7
	s_xor_b32 s3, s3, s5
	s_sub_i32 s3, s3, s5
	s_abs_i32 s4, s3
	v_cvt_f32_u32_e32 v1, s4
	s_sub_i32 s7, 0, s4
	s_abs_i32 s5, s33
	s_xor_b32 s3, s33, s3
	v_rcp_iflag_f32_e32 v2, v1
	s_ashr_i32 s3, s3, 31
	v_lshrrev_b32_e32 v1, 6, v0
	v_or_b32_e32 v68, s2, v77
	v_mul_f32_e32 v2, 0x4f7ffffe, v2
	v_cvt_u32_f32_e32 v2, v2
	v_lshlrev_b32_e32 v61, 4, v1
	v_lshlrev_b32_e32 v66, 7, v68
	v_lshl_or_b32 v80, v76, 2, v61
	v_readfirstlane_b32 s8, v2
	s_mul_i32 s7, s7, s8
	s_mul_hi_u32 s7, s8, s7
	s_add_i32 s8, s8, s7
	s_mul_hi_u32 s7, s5, s8
	s_mul_i32 s8, s7, s4
	s_sub_i32 s5, s5, s8
	s_add_i32 s8, s7, 1
	s_sub_i32 s9, s5, s4
	s_cmp_ge_u32 s5, s4
	s_cselect_b32 s7, s8, s7
	s_cselect_b32 s5, s9, s5
	s_add_i32 s8, s7, 1
	s_cmp_ge_u32 s5, s4
	s_cselect_b32 s4, s8, s7
	s_xor_b32 s4, s4, s3
	s_sub_i32 s59, s4, s3
	s_ashr_i32 s3, s56, 31
	s_ashr_i32 s48, s33, 31
	s_mul_hi_i32 s4, s56, s13
	s_add_u32 s40, s6, s33
	s_addc_u32 s41, s4, s48
	s_lshl_b64 s[28:29], s[40:41], 16
	s_add_u32 s4, s18, s28
	s_addc_u32 s5, s19, s29
	v_ashrrev_i32_e32 v67, 31, v66
	v_lshl_add_u64 v[2:3], v[66:67], 2, s[4:5]
	v_lshlrev_b32_e32 v62, 2, v80
	v_or_b32_e32 v64, 0x800, v66
	v_lshl_add_u64 v[10:11], v[2:3], 0, v[62:63]
	v_ashrrev_i32_e32 v65, 31, v64
	global_load_dwordx4 v[2:5], v[10:11], off
	global_load_dwordx4 v[6:9], v[10:11], off offset:256
	v_lshl_add_u64 v[10:11], v[64:65], 2, s[4:5]
	v_lshl_add_u64 v[10:11], v[10:11], 0, v[62:63]
	global_load_dwordx4 v[18:21], v[10:11], off
	global_load_dwordx4 v[22:25], v[10:11], off offset:256
	s_load_dwordx2 s[18:19], s[0:1], 0x40
	s_load_dwordx8 s[4:11], s[0:1], 0x0
	s_load_dwordx2 s[30:31], s[0:1], 0x80
	s_load_dwordx4 s[20:23], s[0:1], 0x70
	v_and_b32_e32 v63, 63, v0
	s_mul_i32 s49, s56, s12
	s_mul_i32 s60, s56, s24
	v_or_b32_e32 v81, 64, v80
	s_cmp_lt_i32 s12, 64
	v_lshrrev_b32_e32 v79, 3, v63
	s_mul_i32 s61, s41, s12
	s_mul_hi_u32 s62, s40, s12
	s_mul_i32 s42, s40, s12
	s_waitcnt lgkmcnt(0)
	s_mul_i32 s41, s56, s21
	s_mul_hi_u32 s51, s56, s20
	s_mul_i32 s52, s3, s20
	s_mul_i32 s34, s56, s20
	;; [unrolled: 1-line block ×3, first 2 shown]
	s_mul_hi_u32 s53, s33, s22
	s_mul_i32 s54, s48, s22
	s_mul_i32 s36, s33, s22
	s_cbranch_scc1 .LBB474_3
; %bb.1:
	s_add_i32 s43, s62, s61
	s_lshl_b64 s[0:1], s[42:43], 8
	v_and_b32_e32 v83, 56, v78
	s_add_u32 s20, s6, s0
	v_lshl_or_b32 v82, v1, 3, v79
	v_lshlrev_b32_e32 v10, 1, v83
	s_addc_u32 s0, s7, s1
	v_lshl_or_b32 v84, v82, 8, v10
	s_and_b32 s21, s0, 0xffff
	s_mov_b32 s23, 0x20000
	s_movk_i32 s22, 0x4000
	s_movk_i32 s0, 0x80
	v_or_b32_e32 v85, 0x2000, v84
	buffer_load_dwordx4 v[12:15], v84, s[20:23], 0 offen
	buffer_load_dwordx4 v[26:29], v84, s[20:23], s0 offen
	;; [unrolled: 1-line block ×4, first 2 shown]
	v_lshlrev_b32_e32 v11, 3, v82
	v_and_or_b32 v17, v0, 7, v11
	v_and_b32_e32 v11, 0x78, v11
	v_lshlrev_b32_e32 v17, 4, v17
	v_xor_b32_e32 v86, v17, v11
	v_mul_lo_u32 v16, v82, s15
	v_or_b32_e32 v87, 0x1000, v86
	v_xor_b32_e32 v11, 8, v86
	s_cmpk_eq_i32 s15, 0x80
	s_mov_b32 s63, s14
	v_xor_b32_e32 v17, 8, v87
	s_cselect_b64 s[0:1], -1, 0
	s_cmpk_lg_i32 s15, 0x80
	s_waitcnt vmcnt(3)
	ds_write_b64 v86, v[12:13] offset:24576
	ds_write_b64 v11, v[14:15] offset:24576
	s_waitcnt vmcnt(2)
	ds_write_b64 v86, v[26:27] offset:32768
	ds_write_b64 v11, v[28:29] offset:32768
	;; [unrolled: 3-line block ×4, first 2 shown]
	v_lshl_add_u32 v11, v16, 1, v83
	s_cbranch_scc0 .LBB474_4
; %bb.2:
	v_lshlrev_b32_e32 v13, 1, v11
	v_add_lshl_u32 v12, v11, s15, 1
	s_lshl_b32 s22, s15, 7
	v_lshl_or_b32 v10, v82, 9, v10
	s_cbranch_execz .LBB474_5
	s_branch .LBB474_6
.LBB474_3:
	s_waitcnt vmcnt(0)
	v_mov_b32_e32 v17, v25
	v_mov_b32_e32 v16, v24
	;; [unrolled: 1-line block ×5, first 2 shown]
	s_branch .LBB474_20
.LBB474_4:
                                        ; implicit-def: $vgpr12
                                        ; implicit-def: $vgpr13
                                        ; implicit-def: $sgpr22
	v_lshl_or_b32 v10, v82, 9, v10
.LBB474_5:
	v_or_b32_e32 v12, 0x100, v10
	s_movk_i32 s22, 0x4000
	v_mov_b32_e32 v13, v10
.LBB474_6:
	s_mul_hi_u32 s20, s14, s12
	s_mul_i32 s21, s58, s12
	s_add_i32 s20, s20, s21
	s_mul_i32 s21, s14, s12
	s_mul_i32 s23, s21, s3
	s_mul_hi_u32 s24, s21, s56
	s_add_i32 s23, s24, s23
	s_mul_i32 s20, s20, s56
	s_add_i32 s23, s23, s20
	s_mul_i32 s21, s21, s56
	s_ashr_i32 s64, s59, 31
	s_add_u32 s20, s21, s59
	s_addc_u32 s21, s23, s64
	s_lshl_b64 s[20:21], s[20:21], 8
	s_add_u32 s20, s4, s20
	s_addc_u32 s21, s5, s21
	s_and_b32 s21, s21, 0xffff
	s_mov_b32 s23, 0x20000
	s_movk_i32 s65, 0x80
	buffer_load_dwordx4 v[14:17], v13, s[20:23], 0 offen
	buffer_load_dwordx4 v[26:29], v13, s[20:23], s65 offen
	;; [unrolled: 1-line block ×4, first 2 shown]
	v_and_b32_e32 v12, 6, v0
	v_lshlrev_b32_e32 v39, 6, v80
	v_or_b32_e32 v41, 16, v77
	v_xor_b32_e32 v42, v82, v12
	v_and_b32_e32 v13, 1, v0
	s_mul_i32 s3, s3, s12
	s_mul_hi_u32 s20, s56, s12
	v_lshl_or_b32 v45, v77, 3, v39
	v_lshl_or_b32 v39, v41, 3, v39
	v_lshlrev_b32_e32 v42, 2, v42
	v_lshlrev_b32_e32 v38, 2, v77
	v_or_b32_e32 v90, 0xa000, v39
	v_or_b32_e32 v91, 0xb000, v39
	v_xor_b32_e32 v39, 0x440, v42
	v_cmp_eq_u32_e32 vcc, 0, v13
	s_add_i32 s69, s20, s3
	s_add_i32 s3, s51, s41
	v_xor_b32_e32 v43, v80, v38
	v_xor_b32_e32 v44, v81, v38
	v_cndmask_b32_e32 v13, v39, v42, vcc
	s_add_i32 s35, s3, s52
	s_add_i32 s3, s53, s50
	s_mov_b32 s67, 0x1000504
	v_lshlrev_b32_e32 v40, 8, v77
	v_lshlrev_b32_e32 v43, 1, v43
	;; [unrolled: 1-line block ×3, first 2 shown]
	v_lshl_or_b32 v12, v12, 10, v13
	s_add_i32 s37, s3, s54
	s_lshl_b64 s[20:21], s[34:35], 2
	s_mov_b32 s68, 0x3020706
	v_or_b32_e32 v88, 0xa000, v45
	v_or_b32_e32 v89, 0xb000, v45
	;; [unrolled: 1-line block ×4, first 2 shown]
	v_xor_b32_e32 v13, 8, v12
	v_xor_b32_e32 v40, 24, v12
	;; [unrolled: 1-line block ×4, first 2 shown]
	s_add_u32 s3, s10, s20
	v_xor_b32_e32 v39, 16, v12
	v_xor_b32_e32 v42, 32, v12
	;; [unrolled: 1-line block ×3, first 2 shown]
	v_add_u32_e32 v13, 0x80, v13
	v_add_u32_e32 v40, 0x80, v40
	;; [unrolled: 1-line block ×4, first 2 shown]
	s_addc_u32 s22, s11, s21
	s_lshl_b64 s[20:21], s[36:37], 2
	s_add_u32 s44, s3, s20
	s_movk_i32 s3, 0xf8
	s_addc_u32 s45, s22, s21
	s_lshl_b32 s26, s15, 7
	s_movk_i32 s24, 0x100
	v_mov_b32_e32 v71, 0
	v_lshlrev_b32_e32 v70, 4, v77
	v_cmp_gt_u32_e32 vcc, s24, v0
	v_lshlrev_b32_e32 v41, 8, v41
	v_ashrrev_i32_e32 v69, 31, v68
	s_mov_b32 s66, 0
	v_or_b32_e32 v94, v41, v43
	v_or_b32_e32 v95, v41, v44
	s_movk_i32 s35, 0x1000
	s_movk_i32 s22, 0x4000
	v_lshl_add_u64 v[72:73], v[68:69], 1, s[8:9]
	s_mov_b32 s37, 0x7060302
	v_mov_b32_e32 v118, 0x3fb8aa3b
	s_mov_b32 s71, 0
	s_waitcnt vmcnt(1)
	v_perm_b32 v48, v14, v30, s67
	s_waitcnt vmcnt(0)
	v_perm_b32 v49, v26, v34, s67
	v_perm_b32 v14, v14, v30, s68
	;; [unrolled: 1-line block ×15, first 2 shown]
	ds_write2st64_b32 v12, v48, v49 offset0:32 offset1:64
	ds_write2st64_b32 v13, v14, v26 offset0:32 offset1:64
	;; [unrolled: 1-line block ×8, first 2 shown]
	v_or_b32_e32 v12, v61, v77
	v_lshlrev_b32_e32 v12, 3, v12
	v_lshrrev_b32_e32 v15, 5, v63
	v_and_or_b32 v15, v12, s3, v15
	v_lshlrev_b32_e32 v15, 4, v15
	v_lshlrev_b32_e32 v17, 11, v1
	v_and_b32_e32 v12, 0x78, v12
	v_or_b32_e32 v28, 32, v15
	v_and_b32_e32 v14, 0x1000, v17
	v_lshrrev_b32_e32 v26, 1, v63
	v_xor_b32_e32 v28, v28, v12
	v_xor_b32_e32 v16, v15, v12
	v_and_b32_e32 v26, 8, v26
	v_or_b32_e32 v28, v28, v14
	v_or_b32_e32 v16, v16, v14
	v_lshlrev_b32_e32 v27, 7, v76
	v_xor_b32_e32 v98, v28, v26
	v_or_b32_e32 v28, 64, v15
	v_or_b32_e32 v15, 0x60, v15
	s_ashr_i32 s3, s2, 31
	v_xor_b32_e32 v96, v16, v26
	v_or_b32_e32 v16, v27, v38
	v_xor_b32_e32 v28, v28, v12
	v_xor_b32_e32 v12, v15, v12
	s_lshl_b64 s[20:21], s[2:3], 8
	v_lshlrev_b32_e32 v16, 1, v16
	v_or_b32_e32 v28, v28, v14
	v_or_b32_e32 v12, v12, v14
	s_add_u32 s20, s38, s20
	v_lshlrev_b32_e32 v14, 1, v77
	v_or_b32_e32 v97, 0xa000, v16
	v_or_b32_e32 v99, 0xa080, v16
	;; [unrolled: 1-line block ×4, first 2 shown]
	v_lshrrev_b32_e32 v16, 4, v0
	s_addc_u32 s21, s39, s21
	v_or_b32_e32 v15, 1, v14
	v_mov_b32_e32 v33, 0x4000
	v_mov_b32_e32 v34, 0x2000
	v_lshrrev_b32_e32 v35, 1, v0
	v_xor_b32_e32 v100, v28, v26
	v_xor_b32_e32 v101, v12, v26
	v_xor_b32_e32 v26, v16, v14
	v_xor_b32_e32 v30, v15, v16
	v_lshl_add_u64 v[14:15], s[20:21], 0, v[70:71]
	v_lshlrev_b32_e32 v70, 8, v16
	v_cndmask_b32_e32 v33, v33, v34, vcc
	v_lshlrev_b32_e32 v34, 3, v1
	v_and_b32_e32 v35, 24, v35
	v_lshl_or_b32 v104, v26, 3, v70
	v_and_b32_e32 v26, 8, v0
	v_xor_b32_e32 v36, v34, v35
	v_or_b32_e32 v37, 0x440, v36
	v_cmp_eq_u32_e32 vcc, 0, v26
	v_and_b32_e32 v16, 7, v0
	v_lshl_or_b32 v105, v30, 3, v70
	v_cndmask_b32_e32 v26, v37, v36, vcc
	v_lshlrev_b32_e32 v30, 3, v16
	v_lshlrev_b32_e32 v32, 2, v0
	v_or_b32_e32 v26, v26, v17
	v_xor_b32_e32 v36, v26, v30
	v_and_or_b32 v26, v32, 60, v27
	v_mov_b32_e32 v27, 0xb000
	v_lshl_or_b32 v106, v26, 1, v27
	v_or_b32_e32 v26, 32, v35
	v_xor_b32_e32 v26, v34, v26
	v_or_b32_e32 v27, 0x440, v26
	v_cndmask_b32_e32 v26, v27, v26, vcc
	v_or_b32_e32 v26, v26, v17
	v_xor_b32_e32 v27, v26, v30
	v_or_b32_e32 v26, 64, v35
	v_xor_b32_e32 v26, v34, v26
	v_xor_b32_e32 v38, 0x440, v26
	v_cndmask_b32_e32 v26, v38, v26, vcc
	v_or_b32_e32 v26, v26, v17
	v_xor_b32_e32 v38, v26, v30
	v_or_b32_e32 v26, 0x60, v35
	v_xor_b32_e32 v26, v34, v26
	v_xor_b32_e32 v34, 0x440, v26
	v_cndmask_b32_e32 v26, v34, v26, vcc
	v_lshrrev_b32_e32 v13, 2, v63
	v_or_b32_e32 v17, v26, v17
	v_and_b32_e32 v13, 12, v13
	v_xor_b32_e32 v17, v17, v30
	v_lshlrev_b32_e32 v12, 7, v80
	v_lshlrev_b32_e32 v28, 1, v11
	v_add_lshl_u32 v11, v11, s15, 1
	v_or_b32_e32 v29, 0x100, v10
	v_lshlrev_b32_e32 v31, 7, v16
	v_or_b32_e32 v16, v13, v61
	v_add_u32_e32 v37, v33, v36
	v_add_u32_e32 v32, v33, v27
	;; [unrolled: 1-line block ×4, first 2 shown]
	v_or3_b32 v26, v61, v13, 64
	v_add_u32_e32 v13, 0x4000, v36
	v_add_u32_e32 v27, 0x4000, v27
	;; [unrolled: 1-line block ×4, first 2 shown]
	v_cndmask_b32_e64 v107, v28, v10, s[0:1]
	v_cndmask_b32_e64 v108, v11, v29, s[0:1]
	v_lshl_add_u64 v[74:75], v[14:15], 0, v[70:71]
	s_add_i32 s3, s49, 63
	v_lshlrev_b32_e32 v70, 1, v12
	v_lshlrev_b32_e32 v69, 2, v16
	v_add_u32_e32 v109, v37, v31
	v_add_u32_e32 v110, v32, v31
	;; [unrolled: 1-line block ×4, first 2 shown]
	v_lshlrev_b32_e32 v113, 2, v26
	v_add_u32_e32 v114, v13, v31
	v_add_u32_e32 v115, v27, v31
	v_add_u32_e32 v116, v33, v31
	v_add_u32_e32 v117, v17, v31
	s_waitcnt lgkmcnt(0)
	s_barrier
.LBB474_7:                              ; =>This Inner Loop Header: Depth=1
	s_add_i32 s70, s71, 1
	s_cmp_lt_i32 s70, s57
	s_mov_b64 s[24:25], 0
	s_cselect_b64 s[46:47], -1, 0
	s_cmp_ge_i32 s70, s57
	s_mov_b64 s[20:21], 0
	s_cbranch_scc1 .LBB474_9
; %bb.8:                                ;   in Loop: Header=BB474_7 Depth=1
	s_add_i32 s0, s66, 64
	s_add_u32 s0, s42, s0
	s_addc_u32 s1, s43, 0
	s_lshl_b64 s[0:1], s[0:1], 8
	s_add_u32 s20, s6, s0
	s_addc_u32 s21, s7, s1
.LBB474_9:                              ;   in Loop: Header=BB474_7 Depth=1
	v_cndmask_b32_e64 v10, 0, 1, s[46:47]
	v_cmp_ne_u32_e64 s[0:1], 1, v10
	s_andn2_b64 vcc, exec, s[46:47]
	s_cbranch_vccnz .LBB474_11
; %bb.10:                               ;   in Loop: Header=BB474_7 Depth=1
	s_add_i32 s24, s66, 64
	s_add_u32 s24, s49, s24
	s_addc_u32 s25, s69, 0
	s_mul_i32 s27, s24, s58
	s_mul_hi_u32 s46, s24, s63
	s_add_i32 s27, s46, s27
	s_mul_i32 s25, s25, s63
	s_add_i32 s27, s27, s25
	s_mul_i32 s24, s24, s63
	s_add_u32 s24, s24, s59
	s_addc_u32 s25, s27, s64
	s_lshl_b64 s[24:25], s[24:25], 8
	s_add_u32 s24, s4, s24
	s_addc_u32 s25, s5, s25
.LBB474_11:                             ;   in Loop: Header=BB474_7 Depth=1
	v_perm_b32 v11, v5, v4, s37
	v_perm_b32 v10, v3, v2, s37
	v_perm_b32 v13, v9, v8, s37
	v_perm_b32 v12, v7, v6, s37
	ds_write_b64 v88, v[10:11]
	ds_write_b64 v89, v[12:13]
	;; [unrolled: 1-line block ×4, first 2 shown]
	v_perm_b32 v11, v21, v20, s37
	v_perm_b32 v10, v19, v18, s37
	;; [unrolled: 1-line block ×4, first 2 shown]
	ds_write_b64 v90, v[10:11]
	ds_write_b64 v91, v[12:13]
	;; [unrolled: 1-line block ×4, first 2 shown]
	s_waitcnt lgkmcnt(0)
	s_barrier
	ds_read_b64 v[14:15], v96 offset:24576
	ds_read2_b64 v[10:13], v97 offset1:16
	ds_read_b64 v[26:27], v99 offset:3072
	ds_read_b64 v[28:29], v97 offset:3072
	;; [unrolled: 1-line block ×3, first 2 shown]
	s_waitcnt lgkmcnt(3)
	v_mfma_f32_16x16x16_bf16 a[0:3], v[14:15], v[10:11], 0
	s_add_i32 s27, s66, 63
	s_mul_i32 s46, s27, s31
	s_mul_hi_u32 s47, s27, s30
	v_mfma_f32_16x16x16_bf16 a[4:7], v[14:15], v[12:13], 0
	ds_read2st64_b64 v[10:13], v97 offset0:2 offset1:4
	ds_read2st64_b64 v[14:17], v99 offset0:2 offset1:4
	s_add_i32 s47, s47, s46
	s_waitcnt lgkmcnt(1)
	v_mfma_f32_16x16x16_bf16 a[0:3], v[30:31], v[10:11], a[0:3]
	s_mul_i32 s46, s27, s30
	s_lshl_b64 s[46:47], s[46:47], 2
	s_add_u32 s46, s44, s46
	s_waitcnt lgkmcnt(0)
	v_mfma_f32_16x16x16_bf16 a[4:7], v[30:31], v[14:15], a[4:7]
	ds_read_b64 v[10:11], v100 offset:24576
	ds_read_b64 v[14:15], v101 offset:24576
	s_addc_u32 s47, s45, s47
	s_and_b64 vcc, exec, s[0:1]
	s_waitcnt lgkmcnt(1)
	v_mfma_f32_16x16x16_bf16 a[0:3], v[10:11], v[12:13], a[0:3]
	v_mov_b32_e32 v121, 0
	v_mov_b32_e32 v120, 0
	v_mov_b32_e32 v119, 0
	v_mfma_f32_16x16x16_bf16 a[4:7], v[10:11], v[16:17], a[4:7]
	v_mov_b32_e32 v10, 0
	v_mov_b32_e32 v11, 0
	;; [unrolled: 1-line block ×3, first 2 shown]
	s_waitcnt lgkmcnt(0)
	v_mfma_f32_16x16x16_bf16 a[0:3], v[14:15], v[28:29], a[0:3]
	v_mov_b32_e32 v13, 0
	v_mov_b32_e32 v16, 0
	;; [unrolled: 1-line block ×3, first 2 shown]
	v_mfma_f32_16x16x16_bf16 a[4:7], v[14:15], v[26:27], a[4:7]
	v_mov_b32_e32 v14, 0
	v_mov_b32_e32 v15, 0
	v_mov_b32_e32 v26, 0
	v_mov_b32_e32 v27, 0
	v_mov_b32_e32 v28, 0
	v_mov_b32_e32 v29, 0
	v_mov_b32_e32 v30, 0
	v_mov_b32_e32 v31, 0
	v_mov_b32_e32 v32, 0
	v_mov_b32_e32 v33, 0
	s_cbranch_vccnz .LBB474_13
; %bb.12:                               ;   in Loop: Header=BB474_7 Depth=1
	s_and_b32 s21, s21, 0xffff
	buffer_load_dwordx4 v[30:33], v84, s[20:23], 0 offen
	buffer_load_dwordx4 v[26:29], v84, s[20:23], s65 offen
	;; [unrolled: 1-line block ×4, first 2 shown]
	v_mov_b32_e32 v120, v86
	v_mov_b32_e32 v119, v87
.LBB474_13:                             ;   in Loop: Header=BB474_7 Depth=1
	ds_read_b64 v[38:39], v96 offset:32768
	ds_read2_b64 v[34:37], v102 offset1:16
	ds_read_b64 v[42:43], v98 offset:32768
	ds_read_b64 v[44:45], v100 offset:32768
	;; [unrolled: 1-line block ×3, first 2 shown]
	v_add_u32_e32 v48, s66, v80
	s_waitcnt lgkmcnt(3)
	v_mfma_f32_16x16x16_bf16 a[0:3], v[38:39], v[34:35], a[0:3]
	v_mul_lo_u32 v49, v48, s31
	v_mov_b32_e32 v122, 0
	v_mfma_f32_16x16x16_bf16 a[4:7], v[38:39], v[36:37], a[4:7]
	ds_read2st64_b64 v[34:37], v102 offset0:2 offset1:4
	ds_read2st64_b64 v[38:41], v103 offset0:2 offset1:4
	s_waitcnt lgkmcnt(1)
	v_mfma_f32_16x16x16_bf16 a[0:3], v[42:43], v[34:35], a[0:3]
	v_ashrrev_i32_e32 v34, 31, v48
	v_mul_lo_u32 v50, v34, s30
	v_mad_u64_u32 v[34:35], s[20:21], v48, s30, 0
	v_mfma_f32_16x16x16_bf16 a[0:3], v[44:45], v[36:37], a[0:3]
	v_add_u32_e32 v36, 1, v48
	v_ashrrev_i32_e32 v37, 31, v36
	v_add3_u32 v35, v35, v49, v50
	s_waitcnt lgkmcnt(0)
	v_mfma_f32_16x16x16_bf16 a[4:7], v[42:43], v[38:39], a[4:7]
	v_mul_lo_u32 v38, v37, s30
	v_mul_lo_u32 v39, v36, s31
	v_mad_u64_u32 v[36:37], s[20:21], v36, s30, 0
	v_add3_u32 v37, v37, v39, v38
	v_add_u32_e32 v38, 2, v48
	v_ashrrev_i32_e32 v39, 31, v38
	v_mul_lo_u32 v42, v39, s30
	v_mul_lo_u32 v43, v38, s31
	v_mad_u64_u32 v[38:39], s[20:21], v38, s30, 0
	v_add3_u32 v39, v39, v43, v42
	v_add_u32_e32 v42, 3, v48
	v_ashrrev_i32_e32 v43, 31, v42
	v_mul_lo_u32 v48, v43, s30
	v_mul_lo_u32 v49, v42, s31
	v_mad_u64_u32 v[42:43], s[20:21], v42, s30, 0
	s_add_u32 s20, s42, s66
	s_addc_u32 s21, s43, 0
	s_lshl_b64 s[20:21], s[20:21], 8
	v_lshl_add_u64 v[34:35], v[34:35], 2, s[44:45]
	v_lshl_add_u64 v[36:37], v[36:37], 2, s[44:45]
	v_add3_u32 v43, v43, v49, v48
	v_lshl_add_u64 v[48:49], v[72:73], 0, s[20:21]
	v_lshl_add_u64 v[38:39], v[38:39], 2, s[44:45]
	;; [unrolled: 1-line block ×3, first 2 shown]
	global_load_dword v50, v[34:35], off
	global_load_ushort v51, v[48:49], off offset:256
	global_load_ushort v52, v[48:49], off
	global_load_ushort v53, v[48:49], off offset:768
	global_load_ushort v54, v[48:49], off offset:512
	v_lshl_add_u64 v[34:35], v[42:43], 2, s[44:45]
	global_load_dword v55, v[36:37], off
	global_load_dword v56, v[38:39], off
	;; [unrolled: 1-line block ×3, first 2 shown]
	ds_read_b64 v[34:35], v102 offset:3072
	ds_read_b64 v[36:37], v103 offset:3072
	global_load_ushort v58, v[48:49], off offset:800
	global_load_ushort v59, v[48:49], off offset:544
	;; [unrolled: 1-line block ×3, first 2 shown]
	s_nop 0
	global_load_ushort v48, v[48:49], off offset:32
	s_load_dword s20, s[46:47], 0x0
	v_mfma_f32_16x16x16_bf16 a[4:7], v[44:45], v[40:41], a[4:7]
	s_and_b64 vcc, exec, s[0:1]
	v_mov_b32_e32 v49, 0
	s_waitcnt vmcnt(11) lgkmcnt(0)
	v_sub_f32_e32 v44, s20, v50
	v_mfma_f32_16x16x16_bf16 a[0:3], v[46:47], v[34:35], a[0:3]
	v_mul_f32_e32 v44, 0x3fb8aa3b, v44
	v_exp_f32_e32 v44, v44
	s_waitcnt vmcnt(6)
	v_sub_f32_e32 v45, s20, v55
	v_mfma_f32_16x16x16_bf16 a[4:7], v[46:47], v[36:37], a[4:7]
	s_waitcnt vmcnt(5)
	v_sub_f32_e32 v46, s20, v56
	s_waitcnt vmcnt(4)
	v_sub_f32_e32 v47, s20, v57
	v_mul_f32_e32 v45, 0x3fb8aa3b, v45
	v_mul_f32_e32 v46, 0x3fb8aa3b, v46
	;; [unrolled: 1-line block ×3, first 2 shown]
	v_exp_f32_e32 v45, v45
	v_exp_f32_e32 v46, v46
	;; [unrolled: 1-line block ×3, first 2 shown]
	v_accvgpr_read_b32 v39, a1
	v_accvgpr_read_b32 v35, a3
	;; [unrolled: 1-line block ×4, first 2 shown]
	v_lshlrev_b32_e32 v41, 16, v51
	v_lshlrev_b32_e32 v40, 16, v52
	v_lshlrev_b32_e32 v43, 16, v53
	v_lshlrev_b32_e32 v42, 16, v54
	v_pk_add_f32 v[38:39], v[40:41], v[38:39] neg_lo:[0,1] neg_hi:[0,1]
	v_pk_add_f32 v[34:35], v[42:43], v[34:35] neg_lo:[0,1] neg_hi:[0,1]
	v_pk_mul_f32 v[38:39], v[44:45], v[38:39]
	v_pk_mul_f32 v[34:35], v[46:47], v[34:35]
	v_accvgpr_read_b32 v41, a5
	v_perm_b32 v35, v35, v34, s37
	v_perm_b32 v34, v39, v38, s37
	s_waitcnt vmcnt(1)
	v_lshlrev_b32_e32 v39, 16, v60
	s_waitcnt vmcnt(0)
	v_lshlrev_b32_e32 v38, 16, v48
	v_accvgpr_read_b32 v40, a4
	v_accvgpr_read_b32 v37, a7
	;; [unrolled: 1-line block ×3, first 2 shown]
	v_pk_add_f32 v[38:39], v[38:39], v[40:41] neg_lo:[0,1] neg_hi:[0,1]
	v_lshlrev_b32_e32 v41, 16, v58
	v_lshlrev_b32_e32 v40, 16, v59
	v_pk_add_f32 v[36:37], v[40:41], v[36:37] neg_lo:[0,1] neg_hi:[0,1]
	v_pk_mul_f32 v[38:39], v[44:45], v[38:39]
	v_pk_mul_f32 v[36:37], v[46:47], v[36:37]
	v_mov_b32_e32 v40, 0
	v_perm_b32 v37, v37, v36, s37
	v_perm_b32 v36, v39, v38, s37
	ds_write2_b64 v89, v[34:35], v[36:37] offset1:16
	v_mov_b32_e32 v34, 0
	v_mov_b32_e32 v35, 0
	;; [unrolled: 1-line block ×14, first 2 shown]
	s_cbranch_vccnz .LBB474_15
; %bb.14:                               ;   in Loop: Header=BB474_7 Depth=1
	s_and_b32 s25, s25, 0xffff
	s_mov_b32 s27, s23
	buffer_load_dwordx4 v[46:49], v107, s[24:27], 0 offen
	buffer_load_dwordx4 v[38:41], v107, s[24:27], s65 offen
	;; [unrolled: 1-line block ×4, first 2 shown]
	v_mov_b32_e32 v121, v83
	v_mov_b32_e32 v122, v82
.LBB474_15:                             ;   in Loop: Header=BB474_7 Depth=1
	s_waitcnt lgkmcnt(0)
	s_barrier
	ds_read_b64 v[54:55], v109
	ds_read_b64 v[128:129], v106
	;; [unrolled: 1-line block ×5, first 2 shown]
	ds_read_b64 v[142:143], v103 offset:3072
	ds_read2_b64 v[50:53], v102 offset0:16 offset1:128
	s_waitcnt lgkmcnt(5)
	v_mfma_f32_16x16x16_bf16 a[0:3], v[54:55], v[128:129], 0
	ds_read2st64_b64 v[56:59], v103 offset0:2 offset1:4
	s_add_i32 s21, s60, s71
	s_mul_hi_i32 s25, s21, s13
	s_waitcnt lgkmcnt(1)
	v_mfma_f32_16x16x16_bf16 a[4:7], v[54:55], v[50:51], 0
	ds_read_b64 v[54:55], v114
	s_mul_i32 s21, s21, s13
	s_add_u32 s24, s21, s33
	s_waitcnt lgkmcnt(1)
	v_mfma_f32_16x16x16_bf16 a[4:7], v[130:131], v[56:57], a[4:7]
	s_addc_u32 s25, s25, s48
	s_add_i32 s21, s3, s66
	s_lshl_b64 s[24:25], s[24:25], 15
	s_mul_hi_i32 s27, s21, s13
	s_mul_i32 s21, s21, s13
	s_add_u32 s46, s21, s33
	v_mfma_f32_16x16x16_bf16 a[8:11], v[132:133], v[58:59], a[4:7]
	s_addc_u32 s47, s27, s48
	ds_read2st64_b64 v[124:127], v102 offset0:4 offset1:6
	s_lshl_b64 s[46:47], s[46:47], 9
	s_waitcnt lgkmcnt(1)
	v_mfma_f32_16x16x16_bf16 a[4:7], v[54:55], v[128:129], 0
	s_add_u32 s46, s16, s46
	s_addc_u32 s47, s17, s47
	v_mfma_f32_16x16x16_bf16 a[0:3], v[130:131], v[52:53], a[0:3]
	ds_read_b64 v[130:131], v115
	ds_read_b64 v[138:139], v116
	;; [unrolled: 1-line block ×3, first 2 shown]
	v_mfma_f32_16x16x16_bf16 a[12:15], v[54:55], v[50:51], 0
	s_waitcnt lgkmcnt(2)
	v_mfma_f32_16x16x16_bf16 a[4:7], v[130:131], v[52:53], a[4:7]
	global_load_dwordx4 v[50:53], v113, s[46:47]
	v_mfma_f32_16x16x16_bf16 a[12:15], v[130:131], v[56:57], a[12:15]
	global_load_dwordx4 v[54:57], v69, s[46:47]
	ds_read2st64_b64 v[128:131], v104 offset1:8
	s_waitcnt lgkmcnt(0)
	v_mov_b32_e32 v136, v128
	v_mfma_f32_16x16x16_bf16 a[0:3], v[132:133], v[124:125], a[0:3]
	ds_read2st64_b64 v[132:135], v105 offset1:8
	v_mov_b32_e32 v137, v129
	v_mfma_f32_16x16x16_bf16 a[16:19], v[138:139], v[124:125], a[4:7]
	v_lshl_add_u64 v[124:125], v[74:75], 0, s[24:25]
	v_mfma_f32_16x16x16_bf16 a[20:23], v[138:139], v[58:59], a[12:15]
	v_add_co_u32_e32 v58, vcc, s35, v124
	s_waitcnt lgkmcnt(0)
	v_mov_b32_e32 v138, v132
	v_mfma_f32_16x16x16_bf16 a[4:7], v[140:141], v[126:127], a[0:3]
	v_mov_b32_e32 v139, v133
	v_mov_b32_e32 v132, v130
	;; [unrolled: 1-line block ×3, first 2 shown]
	v_mfma_f32_16x16x16_bf16 a[8:11], v[140:141], v[142:143], a[8:11]
	v_addc_co_u32_e32 v59, vcc, 0, v125, vcc
	global_store_dwordx4 v[58:59], v[132:135], off
	v_mfma_f32_16x16x16_bf16 a[12:15], v[144:145], v[126:127], a[16:19]
	s_and_b64 vcc, exec, s[0:1]
	global_store_dwordx4 v[124:125], v[136:139], off
	s_waitcnt vmcnt(3)
	v_mov_b32_e32 v60, v53
	v_mfma_f32_16x16x16_bf16 a[0:3], v[144:145], v[142:143], a[20:23]
	v_mov_b32_e32 v59, v52
	v_mov_b32_e32 v58, v51
	s_cbranch_vccnz .LBB474_17
; %bb.16:                               ;   in Loop: Header=BB474_7 Depth=1
	v_lshrrev_b32_e32 v51, 3, v121
	v_and_b32_e32 v51, 6, v51
	v_xor_b32_e32 v52, v51, v122
	v_lshlrev_b32_e32 v52, 2, v52
	v_and_b32_e32 v53, 8, v121
	v_xor_b32_e32 v121, 0x440, v52
	v_cmp_eq_u32_e32 vcc, 0, v53
	v_perm_b32 v53, v38, v34, s67
	s_nop 0
	v_cndmask_b32_e32 v52, v121, v52, vcc
	v_lshl_or_b32 v51, v51, 10, v52
	v_perm_b32 v52, v46, v42, s67
	s_barrier
	ds_write2st64_b32 v51, v52, v53 offset0:32 offset1:64
	v_xor_b32_e32 v52, 8, v51
	v_perm_b32 v42, v46, v42, s68
	v_perm_b32 v34, v38, v34, s68
	v_add_u32_e32 v38, 0x80, v52
	ds_write2st64_b32 v38, v42, v34 offset0:32 offset1:64
	v_xor_b32_e32 v34, 16, v51
	v_perm_b32 v38, v47, v43, s67
	v_perm_b32 v42, v39, v35, s67
	ds_write2st64_b32 v34, v38, v42 offset0:33 offset1:65
	v_xor_b32_e32 v34, 24, v51
	v_perm_b32 v38, v47, v43, s68
	v_perm_b32 v35, v39, v35, s68
	v_add_u32_e32 v34, 0x80, v34
	ds_write2st64_b32 v34, v38, v35 offset0:33 offset1:65
	v_xor_b32_e32 v34, 32, v51
	v_perm_b32 v35, v48, v44, s67
	v_perm_b32 v38, v40, v36, s67
	;; [unrolled: 9-line block ×3, first 2 shown]
	ds_write2st64_b32 v34, v35, v36 offset0:35 offset1:67
	v_xor_b32_e32 v34, 56, v51
	v_perm_b32 v35, v49, v45, s68
	v_perm_b32 v36, v41, v37, s68
	v_add_u32_e32 v34, 0x80, v34
	ds_write2st64_b32 v34, v35, v36 offset0:35 offset1:67
	ds_write_b64 v120, v[30:31] offset:24576
	v_xor_b32_e32 v30, 8, v120
	ds_write_b64 v30, v[32:33] offset:24576
	ds_write_b64 v120, v[26:27] offset:32768
	;; [unrolled: 1-line block ×4, first 2 shown]
	v_xor_b32_e32 v14, 8, v119
	ds_write_b64 v14, v[16:17] offset:24576
	ds_write_b64 v119, v[10:11] offset:32768
	;; [unrolled: 1-line block ×3, first 2 shown]
.LBB474_17:                             ;   in Loop: Header=BB474_7 Depth=1
	v_mul_f32_e32 v14, s20, v118
	v_exp_f32_e32 v34, v14
	s_waitcnt vmcnt(2)
	v_mul_f32_e32 v14, 0x3fb8aa3b, v54
	v_exp_f32_e32 v36, v14
	v_mul_f32_e32 v14, 0x3fb8aa3b, v55
	v_exp_f32_e32 v37, v14
	;; [unrolled: 2-line block ×4, first 2 shown]
	v_accvgpr_read_b32 v29, a7
	v_accvgpr_read_b32 v27, a5
	;; [unrolled: 1-line block ×4, first 2 shown]
	v_pk_mul_f32 v[36:37], v[34:35], v[36:37] op_sel_hi:[0,1]
	v_accvgpr_read_b32 v12, a10
	v_pk_fma_f32 v[2:3], v[2:3], v[36:37], v[26:27]
	v_pk_mul_f32 v[26:27], v[34:35], v[38:39] op_sel_hi:[0,1]
	v_accvgpr_read_b32 v28, a6
	v_accvgpr_read_b32 v11, a9
	;; [unrolled: 1-line block ×3, first 2 shown]
	v_fma_f32 v20, v20, v26, v12
	v_mul_f32_e32 v12, 0x3fb8aa3b, v59
	v_pk_fma_f32 v[4:5], v[4:5], v[26:27], v[28:29]
	v_fma_f32 v18, v18, v36, v10
	v_fma_f32 v19, v19, v37, v11
	v_mul_f32_e32 v10, 0x3fb8aa3b, v50
	v_mul_f32_e32 v11, 0x3fb8aa3b, v58
	v_exp_f32_e32 v28, v12
	v_mul_f32_e32 v12, 0x3fb8aa3b, v60
	v_exp_f32_e32 v10, v10
	v_exp_f32_e32 v11, v11
	v_exp_f32_e32 v29, v12
	v_accvgpr_read_b32 v33, a15
	v_accvgpr_read_b32 v17, a3
	;; [unrolled: 1-line block ×8, first 2 shown]
	v_fmac_f32_e32 v13, v21, v27
	v_pk_mul_f32 v[10:11], v[34:35], v[10:11] op_sel_hi:[0,1]
	v_pk_mul_f32 v[26:27], v[34:35], v[28:29] op_sel_hi:[0,1]
	s_add_i32 s66, s66, 64
	v_pk_fma_f32 v[6:7], v[6:7], v[10:11], v[30:31]
	v_pk_fma_f32 v[8:9], v[8:9], v[26:27], v[32:33]
	v_fma_f32 v22, v22, v10, v14
	v_fma_f32 v23, v23, v11, v15
	;; [unrolled: 1-line block ×3, first 2 shown]
	s_cmp_eq_u32 s57, s70
	v_fmac_f32_e32 v17, v25, v27
	s_cbranch_scc1 .LBB474_19
; %bb.18:                               ;   in Loop: Header=BB474_7 Depth=1
	s_mov_b32 s71, s70
	v_mov_b32_e32 v21, v13
	v_mov_b32_e32 v25, v17
	s_branch .LBB474_7
.LBB474_19:
	v_mov_b32_e32 v16, v24
	v_mov_b32_e32 v15, v23
	;; [unrolled: 1-line block ×3, first 2 shown]
.LBB474_20:
	s_lshl_b32 s43, s57, 6
	s_sub_i32 s46, s12, s43
	v_mov_b32_e32 v12, v20
	v_mov_b32_e32 v11, v19
	;; [unrolled: 1-line block ×3, first 2 shown]
	s_cmp_gt_i32 s46, 0
	s_cbranch_scc0 .LBB474_85
; %bb.21:
	s_ashr_i32 s3, s43, 31
	s_cmpk_lg_i32 s15, 0x80
	s_cselect_b64 s[26:27], -1, 0
	s_and_b64 vcc, exec, s[26:27]
	s_cbranch_vccz .LBB474_23
; %bb.22:
	s_mul_hi_i32 s0, s56, s12
	s_add_u32 s1, s49, s43
	s_addc_u32 s0, s0, s3
	s_mul_i32 s20, s1, s58
	s_mul_hi_u32 s21, s1, s14
	s_add_i32 s20, s21, s20
	s_mul_i32 s0, s0, s14
	s_add_i32 s20, s20, s0
	s_mul_i32 s1, s1, s14
	s_ashr_i32 s0, s59, 31
	s_add_u32 s44, s1, s59
	s_addc_u32 s45, s20, s0
	s_cbranch_execz .LBB474_24
	s_branch .LBB474_25
.LBB474_23:
                                        ; implicit-def: $sgpr44_sgpr45
.LBB474_24:
	s_mul_hi_i32 s0, s56, s14
	s_mul_i32 s56, s56, s14
	s_ashr_i32 s1, s59, 31
	s_add_u32 s14, s56, s59
	s_addc_u32 s0, s0, s1
	s_mul_i32 s1, s14, s55
	s_mul_hi_u32 s20, s14, s12
	s_add_i32 s1, s20, s1
	s_mul_i32 s0, s0, s12
	s_add_i32 s1, s1, s0
	s_mul_i32 s14, s14, s12
	s_add_u32 s44, s14, s43
	s_addc_u32 s45, s1, s3
.LBB474_25:
	s_mul_i32 s0, s40, s55
	s_add_i32 s0, s62, s0
	s_add_i32 s14, s60, s57
	;; [unrolled: 1-line block ×3, first 2 shown]
	s_add_u32 s0, s42, s43
	v_lshlrev_b32_e32 v22, 5, v80
	v_lshlrev_b32_e32 v38, 2, v77
	s_addc_u32 s1, s1, s3
	s_mov_b32 s3, 0x7060302
	v_or_b32_e32 v25, v22, v38
	v_xor_b32_e32 v23, v80, v38
	v_perm_b32 v19, v5, v4, s3
	v_perm_b32 v18, v3, v2, s3
	;; [unrolled: 1-line block ×4, first 2 shown]
	v_lshlrev_b32_e32 v25, 1, v25
	v_xor_b32_e32 v24, v81, v38
	ds_write2st64_b64 v25, v[18:19], v[20:21] offset0:80 offset1:88
	v_lshlrev_b32_e32 v23, 1, v23
	v_lshlrev_b32_e32 v25, 8, v77
	s_lshl_b64 s[24:25], s[0:1], 8
	v_or_b32_e32 v26, v23, v25
	v_lshlrev_b32_e32 v24, 1, v24
	s_add_u32 s0, s6, s24
	ds_write_b64 v26, v[18:19]
	v_or_b32_e32 v18, v24, v25
	s_addc_u32 s1, s7, s25
	ds_write_b64 v18, v[20:21]
	v_perm_b32 v19, v13, v12, s3
	v_perm_b32 v18, v11, v10, s3
	;; [unrolled: 1-line block ×4, first 2 shown]
	v_or_b32_e32 v25, 16, v77
	s_mul_hi_i32 s3, s14, s13
	s_mul_i32 s14, s14, s13
	v_lshlrev_b32_e32 v35, 2, v25
	s_add_u32 s6, s14, s33
	v_or_b32_e32 v22, v22, v35
	s_addc_u32 s7, s3, s48
	v_lshlrev_b32_e32 v22, 1, v22
	s_ashr_i32 s3, s2, 31
	s_lshl_b64 s[6:7], s[6:7], 15
	ds_write2st64_b64 v22, v[18:19], v[20:21] offset0:80 offset1:88
	v_lshlrev_b32_e32 v22, 8, v25
	s_add_u32 s6, s38, s6
	v_or_b32_e32 v23, v23, v22
	s_addc_u32 s7, s39, s7
	s_lshl_b64 s[2:3], s[2:3], 8
	ds_write_b64 v23, v[18:19]
	v_or_b32_e32 v18, v24, v22
	s_add_u32 s2, s6, s2
	ds_write_b64 v18, v[20:21]
	v_lshrrev_b32_e32 v18, 4, v0
	s_addc_u32 s3, s7, s3
	v_lshlrev_b32_e32 v19, 1, v77
	v_lshlrev_b32_e32 v26, 4, v77
	v_mov_b32_e32 v27, 0
	v_or_b32_e32 v20, 1, v19
	v_xor_b32_e32 v19, v18, v19
	v_lshl_add_u64 v[28:29], s[2:3], 0, v[26:27]
	v_lshlrev_b32_e32 v26, 8, v18
	v_xor_b32_e32 v22, v20, v18
	v_lshl_or_b32 v18, v19, 3, v26
	s_waitcnt lgkmcnt(0)
	s_barrier
	ds_read2st64_b64 v[18:21], v18 offset1:8
	v_lshl_or_b32 v22, v22, 3, v26
	ds_read2st64_b64 v[22:25], v22 offset1:8
	v_lshl_add_u64 v[30:31], v[28:29], 0, v[26:27]
	s_movk_i32 s2, 0x1000
	s_waitcnt lgkmcnt(1)
	v_mov_b32_e32 v26, v18
	v_add_co_u32_e32 v18, vcc, s2, v30
	s_cmp_lg_u32 s46, 64
	v_mov_b32_e32 v27, v19
	v_addc_co_u32_e32 v19, vcc, 0, v31, vcc
	s_cselect_b64 s[6:7], -1, 0
	v_lshl_or_b32 v42, v1, 3, v79
	s_waitcnt lgkmcnt(0)
	v_mov_b32_e32 v28, v22
	v_mov_b32_e32 v29, v23
	;; [unrolled: 1-line block ×4, first 2 shown]
	s_mov_b32 s20, 0
	v_or_b32_e32 v36, 32, v42
	v_and_b32_e32 v34, 56, v78
	s_and_b64 vcc, exec, s[6:7]
	global_store_dwordx4 v[30:31], v[26:29], off
	global_store_dwordx4 v[18:19], v[22:25], off
	s_cbranch_vccz .LBB474_31
; %bb.26:
	s_mov_b32 s22, s20
	s_mov_b32 s23, s20
	;; [unrolled: 1-line block ×3, first 2 shown]
	v_mov_b64_e32 v[24:25], s[22:23]
	v_mov_b64_e32 v[22:23], s[20:21]
	;; [unrolled: 1-line block ×3, first 2 shown]
	v_cmp_gt_i32_e32 vcc, s46, v42
	v_mov_b64_e32 v[20:21], v[24:25]
	s_and_saveexec_b64 s[2:3], vcc
	s_cbranch_execz .LBB474_28
; %bb.27:
	v_lshlrev_b32_e32 v18, 8, v42
	v_mov_b32_e32 v19, 0
	v_lshl_add_u64 v[20:21], s[0:1], 0, v[18:19]
	v_lshlrev_b32_e32 v18, 1, v34
	v_lshl_add_u64 v[26:27], v[20:21], 0, v[18:19]
	global_load_dwordx4 v[22:25], v[26:27], off
	global_load_dwordx4 v[18:21], v[26:27], off offset:128
.LBB474_28:
	s_or_b64 exec, exec, s[2:3]
	s_mov_b32 s22, s20
	s_mov_b32 s23, s20
	;; [unrolled: 1-line block ×3, first 2 shown]
	v_mov_b64_e32 v[32:33], s[22:23]
	v_mov_b64_e32 v[30:31], s[20:21]
	;; [unrolled: 1-line block ×3, first 2 shown]
	v_cmp_gt_i32_e32 vcc, s46, v36
	v_lshlrev_b32_e32 v37, 7, v36
	v_mov_b64_e32 v[28:29], v[32:33]
	s_and_saveexec_b64 s[2:3], vcc
	s_cbranch_execz .LBB474_30
; %bb.29:
	v_lshlrev_b32_e32 v26, 1, v37
	v_mov_b32_e32 v27, 0
	v_lshl_add_u64 v[28:29], s[0:1], 0, v[26:27]
	v_lshlrev_b32_e32 v26, 1, v34
	v_lshl_add_u64 v[40:41], v[28:29], 0, v[26:27]
	global_load_dwordx4 v[30:33], v[40:41], off
	global_load_dwordx4 v[26:29], v[40:41], off offset:128
.LBB474_30:
	s_or_b64 exec, exec, s[2:3]
	v_lshrrev_b32_e32 v39, 3, v34
	v_lshlrev_b32_e32 v40, 3, v42
	v_or_b32_e32 v39, v40, v39
	v_lshlrev_b32_e32 v39, 4, v39
	v_and_b32_e32 v40, 0x78, v40
	v_xor_b32_e32 v39, v39, v40
	s_branch .LBB474_33
.LBB474_31:
                                        ; implicit-def: $vgpr39
                                        ; implicit-def: $vgpr37
                                        ; implicit-def: $vgpr22_vgpr23_vgpr24_vgpr25
                                        ; implicit-def: $vgpr18_vgpr19_vgpr20_vgpr21
                                        ; implicit-def: $vgpr30_vgpr31_vgpr32_vgpr33
                                        ; implicit-def: $vgpr26_vgpr27_vgpr28_vgpr29
	s_cbranch_execz .LBB474_33
; %bb.32:
	s_waitcnt vmcnt(0)
	v_lshlrev_b32_e32 v18, 1, v34
	v_lshl_or_b32 v37, v42, 8, v18
	s_and_b32 s1, s1, 0xffff
	s_mov_b32 s3, 0x20000
	s_movk_i32 s2, 0x4000
	v_lshl_or_b32 v39, v36, 8, v18
	s_movk_i32 s14, 0x80
	buffer_load_dwordx4 v[22:25], v37, s[0:3], 0 offen
	buffer_load_dwordx4 v[18:21], v37, s[0:3], s14 offen
	;; [unrolled: 1-line block ×4, first 2 shown]
	v_lshrrev_b32_e32 v37, 3, v34
	v_lshlrev_b32_e32 v39, 3, v42
	v_or_b32_e32 v37, v39, v37
	v_lshlrev_b32_e32 v37, 4, v37
	v_and_b32_e32 v39, 0x78, v39
	v_xor_b32_e32 v39, v37, v39
	v_lshlrev_b32_e32 v37, 7, v36
.LBB474_33:
	s_lshl_b64 s[0:1], s[44:45], 8
	s_add_u32 s4, s4, s0
	s_movk_i32 s0, 0x1000
	v_and_or_b32 v36, v37, s0, v39
	s_waitcnt vmcnt(1)
	ds_write_b64 v39, v[22:23] offset:24576
	v_xor_b32_e32 v22, 8, v39
	ds_write_b64 v22, v[24:25] offset:24576
	s_waitcnt vmcnt(0)
	ds_write_b64 v39, v[18:19] offset:32768
	ds_write_b64 v22, v[20:21] offset:32768
	;; [unrolled: 1-line block ×3, first 2 shown]
	v_xor_b32_e32 v18, 8, v36
	ds_write_b64 v18, v[32:33] offset:24576
	ds_write_b64 v36, v[26:27] offset:32768
	;; [unrolled: 1-line block ×3, first 2 shown]
	v_or_b32_e32 v18, v61, v77
	v_lshlrev_b32_e32 v18, 3, v18
	v_lshrrev_b32_e32 v19, 5, v63
	s_movk_i32 s2, 0xf8
	v_and_or_b32 v19, v18, s2, v19
	v_lshlrev_b32_e32 v23, 4, v19
	v_lshlrev_b32_e32 v39, 11, v1
	v_and_b32_e32 v24, 0x78, v18
	v_or_b32_e32 v26, 32, v23
	v_and_b32_e32 v22, 0x1000, v39
	v_lshrrev_b32_e32 v19, 1, v63
	v_xor_b32_e32 v26, v26, v24
	v_xor_b32_e32 v18, v23, v24
	v_and_b32_e32 v25, 8, v19
	v_or_b32_e32 v26, v26, v22
	v_or_b32_e32 v18, v18, v22
	v_xor_b32_e32 v44, v26, v25
	v_or_b32_e32 v26, 64, v23
	v_xor_b32_e32 v43, v18, v25
	v_xor_b32_e32 v26, v26, v24
	s_waitcnt lgkmcnt(0)
	s_barrier
	v_or_b32_e32 v28, v26, v22
	ds_read_b64 v[26:27], v43 offset:24576
	v_lshl_or_b32 v36, v76, 7, v38
	v_lshlrev_b32_e32 v40, 1, v36
	v_add_u32_e32 v18, 0xa000, v40
	ds_read2_b64 v[18:21], v18 offset1:16
	v_or_b32_e32 v23, 0x60, v23
	v_xor_b32_e32 v23, v23, v24
	s_waitcnt lgkmcnt(0)
	v_mfma_f32_16x16x16_bf16 a[0:3], v[26:27], v[18:19], 0
	v_or_b32_e32 v18, 64, v36
	v_or_b32_e32 v22, v23, v22
	v_lshlrev_b32_e32 v41, 1, v18
	v_xor_b32_e32 v45, v28, v25
	v_xor_b32_e32 v46, v22, v25
	ds_read_b64 v[28:29], v44 offset:24576
	ds_read_b64 v[30:31], v45 offset:24576
	;; [unrolled: 1-line block ×3, first 2 shown]
	v_mfma_f32_16x16x16_bf16 a[4:7], v[26:27], v[20:21], 0
	ds_read2st64_b64 v[18:21], v41 offset0:82 offset1:84
	ds_read2st64_b64 v[22:25], v40 offset0:82 offset1:84
	s_addc_u32 s5, s5, s1
	s_add_i32 s0, s51, s41
	s_add_i32 s14, s12, -1
	s_add_i32 s35, s0, s52
	s_add_i32 s0, s53, s50
	;; [unrolled: 1-line block ×3, first 2 shown]
	s_ashr_i32 s0, s14, 31
	s_mul_i32 s1, s14, s31
	s_mul_hi_u32 s2, s14, s30
	s_add_i32 s1, s2, s1
	s_mul_i32 s0, s0, s30
	s_waitcnt lgkmcnt(1)
	v_mfma_f32_16x16x16_bf16 a[4:7], v[28:29], v[18:19], a[4:7]
	s_add_i32 s1, s1, s0
	s_lshl_b64 s[2:3], s[34:35], 2
	s_add_u32 s10, s10, s2
	s_waitcnt lgkmcnt(0)
	v_mfma_f32_16x16x16_bf16 a[0:3], v[28:29], v[22:23], a[0:3]
	s_addc_u32 s11, s11, s3
	s_lshl_b64 s[2:3], s[36:37], 2
	s_mul_i32 s0, s14, s30
	s_add_u32 s10, s10, s2
	ds_read_b64 v[18:19], v40 offset:44032
	v_mfma_f32_16x16x16_bf16 a[4:7], v[30:31], v[20:21], a[4:7]
	ds_read_b64 v[20:21], v41 offset:44032
	s_addc_u32 s11, s11, s3
	s_lshl_b64 s[0:1], s[0:1], 2
	v_mfma_f32_16x16x16_bf16 a[0:3], v[30:31], v[24:25], a[0:3]
	s_add_u32 s0, s10, s0
	s_addc_u32 s1, s11, s1
	s_load_dword s12, s[0:1], 0x0
	s_waitcnt lgkmcnt(0)
	v_mfma_f32_16x16x16_bf16 a[0:3], v[32:33], v[18:19], a[0:3]
	s_and_b64 vcc, exec, s[26:27]
	v_mfma_f32_16x16x16_bf16 a[4:7], v[32:33], v[20:21], a[4:7]
	s_cbranch_vccz .LBB474_44
; %bb.34:
	v_lshlrev_b32_e32 v36, 1, v42
	s_and_b64 vcc, exec, s[6:7]
	s_cbranch_vccz .LBB474_45
; %bb.35:
	v_cmp_gt_i32_e32 vcc, s46, v36
	v_mov_b32_e32 v22, 0
	v_mov_b32_e32 v18, 0
	;; [unrolled: 1-line block ×5, first 2 shown]
	s_and_saveexec_b64 s[0:1], vcc
	s_cbranch_execz .LBB474_37
; %bb.36:
	v_mad_i64_i32 v[18:19], s[2:3], s15, v36, 0
	v_lshl_add_u64 v[18:19], v[18:19], 1, s[4:5]
	v_lshlrev_b32_e32 v20, 1, v34
	v_mov_b32_e32 v21, 0
	v_lshl_add_u64 v[18:19], v[18:19], 0, v[20:21]
	global_load_dwordx4 v[18:21], v[18:19], off
.LBB474_37:
	s_or_b64 exec, exec, s[0:1]
	v_or_b32_e32 v37, 1, v36
	v_cmp_gt_i32_e64 s[0:1], s46, v37
	v_mov_b32_e32 v23, 0
	v_mov_b32_e32 v24, 0
	;; [unrolled: 1-line block ×3, first 2 shown]
	s_and_saveexec_b64 s[2:3], s[0:1]
	s_cbranch_execz .LBB474_39
; %bb.38:
	v_mad_i64_i32 v[22:23], s[20:21], s15, v37, 0
	v_lshl_add_u64 v[22:23], v[22:23], 1, s[4:5]
	v_lshlrev_b32_e32 v24, 1, v34
	v_mov_b32_e32 v25, 0
	v_lshl_add_u64 v[22:23], v[22:23], 0, v[24:25]
	global_load_dwordx4 v[22:25], v[22:23], off
.LBB474_39:
	s_or_b64 exec, exec, s[2:3]
	v_mov_b32_e32 v33, 0
	v_mov_b32_e32 v26, 0
	;; [unrolled: 1-line block ×5, first 2 shown]
	s_and_saveexec_b64 s[2:3], vcc
	s_cbranch_execz .LBB474_41
; %bb.40:
	v_mad_i64_i32 v[26:27], s[20:21], s15, v36, 0
	v_lshl_add_u64 v[26:27], v[26:27], 1, s[4:5]
	v_lshlrev_b32_e32 v28, 1, v34
	v_mov_b32_e32 v29, 0
	v_lshl_add_u64 v[26:27], v[26:27], 0, v[28:29]
	global_load_dwordx4 v[26:29], v[26:27], off offset:128
.LBB474_41:
	s_or_b64 exec, exec, s[2:3]
	v_mov_b32_e32 v32, 0
	v_mov_b32_e32 v31, 0
	;; [unrolled: 1-line block ×3, first 2 shown]
	s_and_saveexec_b64 s[2:3], s[0:1]
	s_cbranch_execz .LBB474_43
; %bb.42:
	v_mad_i64_i32 v[30:31], s[0:1], s15, v37, 0
	v_lshl_add_u64 v[30:31], v[30:31], 1, s[4:5]
	v_lshlrev_b32_e32 v32, 1, v34
	v_mov_b32_e32 v33, 0
	v_lshl_add_u64 v[30:31], v[30:31], 0, v[32:33]
	global_load_dwordx4 v[30:33], v[30:31], off offset:128
.LBB474_43:
	s_or_b64 exec, exec, s[2:3]
	s_branch .LBB474_47
.LBB474_44:
                                        ; implicit-def: $vgpr21
                                        ; implicit-def: $vgpr25
                                        ; implicit-def: $vgpr29
                                        ; implicit-def: $vgpr33
	v_lshrrev_b32_e32 v47, 2, v63
	s_branch .LBB474_48
.LBB474_45:
                                        ; implicit-def: $vgpr21
                                        ; implicit-def: $vgpr25
                                        ; implicit-def: $vgpr29
                                        ; implicit-def: $vgpr33
	s_cbranch_execz .LBB474_47
; %bb.46:
	s_waitcnt vmcnt(0)
	v_mad_u64_u32 v[18:19], s[0:1], v36, s15, v[34:35]
	v_lshlrev_b32_e32 v36, 1, v18
	s_lshl_b32 s2, s15, 7
	s_and_b32 s1, s5, 0xffff
	s_mov_b32 s3, 0x20000
	s_mov_b32 s0, s4
	v_add_lshl_u32 v37, v18, s15, 1
	s_movk_i32 s15, 0x80
	buffer_load_dwordx4 v[18:21], v36, s[0:3], 0 offen
	buffer_load_dwordx4 v[26:29], v36, s[0:3], s15 offen
	;; [unrolled: 1-line block ×4, first 2 shown]
.LBB474_47:
	v_lshrrev_b32_e32 v47, 2, v63
	s_cbranch_execnz .LBB474_60
.LBB474_48:
	s_and_b64 vcc, exec, s[6:7]
	s_cbranch_vccz .LBB474_58
; %bb.49:
	s_waitcnt vmcnt(0)
	v_lshlrev_b32_e32 v23, 1, v42
	v_cmp_gt_i32_e32 vcc, s46, v23
	v_mov_b32_e32 v22, 0
	v_lshlrev_b32_e32 v30, 9, v42
	v_mov_b32_e32 v18, 0
	v_mov_b32_e32 v19, 0
	;; [unrolled: 1-line block ×4, first 2 shown]
	s_and_saveexec_b64 s[0:1], vcc
	s_cbranch_execz .LBB474_51
; %bb.50:
	v_mov_b32_e32 v31, 0
	v_lshl_add_u64 v[18:19], s[4:5], 0, v[30:31]
	v_lshlrev_b32_e32 v20, 1, v34
	v_mov_b32_e32 v21, v31
	v_lshl_add_u64 v[18:19], v[18:19], 0, v[20:21]
	global_load_dwordx4 v[18:21], v[18:19], off
.LBB474_51:
	s_or_b64 exec, exec, s[0:1]
	v_or_b32_e32 v23, 1, v23
	v_cmp_gt_i32_e64 s[0:1], s46, v23
	v_lshlrev_b32_e32 v36, 8, v23
	v_mov_b32_e32 v23, 0
	v_mov_b32_e32 v24, 0
	;; [unrolled: 1-line block ×3, first 2 shown]
	s_and_saveexec_b64 s[2:3], s[0:1]
	s_cbranch_execz .LBB474_53
; %bb.52:
	v_mov_b32_e32 v37, 0
	v_lshl_add_u64 v[22:23], s[4:5], 0, v[36:37]
	v_lshlrev_b32_e32 v24, 1, v34
	v_mov_b32_e32 v25, v37
	v_lshl_add_u64 v[22:23], v[22:23], 0, v[24:25]
	global_load_dwordx4 v[22:25], v[22:23], off
.LBB474_53:
	s_or_b64 exec, exec, s[2:3]
	v_mov_b32_e32 v33, 0
	v_mov_b32_e32 v26, 0
	;; [unrolled: 1-line block ×5, first 2 shown]
	s_and_saveexec_b64 s[2:3], vcc
	s_cbranch_execz .LBB474_55
; %bb.54:
	v_mov_b32_e32 v31, 0
	v_lshl_add_u64 v[26:27], s[4:5], 0, v[30:31]
	v_lshlrev_b32_e32 v30, 1, v34
	v_lshl_add_u64 v[26:27], v[26:27], 0, v[30:31]
	global_load_dwordx4 v[26:29], v[26:27], off offset:128
.LBB474_55:
	s_or_b64 exec, exec, s[2:3]
	v_mov_b32_e32 v32, 0
	v_mov_b32_e32 v31, 0
	;; [unrolled: 1-line block ×3, first 2 shown]
	s_and_saveexec_b64 s[2:3], s[0:1]
	s_cbranch_execz .LBB474_57
; %bb.56:
	v_mov_b32_e32 v37, 0
	v_lshl_add_u64 v[30:31], s[4:5], 0, v[36:37]
	v_lshlrev_b32_e32 v36, 1, v34
	v_lshl_add_u64 v[30:31], v[30:31], 0, v[36:37]
	global_load_dwordx4 v[30:33], v[30:31], off offset:128
.LBB474_57:
	s_or_b64 exec, exec, s[2:3]
	s_branch .LBB474_60
.LBB474_58:
                                        ; implicit-def: $vgpr21
                                        ; implicit-def: $vgpr25
                                        ; implicit-def: $vgpr29
                                        ; implicit-def: $vgpr33
	s_cbranch_execz .LBB474_60
; %bb.59:
	s_waitcnt vmcnt(0)
	v_lshlrev_b32_e32 v18, 1, v34
	v_lshl_or_b32 v34, v42, 9, v18
	s_and_b32 s5, s5, 0xffff
	s_mov_b32 s7, 0x20000
	s_movk_i32 s6, 0x4000
	s_movk_i32 s0, 0x80
	buffer_load_dwordx4 v[18:21], v34, s[4:7], 0 offen
	buffer_load_dwordx4 v[22:25], v34, s[4:7], 0 offen offset:256
	buffer_load_dwordx4 v[26:29], v34, s[4:7], s0 offen
	buffer_load_dwordx4 v[30:33], v34, s[4:7], s0 offen offset:256
.LBB474_60:
	ds_read_b64 v[36:37], v43 offset:32768
	v_add_u32_e32 v34, 0xb000, v40
	ds_read2_b64 v[48:51], v34 offset1:16
	ds_read_b64 v[56:57], v44 offset:32768
	ds_read_b64 v[44:45], v45 offset:32768
	;; [unrolled: 1-line block ×3, first 2 shown]
	ds_read2st64_b64 v[52:55], v41 offset0:90 offset1:92
	v_and_b32_e32 v43, 6, v0
	v_and_b32_e32 v34, 12, v47
	v_xor_b32_e32 v42, v42, v43
	v_lshlrev_b32_e32 v42, 2, v42
	s_mov_b32 s0, 0x1000504
	s_waitcnt lgkmcnt(4)
	v_mfma_f32_16x16x16_bf16 a[0:3], v[36:37], v[48:49], a[0:3]
	s_mov_b32 s1, 0x3020706
	v_mfma_f32_16x16x16_bf16 a[4:7], v[36:37], v[50:51], a[4:7]
	ds_read2st64_b64 v[48:51], v40 offset0:90 offset1:92
	ds_read_b64 v[36:37], v40 offset:48128
	ds_read_b64 v[46:47], v41 offset:48128
	s_waitcnt lgkmcnt(2)
	v_mfma_f32_16x16x16_bf16 a[0:3], v[56:57], v[48:49], a[0:3]
	v_and_b32_e32 v48, 1, v0
	v_xor_b32_e32 v49, 0x440, v42
	v_cmp_eq_u32_e32 vcc, 0, v48
	v_mfma_f32_16x16x16_bf16 a[4:7], v[56:57], v[52:53], a[4:7]
	s_nop 0
	v_cndmask_b32_e32 v42, v49, v42, vcc
	v_lshl_or_b32 v42, v43, 10, v42
	v_mfma_f32_16x16x16_bf16 a[0:3], v[44:45], v[50:51], a[0:3]
	v_mfma_f32_16x16x16_bf16 a[8:11], v[44:45], v[54:55], a[4:7]
	s_waitcnt lgkmcnt(1)
	v_mfma_f32_16x16x16_bf16 a[4:7], v[58:59], v[36:37], a[0:3]
	s_waitcnt vmcnt(0)
	v_perm_b32 v36, v18, v22, s0
	v_perm_b32 v37, v26, v30, s0
	ds_write2st64_b32 v42, v36, v37 offset0:32 offset1:64
	v_xor_b32_e32 v36, 8, v42
	v_perm_b32 v18, v18, v22, s1
	v_perm_b32 v22, v26, v30, s1
	v_add_u32_e32 v26, 0x80, v36
	ds_write2st64_b32 v26, v18, v22 offset0:32 offset1:64
	v_xor_b32_e32 v18, 16, v42
	v_perm_b32 v22, v19, v23, s0
	v_perm_b32 v26, v27, v31, s0
	ds_write2st64_b32 v18, v22, v26 offset0:33 offset1:65
	v_xor_b32_e32 v18, 24, v42
	v_perm_b32 v19, v19, v23, s1
	v_perm_b32 v22, v27, v31, s1
	v_add_u32_e32 v18, 0x80, v18
	ds_write2st64_b32 v18, v19, v22 offset0:33 offset1:65
	v_xor_b32_e32 v18, 32, v42
	v_perm_b32 v19, v20, v24, s0
	v_perm_b32 v22, v28, v32, s0
	ds_write2st64_b32 v18, v19, v22 offset0:34 offset1:66
	v_xor_b32_e32 v18, 40, v42
	s_waitcnt lgkmcnt(5)
	v_mfma_f32_16x16x16_bf16 a[0:3], v[58:59], v[46:47], a[8:11]
	v_perm_b32 v19, v20, v24, s1
	v_perm_b32 v20, v28, v32, s1
	v_add_u32_e32 v18, 0x80, v18
	ds_write2st64_b32 v18, v19, v20 offset0:34 offset1:66
	v_xor_b32_e32 v18, 48, v42
	v_perm_b32 v19, v21, v25, s0
	v_perm_b32 v20, v29, v33, s0
	ds_write2st64_b32 v18, v19, v20 offset0:35 offset1:67
	v_xor_b32_e32 v18, 56, v42
	v_or_b32_e32 v32, v34, v61
	v_perm_b32 v19, v21, v25, s1
	v_perm_b32 v20, v29, v33, s1
	v_add_u32_e32 v18, 0x80, v18
	v_cmp_gt_i32_e32 vcc, s46, v32
	v_mov_b32_e32 v33, 0
	v_mov_b32_e32 v37, 0
	ds_write2st64_b32 v18, v19, v20 offset0:35 offset1:67
	s_and_saveexec_b64 s[0:1], vcc
	s_cbranch_execz .LBB474_62
; %bb.61:
	v_add_u32_e32 v18, s43, v32
	v_ashrrev_i32_e32 v19, 31, v18
	v_mul_lo_u32 v20, v19, s30
	v_mul_lo_u32 v21, v18, s31
	v_mad_u64_u32 v[18:19], s[2:3], v18, s30, 0
	v_add3_u32 v19, v19, v21, v20
	v_lshl_add_u64 v[18:19], v[18:19], 2, s[10:11]
	global_load_dword v18, v[18:19], off
	s_waitcnt vmcnt(0)
	v_sub_f32_e32 v18, s12, v18
	v_mul_f32_e32 v18, 0x3fb8aa3b, v18
	v_exp_f32_e32 v37, v18
.LBB474_62:
	s_or_b64 exec, exec, s[0:1]
	v_or_b32_e32 v26, 1, v32
	v_cmp_gt_i32_e64 s[0:1], s46, v26
	s_and_saveexec_b64 s[2:3], s[0:1]
	s_cbranch_execz .LBB474_64
; %bb.63:
	v_add_u32_e32 v18, s43, v26
	v_ashrrev_i32_e32 v19, 31, v18
	v_mul_lo_u32 v20, v19, s30
	v_mul_lo_u32 v21, v18, s31
	v_mad_u64_u32 v[18:19], s[4:5], v18, s30, 0
	v_add3_u32 v19, v19, v21, v20
	v_lshl_add_u64 v[18:19], v[18:19], 2, s[10:11]
	global_load_dword v18, v[18:19], off
	s_waitcnt vmcnt(0)
	v_sub_f32_e32 v18, s12, v18
	v_mul_f32_e32 v18, 0x3fb8aa3b, v18
	v_exp_f32_e32 v33, v18
.LBB474_64:
	s_or_b64 exec, exec, s[2:3]
	v_or_b32_e32 v27, 2, v32
	v_cmp_gt_i32_e64 s[2:3], s46, v27
	v_mov_b32_e32 v36, 0
	v_mov_b32_e32 v42, 0
	s_and_saveexec_b64 s[4:5], s[2:3]
	s_cbranch_execz .LBB474_66
; %bb.65:
	v_add_u32_e32 v18, s43, v27
	v_ashrrev_i32_e32 v19, 31, v18
	v_mul_lo_u32 v20, v19, s30
	v_mul_lo_u32 v21, v18, s31
	v_mad_u64_u32 v[18:19], s[6:7], v18, s30, 0
	v_add3_u32 v19, v19, v21, v20
	v_lshl_add_u64 v[18:19], v[18:19], 2, s[10:11]
	global_load_dword v18, v[18:19], off
	s_waitcnt vmcnt(0)
	v_sub_f32_e32 v18, s12, v18
	v_mul_f32_e32 v18, 0x3fb8aa3b, v18
	v_exp_f32_e32 v42, v18
.LBB474_66:
	s_or_b64 exec, exec, s[4:5]
	v_or_b32_e32 v43, 3, v32
	v_cmp_gt_i32_e64 s[4:5], s46, v43
	s_and_saveexec_b64 s[6:7], s[4:5]
	s_cbranch_execz .LBB474_68
; %bb.67:
	v_add_u32_e32 v18, s43, v43
	v_ashrrev_i32_e32 v19, 31, v18
	v_mul_lo_u32 v20, v19, s30
	v_mul_lo_u32 v21, v18, s31
	v_mad_u64_u32 v[18:19], s[20:21], v18, s30, 0
	v_add3_u32 v19, v19, v21, v20
	v_lshl_add_u64 v[18:19], v[18:19], 2, s[10:11]
	global_load_dword v18, v[18:19], off
	s_waitcnt vmcnt(0)
	v_sub_f32_e32 v18, s12, v18
	v_mul_f32_e32 v18, 0x3fb8aa3b, v18
	v_exp_f32_e32 v36, v18
.LBB474_68:
	s_or_b64 exec, exec, s[6:7]
	s_add_u32 s6, s8, s24
	v_accvgpr_read_b32 v21, a7
	s_addc_u32 s7, s9, s25
	v_ashrrev_i32_e32 v69, 31, v68
	v_accvgpr_read_b32 v20, a6
	v_accvgpr_read_b32 v19, a5
	v_accvgpr_read_b32 v18, a4
	v_lshl_add_u64 v[22:23], v[68:69], 1, s[6:7]
	v_mov_b32_e32 v29, 0
	v_lshlrev_b32_e32 v24, 8, v32
	v_mov_b32_e32 v25, 0
	s_and_saveexec_b64 s[6:7], vcc
	s_cbranch_execz .LBB474_70
; %bb.69:
	v_mov_b32_e32 v25, 0
	v_lshl_add_u64 v[30:31], v[22:23], 0, v[24:25]
	global_load_ushort v25, v[30:31], off
	s_waitcnt vmcnt(0)
	v_lshlrev_b32_e32 v25, 16, v25
	v_sub_f32_e32 v18, v25, v18
	v_mul_f32_e32 v18, v37, v18
	v_lshrrev_b32_e32 v25, 16, v18
.LBB474_70:
	s_or_b64 exec, exec, s[6:7]
	v_lshlrev_b32_e32 v28, 8, v26
	s_and_saveexec_b64 s[6:7], s[0:1]
	s_cbranch_execz .LBB474_72
; %bb.71:
	v_mov_b32_e32 v29, 0
	v_lshl_add_u64 v[30:31], v[22:23], 0, v[28:29]
	global_load_ushort v18, v[30:31], off
	s_waitcnt vmcnt(0)
	v_lshlrev_b32_e32 v18, 16, v18
	v_sub_f32_e32 v18, v18, v19
	v_mul_f32_e32 v18, v33, v18
	v_lshrrev_b32_e32 v29, 16, v18
.LBB474_72:
	s_or_b64 exec, exec, s[6:7]
	v_mov_b32_e32 v44, 0
	v_lshlrev_b32_e32 v30, 8, v27
	v_mov_b32_e32 v31, 0
	s_and_saveexec_b64 s[6:7], s[2:3]
	s_cbranch_execz .LBB474_74
; %bb.73:
	v_mov_b32_e32 v31, 0
	v_lshl_add_u64 v[18:19], v[22:23], 0, v[30:31]
	global_load_ushort v18, v[18:19], off
	s_waitcnt vmcnt(0)
	v_lshlrev_b32_e32 v18, 16, v18
	v_sub_f32_e32 v18, v18, v20
	v_mul_f32_e32 v18, v42, v18
	v_lshrrev_b32_e32 v31, 16, v18
.LBB474_74:
	s_or_b64 exec, exec, s[6:7]
	v_lshlrev_b32_e32 v26, 8, v43
	s_and_saveexec_b64 s[6:7], s[4:5]
	s_cbranch_execz .LBB474_76
; %bb.75:
	v_mov_b32_e32 v27, 0
	v_lshl_add_u64 v[18:19], v[22:23], 0, v[26:27]
	global_load_ushort v18, v[18:19], off
	s_waitcnt vmcnt(0)
	v_lshlrev_b32_e32 v18, 16, v18
	v_sub_f32_e32 v18, v18, v21
	v_mul_f32_e32 v18, v36, v18
	v_lshrrev_b32_e32 v44, 16, v18
.LBB474_76:
	s_or_b64 exec, exec, s[6:7]
	v_lshlrev_b32_e32 v43, 5, v32
	s_mov_b32 s6, 0x5040100
	v_perm_b32 v45, v44, v31, s6
	v_perm_b32 v44, v29, v25, s6
	v_or_b32_e32 v25, v43, v38
	v_accvgpr_read_b32 v21, a3
	v_lshlrev_b32_e32 v25, 1, v25
	v_accvgpr_read_b32 v20, a2
	v_accvgpr_read_b32 v19, a1
	v_accvgpr_read_b32 v18, a0
	ds_write_b64 v25, v[44:45] offset:45056
	v_mov_b32_e32 v29, 0
	v_mov_b32_e32 v25, 0
	s_and_saveexec_b64 s[6:7], vcc
	s_cbranch_execz .LBB474_78
; %bb.77:
	v_mov_b32_e32 v25, 0
	v_lshl_add_u64 v[24:25], v[22:23], 0, v[24:25]
	global_load_ushort v24, v[24:25], off offset:32
	s_waitcnt vmcnt(0)
	v_lshlrev_b32_e32 v24, 16, v24
	v_sub_f32_e32 v18, v24, v18
	v_mul_f32_e32 v18, v37, v18
	v_lshrrev_b32_e32 v25, 16, v18
.LBB474_78:
	s_or_b64 exec, exec, s[6:7]
	s_and_saveexec_b64 s[6:7], s[0:1]
	s_cbranch_execz .LBB474_80
; %bb.79:
	v_mov_b32_e32 v29, 0
	v_lshl_add_u64 v[28:29], v[22:23], 0, v[28:29]
	global_load_ushort v18, v[28:29], off offset:32
	s_waitcnt vmcnt(0)
	v_lshlrev_b32_e32 v18, 16, v18
	v_sub_f32_e32 v18, v18, v19
	v_mul_f32_e32 v18, v33, v18
	v_lshrrev_b32_e32 v29, 16, v18
.LBB474_80:
	s_or_b64 exec, exec, s[6:7]
	v_mov_b32_e32 v24, 0
	v_mov_b32_e32 v28, 0
	s_and_saveexec_b64 s[0:1], s[2:3]
	s_cbranch_execz .LBB474_82
; %bb.81:
	v_mov_b32_e32 v31, 0
	v_lshl_add_u64 v[18:19], v[22:23], 0, v[30:31]
	global_load_ushort v18, v[18:19], off offset:32
	s_waitcnt vmcnt(0)
	v_lshlrev_b32_e32 v18, 16, v18
	v_sub_f32_e32 v18, v18, v20
	v_mul_f32_e32 v18, v42, v18
	v_lshrrev_b32_e32 v28, 16, v18
.LBB474_82:
	s_or_b64 exec, exec, s[0:1]
	v_or_b32_e32 v19, 0xb000, v40
	v_or_b32_e32 v18, 0xb000, v41
	s_and_saveexec_b64 s[0:1], s[4:5]
	s_cbranch_execz .LBB474_84
; %bb.83:
	v_mov_b32_e32 v27, 0
	v_lshl_add_u64 v[22:23], v[22:23], 0, v[26:27]
	global_load_ushort v20, v[22:23], off offset:32
	s_waitcnt vmcnt(0)
	v_lshlrev_b32_e32 v20, 16, v20
	v_sub_f32_e32 v20, v20, v21
	v_mul_f32_e32 v20, v36, v20
	v_lshrrev_b32_e32 v24, 16, v20
.LBB474_84:
	s_or_b64 exec, exec, s[0:1]
	s_mov_b32 s0, 0x5040100
	v_or_b32_e32 v22, v43, v35
	v_perm_b32 v21, v24, v28, s0
	v_perm_b32 v20, v29, v25, s0
	v_lshlrev_b32_e32 v22, 1, v22
	s_movk_i32 s2, 0x100
	ds_write_b64 v22, v[20:21] offset:45056
	v_and_b32_e32 v20, 7, v0
	v_and_b32_e32 v21, 8, v0
	v_cmp_gt_u32_e32 vcc, s2, v0
	v_lshrrev_b32_e32 v0, 1, v0
	v_lshlrev_b32_e32 v26, 3, v20
	v_lshlrev_b32_e32 v48, 7, v20
	v_mov_b32_e32 v20, 0x4000
	v_mov_b32_e32 v22, 0x2000
	v_lshlrev_b32_e32 v24, 3, v1
	v_and_b32_e32 v0, 24, v0
	v_cndmask_b32_e32 v27, v20, v22, vcc
	v_xor_b32_e32 v20, v24, v0
	v_or_b32_e32 v22, 0x440, v20
	v_cmp_eq_u32_e32 vcc, 0, v21
	v_or_b32_e32 v28, 32, v0
	v_xor_b32_e32 v28, v24, v28
	v_cndmask_b32_e32 v20, v22, v20, vcc
	v_or_b32_e32 v20, v20, v39
	v_xor_b32_e32 v49, v20, v26
	v_or_b32_e32 v29, 0x440, v28
	v_add3_u32 v25, v27, v49, v48
	v_cndmask_b32_e32 v28, v29, v28, vcc
	v_or_b32_e32 v29, 64, v0
	v_or_b32_e32 v0, 0x60, v0
	s_waitcnt lgkmcnt(0)
	s_barrier
	v_xor_b32_e32 v29, v24, v29
	v_xor_b32_e32 v0, v24, v0
	ds_read_b64 v[24:25], v25
	v_xor_b32_e32 v30, 0x440, v29
	ds_read2_b64 v[20:23], v19 offset1:16
	v_cndmask_b32_e32 v29, v30, v29, vcc
	v_xor_b32_e32 v30, 0x440, v0
	v_or_b32_e32 v28, v28, v39
	v_or_b32_e32 v29, v29, v39
	v_cndmask_b32_e32 v0, v30, v0, vcc
	s_add_i32 s0, s14, s49
	v_xor_b32_e32 v50, v28, v26
	v_xor_b32_e32 v51, v29, v26
	v_or_b32_e32 v0, v0, v39
	s_mul_hi_i32 s1, s0, s13
	v_add3_u32 v28, v27, v50, v48
	v_add3_u32 v29, v27, v51, v48
	v_xor_b32_e32 v52, v0, v26
	s_mul_i32 s0, s0, s13
	v_add3_u32 v0, v27, v52, v48
	ds_read_b64 v[26:27], v28
	ds_read_b64 v[40:41], v29
	;; [unrolled: 1-line block ×3, first 2 shown]
	s_add_u32 s0, s0, s33
	ds_read2st64_b64 v[28:31], v19 offset0:2 offset1:4
	ds_read2st64_b64 v[36:39], v18 offset0:2 offset1:4
	s_waitcnt lgkmcnt(5)
	v_mfma_f32_16x16x16_bf16 a[0:3], v[24:25], v[20:21], 0
	s_addc_u32 s1, s1, s48
	s_lshl_b64 s[0:1], s[0:1], 9
	s_add_u32 s0, s16, s0
	v_mfma_f32_16x16x16_bf16 a[4:7], v[24:25], v[22:23], 0
	s_addc_u32 s1, s17, s1
	v_lshlrev_b32_e32 v0, 2, v32
	ds_read_b64 v[44:45], v19 offset:3072
	ds_read_b64 v[46:47], v18 offset:3072
	s_waitcnt lgkmcnt(3)
	v_mfma_f32_16x16x16_bf16 a[0:3], v[26:27], v[28:29], a[0:3]
	s_waitcnt lgkmcnt(2)
	v_mfma_f32_16x16x16_bf16 a[4:7], v[26:27], v[36:37], a[4:7]
	global_load_dwordx4 v[24:27], v0, s[0:1]
	v_lshlrev_b32_e32 v0, 6, v1
	v_lshlrev_b32_e32 v1, 2, v34
	v_or3_b32 v0, v0, v1, s2
	global_load_dwordx4 v[32:35], v0, s[0:1]
	v_mfma_f32_16x16x16_bf16 a[0:3], v[40:41], v[30:31], a[0:3]
	v_mov_b32_e32 v0, 0x3fb8aa3b
	v_mul_f32_e32 v0, s12, v0
	s_waitcnt vmcnt(1)
	v_mul_f32_e32 v18, 0x3fb8aa3b, v26
	v_mfma_f32_16x16x16_bf16 a[4:7], v[40:41], v[38:39], a[4:7]
	v_exp_f32_e32 v40, v0
	v_mul_f32_e32 v0, 0x3fb8aa3b, v24
	v_exp_f32_e32 v24, v18
	s_waitcnt lgkmcnt(1)
	v_mfma_f32_16x16x16_bf16 a[0:3], v[42:43], v[44:45], a[0:3]
	v_add_u32_e32 v18, v49, v48
	v_mul_f32_e32 v19, 0x3fb8aa3b, v27
	v_mul_f32_e32 v1, 0x3fb8aa3b, v25
	v_exp_f32_e32 v0, v0
	v_exp_f32_e32 v1, v1
	;; [unrolled: 1-line block ×3, first 2 shown]
	v_pk_mul_f32 v[0:1], v[40:41], v[0:1] op_sel_hi:[0,1]
	v_accvgpr_read_b32 v27, a3
	v_accvgpr_read_b32 v26, a2
	s_waitcnt lgkmcnt(0)
	v_mfma_f32_16x16x16_bf16 a[2:5], v[42:43], v[46:47], a[4:7]
	ds_read_b64 v[42:43], v18 offset:16384
	v_accvgpr_read_b32 v19, a1
	v_accvgpr_read_b32 v18, a0
	v_pk_fma_f32 v[18:19], v[2:3], v[0:1], v[18:19]
	v_add_u32_e32 v2, v50, v48
	v_add_u32_e32 v50, v52, v48
	s_waitcnt lgkmcnt(0)
	v_mfma_f32_16x16x16_bf16 a[6:9], v[42:43], v[20:21], 0
	v_add_u32_e32 v41, v51, v48
	ds_read_b64 v[2:3], v2 offset:16384
	ds_read_b64 v[48:49], v41 offset:16384
	;; [unrolled: 1-line block ×3, first 2 shown]
	v_pk_mul_f32 v[24:25], v[40:41], v[24:25] op_sel_hi:[0,1]
	v_pk_fma_f32 v[20:21], v[4:5], v[24:25], v[26:27]
	v_accvgpr_read_b32 v4, a2
	v_mfma_f32_16x16x16_bf16 a[10:13], v[42:43], v[22:23], 0
	v_fma_f32 v26, v10, v0, v4
	v_accvgpr_read_b32 v0, a3
	v_fma_f32 v27, v11, v1, v0
	s_waitcnt lgkmcnt(2)
	v_mfma_f32_16x16x16_bf16 a[0:3], v[2:3], v[28:29], a[6:9]
	v_accvgpr_read_b32 v0, a4
	v_accvgpr_read_b32 v29, a5
	v_fma_f32 v28, v12, v24, v0
	v_mfma_f32_16x16x16_bf16 a[4:7], v[2:3], v[36:37], a[10:13]
	s_waitcnt vmcnt(0)
	v_mov_b32_e32 v0, v33
	v_mov_b32_e32 v1, v34
	;; [unrolled: 1-line block ×3, first 2 shown]
	s_waitcnt lgkmcnt(1)
	v_mfma_f32_16x16x16_bf16 a[0:3], v[48:49], v[30:31], a[0:3]
	v_mul_f32_e32 v0, 0x3fb8aa3b, v0
	v_exp_f32_e32 v5, v0
	v_mul_f32_e32 v0, 0x3fb8aa3b, v1
	v_mfma_f32_16x16x16_bf16 a[4:7], v[48:49], v[38:39], a[4:7]
	v_mul_f32_e32 v1, 0x3fb8aa3b, v2
	v_mul_f32_e32 v3, 0x3fb8aa3b, v32
	v_exp_f32_e32 v0, v0
	s_waitcnt lgkmcnt(0)
	v_mfma_f32_16x16x16_bf16 a[0:3], v[50:51], v[44:45], a[0:3]
	v_exp_f32_e32 v1, v1
	v_exp_f32_e32 v4, v3
	v_fmac_f32_e32 v29, v13, v25
	v_pk_mul_f32 v[0:1], v[40:41], v[0:1] op_sel_hi:[0,1]
	v_pk_mul_f32 v[4:5], v[40:41], v[4:5] op_sel_hi:[0,1]
	s_nop 1
	v_accvgpr_read_b32 v3, a3
	v_accvgpr_read_b32 v2, a2
	v_mfma_f32_16x16x16_bf16 a[2:5], v[50:51], v[46:47], a[4:7]
	v_pk_fma_f32 v[24:25], v[8:9], v[0:1], v[2:3]
	v_accvgpr_read_b32 v11, a1
	v_accvgpr_read_b32 v10, a0
	v_pk_fma_f32 v[22:23], v[6:7], v[4:5], v[10:11]
	s_nop 2
	v_accvgpr_read_b32 v2, a2
	v_fma_f32 v30, v14, v4, v2
	v_accvgpr_read_b32 v2, a3
	v_fma_f32 v31, v15, v5, v2
	v_accvgpr_read_b32 v2, a4
	v_accvgpr_read_b32 v33, a5
	v_fma_f32 v32, v16, v0, v2
	v_fmac_f32_e32 v33, v17, v1
	v_mov_b64_e32 v[2:3], v[18:19]
	v_mov_b64_e32 v[4:5], v[20:21]
	;; [unrolled: 1-line block ×8, first 2 shown]
.LBB474_85:
	s_add_u32 s0, s18, s28
	s_addc_u32 s1, s19, s29
	v_lshl_add_u64 v[0:1], v[66:67], 2, s[0:1]
	v_mov_b32_e32 v63, 0
	v_lshl_add_u64 v[0:1], v[0:1], 0, v[62:63]
	global_store_dwordx4 v[0:1], v[2:5], off
	global_store_dwordx4 v[0:1], v[6:9], off offset:256
	v_lshl_add_u64 v[0:1], v[64:65], 2, s[0:1]
	v_lshl_add_u64 v[0:1], v[0:1], 0, v[62:63]
	global_store_dwordx4 v[0:1], v[10:13], off
	global_store_dwordx4 v[0:1], v[14:17], off offset:256
	s_endpgm
	.section	.rodata,"a",@progbits
	.p2align	6, 0x0
	.amdhsa_kernel _ZN12_GLOBAL__N_139chunk_gated_delta_rule_fwd_h_hip_kernelILi32ELb1ELb1ELb0ELb0ELb0ELb1ELb0ELb0EEEvPK12hip_bfloat16S3_S3_PKfS5_PKvPS1_S8_PvPKiSB_iiiiilll
		.amdhsa_group_segment_fixed_size 49152
		.amdhsa_private_segment_fixed_size 0
		.amdhsa_kernarg_size 136
		.amdhsa_user_sgpr_count 2
		.amdhsa_user_sgpr_dispatch_ptr 0
		.amdhsa_user_sgpr_queue_ptr 0
		.amdhsa_user_sgpr_kernarg_segment_ptr 1
		.amdhsa_user_sgpr_dispatch_id 0
		.amdhsa_user_sgpr_kernarg_preload_length 0
		.amdhsa_user_sgpr_kernarg_preload_offset 0
		.amdhsa_user_sgpr_private_segment_size 0
		.amdhsa_uses_dynamic_stack 0
		.amdhsa_enable_private_segment 0
		.amdhsa_system_sgpr_workgroup_id_x 1
		.amdhsa_system_sgpr_workgroup_id_y 1
		.amdhsa_system_sgpr_workgroup_id_z 0
		.amdhsa_system_sgpr_workgroup_info 0
		.amdhsa_system_vgpr_workitem_id 0
		.amdhsa_next_free_vgpr 172
		.amdhsa_next_free_sgpr 72
		.amdhsa_accum_offset 148
		.amdhsa_reserve_vcc 1
		.amdhsa_float_round_mode_32 0
		.amdhsa_float_round_mode_16_64 0
		.amdhsa_float_denorm_mode_32 3
		.amdhsa_float_denorm_mode_16_64 3
		.amdhsa_dx10_clamp 1
		.amdhsa_ieee_mode 1
		.amdhsa_fp16_overflow 0
		.amdhsa_tg_split 0
		.amdhsa_exception_fp_ieee_invalid_op 0
		.amdhsa_exception_fp_denorm_src 0
		.amdhsa_exception_fp_ieee_div_zero 0
		.amdhsa_exception_fp_ieee_overflow 0
		.amdhsa_exception_fp_ieee_underflow 0
		.amdhsa_exception_fp_ieee_inexact 0
		.amdhsa_exception_int_div_zero 0
	.end_amdhsa_kernel
	.section	.text._ZN12_GLOBAL__N_139chunk_gated_delta_rule_fwd_h_hip_kernelILi32ELb1ELb1ELb0ELb0ELb0ELb1ELb0ELb0EEEvPK12hip_bfloat16S3_S3_PKfS5_PKvPS1_S8_PvPKiSB_iiiiilll,"axG",@progbits,_ZN12_GLOBAL__N_139chunk_gated_delta_rule_fwd_h_hip_kernelILi32ELb1ELb1ELb0ELb0ELb0ELb1ELb0ELb0EEEvPK12hip_bfloat16S3_S3_PKfS5_PKvPS1_S8_PvPKiSB_iiiiilll,comdat
.Lfunc_end474:
	.size	_ZN12_GLOBAL__N_139chunk_gated_delta_rule_fwd_h_hip_kernelILi32ELb1ELb1ELb0ELb0ELb0ELb1ELb0ELb0EEEvPK12hip_bfloat16S3_S3_PKfS5_PKvPS1_S8_PvPKiSB_iiiiilll, .Lfunc_end474-_ZN12_GLOBAL__N_139chunk_gated_delta_rule_fwd_h_hip_kernelILi32ELb1ELb1ELb0ELb0ELb0ELb1ELb0ELb0EEEvPK12hip_bfloat16S3_S3_PKfS5_PKvPS1_S8_PvPKiSB_iiiiilll
                                        ; -- End function
	.section	.AMDGPU.csdata,"",@progbits
; Kernel info:
; codeLenInByte = 9780
; NumSgprs: 78
; NumVgprs: 146
; NumAgprs: 24
; TotalNumVgprs: 172
; ScratchSize: 0
; MemoryBound: 0
; FloatMode: 240
; IeeeMode: 1
; LDSByteSize: 49152 bytes/workgroup (compile time only)
; SGPRBlocks: 9
; VGPRBlocks: 21
; NumSGPRsForWavesPerEU: 78
; NumVGPRsForWavesPerEU: 172
; AccumOffset: 148
; Occupancy: 1
; WaveLimiterHint : 1
; COMPUTE_PGM_RSRC2:SCRATCH_EN: 0
; COMPUTE_PGM_RSRC2:USER_SGPR: 2
; COMPUTE_PGM_RSRC2:TRAP_HANDLER: 0
; COMPUTE_PGM_RSRC2:TGID_X_EN: 1
; COMPUTE_PGM_RSRC2:TGID_Y_EN: 1
; COMPUTE_PGM_RSRC2:TGID_Z_EN: 0
; COMPUTE_PGM_RSRC2:TIDIG_COMP_CNT: 0
; COMPUTE_PGM_RSRC3_GFX90A:ACCUM_OFFSET: 36
; COMPUTE_PGM_RSRC3_GFX90A:TG_SPLIT: 0
	.section	.text._ZN12_GLOBAL__N_139chunk_gated_delta_rule_fwd_h_hip_kernelILi32ELb1ELb0ELb1ELb0ELb0ELb1ELb0ELb0EEEvPK12hip_bfloat16S3_S3_PKfS5_PKvPS1_S8_PvPKiSB_iiiiilll,"axG",@progbits,_ZN12_GLOBAL__N_139chunk_gated_delta_rule_fwd_h_hip_kernelILi32ELb1ELb0ELb1ELb0ELb0ELb1ELb0ELb0EEEvPK12hip_bfloat16S3_S3_PKfS5_PKvPS1_S8_PvPKiSB_iiiiilll,comdat
	.globl	_ZN12_GLOBAL__N_139chunk_gated_delta_rule_fwd_h_hip_kernelILi32ELb1ELb0ELb1ELb0ELb0ELb1ELb0ELb0EEEvPK12hip_bfloat16S3_S3_PKfS5_PKvPS1_S8_PvPKiSB_iiiiilll ; -- Begin function _ZN12_GLOBAL__N_139chunk_gated_delta_rule_fwd_h_hip_kernelILi32ELb1ELb0ELb1ELb0ELb0ELb1ELb0ELb0EEEvPK12hip_bfloat16S3_S3_PKfS5_PKvPS1_S8_PvPKiSB_iiiiilll
	.p2align	8
	.type	_ZN12_GLOBAL__N_139chunk_gated_delta_rule_fwd_h_hip_kernelILi32ELb1ELb0ELb1ELb0ELb0ELb1ELb0ELb0EEEvPK12hip_bfloat16S3_S3_PKfS5_PKvPS1_S8_PvPKiSB_iiiiilll,@function
_ZN12_GLOBAL__N_139chunk_gated_delta_rule_fwd_h_hip_kernelILi32ELb1ELb0ELb1ELb0ELb0ELb1ELb0ELb0EEEvPK12hip_bfloat16S3_S3_PKfS5_PKvPS1_S8_PvPKiSB_iiiiilll: ; @_ZN12_GLOBAL__N_139chunk_gated_delta_rule_fwd_h_hip_kernelILi32ELb1ELb0ELb1ELb0ELb0ELb1ELb0ELb0EEEvPK12hip_bfloat16S3_S3_PKfS5_PKvPS1_S8_PvPKiSB_iiiiilll
; %bb.0:
	s_load_dwordx4 s[12:15], s[0:1], 0x5c
	s_load_dwordx4 s[20:23], s[0:1], 0x70
	s_abs_i32 s6, s3
	s_ashr_i32 s5, s3, 31
	s_load_dwordx4 s[16:19], s[0:1], 0x28
	s_load_dwordx2 s[28:29], s[0:1], 0x38
	s_waitcnt lgkmcnt(0)
	s_abs_i32 s4, s13
	v_cvt_f32_u32_e32 v1, s4
	s_sub_i32 s8, 0, s4
	s_ashr_i32 s7, s13, 31
	s_xor_b32 s5, s5, s7
	v_rcp_iflag_f32_e32 v1, v1
	v_and_b32_e32 v74, 15, v0
	v_lshrrev_b32_e32 v72, 6, v0
	v_bfe_u32 v73, v0, 4, 2
	v_mul_f32_e32 v1, 0x4f7ffffe, v1
	v_cvt_u32_f32_e32 v1, v1
	v_mov_b32_e32 v7, 0
	v_and_b32_e32 v61, 63, v0
	v_lshrrev_b32_e32 v76, 3, v61
	v_readfirstlane_b32 s9, v1
	s_mul_i32 s8, s8, s9
	s_mul_hi_u32 s8, s9, s8
	s_add_i32 s9, s9, s8
	s_mul_hi_u32 s8, s6, s9
	s_mul_i32 s9, s8, s4
	s_sub_i32 s6, s6, s9
	s_add_i32 s10, s8, 1
	s_sub_i32 s9, s6, s4
	s_cmp_ge_u32 s6, s4
	s_cselect_b32 s8, s10, s8
	s_cselect_b32 s6, s9, s6
	s_add_i32 s9, s8, 1
	s_cmp_ge_u32 s6, s4
	s_cselect_b32 s6, s9, s8
	s_xor_b32 s6, s6, s5
	s_add_i32 s8, s12, 63
	s_sub_i32 s52, s6, s5
	s_ashr_i32 s9, s8, 31
	s_mul_i32 s5, s52, s13
	s_sub_i32 s50, s3, s5
	s_lshr_b32 s3, s9, 26
	s_add_i32 s8, s8, s3
	s_abs_i32 s3, s14
	v_cvt_f32_u32_e32 v1, s3
	s_ashr_i32 s51, s12, 31
	s_lshr_b32 s6, s51, 26
	s_add_i32 s6, s12, s6
	v_rcp_iflag_f32_e32 v1, v1
	s_ashr_i32 s55, s14, 31
	s_ashr_i32 s53, s6, 6
	s_lshl_b32 s38, s2, 5
	v_mul_f32_e32 v1, 0x4f7ffffe, v1
	v_cvt_u32_f32_e32 v1, v1
	s_xor_b32 s2, s7, s55
	s_sub_i32 s6, 0, s3
	s_ashr_i32 s25, s8, 6
	v_readfirstlane_b32 s7, v1
	s_mul_i32 s6, s6, s7
	s_mul_hi_u32 s6, s7, s6
	s_add_i32 s7, s7, s6
	s_mul_hi_u32 s6, s4, s7
	s_mul_i32 s7, s6, s3
	s_sub_i32 s4, s4, s7
	s_add_i32 s7, s6, 1
	s_sub_i32 s8, s4, s3
	s_cmp_ge_u32 s4, s3
	s_cselect_b32 s6, s7, s6
	s_cselect_b32 s4, s8, s4
	s_add_i32 s7, s6, 1
	s_cmp_ge_u32 s4, s3
	s_cselect_b32 s3, s7, s6
	s_xor_b32 s3, s3, s2
	s_sub_i32 s2, s3, s2
	s_abs_i32 s3, s2
	v_cvt_f32_u32_e32 v1, s3
	s_sub_i32 s6, 0, s3
	s_abs_i32 s4, s50
	s_xor_b32 s2, s50, s2
	v_rcp_iflag_f32_e32 v1, v1
	s_ashr_i32 s2, s2, 31
	v_or_b32_e32 v62, s38, v74
	v_lshlrev_b32_e32 v2, 7, v62
	v_mul_f32_e32 v1, 0x4f7ffffe, v1
	v_cvt_u32_f32_e32 v1, v1
	v_ashrrev_i32_e32 v3, 31, v2
	s_mul_i32 s57, s52, s25
	v_lshlrev_b32_e32 v75, 3, v0
	v_readfirstlane_b32 s7, v1
	s_mul_i32 s6, s6, s7
	s_mul_hi_u32 s6, s7, s6
	s_add_i32 s7, s7, s6
	s_mul_hi_u32 s6, s4, s7
	s_mul_i32 s7, s6, s3
	s_sub_i32 s4, s4, s7
	s_add_i32 s7, s6, 1
	s_sub_i32 s8, s4, s3
	s_cmp_ge_u32 s4, s3
	s_cselect_b32 s6, s7, s6
	s_cselect_b32 s4, s8, s4
	s_add_i32 s7, s6, 1
	s_cmp_ge_u32 s4, s3
	s_cselect_b32 s3, s7, s6
	s_xor_b32 s3, s3, s2
	s_sub_i32 s56, s3, s2
	s_ashr_i32 s24, s52, 31
	s_ashr_i32 s54, s50, 31
	s_mul_hi_i32 s2, s52, s13
	s_add_u32 s40, s5, s50
	s_addc_u32 s41, s2, s54
	s_lshl_b64 s[2:3], s[40:41], 16
	s_add_u32 s2, s16, s2
	s_addc_u32 s3, s17, s3
	v_lshlrev_b32_e32 v1, 4, v72
	v_lshl_add_u64 v[4:5], v[2:3], 2, s[2:3]
	v_or_b32_e32 v2, 0x800, v2
	v_lshl_or_b32 v77, v73, 2, v1
	v_ashrrev_i32_e32 v3, 31, v2
	v_lshlrev_b32_e32 v6, 2, v77
	v_lshl_add_u64 v[2:3], v[2:3], 2, s[2:3]
	v_lshl_add_u64 v[4:5], v[4:5], 0, v[6:7]
	;; [unrolled: 1-line block ×3, first 2 shown]
	global_load_dwordx4 v[14:17], v[4:5], off
	global_load_dwordx4 v[10:13], v[4:5], off offset:256
	global_load_dwordx4 v[6:9], v[18:19], off
	s_nop 0
	global_load_dwordx4 v[2:5], v[18:19], off offset:256
	s_load_dwordx8 s[4:11], s[0:1], 0x0
	s_load_dwordx2 s[30:31], s[0:1], 0x80
	v_or_b32_e32 v78, 64, v77
	s_cmp_lt_i32 s12, 64
	s_mul_i32 s58, s41, s12
	s_mul_hi_u32 s59, s40, s12
	s_mul_i32 s16, s40, s12
	s_mul_i32 s33, s52, s21
	s_mul_hi_u32 s46, s52, s20
	s_mul_i32 s47, s24, s20
	s_mul_i32 s34, s52, s20
	;; [unrolled: 1-line block ×3, first 2 shown]
	s_mul_hi_u32 s48, s50, s22
	s_mul_i32 s49, s54, s22
	s_mul_i32 s36, s50, s22
	s_cbranch_scc1 .LBB475_3
; %bb.1:
	s_add_i32 s17, s59, s58
	s_lshl_b64 s[2:3], s[16:17], 8
	v_and_b32_e32 v80, 56, v75
	s_waitcnt lgkmcnt(0)
	s_add_u32 s20, s6, s2
	v_lshl_or_b32 v79, v72, 3, v76
	v_lshlrev_b32_e32 v18, 1, v80
	s_addc_u32 s2, s7, s3
	v_lshl_or_b32 v81, v79, 8, v18
	s_and_b32 s21, s2, 0xffff
	s_mov_b32 s23, 0x20000
	s_movk_i32 s22, 0x4000
	s_movk_i32 s2, 0x80
	v_or_b32_e32 v82, 0x2000, v81
	buffer_load_dwordx4 v[20:23], v81, s[20:23], 0 offen
	buffer_load_dwordx4 v[24:27], v81, s[20:23], s2 offen
	;; [unrolled: 1-line block ×4, first 2 shown]
	v_lshlrev_b32_e32 v19, 3, v79
	v_and_or_b32 v37, v0, 7, v19
	v_and_b32_e32 v19, 0x78, v19
	v_lshlrev_b32_e32 v37, 4, v37
	v_xor_b32_e32 v83, v37, v19
	v_mul_lo_u32 v36, v79, s15
	v_or_b32_e32 v84, 0x1000, v83
	v_xor_b32_e32 v19, 8, v83
	s_cmpk_eq_i32 s15, 0x80
	s_mov_b32 s60, s14
	v_xor_b32_e32 v37, 8, v84
	s_cselect_b64 s[2:3], -1, 0
	s_cmpk_lg_i32 s15, 0x80
	s_waitcnt vmcnt(3)
	ds_write_b64 v83, v[20:21] offset:24576
	ds_write_b64 v19, v[22:23] offset:24576
	s_waitcnt vmcnt(2)
	ds_write_b64 v83, v[24:25] offset:32768
	ds_write_b64 v19, v[26:27] offset:32768
	;; [unrolled: 3-line block ×4, first 2 shown]
	v_lshl_add_u32 v19, v36, 1, v80
	s_cbranch_scc0 .LBB475_29
; %bb.2:
	v_lshlrev_b32_e32 v21, 1, v19
	v_add_lshl_u32 v20, v19, s15, 1
	s_lshl_b32 s22, s15, 7
	s_load_dwordx2 s[42:43], s[0:1], 0x20
	v_lshl_or_b32 v18, v79, 9, v18
	s_cbranch_execz .LBB475_30
	s_branch .LBB475_31
.LBB475_3:
	s_waitcnt vmcnt(0)
	v_mov_b32_e32 v25, v5
	v_mov_b32_e32 v21, v9
.LBB475_4:
	s_lshl_b32 s26, s53, 6
	s_sub_i32 s27, s12, s26
	s_cmp_gt_i32 s27, 0
	s_cbranch_scc0 .LBB475_84
; %bb.5:
	s_ashr_i32 s2, s26, 31
	s_cmpk_lg_i32 s15, 0x80
	s_cselect_b64 s[22:23], -1, 0
	s_and_b64 vcc, exec, s[22:23]
	s_cbranch_vccz .LBB475_7
; %bb.6:
	s_mul_i32 s1, s52, s12
	s_mul_hi_i32 s0, s52, s12
	s_add_u32 s1, s1, s26
	s_addc_u32 s0, s0, s2
	s_mul_i32 s3, s1, s55
	s_mul_hi_u32 s17, s1, s14
	s_add_i32 s3, s17, s3
	s_mul_i32 s0, s0, s14
	s_add_i32 s3, s3, s0
	s_mul_i32 s1, s1, s14
	s_ashr_i32 s0, s56, 31
	s_add_u32 s24, s1, s56
	s_addc_u32 s25, s3, s0
	s_cbranch_execz .LBB475_8
	s_branch .LBB475_9
.LBB475_7:
                                        ; implicit-def: $sgpr24_sgpr25
.LBB475_8:
	s_mul_hi_i32 s0, s52, s14
	s_mul_i32 s52, s52, s14
	s_ashr_i32 s1, s56, 31
	s_add_u32 s3, s52, s56
	s_addc_u32 s0, s0, s1
	s_mul_i32 s1, s3, s51
	s_mul_hi_u32 s14, s3, s12
	s_add_i32 s1, s14, s1
	s_mul_i32 s0, s0, s12
	s_add_i32 s1, s1, s0
	s_mul_i32 s3, s3, s12
	s_add_u32 s24, s3, s26
	s_addc_u32 s25, s1, s2
.LBB475_9:
	s_mul_i32 s0, s40, s51
	s_add_i32 s0, s59, s0
	s_add_i32 s3, s57, s53
	;; [unrolled: 1-line block ×3, first 2 shown]
	s_add_u32 s0, s16, s26
	s_addc_u32 s1, s1, s2
	v_lshlrev_b32_e32 v18, 5, v77
	v_lshlrev_b32_e32 v22, 2, v74
	s_mov_b32 s2, 0x7060302
	v_perm_b32 v13, v13, v12, s2
	v_perm_b32 v12, v11, v10, s2
	v_or_b32_e32 v10, v18, v22
	v_xor_b32_e32 v5, v77, v22
	v_perm_b32 v17, v17, v16, s2
	v_perm_b32 v16, v15, v14, s2
	v_lshlrev_b32_e32 v10, 1, v10
	ds_write2st64_b64 v10, v[16:17], v[12:13] offset0:80 offset1:88
	v_lshlrev_b32_e32 v10, 1, v5
	v_lshlrev_b32_e32 v5, 8, v74
	s_lshl_b64 s[20:21], s[0:1], 8
	v_xor_b32_e32 v9, v78, v22
	v_or_b32_e32 v11, v10, v5
	s_waitcnt lgkmcnt(0)
	s_add_u32 s0, s6, s20
	ds_write_b64 v11, v[16:17]
	v_lshlrev_b32_e32 v11, 1, v9
	s_addc_u32 s1, s7, s21
	v_or_b32_e32 v5, v11, v5
	s_mul_hi_i32 s6, s3, s13
	s_mul_i32 s3, s3, s13
	ds_write_b64 v5, v[12:13]
	v_perm_b32 v9, v21, v8, s2
	v_perm_b32 v8, v7, v6, s2
	;; [unrolled: 1-line block ×4, first 2 shown]
	s_add_u32 s2, s3, s50
	v_or_b32_e32 v2, 16, v74
	s_addc_u32 s3, s6, s54
	v_lshlrev_b32_e32 v19, 2, v2
	s_ashr_i32 s39, s38, 31
	s_lshl_b64 s[2:3], s[2:3], 15
	v_or_b32_e32 v3, v18, v19
	s_add_u32 s6, s18, s2
	v_lshlrev_b32_e32 v3, 1, v3
	v_lshlrev_b32_e32 v2, 8, v2
	s_addc_u32 s7, s19, s3
	s_lshl_b64 s[2:3], s[38:39], 8
	ds_write2st64_b64 v3, v[8:9], v[4:5] offset0:80 offset1:88
	v_or_b32_e32 v3, v10, v2
	v_or_b32_e32 v2, v11, v2
	s_add_u32 s2, s6, s2
	ds_write_b64 v3, v[8:9]
	ds_write_b64 v2, v[4:5]
	v_lshrrev_b32_e32 v2, 4, v0
	s_addc_u32 s3, s7, s3
	v_lshlrev_b32_e32 v3, 1, v74
	v_lshlrev_b32_e32 v10, 4, v74
	v_mov_b32_e32 v11, 0
	v_or_b32_e32 v4, 1, v3
	v_xor_b32_e32 v3, v2, v3
	v_lshl_add_u64 v[12:13], s[2:3], 0, v[10:11]
	v_lshlrev_b32_e32 v10, 8, v2
	v_xor_b32_e32 v6, v4, v2
	v_lshl_or_b32 v2, v3, 3, v10
	s_waitcnt lgkmcnt(0)
	s_barrier
	ds_read2st64_b64 v[2:5], v2 offset1:8
	v_lshl_or_b32 v6, v6, 3, v10
	ds_read2st64_b64 v[6:9], v6 offset1:8
	v_lshl_add_u64 v[14:15], v[12:13], 0, v[10:11]
	s_movk_i32 s2, 0x1000
	s_waitcnt lgkmcnt(1)
	v_mov_b32_e32 v10, v2
	v_add_co_u32_e32 v2, vcc, s2, v14
	s_cmp_lg_u32 s27, 64
	v_mov_b32_e32 v11, v3
	v_addc_co_u32_e32 v3, vcc, 0, v15, vcc
	s_cselect_b64 s[6:7], -1, 0
	v_lshl_or_b32 v23, v72, 3, v76
	s_waitcnt lgkmcnt(0)
	v_mov_b32_e32 v12, v6
	v_mov_b32_e32 v13, v7
	;; [unrolled: 1-line block ×4, first 2 shown]
	s_mov_b32 s16, 0
	v_or_b32_e32 v20, 32, v23
	v_and_b32_e32 v18, 56, v75
	s_and_b64 vcc, exec, s[6:7]
	global_store_dwordx4 v[14:15], v[10:13], off
	global_store_dwordx4 v[2:3], v[6:9], off
	s_cbranch_vccz .LBB475_15
; %bb.10:
	s_mov_b32 s17, s16
	s_mov_b32 s18, s16
	;; [unrolled: 1-line block ×3, first 2 shown]
	v_mov_b64_e32 v[6:7], s[16:17]
	v_mov_b64_e32 v[8:9], s[18:19]
	;; [unrolled: 1-line block ×3, first 2 shown]
	v_cmp_gt_i32_e32 vcc, s27, v23
	v_mov_b64_e32 v[4:5], v[8:9]
	s_and_saveexec_b64 s[2:3], vcc
	s_cbranch_execz .LBB475_12
; %bb.11:
	v_lshlrev_b32_e32 v2, 8, v23
	v_mov_b32_e32 v3, 0
	v_lshl_add_u64 v[4:5], s[0:1], 0, v[2:3]
	v_lshlrev_b32_e32 v2, 1, v18
	v_lshl_add_u64 v[10:11], v[4:5], 0, v[2:3]
	global_load_dwordx4 v[6:9], v[10:11], off
	global_load_dwordx4 v[2:5], v[10:11], off offset:128
.LBB475_12:
	s_or_b64 exec, exec, s[2:3]
	s_mov_b32 s17, s16
	s_mov_b32 s18, s16
	;; [unrolled: 1-line block ×3, first 2 shown]
	v_mov_b64_e32 v[14:15], s[16:17]
	v_mov_b64_e32 v[16:17], s[18:19]
	;; [unrolled: 1-line block ×3, first 2 shown]
	v_cmp_gt_i32_e32 vcc, s27, v20
	v_lshlrev_b32_e32 v21, 7, v20
	v_mov_b64_e32 v[12:13], v[16:17]
	s_and_saveexec_b64 s[2:3], vcc
	s_cbranch_execz .LBB475_14
; %bb.13:
	v_lshlrev_b32_e32 v10, 1, v21
	v_mov_b32_e32 v11, 0
	v_lshl_add_u64 v[12:13], s[0:1], 0, v[10:11]
	v_lshlrev_b32_e32 v10, 1, v18
	v_lshl_add_u64 v[24:25], v[12:13], 0, v[10:11]
	global_load_dwordx4 v[14:17], v[24:25], off
	global_load_dwordx4 v[10:13], v[24:25], off offset:128
.LBB475_14:
	s_or_b64 exec, exec, s[2:3]
	v_lshrrev_b32_e32 v24, 3, v18
	v_lshlrev_b32_e32 v25, 3, v23
	v_or_b32_e32 v24, v25, v24
	v_lshlrev_b32_e32 v24, 4, v24
	v_and_b32_e32 v25, 0x78, v25
	v_xor_b32_e32 v24, v24, v25
	s_branch .LBB475_17
.LBB475_15:
                                        ; implicit-def: $vgpr24
                                        ; implicit-def: $vgpr21
                                        ; implicit-def: $vgpr6_vgpr7_vgpr8_vgpr9
                                        ; implicit-def: $vgpr2_vgpr3_vgpr4_vgpr5
                                        ; implicit-def: $vgpr14_vgpr15_vgpr16_vgpr17
                                        ; implicit-def: $vgpr10_vgpr11_vgpr12_vgpr13
	s_cbranch_execz .LBB475_17
; %bb.16:
	s_waitcnt vmcnt(0)
	v_lshlrev_b32_e32 v2, 1, v18
	v_lshl_or_b32 v21, v23, 8, v2
	s_and_b32 s1, s1, 0xffff
	s_mov_b32 s3, 0x20000
	s_movk_i32 s2, 0x4000
	v_lshl_or_b32 v24, v20, 8, v2
	s_movk_i32 s13, 0x80
	buffer_load_dwordx4 v[6:9], v21, s[0:3], 0 offen
	buffer_load_dwordx4 v[2:5], v21, s[0:3], s13 offen
	;; [unrolled: 1-line block ×4, first 2 shown]
	v_lshrrev_b32_e32 v21, 3, v18
	v_lshlrev_b32_e32 v24, 3, v23
	v_or_b32_e32 v21, v24, v21
	v_lshlrev_b32_e32 v21, 4, v21
	v_and_b32_e32 v24, 0x78, v24
	v_xor_b32_e32 v24, v21, v24
	v_lshlrev_b32_e32 v21, 7, v20
.LBB475_17:
	s_lshl_b64 s[0:1], s[24:25], 8
	s_add_u32 s4, s4, s0
	s_movk_i32 s0, 0x1000
	v_and_or_b32 v20, v21, s0, v24
	s_waitcnt vmcnt(1)
	ds_write_b64 v24, v[6:7] offset:24576
	v_xor_b32_e32 v6, 8, v24
	ds_write_b64 v6, v[8:9] offset:24576
	s_waitcnt vmcnt(0)
	ds_write_b64 v24, v[2:3] offset:32768
	ds_write_b64 v6, v[4:5] offset:32768
	;; [unrolled: 1-line block ×3, first 2 shown]
	v_xor_b32_e32 v2, 8, v20
	ds_write_b64 v2, v[16:17] offset:24576
	ds_write_b64 v20, v[10:11] offset:32768
	;; [unrolled: 1-line block ×3, first 2 shown]
	v_or_b32_e32 v2, v1, v74
	v_lshlrev_b32_e32 v3, 11, v72
	v_lshlrev_b32_e32 v2, 3, v2
	v_and_b32_e32 v6, 0x1000, v3
	v_lshrrev_b32_e32 v3, 5, v61
	s_movk_i32 s3, 0xf8
	v_and_or_b32 v3, v2, s3, v3
	v_lshlrev_b32_e32 v7, 4, v3
	v_and_b32_e32 v8, 0x78, v2
	v_or_b32_e32 v10, 32, v7
	v_lshrrev_b32_e32 v3, 1, v61
	v_xor_b32_e32 v10, v10, v8
	v_xor_b32_e32 v2, v7, v8
	v_and_b32_e32 v9, 8, v3
	v_or_b32_e32 v10, v10, v6
	v_or_b32_e32 v2, v2, v6
	v_xor_b32_e32 v26, v10, v9
	v_or_b32_e32 v10, 64, v7
	v_xor_b32_e32 v25, v2, v9
	v_xor_b32_e32 v10, v10, v8
	s_waitcnt lgkmcnt(0)
	s_barrier
	v_or_b32_e32 v12, v10, v6
	ds_read_b64 v[10:11], v25 offset:24576
	v_lshl_or_b32 v20, v73, 7, v22
	v_lshlrev_b32_e32 v24, 1, v20
	v_add_u32_e32 v2, 0xa000, v24
	ds_read2_b64 v[2:5], v2 offset1:16
	v_or_b32_e32 v7, 0x60, v7
	v_xor_b32_e32 v7, v7, v8
	s_waitcnt lgkmcnt(0)
	v_mfma_f32_16x16x16_bf16 a[0:3], v[10:11], v[2:3], 0
	v_or_b32_e32 v2, 64, v20
	v_or_b32_e32 v6, v7, v6
	v_lshlrev_b32_e32 v29, 1, v2
	v_xor_b32_e32 v27, v12, v9
	v_xor_b32_e32 v28, v6, v9
	ds_read_b64 v[12:13], v26 offset:24576
	ds_read_b64 v[14:15], v27 offset:24576
	;; [unrolled: 1-line block ×3, first 2 shown]
	v_mfma_f32_16x16x16_bf16 a[4:7], v[10:11], v[4:5], 0
	ds_read2st64_b64 v[2:5], v29 offset0:82 offset1:84
	ds_read2st64_b64 v[6:9], v24 offset0:82 offset1:84
	s_addc_u32 s5, s5, s1
	s_add_i32 s1, s46, s33
	s_add_i32 s0, s12, -1
	s_add_i32 s35, s1, s47
	s_add_i32 s1, s48, s41
	;; [unrolled: 1-line block ×3, first 2 shown]
	s_ashr_i32 s1, s0, 31
	s_mul_i32 s2, s0, s31
	s_mul_hi_u32 s3, s0, s30
	s_add_i32 s2, s3, s2
	s_mul_i32 s1, s1, s30
	s_waitcnt lgkmcnt(1)
	v_mfma_f32_16x16x16_bf16 a[4:7], v[12:13], v[2:3], a[4:7]
	s_add_i32 s1, s2, s1
	s_lshl_b64 s[2:3], s[34:35], 2
	s_add_u32 s10, s10, s2
	s_waitcnt lgkmcnt(0)
	v_mfma_f32_16x16x16_bf16 a[0:3], v[12:13], v[6:7], a[0:3]
	s_addc_u32 s11, s11, s3
	s_lshl_b64 s[2:3], s[36:37], 2
	s_mul_i32 s0, s0, s30
	s_add_u32 s10, s10, s2
	ds_read_b64 v[2:3], v24 offset:44032
	v_mfma_f32_16x16x16_bf16 a[4:7], v[14:15], v[4:5], a[4:7]
	ds_read_b64 v[4:5], v29 offset:44032
	s_addc_u32 s11, s11, s3
	s_lshl_b64 s[0:1], s[0:1], 2
	v_mfma_f32_16x16x16_bf16 a[0:3], v[14:15], v[8:9], a[0:3]
	s_add_u32 s0, s10, s0
	s_addc_u32 s1, s11, s1
	s_load_dword s12, s[0:1], 0x0
	s_waitcnt lgkmcnt(0)
	v_mfma_f32_16x16x16_bf16 a[0:3], v[16:17], v[2:3], a[0:3]
	s_and_b64 vcc, exec, s[22:23]
	v_mfma_f32_16x16x16_bf16 a[4:7], v[16:17], v[4:5], a[4:7]
	s_cbranch_vccz .LBB475_28
; %bb.18:
	v_lshlrev_b32_e32 v20, 1, v23
	s_and_b64 vcc, exec, s[6:7]
	s_cbranch_vccz .LBB475_44
; %bb.19:
	v_cmp_gt_i32_e32 vcc, s27, v20
	v_mov_b32_e32 v6, 0
	v_mov_b32_e32 v2, 0
	;; [unrolled: 1-line block ×5, first 2 shown]
	s_and_saveexec_b64 s[0:1], vcc
	s_cbranch_execz .LBB475_21
; %bb.20:
	v_mad_i64_i32 v[2:3], s[2:3], s15, v20, 0
	v_lshl_add_u64 v[2:3], v[2:3], 1, s[4:5]
	v_lshlrev_b32_e32 v4, 1, v18
	v_mov_b32_e32 v5, 0
	v_lshl_add_u64 v[2:3], v[2:3], 0, v[4:5]
	global_load_dwordx4 v[2:5], v[2:3], off
.LBB475_21:
	s_or_b64 exec, exec, s[0:1]
	v_or_b32_e32 v21, 1, v20
	v_cmp_gt_i32_e64 s[0:1], s27, v21
	v_mov_b32_e32 v7, 0
	v_mov_b32_e32 v8, 0
	;; [unrolled: 1-line block ×3, first 2 shown]
	s_and_saveexec_b64 s[2:3], s[0:1]
	s_cbranch_execz .LBB475_23
; %bb.22:
	v_mad_i64_i32 v[6:7], s[16:17], s15, v21, 0
	v_lshl_add_u64 v[6:7], v[6:7], 1, s[4:5]
	v_lshlrev_b32_e32 v8, 1, v18
	v_mov_b32_e32 v9, 0
	v_lshl_add_u64 v[6:7], v[6:7], 0, v[8:9]
	global_load_dwordx4 v[6:9], v[6:7], off
.LBB475_23:
	s_or_b64 exec, exec, s[2:3]
	v_mov_b32_e32 v17, 0
	v_mov_b32_e32 v10, 0
	;; [unrolled: 1-line block ×5, first 2 shown]
	s_and_saveexec_b64 s[2:3], vcc
	s_cbranch_execz .LBB475_25
; %bb.24:
	v_mad_i64_i32 v[10:11], s[16:17], s15, v20, 0
	v_lshl_add_u64 v[10:11], v[10:11], 1, s[4:5]
	v_lshlrev_b32_e32 v12, 1, v18
	v_mov_b32_e32 v13, 0
	v_lshl_add_u64 v[10:11], v[10:11], 0, v[12:13]
	global_load_dwordx4 v[10:13], v[10:11], off offset:128
.LBB475_25:
	s_or_b64 exec, exec, s[2:3]
	v_mov_b32_e32 v16, 0
	v_mov_b32_e32 v15, 0
	v_mov_b32_e32 v14, 0
	s_and_saveexec_b64 s[2:3], s[0:1]
	s_cbranch_execz .LBB475_27
; %bb.26:
	v_mad_i64_i32 v[14:15], s[0:1], s15, v21, 0
	v_lshl_add_u64 v[14:15], v[14:15], 1, s[4:5]
	v_lshlrev_b32_e32 v16, 1, v18
	v_mov_b32_e32 v17, 0
	v_lshl_add_u64 v[14:15], v[14:15], 0, v[16:17]
	global_load_dwordx4 v[14:17], v[14:15], off offset:128
.LBB475_27:
	s_or_b64 exec, exec, s[2:3]
	s_branch .LBB475_46
.LBB475_28:
                                        ; implicit-def: $vgpr5
                                        ; implicit-def: $vgpr9
                                        ; implicit-def: $vgpr13
                                        ; implicit-def: $vgpr17
	v_lshrrev_b32_e32 v30, 2, v61
	s_branch .LBB475_47
.LBB475_29:
                                        ; implicit-def: $vgpr20
                                        ; implicit-def: $vgpr21
                                        ; implicit-def: $sgpr22
	s_load_dwordx2 s[42:43], s[0:1], 0x20
	v_lshl_or_b32 v18, v79, 9, v18
.LBB475_30:
	v_or_b32_e32 v20, 0x100, v18
	s_movk_i32 s22, 0x4000
	v_mov_b32_e32 v21, v18
.LBB475_31:
	s_mul_hi_u32 s0, s14, s12
	s_mul_i32 s1, s55, s12
	s_add_i32 s0, s0, s1
	s_mul_i32 s1, s14, s12
	s_mul_i32 s20, s1, s24
	s_mul_hi_u32 s21, s1, s52
	s_add_i32 s20, s21, s20
	s_mul_i32 s0, s0, s52
	s_add_i32 s20, s20, s0
	s_mul_i32 s1, s1, s52
	s_ashr_i32 s61, s56, 31
	s_add_u32 s0, s1, s56
	s_addc_u32 s1, s20, s61
	s_lshl_b64 s[0:1], s[0:1], 8
	s_add_u32 s20, s4, s0
	s_addc_u32 s0, s5, s1
	s_and_b32 s21, s0, 0xffff
	s_movk_i32 s62, 0x80
	buffer_load_dwordx4 v[22:25], v21, s[20:23], 0 offen
	buffer_load_dwordx4 v[26:29], v21, s[20:23], s62 offen
	;; [unrolled: 1-line block ×4, first 2 shown]
	v_and_b32_e32 v20, 6, v0
	v_lshlrev_b32_e32 v39, 6, v77
	v_or_b32_e32 v41, 16, v74
	v_xor_b32_e32 v42, v79, v20
	v_and_b32_e32 v21, 1, v0
	v_lshl_or_b32 v45, v74, 3, v39
	v_lshl_or_b32 v39, v41, 3, v39
	v_lshlrev_b32_e32 v42, 2, v42
	s_mul_i32 s24, s24, s12
	s_mul_hi_u32 s0, s52, s12
	v_lshlrev_b32_e32 v38, 2, v74
	v_or_b32_e32 v87, 0xa000, v39
	v_or_b32_e32 v88, 0xb000, v39
	v_xor_b32_e32 v39, 0x440, v42
	v_cmp_eq_u32_e32 vcc, 0, v21
	v_xor_b32_e32 v43, v77, v38
	v_xor_b32_e32 v44, v78, v38
	v_cndmask_b32_e32 v21, v39, v42, vcc
	s_add_i32 s67, s0, s24
	s_add_i32 s0, s46, s33
	s_mov_b32 s65, 0x1000504
	v_lshlrev_b32_e32 v40, 8, v74
	v_lshlrev_b32_e32 v43, 1, v43
	;; [unrolled: 1-line block ×3, first 2 shown]
	v_lshl_or_b32 v20, v20, 10, v21
	s_add_i32 s35, s0, s47
	s_add_i32 s0, s48, s41
	s_mov_b32 s66, 0x3020706
	v_or_b32_e32 v85, 0xa000, v45
	v_or_b32_e32 v86, 0xb000, v45
	;; [unrolled: 1-line block ×4, first 2 shown]
	v_xor_b32_e32 v21, 8, v20
	v_xor_b32_e32 v40, 24, v20
	;; [unrolled: 1-line block ×4, first 2 shown]
	s_add_i32 s37, s0, s49
	s_lshl_b64 s[0:1], s[34:35], 2
	v_xor_b32_e32 v39, 16, v20
	v_xor_b32_e32 v42, 32, v20
	v_xor_b32_e32 v46, 48, v20
	v_add_u32_e32 v21, 0x80, v21
	v_add_u32_e32 v40, 0x80, v40
	;; [unrolled: 1-line block ×4, first 2 shown]
	s_add_u32 s20, s10, s0
	s_addc_u32 s21, s11, s1
	s_lshl_b64 s[0:1], s[36:37], 2
	s_add_u32 s44, s20, s0
	s_movk_i32 s0, 0xf8
	s_addc_u32 s45, s21, s1
	s_ashr_i32 s39, s38, 31
	s_lshl_b32 s26, s15, 7
	s_movk_i32 s20, 0x100
	v_mov_b32_e32 v65, 0
	v_lshlrev_b32_e32 v64, 4, v74
	v_cmp_gt_u32_e32 vcc, s20, v0
	v_ashrrev_i32_e32 v63, 31, v62
	s_mul_i32 s63, s52, s12
	s_mov_b32 s64, 0
	s_movk_i32 s35, 0x1000
	s_movk_i32 s22, 0x4000
	v_mov_b32_e32 v115, 0x3fb8aa3b
	s_mov_b32 s69, 0
	s_waitcnt vmcnt(1)
	v_perm_b32 v48, v22, v30, s65
	s_waitcnt vmcnt(0)
	v_perm_b32 v49, v26, v34, s65
	v_perm_b32 v22, v22, v30, s66
	v_perm_b32 v26, v26, v34, s66
	v_perm_b32 v30, v23, v31, s65
	v_perm_b32 v34, v27, v35, s65
	v_perm_b32 v23, v23, v31, s66
	v_perm_b32 v27, v27, v35, s66
	v_perm_b32 v31, v24, v32, s65
	v_perm_b32 v35, v28, v36, s65
	v_perm_b32 v24, v24, v32, s66
	v_perm_b32 v28, v28, v36, s66
	v_perm_b32 v32, v25, v33, s65
	v_perm_b32 v36, v29, v37, s65
	v_perm_b32 v25, v25, v33, s66
	v_perm_b32 v29, v29, v37, s66
	ds_write2st64_b32 v20, v48, v49 offset0:32 offset1:64
	ds_write2st64_b32 v21, v22, v26 offset0:32 offset1:64
	;; [unrolled: 1-line block ×8, first 2 shown]
	v_lshlrev_b32_e32 v20, 8, v41
	v_or_b32_e32 v91, v20, v43
	v_or_b32_e32 v92, v20, v44
	;; [unrolled: 1-line block ×3, first 2 shown]
	v_lshlrev_b32_e32 v20, 3, v20
	v_lshrrev_b32_e32 v23, 5, v61
	v_and_or_b32 v23, v20, s0, v23
	v_lshlrev_b32_e32 v23, 4, v23
	v_lshlrev_b32_e32 v25, 11, v72
	v_and_b32_e32 v20, 0x78, v20
	v_or_b32_e32 v28, 32, v23
	v_and_b32_e32 v22, 0x1000, v25
	v_lshrrev_b32_e32 v26, 1, v61
	v_xor_b32_e32 v28, v28, v20
	v_xor_b32_e32 v24, v23, v20
	v_and_b32_e32 v26, 8, v26
	v_or_b32_e32 v28, v28, v22
	v_or_b32_e32 v24, v24, v22
	v_lshlrev_b32_e32 v27, 7, v73
	v_xor_b32_e32 v95, v28, v26
	v_or_b32_e32 v28, 64, v23
	v_or_b32_e32 v23, 0x60, v23
	v_xor_b32_e32 v93, v24, v26
	v_or_b32_e32 v24, v27, v38
	v_xor_b32_e32 v28, v28, v20
	v_xor_b32_e32 v20, v23, v20
	s_lshl_b64 s[0:1], s[38:39], 8
	v_lshlrev_b32_e32 v24, 1, v24
	v_or_b32_e32 v28, v28, v22
	v_or_b32_e32 v20, v20, v22
	s_add_u32 s0, s18, s0
	v_lshlrev_b32_e32 v22, 1, v74
	v_or_b32_e32 v94, 0xa000, v24
	v_or_b32_e32 v96, 0xa080, v24
	;; [unrolled: 1-line block ×4, first 2 shown]
	v_lshrrev_b32_e32 v24, 4, v0
	s_addc_u32 s1, s19, s1
	v_or_b32_e32 v23, 1, v22
	v_mov_b32_e32 v33, 0x4000
	v_mov_b32_e32 v34, 0x2000
	v_lshrrev_b32_e32 v35, 1, v0
	v_xor_b32_e32 v97, v28, v26
	v_xor_b32_e32 v98, v20, v26
	;; [unrolled: 1-line block ×4, first 2 shown]
	v_lshl_add_u64 v[22:23], s[0:1], 0, v[64:65]
	v_lshlrev_b32_e32 v64, 8, v24
	v_cndmask_b32_e32 v33, v33, v34, vcc
	v_lshlrev_b32_e32 v34, 3, v72
	v_and_b32_e32 v35, 24, v35
	v_lshl_or_b32 v101, v26, 3, v64
	v_and_b32_e32 v26, 8, v0
	v_xor_b32_e32 v36, v34, v35
	v_or_b32_e32 v37, 0x440, v36
	v_cmp_eq_u32_e32 vcc, 0, v26
	v_and_b32_e32 v24, 7, v0
	v_lshl_or_b32 v102, v30, 3, v64
	v_cndmask_b32_e32 v26, v37, v36, vcc
	v_lshlrev_b32_e32 v30, 3, v24
	v_lshlrev_b32_e32 v32, 2, v0
	v_or_b32_e32 v26, v26, v25
	v_xor_b32_e32 v36, v26, v30
	v_and_or_b32 v26, v32, 60, v27
	v_mov_b32_e32 v27, 0xb000
	v_lshl_or_b32 v103, v26, 1, v27
	v_or_b32_e32 v26, 32, v35
	v_xor_b32_e32 v26, v34, v26
	v_or_b32_e32 v27, 0x440, v26
	v_cndmask_b32_e32 v26, v27, v26, vcc
	v_or_b32_e32 v26, v26, v25
	v_xor_b32_e32 v27, v26, v30
	v_or_b32_e32 v26, 64, v35
	v_xor_b32_e32 v26, v34, v26
	v_xor_b32_e32 v38, 0x440, v26
	v_cndmask_b32_e32 v26, v38, v26, vcc
	v_or_b32_e32 v26, v26, v25
	v_xor_b32_e32 v38, v26, v30
	v_or_b32_e32 v26, 0x60, v35
	v_xor_b32_e32 v26, v34, v26
	v_xor_b32_e32 v34, 0x440, v26
	v_cndmask_b32_e32 v26, v34, v26, vcc
	v_lshrrev_b32_e32 v21, 2, v61
	v_or_b32_e32 v25, v26, v25
	v_and_b32_e32 v21, 12, v21
	v_lshlrev_b32_e32 v28, 1, v19
	v_add_lshl_u32 v19, v19, s15, 1
	v_or_b32_e32 v29, 0x100, v18
	v_xor_b32_e32 v25, v25, v30
	v_lshlrev_b32_e32 v20, 7, v77
	v_lshlrev_b32_e32 v31, 7, v24
	v_or_b32_e32 v24, v21, v1
	v_add_u32_e32 v37, v33, v36
	v_add_u32_e32 v32, v33, v27
	;; [unrolled: 1-line block ×4, first 2 shown]
	v_or3_b32 v26, v1, v21, 64
	v_add_u32_e32 v21, 0x4000, v36
	v_add_u32_e32 v27, 0x4000, v27
	;; [unrolled: 1-line block ×4, first 2 shown]
	v_cndmask_b32_e64 v104, v28, v18, s[2:3]
	v_cndmask_b32_e64 v105, v19, v29, s[2:3]
	v_lshlrev_b64 v[18:19], 1, v[62:63]
	v_lshl_add_u64 v[66:67], s[8:9], 0, v[18:19]
	v_lshl_add_u64 v[68:69], s[28:29], 0, v[18:19]
	;; [unrolled: 1-line block ×3, first 2 shown]
	s_add_i32 s37, s63, 63
	s_mov_b32 s39, 0x7060302
	v_lshlrev_b32_e32 v64, 1, v20
	v_lshlrev_b32_e32 v63, 2, v24
	v_add_u32_e32 v106, v37, v31
	v_add_u32_e32 v107, v32, v31
	;; [unrolled: 1-line block ×4, first 2 shown]
	v_lshlrev_b32_e32 v110, 2, v26
	v_add_u32_e32 v111, v21, v31
	v_add_u32_e32 v112, v27, v31
	;; [unrolled: 1-line block ×4, first 2 shown]
	s_waitcnt lgkmcnt(0)
	s_barrier
.LBB475_32:                             ; =>This Inner Loop Header: Depth=1
	s_add_i32 s68, s69, 1
	s_cmp_lt_i32 s68, s53
	s_mov_b64 s[24:25], 0
	s_cselect_b64 s[2:3], -1, 0
	s_cmp_ge_i32 s68, s53
	s_mov_b64 s[20:21], 0
	s_cbranch_scc1 .LBB475_34
; %bb.33:                               ;   in Loop: Header=BB475_32 Depth=1
	s_add_i32 s0, s64, 64
	s_add_u32 s0, s16, s0
	s_addc_u32 s1, s17, 0
	s_lshl_b64 s[0:1], s[0:1], 8
	s_add_u32 s20, s6, s0
	s_addc_u32 s21, s7, s1
.LBB475_34:                             ;   in Loop: Header=BB475_32 Depth=1
	v_cndmask_b32_e64 v18, 0, 1, s[2:3]
	v_cmp_ne_u32_e64 s[0:1], 1, v18
	s_andn2_b64 vcc, exec, s[2:3]
	s_cbranch_vccnz .LBB475_36
; %bb.35:                               ;   in Loop: Header=BB475_32 Depth=1
	s_add_i32 s2, s64, 64
	s_add_u32 s2, s63, s2
	s_addc_u32 s3, s67, 0
	s_mul_i32 s24, s2, s55
	s_mul_hi_u32 s25, s2, s60
	s_add_i32 s24, s25, s24
	s_mul_i32 s3, s3, s60
	s_add_i32 s24, s24, s3
	s_mul_i32 s2, s2, s60
	s_add_u32 s2, s2, s56
	s_addc_u32 s3, s24, s61
	s_lshl_b64 s[2:3], s[2:3], 8
	s_add_u32 s24, s4, s2
	s_addc_u32 s25, s5, s3
.LBB475_36:                             ;   in Loop: Header=BB475_32 Depth=1
	v_perm_b32 v19, v17, v16, s39
	v_perm_b32 v18, v15, v14, s39
	;; [unrolled: 1-line block ×4, first 2 shown]
	ds_write_b64 v85, v[18:19]
	ds_write_b64 v86, v[20:21]
	;; [unrolled: 1-line block ×4, first 2 shown]
	v_perm_b32 v19, v9, v8, s39
	v_perm_b32 v18, v7, v6, s39
	;; [unrolled: 1-line block ×4, first 2 shown]
	ds_write_b64 v87, v[18:19]
	ds_write_b64 v88, v[20:21]
	;; [unrolled: 1-line block ×4, first 2 shown]
	s_waitcnt lgkmcnt(0)
	s_barrier
	ds_read_b64 v[22:23], v93 offset:24576
	ds_read2_b64 v[18:21], v94 offset1:16
	ds_read_b64 v[26:27], v96 offset:3072
	ds_read_b64 v[28:29], v94 offset:3072
	;; [unrolled: 1-line block ×3, first 2 shown]
	s_waitcnt lgkmcnt(3)
	v_mfma_f32_16x16x16_bf16 a[0:3], v[22:23], v[18:19], 0
	s_add_i32 s2, s64, 63
	s_mul_i32 s3, s2, s31
	s_mul_hi_u32 s27, s2, s30
	v_mfma_f32_16x16x16_bf16 a[4:7], v[22:23], v[20:21], 0
	ds_read2st64_b64 v[18:21], v94 offset0:2 offset1:4
	ds_read2st64_b64 v[22:25], v96 offset0:2 offset1:4
	s_add_i32 s3, s27, s3
	s_waitcnt lgkmcnt(1)
	v_mfma_f32_16x16x16_bf16 a[0:3], v[30:31], v[18:19], a[0:3]
	s_mul_i32 s2, s2, s30
	s_lshl_b64 s[2:3], s[2:3], 2
	s_add_u32 s2, s44, s2
	s_waitcnt lgkmcnt(0)
	v_mfma_f32_16x16x16_bf16 a[4:7], v[30:31], v[22:23], a[4:7]
	ds_read_b64 v[18:19], v97 offset:24576
	ds_read_b64 v[22:23], v98 offset:24576
	s_addc_u32 s3, s45, s3
	s_and_b64 vcc, exec, s[0:1]
	s_waitcnt lgkmcnt(1)
	v_mfma_f32_16x16x16_bf16 a[0:3], v[18:19], v[20:21], a[0:3]
	v_mov_b32_e32 v118, 0
	v_mov_b32_e32 v117, 0
	;; [unrolled: 1-line block ×3, first 2 shown]
	v_mfma_f32_16x16x16_bf16 a[8:11], v[18:19], v[24:25], a[4:7]
	v_mov_b32_e32 v18, 0
	v_mov_b32_e32 v19, 0
	;; [unrolled: 1-line block ×3, first 2 shown]
	s_waitcnt lgkmcnt(0)
	v_mfma_f32_16x16x16_bf16 a[4:7], v[22:23], v[28:29], a[0:3]
	v_mov_b32_e32 v21, 0
	v_mov_b32_e32 v24, 0
	;; [unrolled: 1-line block ×3, first 2 shown]
	v_mfma_f32_16x16x16_bf16 a[0:3], v[22:23], v[26:27], a[8:11]
	v_mov_b32_e32 v22, 0
	v_mov_b32_e32 v23, 0
	;; [unrolled: 1-line block ×10, first 2 shown]
	s_cbranch_vccnz .LBB475_38
; %bb.37:                               ;   in Loop: Header=BB475_32 Depth=1
	s_and_b32 s21, s21, 0xffff
	buffer_load_dwordx4 v[30:33], v81, s[20:23], 0 offen
	buffer_load_dwordx4 v[26:29], v81, s[20:23], s62 offen
	;; [unrolled: 1-line block ×4, first 2 shown]
	v_mov_b32_e32 v117, v83
	v_mov_b32_e32 v116, v84
.LBB475_38:                             ;   in Loop: Header=BB475_32 Depth=1
	ds_read_b64 v[42:43], v93 offset:32768
	ds_read2_b64 v[34:37], v99 offset1:16
	ds_read_b64 v[44:45], v95 offset:32768
	ds_read_b64 v[46:47], v97 offset:32768
	ds_read_b64 v[48:49], v98 offset:32768
	v_add_u32_e32 v50, s64, v77
	s_waitcnt lgkmcnt(3)
	v_mfma_f32_16x16x16_bf16 a[4:7], v[42:43], v[34:35], a[4:7]
	v_ashrrev_i32_e32 v34, 31, v50
	ds_read2st64_b64 v[38:41], v99 offset0:2 offset1:4
	v_mfma_f32_16x16x16_bf16 a[0:3], v[42:43], v[36:37], a[0:3]
	v_mul_lo_u32 v36, v34, s30
	v_mul_lo_u32 v37, v50, s31
	v_mad_u64_u32 v[34:35], s[20:21], v50, s30, 0
	v_add3_u32 v35, v35, v37, v36
	v_add_u32_e32 v36, 1, v50
	v_ashrrev_i32_e32 v37, 31, v36
	v_mul_lo_u32 v42, v37, s30
	v_mul_lo_u32 v43, v36, s31
	v_mad_u64_u32 v[36:37], s[20:21], v36, s30, 0
	v_add3_u32 v37, v37, v43, v42
	v_add_u32_e32 v42, 2, v50
	v_ashrrev_i32_e32 v43, 31, v42
	v_mul_lo_u32 v51, v43, s30
	v_mul_lo_u32 v52, v42, s31
	v_mad_u64_u32 v[42:43], s[20:21], v42, s30, 0
	v_add_u32_e32 v50, 3, v50
	v_add3_u32 v43, v43, v52, v51
	v_ashrrev_i32_e32 v51, 31, v50
	v_mul_lo_u32 v52, v51, s30
	v_mul_lo_u32 v53, v50, s31
	v_mad_u64_u32 v[50:51], s[20:21], v50, s30, 0
	s_add_u32 s20, s16, s64
	s_addc_u32 s21, s17, 0
	s_lshl_b64 s[20:21], s[20:21], 8
	v_lshl_add_u64 v[34:35], v[34:35], 2, s[44:45]
	v_lshl_add_u64 v[36:37], v[36:37], 2, s[44:45]
	v_add3_u32 v51, v51, v53, v52
	v_lshl_add_u64 v[52:53], v[66:67], 0, s[20:21]
	v_lshl_add_u64 v[42:43], v[42:43], 2, s[44:45]
	;; [unrolled: 1-line block ×3, first 2 shown]
	global_load_dword v54, v[34:35], off
	global_load_ushort v55, v[52:53], off offset:256
	global_load_ushort v56, v[52:53], off
	v_lshl_add_u64 v[34:35], v[50:51], 2, s[44:45]
	global_load_dword v50, v[36:37], off
	global_load_dword v51, v[42:43], off
	;; [unrolled: 1-line block ×3, first 2 shown]
	ds_read2st64_b64 v[34:37], v100 offset0:2 offset1:4
	global_load_ushort v58, v[52:53], off offset:768
	global_load_ushort v59, v[52:53], off offset:512
	;; [unrolled: 1-line block ×5, first 2 shown]
	s_nop 0
	global_load_ushort v52, v[52:53], off offset:32
	s_waitcnt lgkmcnt(1)
	v_mfma_f32_16x16x16_bf16 a[4:7], v[44:45], v[38:39], a[4:7]
	s_and_b64 vcc, exec, s[0:1]
	s_waitcnt vmcnt(10)
	v_lshlrev_b32_e32 v43, 16, v55
	s_waitcnt lgkmcnt(0)
	v_mfma_f32_16x16x16_bf16 a[0:3], v[44:45], v[34:35], a[0:3]
	s_waitcnt vmcnt(9)
	v_lshlrev_b32_e32 v42, 16, v56
	v_mfma_f32_16x16x16_bf16 a[4:7], v[46:47], v[40:41], a[4:7]
	v_mfma_f32_16x16x16_bf16 a[0:3], v[46:47], v[36:37], a[0:3]
	ds_read_b64 v[34:35], v99 offset:3072
	ds_read_b64 v[36:37], v100 offset:3072
	s_load_dword s2, s[2:3], 0x0
	s_waitcnt lgkmcnt(0)
	v_sub_f32_e32 v44, s2, v54
	v_mfma_f32_16x16x16_bf16 a[4:7], v[48:49], v[34:35], a[4:7]
	v_mul_f32_e32 v44, 0x3fb8aa3b, v44
	s_waitcnt vmcnt(8)
	v_sub_f32_e32 v45, s2, v50
	s_waitcnt vmcnt(7)
	v_sub_f32_e32 v46, s2, v51
	;; [unrolled: 2-line block ×3, first 2 shown]
	v_mfma_f32_16x16x16_bf16 a[0:3], v[48:49], v[36:37], a[0:3]
	v_lshl_add_u64 v[34:35], v[68:69], 0, s[20:21]
	v_lshl_add_u64 v[34:35], v[34:35], 0, v[64:65]
	v_accvgpr_read_b32 v41, a5
	v_accvgpr_read_b32 v40, a4
	v_pk_add_f32 v[40:41], v[42:43], v[40:41] neg_lo:[0,1] neg_hi:[0,1]
	v_exp_f32_e32 v42, v44
	v_mul_f32_e32 v43, 0x3fb8aa3b, v45
	v_mul_f32_e32 v44, 0x3fb8aa3b, v46
	;; [unrolled: 1-line block ×3, first 2 shown]
	v_exp_f32_e32 v43, v43
	v_exp_f32_e32 v44, v44
	v_exp_f32_e32 v45, v45
	v_accvgpr_read_b32 v37, a7
	v_accvgpr_read_b32 v36, a6
	s_waitcnt vmcnt(5)
	v_lshlrev_b32_e32 v47, 16, v58
	s_waitcnt vmcnt(4)
	v_lshlrev_b32_e32 v46, 16, v59
	v_pk_add_f32 v[36:37], v[46:47], v[36:37] neg_lo:[0,1] neg_hi:[0,1]
	global_store_short_d16_hi v[34:35], v40, off
	global_store_short_d16_hi v[34:35], v41, off offset:256
	global_store_short_d16_hi v[34:35], v36, off offset:512
	;; [unrolled: 1-line block ×3, first 2 shown]
	v_pk_mul_f32 v[40:41], v[42:43], v[40:41]
	v_pk_mul_f32 v[36:37], v[44:45], v[36:37]
	v_accvgpr_read_b32 v47, a1
	v_perm_b32 v37, v37, v36, s39
	v_perm_b32 v36, v41, v40, s39
	s_waitcnt vmcnt(5)
	v_lshlrev_b32_e32 v41, 16, v120
	s_waitcnt vmcnt(4)
	v_lshlrev_b32_e32 v40, 16, v52
	v_accvgpr_read_b32 v46, a0
	v_accvgpr_read_b32 v39, a3
	v_accvgpr_read_b32 v38, a2
	v_pk_add_f32 v[40:41], v[40:41], v[46:47] neg_lo:[0,1] neg_hi:[0,1]
	v_lshlrev_b32_e32 v47, 16, v60
	v_lshlrev_b32_e32 v46, 16, v119
	v_pk_add_f32 v[38:39], v[46:47], v[38:39] neg_lo:[0,1] neg_hi:[0,1]
	global_store_short_d16_hi v[34:35], v40, off offset:32
	global_store_short_d16_hi v[34:35], v41, off offset:288
	;; [unrolled: 1-line block ×4, first 2 shown]
	v_pk_mul_f32 v[34:35], v[42:43], v[40:41]
	v_pk_mul_f32 v[38:39], v[44:45], v[38:39]
	v_mov_b32_e32 v119, 0
	v_perm_b32 v39, v39, v38, s39
	v_perm_b32 v38, v35, v34, s39
	ds_write2_b64 v86, v[36:37], v[38:39] offset1:16
	v_mov_b32_e32 v34, 0
	v_mov_b32_e32 v35, 0
	;; [unrolled: 1-line block ×16, first 2 shown]
	s_cbranch_vccnz .LBB475_40
; %bb.39:                               ;   in Loop: Header=BB475_32 Depth=1
	s_and_b32 s25, s25, 0xffff
	s_mov_b32 s27, s23
	buffer_load_dwordx4 v[46:49], v104, s[24:27], 0 offen
	buffer_load_dwordx4 v[38:41], v104, s[24:27], s62 offen
	;; [unrolled: 1-line block ×4, first 2 shown]
	v_mov_b32_e32 v118, v80
	v_mov_b32_e32 v119, v79
.LBB475_40:                             ;   in Loop: Header=BB475_32 Depth=1
	s_waitcnt lgkmcnt(0)
	s_barrier
	ds_read_b64 v[54:55], v106
	ds_read_b64 v[124:125], v103
	;; [unrolled: 1-line block ×5, first 2 shown]
	ds_read_b64 v[138:139], v100 offset:3072
	ds_read2_b64 v[50:53], v99 offset0:16 offset1:128
	s_waitcnt lgkmcnt(5)
	v_mfma_f32_16x16x16_bf16 a[0:3], v[54:55], v[124:125], 0
	ds_read2st64_b64 v[56:59], v100 offset0:2 offset1:4
	s_add_i32 s3, s57, s69
	s_mul_hi_i32 s21, s3, s13
	s_waitcnt lgkmcnt(1)
	v_mfma_f32_16x16x16_bf16 a[4:7], v[54:55], v[50:51], 0
	ds_read_b64 v[54:55], v111
	s_mul_i32 s3, s3, s13
	s_add_u32 s20, s3, s50
	s_waitcnt lgkmcnt(1)
	v_mfma_f32_16x16x16_bf16 a[4:7], v[126:127], v[56:57], a[4:7]
	s_addc_u32 s21, s21, s54
	s_add_i32 s3, s37, s64
	s_lshl_b64 s[20:21], s[20:21], 15
	s_mul_hi_i32 s25, s3, s13
	s_mul_i32 s3, s3, s13
	s_add_u32 s24, s3, s50
	v_mfma_f32_16x16x16_bf16 a[8:11], v[128:129], v[58:59], a[4:7]
	s_addc_u32 s25, s25, s54
	ds_read2st64_b64 v[120:123], v99 offset0:4 offset1:6
	s_lshl_b64 s[24:25], s[24:25], 9
	s_waitcnt lgkmcnt(1)
	v_mfma_f32_16x16x16_bf16 a[4:7], v[54:55], v[124:125], 0
	s_add_u32 s24, s42, s24
	s_addc_u32 s25, s43, s25
	v_mfma_f32_16x16x16_bf16 a[0:3], v[126:127], v[52:53], a[0:3]
	ds_read_b64 v[126:127], v112
	ds_read_b64 v[134:135], v113
	;; [unrolled: 1-line block ×3, first 2 shown]
	v_mfma_f32_16x16x16_bf16 a[12:15], v[54:55], v[50:51], 0
	s_waitcnt lgkmcnt(2)
	v_mfma_f32_16x16x16_bf16 a[4:7], v[126:127], v[52:53], a[4:7]
	global_load_dwordx4 v[50:53], v110, s[24:25]
	v_mfma_f32_16x16x16_bf16 a[12:15], v[126:127], v[56:57], a[12:15]
	global_load_dwordx4 v[54:57], v63, s[24:25]
	ds_read2st64_b64 v[124:127], v101 offset1:8
	s_waitcnt lgkmcnt(0)
	v_mov_b32_e32 v132, v124
	v_mfma_f32_16x16x16_bf16 a[0:3], v[128:129], v[120:121], a[0:3]
	ds_read2st64_b64 v[128:131], v102 offset1:8
	v_mov_b32_e32 v133, v125
	v_mfma_f32_16x16x16_bf16 a[16:19], v[134:135], v[120:121], a[4:7]
	v_lshl_add_u64 v[120:121], v[70:71], 0, s[20:21]
	v_mfma_f32_16x16x16_bf16 a[20:23], v[134:135], v[58:59], a[12:15]
	v_add_co_u32_e32 v58, vcc, s35, v120
	s_waitcnt lgkmcnt(0)
	v_mov_b32_e32 v134, v128
	v_mfma_f32_16x16x16_bf16 a[4:7], v[136:137], v[122:123], a[0:3]
	v_mov_b32_e32 v135, v129
	v_mov_b32_e32 v128, v126
	;; [unrolled: 1-line block ×3, first 2 shown]
	v_mfma_f32_16x16x16_bf16 a[8:11], v[136:137], v[138:139], a[8:11]
	v_addc_co_u32_e32 v59, vcc, 0, v121, vcc
	global_store_dwordx4 v[58:59], v[128:131], off
	v_mfma_f32_16x16x16_bf16 a[12:15], v[140:141], v[122:123], a[16:19]
	s_and_b64 vcc, exec, s[0:1]
	global_store_dwordx4 v[120:121], v[132:135], off
	s_waitcnt vmcnt(3)
	v_mov_b32_e32 v60, v53
	v_mfma_f32_16x16x16_bf16 a[0:3], v[140:141], v[138:139], a[20:23]
	v_mov_b32_e32 v59, v52
	v_mov_b32_e32 v58, v51
	s_cbranch_vccnz .LBB475_42
; %bb.41:                               ;   in Loop: Header=BB475_32 Depth=1
	v_lshrrev_b32_e32 v51, 3, v118
	v_and_b32_e32 v51, 6, v51
	v_xor_b32_e32 v52, v51, v119
	v_lshlrev_b32_e32 v52, 2, v52
	v_and_b32_e32 v53, 8, v118
	v_xor_b32_e32 v118, 0x440, v52
	v_cmp_eq_u32_e32 vcc, 0, v53
	v_perm_b32 v53, v38, v34, s65
	s_nop 0
	v_cndmask_b32_e32 v52, v118, v52, vcc
	v_lshl_or_b32 v51, v51, 10, v52
	v_perm_b32 v52, v46, v42, s65
	s_barrier
	ds_write2st64_b32 v51, v52, v53 offset0:32 offset1:64
	v_xor_b32_e32 v52, 8, v51
	v_perm_b32 v42, v46, v42, s66
	v_perm_b32 v34, v38, v34, s66
	v_add_u32_e32 v38, 0x80, v52
	ds_write2st64_b32 v38, v42, v34 offset0:32 offset1:64
	v_xor_b32_e32 v34, 16, v51
	v_perm_b32 v38, v47, v43, s65
	v_perm_b32 v42, v39, v35, s65
	ds_write2st64_b32 v34, v38, v42 offset0:33 offset1:65
	v_xor_b32_e32 v34, 24, v51
	v_perm_b32 v38, v47, v43, s66
	v_perm_b32 v35, v39, v35, s66
	v_add_u32_e32 v34, 0x80, v34
	ds_write2st64_b32 v34, v38, v35 offset0:33 offset1:65
	v_xor_b32_e32 v34, 32, v51
	v_perm_b32 v35, v48, v44, s65
	v_perm_b32 v38, v40, v36, s65
	;; [unrolled: 9-line block ×3, first 2 shown]
	ds_write2st64_b32 v34, v35, v36 offset0:35 offset1:67
	v_xor_b32_e32 v34, 56, v51
	v_perm_b32 v35, v49, v45, s66
	v_perm_b32 v36, v41, v37, s66
	v_add_u32_e32 v34, 0x80, v34
	ds_write2st64_b32 v34, v35, v36 offset0:35 offset1:67
	ds_write_b64 v117, v[30:31] offset:24576
	v_xor_b32_e32 v30, 8, v117
	ds_write_b64 v30, v[32:33] offset:24576
	ds_write_b64 v117, v[26:27] offset:32768
	;; [unrolled: 1-line block ×4, first 2 shown]
	v_xor_b32_e32 v22, 8, v116
	ds_write_b64 v22, v[24:25] offset:24576
	ds_write_b64 v116, v[18:19] offset:32768
	;; [unrolled: 1-line block ×3, first 2 shown]
.LBB475_42:                             ;   in Loop: Header=BB475_32 Depth=1
	v_mul_f32_e32 v22, s2, v115
	v_exp_f32_e32 v34, v22
	s_waitcnt vmcnt(2)
	v_mul_f32_e32 v22, 0x3fb8aa3b, v54
	v_exp_f32_e32 v36, v22
	v_mul_f32_e32 v22, 0x3fb8aa3b, v55
	v_exp_f32_e32 v37, v22
	;; [unrolled: 2-line block ×4, first 2 shown]
	v_accvgpr_read_b32 v29, a7
	v_accvgpr_read_b32 v27, a5
	;; [unrolled: 1-line block ×4, first 2 shown]
	v_pk_mul_f32 v[36:37], v[34:35], v[36:37] op_sel_hi:[0,1]
	v_accvgpr_read_b32 v20, a10
	v_pk_fma_f32 v[14:15], v[14:15], v[36:37], v[26:27]
	v_pk_mul_f32 v[26:27], v[34:35], v[38:39] op_sel_hi:[0,1]
	v_accvgpr_read_b32 v28, a6
	v_accvgpr_read_b32 v19, a9
	;; [unrolled: 1-line block ×3, first 2 shown]
	v_fma_f32 v8, v8, v26, v20
	v_mul_f32_e32 v20, 0x3fb8aa3b, v59
	v_pk_fma_f32 v[16:17], v[16:17], v[26:27], v[28:29]
	v_fma_f32 v6, v6, v36, v18
	v_fma_f32 v7, v7, v37, v19
	v_mul_f32_e32 v18, 0x3fb8aa3b, v50
	v_mul_f32_e32 v19, 0x3fb8aa3b, v58
	v_exp_f32_e32 v28, v20
	v_mul_f32_e32 v20, 0x3fb8aa3b, v60
	v_exp_f32_e32 v18, v18
	v_exp_f32_e32 v19, v19
	;; [unrolled: 1-line block ×3, first 2 shown]
	v_accvgpr_read_b32 v33, a15
	v_accvgpr_read_b32 v25, a3
	;; [unrolled: 1-line block ×8, first 2 shown]
	v_fmac_f32_e32 v21, v9, v27
	v_pk_mul_f32 v[18:19], v[34:35], v[18:19] op_sel_hi:[0,1]
	v_pk_mul_f32 v[26:27], v[34:35], v[28:29] op_sel_hi:[0,1]
	s_add_i32 s64, s64, 64
	v_pk_fma_f32 v[10:11], v[10:11], v[18:19], v[30:31]
	v_pk_fma_f32 v[12:13], v[12:13], v[26:27], v[32:33]
	v_fma_f32 v2, v2, v18, v22
	v_fma_f32 v3, v3, v19, v23
	;; [unrolled: 1-line block ×3, first 2 shown]
	s_cmp_eq_u32 s53, s68
	v_fmac_f32_e32 v25, v5, v27
	s_cbranch_scc1 .LBB475_4
; %bb.43:                               ;   in Loop: Header=BB475_32 Depth=1
	s_mov_b32 s69, s68
	v_mov_b32_e32 v9, v21
	v_mov_b32_e32 v5, v25
	s_branch .LBB475_32
.LBB475_44:
                                        ; implicit-def: $vgpr5
                                        ; implicit-def: $vgpr9
                                        ; implicit-def: $vgpr13
                                        ; implicit-def: $vgpr17
	s_cbranch_execz .LBB475_46
; %bb.45:
	s_waitcnt vmcnt(0)
	v_mad_u64_u32 v[2:3], s[0:1], v20, s15, v[18:19]
	v_lshlrev_b32_e32 v20, 1, v2
	s_lshl_b32 s2, s15, 7
	s_and_b32 s1, s5, 0xffff
	s_mov_b32 s3, 0x20000
	s_mov_b32 s0, s4
	v_add_lshl_u32 v21, v2, s15, 1
	s_movk_i32 s13, 0x80
	buffer_load_dwordx4 v[2:5], v20, s[0:3], 0 offen
	buffer_load_dwordx4 v[10:13], v20, s[0:3], s13 offen
	;; [unrolled: 1-line block ×4, first 2 shown]
.LBB475_46:
	v_lshrrev_b32_e32 v30, 2, v61
	s_cbranch_execnz .LBB475_59
.LBB475_47:
	s_and_b64 vcc, exec, s[6:7]
	s_cbranch_vccz .LBB475_57
; %bb.48:
	s_waitcnt vmcnt(0)
	v_lshlrev_b32_e32 v7, 1, v23
	v_cmp_gt_i32_e32 vcc, s27, v7
	v_mov_b32_e32 v6, 0
	v_lshlrev_b32_e32 v14, 9, v23
	v_mov_b32_e32 v2, 0
	v_mov_b32_e32 v3, 0
	;; [unrolled: 1-line block ×4, first 2 shown]
	s_and_saveexec_b64 s[0:1], vcc
	s_cbranch_execz .LBB475_50
; %bb.49:
	v_mov_b32_e32 v15, 0
	v_lshl_add_u64 v[2:3], s[4:5], 0, v[14:15]
	v_lshlrev_b32_e32 v4, 1, v18
	v_mov_b32_e32 v5, v15
	v_lshl_add_u64 v[2:3], v[2:3], 0, v[4:5]
	global_load_dwordx4 v[2:5], v[2:3], off
.LBB475_50:
	s_or_b64 exec, exec, s[0:1]
	v_or_b32_e32 v7, 1, v7
	v_cmp_gt_i32_e64 s[0:1], s27, v7
	v_lshlrev_b32_e32 v20, 8, v7
	v_mov_b32_e32 v7, 0
	v_mov_b32_e32 v8, 0
	;; [unrolled: 1-line block ×3, first 2 shown]
	s_and_saveexec_b64 s[2:3], s[0:1]
	s_cbranch_execz .LBB475_52
; %bb.51:
	v_mov_b32_e32 v21, 0
	v_lshl_add_u64 v[6:7], s[4:5], 0, v[20:21]
	v_lshlrev_b32_e32 v8, 1, v18
	v_mov_b32_e32 v9, v21
	v_lshl_add_u64 v[6:7], v[6:7], 0, v[8:9]
	global_load_dwordx4 v[6:9], v[6:7], off
.LBB475_52:
	s_or_b64 exec, exec, s[2:3]
	v_mov_b32_e32 v17, 0
	v_mov_b32_e32 v10, 0
	;; [unrolled: 1-line block ×5, first 2 shown]
	s_and_saveexec_b64 s[2:3], vcc
	s_cbranch_execz .LBB475_54
; %bb.53:
	v_mov_b32_e32 v15, 0
	v_lshl_add_u64 v[10:11], s[4:5], 0, v[14:15]
	v_lshlrev_b32_e32 v14, 1, v18
	v_lshl_add_u64 v[10:11], v[10:11], 0, v[14:15]
	global_load_dwordx4 v[10:13], v[10:11], off offset:128
.LBB475_54:
	s_or_b64 exec, exec, s[2:3]
	v_mov_b32_e32 v16, 0
	v_mov_b32_e32 v15, 0
	;; [unrolled: 1-line block ×3, first 2 shown]
	s_and_saveexec_b64 s[2:3], s[0:1]
	s_cbranch_execz .LBB475_56
; %bb.55:
	v_mov_b32_e32 v21, 0
	v_lshl_add_u64 v[14:15], s[4:5], 0, v[20:21]
	v_lshlrev_b32_e32 v20, 1, v18
	v_lshl_add_u64 v[14:15], v[14:15], 0, v[20:21]
	global_load_dwordx4 v[14:17], v[14:15], off offset:128
.LBB475_56:
	s_or_b64 exec, exec, s[2:3]
	s_branch .LBB475_59
.LBB475_57:
                                        ; implicit-def: $vgpr5
                                        ; implicit-def: $vgpr9
                                        ; implicit-def: $vgpr13
                                        ; implicit-def: $vgpr17
	s_cbranch_execz .LBB475_59
; %bb.58:
	s_waitcnt vmcnt(0)
	v_lshlrev_b32_e32 v2, 1, v18
	v_lshl_or_b32 v18, v23, 9, v2
	s_and_b32 s5, s5, 0xffff
	s_mov_b32 s7, 0x20000
	s_movk_i32 s6, 0x4000
	s_movk_i32 s0, 0x80
	buffer_load_dwordx4 v[2:5], v18, s[4:7], 0 offen
	buffer_load_dwordx4 v[6:9], v18, s[4:7], 0 offen offset:256
	buffer_load_dwordx4 v[10:13], v18, s[4:7], s0 offen
	buffer_load_dwordx4 v[14:17], v18, s[4:7], s0 offen offset:256
.LBB475_59:
	ds_read_b64 v[20:21], v25 offset:32768
	v_add_u32_e32 v18, 0xb000, v24
	ds_read2_b64 v[32:35], v18 offset1:16
	ds_read_b64 v[40:41], v26 offset:32768
	ds_read_b64 v[26:27], v27 offset:32768
	;; [unrolled: 1-line block ×3, first 2 shown]
	v_and_b32_e32 v18, 6, v0
	v_xor_b32_e32 v23, v23, v18
	v_lshlrev_b32_e32 v23, 2, v23
	v_and_b32_e32 v0, 1, v0
	v_xor_b32_e32 v28, 0x440, v23
	v_cmp_eq_u32_e32 vcc, 0, v0
	s_waitcnt lgkmcnt(3)
	v_mfma_f32_16x16x16_bf16 a[0:3], v[20:21], v[32:33], a[0:3]
	s_mov_b32 s0, 0x1000504
	v_cndmask_b32_e32 v0, v28, v23, vcc
	v_lshl_or_b32 v0, v18, 10, v0
	v_mfma_f32_16x16x16_bf16 a[4:7], v[20:21], v[34:35], a[4:7]
	ds_read2st64_b64 v[32:35], v24 offset0:90 offset1:92
	ds_read2st64_b64 v[36:39], v29 offset0:90 offset1:92
	ds_read_b64 v[20:21], v24 offset:48128
	ds_read_b64 v[24:25], v29 offset:48128
	s_waitcnt vmcnt(0)
	v_perm_b32 v18, v2, v6, s0
	s_waitcnt lgkmcnt(3)
	v_mfma_f32_16x16x16_bf16 a[0:3], v[40:41], v[32:33], a[0:3]
	s_mov_b32 s1, 0x3020706
	v_perm_b32 v2, v2, v6, s1
	v_perm_b32 v6, v10, v14, s1
	s_waitcnt lgkmcnt(2)
	v_mfma_f32_16x16x16_bf16 a[4:7], v[40:41], v[36:37], a[4:7]
	v_mfma_f32_16x16x16_bf16 a[0:3], v[26:27], v[34:35], a[0:3]
	;; [unrolled: 1-line block ×3, first 2 shown]
	s_waitcnt lgkmcnt(1)
	v_mfma_f32_16x16x16_bf16 a[4:7], v[42:43], v[20:21], a[0:3]
	v_perm_b32 v20, v10, v14, s0
	ds_write2st64_b32 v0, v18, v20 offset0:32 offset1:64
	v_xor_b32_e32 v18, 8, v0
	v_add_u32_e32 v10, 0x80, v18
	ds_write2st64_b32 v10, v2, v6 offset0:32 offset1:64
	v_xor_b32_e32 v2, 16, v0
	v_perm_b32 v6, v3, v7, s0
	v_perm_b32 v10, v11, v15, s0
	ds_write2st64_b32 v2, v6, v10 offset0:33 offset1:65
	v_xor_b32_e32 v2, 24, v0
	v_perm_b32 v3, v3, v7, s1
	v_perm_b32 v6, v11, v15, s1
	v_add_u32_e32 v2, 0x80, v2
	ds_write2st64_b32 v2, v3, v6 offset0:33 offset1:65
	v_xor_b32_e32 v2, 32, v0
	v_perm_b32 v3, v4, v8, s0
	v_perm_b32 v6, v12, v16, s0
	s_waitcnt lgkmcnt(4)
	v_mfma_f32_16x16x16_bf16 a[0:3], v[42:43], v[24:25], a[8:11]
	ds_write2st64_b32 v2, v3, v6 offset0:34 offset1:66
	v_xor_b32_e32 v2, 40, v0
	v_perm_b32 v3, v4, v8, s1
	v_perm_b32 v4, v12, v16, s1
	v_add_u32_e32 v2, 0x80, v2
	ds_write2st64_b32 v2, v3, v4 offset0:34 offset1:66
	v_xor_b32_e32 v2, 48, v0
	v_perm_b32 v3, v5, v9, s0
	v_perm_b32 v4, v13, v17, s0
	v_xor_b32_e32 v0, 56, v0
	v_and_or_b32 v21, v30, 12, v1
	ds_write2st64_b32 v2, v3, v4 offset0:35 offset1:67
	v_perm_b32 v2, v5, v9, s1
	v_perm_b32 v3, v13, v17, s1
	v_add_u32_e32 v0, 0x80, v0
	v_cmp_gt_i32_e32 vcc, s27, v21
	v_mov_b32_e32 v16, 0
	v_mov_b32_e32 v18, 0
	ds_write2st64_b32 v0, v2, v3 offset0:35 offset1:67
	s_and_saveexec_b64 s[0:1], vcc
	s_cbranch_execz .LBB475_61
; %bb.60:
	v_add_u32_e32 v0, s26, v21
	v_ashrrev_i32_e32 v1, 31, v0
	v_mul_lo_u32 v2, v1, s30
	v_mul_lo_u32 v3, v0, s31
	v_mad_u64_u32 v[0:1], s[2:3], v0, s30, 0
	v_add3_u32 v1, v1, v3, v2
	v_lshl_add_u64 v[0:1], v[0:1], 2, s[10:11]
	global_load_dword v0, v[0:1], off
	s_waitcnt vmcnt(0)
	v_sub_f32_e32 v0, s12, v0
	v_mul_f32_e32 v0, 0x3fb8aa3b, v0
	v_exp_f32_e32 v18, v0
.LBB475_61:
	s_or_b64 exec, exec, s[0:1]
	v_or_b32_e32 v10, 1, v21
	v_cmp_gt_i32_e64 s[0:1], s27, v10
	s_and_saveexec_b64 s[2:3], s[0:1]
	s_cbranch_execz .LBB475_63
; %bb.62:
	v_add_u32_e32 v0, s26, v10
	v_ashrrev_i32_e32 v1, 31, v0
	v_mul_lo_u32 v2, v1, s30
	v_mul_lo_u32 v3, v0, s31
	v_mad_u64_u32 v[0:1], s[4:5], v0, s30, 0
	v_add3_u32 v1, v1, v3, v2
	v_lshl_add_u64 v[0:1], v[0:1], 2, s[10:11]
	global_load_dword v0, v[0:1], off
	s_waitcnt vmcnt(0)
	v_sub_f32_e32 v0, s12, v0
	v_mul_f32_e32 v0, 0x3fb8aa3b, v0
	v_exp_f32_e32 v16, v0
.LBB475_63:
	s_or_b64 exec, exec, s[2:3]
	v_or_b32_e32 v12, 2, v21
	v_cmp_gt_i32_e64 s[2:3], s27, v12
	v_mov_b32_e32 v17, 0
	v_mov_b32_e32 v20, 0
	s_and_saveexec_b64 s[4:5], s[2:3]
	s_cbranch_execz .LBB475_65
; %bb.64:
	v_add_u32_e32 v0, s26, v12
	v_ashrrev_i32_e32 v1, 31, v0
	v_mul_lo_u32 v2, v1, s30
	v_mul_lo_u32 v3, v0, s31
	v_mad_u64_u32 v[0:1], s[6:7], v0, s30, 0
	v_add3_u32 v1, v1, v3, v2
	v_lshl_add_u64 v[0:1], v[0:1], 2, s[10:11]
	global_load_dword v0, v[0:1], off
	s_waitcnt vmcnt(0)
	v_sub_f32_e32 v0, s12, v0
	v_mul_f32_e32 v0, 0x3fb8aa3b, v0
	v_exp_f32_e32 v20, v0
.LBB475_65:
	s_or_b64 exec, exec, s[4:5]
	v_or_b32_e32 v14, 3, v21
	v_cmp_gt_i32_e64 s[4:5], s27, v14
	s_and_saveexec_b64 s[6:7], s[4:5]
	s_cbranch_execz .LBB475_67
; %bb.66:
	v_add_u32_e32 v0, s26, v14
	v_ashrrev_i32_e32 v1, 31, v0
	v_mul_lo_u32 v2, v1, s30
	v_mul_lo_u32 v3, v0, s31
	v_mad_u64_u32 v[0:1], s[14:15], v0, s30, 0
	v_add3_u32 v1, v1, v3, v2
	v_lshl_add_u64 v[0:1], v[0:1], 2, s[10:11]
	global_load_dword v0, v[0:1], off
	s_waitcnt vmcnt(0)
	v_sub_f32_e32 v0, s12, v0
	v_mul_f32_e32 v0, 0x3fb8aa3b, v0
	v_exp_f32_e32 v17, v0
.LBB475_67:
	s_or_b64 exec, exec, s[6:7]
	s_add_u32 s6, s8, s20
	s_addc_u32 s7, s9, s21
	s_add_u32 s8, s28, s20
	v_ashrrev_i32_e32 v63, 31, v62
	v_accvgpr_read_b32 v0, a4
	s_addc_u32 s9, s29, s21
	v_lshlrev_b64 v[4:5], 1, v[62:63]
	v_accvgpr_read_b32 v1, a5
	v_accvgpr_read_b32 v2, a6
	;; [unrolled: 1-line block ×3, first 2 shown]
	v_lshl_add_u64 v[6:7], s[6:7], 0, v[4:5]
	v_lshl_add_u64 v[4:5], s[8:9], 0, v[4:5]
	v_mov_b32_e32 v11, 0
	v_lshlrev_b32_e32 v8, 8, v21
	v_mov_b32_e32 v9, 0
	s_and_saveexec_b64 s[6:7], vcc
	s_cbranch_execz .LBB475_69
; %bb.68:
	v_mov_b32_e32 v9, 0
	v_lshl_add_u64 v[24:25], v[6:7], 0, v[8:9]
	global_load_ushort v13, v[24:25], off
	v_lshl_add_u64 v[24:25], v[4:5], 0, v[8:9]
	s_waitcnt vmcnt(0)
	v_lshlrev_b32_e32 v9, 16, v13
	v_sub_f32_e32 v0, v9, v0
	global_store_short_d16_hi v[24:25], v0, off
	v_mul_f32_e32 v0, v18, v0
	v_lshrrev_b32_e32 v9, 16, v0
.LBB475_69:
	s_or_b64 exec, exec, s[6:7]
	v_lshlrev_b32_e32 v10, 8, v10
	s_and_saveexec_b64 s[6:7], s[0:1]
	s_cbranch_execz .LBB475_71
; %bb.70:
	v_mov_b32_e32 v11, 0
	v_lshl_add_u64 v[24:25], v[6:7], 0, v[10:11]
	global_load_ushort v0, v[24:25], off
	v_lshl_add_u64 v[24:25], v[4:5], 0, v[10:11]
	s_waitcnt vmcnt(0)
	v_lshlrev_b32_e32 v0, 16, v0
	v_sub_f32_e32 v0, v0, v1
	global_store_short_d16_hi v[24:25], v0, off
	v_mul_f32_e32 v0, v16, v0
	v_lshrrev_b32_e32 v11, 16, v0
.LBB475_71:
	s_or_b64 exec, exec, s[6:7]
	v_mov_b32_e32 v15, 0
	v_lshlrev_b32_e32 v12, 8, v12
	v_mov_b32_e32 v13, 0
	s_and_saveexec_b64 s[6:7], s[2:3]
	s_cbranch_execz .LBB475_73
; %bb.72:
	v_mov_b32_e32 v13, 0
	v_lshl_add_u64 v[0:1], v[6:7], 0, v[12:13]
	global_load_ushort v23, v[0:1], off
	v_lshl_add_u64 v[0:1], v[4:5], 0, v[12:13]
	s_waitcnt vmcnt(0)
	v_lshlrev_b32_e32 v13, 16, v23
	v_sub_f32_e32 v2, v13, v2
	global_store_short_d16_hi v[0:1], v2, off
	v_mul_f32_e32 v0, v20, v2
	v_lshrrev_b32_e32 v13, 16, v0
.LBB475_73:
	s_or_b64 exec, exec, s[6:7]
	v_lshlrev_b32_e32 v14, 8, v14
	s_and_saveexec_b64 s[6:7], s[4:5]
	s_cbranch_execz .LBB475_75
; %bb.74:
	v_mov_b32_e32 v15, 0
	v_lshl_add_u64 v[0:1], v[6:7], 0, v[14:15]
	global_load_ushort v2, v[0:1], off
	v_lshl_add_u64 v[0:1], v[4:5], 0, v[14:15]
	s_waitcnt vmcnt(0)
	v_lshlrev_b32_e32 v2, 16, v2
	v_sub_f32_e32 v2, v2, v3
	global_store_short_d16_hi v[0:1], v2, off
	v_mul_f32_e32 v0, v17, v2
	v_lshrrev_b32_e32 v15, 16, v0
.LBB475_75:
	s_or_b64 exec, exec, s[6:7]
	v_lshlrev_b32_e32 v21, 5, v21
	s_mov_b32 s6, 0x5040100
	v_perm_b32 v24, v11, v9, s6
	v_or_b32_e32 v9, v21, v22
	v_accvgpr_read_b32 v0, a0
	v_perm_b32 v25, v15, v13, s6
	v_lshlrev_b32_e32 v9, 1, v9
	v_accvgpr_read_b32 v1, a1
	v_accvgpr_read_b32 v2, a2
	;; [unrolled: 1-line block ×3, first 2 shown]
	ds_write_b64 v9, v[24:25] offset:45056
	v_mov_b32_e32 v11, 0
	v_mov_b32_e32 v9, 0
	s_and_saveexec_b64 s[6:7], vcc
	s_cbranch_execz .LBB475_77
; %bb.76:
	v_mov_b32_e32 v9, 0
	v_lshl_add_u64 v[22:23], v[6:7], 0, v[8:9]
	global_load_ushort v13, v[22:23], off offset:32
	v_lshl_add_u64 v[8:9], v[4:5], 0, v[8:9]
	s_waitcnt vmcnt(0)
	v_lshlrev_b32_e32 v13, 16, v13
	v_sub_f32_e32 v0, v13, v0
	global_store_short_d16_hi v[8:9], v0, off offset:32
	v_mul_f32_e32 v0, v18, v0
	v_lshrrev_b32_e32 v9, 16, v0
.LBB475_77:
	s_or_b64 exec, exec, s[6:7]
	s_and_saveexec_b64 s[6:7], s[0:1]
	s_cbranch_execz .LBB475_79
; %bb.78:
	v_mov_b32_e32 v11, 0
	v_lshl_add_u64 v[22:23], v[6:7], 0, v[10:11]
	global_load_ushort v0, v[22:23], off offset:32
	v_lshl_add_u64 v[10:11], v[4:5], 0, v[10:11]
	s_waitcnt vmcnt(0)
	v_lshlrev_b32_e32 v0, 16, v0
	v_sub_f32_e32 v0, v0, v1
	global_store_short_d16_hi v[10:11], v0, off offset:32
	v_mul_f32_e32 v0, v16, v0
	v_lshrrev_b32_e32 v11, 16, v0
.LBB475_79:
	s_or_b64 exec, exec, s[6:7]
	v_mov_b32_e32 v0, 0
	v_mov_b32_e32 v1, 0
	s_and_saveexec_b64 s[0:1], s[2:3]
	s_cbranch_execz .LBB475_81
; %bb.80:
	v_mov_b32_e32 v13, 0
	v_lshl_add_u64 v[22:23], v[6:7], 0, v[12:13]
	global_load_ushort v1, v[22:23], off offset:32
	v_lshl_add_u64 v[12:13], v[4:5], 0, v[12:13]
	s_waitcnt vmcnt(0)
	v_lshlrev_b32_e32 v1, 16, v1
	v_sub_f32_e32 v1, v1, v2
	global_store_short_d16_hi v[12:13], v1, off offset:32
	v_mul_f32_e32 v1, v20, v1
	v_lshrrev_b32_e32 v1, 16, v1
.LBB475_81:
	s_or_b64 exec, exec, s[0:1]
	s_and_saveexec_b64 s[0:1], s[4:5]
	s_cbranch_execz .LBB475_83
; %bb.82:
	v_mov_b32_e32 v15, 0
	v_lshl_add_u64 v[6:7], v[6:7], 0, v[14:15]
	global_load_ushort v0, v[6:7], off offset:32
	v_lshl_add_u64 v[4:5], v[4:5], 0, v[14:15]
	s_waitcnt vmcnt(0)
	v_lshlrev_b32_e32 v0, 16, v0
	v_sub_f32_e32 v0, v0, v3
	global_store_short_d16_hi v[4:5], v0, off offset:32
	v_mul_f32_e32 v0, v17, v0
	v_lshrrev_b32_e32 v0, 16, v0
.LBB475_83:
	s_or_b64 exec, exec, s[0:1]
	s_mov_b32 s0, 0x5040100
	v_or_b32_e32 v2, v21, v19
	v_perm_b32 v1, v0, v1, s0
	v_perm_b32 v0, v11, v9, s0
	v_lshlrev_b32_e32 v2, 1, v2
	ds_write_b64 v2, v[0:1] offset:45056
	s_waitcnt lgkmcnt(0)
	s_barrier
.LBB475_84:
	s_endpgm
	.section	.rodata,"a",@progbits
	.p2align	6, 0x0
	.amdhsa_kernel _ZN12_GLOBAL__N_139chunk_gated_delta_rule_fwd_h_hip_kernelILi32ELb1ELb0ELb1ELb0ELb0ELb1ELb0ELb0EEEvPK12hip_bfloat16S3_S3_PKfS5_PKvPS1_S8_PvPKiSB_iiiiilll
		.amdhsa_group_segment_fixed_size 49152
		.amdhsa_private_segment_fixed_size 0
		.amdhsa_kernarg_size 136
		.amdhsa_user_sgpr_count 2
		.amdhsa_user_sgpr_dispatch_ptr 0
		.amdhsa_user_sgpr_queue_ptr 0
		.amdhsa_user_sgpr_kernarg_segment_ptr 1
		.amdhsa_user_sgpr_dispatch_id 0
		.amdhsa_user_sgpr_kernarg_preload_length 0
		.amdhsa_user_sgpr_kernarg_preload_offset 0
		.amdhsa_user_sgpr_private_segment_size 0
		.amdhsa_uses_dynamic_stack 0
		.amdhsa_enable_private_segment 0
		.amdhsa_system_sgpr_workgroup_id_x 1
		.amdhsa_system_sgpr_workgroup_id_y 1
		.amdhsa_system_sgpr_workgroup_id_z 0
		.amdhsa_system_sgpr_workgroup_info 0
		.amdhsa_system_vgpr_workitem_id 0
		.amdhsa_next_free_vgpr 168
		.amdhsa_next_free_sgpr 70
		.amdhsa_accum_offset 144
		.amdhsa_reserve_vcc 1
		.amdhsa_float_round_mode_32 0
		.amdhsa_float_round_mode_16_64 0
		.amdhsa_float_denorm_mode_32 3
		.amdhsa_float_denorm_mode_16_64 3
		.amdhsa_dx10_clamp 1
		.amdhsa_ieee_mode 1
		.amdhsa_fp16_overflow 0
		.amdhsa_tg_split 0
		.amdhsa_exception_fp_ieee_invalid_op 0
		.amdhsa_exception_fp_denorm_src 0
		.amdhsa_exception_fp_ieee_div_zero 0
		.amdhsa_exception_fp_ieee_overflow 0
		.amdhsa_exception_fp_ieee_underflow 0
		.amdhsa_exception_fp_ieee_inexact 0
		.amdhsa_exception_int_div_zero 0
	.end_amdhsa_kernel
	.section	.text._ZN12_GLOBAL__N_139chunk_gated_delta_rule_fwd_h_hip_kernelILi32ELb1ELb0ELb1ELb0ELb0ELb1ELb0ELb0EEEvPK12hip_bfloat16S3_S3_PKfS5_PKvPS1_S8_PvPKiSB_iiiiilll,"axG",@progbits,_ZN12_GLOBAL__N_139chunk_gated_delta_rule_fwd_h_hip_kernelILi32ELb1ELb0ELb1ELb0ELb0ELb1ELb0ELb0EEEvPK12hip_bfloat16S3_S3_PKfS5_PKvPS1_S8_PvPKiSB_iiiiilll,comdat
.Lfunc_end475:
	.size	_ZN12_GLOBAL__N_139chunk_gated_delta_rule_fwd_h_hip_kernelILi32ELb1ELb0ELb1ELb0ELb0ELb1ELb0ELb0EEEvPK12hip_bfloat16S3_S3_PKfS5_PKvPS1_S8_PvPKiSB_iiiiilll, .Lfunc_end475-_ZN12_GLOBAL__N_139chunk_gated_delta_rule_fwd_h_hip_kernelILi32ELb1ELb0ELb1ELb0ELb0ELb1ELb0ELb0EEEvPK12hip_bfloat16S3_S3_PKfS5_PKvPS1_S8_PvPKiSB_iiiiilll
                                        ; -- End function
	.section	.AMDGPU.csdata,"",@progbits
; Kernel info:
; codeLenInByte = 8944
; NumSgprs: 76
; NumVgprs: 142
; NumAgprs: 24
; TotalNumVgprs: 168
; ScratchSize: 0
; MemoryBound: 0
; FloatMode: 240
; IeeeMode: 1
; LDSByteSize: 49152 bytes/workgroup (compile time only)
; SGPRBlocks: 9
; VGPRBlocks: 20
; NumSGPRsForWavesPerEU: 76
; NumVGPRsForWavesPerEU: 168
; AccumOffset: 144
; Occupancy: 1
; WaveLimiterHint : 1
; COMPUTE_PGM_RSRC2:SCRATCH_EN: 0
; COMPUTE_PGM_RSRC2:USER_SGPR: 2
; COMPUTE_PGM_RSRC2:TRAP_HANDLER: 0
; COMPUTE_PGM_RSRC2:TGID_X_EN: 1
; COMPUTE_PGM_RSRC2:TGID_Y_EN: 1
; COMPUTE_PGM_RSRC2:TGID_Z_EN: 0
; COMPUTE_PGM_RSRC2:TIDIG_COMP_CNT: 0
; COMPUTE_PGM_RSRC3_GFX90A:ACCUM_OFFSET: 35
; COMPUTE_PGM_RSRC3_GFX90A:TG_SPLIT: 0
	.section	.text._ZN12_GLOBAL__N_139chunk_gated_delta_rule_fwd_h_hip_kernelILi32ELb1ELb0ELb0ELb0ELb0ELb1ELb0ELb0EEEvPK12hip_bfloat16S3_S3_PKfS5_PKvPS1_S8_PvPKiSB_iiiiilll,"axG",@progbits,_ZN12_GLOBAL__N_139chunk_gated_delta_rule_fwd_h_hip_kernelILi32ELb1ELb0ELb0ELb0ELb0ELb1ELb0ELb0EEEvPK12hip_bfloat16S3_S3_PKfS5_PKvPS1_S8_PvPKiSB_iiiiilll,comdat
	.globl	_ZN12_GLOBAL__N_139chunk_gated_delta_rule_fwd_h_hip_kernelILi32ELb1ELb0ELb0ELb0ELb0ELb1ELb0ELb0EEEvPK12hip_bfloat16S3_S3_PKfS5_PKvPS1_S8_PvPKiSB_iiiiilll ; -- Begin function _ZN12_GLOBAL__N_139chunk_gated_delta_rule_fwd_h_hip_kernelILi32ELb1ELb0ELb0ELb0ELb0ELb1ELb0ELb0EEEvPK12hip_bfloat16S3_S3_PKfS5_PKvPS1_S8_PvPKiSB_iiiiilll
	.p2align	8
	.type	_ZN12_GLOBAL__N_139chunk_gated_delta_rule_fwd_h_hip_kernelILi32ELb1ELb0ELb0ELb0ELb0ELb1ELb0ELb0EEEvPK12hip_bfloat16S3_S3_PKfS5_PKvPS1_S8_PvPKiSB_iiiiilll,@function
_ZN12_GLOBAL__N_139chunk_gated_delta_rule_fwd_h_hip_kernelILi32ELb1ELb0ELb0ELb0ELb0ELb1ELb0ELb0EEEvPK12hip_bfloat16S3_S3_PKfS5_PKvPS1_S8_PvPKiSB_iiiiilll: ; @_ZN12_GLOBAL__N_139chunk_gated_delta_rule_fwd_h_hip_kernelILi32ELb1ELb0ELb0ELb0ELb0ELb1ELb0ELb0EEEvPK12hip_bfloat16S3_S3_PKfS5_PKvPS1_S8_PvPKiSB_iiiiilll
; %bb.0:
	s_load_dwordx4 s[12:15], s[0:1], 0x5c
	s_load_dwordx4 s[16:19], s[0:1], 0x28
	s_abs_i32 s6, s3
	s_ashr_i32 s5, s3, 31
	v_and_b32_e32 v72, 15, v0
	s_waitcnt lgkmcnt(0)
	s_abs_i32 s4, s13
	v_cvt_f32_u32_e32 v1, s4
	s_sub_i32 s8, 0, s4
	s_ashr_i32 s7, s13, 31
	s_xor_b32 s5, s5, s7
	v_rcp_iflag_f32_e32 v1, v1
	v_lshrrev_b32_e32 v70, 6, v0
	v_bfe_u32 v71, v0, 4, 2
	v_mov_b32_e32 v7, 0
	v_mul_f32_e32 v1, 0x4f7ffffe, v1
	v_cvt_u32_f32_e32 v1, v1
	v_and_b32_e32 v61, 63, v0
	v_lshrrev_b32_e32 v74, 3, v61
	v_lshlrev_b32_e32 v73, 3, v0
	v_readfirstlane_b32 s9, v1
	s_mul_i32 s8, s8, s9
	s_mul_hi_u32 s8, s9, s8
	s_add_i32 s9, s9, s8
	s_mul_hi_u32 s8, s6, s9
	s_mul_i32 s9, s8, s4
	s_sub_i32 s6, s6, s9
	s_add_i32 s10, s8, 1
	s_sub_i32 s9, s6, s4
	s_cmp_ge_u32 s6, s4
	s_cselect_b32 s8, s10, s8
	s_cselect_b32 s6, s9, s6
	s_add_i32 s9, s8, 1
	s_cmp_ge_u32 s6, s4
	s_cselect_b32 s6, s9, s8
	s_xor_b32 s6, s6, s5
	s_sub_i32 s50, s6, s5
	s_mul_i32 s6, s50, s13
	s_sub_i32 s48, s3, s6
	s_abs_i32 s3, s14
	v_cvt_f32_u32_e32 v1, s3
	s_add_i32 s8, s12, 63
	s_ashr_i32 s9, s8, 31
	s_lshr_b32 s5, s9, 26
	v_rcp_iflag_f32_e32 v1, v1
	s_ashr_i32 s49, s12, 31
	s_add_i32 s8, s8, s5
	s_lshr_b32 s5, s49, 26
	v_mul_f32_e32 v1, 0x4f7ffffe, v1
	v_cvt_u32_f32_e32 v1, v1
	s_add_i32 s5, s12, s5
	s_ashr_i32 s53, s14, 31
	s_ashr_i32 s51, s5, 6
	s_lshl_b32 s36, s2, 5
	s_xor_b32 s2, s7, s53
	s_sub_i32 s5, 0, s3
	v_readfirstlane_b32 s7, v1
	s_mul_i32 s5, s5, s7
	s_mul_hi_u32 s5, s7, s5
	s_add_i32 s7, s7, s5
	s_mul_hi_u32 s5, s4, s7
	s_mul_i32 s7, s5, s3
	s_sub_i32 s4, s4, s7
	s_ashr_i32 s25, s8, 6
	s_add_i32 s7, s5, 1
	s_sub_i32 s8, s4, s3
	s_cmp_ge_u32 s4, s3
	s_cselect_b32 s5, s7, s5
	s_cselect_b32 s4, s8, s4
	s_add_i32 s7, s5, 1
	s_cmp_ge_u32 s4, s3
	s_cselect_b32 s3, s7, s5
	s_xor_b32 s3, s3, s2
	s_sub_i32 s2, s3, s2
	s_abs_i32 s3, s2
	v_cvt_f32_u32_e32 v1, s3
	s_sub_i32 s5, 0, s3
	s_abs_i32 s4, s48
	s_xor_b32 s2, s48, s2
	v_rcp_iflag_f32_e32 v1, v1
	s_ashr_i32 s2, s2, 31
	v_or_b32_e32 v62, s36, v72
	v_lshlrev_b32_e32 v2, 7, v62
	v_mul_f32_e32 v1, 0x4f7ffffe, v1
	v_cvt_u32_f32_e32 v1, v1
	v_ashrrev_i32_e32 v3, 31, v2
	s_mul_i32 s55, s50, s25
	v_readfirstlane_b32 s7, v1
	s_mul_i32 s5, s5, s7
	s_mul_hi_u32 s5, s7, s5
	s_add_i32 s7, s7, s5
	s_mul_hi_u32 s5, s4, s7
	s_mul_i32 s7, s5, s3
	s_sub_i32 s4, s4, s7
	s_add_i32 s7, s5, 1
	s_sub_i32 s8, s4, s3
	s_cmp_ge_u32 s4, s3
	s_cselect_b32 s5, s7, s5
	s_cselect_b32 s4, s8, s4
	s_add_i32 s7, s5, 1
	s_cmp_ge_u32 s4, s3
	s_cselect_b32 s3, s7, s5
	s_xor_b32 s3, s3, s2
	s_sub_i32 s54, s3, s2
	s_ashr_i32 s24, s50, 31
	s_ashr_i32 s52, s48, 31
	s_mul_hi_i32 s2, s50, s13
	s_add_u32 s38, s6, s48
	s_addc_u32 s39, s2, s52
	s_lshl_b64 s[2:3], s[38:39], 16
	s_add_u32 s2, s16, s2
	s_addc_u32 s3, s17, s3
	v_lshlrev_b32_e32 v1, 4, v70
	v_lshl_add_u64 v[4:5], v[2:3], 2, s[2:3]
	v_or_b32_e32 v2, 0x800, v2
	v_lshl_or_b32 v75, v71, 2, v1
	v_ashrrev_i32_e32 v3, 31, v2
	v_lshlrev_b32_e32 v6, 2, v75
	v_lshl_add_u64 v[2:3], v[2:3], 2, s[2:3]
	v_lshl_add_u64 v[4:5], v[4:5], 0, v[6:7]
	;; [unrolled: 1-line block ×3, first 2 shown]
	global_load_dwordx4 v[14:17], v[4:5], off
	global_load_dwordx4 v[10:13], v[4:5], off offset:256
	global_load_dwordx4 v[6:9], v[18:19], off
	s_nop 0
	global_load_dwordx4 v[2:5], v[18:19], off offset:256
	s_load_dwordx8 s[4:11], s[0:1], 0x0
	s_load_dwordx2 s[28:29], s[0:1], 0x80
	s_load_dwordx4 s[20:23], s[0:1], 0x70
	v_or_b32_e32 v76, 64, v75
	s_cmp_lt_i32 s12, 64
	s_mul_i32 s56, s39, s12
	s_mul_hi_u32 s57, s38, s12
	s_mul_i32 s16, s38, s12
	s_waitcnt lgkmcnt(0)
	s_mul_i32 s33, s50, s21
	s_mul_hi_u32 s44, s50, s20
	s_mul_i32 s45, s24, s20
	s_mul_i32 s30, s50, s20
	;; [unrolled: 1-line block ×3, first 2 shown]
	s_mul_hi_u32 s46, s48, s22
	s_mul_i32 s47, s52, s22
	s_mul_i32 s34, s48, s22
	s_cbranch_scc1 .LBB476_3
; %bb.1:
	s_add_i32 s17, s57, s56
	s_lshl_b64 s[2:3], s[16:17], 8
	v_and_b32_e32 v78, 56, v73
	s_add_u32 s20, s6, s2
	v_lshl_or_b32 v77, v70, 3, v74
	v_lshlrev_b32_e32 v18, 1, v78
	s_addc_u32 s2, s7, s3
	v_lshl_or_b32 v79, v77, 8, v18
	s_and_b32 s21, s2, 0xffff
	s_mov_b32 s23, 0x20000
	s_movk_i32 s22, 0x4000
	s_movk_i32 s2, 0x80
	v_or_b32_e32 v80, 0x2000, v79
	buffer_load_dwordx4 v[20:23], v79, s[20:23], 0 offen
	buffer_load_dwordx4 v[24:27], v79, s[20:23], s2 offen
	;; [unrolled: 1-line block ×4, first 2 shown]
	v_lshlrev_b32_e32 v19, 3, v77
	v_and_or_b32 v37, v0, 7, v19
	v_and_b32_e32 v19, 0x78, v19
	v_lshlrev_b32_e32 v37, 4, v37
	v_xor_b32_e32 v81, v37, v19
	v_mul_lo_u32 v36, v77, s15
	v_or_b32_e32 v82, 0x1000, v81
	v_xor_b32_e32 v19, 8, v81
	s_cmpk_eq_i32 s15, 0x80
	s_mov_b32 s58, s14
	v_xor_b32_e32 v37, 8, v82
	s_cselect_b64 s[2:3], -1, 0
	s_cmpk_lg_i32 s15, 0x80
	s_waitcnt vmcnt(3)
	ds_write_b64 v81, v[20:21] offset:24576
	ds_write_b64 v19, v[22:23] offset:24576
	s_waitcnt vmcnt(2)
	ds_write_b64 v81, v[24:25] offset:32768
	ds_write_b64 v19, v[26:27] offset:32768
	;; [unrolled: 3-line block ×4, first 2 shown]
	v_lshl_add_u32 v19, v36, 1, v78
	s_cbranch_scc0 .LBB476_29
; %bb.2:
	v_lshlrev_b32_e32 v21, 1, v19
	v_add_lshl_u32 v20, v19, s15, 1
	s_lshl_b32 s22, s15, 7
	s_load_dwordx2 s[40:41], s[0:1], 0x20
	v_lshl_or_b32 v18, v77, 9, v18
	s_cbranch_execz .LBB476_30
	s_branch .LBB476_31
.LBB476_3:
	s_waitcnt vmcnt(0)
	v_mov_b32_e32 v25, v5
	v_mov_b32_e32 v21, v9
.LBB476_4:
	s_lshl_b32 s26, s51, 6
	s_sub_i32 s27, s12, s26
	s_cmp_gt_i32 s27, 0
	s_cbranch_scc0 .LBB476_84
; %bb.5:
	s_ashr_i32 s2, s26, 31
	s_cmpk_lg_i32 s15, 0x80
	s_cselect_b64 s[22:23], -1, 0
	s_and_b64 vcc, exec, s[22:23]
	s_cbranch_vccz .LBB476_7
; %bb.6:
	s_mul_i32 s1, s50, s12
	s_mul_hi_i32 s0, s50, s12
	s_add_u32 s1, s1, s26
	s_addc_u32 s0, s0, s2
	s_mul_i32 s3, s1, s53
	s_mul_hi_u32 s17, s1, s14
	s_add_i32 s3, s17, s3
	s_mul_i32 s0, s0, s14
	s_add_i32 s3, s3, s0
	s_mul_i32 s1, s1, s14
	s_ashr_i32 s0, s54, 31
	s_add_u32 s24, s1, s54
	s_addc_u32 s25, s3, s0
	s_cbranch_execz .LBB476_8
	s_branch .LBB476_9
.LBB476_7:
                                        ; implicit-def: $sgpr24_sgpr25
.LBB476_8:
	s_mul_hi_i32 s0, s50, s14
	s_mul_i32 s50, s50, s14
	s_ashr_i32 s1, s54, 31
	s_add_u32 s3, s50, s54
	s_addc_u32 s0, s0, s1
	s_mul_i32 s1, s3, s49
	s_mul_hi_u32 s14, s3, s12
	s_add_i32 s1, s14, s1
	s_mul_i32 s0, s0, s12
	s_add_i32 s1, s1, s0
	s_mul_i32 s3, s3, s12
	s_add_u32 s24, s3, s26
	s_addc_u32 s25, s1, s2
.LBB476_9:
	s_mul_i32 s0, s38, s49
	s_add_i32 s0, s57, s0
	s_add_i32 s3, s55, s51
	;; [unrolled: 1-line block ×3, first 2 shown]
	s_add_u32 s0, s16, s26
	s_addc_u32 s1, s1, s2
	v_lshlrev_b32_e32 v18, 5, v75
	v_lshlrev_b32_e32 v22, 2, v72
	s_mov_b32 s2, 0x7060302
	v_perm_b32 v13, v13, v12, s2
	v_perm_b32 v12, v11, v10, s2
	v_or_b32_e32 v10, v18, v22
	v_xor_b32_e32 v5, v75, v22
	v_perm_b32 v17, v17, v16, s2
	v_perm_b32 v16, v15, v14, s2
	v_lshlrev_b32_e32 v10, 1, v10
	ds_write2st64_b64 v10, v[16:17], v[12:13] offset0:80 offset1:88
	v_lshlrev_b32_e32 v10, 1, v5
	v_lshlrev_b32_e32 v5, 8, v72
	s_lshl_b64 s[20:21], s[0:1], 8
	v_xor_b32_e32 v9, v76, v22
	v_or_b32_e32 v11, v10, v5
	s_add_u32 s0, s6, s20
	ds_write_b64 v11, v[16:17]
	v_lshlrev_b32_e32 v11, 1, v9
	s_addc_u32 s1, s7, s21
	v_or_b32_e32 v5, v11, v5
	s_mul_hi_i32 s6, s3, s13
	s_mul_i32 s3, s3, s13
	ds_write_b64 v5, v[12:13]
	v_perm_b32 v9, v21, v8, s2
	v_perm_b32 v8, v7, v6, s2
	;; [unrolled: 1-line block ×4, first 2 shown]
	s_add_u32 s2, s3, s48
	v_or_b32_e32 v2, 16, v72
	s_addc_u32 s3, s6, s52
	v_lshlrev_b32_e32 v19, 2, v2
	s_ashr_i32 s37, s36, 31
	s_lshl_b64 s[2:3], s[2:3], 15
	v_or_b32_e32 v3, v18, v19
	s_add_u32 s6, s18, s2
	v_lshlrev_b32_e32 v3, 1, v3
	v_lshlrev_b32_e32 v2, 8, v2
	s_addc_u32 s7, s19, s3
	s_lshl_b64 s[2:3], s[36:37], 8
	ds_write2st64_b64 v3, v[8:9], v[4:5] offset0:80 offset1:88
	v_or_b32_e32 v3, v10, v2
	v_or_b32_e32 v2, v11, v2
	s_add_u32 s2, s6, s2
	ds_write_b64 v3, v[8:9]
	ds_write_b64 v2, v[4:5]
	v_lshrrev_b32_e32 v2, 4, v0
	s_addc_u32 s3, s7, s3
	v_lshlrev_b32_e32 v3, 1, v72
	v_lshlrev_b32_e32 v10, 4, v72
	v_mov_b32_e32 v11, 0
	v_or_b32_e32 v4, 1, v3
	v_xor_b32_e32 v3, v2, v3
	v_lshl_add_u64 v[12:13], s[2:3], 0, v[10:11]
	v_lshlrev_b32_e32 v10, 8, v2
	v_xor_b32_e32 v6, v4, v2
	v_lshl_or_b32 v2, v3, 3, v10
	s_waitcnt lgkmcnt(0)
	s_barrier
	ds_read2st64_b64 v[2:5], v2 offset1:8
	v_lshl_or_b32 v6, v6, 3, v10
	ds_read2st64_b64 v[6:9], v6 offset1:8
	v_lshl_add_u64 v[14:15], v[12:13], 0, v[10:11]
	s_movk_i32 s2, 0x1000
	s_waitcnt lgkmcnt(1)
	v_mov_b32_e32 v10, v2
	v_add_co_u32_e32 v2, vcc, s2, v14
	s_cmp_lg_u32 s27, 64
	v_mov_b32_e32 v11, v3
	v_addc_co_u32_e32 v3, vcc, 0, v15, vcc
	s_cselect_b64 s[6:7], -1, 0
	v_lshl_or_b32 v23, v70, 3, v74
	s_waitcnt lgkmcnt(0)
	v_mov_b32_e32 v12, v6
	v_mov_b32_e32 v13, v7
	;; [unrolled: 1-line block ×4, first 2 shown]
	s_mov_b32 s16, 0
	v_or_b32_e32 v20, 32, v23
	v_and_b32_e32 v18, 56, v73
	s_and_b64 vcc, exec, s[6:7]
	global_store_dwordx4 v[14:15], v[10:13], off
	global_store_dwordx4 v[2:3], v[6:9], off
	s_cbranch_vccz .LBB476_15
; %bb.10:
	s_mov_b32 s17, s16
	s_mov_b32 s18, s16
	;; [unrolled: 1-line block ×3, first 2 shown]
	v_mov_b64_e32 v[6:7], s[16:17]
	v_mov_b64_e32 v[8:9], s[18:19]
	;; [unrolled: 1-line block ×3, first 2 shown]
	v_cmp_gt_i32_e32 vcc, s27, v23
	v_mov_b64_e32 v[4:5], v[8:9]
	s_and_saveexec_b64 s[2:3], vcc
	s_cbranch_execz .LBB476_12
; %bb.11:
	v_lshlrev_b32_e32 v2, 8, v23
	v_mov_b32_e32 v3, 0
	v_lshl_add_u64 v[4:5], s[0:1], 0, v[2:3]
	v_lshlrev_b32_e32 v2, 1, v18
	v_lshl_add_u64 v[10:11], v[4:5], 0, v[2:3]
	global_load_dwordx4 v[6:9], v[10:11], off
	global_load_dwordx4 v[2:5], v[10:11], off offset:128
.LBB476_12:
	s_or_b64 exec, exec, s[2:3]
	s_mov_b32 s17, s16
	s_mov_b32 s18, s16
	;; [unrolled: 1-line block ×3, first 2 shown]
	v_mov_b64_e32 v[14:15], s[16:17]
	v_mov_b64_e32 v[16:17], s[18:19]
	;; [unrolled: 1-line block ×3, first 2 shown]
	v_cmp_gt_i32_e32 vcc, s27, v20
	v_lshlrev_b32_e32 v21, 7, v20
	v_mov_b64_e32 v[12:13], v[16:17]
	s_and_saveexec_b64 s[2:3], vcc
	s_cbranch_execz .LBB476_14
; %bb.13:
	v_lshlrev_b32_e32 v10, 1, v21
	v_mov_b32_e32 v11, 0
	v_lshl_add_u64 v[12:13], s[0:1], 0, v[10:11]
	v_lshlrev_b32_e32 v10, 1, v18
	v_lshl_add_u64 v[24:25], v[12:13], 0, v[10:11]
	global_load_dwordx4 v[14:17], v[24:25], off
	global_load_dwordx4 v[10:13], v[24:25], off offset:128
.LBB476_14:
	s_or_b64 exec, exec, s[2:3]
	v_lshrrev_b32_e32 v24, 3, v18
	v_lshlrev_b32_e32 v25, 3, v23
	v_or_b32_e32 v24, v25, v24
	v_lshlrev_b32_e32 v24, 4, v24
	v_and_b32_e32 v25, 0x78, v25
	v_xor_b32_e32 v24, v24, v25
	s_branch .LBB476_17
.LBB476_15:
                                        ; implicit-def: $vgpr24
                                        ; implicit-def: $vgpr21
                                        ; implicit-def: $vgpr6_vgpr7_vgpr8_vgpr9
                                        ; implicit-def: $vgpr2_vgpr3_vgpr4_vgpr5
                                        ; implicit-def: $vgpr14_vgpr15_vgpr16_vgpr17
                                        ; implicit-def: $vgpr10_vgpr11_vgpr12_vgpr13
	s_cbranch_execz .LBB476_17
; %bb.16:
	s_waitcnt vmcnt(0)
	v_lshlrev_b32_e32 v2, 1, v18
	v_lshl_or_b32 v21, v23, 8, v2
	s_and_b32 s1, s1, 0xffff
	s_mov_b32 s3, 0x20000
	s_movk_i32 s2, 0x4000
	v_lshl_or_b32 v24, v20, 8, v2
	s_movk_i32 s13, 0x80
	buffer_load_dwordx4 v[6:9], v21, s[0:3], 0 offen
	buffer_load_dwordx4 v[2:5], v21, s[0:3], s13 offen
	;; [unrolled: 1-line block ×4, first 2 shown]
	v_lshrrev_b32_e32 v21, 3, v18
	v_lshlrev_b32_e32 v24, 3, v23
	v_or_b32_e32 v21, v24, v21
	v_lshlrev_b32_e32 v21, 4, v21
	v_and_b32_e32 v24, 0x78, v24
	v_xor_b32_e32 v24, v21, v24
	v_lshlrev_b32_e32 v21, 7, v20
.LBB476_17:
	s_lshl_b64 s[0:1], s[24:25], 8
	s_add_u32 s4, s4, s0
	s_movk_i32 s0, 0x1000
	v_and_or_b32 v20, v21, s0, v24
	s_waitcnt vmcnt(1)
	ds_write_b64 v24, v[6:7] offset:24576
	v_xor_b32_e32 v6, 8, v24
	ds_write_b64 v6, v[8:9] offset:24576
	s_waitcnt vmcnt(0)
	ds_write_b64 v24, v[2:3] offset:32768
	ds_write_b64 v6, v[4:5] offset:32768
	;; [unrolled: 1-line block ×3, first 2 shown]
	v_xor_b32_e32 v2, 8, v20
	ds_write_b64 v2, v[16:17] offset:24576
	ds_write_b64 v20, v[10:11] offset:32768
	;; [unrolled: 1-line block ×3, first 2 shown]
	v_or_b32_e32 v2, v1, v72
	v_lshlrev_b32_e32 v3, 11, v70
	v_lshlrev_b32_e32 v2, 3, v2
	v_and_b32_e32 v6, 0x1000, v3
	v_lshrrev_b32_e32 v3, 5, v61
	s_movk_i32 s3, 0xf8
	v_and_or_b32 v3, v2, s3, v3
	v_lshlrev_b32_e32 v7, 4, v3
	v_and_b32_e32 v8, 0x78, v2
	v_or_b32_e32 v10, 32, v7
	v_lshrrev_b32_e32 v3, 1, v61
	v_xor_b32_e32 v10, v10, v8
	v_xor_b32_e32 v2, v7, v8
	v_and_b32_e32 v9, 8, v3
	v_or_b32_e32 v10, v10, v6
	v_or_b32_e32 v2, v2, v6
	v_xor_b32_e32 v26, v10, v9
	v_or_b32_e32 v10, 64, v7
	v_xor_b32_e32 v25, v2, v9
	v_xor_b32_e32 v10, v10, v8
	s_waitcnt lgkmcnt(0)
	s_barrier
	v_or_b32_e32 v12, v10, v6
	ds_read_b64 v[10:11], v25 offset:24576
	v_lshl_or_b32 v20, v71, 7, v22
	v_lshlrev_b32_e32 v24, 1, v20
	v_add_u32_e32 v2, 0xa000, v24
	ds_read2_b64 v[2:5], v2 offset1:16
	v_or_b32_e32 v7, 0x60, v7
	v_xor_b32_e32 v7, v7, v8
	s_waitcnt lgkmcnt(0)
	v_mfma_f32_16x16x16_bf16 a[0:3], v[10:11], v[2:3], 0
	v_or_b32_e32 v2, 64, v20
	v_or_b32_e32 v6, v7, v6
	v_lshlrev_b32_e32 v29, 1, v2
	v_xor_b32_e32 v27, v12, v9
	v_xor_b32_e32 v28, v6, v9
	ds_read_b64 v[12:13], v26 offset:24576
	ds_read_b64 v[14:15], v27 offset:24576
	;; [unrolled: 1-line block ×3, first 2 shown]
	v_mfma_f32_16x16x16_bf16 a[4:7], v[10:11], v[4:5], 0
	ds_read2st64_b64 v[2:5], v29 offset0:82 offset1:84
	ds_read2st64_b64 v[6:9], v24 offset0:82 offset1:84
	s_addc_u32 s5, s5, s1
	s_add_i32 s1, s44, s33
	s_add_i32 s0, s12, -1
	s_add_i32 s31, s1, s45
	s_add_i32 s1, s46, s39
	;; [unrolled: 1-line block ×3, first 2 shown]
	s_ashr_i32 s1, s0, 31
	s_mul_i32 s2, s0, s29
	s_mul_hi_u32 s3, s0, s28
	s_add_i32 s2, s3, s2
	s_mul_i32 s1, s1, s28
	s_waitcnt lgkmcnt(1)
	v_mfma_f32_16x16x16_bf16 a[4:7], v[12:13], v[2:3], a[4:7]
	s_add_i32 s1, s2, s1
	s_lshl_b64 s[2:3], s[30:31], 2
	s_add_u32 s10, s10, s2
	s_waitcnt lgkmcnt(0)
	v_mfma_f32_16x16x16_bf16 a[0:3], v[12:13], v[6:7], a[0:3]
	s_addc_u32 s11, s11, s3
	s_lshl_b64 s[2:3], s[34:35], 2
	s_mul_i32 s0, s0, s28
	s_add_u32 s10, s10, s2
	ds_read_b64 v[2:3], v24 offset:44032
	v_mfma_f32_16x16x16_bf16 a[4:7], v[14:15], v[4:5], a[4:7]
	ds_read_b64 v[4:5], v29 offset:44032
	s_addc_u32 s11, s11, s3
	s_lshl_b64 s[0:1], s[0:1], 2
	v_mfma_f32_16x16x16_bf16 a[0:3], v[14:15], v[8:9], a[0:3]
	s_add_u32 s0, s10, s0
	s_addc_u32 s1, s11, s1
	s_load_dword s12, s[0:1], 0x0
	s_waitcnt lgkmcnt(0)
	v_mfma_f32_16x16x16_bf16 a[0:3], v[16:17], v[2:3], a[0:3]
	s_and_b64 vcc, exec, s[22:23]
	v_mfma_f32_16x16x16_bf16 a[4:7], v[16:17], v[4:5], a[4:7]
	s_cbranch_vccz .LBB476_28
; %bb.18:
	v_lshlrev_b32_e32 v20, 1, v23
	s_and_b64 vcc, exec, s[6:7]
	s_cbranch_vccz .LBB476_44
; %bb.19:
	v_cmp_gt_i32_e32 vcc, s27, v20
	v_mov_b32_e32 v6, 0
	v_mov_b32_e32 v2, 0
	;; [unrolled: 1-line block ×5, first 2 shown]
	s_and_saveexec_b64 s[0:1], vcc
	s_cbranch_execz .LBB476_21
; %bb.20:
	v_mad_i64_i32 v[2:3], s[2:3], s15, v20, 0
	v_lshl_add_u64 v[2:3], v[2:3], 1, s[4:5]
	v_lshlrev_b32_e32 v4, 1, v18
	v_mov_b32_e32 v5, 0
	v_lshl_add_u64 v[2:3], v[2:3], 0, v[4:5]
	global_load_dwordx4 v[2:5], v[2:3], off
.LBB476_21:
	s_or_b64 exec, exec, s[0:1]
	v_or_b32_e32 v21, 1, v20
	v_cmp_gt_i32_e64 s[0:1], s27, v21
	v_mov_b32_e32 v7, 0
	v_mov_b32_e32 v8, 0
	v_mov_b32_e32 v9, 0
	s_and_saveexec_b64 s[2:3], s[0:1]
	s_cbranch_execz .LBB476_23
; %bb.22:
	v_mad_i64_i32 v[6:7], s[16:17], s15, v21, 0
	v_lshl_add_u64 v[6:7], v[6:7], 1, s[4:5]
	v_lshlrev_b32_e32 v8, 1, v18
	v_mov_b32_e32 v9, 0
	v_lshl_add_u64 v[6:7], v[6:7], 0, v[8:9]
	global_load_dwordx4 v[6:9], v[6:7], off
.LBB476_23:
	s_or_b64 exec, exec, s[2:3]
	v_mov_b32_e32 v17, 0
	v_mov_b32_e32 v10, 0
	;; [unrolled: 1-line block ×5, first 2 shown]
	s_and_saveexec_b64 s[2:3], vcc
	s_cbranch_execz .LBB476_25
; %bb.24:
	v_mad_i64_i32 v[10:11], s[16:17], s15, v20, 0
	v_lshl_add_u64 v[10:11], v[10:11], 1, s[4:5]
	v_lshlrev_b32_e32 v12, 1, v18
	v_mov_b32_e32 v13, 0
	v_lshl_add_u64 v[10:11], v[10:11], 0, v[12:13]
	global_load_dwordx4 v[10:13], v[10:11], off offset:128
.LBB476_25:
	s_or_b64 exec, exec, s[2:3]
	v_mov_b32_e32 v16, 0
	v_mov_b32_e32 v15, 0
	;; [unrolled: 1-line block ×3, first 2 shown]
	s_and_saveexec_b64 s[2:3], s[0:1]
	s_cbranch_execz .LBB476_27
; %bb.26:
	v_mad_i64_i32 v[14:15], s[0:1], s15, v21, 0
	v_lshl_add_u64 v[14:15], v[14:15], 1, s[4:5]
	v_lshlrev_b32_e32 v16, 1, v18
	v_mov_b32_e32 v17, 0
	v_lshl_add_u64 v[14:15], v[14:15], 0, v[16:17]
	global_load_dwordx4 v[14:17], v[14:15], off offset:128
.LBB476_27:
	s_or_b64 exec, exec, s[2:3]
	s_branch .LBB476_46
.LBB476_28:
                                        ; implicit-def: $vgpr5
                                        ; implicit-def: $vgpr9
                                        ; implicit-def: $vgpr13
                                        ; implicit-def: $vgpr17
	v_lshrrev_b32_e32 v30, 2, v61
	s_branch .LBB476_47
.LBB476_29:
                                        ; implicit-def: $vgpr20
                                        ; implicit-def: $vgpr21
                                        ; implicit-def: $sgpr22
	s_load_dwordx2 s[40:41], s[0:1], 0x20
	v_lshl_or_b32 v18, v77, 9, v18
.LBB476_30:
	v_or_b32_e32 v20, 0x100, v18
	s_movk_i32 s22, 0x4000
	v_mov_b32_e32 v21, v18
.LBB476_31:
	s_mul_hi_u32 s0, s14, s12
	s_mul_i32 s1, s53, s12
	s_add_i32 s0, s0, s1
	s_mul_i32 s1, s14, s12
	s_mul_i32 s20, s1, s24
	s_mul_hi_u32 s21, s1, s50
	s_add_i32 s20, s21, s20
	s_mul_i32 s0, s0, s50
	s_add_i32 s20, s20, s0
	s_mul_i32 s1, s1, s50
	s_ashr_i32 s59, s54, 31
	s_add_u32 s0, s1, s54
	s_addc_u32 s1, s20, s59
	s_lshl_b64 s[0:1], s[0:1], 8
	s_add_u32 s20, s4, s0
	s_addc_u32 s0, s5, s1
	s_and_b32 s21, s0, 0xffff
	s_movk_i32 s60, 0x80
	buffer_load_dwordx4 v[22:25], v21, s[20:23], 0 offen
	buffer_load_dwordx4 v[26:29], v21, s[20:23], s60 offen
	;; [unrolled: 1-line block ×4, first 2 shown]
	v_and_b32_e32 v20, 6, v0
	v_lshlrev_b32_e32 v39, 6, v75
	v_or_b32_e32 v41, 16, v72
	v_xor_b32_e32 v42, v77, v20
	v_and_b32_e32 v21, 1, v0
	v_lshl_or_b32 v45, v72, 3, v39
	v_lshl_or_b32 v39, v41, 3, v39
	v_lshlrev_b32_e32 v42, 2, v42
	s_mul_i32 s24, s24, s12
	s_mul_hi_u32 s0, s50, s12
	v_lshlrev_b32_e32 v38, 2, v72
	v_or_b32_e32 v85, 0xa000, v39
	v_or_b32_e32 v86, 0xb000, v39
	v_xor_b32_e32 v39, 0x440, v42
	v_cmp_eq_u32_e32 vcc, 0, v21
	v_xor_b32_e32 v43, v75, v38
	v_xor_b32_e32 v44, v76, v38
	v_cndmask_b32_e32 v21, v39, v42, vcc
	s_add_i32 s65, s0, s24
	s_add_i32 s0, s44, s33
	s_mov_b32 s63, 0x1000504
	v_lshlrev_b32_e32 v40, 8, v72
	v_lshlrev_b32_e32 v43, 1, v43
	;; [unrolled: 1-line block ×3, first 2 shown]
	v_lshl_or_b32 v20, v20, 10, v21
	s_add_i32 s31, s0, s45
	s_add_i32 s0, s46, s39
	s_mov_b32 s64, 0x3020706
	v_or_b32_e32 v83, 0xa000, v45
	v_or_b32_e32 v84, 0xb000, v45
	v_or_b32_e32 v87, v40, v43
	v_or_b32_e32 v88, v40, v44
	v_xor_b32_e32 v21, 8, v20
	v_xor_b32_e32 v40, 24, v20
	;; [unrolled: 1-line block ×4, first 2 shown]
	s_add_i32 s35, s0, s47
	s_lshl_b64 s[0:1], s[30:31], 2
	v_xor_b32_e32 v39, 16, v20
	v_xor_b32_e32 v42, 32, v20
	;; [unrolled: 1-line block ×3, first 2 shown]
	v_add_u32_e32 v21, 0x80, v21
	v_add_u32_e32 v40, 0x80, v40
	;; [unrolled: 1-line block ×4, first 2 shown]
	s_add_u32 s20, s10, s0
	s_addc_u32 s21, s11, s1
	s_lshl_b64 s[0:1], s[34:35], 2
	s_add_u32 s42, s20, s0
	s_movk_i32 s0, 0xf8
	s_addc_u32 s43, s21, s1
	s_ashr_i32 s37, s36, 31
	s_lshl_b32 s26, s15, 7
	s_movk_i32 s20, 0x100
	v_mov_b32_e32 v65, 0
	v_lshlrev_b32_e32 v64, 4, v72
	v_cmp_gt_u32_e32 vcc, s20, v0
	s_mul_i32 s61, s50, s12
	v_ashrrev_i32_e32 v63, 31, v62
	s_mov_b32 s62, 0
	s_movk_i32 s31, 0x1000
	s_movk_i32 s22, 0x4000
	v_lshl_add_u64 v[66:67], v[62:63], 1, s[8:9]
	v_mov_b32_e32 v113, 0x3fb8aa3b
	s_mov_b32 s67, 0
	s_waitcnt vmcnt(1)
	v_perm_b32 v48, v22, v30, s63
	s_waitcnt vmcnt(0)
	v_perm_b32 v49, v26, v34, s63
	v_perm_b32 v22, v22, v30, s64
	;; [unrolled: 1-line block ×15, first 2 shown]
	ds_write2st64_b32 v20, v48, v49 offset0:32 offset1:64
	ds_write2st64_b32 v21, v22, v26 offset0:32 offset1:64
	;; [unrolled: 1-line block ×8, first 2 shown]
	v_lshlrev_b32_e32 v20, 8, v41
	v_or_b32_e32 v89, v20, v43
	v_or_b32_e32 v90, v20, v44
	;; [unrolled: 1-line block ×3, first 2 shown]
	v_lshlrev_b32_e32 v20, 3, v20
	v_lshrrev_b32_e32 v23, 5, v61
	v_and_or_b32 v23, v20, s0, v23
	v_lshlrev_b32_e32 v23, 4, v23
	v_lshlrev_b32_e32 v25, 11, v70
	v_and_b32_e32 v20, 0x78, v20
	v_or_b32_e32 v28, 32, v23
	v_and_b32_e32 v22, 0x1000, v25
	v_lshrrev_b32_e32 v26, 1, v61
	v_xor_b32_e32 v28, v28, v20
	v_xor_b32_e32 v24, v23, v20
	v_and_b32_e32 v26, 8, v26
	v_or_b32_e32 v28, v28, v22
	v_or_b32_e32 v24, v24, v22
	v_lshlrev_b32_e32 v27, 7, v71
	v_xor_b32_e32 v93, v28, v26
	v_or_b32_e32 v28, 64, v23
	v_or_b32_e32 v23, 0x60, v23
	v_xor_b32_e32 v91, v24, v26
	v_or_b32_e32 v24, v27, v38
	v_xor_b32_e32 v28, v28, v20
	v_xor_b32_e32 v20, v23, v20
	s_lshl_b64 s[0:1], s[36:37], 8
	v_lshlrev_b32_e32 v24, 1, v24
	v_or_b32_e32 v28, v28, v22
	v_or_b32_e32 v20, v20, v22
	s_add_u32 s0, s18, s0
	v_lshlrev_b32_e32 v22, 1, v72
	v_or_b32_e32 v92, 0xa000, v24
	v_or_b32_e32 v94, 0xa080, v24
	;; [unrolled: 1-line block ×4, first 2 shown]
	v_lshrrev_b32_e32 v24, 4, v0
	s_addc_u32 s1, s19, s1
	v_or_b32_e32 v23, 1, v22
	v_mov_b32_e32 v33, 0x4000
	v_mov_b32_e32 v34, 0x2000
	v_lshrrev_b32_e32 v35, 1, v0
	v_xor_b32_e32 v95, v28, v26
	v_xor_b32_e32 v96, v20, v26
	;; [unrolled: 1-line block ×4, first 2 shown]
	v_lshl_add_u64 v[22:23], s[0:1], 0, v[64:65]
	v_lshlrev_b32_e32 v64, 8, v24
	v_cndmask_b32_e32 v33, v33, v34, vcc
	v_lshlrev_b32_e32 v34, 3, v70
	v_and_b32_e32 v35, 24, v35
	v_lshl_or_b32 v99, v26, 3, v64
	v_and_b32_e32 v26, 8, v0
	v_xor_b32_e32 v36, v34, v35
	v_or_b32_e32 v37, 0x440, v36
	v_cmp_eq_u32_e32 vcc, 0, v26
	v_and_b32_e32 v24, 7, v0
	v_lshl_or_b32 v100, v30, 3, v64
	v_cndmask_b32_e32 v26, v37, v36, vcc
	v_lshlrev_b32_e32 v30, 3, v24
	v_lshlrev_b32_e32 v32, 2, v0
	v_or_b32_e32 v26, v26, v25
	v_xor_b32_e32 v36, v26, v30
	v_and_or_b32 v26, v32, 60, v27
	v_mov_b32_e32 v27, 0xb000
	v_lshl_or_b32 v101, v26, 1, v27
	v_or_b32_e32 v26, 32, v35
	v_xor_b32_e32 v26, v34, v26
	v_or_b32_e32 v27, 0x440, v26
	v_cndmask_b32_e32 v26, v27, v26, vcc
	v_or_b32_e32 v26, v26, v25
	v_xor_b32_e32 v27, v26, v30
	v_or_b32_e32 v26, 64, v35
	v_xor_b32_e32 v26, v34, v26
	v_xor_b32_e32 v38, 0x440, v26
	v_cndmask_b32_e32 v26, v38, v26, vcc
	v_or_b32_e32 v26, v26, v25
	v_xor_b32_e32 v38, v26, v30
	v_or_b32_e32 v26, 0x60, v35
	v_xor_b32_e32 v26, v34, v26
	v_xor_b32_e32 v34, 0x440, v26
	v_cndmask_b32_e32 v26, v34, v26, vcc
	v_lshrrev_b32_e32 v21, 2, v61
	v_or_b32_e32 v25, v26, v25
	v_and_b32_e32 v21, 12, v21
	v_xor_b32_e32 v25, v25, v30
	v_lshlrev_b32_e32 v20, 7, v75
	v_lshlrev_b32_e32 v28, 1, v19
	v_add_lshl_u32 v19, v19, s15, 1
	v_or_b32_e32 v29, 0x100, v18
	v_lshlrev_b32_e32 v31, 7, v24
	v_or_b32_e32 v24, v21, v1
	v_add_u32_e32 v37, v33, v36
	v_add_u32_e32 v32, v33, v27
	;; [unrolled: 1-line block ×4, first 2 shown]
	v_or3_b32 v26, v1, v21, 64
	v_add_u32_e32 v21, 0x4000, v36
	v_add_u32_e32 v27, 0x4000, v27
	;; [unrolled: 1-line block ×4, first 2 shown]
	v_cndmask_b32_e64 v102, v28, v18, s[2:3]
	v_cndmask_b32_e64 v103, v19, v29, s[2:3]
	v_lshl_add_u64 v[68:69], v[22:23], 0, v[64:65]
	s_add_i32 s35, s61, 63
	s_mov_b32 s37, 0x7060302
	v_lshlrev_b32_e32 v64, 1, v20
	v_lshlrev_b32_e32 v63, 2, v24
	v_add_u32_e32 v104, v37, v31
	v_add_u32_e32 v105, v32, v31
	;; [unrolled: 1-line block ×4, first 2 shown]
	v_lshlrev_b32_e32 v108, 2, v26
	v_add_u32_e32 v109, v21, v31
	v_add_u32_e32 v110, v27, v31
	v_add_u32_e32 v111, v33, v31
	v_add_u32_e32 v112, v25, v31
	s_waitcnt lgkmcnt(0)
	s_barrier
.LBB476_32:                             ; =>This Inner Loop Header: Depth=1
	s_add_i32 s66, s67, 1
	s_cmp_lt_i32 s66, s51
	s_mov_b64 s[24:25], 0
	s_cselect_b64 s[2:3], -1, 0
	s_cmp_ge_i32 s66, s51
	s_mov_b64 s[20:21], 0
	s_cbranch_scc1 .LBB476_34
; %bb.33:                               ;   in Loop: Header=BB476_32 Depth=1
	s_add_i32 s0, s62, 64
	s_add_u32 s0, s16, s0
	s_addc_u32 s1, s17, 0
	s_lshl_b64 s[0:1], s[0:1], 8
	s_add_u32 s20, s6, s0
	s_addc_u32 s21, s7, s1
.LBB476_34:                             ;   in Loop: Header=BB476_32 Depth=1
	v_cndmask_b32_e64 v18, 0, 1, s[2:3]
	v_cmp_ne_u32_e64 s[0:1], 1, v18
	s_andn2_b64 vcc, exec, s[2:3]
	s_cbranch_vccnz .LBB476_36
; %bb.35:                               ;   in Loop: Header=BB476_32 Depth=1
	s_add_i32 s2, s62, 64
	s_add_u32 s2, s61, s2
	s_addc_u32 s3, s65, 0
	s_mul_i32 s24, s2, s53
	s_mul_hi_u32 s25, s2, s58
	s_add_i32 s24, s25, s24
	s_mul_i32 s3, s3, s58
	s_add_i32 s24, s24, s3
	s_mul_i32 s2, s2, s58
	s_add_u32 s2, s2, s54
	s_addc_u32 s3, s24, s59
	s_lshl_b64 s[2:3], s[2:3], 8
	s_add_u32 s24, s4, s2
	s_addc_u32 s25, s5, s3
.LBB476_36:                             ;   in Loop: Header=BB476_32 Depth=1
	v_perm_b32 v19, v17, v16, s37
	v_perm_b32 v18, v15, v14, s37
	;; [unrolled: 1-line block ×4, first 2 shown]
	ds_write_b64 v83, v[18:19]
	ds_write_b64 v84, v[20:21]
	;; [unrolled: 1-line block ×4, first 2 shown]
	v_perm_b32 v19, v9, v8, s37
	v_perm_b32 v18, v7, v6, s37
	;; [unrolled: 1-line block ×4, first 2 shown]
	ds_write_b64 v85, v[18:19]
	ds_write_b64 v86, v[20:21]
	;; [unrolled: 1-line block ×4, first 2 shown]
	s_waitcnt lgkmcnt(0)
	s_barrier
	ds_read_b64 v[22:23], v91 offset:24576
	ds_read2_b64 v[18:21], v92 offset1:16
	ds_read_b64 v[26:27], v94 offset:3072
	ds_read_b64 v[28:29], v92 offset:3072
	;; [unrolled: 1-line block ×3, first 2 shown]
	s_waitcnt lgkmcnt(3)
	v_mfma_f32_16x16x16_bf16 a[0:3], v[22:23], v[18:19], 0
	s_add_i32 s2, s62, 63
	s_mul_i32 s3, s2, s29
	s_mul_hi_u32 s27, s2, s28
	v_mfma_f32_16x16x16_bf16 a[4:7], v[22:23], v[20:21], 0
	ds_read2st64_b64 v[18:21], v92 offset0:2 offset1:4
	ds_read2st64_b64 v[22:25], v94 offset0:2 offset1:4
	s_add_i32 s3, s27, s3
	s_waitcnt lgkmcnt(1)
	v_mfma_f32_16x16x16_bf16 a[0:3], v[30:31], v[18:19], a[0:3]
	s_mul_i32 s2, s2, s28
	s_lshl_b64 s[2:3], s[2:3], 2
	s_add_u32 s2, s42, s2
	s_waitcnt lgkmcnt(0)
	v_mfma_f32_16x16x16_bf16 a[4:7], v[30:31], v[22:23], a[4:7]
	ds_read_b64 v[18:19], v95 offset:24576
	ds_read_b64 v[22:23], v96 offset:24576
	s_addc_u32 s3, s43, s3
	s_and_b64 vcc, exec, s[0:1]
	s_waitcnt lgkmcnt(1)
	v_mfma_f32_16x16x16_bf16 a[0:3], v[18:19], v[20:21], a[0:3]
	v_mov_b32_e32 v116, 0
	v_mov_b32_e32 v115, 0
	;; [unrolled: 1-line block ×3, first 2 shown]
	v_mfma_f32_16x16x16_bf16 a[4:7], v[18:19], v[24:25], a[4:7]
	v_mov_b32_e32 v18, 0
	v_mov_b32_e32 v19, 0
	;; [unrolled: 1-line block ×3, first 2 shown]
	s_waitcnt lgkmcnt(0)
	v_mfma_f32_16x16x16_bf16 a[0:3], v[22:23], v[28:29], a[0:3]
	v_mov_b32_e32 v21, 0
	v_mov_b32_e32 v24, 0
	;; [unrolled: 1-line block ×3, first 2 shown]
	v_mfma_f32_16x16x16_bf16 a[4:7], v[22:23], v[26:27], a[4:7]
	v_mov_b32_e32 v22, 0
	v_mov_b32_e32 v23, 0
	;; [unrolled: 1-line block ×10, first 2 shown]
	s_cbranch_vccnz .LBB476_38
; %bb.37:                               ;   in Loop: Header=BB476_32 Depth=1
	s_and_b32 s21, s21, 0xffff
	buffer_load_dwordx4 v[30:33], v79, s[20:23], 0 offen
	buffer_load_dwordx4 v[26:29], v79, s[20:23], s60 offen
	;; [unrolled: 1-line block ×4, first 2 shown]
	v_mov_b32_e32 v115, v81
	v_mov_b32_e32 v114, v82
.LBB476_38:                             ;   in Loop: Header=BB476_32 Depth=1
	ds_read_b64 v[38:39], v91 offset:32768
	ds_read2_b64 v[34:37], v97 offset1:16
	ds_read_b64 v[42:43], v93 offset:32768
	ds_read_b64 v[44:45], v95 offset:32768
	;; [unrolled: 1-line block ×3, first 2 shown]
	v_add_u32_e32 v48, s62, v75
	s_waitcnt lgkmcnt(3)
	v_mfma_f32_16x16x16_bf16 a[0:3], v[38:39], v[34:35], a[0:3]
	v_mul_lo_u32 v49, v48, s29
	v_mov_b32_e32 v117, 0
	v_mfma_f32_16x16x16_bf16 a[4:7], v[38:39], v[36:37], a[4:7]
	ds_read2st64_b64 v[34:37], v97 offset0:2 offset1:4
	ds_read2st64_b64 v[38:41], v98 offset0:2 offset1:4
	s_waitcnt lgkmcnt(1)
	v_mfma_f32_16x16x16_bf16 a[0:3], v[42:43], v[34:35], a[0:3]
	v_ashrrev_i32_e32 v34, 31, v48
	v_mul_lo_u32 v50, v34, s28
	v_mad_u64_u32 v[34:35], s[20:21], v48, s28, 0
	v_mfma_f32_16x16x16_bf16 a[0:3], v[44:45], v[36:37], a[0:3]
	v_add_u32_e32 v36, 1, v48
	v_ashrrev_i32_e32 v37, 31, v36
	v_add3_u32 v35, v35, v49, v50
	s_waitcnt lgkmcnt(0)
	v_mfma_f32_16x16x16_bf16 a[4:7], v[42:43], v[38:39], a[4:7]
	v_mul_lo_u32 v38, v37, s28
	v_mul_lo_u32 v39, v36, s29
	v_mad_u64_u32 v[36:37], s[20:21], v36, s28, 0
	v_add3_u32 v37, v37, v39, v38
	v_add_u32_e32 v38, 2, v48
	v_ashrrev_i32_e32 v39, 31, v38
	v_mul_lo_u32 v42, v39, s28
	v_mul_lo_u32 v43, v38, s29
	v_mad_u64_u32 v[38:39], s[20:21], v38, s28, 0
	v_add3_u32 v39, v39, v43, v42
	v_add_u32_e32 v42, 3, v48
	v_ashrrev_i32_e32 v43, 31, v42
	v_mul_lo_u32 v48, v43, s28
	v_mul_lo_u32 v49, v42, s29
	v_mad_u64_u32 v[42:43], s[20:21], v42, s28, 0
	s_add_u32 s20, s16, s62
	s_addc_u32 s21, s17, 0
	s_lshl_b64 s[20:21], s[20:21], 8
	v_lshl_add_u64 v[34:35], v[34:35], 2, s[42:43]
	v_lshl_add_u64 v[36:37], v[36:37], 2, s[42:43]
	v_add3_u32 v43, v43, v49, v48
	v_lshl_add_u64 v[48:49], v[66:67], 0, s[20:21]
	v_lshl_add_u64 v[38:39], v[38:39], 2, s[42:43]
	;; [unrolled: 1-line block ×3, first 2 shown]
	global_load_dword v50, v[34:35], off
	global_load_ushort v51, v[48:49], off offset:256
	global_load_ushort v52, v[48:49], off
	global_load_ushort v53, v[48:49], off offset:768
	global_load_ushort v54, v[48:49], off offset:512
	v_lshl_add_u64 v[34:35], v[42:43], 2, s[42:43]
	global_load_dword v55, v[36:37], off
	global_load_dword v56, v[38:39], off
	;; [unrolled: 1-line block ×3, first 2 shown]
	ds_read_b64 v[34:35], v97 offset:3072
	ds_read_b64 v[36:37], v98 offset:3072
	global_load_ushort v58, v[48:49], off offset:800
	global_load_ushort v59, v[48:49], off offset:544
	;; [unrolled: 1-line block ×3, first 2 shown]
	s_nop 0
	global_load_ushort v48, v[48:49], off offset:32
	s_load_dword s2, s[2:3], 0x0
	v_mfma_f32_16x16x16_bf16 a[4:7], v[44:45], v[40:41], a[4:7]
	s_and_b64 vcc, exec, s[0:1]
	v_mov_b32_e32 v49, 0
	s_waitcnt vmcnt(11) lgkmcnt(0)
	v_sub_f32_e32 v44, s2, v50
	v_mfma_f32_16x16x16_bf16 a[0:3], v[46:47], v[34:35], a[0:3]
	v_mul_f32_e32 v44, 0x3fb8aa3b, v44
	v_exp_f32_e32 v44, v44
	s_waitcnt vmcnt(6)
	v_sub_f32_e32 v45, s2, v55
	v_mfma_f32_16x16x16_bf16 a[4:7], v[46:47], v[36:37], a[4:7]
	s_waitcnt vmcnt(5)
	v_sub_f32_e32 v46, s2, v56
	s_waitcnt vmcnt(4)
	v_sub_f32_e32 v47, s2, v57
	v_mul_f32_e32 v45, 0x3fb8aa3b, v45
	v_mul_f32_e32 v46, 0x3fb8aa3b, v46
	;; [unrolled: 1-line block ×3, first 2 shown]
	v_exp_f32_e32 v45, v45
	v_exp_f32_e32 v46, v46
	;; [unrolled: 1-line block ×3, first 2 shown]
	v_accvgpr_read_b32 v39, a1
	v_accvgpr_read_b32 v35, a3
	;; [unrolled: 1-line block ×4, first 2 shown]
	v_lshlrev_b32_e32 v41, 16, v51
	v_lshlrev_b32_e32 v40, 16, v52
	;; [unrolled: 1-line block ×4, first 2 shown]
	v_pk_add_f32 v[38:39], v[40:41], v[38:39] neg_lo:[0,1] neg_hi:[0,1]
	v_pk_add_f32 v[34:35], v[42:43], v[34:35] neg_lo:[0,1] neg_hi:[0,1]
	v_pk_mul_f32 v[38:39], v[44:45], v[38:39]
	v_pk_mul_f32 v[34:35], v[46:47], v[34:35]
	v_accvgpr_read_b32 v41, a5
	v_perm_b32 v35, v35, v34, s37
	v_perm_b32 v34, v39, v38, s37
	s_waitcnt vmcnt(1)
	v_lshlrev_b32_e32 v39, 16, v60
	s_waitcnt vmcnt(0)
	v_lshlrev_b32_e32 v38, 16, v48
	v_accvgpr_read_b32 v40, a4
	v_accvgpr_read_b32 v37, a7
	;; [unrolled: 1-line block ×3, first 2 shown]
	v_pk_add_f32 v[38:39], v[38:39], v[40:41] neg_lo:[0,1] neg_hi:[0,1]
	v_lshlrev_b32_e32 v41, 16, v58
	v_lshlrev_b32_e32 v40, 16, v59
	v_pk_add_f32 v[36:37], v[40:41], v[36:37] neg_lo:[0,1] neg_hi:[0,1]
	v_pk_mul_f32 v[38:39], v[44:45], v[38:39]
	v_pk_mul_f32 v[36:37], v[46:47], v[36:37]
	v_mov_b32_e32 v40, 0
	v_perm_b32 v37, v37, v36, s37
	v_perm_b32 v36, v39, v38, s37
	ds_write2_b64 v84, v[34:35], v[36:37] offset1:16
	v_mov_b32_e32 v34, 0
	v_mov_b32_e32 v35, 0
	;; [unrolled: 1-line block ×14, first 2 shown]
	s_cbranch_vccnz .LBB476_40
; %bb.39:                               ;   in Loop: Header=BB476_32 Depth=1
	s_and_b32 s25, s25, 0xffff
	s_mov_b32 s27, s23
	buffer_load_dwordx4 v[46:49], v102, s[24:27], 0 offen
	buffer_load_dwordx4 v[38:41], v102, s[24:27], s60 offen
	;; [unrolled: 1-line block ×4, first 2 shown]
	v_mov_b32_e32 v116, v78
	v_mov_b32_e32 v117, v77
.LBB476_40:                             ;   in Loop: Header=BB476_32 Depth=1
	s_waitcnt lgkmcnt(0)
	s_barrier
	ds_read_b64 v[54:55], v104
	ds_read_b64 v[122:123], v101
	;; [unrolled: 1-line block ×5, first 2 shown]
	ds_read_b64 v[136:137], v98 offset:3072
	ds_read2_b64 v[50:53], v97 offset0:16 offset1:128
	s_waitcnt lgkmcnt(5)
	v_mfma_f32_16x16x16_bf16 a[0:3], v[54:55], v[122:123], 0
	ds_read2st64_b64 v[56:59], v98 offset0:2 offset1:4
	s_add_i32 s3, s55, s67
	s_mul_hi_i32 s21, s3, s13
	s_waitcnt lgkmcnt(1)
	v_mfma_f32_16x16x16_bf16 a[4:7], v[54:55], v[50:51], 0
	ds_read_b64 v[54:55], v109
	s_mul_i32 s3, s3, s13
	s_add_u32 s20, s3, s48
	s_waitcnt lgkmcnt(1)
	v_mfma_f32_16x16x16_bf16 a[4:7], v[124:125], v[56:57], a[4:7]
	s_addc_u32 s21, s21, s52
	s_add_i32 s3, s35, s62
	s_lshl_b64 s[20:21], s[20:21], 15
	s_mul_hi_i32 s25, s3, s13
	s_mul_i32 s3, s3, s13
	s_add_u32 s24, s3, s48
	v_mfma_f32_16x16x16_bf16 a[8:11], v[126:127], v[58:59], a[4:7]
	s_addc_u32 s25, s25, s52
	ds_read2st64_b64 v[118:121], v97 offset0:4 offset1:6
	s_lshl_b64 s[24:25], s[24:25], 9
	s_waitcnt lgkmcnt(1)
	v_mfma_f32_16x16x16_bf16 a[4:7], v[54:55], v[122:123], 0
	s_add_u32 s24, s40, s24
	s_addc_u32 s25, s41, s25
	v_mfma_f32_16x16x16_bf16 a[0:3], v[124:125], v[52:53], a[0:3]
	ds_read_b64 v[124:125], v110
	ds_read_b64 v[132:133], v111
	;; [unrolled: 1-line block ×3, first 2 shown]
	v_mfma_f32_16x16x16_bf16 a[12:15], v[54:55], v[50:51], 0
	s_waitcnt lgkmcnt(2)
	v_mfma_f32_16x16x16_bf16 a[4:7], v[124:125], v[52:53], a[4:7]
	global_load_dwordx4 v[50:53], v108, s[24:25]
	v_mfma_f32_16x16x16_bf16 a[12:15], v[124:125], v[56:57], a[12:15]
	global_load_dwordx4 v[54:57], v63, s[24:25]
	ds_read2st64_b64 v[122:125], v99 offset1:8
	s_waitcnt lgkmcnt(0)
	v_mov_b32_e32 v130, v122
	v_mfma_f32_16x16x16_bf16 a[0:3], v[126:127], v[118:119], a[0:3]
	ds_read2st64_b64 v[126:129], v100 offset1:8
	v_mov_b32_e32 v131, v123
	v_mfma_f32_16x16x16_bf16 a[16:19], v[132:133], v[118:119], a[4:7]
	v_lshl_add_u64 v[118:119], v[68:69], 0, s[20:21]
	v_mfma_f32_16x16x16_bf16 a[20:23], v[132:133], v[58:59], a[12:15]
	v_add_co_u32_e32 v58, vcc, s31, v118
	s_waitcnt lgkmcnt(0)
	v_mov_b32_e32 v132, v126
	v_mfma_f32_16x16x16_bf16 a[4:7], v[134:135], v[120:121], a[0:3]
	v_mov_b32_e32 v133, v127
	v_mov_b32_e32 v126, v124
	;; [unrolled: 1-line block ×3, first 2 shown]
	v_mfma_f32_16x16x16_bf16 a[8:11], v[134:135], v[136:137], a[8:11]
	v_addc_co_u32_e32 v59, vcc, 0, v119, vcc
	global_store_dwordx4 v[58:59], v[126:129], off
	v_mfma_f32_16x16x16_bf16 a[12:15], v[138:139], v[120:121], a[16:19]
	s_and_b64 vcc, exec, s[0:1]
	global_store_dwordx4 v[118:119], v[130:133], off
	s_waitcnt vmcnt(3)
	v_mov_b32_e32 v60, v53
	v_mfma_f32_16x16x16_bf16 a[0:3], v[138:139], v[136:137], a[20:23]
	v_mov_b32_e32 v59, v52
	v_mov_b32_e32 v58, v51
	s_cbranch_vccnz .LBB476_42
; %bb.41:                               ;   in Loop: Header=BB476_32 Depth=1
	v_lshrrev_b32_e32 v51, 3, v116
	v_and_b32_e32 v51, 6, v51
	v_xor_b32_e32 v52, v51, v117
	v_lshlrev_b32_e32 v52, 2, v52
	v_and_b32_e32 v53, 8, v116
	v_xor_b32_e32 v116, 0x440, v52
	v_cmp_eq_u32_e32 vcc, 0, v53
	v_perm_b32 v53, v38, v34, s63
	s_nop 0
	v_cndmask_b32_e32 v52, v116, v52, vcc
	v_lshl_or_b32 v51, v51, 10, v52
	v_perm_b32 v52, v46, v42, s63
	s_barrier
	ds_write2st64_b32 v51, v52, v53 offset0:32 offset1:64
	v_xor_b32_e32 v52, 8, v51
	v_perm_b32 v42, v46, v42, s64
	v_perm_b32 v34, v38, v34, s64
	v_add_u32_e32 v38, 0x80, v52
	ds_write2st64_b32 v38, v42, v34 offset0:32 offset1:64
	v_xor_b32_e32 v34, 16, v51
	v_perm_b32 v38, v47, v43, s63
	v_perm_b32 v42, v39, v35, s63
	ds_write2st64_b32 v34, v38, v42 offset0:33 offset1:65
	v_xor_b32_e32 v34, 24, v51
	v_perm_b32 v38, v47, v43, s64
	v_perm_b32 v35, v39, v35, s64
	v_add_u32_e32 v34, 0x80, v34
	ds_write2st64_b32 v34, v38, v35 offset0:33 offset1:65
	v_xor_b32_e32 v34, 32, v51
	v_perm_b32 v35, v48, v44, s63
	v_perm_b32 v38, v40, v36, s63
	ds_write2st64_b32 v34, v35, v38 offset0:34 offset1:66
	v_xor_b32_e32 v34, 40, v51
	v_perm_b32 v35, v48, v44, s64
	v_perm_b32 v36, v40, v36, s64
	v_add_u32_e32 v34, 0x80, v34
	ds_write2st64_b32 v34, v35, v36 offset0:34 offset1:66
	v_xor_b32_e32 v34, 48, v51
	v_perm_b32 v35, v49, v45, s63
	v_perm_b32 v36, v41, v37, s63
	ds_write2st64_b32 v34, v35, v36 offset0:35 offset1:67
	v_xor_b32_e32 v34, 56, v51
	v_perm_b32 v35, v49, v45, s64
	v_perm_b32 v36, v41, v37, s64
	v_add_u32_e32 v34, 0x80, v34
	ds_write2st64_b32 v34, v35, v36 offset0:35 offset1:67
	ds_write_b64 v115, v[30:31] offset:24576
	v_xor_b32_e32 v30, 8, v115
	ds_write_b64 v30, v[32:33] offset:24576
	ds_write_b64 v115, v[26:27] offset:32768
	;; [unrolled: 1-line block ×4, first 2 shown]
	v_xor_b32_e32 v22, 8, v114
	ds_write_b64 v22, v[24:25] offset:24576
	ds_write_b64 v114, v[18:19] offset:32768
	;; [unrolled: 1-line block ×3, first 2 shown]
.LBB476_42:                             ;   in Loop: Header=BB476_32 Depth=1
	v_mul_f32_e32 v22, s2, v113
	v_exp_f32_e32 v34, v22
	s_waitcnt vmcnt(2)
	v_mul_f32_e32 v22, 0x3fb8aa3b, v54
	v_exp_f32_e32 v36, v22
	v_mul_f32_e32 v22, 0x3fb8aa3b, v55
	v_exp_f32_e32 v37, v22
	;; [unrolled: 2-line block ×4, first 2 shown]
	v_accvgpr_read_b32 v29, a7
	v_accvgpr_read_b32 v27, a5
	;; [unrolled: 1-line block ×4, first 2 shown]
	v_pk_mul_f32 v[36:37], v[34:35], v[36:37] op_sel_hi:[0,1]
	v_accvgpr_read_b32 v20, a10
	v_pk_fma_f32 v[14:15], v[14:15], v[36:37], v[26:27]
	v_pk_mul_f32 v[26:27], v[34:35], v[38:39] op_sel_hi:[0,1]
	v_accvgpr_read_b32 v28, a6
	v_accvgpr_read_b32 v19, a9
	;; [unrolled: 1-line block ×3, first 2 shown]
	v_fma_f32 v8, v8, v26, v20
	v_mul_f32_e32 v20, 0x3fb8aa3b, v59
	v_pk_fma_f32 v[16:17], v[16:17], v[26:27], v[28:29]
	v_fma_f32 v6, v6, v36, v18
	v_fma_f32 v7, v7, v37, v19
	v_mul_f32_e32 v18, 0x3fb8aa3b, v50
	v_mul_f32_e32 v19, 0x3fb8aa3b, v58
	v_exp_f32_e32 v28, v20
	v_mul_f32_e32 v20, 0x3fb8aa3b, v60
	v_exp_f32_e32 v18, v18
	v_exp_f32_e32 v19, v19
	;; [unrolled: 1-line block ×3, first 2 shown]
	v_accvgpr_read_b32 v33, a15
	v_accvgpr_read_b32 v25, a3
	;; [unrolled: 1-line block ×8, first 2 shown]
	v_fmac_f32_e32 v21, v9, v27
	v_pk_mul_f32 v[18:19], v[34:35], v[18:19] op_sel_hi:[0,1]
	v_pk_mul_f32 v[26:27], v[34:35], v[28:29] op_sel_hi:[0,1]
	s_add_i32 s62, s62, 64
	v_pk_fma_f32 v[10:11], v[10:11], v[18:19], v[30:31]
	v_pk_fma_f32 v[12:13], v[12:13], v[26:27], v[32:33]
	v_fma_f32 v2, v2, v18, v22
	v_fma_f32 v3, v3, v19, v23
	;; [unrolled: 1-line block ×3, first 2 shown]
	s_cmp_eq_u32 s51, s66
	v_fmac_f32_e32 v25, v5, v27
	s_cbranch_scc1 .LBB476_4
; %bb.43:                               ;   in Loop: Header=BB476_32 Depth=1
	s_mov_b32 s67, s66
	v_mov_b32_e32 v9, v21
	v_mov_b32_e32 v5, v25
	s_branch .LBB476_32
.LBB476_44:
                                        ; implicit-def: $vgpr5
                                        ; implicit-def: $vgpr9
                                        ; implicit-def: $vgpr13
                                        ; implicit-def: $vgpr17
	s_cbranch_execz .LBB476_46
; %bb.45:
	s_waitcnt vmcnt(0)
	v_mad_u64_u32 v[2:3], s[0:1], v20, s15, v[18:19]
	v_lshlrev_b32_e32 v20, 1, v2
	s_lshl_b32 s2, s15, 7
	s_and_b32 s1, s5, 0xffff
	s_mov_b32 s3, 0x20000
	s_mov_b32 s0, s4
	v_add_lshl_u32 v21, v2, s15, 1
	s_movk_i32 s13, 0x80
	buffer_load_dwordx4 v[2:5], v20, s[0:3], 0 offen
	buffer_load_dwordx4 v[10:13], v20, s[0:3], s13 offen
	;; [unrolled: 1-line block ×4, first 2 shown]
.LBB476_46:
	v_lshrrev_b32_e32 v30, 2, v61
	s_cbranch_execnz .LBB476_59
.LBB476_47:
	s_and_b64 vcc, exec, s[6:7]
	s_cbranch_vccz .LBB476_57
; %bb.48:
	s_waitcnt vmcnt(0)
	v_lshlrev_b32_e32 v7, 1, v23
	v_cmp_gt_i32_e32 vcc, s27, v7
	v_mov_b32_e32 v6, 0
	v_lshlrev_b32_e32 v14, 9, v23
	v_mov_b32_e32 v2, 0
	v_mov_b32_e32 v3, 0
	;; [unrolled: 1-line block ×4, first 2 shown]
	s_and_saveexec_b64 s[0:1], vcc
	s_cbranch_execz .LBB476_50
; %bb.49:
	v_mov_b32_e32 v15, 0
	v_lshl_add_u64 v[2:3], s[4:5], 0, v[14:15]
	v_lshlrev_b32_e32 v4, 1, v18
	v_mov_b32_e32 v5, v15
	v_lshl_add_u64 v[2:3], v[2:3], 0, v[4:5]
	global_load_dwordx4 v[2:5], v[2:3], off
.LBB476_50:
	s_or_b64 exec, exec, s[0:1]
	v_or_b32_e32 v7, 1, v7
	v_cmp_gt_i32_e64 s[0:1], s27, v7
	v_lshlrev_b32_e32 v20, 8, v7
	v_mov_b32_e32 v7, 0
	v_mov_b32_e32 v8, 0
	;; [unrolled: 1-line block ×3, first 2 shown]
	s_and_saveexec_b64 s[2:3], s[0:1]
	s_cbranch_execz .LBB476_52
; %bb.51:
	v_mov_b32_e32 v21, 0
	v_lshl_add_u64 v[6:7], s[4:5], 0, v[20:21]
	v_lshlrev_b32_e32 v8, 1, v18
	v_mov_b32_e32 v9, v21
	v_lshl_add_u64 v[6:7], v[6:7], 0, v[8:9]
	global_load_dwordx4 v[6:9], v[6:7], off
.LBB476_52:
	s_or_b64 exec, exec, s[2:3]
	v_mov_b32_e32 v17, 0
	v_mov_b32_e32 v10, 0
	;; [unrolled: 1-line block ×5, first 2 shown]
	s_and_saveexec_b64 s[2:3], vcc
	s_cbranch_execz .LBB476_54
; %bb.53:
	v_mov_b32_e32 v15, 0
	v_lshl_add_u64 v[10:11], s[4:5], 0, v[14:15]
	v_lshlrev_b32_e32 v14, 1, v18
	v_lshl_add_u64 v[10:11], v[10:11], 0, v[14:15]
	global_load_dwordx4 v[10:13], v[10:11], off offset:128
.LBB476_54:
	s_or_b64 exec, exec, s[2:3]
	v_mov_b32_e32 v16, 0
	v_mov_b32_e32 v15, 0
	;; [unrolled: 1-line block ×3, first 2 shown]
	s_and_saveexec_b64 s[2:3], s[0:1]
	s_cbranch_execz .LBB476_56
; %bb.55:
	v_mov_b32_e32 v21, 0
	v_lshl_add_u64 v[14:15], s[4:5], 0, v[20:21]
	v_lshlrev_b32_e32 v20, 1, v18
	v_lshl_add_u64 v[14:15], v[14:15], 0, v[20:21]
	global_load_dwordx4 v[14:17], v[14:15], off offset:128
.LBB476_56:
	s_or_b64 exec, exec, s[2:3]
	s_branch .LBB476_59
.LBB476_57:
                                        ; implicit-def: $vgpr5
                                        ; implicit-def: $vgpr9
                                        ; implicit-def: $vgpr13
                                        ; implicit-def: $vgpr17
	s_cbranch_execz .LBB476_59
; %bb.58:
	s_waitcnt vmcnt(0)
	v_lshlrev_b32_e32 v2, 1, v18
	v_lshl_or_b32 v18, v23, 9, v2
	s_and_b32 s5, s5, 0xffff
	s_mov_b32 s7, 0x20000
	s_movk_i32 s6, 0x4000
	s_movk_i32 s0, 0x80
	buffer_load_dwordx4 v[2:5], v18, s[4:7], 0 offen
	buffer_load_dwordx4 v[6:9], v18, s[4:7], 0 offen offset:256
	buffer_load_dwordx4 v[10:13], v18, s[4:7], s0 offen
	buffer_load_dwordx4 v[14:17], v18, s[4:7], s0 offen offset:256
.LBB476_59:
	ds_read_b64 v[20:21], v25 offset:32768
	v_add_u32_e32 v18, 0xb000, v24
	ds_read2_b64 v[32:35], v18 offset1:16
	ds_read_b64 v[40:41], v26 offset:32768
	ds_read_b64 v[26:27], v27 offset:32768
	;; [unrolled: 1-line block ×3, first 2 shown]
	v_and_b32_e32 v18, 6, v0
	v_xor_b32_e32 v23, v23, v18
	v_lshlrev_b32_e32 v23, 2, v23
	v_and_b32_e32 v0, 1, v0
	v_xor_b32_e32 v28, 0x440, v23
	v_cmp_eq_u32_e32 vcc, 0, v0
	s_waitcnt lgkmcnt(3)
	v_mfma_f32_16x16x16_bf16 a[0:3], v[20:21], v[32:33], a[0:3]
	s_mov_b32 s0, 0x1000504
	v_cndmask_b32_e32 v0, v28, v23, vcc
	v_lshl_or_b32 v0, v18, 10, v0
	v_mfma_f32_16x16x16_bf16 a[4:7], v[20:21], v[34:35], a[4:7]
	ds_read2st64_b64 v[32:35], v24 offset0:90 offset1:92
	ds_read2st64_b64 v[36:39], v29 offset0:90 offset1:92
	ds_read_b64 v[20:21], v24 offset:48128
	ds_read_b64 v[24:25], v29 offset:48128
	s_waitcnt vmcnt(0)
	v_perm_b32 v18, v2, v6, s0
	s_waitcnt lgkmcnt(3)
	v_mfma_f32_16x16x16_bf16 a[0:3], v[40:41], v[32:33], a[0:3]
	s_mov_b32 s1, 0x3020706
	v_perm_b32 v2, v2, v6, s1
	v_perm_b32 v6, v10, v14, s1
	s_waitcnt lgkmcnt(2)
	v_mfma_f32_16x16x16_bf16 a[4:7], v[40:41], v[36:37], a[4:7]
	v_mfma_f32_16x16x16_bf16 a[0:3], v[26:27], v[34:35], a[0:3]
	;; [unrolled: 1-line block ×3, first 2 shown]
	s_waitcnt lgkmcnt(1)
	v_mfma_f32_16x16x16_bf16 a[4:7], v[42:43], v[20:21], a[0:3]
	v_perm_b32 v20, v10, v14, s0
	ds_write2st64_b32 v0, v18, v20 offset0:32 offset1:64
	v_xor_b32_e32 v18, 8, v0
	v_add_u32_e32 v10, 0x80, v18
	ds_write2st64_b32 v10, v2, v6 offset0:32 offset1:64
	v_xor_b32_e32 v2, 16, v0
	v_perm_b32 v6, v3, v7, s0
	v_perm_b32 v10, v11, v15, s0
	ds_write2st64_b32 v2, v6, v10 offset0:33 offset1:65
	v_xor_b32_e32 v2, 24, v0
	v_perm_b32 v3, v3, v7, s1
	v_perm_b32 v6, v11, v15, s1
	v_add_u32_e32 v2, 0x80, v2
	ds_write2st64_b32 v2, v3, v6 offset0:33 offset1:65
	v_xor_b32_e32 v2, 32, v0
	v_perm_b32 v3, v4, v8, s0
	v_perm_b32 v6, v12, v16, s0
	ds_write2st64_b32 v2, v3, v6 offset0:34 offset1:66
	v_xor_b32_e32 v2, 40, v0
	s_waitcnt lgkmcnt(5)
	v_mfma_f32_16x16x16_bf16 a[0:3], v[42:43], v[24:25], a[8:11]
	v_perm_b32 v3, v4, v8, s1
	v_perm_b32 v4, v12, v16, s1
	v_add_u32_e32 v2, 0x80, v2
	ds_write2st64_b32 v2, v3, v4 offset0:34 offset1:66
	v_xor_b32_e32 v2, 48, v0
	v_perm_b32 v3, v5, v9, s0
	v_perm_b32 v4, v13, v17, s0
	ds_write2st64_b32 v2, v3, v4 offset0:35 offset1:67
	v_xor_b32_e32 v0, 56, v0
	v_perm_b32 v3, v13, v17, s1
	v_and_or_b32 v17, v30, 12, v1
	v_perm_b32 v2, v5, v9, s1
	v_add_u32_e32 v0, 0x80, v0
	v_cmp_gt_i32_e32 vcc, s27, v17
	v_mov_b32_e32 v14, 0
	v_mov_b32_e32 v16, 0
	ds_write2st64_b32 v0, v2, v3 offset0:35 offset1:67
	s_and_saveexec_b64 s[0:1], vcc
	s_cbranch_execz .LBB476_61
; %bb.60:
	v_add_u32_e32 v0, s26, v17
	v_ashrrev_i32_e32 v1, 31, v0
	v_mul_lo_u32 v2, v1, s28
	v_mul_lo_u32 v3, v0, s29
	v_mad_u64_u32 v[0:1], s[2:3], v0, s28, 0
	v_add3_u32 v1, v1, v3, v2
	v_lshl_add_u64 v[0:1], v[0:1], 2, s[10:11]
	global_load_dword v0, v[0:1], off
	s_waitcnt vmcnt(0)
	v_sub_f32_e32 v0, s12, v0
	v_mul_f32_e32 v0, 0x3fb8aa3b, v0
	v_exp_f32_e32 v16, v0
.LBB476_61:
	s_or_b64 exec, exec, s[0:1]
	v_or_b32_e32 v8, 1, v17
	v_cmp_gt_i32_e64 s[0:1], s27, v8
	s_and_saveexec_b64 s[2:3], s[0:1]
	s_cbranch_execz .LBB476_63
; %bb.62:
	v_add_u32_e32 v0, s26, v8
	v_ashrrev_i32_e32 v1, 31, v0
	v_mul_lo_u32 v2, v1, s28
	v_mul_lo_u32 v3, v0, s29
	v_mad_u64_u32 v[0:1], s[4:5], v0, s28, 0
	v_add3_u32 v1, v1, v3, v2
	v_lshl_add_u64 v[0:1], v[0:1], 2, s[10:11]
	global_load_dword v0, v[0:1], off
	s_waitcnt vmcnt(0)
	v_sub_f32_e32 v0, s12, v0
	v_mul_f32_e32 v0, 0x3fb8aa3b, v0
	v_exp_f32_e32 v14, v0
.LBB476_63:
	s_or_b64 exec, exec, s[2:3]
	v_or_b32_e32 v10, 2, v17
	v_cmp_gt_i32_e64 s[2:3], s27, v10
	v_mov_b32_e32 v15, 0
	v_mov_b32_e32 v18, 0
	s_and_saveexec_b64 s[4:5], s[2:3]
	s_cbranch_execz .LBB476_65
; %bb.64:
	v_add_u32_e32 v0, s26, v10
	v_ashrrev_i32_e32 v1, 31, v0
	v_mul_lo_u32 v2, v1, s28
	v_mul_lo_u32 v3, v0, s29
	v_mad_u64_u32 v[0:1], s[6:7], v0, s28, 0
	v_add3_u32 v1, v1, v3, v2
	v_lshl_add_u64 v[0:1], v[0:1], 2, s[10:11]
	global_load_dword v0, v[0:1], off
	s_waitcnt vmcnt(0)
	v_sub_f32_e32 v0, s12, v0
	v_mul_f32_e32 v0, 0x3fb8aa3b, v0
	v_exp_f32_e32 v18, v0
.LBB476_65:
	s_or_b64 exec, exec, s[4:5]
	v_or_b32_e32 v12, 3, v17
	v_cmp_gt_i32_e64 s[4:5], s27, v12
	s_and_saveexec_b64 s[6:7], s[4:5]
	s_cbranch_execz .LBB476_67
; %bb.66:
	v_add_u32_e32 v0, s26, v12
	v_ashrrev_i32_e32 v1, 31, v0
	v_mul_lo_u32 v2, v1, s28
	v_mul_lo_u32 v3, v0, s29
	v_mad_u64_u32 v[0:1], s[14:15], v0, s28, 0
	v_add3_u32 v1, v1, v3, v2
	v_lshl_add_u64 v[0:1], v[0:1], 2, s[10:11]
	global_load_dword v0, v[0:1], off
	s_waitcnt vmcnt(0)
	v_sub_f32_e32 v0, s12, v0
	v_mul_f32_e32 v0, 0x3fb8aa3b, v0
	v_exp_f32_e32 v15, v0
.LBB476_67:
	s_or_b64 exec, exec, s[6:7]
	s_add_u32 s6, s8, s20
	v_accvgpr_read_b32 v0, a4
	s_addc_u32 s7, s9, s21
	v_ashrrev_i32_e32 v63, 31, v62
	v_accvgpr_read_b32 v1, a5
	v_accvgpr_read_b32 v2, a6
	;; [unrolled: 1-line block ×3, first 2 shown]
	v_lshl_add_u64 v[4:5], v[62:63], 1, s[6:7]
	v_mov_b32_e32 v9, 0
	v_lshlrev_b32_e32 v6, 8, v17
	v_mov_b32_e32 v7, 0
	s_and_saveexec_b64 s[6:7], vcc
	s_cbranch_execz .LBB476_69
; %bb.68:
	v_mov_b32_e32 v7, 0
	v_lshl_add_u64 v[20:21], v[4:5], 0, v[6:7]
	global_load_ushort v7, v[20:21], off
	s_waitcnt vmcnt(0)
	v_lshlrev_b32_e32 v7, 16, v7
	v_sub_f32_e32 v0, v7, v0
	v_mul_f32_e32 v0, v16, v0
	v_lshrrev_b32_e32 v7, 16, v0
.LBB476_69:
	s_or_b64 exec, exec, s[6:7]
	v_lshlrev_b32_e32 v8, 8, v8
	s_and_saveexec_b64 s[6:7], s[0:1]
	s_cbranch_execz .LBB476_71
; %bb.70:
	v_mov_b32_e32 v9, 0
	v_lshl_add_u64 v[20:21], v[4:5], 0, v[8:9]
	global_load_ushort v0, v[20:21], off
	s_waitcnt vmcnt(0)
	v_lshlrev_b32_e32 v0, 16, v0
	v_sub_f32_e32 v0, v0, v1
	v_mul_f32_e32 v0, v14, v0
	v_lshrrev_b32_e32 v9, 16, v0
.LBB476_71:
	s_or_b64 exec, exec, s[6:7]
	v_mov_b32_e32 v13, 0
	v_lshlrev_b32_e32 v10, 8, v10
	v_mov_b32_e32 v11, 0
	s_and_saveexec_b64 s[6:7], s[2:3]
	s_cbranch_execz .LBB476_73
; %bb.72:
	v_mov_b32_e32 v11, 0
	v_lshl_add_u64 v[0:1], v[4:5], 0, v[10:11]
	global_load_ushort v0, v[0:1], off
	s_waitcnt vmcnt(0)
	v_lshlrev_b32_e32 v0, 16, v0
	v_sub_f32_e32 v0, v0, v2
	v_mul_f32_e32 v0, v18, v0
	v_lshrrev_b32_e32 v11, 16, v0
.LBB476_73:
	s_or_b64 exec, exec, s[6:7]
	v_lshlrev_b32_e32 v12, 8, v12
	s_and_saveexec_b64 s[6:7], s[4:5]
	s_cbranch_execz .LBB476_75
; %bb.74:
	v_mov_b32_e32 v13, 0
	v_lshl_add_u64 v[0:1], v[4:5], 0, v[12:13]
	global_load_ushort v0, v[0:1], off
	s_waitcnt vmcnt(0)
	v_lshlrev_b32_e32 v0, 16, v0
	v_sub_f32_e32 v0, v0, v3
	v_mul_f32_e32 v0, v15, v0
	v_lshrrev_b32_e32 v13, 16, v0
.LBB476_75:
	s_or_b64 exec, exec, s[6:7]
	v_lshlrev_b32_e32 v17, 5, v17
	s_mov_b32 s6, 0x5040100
	v_perm_b32 v20, v9, v7, s6
	v_or_b32_e32 v7, v17, v22
	v_accvgpr_read_b32 v0, a0
	v_perm_b32 v21, v13, v11, s6
	v_lshlrev_b32_e32 v7, 1, v7
	v_accvgpr_read_b32 v1, a1
	v_accvgpr_read_b32 v2, a2
	;; [unrolled: 1-line block ×3, first 2 shown]
	ds_write_b64 v7, v[20:21] offset:45056
	v_mov_b32_e32 v9, 0
	v_mov_b32_e32 v7, 0
	s_and_saveexec_b64 s[6:7], vcc
	s_cbranch_execz .LBB476_77
; %bb.76:
	v_mov_b32_e32 v7, 0
	v_lshl_add_u64 v[6:7], v[4:5], 0, v[6:7]
	global_load_ushort v6, v[6:7], off offset:32
	s_waitcnt vmcnt(0)
	v_lshlrev_b32_e32 v6, 16, v6
	v_sub_f32_e32 v0, v6, v0
	v_mul_f32_e32 v0, v16, v0
	v_lshrrev_b32_e32 v7, 16, v0
.LBB476_77:
	s_or_b64 exec, exec, s[6:7]
	s_and_saveexec_b64 s[6:7], s[0:1]
	s_cbranch_execz .LBB476_79
; %bb.78:
	v_mov_b32_e32 v9, 0
	v_lshl_add_u64 v[8:9], v[4:5], 0, v[8:9]
	global_load_ushort v0, v[8:9], off offset:32
	s_waitcnt vmcnt(0)
	v_lshlrev_b32_e32 v0, 16, v0
	v_sub_f32_e32 v0, v0, v1
	v_mul_f32_e32 v0, v14, v0
	v_lshrrev_b32_e32 v9, 16, v0
.LBB476_79:
	s_or_b64 exec, exec, s[6:7]
	v_mov_b32_e32 v0, 0
	v_mov_b32_e32 v1, 0
	s_and_saveexec_b64 s[0:1], s[2:3]
	s_cbranch_execz .LBB476_81
; %bb.80:
	v_mov_b32_e32 v11, 0
	v_lshl_add_u64 v[10:11], v[4:5], 0, v[10:11]
	global_load_ushort v1, v[10:11], off offset:32
	s_waitcnt vmcnt(0)
	v_lshlrev_b32_e32 v1, 16, v1
	v_sub_f32_e32 v1, v1, v2
	v_mul_f32_e32 v1, v18, v1
	v_lshrrev_b32_e32 v1, 16, v1
.LBB476_81:
	s_or_b64 exec, exec, s[0:1]
	s_and_saveexec_b64 s[0:1], s[4:5]
	s_cbranch_execz .LBB476_83
; %bb.82:
	v_mov_b32_e32 v13, 0
	v_lshl_add_u64 v[4:5], v[4:5], 0, v[12:13]
	global_load_ushort v0, v[4:5], off offset:32
	s_waitcnt vmcnt(0)
	v_lshlrev_b32_e32 v0, 16, v0
	v_sub_f32_e32 v0, v0, v3
	v_mul_f32_e32 v0, v15, v0
	v_lshrrev_b32_e32 v0, 16, v0
.LBB476_83:
	s_or_b64 exec, exec, s[0:1]
	s_mov_b32 s0, 0x5040100
	v_or_b32_e32 v2, v17, v19
	v_perm_b32 v1, v0, v1, s0
	v_perm_b32 v0, v9, v7, s0
	v_lshlrev_b32_e32 v2, 1, v2
	ds_write_b64 v2, v[0:1] offset:45056
	s_waitcnt lgkmcnt(0)
	s_barrier
.LBB476_84:
	s_endpgm
	.section	.rodata,"a",@progbits
	.p2align	6, 0x0
	.amdhsa_kernel _ZN12_GLOBAL__N_139chunk_gated_delta_rule_fwd_h_hip_kernelILi32ELb1ELb0ELb0ELb0ELb0ELb1ELb0ELb0EEEvPK12hip_bfloat16S3_S3_PKfS5_PKvPS1_S8_PvPKiSB_iiiiilll
		.amdhsa_group_segment_fixed_size 49152
		.amdhsa_private_segment_fixed_size 0
		.amdhsa_kernarg_size 136
		.amdhsa_user_sgpr_count 2
		.amdhsa_user_sgpr_dispatch_ptr 0
		.amdhsa_user_sgpr_queue_ptr 0
		.amdhsa_user_sgpr_kernarg_segment_ptr 1
		.amdhsa_user_sgpr_dispatch_id 0
		.amdhsa_user_sgpr_kernarg_preload_length 0
		.amdhsa_user_sgpr_kernarg_preload_offset 0
		.amdhsa_user_sgpr_private_segment_size 0
		.amdhsa_uses_dynamic_stack 0
		.amdhsa_enable_private_segment 0
		.amdhsa_system_sgpr_workgroup_id_x 1
		.amdhsa_system_sgpr_workgroup_id_y 1
		.amdhsa_system_sgpr_workgroup_id_z 0
		.amdhsa_system_sgpr_workgroup_info 0
		.amdhsa_system_vgpr_workitem_id 0
		.amdhsa_next_free_vgpr 164
		.amdhsa_next_free_sgpr 68
		.amdhsa_accum_offset 140
		.amdhsa_reserve_vcc 1
		.amdhsa_float_round_mode_32 0
		.amdhsa_float_round_mode_16_64 0
		.amdhsa_float_denorm_mode_32 3
		.amdhsa_float_denorm_mode_16_64 3
		.amdhsa_dx10_clamp 1
		.amdhsa_ieee_mode 1
		.amdhsa_fp16_overflow 0
		.amdhsa_tg_split 0
		.amdhsa_exception_fp_ieee_invalid_op 0
		.amdhsa_exception_fp_denorm_src 0
		.amdhsa_exception_fp_ieee_div_zero 0
		.amdhsa_exception_fp_ieee_overflow 0
		.amdhsa_exception_fp_ieee_underflow 0
		.amdhsa_exception_fp_ieee_inexact 0
		.amdhsa_exception_int_div_zero 0
	.end_amdhsa_kernel
	.section	.text._ZN12_GLOBAL__N_139chunk_gated_delta_rule_fwd_h_hip_kernelILi32ELb1ELb0ELb0ELb0ELb0ELb1ELb0ELb0EEEvPK12hip_bfloat16S3_S3_PKfS5_PKvPS1_S8_PvPKiSB_iiiiilll,"axG",@progbits,_ZN12_GLOBAL__N_139chunk_gated_delta_rule_fwd_h_hip_kernelILi32ELb1ELb0ELb0ELb0ELb0ELb1ELb0ELb0EEEvPK12hip_bfloat16S3_S3_PKfS5_PKvPS1_S8_PvPKiSB_iiiiilll,comdat
.Lfunc_end476:
	.size	_ZN12_GLOBAL__N_139chunk_gated_delta_rule_fwd_h_hip_kernelILi32ELb1ELb0ELb0ELb0ELb0ELb1ELb0ELb0EEEvPK12hip_bfloat16S3_S3_PKfS5_PKvPS1_S8_PvPKiSB_iiiiilll, .Lfunc_end476-_ZN12_GLOBAL__N_139chunk_gated_delta_rule_fwd_h_hip_kernelILi32ELb1ELb0ELb0ELb0ELb0ELb1ELb0ELb0EEEvPK12hip_bfloat16S3_S3_PKfS5_PKvPS1_S8_PvPKiSB_iiiiilll
                                        ; -- End function
	.section	.AMDGPU.csdata,"",@progbits
; Kernel info:
; codeLenInByte = 8668
; NumSgprs: 74
; NumVgprs: 140
; NumAgprs: 24
; TotalNumVgprs: 164
; ScratchSize: 0
; MemoryBound: 0
; FloatMode: 240
; IeeeMode: 1
; LDSByteSize: 49152 bytes/workgroup (compile time only)
; SGPRBlocks: 9
; VGPRBlocks: 20
; NumSGPRsForWavesPerEU: 74
; NumVGPRsForWavesPerEU: 164
; AccumOffset: 140
; Occupancy: 1
; WaveLimiterHint : 1
; COMPUTE_PGM_RSRC2:SCRATCH_EN: 0
; COMPUTE_PGM_RSRC2:USER_SGPR: 2
; COMPUTE_PGM_RSRC2:TRAP_HANDLER: 0
; COMPUTE_PGM_RSRC2:TGID_X_EN: 1
; COMPUTE_PGM_RSRC2:TGID_Y_EN: 1
; COMPUTE_PGM_RSRC2:TGID_Z_EN: 0
; COMPUTE_PGM_RSRC2:TIDIG_COMP_CNT: 0
; COMPUTE_PGM_RSRC3_GFX90A:ACCUM_OFFSET: 34
; COMPUTE_PGM_RSRC3_GFX90A:TG_SPLIT: 0
	.section	.text._ZN12_GLOBAL__N_139chunk_gated_delta_rule_fwd_h_hip_kernelILi32ELb0ELb1ELb1ELb0ELb0ELb1ELb0ELb0EEEvPK12hip_bfloat16S3_S3_PKfS5_PKvPS1_S8_PvPKiSB_iiiiilll,"axG",@progbits,_ZN12_GLOBAL__N_139chunk_gated_delta_rule_fwd_h_hip_kernelILi32ELb0ELb1ELb1ELb0ELb0ELb1ELb0ELb0EEEvPK12hip_bfloat16S3_S3_PKfS5_PKvPS1_S8_PvPKiSB_iiiiilll,comdat
	.globl	_ZN12_GLOBAL__N_139chunk_gated_delta_rule_fwd_h_hip_kernelILi32ELb0ELb1ELb1ELb0ELb0ELb1ELb0ELb0EEEvPK12hip_bfloat16S3_S3_PKfS5_PKvPS1_S8_PvPKiSB_iiiiilll ; -- Begin function _ZN12_GLOBAL__N_139chunk_gated_delta_rule_fwd_h_hip_kernelILi32ELb0ELb1ELb1ELb0ELb0ELb1ELb0ELb0EEEvPK12hip_bfloat16S3_S3_PKfS5_PKvPS1_S8_PvPKiSB_iiiiilll
	.p2align	8
	.type	_ZN12_GLOBAL__N_139chunk_gated_delta_rule_fwd_h_hip_kernelILi32ELb0ELb1ELb1ELb0ELb0ELb1ELb0ELb0EEEvPK12hip_bfloat16S3_S3_PKfS5_PKvPS1_S8_PvPKiSB_iiiiilll,@function
_ZN12_GLOBAL__N_139chunk_gated_delta_rule_fwd_h_hip_kernelILi32ELb0ELb1ELb1ELb0ELb0ELb1ELb0ELb0EEEvPK12hip_bfloat16S3_S3_PKfS5_PKvPS1_S8_PvPKiSB_iiiiilll: ; @_ZN12_GLOBAL__N_139chunk_gated_delta_rule_fwd_h_hip_kernelILi32ELb0ELb1ELb1ELb0ELb0ELb1ELb0ELb0EEEvPK12hip_bfloat16S3_S3_PKfS5_PKvPS1_S8_PvPKiSB_iiiiilll
; %bb.0:
	s_load_dwordx4 s[12:15], s[0:1], 0x5c
	s_load_dwordx2 s[34:35], s[0:1], 0x40
	s_abs_i32 s22, s3
	s_ashr_i32 s21, s3, 31
	s_load_dwordx8 s[4:11], s[0:1], 0x0
	s_load_dwordx2 s[36:37], s[0:1], 0x20
	s_load_dwordx4 s[16:19], s[0:1], 0x30
	s_waitcnt lgkmcnt(0)
	s_abs_i32 s20, s13
	v_cvt_f32_u32_e32 v1, s20
	s_sub_i32 s24, 0, s20
	s_ashr_i32 s23, s13, 31
	s_xor_b32 s21, s21, s23
	v_rcp_iflag_f32_e32 v1, v1
	v_lshrrev_b32_e32 v53, 6, v0
	v_bfe_u32 v64, v0, 4, 2
	v_lshlrev_b32_e32 v62, 4, v53
	v_mul_f32_e32 v1, 0x4f7ffffe, v1
	v_cvt_u32_f32_e32 v1, v1
	v_lshlrev_b32_e32 v18, 2, v64
	v_and_b32_e32 v63, 63, v0
	v_mov_b32_e32 v17, 0
	v_readfirstlane_b32 s25, v1
	s_mul_i32 s24, s24, s25
	s_mul_hi_u32 s24, s25, s24
	s_add_i32 s25, s25, s24
	s_mul_hi_u32 s24, s22, s25
	s_mul_i32 s25, s24, s20
	s_sub_i32 s22, s22, s25
	s_add_i32 s25, s24, 1
	s_sub_i32 s26, s22, s20
	s_cmp_ge_u32 s22, s20
	s_cselect_b32 s24, s25, s24
	s_cselect_b32 s22, s26, s22
	s_add_i32 s25, s24, 1
	s_cmp_ge_u32 s22, s20
	s_cselect_b32 s22, s25, s24
	s_xor_b32 s22, s22, s21
	s_sub_i32 s52, s22, s21
	s_abs_i32 s21, s14
	v_cvt_f32_u32_e32 v1, s21
	s_ashr_i32 s51, s12, 31
	s_lshr_b32 s22, s51, 26
	s_add_i32 s22, s12, s22
	v_rcp_iflag_f32_e32 v1, v1
	s_ashr_i32 s54, s14, 31
	s_ashr_i32 s53, s22, 6
	s_xor_b32 s22, s23, s54
	v_mul_f32_e32 v1, 0x4f7ffffe, v1
	v_cvt_u32_f32_e32 v1, v1
	s_sub_i32 s23, 0, s21
	s_mul_i32 s50, s52, s13
	s_sub_i32 s33, s3, s50
	v_readfirstlane_b32 s24, v1
	s_mul_i32 s23, s23, s24
	s_mul_hi_u32 s23, s24, s23
	s_add_i32 s24, s24, s23
	s_mul_hi_u32 s23, s20, s24
	s_mul_i32 s24, s23, s21
	s_sub_i32 s20, s20, s24
	s_add_i32 s3, s12, 63
	s_add_i32 s24, s23, 1
	s_sub_i32 s25, s20, s21
	s_cmp_ge_u32 s20, s21
	s_cselect_b32 s23, s24, s23
	s_cselect_b32 s20, s25, s20
	s_add_i32 s24, s23, 1
	s_cmp_ge_u32 s20, s21
	s_cselect_b32 s20, s24, s23
	s_xor_b32 s20, s20, s22
	s_sub_i32 s24, s20, s22
	s_abs_i32 s25, s24
	v_cvt_f32_u32_e32 v1, s25
	s_load_dwordx2 s[38:39], s[0:1], 0x80
	s_load_dwordx4 s[20:23], s[0:1], 0x70
	s_xor_b32 s0, s33, s24
	s_sub_i32 s24, 0, s25
	v_rcp_iflag_f32_e32 v1, v1
	s_abs_i32 s1, s33
	s_ashr_i32 s0, s0, 31
	s_mul_i32 s48, s52, s12
	v_mul_f32_e32 v1, 0x4f7ffffe, v1
	v_cvt_u32_f32_e32 v1, v1
	v_and_b32_e32 v65, 15, v0
	s_mul_hi_i32 s56, s52, s13
	v_lshrrev_b32_e32 v67, 3, v63
	v_readfirstlane_b32 s26, v1
	s_mul_i32 s24, s24, s26
	s_mul_hi_u32 s24, s26, s24
	s_add_i32 s26, s26, s24
	s_mul_hi_u32 s24, s1, s26
	s_mul_i32 s26, s24, s25
	s_sub_i32 s1, s1, s26
	s_add_i32 s26, s24, 1
	s_sub_i32 s27, s1, s25
	s_cmp_ge_u32 s1, s25
	s_cselect_b32 s24, s26, s24
	s_cselect_b32 s1, s27, s1
	s_add_i32 s26, s24, 1
	s_cmp_ge_u32 s1, s25
	s_cselect_b32 s1, s26, s24
	s_xor_b32 s1, s1, s0
	s_sub_i32 s57, s1, s0
	s_ashr_i32 s0, s3, 31
	s_lshr_b32 s0, s0, 26
	s_add_i32 s3, s3, s0
	v_or_b32_e32 v1, v18, v62
	s_ashr_i32 s0, s3, 6
	s_lshl_b32 s2, s2, 5
	s_mul_i32 s55, s52, s0
	v_or_b32_e32 v68, 64, v1
	s_cmp_lt_i32 s12, 64
	v_lshlrev_b32_e32 v66, 3, v0
	s_waitcnt lgkmcnt(0)
	s_mul_i32 s21, s52, s21
	s_mul_hi_u32 s49, s52, s20
	s_mul_i32 s40, s52, s20
	v_mov_b32_e32 v16, v17
	v_mov_b32_e32 v15, v17
	;; [unrolled: 1-line block ×15, first 2 shown]
	s_cbranch_scc1 .LBB477_19
; %bb.1:
	s_ashr_i32 s3, s52, 31
	s_ashr_i32 s59, s33, 31
	s_add_u32 s0, s50, s33
	s_addc_u32 s1, s56, s59
	s_mul_i32 s1, s12, s1
	s_mul_hi_u32 s24, s12, s0
	s_add_i32 s43, s24, s1
	s_mul_i32 s42, s12, s0
	s_lshl_b64 s[0:1], s[42:43], 8
	v_and_b32_e32 v70, 56, v66
	s_add_u32 s24, s6, s0
	v_lshl_or_b32 v69, v53, 3, v67
	v_lshlrev_b32_e32 v2, 1, v70
	s_addc_u32 s0, s7, s1
	v_lshl_or_b32 v71, v69, 8, v2
	s_and_b32 s25, s0, 0xffff
	s_mov_b32 s27, 0x20000
	s_movk_i32 s26, 0x4000
	s_movk_i32 s0, 0x80
	v_or_b32_e32 v72, 0x2000, v71
	buffer_load_dwordx4 v[4:7], v71, s[24:27], 0 offen
	buffer_load_dwordx4 v[8:11], v71, s[24:27], s0 offen
	buffer_load_dwordx4 v[12:15], v72, s[24:27], 0 offen
	buffer_load_dwordx4 v[20:23], v72, s[24:27], s0 offen
	v_lshlrev_b32_e32 v3, 3, v69
	v_and_or_b32 v17, v0, 7, v3
	v_and_b32_e32 v3, 0x78, v3
	v_lshlrev_b32_e32 v17, 4, v17
	v_xor_b32_e32 v73, v17, v3
	v_mul_lo_u32 v16, v69, s15
	v_or_b32_e32 v74, 0x1000, v73
	v_xor_b32_e32 v3, 8, v73
	s_cmpk_eq_i32 s15, 0x80
	s_mov_b32 s58, s14
	v_xor_b32_e32 v17, 8, v74
	s_cselect_b64 s[0:1], -1, 0
	s_cmpk_lg_i32 s15, 0x80
	s_waitcnt vmcnt(3)
	ds_write_b64 v73, v[4:5] offset:24576
	ds_write_b64 v3, v[6:7] offset:24576
	s_waitcnt vmcnt(2)
	ds_write_b64 v73, v[8:9] offset:32768
	ds_write_b64 v3, v[10:11] offset:32768
	;; [unrolled: 3-line block ×4, first 2 shown]
	v_lshl_add_u32 v3, v16, 1, v70
	s_cbranch_scc0 .LBB477_3
; %bb.2:
	v_lshlrev_b32_e32 v5, 1, v3
	v_add_lshl_u32 v4, v3, s15, 1
	s_lshl_b32 s26, s15, 7
	v_lshl_or_b32 v2, v69, 9, v2
	s_cbranch_execz .LBB477_4
	s_branch .LBB477_5
.LBB477_3:
                                        ; implicit-def: $vgpr4
                                        ; implicit-def: $vgpr5
                                        ; implicit-def: $sgpr26
	v_lshl_or_b32 v2, v69, 9, v2
.LBB477_4:
	v_or_b32_e32 v4, 0x100, v2
	s_movk_i32 s26, 0x4000
	v_mov_b32_e32 v5, v2
.LBB477_5:
	s_mul_hi_u32 s24, s14, s12
	s_mul_i32 s25, s54, s12
	s_add_i32 s24, s24, s25
	s_mul_i32 s25, s14, s12
	s_mul_i32 s27, s25, s3
	s_mul_hi_u32 s28, s25, s52
	s_add_i32 s27, s28, s27
	s_mul_i32 s24, s24, s52
	s_add_i32 s27, s27, s24
	s_mul_i32 s25, s25, s52
	s_ashr_i32 s60, s57, 31
	s_add_u32 s24, s25, s57
	s_addc_u32 s25, s27, s60
	s_lshl_b64 s[24:25], s[24:25], 8
	s_add_u32 s24, s4, s24
	s_addc_u32 s25, s5, s25
	s_and_b32 s25, s25, 0xffff
	s_mov_b32 s27, 0x20000
	s_movk_i32 s61, 0x80
	buffer_load_dwordx4 v[6:9], v5, s[24:27], 0 offen
	buffer_load_dwordx4 v[10:13], v5, s[24:27], s61 offen
	;; [unrolled: 1-line block ×4, first 2 shown]
	v_and_b32_e32 v4, 6, v0
	s_mul_i32 s24, s3, s12
	s_mul_hi_u32 s25, s52, s12
	v_lshlrev_b32_e32 v24, 6, v1
	v_or_b32_e32 v26, 16, v65
	v_xor_b32_e32 v27, v69, v4
	v_and_b32_e32 v5, 1, v0
	v_lshl_or_b32 v30, v65, 3, v24
	v_lshl_or_b32 v24, v26, 3, v24
	v_lshlrev_b32_e32 v27, 2, v27
	s_add_i32 s65, s25, s24
	s_add_i32 s24, s49, s21
	s_mul_i32 s3, s3, s20
	v_lshlrev_b32_e32 v19, 2, v65
	v_or_b32_e32 v77, 0xa000, v24
	v_or_b32_e32 v78, 0xb000, v24
	v_xor_b32_e32 v24, 0x440, v27
	v_cmp_eq_u32_e32 vcc, 0, v5
	s_add_i32 s41, s24, s3
	s_mul_i32 s3, s33, s23
	s_mul_hi_u32 s24, s33, s22
	v_xor_b32_e32 v28, v1, v19
	v_xor_b32_e32 v29, v68, v19
	v_cndmask_b32_e32 v5, v24, v27, vcc
	s_add_i32 s3, s24, s3
	s_mul_i32 s24, s59, s22
	s_mov_b32 s63, 0x1000504
	v_lshlrev_b32_e32 v25, 8, v65
	v_lshlrev_b32_e32 v28, 1, v28
	;; [unrolled: 1-line block ×3, first 2 shown]
	v_lshl_or_b32 v4, v4, 10, v5
	s_add_i32 s25, s3, s24
	s_lshl_b64 s[28:29], s[40:41], 2
	s_mov_b32 s64, 0x3020706
	v_or_b32_e32 v75, 0xa000, v30
	v_or_b32_e32 v76, 0xb000, v30
	;; [unrolled: 1-line block ×4, first 2 shown]
	v_xor_b32_e32 v5, 8, v4
	v_xor_b32_e32 v25, 24, v4
	;; [unrolled: 1-line block ×4, first 2 shown]
	s_mul_i32 s24, s33, s22
	s_add_u32 s3, s10, s28
	v_xor_b32_e32 v24, 16, v4
	v_xor_b32_e32 v27, 32, v4
	;; [unrolled: 1-line block ×3, first 2 shown]
	v_add_u32_e32 v5, 0x80, v5
	v_add_u32_e32 v25, 0x80, v25
	;; [unrolled: 1-line block ×4, first 2 shown]
	s_addc_u32 s26, s11, s29
	s_lshl_b64 s[24:25], s[24:25], 2
	s_add_u32 s44, s3, s24
	s_movk_i32 s3, 0xf8
	s_addc_u32 s45, s26, s25
	s_lshl_b32 s30, s15, 7
	s_movk_i32 s28, 0x100
	v_mov_b32_e32 v55, 0
	v_lshlrev_b32_e32 v54, 4, v65
	v_cmp_gt_u32_e32 vcc, s28, v0
	v_lshlrev_b32_e32 v26, 8, v26
	v_or_b32_e32 v81, v26, v28
	v_or_b32_e32 v82, v26, v29
	s_mov_b32 s62, 0
	s_movk_i32 s41, 0x1000
	s_movk_i32 s26, 0x4000
	v_add_u32_e32 v96, v62, v18
	s_mov_b32 s66, 0x7060302
	v_mov_b32_e32 v107, 0x3fb8aa3b
	s_mov_b32 s68, 0
	v_mov_b32_e32 v108, v55
	v_mov_b32_e32 v109, v55
	;; [unrolled: 1-line block ×7, first 2 shown]
	s_waitcnt vmcnt(1)
	v_perm_b32 v33, v6, v14, s63
	s_waitcnt vmcnt(0)
	v_perm_b32 v34, v10, v20, s63
	v_perm_b32 v6, v6, v14, s64
	;; [unrolled: 1-line block ×15, first 2 shown]
	ds_write2st64_b32 v4, v33, v34 offset0:32 offset1:64
	ds_write2st64_b32 v5, v6, v10 offset0:32 offset1:64
	;; [unrolled: 1-line block ×8, first 2 shown]
	v_or_b32_e32 v4, v62, v65
	v_lshlrev_b32_e32 v4, 3, v4
	v_lshrrev_b32_e32 v6, 5, v63
	v_and_or_b32 v6, v4, s3, v6
	v_lshlrev_b32_e32 v6, 4, v6
	v_lshrrev_b32_e32 v5, 2, v63
	v_lshlrev_b32_e32 v11, 11, v53
	v_and_b32_e32 v4, 0x78, v4
	v_or_b32_e32 v10, 32, v6
	v_and_b32_e32 v7, 12, v5
	v_and_b32_e32 v5, 0x1000, v11
	v_xor_b32_e32 v8, v6, v4
	v_lshrrev_b32_e32 v9, 1, v63
	v_xor_b32_e32 v10, v10, v4
	v_or_b32_e32 v8, v8, v5
	v_and_b32_e32 v9, 8, v9
	v_lshlrev_b32_e32 v12, 7, v64
	v_or_b32_e32 v10, v10, v5
	v_xor_b32_e32 v83, v8, v9
	v_or_b32_e32 v8, v12, v19
	v_xor_b32_e32 v85, v10, v9
	v_or_b32_e32 v10, 64, v6
	v_or_b32_e32 v6, 0x60, v6
	s_ashr_i32 s3, s2, 31
	v_lshlrev_b32_e32 v8, 1, v8
	v_xor_b32_e32 v10, v10, v4
	v_xor_b32_e32 v4, v6, v4
	s_lshl_b64 s[24:25], s[2:3], 8
	v_or_b32_e32 v84, 0xa000, v8
	v_or_b32_e32 v86, 0xa080, v8
	;; [unrolled: 1-line block ×6, first 2 shown]
	s_add_u32 s24, s16, s24
	v_lshlrev_b32_e32 v8, 1, v65
	v_lshlrev_b32_e32 v19, 2, v0
	v_lshrrev_b32_e32 v22, 1, v0
	v_xor_b32_e32 v87, v10, v9
	v_xor_b32_e32 v88, v4, v9
	v_lshrrev_b32_e32 v10, 4, v0
	s_addc_u32 s25, s17, s25
	v_or_b32_e32 v9, 1, v8
	v_mov_b32_e32 v20, 0x4000
	v_mov_b32_e32 v21, 0x2000
	v_and_b32_e32 v22, 24, v22
	v_and_or_b32 v12, v19, 60, v12
	v_mov_b32_e32 v19, 0xb000
	v_xor_b32_e32 v15, v10, v8
	v_xor_b32_e32 v16, v9, v10
	v_lshl_add_u64 v[8:9], s[24:25], 0, v[54:55]
	v_lshlrev_b32_e32 v54, 8, v10
	v_cndmask_b32_e32 v20, v20, v21, vcc
	v_lshlrev_b32_e32 v21, 3, v53
	v_lshl_or_b32 v93, v12, 1, v19
	v_or_b32_e32 v12, 32, v22
	v_lshl_or_b32 v91, v15, 3, v54
	v_and_b32_e32 v15, 8, v0
	v_xor_b32_e32 v12, v21, v12
	v_cmp_eq_u32_e32 vcc, 0, v15
	v_or_b32_e32 v19, 0x440, v12
	v_and_b32_e32 v10, 7, v0
	v_cndmask_b32_e32 v12, v19, v12, vcc
	v_lshl_or_b32 v92, v16, 3, v54
	v_lshlrev_b32_e32 v16, 3, v10
	v_or_b32_e32 v12, v12, v11
	v_xor_b32_e32 v19, v12, v16
	v_or_b32_e32 v12, 64, v22
	v_xor_b32_e32 v12, v21, v12
	v_xor_b32_e32 v25, 0x440, v12
	v_cndmask_b32_e32 v12, v25, v12, vcc
	v_or_b32_e32 v12, v12, v11
	v_xor_b32_e32 v25, v12, v16
	v_or_b32_e32 v12, 0x60, v22
	v_xor_b32_e32 v23, v21, v22
	v_xor_b32_e32 v12, v21, v12
	v_or_b32_e32 v24, 0x440, v23
	v_xor_b32_e32 v21, 0x440, v12
	v_cndmask_b32_e32 v15, v24, v23, vcc
	v_cndmask_b32_e32 v12, v21, v12, vcc
	v_or_b32_e32 v4, s2, v65
	v_or_b32_e32 v15, v15, v11
	;; [unrolled: 1-line block ×3, first 2 shown]
	v_ashrrev_i32_e32 v5, 31, v4
	v_lshlrev_b32_e32 v13, 1, v3
	v_add_lshl_u32 v3, v3, s15, 1
	v_or_b32_e32 v14, 0x100, v2
	v_xor_b32_e32 v15, v15, v16
	v_xor_b32_e32 v11, v11, v16
	v_lshlrev_b32_e32 v6, 7, v1
	v_lshlrev_b32_e32 v17, 7, v10
	v_or_b32_e32 v10, v7, v62
	v_add_u32_e32 v23, v20, v15
	v_add_u32_e32 v24, v20, v19
	;; [unrolled: 1-line block ×4, first 2 shown]
	v_or3_b32 v12, v62, v7, 64
	v_add_u32_e32 v7, 0x4000, v15
	v_add_u32_e32 v15, 0x4000, v19
	;; [unrolled: 1-line block ×4, first 2 shown]
	v_cndmask_b32_e64 v94, v13, v2, s[0:1]
	v_cndmask_b32_e64 v95, v3, v14, s[0:1]
	v_lshlrev_b64 v[2:3], 1, v[4:5]
	v_lshl_add_u64 v[56:57], s[8:9], 0, v[2:3]
	v_lshl_add_u64 v[58:59], s[18:19], 0, v[2:3]
	;; [unrolled: 1-line block ×3, first 2 shown]
	s_add_i32 s3, s48, 63
	v_lshlrev_b32_e32 v54, 1, v6
	v_lshlrev_b32_e32 v97, 2, v10
	v_add_u32_e32 v98, v23, v17
	v_add_u32_e32 v99, v24, v17
	;; [unrolled: 1-line block ×4, first 2 shown]
	v_lshlrev_b32_e32 v102, 2, v12
	v_add_u32_e32 v103, v7, v17
	v_add_u32_e32 v104, v15, v17
	;; [unrolled: 1-line block ×4, first 2 shown]
	v_mov_b32_e32 v2, v55
	v_mov_b32_e32 v3, v55
	;; [unrolled: 1-line block ×9, first 2 shown]
	s_waitcnt lgkmcnt(0)
	s_barrier
.LBB477_6:                              ; =>This Inner Loop Header: Depth=1
	s_add_i32 s67, s68, 1
	s_cmp_lt_i32 s67, s53
	s_mov_b64 s[28:29], 0
	s_cselect_b64 s[46:47], -1, 0
	s_cmp_ge_i32 s67, s53
	s_mov_b64 s[24:25], 0
	s_cbranch_scc1 .LBB477_8
; %bb.7:                                ;   in Loop: Header=BB477_6 Depth=1
	s_add_i32 s0, s62, 64
	s_add_u32 s0, s42, s0
	s_addc_u32 s1, s43, 0
	s_lshl_b64 s[0:1], s[0:1], 8
	s_add_u32 s24, s6, s0
	s_addc_u32 s25, s7, s1
.LBB477_8:                              ;   in Loop: Header=BB477_6 Depth=1
	v_cndmask_b32_e64 v10, 0, 1, s[46:47]
	v_cmp_ne_u32_e64 s[0:1], 1, v10
	s_andn2_b64 vcc, exec, s[46:47]
	s_cbranch_vccnz .LBB477_10
; %bb.9:                                ;   in Loop: Header=BB477_6 Depth=1
	s_add_i32 s28, s62, 64
	s_add_u32 s28, s48, s28
	s_addc_u32 s29, s65, 0
	s_mul_i32 s31, s28, s54
	s_mul_hi_u32 s46, s28, s58
	s_add_i32 s31, s46, s31
	s_mul_i32 s29, s29, s58
	s_add_i32 s31, s31, s29
	s_mul_i32 s28, s28, s58
	s_add_u32 s28, s28, s57
	s_addc_u32 s29, s31, s60
	s_lshl_b64 s[28:29], s[28:29], 8
	s_add_u32 s28, s4, s28
	s_addc_u32 s29, s5, s29
.LBB477_10:                             ;   in Loop: Header=BB477_6 Depth=1
	v_perm_b32 v11, v5, v4, s66
	v_perm_b32 v10, v3, v2, s66
	;; [unrolled: 1-line block ×4, first 2 shown]
	ds_write_b64 v75, v[10:11]
	ds_write_b64 v76, v[12:13]
	ds_write_b64 v79, v[10:11]
	ds_write_b64 v80, v[12:13]
	v_perm_b32 v11, v115, v110, s66
	v_perm_b32 v10, v109, v108, s66
	v_perm_b32 v13, v114, v113, s66
	v_perm_b32 v12, v112, v111, s66
	ds_write_b64 v77, v[10:11]
	ds_write_b64 v78, v[12:13]
	;; [unrolled: 1-line block ×4, first 2 shown]
	s_waitcnt lgkmcnt(0)
	s_barrier
	ds_read_b64 v[14:15], v83 offset:24576
	ds_read2_b64 v[10:13], v84 offset1:16
	ds_read_b64 v[18:19], v86 offset:3072
	ds_read_b64 v[20:21], v84 offset:3072
	;; [unrolled: 1-line block ×3, first 2 shown]
	s_waitcnt lgkmcnt(3)
	v_mfma_f32_16x16x16_bf16 a[0:3], v[14:15], v[10:11], 0
	s_add_i32 s31, s62, 63
	s_mul_i32 s46, s31, s39
	s_mul_hi_u32 s47, s31, s38
	v_mfma_f32_16x16x16_bf16 a[4:7], v[14:15], v[12:13], 0
	ds_read2st64_b64 v[10:13], v84 offset0:2 offset1:4
	ds_read2st64_b64 v[14:17], v86 offset0:2 offset1:4
	s_add_i32 s47, s47, s46
	s_waitcnt lgkmcnt(1)
	v_mfma_f32_16x16x16_bf16 a[0:3], v[22:23], v[10:11], a[0:3]
	s_mul_i32 s46, s31, s38
	s_lshl_b64 s[46:47], s[46:47], 2
	s_add_u32 s46, s44, s46
	s_waitcnt lgkmcnt(0)
	v_mfma_f32_16x16x16_bf16 a[4:7], v[22:23], v[14:15], a[4:7]
	ds_read_b64 v[10:11], v87 offset:24576
	ds_read_b64 v[14:15], v88 offset:24576
	s_addc_u32 s47, s45, s47
	s_and_b64 vcc, exec, s[0:1]
	s_waitcnt lgkmcnt(1)
	v_mfma_f32_16x16x16_bf16 a[0:3], v[10:11], v[12:13], a[0:3]
	v_mov_b32_e32 v118, 0
	v_mov_b32_e32 v117, 0
	;; [unrolled: 1-line block ×3, first 2 shown]
	v_mfma_f32_16x16x16_bf16 a[8:11], v[10:11], v[16:17], a[4:7]
	v_mov_b32_e32 v10, 0
	v_mov_b32_e32 v11, 0
	;; [unrolled: 1-line block ×3, first 2 shown]
	s_waitcnt lgkmcnt(0)
	v_mfma_f32_16x16x16_bf16 a[4:7], v[14:15], v[20:21], a[0:3]
	v_mov_b32_e32 v13, 0
	v_mov_b32_e32 v16, 0
	;; [unrolled: 1-line block ×3, first 2 shown]
	v_mfma_f32_16x16x16_bf16 a[0:3], v[14:15], v[18:19], a[8:11]
	v_mov_b32_e32 v14, 0
	v_mov_b32_e32 v15, 0
	;; [unrolled: 1-line block ×10, first 2 shown]
	s_cbranch_vccnz .LBB477_12
; %bb.11:                               ;   in Loop: Header=BB477_6 Depth=1
	s_and_b32 s25, s25, 0xffff
	buffer_load_dwordx4 v[22:25], v71, s[24:27], 0 offen
	buffer_load_dwordx4 v[18:21], v71, s[24:27], s61 offen
	;; [unrolled: 1-line block ×4, first 2 shown]
	v_mov_b32_e32 v117, v73
	v_mov_b32_e32 v116, v74
.LBB477_12:                             ;   in Loop: Header=BB477_6 Depth=1
	ds_read_b64 v[34:35], v83 offset:32768
	ds_read2_b64 v[26:29], v89 offset1:16
	ds_read_b64 v[36:37], v85 offset:32768
	ds_read_b64 v[38:39], v87 offset:32768
	;; [unrolled: 1-line block ×3, first 2 shown]
	v_add_u32_e32 v42, s62, v96
	s_waitcnt lgkmcnt(3)
	v_mfma_f32_16x16x16_bf16 a[4:7], v[34:35], v[26:27], a[4:7]
	v_ashrrev_i32_e32 v26, 31, v42
	ds_read2st64_b64 v[30:33], v89 offset0:2 offset1:4
	v_mfma_f32_16x16x16_bf16 a[0:3], v[34:35], v[28:29], a[0:3]
	v_mul_lo_u32 v28, v26, s38
	v_mul_lo_u32 v29, v42, s39
	v_mad_u64_u32 v[26:27], s[24:25], v42, s38, 0
	v_add3_u32 v27, v27, v29, v28
	v_add_u32_e32 v28, 1, v42
	v_ashrrev_i32_e32 v29, 31, v28
	v_mul_lo_u32 v34, v29, s38
	v_mul_lo_u32 v35, v28, s39
	v_mad_u64_u32 v[28:29], s[24:25], v28, s38, 0
	v_add3_u32 v29, v29, v35, v34
	v_add_u32_e32 v34, 2, v42
	v_ashrrev_i32_e32 v35, 31, v34
	v_mul_lo_u32 v43, v35, s38
	v_mul_lo_u32 v44, v34, s39
	v_mad_u64_u32 v[34:35], s[24:25], v34, s38, 0
	v_add_u32_e32 v42, 3, v42
	v_add3_u32 v35, v35, v44, v43
	v_ashrrev_i32_e32 v43, 31, v42
	v_mul_lo_u32 v44, v43, s38
	v_mul_lo_u32 v45, v42, s39
	v_mad_u64_u32 v[42:43], s[24:25], v42, s38, 0
	s_add_u32 s24, s42, s62
	s_addc_u32 s25, s43, 0
	s_lshl_b64 s[70:71], s[24:25], 8
	v_lshl_add_u64 v[26:27], v[26:27], 2, s[44:45]
	v_lshl_add_u64 v[28:29], v[28:29], 2, s[44:45]
	v_add3_u32 v43, v43, v45, v44
	v_lshl_add_u64 v[44:45], v[56:57], 0, s[70:71]
	v_lshl_add_u64 v[34:35], v[34:35], 2, s[44:45]
	;; [unrolled: 1-line block ×3, first 2 shown]
	global_load_dword v46, v[26:27], off
	global_load_ushort v47, v[44:45], off offset:256
	global_load_ushort v48, v[44:45], off
	v_lshl_add_u64 v[26:27], v[42:43], 2, s[44:45]
	global_load_dword v42, v[28:29], off
	global_load_dword v43, v[34:35], off
	;; [unrolled: 1-line block ×3, first 2 shown]
	ds_read2st64_b64 v[26:29], v90 offset0:2 offset1:4
	global_load_ushort v50, v[44:45], off offset:768
	global_load_ushort v51, v[44:45], off offset:512
	;; [unrolled: 1-line block ×5, first 2 shown]
	s_nop 0
	global_load_ushort v44, v[44:45], off offset:32
	s_waitcnt lgkmcnt(1)
	v_mfma_f32_16x16x16_bf16 a[4:7], v[36:37], v[30:31], a[4:7]
	s_and_b64 vcc, exec, s[0:1]
	s_waitcnt vmcnt(10)
	v_lshlrev_b32_e32 v35, 16, v47
	s_waitcnt lgkmcnt(0)
	v_mfma_f32_16x16x16_bf16 a[0:3], v[36:37], v[26:27], a[0:3]
	s_waitcnt vmcnt(9)
	v_lshlrev_b32_e32 v34, 16, v48
	v_mfma_f32_16x16x16_bf16 a[4:7], v[38:39], v[32:33], a[4:7]
	v_mfma_f32_16x16x16_bf16 a[0:3], v[38:39], v[28:29], a[0:3]
	ds_read_b64 v[26:27], v89 offset:3072
	ds_read_b64 v[28:29], v90 offset:3072
	s_load_dword s24, s[46:47], 0x0
	s_waitcnt lgkmcnt(0)
	v_sub_f32_e32 v36, s24, v46
	v_mfma_f32_16x16x16_bf16 a[4:7], v[40:41], v[26:27], a[4:7]
	v_mul_f32_e32 v36, 0x3fb8aa3b, v36
	s_waitcnt vmcnt(8)
	v_sub_f32_e32 v37, s24, v42
	s_waitcnt vmcnt(7)
	v_sub_f32_e32 v38, s24, v43
	;; [unrolled: 2-line block ×3, first 2 shown]
	v_mfma_f32_16x16x16_bf16 a[0:3], v[40:41], v[28:29], a[0:3]
	v_lshl_add_u64 v[26:27], v[58:59], 0, s[70:71]
	v_lshl_add_u64 v[26:27], v[26:27], 0, v[54:55]
	v_accvgpr_read_b32 v33, a5
	v_accvgpr_read_b32 v32, a4
	v_pk_add_f32 v[32:33], v[34:35], v[32:33] neg_lo:[0,1] neg_hi:[0,1]
	v_exp_f32_e32 v34, v36
	v_mul_f32_e32 v35, 0x3fb8aa3b, v37
	v_mul_f32_e32 v36, 0x3fb8aa3b, v38
	;; [unrolled: 1-line block ×3, first 2 shown]
	v_exp_f32_e32 v35, v35
	v_exp_f32_e32 v36, v36
	;; [unrolled: 1-line block ×3, first 2 shown]
	v_accvgpr_read_b32 v29, a7
	v_accvgpr_read_b32 v28, a6
	s_waitcnt vmcnt(5)
	v_lshlrev_b32_e32 v39, 16, v50
	s_waitcnt vmcnt(4)
	v_lshlrev_b32_e32 v38, 16, v51
	v_pk_add_f32 v[28:29], v[38:39], v[28:29] neg_lo:[0,1] neg_hi:[0,1]
	global_store_short_d16_hi v[26:27], v32, off
	global_store_short_d16_hi v[26:27], v33, off offset:256
	global_store_short_d16_hi v[26:27], v28, off offset:512
	;; [unrolled: 1-line block ×3, first 2 shown]
	v_pk_mul_f32 v[32:33], v[34:35], v[32:33]
	v_pk_mul_f32 v[28:29], v[36:37], v[28:29]
	v_accvgpr_read_b32 v39, a1
	v_perm_b32 v29, v29, v28, s66
	v_perm_b32 v28, v33, v32, s66
	s_waitcnt vmcnt(5)
	v_lshlrev_b32_e32 v33, 16, v120
	s_waitcnt vmcnt(4)
	v_lshlrev_b32_e32 v32, 16, v44
	v_accvgpr_read_b32 v38, a0
	v_accvgpr_read_b32 v31, a3
	;; [unrolled: 1-line block ×3, first 2 shown]
	v_pk_add_f32 v[32:33], v[32:33], v[38:39] neg_lo:[0,1] neg_hi:[0,1]
	v_lshlrev_b32_e32 v39, 16, v52
	v_lshlrev_b32_e32 v38, 16, v119
	v_pk_add_f32 v[30:31], v[38:39], v[30:31] neg_lo:[0,1] neg_hi:[0,1]
	global_store_short_d16_hi v[26:27], v32, off offset:32
	global_store_short_d16_hi v[26:27], v33, off offset:288
	;; [unrolled: 1-line block ×4, first 2 shown]
	v_pk_mul_f32 v[26:27], v[34:35], v[32:33]
	v_pk_mul_f32 v[30:31], v[36:37], v[30:31]
	v_mov_b32_e32 v119, 0
	v_perm_b32 v31, v31, v30, s66
	v_perm_b32 v30, v27, v26, s66
	ds_write2_b64 v76, v[28:29], v[30:31] offset1:16
	v_mov_b32_e32 v26, 0
	v_mov_b32_e32 v27, 0
	;; [unrolled: 1-line block ×16, first 2 shown]
	s_cbranch_vccnz .LBB477_14
; %bb.13:                               ;   in Loop: Header=BB477_6 Depth=1
	s_and_b32 s29, s29, 0xffff
	s_mov_b32 s31, s27
	buffer_load_dwordx4 v[38:41], v94, s[28:31], 0 offen
	buffer_load_dwordx4 v[30:33], v94, s[28:31], s61 offen
	;; [unrolled: 1-line block ×4, first 2 shown]
	v_mov_b32_e32 v118, v70
	v_mov_b32_e32 v119, v69
.LBB477_14:                             ;   in Loop: Header=BB477_6 Depth=1
	s_waitcnt lgkmcnt(0)
	s_barrier
	ds_read_b64 v[46:47], v98
	ds_read_b64 v[124:125], v93
	;; [unrolled: 1-line block ×5, first 2 shown]
	ds_read_b64 v[138:139], v90 offset:3072
	ds_read2_b64 v[42:45], v89 offset0:16 offset1:128
	s_waitcnt lgkmcnt(5)
	v_mfma_f32_16x16x16_bf16 a[0:3], v[46:47], v[124:125], 0
	ds_read2st64_b64 v[48:51], v90 offset0:2 offset1:4
	s_add_i32 s25, s55, s68
	s_mul_hi_i32 s29, s25, s13
	s_waitcnt lgkmcnt(1)
	v_mfma_f32_16x16x16_bf16 a[4:7], v[46:47], v[42:43], 0
	ds_read_b64 v[46:47], v103
	s_mul_i32 s25, s25, s13
	s_add_u32 s28, s25, s33
	s_waitcnt lgkmcnt(1)
	v_mfma_f32_16x16x16_bf16 a[4:7], v[126:127], v[48:49], a[4:7]
	s_addc_u32 s29, s29, s59
	s_add_i32 s25, s3, s62
	s_lshl_b64 s[28:29], s[28:29], 15
	s_mul_hi_i32 s31, s25, s13
	s_mul_i32 s25, s25, s13
	s_add_u32 s46, s25, s33
	v_mfma_f32_16x16x16_bf16 a[8:11], v[128:129], v[50:51], a[4:7]
	s_addc_u32 s47, s31, s59
	ds_read2st64_b64 v[120:123], v89 offset0:4 offset1:6
	s_lshl_b64 s[46:47], s[46:47], 9
	s_waitcnt lgkmcnt(1)
	v_mfma_f32_16x16x16_bf16 a[4:7], v[46:47], v[124:125], 0
	s_add_u32 s46, s36, s46
	s_addc_u32 s47, s37, s47
	v_mfma_f32_16x16x16_bf16 a[0:3], v[126:127], v[44:45], a[0:3]
	ds_read_b64 v[126:127], v104
	ds_read_b64 v[134:135], v105
	;; [unrolled: 1-line block ×3, first 2 shown]
	v_mfma_f32_16x16x16_bf16 a[12:15], v[46:47], v[42:43], 0
	s_waitcnt lgkmcnt(2)
	v_mfma_f32_16x16x16_bf16 a[4:7], v[126:127], v[44:45], a[4:7]
	global_load_dwordx4 v[42:45], v102, s[46:47]
	v_mfma_f32_16x16x16_bf16 a[12:15], v[126:127], v[48:49], a[12:15]
	global_load_dwordx4 v[46:49], v97, s[46:47]
	ds_read2st64_b64 v[124:127], v91 offset1:8
	s_waitcnt lgkmcnt(0)
	v_mov_b32_e32 v132, v124
	v_mfma_f32_16x16x16_bf16 a[0:3], v[128:129], v[120:121], a[0:3]
	ds_read2st64_b64 v[128:131], v92 offset1:8
	v_mov_b32_e32 v133, v125
	v_mfma_f32_16x16x16_bf16 a[16:19], v[134:135], v[120:121], a[4:7]
	v_lshl_add_u64 v[120:121], v[60:61], 0, s[28:29]
	v_mfma_f32_16x16x16_bf16 a[20:23], v[134:135], v[50:51], a[12:15]
	v_add_co_u32_e32 v50, vcc, s41, v120
	s_waitcnt lgkmcnt(0)
	v_mov_b32_e32 v134, v128
	v_mfma_f32_16x16x16_bf16 a[4:7], v[136:137], v[122:123], a[0:3]
	v_mov_b32_e32 v135, v129
	v_mov_b32_e32 v128, v126
	;; [unrolled: 1-line block ×3, first 2 shown]
	v_mfma_f32_16x16x16_bf16 a[8:11], v[136:137], v[138:139], a[8:11]
	v_addc_co_u32_e32 v51, vcc, 0, v121, vcc
	global_store_dwordx4 v[50:51], v[128:131], off
	v_mfma_f32_16x16x16_bf16 a[12:15], v[140:141], v[122:123], a[16:19]
	s_and_b64 vcc, exec, s[0:1]
	global_store_dwordx4 v[120:121], v[132:135], off
	s_waitcnt vmcnt(3)
	v_mov_b32_e32 v52, v45
	v_mfma_f32_16x16x16_bf16 a[0:3], v[140:141], v[138:139], a[20:23]
	v_mov_b32_e32 v51, v44
	v_mov_b32_e32 v50, v43
	s_cbranch_vccnz .LBB477_16
; %bb.15:                               ;   in Loop: Header=BB477_6 Depth=1
	v_lshrrev_b32_e32 v43, 3, v118
	v_and_b32_e32 v43, 6, v43
	v_xor_b32_e32 v44, v43, v119
	v_lshlrev_b32_e32 v44, 2, v44
	v_and_b32_e32 v45, 8, v118
	v_xor_b32_e32 v118, 0x440, v44
	v_cmp_eq_u32_e32 vcc, 0, v45
	v_perm_b32 v45, v30, v26, s63
	s_nop 0
	v_cndmask_b32_e32 v44, v118, v44, vcc
	v_lshl_or_b32 v43, v43, 10, v44
	v_perm_b32 v44, v38, v34, s63
	s_barrier
	ds_write2st64_b32 v43, v44, v45 offset0:32 offset1:64
	v_xor_b32_e32 v44, 8, v43
	v_perm_b32 v34, v38, v34, s64
	v_perm_b32 v26, v30, v26, s64
	v_add_u32_e32 v30, 0x80, v44
	ds_write2st64_b32 v30, v34, v26 offset0:32 offset1:64
	v_xor_b32_e32 v26, 16, v43
	v_perm_b32 v30, v39, v35, s63
	v_perm_b32 v34, v31, v27, s63
	ds_write2st64_b32 v26, v30, v34 offset0:33 offset1:65
	v_xor_b32_e32 v26, 24, v43
	v_perm_b32 v30, v39, v35, s64
	v_perm_b32 v27, v31, v27, s64
	v_add_u32_e32 v26, 0x80, v26
	ds_write2st64_b32 v26, v30, v27 offset0:33 offset1:65
	v_xor_b32_e32 v26, 32, v43
	v_perm_b32 v27, v40, v36, s63
	v_perm_b32 v30, v32, v28, s63
	;; [unrolled: 9-line block ×3, first 2 shown]
	ds_write2st64_b32 v26, v27, v28 offset0:35 offset1:67
	v_xor_b32_e32 v26, 56, v43
	v_perm_b32 v27, v41, v37, s64
	v_perm_b32 v28, v33, v29, s64
	v_add_u32_e32 v26, 0x80, v26
	ds_write2st64_b32 v26, v27, v28 offset0:35 offset1:67
	ds_write_b64 v117, v[22:23] offset:24576
	v_xor_b32_e32 v22, 8, v117
	ds_write_b64 v22, v[24:25] offset:24576
	ds_write_b64 v117, v[18:19] offset:32768
	;; [unrolled: 1-line block ×4, first 2 shown]
	v_xor_b32_e32 v14, 8, v116
	ds_write_b64 v14, v[16:17] offset:24576
	ds_write_b64 v116, v[10:11] offset:32768
	;; [unrolled: 1-line block ×3, first 2 shown]
.LBB477_16:                             ;   in Loop: Header=BB477_6 Depth=1
	v_mul_f32_e32 v14, s24, v107
	v_exp_f32_e32 v26, v14
	s_waitcnt vmcnt(2)
	v_mul_f32_e32 v14, 0x3fb8aa3b, v46
	v_exp_f32_e32 v28, v14
	v_mul_f32_e32 v14, 0x3fb8aa3b, v47
	v_exp_f32_e32 v29, v14
	v_mul_f32_e32 v14, 0x3fb8aa3b, v48
	v_exp_f32_e32 v30, v14
	v_mul_f32_e32 v14, 0x3fb8aa3b, v49
	v_exp_f32_e32 v31, v14
	v_accvgpr_read_b32 v21, a7
	v_accvgpr_read_b32 v19, a5
	;; [unrolled: 1-line block ×4, first 2 shown]
	v_pk_mul_f32 v[28:29], v[26:27], v[28:29] op_sel_hi:[0,1]
	v_accvgpr_read_b32 v12, a10
	v_pk_fma_f32 v[2:3], v[2:3], v[28:29], v[18:19]
	v_pk_mul_f32 v[18:19], v[26:27], v[30:31] op_sel_hi:[0,1]
	v_accvgpr_read_b32 v20, a6
	v_accvgpr_read_b32 v11, a9
	;; [unrolled: 1-line block ×3, first 2 shown]
	v_fma_f32 v110, v110, v18, v12
	v_mul_f32_e32 v12, 0x3fb8aa3b, v51
	v_pk_fma_f32 v[4:5], v[4:5], v[18:19], v[20:21]
	v_fma_f32 v108, v108, v28, v10
	v_fma_f32 v109, v109, v29, v11
	v_mul_f32_e32 v10, 0x3fb8aa3b, v42
	v_mul_f32_e32 v11, 0x3fb8aa3b, v50
	v_exp_f32_e32 v20, v12
	v_mul_f32_e32 v12, 0x3fb8aa3b, v52
	v_exp_f32_e32 v10, v10
	v_exp_f32_e32 v11, v11
	v_exp_f32_e32 v21, v12
	v_accvgpr_read_b32 v25, a15
	v_accvgpr_read_b32 v17, a3
	v_accvgpr_read_b32 v24, a14
	v_accvgpr_read_b32 v23, a13
	v_accvgpr_read_b32 v22, a12
	v_accvgpr_read_b32 v16, a2
	v_accvgpr_read_b32 v15, a1
	v_accvgpr_read_b32 v14, a0
	v_fmac_f32_e32 v13, v115, v19
	v_pk_mul_f32 v[10:11], v[26:27], v[10:11] op_sel_hi:[0,1]
	v_pk_mul_f32 v[18:19], v[26:27], v[20:21] op_sel_hi:[0,1]
	s_add_i32 s62, s62, 64
	v_pk_fma_f32 v[6:7], v[6:7], v[10:11], v[22:23]
	v_pk_fma_f32 v[8:9], v[8:9], v[18:19], v[24:25]
	v_fma_f32 v111, v111, v10, v14
	v_fma_f32 v112, v112, v11, v15
	;; [unrolled: 1-line block ×3, first 2 shown]
	s_cmp_eq_u32 s53, s67
	v_fmac_f32_e32 v17, v114, v19
	s_cbranch_scc1 .LBB477_18
; %bb.17:                               ;   in Loop: Header=BB477_6 Depth=1
	s_mov_b32 s68, s67
	v_mov_b32_e32 v115, v13
	v_mov_b32_e32 v114, v17
	s_branch .LBB477_6
.LBB477_18:
	v_mov_b32_e32 v16, v113
	v_mov_b32_e32 v15, v112
	v_mov_b32_e32 v14, v111
	v_mov_b32_e32 v12, v110
	v_mov_b32_e32 v11, v109
	v_mov_b32_e32 v10, v108
.LBB477_19:
	s_lshl_b32 s46, s53, 6
	s_sub_i32 s47, s12, s46
	s_cmp_gt_i32 s47, 0
	v_or_b32_e32 v34, s2, v65
	s_cbranch_scc1 .LBB477_21
; %bb.20:
	s_ashr_i32 s0, s33, 31
	s_add_u32 s28, s50, s33
	s_addc_u32 s29, s56, s0
	v_or_b32_e32 v35, s2, v65
	s_cbranch_execz .LBB477_22
	s_branch .LBB477_86
.LBB477_21:
                                        ; implicit-def: $sgpr28_sgpr29
                                        ; implicit-def: $vgpr35
.LBB477_22:
	s_ashr_i32 s41, s52, 31
	s_ashr_i32 s3, s46, 31
	s_cmpk_lg_i32 s15, 0x80
	s_cselect_b64 s[42:43], -1, 0
	s_and_b64 vcc, exec, s[42:43]
	s_cbranch_vccz .LBB477_24
; %bb.23:
	s_mul_hi_i32 s0, s52, s12
	s_add_u32 s1, s48, s46
	s_addc_u32 s0, s0, s3
	s_mul_i32 s24, s1, s54
	s_mul_hi_u32 s25, s1, s14
	s_add_i32 s24, s25, s24
	s_mul_i32 s0, s0, s14
	s_add_i32 s24, s24, s0
	s_mul_i32 s1, s1, s14
	s_ashr_i32 s0, s57, 31
	s_add_u32 s44, s1, s57
	s_addc_u32 s45, s24, s0
	s_cbranch_execz .LBB477_25
	s_branch .LBB477_26
.LBB477_24:
                                        ; implicit-def: $sgpr44_sgpr45
.LBB477_25:
	s_mul_hi_i32 s0, s52, s14
	s_mul_i32 s52, s52, s14
	s_ashr_i32 s1, s57, 31
	s_add_u32 s14, s52, s57
	s_addc_u32 s0, s0, s1
	s_mul_i32 s1, s14, s51
	s_mul_hi_u32 s24, s14, s12
	s_add_i32 s1, s24, s1
	s_mul_i32 s0, s0, s12
	s_add_i32 s1, s1, s0
	s_mul_i32 s14, s14, s12
	s_add_u32 s44, s14, s46
	s_addc_u32 s45, s1, s3
.LBB477_26:
	s_add_i32 s24, s55, s53
	s_ashr_i32 s14, s33, 31
	s_add_u32 s28, s50, s33
	s_addc_u32 s29, s56, s14
	s_mul_i32 s0, s28, s51
	s_mul_hi_u32 s1, s28, s12
	s_add_i32 s0, s1, s0
	s_mul_i32 s1, s29, s12
	s_add_i32 s1, s0, s1
	s_mul_i32 s0, s28, s12
	s_add_u32 s0, s0, s46
	v_lshlrev_b32_e32 v22, 5, v1
	v_lshlrev_b32_e32 v40, 2, v65
	s_addc_u32 s1, s1, s3
	s_mov_b32 s3, 0x7060302
	v_or_b32_e32 v25, v22, v40
	v_xor_b32_e32 v23, v1, v40
	v_perm_b32 v19, v5, v4, s3
	v_perm_b32 v18, v3, v2, s3
	;; [unrolled: 1-line block ×4, first 2 shown]
	v_lshlrev_b32_e32 v25, 1, v25
	v_xor_b32_e32 v24, v68, v40
	ds_write2st64_b64 v25, v[18:19], v[20:21] offset0:80 offset1:88
	v_lshlrev_b32_e32 v23, 1, v23
	v_lshlrev_b32_e32 v25, 8, v65
	s_lshl_b64 s[30:31], s[0:1], 8
	v_or_b32_e32 v26, v23, v25
	v_lshlrev_b32_e32 v24, 1, v24
	s_add_u32 s0, s6, s30
	ds_write_b64 v26, v[18:19]
	v_or_b32_e32 v18, v24, v25
	s_addc_u32 s1, s7, s31
	ds_write_b64 v18, v[20:21]
	v_perm_b32 v19, v13, v12, s3
	v_perm_b32 v18, v11, v10, s3
	;; [unrolled: 1-line block ×4, first 2 shown]
	v_or_b32_e32 v25, 16, v65
	s_mul_hi_i32 s3, s24, s13
	s_mul_i32 s24, s24, s13
	v_lshlrev_b32_e32 v37, 2, v25
	s_add_u32 s6, s24, s33
	v_or_b32_e32 v22, v22, v37
	s_addc_u32 s7, s3, s14
	v_lshlrev_b32_e32 v22, 1, v22
	s_ashr_i32 s3, s2, 31
	s_lshl_b64 s[6:7], s[6:7], 15
	ds_write2st64_b64 v22, v[18:19], v[20:21] offset0:80 offset1:88
	v_lshlrev_b32_e32 v22, 8, v25
	s_add_u32 s6, s16, s6
	v_or_b32_e32 v23, v23, v22
	s_addc_u32 s7, s17, s7
	s_lshl_b64 s[2:3], s[2:3], 8
	ds_write_b64 v23, v[18:19]
	v_or_b32_e32 v18, v24, v22
	s_add_u32 s2, s6, s2
	ds_write_b64 v18, v[20:21]
	v_lshrrev_b32_e32 v18, 4, v0
	s_addc_u32 s3, s7, s3
	v_lshlrev_b32_e32 v19, 1, v65
	v_lshlrev_b32_e32 v26, 4, v65
	v_mov_b32_e32 v27, 0
	v_or_b32_e32 v20, 1, v19
	v_xor_b32_e32 v19, v18, v19
	v_lshl_add_u64 v[28:29], s[2:3], 0, v[26:27]
	v_lshlrev_b32_e32 v26, 8, v18
	v_xor_b32_e32 v22, v20, v18
	v_lshl_or_b32 v18, v19, 3, v26
	s_waitcnt lgkmcnt(0)
	s_barrier
	ds_read2st64_b64 v[18:21], v18 offset1:8
	v_lshl_or_b32 v22, v22, 3, v26
	ds_read2st64_b64 v[22:25], v22 offset1:8
	v_lshl_add_u64 v[30:31], v[28:29], 0, v[26:27]
	s_movk_i32 s2, 0x1000
	s_waitcnt lgkmcnt(1)
	v_mov_b32_e32 v26, v18
	v_add_co_u32_e32 v18, vcc, s2, v30
	s_cmp_lg_u32 s47, 64
	v_mov_b32_e32 v27, v19
	v_addc_co_u32_e32 v19, vcc, 0, v31, vcc
	s_cselect_b64 s[6:7], -1, 0
	v_lshl_or_b32 v35, v53, 3, v67
	s_waitcnt lgkmcnt(0)
	v_mov_b32_e32 v28, v22
	v_mov_b32_e32 v29, v23
	;; [unrolled: 1-line block ×4, first 2 shown]
	s_mov_b32 s24, 0
	v_or_b32_e32 v38, 32, v35
	v_and_b32_e32 v36, 56, v66
	s_and_b64 vcc, exec, s[6:7]
	global_store_dwordx4 v[30:31], v[26:29], off
	global_store_dwordx4 v[18:19], v[22:25], off
	s_cbranch_vccz .LBB477_32
; %bb.27:
	s_mov_b32 s25, s24
	s_mov_b32 s26, s24
	;; [unrolled: 1-line block ×3, first 2 shown]
	v_mov_b64_e32 v[22:23], s[24:25]
	v_mov_b64_e32 v[24:25], s[26:27]
	;; [unrolled: 1-line block ×3, first 2 shown]
	v_cmp_gt_i32_e32 vcc, s47, v35
	v_mov_b64_e32 v[20:21], v[24:25]
	s_and_saveexec_b64 s[2:3], vcc
	s_cbranch_execz .LBB477_29
; %bb.28:
	v_lshlrev_b32_e32 v18, 8, v35
	v_mov_b32_e32 v19, 0
	v_lshl_add_u64 v[20:21], s[0:1], 0, v[18:19]
	v_lshlrev_b32_e32 v18, 1, v36
	v_lshl_add_u64 v[26:27], v[20:21], 0, v[18:19]
	global_load_dwordx4 v[22:25], v[26:27], off
	global_load_dwordx4 v[18:21], v[26:27], off offset:128
.LBB477_29:
	s_or_b64 exec, exec, s[2:3]
	s_mov_b32 s26, s24
	s_mov_b32 s27, s24
	;; [unrolled: 1-line block ×3, first 2 shown]
	v_mov_b64_e32 v[32:33], s[26:27]
	v_mov_b64_e32 v[30:31], s[24:25]
	;; [unrolled: 1-line block ×3, first 2 shown]
	v_cmp_gt_i32_e32 vcc, s47, v38
	v_lshlrev_b32_e32 v39, 7, v38
	v_mov_b64_e32 v[28:29], v[32:33]
	s_and_saveexec_b64 s[2:3], vcc
	s_cbranch_execz .LBB477_31
; %bb.30:
	v_lshlrev_b32_e32 v26, 1, v39
	v_mov_b32_e32 v27, 0
	v_lshl_add_u64 v[28:29], s[0:1], 0, v[26:27]
	v_lshlrev_b32_e32 v26, 1, v36
	v_lshl_add_u64 v[42:43], v[28:29], 0, v[26:27]
	global_load_dwordx4 v[30:33], v[42:43], off
	global_load_dwordx4 v[26:29], v[42:43], off offset:128
.LBB477_31:
	s_or_b64 exec, exec, s[2:3]
	v_lshrrev_b32_e32 v41, 3, v36
	v_lshlrev_b32_e32 v42, 3, v35
	v_or_b32_e32 v41, v42, v41
	v_lshlrev_b32_e32 v41, 4, v41
	v_and_b32_e32 v42, 0x78, v42
	v_xor_b32_e32 v41, v41, v42
	s_branch .LBB477_34
.LBB477_32:
                                        ; implicit-def: $vgpr41
                                        ; implicit-def: $vgpr39
                                        ; implicit-def: $vgpr22_vgpr23_vgpr24_vgpr25
                                        ; implicit-def: $vgpr18_vgpr19_vgpr20_vgpr21
                                        ; implicit-def: $vgpr30_vgpr31_vgpr32_vgpr33
                                        ; implicit-def: $vgpr26_vgpr27_vgpr28_vgpr29
	s_cbranch_execz .LBB477_34
; %bb.33:
	s_waitcnt vmcnt(0)
	v_lshlrev_b32_e32 v18, 1, v36
	v_lshl_or_b32 v39, v35, 8, v18
	s_and_b32 s1, s1, 0xffff
	s_mov_b32 s3, 0x20000
	s_movk_i32 s2, 0x4000
	v_lshl_or_b32 v41, v38, 8, v18
	s_movk_i32 s16, 0x80
	buffer_load_dwordx4 v[22:25], v39, s[0:3], 0 offen
	buffer_load_dwordx4 v[18:21], v39, s[0:3], s16 offen
	buffer_load_dwordx4 v[30:33], v41, s[0:3], 0 offen
	buffer_load_dwordx4 v[26:29], v41, s[0:3], s16 offen
	v_lshrrev_b32_e32 v39, 3, v36
	v_lshlrev_b32_e32 v41, 3, v35
	v_or_b32_e32 v39, v41, v39
	v_lshlrev_b32_e32 v39, 4, v39
	v_and_b32_e32 v41, 0x78, v41
	v_xor_b32_e32 v41, v39, v41
	v_lshlrev_b32_e32 v39, 7, v38
.LBB477_34:
	s_lshl_b64 s[0:1], s[44:45], 8
	s_add_u32 s4, s4, s0
	s_movk_i32 s0, 0x1000
	v_and_or_b32 v38, v39, s0, v41
	s_waitcnt vmcnt(1)
	ds_write_b64 v41, v[22:23] offset:24576
	v_xor_b32_e32 v22, 8, v41
	ds_write_b64 v22, v[24:25] offset:24576
	s_waitcnt vmcnt(0)
	ds_write_b64 v41, v[18:19] offset:32768
	ds_write_b64 v22, v[20:21] offset:32768
	;; [unrolled: 1-line block ×3, first 2 shown]
	v_xor_b32_e32 v18, 8, v38
	ds_write_b64 v18, v[32:33] offset:24576
	ds_write_b64 v38, v[26:27] offset:32768
	;; [unrolled: 1-line block ×3, first 2 shown]
	v_or_b32_e32 v18, v62, v65
	s_addc_u32 s5, s5, s1
	s_add_i32 s16, s12, -1
	v_lshlrev_b32_e32 v18, 3, v18
	v_lshrrev_b32_e32 v19, 5, v63
	s_movk_i32 s12, 0xf8
	v_and_or_b32 v19, v18, s12, v19
	v_lshlrev_b32_e32 v23, 4, v19
	v_lshlrev_b32_e32 v41, 11, v53
	v_and_b32_e32 v24, 0x78, v18
	v_or_b32_e32 v26, 32, v23
	v_and_b32_e32 v22, 0x1000, v41
	v_lshrrev_b32_e32 v19, 1, v63
	v_xor_b32_e32 v26, v26, v24
	v_xor_b32_e32 v18, v23, v24
	v_and_b32_e32 v25, 8, v19
	v_or_b32_e32 v26, v26, v22
	v_or_b32_e32 v18, v18, v22
	v_xor_b32_e32 v45, v26, v25
	v_or_b32_e32 v26, 64, v23
	v_xor_b32_e32 v44, v18, v25
	v_xor_b32_e32 v26, v26, v24
	s_waitcnt lgkmcnt(0)
	s_barrier
	v_or_b32_e32 v28, v26, v22
	ds_read_b64 v[26:27], v44 offset:24576
	v_lshl_or_b32 v38, v64, 7, v40
	v_lshlrev_b32_e32 v42, 1, v38
	v_add_u32_e32 v18, 0xa000, v42
	ds_read2_b64 v[18:21], v18 offset1:16
	v_or_b32_e32 v23, 0x60, v23
	v_xor_b32_e32 v23, v23, v24
	s_waitcnt lgkmcnt(0)
	v_mfma_f32_16x16x16_bf16 a[0:3], v[26:27], v[18:19], 0
	v_or_b32_e32 v18, 64, v38
	v_or_b32_e32 v22, v23, v22
	v_lshlrev_b32_e32 v43, 1, v18
	v_xor_b32_e32 v46, v28, v25
	v_xor_b32_e32 v47, v22, v25
	ds_read_b64 v[28:29], v45 offset:24576
	ds_read_b64 v[30:31], v46 offset:24576
	ds_read_b64 v[32:33], v47 offset:24576
	v_mfma_f32_16x16x16_bf16 a[4:7], v[26:27], v[20:21], 0
	ds_read2st64_b64 v[18:21], v43 offset0:82 offset1:84
	ds_read2st64_b64 v[22:25], v42 offset0:82 offset1:84
	s_add_i32 s0, s49, s21
	s_mul_i32 s41, s41, s20
	s_add_i32 s41, s0, s41
	s_mul_i32 s0, s33, s23
	s_mul_hi_u32 s1, s33, s22
	s_ashr_i32 s2, s16, 31
	s_mul_i32 s3, s16, s39
	s_mul_hi_u32 s12, s16, s38
	s_add_i32 s0, s1, s0
	s_mul_i32 s1, s14, s22
	s_add_i32 s3, s12, s3
	s_mul_i32 s2, s2, s38
	s_waitcnt lgkmcnt(1)
	v_mfma_f32_16x16x16_bf16 a[4:7], v[28:29], v[18:19], a[4:7]
	s_add_i32 s1, s0, s1
	s_add_i32 s3, s3, s2
	s_lshl_b64 s[20:21], s[40:41], 2
	s_waitcnt lgkmcnt(0)
	v_mfma_f32_16x16x16_bf16 a[0:3], v[28:29], v[22:23], a[0:3]
	s_mul_i32 s0, s33, s22
	s_add_u32 s10, s10, s20
	s_addc_u32 s11, s11, s21
	s_lshl_b64 s[0:1], s[0:1], 2
	s_mul_i32 s2, s16, s38
	s_add_u32 s10, s10, s0
	ds_read_b64 v[18:19], v42 offset:44032
	v_mfma_f32_16x16x16_bf16 a[4:7], v[30:31], v[20:21], a[4:7]
	ds_read_b64 v[20:21], v43 offset:44032
	s_addc_u32 s11, s11, s1
	s_lshl_b64 s[0:1], s[2:3], 2
	v_mfma_f32_16x16x16_bf16 a[0:3], v[30:31], v[24:25], a[0:3]
	s_add_u32 s0, s10, s0
	s_addc_u32 s1, s11, s1
	s_load_dword s12, s[0:1], 0x0
	s_waitcnt lgkmcnt(0)
	v_mfma_f32_16x16x16_bf16 a[0:3], v[32:33], v[18:19], a[0:3]
	s_and_b64 vcc, exec, s[42:43]
	v_mfma_f32_16x16x16_bf16 a[4:7], v[32:33], v[20:21], a[4:7]
	s_cbranch_vccz .LBB477_45
; %bb.35:
	v_lshlrev_b32_e32 v38, 1, v35
	s_and_b64 vcc, exec, s[6:7]
	s_cbranch_vccz .LBB477_46
; %bb.36:
	v_cmp_gt_i32_e32 vcc, s47, v38
	v_mov_b32_e32 v22, 0
	v_mov_b32_e32 v18, 0
	;; [unrolled: 1-line block ×5, first 2 shown]
	s_and_saveexec_b64 s[0:1], vcc
	s_cbranch_execz .LBB477_38
; %bb.37:
	v_mad_i64_i32 v[18:19], s[2:3], s15, v38, 0
	v_lshl_add_u64 v[18:19], v[18:19], 1, s[4:5]
	v_lshlrev_b32_e32 v20, 1, v36
	v_mov_b32_e32 v21, 0
	v_lshl_add_u64 v[18:19], v[18:19], 0, v[20:21]
	global_load_dwordx4 v[18:21], v[18:19], off
.LBB477_38:
	s_or_b64 exec, exec, s[0:1]
	v_or_b32_e32 v39, 1, v38
	v_cmp_gt_i32_e64 s[0:1], s47, v39
	v_mov_b32_e32 v23, 0
	v_mov_b32_e32 v24, 0
	;; [unrolled: 1-line block ×3, first 2 shown]
	s_and_saveexec_b64 s[2:3], s[0:1]
	s_cbranch_execz .LBB477_40
; %bb.39:
	v_mad_i64_i32 v[22:23], s[20:21], s15, v39, 0
	v_lshl_add_u64 v[22:23], v[22:23], 1, s[4:5]
	v_lshlrev_b32_e32 v24, 1, v36
	v_mov_b32_e32 v25, 0
	v_lshl_add_u64 v[22:23], v[22:23], 0, v[24:25]
	global_load_dwordx4 v[22:25], v[22:23], off
.LBB477_40:
	s_or_b64 exec, exec, s[2:3]
	v_mov_b32_e32 v33, 0
	v_mov_b32_e32 v26, 0
	;; [unrolled: 1-line block ×5, first 2 shown]
	s_and_saveexec_b64 s[2:3], vcc
	s_cbranch_execz .LBB477_42
; %bb.41:
	v_mad_i64_i32 v[26:27], s[20:21], s15, v38, 0
	v_lshl_add_u64 v[26:27], v[26:27], 1, s[4:5]
	v_lshlrev_b32_e32 v28, 1, v36
	v_mov_b32_e32 v29, 0
	v_lshl_add_u64 v[26:27], v[26:27], 0, v[28:29]
	global_load_dwordx4 v[26:29], v[26:27], off offset:128
.LBB477_42:
	s_or_b64 exec, exec, s[2:3]
	v_mov_b32_e32 v32, 0
	v_mov_b32_e32 v31, 0
	v_mov_b32_e32 v30, 0
	s_and_saveexec_b64 s[2:3], s[0:1]
	s_cbranch_execz .LBB477_44
; %bb.43:
	v_mad_i64_i32 v[30:31], s[0:1], s15, v39, 0
	v_lshl_add_u64 v[30:31], v[30:31], 1, s[4:5]
	v_lshlrev_b32_e32 v32, 1, v36
	v_mov_b32_e32 v33, 0
	v_lshl_add_u64 v[30:31], v[30:31], 0, v[32:33]
	global_load_dwordx4 v[30:33], v[30:31], off offset:128
.LBB477_44:
	s_or_b64 exec, exec, s[2:3]
	s_branch .LBB477_48
.LBB477_45:
                                        ; implicit-def: $vgpr21
                                        ; implicit-def: $vgpr25
                                        ; implicit-def: $vgpr29
                                        ; implicit-def: $vgpr33
	v_lshrrev_b32_e32 v48, 2, v63
	s_branch .LBB477_49
.LBB477_46:
                                        ; implicit-def: $vgpr21
                                        ; implicit-def: $vgpr25
                                        ; implicit-def: $vgpr29
                                        ; implicit-def: $vgpr33
	s_cbranch_execz .LBB477_48
; %bb.47:
	s_waitcnt vmcnt(0)
	v_mad_u64_u32 v[18:19], s[0:1], v38, s15, v[36:37]
	v_lshlrev_b32_e32 v38, 1, v18
	s_lshl_b32 s2, s15, 7
	s_and_b32 s1, s5, 0xffff
	s_mov_b32 s3, 0x20000
	s_mov_b32 s0, s4
	v_add_lshl_u32 v39, v18, s15, 1
	s_movk_i32 s15, 0x80
	buffer_load_dwordx4 v[18:21], v38, s[0:3], 0 offen
	buffer_load_dwordx4 v[26:29], v38, s[0:3], s15 offen
	;; [unrolled: 1-line block ×4, first 2 shown]
.LBB477_48:
	v_lshrrev_b32_e32 v48, 2, v63
	s_cbranch_execnz .LBB477_61
.LBB477_49:
	s_and_b64 vcc, exec, s[6:7]
	s_cbranch_vccz .LBB477_59
; %bb.50:
	s_waitcnt vmcnt(0)
	v_lshlrev_b32_e32 v23, 1, v35
	v_cmp_gt_i32_e32 vcc, s47, v23
	v_mov_b32_e32 v22, 0
	v_lshlrev_b32_e32 v30, 9, v35
	v_mov_b32_e32 v18, 0
	v_mov_b32_e32 v19, 0
	;; [unrolled: 1-line block ×4, first 2 shown]
	s_and_saveexec_b64 s[0:1], vcc
	s_cbranch_execz .LBB477_52
; %bb.51:
	v_mov_b32_e32 v31, 0
	v_lshl_add_u64 v[18:19], s[4:5], 0, v[30:31]
	v_lshlrev_b32_e32 v20, 1, v36
	v_mov_b32_e32 v21, v31
	v_lshl_add_u64 v[18:19], v[18:19], 0, v[20:21]
	global_load_dwordx4 v[18:21], v[18:19], off
.LBB477_52:
	s_or_b64 exec, exec, s[0:1]
	v_or_b32_e32 v23, 1, v23
	v_cmp_gt_i32_e64 s[0:1], s47, v23
	v_lshlrev_b32_e32 v38, 8, v23
	v_mov_b32_e32 v23, 0
	v_mov_b32_e32 v24, 0
	;; [unrolled: 1-line block ×3, first 2 shown]
	s_and_saveexec_b64 s[2:3], s[0:1]
	s_cbranch_execz .LBB477_54
; %bb.53:
	v_mov_b32_e32 v39, 0
	v_lshl_add_u64 v[22:23], s[4:5], 0, v[38:39]
	v_lshlrev_b32_e32 v24, 1, v36
	v_mov_b32_e32 v25, v39
	v_lshl_add_u64 v[22:23], v[22:23], 0, v[24:25]
	global_load_dwordx4 v[22:25], v[22:23], off
.LBB477_54:
	s_or_b64 exec, exec, s[2:3]
	v_mov_b32_e32 v33, 0
	v_mov_b32_e32 v26, 0
	;; [unrolled: 1-line block ×5, first 2 shown]
	s_and_saveexec_b64 s[2:3], vcc
	s_cbranch_execz .LBB477_56
; %bb.55:
	v_mov_b32_e32 v31, 0
	v_lshl_add_u64 v[26:27], s[4:5], 0, v[30:31]
	v_lshlrev_b32_e32 v30, 1, v36
	v_lshl_add_u64 v[26:27], v[26:27], 0, v[30:31]
	global_load_dwordx4 v[26:29], v[26:27], off offset:128
.LBB477_56:
	s_or_b64 exec, exec, s[2:3]
	v_mov_b32_e32 v32, 0
	v_mov_b32_e32 v31, 0
	;; [unrolled: 1-line block ×3, first 2 shown]
	s_and_saveexec_b64 s[2:3], s[0:1]
	s_cbranch_execz .LBB477_58
; %bb.57:
	v_mov_b32_e32 v39, 0
	v_lshl_add_u64 v[30:31], s[4:5], 0, v[38:39]
	v_lshlrev_b32_e32 v38, 1, v36
	v_lshl_add_u64 v[30:31], v[30:31], 0, v[38:39]
	global_load_dwordx4 v[30:33], v[30:31], off offset:128
.LBB477_58:
	s_or_b64 exec, exec, s[2:3]
	s_branch .LBB477_61
.LBB477_59:
                                        ; implicit-def: $vgpr21
                                        ; implicit-def: $vgpr25
                                        ; implicit-def: $vgpr29
                                        ; implicit-def: $vgpr33
	s_cbranch_execz .LBB477_61
; %bb.60:
	s_waitcnt vmcnt(0)
	v_lshlrev_b32_e32 v18, 1, v36
	v_lshl_or_b32 v36, v35, 9, v18
	s_and_b32 s5, s5, 0xffff
	s_mov_b32 s7, 0x20000
	s_movk_i32 s6, 0x4000
	s_movk_i32 s0, 0x80
	buffer_load_dwordx4 v[18:21], v36, s[4:7], 0 offen
	buffer_load_dwordx4 v[22:25], v36, s[4:7], 0 offen offset:256
	buffer_load_dwordx4 v[26:29], v36, s[4:7], s0 offen
	buffer_load_dwordx4 v[30:33], v36, s[4:7], s0 offen offset:256
.LBB477_61:
	ds_read_b64 v[38:39], v44 offset:32768
	v_add_u32_e32 v36, 0xb000, v42
	ds_read2_b64 v[54:57], v36 offset1:16
	ds_read_b64 v[50:51], v45 offset:32768
	ds_read_b64 v[58:59], v46 offset:32768
	;; [unrolled: 1-line block ×3, first 2 shown]
	ds_read2st64_b64 v[44:47], v42 offset0:90 offset1:92
	v_and_b32_e32 v36, 12, v48
	v_and_b32_e32 v48, 6, v0
	v_xor_b32_e32 v35, v35, v48
	v_lshlrev_b32_e32 v35, 2, v35
	s_mov_b32 s0, 0x1000504
	s_waitcnt lgkmcnt(4)
	v_mfma_f32_16x16x16_bf16 a[0:3], v[38:39], v[54:55], a[0:3]
	s_mov_b32 s1, 0x3020706
	v_mfma_f32_16x16x16_bf16 a[4:7], v[38:39], v[56:57], a[4:7]
	ds_read2st64_b64 v[54:57], v43 offset0:90 offset1:92
	s_waitcnt lgkmcnt(1)
	v_mfma_f32_16x16x16_bf16 a[0:3], v[50:51], v[44:45], a[0:3]
	ds_read_b64 v[38:39], v42 offset:48128
	ds_read_b64 v[44:45], v43 offset:48128
	s_waitcnt lgkmcnt(2)
	v_mfma_f32_16x16x16_bf16 a[4:7], v[50:51], v[54:55], a[4:7]
	v_mfma_f32_16x16x16_bf16 a[0:3], v[58:59], v[46:47], a[0:3]
	v_and_b32_e32 v46, 1, v0
	v_xor_b32_e32 v47, 0x440, v35
	v_cmp_eq_u32_e32 vcc, 0, v46
	v_mfma_f32_16x16x16_bf16 a[8:11], v[58:59], v[56:57], a[4:7]
	s_nop 0
	v_cndmask_b32_e32 v35, v47, v35, vcc
	v_lshl_or_b32 v35, v48, 10, v35
	s_waitcnt lgkmcnt(1)
	v_mfma_f32_16x16x16_bf16 a[4:7], v[60:61], v[38:39], a[0:3]
	s_waitcnt vmcnt(0)
	v_perm_b32 v38, v18, v22, s0
	v_perm_b32 v39, v26, v30, s0
	ds_write2st64_b32 v35, v38, v39 offset0:32 offset1:64
	v_xor_b32_e32 v38, 8, v35
	v_perm_b32 v18, v18, v22, s1
	v_perm_b32 v22, v26, v30, s1
	v_add_u32_e32 v26, 0x80, v38
	ds_write2st64_b32 v26, v18, v22 offset0:32 offset1:64
	v_xor_b32_e32 v18, 16, v35
	v_perm_b32 v22, v19, v23, s0
	v_perm_b32 v26, v27, v31, s0
	ds_write2st64_b32 v18, v22, v26 offset0:33 offset1:65
	v_xor_b32_e32 v18, 24, v35
	v_perm_b32 v19, v19, v23, s1
	v_perm_b32 v22, v27, v31, s1
	v_add_u32_e32 v18, 0x80, v18
	ds_write2st64_b32 v18, v19, v22 offset0:33 offset1:65
	v_xor_b32_e32 v18, 32, v35
	v_perm_b32 v19, v20, v24, s0
	v_perm_b32 v22, v28, v32, s0
	ds_write2st64_b32 v18, v19, v22 offset0:34 offset1:66
	v_xor_b32_e32 v18, 40, v35
	s_waitcnt lgkmcnt(5)
	v_mfma_f32_16x16x16_bf16 a[0:3], v[60:61], v[44:45], a[8:11]
	v_perm_b32 v19, v20, v24, s1
	v_perm_b32 v20, v28, v32, s1
	v_add_u32_e32 v18, 0x80, v18
	ds_write2st64_b32 v18, v19, v20 offset0:34 offset1:66
	v_xor_b32_e32 v18, 48, v35
	v_perm_b32 v19, v21, v25, s0
	v_perm_b32 v20, v29, v33, s0
	ds_write2st64_b32 v18, v19, v20 offset0:35 offset1:67
	v_xor_b32_e32 v18, 56, v35
	v_or_b32_e32 v38, v36, v62
	v_perm_b32 v19, v21, v25, s1
	v_perm_b32 v20, v29, v33, s1
	v_add_u32_e32 v18, 0x80, v18
	v_cmp_gt_i32_e32 vcc, s47, v38
	v_mov_b32_e32 v39, 0
	v_mov_b32_e32 v45, 0
	ds_write2st64_b32 v18, v19, v20 offset0:35 offset1:67
	s_and_saveexec_b64 s[0:1], vcc
	s_cbranch_execz .LBB477_63
; %bb.62:
	v_add_u32_e32 v18, s46, v38
	v_ashrrev_i32_e32 v19, 31, v18
	v_mul_lo_u32 v20, v19, s38
	v_mul_lo_u32 v21, v18, s39
	v_mad_u64_u32 v[18:19], s[2:3], v18, s38, 0
	v_add3_u32 v19, v19, v21, v20
	v_lshl_add_u64 v[18:19], v[18:19], 2, s[10:11]
	global_load_dword v18, v[18:19], off
	s_waitcnt vmcnt(0)
	v_sub_f32_e32 v18, s12, v18
	v_mul_f32_e32 v18, 0x3fb8aa3b, v18
	v_exp_f32_e32 v45, v18
.LBB477_63:
	s_or_b64 exec, exec, s[0:1]
	v_or_b32_e32 v29, 1, v38
	v_cmp_gt_i32_e64 s[0:1], s47, v29
	s_and_saveexec_b64 s[2:3], s[0:1]
	s_cbranch_execz .LBB477_65
; %bb.64:
	v_add_u32_e32 v18, s46, v29
	v_ashrrev_i32_e32 v19, 31, v18
	v_mul_lo_u32 v20, v19, s38
	v_mul_lo_u32 v21, v18, s39
	v_mad_u64_u32 v[18:19], s[4:5], v18, s38, 0
	v_add3_u32 v19, v19, v21, v20
	v_lshl_add_u64 v[18:19], v[18:19], 2, s[10:11]
	global_load_dword v18, v[18:19], off
	s_waitcnt vmcnt(0)
	v_sub_f32_e32 v18, s12, v18
	v_mul_f32_e32 v18, 0x3fb8aa3b, v18
	v_exp_f32_e32 v39, v18
.LBB477_65:
	s_or_b64 exec, exec, s[2:3]
	v_or_b32_e32 v28, 2, v38
	v_cmp_gt_i32_e64 s[2:3], s47, v28
	v_mov_b32_e32 v44, 0
	v_mov_b32_e32 v46, 0
	s_and_saveexec_b64 s[4:5], s[2:3]
	s_cbranch_execz .LBB477_67
; %bb.66:
	v_add_u32_e32 v18, s46, v28
	v_ashrrev_i32_e32 v19, 31, v18
	v_mul_lo_u32 v20, v19, s38
	v_mul_lo_u32 v21, v18, s39
	v_mad_u64_u32 v[18:19], s[6:7], v18, s38, 0
	v_add3_u32 v19, v19, v21, v20
	v_lshl_add_u64 v[18:19], v[18:19], 2, s[10:11]
	global_load_dword v18, v[18:19], off
	s_waitcnt vmcnt(0)
	v_sub_f32_e32 v18, s12, v18
	v_mul_f32_e32 v18, 0x3fb8aa3b, v18
	v_exp_f32_e32 v46, v18
.LBB477_67:
	s_or_b64 exec, exec, s[4:5]
	v_or_b32_e32 v47, 3, v38
	v_cmp_gt_i32_e64 s[4:5], s47, v47
	s_and_saveexec_b64 s[6:7], s[4:5]
	s_cbranch_execz .LBB477_69
; %bb.68:
	v_add_u32_e32 v18, s46, v47
	v_ashrrev_i32_e32 v19, 31, v18
	v_mul_lo_u32 v20, v19, s38
	v_mul_lo_u32 v21, v18, s39
	v_mad_u64_u32 v[18:19], s[20:21], v18, s38, 0
	v_add3_u32 v19, v19, v21, v20
	v_lshl_add_u64 v[18:19], v[18:19], 2, s[10:11]
	global_load_dword v18, v[18:19], off
	s_waitcnt vmcnt(0)
	v_sub_f32_e32 v18, s12, v18
	v_mul_f32_e32 v18, 0x3fb8aa3b, v18
	v_exp_f32_e32 v44, v18
.LBB477_69:
	s_or_b64 exec, exec, s[6:7]
	s_add_u32 s6, s8, s30
	s_addc_u32 s7, s9, s31
	s_add_u32 s8, s18, s30
	v_ashrrev_i32_e32 v35, 31, v34
	v_accvgpr_read_b32 v21, a7
	s_addc_u32 s9, s19, s31
	v_lshlrev_b64 v[22:23], 1, v[34:35]
	v_accvgpr_read_b32 v20, a6
	v_accvgpr_read_b32 v19, a5
	;; [unrolled: 1-line block ×3, first 2 shown]
	v_lshl_add_u64 v[24:25], s[6:7], 0, v[22:23]
	v_lshl_add_u64 v[22:23], s[8:9], 0, v[22:23]
	v_mov_b32_e32 v31, 0
	v_lshlrev_b32_e32 v26, 8, v38
	v_mov_b32_e32 v27, 0
	s_and_saveexec_b64 s[6:7], vcc
	s_cbranch_execz .LBB477_71
; %bb.70:
	v_mov_b32_e32 v27, 0
	v_lshl_add_u64 v[32:33], v[24:25], 0, v[26:27]
	global_load_ushort v30, v[32:33], off
	v_lshl_add_u64 v[32:33], v[22:23], 0, v[26:27]
	s_waitcnt vmcnt(0)
	v_lshlrev_b32_e32 v27, 16, v30
	v_sub_f32_e32 v18, v27, v18
	global_store_short_d16_hi v[32:33], v18, off
	v_mul_f32_e32 v18, v45, v18
	v_lshrrev_b32_e32 v27, 16, v18
.LBB477_71:
	s_or_b64 exec, exec, s[6:7]
	v_lshlrev_b32_e32 v30, 8, v29
	s_and_saveexec_b64 s[6:7], s[0:1]
	s_cbranch_execz .LBB477_73
; %bb.72:
	v_mov_b32_e32 v31, 0
	v_lshl_add_u64 v[32:33], v[24:25], 0, v[30:31]
	global_load_ushort v18, v[32:33], off
	v_lshl_add_u64 v[32:33], v[22:23], 0, v[30:31]
	s_waitcnt vmcnt(0)
	v_lshlrev_b32_e32 v18, 16, v18
	v_sub_f32_e32 v18, v18, v19
	global_store_short_d16_hi v[32:33], v18, off
	v_mul_f32_e32 v18, v39, v18
	v_lshrrev_b32_e32 v31, 16, v18
.LBB477_73:
	s_or_b64 exec, exec, s[6:7]
	v_mov_b32_e32 v29, 0
	v_lshlrev_b32_e32 v32, 8, v28
	v_mov_b32_e32 v33, 0
	s_and_saveexec_b64 s[6:7], s[2:3]
	s_cbranch_execz .LBB477_75
; %bb.74:
	v_mov_b32_e32 v33, 0
	v_lshl_add_u64 v[18:19], v[24:25], 0, v[32:33]
	global_load_ushort v28, v[18:19], off
	v_lshl_add_u64 v[18:19], v[22:23], 0, v[32:33]
	s_waitcnt vmcnt(0)
	v_lshlrev_b32_e32 v28, 16, v28
	v_sub_f32_e32 v20, v28, v20
	global_store_short_d16_hi v[18:19], v20, off
	v_mul_f32_e32 v18, v46, v20
	v_lshrrev_b32_e32 v33, 16, v18
.LBB477_75:
	s_or_b64 exec, exec, s[6:7]
	v_lshlrev_b32_e32 v28, 8, v47
	s_and_saveexec_b64 s[6:7], s[4:5]
	s_cbranch_execz .LBB477_77
; %bb.76:
	v_mov_b32_e32 v29, 0
	v_lshl_add_u64 v[18:19], v[24:25], 0, v[28:29]
	global_load_ushort v20, v[18:19], off
	v_lshl_add_u64 v[18:19], v[22:23], 0, v[28:29]
	s_waitcnt vmcnt(0)
	v_lshlrev_b32_e32 v20, 16, v20
	v_sub_f32_e32 v20, v20, v21
	global_store_short_d16_hi v[18:19], v20, off
	v_mul_f32_e32 v18, v44, v20
	v_lshrrev_b32_e32 v29, 16, v18
.LBB477_77:
	s_or_b64 exec, exec, s[6:7]
	v_lshlrev_b32_e32 v35, 5, v38
	s_mov_b32 s6, 0x5040100
	v_perm_b32 v48, v31, v27, s6
	v_or_b32_e32 v27, v35, v40
	v_accvgpr_read_b32 v21, a3
	v_perm_b32 v49, v29, v33, s6
	v_lshlrev_b32_e32 v27, 1, v27
	v_accvgpr_read_b32 v20, a2
	v_accvgpr_read_b32 v19, a1
	;; [unrolled: 1-line block ×3, first 2 shown]
	ds_write_b64 v27, v[48:49] offset:45056
	v_mov_b32_e32 v31, 0
	v_mov_b32_e32 v27, 0
	s_and_saveexec_b64 s[6:7], vcc
	s_cbranch_execz .LBB477_79
; %bb.78:
	v_mov_b32_e32 v27, 0
	v_lshl_add_u64 v[48:49], v[24:25], 0, v[26:27]
	global_load_ushort v29, v[48:49], off offset:32
	v_lshl_add_u64 v[26:27], v[22:23], 0, v[26:27]
	s_waitcnt vmcnt(0)
	v_lshlrev_b32_e32 v29, 16, v29
	v_sub_f32_e32 v18, v29, v18
	global_store_short_d16_hi v[26:27], v18, off offset:32
	v_mul_f32_e32 v18, v45, v18
	v_lshrrev_b32_e32 v27, 16, v18
.LBB477_79:
	s_or_b64 exec, exec, s[6:7]
	s_and_saveexec_b64 s[6:7], s[0:1]
	s_cbranch_execz .LBB477_81
; %bb.80:
	v_mov_b32_e32 v31, 0
	v_lshl_add_u64 v[48:49], v[24:25], 0, v[30:31]
	global_load_ushort v18, v[48:49], off offset:32
	v_lshl_add_u64 v[30:31], v[22:23], 0, v[30:31]
	s_waitcnt vmcnt(0)
	v_lshlrev_b32_e32 v18, 16, v18
	v_sub_f32_e32 v18, v18, v19
	global_store_short_d16_hi v[30:31], v18, off offset:32
	v_mul_f32_e32 v18, v39, v18
	v_lshrrev_b32_e32 v31, 16, v18
.LBB477_81:
	s_or_b64 exec, exec, s[6:7]
	v_mov_b32_e32 v26, 0
	v_mov_b32_e32 v30, 0
	s_and_saveexec_b64 s[0:1], s[2:3]
	s_cbranch_execz .LBB477_83
; %bb.82:
	v_mov_b32_e32 v33, 0
	v_lshl_add_u64 v[18:19], v[24:25], 0, v[32:33]
	global_load_ushort v29, v[18:19], off offset:32
	v_lshl_add_u64 v[18:19], v[22:23], 0, v[32:33]
	s_waitcnt vmcnt(0)
	v_lshlrev_b32_e32 v29, 16, v29
	v_sub_f32_e32 v20, v29, v20
	global_store_short_d16_hi v[18:19], v20, off offset:32
	v_mul_f32_e32 v18, v46, v20
	v_lshrrev_b32_e32 v30, 16, v18
.LBB477_83:
	s_or_b64 exec, exec, s[0:1]
	v_or_b32_e32 v19, 0xb000, v42
	v_or_b32_e32 v18, 0xb000, v43
	s_and_saveexec_b64 s[0:1], s[4:5]
	s_cbranch_execz .LBB477_85
; %bb.84:
	v_mov_b32_e32 v29, 0
	v_lshl_add_u64 v[24:25], v[24:25], 0, v[28:29]
	global_load_ushort v20, v[24:25], off offset:32
	v_lshl_add_u64 v[22:23], v[22:23], 0, v[28:29]
	s_waitcnt vmcnt(0)
	v_lshlrev_b32_e32 v20, 16, v20
	v_sub_f32_e32 v20, v20, v21
	global_store_short_d16_hi v[22:23], v20, off offset:32
	v_mul_f32_e32 v20, v44, v20
	v_lshrrev_b32_e32 v26, 16, v20
.LBB477_85:
	s_or_b64 exec, exec, s[0:1]
	s_mov_b32 s0, 0x5040100
	v_or_b32_e32 v22, v35, v37
	v_perm_b32 v21, v26, v30, s0
	v_perm_b32 v20, v31, v27, s0
	v_lshlrev_b32_e32 v22, 1, v22
	s_movk_i32 s2, 0x100
	ds_write_b64 v22, v[20:21] offset:45056
	v_and_b32_e32 v20, 7, v0
	v_and_b32_e32 v21, 8, v0
	v_cmp_gt_u32_e32 vcc, s2, v0
	v_lshrrev_b32_e32 v0, 1, v0
	v_lshlrev_b32_e32 v26, 3, v20
	v_lshlrev_b32_e32 v35, 7, v20
	v_mov_b32_e32 v20, 0x4000
	v_mov_b32_e32 v22, 0x2000
	v_lshlrev_b32_e32 v24, 3, v53
	v_and_b32_e32 v0, 24, v0
	v_cndmask_b32_e32 v27, v20, v22, vcc
	v_xor_b32_e32 v20, v24, v0
	v_or_b32_e32 v22, 0x440, v20
	v_cmp_eq_u32_e32 vcc, 0, v21
	v_or_b32_e32 v28, 32, v0
	v_xor_b32_e32 v28, v24, v28
	v_cndmask_b32_e32 v20, v22, v20, vcc
	v_or_b32_e32 v20, v20, v41
	v_xor_b32_e32 v48, v20, v26
	v_or_b32_e32 v29, 0x440, v28
	v_add3_u32 v25, v27, v48, v35
	v_cndmask_b32_e32 v28, v29, v28, vcc
	v_or_b32_e32 v29, 64, v0
	v_or_b32_e32 v0, 0x60, v0
	s_waitcnt lgkmcnt(0)
	s_barrier
	v_xor_b32_e32 v29, v24, v29
	v_xor_b32_e32 v0, v24, v0
	ds_read_b64 v[24:25], v25
	v_xor_b32_e32 v30, 0x440, v29
	ds_read2_b64 v[20:23], v19 offset1:16
	v_cndmask_b32_e32 v29, v30, v29, vcc
	v_xor_b32_e32 v30, 0x440, v0
	v_or_b32_e32 v28, v28, v41
	v_or_b32_e32 v29, v29, v41
	v_cndmask_b32_e32 v0, v30, v0, vcc
	s_add_i32 s0, s16, s48
	v_xor_b32_e32 v50, v28, v26
	v_xor_b32_e32 v51, v29, v26
	v_or_b32_e32 v0, v0, v41
	s_mul_hi_i32 s1, s0, s13
	v_add3_u32 v28, v27, v50, v35
	v_add3_u32 v29, v27, v51, v35
	v_xor_b32_e32 v52, v0, v26
	s_mul_i32 s0, s0, s13
	v_add3_u32 v0, v27, v52, v35
	ds_read_b64 v[26:27], v28
	ds_read_b64 v[32:33], v29
	;; [unrolled: 1-line block ×3, first 2 shown]
	s_add_u32 s0, s0, s33
	ds_read2st64_b64 v[28:31], v19 offset0:2 offset1:4
	ds_read2st64_b64 v[40:43], v18 offset0:2 offset1:4
	s_waitcnt lgkmcnt(5)
	v_mfma_f32_16x16x16_bf16 a[0:3], v[24:25], v[20:21], 0
	s_addc_u32 s1, s1, s14
	s_lshl_b64 s[0:1], s[0:1], 9
	s_add_u32 s0, s36, s0
	v_mfma_f32_16x16x16_bf16 a[4:7], v[24:25], v[22:23], 0
	s_addc_u32 s1, s37, s1
	v_lshlrev_b32_e32 v0, 2, v38
	v_lshlrev_b32_e32 v36, 2, v36
	s_waitcnt lgkmcnt(1)
	v_mfma_f32_16x16x16_bf16 a[0:3], v[26:27], v[28:29], a[0:3]
	ds_read_b64 v[46:47], v19 offset:3072
	s_waitcnt lgkmcnt(1)
	v_mfma_f32_16x16x16_bf16 a[4:7], v[26:27], v[40:41], a[4:7]
	global_load_dwordx4 v[24:27], v0, s[0:1]
	v_lshlrev_b32_e32 v0, 6, v53
	v_or3_b32 v0, v0, v36, s2
	global_load_dwordx4 v[36:39], v0, s[0:1]
	v_mfma_f32_16x16x16_bf16 a[0:3], v[32:33], v[30:31], a[0:3]
	v_mov_b32_e32 v0, 0x3fb8aa3b
	v_mul_f32_e32 v0, s12, v0
	v_exp_f32_e32 v0, v0
	v_mfma_f32_16x16x16_bf16 a[4:7], v[32:33], v[42:43], a[4:7]
	ds_read_b64 v[32:33], v18 offset:3072
	s_waitcnt vmcnt(1)
	v_mul_f32_e32 v18, 0x3fb8aa3b, v24
	v_mul_f32_e32 v19, 0x3fb8aa3b, v25
	s_waitcnt lgkmcnt(1)
	v_mfma_f32_16x16x16_bf16 a[0:3], v[44:45], v[46:47], a[0:3]
	v_exp_f32_e32 v18, v18
	v_exp_f32_e32 v19, v19
	v_mul_f32_e32 v24, 0x3fb8aa3b, v26
	v_mul_f32_e32 v25, 0x3fb8aa3b, v27
	v_exp_f32_e32 v24, v24
	v_exp_f32_e32 v25, v25
	s_nop 0
	v_accvgpr_read_b32 v27, a3
	v_accvgpr_read_b32 v26, a2
	s_waitcnt lgkmcnt(0)
	v_mfma_f32_16x16x16_bf16 a[2:5], v[44:45], v[32:33], a[4:7]
	v_pk_mul_f32 v[44:45], v[0:1], v[18:19] op_sel_hi:[0,1]
	v_add_u32_e32 v18, v48, v35
	ds_read_b64 v[48:49], v18 offset:16384
	v_accvgpr_read_b32 v19, a1
	v_accvgpr_read_b32 v18, a0
	v_pk_fma_f32 v[18:19], v[2:3], v[44:45], v[18:19]
	v_add_u32_e32 v2, v50, v35
	v_add_u32_e32 v50, v51, v35
	s_waitcnt lgkmcnt(0)
	v_mfma_f32_16x16x16_bf16 a[6:9], v[48:49], v[20:21], 0
	v_add_u32_e32 v35, v52, v35
	ds_read_b64 v[2:3], v2 offset:16384
	ds_read_b64 v[50:51], v50 offset:16384
	;; [unrolled: 1-line block ×3, first 2 shown]
	v_pk_mul_f32 v[24:25], v[0:1], v[24:25] op_sel_hi:[0,1]
	v_pk_fma_f32 v[20:21], v[4:5], v[24:25], v[26:27]
	v_accvgpr_read_b32 v4, a2
	v_mfma_f32_16x16x16_bf16 a[10:13], v[48:49], v[22:23], 0
	v_fma_f32 v26, v10, v44, v4
	v_accvgpr_read_b32 v4, a3
	v_fma_f32 v27, v11, v45, v4
	s_waitcnt lgkmcnt(2)
	v_mfma_f32_16x16x16_bf16 a[0:3], v[2:3], v[28:29], a[6:9]
	v_accvgpr_read_b32 v4, a4
	v_accvgpr_read_b32 v29, a5
	v_fma_f32 v28, v12, v24, v4
	v_mfma_f32_16x16x16_bf16 a[4:7], v[2:3], v[40:41], a[10:13]
	s_waitcnt vmcnt(0)
	v_mov_b32_e32 v2, v37
	v_mov_b32_e32 v3, v38
	;; [unrolled: 1-line block ×3, first 2 shown]
	s_waitcnt lgkmcnt(1)
	v_mfma_f32_16x16x16_bf16 a[0:3], v[50:51], v[30:31], a[0:3]
	v_mul_f32_e32 v2, 0x3fb8aa3b, v2
	v_mul_f32_e32 v5, 0x3fb8aa3b, v36
	v_exp_f32_e32 v11, v2
	v_mfma_f32_16x16x16_bf16 a[4:7], v[50:51], v[42:43], a[4:7]
	v_mul_f32_e32 v2, 0x3fb8aa3b, v3
	v_mul_f32_e32 v3, 0x3fb8aa3b, v4
	v_exp_f32_e32 v10, v5
	s_waitcnt lgkmcnt(0)
	v_mfma_f32_16x16x16_bf16 a[0:3], v[52:53], v[46:47], a[0:3]
	v_exp_f32_e32 v2, v2
	v_exp_f32_e32 v3, v3
	v_pk_mul_f32 v[10:11], v[0:1], v[10:11] op_sel_hi:[0,1]
	v_fmac_f32_e32 v29, v13, v25
	v_mov_b32_e32 v35, v34
	v_pk_mul_f32 v[2:3], v[0:1], v[2:3] op_sel_hi:[0,1]
	s_nop 0
	v_accvgpr_read_b32 v5, a3
	v_accvgpr_read_b32 v4, a2
	v_mfma_f32_16x16x16_bf16 a[2:5], v[52:53], v[32:33], a[4:7]
	v_accvgpr_read_b32 v13, a1
	v_accvgpr_read_b32 v12, a0
	v_pk_fma_f32 v[22:23], v[6:7], v[10:11], v[12:13]
	v_pk_fma_f32 v[24:25], v[8:9], v[2:3], v[4:5]
	s_nop 2
	v_accvgpr_read_b32 v0, a2
	v_fma_f32 v30, v14, v10, v0
	v_accvgpr_read_b32 v0, a3
	v_fma_f32 v31, v15, v11, v0
	v_accvgpr_read_b32 v0, a4
	v_accvgpr_read_b32 v33, a5
	v_fma_f32 v32, v16, v2, v0
	v_fmac_f32_e32 v33, v17, v3
	v_mov_b64_e32 v[2:3], v[18:19]
	v_mov_b64_e32 v[4:5], v[20:21]
	;; [unrolled: 1-line block ×8, first 2 shown]
.LBB477_86:
	s_lshl_b64 s[0:1], s[28:29], 16
	s_add_u32 s0, s34, s0
	v_lshlrev_b32_e32 v18, 7, v35
	s_addc_u32 s1, s35, s1
	v_ashrrev_i32_e32 v19, 31, v18
	v_lshl_add_u64 v[20:21], v[18:19], 2, s[0:1]
	v_lshlrev_b32_e32 v0, 2, v1
	v_mov_b32_e32 v1, 0
	v_lshl_add_u64 v[20:21], v[20:21], 0, v[0:1]
	global_store_dwordx4 v[20:21], v[2:5], off
	global_store_dwordx4 v[20:21], v[6:9], off offset:256
	s_nop 0
	v_or_b32_e32 v2, 0x800, v18
	v_ashrrev_i32_e32 v3, 31, v2
	v_lshl_add_u64 v[2:3], v[2:3], 2, s[0:1]
	v_lshl_add_u64 v[0:1], v[2:3], 0, v[0:1]
	global_store_dwordx4 v[0:1], v[10:13], off
	global_store_dwordx4 v[0:1], v[14:17], off offset:256
	s_endpgm
	.section	.rodata,"a",@progbits
	.p2align	6, 0x0
	.amdhsa_kernel _ZN12_GLOBAL__N_139chunk_gated_delta_rule_fwd_h_hip_kernelILi32ELb0ELb1ELb1ELb0ELb0ELb1ELb0ELb0EEEvPK12hip_bfloat16S3_S3_PKfS5_PKvPS1_S8_PvPKiSB_iiiiilll
		.amdhsa_group_segment_fixed_size 49152
		.amdhsa_private_segment_fixed_size 0
		.amdhsa_kernarg_size 136
		.amdhsa_user_sgpr_count 2
		.amdhsa_user_sgpr_dispatch_ptr 0
		.amdhsa_user_sgpr_queue_ptr 0
		.amdhsa_user_sgpr_kernarg_segment_ptr 1
		.amdhsa_user_sgpr_dispatch_id 0
		.amdhsa_user_sgpr_kernarg_preload_length 0
		.amdhsa_user_sgpr_kernarg_preload_offset 0
		.amdhsa_user_sgpr_private_segment_size 0
		.amdhsa_uses_dynamic_stack 0
		.amdhsa_enable_private_segment 0
		.amdhsa_system_sgpr_workgroup_id_x 1
		.amdhsa_system_sgpr_workgroup_id_y 1
		.amdhsa_system_sgpr_workgroup_id_z 0
		.amdhsa_system_sgpr_workgroup_info 0
		.amdhsa_system_vgpr_workitem_id 0
		.amdhsa_next_free_vgpr 168
		.amdhsa_next_free_sgpr 72
		.amdhsa_accum_offset 144
		.amdhsa_reserve_vcc 1
		.amdhsa_float_round_mode_32 0
		.amdhsa_float_round_mode_16_64 0
		.amdhsa_float_denorm_mode_32 3
		.amdhsa_float_denorm_mode_16_64 3
		.amdhsa_dx10_clamp 1
		.amdhsa_ieee_mode 1
		.amdhsa_fp16_overflow 0
		.amdhsa_tg_split 0
		.amdhsa_exception_fp_ieee_invalid_op 0
		.amdhsa_exception_fp_denorm_src 0
		.amdhsa_exception_fp_ieee_div_zero 0
		.amdhsa_exception_fp_ieee_overflow 0
		.amdhsa_exception_fp_ieee_underflow 0
		.amdhsa_exception_fp_ieee_inexact 0
		.amdhsa_exception_int_div_zero 0
	.end_amdhsa_kernel
	.section	.text._ZN12_GLOBAL__N_139chunk_gated_delta_rule_fwd_h_hip_kernelILi32ELb0ELb1ELb1ELb0ELb0ELb1ELb0ELb0EEEvPK12hip_bfloat16S3_S3_PKfS5_PKvPS1_S8_PvPKiSB_iiiiilll,"axG",@progbits,_ZN12_GLOBAL__N_139chunk_gated_delta_rule_fwd_h_hip_kernelILi32ELb0ELb1ELb1ELb0ELb0ELb1ELb0ELb0EEEvPK12hip_bfloat16S3_S3_PKfS5_PKvPS1_S8_PvPKiSB_iiiiilll,comdat
.Lfunc_end477:
	.size	_ZN12_GLOBAL__N_139chunk_gated_delta_rule_fwd_h_hip_kernelILi32ELb0ELb1ELb1ELb0ELb0ELb1ELb0ELb0EEEvPK12hip_bfloat16S3_S3_PKfS5_PKvPS1_S8_PvPKiSB_iiiiilll, .Lfunc_end477-_ZN12_GLOBAL__N_139chunk_gated_delta_rule_fwd_h_hip_kernelILi32ELb0ELb1ELb1ELb0ELb0ELb1ELb0ELb0EEEvPK12hip_bfloat16S3_S3_PKfS5_PKvPS1_S8_PvPKiSB_iiiiilll
                                        ; -- End function
	.section	.AMDGPU.csdata,"",@progbits
; Kernel info:
; codeLenInByte = 10160
; NumSgprs: 78
; NumVgprs: 142
; NumAgprs: 24
; TotalNumVgprs: 168
; ScratchSize: 0
; MemoryBound: 0
; FloatMode: 240
; IeeeMode: 1
; LDSByteSize: 49152 bytes/workgroup (compile time only)
; SGPRBlocks: 9
; VGPRBlocks: 20
; NumSGPRsForWavesPerEU: 78
; NumVGPRsForWavesPerEU: 168
; AccumOffset: 144
; Occupancy: 1
; WaveLimiterHint : 1
; COMPUTE_PGM_RSRC2:SCRATCH_EN: 0
; COMPUTE_PGM_RSRC2:USER_SGPR: 2
; COMPUTE_PGM_RSRC2:TRAP_HANDLER: 0
; COMPUTE_PGM_RSRC2:TGID_X_EN: 1
; COMPUTE_PGM_RSRC2:TGID_Y_EN: 1
; COMPUTE_PGM_RSRC2:TGID_Z_EN: 0
; COMPUTE_PGM_RSRC2:TIDIG_COMP_CNT: 0
; COMPUTE_PGM_RSRC3_GFX90A:ACCUM_OFFSET: 35
; COMPUTE_PGM_RSRC3_GFX90A:TG_SPLIT: 0
	.section	.text._ZN12_GLOBAL__N_139chunk_gated_delta_rule_fwd_h_hip_kernelILi32ELb0ELb1ELb0ELb0ELb0ELb1ELb0ELb0EEEvPK12hip_bfloat16S3_S3_PKfS5_PKvPS1_S8_PvPKiSB_iiiiilll,"axG",@progbits,_ZN12_GLOBAL__N_139chunk_gated_delta_rule_fwd_h_hip_kernelILi32ELb0ELb1ELb0ELb0ELb0ELb1ELb0ELb0EEEvPK12hip_bfloat16S3_S3_PKfS5_PKvPS1_S8_PvPKiSB_iiiiilll,comdat
	.globl	_ZN12_GLOBAL__N_139chunk_gated_delta_rule_fwd_h_hip_kernelILi32ELb0ELb1ELb0ELb0ELb0ELb1ELb0ELb0EEEvPK12hip_bfloat16S3_S3_PKfS5_PKvPS1_S8_PvPKiSB_iiiiilll ; -- Begin function _ZN12_GLOBAL__N_139chunk_gated_delta_rule_fwd_h_hip_kernelILi32ELb0ELb1ELb0ELb0ELb0ELb1ELb0ELb0EEEvPK12hip_bfloat16S3_S3_PKfS5_PKvPS1_S8_PvPKiSB_iiiiilll
	.p2align	8
	.type	_ZN12_GLOBAL__N_139chunk_gated_delta_rule_fwd_h_hip_kernelILi32ELb0ELb1ELb0ELb0ELb0ELb1ELb0ELb0EEEvPK12hip_bfloat16S3_S3_PKfS5_PKvPS1_S8_PvPKiSB_iiiiilll,@function
_ZN12_GLOBAL__N_139chunk_gated_delta_rule_fwd_h_hip_kernelILi32ELb0ELb1ELb0ELb0ELb0ELb1ELb0ELb0EEEvPK12hip_bfloat16S3_S3_PKfS5_PKvPS1_S8_PvPKiSB_iiiiilll: ; @_ZN12_GLOBAL__N_139chunk_gated_delta_rule_fwd_h_hip_kernelILi32ELb0ELb1ELb0ELb0ELb0ELb1ELb0ELb0EEEvPK12hip_bfloat16S3_S3_PKfS5_PKvPS1_S8_PvPKiSB_iiiiilll
; %bb.0:
	s_load_dwordx4 s[12:15], s[0:1], 0x5c
	s_load_dwordx4 s[16:19], s[0:1], 0x70
	s_abs_i32 s22, s3
	s_ashr_i32 s21, s3, 31
	s_load_dwordx8 s[4:11], s[0:1], 0x0
	s_load_dwordx2 s[30:31], s[0:1], 0x20
	s_waitcnt lgkmcnt(0)
	s_abs_i32 s20, s13
	v_cvt_f32_u32_e32 v1, s20
	s_sub_i32 s24, 0, s20
	s_ashr_i32 s23, s13, 31
	s_xor_b32 s21, s21, s23
	v_rcp_iflag_f32_e32 v1, v1
	s_load_dwordx2 s[28:29], s[0:1], 0x40
	s_load_dwordx2 s[38:39], s[0:1], 0x30
	;; [unrolled: 1-line block ×3, first 2 shown]
	v_lshrrev_b32_e32 v53, 6, v0
	v_mul_f32_e32 v1, 0x4f7ffffe, v1
	v_cvt_u32_f32_e32 v1, v1
	v_bfe_u32 v62, v0, 4, 2
	v_lshlrev_b32_e32 v60, 4, v53
	v_lshlrev_b32_e32 v18, 2, v62
	v_readfirstlane_b32 s25, v1
	s_mul_i32 s24, s24, s25
	s_mul_hi_u32 s24, s25, s24
	s_add_i32 s25, s25, s24
	s_mul_hi_u32 s24, s22, s25
	s_mul_i32 s25, s24, s20
	s_sub_i32 s22, s22, s25
	s_add_i32 s25, s24, 1
	s_sub_i32 s26, s22, s20
	s_cmp_ge_u32 s22, s20
	s_cselect_b32 s24, s25, s24
	s_cselect_b32 s22, s26, s22
	s_add_i32 s25, s24, 1
	s_cmp_ge_u32 s22, s20
	s_cselect_b32 s22, s25, s24
	s_xor_b32 s22, s22, s21
	s_sub_i32 s50, s22, s21
	s_abs_i32 s21, s14
	v_cvt_f32_u32_e32 v1, s21
	s_ashr_i32 s49, s12, 31
	s_lshr_b32 s22, s49, 26
	s_add_i32 s22, s12, s22
	v_rcp_iflag_f32_e32 v1, v1
	s_ashr_i32 s52, s14, 31
	s_ashr_i32 s51, s22, 6
	s_xor_b32 s22, s23, s52
	v_mul_f32_e32 v1, 0x4f7ffffe, v1
	v_cvt_u32_f32_e32 v1, v1
	s_sub_i32 s23, 0, s21
	s_mul_i32 s48, s50, s13
	s_sub_i32 s33, s3, s48
	v_readfirstlane_b32 s24, v1
	s_mul_i32 s23, s23, s24
	s_mul_hi_u32 s23, s24, s23
	s_add_i32 s24, s24, s23
	s_mul_hi_u32 s23, s20, s24
	s_mul_i32 s24, s23, s21
	s_sub_i32 s20, s20, s24
	s_add_i32 s3, s12, 63
	s_add_i32 s24, s23, 1
	s_sub_i32 s25, s20, s21
	s_cmp_ge_u32 s20, s21
	s_cselect_b32 s23, s24, s23
	s_cselect_b32 s20, s25, s20
	s_add_i32 s24, s23, 1
	s_cmp_ge_u32 s20, s21
	s_cselect_b32 s20, s24, s23
	s_xor_b32 s20, s20, s22
	s_sub_i32 s20, s20, s22
	s_abs_i32 s21, s20
	v_cvt_f32_u32_e32 v1, s21
	s_xor_b32 s0, s33, s20
	s_sub_i32 s20, 0, s21
	s_abs_i32 s1, s33
	v_rcp_iflag_f32_e32 v1, v1
	s_ashr_i32 s0, s0, 31
	v_and_b32_e32 v61, 63, v0
	v_mov_b32_e32 v17, 0
	v_mul_f32_e32 v1, 0x4f7ffffe, v1
	v_cvt_u32_f32_e32 v1, v1
	s_mul_i32 s46, s50, s12
	v_and_b32_e32 v63, 15, v0
	s_mul_hi_i32 s54, s50, s13
	v_readfirstlane_b32 s22, v1
	s_mul_i32 s20, s20, s22
	s_mul_hi_u32 s20, s22, s20
	s_add_i32 s22, s22, s20
	s_mul_hi_u32 s20, s1, s22
	s_mul_i32 s22, s20, s21
	s_sub_i32 s1, s1, s22
	s_add_i32 s22, s20, 1
	s_sub_i32 s23, s1, s21
	s_cmp_ge_u32 s1, s21
	s_cselect_b32 s20, s22, s20
	s_cselect_b32 s1, s23, s1
	s_add_i32 s22, s20, 1
	s_cmp_ge_u32 s1, s21
	s_cselect_b32 s1, s22, s20
	s_xor_b32 s1, s1, s0
	s_sub_i32 s55, s1, s0
	s_ashr_i32 s0, s3, 31
	s_lshr_b32 s0, s0, 26
	s_add_i32 s3, s3, s0
	v_or_b32_e32 v1, v18, v60
	s_ashr_i32 s0, s3, 6
	s_lshl_b32 s2, s2, 5
	s_mul_i32 s53, s50, s0
	v_or_b32_e32 v66, 64, v1
	s_cmp_lt_i32 s12, 64
	v_lshrrev_b32_e32 v65, 3, v61
	v_lshlrev_b32_e32 v64, 3, v0
	s_mul_i32 s17, s50, s17
	s_mul_hi_u32 s47, s50, s16
	s_mul_i32 s36, s50, s16
	v_mov_b32_e32 v16, v17
	v_mov_b32_e32 v15, v17
	;; [unrolled: 1-line block ×15, first 2 shown]
	s_cbranch_scc1 .LBB478_19
; %bb.1:
	s_ashr_i32 s3, s50, 31
	s_ashr_i32 s57, s33, 31
	s_add_u32 s0, s48, s33
	s_addc_u32 s1, s54, s57
	s_mul_i32 s1, s12, s1
	s_mul_hi_u32 s20, s12, s0
	s_add_i32 s41, s20, s1
	s_mul_i32 s40, s12, s0
	s_lshl_b64 s[0:1], s[40:41], 8
	v_and_b32_e32 v68, 56, v64
	s_add_u32 s20, s6, s0
	v_lshl_or_b32 v67, v53, 3, v65
	v_lshlrev_b32_e32 v2, 1, v68
	s_addc_u32 s0, s7, s1
	v_lshl_or_b32 v69, v67, 8, v2
	s_and_b32 s21, s0, 0xffff
	s_mov_b32 s23, 0x20000
	s_movk_i32 s22, 0x4000
	s_movk_i32 s0, 0x80
	v_or_b32_e32 v70, 0x2000, v69
	buffer_load_dwordx4 v[4:7], v69, s[20:23], 0 offen
	buffer_load_dwordx4 v[8:11], v69, s[20:23], s0 offen
	;; [unrolled: 1-line block ×4, first 2 shown]
	v_lshlrev_b32_e32 v3, 3, v67
	v_and_or_b32 v17, v0, 7, v3
	v_and_b32_e32 v3, 0x78, v3
	v_lshlrev_b32_e32 v17, 4, v17
	v_xor_b32_e32 v71, v17, v3
	v_mul_lo_u32 v16, v67, s15
	v_or_b32_e32 v72, 0x1000, v71
	v_xor_b32_e32 v3, 8, v71
	s_cmpk_eq_i32 s15, 0x80
	s_mov_b32 s56, s14
	v_xor_b32_e32 v17, 8, v72
	s_cselect_b64 s[0:1], -1, 0
	s_cmpk_lg_i32 s15, 0x80
	s_waitcnt vmcnt(3)
	ds_write_b64 v71, v[4:5] offset:24576
	ds_write_b64 v3, v[6:7] offset:24576
	s_waitcnt vmcnt(2)
	ds_write_b64 v71, v[8:9] offset:32768
	ds_write_b64 v3, v[10:11] offset:32768
	;; [unrolled: 3-line block ×4, first 2 shown]
	v_lshl_add_u32 v3, v16, 1, v68
	s_cbranch_scc0 .LBB478_3
; %bb.2:
	v_lshlrev_b32_e32 v5, 1, v3
	v_add_lshl_u32 v4, v3, s15, 1
	s_lshl_b32 s22, s15, 7
	v_lshl_or_b32 v2, v67, 9, v2
	s_cbranch_execz .LBB478_4
	s_branch .LBB478_5
.LBB478_3:
                                        ; implicit-def: $vgpr4
                                        ; implicit-def: $vgpr5
                                        ; implicit-def: $sgpr22
	v_lshl_or_b32 v2, v67, 9, v2
.LBB478_4:
	v_or_b32_e32 v4, 0x100, v2
	s_movk_i32 s22, 0x4000
	v_mov_b32_e32 v5, v2
.LBB478_5:
	s_mul_hi_u32 s20, s14, s12
	s_mul_i32 s21, s52, s12
	s_add_i32 s20, s20, s21
	s_mul_i32 s21, s14, s12
	s_mul_i32 s23, s21, s3
	s_mul_hi_u32 s24, s21, s50
	s_add_i32 s23, s24, s23
	s_mul_i32 s20, s20, s50
	s_add_i32 s23, s23, s20
	s_mul_i32 s21, s21, s50
	s_ashr_i32 s58, s55, 31
	s_add_u32 s20, s21, s55
	s_addc_u32 s21, s23, s58
	s_lshl_b64 s[20:21], s[20:21], 8
	s_add_u32 s20, s4, s20
	s_addc_u32 s21, s5, s21
	s_and_b32 s21, s21, 0xffff
	s_mov_b32 s23, 0x20000
	s_movk_i32 s59, 0x80
	buffer_load_dwordx4 v[6:9], v5, s[20:23], 0 offen
	buffer_load_dwordx4 v[10:13], v5, s[20:23], s59 offen
	;; [unrolled: 1-line block ×4, first 2 shown]
	v_and_b32_e32 v4, 6, v0
	s_mul_i32 s20, s3, s12
	s_mul_hi_u32 s21, s50, s12
	v_lshlrev_b32_e32 v24, 6, v1
	v_or_b32_e32 v26, 16, v63
	v_xor_b32_e32 v27, v67, v4
	v_and_b32_e32 v5, 1, v0
	v_lshl_or_b32 v30, v63, 3, v24
	v_lshl_or_b32 v24, v26, 3, v24
	v_lshlrev_b32_e32 v27, 2, v27
	s_add_i32 s63, s21, s20
	s_add_i32 s20, s47, s17
	s_mul_i32 s3, s3, s16
	v_lshlrev_b32_e32 v19, 2, v63
	v_or_b32_e32 v75, 0xa000, v24
	v_or_b32_e32 v76, 0xb000, v24
	v_xor_b32_e32 v24, 0x440, v27
	v_cmp_eq_u32_e32 vcc, 0, v5
	s_add_i32 s37, s20, s3
	s_mul_i32 s3, s33, s19
	s_mul_hi_u32 s20, s33, s18
	v_xor_b32_e32 v28, v1, v19
	v_xor_b32_e32 v29, v66, v19
	v_cndmask_b32_e32 v5, v24, v27, vcc
	s_add_i32 s3, s20, s3
	s_mul_i32 s20, s57, s18
	s_mov_b32 s61, 0x1000504
	v_lshlrev_b32_e32 v25, 8, v63
	v_lshlrev_b32_e32 v28, 1, v28
	;; [unrolled: 1-line block ×3, first 2 shown]
	v_lshl_or_b32 v4, v4, 10, v5
	s_add_i32 s21, s3, s20
	s_lshl_b64 s[24:25], s[36:37], 2
	s_mov_b32 s62, 0x3020706
	v_or_b32_e32 v73, 0xa000, v30
	v_or_b32_e32 v74, 0xb000, v30
	;; [unrolled: 1-line block ×4, first 2 shown]
	v_xor_b32_e32 v5, 8, v4
	v_xor_b32_e32 v25, 24, v4
	;; [unrolled: 1-line block ×4, first 2 shown]
	s_mul_i32 s20, s33, s18
	s_add_u32 s3, s10, s24
	v_xor_b32_e32 v24, 16, v4
	v_xor_b32_e32 v27, 32, v4
	;; [unrolled: 1-line block ×3, first 2 shown]
	v_add_u32_e32 v5, 0x80, v5
	v_add_u32_e32 v25, 0x80, v25
	;; [unrolled: 1-line block ×4, first 2 shown]
	s_addc_u32 s22, s11, s25
	s_lshl_b64 s[20:21], s[20:21], 2
	s_add_u32 s42, s3, s20
	s_movk_i32 s3, 0xf8
	s_addc_u32 s43, s22, s21
	s_lshl_b32 s26, s15, 7
	s_movk_i32 s24, 0x100
	v_mov_b32_e32 v55, 0
	v_lshlrev_b32_e32 v54, 4, v63
	v_cmp_gt_u32_e32 vcc, s24, v0
	v_lshlrev_b32_e32 v26, 8, v26
	v_or_b32_e32 v79, v26, v28
	v_or_b32_e32 v80, v26, v29
	s_mov_b32 s60, 0
	s_movk_i32 s37, 0x1000
	s_movk_i32 s22, 0x4000
	v_add_u32_e32 v94, v60, v18
	s_mov_b32 s64, 0x7060302
	v_mov_b32_e32 v105, 0x3fb8aa3b
	s_mov_b32 s66, 0
	v_mov_b32_e32 v106, v55
	v_mov_b32_e32 v107, v55
	;; [unrolled: 1-line block ×7, first 2 shown]
	s_waitcnt vmcnt(1)
	v_perm_b32 v33, v6, v14, s61
	s_waitcnt vmcnt(0)
	v_perm_b32 v34, v10, v20, s61
	v_perm_b32 v6, v6, v14, s62
	;; [unrolled: 1-line block ×15, first 2 shown]
	ds_write2st64_b32 v4, v33, v34 offset0:32 offset1:64
	ds_write2st64_b32 v5, v6, v10 offset0:32 offset1:64
	;; [unrolled: 1-line block ×8, first 2 shown]
	v_or_b32_e32 v4, v60, v63
	v_lshlrev_b32_e32 v4, 3, v4
	v_lshrrev_b32_e32 v6, 5, v61
	v_and_or_b32 v6, v4, s3, v6
	v_lshlrev_b32_e32 v6, 4, v6
	v_lshrrev_b32_e32 v5, 2, v61
	v_lshlrev_b32_e32 v11, 11, v53
	v_and_b32_e32 v4, 0x78, v4
	v_or_b32_e32 v10, 32, v6
	v_and_b32_e32 v7, 12, v5
	v_and_b32_e32 v5, 0x1000, v11
	v_xor_b32_e32 v8, v6, v4
	v_lshrrev_b32_e32 v9, 1, v61
	v_xor_b32_e32 v10, v10, v4
	v_or_b32_e32 v8, v8, v5
	v_and_b32_e32 v9, 8, v9
	v_lshlrev_b32_e32 v12, 7, v62
	v_or_b32_e32 v10, v10, v5
	v_xor_b32_e32 v81, v8, v9
	v_or_b32_e32 v8, v12, v19
	v_xor_b32_e32 v83, v10, v9
	v_or_b32_e32 v10, 64, v6
	v_or_b32_e32 v6, 0x60, v6
	s_ashr_i32 s3, s2, 31
	v_lshlrev_b32_e32 v8, 1, v8
	v_xor_b32_e32 v10, v10, v4
	v_xor_b32_e32 v4, v6, v4
	s_lshl_b64 s[20:21], s[2:3], 8
	v_or_b32_e32 v82, 0xa000, v8
	v_or_b32_e32 v84, 0xa080, v8
	;; [unrolled: 1-line block ×6, first 2 shown]
	s_waitcnt lgkmcnt(0)
	s_add_u32 s20, s38, s20
	v_lshlrev_b32_e32 v8, 1, v63
	v_lshlrev_b32_e32 v19, 2, v0
	v_lshrrev_b32_e32 v22, 1, v0
	v_xor_b32_e32 v85, v10, v9
	v_xor_b32_e32 v86, v4, v9
	v_lshrrev_b32_e32 v10, 4, v0
	s_addc_u32 s21, s39, s21
	v_or_b32_e32 v9, 1, v8
	v_mov_b32_e32 v20, 0x4000
	v_mov_b32_e32 v21, 0x2000
	v_and_b32_e32 v22, 24, v22
	v_and_or_b32 v12, v19, 60, v12
	v_mov_b32_e32 v19, 0xb000
	v_xor_b32_e32 v15, v10, v8
	v_xor_b32_e32 v16, v9, v10
	v_lshl_add_u64 v[8:9], s[20:21], 0, v[54:55]
	v_lshlrev_b32_e32 v54, 8, v10
	v_cndmask_b32_e32 v20, v20, v21, vcc
	v_lshlrev_b32_e32 v21, 3, v53
	v_lshl_or_b32 v91, v12, 1, v19
	v_or_b32_e32 v12, 32, v22
	v_lshl_or_b32 v89, v15, 3, v54
	v_and_b32_e32 v15, 8, v0
	v_xor_b32_e32 v12, v21, v12
	v_cmp_eq_u32_e32 vcc, 0, v15
	v_or_b32_e32 v19, 0x440, v12
	v_and_b32_e32 v10, 7, v0
	v_cndmask_b32_e32 v12, v19, v12, vcc
	v_lshl_or_b32 v90, v16, 3, v54
	v_lshlrev_b32_e32 v16, 3, v10
	v_or_b32_e32 v12, v12, v11
	v_xor_b32_e32 v19, v12, v16
	v_or_b32_e32 v12, 64, v22
	v_xor_b32_e32 v12, v21, v12
	v_xor_b32_e32 v25, 0x440, v12
	v_cndmask_b32_e32 v12, v25, v12, vcc
	v_or_b32_e32 v12, v12, v11
	v_xor_b32_e32 v25, v12, v16
	v_or_b32_e32 v12, 0x60, v22
	v_xor_b32_e32 v23, v21, v22
	v_xor_b32_e32 v12, v21, v12
	v_or_b32_e32 v24, 0x440, v23
	v_xor_b32_e32 v21, 0x440, v12
	v_cndmask_b32_e32 v15, v24, v23, vcc
	v_cndmask_b32_e32 v12, v21, v12, vcc
	v_or_b32_e32 v15, v15, v11
	v_or_b32_e32 v11, v12, v11
	;; [unrolled: 1-line block ×3, first 2 shown]
	v_xor_b32_e32 v15, v15, v16
	v_xor_b32_e32 v11, v11, v16
	v_lshlrev_b32_e32 v6, 7, v1
	v_ashrrev_i32_e32 v5, 31, v4
	v_lshlrev_b32_e32 v13, 1, v3
	v_add_lshl_u32 v3, v3, s15, 1
	v_or_b32_e32 v14, 0x100, v2
	v_lshlrev_b32_e32 v17, 7, v10
	v_or_b32_e32 v10, v7, v60
	v_add_u32_e32 v23, v20, v15
	v_add_u32_e32 v24, v20, v19
	;; [unrolled: 1-line block ×4, first 2 shown]
	v_or3_b32 v12, v60, v7, 64
	v_add_u32_e32 v7, 0x4000, v15
	v_add_u32_e32 v15, 0x4000, v19
	;; [unrolled: 1-line block ×4, first 2 shown]
	v_cndmask_b32_e64 v92, v13, v2, s[0:1]
	v_cndmask_b32_e64 v93, v3, v14, s[0:1]
	v_lshl_add_u64 v[56:57], v[4:5], 1, s[8:9]
	v_lshl_add_u64 v[58:59], v[8:9], 0, v[54:55]
	s_add_i32 s3, s46, 63
	v_lshlrev_b32_e32 v54, 1, v6
	v_lshlrev_b32_e32 v95, 2, v10
	v_add_u32_e32 v96, v23, v17
	v_add_u32_e32 v97, v24, v17
	;; [unrolled: 1-line block ×4, first 2 shown]
	v_lshlrev_b32_e32 v100, 2, v12
	v_add_u32_e32 v101, v7, v17
	v_add_u32_e32 v102, v15, v17
	;; [unrolled: 1-line block ×4, first 2 shown]
	v_mov_b32_e32 v2, v55
	v_mov_b32_e32 v3, v55
	;; [unrolled: 1-line block ×9, first 2 shown]
	s_barrier
.LBB478_6:                              ; =>This Inner Loop Header: Depth=1
	s_add_i32 s65, s66, 1
	s_cmp_lt_i32 s65, s51
	s_mov_b64 s[24:25], 0
	s_cselect_b64 s[44:45], -1, 0
	s_cmp_ge_i32 s65, s51
	s_mov_b64 s[20:21], 0
	s_cbranch_scc1 .LBB478_8
; %bb.7:                                ;   in Loop: Header=BB478_6 Depth=1
	s_add_i32 s0, s60, 64
	s_add_u32 s0, s40, s0
	s_addc_u32 s1, s41, 0
	s_lshl_b64 s[0:1], s[0:1], 8
	s_add_u32 s20, s6, s0
	s_addc_u32 s21, s7, s1
.LBB478_8:                              ;   in Loop: Header=BB478_6 Depth=1
	v_cndmask_b32_e64 v10, 0, 1, s[44:45]
	v_cmp_ne_u32_e64 s[0:1], 1, v10
	s_andn2_b64 vcc, exec, s[44:45]
	s_cbranch_vccnz .LBB478_10
; %bb.9:                                ;   in Loop: Header=BB478_6 Depth=1
	s_add_i32 s24, s60, 64
	s_add_u32 s24, s46, s24
	s_addc_u32 s25, s63, 0
	s_mul_i32 s27, s24, s52
	s_mul_hi_u32 s44, s24, s56
	s_add_i32 s27, s44, s27
	s_mul_i32 s25, s25, s56
	s_add_i32 s27, s27, s25
	s_mul_i32 s24, s24, s56
	s_add_u32 s24, s24, s55
	s_addc_u32 s25, s27, s58
	s_lshl_b64 s[24:25], s[24:25], 8
	s_add_u32 s24, s4, s24
	s_addc_u32 s25, s5, s25
.LBB478_10:                             ;   in Loop: Header=BB478_6 Depth=1
	v_perm_b32 v11, v5, v4, s64
	v_perm_b32 v10, v3, v2, s64
	;; [unrolled: 1-line block ×4, first 2 shown]
	ds_write_b64 v73, v[10:11]
	ds_write_b64 v74, v[12:13]
	;; [unrolled: 1-line block ×4, first 2 shown]
	v_perm_b32 v11, v113, v108, s64
	v_perm_b32 v10, v107, v106, s64
	;; [unrolled: 1-line block ×4, first 2 shown]
	ds_write_b64 v75, v[10:11]
	ds_write_b64 v76, v[12:13]
	;; [unrolled: 1-line block ×4, first 2 shown]
	s_waitcnt lgkmcnt(0)
	s_barrier
	ds_read_b64 v[14:15], v81 offset:24576
	ds_read2_b64 v[10:13], v82 offset1:16
	ds_read_b64 v[18:19], v84 offset:3072
	ds_read_b64 v[20:21], v82 offset:3072
	;; [unrolled: 1-line block ×3, first 2 shown]
	s_waitcnt lgkmcnt(3)
	v_mfma_f32_16x16x16_bf16 a[0:3], v[14:15], v[10:11], 0
	s_add_i32 s27, s60, 63
	s_mul_i32 s44, s27, s35
	s_mul_hi_u32 s45, s27, s34
	v_mfma_f32_16x16x16_bf16 a[4:7], v[14:15], v[12:13], 0
	ds_read2st64_b64 v[10:13], v82 offset0:2 offset1:4
	ds_read2st64_b64 v[14:17], v84 offset0:2 offset1:4
	s_add_i32 s45, s45, s44
	s_waitcnt lgkmcnt(1)
	v_mfma_f32_16x16x16_bf16 a[0:3], v[22:23], v[10:11], a[0:3]
	s_mul_i32 s44, s27, s34
	s_lshl_b64 s[44:45], s[44:45], 2
	s_add_u32 s44, s42, s44
	s_waitcnt lgkmcnt(0)
	v_mfma_f32_16x16x16_bf16 a[4:7], v[22:23], v[14:15], a[4:7]
	ds_read_b64 v[10:11], v85 offset:24576
	ds_read_b64 v[14:15], v86 offset:24576
	s_addc_u32 s45, s43, s45
	s_and_b64 vcc, exec, s[0:1]
	s_waitcnt lgkmcnt(1)
	v_mfma_f32_16x16x16_bf16 a[0:3], v[10:11], v[12:13], a[0:3]
	v_mov_b32_e32 v116, 0
	v_mov_b32_e32 v115, 0
	v_mov_b32_e32 v114, 0
	v_mfma_f32_16x16x16_bf16 a[4:7], v[10:11], v[16:17], a[4:7]
	v_mov_b32_e32 v10, 0
	v_mov_b32_e32 v11, 0
	;; [unrolled: 1-line block ×3, first 2 shown]
	s_waitcnt lgkmcnt(0)
	v_mfma_f32_16x16x16_bf16 a[0:3], v[14:15], v[20:21], a[0:3]
	v_mov_b32_e32 v13, 0
	v_mov_b32_e32 v16, 0
	;; [unrolled: 1-line block ×3, first 2 shown]
	v_mfma_f32_16x16x16_bf16 a[4:7], v[14:15], v[18:19], a[4:7]
	v_mov_b32_e32 v14, 0
	v_mov_b32_e32 v15, 0
	;; [unrolled: 1-line block ×10, first 2 shown]
	s_cbranch_vccnz .LBB478_12
; %bb.11:                               ;   in Loop: Header=BB478_6 Depth=1
	s_and_b32 s21, s21, 0xffff
	buffer_load_dwordx4 v[22:25], v69, s[20:23], 0 offen
	buffer_load_dwordx4 v[18:21], v69, s[20:23], s59 offen
	;; [unrolled: 1-line block ×4, first 2 shown]
	v_mov_b32_e32 v115, v71
	v_mov_b32_e32 v114, v72
.LBB478_12:                             ;   in Loop: Header=BB478_6 Depth=1
	ds_read_b64 v[30:31], v81 offset:32768
	ds_read2_b64 v[26:29], v87 offset1:16
	ds_read_b64 v[34:35], v83 offset:32768
	ds_read_b64 v[36:37], v85 offset:32768
	ds_read_b64 v[38:39], v86 offset:32768
	v_add_u32_e32 v40, s60, v94
	s_waitcnt lgkmcnt(3)
	v_mfma_f32_16x16x16_bf16 a[0:3], v[30:31], v[26:27], a[0:3]
	v_mul_lo_u32 v41, v40, s35
	v_mov_b32_e32 v117, 0
	v_mfma_f32_16x16x16_bf16 a[4:7], v[30:31], v[28:29], a[4:7]
	ds_read2st64_b64 v[26:29], v87 offset0:2 offset1:4
	ds_read2st64_b64 v[30:33], v88 offset0:2 offset1:4
	s_waitcnt lgkmcnt(1)
	v_mfma_f32_16x16x16_bf16 a[0:3], v[34:35], v[26:27], a[0:3]
	v_ashrrev_i32_e32 v26, 31, v40
	v_mul_lo_u32 v42, v26, s34
	v_mad_u64_u32 v[26:27], s[20:21], v40, s34, 0
	v_mfma_f32_16x16x16_bf16 a[0:3], v[36:37], v[28:29], a[0:3]
	v_add_u32_e32 v28, 1, v40
	v_ashrrev_i32_e32 v29, 31, v28
	v_add3_u32 v27, v27, v41, v42
	s_waitcnt lgkmcnt(0)
	v_mfma_f32_16x16x16_bf16 a[4:7], v[34:35], v[30:31], a[4:7]
	v_mul_lo_u32 v30, v29, s34
	v_mul_lo_u32 v31, v28, s35
	v_mad_u64_u32 v[28:29], s[20:21], v28, s34, 0
	v_add3_u32 v29, v29, v31, v30
	v_add_u32_e32 v30, 2, v40
	v_ashrrev_i32_e32 v31, 31, v30
	v_mul_lo_u32 v34, v31, s34
	v_mul_lo_u32 v35, v30, s35
	v_mad_u64_u32 v[30:31], s[20:21], v30, s34, 0
	v_add3_u32 v31, v31, v35, v34
	v_add_u32_e32 v34, 3, v40
	v_ashrrev_i32_e32 v35, 31, v34
	v_mul_lo_u32 v40, v35, s34
	v_mul_lo_u32 v41, v34, s35
	v_mad_u64_u32 v[34:35], s[20:21], v34, s34, 0
	s_add_u32 s20, s40, s60
	s_addc_u32 s21, s41, 0
	s_lshl_b64 s[20:21], s[20:21], 8
	v_lshl_add_u64 v[26:27], v[26:27], 2, s[42:43]
	v_lshl_add_u64 v[28:29], v[28:29], 2, s[42:43]
	v_add3_u32 v35, v35, v41, v40
	v_lshl_add_u64 v[40:41], v[56:57], 0, s[20:21]
	v_lshl_add_u64 v[30:31], v[30:31], 2, s[42:43]
	;; [unrolled: 1-line block ×3, first 2 shown]
	global_load_dword v42, v[26:27], off
	global_load_ushort v43, v[40:41], off offset:256
	global_load_ushort v44, v[40:41], off
	global_load_ushort v45, v[40:41], off offset:768
	global_load_ushort v46, v[40:41], off offset:512
	v_lshl_add_u64 v[26:27], v[34:35], 2, s[42:43]
	global_load_dword v47, v[28:29], off
	global_load_dword v48, v[30:31], off
	;; [unrolled: 1-line block ×3, first 2 shown]
	ds_read_b64 v[26:27], v87 offset:3072
	ds_read_b64 v[28:29], v88 offset:3072
	global_load_ushort v50, v[40:41], off offset:800
	global_load_ushort v51, v[40:41], off offset:544
	;; [unrolled: 1-line block ×3, first 2 shown]
	s_nop 0
	global_load_ushort v40, v[40:41], off offset:32
	s_load_dword s20, s[44:45], 0x0
	v_mfma_f32_16x16x16_bf16 a[4:7], v[36:37], v[32:33], a[4:7]
	s_and_b64 vcc, exec, s[0:1]
	v_mov_b32_e32 v41, 0
	s_waitcnt vmcnt(11) lgkmcnt(0)
	v_sub_f32_e32 v36, s20, v42
	v_mfma_f32_16x16x16_bf16 a[0:3], v[38:39], v[26:27], a[0:3]
	v_mul_f32_e32 v36, 0x3fb8aa3b, v36
	v_exp_f32_e32 v36, v36
	s_waitcnt vmcnt(6)
	v_sub_f32_e32 v37, s20, v47
	v_mfma_f32_16x16x16_bf16 a[4:7], v[38:39], v[28:29], a[4:7]
	s_waitcnt vmcnt(5)
	v_sub_f32_e32 v38, s20, v48
	s_waitcnt vmcnt(4)
	v_sub_f32_e32 v39, s20, v49
	v_mul_f32_e32 v37, 0x3fb8aa3b, v37
	v_mul_f32_e32 v38, 0x3fb8aa3b, v38
	;; [unrolled: 1-line block ×3, first 2 shown]
	v_exp_f32_e32 v37, v37
	v_exp_f32_e32 v38, v38
	;; [unrolled: 1-line block ×3, first 2 shown]
	v_accvgpr_read_b32 v31, a1
	v_accvgpr_read_b32 v27, a3
	;; [unrolled: 1-line block ×4, first 2 shown]
	v_lshlrev_b32_e32 v33, 16, v43
	v_lshlrev_b32_e32 v32, 16, v44
	;; [unrolled: 1-line block ×4, first 2 shown]
	v_pk_add_f32 v[30:31], v[32:33], v[30:31] neg_lo:[0,1] neg_hi:[0,1]
	v_pk_add_f32 v[26:27], v[34:35], v[26:27] neg_lo:[0,1] neg_hi:[0,1]
	v_pk_mul_f32 v[30:31], v[36:37], v[30:31]
	v_pk_mul_f32 v[26:27], v[38:39], v[26:27]
	v_accvgpr_read_b32 v33, a5
	v_perm_b32 v27, v27, v26, s64
	v_perm_b32 v26, v31, v30, s64
	s_waitcnt vmcnt(1)
	v_lshlrev_b32_e32 v31, 16, v52
	s_waitcnt vmcnt(0)
	v_lshlrev_b32_e32 v30, 16, v40
	v_accvgpr_read_b32 v32, a4
	v_accvgpr_read_b32 v29, a7
	;; [unrolled: 1-line block ×3, first 2 shown]
	v_pk_add_f32 v[30:31], v[30:31], v[32:33] neg_lo:[0,1] neg_hi:[0,1]
	v_lshlrev_b32_e32 v33, 16, v50
	v_lshlrev_b32_e32 v32, 16, v51
	v_pk_add_f32 v[28:29], v[32:33], v[28:29] neg_lo:[0,1] neg_hi:[0,1]
	v_pk_mul_f32 v[30:31], v[36:37], v[30:31]
	v_pk_mul_f32 v[28:29], v[38:39], v[28:29]
	v_mov_b32_e32 v32, 0
	v_perm_b32 v29, v29, v28, s64
	v_perm_b32 v28, v31, v30, s64
	ds_write2_b64 v74, v[26:27], v[28:29] offset1:16
	v_mov_b32_e32 v26, 0
	v_mov_b32_e32 v27, 0
	;; [unrolled: 1-line block ×14, first 2 shown]
	s_cbranch_vccnz .LBB478_14
; %bb.13:                               ;   in Loop: Header=BB478_6 Depth=1
	s_and_b32 s25, s25, 0xffff
	s_mov_b32 s27, s23
	buffer_load_dwordx4 v[38:41], v92, s[24:27], 0 offen
	buffer_load_dwordx4 v[30:33], v92, s[24:27], s59 offen
	;; [unrolled: 1-line block ×4, first 2 shown]
	v_mov_b32_e32 v116, v68
	v_mov_b32_e32 v117, v67
.LBB478_14:                             ;   in Loop: Header=BB478_6 Depth=1
	s_waitcnt lgkmcnt(0)
	s_barrier
	ds_read_b64 v[46:47], v96
	ds_read_b64 v[122:123], v91
	;; [unrolled: 1-line block ×5, first 2 shown]
	ds_read_b64 v[136:137], v88 offset:3072
	ds_read2_b64 v[42:45], v87 offset0:16 offset1:128
	s_waitcnt lgkmcnt(5)
	v_mfma_f32_16x16x16_bf16 a[0:3], v[46:47], v[122:123], 0
	ds_read2st64_b64 v[48:51], v88 offset0:2 offset1:4
	s_add_i32 s21, s53, s66
	s_mul_hi_i32 s25, s21, s13
	s_waitcnt lgkmcnt(1)
	v_mfma_f32_16x16x16_bf16 a[4:7], v[46:47], v[42:43], 0
	ds_read_b64 v[46:47], v101
	s_mul_i32 s21, s21, s13
	s_add_u32 s24, s21, s33
	s_waitcnt lgkmcnt(1)
	v_mfma_f32_16x16x16_bf16 a[4:7], v[124:125], v[48:49], a[4:7]
	s_addc_u32 s25, s25, s57
	s_add_i32 s21, s3, s60
	s_lshl_b64 s[24:25], s[24:25], 15
	s_mul_hi_i32 s27, s21, s13
	s_mul_i32 s21, s21, s13
	s_add_u32 s44, s21, s33
	v_mfma_f32_16x16x16_bf16 a[8:11], v[126:127], v[50:51], a[4:7]
	s_addc_u32 s45, s27, s57
	ds_read2st64_b64 v[118:121], v87 offset0:4 offset1:6
	s_lshl_b64 s[44:45], s[44:45], 9
	s_waitcnt lgkmcnt(1)
	v_mfma_f32_16x16x16_bf16 a[4:7], v[46:47], v[122:123], 0
	s_add_u32 s44, s30, s44
	s_addc_u32 s45, s31, s45
	v_mfma_f32_16x16x16_bf16 a[0:3], v[124:125], v[44:45], a[0:3]
	ds_read_b64 v[124:125], v102
	ds_read_b64 v[132:133], v103
	;; [unrolled: 1-line block ×3, first 2 shown]
	v_mfma_f32_16x16x16_bf16 a[12:15], v[46:47], v[42:43], 0
	s_waitcnt lgkmcnt(2)
	v_mfma_f32_16x16x16_bf16 a[4:7], v[124:125], v[44:45], a[4:7]
	global_load_dwordx4 v[42:45], v100, s[44:45]
	v_mfma_f32_16x16x16_bf16 a[12:15], v[124:125], v[48:49], a[12:15]
	global_load_dwordx4 v[46:49], v95, s[44:45]
	ds_read2st64_b64 v[122:125], v89 offset1:8
	s_waitcnt lgkmcnt(0)
	v_mov_b32_e32 v130, v122
	v_mfma_f32_16x16x16_bf16 a[0:3], v[126:127], v[118:119], a[0:3]
	ds_read2st64_b64 v[126:129], v90 offset1:8
	v_mov_b32_e32 v131, v123
	v_mfma_f32_16x16x16_bf16 a[16:19], v[132:133], v[118:119], a[4:7]
	v_lshl_add_u64 v[118:119], v[58:59], 0, s[24:25]
	v_mfma_f32_16x16x16_bf16 a[20:23], v[132:133], v[50:51], a[12:15]
	v_add_co_u32_e32 v50, vcc, s37, v118
	s_waitcnt lgkmcnt(0)
	v_mov_b32_e32 v132, v126
	v_mfma_f32_16x16x16_bf16 a[4:7], v[134:135], v[120:121], a[0:3]
	v_mov_b32_e32 v133, v127
	v_mov_b32_e32 v126, v124
	;; [unrolled: 1-line block ×3, first 2 shown]
	v_mfma_f32_16x16x16_bf16 a[8:11], v[134:135], v[136:137], a[8:11]
	v_addc_co_u32_e32 v51, vcc, 0, v119, vcc
	global_store_dwordx4 v[50:51], v[126:129], off
	v_mfma_f32_16x16x16_bf16 a[12:15], v[138:139], v[120:121], a[16:19]
	s_and_b64 vcc, exec, s[0:1]
	global_store_dwordx4 v[118:119], v[130:133], off
	s_waitcnt vmcnt(3)
	v_mov_b32_e32 v52, v45
	v_mfma_f32_16x16x16_bf16 a[0:3], v[138:139], v[136:137], a[20:23]
	v_mov_b32_e32 v51, v44
	v_mov_b32_e32 v50, v43
	s_cbranch_vccnz .LBB478_16
; %bb.15:                               ;   in Loop: Header=BB478_6 Depth=1
	v_lshrrev_b32_e32 v43, 3, v116
	v_and_b32_e32 v43, 6, v43
	v_xor_b32_e32 v44, v43, v117
	v_lshlrev_b32_e32 v44, 2, v44
	v_and_b32_e32 v45, 8, v116
	v_xor_b32_e32 v116, 0x440, v44
	v_cmp_eq_u32_e32 vcc, 0, v45
	v_perm_b32 v45, v30, v26, s61
	s_nop 0
	v_cndmask_b32_e32 v44, v116, v44, vcc
	v_lshl_or_b32 v43, v43, 10, v44
	v_perm_b32 v44, v38, v34, s61
	s_barrier
	ds_write2st64_b32 v43, v44, v45 offset0:32 offset1:64
	v_xor_b32_e32 v44, 8, v43
	v_perm_b32 v34, v38, v34, s62
	v_perm_b32 v26, v30, v26, s62
	v_add_u32_e32 v30, 0x80, v44
	ds_write2st64_b32 v30, v34, v26 offset0:32 offset1:64
	v_xor_b32_e32 v26, 16, v43
	v_perm_b32 v30, v39, v35, s61
	v_perm_b32 v34, v31, v27, s61
	ds_write2st64_b32 v26, v30, v34 offset0:33 offset1:65
	v_xor_b32_e32 v26, 24, v43
	v_perm_b32 v30, v39, v35, s62
	v_perm_b32 v27, v31, v27, s62
	v_add_u32_e32 v26, 0x80, v26
	ds_write2st64_b32 v26, v30, v27 offset0:33 offset1:65
	v_xor_b32_e32 v26, 32, v43
	v_perm_b32 v27, v40, v36, s61
	v_perm_b32 v30, v32, v28, s61
	;; [unrolled: 9-line block ×3, first 2 shown]
	ds_write2st64_b32 v26, v27, v28 offset0:35 offset1:67
	v_xor_b32_e32 v26, 56, v43
	v_perm_b32 v27, v41, v37, s62
	v_perm_b32 v28, v33, v29, s62
	v_add_u32_e32 v26, 0x80, v26
	ds_write2st64_b32 v26, v27, v28 offset0:35 offset1:67
	ds_write_b64 v115, v[22:23] offset:24576
	v_xor_b32_e32 v22, 8, v115
	ds_write_b64 v22, v[24:25] offset:24576
	ds_write_b64 v115, v[18:19] offset:32768
	;; [unrolled: 1-line block ×4, first 2 shown]
	v_xor_b32_e32 v14, 8, v114
	ds_write_b64 v14, v[16:17] offset:24576
	ds_write_b64 v114, v[10:11] offset:32768
	ds_write_b64 v14, v[12:13] offset:32768
.LBB478_16:                             ;   in Loop: Header=BB478_6 Depth=1
	v_mul_f32_e32 v14, s20, v105
	v_exp_f32_e32 v26, v14
	s_waitcnt vmcnt(2)
	v_mul_f32_e32 v14, 0x3fb8aa3b, v46
	v_exp_f32_e32 v28, v14
	v_mul_f32_e32 v14, 0x3fb8aa3b, v47
	v_exp_f32_e32 v29, v14
	;; [unrolled: 2-line block ×4, first 2 shown]
	v_accvgpr_read_b32 v21, a7
	v_accvgpr_read_b32 v19, a5
	;; [unrolled: 1-line block ×4, first 2 shown]
	v_pk_mul_f32 v[28:29], v[26:27], v[28:29] op_sel_hi:[0,1]
	v_accvgpr_read_b32 v12, a10
	v_pk_fma_f32 v[2:3], v[2:3], v[28:29], v[18:19]
	v_pk_mul_f32 v[18:19], v[26:27], v[30:31] op_sel_hi:[0,1]
	v_accvgpr_read_b32 v20, a6
	v_accvgpr_read_b32 v11, a9
	;; [unrolled: 1-line block ×3, first 2 shown]
	v_fma_f32 v108, v108, v18, v12
	v_mul_f32_e32 v12, 0x3fb8aa3b, v51
	v_pk_fma_f32 v[4:5], v[4:5], v[18:19], v[20:21]
	v_fma_f32 v106, v106, v28, v10
	v_fma_f32 v107, v107, v29, v11
	v_mul_f32_e32 v10, 0x3fb8aa3b, v42
	v_mul_f32_e32 v11, 0x3fb8aa3b, v50
	v_exp_f32_e32 v20, v12
	v_mul_f32_e32 v12, 0x3fb8aa3b, v52
	v_exp_f32_e32 v10, v10
	v_exp_f32_e32 v11, v11
	;; [unrolled: 1-line block ×3, first 2 shown]
	v_accvgpr_read_b32 v25, a15
	v_accvgpr_read_b32 v17, a3
	;; [unrolled: 1-line block ×8, first 2 shown]
	v_fmac_f32_e32 v13, v113, v19
	v_pk_mul_f32 v[10:11], v[26:27], v[10:11] op_sel_hi:[0,1]
	v_pk_mul_f32 v[18:19], v[26:27], v[20:21] op_sel_hi:[0,1]
	s_add_i32 s60, s60, 64
	v_pk_fma_f32 v[6:7], v[6:7], v[10:11], v[22:23]
	v_pk_fma_f32 v[8:9], v[8:9], v[18:19], v[24:25]
	v_fma_f32 v109, v109, v10, v14
	v_fma_f32 v110, v110, v11, v15
	;; [unrolled: 1-line block ×3, first 2 shown]
	s_cmp_eq_u32 s51, s65
	v_fmac_f32_e32 v17, v112, v19
	s_cbranch_scc1 .LBB478_18
; %bb.17:                               ;   in Loop: Header=BB478_6 Depth=1
	s_mov_b32 s66, s65
	v_mov_b32_e32 v113, v13
	v_mov_b32_e32 v112, v17
	s_branch .LBB478_6
.LBB478_18:
	v_mov_b32_e32 v16, v111
	v_mov_b32_e32 v15, v110
	;; [unrolled: 1-line block ×6, first 2 shown]
.LBB478_19:
	s_lshl_b32 s44, s51, 6
	s_sub_i32 s45, s12, s44
	s_cmp_gt_i32 s45, 0
	v_or_b32_e32 v34, s2, v63
	s_cbranch_scc1 .LBB478_21
; %bb.20:
	s_ashr_i32 s0, s33, 31
	s_add_u32 s24, s48, s33
	s_addc_u32 s25, s54, s0
	v_or_b32_e32 v35, s2, v63
	s_cbranch_execz .LBB478_22
	s_branch .LBB478_86
.LBB478_21:
                                        ; implicit-def: $sgpr24_sgpr25
                                        ; implicit-def: $vgpr35
.LBB478_22:
	s_ashr_i32 s37, s50, 31
	s_ashr_i32 s3, s44, 31
	s_cmpk_lg_i32 s15, 0x80
	s_cselect_b64 s[40:41], -1, 0
	s_and_b64 vcc, exec, s[40:41]
	s_cbranch_vccz .LBB478_24
; %bb.23:
	s_mul_hi_i32 s0, s50, s12
	s_add_u32 s1, s46, s44
	s_addc_u32 s0, s0, s3
	s_mul_i32 s20, s1, s52
	s_mul_hi_u32 s21, s1, s14
	s_add_i32 s20, s21, s20
	s_mul_i32 s0, s0, s14
	s_add_i32 s20, s20, s0
	s_mul_i32 s1, s1, s14
	s_ashr_i32 s0, s55, 31
	s_add_u32 s42, s1, s55
	s_addc_u32 s43, s20, s0
	s_cbranch_execz .LBB478_25
	s_branch .LBB478_26
.LBB478_24:
                                        ; implicit-def: $sgpr42_sgpr43
.LBB478_25:
	s_mul_hi_i32 s0, s50, s14
	s_mul_i32 s50, s50, s14
	s_ashr_i32 s1, s55, 31
	s_add_u32 s14, s50, s55
	s_addc_u32 s0, s0, s1
	s_mul_i32 s1, s14, s49
	s_mul_hi_u32 s20, s14, s12
	s_add_i32 s1, s20, s1
	s_mul_i32 s0, s0, s12
	s_add_i32 s1, s1, s0
	s_mul_i32 s14, s14, s12
	s_add_u32 s42, s14, s44
	s_addc_u32 s43, s1, s3
.LBB478_26:
	s_add_i32 s20, s53, s51
	s_ashr_i32 s14, s33, 31
	s_add_u32 s24, s48, s33
	s_addc_u32 s25, s54, s14
	s_mul_i32 s0, s24, s49
	s_mul_hi_u32 s1, s24, s12
	s_add_i32 s0, s1, s0
	s_mul_i32 s1, s25, s12
	s_add_i32 s1, s0, s1
	s_mul_i32 s0, s24, s12
	s_add_u32 s0, s0, s44
	v_lshlrev_b32_e32 v22, 5, v1
	v_lshlrev_b32_e32 v40, 2, v63
	s_addc_u32 s1, s1, s3
	s_mov_b32 s3, 0x7060302
	v_or_b32_e32 v25, v22, v40
	v_xor_b32_e32 v23, v1, v40
	v_perm_b32 v19, v5, v4, s3
	v_perm_b32 v18, v3, v2, s3
	;; [unrolled: 1-line block ×4, first 2 shown]
	v_lshlrev_b32_e32 v25, 1, v25
	v_xor_b32_e32 v24, v66, v40
	ds_write2st64_b64 v25, v[18:19], v[20:21] offset0:80 offset1:88
	v_lshlrev_b32_e32 v23, 1, v23
	v_lshlrev_b32_e32 v25, 8, v63
	s_lshl_b64 s[26:27], s[0:1], 8
	v_or_b32_e32 v26, v23, v25
	v_lshlrev_b32_e32 v24, 1, v24
	s_add_u32 s0, s6, s26
	ds_write_b64 v26, v[18:19]
	v_or_b32_e32 v18, v24, v25
	s_addc_u32 s1, s7, s27
	ds_write_b64 v18, v[20:21]
	v_perm_b32 v19, v13, v12, s3
	v_perm_b32 v18, v11, v10, s3
	;; [unrolled: 1-line block ×4, first 2 shown]
	v_or_b32_e32 v25, 16, v63
	s_mul_hi_i32 s3, s20, s13
	s_mul_i32 s20, s20, s13
	v_lshlrev_b32_e32 v37, 2, v25
	s_add_u32 s6, s20, s33
	v_or_b32_e32 v22, v22, v37
	s_addc_u32 s7, s3, s14
	v_lshlrev_b32_e32 v22, 1, v22
	s_ashr_i32 s3, s2, 31
	s_lshl_b64 s[6:7], s[6:7], 15
	ds_write2st64_b64 v22, v[18:19], v[20:21] offset0:80 offset1:88
	v_lshlrev_b32_e32 v22, 8, v25
	s_waitcnt lgkmcnt(0)
	s_add_u32 s6, s38, s6
	v_or_b32_e32 v23, v23, v22
	s_addc_u32 s7, s39, s7
	s_lshl_b64 s[2:3], s[2:3], 8
	ds_write_b64 v23, v[18:19]
	v_or_b32_e32 v18, v24, v22
	s_add_u32 s2, s6, s2
	ds_write_b64 v18, v[20:21]
	v_lshrrev_b32_e32 v18, 4, v0
	s_addc_u32 s3, s7, s3
	v_lshlrev_b32_e32 v19, 1, v63
	v_lshlrev_b32_e32 v26, 4, v63
	v_mov_b32_e32 v27, 0
	v_or_b32_e32 v20, 1, v19
	v_xor_b32_e32 v19, v18, v19
	v_lshl_add_u64 v[28:29], s[2:3], 0, v[26:27]
	v_lshlrev_b32_e32 v26, 8, v18
	v_xor_b32_e32 v22, v20, v18
	v_lshl_or_b32 v18, v19, 3, v26
	s_waitcnt lgkmcnt(0)
	s_barrier
	ds_read2st64_b64 v[18:21], v18 offset1:8
	v_lshl_or_b32 v22, v22, 3, v26
	ds_read2st64_b64 v[22:25], v22 offset1:8
	v_lshl_add_u64 v[30:31], v[28:29], 0, v[26:27]
	s_movk_i32 s2, 0x1000
	s_waitcnt lgkmcnt(1)
	v_mov_b32_e32 v26, v18
	v_add_co_u32_e32 v18, vcc, s2, v30
	s_cmp_lg_u32 s45, 64
	v_mov_b32_e32 v27, v19
	v_addc_co_u32_e32 v19, vcc, 0, v31, vcc
	s_cselect_b64 s[6:7], -1, 0
	v_lshl_or_b32 v35, v53, 3, v65
	s_waitcnt lgkmcnt(0)
	v_mov_b32_e32 v28, v22
	v_mov_b32_e32 v29, v23
	;; [unrolled: 1-line block ×4, first 2 shown]
	s_mov_b32 s20, 0
	v_or_b32_e32 v38, 32, v35
	v_and_b32_e32 v36, 56, v64
	s_and_b64 vcc, exec, s[6:7]
	global_store_dwordx4 v[30:31], v[26:29], off
	global_store_dwordx4 v[18:19], v[22:25], off
	s_cbranch_vccz .LBB478_32
; %bb.27:
	s_mov_b32 s22, s20
	s_mov_b32 s23, s20
	;; [unrolled: 1-line block ×3, first 2 shown]
	v_mov_b64_e32 v[24:25], s[22:23]
	v_mov_b64_e32 v[22:23], s[20:21]
	v_mov_b64_e32 v[18:19], v[22:23]
	v_cmp_gt_i32_e32 vcc, s45, v35
	v_mov_b64_e32 v[20:21], v[24:25]
	s_and_saveexec_b64 s[2:3], vcc
	s_cbranch_execz .LBB478_29
; %bb.28:
	v_lshlrev_b32_e32 v18, 8, v35
	v_mov_b32_e32 v19, 0
	v_lshl_add_u64 v[20:21], s[0:1], 0, v[18:19]
	v_lshlrev_b32_e32 v18, 1, v36
	v_lshl_add_u64 v[26:27], v[20:21], 0, v[18:19]
	global_load_dwordx4 v[22:25], v[26:27], off
	global_load_dwordx4 v[18:21], v[26:27], off offset:128
.LBB478_29:
	s_or_b64 exec, exec, s[2:3]
	s_mov_b32 s22, s20
	s_mov_b32 s23, s20
	;; [unrolled: 1-line block ×3, first 2 shown]
	v_mov_b64_e32 v[32:33], s[22:23]
	v_mov_b64_e32 v[30:31], s[20:21]
	;; [unrolled: 1-line block ×3, first 2 shown]
	v_cmp_gt_i32_e32 vcc, s45, v38
	v_lshlrev_b32_e32 v39, 7, v38
	v_mov_b64_e32 v[28:29], v[32:33]
	s_and_saveexec_b64 s[2:3], vcc
	s_cbranch_execz .LBB478_31
; %bb.30:
	v_lshlrev_b32_e32 v26, 1, v39
	v_mov_b32_e32 v27, 0
	v_lshl_add_u64 v[28:29], s[0:1], 0, v[26:27]
	v_lshlrev_b32_e32 v26, 1, v36
	v_lshl_add_u64 v[42:43], v[28:29], 0, v[26:27]
	global_load_dwordx4 v[30:33], v[42:43], off
	global_load_dwordx4 v[26:29], v[42:43], off offset:128
.LBB478_31:
	s_or_b64 exec, exec, s[2:3]
	v_lshrrev_b32_e32 v41, 3, v36
	v_lshlrev_b32_e32 v42, 3, v35
	v_or_b32_e32 v41, v42, v41
	v_lshlrev_b32_e32 v41, 4, v41
	v_and_b32_e32 v42, 0x78, v42
	v_xor_b32_e32 v41, v41, v42
	s_branch .LBB478_34
.LBB478_32:
                                        ; implicit-def: $vgpr41
                                        ; implicit-def: $vgpr39
                                        ; implicit-def: $vgpr22_vgpr23_vgpr24_vgpr25
                                        ; implicit-def: $vgpr18_vgpr19_vgpr20_vgpr21
                                        ; implicit-def: $vgpr30_vgpr31_vgpr32_vgpr33
                                        ; implicit-def: $vgpr26_vgpr27_vgpr28_vgpr29
	s_cbranch_execz .LBB478_34
; %bb.33:
	s_waitcnt vmcnt(0)
	v_lshlrev_b32_e32 v18, 1, v36
	v_lshl_or_b32 v39, v35, 8, v18
	s_and_b32 s1, s1, 0xffff
	s_mov_b32 s3, 0x20000
	s_movk_i32 s2, 0x4000
	v_lshl_or_b32 v41, v38, 8, v18
	s_movk_i32 s20, 0x80
	buffer_load_dwordx4 v[22:25], v39, s[0:3], 0 offen
	buffer_load_dwordx4 v[18:21], v39, s[0:3], s20 offen
	;; [unrolled: 1-line block ×4, first 2 shown]
	v_lshrrev_b32_e32 v39, 3, v36
	v_lshlrev_b32_e32 v41, 3, v35
	v_or_b32_e32 v39, v41, v39
	v_lshlrev_b32_e32 v39, 4, v39
	v_and_b32_e32 v41, 0x78, v41
	v_xor_b32_e32 v41, v39, v41
	v_lshlrev_b32_e32 v39, 7, v38
.LBB478_34:
	s_lshl_b64 s[0:1], s[42:43], 8
	s_add_u32 s4, s4, s0
	s_movk_i32 s0, 0x1000
	v_and_or_b32 v38, v39, s0, v41
	s_waitcnt vmcnt(1)
	ds_write_b64 v41, v[22:23] offset:24576
	v_xor_b32_e32 v22, 8, v41
	ds_write_b64 v22, v[24:25] offset:24576
	s_waitcnt vmcnt(0)
	ds_write_b64 v41, v[18:19] offset:32768
	ds_write_b64 v22, v[20:21] offset:32768
	;; [unrolled: 1-line block ×3, first 2 shown]
	v_xor_b32_e32 v18, 8, v38
	ds_write_b64 v18, v[32:33] offset:24576
	ds_write_b64 v38, v[26:27] offset:32768
	;; [unrolled: 1-line block ×3, first 2 shown]
	v_or_b32_e32 v18, v60, v63
	s_addc_u32 s5, s5, s1
	s_add_i32 s20, s12, -1
	v_lshlrev_b32_e32 v18, 3, v18
	v_lshrrev_b32_e32 v19, 5, v61
	s_movk_i32 s12, 0xf8
	v_and_or_b32 v19, v18, s12, v19
	v_lshlrev_b32_e32 v23, 4, v19
	v_lshlrev_b32_e32 v41, 11, v53
	v_and_b32_e32 v24, 0x78, v18
	v_or_b32_e32 v26, 32, v23
	v_and_b32_e32 v22, 0x1000, v41
	v_lshrrev_b32_e32 v19, 1, v61
	v_xor_b32_e32 v26, v26, v24
	v_xor_b32_e32 v18, v23, v24
	v_and_b32_e32 v25, 8, v19
	v_or_b32_e32 v26, v26, v22
	v_or_b32_e32 v18, v18, v22
	v_xor_b32_e32 v45, v26, v25
	v_or_b32_e32 v26, 64, v23
	v_xor_b32_e32 v44, v18, v25
	v_xor_b32_e32 v26, v26, v24
	s_waitcnt lgkmcnt(0)
	s_barrier
	v_or_b32_e32 v28, v26, v22
	ds_read_b64 v[26:27], v44 offset:24576
	v_lshl_or_b32 v38, v62, 7, v40
	v_lshlrev_b32_e32 v42, 1, v38
	v_add_u32_e32 v18, 0xa000, v42
	ds_read2_b64 v[18:21], v18 offset1:16
	v_or_b32_e32 v23, 0x60, v23
	v_xor_b32_e32 v23, v23, v24
	s_waitcnt lgkmcnt(0)
	v_mfma_f32_16x16x16_bf16 a[0:3], v[26:27], v[18:19], 0
	v_or_b32_e32 v18, 64, v38
	v_or_b32_e32 v22, v23, v22
	v_lshlrev_b32_e32 v43, 1, v18
	v_xor_b32_e32 v46, v28, v25
	v_xor_b32_e32 v47, v22, v25
	ds_read_b64 v[28:29], v45 offset:24576
	ds_read_b64 v[30:31], v46 offset:24576
	;; [unrolled: 1-line block ×3, first 2 shown]
	v_mfma_f32_16x16x16_bf16 a[4:7], v[26:27], v[20:21], 0
	ds_read2st64_b64 v[18:21], v43 offset0:82 offset1:84
	ds_read2st64_b64 v[22:25], v42 offset0:82 offset1:84
	s_add_i32 s0, s47, s17
	s_mul_i32 s37, s37, s16
	s_add_i32 s37, s0, s37
	s_mul_i32 s0, s33, s19
	s_mul_hi_u32 s1, s33, s18
	s_ashr_i32 s2, s20, 31
	s_mul_i32 s3, s20, s35
	s_mul_hi_u32 s12, s20, s34
	s_add_i32 s0, s1, s0
	s_mul_i32 s1, s14, s18
	s_add_i32 s3, s12, s3
	s_mul_i32 s2, s2, s34
	s_waitcnt lgkmcnt(1)
	v_mfma_f32_16x16x16_bf16 a[4:7], v[28:29], v[18:19], a[4:7]
	s_add_i32 s1, s0, s1
	s_add_i32 s3, s3, s2
	s_lshl_b64 s[16:17], s[36:37], 2
	s_waitcnt lgkmcnt(0)
	v_mfma_f32_16x16x16_bf16 a[0:3], v[28:29], v[22:23], a[0:3]
	s_mul_i32 s0, s33, s18
	s_add_u32 s10, s10, s16
	s_addc_u32 s11, s11, s17
	s_lshl_b64 s[0:1], s[0:1], 2
	s_mul_i32 s2, s20, s34
	s_add_u32 s10, s10, s0
	ds_read_b64 v[18:19], v42 offset:44032
	v_mfma_f32_16x16x16_bf16 a[4:7], v[30:31], v[20:21], a[4:7]
	ds_read_b64 v[20:21], v43 offset:44032
	s_addc_u32 s11, s11, s1
	s_lshl_b64 s[0:1], s[2:3], 2
	v_mfma_f32_16x16x16_bf16 a[0:3], v[30:31], v[24:25], a[0:3]
	s_add_u32 s0, s10, s0
	s_addc_u32 s1, s11, s1
	s_load_dword s12, s[0:1], 0x0
	s_waitcnt lgkmcnt(0)
	v_mfma_f32_16x16x16_bf16 a[0:3], v[32:33], v[18:19], a[0:3]
	s_and_b64 vcc, exec, s[40:41]
	v_mfma_f32_16x16x16_bf16 a[4:7], v[32:33], v[20:21], a[4:7]
	s_cbranch_vccz .LBB478_45
; %bb.35:
	v_lshlrev_b32_e32 v38, 1, v35
	s_and_b64 vcc, exec, s[6:7]
	s_cbranch_vccz .LBB478_46
; %bb.36:
	v_cmp_gt_i32_e32 vcc, s45, v38
	v_mov_b32_e32 v22, 0
	v_mov_b32_e32 v18, 0
	;; [unrolled: 1-line block ×5, first 2 shown]
	s_and_saveexec_b64 s[0:1], vcc
	s_cbranch_execz .LBB478_38
; %bb.37:
	v_mad_i64_i32 v[18:19], s[2:3], s15, v38, 0
	v_lshl_add_u64 v[18:19], v[18:19], 1, s[4:5]
	v_lshlrev_b32_e32 v20, 1, v36
	v_mov_b32_e32 v21, 0
	v_lshl_add_u64 v[18:19], v[18:19], 0, v[20:21]
	global_load_dwordx4 v[18:21], v[18:19], off
.LBB478_38:
	s_or_b64 exec, exec, s[0:1]
	v_or_b32_e32 v39, 1, v38
	v_cmp_gt_i32_e64 s[0:1], s45, v39
	v_mov_b32_e32 v23, 0
	v_mov_b32_e32 v24, 0
	;; [unrolled: 1-line block ×3, first 2 shown]
	s_and_saveexec_b64 s[2:3], s[0:1]
	s_cbranch_execz .LBB478_40
; %bb.39:
	v_mad_i64_i32 v[22:23], s[16:17], s15, v39, 0
	v_lshl_add_u64 v[22:23], v[22:23], 1, s[4:5]
	v_lshlrev_b32_e32 v24, 1, v36
	v_mov_b32_e32 v25, 0
	v_lshl_add_u64 v[22:23], v[22:23], 0, v[24:25]
	global_load_dwordx4 v[22:25], v[22:23], off
.LBB478_40:
	s_or_b64 exec, exec, s[2:3]
	v_mov_b32_e32 v33, 0
	v_mov_b32_e32 v26, 0
	;; [unrolled: 1-line block ×5, first 2 shown]
	s_and_saveexec_b64 s[2:3], vcc
	s_cbranch_execz .LBB478_42
; %bb.41:
	v_mad_i64_i32 v[26:27], s[16:17], s15, v38, 0
	v_lshl_add_u64 v[26:27], v[26:27], 1, s[4:5]
	v_lshlrev_b32_e32 v28, 1, v36
	v_mov_b32_e32 v29, 0
	v_lshl_add_u64 v[26:27], v[26:27], 0, v[28:29]
	global_load_dwordx4 v[26:29], v[26:27], off offset:128
.LBB478_42:
	s_or_b64 exec, exec, s[2:3]
	v_mov_b32_e32 v32, 0
	v_mov_b32_e32 v31, 0
	v_mov_b32_e32 v30, 0
	s_and_saveexec_b64 s[2:3], s[0:1]
	s_cbranch_execz .LBB478_44
; %bb.43:
	v_mad_i64_i32 v[30:31], s[0:1], s15, v39, 0
	v_lshl_add_u64 v[30:31], v[30:31], 1, s[4:5]
	v_lshlrev_b32_e32 v32, 1, v36
	v_mov_b32_e32 v33, 0
	v_lshl_add_u64 v[30:31], v[30:31], 0, v[32:33]
	global_load_dwordx4 v[30:33], v[30:31], off offset:128
.LBB478_44:
	s_or_b64 exec, exec, s[2:3]
	s_branch .LBB478_48
.LBB478_45:
                                        ; implicit-def: $vgpr21
                                        ; implicit-def: $vgpr25
                                        ; implicit-def: $vgpr29
                                        ; implicit-def: $vgpr33
	v_lshrrev_b32_e32 v48, 2, v61
	s_branch .LBB478_49
.LBB478_46:
                                        ; implicit-def: $vgpr21
                                        ; implicit-def: $vgpr25
                                        ; implicit-def: $vgpr29
                                        ; implicit-def: $vgpr33
	s_cbranch_execz .LBB478_48
; %bb.47:
	s_waitcnt vmcnt(0)
	v_mad_u64_u32 v[18:19], s[0:1], v38, s15, v[36:37]
	v_lshlrev_b32_e32 v38, 1, v18
	s_lshl_b32 s2, s15, 7
	s_and_b32 s1, s5, 0xffff
	s_mov_b32 s3, 0x20000
	s_mov_b32 s0, s4
	v_add_lshl_u32 v39, v18, s15, 1
	s_movk_i32 s15, 0x80
	buffer_load_dwordx4 v[18:21], v38, s[0:3], 0 offen
	buffer_load_dwordx4 v[26:29], v38, s[0:3], s15 offen
	;; [unrolled: 1-line block ×4, first 2 shown]
.LBB478_48:
	v_lshrrev_b32_e32 v48, 2, v61
	s_cbranch_execnz .LBB478_61
.LBB478_49:
	s_and_b64 vcc, exec, s[6:7]
	s_cbranch_vccz .LBB478_59
; %bb.50:
	s_waitcnt vmcnt(0)
	v_lshlrev_b32_e32 v23, 1, v35
	v_cmp_gt_i32_e32 vcc, s45, v23
	v_mov_b32_e32 v22, 0
	v_lshlrev_b32_e32 v30, 9, v35
	v_mov_b32_e32 v18, 0
	v_mov_b32_e32 v19, 0
	;; [unrolled: 1-line block ×4, first 2 shown]
	s_and_saveexec_b64 s[0:1], vcc
	s_cbranch_execz .LBB478_52
; %bb.51:
	v_mov_b32_e32 v31, 0
	v_lshl_add_u64 v[18:19], s[4:5], 0, v[30:31]
	v_lshlrev_b32_e32 v20, 1, v36
	v_mov_b32_e32 v21, v31
	v_lshl_add_u64 v[18:19], v[18:19], 0, v[20:21]
	global_load_dwordx4 v[18:21], v[18:19], off
.LBB478_52:
	s_or_b64 exec, exec, s[0:1]
	v_or_b32_e32 v23, 1, v23
	v_cmp_gt_i32_e64 s[0:1], s45, v23
	v_lshlrev_b32_e32 v38, 8, v23
	v_mov_b32_e32 v23, 0
	v_mov_b32_e32 v24, 0
	;; [unrolled: 1-line block ×3, first 2 shown]
	s_and_saveexec_b64 s[2:3], s[0:1]
	s_cbranch_execz .LBB478_54
; %bb.53:
	v_mov_b32_e32 v39, 0
	v_lshl_add_u64 v[22:23], s[4:5], 0, v[38:39]
	v_lshlrev_b32_e32 v24, 1, v36
	v_mov_b32_e32 v25, v39
	v_lshl_add_u64 v[22:23], v[22:23], 0, v[24:25]
	global_load_dwordx4 v[22:25], v[22:23], off
.LBB478_54:
	s_or_b64 exec, exec, s[2:3]
	v_mov_b32_e32 v33, 0
	v_mov_b32_e32 v26, 0
	;; [unrolled: 1-line block ×5, first 2 shown]
	s_and_saveexec_b64 s[2:3], vcc
	s_cbranch_execz .LBB478_56
; %bb.55:
	v_mov_b32_e32 v31, 0
	v_lshl_add_u64 v[26:27], s[4:5], 0, v[30:31]
	v_lshlrev_b32_e32 v30, 1, v36
	v_lshl_add_u64 v[26:27], v[26:27], 0, v[30:31]
	global_load_dwordx4 v[26:29], v[26:27], off offset:128
.LBB478_56:
	s_or_b64 exec, exec, s[2:3]
	v_mov_b32_e32 v32, 0
	v_mov_b32_e32 v31, 0
	;; [unrolled: 1-line block ×3, first 2 shown]
	s_and_saveexec_b64 s[2:3], s[0:1]
	s_cbranch_execz .LBB478_58
; %bb.57:
	v_mov_b32_e32 v39, 0
	v_lshl_add_u64 v[30:31], s[4:5], 0, v[38:39]
	v_lshlrev_b32_e32 v38, 1, v36
	v_lshl_add_u64 v[30:31], v[30:31], 0, v[38:39]
	global_load_dwordx4 v[30:33], v[30:31], off offset:128
.LBB478_58:
	s_or_b64 exec, exec, s[2:3]
	s_branch .LBB478_61
.LBB478_59:
                                        ; implicit-def: $vgpr21
                                        ; implicit-def: $vgpr25
                                        ; implicit-def: $vgpr29
                                        ; implicit-def: $vgpr33
	s_cbranch_execz .LBB478_61
; %bb.60:
	s_waitcnt vmcnt(0)
	v_lshlrev_b32_e32 v18, 1, v36
	v_lshl_or_b32 v36, v35, 9, v18
	s_and_b32 s5, s5, 0xffff
	s_mov_b32 s7, 0x20000
	s_movk_i32 s6, 0x4000
	s_movk_i32 s0, 0x80
	buffer_load_dwordx4 v[18:21], v36, s[4:7], 0 offen
	buffer_load_dwordx4 v[22:25], v36, s[4:7], 0 offen offset:256
	buffer_load_dwordx4 v[26:29], v36, s[4:7], s0 offen
	buffer_load_dwordx4 v[30:33], v36, s[4:7], s0 offen offset:256
.LBB478_61:
	ds_read_b64 v[38:39], v44 offset:32768
	v_add_u32_e32 v36, 0xb000, v42
	ds_read2_b64 v[54:57], v36 offset1:16
	ds_read_b64 v[50:51], v45 offset:32768
	ds_read_b64 v[58:59], v46 offset:32768
	;; [unrolled: 1-line block ×3, first 2 shown]
	ds_read2st64_b64 v[44:47], v42 offset0:90 offset1:92
	v_and_b32_e32 v36, 12, v48
	v_and_b32_e32 v48, 6, v0
	v_xor_b32_e32 v35, v35, v48
	v_lshlrev_b32_e32 v35, 2, v35
	s_mov_b32 s0, 0x1000504
	s_waitcnt lgkmcnt(4)
	v_mfma_f32_16x16x16_bf16 a[0:3], v[38:39], v[54:55], a[0:3]
	s_mov_b32 s1, 0x3020706
	v_mfma_f32_16x16x16_bf16 a[4:7], v[38:39], v[56:57], a[4:7]
	ds_read2st64_b64 v[54:57], v43 offset0:90 offset1:92
	s_waitcnt lgkmcnt(1)
	v_mfma_f32_16x16x16_bf16 a[0:3], v[50:51], v[44:45], a[0:3]
	ds_read_b64 v[38:39], v42 offset:48128
	ds_read_b64 v[44:45], v43 offset:48128
	s_waitcnt lgkmcnt(2)
	v_mfma_f32_16x16x16_bf16 a[4:7], v[50:51], v[54:55], a[4:7]
	v_mfma_f32_16x16x16_bf16 a[0:3], v[58:59], v[46:47], a[0:3]
	v_and_b32_e32 v46, 1, v0
	v_xor_b32_e32 v47, 0x440, v35
	v_cmp_eq_u32_e32 vcc, 0, v46
	v_mfma_f32_16x16x16_bf16 a[8:11], v[58:59], v[56:57], a[4:7]
	s_nop 0
	v_cndmask_b32_e32 v35, v47, v35, vcc
	v_lshl_or_b32 v35, v48, 10, v35
	s_waitcnt lgkmcnt(1)
	v_mfma_f32_16x16x16_bf16 a[4:7], v[62:63], v[38:39], a[0:3]
	s_waitcnt vmcnt(0)
	v_perm_b32 v38, v18, v22, s0
	v_perm_b32 v39, v26, v30, s0
	ds_write2st64_b32 v35, v38, v39 offset0:32 offset1:64
	v_xor_b32_e32 v38, 8, v35
	v_perm_b32 v18, v18, v22, s1
	v_perm_b32 v22, v26, v30, s1
	v_add_u32_e32 v26, 0x80, v38
	ds_write2st64_b32 v26, v18, v22 offset0:32 offset1:64
	v_xor_b32_e32 v18, 16, v35
	v_perm_b32 v22, v19, v23, s0
	v_perm_b32 v26, v27, v31, s0
	ds_write2st64_b32 v18, v22, v26 offset0:33 offset1:65
	v_xor_b32_e32 v18, 24, v35
	v_perm_b32 v19, v19, v23, s1
	v_perm_b32 v22, v27, v31, s1
	v_add_u32_e32 v18, 0x80, v18
	ds_write2st64_b32 v18, v19, v22 offset0:33 offset1:65
	v_xor_b32_e32 v18, 32, v35
	v_perm_b32 v19, v20, v24, s0
	v_perm_b32 v22, v28, v32, s0
	ds_write2st64_b32 v18, v19, v22 offset0:34 offset1:66
	v_xor_b32_e32 v18, 40, v35
	s_waitcnt lgkmcnt(5)
	v_mfma_f32_16x16x16_bf16 a[0:3], v[62:63], v[44:45], a[8:11]
	v_perm_b32 v19, v20, v24, s1
	v_perm_b32 v20, v28, v32, s1
	v_add_u32_e32 v18, 0x80, v18
	ds_write2st64_b32 v18, v19, v20 offset0:34 offset1:66
	v_xor_b32_e32 v18, 48, v35
	v_perm_b32 v19, v21, v25, s0
	v_perm_b32 v20, v29, v33, s0
	ds_write2st64_b32 v18, v19, v20 offset0:35 offset1:67
	v_xor_b32_e32 v18, 56, v35
	v_or_b32_e32 v32, v36, v60
	v_perm_b32 v19, v21, v25, s1
	v_perm_b32 v20, v29, v33, s1
	v_add_u32_e32 v18, 0x80, v18
	v_cmp_gt_i32_e32 vcc, s45, v32
	v_mov_b32_e32 v33, 0
	v_mov_b32_e32 v39, 0
	ds_write2st64_b32 v18, v19, v20 offset0:35 offset1:67
	s_and_saveexec_b64 s[0:1], vcc
	s_cbranch_execz .LBB478_63
; %bb.62:
	v_add_u32_e32 v18, s44, v32
	v_ashrrev_i32_e32 v19, 31, v18
	v_mul_lo_u32 v20, v19, s34
	v_mul_lo_u32 v21, v18, s35
	v_mad_u64_u32 v[18:19], s[2:3], v18, s34, 0
	v_add3_u32 v19, v19, v21, v20
	v_lshl_add_u64 v[18:19], v[18:19], 2, s[10:11]
	global_load_dword v18, v[18:19], off
	s_waitcnt vmcnt(0)
	v_sub_f32_e32 v18, s12, v18
	v_mul_f32_e32 v18, 0x3fb8aa3b, v18
	v_exp_f32_e32 v39, v18
.LBB478_63:
	s_or_b64 exec, exec, s[0:1]
	v_or_b32_e32 v26, 1, v32
	v_cmp_gt_i32_e64 s[0:1], s45, v26
	s_and_saveexec_b64 s[2:3], s[0:1]
	s_cbranch_execz .LBB478_65
; %bb.64:
	v_add_u32_e32 v18, s44, v26
	v_ashrrev_i32_e32 v19, 31, v18
	v_mul_lo_u32 v20, v19, s34
	v_mul_lo_u32 v21, v18, s35
	v_mad_u64_u32 v[18:19], s[4:5], v18, s34, 0
	v_add3_u32 v19, v19, v21, v20
	v_lshl_add_u64 v[18:19], v[18:19], 2, s[10:11]
	global_load_dword v18, v[18:19], off
	s_waitcnt vmcnt(0)
	v_sub_f32_e32 v18, s12, v18
	v_mul_f32_e32 v18, 0x3fb8aa3b, v18
	v_exp_f32_e32 v33, v18
.LBB478_65:
	s_or_b64 exec, exec, s[2:3]
	v_or_b32_e32 v27, 2, v32
	v_cmp_gt_i32_e64 s[2:3], s45, v27
	v_mov_b32_e32 v38, 0
	v_mov_b32_e32 v44, 0
	s_and_saveexec_b64 s[4:5], s[2:3]
	s_cbranch_execz .LBB478_67
; %bb.66:
	v_add_u32_e32 v18, s44, v27
	v_ashrrev_i32_e32 v19, 31, v18
	v_mul_lo_u32 v20, v19, s34
	v_mul_lo_u32 v21, v18, s35
	v_mad_u64_u32 v[18:19], s[6:7], v18, s34, 0
	v_add3_u32 v19, v19, v21, v20
	v_lshl_add_u64 v[18:19], v[18:19], 2, s[10:11]
	global_load_dword v18, v[18:19], off
	s_waitcnt vmcnt(0)
	v_sub_f32_e32 v18, s12, v18
	v_mul_f32_e32 v18, 0x3fb8aa3b, v18
	v_exp_f32_e32 v44, v18
.LBB478_67:
	s_or_b64 exec, exec, s[4:5]
	v_or_b32_e32 v45, 3, v32
	v_cmp_gt_i32_e64 s[4:5], s45, v45
	s_and_saveexec_b64 s[6:7], s[4:5]
	s_cbranch_execz .LBB478_69
; %bb.68:
	v_add_u32_e32 v18, s44, v45
	v_ashrrev_i32_e32 v19, 31, v18
	v_mul_lo_u32 v20, v19, s34
	v_mul_lo_u32 v21, v18, s35
	v_mad_u64_u32 v[18:19], s[16:17], v18, s34, 0
	v_add3_u32 v19, v19, v21, v20
	v_lshl_add_u64 v[18:19], v[18:19], 2, s[10:11]
	global_load_dword v18, v[18:19], off
	s_waitcnt vmcnt(0)
	v_sub_f32_e32 v18, s12, v18
	v_mul_f32_e32 v18, 0x3fb8aa3b, v18
	v_exp_f32_e32 v38, v18
.LBB478_69:
	s_or_b64 exec, exec, s[6:7]
	s_add_u32 s6, s8, s26
	v_accvgpr_read_b32 v21, a7
	s_addc_u32 s7, s9, s27
	v_ashrrev_i32_e32 v35, 31, v34
	v_accvgpr_read_b32 v20, a6
	v_accvgpr_read_b32 v19, a5
	;; [unrolled: 1-line block ×3, first 2 shown]
	v_lshl_add_u64 v[22:23], v[34:35], 1, s[6:7]
	v_mov_b32_e32 v29, 0
	v_lshlrev_b32_e32 v24, 8, v32
	v_mov_b32_e32 v25, 0
	s_and_saveexec_b64 s[6:7], vcc
	s_cbranch_execz .LBB478_71
; %bb.70:
	v_mov_b32_e32 v25, 0
	v_lshl_add_u64 v[30:31], v[22:23], 0, v[24:25]
	global_load_ushort v25, v[30:31], off
	s_waitcnt vmcnt(0)
	v_lshlrev_b32_e32 v25, 16, v25
	v_sub_f32_e32 v18, v25, v18
	v_mul_f32_e32 v18, v39, v18
	v_lshrrev_b32_e32 v25, 16, v18
.LBB478_71:
	s_or_b64 exec, exec, s[6:7]
	v_lshlrev_b32_e32 v28, 8, v26
	s_and_saveexec_b64 s[6:7], s[0:1]
	s_cbranch_execz .LBB478_73
; %bb.72:
	v_mov_b32_e32 v29, 0
	v_lshl_add_u64 v[30:31], v[22:23], 0, v[28:29]
	global_load_ushort v18, v[30:31], off
	s_waitcnt vmcnt(0)
	v_lshlrev_b32_e32 v18, 16, v18
	v_sub_f32_e32 v18, v18, v19
	v_mul_f32_e32 v18, v33, v18
	v_lshrrev_b32_e32 v29, 16, v18
.LBB478_73:
	s_or_b64 exec, exec, s[6:7]
	v_mov_b32_e32 v46, 0
	v_lshlrev_b32_e32 v30, 8, v27
	v_mov_b32_e32 v31, 0
	s_and_saveexec_b64 s[6:7], s[2:3]
	s_cbranch_execz .LBB478_75
; %bb.74:
	v_mov_b32_e32 v31, 0
	v_lshl_add_u64 v[18:19], v[22:23], 0, v[30:31]
	global_load_ushort v18, v[18:19], off
	s_waitcnt vmcnt(0)
	v_lshlrev_b32_e32 v18, 16, v18
	v_sub_f32_e32 v18, v18, v20
	v_mul_f32_e32 v18, v44, v18
	v_lshrrev_b32_e32 v31, 16, v18
.LBB478_75:
	s_or_b64 exec, exec, s[6:7]
	v_lshlrev_b32_e32 v26, 8, v45
	s_and_saveexec_b64 s[6:7], s[4:5]
	s_cbranch_execz .LBB478_77
; %bb.76:
	v_mov_b32_e32 v27, 0
	v_lshl_add_u64 v[18:19], v[22:23], 0, v[26:27]
	global_load_ushort v18, v[18:19], off
	s_waitcnt vmcnt(0)
	v_lshlrev_b32_e32 v18, 16, v18
	v_sub_f32_e32 v18, v18, v21
	v_mul_f32_e32 v18, v38, v18
	v_lshrrev_b32_e32 v46, 16, v18
.LBB478_77:
	s_or_b64 exec, exec, s[6:7]
	v_lshlrev_b32_e32 v35, 5, v32
	s_mov_b32 s6, 0x5040100
	v_perm_b32 v47, v46, v31, s6
	v_perm_b32 v46, v29, v25, s6
	v_or_b32_e32 v25, v35, v40
	v_accvgpr_read_b32 v21, a3
	v_lshlrev_b32_e32 v25, 1, v25
	v_accvgpr_read_b32 v20, a2
	v_accvgpr_read_b32 v19, a1
	;; [unrolled: 1-line block ×3, first 2 shown]
	ds_write_b64 v25, v[46:47] offset:45056
	v_mov_b32_e32 v29, 0
	v_mov_b32_e32 v25, 0
	s_and_saveexec_b64 s[6:7], vcc
	s_cbranch_execz .LBB478_79
; %bb.78:
	v_mov_b32_e32 v25, 0
	v_lshl_add_u64 v[24:25], v[22:23], 0, v[24:25]
	global_load_ushort v24, v[24:25], off offset:32
	s_waitcnt vmcnt(0)
	v_lshlrev_b32_e32 v24, 16, v24
	v_sub_f32_e32 v18, v24, v18
	v_mul_f32_e32 v18, v39, v18
	v_lshrrev_b32_e32 v25, 16, v18
.LBB478_79:
	s_or_b64 exec, exec, s[6:7]
	s_and_saveexec_b64 s[6:7], s[0:1]
	s_cbranch_execz .LBB478_81
; %bb.80:
	v_mov_b32_e32 v29, 0
	v_lshl_add_u64 v[28:29], v[22:23], 0, v[28:29]
	global_load_ushort v18, v[28:29], off offset:32
	s_waitcnt vmcnt(0)
	v_lshlrev_b32_e32 v18, 16, v18
	v_sub_f32_e32 v18, v18, v19
	v_mul_f32_e32 v18, v33, v18
	v_lshrrev_b32_e32 v29, 16, v18
.LBB478_81:
	s_or_b64 exec, exec, s[6:7]
	v_mov_b32_e32 v24, 0
	v_mov_b32_e32 v28, 0
	s_and_saveexec_b64 s[0:1], s[2:3]
	s_cbranch_execz .LBB478_83
; %bb.82:
	v_mov_b32_e32 v31, 0
	v_lshl_add_u64 v[18:19], v[22:23], 0, v[30:31]
	global_load_ushort v18, v[18:19], off offset:32
	s_waitcnt vmcnt(0)
	v_lshlrev_b32_e32 v18, 16, v18
	v_sub_f32_e32 v18, v18, v20
	v_mul_f32_e32 v18, v44, v18
	v_lshrrev_b32_e32 v28, 16, v18
.LBB478_83:
	s_or_b64 exec, exec, s[0:1]
	v_or_b32_e32 v19, 0xb000, v42
	v_or_b32_e32 v18, 0xb000, v43
	s_and_saveexec_b64 s[0:1], s[4:5]
	s_cbranch_execz .LBB478_85
; %bb.84:
	v_mov_b32_e32 v27, 0
	v_lshl_add_u64 v[22:23], v[22:23], 0, v[26:27]
	global_load_ushort v20, v[22:23], off offset:32
	s_waitcnt vmcnt(0)
	v_lshlrev_b32_e32 v20, 16, v20
	v_sub_f32_e32 v20, v20, v21
	v_mul_f32_e32 v20, v38, v20
	v_lshrrev_b32_e32 v24, 16, v20
.LBB478_85:
	s_or_b64 exec, exec, s[0:1]
	s_mov_b32 s0, 0x5040100
	v_or_b32_e32 v22, v35, v37
	v_perm_b32 v21, v24, v28, s0
	v_perm_b32 v20, v29, v25, s0
	v_lshlrev_b32_e32 v22, 1, v22
	s_movk_i32 s2, 0x100
	ds_write_b64 v22, v[20:21] offset:45056
	v_and_b32_e32 v20, 7, v0
	v_and_b32_e32 v21, 8, v0
	v_cmp_gt_u32_e32 vcc, s2, v0
	v_lshrrev_b32_e32 v0, 1, v0
	v_lshlrev_b32_e32 v26, 3, v20
	v_lshlrev_b32_e32 v35, 7, v20
	v_mov_b32_e32 v20, 0x4000
	v_mov_b32_e32 v22, 0x2000
	v_lshlrev_b32_e32 v24, 3, v53
	v_and_b32_e32 v0, 24, v0
	v_cndmask_b32_e32 v27, v20, v22, vcc
	v_xor_b32_e32 v20, v24, v0
	v_or_b32_e32 v22, 0x440, v20
	v_cmp_eq_u32_e32 vcc, 0, v21
	v_or_b32_e32 v28, 32, v0
	v_xor_b32_e32 v28, v24, v28
	v_cndmask_b32_e32 v20, v22, v20, vcc
	v_or_b32_e32 v20, v20, v41
	v_xor_b32_e32 v50, v20, v26
	v_or_b32_e32 v29, 0x440, v28
	v_add3_u32 v25, v27, v50, v35
	v_cndmask_b32_e32 v28, v29, v28, vcc
	v_or_b32_e32 v29, 64, v0
	v_or_b32_e32 v0, 0x60, v0
	s_waitcnt lgkmcnt(0)
	s_barrier
	v_xor_b32_e32 v29, v24, v29
	v_xor_b32_e32 v0, v24, v0
	ds_read_b64 v[24:25], v25
	v_xor_b32_e32 v30, 0x440, v29
	ds_read2_b64 v[20:23], v19 offset1:16
	v_cndmask_b32_e32 v29, v30, v29, vcc
	v_xor_b32_e32 v30, 0x440, v0
	v_or_b32_e32 v28, v28, v41
	v_or_b32_e32 v29, v29, v41
	v_cndmask_b32_e32 v0, v30, v0, vcc
	s_add_i32 s0, s20, s46
	v_xor_b32_e32 v51, v28, v26
	v_xor_b32_e32 v52, v29, v26
	v_or_b32_e32 v0, v0, v41
	s_mul_hi_i32 s1, s0, s13
	v_add3_u32 v28, v27, v51, v35
	v_add3_u32 v29, v27, v52, v35
	v_xor_b32_e32 v54, v0, v26
	s_mul_i32 s0, s0, s13
	v_add3_u32 v0, v27, v54, v35
	ds_read_b64 v[26:27], v28
	ds_read_b64 v[46:47], v29
	;; [unrolled: 1-line block ×3, first 2 shown]
	s_add_u32 s0, s0, s33
	ds_read2st64_b64 v[28:31], v19 offset0:2 offset1:4
	ds_read2st64_b64 v[38:41], v18 offset0:2 offset1:4
	s_waitcnt lgkmcnt(5)
	v_mfma_f32_16x16x16_bf16 a[0:3], v[24:25], v[20:21], 0
	s_addc_u32 s1, s1, s14
	s_lshl_b64 s[0:1], s[0:1], 9
	s_add_u32 s0, s30, s0
	v_mfma_f32_16x16x16_bf16 a[4:7], v[24:25], v[22:23], 0
	s_addc_u32 s1, s31, s1
	v_lshlrev_b32_e32 v0, 2, v32
	v_lshlrev_b32_e32 v32, 2, v36
	s_waitcnt lgkmcnt(1)
	v_mfma_f32_16x16x16_bf16 a[0:3], v[26:27], v[28:29], a[0:3]
	ds_read_b64 v[36:37], v18 offset:3072
	s_waitcnt lgkmcnt(1)
	v_mfma_f32_16x16x16_bf16 a[4:7], v[26:27], v[38:39], a[4:7]
	global_load_dwordx4 v[24:27], v0, s[0:1]
	v_lshlrev_b32_e32 v0, 6, v53
	v_or3_b32 v0, v0, v32, s2
	global_load_dwordx4 v[42:45], v0, s[0:1]
	ds_read_b64 v[32:33], v19 offset:3072
	v_mfma_f32_16x16x16_bf16 a[0:3], v[46:47], v[30:31], a[0:3]
	v_mov_b32_e32 v0, 0x3fb8aa3b
	v_mul_f32_e32 v0, s12, v0
	v_exp_f32_e32 v0, v0
	v_mfma_f32_16x16x16_bf16 a[4:7], v[46:47], v[40:41], a[4:7]
	s_waitcnt vmcnt(1)
	v_mul_f32_e32 v18, 0x3fb8aa3b, v24
	v_mul_f32_e32 v19, 0x3fb8aa3b, v25
	v_exp_f32_e32 v18, v18
	v_exp_f32_e32 v19, v19
	s_waitcnt lgkmcnt(0)
	v_mfma_f32_16x16x16_bf16 a[0:3], v[48:49], v[32:33], a[0:3]
	v_mul_f32_e32 v24, 0x3fb8aa3b, v26
	v_mul_f32_e32 v25, 0x3fb8aa3b, v27
	v_pk_mul_f32 v[46:47], v[0:1], v[18:19] op_sel_hi:[0,1]
	v_add_u32_e32 v18, v50, v35
	v_exp_f32_e32 v24, v24
	v_exp_f32_e32 v25, v25
	v_add_u32_e32 v50, v52, v35
	v_accvgpr_read_b32 v27, a3
	v_accvgpr_read_b32 v26, a2
	v_mfma_f32_16x16x16_bf16 a[2:5], v[48:49], v[36:37], a[4:7]
	ds_read_b64 v[48:49], v18 offset:16384
	v_accvgpr_read_b32 v19, a1
	v_accvgpr_read_b32 v18, a0
	v_pk_fma_f32 v[18:19], v[2:3], v[46:47], v[18:19]
	v_add_u32_e32 v2, v51, v35
	s_waitcnt lgkmcnt(0)
	v_mfma_f32_16x16x16_bf16 a[6:9], v[48:49], v[20:21], 0
	v_add_u32_e32 v35, v54, v35
	ds_read_b64 v[2:3], v2 offset:16384
	ds_read_b64 v[50:51], v50 offset:16384
	;; [unrolled: 1-line block ×3, first 2 shown]
	v_pk_mul_f32 v[24:25], v[0:1], v[24:25] op_sel_hi:[0,1]
	v_pk_fma_f32 v[20:21], v[4:5], v[24:25], v[26:27]
	v_accvgpr_read_b32 v4, a2
	v_mfma_f32_16x16x16_bf16 a[10:13], v[48:49], v[22:23], 0
	v_fma_f32 v26, v10, v46, v4
	v_accvgpr_read_b32 v4, a3
	v_fma_f32 v27, v11, v47, v4
	s_waitcnt lgkmcnt(2)
	v_mfma_f32_16x16x16_bf16 a[0:3], v[2:3], v[28:29], a[6:9]
	v_accvgpr_read_b32 v4, a4
	v_accvgpr_read_b32 v29, a5
	v_fma_f32 v28, v12, v24, v4
	v_mfma_f32_16x16x16_bf16 a[4:7], v[2:3], v[38:39], a[10:13]
	s_waitcnt vmcnt(0)
	v_mov_b32_e32 v2, v43
	v_mov_b32_e32 v3, v44
	;; [unrolled: 1-line block ×3, first 2 shown]
	s_waitcnt lgkmcnt(1)
	v_mfma_f32_16x16x16_bf16 a[0:3], v[50:51], v[30:31], a[0:3]
	v_mul_f32_e32 v2, 0x3fb8aa3b, v2
	v_mul_f32_e32 v5, 0x3fb8aa3b, v42
	v_exp_f32_e32 v11, v2
	v_mfma_f32_16x16x16_bf16 a[4:7], v[50:51], v[40:41], a[4:7]
	v_mul_f32_e32 v2, 0x3fb8aa3b, v3
	v_mul_f32_e32 v3, 0x3fb8aa3b, v4
	v_exp_f32_e32 v10, v5
	s_waitcnt lgkmcnt(0)
	v_mfma_f32_16x16x16_bf16 a[0:3], v[52:53], v[32:33], a[0:3]
	v_exp_f32_e32 v2, v2
	v_exp_f32_e32 v3, v3
	v_pk_mul_f32 v[10:11], v[0:1], v[10:11] op_sel_hi:[0,1]
	v_fmac_f32_e32 v29, v13, v25
	v_mov_b32_e32 v35, v34
	v_pk_mul_f32 v[2:3], v[0:1], v[2:3] op_sel_hi:[0,1]
	s_nop 0
	v_accvgpr_read_b32 v5, a3
	v_accvgpr_read_b32 v4, a2
	v_mfma_f32_16x16x16_bf16 a[2:5], v[52:53], v[36:37], a[4:7]
	v_accvgpr_read_b32 v13, a1
	v_accvgpr_read_b32 v12, a0
	v_pk_fma_f32 v[22:23], v[6:7], v[10:11], v[12:13]
	v_pk_fma_f32 v[24:25], v[8:9], v[2:3], v[4:5]
	s_nop 2
	v_accvgpr_read_b32 v0, a2
	v_fma_f32 v30, v14, v10, v0
	v_accvgpr_read_b32 v0, a3
	v_fma_f32 v31, v15, v11, v0
	v_accvgpr_read_b32 v0, a4
	v_accvgpr_read_b32 v33, a5
	v_fma_f32 v32, v16, v2, v0
	v_fmac_f32_e32 v33, v17, v3
	v_mov_b64_e32 v[2:3], v[18:19]
	v_mov_b64_e32 v[4:5], v[20:21]
	;; [unrolled: 1-line block ×8, first 2 shown]
.LBB478_86:
	s_lshl_b64 s[0:1], s[24:25], 16
	s_waitcnt lgkmcnt(0)
	s_add_u32 s0, s28, s0
	v_lshlrev_b32_e32 v18, 7, v35
	s_addc_u32 s1, s29, s1
	v_ashrrev_i32_e32 v19, 31, v18
	v_lshl_add_u64 v[20:21], v[18:19], 2, s[0:1]
	v_lshlrev_b32_e32 v0, 2, v1
	v_mov_b32_e32 v1, 0
	v_lshl_add_u64 v[20:21], v[20:21], 0, v[0:1]
	global_store_dwordx4 v[20:21], v[2:5], off
	global_store_dwordx4 v[20:21], v[6:9], off offset:256
	s_nop 0
	v_or_b32_e32 v2, 0x800, v18
	v_ashrrev_i32_e32 v3, 31, v2
	v_lshl_add_u64 v[2:3], v[2:3], 2, s[0:1]
	v_lshl_add_u64 v[0:1], v[2:3], 0, v[0:1]
	global_store_dwordx4 v[0:1], v[10:13], off
	global_store_dwordx4 v[0:1], v[14:17], off offset:256
	s_endpgm
	.section	.rodata,"a",@progbits
	.p2align	6, 0x0
	.amdhsa_kernel _ZN12_GLOBAL__N_139chunk_gated_delta_rule_fwd_h_hip_kernelILi32ELb0ELb1ELb0ELb0ELb0ELb1ELb0ELb0EEEvPK12hip_bfloat16S3_S3_PKfS5_PKvPS1_S8_PvPKiSB_iiiiilll
		.amdhsa_group_segment_fixed_size 49152
		.amdhsa_private_segment_fixed_size 0
		.amdhsa_kernarg_size 136
		.amdhsa_user_sgpr_count 2
		.amdhsa_user_sgpr_dispatch_ptr 0
		.amdhsa_user_sgpr_queue_ptr 0
		.amdhsa_user_sgpr_kernarg_segment_ptr 1
		.amdhsa_user_sgpr_dispatch_id 0
		.amdhsa_user_sgpr_kernarg_preload_length 0
		.amdhsa_user_sgpr_kernarg_preload_offset 0
		.amdhsa_user_sgpr_private_segment_size 0
		.amdhsa_uses_dynamic_stack 0
		.amdhsa_enable_private_segment 0
		.amdhsa_system_sgpr_workgroup_id_x 1
		.amdhsa_system_sgpr_workgroup_id_y 1
		.amdhsa_system_sgpr_workgroup_id_z 0
		.amdhsa_system_sgpr_workgroup_info 0
		.amdhsa_system_vgpr_workitem_id 0
		.amdhsa_next_free_vgpr 164
		.amdhsa_next_free_sgpr 67
		.amdhsa_accum_offset 140
		.amdhsa_reserve_vcc 1
		.amdhsa_float_round_mode_32 0
		.amdhsa_float_round_mode_16_64 0
		.amdhsa_float_denorm_mode_32 3
		.amdhsa_float_denorm_mode_16_64 3
		.amdhsa_dx10_clamp 1
		.amdhsa_ieee_mode 1
		.amdhsa_fp16_overflow 0
		.amdhsa_tg_split 0
		.amdhsa_exception_fp_ieee_invalid_op 0
		.amdhsa_exception_fp_denorm_src 0
		.amdhsa_exception_fp_ieee_div_zero 0
		.amdhsa_exception_fp_ieee_overflow 0
		.amdhsa_exception_fp_ieee_underflow 0
		.amdhsa_exception_fp_ieee_inexact 0
		.amdhsa_exception_int_div_zero 0
	.end_amdhsa_kernel
	.section	.text._ZN12_GLOBAL__N_139chunk_gated_delta_rule_fwd_h_hip_kernelILi32ELb0ELb1ELb0ELb0ELb0ELb1ELb0ELb0EEEvPK12hip_bfloat16S3_S3_PKfS5_PKvPS1_S8_PvPKiSB_iiiiilll,"axG",@progbits,_ZN12_GLOBAL__N_139chunk_gated_delta_rule_fwd_h_hip_kernelILi32ELb0ELb1ELb0ELb0ELb0ELb1ELb0ELb0EEEvPK12hip_bfloat16S3_S3_PKfS5_PKvPS1_S8_PvPKiSB_iiiiilll,comdat
.Lfunc_end478:
	.size	_ZN12_GLOBAL__N_139chunk_gated_delta_rule_fwd_h_hip_kernelILi32ELb0ELb1ELb0ELb0ELb0ELb1ELb0ELb0EEEvPK12hip_bfloat16S3_S3_PKfS5_PKvPS1_S8_PvPKiSB_iiiiilll, .Lfunc_end478-_ZN12_GLOBAL__N_139chunk_gated_delta_rule_fwd_h_hip_kernelILi32ELb0ELb1ELb0ELb0ELb0ELb1ELb0ELb0EEEvPK12hip_bfloat16S3_S3_PKfS5_PKvPS1_S8_PvPKiSB_iiiiilll
                                        ; -- End function
	.section	.AMDGPU.csdata,"",@progbits
; Kernel info:
; codeLenInByte = 9892
; NumSgprs: 73
; NumVgprs: 140
; NumAgprs: 24
; TotalNumVgprs: 164
; ScratchSize: 0
; MemoryBound: 0
; FloatMode: 240
; IeeeMode: 1
; LDSByteSize: 49152 bytes/workgroup (compile time only)
; SGPRBlocks: 9
; VGPRBlocks: 20
; NumSGPRsForWavesPerEU: 73
; NumVGPRsForWavesPerEU: 164
; AccumOffset: 140
; Occupancy: 1
; WaveLimiterHint : 1
; COMPUTE_PGM_RSRC2:SCRATCH_EN: 0
; COMPUTE_PGM_RSRC2:USER_SGPR: 2
; COMPUTE_PGM_RSRC2:TRAP_HANDLER: 0
; COMPUTE_PGM_RSRC2:TGID_X_EN: 1
; COMPUTE_PGM_RSRC2:TGID_Y_EN: 1
; COMPUTE_PGM_RSRC2:TGID_Z_EN: 0
; COMPUTE_PGM_RSRC2:TIDIG_COMP_CNT: 0
; COMPUTE_PGM_RSRC3_GFX90A:ACCUM_OFFSET: 34
; COMPUTE_PGM_RSRC3_GFX90A:TG_SPLIT: 0
	.section	.text._ZN12_GLOBAL__N_139chunk_gated_delta_rule_fwd_h_hip_kernelILi32ELb0ELb0ELb1ELb0ELb0ELb1ELb0ELb0EEEvPK12hip_bfloat16S3_S3_PKfS5_PKvPS1_S8_PvPKiSB_iiiiilll,"axG",@progbits,_ZN12_GLOBAL__N_139chunk_gated_delta_rule_fwd_h_hip_kernelILi32ELb0ELb0ELb1ELb0ELb0ELb1ELb0ELb0EEEvPK12hip_bfloat16S3_S3_PKfS5_PKvPS1_S8_PvPKiSB_iiiiilll,comdat
	.globl	_ZN12_GLOBAL__N_139chunk_gated_delta_rule_fwd_h_hip_kernelILi32ELb0ELb0ELb1ELb0ELb0ELb1ELb0ELb0EEEvPK12hip_bfloat16S3_S3_PKfS5_PKvPS1_S8_PvPKiSB_iiiiilll ; -- Begin function _ZN12_GLOBAL__N_139chunk_gated_delta_rule_fwd_h_hip_kernelILi32ELb0ELb0ELb1ELb0ELb0ELb1ELb0ELb0EEEvPK12hip_bfloat16S3_S3_PKfS5_PKvPS1_S8_PvPKiSB_iiiiilll
	.p2align	8
	.type	_ZN12_GLOBAL__N_139chunk_gated_delta_rule_fwd_h_hip_kernelILi32ELb0ELb0ELb1ELb0ELb0ELb1ELb0ELb0EEEvPK12hip_bfloat16S3_S3_PKfS5_PKvPS1_S8_PvPKiSB_iiiiilll,@function
_ZN12_GLOBAL__N_139chunk_gated_delta_rule_fwd_h_hip_kernelILi32ELb0ELb0ELb1ELb0ELb0ELb1ELb0ELb0EEEvPK12hip_bfloat16S3_S3_PKfS5_PKvPS1_S8_PvPKiSB_iiiiilll: ; @_ZN12_GLOBAL__N_139chunk_gated_delta_rule_fwd_h_hip_kernelILi32ELb0ELb0ELb1ELb0ELb0ELb1ELb0ELb0EEEvPK12hip_bfloat16S3_S3_PKfS5_PKvPS1_S8_PvPKiSB_iiiiilll
; %bb.0:
	s_load_dwordx4 s[16:19], s[0:1], 0x5c
	s_load_dwordx4 s[12:15], s[0:1], 0x30
	s_abs_i32 s22, s3
	s_ashr_i32 s21, s3, 31
	s_load_dwordx8 s[4:11], s[0:1], 0x0
	s_waitcnt lgkmcnt(0)
	s_abs_i32 s20, s17
	v_cvt_f32_u32_e32 v1, s20
	s_sub_i32 s24, 0, s20
	s_ashr_i32 s23, s17, 31
	s_xor_b32 s21, s21, s23
	v_rcp_iflag_f32_e32 v1, v1
	v_lshrrev_b32_e32 v63, 6, v0
	v_bfe_u32 v64, v0, 4, 2
	v_lshlrev_b32_e32 v2, 2, v64
	v_mul_f32_e32 v1, 0x4f7ffffe, v1
	v_cvt_u32_f32_e32 v1, v1
	v_and_b32_e32 v62, 63, v0
	v_mov_b32_e32 v5, 0
	v_and_b32_e32 v45, 15, v0
	v_readfirstlane_b32 s25, v1
	s_mul_i32 s24, s24, s25
	s_mul_hi_u32 s24, s25, s24
	s_add_i32 s25, s25, s24
	s_mul_hi_u32 s24, s22, s25
	s_mul_i32 s25, s24, s20
	s_sub_i32 s22, s22, s25
	s_add_i32 s26, s24, 1
	s_sub_i32 s25, s22, s20
	s_cmp_ge_u32 s22, s20
	s_cselect_b32 s24, s26, s24
	s_cselect_b32 s22, s25, s22
	s_add_i32 s25, s24, 1
	s_cmp_ge_u32 s22, s20
	s_cselect_b32 s22, s25, s24
	s_abs_i32 s24, s18
	v_cvt_f32_u32_e32 v1, s24
	s_xor_b32 s22, s22, s21
	s_ashr_i32 s48, s16, 31
	s_sub_i32 s50, s22, s21
	v_rcp_iflag_f32_e32 v1, v1
	s_lshr_b32 s21, s48, 26
	s_add_i32 s21, s16, s21
	s_ashr_i32 s51, s18, 31
	v_mul_f32_e32 v1, 0x4f7ffffe, v1
	v_cvt_u32_f32_e32 v1, v1
	s_ashr_i32 s49, s21, 6
	s_xor_b32 s21, s23, s51
	s_sub_i32 s22, 0, s24
	v_readfirstlane_b32 s23, v1
	s_mul_i32 s22, s22, s23
	s_mul_hi_u32 s22, s23, s22
	s_add_i32 s23, s23, s22
	s_mul_hi_u32 s22, s20, s23
	s_mul_i32 s23, s22, s24
	s_mul_i32 s47, s50, s17
	s_sub_i32 s20, s20, s23
	s_sub_i32 s33, s3, s47
	s_add_i32 s3, s16, 63
	s_add_i32 s23, s22, 1
	s_sub_i32 s25, s20, s24
	s_cmp_ge_u32 s20, s24
	s_cselect_b32 s22, s23, s22
	s_cselect_b32 s20, s25, s20
	s_add_i32 s23, s22, 1
	s_cmp_ge_u32 s20, s24
	s_cselect_b32 s20, s23, s22
	s_xor_b32 s20, s20, s21
	s_sub_i32 s24, s20, s21
	s_abs_i32 s25, s24
	v_cvt_f32_u32_e32 v1, s25
	s_sub_i32 s27, 0, s25
	s_abs_i32 s26, s33
	s_xor_b32 s24, s33, s24
	v_rcp_iflag_f32_e32 v1, v1
	s_ashr_i32 s24, s24, 31
	s_load_dwordx2 s[34:35], s[0:1], 0x80
	s_load_dwordx4 s[20:23], s[0:1], 0x70
	s_mul_hi_i32 s53, s50, s17
	v_mul_f32_e32 v1, 0x4f7ffffe, v1
	v_cvt_u32_f32_e32 v1, v1
	v_lshrrev_b32_e32 v66, 3, v62
	v_lshlrev_b32_e32 v65, 3, v0
	s_waitcnt lgkmcnt(0)
	s_mul_i32 s21, s50, s21
	v_readfirstlane_b32 s28, v1
	s_mul_i32 s27, s27, s28
	s_mul_hi_u32 s27, s28, s27
	s_add_i32 s28, s28, s27
	s_mul_hi_u32 s27, s26, s28
	s_mul_i32 s28, s27, s25
	s_sub_i32 s26, s26, s28
	s_add_i32 s28, s27, 1
	s_sub_i32 s29, s26, s25
	s_cmp_ge_u32 s26, s25
	s_cselect_b32 s27, s28, s27
	s_cselect_b32 s26, s29, s26
	s_add_i32 s28, s27, 1
	s_cmp_ge_u32 s26, s25
	s_cselect_b32 s25, s28, s27
	s_xor_b32 s25, s25, s24
	s_sub_i32 s54, s25, s24
	s_ashr_i32 s24, s3, 31
	s_lshr_b32 s24, s24, 26
	v_lshlrev_b32_e32 v1, 4, v63
	s_add_i32 s3, s3, s24
	v_or_b32_e32 v67, v2, v1
	s_ashr_i32 s3, s3, 6
	s_lshl_b32 s36, s2, 5
	s_mul_i32 s52, s50, s3
	v_or_b32_e32 v68, 64, v67
	s_cmp_lt_i32 s16, 64
	s_mul_hi_u32 s46, s50, s20
	s_mul_i32 s38, s50, s20
	v_mov_b32_e32 v85, 0
	v_mov_b32_e32 v83, 0
	;; [unrolled: 1-line block ×15, first 2 shown]
	s_cbranch_scc1 .LBB479_18
; %bb.1:
	s_ashr_i32 s28, s50, 31
	s_ashr_i32 s56, s33, 31
	s_add_u32 s2, s47, s33
	s_addc_u32 s3, s53, s56
	s_mul_i32 s3, s16, s3
	s_mul_hi_u32 s24, s16, s2
	s_add_i32 s41, s24, s3
	s_mul_i32 s40, s16, s2
	s_lshl_b64 s[2:3], s[40:41], 8
	v_and_b32_e32 v70, 56, v65
	s_add_u32 s24, s6, s2
	v_lshl_or_b32 v69, v63, 3, v66
	v_lshlrev_b32_e32 v3, 1, v70
	s_addc_u32 s2, s7, s3
	v_lshl_or_b32 v71, v69, 8, v3
	s_and_b32 s25, s2, 0xffff
	s_mov_b32 s27, 0x20000
	s_movk_i32 s26, 0x4000
	s_movk_i32 s2, 0x80
	v_or_b32_e32 v72, 0x2000, v71
	buffer_load_dwordx4 v[4:7], v71, s[24:27], 0 offen
	buffer_load_dwordx4 v[8:11], v71, s[24:27], s2 offen
	;; [unrolled: 1-line block ×4, first 2 shown]
	v_lshlrev_b32_e32 v20, 3, v69
	v_and_or_b32 v22, v0, 7, v20
	v_and_b32_e32 v20, 0x78, v20
	v_lshlrev_b32_e32 v22, 4, v22
	v_xor_b32_e32 v73, v22, v20
	v_mul_lo_u32 v21, v69, s19
	v_or_b32_e32 v74, 0x1000, v73
	s_cmpk_eq_i32 s19, 0x80
	s_mov_b32 s55, s18
	v_xor_b32_e32 v20, 8, v73
	v_xor_b32_e32 v22, 8, v74
	s_cselect_b64 s[2:3], -1, 0
	s_cmpk_lg_i32 s19, 0x80
	s_waitcnt vmcnt(3)
	ds_write_b64 v73, v[4:5] offset:24576
	ds_write_b64 v20, v[6:7] offset:24576
	s_waitcnt vmcnt(2)
	ds_write_b64 v73, v[8:9] offset:32768
	ds_write_b64 v20, v[10:11] offset:32768
	;; [unrolled: 3-line block ×4, first 2 shown]
	v_lshl_add_u32 v4, v21, 1, v70
	s_cbranch_scc0 .LBB479_3
; %bb.2:
	v_lshlrev_b32_e32 v6, 1, v4
	v_add_lshl_u32 v5, v4, s19, 1
	s_lshl_b32 s26, s19, 7
	s_load_dwordx2 s[42:43], s[0:1], 0x20
	v_lshl_or_b32 v3, v69, 9, v3
	s_cbranch_execz .LBB479_4
	s_branch .LBB479_5
.LBB479_3:
                                        ; implicit-def: $vgpr5
                                        ; implicit-def: $vgpr6
                                        ; implicit-def: $sgpr26
	s_load_dwordx2 s[42:43], s[0:1], 0x20
	v_lshl_or_b32 v3, v69, 9, v3
.LBB479_4:
	v_or_b32_e32 v5, 0x100, v3
	s_movk_i32 s26, 0x4000
	v_mov_b32_e32 v6, v3
.LBB479_5:
	s_mul_hi_u32 s0, s18, s16
	s_mul_i32 s1, s51, s16
	s_add_i32 s0, s0, s1
	s_mul_i32 s1, s18, s16
	s_mul_i32 s24, s1, s28
	s_mul_hi_u32 s25, s1, s50
	s_add_i32 s24, s25, s24
	s_mul_i32 s0, s0, s50
	s_add_i32 s24, s24, s0
	s_mul_i32 s1, s1, s50
	s_ashr_i32 s57, s54, 31
	s_add_u32 s0, s1, s54
	s_addc_u32 s1, s24, s57
	s_lshl_b64 s[0:1], s[0:1], 8
	s_add_u32 s24, s4, s0
	s_addc_u32 s0, s5, s1
	s_and_b32 s25, s0, 0xffff
	s_movk_i32 s58, 0x80
	buffer_load_dwordx4 v[8:11], v6, s[24:27], 0 offen
	buffer_load_dwordx4 v[12:15], v6, s[24:27], s58 offen
	;; [unrolled: 1-line block ×4, first 2 shown]
	v_and_b32_e32 v5, 6, v0
	v_lshlrev_b32_e32 v24, 6, v67
	v_or_b32_e32 v26, 16, v45
	v_xor_b32_e32 v27, v69, v5
	v_and_b32_e32 v6, 1, v0
	s_mul_i32 s0, s28, s16
	s_mul_hi_u32 s1, s50, s16
	v_lshl_or_b32 v30, v45, 3, v24
	v_lshl_or_b32 v24, v26, 3, v24
	v_lshlrev_b32_e32 v27, 2, v27
	v_lshlrev_b32_e32 v7, 2, v45
	v_or_b32_e32 v77, 0xa000, v24
	v_or_b32_e32 v78, 0xb000, v24
	v_xor_b32_e32 v24, 0x440, v27
	v_cmp_eq_u32_e32 vcc, 0, v6
	s_add_i32 s63, s1, s0
	s_add_i32 s0, s46, s21
	s_mul_i32 s28, s28, s20
	v_xor_b32_e32 v28, v67, v7
	v_xor_b32_e32 v29, v68, v7
	v_cndmask_b32_e32 v6, v24, v27, vcc
	s_add_i32 s39, s0, s28
	s_mul_i32 s0, s33, s23
	s_mul_hi_u32 s1, s33, s22
	s_mov_b32 s61, 0x1000504
	v_lshlrev_b32_e32 v25, 8, v45
	v_lshlrev_b32_e32 v28, 1, v28
	;; [unrolled: 1-line block ×3, first 2 shown]
	v_lshl_or_b32 v5, v5, 10, v6
	s_add_i32 s0, s1, s0
	s_mul_i32 s1, s56, s22
	s_mov_b32 s62, 0x3020706
	v_or_b32_e32 v75, 0xa000, v30
	v_or_b32_e32 v76, 0xb000, v30
	;; [unrolled: 1-line block ×4, first 2 shown]
	v_xor_b32_e32 v6, 8, v5
	v_xor_b32_e32 v25, 24, v5
	v_xor_b32_e32 v30, 40, v5
	v_xor_b32_e32 v32, 56, v5
	s_add_i32 s1, s0, s1
	s_lshl_b64 s[24:25], s[38:39], 2
	v_xor_b32_e32 v24, 16, v5
	v_xor_b32_e32 v27, 32, v5
	;; [unrolled: 1-line block ×3, first 2 shown]
	v_add_u32_e32 v6, 0x80, v6
	v_add_u32_e32 v25, 0x80, v25
	;; [unrolled: 1-line block ×4, first 2 shown]
	s_mul_i32 s0, s33, s22
	s_add_u32 s24, s10, s24
	s_addc_u32 s25, s11, s25
	s_lshl_b64 s[0:1], s[0:1], 2
	s_add_u32 s44, s24, s0
	s_movk_i32 s0, 0xf8
	s_addc_u32 s45, s25, s1
	s_ashr_i32 s37, s36, 31
	s_lshl_b32 s30, s19, 7
	s_movk_i32 s24, 0x100
	v_mov_b32_e32 v55, 0
	v_lshlrev_b32_e32 v54, 4, v45
	v_cmp_gt_u32_e32 vcc, s24, v0
	s_mul_i32 s59, s50, s16
	s_mov_b32 s60, 0
	s_movk_i32 s39, 0x1000
	s_movk_i32 s26, 0x4000
	v_add_u32_e32 v102, v1, v2
	s_mov_b32 s64, 0x7060302
	v_mov_b32_e32 v113, 0x3fb8aa3b
	s_mov_b32 s66, 0
	v_mov_b32_e32 v50, v55
	v_mov_b32_e32 v51, v55
	;; [unrolled: 1-line block ×8, first 2 shown]
	s_waitcnt vmcnt(1)
	v_perm_b32 v33, v8, v16, s61
	s_waitcnt vmcnt(0)
	v_perm_b32 v34, v12, v20, s61
	v_perm_b32 v8, v8, v16, s62
	;; [unrolled: 1-line block ×15, first 2 shown]
	ds_write2st64_b32 v5, v33, v34 offset0:32 offset1:64
	ds_write2st64_b32 v6, v8, v12 offset0:32 offset1:64
	;; [unrolled: 1-line block ×8, first 2 shown]
	v_lshlrev_b32_e32 v5, 8, v26
	v_or_b32_e32 v81, v5, v28
	v_or_b32_e32 v82, v5, v29
	;; [unrolled: 1-line block ×3, first 2 shown]
	v_lshlrev_b32_e32 v5, 3, v5
	v_lshrrev_b32_e32 v8, 5, v62
	v_and_or_b32 v8, v5, s0, v8
	v_lshrrev_b32_e32 v6, 2, v62
	v_lshlrev_b32_e32 v11, 11, v63
	v_lshlrev_b32_e32 v8, 4, v8
	v_and_b32_e32 v5, 0x78, v5
	v_and_b32_e32 v9, 12, v6
	;; [unrolled: 1-line block ×3, first 2 shown]
	v_xor_b32_e32 v10, v8, v5
	v_lshrrev_b32_e32 v12, 1, v62
	v_or_b32_e32 v10, v10, v6
	v_and_b32_e32 v12, 8, v12
	v_xor_b32_e32 v89, v10, v12
	v_or_b32_e32 v10, 32, v8
	v_xor_b32_e32 v10, v10, v5
	v_or_b32_e32 v10, v10, v6
	v_xor_b32_e32 v91, v10, v12
	v_or_b32_e32 v10, 64, v8
	v_or_b32_e32 v8, 0x60, v8
	v_xor_b32_e32 v10, v10, v5
	v_xor_b32_e32 v5, v8, v5
	s_lshl_b64 s[0:1], s[36:37], 8
	v_or_b32_e32 v10, v10, v6
	v_or_b32_e32 v5, v5, v6
	v_lshlrev_b32_e32 v14, 1, v4
	v_add_lshl_u32 v15, v4, s19, 1
	s_add_u32 s0, s12, s0
	v_lshlrev_b32_e32 v4, 1, v45
	v_xor_b32_e32 v93, v10, v12
	v_xor_b32_e32 v94, v5, v12
	v_lshrrev_b32_e32 v10, 4, v0
	s_addc_u32 s1, s13, s1
	v_or_b32_e32 v5, 1, v4
	v_mov_b32_e32 v20, 0x4000
	v_mov_b32_e32 v21, 0x2000
	v_lshrrev_b32_e32 v22, 1, v0
	v_xor_b32_e32 v12, v10, v4
	v_xor_b32_e32 v17, v5, v10
	v_lshl_add_u64 v[4:5], s[0:1], 0, v[54:55]
	v_lshlrev_b32_e32 v54, 8, v10
	v_cndmask_b32_e32 v20, v20, v21, vcc
	v_lshlrev_b32_e32 v21, 3, v63
	v_and_b32_e32 v22, 24, v22
	v_lshl_or_b32 v97, v12, 3, v54
	v_and_b32_e32 v12, 8, v0
	v_xor_b32_e32 v23, v21, v22
	v_or_b32_e32 v24, 0x440, v23
	v_cmp_eq_u32_e32 vcc, 0, v12
	v_and_b32_e32 v10, 7, v0
	v_lshlrev_b32_e32 v13, 7, v64
	v_cndmask_b32_e32 v12, v24, v23, vcc
	v_lshl_or_b32 v98, v17, 3, v54
	v_lshlrev_b32_e32 v17, 3, v10
	v_lshlrev_b32_e32 v19, 2, v0
	v_or_b32_e32 v12, v12, v11
	v_or_b32_e32 v7, v13, v7
	v_xor_b32_e32 v23, v12, v17
	v_and_or_b32 v12, v19, 60, v13
	v_mov_b32_e32 v13, 0xb000
	v_lshl_or_b32 v99, v12, 1, v13
	v_or_b32_e32 v12, 32, v22
	v_xor_b32_e32 v12, v21, v12
	v_or_b32_e32 v13, 0x440, v12
	v_cndmask_b32_e32 v12, v13, v12, vcc
	v_or_b32_e32 v12, v12, v11
	v_xor_b32_e32 v13, v12, v17
	v_or_b32_e32 v12, 64, v22
	v_xor_b32_e32 v12, v21, v12
	v_xor_b32_e32 v25, 0x440, v12
	v_cndmask_b32_e32 v12, v25, v12, vcc
	v_or_b32_e32 v12, v12, v11
	v_xor_b32_e32 v25, v12, v17
	v_or_b32_e32 v12, 0x60, v22
	v_xor_b32_e32 v12, v21, v12
	v_xor_b32_e32 v21, 0x440, v12
	v_cndmask_b32_e32 v12, v21, v12, vcc
	v_lshlrev_b32_e32 v7, 1, v7
	v_or_b32_e32 v6, s36, v45
	v_or_b32_e32 v11, v12, v11
	;; [unrolled: 1-line block ×6, first 2 shown]
	v_ashrrev_i32_e32 v7, 31, v6
	v_xor_b32_e32 v11, v11, v17
	v_lshlrev_b32_e32 v8, 7, v67
	v_or_b32_e32 v16, 0x100, v3
	v_lshlrev_b32_e32 v18, 7, v10
	v_or_b32_e32 v10, v9, v1
	v_add_u32_e32 v24, v20, v23
	v_add_u32_e32 v19, v20, v13
	;; [unrolled: 1-line block ×4, first 2 shown]
	v_or3_b32 v12, v1, v9, 64
	v_add_u32_e32 v9, 0x4000, v23
	v_add_u32_e32 v13, 0x4000, v13
	;; [unrolled: 1-line block ×4, first 2 shown]
	v_lshlrev_b64 v[6:7], 1, v[6:7]
	v_cndmask_b32_e64 v100, v14, v3, s[2:3]
	v_cndmask_b32_e64 v101, v15, v16, s[2:3]
	v_lshl_add_u64 v[56:57], s[8:9], 0, v[6:7]
	v_lshl_add_u64 v[58:59], s[14:15], 0, v[6:7]
	;; [unrolled: 1-line block ×3, first 2 shown]
	s_add_i32 s37, s59, 63
	v_lshlrev_b32_e32 v54, 1, v8
	v_lshlrev_b32_e32 v103, 2, v10
	v_add_u32_e32 v104, v24, v18
	v_add_u32_e32 v105, v19, v18
	;; [unrolled: 1-line block ×4, first 2 shown]
	v_lshlrev_b32_e32 v108, 2, v12
	v_add_u32_e32 v109, v9, v18
	v_add_u32_e32 v110, v13, v18
	;; [unrolled: 1-line block ×4, first 2 shown]
	v_mov_b32_e32 v87, v55
	v_mov_b32_e32 v86, v55
	;; [unrolled: 1-line block ×8, first 2 shown]
	s_waitcnt lgkmcnt(0)
	s_barrier
.LBB479_6:                              ; =>This Inner Loop Header: Depth=1
	s_add_i32 s65, s66, 1
	s_cmp_lt_i32 s65, s49
	s_mov_b64 s[28:29], 0
	s_cselect_b64 s[2:3], -1, 0
	s_cmp_ge_i32 s65, s49
	s_mov_b64 s[24:25], 0
	s_cbranch_scc1 .LBB479_8
; %bb.7:                                ;   in Loop: Header=BB479_6 Depth=1
	s_add_i32 s0, s60, 64
	s_add_u32 s0, s40, s0
	s_addc_u32 s1, s41, 0
	s_lshl_b64 s[0:1], s[0:1], 8
	s_add_u32 s24, s6, s0
	s_addc_u32 s25, s7, s1
.LBB479_8:                              ;   in Loop: Header=BB479_6 Depth=1
	v_cndmask_b32_e64 v2, 0, 1, s[2:3]
	v_cmp_ne_u32_e64 s[0:1], 1, v2
	s_andn2_b64 vcc, exec, s[2:3]
	s_cbranch_vccnz .LBB479_10
; %bb.9:                                ;   in Loop: Header=BB479_6 Depth=1
	s_add_i32 s2, s60, 64
	s_add_u32 s2, s59, s2
	s_addc_u32 s3, s63, 0
	s_mul_i32 s28, s2, s51
	s_mul_hi_u32 s29, s2, s55
	s_add_i32 s28, s29, s28
	s_mul_i32 s3, s3, s55
	s_add_i32 s28, s28, s3
	s_mul_i32 s2, s2, s55
	s_add_u32 s2, s2, s54
	s_addc_u32 s3, s28, s57
	s_lshl_b64 s[2:3], s[2:3], 8
	s_add_u32 s28, s4, s2
	s_addc_u32 s29, s5, s3
.LBB479_10:                             ;   in Loop: Header=BB479_6 Depth=1
	v_perm_b32 v3, v53, v52, s64
	v_perm_b32 v2, v51, v50, s64
	;; [unrolled: 1-line block ×4, first 2 shown]
	ds_write_b64 v75, v[2:3]
	ds_write_b64 v76, v[4:5]
	;; [unrolled: 1-line block ×4, first 2 shown]
	v_perm_b32 v3, v115, v88, s64
	v_perm_b32 v2, v86, v87, s64
	;; [unrolled: 1-line block ×4, first 2 shown]
	ds_write_b64 v77, v[2:3]
	ds_write_b64 v78, v[4:5]
	;; [unrolled: 1-line block ×4, first 2 shown]
	s_waitcnt lgkmcnt(0)
	s_barrier
	ds_read_b64 v[6:7], v89 offset:24576
	ds_read2_b64 v[2:5], v90 offset1:16
	ds_read_b64 v[10:11], v92 offset:3072
	ds_read_b64 v[12:13], v90 offset:3072
	;; [unrolled: 1-line block ×3, first 2 shown]
	s_waitcnt lgkmcnt(3)
	v_mfma_f32_16x16x16_bf16 a[0:3], v[6:7], v[2:3], 0
	s_add_i32 s2, s60, 63
	s_mul_i32 s3, s2, s35
	s_mul_hi_u32 s31, s2, s34
	v_mfma_f32_16x16x16_bf16 a[4:7], v[6:7], v[4:5], 0
	ds_read2st64_b64 v[2:5], v90 offset0:2 offset1:4
	ds_read2st64_b64 v[6:9], v92 offset0:2 offset1:4
	s_add_i32 s3, s31, s3
	s_waitcnt lgkmcnt(1)
	v_mfma_f32_16x16x16_bf16 a[0:3], v[14:15], v[2:3], a[0:3]
	s_mul_i32 s2, s2, s34
	s_lshl_b64 s[2:3], s[2:3], 2
	s_add_u32 s2, s44, s2
	s_waitcnt lgkmcnt(0)
	v_mfma_f32_16x16x16_bf16 a[4:7], v[14:15], v[6:7], a[4:7]
	ds_read_b64 v[2:3], v93 offset:24576
	ds_read_b64 v[6:7], v94 offset:24576
	s_addc_u32 s3, s45, s3
	s_and_b64 vcc, exec, s[0:1]
	s_waitcnt lgkmcnt(1)
	v_mfma_f32_16x16x16_bf16 a[0:3], v[2:3], v[4:5], a[0:3]
	v_mov_b32_e32 v118, 0
	v_mov_b32_e32 v117, 0
	;; [unrolled: 1-line block ×3, first 2 shown]
	v_mfma_f32_16x16x16_bf16 a[8:11], v[2:3], v[8:9], a[4:7]
	v_mov_b32_e32 v2, 0
	v_mov_b32_e32 v3, 0
	;; [unrolled: 1-line block ×3, first 2 shown]
	s_waitcnt lgkmcnt(0)
	v_mfma_f32_16x16x16_bf16 a[4:7], v[6:7], v[12:13], a[0:3]
	v_mov_b32_e32 v5, 0
	v_mov_b32_e32 v8, 0
	v_mov_b32_e32 v9, 0
	v_mfma_f32_16x16x16_bf16 a[0:3], v[6:7], v[10:11], a[8:11]
	v_mov_b32_e32 v6, 0
	v_mov_b32_e32 v7, 0
	;; [unrolled: 1-line block ×10, first 2 shown]
	s_cbranch_vccnz .LBB479_12
; %bb.11:                               ;   in Loop: Header=BB479_6 Depth=1
	s_and_b32 s25, s25, 0xffff
	buffer_load_dwordx4 v[14:17], v71, s[24:27], 0 offen
	buffer_load_dwordx4 v[10:13], v71, s[24:27], s58 offen
	;; [unrolled: 1-line block ×4, first 2 shown]
	v_mov_b32_e32 v117, v73
	v_mov_b32_e32 v116, v74
.LBB479_12:                             ;   in Loop: Header=BB479_6 Depth=1
	ds_read_b64 v[26:27], v89 offset:32768
	ds_read2_b64 v[18:21], v95 offset1:16
	ds_read_b64 v[28:29], v91 offset:32768
	ds_read_b64 v[30:31], v93 offset:32768
	;; [unrolled: 1-line block ×3, first 2 shown]
	v_add_u32_e32 v34, s60, v102
	s_waitcnt lgkmcnt(3)
	v_mfma_f32_16x16x16_bf16 a[4:7], v[26:27], v[18:19], a[4:7]
	v_ashrrev_i32_e32 v18, 31, v34
	ds_read2st64_b64 v[22:25], v95 offset0:2 offset1:4
	v_mfma_f32_16x16x16_bf16 a[0:3], v[26:27], v[20:21], a[0:3]
	v_mul_lo_u32 v20, v18, s34
	v_mul_lo_u32 v21, v34, s35
	v_mad_u64_u32 v[18:19], s[24:25], v34, s34, 0
	v_add3_u32 v19, v19, v21, v20
	v_add_u32_e32 v20, 1, v34
	v_ashrrev_i32_e32 v21, 31, v20
	v_mul_lo_u32 v26, v21, s34
	v_mul_lo_u32 v27, v20, s35
	v_mad_u64_u32 v[20:21], s[24:25], v20, s34, 0
	v_add3_u32 v21, v21, v27, v26
	v_add_u32_e32 v26, 2, v34
	v_ashrrev_i32_e32 v27, 31, v26
	v_mul_lo_u32 v35, v27, s34
	v_mul_lo_u32 v36, v26, s35
	v_mad_u64_u32 v[26:27], s[24:25], v26, s34, 0
	v_add_u32_e32 v34, 3, v34
	v_add3_u32 v27, v27, v36, v35
	v_ashrrev_i32_e32 v35, 31, v34
	v_mul_lo_u32 v36, v35, s34
	v_mul_lo_u32 v37, v34, s35
	v_mad_u64_u32 v[34:35], s[24:25], v34, s34, 0
	s_add_u32 s24, s40, s60
	s_addc_u32 s25, s41, 0
	s_lshl_b64 s[24:25], s[24:25], 8
	v_lshl_add_u64 v[18:19], v[18:19], 2, s[44:45]
	v_lshl_add_u64 v[20:21], v[20:21], 2, s[44:45]
	v_add3_u32 v35, v35, v37, v36
	v_lshl_add_u64 v[36:37], v[56:57], 0, s[24:25]
	v_lshl_add_u64 v[26:27], v[26:27], 2, s[44:45]
	;; [unrolled: 1-line block ×3, first 2 shown]
	global_load_dword v38, v[18:19], off
	global_load_ushort v39, v[36:37], off offset:256
	global_load_ushort v40, v[36:37], off
	v_lshl_add_u64 v[18:19], v[34:35], 2, s[44:45]
	global_load_dword v34, v[20:21], off
	global_load_dword v35, v[26:27], off
	;; [unrolled: 1-line block ×3, first 2 shown]
	ds_read2st64_b64 v[18:21], v96 offset0:2 offset1:4
	global_load_ushort v42, v[36:37], off offset:768
	global_load_ushort v43, v[36:37], off offset:512
	;; [unrolled: 1-line block ×5, first 2 shown]
	s_nop 0
	global_load_ushort v36, v[36:37], off offset:32
	s_waitcnt lgkmcnt(1)
	v_mfma_f32_16x16x16_bf16 a[4:7], v[28:29], v[22:23], a[4:7]
	s_and_b64 vcc, exec, s[0:1]
	s_waitcnt vmcnt(10)
	v_lshlrev_b32_e32 v27, 16, v39
	s_waitcnt lgkmcnt(0)
	v_mfma_f32_16x16x16_bf16 a[0:3], v[28:29], v[18:19], a[0:3]
	s_waitcnt vmcnt(9)
	v_lshlrev_b32_e32 v26, 16, v40
	v_mfma_f32_16x16x16_bf16 a[4:7], v[30:31], v[24:25], a[4:7]
	v_mfma_f32_16x16x16_bf16 a[0:3], v[30:31], v[20:21], a[0:3]
	ds_read_b64 v[18:19], v95 offset:3072
	ds_read_b64 v[20:21], v96 offset:3072
	s_load_dword s2, s[2:3], 0x0
	s_waitcnt lgkmcnt(0)
	v_sub_f32_e32 v28, s2, v38
	v_mfma_f32_16x16x16_bf16 a[4:7], v[32:33], v[18:19], a[4:7]
	v_mul_f32_e32 v28, 0x3fb8aa3b, v28
	s_waitcnt vmcnt(8)
	v_sub_f32_e32 v29, s2, v34
	s_waitcnt vmcnt(7)
	v_sub_f32_e32 v30, s2, v35
	;; [unrolled: 2-line block ×3, first 2 shown]
	v_mfma_f32_16x16x16_bf16 a[0:3], v[32:33], v[20:21], a[0:3]
	v_lshl_add_u64 v[18:19], v[58:59], 0, s[24:25]
	v_lshl_add_u64 v[18:19], v[18:19], 0, v[54:55]
	v_accvgpr_read_b32 v25, a5
	v_accvgpr_read_b32 v24, a4
	v_pk_add_f32 v[24:25], v[26:27], v[24:25] neg_lo:[0,1] neg_hi:[0,1]
	v_exp_f32_e32 v26, v28
	v_mul_f32_e32 v27, 0x3fb8aa3b, v29
	v_mul_f32_e32 v28, 0x3fb8aa3b, v30
	;; [unrolled: 1-line block ×3, first 2 shown]
	v_exp_f32_e32 v27, v27
	v_exp_f32_e32 v28, v28
	v_exp_f32_e32 v29, v29
	v_accvgpr_read_b32 v21, a7
	v_accvgpr_read_b32 v20, a6
	s_waitcnt vmcnt(5)
	v_lshlrev_b32_e32 v31, 16, v42
	s_waitcnt vmcnt(4)
	v_lshlrev_b32_e32 v30, 16, v43
	v_pk_add_f32 v[20:21], v[30:31], v[20:21] neg_lo:[0,1] neg_hi:[0,1]
	global_store_short_d16_hi v[18:19], v24, off
	global_store_short_d16_hi v[18:19], v25, off offset:256
	global_store_short_d16_hi v[18:19], v20, off offset:512
	;; [unrolled: 1-line block ×3, first 2 shown]
	v_pk_mul_f32 v[24:25], v[26:27], v[24:25]
	v_pk_mul_f32 v[20:21], v[28:29], v[20:21]
	v_accvgpr_read_b32 v31, a1
	v_perm_b32 v21, v21, v20, s64
	v_perm_b32 v20, v25, v24, s64
	s_waitcnt vmcnt(5)
	v_lshlrev_b32_e32 v25, 16, v120
	s_waitcnt vmcnt(4)
	v_lshlrev_b32_e32 v24, 16, v36
	v_accvgpr_read_b32 v30, a0
	v_accvgpr_read_b32 v23, a3
	;; [unrolled: 1-line block ×3, first 2 shown]
	v_pk_add_f32 v[24:25], v[24:25], v[30:31] neg_lo:[0,1] neg_hi:[0,1]
	v_lshlrev_b32_e32 v31, 16, v44
	v_lshlrev_b32_e32 v30, 16, v119
	v_pk_add_f32 v[22:23], v[30:31], v[22:23] neg_lo:[0,1] neg_hi:[0,1]
	global_store_short_d16_hi v[18:19], v24, off offset:32
	global_store_short_d16_hi v[18:19], v25, off offset:288
	;; [unrolled: 1-line block ×4, first 2 shown]
	v_pk_mul_f32 v[18:19], v[26:27], v[24:25]
	v_pk_mul_f32 v[22:23], v[28:29], v[22:23]
	v_mov_b32_e32 v119, 0
	v_perm_b32 v23, v23, v22, s64
	v_perm_b32 v22, v19, v18, s64
	ds_write2_b64 v76, v[20:21], v[22:23] offset1:16
	v_mov_b32_e32 v18, 0
	v_mov_b32_e32 v19, 0
	;; [unrolled: 1-line block ×16, first 2 shown]
	s_cbranch_vccnz .LBB479_14
; %bb.13:                               ;   in Loop: Header=BB479_6 Depth=1
	s_and_b32 s29, s29, 0xffff
	s_mov_b32 s31, s27
	buffer_load_dwordx4 v[30:33], v100, s[28:31], 0 offen
	buffer_load_dwordx4 v[22:25], v100, s[28:31], s58 offen
	;; [unrolled: 1-line block ×4, first 2 shown]
	v_mov_b32_e32 v118, v70
	v_mov_b32_e32 v119, v69
.LBB479_14:                             ;   in Loop: Header=BB479_6 Depth=1
	s_waitcnt lgkmcnt(0)
	s_barrier
	ds_read_b64 v[38:39], v104
	ds_read_b64 v[124:125], v99
	;; [unrolled: 1-line block ×5, first 2 shown]
	ds_read_b64 v[138:139], v96 offset:3072
	ds_read2_b64 v[34:37], v95 offset0:16 offset1:128
	s_waitcnt lgkmcnt(5)
	v_mfma_f32_16x16x16_bf16 a[0:3], v[38:39], v[124:125], 0
	ds_read2st64_b64 v[40:43], v96 offset0:2 offset1:4
	s_add_i32 s3, s52, s66
	s_mul_hi_i32 s25, s3, s17
	s_waitcnt lgkmcnt(1)
	v_mfma_f32_16x16x16_bf16 a[4:7], v[38:39], v[34:35], 0
	ds_read_b64 v[38:39], v109
	s_mul_i32 s3, s3, s17
	s_add_u32 s24, s3, s33
	s_waitcnt lgkmcnt(1)
	v_mfma_f32_16x16x16_bf16 a[4:7], v[126:127], v[40:41], a[4:7]
	s_addc_u32 s25, s25, s56
	s_add_i32 s3, s37, s60
	s_lshl_b64 s[24:25], s[24:25], 15
	s_mul_hi_i32 s29, s3, s17
	s_mul_i32 s3, s3, s17
	s_add_u32 s28, s3, s33
	v_mfma_f32_16x16x16_bf16 a[8:11], v[128:129], v[42:43], a[4:7]
	s_addc_u32 s29, s29, s56
	ds_read2st64_b64 v[120:123], v95 offset0:4 offset1:6
	s_lshl_b64 s[28:29], s[28:29], 9
	s_waitcnt lgkmcnt(1)
	v_mfma_f32_16x16x16_bf16 a[4:7], v[38:39], v[124:125], 0
	s_add_u32 s28, s42, s28
	s_addc_u32 s29, s43, s29
	v_mfma_f32_16x16x16_bf16 a[0:3], v[126:127], v[36:37], a[0:3]
	ds_read_b64 v[126:127], v110
	ds_read_b64 v[134:135], v111
	;; [unrolled: 1-line block ×3, first 2 shown]
	v_mfma_f32_16x16x16_bf16 a[12:15], v[38:39], v[34:35], 0
	s_waitcnt lgkmcnt(2)
	v_mfma_f32_16x16x16_bf16 a[4:7], v[126:127], v[36:37], a[4:7]
	global_load_dwordx4 v[34:37], v108, s[28:29]
	v_mfma_f32_16x16x16_bf16 a[12:15], v[126:127], v[40:41], a[12:15]
	global_load_dwordx4 v[38:41], v103, s[28:29]
	ds_read2st64_b64 v[124:127], v97 offset1:8
	s_waitcnt lgkmcnt(0)
	v_mov_b32_e32 v132, v124
	v_mfma_f32_16x16x16_bf16 a[0:3], v[128:129], v[120:121], a[0:3]
	ds_read2st64_b64 v[128:131], v98 offset1:8
	v_mov_b32_e32 v133, v125
	v_mfma_f32_16x16x16_bf16 a[16:19], v[134:135], v[120:121], a[4:7]
	v_lshl_add_u64 v[120:121], v[60:61], 0, s[24:25]
	v_mfma_f32_16x16x16_bf16 a[20:23], v[134:135], v[42:43], a[12:15]
	v_add_co_u32_e32 v42, vcc, s39, v120
	s_waitcnt lgkmcnt(0)
	v_mov_b32_e32 v134, v128
	v_mfma_f32_16x16x16_bf16 a[4:7], v[136:137], v[122:123], a[0:3]
	v_mov_b32_e32 v135, v129
	v_mov_b32_e32 v128, v126
	;; [unrolled: 1-line block ×3, first 2 shown]
	v_mfma_f32_16x16x16_bf16 a[8:11], v[136:137], v[138:139], a[8:11]
	v_addc_co_u32_e32 v43, vcc, 0, v121, vcc
	global_store_dwordx4 v[42:43], v[128:131], off
	v_mfma_f32_16x16x16_bf16 a[12:15], v[140:141], v[122:123], a[16:19]
	s_and_b64 vcc, exec, s[0:1]
	global_store_dwordx4 v[120:121], v[132:135], off
	s_waitcnt vmcnt(3)
	v_mov_b32_e32 v44, v37
	v_mfma_f32_16x16x16_bf16 a[0:3], v[140:141], v[138:139], a[20:23]
	v_mov_b32_e32 v43, v36
	v_mov_b32_e32 v42, v35
	s_cbranch_vccnz .LBB479_16
; %bb.15:                               ;   in Loop: Header=BB479_6 Depth=1
	v_lshrrev_b32_e32 v35, 3, v118
	v_and_b32_e32 v35, 6, v35
	v_xor_b32_e32 v36, v35, v119
	v_lshlrev_b32_e32 v36, 2, v36
	v_and_b32_e32 v37, 8, v118
	v_xor_b32_e32 v118, 0x440, v36
	v_cmp_eq_u32_e32 vcc, 0, v37
	v_perm_b32 v37, v22, v18, s61
	s_nop 0
	v_cndmask_b32_e32 v36, v118, v36, vcc
	v_lshl_or_b32 v35, v35, 10, v36
	v_perm_b32 v36, v30, v26, s61
	s_barrier
	ds_write2st64_b32 v35, v36, v37 offset0:32 offset1:64
	v_xor_b32_e32 v36, 8, v35
	v_perm_b32 v26, v30, v26, s62
	v_perm_b32 v18, v22, v18, s62
	v_add_u32_e32 v22, 0x80, v36
	ds_write2st64_b32 v22, v26, v18 offset0:32 offset1:64
	v_xor_b32_e32 v18, 16, v35
	v_perm_b32 v22, v31, v27, s61
	v_perm_b32 v26, v23, v19, s61
	ds_write2st64_b32 v18, v22, v26 offset0:33 offset1:65
	v_xor_b32_e32 v18, 24, v35
	v_perm_b32 v22, v31, v27, s62
	v_perm_b32 v19, v23, v19, s62
	v_add_u32_e32 v18, 0x80, v18
	ds_write2st64_b32 v18, v22, v19 offset0:33 offset1:65
	v_xor_b32_e32 v18, 32, v35
	v_perm_b32 v19, v32, v28, s61
	v_perm_b32 v22, v24, v20, s61
	;; [unrolled: 9-line block ×3, first 2 shown]
	ds_write2st64_b32 v18, v19, v20 offset0:35 offset1:67
	v_xor_b32_e32 v18, 56, v35
	v_perm_b32 v19, v33, v29, s62
	v_perm_b32 v20, v25, v21, s62
	v_add_u32_e32 v18, 0x80, v18
	ds_write2st64_b32 v18, v19, v20 offset0:35 offset1:67
	ds_write_b64 v117, v[14:15] offset:24576
	v_xor_b32_e32 v14, 8, v117
	ds_write_b64 v14, v[16:17] offset:24576
	ds_write_b64 v117, v[10:11] offset:32768
	;; [unrolled: 1-line block ×4, first 2 shown]
	v_xor_b32_e32 v6, 8, v116
	ds_write_b64 v6, v[8:9] offset:24576
	ds_write_b64 v116, v[2:3] offset:32768
	;; [unrolled: 1-line block ×3, first 2 shown]
.LBB479_16:                             ;   in Loop: Header=BB479_6 Depth=1
	v_mul_f32_e32 v2, s2, v113
	v_exp_f32_e32 v18, v2
	s_waitcnt vmcnt(2)
	v_mul_f32_e32 v2, 0x3fb8aa3b, v38
	v_exp_f32_e32 v20, v2
	v_mul_f32_e32 v2, 0x3fb8aa3b, v39
	v_exp_f32_e32 v21, v2
	;; [unrolled: 2-line block ×4, first 2 shown]
	v_accvgpr_read_b32 v13, a7
	v_accvgpr_read_b32 v11, a5
	;; [unrolled: 1-line block ×4, first 2 shown]
	v_pk_mul_f32 v[20:21], v[18:19], v[20:21] op_sel_hi:[0,1]
	v_accvgpr_read_b32 v8, a10
	v_pk_fma_f32 v[50:51], v[50:51], v[20:21], v[10:11]
	v_pk_mul_f32 v[10:11], v[18:19], v[22:23] op_sel_hi:[0,1]
	v_accvgpr_read_b32 v12, a6
	v_accvgpr_read_b32 v7, a9
	v_fma_f32 v88, v88, v10, v8
	v_mul_f32_e32 v8, 0x3fb8aa3b, v43
	v_pk_fma_f32 v[52:53], v[52:53], v[10:11], v[12:13]
	v_fma_f32 v87, v87, v20, v6
	v_fma_f32 v86, v86, v21, v7
	v_mul_f32_e32 v6, 0x3fb8aa3b, v34
	v_mul_f32_e32 v7, 0x3fb8aa3b, v42
	v_exp_f32_e32 v12, v8
	v_mul_f32_e32 v8, 0x3fb8aa3b, v44
	v_exp_f32_e32 v6, v6
	v_exp_f32_e32 v7, v7
	;; [unrolled: 1-line block ×3, first 2 shown]
	v_accvgpr_read_b32 v9, a11
	v_accvgpr_read_b32 v17, a15
	;; [unrolled: 1-line block ×9, first 2 shown]
	v_fmac_f32_e32 v9, v115, v11
	v_pk_mul_f32 v[6:7], v[18:19], v[6:7] op_sel_hi:[0,1]
	v_pk_mul_f32 v[10:11], v[18:19], v[12:13] op_sel_hi:[0,1]
	s_add_i32 s60, s60, 64
	v_pk_fma_f32 v[46:47], v[46:47], v[6:7], v[14:15]
	v_pk_fma_f32 v[48:49], v[48:49], v[10:11], v[16:17]
	v_fma_f32 v84, v84, v6, v2
	v_fma_f32 v83, v83, v7, v3
	;; [unrolled: 1-line block ×3, first 2 shown]
	s_cmp_eq_u32 s49, s65
	v_fmac_f32_e32 v5, v114, v11
	s_cbranch_scc1 .LBB479_18
; %bb.17:                               ;   in Loop: Header=BB479_6 Depth=1
	s_mov_b32 s66, s65
	v_mov_b32_e32 v115, v9
	v_mov_b32_e32 v114, v5
	s_branch .LBB479_6
.LBB479_18:
	s_lshl_b32 s42, s49, 6
	s_sub_i32 s43, s16, s42
	s_cmp_gt_i32 s43, 0
	s_cbranch_scc0 .LBB479_83
; %bb.19:
	s_ashr_i32 s39, s50, 31
	s_ashr_i32 s2, s42, 31
	s_cmpk_lg_i32 s19, 0x80
	s_cselect_b64 s[30:31], -1, 0
	s_and_b64 vcc, exec, s[30:31]
	s_cbranch_vccz .LBB479_21
; %bb.20:
	s_mul_i32 s1, s50, s16
	s_mul_hi_i32 s0, s50, s16
	s_add_u32 s1, s1, s42
	s_addc_u32 s0, s0, s2
	s_mul_i32 s3, s1, s51
	s_mul_hi_u32 s24, s1, s18
	s_add_i32 s3, s24, s3
	s_mul_i32 s0, s0, s18
	s_add_i32 s3, s3, s0
	s_mul_i32 s1, s1, s18
	s_ashr_i32 s0, s54, 31
	s_add_u32 s40, s1, s54
	s_addc_u32 s41, s3, s0
	s_cbranch_execz .LBB479_22
	s_branch .LBB479_23
.LBB479_21:
                                        ; implicit-def: $sgpr40_sgpr41
.LBB479_22:
	s_mul_hi_i32 s0, s50, s18
	s_mul_i32 s50, s50, s18
	s_ashr_i32 s1, s54, 31
	s_add_u32 s3, s50, s54
	s_addc_u32 s0, s0, s1
	s_mul_i32 s1, s3, s48
	s_mul_hi_u32 s18, s3, s16
	s_add_i32 s1, s18, s1
	s_mul_i32 s0, s0, s16
	s_add_i32 s1, s1, s0
	s_mul_i32 s3, s3, s16
	s_add_u32 s40, s3, s42
	s_addc_u32 s41, s1, s2
.LBB479_23:
	s_add_i32 s3, s52, s49
	s_ashr_i32 s18, s33, 31
	s_add_u32 s0, s47, s33
	s_addc_u32 s1, s53, s18
	s_mul_i32 s24, s0, s48
	s_mul_hi_u32 s25, s0, s16
	s_add_i32 s24, s25, s24
	s_mul_i32 s1, s1, s16
	s_add_i32 s24, s24, s1
	s_mul_i32 s0, s0, s16
	s_add_u32 s0, s0, s42
	v_lshlrev_b32_e32 v8, 5, v67
	v_lshlrev_b32_e32 v22, 2, v45
	s_addc_u32 s1, s24, s2
	s_mov_b32 s2, 0x7060302
	v_or_b32_e32 v11, v8, v22
	v_xor_b32_e32 v4, v67, v22
	v_perm_b32 v3, v53, v52, s2
	v_perm_b32 v2, v51, v50, s2
	;; [unrolled: 1-line block ×4, first 2 shown]
	v_lshlrev_b32_e32 v11, 1, v11
	s_lshl_b64 s[28:29], s[0:1], 8
	v_xor_b32_e32 v10, v68, v22
	ds_write2st64_b64 v11, v[2:3], v[6:7] offset0:80 offset1:88
	v_lshlrev_b32_e32 v11, 1, v4
	v_lshlrev_b32_e32 v4, 8, v45
	s_add_u32 s0, s6, s28
	v_or_b32_e32 v12, v11, v4
	v_lshlrev_b32_e32 v10, 1, v10
	s_addc_u32 s1, s7, s29
	ds_write_b64 v12, v[2:3]
	v_or_b32_e32 v2, v10, v4
	s_mul_hi_i32 s6, s3, s17
	s_mul_i32 s3, s3, s17
	ds_write_b64 v2, v[6:7]
	v_perm_b32 v3, v9, v88, s2
	v_perm_b32 v2, v86, v87, s2
	;; [unrolled: 1-line block ×4, first 2 shown]
	v_or_b32_e32 v6, 16, v45
	s_add_u32 s2, s3, s33
	v_lshlrev_b32_e32 v19, 2, v6
	s_addc_u32 s3, s6, s18
	v_or_b32_e32 v7, v8, v19
	s_ashr_i32 s37, s36, 31
	s_lshl_b64 s[2:3], s[2:3], 15
	v_lshlrev_b32_e32 v7, 1, v7
	v_lshlrev_b32_e32 v6, 8, v6
	s_add_u32 s6, s12, s2
	ds_write2st64_b64 v7, v[2:3], v[4:5] offset0:80 offset1:88
	v_or_b32_e32 v7, v11, v6
	s_addc_u32 s7, s13, s3
	s_lshl_b64 s[2:3], s[36:37], 8
	ds_write_b64 v7, v[2:3]
	v_or_b32_e32 v2, v10, v6
	s_add_u32 s2, s6, s2
	ds_write_b64 v2, v[4:5]
	v_lshrrev_b32_e32 v2, 4, v0
	s_addc_u32 s3, s7, s3
	v_lshlrev_b32_e32 v3, 1, v45
	v_lshlrev_b32_e32 v10, 4, v45
	v_mov_b32_e32 v11, 0
	v_or_b32_e32 v4, 1, v3
	v_xor_b32_e32 v3, v2, v3
	v_lshl_add_u64 v[12:13], s[2:3], 0, v[10:11]
	v_lshlrev_b32_e32 v10, 8, v2
	v_xor_b32_e32 v6, v4, v2
	v_lshl_or_b32 v2, v3, 3, v10
	s_waitcnt lgkmcnt(0)
	s_barrier
	ds_read2st64_b64 v[2:5], v2 offset1:8
	v_lshl_or_b32 v6, v6, 3, v10
	ds_read2st64_b64 v[6:9], v6 offset1:8
	v_lshl_add_u64 v[14:15], v[12:13], 0, v[10:11]
	s_movk_i32 s2, 0x1000
	s_waitcnt lgkmcnt(1)
	v_mov_b32_e32 v10, v2
	v_add_co_u32_e32 v2, vcc, s2, v14
	s_cmp_lg_u32 s43, 64
	v_mov_b32_e32 v11, v3
	v_addc_co_u32_e32 v3, vcc, 0, v15, vcc
	s_cselect_b64 s[6:7], -1, 0
	v_lshl_or_b32 v23, v63, 3, v66
	s_waitcnt lgkmcnt(0)
	v_mov_b32_e32 v12, v6
	v_mov_b32_e32 v13, v7
	;; [unrolled: 1-line block ×4, first 2 shown]
	s_mov_b32 s24, 0
	v_or_b32_e32 v20, 32, v23
	v_and_b32_e32 v18, 56, v65
	s_and_b64 vcc, exec, s[6:7]
	global_store_dwordx4 v[14:15], v[10:13], off
	global_store_dwordx4 v[2:3], v[6:9], off
	s_cbranch_vccz .LBB479_29
; %bb.24:
	s_mov_b32 s25, s24
	s_mov_b32 s26, s24
	;; [unrolled: 1-line block ×3, first 2 shown]
	v_mov_b64_e32 v[6:7], s[24:25]
	v_mov_b64_e32 v[8:9], s[26:27]
	v_mov_b64_e32 v[2:3], v[6:7]
	v_cmp_gt_i32_e32 vcc, s43, v23
	v_mov_b64_e32 v[4:5], v[8:9]
	s_and_saveexec_b64 s[2:3], vcc
	s_cbranch_execz .LBB479_26
; %bb.25:
	v_lshlrev_b32_e32 v2, 8, v23
	v_mov_b32_e32 v3, 0
	v_lshl_add_u64 v[4:5], s[0:1], 0, v[2:3]
	v_lshlrev_b32_e32 v2, 1, v18
	v_lshl_add_u64 v[10:11], v[4:5], 0, v[2:3]
	global_load_dwordx4 v[6:9], v[10:11], off
	global_load_dwordx4 v[2:5], v[10:11], off offset:128
.LBB479_26:
	s_or_b64 exec, exec, s[2:3]
	s_mov_b32 s25, s24
	s_mov_b32 s26, s24
	s_mov_b32 s27, s24
	v_mov_b64_e32 v[14:15], s[24:25]
	v_mov_b64_e32 v[16:17], s[26:27]
	;; [unrolled: 1-line block ×3, first 2 shown]
	v_cmp_gt_i32_e32 vcc, s43, v20
	v_lshlrev_b32_e32 v21, 7, v20
	v_mov_b64_e32 v[12:13], v[16:17]
	s_and_saveexec_b64 s[2:3], vcc
	s_cbranch_execz .LBB479_28
; %bb.27:
	v_lshlrev_b32_e32 v10, 1, v21
	v_mov_b32_e32 v11, 0
	v_lshl_add_u64 v[12:13], s[0:1], 0, v[10:11]
	v_lshlrev_b32_e32 v10, 1, v18
	v_lshl_add_u64 v[24:25], v[12:13], 0, v[10:11]
	global_load_dwordx4 v[14:17], v[24:25], off
	global_load_dwordx4 v[10:13], v[24:25], off offset:128
.LBB479_28:
	s_or_b64 exec, exec, s[2:3]
	v_lshrrev_b32_e32 v24, 3, v18
	v_lshlrev_b32_e32 v25, 3, v23
	v_or_b32_e32 v24, v25, v24
	v_lshlrev_b32_e32 v24, 4, v24
	v_and_b32_e32 v25, 0x78, v25
	v_xor_b32_e32 v24, v24, v25
	s_branch .LBB479_31
.LBB479_29:
                                        ; implicit-def: $vgpr24
                                        ; implicit-def: $vgpr21
                                        ; implicit-def: $vgpr6_vgpr7_vgpr8_vgpr9
                                        ; implicit-def: $vgpr2_vgpr3_vgpr4_vgpr5
                                        ; implicit-def: $vgpr14_vgpr15_vgpr16_vgpr17
                                        ; implicit-def: $vgpr10_vgpr11_vgpr12_vgpr13
	s_cbranch_execz .LBB479_31
; %bb.30:
	s_waitcnt vmcnt(0)
	v_lshlrev_b32_e32 v2, 1, v18
	v_lshl_or_b32 v21, v23, 8, v2
	s_and_b32 s1, s1, 0xffff
	s_mov_b32 s3, 0x20000
	s_movk_i32 s2, 0x4000
	v_lshl_or_b32 v24, v20, 8, v2
	s_movk_i32 s12, 0x80
	buffer_load_dwordx4 v[6:9], v21, s[0:3], 0 offen
	buffer_load_dwordx4 v[2:5], v21, s[0:3], s12 offen
	;; [unrolled: 1-line block ×4, first 2 shown]
	v_lshrrev_b32_e32 v21, 3, v18
	v_lshlrev_b32_e32 v24, 3, v23
	v_or_b32_e32 v21, v24, v21
	v_lshlrev_b32_e32 v21, 4, v21
	v_and_b32_e32 v24, 0x78, v24
	v_xor_b32_e32 v24, v21, v24
	v_lshlrev_b32_e32 v21, 7, v20
.LBB479_31:
	s_lshl_b64 s[0:1], s[40:41], 8
	s_add_u32 s4, s4, s0
	s_movk_i32 s0, 0x1000
	v_and_or_b32 v20, v21, s0, v24
	s_waitcnt vmcnt(1)
	ds_write_b64 v24, v[6:7] offset:24576
	v_xor_b32_e32 v6, 8, v24
	ds_write_b64 v6, v[8:9] offset:24576
	s_waitcnt vmcnt(0)
	ds_write_b64 v24, v[2:3] offset:32768
	ds_write_b64 v6, v[4:5] offset:32768
	;; [unrolled: 1-line block ×3, first 2 shown]
	v_xor_b32_e32 v2, 8, v20
	ds_write_b64 v2, v[16:17] offset:24576
	ds_write_b64 v20, v[10:11] offset:32768
	;; [unrolled: 1-line block ×3, first 2 shown]
	v_or_b32_e32 v2, v1, v45
	v_lshlrev_b32_e32 v3, 11, v63
	v_lshlrev_b32_e32 v2, 3, v2
	v_and_b32_e32 v6, 0x1000, v3
	v_lshrrev_b32_e32 v3, 5, v62
	s_movk_i32 s13, 0xf8
	v_and_or_b32 v3, v2, s13, v3
	v_lshlrev_b32_e32 v7, 4, v3
	v_and_b32_e32 v8, 0x78, v2
	v_or_b32_e32 v10, 32, v7
	v_lshrrev_b32_e32 v3, 1, v62
	v_xor_b32_e32 v10, v10, v8
	v_xor_b32_e32 v2, v7, v8
	v_and_b32_e32 v9, 8, v3
	v_or_b32_e32 v10, v10, v6
	v_or_b32_e32 v2, v2, v6
	v_xor_b32_e32 v26, v10, v9
	v_or_b32_e32 v10, 64, v7
	v_xor_b32_e32 v25, v2, v9
	v_xor_b32_e32 v10, v10, v8
	s_waitcnt lgkmcnt(0)
	s_barrier
	v_or_b32_e32 v12, v10, v6
	ds_read_b64 v[10:11], v25 offset:24576
	v_lshl_or_b32 v20, v64, 7, v22
	v_lshlrev_b32_e32 v24, 1, v20
	v_add_u32_e32 v2, 0xa000, v24
	ds_read2_b64 v[2:5], v2 offset1:16
	v_or_b32_e32 v7, 0x60, v7
	v_xor_b32_e32 v7, v7, v8
	s_waitcnt lgkmcnt(0)
	v_mfma_f32_16x16x16_bf16 a[0:3], v[10:11], v[2:3], 0
	v_or_b32_e32 v2, 64, v20
	v_or_b32_e32 v6, v7, v6
	v_lshlrev_b32_e32 v29, 1, v2
	v_xor_b32_e32 v27, v12, v9
	v_xor_b32_e32 v28, v6, v9
	ds_read_b64 v[12:13], v26 offset:24576
	ds_read_b64 v[14:15], v27 offset:24576
	;; [unrolled: 1-line block ×3, first 2 shown]
	v_mfma_f32_16x16x16_bf16 a[4:7], v[10:11], v[4:5], 0
	ds_read2st64_b64 v[2:5], v29 offset0:82 offset1:84
	ds_read2st64_b64 v[6:9], v24 offset0:82 offset1:84
	s_addc_u32 s5, s5, s1
	s_add_i32 s2, s16, -1
	s_add_i32 s0, s46, s21
	s_mul_i32 s39, s39, s20
	s_add_i32 s39, s0, s39
	s_mul_i32 s0, s33, s23
	s_mul_hi_u32 s1, s33, s22
	s_ashr_i32 s3, s2, 31
	s_mul_i32 s12, s2, s35
	s_mul_hi_u32 s13, s2, s34
	s_add_i32 s0, s1, s0
	s_mul_i32 s1, s18, s22
	s_add_i32 s12, s13, s12
	s_mul_i32 s3, s3, s34
	s_waitcnt lgkmcnt(1)
	v_mfma_f32_16x16x16_bf16 a[4:7], v[12:13], v[2:3], a[4:7]
	s_add_i32 s1, s0, s1
	s_add_i32 s3, s12, s3
	s_lshl_b64 s[12:13], s[38:39], 2
	s_waitcnt lgkmcnt(0)
	v_mfma_f32_16x16x16_bf16 a[0:3], v[12:13], v[6:7], a[0:3]
	s_mul_i32 s0, s33, s22
	s_add_u32 s10, s10, s12
	s_addc_u32 s11, s11, s13
	s_lshl_b64 s[0:1], s[0:1], 2
	s_mul_i32 s2, s2, s34
	s_add_u32 s10, s10, s0
	ds_read_b64 v[2:3], v24 offset:44032
	v_mfma_f32_16x16x16_bf16 a[4:7], v[14:15], v[4:5], a[4:7]
	ds_read_b64 v[4:5], v29 offset:44032
	s_addc_u32 s11, s11, s1
	s_lshl_b64 s[0:1], s[2:3], 2
	v_mfma_f32_16x16x16_bf16 a[0:3], v[14:15], v[8:9], a[0:3]
	s_add_u32 s0, s10, s0
	s_addc_u32 s1, s11, s1
	s_load_dword s12, s[0:1], 0x0
	s_waitcnt lgkmcnt(0)
	v_mfma_f32_16x16x16_bf16 a[0:3], v[16:17], v[2:3], a[0:3]
	s_and_b64 vcc, exec, s[30:31]
	v_mfma_f32_16x16x16_bf16 a[4:7], v[16:17], v[4:5], a[4:7]
	s_cbranch_vccz .LBB479_42
; %bb.32:
	v_lshlrev_b32_e32 v20, 1, v23
	s_and_b64 vcc, exec, s[6:7]
	s_cbranch_vccz .LBB479_43
; %bb.33:
	v_cmp_gt_i32_e32 vcc, s43, v20
	v_mov_b32_e32 v6, 0
	v_mov_b32_e32 v2, 0
	;; [unrolled: 1-line block ×5, first 2 shown]
	s_and_saveexec_b64 s[0:1], vcc
	s_cbranch_execz .LBB479_35
; %bb.34:
	v_mad_i64_i32 v[2:3], s[2:3], s19, v20, 0
	v_lshl_add_u64 v[2:3], v[2:3], 1, s[4:5]
	v_lshlrev_b32_e32 v4, 1, v18
	v_mov_b32_e32 v5, 0
	v_lshl_add_u64 v[2:3], v[2:3], 0, v[4:5]
	global_load_dwordx4 v[2:5], v[2:3], off
.LBB479_35:
	s_or_b64 exec, exec, s[0:1]
	v_or_b32_e32 v21, 1, v20
	v_cmp_gt_i32_e64 s[0:1], s43, v21
	v_mov_b32_e32 v7, 0
	v_mov_b32_e32 v8, 0
	;; [unrolled: 1-line block ×3, first 2 shown]
	s_and_saveexec_b64 s[2:3], s[0:1]
	s_cbranch_execz .LBB479_37
; %bb.36:
	v_mad_i64_i32 v[6:7], s[16:17], s19, v21, 0
	v_lshl_add_u64 v[6:7], v[6:7], 1, s[4:5]
	v_lshlrev_b32_e32 v8, 1, v18
	v_mov_b32_e32 v9, 0
	v_lshl_add_u64 v[6:7], v[6:7], 0, v[8:9]
	global_load_dwordx4 v[6:9], v[6:7], off
.LBB479_37:
	s_or_b64 exec, exec, s[2:3]
	v_mov_b32_e32 v17, 0
	v_mov_b32_e32 v10, 0
	;; [unrolled: 1-line block ×5, first 2 shown]
	s_and_saveexec_b64 s[2:3], vcc
	s_cbranch_execz .LBB479_39
; %bb.38:
	v_mad_i64_i32 v[10:11], s[16:17], s19, v20, 0
	v_lshl_add_u64 v[10:11], v[10:11], 1, s[4:5]
	v_lshlrev_b32_e32 v12, 1, v18
	v_mov_b32_e32 v13, 0
	v_lshl_add_u64 v[10:11], v[10:11], 0, v[12:13]
	global_load_dwordx4 v[10:13], v[10:11], off offset:128
.LBB479_39:
	s_or_b64 exec, exec, s[2:3]
	v_mov_b32_e32 v16, 0
	v_mov_b32_e32 v15, 0
	;; [unrolled: 1-line block ×3, first 2 shown]
	s_and_saveexec_b64 s[2:3], s[0:1]
	s_cbranch_execz .LBB479_41
; %bb.40:
	v_mad_i64_i32 v[14:15], s[0:1], s19, v21, 0
	v_lshl_add_u64 v[14:15], v[14:15], 1, s[4:5]
	v_lshlrev_b32_e32 v16, 1, v18
	v_mov_b32_e32 v17, 0
	v_lshl_add_u64 v[14:15], v[14:15], 0, v[16:17]
	global_load_dwordx4 v[14:17], v[14:15], off offset:128
.LBB479_41:
	s_or_b64 exec, exec, s[2:3]
	s_branch .LBB479_45
.LBB479_42:
                                        ; implicit-def: $vgpr5
                                        ; implicit-def: $vgpr9
                                        ; implicit-def: $vgpr13
                                        ; implicit-def: $vgpr17
	v_lshrrev_b32_e32 v30, 2, v62
	s_branch .LBB479_46
.LBB479_43:
                                        ; implicit-def: $vgpr5
                                        ; implicit-def: $vgpr9
                                        ; implicit-def: $vgpr13
                                        ; implicit-def: $vgpr17
	s_cbranch_execz .LBB479_45
; %bb.44:
	s_waitcnt vmcnt(0)
	v_mad_u64_u32 v[2:3], s[0:1], v20, s19, v[18:19]
	v_lshlrev_b32_e32 v20, 1, v2
	s_lshl_b32 s2, s19, 7
	s_and_b32 s1, s5, 0xffff
	s_mov_b32 s3, 0x20000
	s_mov_b32 s0, s4
	v_add_lshl_u32 v21, v2, s19, 1
	s_movk_i32 s13, 0x80
	buffer_load_dwordx4 v[2:5], v20, s[0:3], 0 offen
	buffer_load_dwordx4 v[10:13], v20, s[0:3], s13 offen
	;; [unrolled: 1-line block ×4, first 2 shown]
.LBB479_45:
	v_lshrrev_b32_e32 v30, 2, v62
	s_cbranch_execnz .LBB479_58
.LBB479_46:
	s_and_b64 vcc, exec, s[6:7]
	s_cbranch_vccz .LBB479_56
; %bb.47:
	s_waitcnt vmcnt(0)
	v_lshlrev_b32_e32 v7, 1, v23
	v_cmp_gt_i32_e32 vcc, s43, v7
	v_mov_b32_e32 v6, 0
	v_lshlrev_b32_e32 v14, 9, v23
	v_mov_b32_e32 v2, 0
	v_mov_b32_e32 v3, 0
	v_mov_b32_e32 v4, 0
	v_mov_b32_e32 v5, 0
	s_and_saveexec_b64 s[0:1], vcc
	s_cbranch_execz .LBB479_49
; %bb.48:
	v_mov_b32_e32 v15, 0
	v_lshl_add_u64 v[2:3], s[4:5], 0, v[14:15]
	v_lshlrev_b32_e32 v4, 1, v18
	v_mov_b32_e32 v5, v15
	v_lshl_add_u64 v[2:3], v[2:3], 0, v[4:5]
	global_load_dwordx4 v[2:5], v[2:3], off
.LBB479_49:
	s_or_b64 exec, exec, s[0:1]
	v_or_b32_e32 v7, 1, v7
	v_cmp_gt_i32_e64 s[0:1], s43, v7
	v_lshlrev_b32_e32 v20, 8, v7
	v_mov_b32_e32 v7, 0
	v_mov_b32_e32 v8, 0
	;; [unrolled: 1-line block ×3, first 2 shown]
	s_and_saveexec_b64 s[2:3], s[0:1]
	s_cbranch_execz .LBB479_51
; %bb.50:
	v_mov_b32_e32 v21, 0
	v_lshl_add_u64 v[6:7], s[4:5], 0, v[20:21]
	v_lshlrev_b32_e32 v8, 1, v18
	v_mov_b32_e32 v9, v21
	v_lshl_add_u64 v[6:7], v[6:7], 0, v[8:9]
	global_load_dwordx4 v[6:9], v[6:7], off
.LBB479_51:
	s_or_b64 exec, exec, s[2:3]
	v_mov_b32_e32 v17, 0
	v_mov_b32_e32 v10, 0
	;; [unrolled: 1-line block ×5, first 2 shown]
	s_and_saveexec_b64 s[2:3], vcc
	s_cbranch_execz .LBB479_53
; %bb.52:
	v_mov_b32_e32 v15, 0
	v_lshl_add_u64 v[10:11], s[4:5], 0, v[14:15]
	v_lshlrev_b32_e32 v14, 1, v18
	v_lshl_add_u64 v[10:11], v[10:11], 0, v[14:15]
	global_load_dwordx4 v[10:13], v[10:11], off offset:128
.LBB479_53:
	s_or_b64 exec, exec, s[2:3]
	v_mov_b32_e32 v16, 0
	v_mov_b32_e32 v15, 0
	;; [unrolled: 1-line block ×3, first 2 shown]
	s_and_saveexec_b64 s[2:3], s[0:1]
	s_cbranch_execz .LBB479_55
; %bb.54:
	v_mov_b32_e32 v21, 0
	v_lshl_add_u64 v[14:15], s[4:5], 0, v[20:21]
	v_lshlrev_b32_e32 v20, 1, v18
	v_lshl_add_u64 v[14:15], v[14:15], 0, v[20:21]
	global_load_dwordx4 v[14:17], v[14:15], off offset:128
.LBB479_55:
	s_or_b64 exec, exec, s[2:3]
	s_branch .LBB479_58
.LBB479_56:
                                        ; implicit-def: $vgpr5
                                        ; implicit-def: $vgpr9
                                        ; implicit-def: $vgpr13
                                        ; implicit-def: $vgpr17
	s_cbranch_execz .LBB479_58
; %bb.57:
	s_waitcnt vmcnt(0)
	v_lshlrev_b32_e32 v2, 1, v18
	v_lshl_or_b32 v18, v23, 9, v2
	s_and_b32 s5, s5, 0xffff
	s_mov_b32 s7, 0x20000
	s_movk_i32 s6, 0x4000
	s_movk_i32 s0, 0x80
	buffer_load_dwordx4 v[2:5], v18, s[4:7], 0 offen
	buffer_load_dwordx4 v[6:9], v18, s[4:7], 0 offen offset:256
	buffer_load_dwordx4 v[10:13], v18, s[4:7], s0 offen
	buffer_load_dwordx4 v[14:17], v18, s[4:7], s0 offen offset:256
.LBB479_58:
	ds_read_b64 v[20:21], v25 offset:32768
	v_add_u32_e32 v18, 0xb000, v24
	ds_read2_b64 v[32:35], v18 offset1:16
	ds_read_b64 v[40:41], v26 offset:32768
	ds_read_b64 v[26:27], v27 offset:32768
	;; [unrolled: 1-line block ×3, first 2 shown]
	v_and_b32_e32 v18, 6, v0
	v_xor_b32_e32 v23, v23, v18
	v_lshlrev_b32_e32 v23, 2, v23
	v_and_b32_e32 v0, 1, v0
	v_xor_b32_e32 v28, 0x440, v23
	v_cmp_eq_u32_e32 vcc, 0, v0
	s_waitcnt lgkmcnt(3)
	v_mfma_f32_16x16x16_bf16 a[0:3], v[20:21], v[32:33], a[0:3]
	s_mov_b32 s0, 0x1000504
	v_cndmask_b32_e32 v0, v28, v23, vcc
	v_lshl_or_b32 v0, v18, 10, v0
	v_mfma_f32_16x16x16_bf16 a[4:7], v[20:21], v[34:35], a[4:7]
	ds_read2st64_b64 v[32:35], v24 offset0:90 offset1:92
	ds_read2st64_b64 v[36:39], v29 offset0:90 offset1:92
	ds_read_b64 v[20:21], v24 offset:48128
	ds_read_b64 v[24:25], v29 offset:48128
	s_waitcnt vmcnt(0)
	v_perm_b32 v18, v2, v6, s0
	s_waitcnt lgkmcnt(3)
	v_mfma_f32_16x16x16_bf16 a[0:3], v[40:41], v[32:33], a[0:3]
	s_mov_b32 s1, 0x3020706
	v_perm_b32 v2, v2, v6, s1
	v_perm_b32 v6, v10, v14, s1
	s_waitcnt lgkmcnt(2)
	v_mfma_f32_16x16x16_bf16 a[4:7], v[40:41], v[36:37], a[4:7]
	v_mfma_f32_16x16x16_bf16 a[0:3], v[26:27], v[34:35], a[0:3]
	;; [unrolled: 1-line block ×3, first 2 shown]
	s_waitcnt lgkmcnt(1)
	v_mfma_f32_16x16x16_bf16 a[4:7], v[42:43], v[20:21], a[0:3]
	v_perm_b32 v20, v10, v14, s0
	ds_write2st64_b32 v0, v18, v20 offset0:32 offset1:64
	v_xor_b32_e32 v18, 8, v0
	v_add_u32_e32 v10, 0x80, v18
	ds_write2st64_b32 v10, v2, v6 offset0:32 offset1:64
	v_xor_b32_e32 v2, 16, v0
	v_perm_b32 v6, v3, v7, s0
	v_perm_b32 v10, v11, v15, s0
	ds_write2st64_b32 v2, v6, v10 offset0:33 offset1:65
	v_xor_b32_e32 v2, 24, v0
	v_perm_b32 v3, v3, v7, s1
	v_perm_b32 v6, v11, v15, s1
	v_add_u32_e32 v2, 0x80, v2
	ds_write2st64_b32 v2, v3, v6 offset0:33 offset1:65
	v_xor_b32_e32 v2, 32, v0
	v_perm_b32 v3, v4, v8, s0
	v_perm_b32 v6, v12, v16, s0
	s_waitcnt lgkmcnt(4)
	v_mfma_f32_16x16x16_bf16 a[0:3], v[42:43], v[24:25], a[8:11]
	ds_write2st64_b32 v2, v3, v6 offset0:34 offset1:66
	v_xor_b32_e32 v2, 40, v0
	v_perm_b32 v3, v4, v8, s1
	v_perm_b32 v4, v12, v16, s1
	v_add_u32_e32 v2, 0x80, v2
	ds_write2st64_b32 v2, v3, v4 offset0:34 offset1:66
	v_xor_b32_e32 v2, 48, v0
	v_perm_b32 v3, v5, v9, s0
	v_perm_b32 v4, v13, v17, s0
	v_xor_b32_e32 v0, 56, v0
	v_and_or_b32 v21, v30, 12, v1
	ds_write2st64_b32 v2, v3, v4 offset0:35 offset1:67
	v_perm_b32 v2, v5, v9, s1
	v_perm_b32 v3, v13, v17, s1
	v_add_u32_e32 v0, 0x80, v0
	v_cmp_gt_i32_e32 vcc, s43, v21
	v_mov_b32_e32 v16, 0
	v_mov_b32_e32 v18, 0
	ds_write2st64_b32 v0, v2, v3 offset0:35 offset1:67
	s_and_saveexec_b64 s[0:1], vcc
	s_cbranch_execz .LBB479_60
; %bb.59:
	v_add_u32_e32 v0, s42, v21
	v_ashrrev_i32_e32 v1, 31, v0
	v_mul_lo_u32 v2, v1, s34
	v_mul_lo_u32 v3, v0, s35
	v_mad_u64_u32 v[0:1], s[2:3], v0, s34, 0
	v_add3_u32 v1, v1, v3, v2
	v_lshl_add_u64 v[0:1], v[0:1], 2, s[10:11]
	global_load_dword v0, v[0:1], off
	s_waitcnt vmcnt(0)
	v_sub_f32_e32 v0, s12, v0
	v_mul_f32_e32 v0, 0x3fb8aa3b, v0
	v_exp_f32_e32 v18, v0
.LBB479_60:
	s_or_b64 exec, exec, s[0:1]
	v_or_b32_e32 v10, 1, v21
	v_cmp_gt_i32_e64 s[0:1], s43, v10
	s_and_saveexec_b64 s[2:3], s[0:1]
	s_cbranch_execz .LBB479_62
; %bb.61:
	v_add_u32_e32 v0, s42, v10
	v_ashrrev_i32_e32 v1, 31, v0
	v_mul_lo_u32 v2, v1, s34
	v_mul_lo_u32 v3, v0, s35
	v_mad_u64_u32 v[0:1], s[4:5], v0, s34, 0
	v_add3_u32 v1, v1, v3, v2
	v_lshl_add_u64 v[0:1], v[0:1], 2, s[10:11]
	global_load_dword v0, v[0:1], off
	s_waitcnt vmcnt(0)
	v_sub_f32_e32 v0, s12, v0
	v_mul_f32_e32 v0, 0x3fb8aa3b, v0
	v_exp_f32_e32 v16, v0
.LBB479_62:
	s_or_b64 exec, exec, s[2:3]
	v_or_b32_e32 v12, 2, v21
	v_cmp_gt_i32_e64 s[2:3], s43, v12
	v_mov_b32_e32 v17, 0
	v_mov_b32_e32 v20, 0
	s_and_saveexec_b64 s[4:5], s[2:3]
	s_cbranch_execz .LBB479_64
; %bb.63:
	v_add_u32_e32 v0, s42, v12
	v_ashrrev_i32_e32 v1, 31, v0
	v_mul_lo_u32 v2, v1, s34
	v_mul_lo_u32 v3, v0, s35
	v_mad_u64_u32 v[0:1], s[6:7], v0, s34, 0
	v_add3_u32 v1, v1, v3, v2
	v_lshl_add_u64 v[0:1], v[0:1], 2, s[10:11]
	global_load_dword v0, v[0:1], off
	s_waitcnt vmcnt(0)
	v_sub_f32_e32 v0, s12, v0
	v_mul_f32_e32 v0, 0x3fb8aa3b, v0
	v_exp_f32_e32 v20, v0
.LBB479_64:
	s_or_b64 exec, exec, s[4:5]
	v_or_b32_e32 v14, 3, v21
	v_cmp_gt_i32_e64 s[4:5], s43, v14
	s_and_saveexec_b64 s[6:7], s[4:5]
	s_cbranch_execz .LBB479_66
; %bb.65:
	v_add_u32_e32 v0, s42, v14
	v_ashrrev_i32_e32 v1, 31, v0
	v_mul_lo_u32 v2, v1, s34
	v_mul_lo_u32 v3, v0, s35
	v_mad_u64_u32 v[0:1], s[16:17], v0, s34, 0
	v_add3_u32 v1, v1, v3, v2
	v_lshl_add_u64 v[0:1], v[0:1], 2, s[10:11]
	global_load_dword v0, v[0:1], off
	s_waitcnt vmcnt(0)
	v_sub_f32_e32 v0, s12, v0
	v_mul_f32_e32 v0, 0x3fb8aa3b, v0
	v_exp_f32_e32 v17, v0
.LBB479_66:
	s_or_b64 exec, exec, s[6:7]
	s_add_u32 s6, s8, s28
	v_or_b32_e32 v4, s36, v45
	s_addc_u32 s7, s9, s29
	s_add_u32 s8, s14, s28
	v_ashrrev_i32_e32 v5, 31, v4
	v_accvgpr_read_b32 v0, a4
	s_addc_u32 s9, s15, s29
	v_lshlrev_b64 v[4:5], 1, v[4:5]
	v_accvgpr_read_b32 v1, a5
	v_accvgpr_read_b32 v2, a6
	;; [unrolled: 1-line block ×3, first 2 shown]
	v_lshl_add_u64 v[6:7], s[6:7], 0, v[4:5]
	v_lshl_add_u64 v[4:5], s[8:9], 0, v[4:5]
	v_mov_b32_e32 v11, 0
	v_lshlrev_b32_e32 v8, 8, v21
	v_mov_b32_e32 v9, 0
	s_and_saveexec_b64 s[6:7], vcc
	s_cbranch_execz .LBB479_68
; %bb.67:
	v_mov_b32_e32 v9, 0
	v_lshl_add_u64 v[24:25], v[6:7], 0, v[8:9]
	global_load_ushort v13, v[24:25], off
	v_lshl_add_u64 v[24:25], v[4:5], 0, v[8:9]
	s_waitcnt vmcnt(0)
	v_lshlrev_b32_e32 v9, 16, v13
	v_sub_f32_e32 v0, v9, v0
	global_store_short_d16_hi v[24:25], v0, off
	v_mul_f32_e32 v0, v18, v0
	v_lshrrev_b32_e32 v9, 16, v0
.LBB479_68:
	s_or_b64 exec, exec, s[6:7]
	v_lshlrev_b32_e32 v10, 8, v10
	s_and_saveexec_b64 s[6:7], s[0:1]
	s_cbranch_execz .LBB479_70
; %bb.69:
	v_mov_b32_e32 v11, 0
	v_lshl_add_u64 v[24:25], v[6:7], 0, v[10:11]
	global_load_ushort v0, v[24:25], off
	v_lshl_add_u64 v[24:25], v[4:5], 0, v[10:11]
	s_waitcnt vmcnt(0)
	v_lshlrev_b32_e32 v0, 16, v0
	v_sub_f32_e32 v0, v0, v1
	global_store_short_d16_hi v[24:25], v0, off
	v_mul_f32_e32 v0, v16, v0
	v_lshrrev_b32_e32 v11, 16, v0
.LBB479_70:
	s_or_b64 exec, exec, s[6:7]
	v_mov_b32_e32 v15, 0
	v_lshlrev_b32_e32 v12, 8, v12
	v_mov_b32_e32 v13, 0
	s_and_saveexec_b64 s[6:7], s[2:3]
	s_cbranch_execz .LBB479_72
; %bb.71:
	v_mov_b32_e32 v13, 0
	v_lshl_add_u64 v[0:1], v[6:7], 0, v[12:13]
	global_load_ushort v23, v[0:1], off
	v_lshl_add_u64 v[0:1], v[4:5], 0, v[12:13]
	s_waitcnt vmcnt(0)
	v_lshlrev_b32_e32 v13, 16, v23
	v_sub_f32_e32 v2, v13, v2
	global_store_short_d16_hi v[0:1], v2, off
	v_mul_f32_e32 v0, v20, v2
	v_lshrrev_b32_e32 v13, 16, v0
.LBB479_72:
	s_or_b64 exec, exec, s[6:7]
	v_lshlrev_b32_e32 v14, 8, v14
	s_and_saveexec_b64 s[6:7], s[4:5]
	s_cbranch_execz .LBB479_74
; %bb.73:
	v_mov_b32_e32 v15, 0
	v_lshl_add_u64 v[0:1], v[6:7], 0, v[14:15]
	global_load_ushort v2, v[0:1], off
	v_lshl_add_u64 v[0:1], v[4:5], 0, v[14:15]
	s_waitcnt vmcnt(0)
	v_lshlrev_b32_e32 v2, 16, v2
	v_sub_f32_e32 v2, v2, v3
	global_store_short_d16_hi v[0:1], v2, off
	v_mul_f32_e32 v0, v17, v2
	v_lshrrev_b32_e32 v15, 16, v0
.LBB479_74:
	s_or_b64 exec, exec, s[6:7]
	v_lshlrev_b32_e32 v21, 5, v21
	s_mov_b32 s6, 0x5040100
	v_perm_b32 v24, v11, v9, s6
	v_or_b32_e32 v9, v21, v22
	v_accvgpr_read_b32 v0, a0
	v_perm_b32 v25, v15, v13, s6
	v_lshlrev_b32_e32 v9, 1, v9
	v_accvgpr_read_b32 v1, a1
	v_accvgpr_read_b32 v2, a2
	;; [unrolled: 1-line block ×3, first 2 shown]
	ds_write_b64 v9, v[24:25] offset:45056
	v_mov_b32_e32 v11, 0
	v_mov_b32_e32 v9, 0
	s_and_saveexec_b64 s[6:7], vcc
	s_cbranch_execz .LBB479_76
; %bb.75:
	v_mov_b32_e32 v9, 0
	v_lshl_add_u64 v[22:23], v[6:7], 0, v[8:9]
	global_load_ushort v13, v[22:23], off offset:32
	v_lshl_add_u64 v[8:9], v[4:5], 0, v[8:9]
	s_waitcnt vmcnt(0)
	v_lshlrev_b32_e32 v13, 16, v13
	v_sub_f32_e32 v0, v13, v0
	global_store_short_d16_hi v[8:9], v0, off offset:32
	v_mul_f32_e32 v0, v18, v0
	v_lshrrev_b32_e32 v9, 16, v0
.LBB479_76:
	s_or_b64 exec, exec, s[6:7]
	s_and_saveexec_b64 s[6:7], s[0:1]
	s_cbranch_execz .LBB479_78
; %bb.77:
	v_mov_b32_e32 v11, 0
	v_lshl_add_u64 v[22:23], v[6:7], 0, v[10:11]
	global_load_ushort v0, v[22:23], off offset:32
	v_lshl_add_u64 v[10:11], v[4:5], 0, v[10:11]
	s_waitcnt vmcnt(0)
	v_lshlrev_b32_e32 v0, 16, v0
	v_sub_f32_e32 v0, v0, v1
	global_store_short_d16_hi v[10:11], v0, off offset:32
	v_mul_f32_e32 v0, v16, v0
	v_lshrrev_b32_e32 v11, 16, v0
.LBB479_78:
	s_or_b64 exec, exec, s[6:7]
	v_mov_b32_e32 v0, 0
	v_mov_b32_e32 v1, 0
	s_and_saveexec_b64 s[0:1], s[2:3]
	s_cbranch_execz .LBB479_80
; %bb.79:
	v_mov_b32_e32 v13, 0
	v_lshl_add_u64 v[22:23], v[6:7], 0, v[12:13]
	global_load_ushort v1, v[22:23], off offset:32
	v_lshl_add_u64 v[12:13], v[4:5], 0, v[12:13]
	s_waitcnt vmcnt(0)
	v_lshlrev_b32_e32 v1, 16, v1
	v_sub_f32_e32 v1, v1, v2
	global_store_short_d16_hi v[12:13], v1, off offset:32
	v_mul_f32_e32 v1, v20, v1
	v_lshrrev_b32_e32 v1, 16, v1
.LBB479_80:
	s_or_b64 exec, exec, s[0:1]
	s_and_saveexec_b64 s[0:1], s[4:5]
	s_cbranch_execz .LBB479_82
; %bb.81:
	v_mov_b32_e32 v15, 0
	v_lshl_add_u64 v[6:7], v[6:7], 0, v[14:15]
	global_load_ushort v0, v[6:7], off offset:32
	v_lshl_add_u64 v[4:5], v[4:5], 0, v[14:15]
	s_waitcnt vmcnt(0)
	v_lshlrev_b32_e32 v0, 16, v0
	v_sub_f32_e32 v0, v0, v3
	global_store_short_d16_hi v[4:5], v0, off offset:32
	v_mul_f32_e32 v0, v17, v0
	v_lshrrev_b32_e32 v0, 16, v0
.LBB479_82:
	s_or_b64 exec, exec, s[0:1]
	s_mov_b32 s0, 0x5040100
	v_or_b32_e32 v2, v21, v19
	v_perm_b32 v1, v0, v1, s0
	v_perm_b32 v0, v11, v9, s0
	v_lshlrev_b32_e32 v2, 1, v2
	ds_write_b64 v2, v[0:1] offset:45056
	s_waitcnt lgkmcnt(0)
	s_barrier
.LBB479_83:
	s_endpgm
	.section	.rodata,"a",@progbits
	.p2align	6, 0x0
	.amdhsa_kernel _ZN12_GLOBAL__N_139chunk_gated_delta_rule_fwd_h_hip_kernelILi32ELb0ELb0ELb1ELb0ELb0ELb1ELb0ELb0EEEvPK12hip_bfloat16S3_S3_PKfS5_PKvPS1_S8_PvPKiSB_iiiiilll
		.amdhsa_group_segment_fixed_size 49152
		.amdhsa_private_segment_fixed_size 0
		.amdhsa_kernarg_size 136
		.amdhsa_user_sgpr_count 2
		.amdhsa_user_sgpr_dispatch_ptr 0
		.amdhsa_user_sgpr_queue_ptr 0
		.amdhsa_user_sgpr_kernarg_segment_ptr 1
		.amdhsa_user_sgpr_dispatch_id 0
		.amdhsa_user_sgpr_kernarg_preload_length 0
		.amdhsa_user_sgpr_kernarg_preload_offset 0
		.amdhsa_user_sgpr_private_segment_size 0
		.amdhsa_uses_dynamic_stack 0
		.amdhsa_enable_private_segment 0
		.amdhsa_system_sgpr_workgroup_id_x 1
		.amdhsa_system_sgpr_workgroup_id_y 1
		.amdhsa_system_sgpr_workgroup_id_z 0
		.amdhsa_system_sgpr_workgroup_info 0
		.amdhsa_system_vgpr_workitem_id 0
		.amdhsa_next_free_vgpr 168
		.amdhsa_next_free_sgpr 67
		.amdhsa_accum_offset 144
		.amdhsa_reserve_vcc 1
		.amdhsa_float_round_mode_32 0
		.amdhsa_float_round_mode_16_64 0
		.amdhsa_float_denorm_mode_32 3
		.amdhsa_float_denorm_mode_16_64 3
		.amdhsa_dx10_clamp 1
		.amdhsa_ieee_mode 1
		.amdhsa_fp16_overflow 0
		.amdhsa_tg_split 0
		.amdhsa_exception_fp_ieee_invalid_op 0
		.amdhsa_exception_fp_denorm_src 0
		.amdhsa_exception_fp_ieee_div_zero 0
		.amdhsa_exception_fp_ieee_overflow 0
		.amdhsa_exception_fp_ieee_underflow 0
		.amdhsa_exception_fp_ieee_inexact 0
		.amdhsa_exception_int_div_zero 0
	.end_amdhsa_kernel
	.section	.text._ZN12_GLOBAL__N_139chunk_gated_delta_rule_fwd_h_hip_kernelILi32ELb0ELb0ELb1ELb0ELb0ELb1ELb0ELb0EEEvPK12hip_bfloat16S3_S3_PKfS5_PKvPS1_S8_PvPKiSB_iiiiilll,"axG",@progbits,_ZN12_GLOBAL__N_139chunk_gated_delta_rule_fwd_h_hip_kernelILi32ELb0ELb0ELb1ELb0ELb0ELb1ELb0ELb0EEEvPK12hip_bfloat16S3_S3_PKfS5_PKvPS1_S8_PvPKiSB_iiiiilll,comdat
.Lfunc_end479:
	.size	_ZN12_GLOBAL__N_139chunk_gated_delta_rule_fwd_h_hip_kernelILi32ELb0ELb0ELb1ELb0ELb0ELb1ELb0ELb0EEEvPK12hip_bfloat16S3_S3_PKfS5_PKvPS1_S8_PvPKiSB_iiiiilll, .Lfunc_end479-_ZN12_GLOBAL__N_139chunk_gated_delta_rule_fwd_h_hip_kernelILi32ELb0ELb0ELb1ELb0ELb0ELb1ELb0ELb0EEEvPK12hip_bfloat16S3_S3_PKfS5_PKvPS1_S8_PvPKiSB_iiiiilll
                                        ; -- End function
	.section	.AMDGPU.csdata,"",@progbits
; Kernel info:
; codeLenInByte = 8996
; NumSgprs: 73
; NumVgprs: 142
; NumAgprs: 24
; TotalNumVgprs: 168
; ScratchSize: 0
; MemoryBound: 0
; FloatMode: 240
; IeeeMode: 1
; LDSByteSize: 49152 bytes/workgroup (compile time only)
; SGPRBlocks: 9
; VGPRBlocks: 20
; NumSGPRsForWavesPerEU: 73
; NumVGPRsForWavesPerEU: 168
; AccumOffset: 144
; Occupancy: 1
; WaveLimiterHint : 1
; COMPUTE_PGM_RSRC2:SCRATCH_EN: 0
; COMPUTE_PGM_RSRC2:USER_SGPR: 2
; COMPUTE_PGM_RSRC2:TRAP_HANDLER: 0
; COMPUTE_PGM_RSRC2:TGID_X_EN: 1
; COMPUTE_PGM_RSRC2:TGID_Y_EN: 1
; COMPUTE_PGM_RSRC2:TGID_Z_EN: 0
; COMPUTE_PGM_RSRC2:TIDIG_COMP_CNT: 0
; COMPUTE_PGM_RSRC3_GFX90A:ACCUM_OFFSET: 35
; COMPUTE_PGM_RSRC3_GFX90A:TG_SPLIT: 0
	.section	.text._ZN12_GLOBAL__N_139chunk_gated_delta_rule_fwd_h_hip_kernelILi32ELb0ELb0ELb0ELb0ELb0ELb1ELb0ELb0EEEvPK12hip_bfloat16S3_S3_PKfS5_PKvPS1_S8_PvPKiSB_iiiiilll,"axG",@progbits,_ZN12_GLOBAL__N_139chunk_gated_delta_rule_fwd_h_hip_kernelILi32ELb0ELb0ELb0ELb0ELb0ELb1ELb0ELb0EEEvPK12hip_bfloat16S3_S3_PKfS5_PKvPS1_S8_PvPKiSB_iiiiilll,comdat
	.globl	_ZN12_GLOBAL__N_139chunk_gated_delta_rule_fwd_h_hip_kernelILi32ELb0ELb0ELb0ELb0ELb0ELb1ELb0ELb0EEEvPK12hip_bfloat16S3_S3_PKfS5_PKvPS1_S8_PvPKiSB_iiiiilll ; -- Begin function _ZN12_GLOBAL__N_139chunk_gated_delta_rule_fwd_h_hip_kernelILi32ELb0ELb0ELb0ELb0ELb0ELb1ELb0ELb0EEEvPK12hip_bfloat16S3_S3_PKfS5_PKvPS1_S8_PvPKiSB_iiiiilll
	.p2align	8
	.type	_ZN12_GLOBAL__N_139chunk_gated_delta_rule_fwd_h_hip_kernelILi32ELb0ELb0ELb0ELb0ELb0ELb1ELb0ELb0EEEvPK12hip_bfloat16S3_S3_PKfS5_PKvPS1_S8_PvPKiSB_iiiiilll,@function
_ZN12_GLOBAL__N_139chunk_gated_delta_rule_fwd_h_hip_kernelILi32ELb0ELb0ELb0ELb0ELb0ELb1ELb0ELb0EEEvPK12hip_bfloat16S3_S3_PKfS5_PKvPS1_S8_PvPKiSB_iiiiilll: ; @_ZN12_GLOBAL__N_139chunk_gated_delta_rule_fwd_h_hip_kernelILi32ELb0ELb0ELb0ELb0ELb0ELb1ELb0ELb0EEEvPK12hip_bfloat16S3_S3_PKfS5_PKvPS1_S8_PvPKiSB_iiiiilll
; %bb.0:
	s_load_dwordx4 s[12:15], s[0:1], 0x5c
	s_load_dwordx2 s[36:37], s[0:1], 0x30
	s_abs_i32 s18, s3
	s_ashr_i32 s17, s3, 31
	s_load_dwordx8 s[4:11], s[0:1], 0x0
	s_waitcnt lgkmcnt(0)
	s_abs_i32 s16, s13
	v_cvt_f32_u32_e32 v1, s16
	s_sub_i32 s20, 0, s16
	s_ashr_i32 s19, s13, 31
	s_xor_b32 s17, s17, s19
	v_rcp_iflag_f32_e32 v1, v1
	v_lshrrev_b32_e32 v61, 6, v0
	v_bfe_u32 v62, v0, 4, 2
	v_lshlrev_b32_e32 v2, 2, v62
	v_mul_f32_e32 v1, 0x4f7ffffe, v1
	v_cvt_u32_f32_e32 v1, v1
	v_and_b32_e32 v60, 63, v0
	v_mov_b32_e32 v5, 0
	v_and_b32_e32 v45, 15, v0
	v_readfirstlane_b32 s21, v1
	s_mul_i32 s20, s20, s21
	s_mul_hi_u32 s20, s21, s20
	s_add_i32 s21, s21, s20
	s_mul_hi_u32 s20, s18, s21
	s_mul_i32 s21, s20, s16
	s_sub_i32 s18, s18, s21
	s_add_i32 s22, s20, 1
	s_sub_i32 s21, s18, s16
	s_cmp_ge_u32 s18, s16
	s_cselect_b32 s20, s22, s20
	s_cselect_b32 s18, s21, s18
	s_add_i32 s21, s20, 1
	s_cmp_ge_u32 s18, s16
	s_cselect_b32 s18, s21, s20
	s_abs_i32 s20, s14
	v_cvt_f32_u32_e32 v1, s20
	s_xor_b32 s18, s18, s17
	s_ashr_i32 s46, s12, 31
	s_sub_i32 s48, s18, s17
	v_rcp_iflag_f32_e32 v1, v1
	s_lshr_b32 s17, s46, 26
	s_add_i32 s17, s12, s17
	s_ashr_i32 s49, s14, 31
	v_mul_f32_e32 v1, 0x4f7ffffe, v1
	v_cvt_u32_f32_e32 v1, v1
	s_ashr_i32 s47, s17, 6
	s_xor_b32 s17, s19, s49
	s_sub_i32 s18, 0, s20
	v_readfirstlane_b32 s19, v1
	s_mul_i32 s18, s18, s19
	s_mul_hi_u32 s18, s19, s18
	s_add_i32 s19, s19, s18
	s_mul_hi_u32 s18, s16, s19
	s_mul_i32 s19, s18, s20
	s_mul_i32 s45, s48, s13
	s_sub_i32 s16, s16, s19
	s_sub_i32 s33, s3, s45
	s_add_i32 s3, s12, 63
	s_add_i32 s19, s18, 1
	s_sub_i32 s21, s16, s20
	s_cmp_ge_u32 s16, s20
	s_cselect_b32 s18, s19, s18
	s_cselect_b32 s16, s21, s16
	s_add_i32 s19, s18, 1
	s_cmp_ge_u32 s16, s20
	s_cselect_b32 s16, s19, s18
	s_xor_b32 s16, s16, s17
	s_sub_i32 s20, s16, s17
	s_abs_i32 s21, s20
	v_cvt_f32_u32_e32 v1, s21
	s_sub_i32 s23, 0, s21
	s_abs_i32 s22, s33
	s_xor_b32 s20, s33, s20
	v_rcp_iflag_f32_e32 v1, v1
	s_ashr_i32 s20, s20, 31
	s_load_dwordx2 s[28:29], s[0:1], 0x80
	s_load_dwordx4 s[16:19], s[0:1], 0x70
	s_mul_hi_i32 s51, s48, s13
	v_mul_f32_e32 v1, 0x4f7ffffe, v1
	v_cvt_u32_f32_e32 v1, v1
	v_lshrrev_b32_e32 v64, 3, v60
	v_lshlrev_b32_e32 v63, 3, v0
	s_waitcnt lgkmcnt(0)
	s_mul_i32 s17, s48, s17
	v_readfirstlane_b32 s24, v1
	s_mul_i32 s23, s23, s24
	s_mul_hi_u32 s23, s24, s23
	s_add_i32 s24, s24, s23
	s_mul_hi_u32 s23, s22, s24
	s_mul_i32 s24, s23, s21
	s_sub_i32 s22, s22, s24
	s_add_i32 s24, s23, 1
	s_sub_i32 s25, s22, s21
	s_cmp_ge_u32 s22, s21
	s_cselect_b32 s23, s24, s23
	s_cselect_b32 s22, s25, s22
	s_add_i32 s24, s23, 1
	s_cmp_ge_u32 s22, s21
	s_cselect_b32 s21, s24, s23
	s_xor_b32 s21, s21, s20
	s_sub_i32 s52, s21, s20
	s_ashr_i32 s20, s3, 31
	s_lshr_b32 s20, s20, 26
	v_lshlrev_b32_e32 v1, 4, v61
	s_add_i32 s3, s3, s20
	v_or_b32_e32 v65, v2, v1
	s_ashr_i32 s3, s3, 6
	s_lshl_b32 s30, s2, 5
	s_mul_i32 s50, s48, s3
	v_or_b32_e32 v66, 64, v65
	s_cmp_lt_i32 s12, 64
	s_mul_hi_u32 s44, s48, s16
	s_mul_i32 s34, s48, s16
	v_mov_b32_e32 v83, 0
	v_mov_b32_e32 v81, 0
	;; [unrolled: 1-line block ×15, first 2 shown]
	s_cbranch_scc1 .LBB480_18
; %bb.1:
	s_ashr_i32 s24, s48, 31
	s_ashr_i32 s54, s33, 31
	s_add_u32 s2, s45, s33
	s_addc_u32 s3, s51, s54
	s_mul_i32 s3, s12, s3
	s_mul_hi_u32 s20, s12, s2
	s_add_i32 s39, s20, s3
	s_mul_i32 s38, s12, s2
	s_lshl_b64 s[2:3], s[38:39], 8
	v_and_b32_e32 v68, 56, v63
	s_add_u32 s20, s6, s2
	v_lshl_or_b32 v67, v61, 3, v64
	v_lshlrev_b32_e32 v3, 1, v68
	s_addc_u32 s2, s7, s3
	v_lshl_or_b32 v69, v67, 8, v3
	s_and_b32 s21, s2, 0xffff
	s_mov_b32 s23, 0x20000
	s_movk_i32 s22, 0x4000
	s_movk_i32 s2, 0x80
	v_or_b32_e32 v70, 0x2000, v69
	buffer_load_dwordx4 v[4:7], v69, s[20:23], 0 offen
	buffer_load_dwordx4 v[8:11], v69, s[20:23], s2 offen
	;; [unrolled: 1-line block ×4, first 2 shown]
	v_lshlrev_b32_e32 v20, 3, v67
	v_and_or_b32 v22, v0, 7, v20
	v_and_b32_e32 v20, 0x78, v20
	v_lshlrev_b32_e32 v22, 4, v22
	v_xor_b32_e32 v71, v22, v20
	v_mul_lo_u32 v21, v67, s15
	v_or_b32_e32 v72, 0x1000, v71
	s_cmpk_eq_i32 s15, 0x80
	s_mov_b32 s53, s14
	v_xor_b32_e32 v20, 8, v71
	v_xor_b32_e32 v22, 8, v72
	s_cselect_b64 s[2:3], -1, 0
	s_cmpk_lg_i32 s15, 0x80
	s_waitcnt vmcnt(3)
	ds_write_b64 v71, v[4:5] offset:24576
	ds_write_b64 v20, v[6:7] offset:24576
	s_waitcnt vmcnt(2)
	ds_write_b64 v71, v[8:9] offset:32768
	ds_write_b64 v20, v[10:11] offset:32768
	;; [unrolled: 3-line block ×4, first 2 shown]
	v_lshl_add_u32 v4, v21, 1, v68
	s_cbranch_scc0 .LBB480_3
; %bb.2:
	v_lshlrev_b32_e32 v6, 1, v4
	v_add_lshl_u32 v5, v4, s15, 1
	s_lshl_b32 s22, s15, 7
	s_load_dwordx2 s[40:41], s[0:1], 0x20
	v_lshl_or_b32 v3, v67, 9, v3
	s_cbranch_execz .LBB480_4
	s_branch .LBB480_5
.LBB480_3:
                                        ; implicit-def: $vgpr5
                                        ; implicit-def: $vgpr6
                                        ; implicit-def: $sgpr22
	s_load_dwordx2 s[40:41], s[0:1], 0x20
	v_lshl_or_b32 v3, v67, 9, v3
.LBB480_4:
	v_or_b32_e32 v5, 0x100, v3
	s_movk_i32 s22, 0x4000
	v_mov_b32_e32 v6, v3
.LBB480_5:
	s_mul_hi_u32 s0, s14, s12
	s_mul_i32 s1, s49, s12
	s_add_i32 s0, s0, s1
	s_mul_i32 s1, s14, s12
	s_mul_i32 s20, s1, s24
	s_mul_hi_u32 s21, s1, s48
	s_add_i32 s20, s21, s20
	s_mul_i32 s0, s0, s48
	s_add_i32 s20, s20, s0
	s_mul_i32 s1, s1, s48
	s_ashr_i32 s55, s52, 31
	s_add_u32 s0, s1, s52
	s_addc_u32 s1, s20, s55
	s_lshl_b64 s[0:1], s[0:1], 8
	s_add_u32 s20, s4, s0
	s_addc_u32 s0, s5, s1
	s_and_b32 s21, s0, 0xffff
	s_movk_i32 s56, 0x80
	buffer_load_dwordx4 v[8:11], v6, s[20:23], 0 offen
	buffer_load_dwordx4 v[12:15], v6, s[20:23], s56 offen
	;; [unrolled: 1-line block ×4, first 2 shown]
	v_and_b32_e32 v5, 6, v0
	v_lshlrev_b32_e32 v24, 6, v65
	v_or_b32_e32 v26, 16, v45
	v_xor_b32_e32 v27, v67, v5
	v_and_b32_e32 v6, 1, v0
	s_mul_i32 s0, s24, s12
	s_mul_hi_u32 s1, s48, s12
	v_lshl_or_b32 v30, v45, 3, v24
	v_lshl_or_b32 v24, v26, 3, v24
	v_lshlrev_b32_e32 v27, 2, v27
	v_lshlrev_b32_e32 v7, 2, v45
	v_or_b32_e32 v75, 0xa000, v24
	v_or_b32_e32 v76, 0xb000, v24
	v_xor_b32_e32 v24, 0x440, v27
	v_cmp_eq_u32_e32 vcc, 0, v6
	s_add_i32 s61, s1, s0
	s_add_i32 s0, s44, s17
	s_mul_i32 s24, s24, s16
	v_xor_b32_e32 v28, v65, v7
	v_xor_b32_e32 v29, v66, v7
	v_cndmask_b32_e32 v6, v24, v27, vcc
	s_add_i32 s35, s0, s24
	s_mul_i32 s0, s33, s19
	s_mul_hi_u32 s1, s33, s18
	s_mov_b32 s59, 0x1000504
	v_lshlrev_b32_e32 v25, 8, v45
	v_lshlrev_b32_e32 v28, 1, v28
	;; [unrolled: 1-line block ×3, first 2 shown]
	v_lshl_or_b32 v5, v5, 10, v6
	s_add_i32 s0, s1, s0
	s_mul_i32 s1, s54, s18
	s_mov_b32 s60, 0x3020706
	v_or_b32_e32 v73, 0xa000, v30
	v_or_b32_e32 v74, 0xb000, v30
	;; [unrolled: 1-line block ×4, first 2 shown]
	v_xor_b32_e32 v6, 8, v5
	v_xor_b32_e32 v25, 24, v5
	;; [unrolled: 1-line block ×4, first 2 shown]
	s_add_i32 s1, s0, s1
	s_lshl_b64 s[20:21], s[34:35], 2
	v_xor_b32_e32 v24, 16, v5
	v_xor_b32_e32 v27, 32, v5
	;; [unrolled: 1-line block ×3, first 2 shown]
	v_add_u32_e32 v6, 0x80, v6
	v_add_u32_e32 v25, 0x80, v25
	;; [unrolled: 1-line block ×4, first 2 shown]
	s_mul_i32 s0, s33, s18
	s_add_u32 s20, s10, s20
	s_addc_u32 s21, s11, s21
	s_lshl_b64 s[0:1], s[0:1], 2
	s_add_u32 s42, s20, s0
	s_movk_i32 s0, 0xf8
	s_addc_u32 s43, s21, s1
	s_ashr_i32 s31, s30, 31
	s_lshl_b32 s26, s15, 7
	s_movk_i32 s20, 0x100
	v_mov_b32_e32 v55, 0
	v_lshlrev_b32_e32 v54, 4, v45
	v_cmp_gt_u32_e32 vcc, s20, v0
	s_mul_i32 s57, s48, s12
	s_mov_b32 s58, 0
	s_movk_i32 s35, 0x1000
	s_movk_i32 s22, 0x4000
	v_add_u32_e32 v100, v1, v2
	s_mov_b32 s62, 0x7060302
	v_mov_b32_e32 v111, 0x3fb8aa3b
	s_mov_b32 s64, 0
	v_mov_b32_e32 v50, v55
	v_mov_b32_e32 v51, v55
	;; [unrolled: 1-line block ×8, first 2 shown]
	s_waitcnt vmcnt(1)
	v_perm_b32 v33, v8, v16, s59
	s_waitcnt vmcnt(0)
	v_perm_b32 v34, v12, v20, s59
	v_perm_b32 v8, v8, v16, s60
	;; [unrolled: 1-line block ×15, first 2 shown]
	ds_write2st64_b32 v5, v33, v34 offset0:32 offset1:64
	ds_write2st64_b32 v6, v8, v12 offset0:32 offset1:64
	ds_write2st64_b32 v24, v16, v20 offset0:33 offset1:65
	ds_write2st64_b32 v25, v9, v13 offset0:33 offset1:65
	ds_write2st64_b32 v27, v17, v21 offset0:34 offset1:66
	ds_write2st64_b32 v30, v10, v14 offset0:34 offset1:66
	ds_write2st64_b32 v31, v18, v22 offset0:35 offset1:67
	ds_write2st64_b32 v32, v11, v15 offset0:35 offset1:67
	v_lshlrev_b32_e32 v5, 8, v26
	v_or_b32_e32 v79, v5, v28
	v_or_b32_e32 v80, v5, v29
	;; [unrolled: 1-line block ×3, first 2 shown]
	v_lshlrev_b32_e32 v5, 3, v5
	v_lshrrev_b32_e32 v8, 5, v60
	v_and_or_b32 v8, v5, s0, v8
	v_lshrrev_b32_e32 v6, 2, v60
	v_lshlrev_b32_e32 v11, 11, v61
	v_lshlrev_b32_e32 v8, 4, v8
	v_and_b32_e32 v5, 0x78, v5
	v_and_b32_e32 v9, 12, v6
	;; [unrolled: 1-line block ×3, first 2 shown]
	v_xor_b32_e32 v10, v8, v5
	v_lshrrev_b32_e32 v12, 1, v60
	v_or_b32_e32 v10, v10, v6
	v_and_b32_e32 v12, 8, v12
	v_xor_b32_e32 v87, v10, v12
	v_or_b32_e32 v10, 32, v8
	v_xor_b32_e32 v10, v10, v5
	v_or_b32_e32 v10, v10, v6
	;; [unrolled: 2-line block ×3, first 2 shown]
	v_or_b32_e32 v8, 0x60, v8
	v_xor_b32_e32 v10, v10, v5
	v_xor_b32_e32 v5, v8, v5
	s_lshl_b64 s[0:1], s[30:31], 8
	v_or_b32_e32 v10, v10, v6
	v_or_b32_e32 v5, v5, v6
	v_lshlrev_b32_e32 v14, 1, v4
	v_add_lshl_u32 v15, v4, s15, 1
	s_add_u32 s0, s36, s0
	v_lshlrev_b32_e32 v4, 1, v45
	v_xor_b32_e32 v91, v10, v12
	v_xor_b32_e32 v92, v5, v12
	v_lshrrev_b32_e32 v10, 4, v0
	s_addc_u32 s1, s37, s1
	v_or_b32_e32 v5, 1, v4
	v_mov_b32_e32 v20, 0x4000
	v_mov_b32_e32 v21, 0x2000
	v_lshrrev_b32_e32 v22, 1, v0
	v_xor_b32_e32 v12, v10, v4
	v_xor_b32_e32 v17, v5, v10
	v_lshl_add_u64 v[4:5], s[0:1], 0, v[54:55]
	v_lshlrev_b32_e32 v54, 8, v10
	v_cndmask_b32_e32 v20, v20, v21, vcc
	v_lshlrev_b32_e32 v21, 3, v61
	v_and_b32_e32 v22, 24, v22
	v_lshl_or_b32 v95, v12, 3, v54
	v_and_b32_e32 v12, 8, v0
	v_xor_b32_e32 v23, v21, v22
	v_or_b32_e32 v24, 0x440, v23
	v_cmp_eq_u32_e32 vcc, 0, v12
	v_and_b32_e32 v10, 7, v0
	v_lshlrev_b32_e32 v13, 7, v62
	v_cndmask_b32_e32 v12, v24, v23, vcc
	v_lshl_or_b32 v96, v17, 3, v54
	v_lshlrev_b32_e32 v17, 3, v10
	v_lshlrev_b32_e32 v19, 2, v0
	v_or_b32_e32 v12, v12, v11
	v_or_b32_e32 v7, v13, v7
	v_xor_b32_e32 v23, v12, v17
	v_and_or_b32 v12, v19, 60, v13
	v_mov_b32_e32 v13, 0xb000
	v_lshl_or_b32 v97, v12, 1, v13
	v_or_b32_e32 v12, 32, v22
	v_xor_b32_e32 v12, v21, v12
	v_or_b32_e32 v13, 0x440, v12
	v_cndmask_b32_e32 v12, v13, v12, vcc
	v_or_b32_e32 v12, v12, v11
	v_xor_b32_e32 v13, v12, v17
	v_or_b32_e32 v12, 64, v22
	v_xor_b32_e32 v12, v21, v12
	v_xor_b32_e32 v25, 0x440, v12
	v_cndmask_b32_e32 v12, v25, v12, vcc
	v_or_b32_e32 v12, v12, v11
	v_xor_b32_e32 v25, v12, v17
	v_or_b32_e32 v12, 0x60, v22
	v_xor_b32_e32 v12, v21, v12
	v_xor_b32_e32 v21, 0x440, v12
	v_cndmask_b32_e32 v12, v21, v12, vcc
	v_or_b32_e32 v11, v12, v11
	v_lshlrev_b32_e32 v7, 1, v7
	v_or_b32_e32 v6, s30, v45
	v_xor_b32_e32 v11, v11, v17
	v_or_b32_e32 v88, 0xa000, v7
	v_or_b32_e32 v90, 0xa080, v7
	;; [unrolled: 1-line block ×4, first 2 shown]
	v_lshlrev_b32_e32 v8, 7, v65
	v_ashrrev_i32_e32 v7, 31, v6
	v_or_b32_e32 v16, 0x100, v3
	v_lshlrev_b32_e32 v18, 7, v10
	v_or_b32_e32 v10, v9, v1
	v_add_u32_e32 v24, v20, v23
	v_add_u32_e32 v19, v20, v13
	;; [unrolled: 1-line block ×4, first 2 shown]
	v_or3_b32 v12, v1, v9, 64
	v_add_u32_e32 v9, 0x4000, v23
	v_add_u32_e32 v13, 0x4000, v13
	;; [unrolled: 1-line block ×4, first 2 shown]
	v_cndmask_b32_e64 v98, v14, v3, s[2:3]
	v_cndmask_b32_e64 v99, v15, v16, s[2:3]
	v_lshl_add_u64 v[56:57], v[6:7], 1, s[8:9]
	v_lshl_add_u64 v[58:59], v[4:5], 0, v[54:55]
	s_add_i32 s31, s57, 63
	v_lshlrev_b32_e32 v54, 1, v8
	v_lshlrev_b32_e32 v101, 2, v10
	v_add_u32_e32 v102, v24, v18
	v_add_u32_e32 v103, v19, v18
	;; [unrolled: 1-line block ×4, first 2 shown]
	v_lshlrev_b32_e32 v106, 2, v12
	v_add_u32_e32 v107, v9, v18
	v_add_u32_e32 v108, v13, v18
	;; [unrolled: 1-line block ×4, first 2 shown]
	v_mov_b32_e32 v85, v55
	v_mov_b32_e32 v84, v55
	v_mov_b32_e32 v86, v55
	v_mov_b32_e32 v113, v55
	v_mov_b32_e32 v82, v55
	v_mov_b32_e32 v81, v55
	v_mov_b32_e32 v83, v55
	v_mov_b32_e32 v112, v55
	s_waitcnt lgkmcnt(0)
	s_barrier
.LBB480_6:                              ; =>This Inner Loop Header: Depth=1
	s_add_i32 s63, s64, 1
	s_cmp_lt_i32 s63, s47
	s_mov_b64 s[24:25], 0
	s_cselect_b64 s[2:3], -1, 0
	s_cmp_ge_i32 s63, s47
	s_mov_b64 s[20:21], 0
	s_cbranch_scc1 .LBB480_8
; %bb.7:                                ;   in Loop: Header=BB480_6 Depth=1
	s_add_i32 s0, s58, 64
	s_add_u32 s0, s38, s0
	s_addc_u32 s1, s39, 0
	s_lshl_b64 s[0:1], s[0:1], 8
	s_add_u32 s20, s6, s0
	s_addc_u32 s21, s7, s1
.LBB480_8:                              ;   in Loop: Header=BB480_6 Depth=1
	v_cndmask_b32_e64 v2, 0, 1, s[2:3]
	v_cmp_ne_u32_e64 s[0:1], 1, v2
	s_andn2_b64 vcc, exec, s[2:3]
	s_cbranch_vccnz .LBB480_10
; %bb.9:                                ;   in Loop: Header=BB480_6 Depth=1
	s_add_i32 s2, s58, 64
	s_add_u32 s2, s57, s2
	s_addc_u32 s3, s61, 0
	s_mul_i32 s24, s2, s49
	s_mul_hi_u32 s25, s2, s53
	s_add_i32 s24, s25, s24
	s_mul_i32 s3, s3, s53
	s_add_i32 s24, s24, s3
	s_mul_i32 s2, s2, s53
	s_add_u32 s2, s2, s52
	s_addc_u32 s3, s24, s55
	s_lshl_b64 s[2:3], s[2:3], 8
	s_add_u32 s24, s4, s2
	s_addc_u32 s25, s5, s3
.LBB480_10:                             ;   in Loop: Header=BB480_6 Depth=1
	v_perm_b32 v3, v53, v52, s62
	v_perm_b32 v2, v51, v50, s62
	;; [unrolled: 1-line block ×4, first 2 shown]
	ds_write_b64 v73, v[2:3]
	ds_write_b64 v74, v[4:5]
	;; [unrolled: 1-line block ×4, first 2 shown]
	v_perm_b32 v3, v113, v86, s62
	v_perm_b32 v2, v84, v85, s62
	;; [unrolled: 1-line block ×4, first 2 shown]
	ds_write_b64 v75, v[2:3]
	ds_write_b64 v76, v[4:5]
	ds_write_b64 v79, v[2:3]
	ds_write_b64 v80, v[4:5]
	s_waitcnt lgkmcnt(0)
	s_barrier
	ds_read_b64 v[6:7], v87 offset:24576
	ds_read2_b64 v[2:5], v88 offset1:16
	ds_read_b64 v[10:11], v90 offset:3072
	ds_read_b64 v[12:13], v88 offset:3072
	;; [unrolled: 1-line block ×3, first 2 shown]
	s_waitcnt lgkmcnt(3)
	v_mfma_f32_16x16x16_bf16 a[0:3], v[6:7], v[2:3], 0
	s_add_i32 s2, s58, 63
	s_mul_i32 s3, s2, s29
	s_mul_hi_u32 s27, s2, s28
	v_mfma_f32_16x16x16_bf16 a[4:7], v[6:7], v[4:5], 0
	ds_read2st64_b64 v[2:5], v88 offset0:2 offset1:4
	ds_read2st64_b64 v[6:9], v90 offset0:2 offset1:4
	s_add_i32 s3, s27, s3
	s_waitcnt lgkmcnt(1)
	v_mfma_f32_16x16x16_bf16 a[0:3], v[14:15], v[2:3], a[0:3]
	s_mul_i32 s2, s2, s28
	s_lshl_b64 s[2:3], s[2:3], 2
	s_add_u32 s2, s42, s2
	s_waitcnt lgkmcnt(0)
	v_mfma_f32_16x16x16_bf16 a[4:7], v[14:15], v[6:7], a[4:7]
	ds_read_b64 v[2:3], v91 offset:24576
	ds_read_b64 v[6:7], v92 offset:24576
	s_addc_u32 s3, s43, s3
	s_and_b64 vcc, exec, s[0:1]
	s_waitcnt lgkmcnt(1)
	v_mfma_f32_16x16x16_bf16 a[0:3], v[2:3], v[4:5], a[0:3]
	v_mov_b32_e32 v116, 0
	v_mov_b32_e32 v115, 0
	;; [unrolled: 1-line block ×3, first 2 shown]
	v_mfma_f32_16x16x16_bf16 a[4:7], v[2:3], v[8:9], a[4:7]
	v_mov_b32_e32 v2, 0
	v_mov_b32_e32 v3, 0
	;; [unrolled: 1-line block ×3, first 2 shown]
	s_waitcnt lgkmcnt(0)
	v_mfma_f32_16x16x16_bf16 a[0:3], v[6:7], v[12:13], a[0:3]
	v_mov_b32_e32 v5, 0
	v_mov_b32_e32 v8, 0
	;; [unrolled: 1-line block ×3, first 2 shown]
	v_mfma_f32_16x16x16_bf16 a[4:7], v[6:7], v[10:11], a[4:7]
	v_mov_b32_e32 v6, 0
	v_mov_b32_e32 v7, 0
	v_mov_b32_e32 v10, 0
	v_mov_b32_e32 v11, 0
	v_mov_b32_e32 v12, 0
	v_mov_b32_e32 v13, 0
	v_mov_b32_e32 v14, 0
	v_mov_b32_e32 v15, 0
	v_mov_b32_e32 v16, 0
	v_mov_b32_e32 v17, 0
	s_cbranch_vccnz .LBB480_12
; %bb.11:                               ;   in Loop: Header=BB480_6 Depth=1
	s_and_b32 s21, s21, 0xffff
	buffer_load_dwordx4 v[14:17], v69, s[20:23], 0 offen
	buffer_load_dwordx4 v[10:13], v69, s[20:23], s56 offen
	;; [unrolled: 1-line block ×4, first 2 shown]
	v_mov_b32_e32 v115, v71
	v_mov_b32_e32 v114, v72
.LBB480_12:                             ;   in Loop: Header=BB480_6 Depth=1
	ds_read_b64 v[22:23], v87 offset:32768
	ds_read2_b64 v[18:21], v93 offset1:16
	ds_read_b64 v[26:27], v89 offset:32768
	ds_read_b64 v[28:29], v91 offset:32768
	;; [unrolled: 1-line block ×3, first 2 shown]
	v_add_u32_e32 v32, s58, v100
	s_waitcnt lgkmcnt(3)
	v_mfma_f32_16x16x16_bf16 a[0:3], v[22:23], v[18:19], a[0:3]
	v_mul_lo_u32 v33, v32, s29
	v_mov_b32_e32 v117, 0
	v_mfma_f32_16x16x16_bf16 a[4:7], v[22:23], v[20:21], a[4:7]
	ds_read2st64_b64 v[18:21], v93 offset0:2 offset1:4
	ds_read2st64_b64 v[22:25], v94 offset0:2 offset1:4
	s_waitcnt lgkmcnt(1)
	v_mfma_f32_16x16x16_bf16 a[0:3], v[26:27], v[18:19], a[0:3]
	v_ashrrev_i32_e32 v18, 31, v32
	v_mul_lo_u32 v34, v18, s28
	v_mad_u64_u32 v[18:19], s[20:21], v32, s28, 0
	v_mfma_f32_16x16x16_bf16 a[0:3], v[28:29], v[20:21], a[0:3]
	v_add_u32_e32 v20, 1, v32
	v_ashrrev_i32_e32 v21, 31, v20
	v_add3_u32 v19, v19, v33, v34
	s_waitcnt lgkmcnt(0)
	v_mfma_f32_16x16x16_bf16 a[4:7], v[26:27], v[22:23], a[4:7]
	v_mul_lo_u32 v22, v21, s28
	v_mul_lo_u32 v23, v20, s29
	v_mad_u64_u32 v[20:21], s[20:21], v20, s28, 0
	v_add3_u32 v21, v21, v23, v22
	v_add_u32_e32 v22, 2, v32
	v_ashrrev_i32_e32 v23, 31, v22
	v_mul_lo_u32 v26, v23, s28
	v_mul_lo_u32 v27, v22, s29
	v_mad_u64_u32 v[22:23], s[20:21], v22, s28, 0
	v_add3_u32 v23, v23, v27, v26
	v_add_u32_e32 v26, 3, v32
	v_ashrrev_i32_e32 v27, 31, v26
	v_mul_lo_u32 v32, v27, s28
	v_mul_lo_u32 v33, v26, s29
	v_mad_u64_u32 v[26:27], s[20:21], v26, s28, 0
	s_add_u32 s20, s38, s58
	s_addc_u32 s21, s39, 0
	s_lshl_b64 s[20:21], s[20:21], 8
	v_lshl_add_u64 v[18:19], v[18:19], 2, s[42:43]
	v_lshl_add_u64 v[20:21], v[20:21], 2, s[42:43]
	v_add3_u32 v27, v27, v33, v32
	v_lshl_add_u64 v[32:33], v[56:57], 0, s[20:21]
	v_lshl_add_u64 v[22:23], v[22:23], 2, s[42:43]
	;; [unrolled: 1-line block ×3, first 2 shown]
	global_load_dword v34, v[18:19], off
	global_load_ushort v35, v[32:33], off offset:256
	global_load_ushort v36, v[32:33], off
	global_load_ushort v37, v[32:33], off offset:768
	global_load_ushort v38, v[32:33], off offset:512
	v_lshl_add_u64 v[18:19], v[26:27], 2, s[42:43]
	global_load_dword v39, v[20:21], off
	global_load_dword v40, v[22:23], off
	;; [unrolled: 1-line block ×3, first 2 shown]
	ds_read_b64 v[18:19], v93 offset:3072
	ds_read_b64 v[20:21], v94 offset:3072
	global_load_ushort v42, v[32:33], off offset:800
	global_load_ushort v43, v[32:33], off offset:544
	;; [unrolled: 1-line block ×3, first 2 shown]
	s_nop 0
	global_load_ushort v32, v[32:33], off offset:32
	s_load_dword s2, s[2:3], 0x0
	v_mfma_f32_16x16x16_bf16 a[4:7], v[28:29], v[24:25], a[4:7]
	s_and_b64 vcc, exec, s[0:1]
	v_mov_b32_e32 v33, 0
	s_waitcnt vmcnt(11) lgkmcnt(0)
	v_sub_f32_e32 v28, s2, v34
	v_mfma_f32_16x16x16_bf16 a[0:3], v[30:31], v[18:19], a[0:3]
	v_mul_f32_e32 v28, 0x3fb8aa3b, v28
	v_exp_f32_e32 v28, v28
	s_waitcnt vmcnt(6)
	v_sub_f32_e32 v29, s2, v39
	v_mfma_f32_16x16x16_bf16 a[4:7], v[30:31], v[20:21], a[4:7]
	s_waitcnt vmcnt(5)
	v_sub_f32_e32 v30, s2, v40
	s_waitcnt vmcnt(4)
	v_sub_f32_e32 v31, s2, v41
	v_mul_f32_e32 v29, 0x3fb8aa3b, v29
	v_mul_f32_e32 v30, 0x3fb8aa3b, v30
	;; [unrolled: 1-line block ×3, first 2 shown]
	v_exp_f32_e32 v29, v29
	v_exp_f32_e32 v30, v30
	v_exp_f32_e32 v31, v31
	v_accvgpr_read_b32 v23, a1
	v_accvgpr_read_b32 v19, a3
	;; [unrolled: 1-line block ×4, first 2 shown]
	v_lshlrev_b32_e32 v25, 16, v35
	v_lshlrev_b32_e32 v24, 16, v36
	;; [unrolled: 1-line block ×4, first 2 shown]
	v_pk_add_f32 v[22:23], v[24:25], v[22:23] neg_lo:[0,1] neg_hi:[0,1]
	v_pk_add_f32 v[18:19], v[26:27], v[18:19] neg_lo:[0,1] neg_hi:[0,1]
	v_pk_mul_f32 v[22:23], v[28:29], v[22:23]
	v_pk_mul_f32 v[18:19], v[30:31], v[18:19]
	v_accvgpr_read_b32 v25, a5
	v_perm_b32 v19, v19, v18, s62
	v_perm_b32 v18, v23, v22, s62
	s_waitcnt vmcnt(1)
	v_lshlrev_b32_e32 v23, 16, v44
	s_waitcnt vmcnt(0)
	v_lshlrev_b32_e32 v22, 16, v32
	v_accvgpr_read_b32 v24, a4
	v_accvgpr_read_b32 v21, a7
	;; [unrolled: 1-line block ×3, first 2 shown]
	v_pk_add_f32 v[22:23], v[22:23], v[24:25] neg_lo:[0,1] neg_hi:[0,1]
	v_lshlrev_b32_e32 v25, 16, v42
	v_lshlrev_b32_e32 v24, 16, v43
	v_pk_add_f32 v[20:21], v[24:25], v[20:21] neg_lo:[0,1] neg_hi:[0,1]
	v_pk_mul_f32 v[22:23], v[28:29], v[22:23]
	v_pk_mul_f32 v[20:21], v[30:31], v[20:21]
	v_mov_b32_e32 v24, 0
	v_perm_b32 v21, v21, v20, s62
	v_perm_b32 v20, v23, v22, s62
	ds_write2_b64 v74, v[18:19], v[20:21] offset1:16
	v_mov_b32_e32 v18, 0
	v_mov_b32_e32 v19, 0
	;; [unrolled: 1-line block ×14, first 2 shown]
	s_cbranch_vccnz .LBB480_14
; %bb.13:                               ;   in Loop: Header=BB480_6 Depth=1
	s_and_b32 s25, s25, 0xffff
	s_mov_b32 s27, s23
	buffer_load_dwordx4 v[30:33], v98, s[24:27], 0 offen
	buffer_load_dwordx4 v[22:25], v98, s[24:27], s56 offen
	;; [unrolled: 1-line block ×4, first 2 shown]
	v_mov_b32_e32 v116, v68
	v_mov_b32_e32 v117, v67
.LBB480_14:                             ;   in Loop: Header=BB480_6 Depth=1
	s_waitcnt lgkmcnt(0)
	s_barrier
	ds_read_b64 v[38:39], v102
	ds_read_b64 v[122:123], v97
	;; [unrolled: 1-line block ×5, first 2 shown]
	ds_read_b64 v[136:137], v94 offset:3072
	ds_read2_b64 v[34:37], v93 offset0:16 offset1:128
	s_waitcnt lgkmcnt(5)
	v_mfma_f32_16x16x16_bf16 a[0:3], v[38:39], v[122:123], 0
	ds_read2st64_b64 v[40:43], v94 offset0:2 offset1:4
	s_add_i32 s3, s50, s64
	s_mul_hi_i32 s21, s3, s13
	s_waitcnt lgkmcnt(1)
	v_mfma_f32_16x16x16_bf16 a[4:7], v[38:39], v[34:35], 0
	ds_read_b64 v[38:39], v107
	s_mul_i32 s3, s3, s13
	s_add_u32 s20, s3, s33
	s_waitcnt lgkmcnt(1)
	v_mfma_f32_16x16x16_bf16 a[4:7], v[124:125], v[40:41], a[4:7]
	s_addc_u32 s21, s21, s54
	s_add_i32 s3, s31, s58
	s_lshl_b64 s[20:21], s[20:21], 15
	s_mul_hi_i32 s25, s3, s13
	s_mul_i32 s3, s3, s13
	s_add_u32 s24, s3, s33
	v_mfma_f32_16x16x16_bf16 a[8:11], v[126:127], v[42:43], a[4:7]
	s_addc_u32 s25, s25, s54
	ds_read2st64_b64 v[118:121], v93 offset0:4 offset1:6
	s_lshl_b64 s[24:25], s[24:25], 9
	s_waitcnt lgkmcnt(1)
	v_mfma_f32_16x16x16_bf16 a[4:7], v[38:39], v[122:123], 0
	s_add_u32 s24, s40, s24
	s_addc_u32 s25, s41, s25
	v_mfma_f32_16x16x16_bf16 a[0:3], v[124:125], v[36:37], a[0:3]
	ds_read_b64 v[124:125], v108
	ds_read_b64 v[132:133], v109
	;; [unrolled: 1-line block ×3, first 2 shown]
	v_mfma_f32_16x16x16_bf16 a[12:15], v[38:39], v[34:35], 0
	s_waitcnt lgkmcnt(2)
	v_mfma_f32_16x16x16_bf16 a[4:7], v[124:125], v[36:37], a[4:7]
	global_load_dwordx4 v[34:37], v106, s[24:25]
	v_mfma_f32_16x16x16_bf16 a[12:15], v[124:125], v[40:41], a[12:15]
	global_load_dwordx4 v[38:41], v101, s[24:25]
	ds_read2st64_b64 v[122:125], v95 offset1:8
	s_waitcnt lgkmcnt(0)
	v_mov_b32_e32 v130, v122
	v_mfma_f32_16x16x16_bf16 a[0:3], v[126:127], v[118:119], a[0:3]
	ds_read2st64_b64 v[126:129], v96 offset1:8
	v_mov_b32_e32 v131, v123
	v_mfma_f32_16x16x16_bf16 a[16:19], v[132:133], v[118:119], a[4:7]
	v_lshl_add_u64 v[118:119], v[58:59], 0, s[20:21]
	v_mfma_f32_16x16x16_bf16 a[20:23], v[132:133], v[42:43], a[12:15]
	v_add_co_u32_e32 v42, vcc, s35, v118
	s_waitcnt lgkmcnt(0)
	v_mov_b32_e32 v132, v126
	v_mfma_f32_16x16x16_bf16 a[4:7], v[134:135], v[120:121], a[0:3]
	v_mov_b32_e32 v133, v127
	v_mov_b32_e32 v126, v124
	;; [unrolled: 1-line block ×3, first 2 shown]
	v_mfma_f32_16x16x16_bf16 a[8:11], v[134:135], v[136:137], a[8:11]
	v_addc_co_u32_e32 v43, vcc, 0, v119, vcc
	global_store_dwordx4 v[42:43], v[126:129], off
	v_mfma_f32_16x16x16_bf16 a[12:15], v[138:139], v[120:121], a[16:19]
	s_and_b64 vcc, exec, s[0:1]
	global_store_dwordx4 v[118:119], v[130:133], off
	s_waitcnt vmcnt(3)
	v_mov_b32_e32 v44, v37
	v_mfma_f32_16x16x16_bf16 a[0:3], v[138:139], v[136:137], a[20:23]
	v_mov_b32_e32 v43, v36
	v_mov_b32_e32 v42, v35
	s_cbranch_vccnz .LBB480_16
; %bb.15:                               ;   in Loop: Header=BB480_6 Depth=1
	v_lshrrev_b32_e32 v35, 3, v116
	v_and_b32_e32 v35, 6, v35
	v_xor_b32_e32 v36, v35, v117
	v_lshlrev_b32_e32 v36, 2, v36
	v_and_b32_e32 v37, 8, v116
	v_xor_b32_e32 v116, 0x440, v36
	v_cmp_eq_u32_e32 vcc, 0, v37
	v_perm_b32 v37, v22, v18, s59
	s_nop 0
	v_cndmask_b32_e32 v36, v116, v36, vcc
	v_lshl_or_b32 v35, v35, 10, v36
	v_perm_b32 v36, v30, v26, s59
	s_barrier
	ds_write2st64_b32 v35, v36, v37 offset0:32 offset1:64
	v_xor_b32_e32 v36, 8, v35
	v_perm_b32 v26, v30, v26, s60
	v_perm_b32 v18, v22, v18, s60
	v_add_u32_e32 v22, 0x80, v36
	ds_write2st64_b32 v22, v26, v18 offset0:32 offset1:64
	v_xor_b32_e32 v18, 16, v35
	v_perm_b32 v22, v31, v27, s59
	v_perm_b32 v26, v23, v19, s59
	ds_write2st64_b32 v18, v22, v26 offset0:33 offset1:65
	v_xor_b32_e32 v18, 24, v35
	v_perm_b32 v22, v31, v27, s60
	v_perm_b32 v19, v23, v19, s60
	v_add_u32_e32 v18, 0x80, v18
	ds_write2st64_b32 v18, v22, v19 offset0:33 offset1:65
	v_xor_b32_e32 v18, 32, v35
	v_perm_b32 v19, v32, v28, s59
	v_perm_b32 v22, v24, v20, s59
	;; [unrolled: 9-line block ×3, first 2 shown]
	ds_write2st64_b32 v18, v19, v20 offset0:35 offset1:67
	v_xor_b32_e32 v18, 56, v35
	v_perm_b32 v19, v33, v29, s60
	v_perm_b32 v20, v25, v21, s60
	v_add_u32_e32 v18, 0x80, v18
	ds_write2st64_b32 v18, v19, v20 offset0:35 offset1:67
	ds_write_b64 v115, v[14:15] offset:24576
	v_xor_b32_e32 v14, 8, v115
	ds_write_b64 v14, v[16:17] offset:24576
	ds_write_b64 v115, v[10:11] offset:32768
	;; [unrolled: 1-line block ×4, first 2 shown]
	v_xor_b32_e32 v6, 8, v114
	ds_write_b64 v6, v[8:9] offset:24576
	ds_write_b64 v114, v[2:3] offset:32768
	;; [unrolled: 1-line block ×3, first 2 shown]
.LBB480_16:                             ;   in Loop: Header=BB480_6 Depth=1
	v_mul_f32_e32 v2, s2, v111
	v_exp_f32_e32 v18, v2
	s_waitcnt vmcnt(2)
	v_mul_f32_e32 v2, 0x3fb8aa3b, v38
	v_exp_f32_e32 v20, v2
	v_mul_f32_e32 v2, 0x3fb8aa3b, v39
	v_exp_f32_e32 v21, v2
	;; [unrolled: 2-line block ×4, first 2 shown]
	v_accvgpr_read_b32 v13, a7
	v_accvgpr_read_b32 v11, a5
	;; [unrolled: 1-line block ×4, first 2 shown]
	v_pk_mul_f32 v[20:21], v[18:19], v[20:21] op_sel_hi:[0,1]
	v_accvgpr_read_b32 v8, a10
	v_pk_fma_f32 v[50:51], v[50:51], v[20:21], v[10:11]
	v_pk_mul_f32 v[10:11], v[18:19], v[22:23] op_sel_hi:[0,1]
	v_accvgpr_read_b32 v12, a6
	v_accvgpr_read_b32 v7, a9
	v_fma_f32 v86, v86, v10, v8
	v_mul_f32_e32 v8, 0x3fb8aa3b, v43
	v_pk_fma_f32 v[52:53], v[52:53], v[10:11], v[12:13]
	v_fma_f32 v85, v85, v20, v6
	v_fma_f32 v84, v84, v21, v7
	v_mul_f32_e32 v6, 0x3fb8aa3b, v34
	v_mul_f32_e32 v7, 0x3fb8aa3b, v42
	v_exp_f32_e32 v12, v8
	v_mul_f32_e32 v8, 0x3fb8aa3b, v44
	v_exp_f32_e32 v6, v6
	v_exp_f32_e32 v7, v7
	;; [unrolled: 1-line block ×3, first 2 shown]
	v_accvgpr_read_b32 v9, a11
	v_accvgpr_read_b32 v17, a15
	;; [unrolled: 1-line block ×9, first 2 shown]
	v_fmac_f32_e32 v9, v113, v11
	v_pk_mul_f32 v[6:7], v[18:19], v[6:7] op_sel_hi:[0,1]
	v_pk_mul_f32 v[10:11], v[18:19], v[12:13] op_sel_hi:[0,1]
	s_add_i32 s58, s58, 64
	v_pk_fma_f32 v[46:47], v[46:47], v[6:7], v[14:15]
	v_pk_fma_f32 v[48:49], v[48:49], v[10:11], v[16:17]
	v_fma_f32 v82, v82, v6, v2
	v_fma_f32 v81, v81, v7, v3
	;; [unrolled: 1-line block ×3, first 2 shown]
	s_cmp_eq_u32 s47, s63
	v_fmac_f32_e32 v5, v112, v11
	s_cbranch_scc1 .LBB480_18
; %bb.17:                               ;   in Loop: Header=BB480_6 Depth=1
	s_mov_b32 s64, s63
	v_mov_b32_e32 v113, v9
	v_mov_b32_e32 v112, v5
	s_branch .LBB480_6
.LBB480_18:
	s_lshl_b32 s40, s47, 6
	s_sub_i32 s41, s12, s40
	s_cmp_gt_i32 s41, 0
	s_cbranch_scc0 .LBB480_83
; %bb.19:
	s_ashr_i32 s35, s48, 31
	s_ashr_i32 s2, s40, 31
	s_cmpk_lg_i32 s15, 0x80
	s_cselect_b64 s[26:27], -1, 0
	s_and_b64 vcc, exec, s[26:27]
	s_cbranch_vccz .LBB480_21
; %bb.20:
	s_mul_i32 s1, s48, s12
	s_mul_hi_i32 s0, s48, s12
	s_add_u32 s1, s1, s40
	s_addc_u32 s0, s0, s2
	s_mul_i32 s3, s1, s49
	s_mul_hi_u32 s20, s1, s14
	s_add_i32 s3, s20, s3
	s_mul_i32 s0, s0, s14
	s_add_i32 s3, s3, s0
	s_mul_i32 s1, s1, s14
	s_ashr_i32 s0, s52, 31
	s_add_u32 s38, s1, s52
	s_addc_u32 s39, s3, s0
	s_cbranch_execz .LBB480_22
	s_branch .LBB480_23
.LBB480_21:
                                        ; implicit-def: $sgpr38_sgpr39
.LBB480_22:
	s_mul_hi_i32 s0, s48, s14
	s_mul_i32 s48, s48, s14
	s_ashr_i32 s1, s52, 31
	s_add_u32 s3, s48, s52
	s_addc_u32 s0, s0, s1
	s_mul_i32 s1, s3, s46
	s_mul_hi_u32 s14, s3, s12
	s_add_i32 s1, s14, s1
	s_mul_i32 s0, s0, s12
	s_add_i32 s1, s1, s0
	s_mul_i32 s3, s3, s12
	s_add_u32 s38, s3, s40
	s_addc_u32 s39, s1, s2
.LBB480_23:
	s_add_i32 s3, s50, s47
	s_ashr_i32 s14, s33, 31
	s_add_u32 s0, s45, s33
	s_addc_u32 s1, s51, s14
	s_mul_i32 s20, s0, s46
	s_mul_hi_u32 s21, s0, s12
	s_add_i32 s20, s21, s20
	s_mul_i32 s1, s1, s12
	s_add_i32 s20, s20, s1
	s_mul_i32 s0, s0, s12
	s_add_u32 s0, s0, s40
	v_lshlrev_b32_e32 v8, 5, v65
	v_lshlrev_b32_e32 v22, 2, v45
	s_addc_u32 s1, s20, s2
	s_mov_b32 s2, 0x7060302
	v_or_b32_e32 v11, v8, v22
	v_xor_b32_e32 v4, v65, v22
	v_perm_b32 v3, v53, v52, s2
	v_perm_b32 v2, v51, v50, s2
	v_perm_b32 v7, v49, v48, s2
	v_perm_b32 v6, v47, v46, s2
	v_lshlrev_b32_e32 v11, 1, v11
	s_lshl_b64 s[24:25], s[0:1], 8
	v_xor_b32_e32 v10, v66, v22
	ds_write2st64_b64 v11, v[2:3], v[6:7] offset0:80 offset1:88
	v_lshlrev_b32_e32 v11, 1, v4
	v_lshlrev_b32_e32 v4, 8, v45
	s_add_u32 s0, s6, s24
	v_or_b32_e32 v12, v11, v4
	v_lshlrev_b32_e32 v10, 1, v10
	s_addc_u32 s1, s7, s25
	ds_write_b64 v12, v[2:3]
	v_or_b32_e32 v2, v10, v4
	s_mul_hi_i32 s6, s3, s13
	s_mul_i32 s3, s3, s13
	ds_write_b64 v2, v[6:7]
	v_perm_b32 v3, v9, v86, s2
	v_perm_b32 v2, v84, v85, s2
	;; [unrolled: 1-line block ×4, first 2 shown]
	v_or_b32_e32 v6, 16, v45
	s_add_u32 s2, s3, s33
	v_lshlrev_b32_e32 v19, 2, v6
	s_addc_u32 s3, s6, s14
	v_or_b32_e32 v7, v8, v19
	s_ashr_i32 s31, s30, 31
	s_lshl_b64 s[2:3], s[2:3], 15
	v_lshlrev_b32_e32 v7, 1, v7
	v_lshlrev_b32_e32 v6, 8, v6
	s_add_u32 s6, s36, s2
	ds_write2st64_b64 v7, v[2:3], v[4:5] offset0:80 offset1:88
	v_or_b32_e32 v7, v11, v6
	s_addc_u32 s7, s37, s3
	s_lshl_b64 s[2:3], s[30:31], 8
	ds_write_b64 v7, v[2:3]
	v_or_b32_e32 v2, v10, v6
	s_add_u32 s2, s6, s2
	ds_write_b64 v2, v[4:5]
	v_lshrrev_b32_e32 v2, 4, v0
	s_addc_u32 s3, s7, s3
	v_lshlrev_b32_e32 v3, 1, v45
	v_lshlrev_b32_e32 v10, 4, v45
	v_mov_b32_e32 v11, 0
	v_or_b32_e32 v4, 1, v3
	v_xor_b32_e32 v3, v2, v3
	v_lshl_add_u64 v[12:13], s[2:3], 0, v[10:11]
	v_lshlrev_b32_e32 v10, 8, v2
	v_xor_b32_e32 v6, v4, v2
	v_lshl_or_b32 v2, v3, 3, v10
	s_waitcnt lgkmcnt(0)
	s_barrier
	ds_read2st64_b64 v[2:5], v2 offset1:8
	v_lshl_or_b32 v6, v6, 3, v10
	ds_read2st64_b64 v[6:9], v6 offset1:8
	v_lshl_add_u64 v[14:15], v[12:13], 0, v[10:11]
	s_movk_i32 s2, 0x1000
	s_waitcnt lgkmcnt(1)
	v_mov_b32_e32 v10, v2
	v_add_co_u32_e32 v2, vcc, s2, v14
	s_cmp_lg_u32 s41, 64
	v_mov_b32_e32 v11, v3
	v_addc_co_u32_e32 v3, vcc, 0, v15, vcc
	s_cselect_b64 s[6:7], -1, 0
	v_lshl_or_b32 v23, v61, 3, v64
	s_waitcnt lgkmcnt(0)
	v_mov_b32_e32 v12, v6
	v_mov_b32_e32 v13, v7
	;; [unrolled: 1-line block ×4, first 2 shown]
	s_mov_b32 s20, 0
	v_or_b32_e32 v20, 32, v23
	v_and_b32_e32 v18, 56, v63
	s_and_b64 vcc, exec, s[6:7]
	global_store_dwordx4 v[14:15], v[10:13], off
	global_store_dwordx4 v[2:3], v[6:9], off
	s_cbranch_vccz .LBB480_29
; %bb.24:
	s_mov_b32 s21, s20
	s_mov_b32 s22, s20
	;; [unrolled: 1-line block ×3, first 2 shown]
	v_mov_b64_e32 v[6:7], s[20:21]
	v_mov_b64_e32 v[8:9], s[22:23]
	;; [unrolled: 1-line block ×3, first 2 shown]
	v_cmp_gt_i32_e32 vcc, s41, v23
	v_mov_b64_e32 v[4:5], v[8:9]
	s_and_saveexec_b64 s[2:3], vcc
	s_cbranch_execz .LBB480_26
; %bb.25:
	v_lshlrev_b32_e32 v2, 8, v23
	v_mov_b32_e32 v3, 0
	v_lshl_add_u64 v[4:5], s[0:1], 0, v[2:3]
	v_lshlrev_b32_e32 v2, 1, v18
	v_lshl_add_u64 v[10:11], v[4:5], 0, v[2:3]
	global_load_dwordx4 v[6:9], v[10:11], off
	global_load_dwordx4 v[2:5], v[10:11], off offset:128
.LBB480_26:
	s_or_b64 exec, exec, s[2:3]
	s_mov_b32 s21, s20
	s_mov_b32 s22, s20
	;; [unrolled: 1-line block ×3, first 2 shown]
	v_mov_b64_e32 v[14:15], s[20:21]
	v_mov_b64_e32 v[16:17], s[22:23]
	;; [unrolled: 1-line block ×3, first 2 shown]
	v_cmp_gt_i32_e32 vcc, s41, v20
	v_lshlrev_b32_e32 v21, 7, v20
	v_mov_b64_e32 v[12:13], v[16:17]
	s_and_saveexec_b64 s[2:3], vcc
	s_cbranch_execz .LBB480_28
; %bb.27:
	v_lshlrev_b32_e32 v10, 1, v21
	v_mov_b32_e32 v11, 0
	v_lshl_add_u64 v[12:13], s[0:1], 0, v[10:11]
	v_lshlrev_b32_e32 v10, 1, v18
	v_lshl_add_u64 v[24:25], v[12:13], 0, v[10:11]
	global_load_dwordx4 v[14:17], v[24:25], off
	global_load_dwordx4 v[10:13], v[24:25], off offset:128
.LBB480_28:
	s_or_b64 exec, exec, s[2:3]
	v_lshrrev_b32_e32 v24, 3, v18
	v_lshlrev_b32_e32 v25, 3, v23
	v_or_b32_e32 v24, v25, v24
	v_lshlrev_b32_e32 v24, 4, v24
	v_and_b32_e32 v25, 0x78, v25
	v_xor_b32_e32 v24, v24, v25
	s_branch .LBB480_31
.LBB480_29:
                                        ; implicit-def: $vgpr24
                                        ; implicit-def: $vgpr21
                                        ; implicit-def: $vgpr6_vgpr7_vgpr8_vgpr9
                                        ; implicit-def: $vgpr2_vgpr3_vgpr4_vgpr5
                                        ; implicit-def: $vgpr14_vgpr15_vgpr16_vgpr17
                                        ; implicit-def: $vgpr10_vgpr11_vgpr12_vgpr13
	s_cbranch_execz .LBB480_31
; %bb.30:
	s_waitcnt vmcnt(0)
	v_lshlrev_b32_e32 v2, 1, v18
	v_lshl_or_b32 v21, v23, 8, v2
	s_and_b32 s1, s1, 0xffff
	s_mov_b32 s3, 0x20000
	s_movk_i32 s2, 0x4000
	v_lshl_or_b32 v24, v20, 8, v2
	s_movk_i32 s13, 0x80
	buffer_load_dwordx4 v[6:9], v21, s[0:3], 0 offen
	buffer_load_dwordx4 v[2:5], v21, s[0:3], s13 offen
	;; [unrolled: 1-line block ×4, first 2 shown]
	v_lshrrev_b32_e32 v21, 3, v18
	v_lshlrev_b32_e32 v24, 3, v23
	v_or_b32_e32 v21, v24, v21
	v_lshlrev_b32_e32 v21, 4, v21
	v_and_b32_e32 v24, 0x78, v24
	v_xor_b32_e32 v24, v21, v24
	v_lshlrev_b32_e32 v21, 7, v20
.LBB480_31:
	s_lshl_b64 s[0:1], s[38:39], 8
	s_add_u32 s4, s4, s0
	s_movk_i32 s0, 0x1000
	v_and_or_b32 v20, v21, s0, v24
	s_waitcnt vmcnt(1)
	ds_write_b64 v24, v[6:7] offset:24576
	v_xor_b32_e32 v6, 8, v24
	ds_write_b64 v6, v[8:9] offset:24576
	s_waitcnt vmcnt(0)
	ds_write_b64 v24, v[2:3] offset:32768
	ds_write_b64 v6, v[4:5] offset:32768
	;; [unrolled: 1-line block ×3, first 2 shown]
	v_xor_b32_e32 v2, 8, v20
	ds_write_b64 v2, v[16:17] offset:24576
	ds_write_b64 v20, v[10:11] offset:32768
	;; [unrolled: 1-line block ×3, first 2 shown]
	v_or_b32_e32 v2, v1, v45
	v_lshlrev_b32_e32 v3, 11, v61
	v_lshlrev_b32_e32 v2, 3, v2
	v_and_b32_e32 v6, 0x1000, v3
	v_lshrrev_b32_e32 v3, 5, v60
	s_movk_i32 s13, 0xf8
	v_and_or_b32 v3, v2, s13, v3
	v_lshlrev_b32_e32 v7, 4, v3
	v_and_b32_e32 v8, 0x78, v2
	v_or_b32_e32 v10, 32, v7
	v_lshrrev_b32_e32 v3, 1, v60
	v_xor_b32_e32 v10, v10, v8
	v_xor_b32_e32 v2, v7, v8
	v_and_b32_e32 v9, 8, v3
	v_or_b32_e32 v10, v10, v6
	v_or_b32_e32 v2, v2, v6
	v_xor_b32_e32 v26, v10, v9
	v_or_b32_e32 v10, 64, v7
	v_xor_b32_e32 v25, v2, v9
	v_xor_b32_e32 v10, v10, v8
	s_waitcnt lgkmcnt(0)
	s_barrier
	v_or_b32_e32 v12, v10, v6
	ds_read_b64 v[10:11], v25 offset:24576
	v_lshl_or_b32 v20, v62, 7, v22
	v_lshlrev_b32_e32 v24, 1, v20
	v_add_u32_e32 v2, 0xa000, v24
	ds_read2_b64 v[2:5], v2 offset1:16
	v_or_b32_e32 v7, 0x60, v7
	v_xor_b32_e32 v7, v7, v8
	s_waitcnt lgkmcnt(0)
	v_mfma_f32_16x16x16_bf16 a[0:3], v[10:11], v[2:3], 0
	v_or_b32_e32 v2, 64, v20
	v_or_b32_e32 v6, v7, v6
	v_lshlrev_b32_e32 v29, 1, v2
	v_xor_b32_e32 v27, v12, v9
	v_xor_b32_e32 v28, v6, v9
	ds_read_b64 v[12:13], v26 offset:24576
	ds_read_b64 v[14:15], v27 offset:24576
	;; [unrolled: 1-line block ×3, first 2 shown]
	v_mfma_f32_16x16x16_bf16 a[4:7], v[10:11], v[4:5], 0
	ds_read2st64_b64 v[2:5], v29 offset0:82 offset1:84
	ds_read2st64_b64 v[6:9], v24 offset0:82 offset1:84
	s_addc_u32 s5, s5, s1
	s_add_i32 s2, s12, -1
	s_add_i32 s0, s44, s17
	s_mul_i32 s35, s35, s16
	s_add_i32 s35, s0, s35
	s_mul_i32 s0, s33, s19
	s_mul_hi_u32 s1, s33, s18
	s_ashr_i32 s3, s2, 31
	s_mul_i32 s12, s2, s29
	s_mul_hi_u32 s13, s2, s28
	s_add_i32 s0, s1, s0
	s_mul_i32 s1, s14, s18
	s_add_i32 s12, s13, s12
	s_mul_i32 s3, s3, s28
	s_waitcnt lgkmcnt(1)
	v_mfma_f32_16x16x16_bf16 a[4:7], v[12:13], v[2:3], a[4:7]
	s_add_i32 s1, s0, s1
	s_add_i32 s3, s12, s3
	s_lshl_b64 s[12:13], s[34:35], 2
	s_waitcnt lgkmcnt(0)
	v_mfma_f32_16x16x16_bf16 a[0:3], v[12:13], v[6:7], a[0:3]
	s_mul_i32 s0, s33, s18
	s_add_u32 s10, s10, s12
	s_addc_u32 s11, s11, s13
	s_lshl_b64 s[0:1], s[0:1], 2
	s_mul_i32 s2, s2, s28
	s_add_u32 s10, s10, s0
	ds_read_b64 v[2:3], v24 offset:44032
	v_mfma_f32_16x16x16_bf16 a[4:7], v[14:15], v[4:5], a[4:7]
	ds_read_b64 v[4:5], v29 offset:44032
	s_addc_u32 s11, s11, s1
	s_lshl_b64 s[0:1], s[2:3], 2
	v_mfma_f32_16x16x16_bf16 a[0:3], v[14:15], v[8:9], a[0:3]
	s_add_u32 s0, s10, s0
	s_addc_u32 s1, s11, s1
	s_load_dword s12, s[0:1], 0x0
	s_waitcnt lgkmcnt(0)
	v_mfma_f32_16x16x16_bf16 a[0:3], v[16:17], v[2:3], a[0:3]
	s_and_b64 vcc, exec, s[26:27]
	v_mfma_f32_16x16x16_bf16 a[4:7], v[16:17], v[4:5], a[4:7]
	s_cbranch_vccz .LBB480_42
; %bb.32:
	v_lshlrev_b32_e32 v20, 1, v23
	s_and_b64 vcc, exec, s[6:7]
	s_cbranch_vccz .LBB480_43
; %bb.33:
	v_cmp_gt_i32_e32 vcc, s41, v20
	v_mov_b32_e32 v6, 0
	v_mov_b32_e32 v2, 0
	;; [unrolled: 1-line block ×5, first 2 shown]
	s_and_saveexec_b64 s[0:1], vcc
	s_cbranch_execz .LBB480_35
; %bb.34:
	v_mad_i64_i32 v[2:3], s[2:3], s15, v20, 0
	v_lshl_add_u64 v[2:3], v[2:3], 1, s[4:5]
	v_lshlrev_b32_e32 v4, 1, v18
	v_mov_b32_e32 v5, 0
	v_lshl_add_u64 v[2:3], v[2:3], 0, v[4:5]
	global_load_dwordx4 v[2:5], v[2:3], off
.LBB480_35:
	s_or_b64 exec, exec, s[0:1]
	v_or_b32_e32 v21, 1, v20
	v_cmp_gt_i32_e64 s[0:1], s41, v21
	v_mov_b32_e32 v7, 0
	v_mov_b32_e32 v8, 0
	;; [unrolled: 1-line block ×3, first 2 shown]
	s_and_saveexec_b64 s[2:3], s[0:1]
	s_cbranch_execz .LBB480_37
; %bb.36:
	v_mad_i64_i32 v[6:7], s[16:17], s15, v21, 0
	v_lshl_add_u64 v[6:7], v[6:7], 1, s[4:5]
	v_lshlrev_b32_e32 v8, 1, v18
	v_mov_b32_e32 v9, 0
	v_lshl_add_u64 v[6:7], v[6:7], 0, v[8:9]
	global_load_dwordx4 v[6:9], v[6:7], off
.LBB480_37:
	s_or_b64 exec, exec, s[2:3]
	v_mov_b32_e32 v17, 0
	v_mov_b32_e32 v10, 0
	;; [unrolled: 1-line block ×5, first 2 shown]
	s_and_saveexec_b64 s[2:3], vcc
	s_cbranch_execz .LBB480_39
; %bb.38:
	v_mad_i64_i32 v[10:11], s[16:17], s15, v20, 0
	v_lshl_add_u64 v[10:11], v[10:11], 1, s[4:5]
	v_lshlrev_b32_e32 v12, 1, v18
	v_mov_b32_e32 v13, 0
	v_lshl_add_u64 v[10:11], v[10:11], 0, v[12:13]
	global_load_dwordx4 v[10:13], v[10:11], off offset:128
.LBB480_39:
	s_or_b64 exec, exec, s[2:3]
	v_mov_b32_e32 v16, 0
	v_mov_b32_e32 v15, 0
	;; [unrolled: 1-line block ×3, first 2 shown]
	s_and_saveexec_b64 s[2:3], s[0:1]
	s_cbranch_execz .LBB480_41
; %bb.40:
	v_mad_i64_i32 v[14:15], s[0:1], s15, v21, 0
	v_lshl_add_u64 v[14:15], v[14:15], 1, s[4:5]
	v_lshlrev_b32_e32 v16, 1, v18
	v_mov_b32_e32 v17, 0
	v_lshl_add_u64 v[14:15], v[14:15], 0, v[16:17]
	global_load_dwordx4 v[14:17], v[14:15], off offset:128
.LBB480_41:
	s_or_b64 exec, exec, s[2:3]
	s_branch .LBB480_45
.LBB480_42:
                                        ; implicit-def: $vgpr5
                                        ; implicit-def: $vgpr9
                                        ; implicit-def: $vgpr13
                                        ; implicit-def: $vgpr17
	v_lshrrev_b32_e32 v30, 2, v60
	s_branch .LBB480_46
.LBB480_43:
                                        ; implicit-def: $vgpr5
                                        ; implicit-def: $vgpr9
                                        ; implicit-def: $vgpr13
                                        ; implicit-def: $vgpr17
	s_cbranch_execz .LBB480_45
; %bb.44:
	s_waitcnt vmcnt(0)
	v_mad_u64_u32 v[2:3], s[0:1], v20, s15, v[18:19]
	v_lshlrev_b32_e32 v20, 1, v2
	s_lshl_b32 s2, s15, 7
	s_and_b32 s1, s5, 0xffff
	s_mov_b32 s3, 0x20000
	s_mov_b32 s0, s4
	v_add_lshl_u32 v21, v2, s15, 1
	s_movk_i32 s13, 0x80
	buffer_load_dwordx4 v[2:5], v20, s[0:3], 0 offen
	buffer_load_dwordx4 v[10:13], v20, s[0:3], s13 offen
	;; [unrolled: 1-line block ×4, first 2 shown]
.LBB480_45:
	v_lshrrev_b32_e32 v30, 2, v60
	s_cbranch_execnz .LBB480_58
.LBB480_46:
	s_and_b64 vcc, exec, s[6:7]
	s_cbranch_vccz .LBB480_56
; %bb.47:
	s_waitcnt vmcnt(0)
	v_lshlrev_b32_e32 v7, 1, v23
	v_cmp_gt_i32_e32 vcc, s41, v7
	v_mov_b32_e32 v6, 0
	v_lshlrev_b32_e32 v14, 9, v23
	v_mov_b32_e32 v2, 0
	v_mov_b32_e32 v3, 0
	;; [unrolled: 1-line block ×4, first 2 shown]
	s_and_saveexec_b64 s[0:1], vcc
	s_cbranch_execz .LBB480_49
; %bb.48:
	v_mov_b32_e32 v15, 0
	v_lshl_add_u64 v[2:3], s[4:5], 0, v[14:15]
	v_lshlrev_b32_e32 v4, 1, v18
	v_mov_b32_e32 v5, v15
	v_lshl_add_u64 v[2:3], v[2:3], 0, v[4:5]
	global_load_dwordx4 v[2:5], v[2:3], off
.LBB480_49:
	s_or_b64 exec, exec, s[0:1]
	v_or_b32_e32 v7, 1, v7
	v_cmp_gt_i32_e64 s[0:1], s41, v7
	v_lshlrev_b32_e32 v20, 8, v7
	v_mov_b32_e32 v7, 0
	v_mov_b32_e32 v8, 0
	;; [unrolled: 1-line block ×3, first 2 shown]
	s_and_saveexec_b64 s[2:3], s[0:1]
	s_cbranch_execz .LBB480_51
; %bb.50:
	v_mov_b32_e32 v21, 0
	v_lshl_add_u64 v[6:7], s[4:5], 0, v[20:21]
	v_lshlrev_b32_e32 v8, 1, v18
	v_mov_b32_e32 v9, v21
	v_lshl_add_u64 v[6:7], v[6:7], 0, v[8:9]
	global_load_dwordx4 v[6:9], v[6:7], off
.LBB480_51:
	s_or_b64 exec, exec, s[2:3]
	v_mov_b32_e32 v17, 0
	v_mov_b32_e32 v10, 0
	;; [unrolled: 1-line block ×5, first 2 shown]
	s_and_saveexec_b64 s[2:3], vcc
	s_cbranch_execz .LBB480_53
; %bb.52:
	v_mov_b32_e32 v15, 0
	v_lshl_add_u64 v[10:11], s[4:5], 0, v[14:15]
	v_lshlrev_b32_e32 v14, 1, v18
	v_lshl_add_u64 v[10:11], v[10:11], 0, v[14:15]
	global_load_dwordx4 v[10:13], v[10:11], off offset:128
.LBB480_53:
	s_or_b64 exec, exec, s[2:3]
	v_mov_b32_e32 v16, 0
	v_mov_b32_e32 v15, 0
	;; [unrolled: 1-line block ×3, first 2 shown]
	s_and_saveexec_b64 s[2:3], s[0:1]
	s_cbranch_execz .LBB480_55
; %bb.54:
	v_mov_b32_e32 v21, 0
	v_lshl_add_u64 v[14:15], s[4:5], 0, v[20:21]
	v_lshlrev_b32_e32 v20, 1, v18
	v_lshl_add_u64 v[14:15], v[14:15], 0, v[20:21]
	global_load_dwordx4 v[14:17], v[14:15], off offset:128
.LBB480_55:
	s_or_b64 exec, exec, s[2:3]
	s_branch .LBB480_58
.LBB480_56:
                                        ; implicit-def: $vgpr5
                                        ; implicit-def: $vgpr9
                                        ; implicit-def: $vgpr13
                                        ; implicit-def: $vgpr17
	s_cbranch_execz .LBB480_58
; %bb.57:
	s_waitcnt vmcnt(0)
	v_lshlrev_b32_e32 v2, 1, v18
	v_lshl_or_b32 v18, v23, 9, v2
	s_and_b32 s5, s5, 0xffff
	s_mov_b32 s7, 0x20000
	s_movk_i32 s6, 0x4000
	s_movk_i32 s0, 0x80
	buffer_load_dwordx4 v[2:5], v18, s[4:7], 0 offen
	buffer_load_dwordx4 v[6:9], v18, s[4:7], 0 offen offset:256
	buffer_load_dwordx4 v[10:13], v18, s[4:7], s0 offen
	buffer_load_dwordx4 v[14:17], v18, s[4:7], s0 offen offset:256
.LBB480_58:
	ds_read_b64 v[20:21], v25 offset:32768
	v_add_u32_e32 v18, 0xb000, v24
	ds_read2_b64 v[32:35], v18 offset1:16
	ds_read_b64 v[40:41], v26 offset:32768
	ds_read_b64 v[26:27], v27 offset:32768
	;; [unrolled: 1-line block ×3, first 2 shown]
	v_and_b32_e32 v18, 6, v0
	v_xor_b32_e32 v23, v23, v18
	v_lshlrev_b32_e32 v23, 2, v23
	v_and_b32_e32 v0, 1, v0
	v_xor_b32_e32 v28, 0x440, v23
	v_cmp_eq_u32_e32 vcc, 0, v0
	s_waitcnt lgkmcnt(3)
	v_mfma_f32_16x16x16_bf16 a[0:3], v[20:21], v[32:33], a[0:3]
	s_mov_b32 s0, 0x1000504
	v_cndmask_b32_e32 v0, v28, v23, vcc
	v_lshl_or_b32 v0, v18, 10, v0
	v_mfma_f32_16x16x16_bf16 a[4:7], v[20:21], v[34:35], a[4:7]
	ds_read2st64_b64 v[32:35], v24 offset0:90 offset1:92
	ds_read2st64_b64 v[36:39], v29 offset0:90 offset1:92
	ds_read_b64 v[20:21], v24 offset:48128
	ds_read_b64 v[24:25], v29 offset:48128
	s_waitcnt vmcnt(0)
	v_perm_b32 v18, v2, v6, s0
	s_waitcnt lgkmcnt(3)
	v_mfma_f32_16x16x16_bf16 a[0:3], v[40:41], v[32:33], a[0:3]
	s_mov_b32 s1, 0x3020706
	v_perm_b32 v2, v2, v6, s1
	v_perm_b32 v6, v10, v14, s1
	s_waitcnt lgkmcnt(2)
	v_mfma_f32_16x16x16_bf16 a[4:7], v[40:41], v[36:37], a[4:7]
	v_mfma_f32_16x16x16_bf16 a[0:3], v[26:27], v[34:35], a[0:3]
	;; [unrolled: 1-line block ×3, first 2 shown]
	s_waitcnt lgkmcnt(1)
	v_mfma_f32_16x16x16_bf16 a[4:7], v[42:43], v[20:21], a[0:3]
	v_perm_b32 v20, v10, v14, s0
	ds_write2st64_b32 v0, v18, v20 offset0:32 offset1:64
	v_xor_b32_e32 v18, 8, v0
	v_add_u32_e32 v10, 0x80, v18
	ds_write2st64_b32 v10, v2, v6 offset0:32 offset1:64
	v_xor_b32_e32 v2, 16, v0
	v_perm_b32 v6, v3, v7, s0
	v_perm_b32 v10, v11, v15, s0
	ds_write2st64_b32 v2, v6, v10 offset0:33 offset1:65
	v_xor_b32_e32 v2, 24, v0
	v_perm_b32 v3, v3, v7, s1
	v_perm_b32 v6, v11, v15, s1
	v_add_u32_e32 v2, 0x80, v2
	ds_write2st64_b32 v2, v3, v6 offset0:33 offset1:65
	v_xor_b32_e32 v2, 32, v0
	v_perm_b32 v3, v4, v8, s0
	v_perm_b32 v6, v12, v16, s0
	ds_write2st64_b32 v2, v3, v6 offset0:34 offset1:66
	v_xor_b32_e32 v2, 40, v0
	s_waitcnt lgkmcnt(5)
	v_mfma_f32_16x16x16_bf16 a[0:3], v[42:43], v[24:25], a[8:11]
	v_perm_b32 v3, v4, v8, s1
	v_perm_b32 v4, v12, v16, s1
	v_add_u32_e32 v2, 0x80, v2
	ds_write2st64_b32 v2, v3, v4 offset0:34 offset1:66
	v_xor_b32_e32 v2, 48, v0
	v_perm_b32 v3, v5, v9, s0
	v_perm_b32 v4, v13, v17, s0
	ds_write2st64_b32 v2, v3, v4 offset0:35 offset1:67
	v_xor_b32_e32 v0, 56, v0
	v_perm_b32 v3, v13, v17, s1
	v_and_or_b32 v17, v30, 12, v1
	v_perm_b32 v2, v5, v9, s1
	v_add_u32_e32 v0, 0x80, v0
	v_cmp_gt_i32_e32 vcc, s41, v17
	v_mov_b32_e32 v14, 0
	v_mov_b32_e32 v16, 0
	ds_write2st64_b32 v0, v2, v3 offset0:35 offset1:67
	s_and_saveexec_b64 s[0:1], vcc
	s_cbranch_execz .LBB480_60
; %bb.59:
	v_add_u32_e32 v0, s40, v17
	v_ashrrev_i32_e32 v1, 31, v0
	v_mul_lo_u32 v2, v1, s28
	v_mul_lo_u32 v3, v0, s29
	v_mad_u64_u32 v[0:1], s[2:3], v0, s28, 0
	v_add3_u32 v1, v1, v3, v2
	v_lshl_add_u64 v[0:1], v[0:1], 2, s[10:11]
	global_load_dword v0, v[0:1], off
	s_waitcnt vmcnt(0)
	v_sub_f32_e32 v0, s12, v0
	v_mul_f32_e32 v0, 0x3fb8aa3b, v0
	v_exp_f32_e32 v16, v0
.LBB480_60:
	s_or_b64 exec, exec, s[0:1]
	v_or_b32_e32 v8, 1, v17
	v_cmp_gt_i32_e64 s[0:1], s41, v8
	s_and_saveexec_b64 s[2:3], s[0:1]
	s_cbranch_execz .LBB480_62
; %bb.61:
	v_add_u32_e32 v0, s40, v8
	v_ashrrev_i32_e32 v1, 31, v0
	v_mul_lo_u32 v2, v1, s28
	v_mul_lo_u32 v3, v0, s29
	v_mad_u64_u32 v[0:1], s[4:5], v0, s28, 0
	v_add3_u32 v1, v1, v3, v2
	v_lshl_add_u64 v[0:1], v[0:1], 2, s[10:11]
	global_load_dword v0, v[0:1], off
	s_waitcnt vmcnt(0)
	v_sub_f32_e32 v0, s12, v0
	v_mul_f32_e32 v0, 0x3fb8aa3b, v0
	v_exp_f32_e32 v14, v0
.LBB480_62:
	s_or_b64 exec, exec, s[2:3]
	v_or_b32_e32 v10, 2, v17
	v_cmp_gt_i32_e64 s[2:3], s41, v10
	v_mov_b32_e32 v15, 0
	v_mov_b32_e32 v18, 0
	s_and_saveexec_b64 s[4:5], s[2:3]
	s_cbranch_execz .LBB480_64
; %bb.63:
	v_add_u32_e32 v0, s40, v10
	v_ashrrev_i32_e32 v1, 31, v0
	v_mul_lo_u32 v2, v1, s28
	v_mul_lo_u32 v3, v0, s29
	v_mad_u64_u32 v[0:1], s[6:7], v0, s28, 0
	v_add3_u32 v1, v1, v3, v2
	v_lshl_add_u64 v[0:1], v[0:1], 2, s[10:11]
	global_load_dword v0, v[0:1], off
	s_waitcnt vmcnt(0)
	v_sub_f32_e32 v0, s12, v0
	v_mul_f32_e32 v0, 0x3fb8aa3b, v0
	v_exp_f32_e32 v18, v0
.LBB480_64:
	s_or_b64 exec, exec, s[4:5]
	v_or_b32_e32 v12, 3, v17
	v_cmp_gt_i32_e64 s[4:5], s41, v12
	s_and_saveexec_b64 s[6:7], s[4:5]
	s_cbranch_execz .LBB480_66
; %bb.65:
	v_add_u32_e32 v0, s40, v12
	v_ashrrev_i32_e32 v1, 31, v0
	v_mul_lo_u32 v2, v1, s28
	v_mul_lo_u32 v3, v0, s29
	v_mad_u64_u32 v[0:1], s[14:15], v0, s28, 0
	v_add3_u32 v1, v1, v3, v2
	v_lshl_add_u64 v[0:1], v[0:1], 2, s[10:11]
	global_load_dword v0, v[0:1], off
	s_waitcnt vmcnt(0)
	v_sub_f32_e32 v0, s12, v0
	v_mul_f32_e32 v0, 0x3fb8aa3b, v0
	v_exp_f32_e32 v15, v0
.LBB480_66:
	s_or_b64 exec, exec, s[6:7]
	v_or_b32_e32 v4, s30, v45
	s_add_u32 s6, s8, s24
	v_accvgpr_read_b32 v0, a4
	s_addc_u32 s7, s9, s25
	v_ashrrev_i32_e32 v5, 31, v4
	v_accvgpr_read_b32 v1, a5
	v_accvgpr_read_b32 v2, a6
	;; [unrolled: 1-line block ×3, first 2 shown]
	v_lshl_add_u64 v[4:5], v[4:5], 1, s[6:7]
	v_mov_b32_e32 v9, 0
	v_lshlrev_b32_e32 v6, 8, v17
	v_mov_b32_e32 v7, 0
	s_and_saveexec_b64 s[6:7], vcc
	s_cbranch_execz .LBB480_68
; %bb.67:
	v_mov_b32_e32 v7, 0
	v_lshl_add_u64 v[20:21], v[4:5], 0, v[6:7]
	global_load_ushort v7, v[20:21], off
	s_waitcnt vmcnt(0)
	v_lshlrev_b32_e32 v7, 16, v7
	v_sub_f32_e32 v0, v7, v0
	v_mul_f32_e32 v0, v16, v0
	v_lshrrev_b32_e32 v7, 16, v0
.LBB480_68:
	s_or_b64 exec, exec, s[6:7]
	v_lshlrev_b32_e32 v8, 8, v8
	s_and_saveexec_b64 s[6:7], s[0:1]
	s_cbranch_execz .LBB480_70
; %bb.69:
	v_mov_b32_e32 v9, 0
	v_lshl_add_u64 v[20:21], v[4:5], 0, v[8:9]
	global_load_ushort v0, v[20:21], off
	s_waitcnt vmcnt(0)
	v_lshlrev_b32_e32 v0, 16, v0
	v_sub_f32_e32 v0, v0, v1
	v_mul_f32_e32 v0, v14, v0
	v_lshrrev_b32_e32 v9, 16, v0
.LBB480_70:
	s_or_b64 exec, exec, s[6:7]
	v_mov_b32_e32 v13, 0
	v_lshlrev_b32_e32 v10, 8, v10
	v_mov_b32_e32 v11, 0
	s_and_saveexec_b64 s[6:7], s[2:3]
	s_cbranch_execz .LBB480_72
; %bb.71:
	v_mov_b32_e32 v11, 0
	v_lshl_add_u64 v[0:1], v[4:5], 0, v[10:11]
	global_load_ushort v0, v[0:1], off
	s_waitcnt vmcnt(0)
	v_lshlrev_b32_e32 v0, 16, v0
	v_sub_f32_e32 v0, v0, v2
	v_mul_f32_e32 v0, v18, v0
	v_lshrrev_b32_e32 v11, 16, v0
.LBB480_72:
	s_or_b64 exec, exec, s[6:7]
	v_lshlrev_b32_e32 v12, 8, v12
	s_and_saveexec_b64 s[6:7], s[4:5]
	s_cbranch_execz .LBB480_74
; %bb.73:
	v_mov_b32_e32 v13, 0
	v_lshl_add_u64 v[0:1], v[4:5], 0, v[12:13]
	global_load_ushort v0, v[0:1], off
	s_waitcnt vmcnt(0)
	v_lshlrev_b32_e32 v0, 16, v0
	v_sub_f32_e32 v0, v0, v3
	v_mul_f32_e32 v0, v15, v0
	v_lshrrev_b32_e32 v13, 16, v0
.LBB480_74:
	s_or_b64 exec, exec, s[6:7]
	v_lshlrev_b32_e32 v17, 5, v17
	s_mov_b32 s6, 0x5040100
	v_perm_b32 v20, v9, v7, s6
	v_or_b32_e32 v7, v17, v22
	v_accvgpr_read_b32 v0, a0
	v_perm_b32 v21, v13, v11, s6
	v_lshlrev_b32_e32 v7, 1, v7
	v_accvgpr_read_b32 v1, a1
	v_accvgpr_read_b32 v2, a2
	;; [unrolled: 1-line block ×3, first 2 shown]
	ds_write_b64 v7, v[20:21] offset:45056
	v_mov_b32_e32 v9, 0
	v_mov_b32_e32 v7, 0
	s_and_saveexec_b64 s[6:7], vcc
	s_cbranch_execz .LBB480_76
; %bb.75:
	v_mov_b32_e32 v7, 0
	v_lshl_add_u64 v[6:7], v[4:5], 0, v[6:7]
	global_load_ushort v6, v[6:7], off offset:32
	s_waitcnt vmcnt(0)
	v_lshlrev_b32_e32 v6, 16, v6
	v_sub_f32_e32 v0, v6, v0
	v_mul_f32_e32 v0, v16, v0
	v_lshrrev_b32_e32 v7, 16, v0
.LBB480_76:
	s_or_b64 exec, exec, s[6:7]
	s_and_saveexec_b64 s[6:7], s[0:1]
	s_cbranch_execz .LBB480_78
; %bb.77:
	v_mov_b32_e32 v9, 0
	v_lshl_add_u64 v[8:9], v[4:5], 0, v[8:9]
	global_load_ushort v0, v[8:9], off offset:32
	s_waitcnt vmcnt(0)
	v_lshlrev_b32_e32 v0, 16, v0
	v_sub_f32_e32 v0, v0, v1
	v_mul_f32_e32 v0, v14, v0
	v_lshrrev_b32_e32 v9, 16, v0
.LBB480_78:
	s_or_b64 exec, exec, s[6:7]
	v_mov_b32_e32 v0, 0
	v_mov_b32_e32 v1, 0
	s_and_saveexec_b64 s[0:1], s[2:3]
	s_cbranch_execz .LBB480_80
; %bb.79:
	v_mov_b32_e32 v11, 0
	v_lshl_add_u64 v[10:11], v[4:5], 0, v[10:11]
	global_load_ushort v1, v[10:11], off offset:32
	s_waitcnt vmcnt(0)
	v_lshlrev_b32_e32 v1, 16, v1
	v_sub_f32_e32 v1, v1, v2
	v_mul_f32_e32 v1, v18, v1
	v_lshrrev_b32_e32 v1, 16, v1
.LBB480_80:
	s_or_b64 exec, exec, s[0:1]
	s_and_saveexec_b64 s[0:1], s[4:5]
	s_cbranch_execz .LBB480_82
; %bb.81:
	v_mov_b32_e32 v13, 0
	v_lshl_add_u64 v[4:5], v[4:5], 0, v[12:13]
	global_load_ushort v0, v[4:5], off offset:32
	s_waitcnt vmcnt(0)
	v_lshlrev_b32_e32 v0, 16, v0
	v_sub_f32_e32 v0, v0, v3
	v_mul_f32_e32 v0, v15, v0
	v_lshrrev_b32_e32 v0, 16, v0
.LBB480_82:
	s_or_b64 exec, exec, s[0:1]
	s_mov_b32 s0, 0x5040100
	v_or_b32_e32 v2, v17, v19
	v_perm_b32 v1, v0, v1, s0
	v_perm_b32 v0, v9, v7, s0
	v_lshlrev_b32_e32 v2, 1, v2
	ds_write_b64 v2, v[0:1] offset:45056
	s_waitcnt lgkmcnt(0)
	s_barrier
.LBB480_83:
	s_endpgm
	.section	.rodata,"a",@progbits
	.p2align	6, 0x0
	.amdhsa_kernel _ZN12_GLOBAL__N_139chunk_gated_delta_rule_fwd_h_hip_kernelILi32ELb0ELb0ELb0ELb0ELb0ELb1ELb0ELb0EEEvPK12hip_bfloat16S3_S3_PKfS5_PKvPS1_S8_PvPKiSB_iiiiilll
		.amdhsa_group_segment_fixed_size 49152
		.amdhsa_private_segment_fixed_size 0
		.amdhsa_kernarg_size 136
		.amdhsa_user_sgpr_count 2
		.amdhsa_user_sgpr_dispatch_ptr 0
		.amdhsa_user_sgpr_queue_ptr 0
		.amdhsa_user_sgpr_kernarg_segment_ptr 1
		.amdhsa_user_sgpr_dispatch_id 0
		.amdhsa_user_sgpr_kernarg_preload_length 0
		.amdhsa_user_sgpr_kernarg_preload_offset 0
		.amdhsa_user_sgpr_private_segment_size 0
		.amdhsa_uses_dynamic_stack 0
		.amdhsa_enable_private_segment 0
		.amdhsa_system_sgpr_workgroup_id_x 1
		.amdhsa_system_sgpr_workgroup_id_y 1
		.amdhsa_system_sgpr_workgroup_id_z 0
		.amdhsa_system_sgpr_workgroup_info 0
		.amdhsa_system_vgpr_workitem_id 0
		.amdhsa_next_free_vgpr 164
		.amdhsa_next_free_sgpr 65
		.amdhsa_accum_offset 140
		.amdhsa_reserve_vcc 1
		.amdhsa_float_round_mode_32 0
		.amdhsa_float_round_mode_16_64 0
		.amdhsa_float_denorm_mode_32 3
		.amdhsa_float_denorm_mode_16_64 3
		.amdhsa_dx10_clamp 1
		.amdhsa_ieee_mode 1
		.amdhsa_fp16_overflow 0
		.amdhsa_tg_split 0
		.amdhsa_exception_fp_ieee_invalid_op 0
		.amdhsa_exception_fp_denorm_src 0
		.amdhsa_exception_fp_ieee_div_zero 0
		.amdhsa_exception_fp_ieee_overflow 0
		.amdhsa_exception_fp_ieee_underflow 0
		.amdhsa_exception_fp_ieee_inexact 0
		.amdhsa_exception_int_div_zero 0
	.end_amdhsa_kernel
	.section	.text._ZN12_GLOBAL__N_139chunk_gated_delta_rule_fwd_h_hip_kernelILi32ELb0ELb0ELb0ELb0ELb0ELb1ELb0ELb0EEEvPK12hip_bfloat16S3_S3_PKfS5_PKvPS1_S8_PvPKiSB_iiiiilll,"axG",@progbits,_ZN12_GLOBAL__N_139chunk_gated_delta_rule_fwd_h_hip_kernelILi32ELb0ELb0ELb0ELb0ELb0ELb1ELb0ELb0EEEvPK12hip_bfloat16S3_S3_PKfS5_PKvPS1_S8_PvPKiSB_iiiiilll,comdat
.Lfunc_end480:
	.size	_ZN12_GLOBAL__N_139chunk_gated_delta_rule_fwd_h_hip_kernelILi32ELb0ELb0ELb0ELb0ELb0ELb1ELb0ELb0EEEvPK12hip_bfloat16S3_S3_PKfS5_PKvPS1_S8_PvPKiSB_iiiiilll, .Lfunc_end480-_ZN12_GLOBAL__N_139chunk_gated_delta_rule_fwd_h_hip_kernelILi32ELb0ELb0ELb0ELb0ELb0ELb1ELb0ELb0EEEvPK12hip_bfloat16S3_S3_PKfS5_PKvPS1_S8_PvPKiSB_iiiiilll
                                        ; -- End function
	.section	.AMDGPU.csdata,"",@progbits
; Kernel info:
; codeLenInByte = 8732
; NumSgprs: 71
; NumVgprs: 140
; NumAgprs: 24
; TotalNumVgprs: 164
; ScratchSize: 0
; MemoryBound: 0
; FloatMode: 240
; IeeeMode: 1
; LDSByteSize: 49152 bytes/workgroup (compile time only)
; SGPRBlocks: 8
; VGPRBlocks: 20
; NumSGPRsForWavesPerEU: 71
; NumVGPRsForWavesPerEU: 164
; AccumOffset: 140
; Occupancy: 1
; WaveLimiterHint : 1
; COMPUTE_PGM_RSRC2:SCRATCH_EN: 0
; COMPUTE_PGM_RSRC2:USER_SGPR: 2
; COMPUTE_PGM_RSRC2:TRAP_HANDLER: 0
; COMPUTE_PGM_RSRC2:TGID_X_EN: 1
; COMPUTE_PGM_RSRC2:TGID_Y_EN: 1
; COMPUTE_PGM_RSRC2:TGID_Z_EN: 0
; COMPUTE_PGM_RSRC2:TIDIG_COMP_CNT: 0
; COMPUTE_PGM_RSRC3_GFX90A:ACCUM_OFFSET: 34
; COMPUTE_PGM_RSRC3_GFX90A:TG_SPLIT: 0
	.section	.text._ZN12_GLOBAL__N_139chunk_gated_delta_rule_fwd_h_hip_kernelILi32ELb1ELb1ELb1ELb1ELb0ELb0ELb1ELb0EEEvPK12hip_bfloat16S3_S3_PKfS5_PKvPS1_S8_PvPKiSB_iiiiilll,"axG",@progbits,_ZN12_GLOBAL__N_139chunk_gated_delta_rule_fwd_h_hip_kernelILi32ELb1ELb1ELb1ELb1ELb0ELb0ELb1ELb0EEEvPK12hip_bfloat16S3_S3_PKfS5_PKvPS1_S8_PvPKiSB_iiiiilll,comdat
	.globl	_ZN12_GLOBAL__N_139chunk_gated_delta_rule_fwd_h_hip_kernelILi32ELb1ELb1ELb1ELb1ELb0ELb0ELb1ELb0EEEvPK12hip_bfloat16S3_S3_PKfS5_PKvPS1_S8_PvPKiSB_iiiiilll ; -- Begin function _ZN12_GLOBAL__N_139chunk_gated_delta_rule_fwd_h_hip_kernelILi32ELb1ELb1ELb1ELb1ELb0ELb0ELb1ELb0EEEvPK12hip_bfloat16S3_S3_PKfS5_PKvPS1_S8_PvPKiSB_iiiiilll
	.p2align	8
	.type	_ZN12_GLOBAL__N_139chunk_gated_delta_rule_fwd_h_hip_kernelILi32ELb1ELb1ELb1ELb1ELb0ELb0ELb1ELb0EEEvPK12hip_bfloat16S3_S3_PKfS5_PKvPS1_S8_PvPKiSB_iiiiilll,@function
_ZN12_GLOBAL__N_139chunk_gated_delta_rule_fwd_h_hip_kernelILi32ELb1ELb1ELb1ELb1ELb0ELb0ELb1ELb0EEEvPK12hip_bfloat16S3_S3_PKfS5_PKvPS1_S8_PvPKiSB_iiiiilll: ; @_ZN12_GLOBAL__N_139chunk_gated_delta_rule_fwd_h_hip_kernelILi32ELb1ELb1ELb1ELb1ELb0ELb0ELb1ELb0EEEvPK12hip_bfloat16S3_S3_PKfS5_PKvPS1_S8_PvPKiSB_iiiiilll
; %bb.0:
	s_load_dwordx4 s[20:23], s[0:1], 0x5c
	s_load_dwordx4 s[4:7], s[0:1], 0x48
	s_abs_i32 s9, s3
	s_ashr_i32 s8, s3, 31
	v_and_b32_e32 v68, 15, v0
	s_waitcnt lgkmcnt(0)
	s_abs_i32 s10, s21
	v_cvt_f32_u32_e32 v1, s10
	s_sub_i32 s12, 0, s10
	s_ashr_i32 s11, s21, 31
	s_xor_b32 s8, s8, s11
	v_rcp_iflag_f32_e32 v1, v1
	v_bfe_u32 v67, v0, 4, 2
	v_mov_b32_e32 v51, 0
	v_lshlrev_b32_e32 v69, 3, v0
	v_mul_f32_e32 v1, 0x4f7ffffe, v1
	v_cvt_u32_f32_e32 v1, v1
	s_nop 0
	v_readfirstlane_b32 s13, v1
	s_mul_i32 s12, s12, s13
	s_mul_hi_u32 s12, s13, s12
	s_add_i32 s13, s13, s12
	s_mul_hi_u32 s12, s9, s13
	s_mul_i32 s13, s12, s10
	s_sub_i32 s9, s9, s13
	s_add_i32 s14, s12, 1
	s_sub_i32 s13, s9, s10
	s_cmp_ge_u32 s9, s10
	s_cselect_b32 s12, s14, s12
	s_cselect_b32 s9, s13, s9
	s_add_i32 s13, s12, 1
	s_cmp_ge_u32 s9, s10
	s_cselect_b32 s9, s13, s12
	s_xor_b32 s9, s9, s8
	s_sub_i32 s24, s9, s8
	s_mul_i32 s12, s24, s21
	s_ashr_i32 s25, s24, 31
	s_sub_i32 s51, s3, s12
	s_lshl_b64 s[8:9], s[24:25], 2
	s_add_u32 s4, s4, s8
	s_addc_u32 s5, s5, s9
	s_add_u32 s26, s6, s8
	s_addc_u32 s27, s7, s9
	s_abs_i32 s3, s22
	v_cvt_f32_u32_e32 v1, s3
	s_load_dwordx2 s[38:39], s[4:5], 0x0
	s_sub_i32 s5, 0, s3
	s_lshl_b32 s2, s2, 5
	v_rcp_iflag_f32_e32 v1, v1
	v_or_b32_e32 v56, s2, v68
	s_waitcnt lgkmcnt(0)
	s_sub_i32 s54, s39, s38
	s_ashr_i32 s4, s54, 31
	v_mul_f32_e32 v1, 0x4f7ffffe, v1
	v_cvt_u32_f32_e32 v1, v1
	s_lshr_b32 s4, s4, 26
	s_add_i32 s4, s54, s4
	s_ashr_i32 s52, s4, 6
	v_readfirstlane_b32 s6, v1
	s_mul_i32 s5, s5, s6
	s_mul_hi_u32 s5, s6, s5
	s_add_i32 s6, s6, s5
	s_mul_hi_u32 s5, s10, s6
	s_mul_i32 s6, s5, s3
	s_ashr_i32 s4, s22, 31
	s_sub_i32 s6, s10, s6
	s_xor_b32 s4, s11, s4
	s_add_i32 s7, s5, 1
	s_sub_i32 s8, s6, s3
	s_cmp_ge_u32 s6, s3
	s_cselect_b32 s5, s7, s5
	s_cselect_b32 s6, s8, s6
	s_add_i32 s7, s5, 1
	s_cmp_ge_u32 s6, s3
	s_cselect_b32 s3, s7, s5
	s_xor_b32 s3, s3, s4
	s_sub_i32 s3, s3, s4
	s_abs_i32 s13, s3
	v_cvt_f32_u32_e32 v1, s13
	s_sub_i32 s15, 0, s13
	s_abs_i32 s14, s51
	s_xor_b32 s3, s51, s3
	v_rcp_iflag_f32_e32 v2, v1
	s_ashr_i32 s3, s3, 31
	s_load_dwordx8 s[4:11], s[0:1], 0x28
	v_lshrrev_b32_e32 v1, 6, v0
	v_mul_f32_e32 v2, 0x4f7ffffe, v2
	v_cvt_u32_f32_e32 v2, v2
	v_lshlrev_b32_e32 v66, 4, v1
	v_lshlrev_b32_e32 v52, 7, v56
	v_lshl_or_b32 v71, v67, 2, v66
	v_readfirstlane_b32 s16, v2
	s_mul_i32 s15, s15, s16
	s_mul_hi_u32 s15, s16, s15
	s_add_i32 s16, s16, s15
	s_mul_hi_u32 s15, s14, s16
	s_mul_i32 s16, s15, s13
	s_sub_i32 s14, s14, s16
	s_add_i32 s16, s15, 1
	s_sub_i32 s17, s14, s13
	s_cmp_ge_u32 s14, s13
	s_cselect_b32 s15, s16, s15
	s_cselect_b32 s14, s17, s14
	s_add_i32 s16, s15, 1
	s_cmp_ge_u32 s14, s13
	s_cselect_b32 s13, s16, s15
	s_xor_b32 s13, s13, s3
	s_sub_i32 s55, s13, s3
	s_ashr_i32 s53, s51, 31
	s_mul_hi_i32 s3, s24, s21
	s_add_u32 s12, s12, s51
	s_addc_u32 s13, s3, s53
	s_lshl_b64 s[34:35], s[12:13], 16
	s_waitcnt lgkmcnt(0)
	s_add_u32 s4, s4, s34
	s_addc_u32 s5, s5, s35
	v_ashrrev_i32_e32 v53, 31, v52
	v_lshl_add_u64 v[2:3], v[52:53], 2, s[4:5]
	v_lshlrev_b32_e32 v50, 2, v71
	v_or_b32_e32 v54, 0x800, v52
	v_lshl_add_u64 v[10:11], v[2:3], 0, v[50:51]
	v_ashrrev_i32_e32 v55, 31, v54
	global_load_dwordx4 v[2:5], v[10:11], off
	global_load_dwordx4 v[6:9], v[10:11], off offset:256
	v_lshl_add_u64 v[10:11], v[54:55], 2, s[4:5]
	v_lshl_add_u64 v[18:19], v[10:11], 0, v[50:51]
	global_load_dwordx4 v[10:13], v[18:19], off
	global_load_dwordx4 v[14:17], v[18:19], off offset:256
	s_load_dwordx8 s[12:19], s[0:1], 0x0
	s_load_dwordx2 s[36:37], s[0:1], 0x80
	s_load_dwordx4 s[28:31], s[0:1], 0x70
	s_load_dword s56, s[26:27], 0x0
	v_and_b32_e32 v51, 63, v0
	v_or_b32_e32 v72, 64, v71
	s_cmp_lt_i32 s54, 64
	s_mul_hi_i32 s57, s51, s20
	s_mul_i32 s58, s51, s20
	v_lshrrev_b32_e32 v70, 3, v51
	s_waitcnt lgkmcnt(0)
	s_mul_i32 s33, s24, s29
	s_mul_hi_u32 s47, s24, s28
	s_mul_i32 s48, s25, s28
	s_mul_i32 s40, s24, s28
	;; [unrolled: 1-line block ×3, first 2 shown]
	s_mul_hi_u32 s49, s51, s30
	s_mul_i32 s50, s53, s30
	s_mul_i32 s42, s51, s30
	s_cbranch_scc1 .LBB481_19
; %bb.1:
	s_ashr_i32 s1, s38, 31
	s_add_u32 s0, s58, s38
	s_addc_u32 s1, s57, s1
	s_lshl_b64 s[0:1], s[0:1], 8
	v_and_b32_e32 v74, 56, v69
	s_add_u32 s24, s14, s0
	v_lshl_or_b32 v73, v1, 3, v70
	v_lshlrev_b32_e32 v18, 1, v74
	s_addc_u32 s0, s15, s1
	v_lshl_or_b32 v75, v73, 8, v18
	s_and_b32 s25, s0, 0xffff
	s_mov_b32 s27, 0x20000
	s_movk_i32 s26, 0x4000
	s_movk_i32 s0, 0x80
	v_or_b32_e32 v76, 0x2000, v75
	buffer_load_dwordx4 v[20:23], v75, s[24:27], 0 offen
	buffer_load_dwordx4 v[24:27], v75, s[24:27], s0 offen
	buffer_load_dwordx4 v[28:31], v76, s[24:27], 0 offen
	buffer_load_dwordx4 v[32:35], v76, s[24:27], s0 offen
	v_lshlrev_b32_e32 v19, 3, v73
	v_and_or_b32 v37, v0, 7, v19
	v_and_b32_e32 v19, 0x78, v19
	v_lshlrev_b32_e32 v37, 4, v37
	v_xor_b32_e32 v77, v37, v19
	v_mul_lo_u32 v36, v73, s23
	v_or_b32_e32 v78, 0x1000, v77
	v_xor_b32_e32 v19, 8, v77
	s_cmpk_eq_i32 s23, 0x80
	s_mov_b32 s59, s38
	v_xor_b32_e32 v37, 8, v78
	s_cselect_b64 s[0:1], -1, 0
	s_cmpk_lg_i32 s23, 0x80
	s_waitcnt vmcnt(3)
	ds_write_b64 v77, v[20:21] offset:24576
	ds_write_b64 v19, v[22:23] offset:24576
	s_waitcnt vmcnt(2)
	ds_write_b64 v77, v[24:25] offset:32768
	ds_write_b64 v19, v[26:27] offset:32768
	;; [unrolled: 3-line block ×4, first 2 shown]
	v_lshl_add_u32 v19, v36, 1, v74
	s_cbranch_scc0 .LBB481_3
; %bb.2:
	v_lshlrev_b32_e32 v21, 1, v19
	v_add_lshl_u32 v20, v19, s23, 1
	s_lshl_b32 s26, s23, 7
	v_lshl_or_b32 v18, v73, 9, v18
	s_cbranch_execz .LBB481_4
	s_branch .LBB481_5
.LBB481_3:
                                        ; implicit-def: $vgpr20
                                        ; implicit-def: $vgpr21
                                        ; implicit-def: $sgpr26
	v_lshl_or_b32 v18, v73, 9, v18
.LBB481_4:
	v_or_b32_e32 v20, 0x100, v18
	s_movk_i32 s26, 0x4000
	v_mov_b32_e32 v21, v18
.LBB481_5:
	s_mul_i32 s4, s38, s22
	s_ashr_i32 s60, s55, 31
	s_mul_hi_i32 s3, s38, s22
	s_add_u32 s4, s4, s55
	s_addc_u32 s5, s3, s60
	s_lshl_b64 s[4:5], s[4:5], 8
	s_add_u32 s24, s12, s4
	s_addc_u32 s3, s13, s5
	s_and_b32 s25, s3, 0xffff
	s_movk_i32 s61, 0x80
	buffer_load_dwordx4 v[22:25], v21, s[24:27], 0 offen
	buffer_load_dwordx4 v[26:29], v21, s[24:27], s61 offen
	;; [unrolled: 1-line block ×4, first 2 shown]
	v_and_b32_e32 v20, 6, v0
	v_lshlrev_b32_e32 v39, 6, v71
	v_or_b32_e32 v41, 16, v68
	v_xor_b32_e32 v42, v73, v20
	v_and_b32_e32 v21, 1, v0
	v_lshl_or_b32 v45, v68, 3, v39
	v_lshl_or_b32 v39, v41, 3, v39
	v_lshlrev_b32_e32 v42, 2, v42
	v_lshlrev_b32_e32 v38, 2, v68
	v_or_b32_e32 v81, 0xa000, v39
	v_or_b32_e32 v82, 0xb000, v39
	v_xor_b32_e32 v39, 0x440, v42
	v_cmp_eq_u32_e32 vcc, 0, v21
	s_add_i32 s3, s47, s33
	v_xor_b32_e32 v43, v71, v38
	v_xor_b32_e32 v44, v72, v38
	v_cndmask_b32_e32 v21, v39, v42, vcc
	s_add_i32 s4, s49, s46
	s_add_i32 s41, s3, s48
	s_mov_b32 s62, 0x1000504
	v_lshlrev_b32_e32 v40, 8, v68
	v_lshlrev_b32_e32 v41, 8, v41
	;; [unrolled: 1-line block ×4, first 2 shown]
	v_lshl_or_b32 v20, v20, 10, v21
	s_add_i32 s43, s4, s50
	s_lshl_b64 s[4:5], s[40:41], 2
	s_mov_b32 s63, 0x3020706
	v_or_b32_e32 v79, 0xa000, v45
	v_or_b32_e32 v80, 0xb000, v45
	;; [unrolled: 1-line block ×5, first 2 shown]
	v_xor_b32_e32 v21, 8, v20
	v_xor_b32_e32 v40, 24, v20
	;; [unrolled: 1-line block ×4, first 2 shown]
	s_add_u32 s3, s18, s4
	v_or_b32_e32 v85, v41, v43
	v_xor_b32_e32 v39, 16, v20
	v_xor_b32_e32 v41, 32, v20
	;; [unrolled: 1-line block ×3, first 2 shown]
	v_add_u32_e32 v21, 0x80, v21
	v_add_u32_e32 v40, 0x80, v40
	;; [unrolled: 1-line block ×4, first 2 shown]
	s_addc_u32 s24, s19, s5
	s_lshl_b64 s[4:5], s[42:43], 2
	s_add_u32 s4, s3, s4
	s_movk_i32 s3, 0xf8
	s_addc_u32 s5, s24, s5
	s_lshl_b32 s30, s23, 7
	s_movk_i32 s28, 0x100
	v_mov_b32_e32 v59, 0
	v_lshlrev_b32_e32 v58, 4, v68
	v_cmp_gt_u32_e32 vcc, s28, v0
	v_ashrrev_i32_e32 v57, 31, v56
	s_mov_b32 s64, 0
	s_movk_i32 s41, 0x1000
	s_movk_i32 s26, 0x4000
	v_mov_b32_e32 v107, 0x3fb8aa3b
	s_waitcnt vmcnt(1)
	v_perm_b32 v45, v22, v30, s62
	s_waitcnt vmcnt(0)
	v_perm_b32 v46, v26, v34, s62
	v_perm_b32 v22, v22, v30, s63
	;; [unrolled: 1-line block ×15, first 2 shown]
	ds_write2st64_b32 v20, v45, v46 offset0:32 offset1:64
	ds_write2st64_b32 v21, v22, v26 offset0:32 offset1:64
	;; [unrolled: 1-line block ×8, first 2 shown]
	v_or_b32_e32 v20, v66, v68
	v_lshlrev_b32_e32 v20, 3, v20
	v_lshrrev_b32_e32 v23, 5, v51
	v_and_or_b32 v23, v20, s3, v23
	v_lshlrev_b32_e32 v23, 4, v23
	v_lshlrev_b32_e32 v21, 11, v1
	v_and_b32_e32 v20, 0x78, v20
	v_or_b32_e32 v28, 32, v23
	v_and_b32_e32 v22, 0x1000, v21
	v_lshrrev_b32_e32 v25, 1, v0
	v_xor_b32_e32 v28, v28, v20
	v_and_b32_e32 v26, 8, v25
	v_or_b32_e32 v28, v28, v22
	v_xor_b32_e32 v24, v23, v20
	v_xor_b32_e32 v89, v28, v26
	v_or_b32_e32 v28, 64, v23
	v_or_b32_e32 v23, 0x60, v23
	s_ashr_i32 s3, s2, 31
	v_xor_b32_e32 v28, v28, v20
	v_xor_b32_e32 v20, v23, v20
	s_lshl_b64 s[24:25], s[2:3], 8
	v_or_b32_e32 v24, v24, v22
	v_or_b32_e32 v28, v28, v22
	;; [unrolled: 1-line block ×3, first 2 shown]
	s_add_u32 s24, s6, s24
	v_lshlrev_b32_e32 v22, 1, v68
	v_xor_b32_e32 v91, v28, v26
	v_lshrrev_b32_e32 v28, 4, v0
	s_addc_u32 s25, s7, s25
	v_or_b32_e32 v23, 1, v22
	v_mov_b32_e32 v32, 0x4000
	v_mov_b32_e32 v33, 0x2000
	v_xor_b32_e32 v29, v28, v22
	v_xor_b32_e32 v30, v23, v28
	v_lshl_add_u64 v[22:23], s[24:25], 0, v[58:59]
	v_lshlrev_b32_e32 v58, 8, v28
	v_cndmask_b32_e32 v32, v32, v33, vcc
	v_lshlrev_b32_e32 v33, 3, v1
	v_and_b32_e32 v25, 24, v25
	v_lshl_or_b32 v95, v29, 3, v58
	v_and_b32_e32 v29, 8, v0
	v_xor_b32_e32 v34, v33, v25
	v_or_b32_e32 v35, 0x440, v34
	v_cmp_eq_u32_e32 vcc, 0, v29
	v_and_b32_e32 v28, 7, v0
	v_xor_b32_e32 v87, v24, v26
	v_cndmask_b32_e32 v29, v35, v34, vcc
	v_lshlrev_b32_e32 v24, 7, v67
	v_lshl_or_b32 v96, v30, 3, v58
	v_lshlrev_b32_e32 v30, 3, v28
	v_lshlrev_b32_e32 v28, 7, v28
	;; [unrolled: 1-line block ×3, first 2 shown]
	v_or_b32_e32 v29, v29, v21
	v_or_b32_e32 v27, v24, v38
	v_xad_u32 v97, v29, v30, v28
	v_and_or_b32 v24, v31, 60, v24
	v_mov_b32_e32 v29, 0xb000
	v_lshl_or_b32 v98, v24, 1, v29
	v_or_b32_e32 v24, 32, v25
	v_xor_b32_e32 v24, v33, v24
	v_or_b32_e32 v29, 0x440, v24
	v_cndmask_b32_e32 v24, v29, v24, vcc
	v_or_b32_e32 v24, v24, v21
	v_xad_u32 v99, v24, v30, v28
	v_or_b32_e32 v24, 64, v25
	v_xor_b32_e32 v24, v33, v24
	v_xor_b32_e32 v29, 0x440, v24
	v_cndmask_b32_e32 v24, v29, v24, vcc
	v_or_b32_e32 v24, v24, v21
	v_xad_u32 v100, v24, v30, v28
	v_or_b32_e32 v24, 0x60, v25
	v_xor_b32_e32 v24, v33, v24
	v_xor_b32_e32 v25, 0x440, v24
	v_lshlrev_b32_e32 v27, 1, v27
	v_cndmask_b32_e32 v24, v25, v24, vcc
	v_or_b32_e32 v88, 0xa000, v27
	v_or_b32_e32 v90, 0xa080, v27
	v_xor_b32_e32 v92, v20, v26
	v_or_b32_e32 v93, 0xb000, v27
	v_or_b32_e32 v94, 0xb080, v27
	v_lshlrev_b32_e32 v26, 1, v19
	v_add_lshl_u32 v19, v19, s23, 1
	v_or_b32_e32 v27, 0x100, v18
	v_or_b32_e32 v21, v24, v21
	v_lshlrev_b32_e32 v20, 7, v71
	v_xad_u32 v101, v21, v30, v28
	v_cndmask_b32_e64 v102, v26, v18, s[0:1]
	v_cndmask_b32_e64 v103, v19, v27, s[0:1]
	v_lshlrev_b64 v[18:19], 1, v[56:57]
	v_lshl_add_u64 v[60:61], s[16:17], 0, v[18:19]
	v_lshl_add_u64 v[62:63], s[8:9], 0, v[18:19]
	;; [unrolled: 1-line block ×3, first 2 shown]
	s_mov_b32 s3, 0x7060302
	v_lshlrev_b32_e32 v58, 1, v20
	v_add_u32_e32 v57, v32, v97
	v_add_u32_e32 v104, v32, v99
	;; [unrolled: 1-line block ×4, first 2 shown]
	s_waitcnt lgkmcnt(0)
	s_barrier
.LBB481_6:                              ; =>This Inner Loop Header: Depth=1
	s_add_i32 s43, s64, 1
	s_cmp_lt_i32 s43, s52
	s_mov_b64 s[28:29], 0
	s_cselect_b64 s[44:45], -1, 0
	s_cmp_ge_i32 s43, s52
	s_mov_b64 s[24:25], 0
	s_cbranch_scc1 .LBB481_8
; %bb.7:                                ;   in Loop: Header=BB481_6 Depth=1
	s_add_i32 s0, s59, 64
	s_ashr_i32 s1, s0, 31
	s_add_u32 s0, s58, s0
	s_addc_u32 s1, s57, s1
	s_lshl_b64 s[0:1], s[0:1], 8
	s_add_u32 s24, s14, s0
	s_addc_u32 s25, s15, s1
.LBB481_8:                              ;   in Loop: Header=BB481_6 Depth=1
	v_cndmask_b32_e64 v18, 0, 1, s[44:45]
	v_cmp_ne_u32_e64 s[0:1], 1, v18
	s_andn2_b64 vcc, exec, s[44:45]
	s_cbranch_vccnz .LBB481_10
; %bb.9:                                ;   in Loop: Header=BB481_6 Depth=1
	s_add_i32 s28, s59, 64
	s_mul_hi_i32 s29, s28, s22
	s_mul_i32 s28, s28, s22
	s_add_u32 s28, s28, s55
	s_addc_u32 s29, s29, s60
	s_lshl_b64 s[28:29], s[28:29], 8
	s_add_u32 s28, s12, s28
	s_addc_u32 s29, s13, s29
.LBB481_10:                             ;   in Loop: Header=BB481_6 Depth=1
	v_perm_b32 v19, v5, v4, s3
	v_perm_b32 v18, v3, v2, s3
	;; [unrolled: 1-line block ×4, first 2 shown]
	ds_write_b64 v79, v[18:19]
	ds_write_b64 v80, v[20:21]
	;; [unrolled: 1-line block ×4, first 2 shown]
	v_perm_b32 v19, v13, v12, s3
	v_perm_b32 v18, v11, v10, s3
	v_perm_b32 v21, v17, v16, s3
	v_perm_b32 v20, v15, v14, s3
	ds_write_b64 v81, v[18:19]
	ds_write_b64 v82, v[20:21]
	;; [unrolled: 1-line block ×4, first 2 shown]
	s_waitcnt lgkmcnt(0)
	s_barrier
	ds_read_b64 v[22:23], v87 offset:24576
	ds_read2_b64 v[18:21], v88 offset1:16
	ds_read_b64 v[26:27], v90 offset:3072
	ds_read_b64 v[28:29], v88 offset:3072
	;; [unrolled: 1-line block ×3, first 2 shown]
	s_waitcnt lgkmcnt(3)
	v_mfma_f32_16x16x16_bf16 a[0:3], v[22:23], v[18:19], 0
	s_add_i32 s31, s59, 63
	s_ashr_i32 s44, s31, 31
	s_mul_i32 s45, s31, s37
	v_mfma_f32_16x16x16_bf16 a[4:7], v[22:23], v[20:21], 0
	ds_read2st64_b64 v[18:21], v88 offset0:2 offset1:4
	s_mul_hi_u32 s65, s31, s36
	s_add_i32 s45, s65, s45
	s_waitcnt lgkmcnt(0)
	v_mfma_f32_16x16x16_bf16 a[0:3], v[30:31], v[18:19], a[0:3]
	ds_read2st64_b64 v[22:25], v90 offset0:2 offset1:4
	ds_read_b64 v[18:19], v91 offset:24576
	s_mul_i32 s44, s44, s36
	s_add_i32 s45, s45, s44
	s_waitcnt lgkmcnt(1)
	v_mfma_f32_16x16x16_bf16 a[4:7], v[30:31], v[22:23], a[4:7]
	ds_read_b64 v[22:23], v92 offset:24576
	s_mul_i32 s44, s31, s36
	s_lshl_b64 s[44:45], s[44:45], 2
	s_waitcnt lgkmcnt(1)
	v_mfma_f32_16x16x16_bf16 a[0:3], v[18:19], v[20:21], a[0:3]
	s_add_u32 s44, s4, s44
	s_addc_u32 s45, s5, s45
	s_and_b64 vcc, exec, s[0:1]
	v_mfma_f32_16x16x16_bf16 a[8:11], v[18:19], v[24:25], a[4:7]
	v_mov_b32_e32 v110, 0
	v_mov_b32_e32 v109, 0
	v_mov_b32_e32 v108, 0
	s_waitcnt lgkmcnt(0)
	v_mfma_f32_16x16x16_bf16 a[4:7], v[22:23], v[28:29], a[0:3]
	v_mov_b32_e32 v18, 0
	v_mov_b32_e32 v19, 0
	v_mov_b32_e32 v20, 0
	v_mfma_f32_16x16x16_bf16 a[0:3], v[22:23], v[26:27], a[8:11]
	v_mov_b32_e32 v21, 0
	v_mov_b32_e32 v22, 0
	;; [unrolled: 1-line block ×13, first 2 shown]
	s_cbranch_vccnz .LBB481_12
; %bb.11:                               ;   in Loop: Header=BB481_6 Depth=1
	s_and_b32 s25, s25, 0xffff
	buffer_load_dwordx4 v[30:33], v75, s[24:27], 0 offen
	buffer_load_dwordx4 v[26:29], v75, s[24:27], s61 offen
	;; [unrolled: 1-line block ×4, first 2 shown]
	v_mov_b32_e32 v109, v77
	v_mov_b32_e32 v108, v78
.LBB481_12:                             ;   in Loop: Header=BB481_6 Depth=1
	ds_read_b64 v[42:43], v87 offset:32768
	ds_read2_b64 v[34:37], v93 offset1:16
	ds_read_b64 v[44:45], v89 offset:32768
	ds_read_b64 v[46:47], v91 offset:32768
	;; [unrolled: 1-line block ×3, first 2 shown]
	v_add_u32_e32 v111, s59, v71
	s_waitcnt lgkmcnt(3)
	v_mfma_f32_16x16x16_bf16 a[4:7], v[42:43], v[34:35], a[4:7]
	v_ashrrev_i32_e32 v34, 31, v111
	ds_read2st64_b64 v[38:41], v93 offset0:2 offset1:4
	v_mfma_f32_16x16x16_bf16 a[0:3], v[42:43], v[36:37], a[0:3]
	v_mul_lo_u32 v36, v34, s36
	v_mul_lo_u32 v37, v111, s37
	v_mad_u64_u32 v[34:35], s[24:25], v111, s36, 0
	v_add3_u32 v35, v35, v37, v36
	v_add_u32_e32 v36, 1, v111
	v_ashrrev_i32_e32 v37, 31, v36
	v_mul_lo_u32 v42, v37, s36
	v_mul_lo_u32 v43, v36, s37
	v_mad_u64_u32 v[36:37], s[24:25], v36, s36, 0
	v_add3_u32 v37, v37, v43, v42
	v_add_u32_e32 v42, 2, v111
	v_ashrrev_i32_e32 v43, 31, v42
	v_mul_lo_u32 v112, v43, s36
	v_mul_lo_u32 v113, v42, s37
	v_mad_u64_u32 v[42:43], s[24:25], v42, s36, 0
	v_add_u32_e32 v111, 3, v111
	v_add3_u32 v43, v43, v113, v112
	v_ashrrev_i32_e32 v112, 31, v111
	v_mul_lo_u32 v114, v112, s36
	v_mad_u64_u32 v[112:113], s[24:25], v111, s36, 0
	v_mul_lo_u32 v115, v111, s37
	s_ashr_i32 s25, s59, 31
	v_add3_u32 v113, v113, v115, v114
	s_add_u32 s24, s58, s59
	v_lshl_add_u64 v[34:35], v[34:35], 2, s[4:5]
	v_lshl_add_u64 v[112:113], v[112:113], 2, s[4:5]
	s_addc_u32 s25, s57, s25
	v_lshl_add_u64 v[36:37], v[36:37], 2, s[4:5]
	v_lshl_add_u64 v[42:43], v[42:43], 2, s[4:5]
	global_load_dword v111, v[34:35], off
	global_load_dword v114, v[36:37], off
	;; [unrolled: 1-line block ×3, first 2 shown]
	s_nop 0
	global_load_dword v112, v[112:113], off
	s_lshl_b64 s[66:67], s[24:25], 8
	v_lshl_add_u64 v[34:35], v[60:61], 0, s[66:67]
	v_lshl_add_u64 v[42:43], v[34:35], 0, v[58:59]
	global_load_ushort v113, v[42:43], off offset:256
	global_load_ushort v116, v[42:43], off
	ds_read2st64_b64 v[34:37], v94 offset0:2 offset1:4
	global_load_ushort v117, v[42:43], off offset:768
	global_load_ushort v118, v[42:43], off offset:512
	;; [unrolled: 1-line block ×6, first 2 shown]
	s_waitcnt lgkmcnt(1)
	v_mfma_f32_16x16x16_bf16 a[4:7], v[44:45], v[38:39], a[4:7]
	s_and_b64 vcc, exec, s[0:1]
	s_waitcnt vmcnt(7)
	v_lshlrev_b32_e32 v43, 16, v113
	s_waitcnt lgkmcnt(0)
	v_mfma_f32_16x16x16_bf16 a[0:3], v[44:45], v[34:35], a[0:3]
	v_mfma_f32_16x16x16_bf16 a[4:7], v[46:47], v[40:41], a[4:7]
	;; [unrolled: 1-line block ×3, first 2 shown]
	ds_read_b64 v[34:35], v93 offset:3072
	ds_read_b64 v[36:37], v94 offset:3072
	s_load_dword s24, s[44:45], 0x0
	s_waitcnt lgkmcnt(0)
	v_sub_f32_e32 v42, s24, v111
	v_mfma_f32_16x16x16_bf16 a[4:7], v[48:49], v[34:35], a[4:7]
	v_sub_f32_e32 v45, s24, v114
	v_sub_f32_e32 v46, s24, v115
	;; [unrolled: 1-line block ×3, first 2 shown]
	v_mul_f32_e32 v44, 0x3fb8aa3b, v42
	v_mul_f32_e32 v45, 0x3fb8aa3b, v45
	;; [unrolled: 1-line block ×4, first 2 shown]
	v_mfma_f32_16x16x16_bf16 a[0:3], v[48:49], v[36:37], a[0:3]
	v_accvgpr_read_b32 v41, a5
	v_exp_f32_e32 v44, v44
	v_exp_f32_e32 v45, v45
	;; [unrolled: 1-line block ×4, first 2 shown]
	v_accvgpr_read_b32 v40, a4
	s_waitcnt vmcnt(6)
	v_lshlrev_b32_e32 v42, 16, v116
	v_lshl_add_u64 v[34:35], v[62:63], 0, s[66:67]
	v_accvgpr_read_b32 v37, a7
	v_accvgpr_read_b32 v36, a6
	v_pk_add_f32 v[40:41], v[42:43], v[40:41] neg_lo:[0,1] neg_hi:[0,1]
	s_waitcnt vmcnt(5)
	v_lshlrev_b32_e32 v43, 16, v117
	s_waitcnt vmcnt(4)
	v_lshlrev_b32_e32 v42, 16, v118
	v_lshl_add_u64 v[34:35], v[34:35], 0, v[58:59]
	v_pk_add_f32 v[36:37], v[42:43], v[36:37] neg_lo:[0,1] neg_hi:[0,1]
	global_store_short_d16_hi v[34:35], v40, off
	global_store_short_d16_hi v[34:35], v41, off offset:256
	global_store_short_d16_hi v[34:35], v36, off offset:512
	;; [unrolled: 1-line block ×3, first 2 shown]
	v_pk_mul_f32 v[40:41], v[44:45], v[40:41]
	v_pk_mul_f32 v[36:37], v[46:47], v[36:37]
	v_accvgpr_read_b32 v43, a1
	v_perm_b32 v37, v37, v36, s3
	v_perm_b32 v36, v41, v40, s3
	s_waitcnt vmcnt(5)
	v_lshlrev_b32_e32 v41, 16, v121
	s_waitcnt vmcnt(4)
	v_lshlrev_b32_e32 v40, 16, v122
	v_accvgpr_read_b32 v42, a0
	v_accvgpr_read_b32 v39, a3
	;; [unrolled: 1-line block ×3, first 2 shown]
	v_pk_add_f32 v[40:41], v[40:41], v[42:43] neg_lo:[0,1] neg_hi:[0,1]
	v_lshlrev_b32_e32 v43, 16, v119
	v_lshlrev_b32_e32 v42, 16, v120
	v_pk_add_f32 v[38:39], v[42:43], v[38:39] neg_lo:[0,1] neg_hi:[0,1]
	global_store_short_d16_hi v[34:35], v40, off offset:32
	global_store_short_d16_hi v[34:35], v41, off offset:288
	;; [unrolled: 1-line block ×4, first 2 shown]
	v_pk_mul_f32 v[34:35], v[44:45], v[40:41]
	v_pk_mul_f32 v[38:39], v[46:47], v[38:39]
	v_mov_b32_e32 v111, 0
	v_perm_b32 v39, v39, v38, s3
	v_perm_b32 v38, v35, v34, s3
	ds_write2_b64 v80, v[36:37], v[38:39] offset1:16
	v_mov_b32_e32 v34, 0
	v_mov_b32_e32 v35, 0
	;; [unrolled: 1-line block ×16, first 2 shown]
	s_cbranch_vccnz .LBB481_14
; %bb.13:                               ;   in Loop: Header=BB481_6 Depth=1
	s_and_b32 s29, s29, 0xffff
	s_mov_b32 s31, s27
	buffer_load_dwordx4 v[46:49], v102, s[28:31], 0 offen
	buffer_load_dwordx4 v[38:41], v102, s[28:31], s61 offen
	buffer_load_dwordx4 v[42:45], v103, s[28:31], 0 offen
	buffer_load_dwordx4 v[34:37], v103, s[28:31], s61 offen
	v_mov_b32_e32 v110, v74
	v_mov_b32_e32 v111, v73
.LBB481_14:                             ;   in Loop: Header=BB481_6 Depth=1
	s_waitcnt lgkmcnt(0)
	s_barrier
	ds_read_b64 v[116:117], v57
	ds_read_b64 v[124:125], v98
	ds_read_b64 v[120:121], v104
	ds_read_b64 v[126:127], v105
	ds_read_b64 v[128:129], v106
	ds_read_b64 v[130:131], v99 offset:16384
	ds_read_b64 v[132:133], v97 offset:16384
	ds_read2_b64 v[112:115], v93 offset0:16 offset1:128
	s_waitcnt lgkmcnt(6)
	v_mfma_f32_16x16x16_bf16 a[0:3], v[116:117], v[124:125], 0
	ds_read_b64 v[134:135], v94 offset:3072
	ds_read_b64 v[136:137], v101 offset:16384
	s_add_i32 s25, s56, s64
	s_waitcnt lgkmcnt(2)
	v_mfma_f32_16x16x16_bf16 a[4:7], v[116:117], v[112:113], 0
	ds_read2st64_b64 v[116:119], v94 offset0:2 offset1:4
	s_mul_hi_i32 s29, s25, s21
	s_mul_i32 s25, s25, s21
	v_mfma_f32_16x16x16_bf16 a[0:3], v[120:121], v[114:115], a[0:3]
	s_add_u32 s28, s25, s51
	s_addc_u32 s29, s29, s53
	s_lshl_b64 s[28:29], s[28:29], 15
	s_waitcnt lgkmcnt(0)
	v_mfma_f32_16x16x16_bf16 a[4:7], v[120:121], v[116:117], a[4:7]
	ds_read2st64_b64 v[120:123], v93 offset0:4 offset1:6
	s_waitcnt lgkmcnt(0)
	v_mfma_f32_16x16x16_bf16 a[0:3], v[126:127], v[120:121], a[0:3]
	v_mfma_f32_16x16x16_bf16 a[8:11], v[126:127], v[118:119], a[4:7]
	;; [unrolled: 1-line block ×5, first 2 shown]
	ds_read2st64_b64 v[124:127], v96 offset1:8
	v_mfma_f32_16x16x16_bf16 a[12:15], v[132:133], v[112:113], 0
	ds_read_b64 v[132:133], v100 offset:16384
	v_mfma_f32_16x16x16_bf16 a[8:11], v[130:131], v[114:115], a[8:11]
	ds_read2st64_b64 v[112:115], v95 offset1:8
	s_waitcnt lgkmcnt(0)
	v_mov_b32_e32 v128, v112
	v_mfma_f32_16x16x16_bf16 a[12:15], v[130:131], v[116:117], a[12:15]
	v_lshl_add_u64 v[116:117], v[64:65], 0, s[28:29]
	v_add_co_u32_e32 v112, vcc, s41, v116
	v_mfma_f32_16x16x16_bf16 a[8:11], v[132:133], v[120:121], a[8:11]
	v_mov_b32_e32 v129, v113
	v_addc_co_u32_e32 v113, vcc, 0, v117, vcc
	v_mfma_f32_16x16x16_bf16 a[12:15], v[132:133], v[118:119], a[12:15]
	v_mov_b32_e32 v130, v124
	v_mov_b32_e32 v131, v125
	;; [unrolled: 1-line block ×3, first 2 shown]
	v_mfma_f32_16x16x16_bf16 a[8:11], v[136:137], v[122:123], a[8:11]
	v_mov_b32_e32 v125, v115
	s_and_b64 vcc, exec, s[0:1]
	global_store_dwordx4 v[116:117], v[128:131], off
	v_mfma_f32_16x16x16_bf16 a[12:15], v[136:137], v[134:135], a[12:15]
	global_store_dwordx4 v[112:113], v[124:127], off
	s_cbranch_vccnz .LBB481_16
; %bb.15:                               ;   in Loop: Header=BB481_6 Depth=1
	v_lshrrev_b32_e32 v112, 3, v110
	v_and_b32_e32 v112, 6, v112
	v_xor_b32_e32 v111, v112, v111
	v_lshlrev_b32_e32 v111, 2, v111
	v_and_b32_e32 v110, 8, v110
	v_xor_b32_e32 v113, 0x440, v111
	v_cmp_eq_u32_e32 vcc, 0, v110
	s_barrier
	s_nop 0
	v_cndmask_b32_e32 v110, v113, v111, vcc
	v_lshl_or_b32 v110, v112, 10, v110
	s_waitcnt vmcnt(3)
	v_perm_b32 v111, v46, v42, s62
	s_waitcnt vmcnt(2)
	v_perm_b32 v112, v38, v34, s62
	ds_write2st64_b32 v110, v111, v112 offset0:32 offset1:64
	v_xor_b32_e32 v111, 8, v110
	v_perm_b32 v42, v46, v42, s63
	v_perm_b32 v34, v38, v34, s63
	v_add_u32_e32 v38, 0x80, v111
	ds_write2st64_b32 v38, v42, v34 offset0:32 offset1:64
	v_xor_b32_e32 v34, 16, v110
	v_perm_b32 v38, v47, v43, s62
	v_perm_b32 v42, v39, v35, s62
	ds_write2st64_b32 v34, v38, v42 offset0:33 offset1:65
	v_xor_b32_e32 v34, 24, v110
	v_perm_b32 v38, v47, v43, s63
	v_perm_b32 v35, v39, v35, s63
	v_add_u32_e32 v34, 0x80, v34
	ds_write2st64_b32 v34, v38, v35 offset0:33 offset1:65
	v_xor_b32_e32 v34, 32, v110
	v_perm_b32 v35, v48, v44, s62
	;; [unrolled: 9-line block ×3, first 2 shown]
	v_perm_b32 v36, v41, v37, s62
	ds_write2st64_b32 v34, v35, v36 offset0:35 offset1:67
	v_xor_b32_e32 v34, 56, v110
	v_perm_b32 v35, v49, v45, s63
	v_perm_b32 v36, v41, v37, s63
	v_add_u32_e32 v34, 0x80, v34
	ds_write2st64_b32 v34, v35, v36 offset0:35 offset1:67
	ds_write_b64 v109, v[30:31] offset:24576
	v_xor_b32_e32 v30, 8, v109
	ds_write_b64 v30, v[32:33] offset:24576
	ds_write_b64 v109, v[26:27] offset:32768
	;; [unrolled: 1-line block ×4, first 2 shown]
	v_xor_b32_e32 v22, 8, v108
	ds_write_b64 v22, v[24:25] offset:24576
	ds_write_b64 v108, v[18:19] offset:32768
	;; [unrolled: 1-line block ×3, first 2 shown]
.LBB481_16:                             ;   in Loop: Header=BB481_6 Depth=1
	v_mul_f32_e32 v18, s24, v107
	s_waitcnt vmcnt(2)
	v_exp_f32_e32 v34, v18
	v_accvgpr_read_b32 v33, a7
	v_accvgpr_read_b32 v25, a3
	;; [unrolled: 1-line block ×16, first 2 shown]
	s_add_i32 s59, s59, 64
	v_fma_f32 v2, v2, v34, v30
	v_fma_f32 v3, v3, v34, v31
	v_fma_f32 v4, v4, v34, v32
	v_fmac_f32_e32 v33, v5, v34
	v_fma_f32 v10, v10, v34, v22
	v_fma_f32 v11, v11, v34, v23
	v_fma_f32 v12, v12, v34, v24
	v_fmac_f32_e32 v25, v13, v34
	;; [unrolled: 4-line block ×3, first 2 shown]
	v_fma_f32 v14, v14, v34, v18
	v_fma_f32 v15, v15, v34, v19
	;; [unrolled: 1-line block ×3, first 2 shown]
	s_cmp_eq_u32 s52, s43
	v_fmac_f32_e32 v21, v17, v34
	s_cbranch_scc1 .LBB481_18
; %bb.17:                               ;   in Loop: Header=BB481_6 Depth=1
	s_mov_b32 s64, s43
	v_mov_b32_e32 v5, v33
	v_mov_b32_e32 v9, v29
	v_mov_b32_e32 v13, v25
	v_mov_b32_e32 v17, v21
	s_branch .LBB481_6
.LBB481_18:
	v_mov_b32_e32 v5, v33
	v_mov_b32_e32 v9, v29
	;; [unrolled: 1-line block ×4, first 2 shown]
.LBB481_19:
	s_lshl_b32 s30, s52, 6
	s_sub_i32 s31, s54, s30
	s_cmp_gt_i32 s31, 0
	s_cbranch_scc0 .LBB481_84
; %bb.20:
	s_add_i32 s30, s30, s38
	s_ashr_i32 s3, s30, 31
	s_cmpk_lg_i32 s23, 0x80
	s_cselect_b64 s[26:27], -1, 0
	s_and_b64 vcc, exec, s[26:27]
	s_cbranch_vccz .LBB481_22
; %bb.21:
	s_mul_i32 s1, s30, s22
	s_ashr_i32 s4, s55, 31
	s_mul_hi_i32 s0, s30, s22
	s_add_u32 s28, s1, s55
	s_addc_u32 s29, s0, s4
	s_cbranch_execz .LBB481_23
	s_branch .LBB481_24
.LBB481_22:
                                        ; implicit-def: $sgpr28_sgpr29
.LBB481_23:
	s_mul_i32 s1, s55, s20
	s_mul_hi_i32 s0, s55, s20
	s_add_u32 s28, s1, s30
	s_addc_u32 s29, s0, s3
.LBB481_24:
	s_add_i32 s4, s52, s56
	s_add_u32 s0, s58, s30
	v_lshlrev_b32_e32 v22, 5, v71
	v_lshlrev_b32_e32 v38, 2, v68
	s_addc_u32 s1, s57, s3
	s_mov_b32 s3, 0x7060302
	v_or_b32_e32 v25, v22, v38
	v_xor_b32_e32 v23, v71, v38
	s_waitcnt vmcnt(3)
	v_perm_b32 v19, v5, v4, s3
	v_perm_b32 v18, v3, v2, s3
	s_waitcnt vmcnt(2)
	v_perm_b32 v21, v9, v8, s3
	v_perm_b32 v20, v7, v6, s3
	v_lshlrev_b32_e32 v25, 1, v25
	v_xor_b32_e32 v24, v72, v38
	ds_write2st64_b64 v25, v[18:19], v[20:21] offset0:80 offset1:88
	v_lshlrev_b32_e32 v23, 1, v23
	v_lshlrev_b32_e32 v25, 8, v68
	s_lshl_b64 s[24:25], s[0:1], 8
	v_or_b32_e32 v26, v23, v25
	v_lshlrev_b32_e32 v24, 1, v24
	s_add_u32 s0, s14, s24
	ds_write_b64 v26, v[18:19]
	v_or_b32_e32 v18, v24, v25
	s_addc_u32 s1, s15, s25
	ds_write_b64 v18, v[20:21]
	s_waitcnt vmcnt(1)
	v_perm_b32 v19, v13, v12, s3
	v_perm_b32 v18, v11, v10, s3
	s_waitcnt vmcnt(0)
	v_perm_b32 v21, v17, v16, s3
	v_perm_b32 v20, v15, v14, s3
	v_or_b32_e32 v25, 16, v68
	s_mul_hi_i32 s3, s4, s21
	s_mul_i32 s4, s4, s21
	v_lshlrev_b32_e32 v35, 2, v25
	s_add_u32 s4, s4, s51
	v_or_b32_e32 v22, v22, v35
	s_addc_u32 s5, s3, s53
	v_lshlrev_b32_e32 v22, 1, v22
	s_ashr_i32 s3, s2, 31
	s_lshl_b64 s[4:5], s[4:5], 15
	ds_write2st64_b64 v22, v[18:19], v[20:21] offset0:80 offset1:88
	v_lshlrev_b32_e32 v22, 8, v25
	s_add_u32 s4, s6, s4
	v_or_b32_e32 v23, v23, v22
	s_addc_u32 s5, s7, s5
	s_lshl_b64 s[2:3], s[2:3], 8
	ds_write_b64 v23, v[18:19]
	v_or_b32_e32 v18, v24, v22
	s_add_u32 s2, s4, s2
	ds_write_b64 v18, v[20:21]
	v_lshrrev_b32_e32 v18, 4, v0
	s_addc_u32 s3, s5, s3
	v_lshlrev_b32_e32 v19, 1, v68
	v_lshlrev_b32_e32 v26, 4, v68
	v_mov_b32_e32 v27, 0
	v_or_b32_e32 v20, 1, v19
	v_xor_b32_e32 v19, v18, v19
	v_lshl_add_u64 v[28:29], s[2:3], 0, v[26:27]
	v_lshlrev_b32_e32 v26, 8, v18
	v_xor_b32_e32 v22, v20, v18
	v_lshl_or_b32 v18, v19, 3, v26
	s_waitcnt lgkmcnt(0)
	s_barrier
	ds_read2st64_b64 v[18:21], v18 offset1:8
	v_lshl_or_b32 v22, v22, 3, v26
	ds_read2st64_b64 v[22:25], v22 offset1:8
	v_lshl_add_u64 v[30:31], v[28:29], 0, v[26:27]
	s_movk_i32 s2, 0x1000
	s_waitcnt lgkmcnt(1)
	v_mov_b32_e32 v26, v18
	v_add_co_u32_e32 v18, vcc, s2, v30
	s_cmp_lg_u32 s31, 64
	v_mov_b32_e32 v27, v19
	v_addc_co_u32_e32 v19, vcc, 0, v31, vcc
	s_cselect_b64 s[14:15], -1, 0
	v_lshl_or_b32 v42, v1, 3, v70
	s_waitcnt lgkmcnt(0)
	v_mov_b32_e32 v28, v22
	v_mov_b32_e32 v29, v23
	;; [unrolled: 1-line block ×4, first 2 shown]
	s_mov_b32 s4, 0
	v_or_b32_e32 v36, 32, v42
	v_and_b32_e32 v34, 56, v69
	s_and_b64 vcc, exec, s[14:15]
	global_store_dwordx4 v[30:31], v[26:29], off
	global_store_dwordx4 v[18:19], v[22:25], off
	s_cbranch_vccz .LBB481_30
; %bb.25:
	s_mov_b32 s6, s4
	s_mov_b32 s7, s4
	;; [unrolled: 1-line block ×3, first 2 shown]
	v_mov_b64_e32 v[24:25], s[6:7]
	v_mov_b64_e32 v[22:23], s[4:5]
	;; [unrolled: 1-line block ×3, first 2 shown]
	v_cmp_gt_i32_e32 vcc, s31, v42
	v_mov_b64_e32 v[20:21], v[24:25]
	s_and_saveexec_b64 s[2:3], vcc
	s_cbranch_execz .LBB481_27
; %bb.26:
	v_lshlrev_b32_e32 v18, 8, v42
	v_mov_b32_e32 v19, 0
	v_lshl_add_u64 v[20:21], s[0:1], 0, v[18:19]
	v_lshlrev_b32_e32 v18, 1, v34
	v_lshl_add_u64 v[26:27], v[20:21], 0, v[18:19]
	global_load_dwordx4 v[22:25], v[26:27], off
	global_load_dwordx4 v[18:21], v[26:27], off offset:128
.LBB481_27:
	s_or_b64 exec, exec, s[2:3]
	s_mov_b32 s6, s4
	s_mov_b32 s7, s4
	;; [unrolled: 1-line block ×3, first 2 shown]
	v_mov_b64_e32 v[32:33], s[6:7]
	v_mov_b64_e32 v[30:31], s[4:5]
	;; [unrolled: 1-line block ×3, first 2 shown]
	v_cmp_gt_i32_e32 vcc, s31, v36
	v_lshlrev_b32_e32 v37, 7, v36
	v_mov_b64_e32 v[28:29], v[32:33]
	s_and_saveexec_b64 s[2:3], vcc
	s_cbranch_execz .LBB481_29
; %bb.28:
	v_lshlrev_b32_e32 v26, 1, v37
	v_mov_b32_e32 v27, 0
	v_lshl_add_u64 v[28:29], s[0:1], 0, v[26:27]
	v_lshlrev_b32_e32 v26, 1, v34
	v_lshl_add_u64 v[40:41], v[28:29], 0, v[26:27]
	global_load_dwordx4 v[30:33], v[40:41], off
	global_load_dwordx4 v[26:29], v[40:41], off offset:128
.LBB481_29:
	s_or_b64 exec, exec, s[2:3]
	v_lshrrev_b32_e32 v39, 3, v34
	v_lshlrev_b32_e32 v40, 3, v42
	v_or_b32_e32 v39, v40, v39
	v_lshlrev_b32_e32 v39, 4, v39
	v_and_b32_e32 v40, 0x78, v40
	v_xor_b32_e32 v39, v39, v40
	s_branch .LBB481_32
.LBB481_30:
                                        ; implicit-def: $vgpr39
                                        ; implicit-def: $vgpr37
                                        ; implicit-def: $vgpr22_vgpr23_vgpr24_vgpr25
                                        ; implicit-def: $vgpr18_vgpr19_vgpr20_vgpr21
                                        ; implicit-def: $vgpr30_vgpr31_vgpr32_vgpr33
                                        ; implicit-def: $vgpr26_vgpr27_vgpr28_vgpr29
	s_cbranch_execz .LBB481_32
; %bb.31:
	s_waitcnt vmcnt(0)
	v_lshlrev_b32_e32 v18, 1, v34
	v_lshl_or_b32 v37, v42, 8, v18
	s_and_b32 s1, s1, 0xffff
	s_mov_b32 s3, 0x20000
	s_movk_i32 s2, 0x4000
	v_lshl_or_b32 v39, v36, 8, v18
	s_movk_i32 s4, 0x80
	buffer_load_dwordx4 v[22:25], v37, s[0:3], 0 offen
	buffer_load_dwordx4 v[18:21], v37, s[0:3], s4 offen
	;; [unrolled: 1-line block ×4, first 2 shown]
	v_lshrrev_b32_e32 v37, 3, v34
	v_lshlrev_b32_e32 v39, 3, v42
	v_or_b32_e32 v37, v39, v37
	v_lshlrev_b32_e32 v37, 4, v37
	v_and_b32_e32 v39, 0x78, v39
	v_xor_b32_e32 v39, v37, v39
	v_lshlrev_b32_e32 v37, 7, v36
.LBB481_32:
	s_lshl_b64 s[0:1], s[28:29], 8
	s_add_u32 s4, s12, s0
	s_movk_i32 s0, 0x1000
	v_and_or_b32 v36, v37, s0, v39
	s_waitcnt vmcnt(1)
	ds_write_b64 v39, v[22:23] offset:24576
	v_xor_b32_e32 v22, 8, v39
	ds_write_b64 v22, v[24:25] offset:24576
	s_waitcnt vmcnt(0)
	ds_write_b64 v39, v[18:19] offset:32768
	ds_write_b64 v22, v[20:21] offset:32768
	;; [unrolled: 1-line block ×3, first 2 shown]
	v_xor_b32_e32 v18, 8, v36
	ds_write_b64 v18, v[32:33] offset:24576
	ds_write_b64 v36, v[26:27] offset:32768
	ds_write_b64 v18, v[28:29] offset:32768
	v_or_b32_e32 v18, v66, v68
	v_lshlrev_b32_e32 v18, 3, v18
	v_lshrrev_b32_e32 v19, 5, v51
	s_movk_i32 s3, 0xf8
	v_and_or_b32 v19, v18, s3, v19
	v_lshlrev_b32_e32 v23, 4, v19
	v_lshlrev_b32_e32 v39, 11, v1
	v_and_b32_e32 v24, 0x78, v18
	v_or_b32_e32 v26, 32, v23
	v_and_b32_e32 v22, 0x1000, v39
	v_lshrrev_b32_e32 v19, 1, v51
	v_xor_b32_e32 v26, v26, v24
	v_xor_b32_e32 v18, v23, v24
	v_and_b32_e32 v25, 8, v19
	v_or_b32_e32 v26, v26, v22
	v_or_b32_e32 v18, v18, v22
	v_xor_b32_e32 v44, v26, v25
	v_or_b32_e32 v26, 64, v23
	v_xor_b32_e32 v43, v18, v25
	v_xor_b32_e32 v26, v26, v24
	s_waitcnt lgkmcnt(0)
	s_barrier
	v_or_b32_e32 v28, v26, v22
	ds_read_b64 v[26:27], v43 offset:24576
	v_lshl_or_b32 v36, v67, 7, v38
	v_lshlrev_b32_e32 v40, 1, v36
	v_add_u32_e32 v18, 0xa000, v40
	ds_read2_b64 v[18:21], v18 offset1:16
	v_or_b32_e32 v23, 0x60, v23
	v_xor_b32_e32 v23, v23, v24
	s_waitcnt lgkmcnt(0)
	v_mfma_f32_16x16x16_bf16 a[0:3], v[26:27], v[18:19], 0
	v_or_b32_e32 v18, 64, v36
	v_or_b32_e32 v22, v23, v22
	v_lshlrev_b32_e32 v41, 1, v18
	v_xor_b32_e32 v45, v28, v25
	v_xor_b32_e32 v46, v22, v25
	ds_read_b64 v[28:29], v44 offset:24576
	ds_read_b64 v[30:31], v45 offset:24576
	;; [unrolled: 1-line block ×3, first 2 shown]
	v_mfma_f32_16x16x16_bf16 a[4:7], v[26:27], v[20:21], 0
	ds_read2st64_b64 v[18:21], v41 offset0:82 offset1:84
	ds_read2st64_b64 v[22:25], v40 offset0:82 offset1:84
	s_addc_u32 s5, s13, s1
	s_add_i32 s1, s47, s33
	s_add_i32 s0, s39, -1
	s_add_i32 s41, s1, s48
	s_add_i32 s1, s49, s46
	s_add_i32 s43, s1, s50
	s_ashr_i32 s1, s0, 31
	s_mul_i32 s2, s0, s37
	s_mul_hi_u32 s3, s0, s36
	s_add_i32 s2, s3, s2
	s_mul_i32 s1, s1, s36
	s_waitcnt lgkmcnt(1)
	v_mfma_f32_16x16x16_bf16 a[4:7], v[28:29], v[18:19], a[4:7]
	s_add_i32 s1, s2, s1
	s_lshl_b64 s[2:3], s[40:41], 2
	s_add_u32 s6, s18, s2
	s_waitcnt lgkmcnt(0)
	v_mfma_f32_16x16x16_bf16 a[0:3], v[28:29], v[22:23], a[0:3]
	s_addc_u32 s7, s19, s3
	s_lshl_b64 s[2:3], s[42:43], 2
	s_mul_i32 s0, s0, s36
	s_add_u32 s12, s6, s2
	ds_read_b64 v[18:19], v40 offset:44032
	v_mfma_f32_16x16x16_bf16 a[4:7], v[30:31], v[20:21], a[4:7]
	ds_read_b64 v[20:21], v41 offset:44032
	s_addc_u32 s13, s7, s3
	s_lshl_b64 s[0:1], s[0:1], 2
	v_mfma_f32_16x16x16_bf16 a[0:3], v[30:31], v[24:25], a[0:3]
	s_add_u32 s0, s12, s0
	s_addc_u32 s1, s13, s1
	s_load_dword s18, s[0:1], 0x0
	s_waitcnt lgkmcnt(0)
	v_mfma_f32_16x16x16_bf16 a[0:3], v[32:33], v[18:19], a[0:3]
	s_and_b64 vcc, exec, s[26:27]
	v_mfma_f32_16x16x16_bf16 a[4:7], v[32:33], v[20:21], a[4:7]
	s_cbranch_vccz .LBB481_43
; %bb.33:
	v_lshlrev_b32_e32 v36, 1, v42
	s_and_b64 vcc, exec, s[14:15]
	s_cbranch_vccz .LBB481_44
; %bb.34:
	v_cmp_gt_i32_e32 vcc, s31, v36
	v_mov_b32_e32 v22, 0
	v_mov_b32_e32 v18, 0
	;; [unrolled: 1-line block ×5, first 2 shown]
	s_and_saveexec_b64 s[0:1], vcc
	s_cbranch_execz .LBB481_36
; %bb.35:
	v_mad_i64_i32 v[18:19], s[2:3], s23, v36, 0
	v_lshl_add_u64 v[18:19], v[18:19], 1, s[4:5]
	v_lshlrev_b32_e32 v20, 1, v34
	v_mov_b32_e32 v21, 0
	v_lshl_add_u64 v[18:19], v[18:19], 0, v[20:21]
	global_load_dwordx4 v[18:21], v[18:19], off
.LBB481_36:
	s_or_b64 exec, exec, s[0:1]
	v_or_b32_e32 v37, 1, v36
	v_cmp_gt_i32_e64 s[0:1], s31, v37
	v_mov_b32_e32 v23, 0
	v_mov_b32_e32 v24, 0
	;; [unrolled: 1-line block ×3, first 2 shown]
	s_and_saveexec_b64 s[2:3], s[0:1]
	s_cbranch_execz .LBB481_38
; %bb.37:
	v_mad_i64_i32 v[22:23], s[6:7], s23, v37, 0
	v_lshl_add_u64 v[22:23], v[22:23], 1, s[4:5]
	v_lshlrev_b32_e32 v24, 1, v34
	v_mov_b32_e32 v25, 0
	v_lshl_add_u64 v[22:23], v[22:23], 0, v[24:25]
	global_load_dwordx4 v[22:25], v[22:23], off
.LBB481_38:
	s_or_b64 exec, exec, s[2:3]
	v_mov_b32_e32 v33, 0
	v_mov_b32_e32 v26, 0
	;; [unrolled: 1-line block ×5, first 2 shown]
	s_and_saveexec_b64 s[2:3], vcc
	s_cbranch_execz .LBB481_40
; %bb.39:
	v_mad_i64_i32 v[26:27], s[6:7], s23, v36, 0
	v_lshl_add_u64 v[26:27], v[26:27], 1, s[4:5]
	v_lshlrev_b32_e32 v28, 1, v34
	v_mov_b32_e32 v29, 0
	v_lshl_add_u64 v[26:27], v[26:27], 0, v[28:29]
	global_load_dwordx4 v[26:29], v[26:27], off offset:128
.LBB481_40:
	s_or_b64 exec, exec, s[2:3]
	v_mov_b32_e32 v32, 0
	v_mov_b32_e32 v31, 0
	;; [unrolled: 1-line block ×3, first 2 shown]
	s_and_saveexec_b64 s[2:3], s[0:1]
	s_cbranch_execz .LBB481_42
; %bb.41:
	v_mad_i64_i32 v[30:31], s[0:1], s23, v37, 0
	v_lshl_add_u64 v[30:31], v[30:31], 1, s[4:5]
	v_lshlrev_b32_e32 v32, 1, v34
	v_mov_b32_e32 v33, 0
	v_lshl_add_u64 v[30:31], v[30:31], 0, v[32:33]
	global_load_dwordx4 v[30:33], v[30:31], off offset:128
.LBB481_42:
	s_or_b64 exec, exec, s[2:3]
	s_branch .LBB481_46
.LBB481_43:
                                        ; implicit-def: $vgpr21
                                        ; implicit-def: $vgpr25
                                        ; implicit-def: $vgpr29
                                        ; implicit-def: $vgpr33
	v_lshrrev_b32_e32 v47, 2, v51
	s_branch .LBB481_47
.LBB481_44:
                                        ; implicit-def: $vgpr21
                                        ; implicit-def: $vgpr25
                                        ; implicit-def: $vgpr29
                                        ; implicit-def: $vgpr33
	s_cbranch_execz .LBB481_46
; %bb.45:
	s_waitcnt vmcnt(0)
	v_mad_u64_u32 v[18:19], s[0:1], v36, s23, v[34:35]
	v_lshlrev_b32_e32 v36, 1, v18
	s_lshl_b32 s2, s23, 7
	s_and_b32 s1, s5, 0xffff
	s_mov_b32 s3, 0x20000
	s_mov_b32 s0, s4
	v_add_lshl_u32 v37, v18, s23, 1
	s_movk_i32 s6, 0x80
	buffer_load_dwordx4 v[18:21], v36, s[0:3], 0 offen
	buffer_load_dwordx4 v[26:29], v36, s[0:3], s6 offen
	;; [unrolled: 1-line block ×4, first 2 shown]
.LBB481_46:
	v_lshrrev_b32_e32 v47, 2, v51
	s_cbranch_execnz .LBB481_59
.LBB481_47:
	s_and_b64 vcc, exec, s[14:15]
	s_cbranch_vccz .LBB481_57
; %bb.48:
	s_waitcnt vmcnt(0)
	v_lshlrev_b32_e32 v23, 1, v42
	v_cmp_gt_i32_e32 vcc, s31, v23
	v_mov_b32_e32 v22, 0
	v_lshlrev_b32_e32 v30, 9, v42
	v_mov_b32_e32 v18, 0
	v_mov_b32_e32 v19, 0
	;; [unrolled: 1-line block ×4, first 2 shown]
	s_and_saveexec_b64 s[0:1], vcc
	s_cbranch_execz .LBB481_50
; %bb.49:
	v_mov_b32_e32 v31, 0
	v_lshl_add_u64 v[18:19], s[4:5], 0, v[30:31]
	v_lshlrev_b32_e32 v20, 1, v34
	v_mov_b32_e32 v21, v31
	v_lshl_add_u64 v[18:19], v[18:19], 0, v[20:21]
	global_load_dwordx4 v[18:21], v[18:19], off
.LBB481_50:
	s_or_b64 exec, exec, s[0:1]
	v_or_b32_e32 v23, 1, v23
	v_cmp_gt_i32_e64 s[0:1], s31, v23
	v_lshlrev_b32_e32 v36, 8, v23
	v_mov_b32_e32 v23, 0
	v_mov_b32_e32 v24, 0
	;; [unrolled: 1-line block ×3, first 2 shown]
	s_and_saveexec_b64 s[2:3], s[0:1]
	s_cbranch_execz .LBB481_52
; %bb.51:
	v_mov_b32_e32 v37, 0
	v_lshl_add_u64 v[22:23], s[4:5], 0, v[36:37]
	v_lshlrev_b32_e32 v24, 1, v34
	v_mov_b32_e32 v25, v37
	v_lshl_add_u64 v[22:23], v[22:23], 0, v[24:25]
	global_load_dwordx4 v[22:25], v[22:23], off
.LBB481_52:
	s_or_b64 exec, exec, s[2:3]
	v_mov_b32_e32 v33, 0
	v_mov_b32_e32 v26, 0
	;; [unrolled: 1-line block ×5, first 2 shown]
	s_and_saveexec_b64 s[2:3], vcc
	s_cbranch_execz .LBB481_54
; %bb.53:
	v_mov_b32_e32 v31, 0
	v_lshl_add_u64 v[26:27], s[4:5], 0, v[30:31]
	v_lshlrev_b32_e32 v30, 1, v34
	v_lshl_add_u64 v[26:27], v[26:27], 0, v[30:31]
	global_load_dwordx4 v[26:29], v[26:27], off offset:128
.LBB481_54:
	s_or_b64 exec, exec, s[2:3]
	v_mov_b32_e32 v32, 0
	v_mov_b32_e32 v31, 0
	;; [unrolled: 1-line block ×3, first 2 shown]
	s_and_saveexec_b64 s[2:3], s[0:1]
	s_cbranch_execz .LBB481_56
; %bb.55:
	v_mov_b32_e32 v37, 0
	v_lshl_add_u64 v[30:31], s[4:5], 0, v[36:37]
	v_lshlrev_b32_e32 v36, 1, v34
	v_lshl_add_u64 v[30:31], v[30:31], 0, v[36:37]
	global_load_dwordx4 v[30:33], v[30:31], off offset:128
.LBB481_56:
	s_or_b64 exec, exec, s[2:3]
	s_branch .LBB481_59
.LBB481_57:
                                        ; implicit-def: $vgpr21
                                        ; implicit-def: $vgpr25
                                        ; implicit-def: $vgpr29
                                        ; implicit-def: $vgpr33
	s_cbranch_execz .LBB481_59
; %bb.58:
	s_waitcnt vmcnt(0)
	v_lshlrev_b32_e32 v18, 1, v34
	v_lshl_or_b32 v34, v42, 9, v18
	s_and_b32 s5, s5, 0xffff
	s_mov_b32 s7, 0x20000
	s_movk_i32 s6, 0x4000
	s_movk_i32 s0, 0x80
	buffer_load_dwordx4 v[18:21], v34, s[4:7], 0 offen
	buffer_load_dwordx4 v[22:25], v34, s[4:7], 0 offen offset:256
	buffer_load_dwordx4 v[26:29], v34, s[4:7], s0 offen
	buffer_load_dwordx4 v[30:33], v34, s[4:7], s0 offen offset:256
.LBB481_59:
	ds_read_b64 v[36:37], v43 offset:32768
	v_add_u32_e32 v34, 0xb000, v40
	ds_read2_b64 v[58:61], v34 offset1:16
	ds_read_b64 v[48:49], v44 offset:32768
	ds_read_b64 v[44:45], v45 offset:32768
	;; [unrolled: 1-line block ×3, first 2 shown]
	v_and_b32_e32 v34, 6, v0
	v_xor_b32_e32 v42, v42, v34
	v_lshlrev_b32_e32 v42, 2, v42
	v_and_b32_e32 v43, 1, v0
	v_xor_b32_e32 v46, 0x440, v42
	v_cmp_eq_u32_e32 vcc, 0, v43
	s_waitcnt lgkmcnt(3)
	v_mfma_f32_16x16x16_bf16 a[0:3], v[36:37], v[58:59], a[0:3]
	s_mov_b32 s0, 0x1000504
	v_cndmask_b32_e32 v42, v46, v42, vcc
	v_lshl_or_b32 v34, v34, 10, v42
	v_mfma_f32_16x16x16_bf16 a[4:7], v[36:37], v[60:61], a[4:7]
	ds_read2st64_b64 v[58:61], v40 offset0:90 offset1:92
	ds_read2st64_b64 v[62:65], v41 offset0:90 offset1:92
	s_waitcnt vmcnt(0)
	v_perm_b32 v42, v18, v22, s0
	s_mov_b32 s1, 0x3020706
	s_waitcnt lgkmcnt(1)
	v_mfma_f32_16x16x16_bf16 a[0:3], v[48:49], v[58:59], a[0:3]
	ds_read_b64 v[36:37], v40 offset:48128
	ds_read_b64 v[58:59], v41 offset:48128
	v_perm_b32 v18, v18, v22, s1
	v_perm_b32 v22, v26, v30, s1
	s_waitcnt lgkmcnt(2)
	v_mfma_f32_16x16x16_bf16 a[4:7], v[48:49], v[62:63], a[4:7]
	v_and_or_b32 v43, v47, 12, v66
	v_cmp_gt_i32_e32 vcc, s31, v43
	v_mfma_f32_16x16x16_bf16 a[0:3], v[44:45], v[60:61], a[0:3]
	v_mfma_f32_16x16x16_bf16 a[8:11], v[44:45], v[64:65], a[4:7]
	s_waitcnt lgkmcnt(1)
	v_mfma_f32_16x16x16_bf16 a[4:7], v[68:69], v[36:37], a[0:3]
	v_perm_b32 v36, v26, v30, s0
	ds_write2st64_b32 v34, v42, v36 offset0:32 offset1:64
	v_xor_b32_e32 v36, 8, v34
	v_add_u32_e32 v26, 0x80, v36
	ds_write2st64_b32 v26, v18, v22 offset0:32 offset1:64
	v_xor_b32_e32 v18, 16, v34
	v_perm_b32 v22, v19, v23, s0
	v_perm_b32 v26, v27, v31, s0
	ds_write2st64_b32 v18, v22, v26 offset0:33 offset1:65
	v_xor_b32_e32 v18, 24, v34
	v_perm_b32 v19, v19, v23, s1
	v_perm_b32 v22, v27, v31, s1
	v_add_u32_e32 v18, 0x80, v18
	ds_write2st64_b32 v18, v19, v22 offset0:33 offset1:65
	v_xor_b32_e32 v18, 32, v34
	v_perm_b32 v19, v20, v24, s0
	v_perm_b32 v22, v28, v32, s0
	ds_write2st64_b32 v18, v19, v22 offset0:34 offset1:66
	v_xor_b32_e32 v18, 40, v34
	s_waitcnt lgkmcnt(5)
	v_mfma_f32_16x16x16_bf16 a[0:3], v[68:69], v[58:59], a[8:11]
	v_perm_b32 v19, v20, v24, s1
	v_perm_b32 v20, v28, v32, s1
	v_add_u32_e32 v18, 0x80, v18
	ds_write2st64_b32 v18, v19, v20 offset0:34 offset1:66
	v_xor_b32_e32 v18, 48, v34
	v_perm_b32 v19, v21, v25, s0
	v_perm_b32 v20, v29, v33, s0
	ds_write2st64_b32 v18, v19, v20 offset0:35 offset1:67
	v_xor_b32_e32 v18, 56, v34
	v_perm_b32 v19, v21, v25, s1
	v_perm_b32 v20, v29, v33, s1
	v_add_u32_e32 v18, 0x80, v18
	v_mov_b32_e32 v34, 0
	v_mov_b32_e32 v37, 0
	ds_write2st64_b32 v18, v19, v20 offset0:35 offset1:67
	s_and_saveexec_b64 s[0:1], vcc
	s_cbranch_execz .LBB481_61
; %bb.60:
	v_add_u32_e32 v18, s30, v43
	v_ashrrev_i32_e32 v19, 31, v18
	v_mul_lo_u32 v20, v19, s36
	v_mul_lo_u32 v21, v18, s37
	v_mad_u64_u32 v[18:19], s[2:3], v18, s36, 0
	v_add3_u32 v19, v19, v21, v20
	v_lshl_add_u64 v[18:19], v[18:19], 2, s[12:13]
	global_load_dword v18, v[18:19], off
	s_waitcnt vmcnt(0)
	v_sub_f32_e32 v18, s18, v18
	v_mul_f32_e32 v18, 0x3fb8aa3b, v18
	v_exp_f32_e32 v37, v18
.LBB481_61:
	s_or_b64 exec, exec, s[0:1]
	v_or_b32_e32 v29, 1, v43
	v_cmp_gt_i32_e64 s[0:1], s31, v29
	s_and_saveexec_b64 s[2:3], s[0:1]
	s_cbranch_execz .LBB481_63
; %bb.62:
	v_add_u32_e32 v18, s30, v29
	v_ashrrev_i32_e32 v19, 31, v18
	v_mul_lo_u32 v20, v19, s36
	v_mul_lo_u32 v21, v18, s37
	v_mad_u64_u32 v[18:19], s[4:5], v18, s36, 0
	v_add3_u32 v19, v19, v21, v20
	v_lshl_add_u64 v[18:19], v[18:19], 2, s[12:13]
	global_load_dword v18, v[18:19], off
	s_waitcnt vmcnt(0)
	v_sub_f32_e32 v18, s18, v18
	v_mul_f32_e32 v18, 0x3fb8aa3b, v18
	v_exp_f32_e32 v34, v18
.LBB481_63:
	s_or_b64 exec, exec, s[2:3]
	v_or_b32_e32 v28, 2, v43
	v_cmp_gt_i32_e64 s[2:3], s31, v28
	v_mov_b32_e32 v36, 0
	v_mov_b32_e32 v42, 0
	s_and_saveexec_b64 s[4:5], s[2:3]
	s_cbranch_execz .LBB481_65
; %bb.64:
	v_add_u32_e32 v18, s30, v28
	v_ashrrev_i32_e32 v19, 31, v18
	v_mul_lo_u32 v20, v19, s36
	v_mul_lo_u32 v21, v18, s37
	v_mad_u64_u32 v[18:19], s[6:7], v18, s36, 0
	v_add3_u32 v19, v19, v21, v20
	v_lshl_add_u64 v[18:19], v[18:19], 2, s[12:13]
	global_load_dword v18, v[18:19], off
	s_waitcnt vmcnt(0)
	v_sub_f32_e32 v18, s18, v18
	v_mul_f32_e32 v18, 0x3fb8aa3b, v18
	v_exp_f32_e32 v42, v18
.LBB481_65:
	s_or_b64 exec, exec, s[4:5]
	v_or_b32_e32 v44, 3, v43
	v_cmp_gt_i32_e64 s[4:5], s31, v44
	s_and_saveexec_b64 s[6:7], s[4:5]
	s_cbranch_execz .LBB481_67
; %bb.66:
	v_add_u32_e32 v18, s30, v44
	v_ashrrev_i32_e32 v19, 31, v18
	v_mul_lo_u32 v20, v19, s36
	v_mul_lo_u32 v21, v18, s37
	v_mad_u64_u32 v[18:19], s[14:15], v18, s36, 0
	v_add3_u32 v19, v19, v21, v20
	v_lshl_add_u64 v[18:19], v[18:19], 2, s[12:13]
	global_load_dword v18, v[18:19], off
	s_waitcnt vmcnt(0)
	v_sub_f32_e32 v18, s18, v18
	v_mul_f32_e32 v18, 0x3fb8aa3b, v18
	v_exp_f32_e32 v36, v18
.LBB481_67:
	s_or_b64 exec, exec, s[6:7]
	s_add_u32 s6, s16, s24
	s_addc_u32 s7, s17, s25
	s_add_u32 s8, s8, s24
	v_ashrrev_i32_e32 v57, 31, v56
	v_accvgpr_read_b32 v21, a7
	s_addc_u32 s9, s9, s25
	v_lshlrev_b64 v[22:23], 1, v[56:57]
	v_accvgpr_read_b32 v20, a6
	v_accvgpr_read_b32 v19, a5
	;; [unrolled: 1-line block ×3, first 2 shown]
	v_lshl_add_u64 v[24:25], s[6:7], 0, v[22:23]
	v_lshl_add_u64 v[22:23], s[8:9], 0, v[22:23]
	v_mov_b32_e32 v31, 0
	v_lshlrev_b32_e32 v26, 8, v43
	v_mov_b32_e32 v27, 0
	s_and_saveexec_b64 s[6:7], vcc
	s_cbranch_execz .LBB481_69
; %bb.68:
	v_mov_b32_e32 v27, 0
	v_lshl_add_u64 v[32:33], v[24:25], 0, v[26:27]
	global_load_ushort v30, v[32:33], off
	v_lshl_add_u64 v[32:33], v[22:23], 0, v[26:27]
	s_waitcnt vmcnt(0)
	v_lshlrev_b32_e32 v27, 16, v30
	v_sub_f32_e32 v18, v27, v18
	global_store_short_d16_hi v[32:33], v18, off
	v_mul_f32_e32 v18, v37, v18
	v_lshrrev_b32_e32 v27, 16, v18
.LBB481_69:
	s_or_b64 exec, exec, s[6:7]
	v_lshlrev_b32_e32 v30, 8, v29
	s_and_saveexec_b64 s[6:7], s[0:1]
	s_cbranch_execz .LBB481_71
; %bb.70:
	v_mov_b32_e32 v31, 0
	v_lshl_add_u64 v[32:33], v[24:25], 0, v[30:31]
	global_load_ushort v18, v[32:33], off
	v_lshl_add_u64 v[32:33], v[22:23], 0, v[30:31]
	s_waitcnt vmcnt(0)
	v_lshlrev_b32_e32 v18, 16, v18
	v_sub_f32_e32 v18, v18, v19
	global_store_short_d16_hi v[32:33], v18, off
	v_mul_f32_e32 v18, v34, v18
	v_lshrrev_b32_e32 v31, 16, v18
.LBB481_71:
	s_or_b64 exec, exec, s[6:7]
	v_mov_b32_e32 v29, 0
	v_lshlrev_b32_e32 v32, 8, v28
	v_mov_b32_e32 v33, 0
	s_and_saveexec_b64 s[6:7], s[2:3]
	s_cbranch_execz .LBB481_73
; %bb.72:
	v_mov_b32_e32 v33, 0
	v_lshl_add_u64 v[18:19], v[24:25], 0, v[32:33]
	global_load_ushort v28, v[18:19], off
	v_lshl_add_u64 v[18:19], v[22:23], 0, v[32:33]
	s_waitcnt vmcnt(0)
	v_lshlrev_b32_e32 v28, 16, v28
	v_sub_f32_e32 v20, v28, v20
	global_store_short_d16_hi v[18:19], v20, off
	v_mul_f32_e32 v18, v42, v20
	v_lshrrev_b32_e32 v33, 16, v18
.LBB481_73:
	s_or_b64 exec, exec, s[6:7]
	v_lshlrev_b32_e32 v28, 8, v44
	s_and_saveexec_b64 s[6:7], s[4:5]
	s_cbranch_execz .LBB481_75
; %bb.74:
	v_mov_b32_e32 v29, 0
	v_lshl_add_u64 v[18:19], v[24:25], 0, v[28:29]
	global_load_ushort v20, v[18:19], off
	v_lshl_add_u64 v[18:19], v[22:23], 0, v[28:29]
	s_waitcnt vmcnt(0)
	v_lshlrev_b32_e32 v20, 16, v20
	v_sub_f32_e32 v20, v20, v21
	global_store_short_d16_hi v[18:19], v20, off
	v_mul_f32_e32 v18, v36, v20
	v_lshrrev_b32_e32 v29, 16, v18
.LBB481_75:
	s_or_b64 exec, exec, s[6:7]
	v_lshlrev_b32_e32 v43, 5, v43
	s_mov_b32 s6, 0x5040100
	v_perm_b32 v44, v31, v27, s6
	v_or_b32_e32 v27, v43, v38
	v_accvgpr_read_b32 v21, a3
	v_perm_b32 v45, v29, v33, s6
	v_lshlrev_b32_e32 v27, 1, v27
	v_accvgpr_read_b32 v20, a2
	v_accvgpr_read_b32 v19, a1
	;; [unrolled: 1-line block ×3, first 2 shown]
	ds_write_b64 v27, v[44:45] offset:45056
	v_mov_b32_e32 v31, 0
	v_mov_b32_e32 v27, 0
	s_and_saveexec_b64 s[6:7], vcc
	s_cbranch_execz .LBB481_77
; %bb.76:
	v_mov_b32_e32 v27, 0
	v_lshl_add_u64 v[44:45], v[24:25], 0, v[26:27]
	global_load_ushort v29, v[44:45], off offset:32
	v_lshl_add_u64 v[26:27], v[22:23], 0, v[26:27]
	s_waitcnt vmcnt(0)
	v_lshlrev_b32_e32 v29, 16, v29
	v_sub_f32_e32 v18, v29, v18
	global_store_short_d16_hi v[26:27], v18, off offset:32
	v_mul_f32_e32 v18, v37, v18
	v_lshrrev_b32_e32 v27, 16, v18
.LBB481_77:
	s_or_b64 exec, exec, s[6:7]
	s_and_saveexec_b64 s[6:7], s[0:1]
	s_cbranch_execz .LBB481_79
; %bb.78:
	v_mov_b32_e32 v31, 0
	v_lshl_add_u64 v[44:45], v[24:25], 0, v[30:31]
	global_load_ushort v18, v[44:45], off offset:32
	v_lshl_add_u64 v[30:31], v[22:23], 0, v[30:31]
	s_waitcnt vmcnt(0)
	v_lshlrev_b32_e32 v18, 16, v18
	v_sub_f32_e32 v18, v18, v19
	global_store_short_d16_hi v[30:31], v18, off offset:32
	v_mul_f32_e32 v18, v34, v18
	v_lshrrev_b32_e32 v31, 16, v18
.LBB481_79:
	s_or_b64 exec, exec, s[6:7]
	v_mov_b32_e32 v26, 0
	v_mov_b32_e32 v30, 0
	s_and_saveexec_b64 s[0:1], s[2:3]
	s_cbranch_execz .LBB481_81
; %bb.80:
	v_mov_b32_e32 v33, 0
	v_lshl_add_u64 v[18:19], v[24:25], 0, v[32:33]
	global_load_ushort v29, v[18:19], off offset:32
	v_lshl_add_u64 v[18:19], v[22:23], 0, v[32:33]
	s_waitcnt vmcnt(0)
	v_lshlrev_b32_e32 v29, 16, v29
	v_sub_f32_e32 v20, v29, v20
	global_store_short_d16_hi v[18:19], v20, off offset:32
	v_mul_f32_e32 v18, v42, v20
	v_lshrrev_b32_e32 v30, 16, v18
.LBB481_81:
	s_or_b64 exec, exec, s[0:1]
	v_or_b32_e32 v19, 0xb000, v40
	v_or_b32_e32 v18, 0xb000, v41
	s_and_saveexec_b64 s[0:1], s[4:5]
	s_cbranch_execz .LBB481_83
; %bb.82:
	v_mov_b32_e32 v29, 0
	v_lshl_add_u64 v[24:25], v[24:25], 0, v[28:29]
	global_load_ushort v20, v[24:25], off offset:32
	v_lshl_add_u64 v[22:23], v[22:23], 0, v[28:29]
	s_waitcnt vmcnt(0)
	v_lshlrev_b32_e32 v20, 16, v20
	v_sub_f32_e32 v20, v20, v21
	global_store_short_d16_hi v[22:23], v20, off offset:32
	v_mul_f32_e32 v20, v36, v20
	v_lshrrev_b32_e32 v26, 16, v20
.LBB481_83:
	s_or_b64 exec, exec, s[0:1]
	s_mov_b32 s0, 0x5040100
	v_or_b32_e32 v22, v43, v35
	v_perm_b32 v21, v26, v30, s0
	v_perm_b32 v20, v31, v27, s0
	v_lshlrev_b32_e32 v22, 1, v22
	s_movk_i32 s0, 0x100
	ds_write_b64 v22, v[20:21] offset:45056
	v_and_b32_e32 v20, 7, v0
	v_and_b32_e32 v21, 8, v0
	v_cmp_gt_u32_e32 vcc, s0, v0
	v_lshrrev_b32_e32 v0, 1, v0
	v_lshlrev_b32_e32 v37, 3, v1
	v_and_b32_e32 v38, 24, v0
	v_lshlrev_b32_e32 v34, 3, v20
	v_lshlrev_b32_e32 v35, 7, v20
	v_mov_b32_e32 v20, 0x4000
	v_mov_b32_e32 v22, 0x2000
	v_xor_b32_e32 v0, v37, v38
	v_cndmask_b32_e32 v36, v20, v22, vcc
	v_or_b32_e32 v1, 0x440, v0
	v_cmp_eq_u32_e32 vcc, 0, v21
	s_waitcnt lgkmcnt(0)
	s_barrier
	v_cndmask_b32_e32 v0, v1, v0, vcc
	v_or_b32_e32 v0, v0, v39
	v_xad_u32 v40, v0, v34, v35
	v_add_u32_e32 v0, v36, v40
	ds_read_b64 v[0:1], v0
	ds_read2_b64 v[20:23], v19 offset1:16
	v_or_b32_e32 v24, 32, v38
	v_xor_b32_e32 v24, v37, v24
	v_or_b32_e32 v25, 0x440, v24
	v_cndmask_b32_e32 v24, v25, v24, vcc
	s_waitcnt lgkmcnt(0)
	v_mfma_f32_16x16x16_bf16 a[0:3], v[0:1], v[20:21], 0
	v_or_b32_e32 v24, v24, v39
	v_xad_u32 v41, v24, v34, v35
	v_add_u32_e32 v24, v36, v41
	v_mfma_f32_16x16x16_bf16 a[4:7], v[0:1], v[22:23], 0
	v_or_b32_e32 v0, 64, v38
	v_xor_b32_e32 v0, v37, v0
	v_xor_b32_e32 v1, 0x440, v0
	ds_read_b64 v[32:33], v24
	v_cndmask_b32_e32 v0, v1, v0, vcc
	v_or_b32_e32 v0, v0, v39
	v_xad_u32 v42, v0, v34, v35
	v_add_u32_e32 v0, v36, v42
	ds_read_b64 v[0:1], v0
	ds_read2st64_b64 v[24:27], v19 offset0:2 offset1:4
	ds_read2st64_b64 v[28:31], v18 offset0:2 offset1:4
	s_waitcnt lgkmcnt(1)
	v_mfma_f32_16x16x16_bf16 a[0:3], v[32:33], v[24:25], a[0:3]
	s_waitcnt lgkmcnt(0)
	v_mfma_f32_16x16x16_bf16 a[4:7], v[32:33], v[28:29], a[4:7]
	v_or_b32_e32 v32, 0x60, v38
	v_xor_b32_e32 v32, v37, v32
	v_xor_b32_e32 v33, 0x440, v32
	v_cndmask_b32_e32 v32, v33, v32, vcc
	v_or_b32_e32 v32, v32, v39
	v_xad_u32 v37, v32, v34, v35
	v_add_u32_e32 v32, v36, v37
	ds_read_b64 v[32:33], v32
	v_mfma_f32_16x16x16_bf16 a[0:3], v[0:1], v[26:27], a[0:3]
	v_mov_b32_e32 v36, 0x3fb8aa3b
	v_mfma_f32_16x16x16_bf16 a[4:7], v[0:1], v[30:31], a[4:7]
	ds_read_b64 v[0:1], v19 offset:3072
	ds_read_b64 v[34:35], v18 offset:3072
	;; [unrolled: 1-line block ×3, first 2 shown]
	s_waitcnt lgkmcnt(2)
	v_mfma_f32_16x16x16_bf16 a[0:3], v[32:33], v[0:1], a[0:3]
	s_waitcnt lgkmcnt(1)
	v_mfma_f32_16x16x16_bf16 a[4:7], v[32:33], v[34:35], a[4:7]
	ds_read_b64 v[32:33], v41 offset:16384
	s_waitcnt lgkmcnt(1)
	v_mfma_f32_16x16x16_bf16 a[8:11], v[18:19], v[20:21], 0
	v_mul_f32_e32 v20, s18, v36
	v_exp_f32_e32 v36, v20
	v_accvgpr_read_b32 v21, a3
	v_mfma_f32_16x16x16_bf16 a[12:15], v[18:19], v[22:23], 0
	ds_read_b64 v[22:23], v42 offset:16384
	v_accvgpr_read_b32 v18, a0
	v_fma_f32 v18, v2, v36, v18
	v_accvgpr_read_b32 v2, a1
	v_fma_f32 v19, v3, v36, v2
	;; [unrolled: 2-line block ×3, first 2 shown]
	ds_read_b64 v[2:3], v37 offset:16384
	s_waitcnt lgkmcnt(2)
	v_mfma_f32_16x16x16_bf16 a[8:11], v[32:33], v[24:25], a[8:11]
	v_accvgpr_read_b32 v4, a4
	v_fmac_f32_e32 v21, v5, v36
	v_mfma_f32_16x16x16_bf16 a[12:15], v[32:33], v[28:29], a[12:15]
	v_accvgpr_read_b32 v29, a7
	v_fmac_f32_e32 v29, v13, v36
	s_waitcnt lgkmcnt(1)
	v_mfma_f32_16x16x16_bf16 a[0:3], v[22:23], v[26:27], a[8:11]
	v_fma_f32 v26, v10, v36, v4
	v_accvgpr_read_b32 v4, a5
	v_fma_f32 v27, v11, v36, v4
	v_mfma_f32_16x16x16_bf16 a[8:11], v[22:23], v[30:31], a[12:15]
	v_accvgpr_read_b32 v4, a6
	v_fma_f32 v28, v12, v36, v4
	s_waitcnt lgkmcnt(0)
	v_mfma_f32_16x16x16_bf16 a[0:3], v[2:3], v[0:1], a[0:3]
	v_mfma_f32_16x16x16_bf16 a[4:7], v[2:3], v[34:35], a[8:11]
	s_nop 5
	v_accvgpr_read_b32 v0, a0
	v_fma_f32 v22, v6, v36, v0
	v_accvgpr_read_b32 v0, a1
	v_fma_f32 v23, v7, v36, v0
	;; [unrolled: 2-line block ×4, first 2 shown]
	v_accvgpr_read_b32 v0, a5
	v_accvgpr_read_b32 v25, a3
	v_fma_f32 v31, v15, v36, v0
	v_accvgpr_read_b32 v0, a6
	v_accvgpr_read_b32 v33, a7
	v_fmac_f32_e32 v25, v9, v36
	v_fma_f32 v32, v16, v36, v0
	v_fmac_f32_e32 v33, v17, v36
	v_mov_b64_e32 v[2:3], v[18:19]
	v_mov_b64_e32 v[4:5], v[20:21]
	v_mov_b64_e32 v[6:7], v[22:23]
	v_mov_b64_e32 v[8:9], v[24:25]
	v_mov_b64_e32 v[10:11], v[26:27]
	v_mov_b64_e32 v[12:13], v[28:29]
	v_mov_b64_e32 v[14:15], v[30:31]
	v_mov_b64_e32 v[16:17], v[32:33]
.LBB481_84:
	s_add_u32 s0, s10, s34
	s_addc_u32 s1, s11, s35
	v_lshl_add_u64 v[0:1], v[52:53], 2, s[0:1]
	v_mov_b32_e32 v51, 0
	v_lshl_add_u64 v[0:1], v[0:1], 0, v[50:51]
	s_waitcnt vmcnt(3)
	global_store_dwordx4 v[0:1], v[2:5], off
	s_waitcnt vmcnt(3)
	global_store_dwordx4 v[0:1], v[6:9], off offset:256
	v_lshl_add_u64 v[0:1], v[54:55], 2, s[0:1]
	v_lshl_add_u64 v[0:1], v[0:1], 0, v[50:51]
	s_waitcnt vmcnt(3)
	global_store_dwordx4 v[0:1], v[10:13], off
	s_waitcnt vmcnt(3)
	global_store_dwordx4 v[0:1], v[14:17], off offset:256
	s_endpgm
	.section	.rodata,"a",@progbits
	.p2align	6, 0x0
	.amdhsa_kernel _ZN12_GLOBAL__N_139chunk_gated_delta_rule_fwd_h_hip_kernelILi32ELb1ELb1ELb1ELb1ELb0ELb0ELb1ELb0EEEvPK12hip_bfloat16S3_S3_PKfS5_PKvPS1_S8_PvPKiSB_iiiiilll
		.amdhsa_group_segment_fixed_size 49152
		.amdhsa_private_segment_fixed_size 0
		.amdhsa_kernarg_size 136
		.amdhsa_user_sgpr_count 2
		.amdhsa_user_sgpr_dispatch_ptr 0
		.amdhsa_user_sgpr_queue_ptr 0
		.amdhsa_user_sgpr_kernarg_segment_ptr 1
		.amdhsa_user_sgpr_dispatch_id 0
		.amdhsa_user_sgpr_kernarg_preload_length 0
		.amdhsa_user_sgpr_kernarg_preload_offset 0
		.amdhsa_user_sgpr_private_segment_size 0
		.amdhsa_uses_dynamic_stack 0
		.amdhsa_enable_private_segment 0
		.amdhsa_system_sgpr_workgroup_id_x 1
		.amdhsa_system_sgpr_workgroup_id_y 1
		.amdhsa_system_sgpr_workgroup_id_z 0
		.amdhsa_system_sgpr_workgroup_info 0
		.amdhsa_system_vgpr_workitem_id 0
		.amdhsa_next_free_vgpr 156
		.amdhsa_next_free_sgpr 68
		.amdhsa_accum_offset 140
		.amdhsa_reserve_vcc 1
		.amdhsa_float_round_mode_32 0
		.amdhsa_float_round_mode_16_64 0
		.amdhsa_float_denorm_mode_32 3
		.amdhsa_float_denorm_mode_16_64 3
		.amdhsa_dx10_clamp 1
		.amdhsa_ieee_mode 1
		.amdhsa_fp16_overflow 0
		.amdhsa_tg_split 0
		.amdhsa_exception_fp_ieee_invalid_op 0
		.amdhsa_exception_fp_denorm_src 0
		.amdhsa_exception_fp_ieee_div_zero 0
		.amdhsa_exception_fp_ieee_overflow 0
		.amdhsa_exception_fp_ieee_underflow 0
		.amdhsa_exception_fp_ieee_inexact 0
		.amdhsa_exception_int_div_zero 0
	.end_amdhsa_kernel
	.section	.text._ZN12_GLOBAL__N_139chunk_gated_delta_rule_fwd_h_hip_kernelILi32ELb1ELb1ELb1ELb1ELb0ELb0ELb1ELb0EEEvPK12hip_bfloat16S3_S3_PKfS5_PKvPS1_S8_PvPKiSB_iiiiilll,"axG",@progbits,_ZN12_GLOBAL__N_139chunk_gated_delta_rule_fwd_h_hip_kernelILi32ELb1ELb1ELb1ELb1ELb0ELb0ELb1ELb0EEEvPK12hip_bfloat16S3_S3_PKfS5_PKvPS1_S8_PvPKiSB_iiiiilll,comdat
.Lfunc_end481:
	.size	_ZN12_GLOBAL__N_139chunk_gated_delta_rule_fwd_h_hip_kernelILi32ELb1ELb1ELb1ELb1ELb0ELb0ELb1ELb0EEEvPK12hip_bfloat16S3_S3_PKfS5_PKvPS1_S8_PvPKiSB_iiiiilll, .Lfunc_end481-_ZN12_GLOBAL__N_139chunk_gated_delta_rule_fwd_h_hip_kernelILi32ELb1ELb1ELb1ELb1ELb0ELb0ELb1ELb0EEEvPK12hip_bfloat16S3_S3_PKfS5_PKvPS1_S8_PvPKiSB_iiiiilll
                                        ; -- End function
	.section	.AMDGPU.csdata,"",@progbits
; Kernel info:
; codeLenInByte = 9456
; NumSgprs: 74
; NumVgprs: 138
; NumAgprs: 16
; TotalNumVgprs: 156
; ScratchSize: 0
; MemoryBound: 0
; FloatMode: 240
; IeeeMode: 1
; LDSByteSize: 49152 bytes/workgroup (compile time only)
; SGPRBlocks: 9
; VGPRBlocks: 19
; NumSGPRsForWavesPerEU: 74
; NumVGPRsForWavesPerEU: 156
; AccumOffset: 140
; Occupancy: 1
; WaveLimiterHint : 1
; COMPUTE_PGM_RSRC2:SCRATCH_EN: 0
; COMPUTE_PGM_RSRC2:USER_SGPR: 2
; COMPUTE_PGM_RSRC2:TRAP_HANDLER: 0
; COMPUTE_PGM_RSRC2:TGID_X_EN: 1
; COMPUTE_PGM_RSRC2:TGID_Y_EN: 1
; COMPUTE_PGM_RSRC2:TGID_Z_EN: 0
; COMPUTE_PGM_RSRC2:TIDIG_COMP_CNT: 0
; COMPUTE_PGM_RSRC3_GFX90A:ACCUM_OFFSET: 34
; COMPUTE_PGM_RSRC3_GFX90A:TG_SPLIT: 0
	.section	.text._ZN12_GLOBAL__N_139chunk_gated_delta_rule_fwd_h_hip_kernelILi32ELb1ELb1ELb0ELb1ELb0ELb0ELb1ELb0EEEvPK12hip_bfloat16S3_S3_PKfS5_PKvPS1_S8_PvPKiSB_iiiiilll,"axG",@progbits,_ZN12_GLOBAL__N_139chunk_gated_delta_rule_fwd_h_hip_kernelILi32ELb1ELb1ELb0ELb1ELb0ELb0ELb1ELb0EEEvPK12hip_bfloat16S3_S3_PKfS5_PKvPS1_S8_PvPKiSB_iiiiilll,comdat
	.globl	_ZN12_GLOBAL__N_139chunk_gated_delta_rule_fwd_h_hip_kernelILi32ELb1ELb1ELb0ELb1ELb0ELb0ELb1ELb0EEEvPK12hip_bfloat16S3_S3_PKfS5_PKvPS1_S8_PvPKiSB_iiiiilll ; -- Begin function _ZN12_GLOBAL__N_139chunk_gated_delta_rule_fwd_h_hip_kernelILi32ELb1ELb1ELb0ELb1ELb0ELb0ELb1ELb0EEEvPK12hip_bfloat16S3_S3_PKfS5_PKvPS1_S8_PvPKiSB_iiiiilll
	.p2align	8
	.type	_ZN12_GLOBAL__N_139chunk_gated_delta_rule_fwd_h_hip_kernelILi32ELb1ELb1ELb0ELb1ELb0ELb0ELb1ELb0EEEvPK12hip_bfloat16S3_S3_PKfS5_PKvPS1_S8_PvPKiSB_iiiiilll,@function
_ZN12_GLOBAL__N_139chunk_gated_delta_rule_fwd_h_hip_kernelILi32ELb1ELb1ELb0ELb1ELb0ELb0ELb1ELb0EEEvPK12hip_bfloat16S3_S3_PKfS5_PKvPS1_S8_PvPKiSB_iiiiilll: ; @_ZN12_GLOBAL__N_139chunk_gated_delta_rule_fwd_h_hip_kernelILi32ELb1ELb1ELb0ELb1ELb0ELb0ELb1ELb0EEEvPK12hip_bfloat16S3_S3_PKfS5_PKvPS1_S8_PvPKiSB_iiiiilll
; %bb.0:
	s_load_dwordx4 s[16:19], s[0:1], 0x5c
	s_load_dwordx2 s[4:5], s[0:1], 0x50
	s_abs_i32 s7, s3
	s_ashr_i32 s6, s3, 31
	s_load_dwordx4 s[12:15], s[0:1], 0x40
	s_load_dwordx4 s[20:23], s[0:1], 0x28
	s_waitcnt lgkmcnt(0)
	s_abs_i32 s10, s17
	v_cvt_f32_u32_e32 v1, s10
	s_sub_i32 s8, 0, s10
	s_ashr_i32 s11, s17, 31
	s_xor_b32 s6, s6, s11
	v_rcp_iflag_f32_e32 v1, v1
	v_and_b32_e32 v66, 15, v0
	v_bfe_u32 v65, v0, 4, 2
	v_mov_b32_e32 v51, 0
	v_mul_f32_e32 v1, 0x4f7ffffe, v1
	v_cvt_u32_f32_e32 v1, v1
	v_lshlrev_b32_e32 v67, 3, v0
	v_readfirstlane_b32 s9, v1
	s_mul_i32 s8, s8, s9
	s_mul_hi_u32 s8, s9, s8
	s_add_i32 s9, s9, s8
	s_mul_hi_u32 s8, s7, s9
	s_mul_i32 s9, s8, s10
	s_sub_i32 s7, s7, s9
	s_add_i32 s24, s8, 1
	s_sub_i32 s9, s7, s10
	s_cmp_ge_u32 s7, s10
	s_cselect_b32 s8, s24, s8
	s_cselect_b32 s7, s9, s7
	s_add_i32 s9, s8, 1
	s_cmp_ge_u32 s7, s10
	s_cselect_b32 s7, s9, s8
	s_xor_b32 s7, s7, s6
	s_sub_i32 s24, s7, s6
	s_mul_i32 s28, s24, s17
	s_ashr_i32 s25, s24, 31
	s_sub_i32 s49, s3, s28
	s_lshl_b64 s[6:7], s[24:25], 2
	s_add_u32 s8, s14, s6
	s_addc_u32 s9, s15, s7
	s_add_u32 s26, s4, s6
	s_addc_u32 s27, s5, s7
	s_abs_i32 s3, s18
	v_cvt_f32_u32_e32 v1, s3
	s_load_dwordx2 s[36:37], s[8:9], 0x0
	s_sub_i32 s5, 0, s3
	s_lshl_b32 s2, s2, 5
	v_rcp_iflag_f32_e32 v1, v1
	v_or_b32_e32 v56, s2, v66
	s_waitcnt lgkmcnt(0)
	s_sub_i32 s52, s37, s36
	s_ashr_i32 s4, s52, 31
	v_mul_f32_e32 v1, 0x4f7ffffe, v1
	v_cvt_u32_f32_e32 v1, v1
	s_lshr_b32 s4, s4, 26
	s_add_i32 s4, s52, s4
	s_ashr_i32 s50, s4, 6
	v_readfirstlane_b32 s6, v1
	s_mul_i32 s5, s5, s6
	s_mul_hi_u32 s5, s6, s5
	s_add_i32 s6, s6, s5
	s_mul_hi_u32 s5, s10, s6
	s_mul_i32 s6, s5, s3
	s_ashr_i32 s4, s18, 31
	s_sub_i32 s6, s10, s6
	s_xor_b32 s4, s11, s4
	s_add_i32 s7, s5, 1
	s_sub_i32 s8, s6, s3
	s_cmp_ge_u32 s6, s3
	s_cselect_b32 s5, s7, s5
	s_cselect_b32 s6, s8, s6
	s_add_i32 s7, s5, 1
	s_cmp_ge_u32 s6, s3
	s_cselect_b32 s3, s7, s5
	s_xor_b32 s3, s3, s4
	s_sub_i32 s3, s3, s4
	s_abs_i32 s4, s3
	v_cvt_f32_u32_e32 v1, s4
	s_sub_i32 s6, 0, s4
	s_abs_i32 s5, s49
	s_xor_b32 s3, s49, s3
	v_rcp_iflag_f32_e32 v2, v1
	s_ashr_i32 s3, s3, 31
	v_lshrrev_b32_e32 v1, 6, v0
	v_lshlrev_b32_e32 v64, 4, v1
	v_mul_f32_e32 v2, 0x4f7ffffe, v2
	v_cvt_u32_f32_e32 v2, v2
	v_lshlrev_b32_e32 v52, 7, v56
	v_lshl_or_b32 v69, v65, 2, v64
	v_ashrrev_i32_e32 v53, 31, v52
	v_readfirstlane_b32 s7, v2
	s_mul_i32 s6, s6, s7
	s_mul_hi_u32 s6, s7, s6
	s_add_i32 s7, s7, s6
	s_mul_hi_u32 s6, s5, s7
	s_mul_i32 s7, s6, s4
	s_sub_i32 s5, s5, s7
	s_add_i32 s7, s6, 1
	s_sub_i32 s8, s5, s4
	s_cmp_ge_u32 s5, s4
	s_cselect_b32 s6, s7, s6
	s_cselect_b32 s5, s8, s5
	s_add_i32 s7, s6, 1
	s_cmp_ge_u32 s5, s4
	s_cselect_b32 s4, s7, s6
	s_xor_b32 s4, s4, s3
	s_sub_i32 s53, s4, s3
	s_ashr_i32 s51, s49, 31
	s_mul_hi_i32 s3, s24, s17
	s_add_u32 s4, s28, s49
	s_addc_u32 s5, s3, s51
	s_lshl_b64 s[14:15], s[4:5], 16
	s_add_u32 s4, s20, s14
	s_addc_u32 s5, s21, s15
	v_lshl_add_u64 v[2:3], v[52:53], 2, s[4:5]
	v_lshlrev_b32_e32 v50, 2, v69
	v_or_b32_e32 v54, 0x800, v52
	v_lshl_add_u64 v[10:11], v[2:3], 0, v[50:51]
	v_ashrrev_i32_e32 v55, 31, v54
	global_load_dwordx4 v[2:5], v[10:11], off
	global_load_dwordx4 v[6:9], v[10:11], off offset:256
	v_lshl_add_u64 v[10:11], v[54:55], 2, s[4:5]
	v_lshl_add_u64 v[18:19], v[10:11], 0, v[50:51]
	global_load_dwordx4 v[10:13], v[18:19], off
	global_load_dwordx4 v[14:17], v[18:19], off offset:256
	s_load_dwordx8 s[4:11], s[0:1], 0x0
	s_load_dwordx2 s[34:35], s[0:1], 0x80
	s_load_dwordx4 s[28:31], s[0:1], 0x70
	s_load_dword s54, s[26:27], 0x0
	v_and_b32_e32 v51, 63, v0
	v_or_b32_e32 v70, 64, v69
	s_cmp_lt_i32 s52, 64
	s_mul_hi_i32 s55, s49, s16
	s_mul_i32 s56, s49, s16
	v_lshrrev_b32_e32 v68, 3, v51
	s_waitcnt lgkmcnt(0)
	s_mul_i32 s33, s24, s29
	s_mul_hi_u32 s45, s24, s28
	s_mul_i32 s46, s25, s28
	s_mul_i32 s38, s24, s28
	;; [unrolled: 1-line block ×3, first 2 shown]
	s_mul_hi_u32 s47, s49, s30
	s_mul_i32 s48, s51, s30
	s_mul_i32 s40, s49, s30
	s_cbranch_scc1 .LBB482_19
; %bb.1:
	s_ashr_i32 s1, s36, 31
	s_add_u32 s0, s56, s36
	s_addc_u32 s1, s55, s1
	s_lshl_b64 s[0:1], s[0:1], 8
	v_and_b32_e32 v72, 56, v67
	s_add_u32 s24, s6, s0
	v_lshl_or_b32 v71, v1, 3, v68
	v_lshlrev_b32_e32 v18, 1, v72
	s_addc_u32 s0, s7, s1
	v_lshl_or_b32 v73, v71, 8, v18
	s_and_b32 s25, s0, 0xffff
	s_mov_b32 s27, 0x20000
	s_movk_i32 s26, 0x4000
	s_movk_i32 s0, 0x80
	v_or_b32_e32 v74, 0x2000, v73
	buffer_load_dwordx4 v[20:23], v73, s[24:27], 0 offen
	buffer_load_dwordx4 v[24:27], v73, s[24:27], s0 offen
	;; [unrolled: 1-line block ×4, first 2 shown]
	v_lshlrev_b32_e32 v19, 3, v71
	v_and_or_b32 v37, v0, 7, v19
	v_and_b32_e32 v19, 0x78, v19
	v_lshlrev_b32_e32 v37, 4, v37
	v_xor_b32_e32 v75, v37, v19
	v_mul_lo_u32 v36, v71, s19
	v_or_b32_e32 v76, 0x1000, v75
	v_xor_b32_e32 v19, 8, v75
	s_cmpk_eq_i32 s19, 0x80
	s_mov_b32 s57, s36
	v_xor_b32_e32 v37, 8, v76
	s_cselect_b64 s[0:1], -1, 0
	s_cmpk_lg_i32 s19, 0x80
	s_waitcnt vmcnt(3)
	ds_write_b64 v75, v[20:21] offset:24576
	ds_write_b64 v19, v[22:23] offset:24576
	s_waitcnt vmcnt(2)
	ds_write_b64 v75, v[24:25] offset:32768
	ds_write_b64 v19, v[26:27] offset:32768
	;; [unrolled: 3-line block ×4, first 2 shown]
	v_lshl_add_u32 v19, v36, 1, v72
	s_cbranch_scc0 .LBB482_3
; %bb.2:
	v_lshlrev_b32_e32 v21, 1, v19
	v_add_lshl_u32 v20, v19, s19, 1
	s_lshl_b32 s26, s19, 7
	v_lshl_or_b32 v18, v71, 9, v18
	s_cbranch_execz .LBB482_4
	s_branch .LBB482_5
.LBB482_3:
                                        ; implicit-def: $vgpr20
                                        ; implicit-def: $vgpr21
                                        ; implicit-def: $sgpr26
	v_lshl_or_b32 v18, v71, 9, v18
.LBB482_4:
	v_or_b32_e32 v20, 0x100, v18
	s_movk_i32 s26, 0x4000
	v_mov_b32_e32 v21, v18
.LBB482_5:
	s_mul_i32 s20, s36, s18
	s_ashr_i32 s58, s53, 31
	s_mul_hi_i32 s3, s36, s18
	s_add_u32 s20, s20, s53
	s_addc_u32 s21, s3, s58
	s_lshl_b64 s[20:21], s[20:21], 8
	s_add_u32 s24, s4, s20
	s_addc_u32 s3, s5, s21
	s_and_b32 s25, s3, 0xffff
	s_movk_i32 s59, 0x80
	buffer_load_dwordx4 v[22:25], v21, s[24:27], 0 offen
	buffer_load_dwordx4 v[26:29], v21, s[24:27], s59 offen
	;; [unrolled: 1-line block ×4, first 2 shown]
	v_and_b32_e32 v20, 6, v0
	v_lshlrev_b32_e32 v39, 6, v69
	v_or_b32_e32 v41, 16, v66
	v_xor_b32_e32 v42, v71, v20
	v_and_b32_e32 v21, 1, v0
	v_lshl_or_b32 v45, v66, 3, v39
	v_lshl_or_b32 v39, v41, 3, v39
	v_lshlrev_b32_e32 v42, 2, v42
	v_lshlrev_b32_e32 v38, 2, v66
	v_or_b32_e32 v79, 0xa000, v39
	v_or_b32_e32 v80, 0xb000, v39
	v_xor_b32_e32 v39, 0x440, v42
	v_cmp_eq_u32_e32 vcc, 0, v21
	s_add_i32 s3, s45, s33
	v_xor_b32_e32 v43, v69, v38
	v_xor_b32_e32 v44, v70, v38
	v_cndmask_b32_e32 v21, v39, v42, vcc
	s_add_i32 s20, s47, s44
	s_add_i32 s39, s3, s46
	s_mov_b32 s60, 0x1000504
	v_lshlrev_b32_e32 v40, 8, v66
	v_lshlrev_b32_e32 v41, 8, v41
	;; [unrolled: 1-line block ×4, first 2 shown]
	v_lshl_or_b32 v20, v20, 10, v21
	s_add_i32 s41, s20, s48
	s_lshl_b64 s[20:21], s[38:39], 2
	s_mov_b32 s61, 0x3020706
	v_or_b32_e32 v77, 0xa000, v45
	v_or_b32_e32 v78, 0xb000, v45
	;; [unrolled: 1-line block ×5, first 2 shown]
	v_xor_b32_e32 v21, 8, v20
	v_xor_b32_e32 v40, 24, v20
	;; [unrolled: 1-line block ×4, first 2 shown]
	s_add_u32 s3, s10, s20
	v_or_b32_e32 v83, v41, v43
	v_xor_b32_e32 v39, 16, v20
	v_xor_b32_e32 v41, 32, v20
	v_xor_b32_e32 v43, 48, v20
	v_add_u32_e32 v21, 0x80, v21
	v_add_u32_e32 v40, 0x80, v40
	;; [unrolled: 1-line block ×4, first 2 shown]
	s_addc_u32 s24, s11, s21
	s_lshl_b64 s[20:21], s[40:41], 2
	s_add_u32 s20, s3, s20
	s_movk_i32 s3, 0xf8
	s_addc_u32 s21, s24, s21
	s_lshl_b32 s30, s19, 7
	s_movk_i32 s28, 0x100
	v_mov_b32_e32 v59, 0
	v_lshlrev_b32_e32 v58, 4, v66
	v_cmp_gt_u32_e32 vcc, s28, v0
	v_ashrrev_i32_e32 v57, 31, v56
	s_mov_b32 s62, 0
	s_movk_i32 s39, 0x1000
	s_movk_i32 s26, 0x4000
	v_lshl_add_u64 v[60:61], v[56:57], 1, s[8:9]
	v_mov_b32_e32 v105, 0x3fb8aa3b
	s_waitcnt vmcnt(1)
	v_perm_b32 v45, v22, v30, s60
	s_waitcnt vmcnt(0)
	v_perm_b32 v46, v26, v34, s60
	v_perm_b32 v22, v22, v30, s61
	;; [unrolled: 1-line block ×15, first 2 shown]
	ds_write2st64_b32 v20, v45, v46 offset0:32 offset1:64
	ds_write2st64_b32 v21, v22, v26 offset0:32 offset1:64
	;; [unrolled: 1-line block ×8, first 2 shown]
	v_or_b32_e32 v20, v64, v66
	v_lshlrev_b32_e32 v20, 3, v20
	v_lshrrev_b32_e32 v23, 5, v51
	v_and_or_b32 v23, v20, s3, v23
	v_lshlrev_b32_e32 v23, 4, v23
	v_lshlrev_b32_e32 v21, 11, v1
	v_and_b32_e32 v20, 0x78, v20
	v_or_b32_e32 v28, 32, v23
	v_and_b32_e32 v22, 0x1000, v21
	v_lshrrev_b32_e32 v25, 1, v0
	v_xor_b32_e32 v28, v28, v20
	v_and_b32_e32 v26, 8, v25
	v_or_b32_e32 v28, v28, v22
	v_xor_b32_e32 v24, v23, v20
	v_xor_b32_e32 v87, v28, v26
	v_or_b32_e32 v28, 64, v23
	v_or_b32_e32 v23, 0x60, v23
	s_ashr_i32 s3, s2, 31
	v_xor_b32_e32 v28, v28, v20
	v_xor_b32_e32 v20, v23, v20
	s_lshl_b64 s[24:25], s[2:3], 8
	v_or_b32_e32 v24, v24, v22
	v_or_b32_e32 v28, v28, v22
	;; [unrolled: 1-line block ×3, first 2 shown]
	s_add_u32 s24, s22, s24
	v_lshlrev_b32_e32 v22, 1, v66
	v_xor_b32_e32 v89, v28, v26
	v_lshrrev_b32_e32 v28, 4, v0
	s_addc_u32 s25, s23, s25
	v_or_b32_e32 v23, 1, v22
	v_mov_b32_e32 v32, 0x4000
	v_mov_b32_e32 v33, 0x2000
	v_xor_b32_e32 v29, v28, v22
	v_xor_b32_e32 v30, v23, v28
	v_lshl_add_u64 v[22:23], s[24:25], 0, v[58:59]
	v_lshlrev_b32_e32 v58, 8, v28
	v_cndmask_b32_e32 v32, v32, v33, vcc
	v_lshlrev_b32_e32 v33, 3, v1
	v_and_b32_e32 v25, 24, v25
	v_lshl_or_b32 v93, v29, 3, v58
	v_and_b32_e32 v29, 8, v0
	v_xor_b32_e32 v34, v33, v25
	v_or_b32_e32 v35, 0x440, v34
	v_cmp_eq_u32_e32 vcc, 0, v29
	v_and_b32_e32 v28, 7, v0
	v_xor_b32_e32 v85, v24, v26
	v_cndmask_b32_e32 v29, v35, v34, vcc
	v_lshlrev_b32_e32 v24, 7, v65
	v_lshl_or_b32 v94, v30, 3, v58
	v_lshlrev_b32_e32 v30, 3, v28
	v_lshlrev_b32_e32 v28, 7, v28
	v_lshlrev_b32_e32 v31, 2, v0
	v_or_b32_e32 v29, v29, v21
	v_or_b32_e32 v27, v24, v38
	v_xad_u32 v95, v29, v30, v28
	v_and_or_b32 v24, v31, 60, v24
	v_mov_b32_e32 v29, 0xb000
	v_lshl_or_b32 v96, v24, 1, v29
	v_or_b32_e32 v24, 32, v25
	v_xor_b32_e32 v24, v33, v24
	v_or_b32_e32 v29, 0x440, v24
	v_cndmask_b32_e32 v24, v29, v24, vcc
	v_or_b32_e32 v24, v24, v21
	v_xad_u32 v97, v24, v30, v28
	v_or_b32_e32 v24, 64, v25
	v_xor_b32_e32 v24, v33, v24
	v_xor_b32_e32 v29, 0x440, v24
	v_cndmask_b32_e32 v24, v29, v24, vcc
	v_or_b32_e32 v24, v24, v21
	v_xad_u32 v98, v24, v30, v28
	v_or_b32_e32 v24, 0x60, v25
	v_xor_b32_e32 v24, v33, v24
	v_xor_b32_e32 v25, 0x440, v24
	v_cndmask_b32_e32 v24, v25, v24, vcc
	v_lshlrev_b32_e32 v27, 1, v27
	v_or_b32_e32 v21, v24, v21
	v_or_b32_e32 v86, 0xa000, v27
	;; [unrolled: 1-line block ×3, first 2 shown]
	v_xor_b32_e32 v90, v20, v26
	v_or_b32_e32 v91, 0xb000, v27
	v_or_b32_e32 v92, 0xb080, v27
	v_lshlrev_b32_e32 v20, 7, v69
	v_lshlrev_b32_e32 v26, 1, v19
	v_add_lshl_u32 v19, v19, s19, 1
	v_or_b32_e32 v27, 0x100, v18
	v_xad_u32 v99, v21, v30, v28
	v_cndmask_b32_e64 v100, v26, v18, s[0:1]
	v_cndmask_b32_e64 v101, v19, v27, s[0:1]
	v_lshl_add_u64 v[62:63], v[22:23], 0, v[58:59]
	s_mov_b32 s3, 0x7060302
	v_lshlrev_b32_e32 v58, 1, v20
	v_add_u32_e32 v57, v32, v95
	v_add_u32_e32 v102, v32, v97
	;; [unrolled: 1-line block ×4, first 2 shown]
	s_waitcnt lgkmcnt(0)
	s_barrier
.LBB482_6:                              ; =>This Inner Loop Header: Depth=1
	s_add_i32 s41, s62, 1
	s_cmp_lt_i32 s41, s50
	s_mov_b64 s[28:29], 0
	s_cselect_b64 s[42:43], -1, 0
	s_cmp_ge_i32 s41, s50
	s_mov_b64 s[24:25], 0
	s_cbranch_scc1 .LBB482_8
; %bb.7:                                ;   in Loop: Header=BB482_6 Depth=1
	s_add_i32 s0, s57, 64
	s_ashr_i32 s1, s0, 31
	s_add_u32 s0, s56, s0
	s_addc_u32 s1, s55, s1
	s_lshl_b64 s[0:1], s[0:1], 8
	s_add_u32 s24, s6, s0
	s_addc_u32 s25, s7, s1
.LBB482_8:                              ;   in Loop: Header=BB482_6 Depth=1
	v_cndmask_b32_e64 v18, 0, 1, s[42:43]
	v_cmp_ne_u32_e64 s[0:1], 1, v18
	s_andn2_b64 vcc, exec, s[42:43]
	s_cbranch_vccnz .LBB482_10
; %bb.9:                                ;   in Loop: Header=BB482_6 Depth=1
	s_add_i32 s28, s57, 64
	s_mul_hi_i32 s29, s28, s18
	s_mul_i32 s28, s28, s18
	s_add_u32 s28, s28, s53
	s_addc_u32 s29, s29, s58
	s_lshl_b64 s[28:29], s[28:29], 8
	s_add_u32 s28, s4, s28
	s_addc_u32 s29, s5, s29
.LBB482_10:                             ;   in Loop: Header=BB482_6 Depth=1
	v_perm_b32 v19, v5, v4, s3
	v_perm_b32 v18, v3, v2, s3
	;; [unrolled: 1-line block ×4, first 2 shown]
	ds_write_b64 v77, v[18:19]
	ds_write_b64 v78, v[20:21]
	;; [unrolled: 1-line block ×4, first 2 shown]
	v_perm_b32 v19, v13, v12, s3
	v_perm_b32 v18, v11, v10, s3
	v_perm_b32 v21, v17, v16, s3
	v_perm_b32 v20, v15, v14, s3
	ds_write_b64 v79, v[18:19]
	ds_write_b64 v80, v[20:21]
	;; [unrolled: 1-line block ×4, first 2 shown]
	s_waitcnt lgkmcnt(0)
	s_barrier
	ds_read_b64 v[22:23], v85 offset:24576
	ds_read2_b64 v[18:21], v86 offset1:16
	ds_read_b64 v[26:27], v88 offset:3072
	ds_read_b64 v[28:29], v86 offset:3072
	;; [unrolled: 1-line block ×3, first 2 shown]
	s_waitcnt lgkmcnt(3)
	v_mfma_f32_16x16x16_bf16 a[0:3], v[22:23], v[18:19], 0
	s_add_i32 s31, s57, 63
	s_ashr_i32 s42, s31, 31
	s_mul_i32 s43, s31, s35
	v_mfma_f32_16x16x16_bf16 a[4:7], v[22:23], v[20:21], 0
	ds_read2st64_b64 v[18:21], v86 offset0:2 offset1:4
	s_mul_hi_u32 s63, s31, s34
	s_add_i32 s43, s63, s43
	s_waitcnt lgkmcnt(0)
	v_mfma_f32_16x16x16_bf16 a[0:3], v[30:31], v[18:19], a[0:3]
	ds_read2st64_b64 v[22:25], v88 offset0:2 offset1:4
	ds_read_b64 v[18:19], v89 offset:24576
	s_mul_i32 s42, s42, s34
	s_add_i32 s43, s43, s42
	s_waitcnt lgkmcnt(1)
	v_mfma_f32_16x16x16_bf16 a[4:7], v[30:31], v[22:23], a[4:7]
	ds_read_b64 v[22:23], v90 offset:24576
	s_mul_i32 s42, s31, s34
	s_lshl_b64 s[42:43], s[42:43], 2
	s_waitcnt lgkmcnt(1)
	v_mfma_f32_16x16x16_bf16 a[0:3], v[18:19], v[20:21], a[0:3]
	s_add_u32 s42, s20, s42
	s_addc_u32 s43, s21, s43
	s_and_b64 vcc, exec, s[0:1]
	v_mfma_f32_16x16x16_bf16 a[4:7], v[18:19], v[24:25], a[4:7]
	v_mov_b32_e32 v108, 0
	v_mov_b32_e32 v107, 0
	v_mov_b32_e32 v106, 0
	s_waitcnt lgkmcnt(0)
	v_mfma_f32_16x16x16_bf16 a[0:3], v[22:23], v[28:29], a[0:3]
	v_mov_b32_e32 v18, 0
	v_mov_b32_e32 v19, 0
	;; [unrolled: 1-line block ×3, first 2 shown]
	v_mfma_f32_16x16x16_bf16 a[4:7], v[22:23], v[26:27], a[4:7]
	v_mov_b32_e32 v21, 0
	v_mov_b32_e32 v22, 0
	;; [unrolled: 1-line block ×13, first 2 shown]
	s_cbranch_vccnz .LBB482_12
; %bb.11:                               ;   in Loop: Header=BB482_6 Depth=1
	s_and_b32 s25, s25, 0xffff
	buffer_load_dwordx4 v[30:33], v73, s[24:27], 0 offen
	buffer_load_dwordx4 v[26:29], v73, s[24:27], s59 offen
	;; [unrolled: 1-line block ×4, first 2 shown]
	v_mov_b32_e32 v107, v75
	v_mov_b32_e32 v106, v76
.LBB482_12:                             ;   in Loop: Header=BB482_6 Depth=1
	ds_read_b64 v[38:39], v85 offset:32768
	ds_read2_b64 v[34:37], v91 offset1:16
	ds_read_b64 v[42:43], v87 offset:32768
	ds_read_b64 v[44:45], v89 offset:32768
	;; [unrolled: 1-line block ×3, first 2 shown]
	v_add_u32_e32 v48, s57, v69
	s_waitcnt lgkmcnt(3)
	v_mfma_f32_16x16x16_bf16 a[0:3], v[38:39], v[34:35], a[0:3]
	v_mul_lo_u32 v49, v48, s35
	v_mfma_f32_16x16x16_bf16 a[4:7], v[38:39], v[36:37], a[4:7]
	ds_read2st64_b64 v[34:37], v91 offset0:2 offset1:4
	ds_read2st64_b64 v[38:41], v92 offset0:2 offset1:4
	s_waitcnt lgkmcnt(1)
	v_mfma_f32_16x16x16_bf16 a[0:3], v[42:43], v[34:35], a[0:3]
	v_ashrrev_i32_e32 v34, 31, v48
	v_mul_lo_u32 v109, v34, s34
	v_mad_u64_u32 v[34:35], s[24:25], v48, s34, 0
	v_mfma_f32_16x16x16_bf16 a[0:3], v[44:45], v[36:37], a[0:3]
	v_add_u32_e32 v36, 1, v48
	v_ashrrev_i32_e32 v37, 31, v36
	v_add3_u32 v35, v35, v49, v109
	s_waitcnt lgkmcnt(0)
	v_mfma_f32_16x16x16_bf16 a[4:7], v[42:43], v[38:39], a[4:7]
	v_mul_lo_u32 v38, v37, s34
	v_mul_lo_u32 v39, v36, s35
	v_mad_u64_u32 v[36:37], s[24:25], v36, s34, 0
	v_add3_u32 v37, v37, v39, v38
	v_add_u32_e32 v38, 2, v48
	v_ashrrev_i32_e32 v39, 31, v38
	v_mul_lo_u32 v42, v39, s34
	v_mul_lo_u32 v43, v38, s35
	v_mad_u64_u32 v[38:39], s[24:25], v38, s34, 0
	v_add3_u32 v39, v39, v43, v42
	v_add_u32_e32 v42, 3, v48
	v_ashrrev_i32_e32 v43, 31, v42
	v_mul_lo_u32 v48, v43, s34
	v_mul_lo_u32 v49, v42, s35
	v_mad_u64_u32 v[42:43], s[24:25], v42, s34, 0
	v_add3_u32 v43, v43, v49, v48
	s_ashr_i32 s25, s57, 31
	v_lshl_add_u64 v[34:35], v[34:35], 2, s[20:21]
	v_lshl_add_u64 v[42:43], v[42:43], 2, s[20:21]
	s_add_u32 s24, s56, s57
	v_lshl_add_u64 v[36:37], v[36:37], 2, s[20:21]
	v_lshl_add_u64 v[38:39], v[38:39], 2, s[20:21]
	global_load_dword v48, v[34:35], off
	global_load_dword v49, v[36:37], off
	;; [unrolled: 1-line block ×3, first 2 shown]
	s_nop 0
	global_load_dword v42, v[42:43], off
	s_addc_u32 s25, s55, s25
	s_lshl_b64 s[24:25], s[24:25], 8
	v_lshl_add_u64 v[34:35], v[60:61], 0, s[24:25]
	v_lshl_add_u64 v[34:35], v[34:35], 0, v[58:59]
	global_load_ushort v43, v[34:35], off offset:256
	global_load_ushort v110, v[34:35], off
	global_load_ushort v111, v[34:35], off offset:768
	global_load_ushort v112, v[34:35], off offset:512
	ds_read_b64 v[36:37], v91 offset:3072
	ds_read_b64 v[38:39], v92 offset:3072
	global_load_ushort v113, v[34:35], off offset:800
	global_load_ushort v114, v[34:35], off offset:544
	;; [unrolled: 1-line block ×4, first 2 shown]
	s_load_dword s24, s[42:43], 0x0
	v_mfma_f32_16x16x16_bf16 a[4:7], v[44:45], v[40:41], a[4:7]
	s_and_b64 vcc, exec, s[0:1]
	s_waitcnt vmcnt(11) lgkmcnt(0)
	v_sub_f32_e32 v40, s24, v48
	v_mfma_f32_16x16x16_bf16 a[0:3], v[46:47], v[36:37], a[0:3]
	s_waitcnt vmcnt(10)
	v_sub_f32_e32 v45, s24, v49
	v_mul_f32_e32 v44, 0x3fb8aa3b, v40
	v_mul_f32_e32 v45, 0x3fb8aa3b, v45
	v_mfma_f32_16x16x16_bf16 a[4:7], v[46:47], v[38:39], a[4:7]
	s_waitcnt vmcnt(9)
	v_sub_f32_e32 v46, s24, v109
	s_waitcnt vmcnt(8)
	v_sub_f32_e32 v47, s24, v42
	v_mul_f32_e32 v46, 0x3fb8aa3b, v46
	v_mul_f32_e32 v47, 0x3fb8aa3b, v47
	v_exp_f32_e32 v44, v44
	v_exp_f32_e32 v45, v45
	;; [unrolled: 1-line block ×4, first 2 shown]
	v_accvgpr_read_b32 v39, a1
	v_accvgpr_read_b32 v35, a3
	;; [unrolled: 1-line block ×4, first 2 shown]
	s_waitcnt vmcnt(7)
	v_lshlrev_b32_e32 v41, 16, v43
	s_waitcnt vmcnt(6)
	v_lshlrev_b32_e32 v40, 16, v110
	;; [unrolled: 2-line block ×4, first 2 shown]
	v_pk_add_f32 v[38:39], v[40:41], v[38:39] neg_lo:[0,1] neg_hi:[0,1]
	v_pk_add_f32 v[34:35], v[42:43], v[34:35] neg_lo:[0,1] neg_hi:[0,1]
	v_pk_mul_f32 v[38:39], v[44:45], v[38:39]
	v_pk_mul_f32 v[34:35], v[46:47], v[34:35]
	v_accvgpr_read_b32 v41, a5
	v_perm_b32 v35, v35, v34, s3
	v_perm_b32 v34, v39, v38, s3
	s_waitcnt vmcnt(1)
	v_lshlrev_b32_e32 v39, 16, v115
	s_waitcnt vmcnt(0)
	v_lshlrev_b32_e32 v38, 16, v116
	v_accvgpr_read_b32 v40, a4
	v_accvgpr_read_b32 v37, a7
	;; [unrolled: 1-line block ×3, first 2 shown]
	v_pk_add_f32 v[38:39], v[38:39], v[40:41] neg_lo:[0,1] neg_hi:[0,1]
	v_lshlrev_b32_e32 v41, 16, v113
	v_lshlrev_b32_e32 v40, 16, v114
	v_pk_add_f32 v[36:37], v[40:41], v[36:37] neg_lo:[0,1] neg_hi:[0,1]
	v_pk_mul_f32 v[38:39], v[44:45], v[38:39]
	v_pk_mul_f32 v[36:37], v[46:47], v[36:37]
	v_mov_b32_e32 v109, 0
	v_perm_b32 v37, v37, v36, s3
	v_perm_b32 v36, v39, v38, s3
	ds_write2_b64 v78, v[34:35], v[36:37] offset1:16
	v_mov_b32_e32 v34, 0
	v_mov_b32_e32 v35, 0
	;; [unrolled: 1-line block ×16, first 2 shown]
	s_cbranch_vccnz .LBB482_14
; %bb.13:                               ;   in Loop: Header=BB482_6 Depth=1
	s_and_b32 s29, s29, 0xffff
	s_mov_b32 s31, s27
	buffer_load_dwordx4 v[46:49], v100, s[28:31], 0 offen
	buffer_load_dwordx4 v[38:41], v100, s[28:31], s59 offen
	;; [unrolled: 1-line block ×4, first 2 shown]
	v_mov_b32_e32 v108, v72
	v_mov_b32_e32 v109, v71
.LBB482_14:                             ;   in Loop: Header=BB482_6 Depth=1
	s_waitcnt lgkmcnt(0)
	s_barrier
	ds_read_b64 v[114:115], v57
	ds_read_b64 v[122:123], v96
	;; [unrolled: 1-line block ×5, first 2 shown]
	ds_read_b64 v[128:129], v97 offset:16384
	ds_read_b64 v[130:131], v95 offset:16384
	ds_read2_b64 v[110:113], v91 offset0:16 offset1:128
	s_waitcnt lgkmcnt(6)
	v_mfma_f32_16x16x16_bf16 a[0:3], v[114:115], v[122:123], 0
	ds_read_b64 v[132:133], v92 offset:3072
	ds_read_b64 v[134:135], v99 offset:16384
	s_add_i32 s25, s54, s62
	s_waitcnt lgkmcnt(2)
	v_mfma_f32_16x16x16_bf16 a[4:7], v[114:115], v[110:111], 0
	ds_read2st64_b64 v[114:117], v92 offset0:2 offset1:4
	s_mul_hi_i32 s29, s25, s17
	s_mul_i32 s25, s25, s17
	v_mfma_f32_16x16x16_bf16 a[0:3], v[118:119], v[112:113], a[0:3]
	s_add_u32 s28, s25, s49
	s_addc_u32 s29, s29, s51
	s_lshl_b64 s[28:29], s[28:29], 15
	s_waitcnt lgkmcnt(0)
	v_mfma_f32_16x16x16_bf16 a[4:7], v[118:119], v[114:115], a[4:7]
	ds_read2st64_b64 v[118:121], v91 offset0:4 offset1:6
	s_waitcnt lgkmcnt(0)
	v_mfma_f32_16x16x16_bf16 a[0:3], v[124:125], v[118:119], a[0:3]
	v_mfma_f32_16x16x16_bf16 a[8:11], v[124:125], v[116:117], a[4:7]
	;; [unrolled: 1-line block ×5, first 2 shown]
	ds_read2st64_b64 v[122:125], v94 offset1:8
	v_mfma_f32_16x16x16_bf16 a[12:15], v[130:131], v[110:111], 0
	ds_read_b64 v[130:131], v98 offset:16384
	v_mfma_f32_16x16x16_bf16 a[8:11], v[128:129], v[112:113], a[8:11]
	ds_read2st64_b64 v[110:113], v93 offset1:8
	s_waitcnt lgkmcnt(0)
	v_mov_b32_e32 v126, v110
	v_mfma_f32_16x16x16_bf16 a[12:15], v[128:129], v[114:115], a[12:15]
	v_lshl_add_u64 v[114:115], v[62:63], 0, s[28:29]
	v_add_co_u32_e32 v110, vcc, s39, v114
	v_mfma_f32_16x16x16_bf16 a[8:11], v[130:131], v[118:119], a[8:11]
	v_mov_b32_e32 v127, v111
	v_addc_co_u32_e32 v111, vcc, 0, v115, vcc
	v_mfma_f32_16x16x16_bf16 a[12:15], v[130:131], v[116:117], a[12:15]
	v_mov_b32_e32 v128, v122
	v_mov_b32_e32 v129, v123
	;; [unrolled: 1-line block ×3, first 2 shown]
	v_mfma_f32_16x16x16_bf16 a[8:11], v[134:135], v[120:121], a[8:11]
	v_mov_b32_e32 v123, v113
	s_and_b64 vcc, exec, s[0:1]
	global_store_dwordx4 v[114:115], v[126:129], off
	v_mfma_f32_16x16x16_bf16 a[12:15], v[134:135], v[132:133], a[12:15]
	global_store_dwordx4 v[110:111], v[122:125], off
	s_cbranch_vccnz .LBB482_16
; %bb.15:                               ;   in Loop: Header=BB482_6 Depth=1
	v_lshrrev_b32_e32 v110, 3, v108
	v_and_b32_e32 v110, 6, v110
	v_xor_b32_e32 v109, v110, v109
	v_lshlrev_b32_e32 v109, 2, v109
	v_and_b32_e32 v108, 8, v108
	v_xor_b32_e32 v111, 0x440, v109
	v_cmp_eq_u32_e32 vcc, 0, v108
	s_barrier
	s_nop 0
	v_cndmask_b32_e32 v108, v111, v109, vcc
	v_lshl_or_b32 v108, v110, 10, v108
	s_waitcnt vmcnt(3)
	v_perm_b32 v109, v46, v42, s60
	s_waitcnt vmcnt(2)
	v_perm_b32 v110, v38, v34, s60
	ds_write2st64_b32 v108, v109, v110 offset0:32 offset1:64
	v_xor_b32_e32 v109, 8, v108
	v_perm_b32 v42, v46, v42, s61
	v_perm_b32 v34, v38, v34, s61
	v_add_u32_e32 v38, 0x80, v109
	ds_write2st64_b32 v38, v42, v34 offset0:32 offset1:64
	v_xor_b32_e32 v34, 16, v108
	v_perm_b32 v38, v47, v43, s60
	v_perm_b32 v42, v39, v35, s60
	ds_write2st64_b32 v34, v38, v42 offset0:33 offset1:65
	v_xor_b32_e32 v34, 24, v108
	v_perm_b32 v38, v47, v43, s61
	v_perm_b32 v35, v39, v35, s61
	v_add_u32_e32 v34, 0x80, v34
	ds_write2st64_b32 v34, v38, v35 offset0:33 offset1:65
	v_xor_b32_e32 v34, 32, v108
	v_perm_b32 v35, v48, v44, s60
	;; [unrolled: 9-line block ×3, first 2 shown]
	v_perm_b32 v36, v41, v37, s60
	ds_write2st64_b32 v34, v35, v36 offset0:35 offset1:67
	v_xor_b32_e32 v34, 56, v108
	v_perm_b32 v35, v49, v45, s61
	v_perm_b32 v36, v41, v37, s61
	v_add_u32_e32 v34, 0x80, v34
	ds_write2st64_b32 v34, v35, v36 offset0:35 offset1:67
	ds_write_b64 v107, v[30:31] offset:24576
	v_xor_b32_e32 v30, 8, v107
	ds_write_b64 v30, v[32:33] offset:24576
	ds_write_b64 v107, v[26:27] offset:32768
	;; [unrolled: 1-line block ×4, first 2 shown]
	v_xor_b32_e32 v22, 8, v106
	ds_write_b64 v22, v[24:25] offset:24576
	ds_write_b64 v106, v[18:19] offset:32768
	;; [unrolled: 1-line block ×3, first 2 shown]
.LBB482_16:                             ;   in Loop: Header=BB482_6 Depth=1
	v_mul_f32_e32 v18, s24, v105
	s_waitcnt vmcnt(2)
	v_exp_f32_e32 v34, v18
	v_accvgpr_read_b32 v33, a7
	v_accvgpr_read_b32 v25, a3
	;; [unrolled: 1-line block ×16, first 2 shown]
	s_add_i32 s57, s57, 64
	v_fma_f32 v2, v2, v34, v30
	v_fma_f32 v3, v3, v34, v31
	v_fma_f32 v4, v4, v34, v32
	v_fmac_f32_e32 v33, v5, v34
	v_fma_f32 v10, v10, v34, v22
	v_fma_f32 v11, v11, v34, v23
	v_fma_f32 v12, v12, v34, v24
	v_fmac_f32_e32 v25, v13, v34
	;; [unrolled: 4-line block ×3, first 2 shown]
	v_fma_f32 v14, v14, v34, v18
	v_fma_f32 v15, v15, v34, v19
	;; [unrolled: 1-line block ×3, first 2 shown]
	s_cmp_eq_u32 s50, s41
	v_fmac_f32_e32 v21, v17, v34
	s_cbranch_scc1 .LBB482_18
; %bb.17:                               ;   in Loop: Header=BB482_6 Depth=1
	s_mov_b32 s62, s41
	v_mov_b32_e32 v5, v33
	v_mov_b32_e32 v9, v29
	;; [unrolled: 1-line block ×4, first 2 shown]
	s_branch .LBB482_6
.LBB482_18:
	v_mov_b32_e32 v5, v33
	v_mov_b32_e32 v9, v29
	v_mov_b32_e32 v13, v25
	v_mov_b32_e32 v17, v21
.LBB482_19:
	s_lshl_b32 s30, s50, 6
	s_sub_i32 s31, s52, s30
	s_cmp_gt_i32 s31, 0
	s_cbranch_scc0 .LBB482_84
; %bb.20:
	s_add_i32 s30, s30, s36
	s_ashr_i32 s3, s30, 31
	s_cmpk_lg_i32 s19, 0x80
	s_cselect_b64 s[26:27], -1, 0
	s_and_b64 vcc, exec, s[26:27]
	s_cbranch_vccz .LBB482_22
; %bb.21:
	s_mul_hi_i32 s0, s30, s18
	s_mul_i32 s1, s30, s18
	s_ashr_i32 s18, s53, 31
	s_add_u32 s28, s1, s53
	s_addc_u32 s29, s0, s18
	s_cbranch_execz .LBB482_23
	s_branch .LBB482_24
.LBB482_22:
                                        ; implicit-def: $sgpr28_sgpr29
.LBB482_23:
	s_mul_i32 s1, s53, s16
	s_mul_hi_i32 s0, s53, s16
	s_add_u32 s28, s1, s30
	s_addc_u32 s29, s0, s3
.LBB482_24:
	s_add_i32 s16, s50, s54
	s_add_u32 s0, s56, s30
	v_lshlrev_b32_e32 v22, 5, v69
	v_lshlrev_b32_e32 v38, 2, v66
	s_addc_u32 s1, s55, s3
	s_mov_b32 s3, 0x7060302
	v_or_b32_e32 v25, v22, v38
	v_xor_b32_e32 v23, v69, v38
	s_waitcnt vmcnt(3)
	v_perm_b32 v19, v5, v4, s3
	v_perm_b32 v18, v3, v2, s3
	s_waitcnt vmcnt(2)
	v_perm_b32 v21, v9, v8, s3
	v_perm_b32 v20, v7, v6, s3
	v_lshlrev_b32_e32 v25, 1, v25
	v_xor_b32_e32 v24, v70, v38
	ds_write2st64_b64 v25, v[18:19], v[20:21] offset0:80 offset1:88
	v_lshlrev_b32_e32 v23, 1, v23
	v_lshlrev_b32_e32 v25, 8, v66
	s_lshl_b64 s[24:25], s[0:1], 8
	v_or_b32_e32 v26, v23, v25
	v_lshlrev_b32_e32 v24, 1, v24
	s_add_u32 s0, s6, s24
	ds_write_b64 v26, v[18:19]
	v_or_b32_e32 v18, v24, v25
	s_addc_u32 s1, s7, s25
	ds_write_b64 v18, v[20:21]
	s_waitcnt vmcnt(1)
	v_perm_b32 v19, v13, v12, s3
	v_perm_b32 v18, v11, v10, s3
	s_waitcnt vmcnt(0)
	v_perm_b32 v21, v17, v16, s3
	v_perm_b32 v20, v15, v14, s3
	v_or_b32_e32 v25, 16, v66
	s_mul_hi_i32 s3, s16, s17
	s_mul_i32 s16, s16, s17
	v_lshlrev_b32_e32 v35, 2, v25
	s_add_u32 s6, s16, s49
	v_or_b32_e32 v22, v22, v35
	s_addc_u32 s7, s3, s51
	v_lshlrev_b32_e32 v22, 1, v22
	s_ashr_i32 s3, s2, 31
	s_lshl_b64 s[6:7], s[6:7], 15
	ds_write2st64_b64 v22, v[18:19], v[20:21] offset0:80 offset1:88
	v_lshlrev_b32_e32 v22, 8, v25
	s_add_u32 s6, s22, s6
	v_or_b32_e32 v23, v23, v22
	s_addc_u32 s7, s23, s7
	s_lshl_b64 s[2:3], s[2:3], 8
	ds_write_b64 v23, v[18:19]
	v_or_b32_e32 v18, v24, v22
	s_add_u32 s2, s6, s2
	ds_write_b64 v18, v[20:21]
	v_lshrrev_b32_e32 v18, 4, v0
	s_addc_u32 s3, s7, s3
	v_lshlrev_b32_e32 v19, 1, v66
	v_lshlrev_b32_e32 v26, 4, v66
	v_mov_b32_e32 v27, 0
	v_or_b32_e32 v20, 1, v19
	v_xor_b32_e32 v19, v18, v19
	v_lshl_add_u64 v[28:29], s[2:3], 0, v[26:27]
	v_lshlrev_b32_e32 v26, 8, v18
	v_xor_b32_e32 v22, v20, v18
	v_lshl_or_b32 v18, v19, 3, v26
	s_waitcnt lgkmcnt(0)
	s_barrier
	ds_read2st64_b64 v[18:21], v18 offset1:8
	v_lshl_or_b32 v22, v22, 3, v26
	ds_read2st64_b64 v[22:25], v22 offset1:8
	v_lshl_add_u64 v[30:31], v[28:29], 0, v[26:27]
	s_movk_i32 s2, 0x1000
	s_waitcnt lgkmcnt(1)
	v_mov_b32_e32 v26, v18
	v_add_co_u32_e32 v18, vcc, s2, v30
	s_cmp_lg_u32 s31, 64
	v_mov_b32_e32 v27, v19
	v_addc_co_u32_e32 v19, vcc, 0, v31, vcc
	s_cselect_b64 s[6:7], -1, 0
	v_lshl_or_b32 v42, v1, 3, v68
	s_waitcnt lgkmcnt(0)
	v_mov_b32_e32 v28, v22
	v_mov_b32_e32 v29, v23
	;; [unrolled: 1-line block ×4, first 2 shown]
	s_mov_b32 s20, 0
	v_or_b32_e32 v36, 32, v42
	v_and_b32_e32 v34, 56, v67
	s_and_b64 vcc, exec, s[6:7]
	global_store_dwordx4 v[30:31], v[26:29], off
	global_store_dwordx4 v[18:19], v[22:25], off
	s_cbranch_vccz .LBB482_30
; %bb.25:
	s_mov_b32 s22, s20
	s_mov_b32 s23, s20
	;; [unrolled: 1-line block ×3, first 2 shown]
	v_mov_b64_e32 v[24:25], s[22:23]
	v_mov_b64_e32 v[22:23], s[20:21]
	;; [unrolled: 1-line block ×3, first 2 shown]
	v_cmp_gt_i32_e32 vcc, s31, v42
	v_mov_b64_e32 v[20:21], v[24:25]
	s_and_saveexec_b64 s[2:3], vcc
	s_cbranch_execz .LBB482_27
; %bb.26:
	v_lshlrev_b32_e32 v18, 8, v42
	v_mov_b32_e32 v19, 0
	v_lshl_add_u64 v[20:21], s[0:1], 0, v[18:19]
	v_lshlrev_b32_e32 v18, 1, v34
	v_lshl_add_u64 v[26:27], v[20:21], 0, v[18:19]
	global_load_dwordx4 v[22:25], v[26:27], off
	global_load_dwordx4 v[18:21], v[26:27], off offset:128
.LBB482_27:
	s_or_b64 exec, exec, s[2:3]
	s_mov_b32 s22, s20
	s_mov_b32 s23, s20
	;; [unrolled: 1-line block ×3, first 2 shown]
	v_mov_b64_e32 v[32:33], s[22:23]
	v_mov_b64_e32 v[30:31], s[20:21]
	v_mov_b64_e32 v[26:27], v[30:31]
	v_cmp_gt_i32_e32 vcc, s31, v36
	v_lshlrev_b32_e32 v37, 7, v36
	v_mov_b64_e32 v[28:29], v[32:33]
	s_and_saveexec_b64 s[2:3], vcc
	s_cbranch_execz .LBB482_29
; %bb.28:
	v_lshlrev_b32_e32 v26, 1, v37
	v_mov_b32_e32 v27, 0
	v_lshl_add_u64 v[28:29], s[0:1], 0, v[26:27]
	v_lshlrev_b32_e32 v26, 1, v34
	v_lshl_add_u64 v[40:41], v[28:29], 0, v[26:27]
	global_load_dwordx4 v[30:33], v[40:41], off
	global_load_dwordx4 v[26:29], v[40:41], off offset:128
.LBB482_29:
	s_or_b64 exec, exec, s[2:3]
	v_lshrrev_b32_e32 v39, 3, v34
	v_lshlrev_b32_e32 v40, 3, v42
	v_or_b32_e32 v39, v40, v39
	v_lshlrev_b32_e32 v39, 4, v39
	v_and_b32_e32 v40, 0x78, v40
	v_xor_b32_e32 v39, v39, v40
	s_branch .LBB482_32
.LBB482_30:
                                        ; implicit-def: $vgpr39
                                        ; implicit-def: $vgpr37
                                        ; implicit-def: $vgpr22_vgpr23_vgpr24_vgpr25
                                        ; implicit-def: $vgpr18_vgpr19_vgpr20_vgpr21
                                        ; implicit-def: $vgpr30_vgpr31_vgpr32_vgpr33
                                        ; implicit-def: $vgpr26_vgpr27_vgpr28_vgpr29
	s_cbranch_execz .LBB482_32
; %bb.31:
	s_waitcnt vmcnt(0)
	v_lshlrev_b32_e32 v18, 1, v34
	v_lshl_or_b32 v37, v42, 8, v18
	s_and_b32 s1, s1, 0xffff
	s_mov_b32 s3, 0x20000
	s_movk_i32 s2, 0x4000
	v_lshl_or_b32 v39, v36, 8, v18
	s_movk_i32 s16, 0x80
	buffer_load_dwordx4 v[22:25], v37, s[0:3], 0 offen
	buffer_load_dwordx4 v[18:21], v37, s[0:3], s16 offen
	;; [unrolled: 1-line block ×4, first 2 shown]
	v_lshrrev_b32_e32 v37, 3, v34
	v_lshlrev_b32_e32 v39, 3, v42
	v_or_b32_e32 v37, v39, v37
	v_lshlrev_b32_e32 v37, 4, v37
	v_and_b32_e32 v39, 0x78, v39
	v_xor_b32_e32 v39, v37, v39
	v_lshlrev_b32_e32 v37, 7, v36
.LBB482_32:
	s_lshl_b64 s[0:1], s[28:29], 8
	s_add_u32 s4, s4, s0
	s_movk_i32 s0, 0x1000
	v_and_or_b32 v36, v37, s0, v39
	s_waitcnt vmcnt(1)
	ds_write_b64 v39, v[22:23] offset:24576
	v_xor_b32_e32 v22, 8, v39
	ds_write_b64 v22, v[24:25] offset:24576
	s_waitcnt vmcnt(0)
	ds_write_b64 v39, v[18:19] offset:32768
	ds_write_b64 v22, v[20:21] offset:32768
	ds_write_b64 v36, v[30:31] offset:24576
	v_xor_b32_e32 v18, 8, v36
	ds_write_b64 v18, v[32:33] offset:24576
	ds_write_b64 v36, v[26:27] offset:32768
	;; [unrolled: 1-line block ×3, first 2 shown]
	v_or_b32_e32 v18, v64, v66
	v_lshlrev_b32_e32 v18, 3, v18
	v_lshrrev_b32_e32 v19, 5, v51
	s_movk_i32 s3, 0xf8
	v_and_or_b32 v19, v18, s3, v19
	v_lshlrev_b32_e32 v23, 4, v19
	v_lshlrev_b32_e32 v39, 11, v1
	v_and_b32_e32 v24, 0x78, v18
	v_or_b32_e32 v26, 32, v23
	v_and_b32_e32 v22, 0x1000, v39
	v_lshrrev_b32_e32 v19, 1, v51
	v_xor_b32_e32 v26, v26, v24
	v_xor_b32_e32 v18, v23, v24
	v_and_b32_e32 v25, 8, v19
	v_or_b32_e32 v26, v26, v22
	v_or_b32_e32 v18, v18, v22
	v_xor_b32_e32 v44, v26, v25
	v_or_b32_e32 v26, 64, v23
	v_xor_b32_e32 v43, v18, v25
	v_xor_b32_e32 v26, v26, v24
	s_waitcnt lgkmcnt(0)
	s_barrier
	v_or_b32_e32 v28, v26, v22
	ds_read_b64 v[26:27], v43 offset:24576
	v_lshl_or_b32 v36, v65, 7, v38
	v_lshlrev_b32_e32 v40, 1, v36
	v_add_u32_e32 v18, 0xa000, v40
	ds_read2_b64 v[18:21], v18 offset1:16
	v_or_b32_e32 v23, 0x60, v23
	v_xor_b32_e32 v23, v23, v24
	s_waitcnt lgkmcnt(0)
	v_mfma_f32_16x16x16_bf16 a[0:3], v[26:27], v[18:19], 0
	v_or_b32_e32 v18, 64, v36
	v_or_b32_e32 v22, v23, v22
	v_lshlrev_b32_e32 v41, 1, v18
	v_xor_b32_e32 v45, v28, v25
	v_xor_b32_e32 v46, v22, v25
	ds_read_b64 v[28:29], v44 offset:24576
	ds_read_b64 v[30:31], v45 offset:24576
	;; [unrolled: 1-line block ×3, first 2 shown]
	v_mfma_f32_16x16x16_bf16 a[4:7], v[26:27], v[20:21], 0
	ds_read2st64_b64 v[18:21], v41 offset0:82 offset1:84
	ds_read2st64_b64 v[22:25], v40 offset0:82 offset1:84
	s_addc_u32 s5, s5, s1
	s_add_i32 s1, s45, s33
	s_add_i32 s0, s37, -1
	s_add_i32 s39, s1, s46
	s_add_i32 s1, s47, s44
	;; [unrolled: 1-line block ×3, first 2 shown]
	s_ashr_i32 s1, s0, 31
	s_mul_i32 s2, s0, s35
	s_mul_hi_u32 s3, s0, s34
	s_add_i32 s2, s3, s2
	s_mul_i32 s1, s1, s34
	s_waitcnt lgkmcnt(1)
	v_mfma_f32_16x16x16_bf16 a[4:7], v[28:29], v[18:19], a[4:7]
	s_add_i32 s1, s2, s1
	s_lshl_b64 s[2:3], s[38:39], 2
	s_add_u32 s10, s10, s2
	s_waitcnt lgkmcnt(0)
	v_mfma_f32_16x16x16_bf16 a[0:3], v[28:29], v[22:23], a[0:3]
	s_addc_u32 s11, s11, s3
	s_lshl_b64 s[2:3], s[40:41], 2
	s_mul_i32 s0, s0, s34
	s_add_u32 s10, s10, s2
	ds_read_b64 v[18:19], v40 offset:44032
	v_mfma_f32_16x16x16_bf16 a[4:7], v[30:31], v[20:21], a[4:7]
	ds_read_b64 v[20:21], v41 offset:44032
	s_addc_u32 s11, s11, s3
	s_lshl_b64 s[0:1], s[0:1], 2
	v_mfma_f32_16x16x16_bf16 a[0:3], v[30:31], v[24:25], a[0:3]
	s_add_u32 s0, s10, s0
	s_addc_u32 s1, s11, s1
	s_load_dword s16, s[0:1], 0x0
	s_waitcnt lgkmcnt(0)
	v_mfma_f32_16x16x16_bf16 a[0:3], v[32:33], v[18:19], a[0:3]
	s_and_b64 vcc, exec, s[26:27]
	v_mfma_f32_16x16x16_bf16 a[4:7], v[32:33], v[20:21], a[4:7]
	s_cbranch_vccz .LBB482_43
; %bb.33:
	v_lshlrev_b32_e32 v36, 1, v42
	s_and_b64 vcc, exec, s[6:7]
	s_cbranch_vccz .LBB482_44
; %bb.34:
	v_cmp_gt_i32_e32 vcc, s31, v36
	v_mov_b32_e32 v22, 0
	v_mov_b32_e32 v18, 0
	;; [unrolled: 1-line block ×5, first 2 shown]
	s_and_saveexec_b64 s[0:1], vcc
	s_cbranch_execz .LBB482_36
; %bb.35:
	v_mad_i64_i32 v[18:19], s[2:3], s19, v36, 0
	v_lshl_add_u64 v[18:19], v[18:19], 1, s[4:5]
	v_lshlrev_b32_e32 v20, 1, v34
	v_mov_b32_e32 v21, 0
	v_lshl_add_u64 v[18:19], v[18:19], 0, v[20:21]
	global_load_dwordx4 v[18:21], v[18:19], off
.LBB482_36:
	s_or_b64 exec, exec, s[0:1]
	v_or_b32_e32 v37, 1, v36
	v_cmp_gt_i32_e64 s[0:1], s31, v37
	v_mov_b32_e32 v23, 0
	v_mov_b32_e32 v24, 0
	;; [unrolled: 1-line block ×3, first 2 shown]
	s_and_saveexec_b64 s[2:3], s[0:1]
	s_cbranch_execz .LBB482_38
; %bb.37:
	v_mad_i64_i32 v[22:23], s[20:21], s19, v37, 0
	v_lshl_add_u64 v[22:23], v[22:23], 1, s[4:5]
	v_lshlrev_b32_e32 v24, 1, v34
	v_mov_b32_e32 v25, 0
	v_lshl_add_u64 v[22:23], v[22:23], 0, v[24:25]
	global_load_dwordx4 v[22:25], v[22:23], off
.LBB482_38:
	s_or_b64 exec, exec, s[2:3]
	v_mov_b32_e32 v33, 0
	v_mov_b32_e32 v26, 0
	;; [unrolled: 1-line block ×5, first 2 shown]
	s_and_saveexec_b64 s[2:3], vcc
	s_cbranch_execz .LBB482_40
; %bb.39:
	v_mad_i64_i32 v[26:27], s[20:21], s19, v36, 0
	v_lshl_add_u64 v[26:27], v[26:27], 1, s[4:5]
	v_lshlrev_b32_e32 v28, 1, v34
	v_mov_b32_e32 v29, 0
	v_lshl_add_u64 v[26:27], v[26:27], 0, v[28:29]
	global_load_dwordx4 v[26:29], v[26:27], off offset:128
.LBB482_40:
	s_or_b64 exec, exec, s[2:3]
	v_mov_b32_e32 v32, 0
	v_mov_b32_e32 v31, 0
	;; [unrolled: 1-line block ×3, first 2 shown]
	s_and_saveexec_b64 s[2:3], s[0:1]
	s_cbranch_execz .LBB482_42
; %bb.41:
	v_mad_i64_i32 v[30:31], s[0:1], s19, v37, 0
	v_lshl_add_u64 v[30:31], v[30:31], 1, s[4:5]
	v_lshlrev_b32_e32 v32, 1, v34
	v_mov_b32_e32 v33, 0
	v_lshl_add_u64 v[30:31], v[30:31], 0, v[32:33]
	global_load_dwordx4 v[30:33], v[30:31], off offset:128
.LBB482_42:
	s_or_b64 exec, exec, s[2:3]
	s_branch .LBB482_46
.LBB482_43:
                                        ; implicit-def: $vgpr21
                                        ; implicit-def: $vgpr25
                                        ; implicit-def: $vgpr29
                                        ; implicit-def: $vgpr33
	v_lshrrev_b32_e32 v47, 2, v51
	s_branch .LBB482_47
.LBB482_44:
                                        ; implicit-def: $vgpr21
                                        ; implicit-def: $vgpr25
                                        ; implicit-def: $vgpr29
                                        ; implicit-def: $vgpr33
	s_cbranch_execz .LBB482_46
; %bb.45:
	s_waitcnt vmcnt(0)
	v_mad_u64_u32 v[18:19], s[0:1], v36, s19, v[34:35]
	v_lshlrev_b32_e32 v36, 1, v18
	s_lshl_b32 s2, s19, 7
	s_and_b32 s1, s5, 0xffff
	s_mov_b32 s3, 0x20000
	s_mov_b32 s0, s4
	v_add_lshl_u32 v37, v18, s19, 1
	s_movk_i32 s17, 0x80
	buffer_load_dwordx4 v[18:21], v36, s[0:3], 0 offen
	buffer_load_dwordx4 v[26:29], v36, s[0:3], s17 offen
	;; [unrolled: 1-line block ×4, first 2 shown]
.LBB482_46:
	v_lshrrev_b32_e32 v47, 2, v51
	s_cbranch_execnz .LBB482_59
.LBB482_47:
	s_and_b64 vcc, exec, s[6:7]
	s_cbranch_vccz .LBB482_57
; %bb.48:
	s_waitcnt vmcnt(0)
	v_lshlrev_b32_e32 v23, 1, v42
	v_cmp_gt_i32_e32 vcc, s31, v23
	v_mov_b32_e32 v22, 0
	v_lshlrev_b32_e32 v30, 9, v42
	v_mov_b32_e32 v18, 0
	v_mov_b32_e32 v19, 0
	;; [unrolled: 1-line block ×4, first 2 shown]
	s_and_saveexec_b64 s[0:1], vcc
	s_cbranch_execz .LBB482_50
; %bb.49:
	v_mov_b32_e32 v31, 0
	v_lshl_add_u64 v[18:19], s[4:5], 0, v[30:31]
	v_lshlrev_b32_e32 v20, 1, v34
	v_mov_b32_e32 v21, v31
	v_lshl_add_u64 v[18:19], v[18:19], 0, v[20:21]
	global_load_dwordx4 v[18:21], v[18:19], off
.LBB482_50:
	s_or_b64 exec, exec, s[0:1]
	v_or_b32_e32 v23, 1, v23
	v_cmp_gt_i32_e64 s[0:1], s31, v23
	v_lshlrev_b32_e32 v36, 8, v23
	v_mov_b32_e32 v23, 0
	v_mov_b32_e32 v24, 0
	;; [unrolled: 1-line block ×3, first 2 shown]
	s_and_saveexec_b64 s[2:3], s[0:1]
	s_cbranch_execz .LBB482_52
; %bb.51:
	v_mov_b32_e32 v37, 0
	v_lshl_add_u64 v[22:23], s[4:5], 0, v[36:37]
	v_lshlrev_b32_e32 v24, 1, v34
	v_mov_b32_e32 v25, v37
	v_lshl_add_u64 v[22:23], v[22:23], 0, v[24:25]
	global_load_dwordx4 v[22:25], v[22:23], off
.LBB482_52:
	s_or_b64 exec, exec, s[2:3]
	v_mov_b32_e32 v33, 0
	v_mov_b32_e32 v26, 0
	;; [unrolled: 1-line block ×5, first 2 shown]
	s_and_saveexec_b64 s[2:3], vcc
	s_cbranch_execz .LBB482_54
; %bb.53:
	v_mov_b32_e32 v31, 0
	v_lshl_add_u64 v[26:27], s[4:5], 0, v[30:31]
	v_lshlrev_b32_e32 v30, 1, v34
	v_lshl_add_u64 v[26:27], v[26:27], 0, v[30:31]
	global_load_dwordx4 v[26:29], v[26:27], off offset:128
.LBB482_54:
	s_or_b64 exec, exec, s[2:3]
	v_mov_b32_e32 v32, 0
	v_mov_b32_e32 v31, 0
	;; [unrolled: 1-line block ×3, first 2 shown]
	s_and_saveexec_b64 s[2:3], s[0:1]
	s_cbranch_execz .LBB482_56
; %bb.55:
	v_mov_b32_e32 v37, 0
	v_lshl_add_u64 v[30:31], s[4:5], 0, v[36:37]
	v_lshlrev_b32_e32 v36, 1, v34
	v_lshl_add_u64 v[30:31], v[30:31], 0, v[36:37]
	global_load_dwordx4 v[30:33], v[30:31], off offset:128
.LBB482_56:
	s_or_b64 exec, exec, s[2:3]
	s_branch .LBB482_59
.LBB482_57:
                                        ; implicit-def: $vgpr21
                                        ; implicit-def: $vgpr25
                                        ; implicit-def: $vgpr29
                                        ; implicit-def: $vgpr33
	s_cbranch_execz .LBB482_59
; %bb.58:
	s_waitcnt vmcnt(0)
	v_lshlrev_b32_e32 v18, 1, v34
	v_lshl_or_b32 v34, v42, 9, v18
	s_and_b32 s5, s5, 0xffff
	s_mov_b32 s7, 0x20000
	s_movk_i32 s6, 0x4000
	s_movk_i32 s0, 0x80
	buffer_load_dwordx4 v[18:21], v34, s[4:7], 0 offen
	buffer_load_dwordx4 v[22:25], v34, s[4:7], 0 offen offset:256
	buffer_load_dwordx4 v[26:29], v34, s[4:7], s0 offen
	buffer_load_dwordx4 v[30:33], v34, s[4:7], s0 offen offset:256
.LBB482_59:
	ds_read_b64 v[36:37], v43 offset:32768
	v_add_u32_e32 v34, 0xb000, v40
	ds_read2_b64 v[58:61], v34 offset1:16
	ds_read_b64 v[48:49], v44 offset:32768
	ds_read_b64 v[44:45], v45 offset:32768
	ds_read_b64 v[62:63], v46 offset:32768
	v_and_b32_e32 v34, 6, v0
	v_xor_b32_e32 v42, v42, v34
	v_lshlrev_b32_e32 v42, 2, v42
	v_and_b32_e32 v43, 1, v0
	v_xor_b32_e32 v46, 0x440, v42
	v_cmp_eq_u32_e32 vcc, 0, v43
	s_waitcnt lgkmcnt(3)
	v_mfma_f32_16x16x16_bf16 a[0:3], v[36:37], v[58:59], a[0:3]
	s_mov_b32 s0, 0x1000504
	v_cndmask_b32_e32 v42, v46, v42, vcc
	v_lshl_or_b32 v34, v34, 10, v42
	v_mfma_f32_16x16x16_bf16 a[4:7], v[36:37], v[60:61], a[4:7]
	ds_read2st64_b64 v[58:61], v40 offset0:90 offset1:92
	ds_read2st64_b64 v[66:69], v41 offset0:90 offset1:92
	s_waitcnt vmcnt(0)
	v_perm_b32 v42, v18, v22, s0
	s_mov_b32 s1, 0x3020706
	s_waitcnt lgkmcnt(1)
	v_mfma_f32_16x16x16_bf16 a[0:3], v[48:49], v[58:59], a[0:3]
	ds_read_b64 v[36:37], v40 offset:48128
	ds_read_b64 v[58:59], v41 offset:48128
	v_perm_b32 v18, v18, v22, s1
	v_perm_b32 v22, v26, v30, s1
	s_waitcnt lgkmcnt(2)
	v_mfma_f32_16x16x16_bf16 a[4:7], v[48:49], v[66:67], a[4:7]
	v_mfma_f32_16x16x16_bf16 a[0:3], v[44:45], v[60:61], a[0:3]
	;; [unrolled: 1-line block ×3, first 2 shown]
	s_waitcnt lgkmcnt(1)
	v_mfma_f32_16x16x16_bf16 a[4:7], v[62:63], v[36:37], a[0:3]
	v_perm_b32 v36, v26, v30, s0
	ds_write2st64_b32 v34, v42, v36 offset0:32 offset1:64
	v_xor_b32_e32 v36, 8, v34
	v_add_u32_e32 v26, 0x80, v36
	ds_write2st64_b32 v26, v18, v22 offset0:32 offset1:64
	v_xor_b32_e32 v18, 16, v34
	v_perm_b32 v22, v19, v23, s0
	v_perm_b32 v26, v27, v31, s0
	ds_write2st64_b32 v18, v22, v26 offset0:33 offset1:65
	v_xor_b32_e32 v18, 24, v34
	v_perm_b32 v19, v19, v23, s1
	v_perm_b32 v22, v27, v31, s1
	v_add_u32_e32 v18, 0x80, v18
	ds_write2st64_b32 v18, v19, v22 offset0:33 offset1:65
	v_xor_b32_e32 v18, 32, v34
	v_perm_b32 v19, v20, v24, s0
	v_perm_b32 v22, v28, v32, s0
	ds_write2st64_b32 v18, v19, v22 offset0:34 offset1:66
	v_xor_b32_e32 v18, 40, v34
	s_waitcnt lgkmcnt(5)
	v_mfma_f32_16x16x16_bf16 a[0:3], v[62:63], v[58:59], a[8:11]
	v_perm_b32 v19, v20, v24, s1
	v_perm_b32 v20, v28, v32, s1
	v_add_u32_e32 v18, 0x80, v18
	ds_write2st64_b32 v18, v19, v20 offset0:34 offset1:66
	v_xor_b32_e32 v18, 48, v34
	v_perm_b32 v19, v21, v25, s0
	v_perm_b32 v20, v29, v33, s0
	ds_write2st64_b32 v18, v19, v20 offset0:35 offset1:67
	v_xor_b32_e32 v18, 56, v34
	v_and_or_b32 v36, v47, 12, v64
	v_perm_b32 v19, v21, v25, s1
	v_perm_b32 v20, v29, v33, s1
	v_add_u32_e32 v18, 0x80, v18
	v_cmp_gt_i32_e32 vcc, s31, v36
	v_mov_b32_e32 v32, 0
	v_mov_b32_e32 v34, 0
	ds_write2st64_b32 v18, v19, v20 offset0:35 offset1:67
	s_and_saveexec_b64 s[0:1], vcc
	s_cbranch_execz .LBB482_61
; %bb.60:
	v_add_u32_e32 v18, s30, v36
	v_ashrrev_i32_e32 v19, 31, v18
	v_mul_lo_u32 v20, v19, s34
	v_mul_lo_u32 v21, v18, s35
	v_mad_u64_u32 v[18:19], s[2:3], v18, s34, 0
	v_add3_u32 v19, v19, v21, v20
	v_lshl_add_u64 v[18:19], v[18:19], 2, s[10:11]
	global_load_dword v18, v[18:19], off
	s_waitcnt vmcnt(0)
	v_sub_f32_e32 v18, s16, v18
	v_mul_f32_e32 v18, 0x3fb8aa3b, v18
	v_exp_f32_e32 v34, v18
.LBB482_61:
	s_or_b64 exec, exec, s[0:1]
	v_or_b32_e32 v26, 1, v36
	v_cmp_gt_i32_e64 s[0:1], s31, v26
	s_and_saveexec_b64 s[2:3], s[0:1]
	s_cbranch_execz .LBB482_63
; %bb.62:
	v_add_u32_e32 v18, s30, v26
	v_ashrrev_i32_e32 v19, 31, v18
	v_mul_lo_u32 v20, v19, s34
	v_mul_lo_u32 v21, v18, s35
	v_mad_u64_u32 v[18:19], s[4:5], v18, s34, 0
	v_add3_u32 v19, v19, v21, v20
	v_lshl_add_u64 v[18:19], v[18:19], 2, s[10:11]
	global_load_dword v18, v[18:19], off
	s_waitcnt vmcnt(0)
	v_sub_f32_e32 v18, s16, v18
	v_mul_f32_e32 v18, 0x3fb8aa3b, v18
	v_exp_f32_e32 v32, v18
.LBB482_63:
	s_or_b64 exec, exec, s[2:3]
	v_or_b32_e32 v27, 2, v36
	v_cmp_gt_i32_e64 s[2:3], s31, v27
	v_mov_b32_e32 v33, 0
	v_mov_b32_e32 v37, 0
	s_and_saveexec_b64 s[4:5], s[2:3]
	s_cbranch_execz .LBB482_65
; %bb.64:
	v_add_u32_e32 v18, s30, v27
	v_ashrrev_i32_e32 v19, 31, v18
	v_mul_lo_u32 v20, v19, s34
	v_mul_lo_u32 v21, v18, s35
	v_mad_u64_u32 v[18:19], s[6:7], v18, s34, 0
	v_add3_u32 v19, v19, v21, v20
	v_lshl_add_u64 v[18:19], v[18:19], 2, s[10:11]
	global_load_dword v18, v[18:19], off
	s_waitcnt vmcnt(0)
	v_sub_f32_e32 v18, s16, v18
	v_mul_f32_e32 v18, 0x3fb8aa3b, v18
	v_exp_f32_e32 v37, v18
.LBB482_65:
	s_or_b64 exec, exec, s[4:5]
	v_or_b32_e32 v42, 3, v36
	v_cmp_gt_i32_e64 s[4:5], s31, v42
	s_and_saveexec_b64 s[6:7], s[4:5]
	s_cbranch_execz .LBB482_67
; %bb.66:
	v_add_u32_e32 v18, s30, v42
	v_ashrrev_i32_e32 v19, 31, v18
	v_mul_lo_u32 v20, v19, s34
	v_mul_lo_u32 v21, v18, s35
	v_mad_u64_u32 v[18:19], s[18:19], v18, s34, 0
	v_add3_u32 v19, v19, v21, v20
	v_lshl_add_u64 v[18:19], v[18:19], 2, s[10:11]
	global_load_dword v18, v[18:19], off
	s_waitcnt vmcnt(0)
	v_sub_f32_e32 v18, s16, v18
	v_mul_f32_e32 v18, 0x3fb8aa3b, v18
	v_exp_f32_e32 v33, v18
.LBB482_67:
	s_or_b64 exec, exec, s[6:7]
	s_add_u32 s6, s8, s24
	v_accvgpr_read_b32 v21, a7
	s_addc_u32 s7, s9, s25
	v_ashrrev_i32_e32 v57, 31, v56
	v_accvgpr_read_b32 v20, a6
	v_accvgpr_read_b32 v19, a5
	;; [unrolled: 1-line block ×3, first 2 shown]
	v_lshl_add_u64 v[22:23], v[56:57], 1, s[6:7]
	v_mov_b32_e32 v29, 0
	v_lshlrev_b32_e32 v24, 8, v36
	v_mov_b32_e32 v25, 0
	s_and_saveexec_b64 s[6:7], vcc
	s_cbranch_execz .LBB482_69
; %bb.68:
	v_mov_b32_e32 v25, 0
	v_lshl_add_u64 v[30:31], v[22:23], 0, v[24:25]
	global_load_ushort v25, v[30:31], off
	s_waitcnt vmcnt(0)
	v_lshlrev_b32_e32 v25, 16, v25
	v_sub_f32_e32 v18, v25, v18
	v_mul_f32_e32 v18, v34, v18
	v_lshrrev_b32_e32 v25, 16, v18
.LBB482_69:
	s_or_b64 exec, exec, s[6:7]
	v_lshlrev_b32_e32 v28, 8, v26
	s_and_saveexec_b64 s[6:7], s[0:1]
	s_cbranch_execz .LBB482_71
; %bb.70:
	v_mov_b32_e32 v29, 0
	v_lshl_add_u64 v[30:31], v[22:23], 0, v[28:29]
	global_load_ushort v18, v[30:31], off
	s_waitcnt vmcnt(0)
	v_lshlrev_b32_e32 v18, 16, v18
	v_sub_f32_e32 v18, v18, v19
	v_mul_f32_e32 v18, v32, v18
	v_lshrrev_b32_e32 v29, 16, v18
.LBB482_71:
	s_or_b64 exec, exec, s[6:7]
	v_mov_b32_e32 v43, 0
	v_lshlrev_b32_e32 v30, 8, v27
	v_mov_b32_e32 v31, 0
	s_and_saveexec_b64 s[6:7], s[2:3]
	s_cbranch_execz .LBB482_73
; %bb.72:
	v_mov_b32_e32 v31, 0
	v_lshl_add_u64 v[18:19], v[22:23], 0, v[30:31]
	global_load_ushort v18, v[18:19], off
	s_waitcnt vmcnt(0)
	v_lshlrev_b32_e32 v18, 16, v18
	v_sub_f32_e32 v18, v18, v20
	v_mul_f32_e32 v18, v37, v18
	v_lshrrev_b32_e32 v31, 16, v18
.LBB482_73:
	s_or_b64 exec, exec, s[6:7]
	v_lshlrev_b32_e32 v26, 8, v42
	s_and_saveexec_b64 s[6:7], s[4:5]
	s_cbranch_execz .LBB482_75
; %bb.74:
	v_mov_b32_e32 v27, 0
	v_lshl_add_u64 v[18:19], v[22:23], 0, v[26:27]
	global_load_ushort v18, v[18:19], off
	s_waitcnt vmcnt(0)
	v_lshlrev_b32_e32 v18, 16, v18
	v_sub_f32_e32 v18, v18, v21
	v_mul_f32_e32 v18, v33, v18
	v_lshrrev_b32_e32 v43, 16, v18
.LBB482_75:
	s_or_b64 exec, exec, s[6:7]
	v_lshlrev_b32_e32 v36, 5, v36
	s_mov_b32 s6, 0x5040100
	v_perm_b32 v42, v29, v25, s6
	v_or_b32_e32 v25, v36, v38
	v_accvgpr_read_b32 v21, a3
	v_perm_b32 v43, v43, v31, s6
	v_lshlrev_b32_e32 v25, 1, v25
	v_accvgpr_read_b32 v20, a2
	v_accvgpr_read_b32 v19, a1
	;; [unrolled: 1-line block ×3, first 2 shown]
	ds_write_b64 v25, v[42:43] offset:45056
	v_mov_b32_e32 v29, 0
	v_mov_b32_e32 v25, 0
	s_and_saveexec_b64 s[6:7], vcc
	s_cbranch_execz .LBB482_77
; %bb.76:
	v_mov_b32_e32 v25, 0
	v_lshl_add_u64 v[24:25], v[22:23], 0, v[24:25]
	global_load_ushort v24, v[24:25], off offset:32
	s_waitcnt vmcnt(0)
	v_lshlrev_b32_e32 v24, 16, v24
	v_sub_f32_e32 v18, v24, v18
	v_mul_f32_e32 v18, v34, v18
	v_lshrrev_b32_e32 v25, 16, v18
.LBB482_77:
	s_or_b64 exec, exec, s[6:7]
	s_and_saveexec_b64 s[6:7], s[0:1]
	s_cbranch_execz .LBB482_79
; %bb.78:
	v_mov_b32_e32 v29, 0
	v_lshl_add_u64 v[28:29], v[22:23], 0, v[28:29]
	global_load_ushort v18, v[28:29], off offset:32
	s_waitcnt vmcnt(0)
	v_lshlrev_b32_e32 v18, 16, v18
	v_sub_f32_e32 v18, v18, v19
	v_mul_f32_e32 v18, v32, v18
	v_lshrrev_b32_e32 v29, 16, v18
.LBB482_79:
	s_or_b64 exec, exec, s[6:7]
	v_mov_b32_e32 v24, 0
	v_mov_b32_e32 v28, 0
	s_and_saveexec_b64 s[0:1], s[2:3]
	s_cbranch_execz .LBB482_81
; %bb.80:
	v_mov_b32_e32 v31, 0
	v_lshl_add_u64 v[18:19], v[22:23], 0, v[30:31]
	global_load_ushort v18, v[18:19], off offset:32
	s_waitcnt vmcnt(0)
	v_lshlrev_b32_e32 v18, 16, v18
	v_sub_f32_e32 v18, v18, v20
	v_mul_f32_e32 v18, v37, v18
	v_lshrrev_b32_e32 v28, 16, v18
.LBB482_81:
	s_or_b64 exec, exec, s[0:1]
	v_or_b32_e32 v19, 0xb000, v40
	v_or_b32_e32 v18, 0xb000, v41
	s_and_saveexec_b64 s[0:1], s[4:5]
	s_cbranch_execz .LBB482_83
; %bb.82:
	v_mov_b32_e32 v27, 0
	v_lshl_add_u64 v[22:23], v[22:23], 0, v[26:27]
	global_load_ushort v20, v[22:23], off offset:32
	s_waitcnt vmcnt(0)
	v_lshlrev_b32_e32 v20, 16, v20
	v_sub_f32_e32 v20, v20, v21
	v_mul_f32_e32 v20, v33, v20
	v_lshrrev_b32_e32 v24, 16, v20
.LBB482_83:
	s_or_b64 exec, exec, s[0:1]
	s_mov_b32 s0, 0x5040100
	v_or_b32_e32 v22, v36, v35
	v_perm_b32 v21, v24, v28, s0
	v_perm_b32 v20, v29, v25, s0
	v_lshlrev_b32_e32 v22, 1, v22
	s_movk_i32 s0, 0x100
	ds_write_b64 v22, v[20:21] offset:45056
	v_and_b32_e32 v20, 7, v0
	v_and_b32_e32 v21, 8, v0
	v_cmp_gt_u32_e32 vcc, s0, v0
	v_lshrrev_b32_e32 v0, 1, v0
	v_lshlrev_b32_e32 v37, 3, v1
	v_and_b32_e32 v38, 24, v0
	v_lshlrev_b32_e32 v34, 3, v20
	v_lshlrev_b32_e32 v35, 7, v20
	v_mov_b32_e32 v20, 0x4000
	v_mov_b32_e32 v22, 0x2000
	v_xor_b32_e32 v0, v37, v38
	v_cndmask_b32_e32 v36, v20, v22, vcc
	v_or_b32_e32 v1, 0x440, v0
	v_cmp_eq_u32_e32 vcc, 0, v21
	s_waitcnt lgkmcnt(0)
	s_barrier
	v_cndmask_b32_e32 v0, v1, v0, vcc
	v_or_b32_e32 v0, v0, v39
	v_xad_u32 v40, v0, v34, v35
	v_add_u32_e32 v0, v36, v40
	ds_read_b64 v[0:1], v0
	ds_read2_b64 v[20:23], v19 offset1:16
	v_or_b32_e32 v24, 32, v38
	v_xor_b32_e32 v24, v37, v24
	v_or_b32_e32 v25, 0x440, v24
	v_cndmask_b32_e32 v24, v25, v24, vcc
	s_waitcnt lgkmcnt(0)
	v_mfma_f32_16x16x16_bf16 a[0:3], v[0:1], v[20:21], 0
	v_or_b32_e32 v24, v24, v39
	v_xad_u32 v41, v24, v34, v35
	v_add_u32_e32 v24, v36, v41
	v_mfma_f32_16x16x16_bf16 a[4:7], v[0:1], v[22:23], 0
	v_or_b32_e32 v0, 64, v38
	v_xor_b32_e32 v0, v37, v0
	v_xor_b32_e32 v1, 0x440, v0
	ds_read_b64 v[32:33], v24
	v_cndmask_b32_e32 v0, v1, v0, vcc
	v_or_b32_e32 v0, v0, v39
	v_xad_u32 v42, v0, v34, v35
	v_add_u32_e32 v0, v36, v42
	ds_read_b64 v[0:1], v0
	ds_read2st64_b64 v[24:27], v19 offset0:2 offset1:4
	ds_read2st64_b64 v[28:31], v18 offset0:2 offset1:4
	s_waitcnt lgkmcnt(1)
	v_mfma_f32_16x16x16_bf16 a[0:3], v[32:33], v[24:25], a[0:3]
	s_waitcnt lgkmcnt(0)
	v_mfma_f32_16x16x16_bf16 a[4:7], v[32:33], v[28:29], a[4:7]
	v_or_b32_e32 v32, 0x60, v38
	v_xor_b32_e32 v32, v37, v32
	v_xor_b32_e32 v33, 0x440, v32
	v_cndmask_b32_e32 v32, v33, v32, vcc
	v_or_b32_e32 v32, v32, v39
	v_xad_u32 v37, v32, v34, v35
	v_add_u32_e32 v32, v36, v37
	ds_read_b64 v[32:33], v32
	v_mfma_f32_16x16x16_bf16 a[0:3], v[0:1], v[26:27], a[0:3]
	v_mov_b32_e32 v36, 0x3fb8aa3b
	v_mfma_f32_16x16x16_bf16 a[4:7], v[0:1], v[30:31], a[4:7]
	ds_read_b64 v[0:1], v19 offset:3072
	ds_read_b64 v[34:35], v18 offset:3072
	;; [unrolled: 1-line block ×3, first 2 shown]
	s_waitcnt lgkmcnt(2)
	v_mfma_f32_16x16x16_bf16 a[0:3], v[32:33], v[0:1], a[0:3]
	s_waitcnt lgkmcnt(1)
	v_mfma_f32_16x16x16_bf16 a[4:7], v[32:33], v[34:35], a[4:7]
	ds_read_b64 v[32:33], v41 offset:16384
	s_waitcnt lgkmcnt(1)
	v_mfma_f32_16x16x16_bf16 a[8:11], v[18:19], v[20:21], 0
	v_mul_f32_e32 v20, s16, v36
	v_exp_f32_e32 v36, v20
	v_accvgpr_read_b32 v21, a3
	v_mfma_f32_16x16x16_bf16 a[12:15], v[18:19], v[22:23], 0
	ds_read_b64 v[22:23], v42 offset:16384
	v_accvgpr_read_b32 v18, a0
	v_fma_f32 v18, v2, v36, v18
	v_accvgpr_read_b32 v2, a1
	v_fma_f32 v19, v3, v36, v2
	v_accvgpr_read_b32 v2, a2
	v_fma_f32 v20, v4, v36, v2
	ds_read_b64 v[2:3], v37 offset:16384
	s_waitcnt lgkmcnt(2)
	v_mfma_f32_16x16x16_bf16 a[8:11], v[32:33], v[24:25], a[8:11]
	v_accvgpr_read_b32 v4, a4
	v_fmac_f32_e32 v21, v5, v36
	v_mfma_f32_16x16x16_bf16 a[12:15], v[32:33], v[28:29], a[12:15]
	v_accvgpr_read_b32 v29, a7
	v_fmac_f32_e32 v29, v13, v36
	s_waitcnt lgkmcnt(1)
	v_mfma_f32_16x16x16_bf16 a[0:3], v[22:23], v[26:27], a[8:11]
	v_fma_f32 v26, v10, v36, v4
	v_accvgpr_read_b32 v4, a5
	v_fma_f32 v27, v11, v36, v4
	v_mfma_f32_16x16x16_bf16 a[8:11], v[22:23], v[30:31], a[12:15]
	v_accvgpr_read_b32 v4, a6
	v_fma_f32 v28, v12, v36, v4
	s_waitcnt lgkmcnt(0)
	v_mfma_f32_16x16x16_bf16 a[0:3], v[2:3], v[0:1], a[0:3]
	v_mfma_f32_16x16x16_bf16 a[4:7], v[2:3], v[34:35], a[8:11]
	s_nop 5
	v_accvgpr_read_b32 v0, a0
	v_fma_f32 v22, v6, v36, v0
	v_accvgpr_read_b32 v0, a1
	v_fma_f32 v23, v7, v36, v0
	;; [unrolled: 2-line block ×4, first 2 shown]
	v_accvgpr_read_b32 v0, a5
	v_accvgpr_read_b32 v25, a3
	v_fma_f32 v31, v15, v36, v0
	v_accvgpr_read_b32 v0, a6
	v_accvgpr_read_b32 v33, a7
	v_fmac_f32_e32 v25, v9, v36
	v_fma_f32 v32, v16, v36, v0
	v_fmac_f32_e32 v33, v17, v36
	v_mov_b64_e32 v[2:3], v[18:19]
	v_mov_b64_e32 v[4:5], v[20:21]
	v_mov_b64_e32 v[6:7], v[22:23]
	v_mov_b64_e32 v[8:9], v[24:25]
	v_mov_b64_e32 v[10:11], v[26:27]
	v_mov_b64_e32 v[12:13], v[28:29]
	v_mov_b64_e32 v[14:15], v[30:31]
	v_mov_b64_e32 v[16:17], v[32:33]
.LBB482_84:
	s_add_u32 s0, s12, s14
	s_addc_u32 s1, s13, s15
	v_lshl_add_u64 v[0:1], v[52:53], 2, s[0:1]
	v_mov_b32_e32 v51, 0
	v_lshl_add_u64 v[0:1], v[0:1], 0, v[50:51]
	s_waitcnt vmcnt(3)
	global_store_dwordx4 v[0:1], v[2:5], off
	s_waitcnt vmcnt(3)
	global_store_dwordx4 v[0:1], v[6:9], off offset:256
	v_lshl_add_u64 v[0:1], v[54:55], 2, s[0:1]
	v_lshl_add_u64 v[0:1], v[0:1], 0, v[50:51]
	s_waitcnt vmcnt(3)
	global_store_dwordx4 v[0:1], v[10:13], off
	s_waitcnt vmcnt(3)
	global_store_dwordx4 v[0:1], v[14:17], off offset:256
	s_endpgm
	.section	.rodata,"a",@progbits
	.p2align	6, 0x0
	.amdhsa_kernel _ZN12_GLOBAL__N_139chunk_gated_delta_rule_fwd_h_hip_kernelILi32ELb1ELb1ELb0ELb1ELb0ELb0ELb1ELb0EEEvPK12hip_bfloat16S3_S3_PKfS5_PKvPS1_S8_PvPKiSB_iiiiilll
		.amdhsa_group_segment_fixed_size 49152
		.amdhsa_private_segment_fixed_size 0
		.amdhsa_kernarg_size 136
		.amdhsa_user_sgpr_count 2
		.amdhsa_user_sgpr_dispatch_ptr 0
		.amdhsa_user_sgpr_queue_ptr 0
		.amdhsa_user_sgpr_kernarg_segment_ptr 1
		.amdhsa_user_sgpr_dispatch_id 0
		.amdhsa_user_sgpr_kernarg_preload_length 0
		.amdhsa_user_sgpr_kernarg_preload_offset 0
		.amdhsa_user_sgpr_private_segment_size 0
		.amdhsa_uses_dynamic_stack 0
		.amdhsa_enable_private_segment 0
		.amdhsa_system_sgpr_workgroup_id_x 1
		.amdhsa_system_sgpr_workgroup_id_y 1
		.amdhsa_system_sgpr_workgroup_id_z 0
		.amdhsa_system_sgpr_workgroup_info 0
		.amdhsa_system_vgpr_workitem_id 0
		.amdhsa_next_free_vgpr 152
		.amdhsa_next_free_sgpr 64
		.amdhsa_accum_offset 136
		.amdhsa_reserve_vcc 1
		.amdhsa_float_round_mode_32 0
		.amdhsa_float_round_mode_16_64 0
		.amdhsa_float_denorm_mode_32 3
		.amdhsa_float_denorm_mode_16_64 3
		.amdhsa_dx10_clamp 1
		.amdhsa_ieee_mode 1
		.amdhsa_fp16_overflow 0
		.amdhsa_tg_split 0
		.amdhsa_exception_fp_ieee_invalid_op 0
		.amdhsa_exception_fp_denorm_src 0
		.amdhsa_exception_fp_ieee_div_zero 0
		.amdhsa_exception_fp_ieee_overflow 0
		.amdhsa_exception_fp_ieee_underflow 0
		.amdhsa_exception_fp_ieee_inexact 0
		.amdhsa_exception_int_div_zero 0
	.end_amdhsa_kernel
	.section	.text._ZN12_GLOBAL__N_139chunk_gated_delta_rule_fwd_h_hip_kernelILi32ELb1ELb1ELb0ELb1ELb0ELb0ELb1ELb0EEEvPK12hip_bfloat16S3_S3_PKfS5_PKvPS1_S8_PvPKiSB_iiiiilll,"axG",@progbits,_ZN12_GLOBAL__N_139chunk_gated_delta_rule_fwd_h_hip_kernelILi32ELb1ELb1ELb0ELb1ELb0ELb0ELb1ELb0EEEvPK12hip_bfloat16S3_S3_PKfS5_PKvPS1_S8_PvPKiSB_iiiiilll,comdat
.Lfunc_end482:
	.size	_ZN12_GLOBAL__N_139chunk_gated_delta_rule_fwd_h_hip_kernelILi32ELb1ELb1ELb0ELb1ELb0ELb0ELb1ELb0EEEvPK12hip_bfloat16S3_S3_PKfS5_PKvPS1_S8_PvPKiSB_iiiiilll, .Lfunc_end482-_ZN12_GLOBAL__N_139chunk_gated_delta_rule_fwd_h_hip_kernelILi32ELb1ELb1ELb0ELb1ELb0ELb0ELb1ELb0EEEvPK12hip_bfloat16S3_S3_PKfS5_PKvPS1_S8_PvPKiSB_iiiiilll
                                        ; -- End function
	.section	.AMDGPU.csdata,"",@progbits
; Kernel info:
; codeLenInByte = 9220
; NumSgprs: 70
; NumVgprs: 136
; NumAgprs: 16
; TotalNumVgprs: 152
; ScratchSize: 0
; MemoryBound: 0
; FloatMode: 240
; IeeeMode: 1
; LDSByteSize: 49152 bytes/workgroup (compile time only)
; SGPRBlocks: 8
; VGPRBlocks: 18
; NumSGPRsForWavesPerEU: 70
; NumVGPRsForWavesPerEU: 152
; AccumOffset: 136
; Occupancy: 1
; WaveLimiterHint : 1
; COMPUTE_PGM_RSRC2:SCRATCH_EN: 0
; COMPUTE_PGM_RSRC2:USER_SGPR: 2
; COMPUTE_PGM_RSRC2:TRAP_HANDLER: 0
; COMPUTE_PGM_RSRC2:TGID_X_EN: 1
; COMPUTE_PGM_RSRC2:TGID_Y_EN: 1
; COMPUTE_PGM_RSRC2:TGID_Z_EN: 0
; COMPUTE_PGM_RSRC2:TIDIG_COMP_CNT: 0
; COMPUTE_PGM_RSRC3_GFX90A:ACCUM_OFFSET: 33
; COMPUTE_PGM_RSRC3_GFX90A:TG_SPLIT: 0
	.section	.text._ZN12_GLOBAL__N_139chunk_gated_delta_rule_fwd_h_hip_kernelILi32ELb1ELb0ELb1ELb1ELb0ELb0ELb1ELb0EEEvPK12hip_bfloat16S3_S3_PKfS5_PKvPS1_S8_PvPKiSB_iiiiilll,"axG",@progbits,_ZN12_GLOBAL__N_139chunk_gated_delta_rule_fwd_h_hip_kernelILi32ELb1ELb0ELb1ELb1ELb0ELb0ELb1ELb0EEEvPK12hip_bfloat16S3_S3_PKfS5_PKvPS1_S8_PvPKiSB_iiiiilll,comdat
	.globl	_ZN12_GLOBAL__N_139chunk_gated_delta_rule_fwd_h_hip_kernelILi32ELb1ELb0ELb1ELb1ELb0ELb0ELb1ELb0EEEvPK12hip_bfloat16S3_S3_PKfS5_PKvPS1_S8_PvPKiSB_iiiiilll ; -- Begin function _ZN12_GLOBAL__N_139chunk_gated_delta_rule_fwd_h_hip_kernelILi32ELb1ELb0ELb1ELb1ELb0ELb0ELb1ELb0EEEvPK12hip_bfloat16S3_S3_PKfS5_PKvPS1_S8_PvPKiSB_iiiiilll
	.p2align	8
	.type	_ZN12_GLOBAL__N_139chunk_gated_delta_rule_fwd_h_hip_kernelILi32ELb1ELb0ELb1ELb1ELb0ELb0ELb1ELb0EEEvPK12hip_bfloat16S3_S3_PKfS5_PKvPS1_S8_PvPKiSB_iiiiilll,@function
_ZN12_GLOBAL__N_139chunk_gated_delta_rule_fwd_h_hip_kernelILi32ELb1ELb0ELb1ELb1ELb0ELb0ELb1ELb0EEEvPK12hip_bfloat16S3_S3_PKfS5_PKvPS1_S8_PvPKiSB_iiiiilll: ; @_ZN12_GLOBAL__N_139chunk_gated_delta_rule_fwd_h_hip_kernelILi32ELb1ELb0ELb1ELb1ELb0ELb0ELb1ELb0EEEvPK12hip_bfloat16S3_S3_PKfS5_PKvPS1_S8_PvPKiSB_iiiiilll
; %bb.0:
	s_load_dwordx4 s[12:15], s[0:1], 0x5c
	s_load_dwordx4 s[4:7], s[0:1], 0x48
	s_abs_i32 s9, s3
	s_ashr_i32 s8, s3, 31
	v_and_b32_e32 v63, 15, v0
	s_waitcnt lgkmcnt(0)
	s_abs_i32 s10, s13
	v_cvt_f32_u32_e32 v1, s10
	s_sub_i32 s16, 0, s10
	s_ashr_i32 s11, s13, 31
	s_xor_b32 s8, s8, s11
	v_rcp_iflag_f32_e32 v1, v1
	v_lshrrev_b32_e32 v61, 6, v0
	v_bfe_u32 v62, v0, 4, 2
	v_mov_b32_e32 v7, 0
	v_mul_f32_e32 v1, 0x4f7ffffe, v1
	v_cvt_u32_f32_e32 v1, v1
	v_and_b32_e32 v60, 63, v0
	v_lshrrev_b32_e32 v65, 3, v60
	v_lshlrev_b32_e32 v64, 3, v0
	v_readfirstlane_b32 s17, v1
	s_mul_i32 s16, s16, s17
	s_mul_hi_u32 s16, s17, s16
	s_add_i32 s17, s17, s16
	s_mul_hi_u32 s16, s9, s17
	s_mul_i32 s17, s16, s10
	s_sub_i32 s9, s9, s17
	s_add_i32 s18, s16, 1
	s_sub_i32 s17, s9, s10
	s_cmp_ge_u32 s9, s10
	s_cselect_b32 s16, s18, s16
	s_cselect_b32 s9, s17, s9
	s_add_i32 s17, s16, 1
	s_cmp_ge_u32 s9, s10
	s_cselect_b32 s9, s17, s16
	s_xor_b32 s9, s9, s8
	s_sub_i32 s20, s9, s8
	s_mul_i32 s24, s20, s13
	s_ashr_i32 s21, s20, 31
	s_sub_i32 s47, s3, s24
	s_lshl_b64 s[8:9], s[20:21], 2
	s_add_u32 s4, s4, s8
	s_addc_u32 s5, s5, s9
	s_add_u32 s22, s6, s8
	s_addc_u32 s23, s7, s9
	s_abs_i32 s3, s14
	v_cvt_f32_u32_e32 v1, s3
	s_load_dwordx2 s[34:35], s[4:5], 0x0
	s_sub_i32 s5, 0, s3
	s_lshl_b32 s2, s2, 5
	v_rcp_iflag_f32_e32 v1, v1
	s_load_dwordx4 s[16:19], s[0:1], 0x28
	s_load_dwordx2 s[28:29], s[0:1], 0x38
	s_waitcnt lgkmcnt(0)
	s_sub_i32 s50, s35, s34
	s_ashr_i32 s4, s50, 31
	v_mul_f32_e32 v1, 0x4f7ffffe, v1
	v_cvt_u32_f32_e32 v1, v1
	s_lshr_b32 s4, s4, 26
	s_add_i32 s4, s50, s4
	s_ashr_i32 s48, s4, 6
	v_readfirstlane_b32 s6, v1
	s_mul_i32 s5, s5, s6
	s_mul_hi_u32 s5, s6, s5
	s_add_i32 s6, s6, s5
	s_mul_hi_u32 s5, s10, s6
	s_mul_i32 s6, s5, s3
	s_ashr_i32 s4, s14, 31
	s_sub_i32 s6, s10, s6
	s_xor_b32 s4, s11, s4
	s_add_i32 s7, s5, 1
	s_sub_i32 s8, s6, s3
	s_cmp_ge_u32 s6, s3
	s_cselect_b32 s5, s7, s5
	s_cselect_b32 s6, s8, s6
	s_add_i32 s7, s5, 1
	s_cmp_ge_u32 s6, s3
	s_cselect_b32 s3, s7, s5
	s_xor_b32 s3, s3, s4
	s_sub_i32 s3, s3, s4
	s_abs_i32 s4, s3
	v_cvt_f32_u32_e32 v1, s4
	s_sub_i32 s6, 0, s4
	s_abs_i32 s5, s47
	s_xor_b32 s3, s47, s3
	v_rcp_iflag_f32_e32 v1, v1
	s_ashr_i32 s3, s3, 31
	v_or_b32_e32 v50, s2, v63
	v_lshlrev_b32_e32 v2, 7, v50
	v_mul_f32_e32 v1, 0x4f7ffffe, v1
	v_cvt_u32_f32_e32 v1, v1
	v_ashrrev_i32_e32 v3, 31, v2
	s_mul_hi_i32 s53, s47, s12
	s_mul_i32 s54, s47, s12
	v_readfirstlane_b32 s7, v1
	s_mul_i32 s6, s6, s7
	s_mul_hi_u32 s6, s7, s6
	s_add_i32 s7, s7, s6
	s_mul_hi_u32 s6, s5, s7
	s_mul_i32 s7, s6, s4
	s_sub_i32 s5, s5, s7
	s_add_i32 s7, s6, 1
	s_sub_i32 s8, s5, s4
	s_cmp_ge_u32 s5, s4
	s_cselect_b32 s6, s7, s6
	s_cselect_b32 s5, s8, s5
	s_add_i32 s7, s6, 1
	s_cmp_ge_u32 s5, s4
	s_cselect_b32 s4, s7, s6
	s_xor_b32 s4, s4, s3
	s_sub_i32 s51, s4, s3
	s_ashr_i32 s49, s47, 31
	s_mul_hi_i32 s3, s20, s13
	s_add_u32 s4, s24, s47
	s_addc_u32 s5, s3, s49
	s_lshl_b64 s[4:5], s[4:5], 16
	s_add_u32 s4, s16, s4
	s_addc_u32 s5, s17, s5
	v_lshlrev_b32_e32 v1, 4, v61
	v_lshl_add_u64 v[4:5], v[2:3], 2, s[4:5]
	v_or_b32_e32 v2, 0x800, v2
	v_lshl_or_b32 v66, v62, 2, v1
	v_ashrrev_i32_e32 v3, 31, v2
	v_lshlrev_b32_e32 v6, 2, v66
	v_lshl_add_u64 v[2:3], v[2:3], 2, s[4:5]
	v_lshl_add_u64 v[4:5], v[4:5], 0, v[6:7]
	;; [unrolled: 1-line block ×3, first 2 shown]
	global_load_dwordx4 v[14:17], v[4:5], off
	global_load_dwordx4 v[10:13], v[4:5], off offset:256
	global_load_dwordx4 v[6:9], v[18:19], off
	s_nop 0
	global_load_dwordx4 v[2:5], v[18:19], off offset:256
	s_load_dwordx8 s[4:11], s[0:1], 0x0
	s_load_dwordx2 s[30:31], s[0:1], 0x80
	s_load_dwordx4 s[24:27], s[0:1], 0x70
	s_load_dword s52, s[22:23], 0x0
	v_or_b32_e32 v67, 64, v66
	s_cmp_lt_i32 s50, 64
	s_waitcnt lgkmcnt(0)
	s_mul_i32 s33, s20, s25
	s_mul_hi_u32 s43, s20, s24
	s_mul_i32 s44, s21, s24
	s_mul_i32 s36, s20, s24
	;; [unrolled: 1-line block ×3, first 2 shown]
	s_mul_hi_u32 s45, s47, s26
	s_mul_i32 s46, s49, s26
	s_mul_i32 s38, s47, s26
	s_cbranch_scc1 .LBB483_3
; %bb.1:
	s_ashr_i32 s1, s34, 31
	s_add_u32 s0, s54, s34
	s_addc_u32 s1, s53, s1
	s_lshl_b64 s[0:1], s[0:1], 8
	v_and_b32_e32 v69, 56, v64
	s_add_u32 s20, s6, s0
	v_lshl_or_b32 v68, v61, 3, v65
	v_lshlrev_b32_e32 v18, 1, v69
	s_addc_u32 s0, s7, s1
	v_lshl_or_b32 v70, v68, 8, v18
	s_and_b32 s21, s0, 0xffff
	s_mov_b32 s23, 0x20000
	s_movk_i32 s22, 0x4000
	s_movk_i32 s0, 0x80
	v_or_b32_e32 v71, 0x2000, v70
	buffer_load_dwordx4 v[20:23], v70, s[20:23], 0 offen
	buffer_load_dwordx4 v[24:27], v70, s[20:23], s0 offen
	;; [unrolled: 1-line block ×4, first 2 shown]
	v_lshlrev_b32_e32 v19, 3, v68
	v_and_or_b32 v37, v0, 7, v19
	v_and_b32_e32 v19, 0x78, v19
	v_lshlrev_b32_e32 v37, 4, v37
	v_xor_b32_e32 v72, v37, v19
	v_mul_lo_u32 v36, v68, s15
	v_or_b32_e32 v73, 0x1000, v72
	v_xor_b32_e32 v19, 8, v72
	s_cmpk_eq_i32 s15, 0x80
	s_mov_b32 s55, s34
	v_xor_b32_e32 v37, 8, v73
	s_cselect_b64 s[0:1], -1, 0
	s_cmpk_lg_i32 s15, 0x80
	s_waitcnt vmcnt(3)
	ds_write_b64 v72, v[20:21] offset:24576
	ds_write_b64 v19, v[22:23] offset:24576
	s_waitcnt vmcnt(2)
	ds_write_b64 v72, v[24:25] offset:32768
	ds_write_b64 v19, v[26:27] offset:32768
	;; [unrolled: 3-line block ×4, first 2 shown]
	v_lshl_add_u32 v19, v36, 1, v69
	s_cbranch_scc0 .LBB483_29
; %bb.2:
	v_lshlrev_b32_e32 v21, 1, v19
	v_add_lshl_u32 v20, v19, s15, 1
	s_lshl_b32 s22, s15, 7
	v_lshl_or_b32 v18, v68, 9, v18
	s_cbranch_execz .LBB483_30
	s_branch .LBB483_31
.LBB483_3:
	s_waitcnt vmcnt(0)
	v_mov_b32_e32 v19, v5
	v_mov_b32_e32 v18, v9
	;; [unrolled: 1-line block ×4, first 2 shown]
.LBB483_4:
	s_lshl_b32 s26, s48, 6
	s_sub_i32 s27, s50, s26
	s_cmp_gt_i32 s27, 0
	s_cbranch_scc0 .LBB483_84
; %bb.5:
	s_add_i32 s26, s26, s34
	s_ashr_i32 s3, s26, 31
	s_cmpk_lg_i32 s15, 0x80
	s_cselect_b64 s[22:23], -1, 0
	s_and_b64 vcc, exec, s[22:23]
	s_cbranch_vccz .LBB483_7
; %bb.6:
	s_mul_hi_i32 s0, s26, s14
	s_mul_i32 s1, s26, s14
	s_ashr_i32 s14, s51, 31
	s_add_u32 s24, s1, s51
	s_addc_u32 s25, s0, s14
	s_cbranch_execz .LBB483_8
	s_branch .LBB483_9
.LBB483_7:
                                        ; implicit-def: $sgpr24_sgpr25
.LBB483_8:
	s_mul_i32 s1, s51, s12
	s_mul_hi_i32 s0, s51, s12
	s_add_u32 s24, s1, s26
	s_addc_u32 s25, s0, s3
.LBB483_9:
	s_add_i32 s12, s48, s52
	s_add_u32 s0, s54, s26
	s_addc_u32 s1, s53, s3
	v_lshlrev_b32_e32 v21, 5, v66
	v_lshlrev_b32_e32 v22, 2, v63
	s_mov_b32 s3, 0x7060302
	v_xor_b32_e32 v5, v66, v22
	v_xor_b32_e32 v23, v67, v22
	v_perm_b32 v13, v9, v12, s3
	v_or_b32_e32 v9, v21, v22
	s_lshl_b64 s[20:21], s[0:1], 8
	v_perm_b32 v17, v20, v16, s3
	v_perm_b32 v16, v15, v14, s3
	;; [unrolled: 1-line block ×3, first 2 shown]
	v_lshlrev_b32_e32 v9, 1, v9
	v_lshlrev_b32_e32 v10, 1, v5
	;; [unrolled: 1-line block ×4, first 2 shown]
	s_add_u32 s0, s6, s20
	ds_write2st64_b64 v9, v[16:17], v[12:13] offset0:80 offset1:88
	v_or_b32_e32 v9, v10, v5
	v_or_b32_e32 v5, v11, v5
	s_addc_u32 s1, s7, s21
	ds_write_b64 v9, v[16:17]
	ds_write_b64 v5, v[12:13]
	v_perm_b32 v9, v18, v8, s3
	v_perm_b32 v8, v7, v6, s3
	;; [unrolled: 1-line block ×4, first 2 shown]
	s_mul_hi_i32 s3, s12, s13
	s_mul_i32 s12, s12, s13
	s_add_u32 s6, s12, s47
	v_or_b32_e32 v2, 16, v63
	s_addc_u32 s7, s3, s49
	v_lshlrev_b32_e32 v19, 2, v2
	s_ashr_i32 s3, s2, 31
	s_lshl_b64 s[6:7], s[6:7], 15
	v_or_b32_e32 v3, v21, v19
	s_add_u32 s6, s18, s6
	v_lshlrev_b32_e32 v3, 1, v3
	v_lshlrev_b32_e32 v2, 8, v2
	s_addc_u32 s7, s19, s7
	s_lshl_b64 s[2:3], s[2:3], 8
	ds_write2st64_b64 v3, v[8:9], v[4:5] offset0:80 offset1:88
	v_or_b32_e32 v3, v10, v2
	v_or_b32_e32 v2, v11, v2
	s_add_u32 s2, s6, s2
	ds_write_b64 v3, v[8:9]
	ds_write_b64 v2, v[4:5]
	v_lshrrev_b32_e32 v2, 4, v0
	s_addc_u32 s3, s7, s3
	v_lshlrev_b32_e32 v3, 1, v63
	v_lshlrev_b32_e32 v10, 4, v63
	v_mov_b32_e32 v11, 0
	v_or_b32_e32 v4, 1, v3
	v_xor_b32_e32 v3, v2, v3
	v_lshl_add_u64 v[12:13], s[2:3], 0, v[10:11]
	v_lshlrev_b32_e32 v10, 8, v2
	v_xor_b32_e32 v6, v4, v2
	v_lshl_or_b32 v2, v3, 3, v10
	s_waitcnt lgkmcnt(0)
	s_barrier
	ds_read2st64_b64 v[2:5], v2 offset1:8
	v_lshl_or_b32 v6, v6, 3, v10
	ds_read2st64_b64 v[6:9], v6 offset1:8
	v_lshl_add_u64 v[14:15], v[12:13], 0, v[10:11]
	s_movk_i32 s2, 0x1000
	s_waitcnt lgkmcnt(1)
	v_mov_b32_e32 v10, v2
	v_add_co_u32_e32 v2, vcc, s2, v14
	s_cmp_lg_u32 s27, 64
	v_mov_b32_e32 v11, v3
	v_addc_co_u32_e32 v3, vcc, 0, v15, vcc
	s_cselect_b64 s[6:7], -1, 0
	v_lshl_or_b32 v23, v61, 3, v65
	s_waitcnt lgkmcnt(0)
	v_mov_b32_e32 v12, v6
	v_mov_b32_e32 v13, v7
	;; [unrolled: 1-line block ×4, first 2 shown]
	s_mov_b32 s16, 0
	v_or_b32_e32 v20, 32, v23
	v_and_b32_e32 v18, 56, v64
	s_and_b64 vcc, exec, s[6:7]
	global_store_dwordx4 v[14:15], v[10:13], off
	global_store_dwordx4 v[2:3], v[6:9], off
	s_cbranch_vccz .LBB483_15
; %bb.10:
	s_mov_b32 s17, s16
	s_mov_b32 s18, s16
	;; [unrolled: 1-line block ×3, first 2 shown]
	v_mov_b64_e32 v[6:7], s[16:17]
	v_mov_b64_e32 v[8:9], s[18:19]
	;; [unrolled: 1-line block ×3, first 2 shown]
	v_cmp_gt_i32_e32 vcc, s27, v23
	v_mov_b64_e32 v[4:5], v[8:9]
	s_and_saveexec_b64 s[2:3], vcc
	s_cbranch_execz .LBB483_12
; %bb.11:
	v_lshlrev_b32_e32 v2, 8, v23
	v_mov_b32_e32 v3, 0
	v_lshl_add_u64 v[4:5], s[0:1], 0, v[2:3]
	v_lshlrev_b32_e32 v2, 1, v18
	v_lshl_add_u64 v[10:11], v[4:5], 0, v[2:3]
	global_load_dwordx4 v[6:9], v[10:11], off
	global_load_dwordx4 v[2:5], v[10:11], off offset:128
.LBB483_12:
	s_or_b64 exec, exec, s[2:3]
	s_mov_b32 s17, s16
	s_mov_b32 s18, s16
	;; [unrolled: 1-line block ×3, first 2 shown]
	v_mov_b64_e32 v[14:15], s[16:17]
	v_mov_b64_e32 v[16:17], s[18:19]
	;; [unrolled: 1-line block ×3, first 2 shown]
	v_cmp_gt_i32_e32 vcc, s27, v20
	v_lshlrev_b32_e32 v21, 7, v20
	v_mov_b64_e32 v[12:13], v[16:17]
	s_and_saveexec_b64 s[2:3], vcc
	s_cbranch_execz .LBB483_14
; %bb.13:
	v_lshlrev_b32_e32 v10, 1, v21
	v_mov_b32_e32 v11, 0
	v_lshl_add_u64 v[12:13], s[0:1], 0, v[10:11]
	v_lshlrev_b32_e32 v10, 1, v18
	v_lshl_add_u64 v[24:25], v[12:13], 0, v[10:11]
	global_load_dwordx4 v[14:17], v[24:25], off
	global_load_dwordx4 v[10:13], v[24:25], off offset:128
.LBB483_14:
	s_or_b64 exec, exec, s[2:3]
	v_lshrrev_b32_e32 v24, 3, v18
	v_lshlrev_b32_e32 v25, 3, v23
	v_or_b32_e32 v24, v25, v24
	v_lshlrev_b32_e32 v24, 4, v24
	v_and_b32_e32 v25, 0x78, v25
	v_xor_b32_e32 v24, v24, v25
	s_branch .LBB483_17
.LBB483_15:
                                        ; implicit-def: $vgpr24
                                        ; implicit-def: $vgpr21
                                        ; implicit-def: $vgpr6_vgpr7_vgpr8_vgpr9
                                        ; implicit-def: $vgpr2_vgpr3_vgpr4_vgpr5
                                        ; implicit-def: $vgpr14_vgpr15_vgpr16_vgpr17
                                        ; implicit-def: $vgpr10_vgpr11_vgpr12_vgpr13
	s_cbranch_execz .LBB483_17
; %bb.16:
	s_waitcnt vmcnt(0)
	v_lshlrev_b32_e32 v2, 1, v18
	v_lshl_or_b32 v21, v23, 8, v2
	s_and_b32 s1, s1, 0xffff
	s_mov_b32 s3, 0x20000
	s_movk_i32 s2, 0x4000
	v_lshl_or_b32 v24, v20, 8, v2
	s_movk_i32 s12, 0x80
	buffer_load_dwordx4 v[6:9], v21, s[0:3], 0 offen
	buffer_load_dwordx4 v[2:5], v21, s[0:3], s12 offen
	;; [unrolled: 1-line block ×4, first 2 shown]
	v_lshrrev_b32_e32 v21, 3, v18
	v_lshlrev_b32_e32 v24, 3, v23
	v_or_b32_e32 v21, v24, v21
	v_lshlrev_b32_e32 v21, 4, v21
	v_and_b32_e32 v24, 0x78, v24
	v_xor_b32_e32 v24, v21, v24
	v_lshlrev_b32_e32 v21, 7, v20
.LBB483_17:
	s_lshl_b64 s[0:1], s[24:25], 8
	s_add_u32 s4, s4, s0
	s_movk_i32 s0, 0x1000
	v_and_or_b32 v20, v21, s0, v24
	s_waitcnt vmcnt(1)
	ds_write_b64 v24, v[6:7] offset:24576
	v_xor_b32_e32 v6, 8, v24
	ds_write_b64 v6, v[8:9] offset:24576
	s_waitcnt vmcnt(0)
	ds_write_b64 v24, v[2:3] offset:32768
	ds_write_b64 v6, v[4:5] offset:32768
	;; [unrolled: 1-line block ×3, first 2 shown]
	v_xor_b32_e32 v2, 8, v20
	ds_write_b64 v2, v[16:17] offset:24576
	ds_write_b64 v20, v[10:11] offset:32768
	;; [unrolled: 1-line block ×3, first 2 shown]
	v_or_b32_e32 v2, v1, v63
	v_lshlrev_b32_e32 v3, 11, v61
	v_lshlrev_b32_e32 v2, 3, v2
	v_and_b32_e32 v6, 0x1000, v3
	v_lshrrev_b32_e32 v3, 5, v60
	s_movk_i32 s3, 0xf8
	v_and_or_b32 v3, v2, s3, v3
	v_lshlrev_b32_e32 v7, 4, v3
	v_and_b32_e32 v8, 0x78, v2
	v_or_b32_e32 v10, 32, v7
	v_lshrrev_b32_e32 v3, 1, v60
	v_xor_b32_e32 v10, v10, v8
	v_xor_b32_e32 v2, v7, v8
	v_and_b32_e32 v9, 8, v3
	v_or_b32_e32 v10, v10, v6
	v_or_b32_e32 v2, v2, v6
	v_xor_b32_e32 v26, v10, v9
	v_or_b32_e32 v10, 64, v7
	v_xor_b32_e32 v25, v2, v9
	v_xor_b32_e32 v10, v10, v8
	s_waitcnt lgkmcnt(0)
	s_barrier
	v_or_b32_e32 v12, v10, v6
	ds_read_b64 v[10:11], v25 offset:24576
	v_lshl_or_b32 v20, v62, 7, v22
	v_lshlrev_b32_e32 v24, 1, v20
	v_add_u32_e32 v2, 0xa000, v24
	ds_read2_b64 v[2:5], v2 offset1:16
	v_or_b32_e32 v7, 0x60, v7
	v_xor_b32_e32 v7, v7, v8
	s_waitcnt lgkmcnt(0)
	v_mfma_f32_16x16x16_bf16 a[0:3], v[10:11], v[2:3], 0
	v_or_b32_e32 v2, 64, v20
	v_or_b32_e32 v6, v7, v6
	v_lshlrev_b32_e32 v29, 1, v2
	v_xor_b32_e32 v27, v12, v9
	v_xor_b32_e32 v28, v6, v9
	ds_read_b64 v[12:13], v26 offset:24576
	ds_read_b64 v[14:15], v27 offset:24576
	;; [unrolled: 1-line block ×3, first 2 shown]
	v_mfma_f32_16x16x16_bf16 a[4:7], v[10:11], v[4:5], 0
	ds_read2st64_b64 v[2:5], v29 offset0:82 offset1:84
	ds_read2st64_b64 v[6:9], v24 offset0:82 offset1:84
	s_addc_u32 s5, s5, s1
	s_add_i32 s1, s43, s33
	s_add_i32 s0, s35, -1
	s_add_i32 s37, s1, s44
	s_add_i32 s1, s45, s42
	;; [unrolled: 1-line block ×3, first 2 shown]
	s_ashr_i32 s1, s0, 31
	s_mul_i32 s2, s0, s31
	s_mul_hi_u32 s3, s0, s30
	s_add_i32 s2, s3, s2
	s_mul_i32 s1, s1, s30
	s_waitcnt lgkmcnt(1)
	v_mfma_f32_16x16x16_bf16 a[4:7], v[12:13], v[2:3], a[4:7]
	s_add_i32 s1, s2, s1
	s_lshl_b64 s[2:3], s[36:37], 2
	s_add_u32 s10, s10, s2
	s_waitcnt lgkmcnt(0)
	v_mfma_f32_16x16x16_bf16 a[0:3], v[12:13], v[6:7], a[0:3]
	s_addc_u32 s11, s11, s3
	s_lshl_b64 s[2:3], s[38:39], 2
	s_mul_i32 s0, s0, s30
	s_add_u32 s10, s10, s2
	ds_read_b64 v[2:3], v24 offset:44032
	v_mfma_f32_16x16x16_bf16 a[4:7], v[14:15], v[4:5], a[4:7]
	ds_read_b64 v[4:5], v29 offset:44032
	s_addc_u32 s11, s11, s3
	s_lshl_b64 s[0:1], s[0:1], 2
	v_mfma_f32_16x16x16_bf16 a[0:3], v[14:15], v[8:9], a[0:3]
	s_add_u32 s0, s10, s0
	s_addc_u32 s1, s11, s1
	s_load_dword s12, s[0:1], 0x0
	s_waitcnt lgkmcnt(0)
	v_mfma_f32_16x16x16_bf16 a[0:3], v[16:17], v[2:3], a[0:3]
	s_and_b64 vcc, exec, s[22:23]
	v_mfma_f32_16x16x16_bf16 a[4:7], v[16:17], v[4:5], a[4:7]
	s_cbranch_vccz .LBB483_28
; %bb.18:
	v_lshlrev_b32_e32 v20, 1, v23
	s_and_b64 vcc, exec, s[6:7]
	s_cbranch_vccz .LBB483_44
; %bb.19:
	v_cmp_gt_i32_e32 vcc, s27, v20
	v_mov_b32_e32 v6, 0
	v_mov_b32_e32 v2, 0
	;; [unrolled: 1-line block ×5, first 2 shown]
	s_and_saveexec_b64 s[0:1], vcc
	s_cbranch_execz .LBB483_21
; %bb.20:
	v_mad_i64_i32 v[2:3], s[2:3], s15, v20, 0
	v_lshl_add_u64 v[2:3], v[2:3], 1, s[4:5]
	v_lshlrev_b32_e32 v4, 1, v18
	v_mov_b32_e32 v5, 0
	v_lshl_add_u64 v[2:3], v[2:3], 0, v[4:5]
	global_load_dwordx4 v[2:5], v[2:3], off
.LBB483_21:
	s_or_b64 exec, exec, s[0:1]
	v_or_b32_e32 v21, 1, v20
	v_cmp_gt_i32_e64 s[0:1], s27, v21
	v_mov_b32_e32 v7, 0
	v_mov_b32_e32 v8, 0
	;; [unrolled: 1-line block ×3, first 2 shown]
	s_and_saveexec_b64 s[2:3], s[0:1]
	s_cbranch_execz .LBB483_23
; %bb.22:
	v_mad_i64_i32 v[6:7], s[16:17], s15, v21, 0
	v_lshl_add_u64 v[6:7], v[6:7], 1, s[4:5]
	v_lshlrev_b32_e32 v8, 1, v18
	v_mov_b32_e32 v9, 0
	v_lshl_add_u64 v[6:7], v[6:7], 0, v[8:9]
	global_load_dwordx4 v[6:9], v[6:7], off
.LBB483_23:
	s_or_b64 exec, exec, s[2:3]
	v_mov_b32_e32 v17, 0
	v_mov_b32_e32 v10, 0
	;; [unrolled: 1-line block ×5, first 2 shown]
	s_and_saveexec_b64 s[2:3], vcc
	s_cbranch_execz .LBB483_25
; %bb.24:
	v_mad_i64_i32 v[10:11], s[16:17], s15, v20, 0
	v_lshl_add_u64 v[10:11], v[10:11], 1, s[4:5]
	v_lshlrev_b32_e32 v12, 1, v18
	v_mov_b32_e32 v13, 0
	v_lshl_add_u64 v[10:11], v[10:11], 0, v[12:13]
	global_load_dwordx4 v[10:13], v[10:11], off offset:128
.LBB483_25:
	s_or_b64 exec, exec, s[2:3]
	v_mov_b32_e32 v16, 0
	v_mov_b32_e32 v15, 0
	;; [unrolled: 1-line block ×3, first 2 shown]
	s_and_saveexec_b64 s[2:3], s[0:1]
	s_cbranch_execz .LBB483_27
; %bb.26:
	v_mad_i64_i32 v[14:15], s[0:1], s15, v21, 0
	v_lshl_add_u64 v[14:15], v[14:15], 1, s[4:5]
	v_lshlrev_b32_e32 v16, 1, v18
	v_mov_b32_e32 v17, 0
	v_lshl_add_u64 v[14:15], v[14:15], 0, v[16:17]
	global_load_dwordx4 v[14:17], v[14:15], off offset:128
.LBB483_27:
	s_or_b64 exec, exec, s[2:3]
	s_branch .LBB483_46
.LBB483_28:
                                        ; implicit-def: $vgpr5
                                        ; implicit-def: $vgpr9
                                        ; implicit-def: $vgpr13
                                        ; implicit-def: $vgpr17
	v_lshrrev_b32_e32 v30, 2, v60
	s_branch .LBB483_47
.LBB483_29:
                                        ; implicit-def: $vgpr20
                                        ; implicit-def: $vgpr21
                                        ; implicit-def: $sgpr22
	v_lshl_or_b32 v18, v68, 9, v18
.LBB483_30:
	v_or_b32_e32 v20, 0x100, v18
	s_movk_i32 s22, 0x4000
	v_mov_b32_e32 v21, v18
.LBB483_31:
	s_mul_i32 s16, s34, s14
	s_ashr_i32 s56, s51, 31
	s_mul_hi_i32 s3, s34, s14
	s_add_u32 s16, s16, s51
	s_addc_u32 s17, s3, s56
	s_lshl_b64 s[16:17], s[16:17], 8
	s_add_u32 s20, s4, s16
	s_addc_u32 s3, s5, s17
	s_and_b32 s21, s3, 0xffff
	s_movk_i32 s57, 0x80
	buffer_load_dwordx4 v[22:25], v21, s[20:23], 0 offen
	buffer_load_dwordx4 v[26:29], v21, s[20:23], s57 offen
	;; [unrolled: 1-line block ×4, first 2 shown]
	v_and_b32_e32 v20, 6, v0
	v_lshlrev_b32_e32 v39, 6, v66
	v_or_b32_e32 v41, 16, v63
	v_xor_b32_e32 v42, v68, v20
	v_and_b32_e32 v21, 1, v0
	v_lshl_or_b32 v45, v63, 3, v39
	v_lshl_or_b32 v39, v41, 3, v39
	v_lshlrev_b32_e32 v42, 2, v42
	v_lshlrev_b32_e32 v38, 2, v63
	v_or_b32_e32 v76, 0xa000, v39
	v_or_b32_e32 v77, 0xb000, v39
	v_xor_b32_e32 v39, 0x440, v42
	v_cmp_eq_u32_e32 vcc, 0, v21
	s_add_i32 s3, s43, s33
	v_xor_b32_e32 v43, v66, v38
	v_xor_b32_e32 v44, v67, v38
	v_cndmask_b32_e32 v21, v39, v42, vcc
	s_add_i32 s16, s45, s42
	s_add_i32 s37, s3, s44
	s_mov_b32 s58, 0x1000504
	v_lshlrev_b32_e32 v40, 8, v63
	v_lshlrev_b32_e32 v41, 8, v41
	;; [unrolled: 1-line block ×4, first 2 shown]
	v_lshl_or_b32 v20, v20, 10, v21
	s_add_i32 s39, s16, s46
	s_lshl_b64 s[16:17], s[36:37], 2
	s_mov_b32 s59, 0x3020706
	v_or_b32_e32 v74, 0xa000, v45
	v_or_b32_e32 v75, 0xb000, v45
	;; [unrolled: 1-line block ×5, first 2 shown]
	v_xor_b32_e32 v21, 8, v20
	v_xor_b32_e32 v40, 24, v20
	;; [unrolled: 1-line block ×4, first 2 shown]
	s_add_u32 s3, s10, s16
	v_or_b32_e32 v80, v41, v43
	v_xor_b32_e32 v39, 16, v20
	v_xor_b32_e32 v41, 32, v20
	;; [unrolled: 1-line block ×3, first 2 shown]
	v_add_u32_e32 v21, 0x80, v21
	v_add_u32_e32 v40, 0x80, v40
	;; [unrolled: 1-line block ×4, first 2 shown]
	s_addc_u32 s20, s11, s17
	s_lshl_b64 s[16:17], s[38:39], 2
	s_add_u32 s16, s3, s16
	s_movk_i32 s3, 0xf8
	s_addc_u32 s17, s20, s17
	s_lshl_b32 s26, s15, 7
	s_movk_i32 s24, 0x100
	v_mov_b32_e32 v53, 0
	v_lshlrev_b32_e32 v52, 4, v63
	v_cmp_gt_u32_e32 vcc, s24, v0
	v_ashrrev_i32_e32 v51, 31, v50
	s_mov_b32 s60, 0
	s_movk_i32 s37, 0x1000
	s_movk_i32 s22, 0x4000
	s_waitcnt vmcnt(1)
	v_perm_b32 v45, v22, v30, s58
	s_waitcnt vmcnt(0)
	v_perm_b32 v46, v26, v34, s58
	v_perm_b32 v22, v22, v30, s59
	;; [unrolled: 1-line block ×15, first 2 shown]
	ds_write2st64_b32 v20, v45, v46 offset0:32 offset1:64
	ds_write2st64_b32 v21, v22, v26 offset0:32 offset1:64
	;; [unrolled: 1-line block ×8, first 2 shown]
	v_or_b32_e32 v20, v1, v63
	v_lshlrev_b32_e32 v20, 3, v20
	v_lshrrev_b32_e32 v23, 5, v60
	v_and_or_b32 v23, v20, s3, v23
	v_lshlrev_b32_e32 v23, 4, v23
	v_lshlrev_b32_e32 v21, 11, v61
	v_and_b32_e32 v20, 0x78, v20
	v_or_b32_e32 v28, 32, v23
	v_and_b32_e32 v22, 0x1000, v21
	v_lshrrev_b32_e32 v25, 1, v0
	v_xor_b32_e32 v28, v28, v20
	v_and_b32_e32 v26, 8, v25
	v_or_b32_e32 v28, v28, v22
	v_xor_b32_e32 v24, v23, v20
	v_xor_b32_e32 v84, v28, v26
	v_or_b32_e32 v28, 64, v23
	v_or_b32_e32 v23, 0x60, v23
	s_ashr_i32 s3, s2, 31
	v_xor_b32_e32 v28, v28, v20
	v_xor_b32_e32 v20, v23, v20
	s_lshl_b64 s[20:21], s[2:3], 8
	v_or_b32_e32 v24, v24, v22
	v_or_b32_e32 v28, v28, v22
	;; [unrolled: 1-line block ×3, first 2 shown]
	s_add_u32 s20, s18, s20
	v_lshlrev_b32_e32 v22, 1, v63
	v_xor_b32_e32 v86, v28, v26
	v_lshrrev_b32_e32 v28, 4, v0
	s_addc_u32 s21, s19, s21
	v_or_b32_e32 v23, 1, v22
	v_mov_b32_e32 v32, 0x4000
	v_mov_b32_e32 v33, 0x2000
	v_xor_b32_e32 v29, v28, v22
	v_xor_b32_e32 v30, v23, v28
	v_lshl_add_u64 v[22:23], s[20:21], 0, v[52:53]
	v_lshlrev_b32_e32 v52, 8, v28
	v_cndmask_b32_e32 v32, v32, v33, vcc
	v_lshlrev_b32_e32 v33, 3, v61
	v_and_b32_e32 v25, 24, v25
	v_lshl_or_b32 v90, v29, 3, v52
	v_and_b32_e32 v29, 8, v0
	v_xor_b32_e32 v34, v33, v25
	v_or_b32_e32 v35, 0x440, v34
	v_cmp_eq_u32_e32 vcc, 0, v29
	v_and_b32_e32 v28, 7, v0
	v_xor_b32_e32 v82, v24, v26
	v_cndmask_b32_e32 v29, v35, v34, vcc
	v_lshlrev_b32_e32 v24, 7, v62
	v_lshl_or_b32 v91, v30, 3, v52
	v_lshlrev_b32_e32 v30, 3, v28
	v_lshlrev_b32_e32 v28, 7, v28
	;; [unrolled: 1-line block ×3, first 2 shown]
	v_or_b32_e32 v29, v29, v21
	v_or_b32_e32 v27, v24, v38
	v_xad_u32 v92, v29, v30, v28
	v_and_or_b32 v24, v31, 60, v24
	v_mov_b32_e32 v29, 0xb000
	v_lshl_or_b32 v93, v24, 1, v29
	v_or_b32_e32 v24, 32, v25
	v_xor_b32_e32 v24, v33, v24
	v_or_b32_e32 v29, 0x440, v24
	v_cndmask_b32_e32 v24, v29, v24, vcc
	v_or_b32_e32 v24, v24, v21
	v_xad_u32 v94, v24, v30, v28
	v_or_b32_e32 v24, 64, v25
	v_xor_b32_e32 v24, v33, v24
	v_xor_b32_e32 v29, 0x440, v24
	v_cndmask_b32_e32 v24, v29, v24, vcc
	v_or_b32_e32 v24, v24, v21
	v_xad_u32 v95, v24, v30, v28
	v_or_b32_e32 v24, 0x60, v25
	v_xor_b32_e32 v24, v33, v24
	v_xor_b32_e32 v25, 0x440, v24
	v_lshlrev_b32_e32 v27, 1, v27
	v_cndmask_b32_e32 v24, v25, v24, vcc
	v_or_b32_e32 v83, 0xa000, v27
	v_or_b32_e32 v85, 0xa080, v27
	v_xor_b32_e32 v87, v20, v26
	v_or_b32_e32 v88, 0xb000, v27
	v_or_b32_e32 v89, 0xb080, v27
	v_lshlrev_b32_e32 v26, 1, v19
	v_add_lshl_u32 v19, v19, s15, 1
	v_or_b32_e32 v27, 0x100, v18
	v_or_b32_e32 v21, v24, v21
	v_lshlrev_b32_e32 v20, 7, v66
	v_xad_u32 v96, v21, v30, v28
	v_cndmask_b32_e64 v97, v26, v18, s[0:1]
	v_cndmask_b32_e64 v98, v19, v27, s[0:1]
	v_lshlrev_b64 v[18:19], 1, v[50:51]
	v_lshl_add_u64 v[54:55], s[8:9], 0, v[18:19]
	v_lshl_add_u64 v[56:57], s[28:29], 0, v[18:19]
	;; [unrolled: 1-line block ×3, first 2 shown]
	s_mov_b32 s3, 0x7060302
	v_lshlrev_b32_e32 v52, 1, v20
	v_mov_b32_e32 v51, 0x3fb8aa3b
	v_add_u32_e32 v99, v32, v92
	v_add_u32_e32 v100, v32, v94
	;; [unrolled: 1-line block ×4, first 2 shown]
	s_waitcnt lgkmcnt(0)
	s_barrier
.LBB483_32:                             ; =>This Inner Loop Header: Depth=1
	s_add_i32 s39, s60, 1
	s_cmp_lt_i32 s39, s48
	s_mov_b64 s[24:25], 0
	s_cselect_b64 s[40:41], -1, 0
	s_cmp_ge_i32 s39, s48
	s_mov_b64 s[20:21], 0
	s_cbranch_scc1 .LBB483_34
; %bb.33:                               ;   in Loop: Header=BB483_32 Depth=1
	s_add_i32 s0, s55, 64
	s_ashr_i32 s1, s0, 31
	s_add_u32 s0, s54, s0
	s_addc_u32 s1, s53, s1
	s_lshl_b64 s[0:1], s[0:1], 8
	s_add_u32 s20, s6, s0
	s_addc_u32 s21, s7, s1
.LBB483_34:                             ;   in Loop: Header=BB483_32 Depth=1
	v_cndmask_b32_e64 v18, 0, 1, s[40:41]
	v_cmp_ne_u32_e64 s[0:1], 1, v18
	s_andn2_b64 vcc, exec, s[40:41]
	s_cbranch_vccnz .LBB483_36
; %bb.35:                               ;   in Loop: Header=BB483_32 Depth=1
	s_add_i32 s24, s55, 64
	s_mul_hi_i32 s25, s24, s14
	s_mul_i32 s24, s24, s14
	s_add_u32 s24, s24, s51
	s_addc_u32 s25, s25, s56
	s_lshl_b64 s[24:25], s[24:25], 8
	s_add_u32 s24, s4, s24
	s_addc_u32 s25, s5, s25
.LBB483_36:                             ;   in Loop: Header=BB483_32 Depth=1
	v_perm_b32 v19, v17, v16, s3
	v_perm_b32 v18, v15, v14, s3
	;; [unrolled: 1-line block ×4, first 2 shown]
	ds_write_b64 v74, v[18:19]
	ds_write_b64 v75, v[20:21]
	ds_write_b64 v78, v[18:19]
	ds_write_b64 v79, v[20:21]
	v_perm_b32 v19, v9, v8, s3
	v_perm_b32 v18, v7, v6, s3
	;; [unrolled: 1-line block ×4, first 2 shown]
	ds_write_b64 v76, v[18:19]
	ds_write_b64 v77, v[20:21]
	;; [unrolled: 1-line block ×4, first 2 shown]
	s_waitcnt lgkmcnt(0)
	s_barrier
	ds_read_b64 v[22:23], v82 offset:24576
	ds_read2_b64 v[18:21], v83 offset1:16
	ds_read_b64 v[26:27], v85 offset:3072
	ds_read_b64 v[28:29], v83 offset:3072
	;; [unrolled: 1-line block ×3, first 2 shown]
	s_waitcnt lgkmcnt(3)
	v_mfma_f32_16x16x16_bf16 a[0:3], v[22:23], v[18:19], 0
	s_add_i32 s27, s55, 63
	s_ashr_i32 s40, s27, 31
	s_mul_i32 s41, s27, s31
	v_mfma_f32_16x16x16_bf16 a[4:7], v[22:23], v[20:21], 0
	ds_read2st64_b64 v[18:21], v83 offset0:2 offset1:4
	s_mul_hi_u32 s61, s27, s30
	s_add_i32 s41, s61, s41
	s_waitcnt lgkmcnt(0)
	v_mfma_f32_16x16x16_bf16 a[0:3], v[30:31], v[18:19], a[0:3]
	ds_read2st64_b64 v[22:25], v85 offset0:2 offset1:4
	ds_read_b64 v[18:19], v86 offset:24576
	s_mul_i32 s40, s40, s30
	s_add_i32 s41, s41, s40
	s_waitcnt lgkmcnt(1)
	v_mfma_f32_16x16x16_bf16 a[4:7], v[30:31], v[22:23], a[4:7]
	ds_read_b64 v[22:23], v87 offset:24576
	s_mul_i32 s40, s27, s30
	s_lshl_b64 s[40:41], s[40:41], 2
	s_waitcnt lgkmcnt(1)
	v_mfma_f32_16x16x16_bf16 a[0:3], v[18:19], v[20:21], a[0:3]
	s_add_u32 s40, s16, s40
	s_addc_u32 s41, s17, s41
	s_and_b64 vcc, exec, s[0:1]
	v_mfma_f32_16x16x16_bf16 a[8:11], v[18:19], v[24:25], a[4:7]
	v_mov_b32_e32 v105, 0
	v_mov_b32_e32 v104, 0
	;; [unrolled: 1-line block ×3, first 2 shown]
	s_waitcnt lgkmcnt(0)
	v_mfma_f32_16x16x16_bf16 a[4:7], v[22:23], v[28:29], a[0:3]
	v_mov_b32_e32 v18, 0
	v_mov_b32_e32 v19, 0
	;; [unrolled: 1-line block ×3, first 2 shown]
	v_mfma_f32_16x16x16_bf16 a[0:3], v[22:23], v[26:27], a[8:11]
	v_mov_b32_e32 v21, 0
	v_mov_b32_e32 v22, 0
	;; [unrolled: 1-line block ×13, first 2 shown]
	s_cbranch_vccnz .LBB483_38
; %bb.37:                               ;   in Loop: Header=BB483_32 Depth=1
	s_and_b32 s21, s21, 0xffff
	buffer_load_dwordx4 v[30:33], v70, s[20:23], 0 offen
	buffer_load_dwordx4 v[26:29], v70, s[20:23], s57 offen
	;; [unrolled: 1-line block ×4, first 2 shown]
	v_mov_b32_e32 v104, v72
	v_mov_b32_e32 v103, v73
.LBB483_38:                             ;   in Loop: Header=BB483_32 Depth=1
	s_waitcnt vmcnt(3)
	ds_read_b64 v[42:43], v82 offset:32768
	s_waitcnt vmcnt(2)
	ds_read2_b64 v[34:37], v88 offset1:16
	ds_read_b64 v[44:45], v84 offset:32768
	ds_read_b64 v[46:47], v86 offset:32768
	;; [unrolled: 1-line block ×3, first 2 shown]
	v_add_u32_e32 v106, s55, v66
	s_waitcnt lgkmcnt(3)
	v_mfma_f32_16x16x16_bf16 a[4:7], v[42:43], v[34:35], a[4:7]
	v_ashrrev_i32_e32 v34, 31, v106
	ds_read2st64_b64 v[38:41], v88 offset0:2 offset1:4
	v_mfma_f32_16x16x16_bf16 a[0:3], v[42:43], v[36:37], a[0:3]
	v_mul_lo_u32 v36, v34, s30
	v_mul_lo_u32 v37, v106, s31
	v_mad_u64_u32 v[34:35], s[20:21], v106, s30, 0
	v_add3_u32 v35, v35, v37, v36
	v_add_u32_e32 v36, 1, v106
	v_ashrrev_i32_e32 v37, 31, v36
	v_mul_lo_u32 v42, v37, s30
	v_mul_lo_u32 v43, v36, s31
	v_mad_u64_u32 v[36:37], s[20:21], v36, s30, 0
	v_add3_u32 v37, v37, v43, v42
	v_add_u32_e32 v42, 2, v106
	v_ashrrev_i32_e32 v43, 31, v42
	v_mul_lo_u32 v107, v43, s30
	v_mul_lo_u32 v108, v42, s31
	v_mad_u64_u32 v[42:43], s[20:21], v42, s30, 0
	v_add_u32_e32 v106, 3, v106
	v_add3_u32 v43, v43, v108, v107
	v_ashrrev_i32_e32 v107, 31, v106
	v_mul_lo_u32 v108, v107, s30
	v_mul_lo_u32 v109, v106, s31
	v_mad_u64_u32 v[106:107], s[20:21], v106, s30, 0
	s_ashr_i32 s21, s55, 31
	v_add3_u32 v107, v107, v109, v108
	s_add_u32 s20, s54, s55
	v_lshl_add_u64 v[34:35], v[34:35], 2, s[16:17]
	v_lshl_add_u64 v[106:107], v[106:107], 2, s[16:17]
	s_addc_u32 s21, s53, s21
	v_lshl_add_u64 v[36:37], v[36:37], 2, s[16:17]
	v_lshl_add_u64 v[42:43], v[42:43], 2, s[16:17]
	global_load_dword v108, v[34:35], off
	global_load_dword v109, v[36:37], off
	;; [unrolled: 1-line block ×3, first 2 shown]
	s_nop 0
	global_load_dword v106, v[106:107], off
	s_lshl_b64 s[62:63], s[20:21], 8
	v_lshl_add_u64 v[34:35], v[54:55], 0, s[62:63]
	v_lshl_add_u64 v[42:43], v[34:35], 0, v[52:53]
	global_load_ushort v107, v[42:43], off offset:256
	global_load_ushort v111, v[42:43], off
	ds_read2st64_b64 v[34:37], v89 offset0:2 offset1:4
	global_load_ushort v112, v[42:43], off offset:768
	global_load_ushort v113, v[42:43], off offset:512
	;; [unrolled: 1-line block ×6, first 2 shown]
	s_waitcnt lgkmcnt(1)
	v_mfma_f32_16x16x16_bf16 a[4:7], v[44:45], v[38:39], a[4:7]
	s_and_b64 vcc, exec, s[0:1]
	s_waitcnt vmcnt(7)
	v_lshlrev_b32_e32 v43, 16, v107
	s_waitcnt lgkmcnt(0)
	v_mfma_f32_16x16x16_bf16 a[0:3], v[44:45], v[34:35], a[0:3]
	v_mfma_f32_16x16x16_bf16 a[4:7], v[46:47], v[40:41], a[4:7]
	;; [unrolled: 1-line block ×3, first 2 shown]
	ds_read_b64 v[34:35], v88 offset:3072
	ds_read_b64 v[36:37], v89 offset:3072
	s_load_dword s20, s[40:41], 0x0
	s_waitcnt lgkmcnt(0)
	v_sub_f32_e32 v42, s20, v108
	v_mfma_f32_16x16x16_bf16 a[4:7], v[48:49], v[34:35], a[4:7]
	v_sub_f32_e32 v45, s20, v109
	v_sub_f32_e32 v46, s20, v110
	;; [unrolled: 1-line block ×3, first 2 shown]
	v_mul_f32_e32 v44, 0x3fb8aa3b, v42
	v_mul_f32_e32 v45, 0x3fb8aa3b, v45
	v_mul_f32_e32 v46, 0x3fb8aa3b, v46
	v_mul_f32_e32 v47, 0x3fb8aa3b, v47
	v_mfma_f32_16x16x16_bf16 a[0:3], v[48:49], v[36:37], a[0:3]
	v_accvgpr_read_b32 v41, a5
	v_exp_f32_e32 v44, v44
	v_exp_f32_e32 v45, v45
	;; [unrolled: 1-line block ×4, first 2 shown]
	v_accvgpr_read_b32 v40, a4
	s_waitcnt vmcnt(6)
	v_lshlrev_b32_e32 v42, 16, v111
	v_lshl_add_u64 v[34:35], v[56:57], 0, s[62:63]
	v_accvgpr_read_b32 v37, a7
	v_accvgpr_read_b32 v36, a6
	v_pk_add_f32 v[40:41], v[42:43], v[40:41] neg_lo:[0,1] neg_hi:[0,1]
	s_waitcnt vmcnt(5)
	v_lshlrev_b32_e32 v43, 16, v112
	s_waitcnt vmcnt(4)
	v_lshlrev_b32_e32 v42, 16, v113
	v_lshl_add_u64 v[34:35], v[34:35], 0, v[52:53]
	v_pk_add_f32 v[36:37], v[42:43], v[36:37] neg_lo:[0,1] neg_hi:[0,1]
	global_store_short_d16_hi v[34:35], v40, off
	global_store_short_d16_hi v[34:35], v41, off offset:256
	global_store_short_d16_hi v[34:35], v36, off offset:512
	;; [unrolled: 1-line block ×3, first 2 shown]
	v_pk_mul_f32 v[40:41], v[44:45], v[40:41]
	v_pk_mul_f32 v[36:37], v[46:47], v[36:37]
	v_accvgpr_read_b32 v43, a1
	v_perm_b32 v37, v37, v36, s3
	v_perm_b32 v36, v41, v40, s3
	s_waitcnt vmcnt(5)
	v_lshlrev_b32_e32 v41, 16, v116
	s_waitcnt vmcnt(4)
	v_lshlrev_b32_e32 v40, 16, v117
	v_accvgpr_read_b32 v42, a0
	v_accvgpr_read_b32 v39, a3
	;; [unrolled: 1-line block ×3, first 2 shown]
	v_pk_add_f32 v[40:41], v[40:41], v[42:43] neg_lo:[0,1] neg_hi:[0,1]
	v_lshlrev_b32_e32 v43, 16, v114
	v_lshlrev_b32_e32 v42, 16, v115
	v_pk_add_f32 v[38:39], v[42:43], v[38:39] neg_lo:[0,1] neg_hi:[0,1]
	global_store_short_d16_hi v[34:35], v40, off offset:32
	global_store_short_d16_hi v[34:35], v41, off offset:288
	;; [unrolled: 1-line block ×4, first 2 shown]
	v_pk_mul_f32 v[34:35], v[44:45], v[40:41]
	v_pk_mul_f32 v[38:39], v[46:47], v[38:39]
	v_mov_b32_e32 v106, 0
	v_perm_b32 v39, v39, v38, s3
	v_perm_b32 v38, v35, v34, s3
	ds_write2_b64 v75, v[36:37], v[38:39] offset1:16
	v_mov_b32_e32 v34, 0
	v_mov_b32_e32 v35, 0
	;; [unrolled: 1-line block ×16, first 2 shown]
	s_cbranch_vccnz .LBB483_40
; %bb.39:                               ;   in Loop: Header=BB483_32 Depth=1
	s_and_b32 s25, s25, 0xffff
	s_mov_b32 s27, s23
	buffer_load_dwordx4 v[46:49], v97, s[24:27], 0 offen
	buffer_load_dwordx4 v[38:41], v97, s[24:27], s57 offen
	;; [unrolled: 1-line block ×4, first 2 shown]
	v_mov_b32_e32 v105, v69
	v_mov_b32_e32 v106, v68
.LBB483_40:                             ;   in Loop: Header=BB483_32 Depth=1
	s_waitcnt lgkmcnt(0)
	s_barrier
	ds_read_b64 v[112:113], v99
	ds_read_b64 v[120:121], v93
	;; [unrolled: 1-line block ×5, first 2 shown]
	ds_read_b64 v[126:127], v94 offset:16384
	ds_read_b64 v[128:129], v92 offset:16384
	ds_read2_b64 v[108:111], v88 offset0:16 offset1:128
	s_waitcnt lgkmcnt(6)
	v_mfma_f32_16x16x16_bf16 a[0:3], v[112:113], v[120:121], 0
	ds_read_b64 v[130:131], v89 offset:3072
	ds_read_b64 v[132:133], v96 offset:16384
	s_add_i32 s21, s52, s60
	s_waitcnt lgkmcnt(2)
	v_mfma_f32_16x16x16_bf16 a[4:7], v[112:113], v[108:109], 0
	ds_read2st64_b64 v[112:115], v89 offset0:2 offset1:4
	s_mul_hi_i32 s25, s21, s13
	s_mul_i32 s21, s21, s13
	v_mfma_f32_16x16x16_bf16 a[0:3], v[116:117], v[110:111], a[0:3]
	s_add_u32 s24, s21, s47
	s_addc_u32 s25, s25, s49
	s_lshl_b64 s[24:25], s[24:25], 15
	s_waitcnt lgkmcnt(0)
	v_mfma_f32_16x16x16_bf16 a[4:7], v[116:117], v[112:113], a[4:7]
	ds_read2st64_b64 v[116:119], v88 offset0:4 offset1:6
	s_waitcnt lgkmcnt(0)
	v_mfma_f32_16x16x16_bf16 a[0:3], v[122:123], v[116:117], a[0:3]
	v_mfma_f32_16x16x16_bf16 a[8:11], v[122:123], v[114:115], a[4:7]
	v_mfma_f32_16x16x16_bf16 a[4:7], v[124:125], v[118:119], a[0:3]
	v_mfma_f32_16x16x16_bf16 a[0:3], v[124:125], v[130:131], a[8:11]
	v_mfma_f32_16x16x16_bf16 a[8:11], v[128:129], v[120:121], 0
	ds_read2st64_b64 v[120:123], v91 offset1:8
	v_mfma_f32_16x16x16_bf16 a[12:15], v[128:129], v[108:109], 0
	ds_read_b64 v[128:129], v95 offset:16384
	v_mfma_f32_16x16x16_bf16 a[8:11], v[126:127], v[110:111], a[8:11]
	ds_read2st64_b64 v[108:111], v90 offset1:8
	s_waitcnt lgkmcnt(0)
	v_mov_b32_e32 v124, v108
	v_mfma_f32_16x16x16_bf16 a[12:15], v[126:127], v[112:113], a[12:15]
	v_lshl_add_u64 v[112:113], v[58:59], 0, s[24:25]
	v_add_co_u32_e32 v108, vcc, s37, v112
	v_mfma_f32_16x16x16_bf16 a[8:11], v[128:129], v[116:117], a[8:11]
	v_mov_b32_e32 v125, v109
	v_addc_co_u32_e32 v109, vcc, 0, v113, vcc
	v_mfma_f32_16x16x16_bf16 a[16:19], v[128:129], v[114:115], a[12:15]
	v_mov_b32_e32 v126, v120
	v_mov_b32_e32 v127, v121
	;; [unrolled: 1-line block ×3, first 2 shown]
	v_mfma_f32_16x16x16_bf16 a[12:15], v[132:133], v[118:119], a[8:11]
	v_mov_b32_e32 v121, v111
	s_and_b64 vcc, exec, s[0:1]
	global_store_dwordx4 v[112:113], v[124:127], off
	v_mfma_f32_16x16x16_bf16 a[8:11], v[132:133], v[130:131], a[16:19]
	global_store_dwordx4 v[108:109], v[120:123], off
	s_cbranch_vccnz .LBB483_42
; %bb.41:                               ;   in Loop: Header=BB483_32 Depth=1
	v_lshrrev_b32_e32 v107, 3, v105
	v_and_b32_e32 v107, 6, v107
	v_xor_b32_e32 v106, v107, v106
	v_lshlrev_b32_e32 v106, 2, v106
	v_and_b32_e32 v105, 8, v105
	v_xor_b32_e32 v108, 0x440, v106
	v_cmp_eq_u32_e32 vcc, 0, v105
	s_barrier
	s_nop 0
	v_cndmask_b32_e32 v105, v108, v106, vcc
	v_lshl_or_b32 v105, v107, 10, v105
	s_waitcnt vmcnt(3)
	v_perm_b32 v106, v46, v42, s58
	s_waitcnt vmcnt(2)
	v_perm_b32 v107, v38, v34, s58
	ds_write2st64_b32 v105, v106, v107 offset0:32 offset1:64
	v_xor_b32_e32 v106, 8, v105
	v_perm_b32 v42, v46, v42, s59
	v_perm_b32 v34, v38, v34, s59
	v_add_u32_e32 v38, 0x80, v106
	ds_write2st64_b32 v38, v42, v34 offset0:32 offset1:64
	v_xor_b32_e32 v34, 16, v105
	v_perm_b32 v38, v47, v43, s58
	v_perm_b32 v42, v39, v35, s58
	ds_write2st64_b32 v34, v38, v42 offset0:33 offset1:65
	v_xor_b32_e32 v34, 24, v105
	v_perm_b32 v38, v47, v43, s59
	v_perm_b32 v35, v39, v35, s59
	v_add_u32_e32 v34, 0x80, v34
	ds_write2st64_b32 v34, v38, v35 offset0:33 offset1:65
	v_xor_b32_e32 v34, 32, v105
	v_perm_b32 v35, v48, v44, s58
	;; [unrolled: 9-line block ×3, first 2 shown]
	v_perm_b32 v36, v41, v37, s58
	ds_write2st64_b32 v34, v35, v36 offset0:35 offset1:67
	v_xor_b32_e32 v34, 56, v105
	v_perm_b32 v35, v49, v45, s59
	v_perm_b32 v36, v41, v37, s59
	v_add_u32_e32 v34, 0x80, v34
	ds_write2st64_b32 v34, v35, v36 offset0:35 offset1:67
	ds_write_b64 v104, v[30:31] offset:24576
	v_xor_b32_e32 v30, 8, v104
	ds_write_b64 v30, v[32:33] offset:24576
	ds_write_b64 v104, v[26:27] offset:32768
	;; [unrolled: 1-line block ×4, first 2 shown]
	v_xor_b32_e32 v22, 8, v103
	ds_write_b64 v22, v[24:25] offset:24576
	ds_write_b64 v103, v[18:19] offset:32768
	;; [unrolled: 1-line block ×3, first 2 shown]
.LBB483_42:                             ;   in Loop: Header=BB483_32 Depth=1
	v_mul_f32_e32 v18, s20, v51
	v_exp_f32_e32 v21, v18
	v_accvgpr_read_b32 v18, a4
	v_accvgpr_read_b32 v20, a7
	;; [unrolled: 1-line block ×3, first 2 shown]
	v_fma_f32 v14, v14, v21, v18
	v_accvgpr_read_b32 v18, a6
	v_fma_f32 v16, v16, v21, v18
	v_accvgpr_read_b32 v18, a3
	v_fmac_f32_e32 v18, v9, v21
	v_accvgpr_read_b32 v9, a12
	v_fma_f32 v10, v10, v21, v9
	v_accvgpr_read_b32 v9, a13
	v_fma_f32 v11, v11, v21, v9
	;; [unrolled: 2-line block ×3, first 2 shown]
	v_accvgpr_read_b32 v9, a15
	v_fmac_f32_e32 v20, v17, v21
	v_accvgpr_read_b32 v17, a0
	v_fmac_f32_e32 v9, v13, v21
	v_accvgpr_read_b32 v13, a8
	v_fma_f32 v6, v6, v21, v17
	v_accvgpr_read_b32 v17, a1
	v_fma_f32 v2, v2, v21, v13
	;; [unrolled: 2-line block ×3, first 2 shown]
	v_fma_f32 v7, v7, v21, v17
	v_accvgpr_read_b32 v17, a2
	v_fma_f32 v3, v3, v21, v13
	v_accvgpr_read_b32 v13, a10
	v_accvgpr_read_b32 v19, a11
	s_add_i32 s55, s55, 64
	v_fma_f32 v8, v8, v21, v17
	v_fma_f32 v4, v4, v21, v13
	s_cmp_eq_u32 s48, s39
	v_fmac_f32_e32 v19, v5, v21
	s_cbranch_scc1 .LBB483_4
; %bb.43:                               ;   in Loop: Header=BB483_32 Depth=1
	s_mov_b32 s60, s39
	v_mov_b32_e32 v17, v20
	v_mov_b32_e32 v13, v9
	;; [unrolled: 1-line block ×4, first 2 shown]
	s_branch .LBB483_32
.LBB483_44:
                                        ; implicit-def: $vgpr5
                                        ; implicit-def: $vgpr9
                                        ; implicit-def: $vgpr13
                                        ; implicit-def: $vgpr17
	s_cbranch_execz .LBB483_46
; %bb.45:
	s_waitcnt vmcnt(0)
	v_mad_u64_u32 v[2:3], s[0:1], v20, s15, v[18:19]
	v_lshlrev_b32_e32 v20, 1, v2
	s_lshl_b32 s2, s15, 7
	s_and_b32 s1, s5, 0xffff
	s_mov_b32 s3, 0x20000
	s_mov_b32 s0, s4
	v_add_lshl_u32 v21, v2, s15, 1
	s_movk_i32 s13, 0x80
	buffer_load_dwordx4 v[2:5], v20, s[0:3], 0 offen
	buffer_load_dwordx4 v[10:13], v20, s[0:3], s13 offen
	;; [unrolled: 1-line block ×4, first 2 shown]
.LBB483_46:
	v_lshrrev_b32_e32 v30, 2, v60
	s_cbranch_execnz .LBB483_59
.LBB483_47:
	s_and_b64 vcc, exec, s[6:7]
	s_cbranch_vccz .LBB483_57
; %bb.48:
	s_waitcnt vmcnt(0)
	v_lshlrev_b32_e32 v7, 1, v23
	v_cmp_gt_i32_e32 vcc, s27, v7
	v_mov_b32_e32 v6, 0
	v_lshlrev_b32_e32 v14, 9, v23
	v_mov_b32_e32 v2, 0
	v_mov_b32_e32 v3, 0
	v_mov_b32_e32 v4, 0
	v_mov_b32_e32 v5, 0
	s_and_saveexec_b64 s[0:1], vcc
	s_cbranch_execz .LBB483_50
; %bb.49:
	v_mov_b32_e32 v15, 0
	v_lshl_add_u64 v[2:3], s[4:5], 0, v[14:15]
	v_lshlrev_b32_e32 v4, 1, v18
	v_mov_b32_e32 v5, v15
	v_lshl_add_u64 v[2:3], v[2:3], 0, v[4:5]
	global_load_dwordx4 v[2:5], v[2:3], off
.LBB483_50:
	s_or_b64 exec, exec, s[0:1]
	v_or_b32_e32 v7, 1, v7
	v_cmp_gt_i32_e64 s[0:1], s27, v7
	v_lshlrev_b32_e32 v20, 8, v7
	v_mov_b32_e32 v7, 0
	v_mov_b32_e32 v8, 0
	;; [unrolled: 1-line block ×3, first 2 shown]
	s_and_saveexec_b64 s[2:3], s[0:1]
	s_cbranch_execz .LBB483_52
; %bb.51:
	v_mov_b32_e32 v21, 0
	v_lshl_add_u64 v[6:7], s[4:5], 0, v[20:21]
	v_lshlrev_b32_e32 v8, 1, v18
	v_mov_b32_e32 v9, v21
	v_lshl_add_u64 v[6:7], v[6:7], 0, v[8:9]
	global_load_dwordx4 v[6:9], v[6:7], off
.LBB483_52:
	s_or_b64 exec, exec, s[2:3]
	v_mov_b32_e32 v17, 0
	v_mov_b32_e32 v10, 0
	;; [unrolled: 1-line block ×5, first 2 shown]
	s_and_saveexec_b64 s[2:3], vcc
	s_cbranch_execz .LBB483_54
; %bb.53:
	v_mov_b32_e32 v15, 0
	v_lshl_add_u64 v[10:11], s[4:5], 0, v[14:15]
	v_lshlrev_b32_e32 v14, 1, v18
	v_lshl_add_u64 v[10:11], v[10:11], 0, v[14:15]
	global_load_dwordx4 v[10:13], v[10:11], off offset:128
.LBB483_54:
	s_or_b64 exec, exec, s[2:3]
	v_mov_b32_e32 v16, 0
	v_mov_b32_e32 v15, 0
	;; [unrolled: 1-line block ×3, first 2 shown]
	s_and_saveexec_b64 s[2:3], s[0:1]
	s_cbranch_execz .LBB483_56
; %bb.55:
	v_mov_b32_e32 v21, 0
	v_lshl_add_u64 v[14:15], s[4:5], 0, v[20:21]
	v_lshlrev_b32_e32 v20, 1, v18
	v_lshl_add_u64 v[14:15], v[14:15], 0, v[20:21]
	global_load_dwordx4 v[14:17], v[14:15], off offset:128
.LBB483_56:
	s_or_b64 exec, exec, s[2:3]
	s_branch .LBB483_59
.LBB483_57:
                                        ; implicit-def: $vgpr5
                                        ; implicit-def: $vgpr9
                                        ; implicit-def: $vgpr13
                                        ; implicit-def: $vgpr17
	s_cbranch_execz .LBB483_59
; %bb.58:
	s_waitcnt vmcnt(0)
	v_lshlrev_b32_e32 v2, 1, v18
	v_lshl_or_b32 v18, v23, 9, v2
	s_and_b32 s5, s5, 0xffff
	s_mov_b32 s7, 0x20000
	s_movk_i32 s6, 0x4000
	s_movk_i32 s0, 0x80
	buffer_load_dwordx4 v[2:5], v18, s[4:7], 0 offen
	buffer_load_dwordx4 v[6:9], v18, s[4:7], 0 offen offset:256
	buffer_load_dwordx4 v[10:13], v18, s[4:7], s0 offen
	buffer_load_dwordx4 v[14:17], v18, s[4:7], s0 offen offset:256
.LBB483_59:
	ds_read_b64 v[20:21], v25 offset:32768
	v_add_u32_e32 v18, 0xb000, v24
	ds_read2_b64 v[32:35], v18 offset1:16
	ds_read_b64 v[40:41], v26 offset:32768
	ds_read_b64 v[26:27], v27 offset:32768
	;; [unrolled: 1-line block ×3, first 2 shown]
	v_and_b32_e32 v18, 6, v0
	v_xor_b32_e32 v23, v23, v18
	v_lshlrev_b32_e32 v23, 2, v23
	v_and_b32_e32 v0, 1, v0
	v_xor_b32_e32 v28, 0x440, v23
	v_cmp_eq_u32_e32 vcc, 0, v0
	s_waitcnt lgkmcnt(3)
	v_mfma_f32_16x16x16_bf16 a[0:3], v[20:21], v[32:33], a[0:3]
	s_mov_b32 s0, 0x1000504
	v_cndmask_b32_e32 v0, v28, v23, vcc
	v_lshl_or_b32 v0, v18, 10, v0
	v_mfma_f32_16x16x16_bf16 a[4:7], v[20:21], v[34:35], a[4:7]
	ds_read2st64_b64 v[32:35], v24 offset0:90 offset1:92
	ds_read2st64_b64 v[36:39], v29 offset0:90 offset1:92
	ds_read_b64 v[20:21], v24 offset:48128
	ds_read_b64 v[24:25], v29 offset:48128
	s_waitcnt vmcnt(0)
	v_perm_b32 v18, v2, v6, s0
	s_waitcnt lgkmcnt(3)
	v_mfma_f32_16x16x16_bf16 a[0:3], v[40:41], v[32:33], a[0:3]
	s_mov_b32 s1, 0x3020706
	v_perm_b32 v2, v2, v6, s1
	v_perm_b32 v6, v10, v14, s1
	s_waitcnt lgkmcnt(2)
	v_mfma_f32_16x16x16_bf16 a[4:7], v[40:41], v[36:37], a[4:7]
	v_mfma_f32_16x16x16_bf16 a[0:3], v[26:27], v[34:35], a[0:3]
	;; [unrolled: 1-line block ×3, first 2 shown]
	s_waitcnt lgkmcnt(1)
	v_mfma_f32_16x16x16_bf16 a[4:7], v[42:43], v[20:21], a[0:3]
	v_perm_b32 v20, v10, v14, s0
	ds_write2st64_b32 v0, v18, v20 offset0:32 offset1:64
	v_xor_b32_e32 v18, 8, v0
	v_add_u32_e32 v10, 0x80, v18
	ds_write2st64_b32 v10, v2, v6 offset0:32 offset1:64
	v_xor_b32_e32 v2, 16, v0
	v_perm_b32 v6, v3, v7, s0
	v_perm_b32 v10, v11, v15, s0
	ds_write2st64_b32 v2, v6, v10 offset0:33 offset1:65
	v_xor_b32_e32 v2, 24, v0
	v_perm_b32 v3, v3, v7, s1
	v_perm_b32 v6, v11, v15, s1
	v_add_u32_e32 v2, 0x80, v2
	ds_write2st64_b32 v2, v3, v6 offset0:33 offset1:65
	v_xor_b32_e32 v2, 32, v0
	v_perm_b32 v3, v4, v8, s0
	v_perm_b32 v6, v12, v16, s0
	s_waitcnt lgkmcnt(4)
	v_mfma_f32_16x16x16_bf16 a[0:3], v[42:43], v[24:25], a[8:11]
	ds_write2st64_b32 v2, v3, v6 offset0:34 offset1:66
	v_xor_b32_e32 v2, 40, v0
	v_perm_b32 v3, v4, v8, s1
	v_perm_b32 v4, v12, v16, s1
	v_add_u32_e32 v2, 0x80, v2
	ds_write2st64_b32 v2, v3, v4 offset0:34 offset1:66
	v_xor_b32_e32 v2, 48, v0
	v_perm_b32 v3, v5, v9, s0
	v_perm_b32 v4, v13, v17, s0
	v_xor_b32_e32 v0, 56, v0
	v_and_or_b32 v21, v30, 12, v1
	ds_write2st64_b32 v2, v3, v4 offset0:35 offset1:67
	v_perm_b32 v2, v5, v9, s1
	v_perm_b32 v3, v13, v17, s1
	v_add_u32_e32 v0, 0x80, v0
	v_cmp_gt_i32_e32 vcc, s27, v21
	v_mov_b32_e32 v16, 0
	v_mov_b32_e32 v18, 0
	ds_write2st64_b32 v0, v2, v3 offset0:35 offset1:67
	s_and_saveexec_b64 s[0:1], vcc
	s_cbranch_execz .LBB483_61
; %bb.60:
	v_add_u32_e32 v0, s26, v21
	v_ashrrev_i32_e32 v1, 31, v0
	v_mul_lo_u32 v2, v1, s30
	v_mul_lo_u32 v3, v0, s31
	v_mad_u64_u32 v[0:1], s[2:3], v0, s30, 0
	v_add3_u32 v1, v1, v3, v2
	v_lshl_add_u64 v[0:1], v[0:1], 2, s[10:11]
	global_load_dword v0, v[0:1], off
	s_waitcnt vmcnt(0)
	v_sub_f32_e32 v0, s12, v0
	v_mul_f32_e32 v0, 0x3fb8aa3b, v0
	v_exp_f32_e32 v18, v0
.LBB483_61:
	s_or_b64 exec, exec, s[0:1]
	v_or_b32_e32 v10, 1, v21
	v_cmp_gt_i32_e64 s[0:1], s27, v10
	s_and_saveexec_b64 s[2:3], s[0:1]
	s_cbranch_execz .LBB483_63
; %bb.62:
	v_add_u32_e32 v0, s26, v10
	v_ashrrev_i32_e32 v1, 31, v0
	v_mul_lo_u32 v2, v1, s30
	v_mul_lo_u32 v3, v0, s31
	v_mad_u64_u32 v[0:1], s[4:5], v0, s30, 0
	v_add3_u32 v1, v1, v3, v2
	v_lshl_add_u64 v[0:1], v[0:1], 2, s[10:11]
	global_load_dword v0, v[0:1], off
	s_waitcnt vmcnt(0)
	v_sub_f32_e32 v0, s12, v0
	v_mul_f32_e32 v0, 0x3fb8aa3b, v0
	v_exp_f32_e32 v16, v0
.LBB483_63:
	s_or_b64 exec, exec, s[2:3]
	v_or_b32_e32 v12, 2, v21
	v_cmp_gt_i32_e64 s[2:3], s27, v12
	v_mov_b32_e32 v17, 0
	v_mov_b32_e32 v20, 0
	s_and_saveexec_b64 s[4:5], s[2:3]
	s_cbranch_execz .LBB483_65
; %bb.64:
	v_add_u32_e32 v0, s26, v12
	v_ashrrev_i32_e32 v1, 31, v0
	v_mul_lo_u32 v2, v1, s30
	v_mul_lo_u32 v3, v0, s31
	v_mad_u64_u32 v[0:1], s[6:7], v0, s30, 0
	v_add3_u32 v1, v1, v3, v2
	v_lshl_add_u64 v[0:1], v[0:1], 2, s[10:11]
	global_load_dword v0, v[0:1], off
	s_waitcnt vmcnt(0)
	v_sub_f32_e32 v0, s12, v0
	v_mul_f32_e32 v0, 0x3fb8aa3b, v0
	v_exp_f32_e32 v20, v0
.LBB483_65:
	s_or_b64 exec, exec, s[4:5]
	v_or_b32_e32 v14, 3, v21
	v_cmp_gt_i32_e64 s[4:5], s27, v14
	s_and_saveexec_b64 s[6:7], s[4:5]
	s_cbranch_execz .LBB483_67
; %bb.66:
	v_add_u32_e32 v0, s26, v14
	v_ashrrev_i32_e32 v1, 31, v0
	v_mul_lo_u32 v2, v1, s30
	v_mul_lo_u32 v3, v0, s31
	v_mad_u64_u32 v[0:1], s[14:15], v0, s30, 0
	v_add3_u32 v1, v1, v3, v2
	v_lshl_add_u64 v[0:1], v[0:1], 2, s[10:11]
	global_load_dword v0, v[0:1], off
	s_waitcnt vmcnt(0)
	v_sub_f32_e32 v0, s12, v0
	v_mul_f32_e32 v0, 0x3fb8aa3b, v0
	v_exp_f32_e32 v17, v0
.LBB483_67:
	s_or_b64 exec, exec, s[6:7]
	s_add_u32 s6, s8, s20
	s_addc_u32 s7, s9, s21
	s_add_u32 s8, s28, s20
	v_ashrrev_i32_e32 v51, 31, v50
	v_accvgpr_read_b32 v0, a4
	s_addc_u32 s9, s29, s21
	v_lshlrev_b64 v[4:5], 1, v[50:51]
	v_accvgpr_read_b32 v1, a5
	v_accvgpr_read_b32 v2, a6
	;; [unrolled: 1-line block ×3, first 2 shown]
	v_lshl_add_u64 v[6:7], s[6:7], 0, v[4:5]
	v_lshl_add_u64 v[4:5], s[8:9], 0, v[4:5]
	v_mov_b32_e32 v11, 0
	v_lshlrev_b32_e32 v8, 8, v21
	v_mov_b32_e32 v9, 0
	s_and_saveexec_b64 s[6:7], vcc
	s_cbranch_execz .LBB483_69
; %bb.68:
	v_mov_b32_e32 v9, 0
	v_lshl_add_u64 v[24:25], v[6:7], 0, v[8:9]
	global_load_ushort v13, v[24:25], off
	v_lshl_add_u64 v[24:25], v[4:5], 0, v[8:9]
	s_waitcnt vmcnt(0)
	v_lshlrev_b32_e32 v9, 16, v13
	v_sub_f32_e32 v0, v9, v0
	global_store_short_d16_hi v[24:25], v0, off
	v_mul_f32_e32 v0, v18, v0
	v_lshrrev_b32_e32 v9, 16, v0
.LBB483_69:
	s_or_b64 exec, exec, s[6:7]
	v_lshlrev_b32_e32 v10, 8, v10
	s_and_saveexec_b64 s[6:7], s[0:1]
	s_cbranch_execz .LBB483_71
; %bb.70:
	v_mov_b32_e32 v11, 0
	v_lshl_add_u64 v[24:25], v[6:7], 0, v[10:11]
	global_load_ushort v0, v[24:25], off
	v_lshl_add_u64 v[24:25], v[4:5], 0, v[10:11]
	s_waitcnt vmcnt(0)
	v_lshlrev_b32_e32 v0, 16, v0
	v_sub_f32_e32 v0, v0, v1
	global_store_short_d16_hi v[24:25], v0, off
	v_mul_f32_e32 v0, v16, v0
	v_lshrrev_b32_e32 v11, 16, v0
.LBB483_71:
	s_or_b64 exec, exec, s[6:7]
	v_mov_b32_e32 v15, 0
	v_lshlrev_b32_e32 v12, 8, v12
	v_mov_b32_e32 v13, 0
	s_and_saveexec_b64 s[6:7], s[2:3]
	s_cbranch_execz .LBB483_73
; %bb.72:
	v_mov_b32_e32 v13, 0
	v_lshl_add_u64 v[0:1], v[6:7], 0, v[12:13]
	global_load_ushort v23, v[0:1], off
	v_lshl_add_u64 v[0:1], v[4:5], 0, v[12:13]
	s_waitcnt vmcnt(0)
	v_lshlrev_b32_e32 v13, 16, v23
	v_sub_f32_e32 v2, v13, v2
	global_store_short_d16_hi v[0:1], v2, off
	v_mul_f32_e32 v0, v20, v2
	v_lshrrev_b32_e32 v13, 16, v0
.LBB483_73:
	s_or_b64 exec, exec, s[6:7]
	v_lshlrev_b32_e32 v14, 8, v14
	s_and_saveexec_b64 s[6:7], s[4:5]
	s_cbranch_execz .LBB483_75
; %bb.74:
	v_mov_b32_e32 v15, 0
	v_lshl_add_u64 v[0:1], v[6:7], 0, v[14:15]
	global_load_ushort v2, v[0:1], off
	v_lshl_add_u64 v[0:1], v[4:5], 0, v[14:15]
	s_waitcnt vmcnt(0)
	v_lshlrev_b32_e32 v2, 16, v2
	v_sub_f32_e32 v2, v2, v3
	global_store_short_d16_hi v[0:1], v2, off
	v_mul_f32_e32 v0, v17, v2
	v_lshrrev_b32_e32 v15, 16, v0
.LBB483_75:
	s_or_b64 exec, exec, s[6:7]
	v_lshlrev_b32_e32 v21, 5, v21
	s_mov_b32 s6, 0x5040100
	v_perm_b32 v24, v11, v9, s6
	v_or_b32_e32 v9, v21, v22
	v_accvgpr_read_b32 v0, a0
	v_perm_b32 v25, v15, v13, s6
	v_lshlrev_b32_e32 v9, 1, v9
	v_accvgpr_read_b32 v1, a1
	v_accvgpr_read_b32 v2, a2
	;; [unrolled: 1-line block ×3, first 2 shown]
	ds_write_b64 v9, v[24:25] offset:45056
	v_mov_b32_e32 v11, 0
	v_mov_b32_e32 v9, 0
	s_and_saveexec_b64 s[6:7], vcc
	s_cbranch_execz .LBB483_77
; %bb.76:
	v_mov_b32_e32 v9, 0
	v_lshl_add_u64 v[22:23], v[6:7], 0, v[8:9]
	global_load_ushort v13, v[22:23], off offset:32
	v_lshl_add_u64 v[8:9], v[4:5], 0, v[8:9]
	s_waitcnt vmcnt(0)
	v_lshlrev_b32_e32 v13, 16, v13
	v_sub_f32_e32 v0, v13, v0
	global_store_short_d16_hi v[8:9], v0, off offset:32
	v_mul_f32_e32 v0, v18, v0
	v_lshrrev_b32_e32 v9, 16, v0
.LBB483_77:
	s_or_b64 exec, exec, s[6:7]
	s_and_saveexec_b64 s[6:7], s[0:1]
	s_cbranch_execz .LBB483_79
; %bb.78:
	v_mov_b32_e32 v11, 0
	v_lshl_add_u64 v[22:23], v[6:7], 0, v[10:11]
	global_load_ushort v0, v[22:23], off offset:32
	v_lshl_add_u64 v[10:11], v[4:5], 0, v[10:11]
	s_waitcnt vmcnt(0)
	v_lshlrev_b32_e32 v0, 16, v0
	v_sub_f32_e32 v0, v0, v1
	global_store_short_d16_hi v[10:11], v0, off offset:32
	v_mul_f32_e32 v0, v16, v0
	v_lshrrev_b32_e32 v11, 16, v0
.LBB483_79:
	s_or_b64 exec, exec, s[6:7]
	v_mov_b32_e32 v0, 0
	v_mov_b32_e32 v1, 0
	s_and_saveexec_b64 s[0:1], s[2:3]
	s_cbranch_execz .LBB483_81
; %bb.80:
	v_mov_b32_e32 v13, 0
	v_lshl_add_u64 v[22:23], v[6:7], 0, v[12:13]
	global_load_ushort v1, v[22:23], off offset:32
	v_lshl_add_u64 v[12:13], v[4:5], 0, v[12:13]
	s_waitcnt vmcnt(0)
	v_lshlrev_b32_e32 v1, 16, v1
	v_sub_f32_e32 v1, v1, v2
	global_store_short_d16_hi v[12:13], v1, off offset:32
	v_mul_f32_e32 v1, v20, v1
	v_lshrrev_b32_e32 v1, 16, v1
.LBB483_81:
	s_or_b64 exec, exec, s[0:1]
	s_and_saveexec_b64 s[0:1], s[4:5]
	s_cbranch_execz .LBB483_83
; %bb.82:
	v_mov_b32_e32 v15, 0
	v_lshl_add_u64 v[6:7], v[6:7], 0, v[14:15]
	global_load_ushort v0, v[6:7], off offset:32
	v_lshl_add_u64 v[4:5], v[4:5], 0, v[14:15]
	s_waitcnt vmcnt(0)
	v_lshlrev_b32_e32 v0, 16, v0
	v_sub_f32_e32 v0, v0, v3
	global_store_short_d16_hi v[4:5], v0, off offset:32
	v_mul_f32_e32 v0, v17, v0
	v_lshrrev_b32_e32 v0, 16, v0
.LBB483_83:
	s_or_b64 exec, exec, s[0:1]
	s_mov_b32 s0, 0x5040100
	v_or_b32_e32 v2, v21, v19
	v_perm_b32 v1, v0, v1, s0
	v_perm_b32 v0, v11, v9, s0
	v_lshlrev_b32_e32 v2, 1, v2
	ds_write_b64 v2, v[0:1] offset:45056
	s_waitcnt lgkmcnt(0)
	s_barrier
.LBB483_84:
	s_endpgm
	.section	.rodata,"a",@progbits
	.p2align	6, 0x0
	.amdhsa_kernel _ZN12_GLOBAL__N_139chunk_gated_delta_rule_fwd_h_hip_kernelILi32ELb1ELb0ELb1ELb1ELb0ELb0ELb1ELb0EEEvPK12hip_bfloat16S3_S3_PKfS5_PKvPS1_S8_PvPKiSB_iiiiilll
		.amdhsa_group_segment_fixed_size 49152
		.amdhsa_private_segment_fixed_size 0
		.amdhsa_kernarg_size 136
		.amdhsa_user_sgpr_count 2
		.amdhsa_user_sgpr_dispatch_ptr 0
		.amdhsa_user_sgpr_queue_ptr 0
		.amdhsa_user_sgpr_kernarg_segment_ptr 1
		.amdhsa_user_sgpr_dispatch_id 0
		.amdhsa_user_sgpr_kernarg_preload_length 0
		.amdhsa_user_sgpr_kernarg_preload_offset 0
		.amdhsa_user_sgpr_private_segment_size 0
		.amdhsa_uses_dynamic_stack 0
		.amdhsa_enable_private_segment 0
		.amdhsa_system_sgpr_workgroup_id_x 1
		.amdhsa_system_sgpr_workgroup_id_y 1
		.amdhsa_system_sgpr_workgroup_id_z 0
		.amdhsa_system_sgpr_workgroup_info 0
		.amdhsa_system_vgpr_workitem_id 0
		.amdhsa_next_free_vgpr 156
		.amdhsa_next_free_sgpr 64
		.amdhsa_accum_offset 136
		.amdhsa_reserve_vcc 1
		.amdhsa_float_round_mode_32 0
		.amdhsa_float_round_mode_16_64 0
		.amdhsa_float_denorm_mode_32 3
		.amdhsa_float_denorm_mode_16_64 3
		.amdhsa_dx10_clamp 1
		.amdhsa_ieee_mode 1
		.amdhsa_fp16_overflow 0
		.amdhsa_tg_split 0
		.amdhsa_exception_fp_ieee_invalid_op 0
		.amdhsa_exception_fp_denorm_src 0
		.amdhsa_exception_fp_ieee_div_zero 0
		.amdhsa_exception_fp_ieee_overflow 0
		.amdhsa_exception_fp_ieee_underflow 0
		.amdhsa_exception_fp_ieee_inexact 0
		.amdhsa_exception_int_div_zero 0
	.end_amdhsa_kernel
	.section	.text._ZN12_GLOBAL__N_139chunk_gated_delta_rule_fwd_h_hip_kernelILi32ELb1ELb0ELb1ELb1ELb0ELb0ELb1ELb0EEEvPK12hip_bfloat16S3_S3_PKfS5_PKvPS1_S8_PvPKiSB_iiiiilll,"axG",@progbits,_ZN12_GLOBAL__N_139chunk_gated_delta_rule_fwd_h_hip_kernelILi32ELb1ELb0ELb1ELb1ELb0ELb0ELb1ELb0EEEvPK12hip_bfloat16S3_S3_PKfS5_PKvPS1_S8_PvPKiSB_iiiiilll,comdat
.Lfunc_end483:
	.size	_ZN12_GLOBAL__N_139chunk_gated_delta_rule_fwd_h_hip_kernelILi32ELb1ELb0ELb1ELb1ELb0ELb0ELb1ELb0EEEvPK12hip_bfloat16S3_S3_PKfS5_PKvPS1_S8_PvPKiSB_iiiiilll, .Lfunc_end483-_ZN12_GLOBAL__N_139chunk_gated_delta_rule_fwd_h_hip_kernelILi32ELb1ELb0ELb1ELb1ELb0ELb0ELb1ELb0EEEvPK12hip_bfloat16S3_S3_PKfS5_PKvPS1_S8_PvPKiSB_iiiiilll
                                        ; -- End function
	.section	.AMDGPU.csdata,"",@progbits
; Kernel info:
; codeLenInByte = 8580
; NumSgprs: 70
; NumVgprs: 134
; NumAgprs: 20
; TotalNumVgprs: 156
; ScratchSize: 0
; MemoryBound: 0
; FloatMode: 240
; IeeeMode: 1
; LDSByteSize: 49152 bytes/workgroup (compile time only)
; SGPRBlocks: 8
; VGPRBlocks: 19
; NumSGPRsForWavesPerEU: 70
; NumVGPRsForWavesPerEU: 156
; AccumOffset: 136
; Occupancy: 1
; WaveLimiterHint : 1
; COMPUTE_PGM_RSRC2:SCRATCH_EN: 0
; COMPUTE_PGM_RSRC2:USER_SGPR: 2
; COMPUTE_PGM_RSRC2:TRAP_HANDLER: 0
; COMPUTE_PGM_RSRC2:TGID_X_EN: 1
; COMPUTE_PGM_RSRC2:TGID_Y_EN: 1
; COMPUTE_PGM_RSRC2:TGID_Z_EN: 0
; COMPUTE_PGM_RSRC2:TIDIG_COMP_CNT: 0
; COMPUTE_PGM_RSRC3_GFX90A:ACCUM_OFFSET: 33
; COMPUTE_PGM_RSRC3_GFX90A:TG_SPLIT: 0
	.section	.text._ZN12_GLOBAL__N_139chunk_gated_delta_rule_fwd_h_hip_kernelILi32ELb1ELb0ELb0ELb1ELb0ELb0ELb1ELb0EEEvPK12hip_bfloat16S3_S3_PKfS5_PKvPS1_S8_PvPKiSB_iiiiilll,"axG",@progbits,_ZN12_GLOBAL__N_139chunk_gated_delta_rule_fwd_h_hip_kernelILi32ELb1ELb0ELb0ELb1ELb0ELb0ELb1ELb0EEEvPK12hip_bfloat16S3_S3_PKfS5_PKvPS1_S8_PvPKiSB_iiiiilll,comdat
	.globl	_ZN12_GLOBAL__N_139chunk_gated_delta_rule_fwd_h_hip_kernelILi32ELb1ELb0ELb0ELb1ELb0ELb0ELb1ELb0EEEvPK12hip_bfloat16S3_S3_PKfS5_PKvPS1_S8_PvPKiSB_iiiiilll ; -- Begin function _ZN12_GLOBAL__N_139chunk_gated_delta_rule_fwd_h_hip_kernelILi32ELb1ELb0ELb0ELb1ELb0ELb0ELb1ELb0EEEvPK12hip_bfloat16S3_S3_PKfS5_PKvPS1_S8_PvPKiSB_iiiiilll
	.p2align	8
	.type	_ZN12_GLOBAL__N_139chunk_gated_delta_rule_fwd_h_hip_kernelILi32ELb1ELb0ELb0ELb1ELb0ELb0ELb1ELb0EEEvPK12hip_bfloat16S3_S3_PKfS5_PKvPS1_S8_PvPKiSB_iiiiilll,@function
_ZN12_GLOBAL__N_139chunk_gated_delta_rule_fwd_h_hip_kernelILi32ELb1ELb0ELb0ELb1ELb0ELb0ELb1ELb0EEEvPK12hip_bfloat16S3_S3_PKfS5_PKvPS1_S8_PvPKiSB_iiiiilll: ; @_ZN12_GLOBAL__N_139chunk_gated_delta_rule_fwd_h_hip_kernelILi32ELb1ELb0ELb0ELb1ELb0ELb0ELb1ELb0EEEvPK12hip_bfloat16S3_S3_PKfS5_PKvPS1_S8_PvPKiSB_iiiiilll
; %bb.0:
	s_load_dwordx4 s[12:15], s[0:1], 0x5c
	s_load_dwordx4 s[20:23], s[0:1], 0x70
	s_abs_i32 s9, s3
	s_ashr_i32 s8, s3, 31
	s_load_dwordx4 s[4:7], s[0:1], 0x48
	s_waitcnt lgkmcnt(0)
	s_abs_i32 s10, s13
	v_cvt_f32_u32_e32 v1, s10
	s_sub_i32 s16, 0, s10
	s_ashr_i32 s11, s13, 31
	s_xor_b32 s8, s8, s11
	v_rcp_iflag_f32_e32 v1, v1
	v_and_b32_e32 v61, 15, v0
	v_lshrrev_b32_e32 v59, 6, v0
	v_bfe_u32 v60, v0, 4, 2
	v_mul_f32_e32 v1, 0x4f7ffffe, v1
	v_cvt_u32_f32_e32 v1, v1
	v_mov_b32_e32 v7, 0
	v_and_b32_e32 v58, 63, v0
	v_lshrrev_b32_e32 v63, 3, v58
	v_readfirstlane_b32 s17, v1
	s_mul_i32 s16, s16, s17
	s_mul_hi_u32 s16, s17, s16
	s_add_i32 s17, s17, s16
	s_mul_hi_u32 s16, s9, s17
	s_mul_i32 s17, s16, s10
	s_sub_i32 s9, s9, s17
	s_add_i32 s18, s16, 1
	s_sub_i32 s17, s9, s10
	s_cmp_ge_u32 s9, s10
	s_cselect_b32 s16, s18, s16
	s_cselect_b32 s9, s17, s9
	s_add_i32 s17, s16, 1
	s_cmp_ge_u32 s9, s10
	s_cselect_b32 s9, s17, s16
	s_load_dwordx4 s[16:19], s[0:1], 0x28
	s_xor_b32 s9, s9, s8
	s_sub_i32 s24, s9, s8
	s_mul_i32 s28, s24, s13
	s_ashr_i32 s25, s24, 31
	s_sub_i32 s45, s3, s28
	s_lshl_b64 s[8:9], s[24:25], 2
	s_add_u32 s4, s4, s8
	s_addc_u32 s5, s5, s9
	s_add_u32 s26, s6, s8
	s_addc_u32 s27, s7, s9
	s_abs_i32 s3, s14
	v_cvt_f32_u32_e32 v1, s3
	s_load_dwordx2 s[30:31], s[4:5], 0x0
	s_sub_i32 s5, 0, s3
	s_lshl_b32 s2, s2, 5
	v_rcp_iflag_f32_e32 v1, v1
	v_or_b32_e32 v50, s2, v61
	s_waitcnt lgkmcnt(0)
	s_sub_i32 s48, s31, s30
	s_ashr_i32 s4, s48, 31
	v_mul_f32_e32 v1, 0x4f7ffffe, v1
	v_cvt_u32_f32_e32 v1, v1
	s_lshr_b32 s4, s4, 26
	s_add_i32 s4, s48, s4
	s_ashr_i32 s46, s4, 6
	v_readfirstlane_b32 s6, v1
	s_mul_i32 s5, s5, s6
	s_mul_hi_u32 s5, s6, s5
	s_add_i32 s6, s6, s5
	s_mul_hi_u32 s5, s10, s6
	s_mul_i32 s6, s5, s3
	s_ashr_i32 s4, s14, 31
	s_sub_i32 s6, s10, s6
	s_xor_b32 s4, s11, s4
	s_add_i32 s7, s5, 1
	s_sub_i32 s8, s6, s3
	s_cmp_ge_u32 s6, s3
	s_cselect_b32 s5, s7, s5
	s_cselect_b32 s6, s8, s6
	s_add_i32 s7, s5, 1
	s_cmp_ge_u32 s6, s3
	s_cselect_b32 s3, s7, s5
	s_xor_b32 s3, s3, s4
	s_sub_i32 s3, s3, s4
	s_abs_i32 s4, s3
	v_cvt_f32_u32_e32 v1, s4
	s_sub_i32 s6, 0, s4
	s_abs_i32 s5, s45
	s_xor_b32 s3, s45, s3
	v_rcp_iflag_f32_e32 v1, v1
	s_ashr_i32 s3, s3, 31
	v_lshlrev_b32_e32 v2, 7, v50
	v_ashrrev_i32_e32 v3, 31, v2
	v_mul_f32_e32 v1, 0x4f7ffffe, v1
	v_cvt_u32_f32_e32 v1, v1
	s_mul_hi_i32 s51, s45, s12
	s_mul_i32 s52, s45, s12
	v_lshlrev_b32_e32 v62, 3, v0
	v_readfirstlane_b32 s7, v1
	s_mul_i32 s6, s6, s7
	s_mul_hi_u32 s6, s7, s6
	s_add_i32 s7, s7, s6
	s_mul_hi_u32 s6, s5, s7
	s_mul_i32 s7, s6, s4
	s_sub_i32 s5, s5, s7
	s_add_i32 s7, s6, 1
	s_sub_i32 s8, s5, s4
	s_cmp_ge_u32 s5, s4
	s_cselect_b32 s6, s7, s6
	s_cselect_b32 s5, s8, s5
	s_add_i32 s7, s6, 1
	s_cmp_ge_u32 s5, s4
	s_cselect_b32 s4, s7, s6
	s_xor_b32 s4, s4, s3
	s_sub_i32 s49, s4, s3
	s_ashr_i32 s47, s45, 31
	s_mul_hi_i32 s3, s24, s13
	s_add_u32 s4, s28, s45
	s_addc_u32 s5, s3, s47
	s_lshl_b64 s[4:5], s[4:5], 16
	s_add_u32 s4, s16, s4
	s_addc_u32 s5, s17, s5
	v_lshlrev_b32_e32 v1, 4, v59
	v_lshl_add_u64 v[4:5], v[2:3], 2, s[4:5]
	v_or_b32_e32 v2, 0x800, v2
	v_lshl_or_b32 v64, v60, 2, v1
	v_ashrrev_i32_e32 v3, 31, v2
	v_lshlrev_b32_e32 v6, 2, v64
	v_lshl_add_u64 v[2:3], v[2:3], 2, s[4:5]
	v_lshl_add_u64 v[4:5], v[4:5], 0, v[6:7]
	;; [unrolled: 1-line block ×3, first 2 shown]
	global_load_dwordx4 v[14:17], v[4:5], off
	global_load_dwordx4 v[10:13], v[4:5], off offset:256
	global_load_dwordx4 v[6:9], v[18:19], off
	s_nop 0
	global_load_dwordx4 v[2:5], v[18:19], off offset:256
	s_load_dwordx8 s[4:11], s[0:1], 0x0
	s_load_dwordx2 s[28:29], s[0:1], 0x80
	s_load_dword s50, s[26:27], 0x0
	v_or_b32_e32 v65, 64, v64
	s_cmp_lt_i32 s48, 64
	s_mul_i32 s33, s24, s21
	s_mul_hi_u32 s41, s24, s20
	s_mul_i32 s42, s25, s20
	s_mul_i32 s34, s24, s20
	s_mul_i32 s40, s45, s23
	s_mul_hi_u32 s43, s45, s22
	s_mul_i32 s44, s47, s22
	s_mul_i32 s36, s45, s22
	s_cbranch_scc1 .LBB484_3
; %bb.1:
	s_ashr_i32 s1, s30, 31
	s_add_u32 s0, s52, s30
	s_addc_u32 s1, s51, s1
	s_lshl_b64 s[0:1], s[0:1], 8
	v_and_b32_e32 v67, 56, v62
	s_waitcnt lgkmcnt(0)
	s_add_u32 s20, s6, s0
	v_lshl_or_b32 v66, v59, 3, v63
	v_lshlrev_b32_e32 v18, 1, v67
	s_addc_u32 s0, s7, s1
	v_lshl_or_b32 v68, v66, 8, v18
	s_and_b32 s21, s0, 0xffff
	s_mov_b32 s23, 0x20000
	s_movk_i32 s22, 0x4000
	s_movk_i32 s0, 0x80
	v_or_b32_e32 v69, 0x2000, v68
	buffer_load_dwordx4 v[20:23], v68, s[20:23], 0 offen
	buffer_load_dwordx4 v[24:27], v68, s[20:23], s0 offen
	;; [unrolled: 1-line block ×4, first 2 shown]
	v_lshlrev_b32_e32 v19, 3, v66
	v_and_or_b32 v37, v0, 7, v19
	v_and_b32_e32 v19, 0x78, v19
	v_lshlrev_b32_e32 v37, 4, v37
	v_xor_b32_e32 v70, v37, v19
	v_mul_lo_u32 v36, v66, s15
	v_or_b32_e32 v71, 0x1000, v70
	v_xor_b32_e32 v19, 8, v70
	s_cmpk_eq_i32 s15, 0x80
	s_mov_b32 s53, s30
	v_xor_b32_e32 v37, 8, v71
	s_cselect_b64 s[0:1], -1, 0
	s_cmpk_lg_i32 s15, 0x80
	s_waitcnt vmcnt(3)
	ds_write_b64 v70, v[20:21] offset:24576
	ds_write_b64 v19, v[22:23] offset:24576
	s_waitcnt vmcnt(2)
	ds_write_b64 v70, v[24:25] offset:32768
	ds_write_b64 v19, v[26:27] offset:32768
	;; [unrolled: 3-line block ×4, first 2 shown]
	v_lshl_add_u32 v19, v36, 1, v67
	s_cbranch_scc0 .LBB484_29
; %bb.2:
	v_lshlrev_b32_e32 v21, 1, v19
	v_add_lshl_u32 v20, v19, s15, 1
	s_lshl_b32 s22, s15, 7
	v_lshl_or_b32 v18, v66, 9, v18
	s_cbranch_execz .LBB484_30
	s_branch .LBB484_31
.LBB484_3:
	s_waitcnt vmcnt(0)
	v_mov_b32_e32 v19, v5
	v_mov_b32_e32 v18, v9
	;; [unrolled: 1-line block ×4, first 2 shown]
.LBB484_4:
	s_lshl_b32 s26, s46, 6
	s_sub_i32 s27, s48, s26
	s_cmp_gt_i32 s27, 0
	s_cbranch_scc0 .LBB484_84
; %bb.5:
	s_add_i32 s26, s26, s30
	s_ashr_i32 s3, s26, 31
	s_cmpk_lg_i32 s15, 0x80
	s_cselect_b64 s[22:23], -1, 0
	s_and_b64 vcc, exec, s[22:23]
	s_cbranch_vccz .LBB484_7
; %bb.6:
	s_mul_hi_i32 s0, s26, s14
	s_mul_i32 s1, s26, s14
	s_ashr_i32 s14, s49, 31
	s_add_u32 s24, s1, s49
	s_addc_u32 s25, s0, s14
	s_cbranch_execz .LBB484_8
	s_branch .LBB484_9
.LBB484_7:
                                        ; implicit-def: $sgpr24_sgpr25
.LBB484_8:
	s_mul_i32 s1, s49, s12
	s_mul_hi_i32 s0, s49, s12
	s_add_u32 s24, s1, s26
	s_addc_u32 s25, s0, s3
.LBB484_9:
	s_waitcnt lgkmcnt(0)
	s_add_i32 s12, s46, s50
	s_add_u32 s0, s52, s26
	s_addc_u32 s1, s51, s3
	v_lshlrev_b32_e32 v21, 5, v64
	v_lshlrev_b32_e32 v22, 2, v61
	s_mov_b32 s3, 0x7060302
	v_xor_b32_e32 v5, v64, v22
	v_xor_b32_e32 v23, v65, v22
	v_perm_b32 v13, v9, v12, s3
	v_or_b32_e32 v9, v21, v22
	s_lshl_b64 s[20:21], s[0:1], 8
	v_perm_b32 v17, v20, v16, s3
	v_perm_b32 v16, v15, v14, s3
	;; [unrolled: 1-line block ×3, first 2 shown]
	v_lshlrev_b32_e32 v9, 1, v9
	v_lshlrev_b32_e32 v10, 1, v5
	;; [unrolled: 1-line block ×4, first 2 shown]
	s_add_u32 s0, s6, s20
	ds_write2st64_b64 v9, v[16:17], v[12:13] offset0:80 offset1:88
	v_or_b32_e32 v9, v10, v5
	v_or_b32_e32 v5, v11, v5
	s_addc_u32 s1, s7, s21
	ds_write_b64 v9, v[16:17]
	ds_write_b64 v5, v[12:13]
	v_perm_b32 v9, v18, v8, s3
	v_perm_b32 v8, v7, v6, s3
	;; [unrolled: 1-line block ×4, first 2 shown]
	s_mul_hi_i32 s3, s12, s13
	s_mul_i32 s12, s12, s13
	s_add_u32 s6, s12, s45
	v_or_b32_e32 v2, 16, v61
	s_addc_u32 s7, s3, s47
	v_lshlrev_b32_e32 v19, 2, v2
	s_ashr_i32 s3, s2, 31
	s_lshl_b64 s[6:7], s[6:7], 15
	v_or_b32_e32 v3, v21, v19
	s_add_u32 s6, s18, s6
	v_lshlrev_b32_e32 v3, 1, v3
	v_lshlrev_b32_e32 v2, 8, v2
	s_addc_u32 s7, s19, s7
	s_lshl_b64 s[2:3], s[2:3], 8
	ds_write2st64_b64 v3, v[8:9], v[4:5] offset0:80 offset1:88
	v_or_b32_e32 v3, v10, v2
	v_or_b32_e32 v2, v11, v2
	s_add_u32 s2, s6, s2
	ds_write_b64 v3, v[8:9]
	ds_write_b64 v2, v[4:5]
	v_lshrrev_b32_e32 v2, 4, v0
	s_addc_u32 s3, s7, s3
	v_lshlrev_b32_e32 v3, 1, v61
	v_lshlrev_b32_e32 v10, 4, v61
	v_mov_b32_e32 v11, 0
	v_or_b32_e32 v4, 1, v3
	v_xor_b32_e32 v3, v2, v3
	v_lshl_add_u64 v[12:13], s[2:3], 0, v[10:11]
	v_lshlrev_b32_e32 v10, 8, v2
	v_xor_b32_e32 v6, v4, v2
	v_lshl_or_b32 v2, v3, 3, v10
	s_waitcnt lgkmcnt(0)
	s_barrier
	ds_read2st64_b64 v[2:5], v2 offset1:8
	v_lshl_or_b32 v6, v6, 3, v10
	ds_read2st64_b64 v[6:9], v6 offset1:8
	v_lshl_add_u64 v[14:15], v[12:13], 0, v[10:11]
	s_movk_i32 s2, 0x1000
	s_waitcnt lgkmcnt(1)
	v_mov_b32_e32 v10, v2
	v_add_co_u32_e32 v2, vcc, s2, v14
	s_cmp_lg_u32 s27, 64
	v_mov_b32_e32 v11, v3
	v_addc_co_u32_e32 v3, vcc, 0, v15, vcc
	s_cselect_b64 s[6:7], -1, 0
	v_lshl_or_b32 v23, v59, 3, v63
	s_waitcnt lgkmcnt(0)
	v_mov_b32_e32 v12, v6
	v_mov_b32_e32 v13, v7
	;; [unrolled: 1-line block ×4, first 2 shown]
	s_mov_b32 s16, 0
	v_or_b32_e32 v20, 32, v23
	v_and_b32_e32 v18, 56, v62
	s_and_b64 vcc, exec, s[6:7]
	global_store_dwordx4 v[14:15], v[10:13], off
	global_store_dwordx4 v[2:3], v[6:9], off
	s_cbranch_vccz .LBB484_15
; %bb.10:
	s_mov_b32 s17, s16
	s_mov_b32 s18, s16
	;; [unrolled: 1-line block ×3, first 2 shown]
	v_mov_b64_e32 v[6:7], s[16:17]
	v_mov_b64_e32 v[8:9], s[18:19]
	;; [unrolled: 1-line block ×3, first 2 shown]
	v_cmp_gt_i32_e32 vcc, s27, v23
	v_mov_b64_e32 v[4:5], v[8:9]
	s_and_saveexec_b64 s[2:3], vcc
	s_cbranch_execz .LBB484_12
; %bb.11:
	v_lshlrev_b32_e32 v2, 8, v23
	v_mov_b32_e32 v3, 0
	v_lshl_add_u64 v[4:5], s[0:1], 0, v[2:3]
	v_lshlrev_b32_e32 v2, 1, v18
	v_lshl_add_u64 v[10:11], v[4:5], 0, v[2:3]
	global_load_dwordx4 v[6:9], v[10:11], off
	global_load_dwordx4 v[2:5], v[10:11], off offset:128
.LBB484_12:
	s_or_b64 exec, exec, s[2:3]
	s_mov_b32 s17, s16
	s_mov_b32 s18, s16
	;; [unrolled: 1-line block ×3, first 2 shown]
	v_mov_b64_e32 v[14:15], s[16:17]
	v_mov_b64_e32 v[16:17], s[18:19]
	;; [unrolled: 1-line block ×3, first 2 shown]
	v_cmp_gt_i32_e32 vcc, s27, v20
	v_lshlrev_b32_e32 v21, 7, v20
	v_mov_b64_e32 v[12:13], v[16:17]
	s_and_saveexec_b64 s[2:3], vcc
	s_cbranch_execz .LBB484_14
; %bb.13:
	v_lshlrev_b32_e32 v10, 1, v21
	v_mov_b32_e32 v11, 0
	v_lshl_add_u64 v[12:13], s[0:1], 0, v[10:11]
	v_lshlrev_b32_e32 v10, 1, v18
	v_lshl_add_u64 v[24:25], v[12:13], 0, v[10:11]
	global_load_dwordx4 v[14:17], v[24:25], off
	global_load_dwordx4 v[10:13], v[24:25], off offset:128
.LBB484_14:
	s_or_b64 exec, exec, s[2:3]
	v_lshrrev_b32_e32 v24, 3, v18
	v_lshlrev_b32_e32 v25, 3, v23
	v_or_b32_e32 v24, v25, v24
	v_lshlrev_b32_e32 v24, 4, v24
	v_and_b32_e32 v25, 0x78, v25
	v_xor_b32_e32 v24, v24, v25
	s_branch .LBB484_17
.LBB484_15:
                                        ; implicit-def: $vgpr24
                                        ; implicit-def: $vgpr21
                                        ; implicit-def: $vgpr6_vgpr7_vgpr8_vgpr9
                                        ; implicit-def: $vgpr2_vgpr3_vgpr4_vgpr5
                                        ; implicit-def: $vgpr14_vgpr15_vgpr16_vgpr17
                                        ; implicit-def: $vgpr10_vgpr11_vgpr12_vgpr13
	s_cbranch_execz .LBB484_17
; %bb.16:
	s_waitcnt vmcnt(0)
	v_lshlrev_b32_e32 v2, 1, v18
	v_lshl_or_b32 v21, v23, 8, v2
	s_and_b32 s1, s1, 0xffff
	s_mov_b32 s3, 0x20000
	s_movk_i32 s2, 0x4000
	v_lshl_or_b32 v24, v20, 8, v2
	s_movk_i32 s12, 0x80
	buffer_load_dwordx4 v[6:9], v21, s[0:3], 0 offen
	buffer_load_dwordx4 v[2:5], v21, s[0:3], s12 offen
	;; [unrolled: 1-line block ×4, first 2 shown]
	v_lshrrev_b32_e32 v21, 3, v18
	v_lshlrev_b32_e32 v24, 3, v23
	v_or_b32_e32 v21, v24, v21
	v_lshlrev_b32_e32 v21, 4, v21
	v_and_b32_e32 v24, 0x78, v24
	v_xor_b32_e32 v24, v21, v24
	v_lshlrev_b32_e32 v21, 7, v20
.LBB484_17:
	s_lshl_b64 s[0:1], s[24:25], 8
	s_add_u32 s4, s4, s0
	s_movk_i32 s0, 0x1000
	v_and_or_b32 v20, v21, s0, v24
	s_waitcnt vmcnt(1)
	ds_write_b64 v24, v[6:7] offset:24576
	v_xor_b32_e32 v6, 8, v24
	ds_write_b64 v6, v[8:9] offset:24576
	s_waitcnt vmcnt(0)
	ds_write_b64 v24, v[2:3] offset:32768
	ds_write_b64 v6, v[4:5] offset:32768
	;; [unrolled: 1-line block ×3, first 2 shown]
	v_xor_b32_e32 v2, 8, v20
	ds_write_b64 v2, v[16:17] offset:24576
	ds_write_b64 v20, v[10:11] offset:32768
	ds_write_b64 v2, v[12:13] offset:32768
	v_or_b32_e32 v2, v1, v61
	v_lshlrev_b32_e32 v3, 11, v59
	v_lshlrev_b32_e32 v2, 3, v2
	v_and_b32_e32 v6, 0x1000, v3
	v_lshrrev_b32_e32 v3, 5, v58
	s_movk_i32 s3, 0xf8
	v_and_or_b32 v3, v2, s3, v3
	v_lshlrev_b32_e32 v7, 4, v3
	v_and_b32_e32 v8, 0x78, v2
	v_or_b32_e32 v10, 32, v7
	v_lshrrev_b32_e32 v3, 1, v58
	v_xor_b32_e32 v10, v10, v8
	v_xor_b32_e32 v2, v7, v8
	v_and_b32_e32 v9, 8, v3
	v_or_b32_e32 v10, v10, v6
	v_or_b32_e32 v2, v2, v6
	v_xor_b32_e32 v26, v10, v9
	v_or_b32_e32 v10, 64, v7
	v_xor_b32_e32 v25, v2, v9
	v_xor_b32_e32 v10, v10, v8
	s_waitcnt lgkmcnt(0)
	s_barrier
	v_or_b32_e32 v12, v10, v6
	ds_read_b64 v[10:11], v25 offset:24576
	v_lshl_or_b32 v20, v60, 7, v22
	v_lshlrev_b32_e32 v24, 1, v20
	v_add_u32_e32 v2, 0xa000, v24
	ds_read2_b64 v[2:5], v2 offset1:16
	v_or_b32_e32 v7, 0x60, v7
	v_xor_b32_e32 v7, v7, v8
	s_waitcnt lgkmcnt(0)
	v_mfma_f32_16x16x16_bf16 a[0:3], v[10:11], v[2:3], 0
	v_or_b32_e32 v2, 64, v20
	v_or_b32_e32 v6, v7, v6
	v_lshlrev_b32_e32 v29, 1, v2
	v_xor_b32_e32 v27, v12, v9
	v_xor_b32_e32 v28, v6, v9
	ds_read_b64 v[12:13], v26 offset:24576
	ds_read_b64 v[14:15], v27 offset:24576
	;; [unrolled: 1-line block ×3, first 2 shown]
	v_mfma_f32_16x16x16_bf16 a[4:7], v[10:11], v[4:5], 0
	ds_read2st64_b64 v[2:5], v29 offset0:82 offset1:84
	ds_read2st64_b64 v[6:9], v24 offset0:82 offset1:84
	s_addc_u32 s5, s5, s1
	s_add_i32 s1, s41, s33
	s_add_i32 s0, s31, -1
	s_add_i32 s35, s1, s42
	s_add_i32 s1, s43, s40
	;; [unrolled: 1-line block ×3, first 2 shown]
	s_ashr_i32 s1, s0, 31
	s_mul_i32 s2, s0, s29
	s_mul_hi_u32 s3, s0, s28
	s_add_i32 s2, s3, s2
	s_mul_i32 s1, s1, s28
	s_waitcnt lgkmcnt(1)
	v_mfma_f32_16x16x16_bf16 a[4:7], v[12:13], v[2:3], a[4:7]
	s_add_i32 s1, s2, s1
	s_lshl_b64 s[2:3], s[34:35], 2
	s_add_u32 s10, s10, s2
	s_waitcnt lgkmcnt(0)
	v_mfma_f32_16x16x16_bf16 a[0:3], v[12:13], v[6:7], a[0:3]
	s_addc_u32 s11, s11, s3
	s_lshl_b64 s[2:3], s[36:37], 2
	s_mul_i32 s0, s0, s28
	s_add_u32 s10, s10, s2
	ds_read_b64 v[2:3], v24 offset:44032
	v_mfma_f32_16x16x16_bf16 a[4:7], v[14:15], v[4:5], a[4:7]
	ds_read_b64 v[4:5], v29 offset:44032
	s_addc_u32 s11, s11, s3
	s_lshl_b64 s[0:1], s[0:1], 2
	v_mfma_f32_16x16x16_bf16 a[0:3], v[14:15], v[8:9], a[0:3]
	s_add_u32 s0, s10, s0
	s_addc_u32 s1, s11, s1
	s_load_dword s12, s[0:1], 0x0
	s_waitcnt lgkmcnt(0)
	v_mfma_f32_16x16x16_bf16 a[0:3], v[16:17], v[2:3], a[0:3]
	s_and_b64 vcc, exec, s[22:23]
	v_mfma_f32_16x16x16_bf16 a[4:7], v[16:17], v[4:5], a[4:7]
	s_cbranch_vccz .LBB484_28
; %bb.18:
	v_lshlrev_b32_e32 v20, 1, v23
	s_and_b64 vcc, exec, s[6:7]
	s_cbranch_vccz .LBB484_44
; %bb.19:
	v_cmp_gt_i32_e32 vcc, s27, v20
	v_mov_b32_e32 v6, 0
	v_mov_b32_e32 v2, 0
	;; [unrolled: 1-line block ×5, first 2 shown]
	s_and_saveexec_b64 s[0:1], vcc
	s_cbranch_execz .LBB484_21
; %bb.20:
	v_mad_i64_i32 v[2:3], s[2:3], s15, v20, 0
	v_lshl_add_u64 v[2:3], v[2:3], 1, s[4:5]
	v_lshlrev_b32_e32 v4, 1, v18
	v_mov_b32_e32 v5, 0
	v_lshl_add_u64 v[2:3], v[2:3], 0, v[4:5]
	global_load_dwordx4 v[2:5], v[2:3], off
.LBB484_21:
	s_or_b64 exec, exec, s[0:1]
	v_or_b32_e32 v21, 1, v20
	v_cmp_gt_i32_e64 s[0:1], s27, v21
	v_mov_b32_e32 v7, 0
	v_mov_b32_e32 v8, 0
	;; [unrolled: 1-line block ×3, first 2 shown]
	s_and_saveexec_b64 s[2:3], s[0:1]
	s_cbranch_execz .LBB484_23
; %bb.22:
	v_mad_i64_i32 v[6:7], s[16:17], s15, v21, 0
	v_lshl_add_u64 v[6:7], v[6:7], 1, s[4:5]
	v_lshlrev_b32_e32 v8, 1, v18
	v_mov_b32_e32 v9, 0
	v_lshl_add_u64 v[6:7], v[6:7], 0, v[8:9]
	global_load_dwordx4 v[6:9], v[6:7], off
.LBB484_23:
	s_or_b64 exec, exec, s[2:3]
	v_mov_b32_e32 v17, 0
	v_mov_b32_e32 v10, 0
	;; [unrolled: 1-line block ×5, first 2 shown]
	s_and_saveexec_b64 s[2:3], vcc
	s_cbranch_execz .LBB484_25
; %bb.24:
	v_mad_i64_i32 v[10:11], s[16:17], s15, v20, 0
	v_lshl_add_u64 v[10:11], v[10:11], 1, s[4:5]
	v_lshlrev_b32_e32 v12, 1, v18
	v_mov_b32_e32 v13, 0
	v_lshl_add_u64 v[10:11], v[10:11], 0, v[12:13]
	global_load_dwordx4 v[10:13], v[10:11], off offset:128
.LBB484_25:
	s_or_b64 exec, exec, s[2:3]
	v_mov_b32_e32 v16, 0
	v_mov_b32_e32 v15, 0
	;; [unrolled: 1-line block ×3, first 2 shown]
	s_and_saveexec_b64 s[2:3], s[0:1]
	s_cbranch_execz .LBB484_27
; %bb.26:
	v_mad_i64_i32 v[14:15], s[0:1], s15, v21, 0
	v_lshl_add_u64 v[14:15], v[14:15], 1, s[4:5]
	v_lshlrev_b32_e32 v16, 1, v18
	v_mov_b32_e32 v17, 0
	v_lshl_add_u64 v[14:15], v[14:15], 0, v[16:17]
	global_load_dwordx4 v[14:17], v[14:15], off offset:128
.LBB484_27:
	s_or_b64 exec, exec, s[2:3]
	s_branch .LBB484_46
.LBB484_28:
                                        ; implicit-def: $vgpr5
                                        ; implicit-def: $vgpr9
                                        ; implicit-def: $vgpr13
                                        ; implicit-def: $vgpr17
	v_lshrrev_b32_e32 v30, 2, v58
	s_branch .LBB484_47
.LBB484_29:
                                        ; implicit-def: $vgpr20
                                        ; implicit-def: $vgpr21
                                        ; implicit-def: $sgpr22
	v_lshl_or_b32 v18, v66, 9, v18
.LBB484_30:
	v_or_b32_e32 v20, 0x100, v18
	s_movk_i32 s22, 0x4000
	v_mov_b32_e32 v21, v18
.LBB484_31:
	s_mul_i32 s16, s30, s14
	s_ashr_i32 s54, s49, 31
	s_mul_hi_i32 s3, s30, s14
	s_add_u32 s16, s16, s49
	s_addc_u32 s17, s3, s54
	s_lshl_b64 s[16:17], s[16:17], 8
	s_add_u32 s20, s4, s16
	s_addc_u32 s3, s5, s17
	s_and_b32 s21, s3, 0xffff
	s_movk_i32 s55, 0x80
	buffer_load_dwordx4 v[22:25], v21, s[20:23], 0 offen
	buffer_load_dwordx4 v[26:29], v21, s[20:23], s55 offen
	;; [unrolled: 1-line block ×4, first 2 shown]
	v_and_b32_e32 v20, 6, v0
	v_lshlrev_b32_e32 v39, 6, v64
	v_or_b32_e32 v41, 16, v61
	v_xor_b32_e32 v42, v66, v20
	v_and_b32_e32 v21, 1, v0
	v_lshl_or_b32 v45, v61, 3, v39
	v_lshl_or_b32 v39, v41, 3, v39
	v_lshlrev_b32_e32 v42, 2, v42
	v_lshlrev_b32_e32 v38, 2, v61
	v_or_b32_e32 v74, 0xa000, v39
	v_or_b32_e32 v75, 0xb000, v39
	v_xor_b32_e32 v39, 0x440, v42
	v_cmp_eq_u32_e32 vcc, 0, v21
	s_add_i32 s3, s41, s33
	v_xor_b32_e32 v43, v64, v38
	v_xor_b32_e32 v44, v65, v38
	v_cndmask_b32_e32 v21, v39, v42, vcc
	s_add_i32 s16, s43, s40
	s_add_i32 s35, s3, s42
	s_mov_b32 s56, 0x1000504
	v_lshlrev_b32_e32 v40, 8, v61
	v_lshlrev_b32_e32 v41, 8, v41
	;; [unrolled: 1-line block ×4, first 2 shown]
	v_lshl_or_b32 v20, v20, 10, v21
	s_add_i32 s37, s16, s44
	s_lshl_b64 s[16:17], s[34:35], 2
	s_mov_b32 s57, 0x3020706
	v_or_b32_e32 v72, 0xa000, v45
	v_or_b32_e32 v73, 0xb000, v45
	;; [unrolled: 1-line block ×5, first 2 shown]
	v_xor_b32_e32 v21, 8, v20
	v_xor_b32_e32 v40, 24, v20
	;; [unrolled: 1-line block ×4, first 2 shown]
	s_add_u32 s3, s10, s16
	v_or_b32_e32 v78, v41, v43
	v_xor_b32_e32 v39, 16, v20
	v_xor_b32_e32 v41, 32, v20
	;; [unrolled: 1-line block ×3, first 2 shown]
	v_add_u32_e32 v21, 0x80, v21
	v_add_u32_e32 v40, 0x80, v40
	;; [unrolled: 1-line block ×4, first 2 shown]
	s_addc_u32 s20, s11, s17
	s_lshl_b64 s[16:17], s[36:37], 2
	s_add_u32 s16, s3, s16
	s_movk_i32 s3, 0xf8
	s_addc_u32 s17, s20, s17
	s_lshl_b32 s26, s15, 7
	s_movk_i32 s24, 0x100
	v_mov_b32_e32 v53, 0
	v_lshlrev_b32_e32 v52, 4, v61
	v_cmp_gt_u32_e32 vcc, s24, v0
	v_ashrrev_i32_e32 v51, 31, v50
	s_mov_b32 s58, 0
	s_movk_i32 s35, 0x1000
	s_movk_i32 s22, 0x4000
	v_lshl_add_u64 v[54:55], v[50:51], 1, s[8:9]
	v_mov_b32_e32 v51, 0x3fb8aa3b
	s_waitcnt vmcnt(1)
	v_perm_b32 v45, v22, v30, s56
	s_waitcnt vmcnt(0)
	v_perm_b32 v46, v26, v34, s56
	v_perm_b32 v22, v22, v30, s57
	v_perm_b32 v26, v26, v34, s57
	v_perm_b32 v30, v23, v31, s56
	v_perm_b32 v34, v27, v35, s56
	v_perm_b32 v23, v23, v31, s57
	v_perm_b32 v27, v27, v35, s57
	v_perm_b32 v31, v24, v32, s56
	v_perm_b32 v35, v28, v36, s56
	v_perm_b32 v24, v24, v32, s57
	v_perm_b32 v28, v28, v36, s57
	v_perm_b32 v32, v25, v33, s56
	v_perm_b32 v36, v29, v37, s56
	v_perm_b32 v25, v25, v33, s57
	v_perm_b32 v29, v29, v37, s57
	ds_write2st64_b32 v20, v45, v46 offset0:32 offset1:64
	ds_write2st64_b32 v21, v22, v26 offset0:32 offset1:64
	;; [unrolled: 1-line block ×8, first 2 shown]
	v_or_b32_e32 v20, v1, v61
	v_lshlrev_b32_e32 v20, 3, v20
	v_lshrrev_b32_e32 v23, 5, v58
	v_and_or_b32 v23, v20, s3, v23
	v_lshlrev_b32_e32 v23, 4, v23
	v_lshlrev_b32_e32 v21, 11, v59
	v_and_b32_e32 v20, 0x78, v20
	v_or_b32_e32 v28, 32, v23
	v_and_b32_e32 v22, 0x1000, v21
	v_lshrrev_b32_e32 v25, 1, v0
	v_xor_b32_e32 v28, v28, v20
	v_and_b32_e32 v26, 8, v25
	v_or_b32_e32 v28, v28, v22
	v_xor_b32_e32 v24, v23, v20
	v_xor_b32_e32 v82, v28, v26
	v_or_b32_e32 v28, 64, v23
	v_or_b32_e32 v23, 0x60, v23
	s_ashr_i32 s3, s2, 31
	v_xor_b32_e32 v28, v28, v20
	v_xor_b32_e32 v20, v23, v20
	s_lshl_b64 s[20:21], s[2:3], 8
	v_or_b32_e32 v24, v24, v22
	v_or_b32_e32 v28, v28, v22
	;; [unrolled: 1-line block ×3, first 2 shown]
	s_add_u32 s20, s18, s20
	v_lshlrev_b32_e32 v22, 1, v61
	v_xor_b32_e32 v84, v28, v26
	v_lshrrev_b32_e32 v28, 4, v0
	s_addc_u32 s21, s19, s21
	v_or_b32_e32 v23, 1, v22
	v_mov_b32_e32 v32, 0x4000
	v_mov_b32_e32 v33, 0x2000
	v_xor_b32_e32 v29, v28, v22
	v_xor_b32_e32 v30, v23, v28
	v_lshl_add_u64 v[22:23], s[20:21], 0, v[52:53]
	v_lshlrev_b32_e32 v52, 8, v28
	v_cndmask_b32_e32 v32, v32, v33, vcc
	v_lshlrev_b32_e32 v33, 3, v59
	v_and_b32_e32 v25, 24, v25
	v_lshl_or_b32 v88, v29, 3, v52
	v_and_b32_e32 v29, 8, v0
	v_xor_b32_e32 v34, v33, v25
	v_or_b32_e32 v35, 0x440, v34
	v_cmp_eq_u32_e32 vcc, 0, v29
	v_and_b32_e32 v28, 7, v0
	v_xor_b32_e32 v80, v24, v26
	v_cndmask_b32_e32 v29, v35, v34, vcc
	v_lshlrev_b32_e32 v24, 7, v60
	v_lshl_or_b32 v89, v30, 3, v52
	v_lshlrev_b32_e32 v30, 3, v28
	v_lshlrev_b32_e32 v28, 7, v28
	;; [unrolled: 1-line block ×3, first 2 shown]
	v_or_b32_e32 v29, v29, v21
	v_or_b32_e32 v27, v24, v38
	v_xad_u32 v90, v29, v30, v28
	v_and_or_b32 v24, v31, 60, v24
	v_mov_b32_e32 v29, 0xb000
	v_lshl_or_b32 v91, v24, 1, v29
	v_or_b32_e32 v24, 32, v25
	v_xor_b32_e32 v24, v33, v24
	v_or_b32_e32 v29, 0x440, v24
	v_cndmask_b32_e32 v24, v29, v24, vcc
	v_or_b32_e32 v24, v24, v21
	v_xad_u32 v92, v24, v30, v28
	v_or_b32_e32 v24, 64, v25
	v_xor_b32_e32 v24, v33, v24
	v_xor_b32_e32 v29, 0x440, v24
	v_cndmask_b32_e32 v24, v29, v24, vcc
	v_or_b32_e32 v24, v24, v21
	v_xad_u32 v93, v24, v30, v28
	v_or_b32_e32 v24, 0x60, v25
	v_xor_b32_e32 v24, v33, v24
	v_xor_b32_e32 v25, 0x440, v24
	v_cndmask_b32_e32 v24, v25, v24, vcc
	v_lshlrev_b32_e32 v27, 1, v27
	v_or_b32_e32 v21, v24, v21
	v_or_b32_e32 v81, 0xa000, v27
	;; [unrolled: 1-line block ×3, first 2 shown]
	v_xor_b32_e32 v85, v20, v26
	v_or_b32_e32 v86, 0xb000, v27
	v_or_b32_e32 v87, 0xb080, v27
	v_lshlrev_b32_e32 v20, 7, v64
	v_lshlrev_b32_e32 v26, 1, v19
	v_add_lshl_u32 v19, v19, s15, 1
	v_or_b32_e32 v27, 0x100, v18
	v_xad_u32 v94, v21, v30, v28
	v_cndmask_b32_e64 v95, v26, v18, s[0:1]
	v_cndmask_b32_e64 v96, v19, v27, s[0:1]
	v_lshl_add_u64 v[56:57], v[22:23], 0, v[52:53]
	s_mov_b32 s3, 0x7060302
	v_lshlrev_b32_e32 v52, 1, v20
	v_add_u32_e32 v97, v32, v90
	v_add_u32_e32 v98, v32, v92
	;; [unrolled: 1-line block ×4, first 2 shown]
	s_waitcnt lgkmcnt(0)
	s_barrier
.LBB484_32:                             ; =>This Inner Loop Header: Depth=1
	s_add_i32 s37, s58, 1
	s_cmp_lt_i32 s37, s46
	s_mov_b64 s[24:25], 0
	s_cselect_b64 s[38:39], -1, 0
	s_cmp_ge_i32 s37, s46
	s_mov_b64 s[20:21], 0
	s_cbranch_scc1 .LBB484_34
; %bb.33:                               ;   in Loop: Header=BB484_32 Depth=1
	s_add_i32 s0, s53, 64
	s_ashr_i32 s1, s0, 31
	s_add_u32 s0, s52, s0
	s_addc_u32 s1, s51, s1
	s_lshl_b64 s[0:1], s[0:1], 8
	s_add_u32 s20, s6, s0
	s_addc_u32 s21, s7, s1
.LBB484_34:                             ;   in Loop: Header=BB484_32 Depth=1
	v_cndmask_b32_e64 v18, 0, 1, s[38:39]
	v_cmp_ne_u32_e64 s[0:1], 1, v18
	s_andn2_b64 vcc, exec, s[38:39]
	s_cbranch_vccnz .LBB484_36
; %bb.35:                               ;   in Loop: Header=BB484_32 Depth=1
	s_add_i32 s24, s53, 64
	s_mul_hi_i32 s25, s24, s14
	s_mul_i32 s24, s24, s14
	s_add_u32 s24, s24, s49
	s_addc_u32 s25, s25, s54
	s_lshl_b64 s[24:25], s[24:25], 8
	s_add_u32 s24, s4, s24
	s_addc_u32 s25, s5, s25
.LBB484_36:                             ;   in Loop: Header=BB484_32 Depth=1
	v_perm_b32 v19, v17, v16, s3
	v_perm_b32 v18, v15, v14, s3
	;; [unrolled: 1-line block ×4, first 2 shown]
	ds_write_b64 v72, v[18:19]
	ds_write_b64 v73, v[20:21]
	;; [unrolled: 1-line block ×4, first 2 shown]
	v_perm_b32 v19, v9, v8, s3
	v_perm_b32 v18, v7, v6, s3
	;; [unrolled: 1-line block ×4, first 2 shown]
	ds_write_b64 v74, v[18:19]
	ds_write_b64 v75, v[20:21]
	;; [unrolled: 1-line block ×4, first 2 shown]
	s_waitcnt lgkmcnt(0)
	s_barrier
	ds_read_b64 v[22:23], v80 offset:24576
	ds_read2_b64 v[18:21], v81 offset1:16
	ds_read_b64 v[26:27], v83 offset:3072
	ds_read_b64 v[28:29], v81 offset:3072
	;; [unrolled: 1-line block ×3, first 2 shown]
	s_waitcnt lgkmcnt(3)
	v_mfma_f32_16x16x16_bf16 a[0:3], v[22:23], v[18:19], 0
	s_add_i32 s27, s53, 63
	s_ashr_i32 s38, s27, 31
	s_mul_i32 s39, s27, s29
	v_mfma_f32_16x16x16_bf16 a[4:7], v[22:23], v[20:21], 0
	ds_read2st64_b64 v[18:21], v81 offset0:2 offset1:4
	s_mul_hi_u32 s59, s27, s28
	s_add_i32 s39, s59, s39
	s_waitcnt lgkmcnt(0)
	v_mfma_f32_16x16x16_bf16 a[0:3], v[30:31], v[18:19], a[0:3]
	ds_read2st64_b64 v[22:25], v83 offset0:2 offset1:4
	ds_read_b64 v[18:19], v84 offset:24576
	s_mul_i32 s38, s38, s28
	s_add_i32 s39, s39, s38
	s_waitcnt lgkmcnt(1)
	v_mfma_f32_16x16x16_bf16 a[4:7], v[30:31], v[22:23], a[4:7]
	ds_read_b64 v[22:23], v85 offset:24576
	s_mul_i32 s38, s27, s28
	s_lshl_b64 s[38:39], s[38:39], 2
	s_waitcnt lgkmcnt(1)
	v_mfma_f32_16x16x16_bf16 a[0:3], v[18:19], v[20:21], a[0:3]
	s_add_u32 s38, s16, s38
	s_addc_u32 s39, s17, s39
	s_and_b64 vcc, exec, s[0:1]
	v_mfma_f32_16x16x16_bf16 a[4:7], v[18:19], v[24:25], a[4:7]
	v_mov_b32_e32 v103, 0
	v_mov_b32_e32 v102, 0
	v_mov_b32_e32 v101, 0
	s_waitcnt lgkmcnt(0)
	v_mfma_f32_16x16x16_bf16 a[0:3], v[22:23], v[28:29], a[0:3]
	v_mov_b32_e32 v18, 0
	v_mov_b32_e32 v19, 0
	;; [unrolled: 1-line block ×3, first 2 shown]
	v_mfma_f32_16x16x16_bf16 a[4:7], v[22:23], v[26:27], a[4:7]
	v_mov_b32_e32 v21, 0
	v_mov_b32_e32 v22, 0
	;; [unrolled: 1-line block ×13, first 2 shown]
	s_cbranch_vccnz .LBB484_38
; %bb.37:                               ;   in Loop: Header=BB484_32 Depth=1
	s_and_b32 s21, s21, 0xffff
	buffer_load_dwordx4 v[30:33], v68, s[20:23], 0 offen
	buffer_load_dwordx4 v[26:29], v68, s[20:23], s55 offen
	;; [unrolled: 1-line block ×4, first 2 shown]
	v_mov_b32_e32 v102, v70
	v_mov_b32_e32 v101, v71
.LBB484_38:                             ;   in Loop: Header=BB484_32 Depth=1
	s_waitcnt vmcnt(4)
	ds_read_b64 v[38:39], v80 offset:32768
	s_waitcnt vmcnt(2)
	ds_read2_b64 v[34:37], v86 offset1:16
	ds_read_b64 v[42:43], v82 offset:32768
	ds_read_b64 v[44:45], v84 offset:32768
	;; [unrolled: 1-line block ×3, first 2 shown]
	v_add_u32_e32 v48, s53, v64
	s_waitcnt lgkmcnt(3)
	v_mfma_f32_16x16x16_bf16 a[0:3], v[38:39], v[34:35], a[0:3]
	v_mul_lo_u32 v49, v48, s29
	v_mfma_f32_16x16x16_bf16 a[4:7], v[38:39], v[36:37], a[4:7]
	ds_read2st64_b64 v[34:37], v86 offset0:2 offset1:4
	ds_read2st64_b64 v[38:41], v87 offset0:2 offset1:4
	s_waitcnt lgkmcnt(1)
	v_mfma_f32_16x16x16_bf16 a[0:3], v[42:43], v[34:35], a[0:3]
	v_ashrrev_i32_e32 v34, 31, v48
	v_mul_lo_u32 v104, v34, s28
	v_mad_u64_u32 v[34:35], s[20:21], v48, s28, 0
	v_mfma_f32_16x16x16_bf16 a[0:3], v[44:45], v[36:37], a[0:3]
	v_add_u32_e32 v36, 1, v48
	v_ashrrev_i32_e32 v37, 31, v36
	v_add3_u32 v35, v35, v49, v104
	s_waitcnt lgkmcnt(0)
	v_mfma_f32_16x16x16_bf16 a[4:7], v[42:43], v[38:39], a[4:7]
	v_mul_lo_u32 v38, v37, s28
	v_mul_lo_u32 v39, v36, s29
	v_mad_u64_u32 v[36:37], s[20:21], v36, s28, 0
	v_add3_u32 v37, v37, v39, v38
	v_add_u32_e32 v38, 2, v48
	v_ashrrev_i32_e32 v39, 31, v38
	v_mul_lo_u32 v42, v39, s28
	v_mul_lo_u32 v43, v38, s29
	v_mad_u64_u32 v[38:39], s[20:21], v38, s28, 0
	v_add3_u32 v39, v39, v43, v42
	v_add_u32_e32 v42, 3, v48
	v_ashrrev_i32_e32 v43, 31, v42
	v_mul_lo_u32 v48, v43, s28
	v_mul_lo_u32 v49, v42, s29
	v_mad_u64_u32 v[42:43], s[20:21], v42, s28, 0
	v_add3_u32 v43, v43, v49, v48
	s_ashr_i32 s21, s53, 31
	v_lshl_add_u64 v[34:35], v[34:35], 2, s[16:17]
	v_lshl_add_u64 v[42:43], v[42:43], 2, s[16:17]
	s_add_u32 s20, s52, s53
	v_lshl_add_u64 v[36:37], v[36:37], 2, s[16:17]
	v_lshl_add_u64 v[38:39], v[38:39], 2, s[16:17]
	global_load_dword v48, v[34:35], off
	global_load_dword v49, v[36:37], off
	;; [unrolled: 1-line block ×3, first 2 shown]
	s_nop 0
	global_load_dword v42, v[42:43], off
	s_addc_u32 s21, s51, s21
	s_lshl_b64 s[20:21], s[20:21], 8
	v_lshl_add_u64 v[34:35], v[54:55], 0, s[20:21]
	v_lshl_add_u64 v[34:35], v[34:35], 0, v[52:53]
	global_load_ushort v43, v[34:35], off offset:256
	global_load_ushort v105, v[34:35], off
	global_load_ushort v106, v[34:35], off offset:768
	global_load_ushort v107, v[34:35], off offset:512
	ds_read_b64 v[36:37], v86 offset:3072
	ds_read_b64 v[38:39], v87 offset:3072
	global_load_ushort v108, v[34:35], off offset:800
	global_load_ushort v109, v[34:35], off offset:544
	;; [unrolled: 1-line block ×4, first 2 shown]
	s_load_dword s20, s[38:39], 0x0
	v_mfma_f32_16x16x16_bf16 a[4:7], v[44:45], v[40:41], a[4:7]
	s_and_b64 vcc, exec, s[0:1]
	s_waitcnt vmcnt(11) lgkmcnt(0)
	v_sub_f32_e32 v40, s20, v48
	v_mfma_f32_16x16x16_bf16 a[0:3], v[46:47], v[36:37], a[0:3]
	s_waitcnt vmcnt(10)
	v_sub_f32_e32 v45, s20, v49
	v_mul_f32_e32 v44, 0x3fb8aa3b, v40
	v_mul_f32_e32 v45, 0x3fb8aa3b, v45
	v_mfma_f32_16x16x16_bf16 a[4:7], v[46:47], v[38:39], a[4:7]
	s_waitcnt vmcnt(9)
	v_sub_f32_e32 v46, s20, v104
	s_waitcnt vmcnt(8)
	v_sub_f32_e32 v47, s20, v42
	v_mul_f32_e32 v46, 0x3fb8aa3b, v46
	v_mul_f32_e32 v47, 0x3fb8aa3b, v47
	v_exp_f32_e32 v44, v44
	v_exp_f32_e32 v45, v45
	;; [unrolled: 1-line block ×4, first 2 shown]
	v_accvgpr_read_b32 v39, a1
	v_accvgpr_read_b32 v35, a3
	;; [unrolled: 1-line block ×4, first 2 shown]
	s_waitcnt vmcnt(7)
	v_lshlrev_b32_e32 v41, 16, v43
	s_waitcnt vmcnt(6)
	v_lshlrev_b32_e32 v40, 16, v105
	s_waitcnt vmcnt(5)
	v_lshlrev_b32_e32 v43, 16, v106
	s_waitcnt vmcnt(4)
	v_lshlrev_b32_e32 v42, 16, v107
	v_pk_add_f32 v[38:39], v[40:41], v[38:39] neg_lo:[0,1] neg_hi:[0,1]
	v_pk_add_f32 v[34:35], v[42:43], v[34:35] neg_lo:[0,1] neg_hi:[0,1]
	v_pk_mul_f32 v[38:39], v[44:45], v[38:39]
	v_pk_mul_f32 v[34:35], v[46:47], v[34:35]
	v_accvgpr_read_b32 v41, a5
	v_perm_b32 v35, v35, v34, s3
	v_perm_b32 v34, v39, v38, s3
	s_waitcnt vmcnt(1)
	v_lshlrev_b32_e32 v39, 16, v110
	s_waitcnt vmcnt(0)
	v_lshlrev_b32_e32 v38, 16, v111
	v_accvgpr_read_b32 v40, a4
	v_accvgpr_read_b32 v37, a7
	;; [unrolled: 1-line block ×3, first 2 shown]
	v_pk_add_f32 v[38:39], v[38:39], v[40:41] neg_lo:[0,1] neg_hi:[0,1]
	v_lshlrev_b32_e32 v41, 16, v108
	v_lshlrev_b32_e32 v40, 16, v109
	v_pk_add_f32 v[36:37], v[40:41], v[36:37] neg_lo:[0,1] neg_hi:[0,1]
	v_pk_mul_f32 v[38:39], v[44:45], v[38:39]
	v_pk_mul_f32 v[36:37], v[46:47], v[36:37]
	v_mov_b32_e32 v104, 0
	v_perm_b32 v37, v37, v36, s3
	v_perm_b32 v36, v39, v38, s3
	ds_write2_b64 v73, v[34:35], v[36:37] offset1:16
	v_mov_b32_e32 v34, 0
	v_mov_b32_e32 v35, 0
	;; [unrolled: 1-line block ×16, first 2 shown]
	s_cbranch_vccnz .LBB484_40
; %bb.39:                               ;   in Loop: Header=BB484_32 Depth=1
	s_and_b32 s25, s25, 0xffff
	s_mov_b32 s27, s23
	buffer_load_dwordx4 v[46:49], v95, s[24:27], 0 offen
	buffer_load_dwordx4 v[38:41], v95, s[24:27], s55 offen
	;; [unrolled: 1-line block ×4, first 2 shown]
	v_mov_b32_e32 v103, v67
	v_mov_b32_e32 v104, v66
.LBB484_40:                             ;   in Loop: Header=BB484_32 Depth=1
	s_waitcnt lgkmcnt(0)
	s_barrier
	ds_read_b64 v[110:111], v97
	ds_read_b64 v[118:119], v91
	;; [unrolled: 1-line block ×5, first 2 shown]
	ds_read_b64 v[124:125], v92 offset:16384
	ds_read_b64 v[126:127], v90 offset:16384
	ds_read2_b64 v[106:109], v86 offset0:16 offset1:128
	s_waitcnt lgkmcnt(6)
	v_mfma_f32_16x16x16_bf16 a[0:3], v[110:111], v[118:119], 0
	ds_read_b64 v[128:129], v87 offset:3072
	ds_read_b64 v[130:131], v94 offset:16384
	s_add_i32 s21, s50, s58
	s_waitcnt lgkmcnt(2)
	v_mfma_f32_16x16x16_bf16 a[4:7], v[110:111], v[106:107], 0
	ds_read2st64_b64 v[110:113], v87 offset0:2 offset1:4
	s_mul_hi_i32 s25, s21, s13
	s_mul_i32 s21, s21, s13
	v_mfma_f32_16x16x16_bf16 a[0:3], v[114:115], v[108:109], a[0:3]
	s_add_u32 s24, s21, s45
	s_addc_u32 s25, s25, s47
	s_lshl_b64 s[24:25], s[24:25], 15
	s_waitcnt lgkmcnt(0)
	v_mfma_f32_16x16x16_bf16 a[4:7], v[114:115], v[110:111], a[4:7]
	ds_read2st64_b64 v[114:117], v86 offset0:4 offset1:6
	s_waitcnt lgkmcnt(0)
	v_mfma_f32_16x16x16_bf16 a[0:3], v[120:121], v[114:115], a[0:3]
	v_mfma_f32_16x16x16_bf16 a[8:11], v[120:121], v[112:113], a[4:7]
	;; [unrolled: 1-line block ×5, first 2 shown]
	ds_read2st64_b64 v[118:121], v89 offset1:8
	v_mfma_f32_16x16x16_bf16 a[12:15], v[126:127], v[106:107], 0
	ds_read_b64 v[126:127], v93 offset:16384
	v_mfma_f32_16x16x16_bf16 a[8:11], v[124:125], v[108:109], a[8:11]
	ds_read2st64_b64 v[106:109], v88 offset1:8
	s_waitcnt lgkmcnt(0)
	v_mov_b32_e32 v122, v106
	v_mfma_f32_16x16x16_bf16 a[12:15], v[124:125], v[110:111], a[12:15]
	v_lshl_add_u64 v[110:111], v[56:57], 0, s[24:25]
	v_add_co_u32_e32 v106, vcc, s35, v110
	v_mfma_f32_16x16x16_bf16 a[8:11], v[126:127], v[114:115], a[8:11]
	v_mov_b32_e32 v123, v107
	v_addc_co_u32_e32 v107, vcc, 0, v111, vcc
	v_mfma_f32_16x16x16_bf16 a[16:19], v[126:127], v[112:113], a[12:15]
	v_mov_b32_e32 v124, v118
	v_mov_b32_e32 v125, v119
	;; [unrolled: 1-line block ×3, first 2 shown]
	v_mfma_f32_16x16x16_bf16 a[12:15], v[130:131], v[116:117], a[8:11]
	v_mov_b32_e32 v119, v109
	s_and_b64 vcc, exec, s[0:1]
	global_store_dwordx4 v[110:111], v[122:125], off
	v_mfma_f32_16x16x16_bf16 a[8:11], v[130:131], v[128:129], a[16:19]
	global_store_dwordx4 v[106:107], v[118:121], off
	s_cbranch_vccnz .LBB484_42
; %bb.41:                               ;   in Loop: Header=BB484_32 Depth=1
	v_lshrrev_b32_e32 v105, 3, v103
	v_and_b32_e32 v105, 6, v105
	v_xor_b32_e32 v104, v105, v104
	v_lshlrev_b32_e32 v104, 2, v104
	v_and_b32_e32 v103, 8, v103
	v_xor_b32_e32 v106, 0x440, v104
	v_cmp_eq_u32_e32 vcc, 0, v103
	s_barrier
	s_nop 0
	v_cndmask_b32_e32 v103, v106, v104, vcc
	v_lshl_or_b32 v103, v105, 10, v103
	s_waitcnt vmcnt(3)
	v_perm_b32 v104, v46, v42, s56
	s_waitcnt vmcnt(2)
	v_perm_b32 v105, v38, v34, s56
	ds_write2st64_b32 v103, v104, v105 offset0:32 offset1:64
	v_xor_b32_e32 v104, 8, v103
	v_perm_b32 v42, v46, v42, s57
	v_perm_b32 v34, v38, v34, s57
	v_add_u32_e32 v38, 0x80, v104
	ds_write2st64_b32 v38, v42, v34 offset0:32 offset1:64
	v_xor_b32_e32 v34, 16, v103
	v_perm_b32 v38, v47, v43, s56
	v_perm_b32 v42, v39, v35, s56
	ds_write2st64_b32 v34, v38, v42 offset0:33 offset1:65
	v_xor_b32_e32 v34, 24, v103
	v_perm_b32 v38, v47, v43, s57
	v_perm_b32 v35, v39, v35, s57
	v_add_u32_e32 v34, 0x80, v34
	ds_write2st64_b32 v34, v38, v35 offset0:33 offset1:65
	v_xor_b32_e32 v34, 32, v103
	v_perm_b32 v35, v48, v44, s56
	;; [unrolled: 9-line block ×3, first 2 shown]
	v_perm_b32 v36, v41, v37, s56
	ds_write2st64_b32 v34, v35, v36 offset0:35 offset1:67
	v_xor_b32_e32 v34, 56, v103
	v_perm_b32 v35, v49, v45, s57
	v_perm_b32 v36, v41, v37, s57
	v_add_u32_e32 v34, 0x80, v34
	ds_write2st64_b32 v34, v35, v36 offset0:35 offset1:67
	ds_write_b64 v102, v[30:31] offset:24576
	v_xor_b32_e32 v30, 8, v102
	ds_write_b64 v30, v[32:33] offset:24576
	ds_write_b64 v102, v[26:27] offset:32768
	;; [unrolled: 1-line block ×4, first 2 shown]
	v_xor_b32_e32 v22, 8, v101
	ds_write_b64 v22, v[24:25] offset:24576
	ds_write_b64 v101, v[18:19] offset:32768
	;; [unrolled: 1-line block ×3, first 2 shown]
.LBB484_42:                             ;   in Loop: Header=BB484_32 Depth=1
	v_mul_f32_e32 v18, s20, v51
	v_exp_f32_e32 v21, v18
	v_accvgpr_read_b32 v18, a4
	v_accvgpr_read_b32 v20, a7
	;; [unrolled: 1-line block ×3, first 2 shown]
	v_fma_f32 v14, v14, v21, v18
	v_accvgpr_read_b32 v18, a6
	v_fma_f32 v16, v16, v21, v18
	v_accvgpr_read_b32 v18, a3
	v_fmac_f32_e32 v18, v9, v21
	v_accvgpr_read_b32 v9, a12
	v_fma_f32 v10, v10, v21, v9
	v_accvgpr_read_b32 v9, a13
	v_fma_f32 v11, v11, v21, v9
	;; [unrolled: 2-line block ×3, first 2 shown]
	v_accvgpr_read_b32 v9, a15
	v_fmac_f32_e32 v20, v17, v21
	v_accvgpr_read_b32 v17, a0
	v_fmac_f32_e32 v9, v13, v21
	v_accvgpr_read_b32 v13, a8
	v_fma_f32 v6, v6, v21, v17
	v_accvgpr_read_b32 v17, a1
	v_fma_f32 v2, v2, v21, v13
	;; [unrolled: 2-line block ×3, first 2 shown]
	v_fma_f32 v7, v7, v21, v17
	v_accvgpr_read_b32 v17, a2
	v_fma_f32 v3, v3, v21, v13
	v_accvgpr_read_b32 v13, a10
	v_accvgpr_read_b32 v19, a11
	s_add_i32 s53, s53, 64
	v_fma_f32 v8, v8, v21, v17
	v_fma_f32 v4, v4, v21, v13
	s_cmp_eq_u32 s46, s37
	v_fmac_f32_e32 v19, v5, v21
	s_cbranch_scc1 .LBB484_4
; %bb.43:                               ;   in Loop: Header=BB484_32 Depth=1
	s_mov_b32 s58, s37
	v_mov_b32_e32 v17, v20
	v_mov_b32_e32 v13, v9
	;; [unrolled: 1-line block ×4, first 2 shown]
	s_branch .LBB484_32
.LBB484_44:
                                        ; implicit-def: $vgpr5
                                        ; implicit-def: $vgpr9
                                        ; implicit-def: $vgpr13
                                        ; implicit-def: $vgpr17
	s_cbranch_execz .LBB484_46
; %bb.45:
	s_waitcnt vmcnt(0)
	v_mad_u64_u32 v[2:3], s[0:1], v20, s15, v[18:19]
	v_lshlrev_b32_e32 v20, 1, v2
	s_lshl_b32 s2, s15, 7
	s_and_b32 s1, s5, 0xffff
	s_mov_b32 s3, 0x20000
	s_mov_b32 s0, s4
	v_add_lshl_u32 v21, v2, s15, 1
	s_movk_i32 s13, 0x80
	buffer_load_dwordx4 v[2:5], v20, s[0:3], 0 offen
	buffer_load_dwordx4 v[10:13], v20, s[0:3], s13 offen
	;; [unrolled: 1-line block ×4, first 2 shown]
.LBB484_46:
	v_lshrrev_b32_e32 v30, 2, v58
	s_cbranch_execnz .LBB484_59
.LBB484_47:
	s_and_b64 vcc, exec, s[6:7]
	s_cbranch_vccz .LBB484_57
; %bb.48:
	s_waitcnt vmcnt(0)
	v_lshlrev_b32_e32 v7, 1, v23
	v_cmp_gt_i32_e32 vcc, s27, v7
	v_mov_b32_e32 v6, 0
	v_lshlrev_b32_e32 v14, 9, v23
	v_mov_b32_e32 v2, 0
	v_mov_b32_e32 v3, 0
	;; [unrolled: 1-line block ×4, first 2 shown]
	s_and_saveexec_b64 s[0:1], vcc
	s_cbranch_execz .LBB484_50
; %bb.49:
	v_mov_b32_e32 v15, 0
	v_lshl_add_u64 v[2:3], s[4:5], 0, v[14:15]
	v_lshlrev_b32_e32 v4, 1, v18
	v_mov_b32_e32 v5, v15
	v_lshl_add_u64 v[2:3], v[2:3], 0, v[4:5]
	global_load_dwordx4 v[2:5], v[2:3], off
.LBB484_50:
	s_or_b64 exec, exec, s[0:1]
	v_or_b32_e32 v7, 1, v7
	v_cmp_gt_i32_e64 s[0:1], s27, v7
	v_lshlrev_b32_e32 v20, 8, v7
	v_mov_b32_e32 v7, 0
	v_mov_b32_e32 v8, 0
	;; [unrolled: 1-line block ×3, first 2 shown]
	s_and_saveexec_b64 s[2:3], s[0:1]
	s_cbranch_execz .LBB484_52
; %bb.51:
	v_mov_b32_e32 v21, 0
	v_lshl_add_u64 v[6:7], s[4:5], 0, v[20:21]
	v_lshlrev_b32_e32 v8, 1, v18
	v_mov_b32_e32 v9, v21
	v_lshl_add_u64 v[6:7], v[6:7], 0, v[8:9]
	global_load_dwordx4 v[6:9], v[6:7], off
.LBB484_52:
	s_or_b64 exec, exec, s[2:3]
	v_mov_b32_e32 v17, 0
	v_mov_b32_e32 v10, 0
	;; [unrolled: 1-line block ×5, first 2 shown]
	s_and_saveexec_b64 s[2:3], vcc
	s_cbranch_execz .LBB484_54
; %bb.53:
	v_mov_b32_e32 v15, 0
	v_lshl_add_u64 v[10:11], s[4:5], 0, v[14:15]
	v_lshlrev_b32_e32 v14, 1, v18
	v_lshl_add_u64 v[10:11], v[10:11], 0, v[14:15]
	global_load_dwordx4 v[10:13], v[10:11], off offset:128
.LBB484_54:
	s_or_b64 exec, exec, s[2:3]
	v_mov_b32_e32 v16, 0
	v_mov_b32_e32 v15, 0
	;; [unrolled: 1-line block ×3, first 2 shown]
	s_and_saveexec_b64 s[2:3], s[0:1]
	s_cbranch_execz .LBB484_56
; %bb.55:
	v_mov_b32_e32 v21, 0
	v_lshl_add_u64 v[14:15], s[4:5], 0, v[20:21]
	v_lshlrev_b32_e32 v20, 1, v18
	v_lshl_add_u64 v[14:15], v[14:15], 0, v[20:21]
	global_load_dwordx4 v[14:17], v[14:15], off offset:128
.LBB484_56:
	s_or_b64 exec, exec, s[2:3]
	s_branch .LBB484_59
.LBB484_57:
                                        ; implicit-def: $vgpr5
                                        ; implicit-def: $vgpr9
                                        ; implicit-def: $vgpr13
                                        ; implicit-def: $vgpr17
	s_cbranch_execz .LBB484_59
; %bb.58:
	s_waitcnt vmcnt(0)
	v_lshlrev_b32_e32 v2, 1, v18
	v_lshl_or_b32 v18, v23, 9, v2
	s_and_b32 s5, s5, 0xffff
	s_mov_b32 s7, 0x20000
	s_movk_i32 s6, 0x4000
	s_movk_i32 s0, 0x80
	buffer_load_dwordx4 v[2:5], v18, s[4:7], 0 offen
	buffer_load_dwordx4 v[6:9], v18, s[4:7], 0 offen offset:256
	buffer_load_dwordx4 v[10:13], v18, s[4:7], s0 offen
	buffer_load_dwordx4 v[14:17], v18, s[4:7], s0 offen offset:256
.LBB484_59:
	ds_read_b64 v[20:21], v25 offset:32768
	v_add_u32_e32 v18, 0xb000, v24
	ds_read2_b64 v[32:35], v18 offset1:16
	ds_read_b64 v[40:41], v26 offset:32768
	ds_read_b64 v[26:27], v27 offset:32768
	;; [unrolled: 1-line block ×3, first 2 shown]
	v_and_b32_e32 v18, 6, v0
	v_xor_b32_e32 v23, v23, v18
	v_lshlrev_b32_e32 v23, 2, v23
	v_and_b32_e32 v0, 1, v0
	v_xor_b32_e32 v28, 0x440, v23
	v_cmp_eq_u32_e32 vcc, 0, v0
	s_waitcnt lgkmcnt(3)
	v_mfma_f32_16x16x16_bf16 a[0:3], v[20:21], v[32:33], a[0:3]
	s_mov_b32 s0, 0x1000504
	v_cndmask_b32_e32 v0, v28, v23, vcc
	v_lshl_or_b32 v0, v18, 10, v0
	v_mfma_f32_16x16x16_bf16 a[4:7], v[20:21], v[34:35], a[4:7]
	ds_read2st64_b64 v[32:35], v24 offset0:90 offset1:92
	ds_read2st64_b64 v[36:39], v29 offset0:90 offset1:92
	ds_read_b64 v[20:21], v24 offset:48128
	ds_read_b64 v[24:25], v29 offset:48128
	s_waitcnt vmcnt(0)
	v_perm_b32 v18, v2, v6, s0
	s_waitcnt lgkmcnt(3)
	v_mfma_f32_16x16x16_bf16 a[0:3], v[40:41], v[32:33], a[0:3]
	s_mov_b32 s1, 0x3020706
	v_perm_b32 v2, v2, v6, s1
	v_perm_b32 v6, v10, v14, s1
	s_waitcnt lgkmcnt(2)
	v_mfma_f32_16x16x16_bf16 a[4:7], v[40:41], v[36:37], a[4:7]
	v_mfma_f32_16x16x16_bf16 a[0:3], v[26:27], v[34:35], a[0:3]
	;; [unrolled: 1-line block ×3, first 2 shown]
	s_waitcnt lgkmcnt(1)
	v_mfma_f32_16x16x16_bf16 a[4:7], v[42:43], v[20:21], a[0:3]
	v_perm_b32 v20, v10, v14, s0
	ds_write2st64_b32 v0, v18, v20 offset0:32 offset1:64
	v_xor_b32_e32 v18, 8, v0
	v_add_u32_e32 v10, 0x80, v18
	ds_write2st64_b32 v10, v2, v6 offset0:32 offset1:64
	v_xor_b32_e32 v2, 16, v0
	v_perm_b32 v6, v3, v7, s0
	v_perm_b32 v10, v11, v15, s0
	ds_write2st64_b32 v2, v6, v10 offset0:33 offset1:65
	v_xor_b32_e32 v2, 24, v0
	v_perm_b32 v3, v3, v7, s1
	v_perm_b32 v6, v11, v15, s1
	v_add_u32_e32 v2, 0x80, v2
	ds_write2st64_b32 v2, v3, v6 offset0:33 offset1:65
	v_xor_b32_e32 v2, 32, v0
	v_perm_b32 v3, v4, v8, s0
	v_perm_b32 v6, v12, v16, s0
	ds_write2st64_b32 v2, v3, v6 offset0:34 offset1:66
	v_xor_b32_e32 v2, 40, v0
	s_waitcnt lgkmcnt(5)
	v_mfma_f32_16x16x16_bf16 a[0:3], v[42:43], v[24:25], a[8:11]
	v_perm_b32 v3, v4, v8, s1
	v_perm_b32 v4, v12, v16, s1
	v_add_u32_e32 v2, 0x80, v2
	ds_write2st64_b32 v2, v3, v4 offset0:34 offset1:66
	v_xor_b32_e32 v2, 48, v0
	v_perm_b32 v3, v5, v9, s0
	v_perm_b32 v4, v13, v17, s0
	ds_write2st64_b32 v2, v3, v4 offset0:35 offset1:67
	v_xor_b32_e32 v0, 56, v0
	v_perm_b32 v3, v13, v17, s1
	v_and_or_b32 v17, v30, 12, v1
	v_perm_b32 v2, v5, v9, s1
	v_add_u32_e32 v0, 0x80, v0
	v_cmp_gt_i32_e32 vcc, s27, v17
	v_mov_b32_e32 v14, 0
	v_mov_b32_e32 v16, 0
	ds_write2st64_b32 v0, v2, v3 offset0:35 offset1:67
	s_and_saveexec_b64 s[0:1], vcc
	s_cbranch_execz .LBB484_61
; %bb.60:
	v_add_u32_e32 v0, s26, v17
	v_ashrrev_i32_e32 v1, 31, v0
	v_mul_lo_u32 v2, v1, s28
	v_mul_lo_u32 v3, v0, s29
	v_mad_u64_u32 v[0:1], s[2:3], v0, s28, 0
	v_add3_u32 v1, v1, v3, v2
	v_lshl_add_u64 v[0:1], v[0:1], 2, s[10:11]
	global_load_dword v0, v[0:1], off
	s_waitcnt vmcnt(0)
	v_sub_f32_e32 v0, s12, v0
	v_mul_f32_e32 v0, 0x3fb8aa3b, v0
	v_exp_f32_e32 v16, v0
.LBB484_61:
	s_or_b64 exec, exec, s[0:1]
	v_or_b32_e32 v8, 1, v17
	v_cmp_gt_i32_e64 s[0:1], s27, v8
	s_and_saveexec_b64 s[2:3], s[0:1]
	s_cbranch_execz .LBB484_63
; %bb.62:
	v_add_u32_e32 v0, s26, v8
	v_ashrrev_i32_e32 v1, 31, v0
	v_mul_lo_u32 v2, v1, s28
	v_mul_lo_u32 v3, v0, s29
	v_mad_u64_u32 v[0:1], s[4:5], v0, s28, 0
	v_add3_u32 v1, v1, v3, v2
	v_lshl_add_u64 v[0:1], v[0:1], 2, s[10:11]
	global_load_dword v0, v[0:1], off
	s_waitcnt vmcnt(0)
	v_sub_f32_e32 v0, s12, v0
	v_mul_f32_e32 v0, 0x3fb8aa3b, v0
	v_exp_f32_e32 v14, v0
.LBB484_63:
	s_or_b64 exec, exec, s[2:3]
	v_or_b32_e32 v10, 2, v17
	v_cmp_gt_i32_e64 s[2:3], s27, v10
	v_mov_b32_e32 v15, 0
	v_mov_b32_e32 v18, 0
	s_and_saveexec_b64 s[4:5], s[2:3]
	s_cbranch_execz .LBB484_65
; %bb.64:
	v_add_u32_e32 v0, s26, v10
	v_ashrrev_i32_e32 v1, 31, v0
	v_mul_lo_u32 v2, v1, s28
	v_mul_lo_u32 v3, v0, s29
	v_mad_u64_u32 v[0:1], s[6:7], v0, s28, 0
	v_add3_u32 v1, v1, v3, v2
	v_lshl_add_u64 v[0:1], v[0:1], 2, s[10:11]
	global_load_dword v0, v[0:1], off
	s_waitcnt vmcnt(0)
	v_sub_f32_e32 v0, s12, v0
	v_mul_f32_e32 v0, 0x3fb8aa3b, v0
	v_exp_f32_e32 v18, v0
.LBB484_65:
	s_or_b64 exec, exec, s[4:5]
	v_or_b32_e32 v12, 3, v17
	v_cmp_gt_i32_e64 s[4:5], s27, v12
	s_and_saveexec_b64 s[6:7], s[4:5]
	s_cbranch_execz .LBB484_67
; %bb.66:
	v_add_u32_e32 v0, s26, v12
	v_ashrrev_i32_e32 v1, 31, v0
	v_mul_lo_u32 v2, v1, s28
	v_mul_lo_u32 v3, v0, s29
	v_mad_u64_u32 v[0:1], s[14:15], v0, s28, 0
	v_add3_u32 v1, v1, v3, v2
	v_lshl_add_u64 v[0:1], v[0:1], 2, s[10:11]
	global_load_dword v0, v[0:1], off
	s_waitcnt vmcnt(0)
	v_sub_f32_e32 v0, s12, v0
	v_mul_f32_e32 v0, 0x3fb8aa3b, v0
	v_exp_f32_e32 v15, v0
.LBB484_67:
	s_or_b64 exec, exec, s[6:7]
	s_add_u32 s6, s8, s20
	v_accvgpr_read_b32 v0, a4
	s_addc_u32 s7, s9, s21
	v_ashrrev_i32_e32 v51, 31, v50
	v_accvgpr_read_b32 v1, a5
	v_accvgpr_read_b32 v2, a6
	;; [unrolled: 1-line block ×3, first 2 shown]
	v_lshl_add_u64 v[4:5], v[50:51], 1, s[6:7]
	v_mov_b32_e32 v9, 0
	v_lshlrev_b32_e32 v6, 8, v17
	v_mov_b32_e32 v7, 0
	s_and_saveexec_b64 s[6:7], vcc
	s_cbranch_execz .LBB484_69
; %bb.68:
	v_mov_b32_e32 v7, 0
	v_lshl_add_u64 v[20:21], v[4:5], 0, v[6:7]
	global_load_ushort v7, v[20:21], off
	s_waitcnt vmcnt(0)
	v_lshlrev_b32_e32 v7, 16, v7
	v_sub_f32_e32 v0, v7, v0
	v_mul_f32_e32 v0, v16, v0
	v_lshrrev_b32_e32 v7, 16, v0
.LBB484_69:
	s_or_b64 exec, exec, s[6:7]
	v_lshlrev_b32_e32 v8, 8, v8
	s_and_saveexec_b64 s[6:7], s[0:1]
	s_cbranch_execz .LBB484_71
; %bb.70:
	v_mov_b32_e32 v9, 0
	v_lshl_add_u64 v[20:21], v[4:5], 0, v[8:9]
	global_load_ushort v0, v[20:21], off
	s_waitcnt vmcnt(0)
	v_lshlrev_b32_e32 v0, 16, v0
	v_sub_f32_e32 v0, v0, v1
	v_mul_f32_e32 v0, v14, v0
	v_lshrrev_b32_e32 v9, 16, v0
.LBB484_71:
	s_or_b64 exec, exec, s[6:7]
	v_mov_b32_e32 v13, 0
	v_lshlrev_b32_e32 v10, 8, v10
	v_mov_b32_e32 v11, 0
	s_and_saveexec_b64 s[6:7], s[2:3]
	s_cbranch_execz .LBB484_73
; %bb.72:
	v_mov_b32_e32 v11, 0
	v_lshl_add_u64 v[0:1], v[4:5], 0, v[10:11]
	global_load_ushort v0, v[0:1], off
	s_waitcnt vmcnt(0)
	v_lshlrev_b32_e32 v0, 16, v0
	v_sub_f32_e32 v0, v0, v2
	v_mul_f32_e32 v0, v18, v0
	v_lshrrev_b32_e32 v11, 16, v0
.LBB484_73:
	s_or_b64 exec, exec, s[6:7]
	v_lshlrev_b32_e32 v12, 8, v12
	s_and_saveexec_b64 s[6:7], s[4:5]
	s_cbranch_execz .LBB484_75
; %bb.74:
	v_mov_b32_e32 v13, 0
	v_lshl_add_u64 v[0:1], v[4:5], 0, v[12:13]
	global_load_ushort v0, v[0:1], off
	s_waitcnt vmcnt(0)
	v_lshlrev_b32_e32 v0, 16, v0
	v_sub_f32_e32 v0, v0, v3
	v_mul_f32_e32 v0, v15, v0
	v_lshrrev_b32_e32 v13, 16, v0
.LBB484_75:
	s_or_b64 exec, exec, s[6:7]
	v_lshlrev_b32_e32 v17, 5, v17
	s_mov_b32 s6, 0x5040100
	v_perm_b32 v20, v9, v7, s6
	v_or_b32_e32 v7, v17, v22
	v_accvgpr_read_b32 v0, a0
	v_perm_b32 v21, v13, v11, s6
	v_lshlrev_b32_e32 v7, 1, v7
	v_accvgpr_read_b32 v1, a1
	v_accvgpr_read_b32 v2, a2
	;; [unrolled: 1-line block ×3, first 2 shown]
	ds_write_b64 v7, v[20:21] offset:45056
	v_mov_b32_e32 v9, 0
	v_mov_b32_e32 v7, 0
	s_and_saveexec_b64 s[6:7], vcc
	s_cbranch_execz .LBB484_77
; %bb.76:
	v_mov_b32_e32 v7, 0
	v_lshl_add_u64 v[6:7], v[4:5], 0, v[6:7]
	global_load_ushort v6, v[6:7], off offset:32
	s_waitcnt vmcnt(0)
	v_lshlrev_b32_e32 v6, 16, v6
	v_sub_f32_e32 v0, v6, v0
	v_mul_f32_e32 v0, v16, v0
	v_lshrrev_b32_e32 v7, 16, v0
.LBB484_77:
	s_or_b64 exec, exec, s[6:7]
	s_and_saveexec_b64 s[6:7], s[0:1]
	s_cbranch_execz .LBB484_79
; %bb.78:
	v_mov_b32_e32 v9, 0
	v_lshl_add_u64 v[8:9], v[4:5], 0, v[8:9]
	global_load_ushort v0, v[8:9], off offset:32
	s_waitcnt vmcnt(0)
	v_lshlrev_b32_e32 v0, 16, v0
	v_sub_f32_e32 v0, v0, v1
	v_mul_f32_e32 v0, v14, v0
	v_lshrrev_b32_e32 v9, 16, v0
.LBB484_79:
	s_or_b64 exec, exec, s[6:7]
	v_mov_b32_e32 v0, 0
	v_mov_b32_e32 v1, 0
	s_and_saveexec_b64 s[0:1], s[2:3]
	s_cbranch_execz .LBB484_81
; %bb.80:
	v_mov_b32_e32 v11, 0
	v_lshl_add_u64 v[10:11], v[4:5], 0, v[10:11]
	global_load_ushort v1, v[10:11], off offset:32
	s_waitcnt vmcnt(0)
	v_lshlrev_b32_e32 v1, 16, v1
	v_sub_f32_e32 v1, v1, v2
	v_mul_f32_e32 v1, v18, v1
	v_lshrrev_b32_e32 v1, 16, v1
.LBB484_81:
	s_or_b64 exec, exec, s[0:1]
	s_and_saveexec_b64 s[0:1], s[4:5]
	s_cbranch_execz .LBB484_83
; %bb.82:
	v_mov_b32_e32 v13, 0
	v_lshl_add_u64 v[4:5], v[4:5], 0, v[12:13]
	global_load_ushort v0, v[4:5], off offset:32
	s_waitcnt vmcnt(0)
	v_lshlrev_b32_e32 v0, 16, v0
	v_sub_f32_e32 v0, v0, v3
	v_mul_f32_e32 v0, v15, v0
	v_lshrrev_b32_e32 v0, 16, v0
.LBB484_83:
	s_or_b64 exec, exec, s[0:1]
	s_mov_b32 s0, 0x5040100
	v_or_b32_e32 v2, v17, v19
	v_perm_b32 v1, v0, v1, s0
	v_perm_b32 v0, v9, v7, s0
	v_lshlrev_b32_e32 v2, 1, v2
	ds_write_b64 v2, v[0:1] offset:45056
	s_waitcnt lgkmcnt(0)
	s_barrier
.LBB484_84:
	s_endpgm
	.section	.rodata,"a",@progbits
	.p2align	6, 0x0
	.amdhsa_kernel _ZN12_GLOBAL__N_139chunk_gated_delta_rule_fwd_h_hip_kernelILi32ELb1ELb0ELb0ELb1ELb0ELb0ELb1ELb0EEEvPK12hip_bfloat16S3_S3_PKfS5_PKvPS1_S8_PvPKiSB_iiiiilll
		.amdhsa_group_segment_fixed_size 49152
		.amdhsa_private_segment_fixed_size 0
		.amdhsa_kernarg_size 136
		.amdhsa_user_sgpr_count 2
		.amdhsa_user_sgpr_dispatch_ptr 0
		.amdhsa_user_sgpr_queue_ptr 0
		.amdhsa_user_sgpr_kernarg_segment_ptr 1
		.amdhsa_user_sgpr_dispatch_id 0
		.amdhsa_user_sgpr_kernarg_preload_length 0
		.amdhsa_user_sgpr_kernarg_preload_offset 0
		.amdhsa_user_sgpr_private_segment_size 0
		.amdhsa_uses_dynamic_stack 0
		.amdhsa_enable_private_segment 0
		.amdhsa_system_sgpr_workgroup_id_x 1
		.amdhsa_system_sgpr_workgroup_id_y 1
		.amdhsa_system_sgpr_workgroup_id_z 0
		.amdhsa_system_sgpr_workgroup_info 0
		.amdhsa_system_vgpr_workitem_id 0
		.amdhsa_next_free_vgpr 152
		.amdhsa_next_free_sgpr 60
		.amdhsa_accum_offset 132
		.amdhsa_reserve_vcc 1
		.amdhsa_float_round_mode_32 0
		.amdhsa_float_round_mode_16_64 0
		.amdhsa_float_denorm_mode_32 3
		.amdhsa_float_denorm_mode_16_64 3
		.amdhsa_dx10_clamp 1
		.amdhsa_ieee_mode 1
		.amdhsa_fp16_overflow 0
		.amdhsa_tg_split 0
		.amdhsa_exception_fp_ieee_invalid_op 0
		.amdhsa_exception_fp_denorm_src 0
		.amdhsa_exception_fp_ieee_div_zero 0
		.amdhsa_exception_fp_ieee_overflow 0
		.amdhsa_exception_fp_ieee_underflow 0
		.amdhsa_exception_fp_ieee_inexact 0
		.amdhsa_exception_int_div_zero 0
	.end_amdhsa_kernel
	.section	.text._ZN12_GLOBAL__N_139chunk_gated_delta_rule_fwd_h_hip_kernelILi32ELb1ELb0ELb0ELb1ELb0ELb0ELb1ELb0EEEvPK12hip_bfloat16S3_S3_PKfS5_PKvPS1_S8_PvPKiSB_iiiiilll,"axG",@progbits,_ZN12_GLOBAL__N_139chunk_gated_delta_rule_fwd_h_hip_kernelILi32ELb1ELb0ELb0ELb1ELb0ELb0ELb1ELb0EEEvPK12hip_bfloat16S3_S3_PKfS5_PKvPS1_S8_PvPKiSB_iiiiilll,comdat
.Lfunc_end484:
	.size	_ZN12_GLOBAL__N_139chunk_gated_delta_rule_fwd_h_hip_kernelILi32ELb1ELb0ELb0ELb1ELb0ELb0ELb1ELb0EEEvPK12hip_bfloat16S3_S3_PKfS5_PKvPS1_S8_PvPKiSB_iiiiilll, .Lfunc_end484-_ZN12_GLOBAL__N_139chunk_gated_delta_rule_fwd_h_hip_kernelILi32ELb1ELb0ELb0ELb1ELb0ELb0ELb1ELb0EEEvPK12hip_bfloat16S3_S3_PKfS5_PKvPS1_S8_PvPKiSB_iiiiilll
                                        ; -- End function
	.section	.AMDGPU.csdata,"",@progbits
; Kernel info:
; codeLenInByte = 8340
; NumSgprs: 66
; NumVgprs: 132
; NumAgprs: 20
; TotalNumVgprs: 152
; ScratchSize: 0
; MemoryBound: 0
; FloatMode: 240
; IeeeMode: 1
; LDSByteSize: 49152 bytes/workgroup (compile time only)
; SGPRBlocks: 8
; VGPRBlocks: 18
; NumSGPRsForWavesPerEU: 66
; NumVGPRsForWavesPerEU: 152
; AccumOffset: 132
; Occupancy: 1
; WaveLimiterHint : 1
; COMPUTE_PGM_RSRC2:SCRATCH_EN: 0
; COMPUTE_PGM_RSRC2:USER_SGPR: 2
; COMPUTE_PGM_RSRC2:TRAP_HANDLER: 0
; COMPUTE_PGM_RSRC2:TGID_X_EN: 1
; COMPUTE_PGM_RSRC2:TGID_Y_EN: 1
; COMPUTE_PGM_RSRC2:TGID_Z_EN: 0
; COMPUTE_PGM_RSRC2:TIDIG_COMP_CNT: 0
; COMPUTE_PGM_RSRC3_GFX90A:ACCUM_OFFSET: 32
; COMPUTE_PGM_RSRC3_GFX90A:TG_SPLIT: 0
	.section	.text._ZN12_GLOBAL__N_139chunk_gated_delta_rule_fwd_h_hip_kernelILi32ELb0ELb1ELb1ELb1ELb0ELb0ELb1ELb0EEEvPK12hip_bfloat16S3_S3_PKfS5_PKvPS1_S8_PvPKiSB_iiiiilll,"axG",@progbits,_ZN12_GLOBAL__N_139chunk_gated_delta_rule_fwd_h_hip_kernelILi32ELb0ELb1ELb1ELb1ELb0ELb0ELb1ELb0EEEvPK12hip_bfloat16S3_S3_PKfS5_PKvPS1_S8_PvPKiSB_iiiiilll,comdat
	.globl	_ZN12_GLOBAL__N_139chunk_gated_delta_rule_fwd_h_hip_kernelILi32ELb0ELb1ELb1ELb1ELb0ELb0ELb1ELb0EEEvPK12hip_bfloat16S3_S3_PKfS5_PKvPS1_S8_PvPKiSB_iiiiilll ; -- Begin function _ZN12_GLOBAL__N_139chunk_gated_delta_rule_fwd_h_hip_kernelILi32ELb0ELb1ELb1ELb1ELb0ELb0ELb1ELb0EEEvPK12hip_bfloat16S3_S3_PKfS5_PKvPS1_S8_PvPKiSB_iiiiilll
	.p2align	8
	.type	_ZN12_GLOBAL__N_139chunk_gated_delta_rule_fwd_h_hip_kernelILi32ELb0ELb1ELb1ELb1ELb0ELb0ELb1ELb0EEEvPK12hip_bfloat16S3_S3_PKfS5_PKvPS1_S8_PvPKiSB_iiiiilll,@function
_ZN12_GLOBAL__N_139chunk_gated_delta_rule_fwd_h_hip_kernelILi32ELb0ELb1ELb1ELb1ELb0ELb0ELb1ELb0EEEvPK12hip_bfloat16S3_S3_PKfS5_PKvPS1_S8_PvPKiSB_iiiiilll: ; @_ZN12_GLOBAL__N_139chunk_gated_delta_rule_fwd_h_hip_kernelILi32ELb0ELb1ELb1ELb1ELb0ELb0ELb1ELb0EEEvPK12hip_bfloat16S3_S3_PKfS5_PKvPS1_S8_PvPKiSB_iiiiilll
; %bb.0:
	s_load_dwordx4 s[36:39], s[0:1], 0x5c
	s_abs_i32 s7, s3
	s_ashr_i32 s6, s3, 31
	s_load_dwordx2 s[4:5], s[0:1], 0x50
	s_load_dwordx8 s[16:23], s[0:1], 0x30
	s_load_dwordx8 s[24:31], s[0:1], 0x0
	v_lshrrev_b32_e32 v58, 6, v0
	s_waitcnt lgkmcnt(0)
	s_abs_i32 s10, s37
	v_cvt_f32_u32_e32 v1, s10
	s_sub_i32 s8, 0, s10
	s_ashr_i32 s50, s37, 31
	s_xor_b32 s6, s6, s50
	v_rcp_iflag_f32_e32 v1, v1
	v_bfe_u32 v61, v0, 4, 2
	v_lshlrev_b32_e32 v59, 4, v58
	v_lshlrev_b32_e32 v18, 2, v61
	v_mul_f32_e32 v1, 0x4f7ffffe, v1
	v_cvt_u32_f32_e32 v1, v1
	v_and_b32_e32 v60, 63, v0
	s_mov_b32 s33, s37
	v_and_b32_e32 v62, 15, v0
	v_readfirstlane_b32 s9, v1
	s_mul_i32 s8, s8, s9
	s_mul_hi_u32 s8, s9, s8
	s_add_i32 s9, s9, s8
	s_mul_hi_u32 s8, s7, s9
	s_mul_i32 s9, s8, s10
	s_sub_i32 s7, s7, s9
	s_add_i32 s11, s8, 1
	s_sub_i32 s9, s7, s10
	s_cmp_ge_u32 s7, s10
	s_cselect_b32 s8, s11, s8
	s_cselect_b32 s7, s9, s7
	s_add_i32 s9, s8, 1
	s_cmp_ge_u32 s7, s10
	s_cselect_b32 s7, s9, s8
	s_xor_b32 s7, s7, s6
	s_sub_i32 s34, s7, s6
	s_mul_i32 s6, s34, s37
	s_ashr_i32 s35, s34, 31
	s_sub_i32 s51, s3, s6
	s_lshl_b64 s[6:7], s[34:35], 2
	s_add_u32 s8, s22, s6
	s_addc_u32 s9, s23, s7
	s_add_u32 s4, s4, s6
	s_addc_u32 s5, s5, s7
	s_abs_i32 s3, s38
	v_cvt_f32_u32_e32 v1, s3
	s_load_dwordx2 s[44:45], s[8:9], 0x0
	s_load_dwordx2 s[22:23], s[0:1], 0x80
	s_load_dwordx4 s[40:43], s[0:1], 0x70
	s_sub_i32 s1, 0, s3
	v_rcp_iflag_f32_e32 v1, v1
	s_load_dword s57, s[4:5], 0x0
	s_waitcnt lgkmcnt(0)
	s_sub_i32 s48, s45, s44
	s_ashr_i32 s0, s48, 31
	v_mul_f32_e32 v1, 0x4f7ffffe, v1
	v_cvt_u32_f32_e32 v1, v1
	s_lshr_b32 s0, s0, 26
	s_add_i32 s0, s48, s0
	s_ashr_i32 s55, s0, 6
	v_readfirstlane_b32 s6, v1
	s_mul_i32 s1, s1, s6
	s_mul_hi_u32 s1, s6, s1
	s_add_i32 s6, s6, s1
	s_mul_hi_u32 s1, s10, s6
	s_mul_i32 s6, s1, s3
	s_ashr_i32 s0, s38, 31
	s_sub_i32 s6, s10, s6
	s_xor_b32 s0, s50, s0
	s_add_i32 s7, s1, 1
	s_sub_i32 s8, s6, s3
	s_cmp_ge_u32 s6, s3
	s_cselect_b32 s1, s7, s1
	s_cselect_b32 s6, s8, s6
	s_add_i32 s7, s1, 1
	s_cmp_ge_u32 s6, s3
	s_cselect_b32 s1, s7, s1
	s_xor_b32 s1, s1, s0
	s_sub_i32 s1, s1, s0
	s_abs_i32 s3, s1
	v_cvt_f32_u32_e32 v1, s3
	s_sub_i32 s5, 0, s3
	s_abs_i32 s4, s51
	s_xor_b32 s1, s51, s1
	v_rcp_iflag_f32_e32 v1, v1
	s_ashr_i32 s1, s1, 31
	s_mov_b32 s0, 0
	s_mov_b32 s14, s0
	v_mul_f32_e32 v1, 0x4f7ffffe, v1
	v_cvt_u32_f32_e32 v1, v1
	s_mov_b32 s15, s0
	s_mov_b32 s8, s0
	;; [unrolled: 1-line block ×3, first 2 shown]
	v_readfirstlane_b32 s6, v1
	s_mul_i32 s5, s5, s6
	s_mul_hi_u32 s5, s6, s5
	s_add_i32 s6, s6, s5
	s_mul_hi_u32 s5, s4, s6
	s_mul_i32 s6, s5, s3
	s_sub_i32 s4, s4, s6
	s_add_i32 s6, s5, 1
	s_sub_i32 s7, s4, s3
	s_cmp_ge_u32 s4, s3
	s_cselect_b32 s5, s6, s5
	s_cselect_b32 s4, s7, s4
	s_add_i32 s6, s5, 1
	s_cmp_ge_u32 s4, s3
	s_cselect_b32 s3, s6, s5
	s_xor_b32 s3, s3, s1
	s_sub_i32 s58, s3, s1
	v_or_b32_e32 v1, v18, v59
	s_lshl_b32 s46, s2, 5
	s_mov_b32 s1, s0
	s_mov_b32 s2, s0
	;; [unrolled: 1-line block ×11, first 2 shown]
	v_mov_b64_e32 v[16:17], s[14:15]
	v_or_b32_e32 v65, 64, v1
	s_cmp_lt_i32 s48, 64
	v_mov_b64_e32 v[14:15], s[12:13]
	v_mov_b64_e32 v[12:13], s[10:11]
	;; [unrolled: 1-line block ×7, first 2 shown]
	s_mul_hi_i32 s59, s51, s36
	s_mul_i32 s60, s51, s36
	v_lshrrev_b32_e32 v64, 3, v60
	v_lshlrev_b32_e32 v63, 3, v0
	s_mul_i32 s52, s34, s41
	s_mul_hi_u32 s53, s34, s40
	s_mul_i32 s54, s35, s40
	s_mul_i32 s12, s34, s40
	s_cbranch_scc1 .LBB485_19
; %bb.1:
	s_ashr_i32 s40, s51, 31
	s_ashr_i32 s1, s44, 31
	s_add_u32 s0, s60, s44
	s_addc_u32 s1, s59, s1
	s_lshl_b64 s[0:1], s[0:1], 8
	v_and_b32_e32 v9, 56, v63
	s_add_u32 s0, s26, s0
	v_lshl_or_b32 v5, v58, 3, v64
	v_lshlrev_b32_e32 v2, 1, v9
	s_addc_u32 s1, s27, s1
	v_lshl_or_b32 v13, v5, 8, v2
	s_and_b32 s1, s1, 0xffff
	s_mov_b32 s3, 0x20000
	s_movk_i32 s2, 0x4000
	s_movk_i32 s4, 0x80
	v_or_b32_e32 v17, 0x2000, v13
	buffer_load_dwordx4 v[20:23], v13, s[0:3], 0 offen
	buffer_load_dwordx4 v[24:27], v13, s[0:3], s4 offen
	;; [unrolled: 1-line block ×4, first 2 shown]
	v_lshlrev_b32_e32 v3, 3, v5
	v_and_or_b32 v6, v0, 7, v3
	v_and_b32_e32 v3, 0x78, v3
	v_lshlrev_b32_e32 v6, 4, v6
	v_xor_b32_e32 v66, v6, v3
	v_mul_lo_u32 v4, v5, s39
	v_or_b32_e32 v67, 0x1000, v66
	v_xor_b32_e32 v3, 8, v66
	s_cmpk_eq_i32 s39, 0x80
	s_mov_b32 s49, s44
	v_xor_b32_e32 v6, 8, v67
	s_cselect_b64 s[0:1], -1, 0
	s_cmpk_lg_i32 s39, 0x80
	s_waitcnt vmcnt(3)
	ds_write_b64 v66, v[20:21] offset:24576
	ds_write_b64 v3, v[22:23] offset:24576
	s_waitcnt vmcnt(2)
	ds_write_b64 v66, v[24:25] offset:32768
	ds_write_b64 v3, v[26:27] offset:32768
	;; [unrolled: 3-line block ×4, first 2 shown]
	v_lshl_add_u32 v3, v4, 1, v9
	s_cbranch_scc0 .LBB485_3
; %bb.2:
	v_lshlrev_b32_e32 v6, 1, v3
	v_add_lshl_u32 v4, v3, s39, 1
	s_lshl_b32 s6, s39, 7
	v_lshl_or_b32 v2, v5, 9, v2
	s_cbranch_execz .LBB485_4
	s_branch .LBB485_5
.LBB485_3:
                                        ; implicit-def: $vgpr4
                                        ; implicit-def: $vgpr6
                                        ; implicit-def: $sgpr6
	v_lshl_or_b32 v2, v5, 9, v2
.LBB485_4:
	v_or_b32_e32 v4, 0x100, v2
	s_movk_i32 s6, 0x4000
	v_mov_b32_e32 v6, v2
.LBB485_5:
	s_mul_i32 s2, s44, s38
	s_ashr_i32 s41, s58, 31
	s_mul_hi_i32 s3, s44, s38
	s_add_u32 s2, s2, s58
	s_addc_u32 s3, s3, s41
	s_lshl_b64 s[2:3], s[2:3], 8
	s_add_u32 s4, s24, s2
	s_addc_u32 s2, s25, s3
	s_and_b32 s5, s2, 0xffff
	s_mov_b32 s7, 0x20000
	s_movk_i32 s56, 0x80
	buffer_load_dwordx4 v[20:23], v6, s[4:7], 0 offen
	buffer_load_dwordx4 v[24:27], v6, s[4:7], s56 offen
	;; [unrolled: 1-line block ×4, first 2 shown]
	v_and_b32_e32 v4, 6, v0
	v_lshlrev_b32_e32 v8, 6, v1
	v_or_b32_e32 v11, 16, v62
	v_xor_b32_e32 v12, v5, v4
	v_and_b32_e32 v6, 1, v0
	v_lshl_or_b32 v16, v62, 3, v8
	v_lshl_or_b32 v8, v11, 3, v8
	v_lshlrev_b32_e32 v12, 2, v12
	v_lshlrev_b32_e32 v7, 2, v62
	s_mul_i32 s2, s51, s43
	s_mul_hi_u32 s3, s51, s42
	v_or_b32_e32 v70, 0xa000, v8
	v_or_b32_e32 v71, 0xb000, v8
	v_xor_b32_e32 v8, 0x440, v12
	v_cmp_eq_u32_e32 vcc, 0, v6
	s_add_i32 s5, s53, s52
	s_mul_i32 s4, s40, s42
	v_xor_b32_e32 v14, v1, v7
	v_xor_b32_e32 v15, v65, v7
	v_cndmask_b32_e32 v6, v8, v12, vcc
	s_add_i32 s2, s3, s2
	s_add_i32 s13, s5, s54
	s_mov_b32 s61, 0x1000504
	v_lshlrev_b32_e32 v10, 8, v62
	v_lshlrev_b32_e32 v11, 8, v11
	;; [unrolled: 1-line block ×4, first 2 shown]
	v_lshl_or_b32 v4, v4, 10, v6
	s_add_i32 s3, s2, s4
	s_lshl_b64 s[4:5], s[12:13], 2
	s_mov_b32 s62, 0x3020706
	v_or_b32_e32 v68, 0xa000, v16
	v_or_b32_e32 v69, 0xb000, v16
	;; [unrolled: 1-line block ×5, first 2 shown]
	v_xor_b32_e32 v6, 8, v4
	v_xor_b32_e32 v10, 24, v4
	;; [unrolled: 1-line block ×4, first 2 shown]
	s_mul_i32 s2, s51, s42
	s_add_u32 s4, s30, s4
	v_or_b32_e32 v74, v11, v14
	v_xor_b32_e32 v8, 16, v4
	v_xor_b32_e32 v11, 32, v4
	;; [unrolled: 1-line block ×3, first 2 shown]
	v_add_u32_e32 v6, 0x80, v6
	v_add_u32_e32 v10, 0x80, v10
	;; [unrolled: 1-line block ×4, first 2 shown]
	s_addc_u32 s5, s31, s5
	s_lshl_b64 s[2:3], s[2:3], 2
	s_add_u32 s2, s4, s2
	s_movk_i32 s4, 0xf8
	s_addc_u32 s3, s5, s3
	s_ashr_i32 s47, s46, 31
	s_lshl_b32 s10, s39, 7
	s_movk_i32 s8, 0x100
	v_mov_b32_e32 v51, 0
	v_lshlrev_b32_e32 v50, 4, v62
	v_cmp_gt_u32_e32 vcc, s8, v0
	s_mov_b32 s63, 0
	s_movk_i32 s13, 0x1000
	s_movk_i32 s6, 0x4000
	v_add_u32_e32 v93, v59, v18
	v_mov_b32_e32 v98, 0x3fb8aa3b
	v_mov_b32_e32 v100, v51
	;; [unrolled: 1-line block ×5, first 2 shown]
	s_waitcnt vmcnt(1)
	v_perm_b32 v16, v20, v28, s61
	s_waitcnt vmcnt(0)
	v_perm_b32 v19, v24, v32, s61
	v_perm_b32 v20, v20, v28, s62
	;; [unrolled: 1-line block ×15, first 2 shown]
	ds_write2st64_b32 v4, v16, v19 offset0:32 offset1:64
	ds_write2st64_b32 v6, v20, v24 offset0:32 offset1:64
	ds_write2st64_b32 v8, v28, v32 offset0:33 offset1:65
	ds_write2st64_b32 v10, v21, v25 offset0:33 offset1:65
	ds_write2st64_b32 v11, v29, v33 offset0:34 offset1:66
	ds_write2st64_b32 v12, v22, v26 offset0:34 offset1:66
	ds_write2st64_b32 v14, v30, v34 offset0:35 offset1:67
	ds_write2st64_b32 v15, v23, v27 offset0:35 offset1:67
	v_or_b32_e32 v4, v59, v62
	v_lshlrev_b32_e32 v4, 3, v4
	v_lshrrev_b32_e32 v10, 5, v60
	v_and_or_b32 v10, v4, s4, v10
	v_lshlrev_b32_e32 v8, 11, v58
	v_lshlrev_b32_e32 v10, 4, v10
	v_and_b32_e32 v4, 0x78, v4
	v_and_b32_e32 v6, 0x1000, v8
	v_xor_b32_e32 v11, v10, v4
	v_lshrrev_b32_e32 v12, 1, v0
	v_or_b32_e32 v11, v11, v6
	v_and_b32_e32 v14, 8, v12
	v_xor_b32_e32 v76, v11, v14
	v_or_b32_e32 v11, 32, v10
	v_xor_b32_e32 v11, v11, v4
	v_or_b32_e32 v11, v11, v6
	v_xor_b32_e32 v78, v11, v14
	v_or_b32_e32 v11, 64, v10
	v_xor_b32_e32 v11, v11, v4
	v_or_b32_e32 v10, 0x60, v10
	s_lshl_b64 s[4:5], s[46:47], 8
	v_or_b32_e32 v11, v11, v6
	v_xor_b32_e32 v4, v10, v4
	s_add_u32 s4, s16, s4
	v_lshlrev_b32_e32 v10, 1, v62
	v_xor_b32_e32 v80, v11, v14
	v_lshrrev_b32_e32 v19, 4, v0
	s_addc_u32 s5, s17, s5
	v_or_b32_e32 v11, 1, v10
	v_mov_b32_e32 v23, 0x4000
	v_mov_b32_e32 v24, 0x2000
	v_xor_b32_e32 v20, v19, v10
	v_xor_b32_e32 v21, v11, v19
	v_lshl_add_u64 v[10:11], s[4:5], 0, v[50:51]
	v_lshlrev_b32_e32 v50, 8, v19
	v_cndmask_b32_e32 v23, v23, v24, vcc
	v_lshlrev_b32_e32 v24, 3, v58
	v_and_b32_e32 v12, 24, v12
	v_lshl_or_b32 v84, v20, 3, v50
	v_and_b32_e32 v20, 8, v0
	v_xor_b32_e32 v25, v24, v12
	v_or_b32_e32 v26, 0x440, v25
	v_cmp_eq_u32_e32 vcc, 0, v20
	v_and_b32_e32 v19, 7, v0
	v_lshlrev_b32_e32 v15, 7, v61
	v_cndmask_b32_e32 v20, v26, v25, vcc
	v_lshl_or_b32 v85, v21, 3, v50
	v_lshlrev_b32_e32 v21, 3, v19
	v_lshlrev_b32_e32 v19, 7, v19
	;; [unrolled: 1-line block ×3, first 2 shown]
	v_or_b32_e32 v20, v20, v8
	v_or_b32_e32 v7, v15, v7
	v_xad_u32 v86, v20, v21, v19
	v_and_or_b32 v15, v22, 60, v15
	v_mov_b32_e32 v20, 0xb000
	v_lshl_or_b32 v87, v15, 1, v20
	v_or_b32_e32 v15, 32, v12
	v_xor_b32_e32 v15, v24, v15
	v_or_b32_e32 v20, 0x440, v15
	v_cndmask_b32_e32 v15, v20, v15, vcc
	v_or_b32_e32 v15, v15, v8
	v_xad_u32 v88, v15, v21, v19
	v_or_b32_e32 v15, 64, v12
	v_xor_b32_e32 v15, v24, v15
	v_xor_b32_e32 v20, 0x440, v15
	v_cndmask_b32_e32 v15, v20, v15, vcc
	v_or_b32_e32 v12, 0x60, v12
	v_or_b32_e32 v15, v15, v8
	v_xor_b32_e32 v12, v24, v12
	v_xad_u32 v89, v15, v21, v19
	v_xor_b32_e32 v15, 0x440, v12
	v_lshlrev_b32_e32 v7, 1, v7
	v_or_b32_e32 v4, v4, v6
	v_or_b32_e32 v6, s46, v62
	v_cndmask_b32_e32 v12, v15, v12, vcc
	v_or_b32_e32 v77, 0xa000, v7
	v_or_b32_e32 v79, 0xa080, v7
	v_xor_b32_e32 v81, v4, v14
	v_or_b32_e32 v82, 0xb000, v7
	v_or_b32_e32 v83, 0xb080, v7
	v_ashrrev_i32_e32 v7, 31, v6
	v_lshlrev_b32_e32 v14, 1, v3
	v_add_lshl_u32 v3, v3, s39, 1
	v_or_b32_e32 v16, 0x100, v2
	v_or_b32_e32 v8, v12, v8
	v_lshlrev_b32_e32 v4, 7, v1
	v_xad_u32 v90, v8, v21, v19
	v_cndmask_b32_e64 v91, v14, v2, s[0:1]
	v_cndmask_b32_e64 v92, v3, v16, s[0:1]
	v_lshlrev_b64 v[2:3], 1, v[6:7]
	v_lshl_add_u64 v[52:53], s[28:29], 0, v[2:3]
	v_lshl_add_u64 v[54:55], s[18:19], 0, v[2:3]
	;; [unrolled: 1-line block ×3, first 2 shown]
	s_mov_b32 s47, 0x7060302
	v_lshlrev_b32_e32 v50, 1, v4
	v_add_u32_e32 v94, v23, v86
	v_add_u32_e32 v95, v23, v88
	;; [unrolled: 1-line block ×4, first 2 shown]
	v_mov_b32_e32 v2, v51
	v_mov_b32_e32 v3, v51
	;; [unrolled: 1-line block ×12, first 2 shown]
	s_waitcnt lgkmcnt(0)
	s_barrier
.LBB485_6:                              ; =>This Inner Loop Header: Depth=1
	s_add_i32 s64, s63, 1
	s_cmp_lt_i32 s64, s55
	s_mov_b64 s[8:9], 0
	s_cselect_b64 s[14:15], -1, 0
	s_cmp_ge_i32 s64, s55
	s_mov_b64 s[4:5], 0
	s_cbranch_scc1 .LBB485_8
; %bb.7:                                ;   in Loop: Header=BB485_6 Depth=1
	s_add_i32 s0, s49, 64
	s_ashr_i32 s1, s0, 31
	s_add_u32 s0, s60, s0
	s_addc_u32 s1, s59, s1
	s_lshl_b64 s[0:1], s[0:1], 8
	s_add_u32 s4, s26, s0
	s_addc_u32 s5, s27, s1
.LBB485_8:                              ;   in Loop: Header=BB485_6 Depth=1
	v_cndmask_b32_e64 v18, 0, 1, s[14:15]
	v_cmp_ne_u32_e64 s[0:1], 1, v18
	s_andn2_b64 vcc, exec, s[14:15]
	s_cbranch_vccnz .LBB485_10
; %bb.9:                                ;   in Loop: Header=BB485_6 Depth=1
	s_add_i32 s8, s49, 64
	s_mul_hi_i32 s9, s8, s38
	s_mul_i32 s8, s8, s38
	s_add_u32 s8, s8, s58
	s_addc_u32 s9, s9, s41
	s_lshl_b64 s[8:9], s[8:9], 8
	s_add_u32 s8, s24, s8
	s_addc_u32 s9, s25, s9
.LBB485_10:                             ;   in Loop: Header=BB485_6 Depth=1
	v_perm_b32 v19, v100, v4, s47
	v_perm_b32 v18, v3, v2, s47
	;; [unrolled: 1-line block ×4, first 2 shown]
	ds_write_b64 v68, v[18:19]
	ds_write_b64 v69, v[20:21]
	;; [unrolled: 1-line block ×4, first 2 shown]
	v_perm_b32 v19, v102, v12, s47
	v_perm_b32 v18, v11, v10, s47
	;; [unrolled: 1-line block ×4, first 2 shown]
	ds_write_b64 v70, v[18:19]
	ds_write_b64 v71, v[20:21]
	;; [unrolled: 1-line block ×4, first 2 shown]
	s_waitcnt lgkmcnt(0)
	s_barrier
	ds_read_b64 v[22:23], v76 offset:24576
	ds_read2_b64 v[18:21], v77 offset1:16
	ds_read_b64 v[26:27], v79 offset:3072
	ds_read_b64 v[28:29], v77 offset:3072
	;; [unrolled: 1-line block ×3, first 2 shown]
	s_waitcnt lgkmcnt(3)
	v_mfma_f32_16x16x16_bf16 a[0:3], v[22:23], v[18:19], 0
	s_add_i32 s11, s49, 63
	s_ashr_i32 s14, s11, 31
	s_mul_i32 s15, s11, s23
	v_mfma_f32_16x16x16_bf16 a[4:7], v[22:23], v[20:21], 0
	ds_read2st64_b64 v[18:21], v77 offset0:2 offset1:4
	s_mul_hi_u32 s65, s11, s22
	s_add_i32 s15, s65, s15
	s_waitcnt lgkmcnt(0)
	v_mfma_f32_16x16x16_bf16 a[0:3], v[30:31], v[18:19], a[0:3]
	ds_read2st64_b64 v[22:25], v79 offset0:2 offset1:4
	ds_read_b64 v[18:19], v80 offset:24576
	s_mul_i32 s14, s14, s22
	s_add_i32 s15, s15, s14
	s_waitcnt lgkmcnt(1)
	v_mfma_f32_16x16x16_bf16 a[4:7], v[30:31], v[22:23], a[4:7]
	ds_read_b64 v[22:23], v81 offset:24576
	s_mul_i32 s14, s11, s22
	s_lshl_b64 s[14:15], s[14:15], 2
	s_waitcnt lgkmcnt(1)
	v_mfma_f32_16x16x16_bf16 a[0:3], v[18:19], v[20:21], a[0:3]
	s_add_u32 s14, s2, s14
	s_addc_u32 s15, s3, s15
	s_and_b64 vcc, exec, s[0:1]
	v_mfma_f32_16x16x16_bf16 a[8:11], v[18:19], v[24:25], a[4:7]
	v_mov_b32_e32 v105, 0
	v_mov_b32_e32 v104, 0
	;; [unrolled: 1-line block ×3, first 2 shown]
	s_waitcnt lgkmcnt(0)
	v_mfma_f32_16x16x16_bf16 a[4:7], v[22:23], v[28:29], a[0:3]
	v_mov_b32_e32 v18, 0
	v_mov_b32_e32 v19, 0
	;; [unrolled: 1-line block ×3, first 2 shown]
	v_mfma_f32_16x16x16_bf16 a[0:3], v[22:23], v[26:27], a[8:11]
	v_mov_b32_e32 v21, 0
	v_mov_b32_e32 v22, 0
	v_mov_b32_e32 v23, 0
	v_mov_b32_e32 v24, 0
	v_mov_b32_e32 v25, 0
	v_mov_b32_e32 v26, 0
	v_mov_b32_e32 v27, 0
	v_mov_b32_e32 v28, 0
	v_mov_b32_e32 v29, 0
	v_mov_b32_e32 v30, 0
	v_mov_b32_e32 v31, 0
	v_mov_b32_e32 v32, 0
	v_mov_b32_e32 v33, 0
	s_cbranch_vccnz .LBB485_12
; %bb.11:                               ;   in Loop: Header=BB485_6 Depth=1
	s_and_b32 s5, s5, 0xffff
	buffer_load_dwordx4 v[30:33], v13, s[4:7], 0 offen
	buffer_load_dwordx4 v[26:29], v13, s[4:7], s56 offen
	;; [unrolled: 1-line block ×4, first 2 shown]
	v_mov_b32_e32 v104, v66
	v_mov_b32_e32 v103, v67
.LBB485_12:                             ;   in Loop: Header=BB485_6 Depth=1
	ds_read_b64 v[42:43], v76 offset:32768
	ds_read2_b64 v[34:37], v82 offset1:16
	ds_read_b64 v[44:45], v78 offset:32768
	ds_read_b64 v[46:47], v80 offset:32768
	;; [unrolled: 1-line block ×3, first 2 shown]
	v_add_u32_e32 v106, s49, v93
	s_waitcnt lgkmcnt(3)
	v_mfma_f32_16x16x16_bf16 a[4:7], v[42:43], v[34:35], a[4:7]
	v_ashrrev_i32_e32 v34, 31, v106
	ds_read2st64_b64 v[38:41], v82 offset0:2 offset1:4
	v_mfma_f32_16x16x16_bf16 a[0:3], v[42:43], v[36:37], a[0:3]
	v_mul_lo_u32 v36, v34, s22
	v_mul_lo_u32 v37, v106, s23
	v_mad_u64_u32 v[34:35], s[4:5], v106, s22, 0
	v_add3_u32 v35, v35, v37, v36
	v_add_u32_e32 v36, 1, v106
	v_ashrrev_i32_e32 v37, 31, v36
	v_mul_lo_u32 v42, v37, s22
	v_mul_lo_u32 v43, v36, s23
	v_mad_u64_u32 v[36:37], s[4:5], v36, s22, 0
	v_add3_u32 v37, v37, v43, v42
	v_add_u32_e32 v42, 2, v106
	v_ashrrev_i32_e32 v43, 31, v42
	v_mul_lo_u32 v107, v43, s22
	v_mul_lo_u32 v108, v42, s23
	v_mad_u64_u32 v[42:43], s[4:5], v42, s22, 0
	v_add_u32_e32 v106, 3, v106
	v_add3_u32 v43, v43, v108, v107
	v_ashrrev_i32_e32 v107, 31, v106
	v_mul_lo_u32 v108, v107, s22
	v_mul_lo_u32 v109, v106, s23
	v_mad_u64_u32 v[106:107], s[4:5], v106, s22, 0
	s_ashr_i32 s5, s49, 31
	v_add3_u32 v107, v107, v109, v108
	s_add_u32 s4, s60, s49
	v_lshl_add_u64 v[34:35], v[34:35], 2, s[2:3]
	v_lshl_add_u64 v[106:107], v[106:107], 2, s[2:3]
	s_addc_u32 s5, s59, s5
	v_lshl_add_u64 v[36:37], v[36:37], 2, s[2:3]
	v_lshl_add_u64 v[42:43], v[42:43], 2, s[2:3]
	global_load_dword v108, v[34:35], off
	global_load_dword v109, v[36:37], off
	;; [unrolled: 1-line block ×3, first 2 shown]
	s_nop 0
	global_load_dword v106, v[106:107], off
	s_lshl_b64 s[66:67], s[4:5], 8
	v_lshl_add_u64 v[34:35], v[52:53], 0, s[66:67]
	v_lshl_add_u64 v[42:43], v[34:35], 0, v[50:51]
	global_load_ushort v107, v[42:43], off offset:256
	global_load_ushort v111, v[42:43], off
	ds_read2st64_b64 v[34:37], v83 offset0:2 offset1:4
	global_load_ushort v112, v[42:43], off offset:768
	global_load_ushort v113, v[42:43], off offset:512
	;; [unrolled: 1-line block ×6, first 2 shown]
	s_waitcnt lgkmcnt(1)
	v_mfma_f32_16x16x16_bf16 a[4:7], v[44:45], v[38:39], a[4:7]
	s_and_b64 vcc, exec, s[0:1]
	s_waitcnt vmcnt(7)
	v_lshlrev_b32_e32 v43, 16, v107
	s_waitcnt lgkmcnt(0)
	v_mfma_f32_16x16x16_bf16 a[0:3], v[44:45], v[34:35], a[0:3]
	v_mfma_f32_16x16x16_bf16 a[4:7], v[46:47], v[40:41], a[4:7]
	;; [unrolled: 1-line block ×3, first 2 shown]
	ds_read_b64 v[34:35], v82 offset:3072
	ds_read_b64 v[36:37], v83 offset:3072
	s_load_dword s4, s[14:15], 0x0
	s_waitcnt lgkmcnt(0)
	v_sub_f32_e32 v42, s4, v108
	v_mfma_f32_16x16x16_bf16 a[4:7], v[48:49], v[34:35], a[4:7]
	v_sub_f32_e32 v45, s4, v109
	v_sub_f32_e32 v46, s4, v110
	;; [unrolled: 1-line block ×3, first 2 shown]
	v_mul_f32_e32 v44, 0x3fb8aa3b, v42
	v_mul_f32_e32 v45, 0x3fb8aa3b, v45
	;; [unrolled: 1-line block ×4, first 2 shown]
	v_mfma_f32_16x16x16_bf16 a[0:3], v[48:49], v[36:37], a[0:3]
	v_accvgpr_read_b32 v41, a5
	v_exp_f32_e32 v44, v44
	v_exp_f32_e32 v45, v45
	;; [unrolled: 1-line block ×4, first 2 shown]
	v_accvgpr_read_b32 v40, a4
	s_waitcnt vmcnt(6)
	v_lshlrev_b32_e32 v42, 16, v111
	v_lshl_add_u64 v[34:35], v[54:55], 0, s[66:67]
	v_accvgpr_read_b32 v37, a7
	v_accvgpr_read_b32 v36, a6
	v_pk_add_f32 v[40:41], v[42:43], v[40:41] neg_lo:[0,1] neg_hi:[0,1]
	s_waitcnt vmcnt(5)
	v_lshlrev_b32_e32 v43, 16, v112
	s_waitcnt vmcnt(4)
	v_lshlrev_b32_e32 v42, 16, v113
	v_lshl_add_u64 v[34:35], v[34:35], 0, v[50:51]
	v_pk_add_f32 v[36:37], v[42:43], v[36:37] neg_lo:[0,1] neg_hi:[0,1]
	global_store_short_d16_hi v[34:35], v40, off
	global_store_short_d16_hi v[34:35], v41, off offset:256
	global_store_short_d16_hi v[34:35], v36, off offset:512
	;; [unrolled: 1-line block ×3, first 2 shown]
	v_pk_mul_f32 v[40:41], v[44:45], v[40:41]
	v_pk_mul_f32 v[36:37], v[46:47], v[36:37]
	v_accvgpr_read_b32 v43, a1
	v_perm_b32 v37, v37, v36, s47
	v_perm_b32 v36, v41, v40, s47
	s_waitcnt vmcnt(5)
	v_lshlrev_b32_e32 v41, 16, v116
	s_waitcnt vmcnt(4)
	v_lshlrev_b32_e32 v40, 16, v117
	v_accvgpr_read_b32 v42, a0
	v_accvgpr_read_b32 v39, a3
	;; [unrolled: 1-line block ×3, first 2 shown]
	v_pk_add_f32 v[40:41], v[40:41], v[42:43] neg_lo:[0,1] neg_hi:[0,1]
	v_lshlrev_b32_e32 v43, 16, v114
	v_lshlrev_b32_e32 v42, 16, v115
	v_pk_add_f32 v[38:39], v[42:43], v[38:39] neg_lo:[0,1] neg_hi:[0,1]
	global_store_short_d16_hi v[34:35], v40, off offset:32
	global_store_short_d16_hi v[34:35], v41, off offset:288
	;; [unrolled: 1-line block ×4, first 2 shown]
	v_pk_mul_f32 v[34:35], v[44:45], v[40:41]
	v_pk_mul_f32 v[38:39], v[46:47], v[38:39]
	v_mov_b32_e32 v106, 0
	v_perm_b32 v39, v39, v38, s47
	v_perm_b32 v38, v35, v34, s47
	ds_write2_b64 v69, v[36:37], v[38:39] offset1:16
	v_mov_b32_e32 v34, 0
	v_mov_b32_e32 v35, 0
	;; [unrolled: 1-line block ×16, first 2 shown]
	s_cbranch_vccnz .LBB485_14
; %bb.13:                               ;   in Loop: Header=BB485_6 Depth=1
	s_and_b32 s9, s9, 0xffff
	s_mov_b32 s11, s7
	buffer_load_dwordx4 v[46:49], v91, s[8:11], 0 offen
	buffer_load_dwordx4 v[38:41], v91, s[8:11], s56 offen
	;; [unrolled: 1-line block ×4, first 2 shown]
	v_mov_b32_e32 v105, v9
	v_mov_b32_e32 v106, v5
.LBB485_14:                             ;   in Loop: Header=BB485_6 Depth=1
	s_waitcnt lgkmcnt(0)
	s_barrier
	ds_read_b64 v[112:113], v94
	ds_read_b64 v[120:121], v87
	;; [unrolled: 1-line block ×5, first 2 shown]
	ds_read_b64 v[126:127], v88 offset:16384
	ds_read_b64 v[128:129], v86 offset:16384
	ds_read2_b64 v[108:111], v82 offset0:16 offset1:128
	s_waitcnt lgkmcnt(6)
	v_mfma_f32_16x16x16_bf16 a[0:3], v[112:113], v[120:121], 0
	ds_read_b64 v[130:131], v83 offset:3072
	ds_read_b64 v[132:133], v90 offset:16384
	s_add_i32 s5, s57, s63
	s_waitcnt lgkmcnt(2)
	v_mfma_f32_16x16x16_bf16 a[4:7], v[112:113], v[108:109], 0
	ds_read2st64_b64 v[112:115], v83 offset0:2 offset1:4
	s_mul_hi_i32 s9, s5, s33
	s_mul_i32 s5, s5, s33
	v_mfma_f32_16x16x16_bf16 a[0:3], v[116:117], v[110:111], a[0:3]
	s_add_u32 s8, s5, s51
	s_addc_u32 s9, s9, s40
	s_lshl_b64 s[8:9], s[8:9], 15
	s_waitcnt lgkmcnt(0)
	v_mfma_f32_16x16x16_bf16 a[4:7], v[116:117], v[112:113], a[4:7]
	ds_read2st64_b64 v[116:119], v82 offset0:4 offset1:6
	s_waitcnt lgkmcnt(0)
	v_mfma_f32_16x16x16_bf16 a[0:3], v[122:123], v[116:117], a[0:3]
	v_mfma_f32_16x16x16_bf16 a[8:11], v[122:123], v[114:115], a[4:7]
	;; [unrolled: 1-line block ×5, first 2 shown]
	ds_read2st64_b64 v[120:123], v85 offset1:8
	v_mfma_f32_16x16x16_bf16 a[12:15], v[128:129], v[108:109], 0
	ds_read_b64 v[128:129], v89 offset:16384
	v_mfma_f32_16x16x16_bf16 a[8:11], v[126:127], v[110:111], a[8:11]
	ds_read2st64_b64 v[108:111], v84 offset1:8
	s_waitcnt lgkmcnt(0)
	v_mov_b32_e32 v124, v108
	v_mfma_f32_16x16x16_bf16 a[12:15], v[126:127], v[112:113], a[12:15]
	v_lshl_add_u64 v[112:113], v[56:57], 0, s[8:9]
	v_add_co_u32_e32 v108, vcc, s13, v112
	v_mfma_f32_16x16x16_bf16 a[8:11], v[128:129], v[116:117], a[8:11]
	v_mov_b32_e32 v125, v109
	v_addc_co_u32_e32 v109, vcc, 0, v113, vcc
	v_mfma_f32_16x16x16_bf16 a[12:15], v[128:129], v[114:115], a[12:15]
	v_mov_b32_e32 v126, v120
	v_mov_b32_e32 v127, v121
	v_mov_b32_e32 v120, v110
	v_mfma_f32_16x16x16_bf16 a[8:11], v[132:133], v[118:119], a[8:11]
	v_mov_b32_e32 v121, v111
	s_and_b64 vcc, exec, s[0:1]
	global_store_dwordx4 v[112:113], v[124:127], off
	v_mfma_f32_16x16x16_bf16 a[12:15], v[132:133], v[130:131], a[12:15]
	global_store_dwordx4 v[108:109], v[120:123], off
	s_cbranch_vccnz .LBB485_16
; %bb.15:                               ;   in Loop: Header=BB485_6 Depth=1
	v_lshrrev_b32_e32 v107, 3, v105
	v_and_b32_e32 v107, 6, v107
	v_xor_b32_e32 v106, v107, v106
	v_lshlrev_b32_e32 v106, 2, v106
	v_and_b32_e32 v105, 8, v105
	v_xor_b32_e32 v108, 0x440, v106
	v_cmp_eq_u32_e32 vcc, 0, v105
	s_barrier
	s_nop 0
	v_cndmask_b32_e32 v105, v108, v106, vcc
	v_lshl_or_b32 v105, v107, 10, v105
	s_waitcnt vmcnt(3)
	v_perm_b32 v106, v46, v42, s61
	s_waitcnt vmcnt(2)
	v_perm_b32 v107, v38, v34, s61
	ds_write2st64_b32 v105, v106, v107 offset0:32 offset1:64
	v_xor_b32_e32 v106, 8, v105
	v_perm_b32 v42, v46, v42, s62
	v_perm_b32 v34, v38, v34, s62
	v_add_u32_e32 v38, 0x80, v106
	ds_write2st64_b32 v38, v42, v34 offset0:32 offset1:64
	v_xor_b32_e32 v34, 16, v105
	v_perm_b32 v38, v47, v43, s61
	v_perm_b32 v42, v39, v35, s61
	ds_write2st64_b32 v34, v38, v42 offset0:33 offset1:65
	v_xor_b32_e32 v34, 24, v105
	v_perm_b32 v38, v47, v43, s62
	v_perm_b32 v35, v39, v35, s62
	v_add_u32_e32 v34, 0x80, v34
	ds_write2st64_b32 v34, v38, v35 offset0:33 offset1:65
	v_xor_b32_e32 v34, 32, v105
	v_perm_b32 v35, v48, v44, s61
	;; [unrolled: 9-line block ×3, first 2 shown]
	v_perm_b32 v36, v41, v37, s61
	ds_write2st64_b32 v34, v35, v36 offset0:35 offset1:67
	v_xor_b32_e32 v34, 56, v105
	v_perm_b32 v35, v49, v45, s62
	v_perm_b32 v36, v41, v37, s62
	v_add_u32_e32 v34, 0x80, v34
	ds_write2st64_b32 v34, v35, v36 offset0:35 offset1:67
	ds_write_b64 v104, v[30:31] offset:24576
	v_xor_b32_e32 v30, 8, v104
	ds_write_b64 v30, v[32:33] offset:24576
	ds_write_b64 v104, v[26:27] offset:32768
	;; [unrolled: 1-line block ×4, first 2 shown]
	v_xor_b32_e32 v22, 8, v103
	ds_write_b64 v22, v[24:25] offset:24576
	ds_write_b64 v103, v[18:19] offset:32768
	;; [unrolled: 1-line block ×3, first 2 shown]
.LBB485_16:                             ;   in Loop: Header=BB485_6 Depth=1
	v_mul_f32_e32 v18, s4, v98
	s_waitcnt vmcnt(2)
	v_exp_f32_e32 v34, v18
	v_accvgpr_read_b32 v33, a7
	v_accvgpr_read_b32 v25, a3
	;; [unrolled: 1-line block ×16, first 2 shown]
	s_add_i32 s49, s49, 64
	v_fma_f32 v2, v2, v34, v30
	v_fma_f32 v3, v3, v34, v31
	v_fma_f32 v4, v4, v34, v32
	v_fmac_f32_e32 v33, v100, v34
	v_fma_f32 v10, v10, v34, v22
	v_fma_f32 v11, v11, v34, v23
	v_fma_f32 v12, v12, v34, v24
	v_fmac_f32_e32 v25, v102, v34
	;; [unrolled: 4-line block ×3, first 2 shown]
	v_fma_f32 v14, v14, v34, v18
	v_fma_f32 v15, v15, v34, v19
	;; [unrolled: 1-line block ×3, first 2 shown]
	s_cmp_eq_u32 s55, s64
	v_fmac_f32_e32 v21, v101, v34
	s_cbranch_scc1 .LBB485_18
; %bb.17:                               ;   in Loop: Header=BB485_6 Depth=1
	s_mov_b32 s63, s64
	v_mov_b32_e32 v100, v33
	v_mov_b32_e32 v99, v29
	v_mov_b32_e32 v102, v25
	v_mov_b32_e32 v101, v21
	s_branch .LBB485_6
.LBB485_18:
	v_mov_b32_e32 v5, v33
	v_mov_b32_e32 v9, v29
	;; [unrolled: 1-line block ×4, first 2 shown]
.LBB485_19:
	s_lshl_b32 s2, s55, 6
	s_sub_i32 s56, s48, s2
	s_cmp_gt_i32 s56, 0
	v_or_b32_e32 v34, s46, v62
	s_cbranch_scc1 .LBB485_21
; %bb.20:
	s_ashr_i32 s9, s51, 31
	v_or_b32_e32 v18, s46, v62
	s_cbranch_execz .LBB485_22
	s_branch .LBB485_86
.LBB485_21:
                                        ; implicit-def: $vgpr18
                                        ; implicit-def: $sgpr8_sgpr9
.LBB485_22:
	s_add_i32 s8, s2, s44
	s_ashr_i32 s2, s8, 31
	s_cmpk_lg_i32 s39, 0x80
	s_cselect_b64 s[40:41], -1, 0
	s_and_b64 vcc, exec, s[40:41]
	s_cbranch_vccz .LBB485_24
; %bb.23:
	s_mul_i32 s1, s8, s38
	s_ashr_i32 s3, s58, 31
	s_mul_hi_i32 s0, s8, s38
	s_add_u32 s48, s1, s58
	s_addc_u32 s49, s0, s3
	s_cbranch_execz .LBB485_25
	s_branch .LBB485_26
.LBB485_24:
                                        ; implicit-def: $sgpr48_sgpr49
.LBB485_25:
	s_mul_i32 s1, s58, s36
	s_mul_hi_i32 s0, s58, s36
	s_add_u32 s48, s1, s8
	s_addc_u32 s49, s0, s2
.LBB485_26:
	s_add_i32 s3, s55, s57
	s_ashr_i32 s9, s51, 31
	s_add_u32 s0, s60, s8
	v_lshlrev_b32_e32 v22, 5, v1
	v_lshlrev_b32_e32 v40, 2, v62
	s_addc_u32 s1, s59, s2
	s_mov_b32 s2, 0x7060302
	v_or_b32_e32 v25, v22, v40
	v_xor_b32_e32 v23, v1, v40
	v_perm_b32 v19, v5, v4, s2
	v_perm_b32 v18, v3, v2, s2
	;; [unrolled: 1-line block ×4, first 2 shown]
	v_lshlrev_b32_e32 v25, 1, v25
	s_lshl_b64 s[10:11], s[0:1], 8
	v_xor_b32_e32 v24, v65, v40
	ds_write2st64_b64 v25, v[18:19], v[20:21] offset0:80 offset1:88
	v_lshlrev_b32_e32 v23, 1, v23
	v_lshlrev_b32_e32 v25, 8, v62
	s_add_u32 s0, s26, s10
	v_or_b32_e32 v26, v23, v25
	v_lshlrev_b32_e32 v24, 1, v24
	s_addc_u32 s1, s27, s11
	ds_write_b64 v26, v[18:19]
	v_or_b32_e32 v18, v24, v25
	v_or_b32_e32 v25, 16, v62
	s_mul_hi_i32 s4, s3, s37
	s_mul_i32 s3, s3, s37
	ds_write_b64 v18, v[20:21]
	v_perm_b32 v19, v13, v12, s2
	v_perm_b32 v18, v11, v10, s2
	;; [unrolled: 1-line block ×4, first 2 shown]
	v_lshlrev_b32_e32 v37, 2, v25
	s_add_u32 s2, s3, s51
	v_or_b32_e32 v22, v22, v37
	s_addc_u32 s3, s4, s9
	v_lshlrev_b32_e32 v22, 1, v22
	s_ashr_i32 s47, s46, 31
	s_lshl_b64 s[2:3], s[2:3], 15
	ds_write2st64_b64 v22, v[18:19], v[20:21] offset0:80 offset1:88
	v_lshlrev_b32_e32 v22, 8, v25
	s_add_u32 s4, s16, s2
	v_or_b32_e32 v23, v23, v22
	s_addc_u32 s5, s17, s3
	s_lshl_b64 s[2:3], s[46:47], 8
	ds_write_b64 v23, v[18:19]
	v_or_b32_e32 v18, v24, v22
	s_add_u32 s2, s4, s2
	ds_write_b64 v18, v[20:21]
	v_lshrrev_b32_e32 v18, 4, v0
	s_addc_u32 s3, s5, s3
	v_lshlrev_b32_e32 v19, 1, v62
	v_lshlrev_b32_e32 v26, 4, v62
	v_mov_b32_e32 v27, 0
	v_or_b32_e32 v20, 1, v19
	v_xor_b32_e32 v19, v18, v19
	v_lshl_add_u64 v[28:29], s[2:3], 0, v[26:27]
	v_lshlrev_b32_e32 v26, 8, v18
	v_xor_b32_e32 v22, v20, v18
	v_lshl_or_b32 v18, v19, 3, v26
	s_waitcnt lgkmcnt(0)
	s_barrier
	ds_read2st64_b64 v[18:21], v18 offset1:8
	v_lshl_or_b32 v22, v22, 3, v26
	ds_read2st64_b64 v[22:25], v22 offset1:8
	v_lshl_add_u64 v[30:31], v[28:29], 0, v[26:27]
	s_movk_i32 s2, 0x1000
	s_waitcnt lgkmcnt(1)
	v_mov_b32_e32 v26, v18
	v_add_co_u32_e32 v18, vcc, s2, v30
	s_cmp_lg_u32 s56, 64
	v_mov_b32_e32 v27, v19
	v_addc_co_u32_e32 v19, vcc, 0, v31, vcc
	s_cselect_b64 s[14:15], -1, 0
	v_lshl_or_b32 v35, v58, 3, v64
	s_waitcnt lgkmcnt(0)
	v_mov_b32_e32 v28, v22
	v_mov_b32_e32 v29, v23
	;; [unrolled: 1-line block ×4, first 2 shown]
	s_mov_b32 s4, 0
	v_or_b32_e32 v38, 32, v35
	v_and_b32_e32 v36, 56, v63
	s_and_b64 vcc, exec, s[14:15]
	global_store_dwordx4 v[30:31], v[26:29], off
	global_store_dwordx4 v[18:19], v[22:25], off
	s_cbranch_vccz .LBB485_32
; %bb.27:
	s_mov_b32 s6, s4
	s_mov_b32 s7, s4
	;; [unrolled: 1-line block ×3, first 2 shown]
	v_mov_b64_e32 v[24:25], s[6:7]
	v_mov_b64_e32 v[22:23], s[4:5]
	;; [unrolled: 1-line block ×3, first 2 shown]
	v_cmp_gt_i32_e32 vcc, s56, v35
	v_mov_b64_e32 v[20:21], v[24:25]
	s_and_saveexec_b64 s[2:3], vcc
	s_cbranch_execz .LBB485_29
; %bb.28:
	v_lshlrev_b32_e32 v18, 8, v35
	v_mov_b32_e32 v19, 0
	v_lshl_add_u64 v[20:21], s[0:1], 0, v[18:19]
	v_lshlrev_b32_e32 v18, 1, v36
	v_lshl_add_u64 v[26:27], v[20:21], 0, v[18:19]
	global_load_dwordx4 v[22:25], v[26:27], off
	global_load_dwordx4 v[18:21], v[26:27], off offset:128
.LBB485_29:
	s_or_b64 exec, exec, s[2:3]
	s_mov_b32 s6, s4
	s_mov_b32 s7, s4
	;; [unrolled: 1-line block ×3, first 2 shown]
	v_mov_b64_e32 v[32:33], s[6:7]
	v_mov_b64_e32 v[30:31], s[4:5]
	;; [unrolled: 1-line block ×3, first 2 shown]
	v_cmp_gt_i32_e32 vcc, s56, v38
	v_lshlrev_b32_e32 v39, 7, v38
	v_mov_b64_e32 v[28:29], v[32:33]
	s_and_saveexec_b64 s[2:3], vcc
	s_cbranch_execz .LBB485_31
; %bb.30:
	v_lshlrev_b32_e32 v26, 1, v39
	v_mov_b32_e32 v27, 0
	v_lshl_add_u64 v[28:29], s[0:1], 0, v[26:27]
	v_lshlrev_b32_e32 v26, 1, v36
	v_lshl_add_u64 v[42:43], v[28:29], 0, v[26:27]
	global_load_dwordx4 v[30:33], v[42:43], off
	global_load_dwordx4 v[26:29], v[42:43], off offset:128
.LBB485_31:
	s_or_b64 exec, exec, s[2:3]
	v_lshrrev_b32_e32 v41, 3, v36
	v_lshlrev_b32_e32 v42, 3, v35
	v_or_b32_e32 v41, v42, v41
	v_lshlrev_b32_e32 v41, 4, v41
	v_and_b32_e32 v42, 0x78, v42
	v_xor_b32_e32 v41, v41, v42
	s_branch .LBB485_34
.LBB485_32:
                                        ; implicit-def: $vgpr41
                                        ; implicit-def: $vgpr39
                                        ; implicit-def: $vgpr22_vgpr23_vgpr24_vgpr25
                                        ; implicit-def: $vgpr18_vgpr19_vgpr20_vgpr21
                                        ; implicit-def: $vgpr30_vgpr31_vgpr32_vgpr33
                                        ; implicit-def: $vgpr26_vgpr27_vgpr28_vgpr29
	s_cbranch_execz .LBB485_34
; %bb.33:
	s_waitcnt vmcnt(0)
	v_lshlrev_b32_e32 v18, 1, v36
	v_lshl_or_b32 v39, v35, 8, v18
	s_and_b32 s1, s1, 0xffff
	s_mov_b32 s3, 0x20000
	s_movk_i32 s2, 0x4000
	v_lshl_or_b32 v41, v38, 8, v18
	s_movk_i32 s4, 0x80
	buffer_load_dwordx4 v[22:25], v39, s[0:3], 0 offen
	buffer_load_dwordx4 v[18:21], v39, s[0:3], s4 offen
	;; [unrolled: 1-line block ×4, first 2 shown]
	v_lshrrev_b32_e32 v39, 3, v36
	v_lshlrev_b32_e32 v41, 3, v35
	v_or_b32_e32 v39, v41, v39
	v_lshlrev_b32_e32 v39, 4, v39
	v_and_b32_e32 v41, 0x78, v41
	v_xor_b32_e32 v41, v39, v41
	v_lshlrev_b32_e32 v39, 7, v38
.LBB485_34:
	s_lshl_b64 s[0:1], s[48:49], 8
	s_add_u32 s4, s24, s0
	s_movk_i32 s0, 0x1000
	v_and_or_b32 v38, v39, s0, v41
	s_waitcnt vmcnt(1)
	ds_write_b64 v41, v[22:23] offset:24576
	v_xor_b32_e32 v22, 8, v41
	ds_write_b64 v22, v[24:25] offset:24576
	s_waitcnt vmcnt(0)
	ds_write_b64 v41, v[18:19] offset:32768
	ds_write_b64 v22, v[20:21] offset:32768
	;; [unrolled: 1-line block ×3, first 2 shown]
	v_xor_b32_e32 v18, 8, v38
	ds_write_b64 v18, v[32:33] offset:24576
	ds_write_b64 v38, v[26:27] offset:32768
	;; [unrolled: 1-line block ×3, first 2 shown]
	v_or_b32_e32 v18, v59, v62
	v_lshlrev_b32_e32 v18, 3, v18
	v_lshrrev_b32_e32 v19, 5, v60
	s_movk_i32 s7, 0xf8
	v_and_or_b32 v19, v18, s7, v19
	v_lshlrev_b32_e32 v23, 4, v19
	v_lshlrev_b32_e32 v41, 11, v58
	v_and_b32_e32 v24, 0x78, v18
	v_or_b32_e32 v26, 32, v23
	v_and_b32_e32 v22, 0x1000, v41
	v_lshrrev_b32_e32 v19, 1, v60
	v_xor_b32_e32 v26, v26, v24
	v_xor_b32_e32 v18, v23, v24
	v_and_b32_e32 v25, 8, v19
	v_or_b32_e32 v26, v26, v22
	v_or_b32_e32 v18, v18, v22
	v_xor_b32_e32 v45, v26, v25
	v_or_b32_e32 v26, 64, v23
	v_xor_b32_e32 v44, v18, v25
	v_xor_b32_e32 v26, v26, v24
	s_waitcnt lgkmcnt(0)
	s_barrier
	v_or_b32_e32 v28, v26, v22
	ds_read_b64 v[26:27], v44 offset:24576
	v_lshl_or_b32 v38, v61, 7, v40
	v_lshlrev_b32_e32 v42, 1, v38
	v_add_u32_e32 v18, 0xa000, v42
	ds_read2_b64 v[18:21], v18 offset1:16
	v_or_b32_e32 v23, 0x60, v23
	v_xor_b32_e32 v23, v23, v24
	s_waitcnt lgkmcnt(0)
	v_mfma_f32_16x16x16_bf16 a[0:3], v[26:27], v[18:19], 0
	v_or_b32_e32 v18, 64, v38
	v_or_b32_e32 v22, v23, v22
	v_lshlrev_b32_e32 v43, 1, v18
	v_xor_b32_e32 v46, v28, v25
	v_xor_b32_e32 v47, v22, v25
	ds_read_b64 v[28:29], v45 offset:24576
	ds_read_b64 v[30:31], v46 offset:24576
	;; [unrolled: 1-line block ×3, first 2 shown]
	v_mfma_f32_16x16x16_bf16 a[4:7], v[26:27], v[20:21], 0
	ds_read2st64_b64 v[18:21], v43 offset0:82 offset1:84
	ds_read2st64_b64 v[22:25], v42 offset0:82 offset1:84
	s_addc_u32 s5, s25, s1
	s_add_i32 s2, s45, -1
	s_add_i32 s0, s53, s52
	s_add_i32 s13, s0, s54
	s_mul_i32 s0, s51, s43
	s_mul_hi_u32 s1, s51, s42
	s_ashr_i32 s3, s2, 31
	s_mul_i32 s6, s2, s23
	s_mul_hi_u32 s7, s2, s22
	s_add_i32 s0, s1, s0
	s_mul_i32 s1, s9, s42
	s_add_i32 s6, s7, s6
	s_mul_i32 s3, s3, s22
	s_waitcnt lgkmcnt(1)
	v_mfma_f32_16x16x16_bf16 a[4:7], v[28:29], v[18:19], a[4:7]
	s_add_i32 s1, s0, s1
	s_add_i32 s3, s6, s3
	s_lshl_b64 s[6:7], s[12:13], 2
	s_waitcnt lgkmcnt(0)
	v_mfma_f32_16x16x16_bf16 a[0:3], v[28:29], v[22:23], a[0:3]
	s_mul_i32 s0, s51, s42
	s_add_u32 s6, s30, s6
	s_addc_u32 s7, s31, s7
	s_lshl_b64 s[0:1], s[0:1], 2
	s_mul_i32 s2, s2, s22
	s_add_u32 s12, s6, s0
	ds_read_b64 v[18:19], v42 offset:44032
	v_mfma_f32_16x16x16_bf16 a[4:7], v[30:31], v[20:21], a[4:7]
	ds_read_b64 v[20:21], v43 offset:44032
	s_addc_u32 s13, s7, s1
	s_lshl_b64 s[0:1], s[2:3], 2
	v_mfma_f32_16x16x16_bf16 a[0:3], v[30:31], v[24:25], a[0:3]
	s_add_u32 s0, s12, s0
	s_addc_u32 s1, s13, s1
	s_load_dword s16, s[0:1], 0x0
	s_waitcnt lgkmcnt(0)
	v_mfma_f32_16x16x16_bf16 a[0:3], v[32:33], v[18:19], a[0:3]
	s_and_b64 vcc, exec, s[40:41]
	v_mfma_f32_16x16x16_bf16 a[4:7], v[32:33], v[20:21], a[4:7]
	s_cbranch_vccz .LBB485_45
; %bb.35:
	v_lshlrev_b32_e32 v38, 1, v35
	s_and_b64 vcc, exec, s[14:15]
	s_cbranch_vccz .LBB485_46
; %bb.36:
	v_cmp_gt_i32_e32 vcc, s56, v38
	v_mov_b32_e32 v22, 0
	v_mov_b32_e32 v18, 0
	;; [unrolled: 1-line block ×5, first 2 shown]
	s_and_saveexec_b64 s[0:1], vcc
	s_cbranch_execz .LBB485_38
; %bb.37:
	v_mad_i64_i32 v[18:19], s[2:3], s39, v38, 0
	v_lshl_add_u64 v[18:19], v[18:19], 1, s[4:5]
	v_lshlrev_b32_e32 v20, 1, v36
	v_mov_b32_e32 v21, 0
	v_lshl_add_u64 v[18:19], v[18:19], 0, v[20:21]
	global_load_dwordx4 v[18:21], v[18:19], off
.LBB485_38:
	s_or_b64 exec, exec, s[0:1]
	v_or_b32_e32 v39, 1, v38
	v_cmp_gt_i32_e64 s[0:1], s56, v39
	v_mov_b32_e32 v23, 0
	v_mov_b32_e32 v24, 0
	;; [unrolled: 1-line block ×3, first 2 shown]
	s_and_saveexec_b64 s[2:3], s[0:1]
	s_cbranch_execz .LBB485_40
; %bb.39:
	v_mad_i64_i32 v[22:23], s[6:7], s39, v39, 0
	v_lshl_add_u64 v[22:23], v[22:23], 1, s[4:5]
	v_lshlrev_b32_e32 v24, 1, v36
	v_mov_b32_e32 v25, 0
	v_lshl_add_u64 v[22:23], v[22:23], 0, v[24:25]
	global_load_dwordx4 v[22:25], v[22:23], off
.LBB485_40:
	s_or_b64 exec, exec, s[2:3]
	v_mov_b32_e32 v33, 0
	v_mov_b32_e32 v26, 0
	;; [unrolled: 1-line block ×5, first 2 shown]
	s_and_saveexec_b64 s[2:3], vcc
	s_cbranch_execz .LBB485_42
; %bb.41:
	v_mad_i64_i32 v[26:27], s[6:7], s39, v38, 0
	v_lshl_add_u64 v[26:27], v[26:27], 1, s[4:5]
	v_lshlrev_b32_e32 v28, 1, v36
	v_mov_b32_e32 v29, 0
	v_lshl_add_u64 v[26:27], v[26:27], 0, v[28:29]
	global_load_dwordx4 v[26:29], v[26:27], off offset:128
.LBB485_42:
	s_or_b64 exec, exec, s[2:3]
	v_mov_b32_e32 v32, 0
	v_mov_b32_e32 v31, 0
	;; [unrolled: 1-line block ×3, first 2 shown]
	s_and_saveexec_b64 s[2:3], s[0:1]
	s_cbranch_execz .LBB485_44
; %bb.43:
	v_mad_i64_i32 v[30:31], s[0:1], s39, v39, 0
	v_lshl_add_u64 v[30:31], v[30:31], 1, s[4:5]
	v_lshlrev_b32_e32 v32, 1, v36
	v_mov_b32_e32 v33, 0
	v_lshl_add_u64 v[30:31], v[30:31], 0, v[32:33]
	global_load_dwordx4 v[30:33], v[30:31], off offset:128
.LBB485_44:
	s_or_b64 exec, exec, s[2:3]
	s_branch .LBB485_48
.LBB485_45:
                                        ; implicit-def: $vgpr21
                                        ; implicit-def: $vgpr25
                                        ; implicit-def: $vgpr29
                                        ; implicit-def: $vgpr33
	v_lshrrev_b32_e32 v48, 2, v60
	s_branch .LBB485_49
.LBB485_46:
                                        ; implicit-def: $vgpr21
                                        ; implicit-def: $vgpr25
                                        ; implicit-def: $vgpr29
                                        ; implicit-def: $vgpr33
	s_cbranch_execz .LBB485_48
; %bb.47:
	s_waitcnt vmcnt(0)
	v_mad_u64_u32 v[18:19], s[0:1], v38, s39, v[36:37]
	v_lshlrev_b32_e32 v38, 1, v18
	s_lshl_b32 s2, s39, 7
	s_and_b32 s1, s5, 0xffff
	s_mov_b32 s3, 0x20000
	s_mov_b32 s0, s4
	v_add_lshl_u32 v39, v18, s39, 1
	s_movk_i32 s6, 0x80
	buffer_load_dwordx4 v[18:21], v38, s[0:3], 0 offen
	buffer_load_dwordx4 v[26:29], v38, s[0:3], s6 offen
	;; [unrolled: 1-line block ×4, first 2 shown]
.LBB485_48:
	v_lshrrev_b32_e32 v48, 2, v60
	s_cbranch_execnz .LBB485_61
.LBB485_49:
	s_and_b64 vcc, exec, s[14:15]
	s_cbranch_vccz .LBB485_59
; %bb.50:
	s_waitcnt vmcnt(0)
	v_lshlrev_b32_e32 v23, 1, v35
	v_cmp_gt_i32_e32 vcc, s56, v23
	v_mov_b32_e32 v22, 0
	v_lshlrev_b32_e32 v30, 9, v35
	v_mov_b32_e32 v18, 0
	v_mov_b32_e32 v19, 0
	;; [unrolled: 1-line block ×4, first 2 shown]
	s_and_saveexec_b64 s[0:1], vcc
	s_cbranch_execz .LBB485_52
; %bb.51:
	v_mov_b32_e32 v31, 0
	v_lshl_add_u64 v[18:19], s[4:5], 0, v[30:31]
	v_lshlrev_b32_e32 v20, 1, v36
	v_mov_b32_e32 v21, v31
	v_lshl_add_u64 v[18:19], v[18:19], 0, v[20:21]
	global_load_dwordx4 v[18:21], v[18:19], off
.LBB485_52:
	s_or_b64 exec, exec, s[0:1]
	v_or_b32_e32 v23, 1, v23
	v_cmp_gt_i32_e64 s[0:1], s56, v23
	v_lshlrev_b32_e32 v38, 8, v23
	v_mov_b32_e32 v23, 0
	v_mov_b32_e32 v24, 0
	;; [unrolled: 1-line block ×3, first 2 shown]
	s_and_saveexec_b64 s[2:3], s[0:1]
	s_cbranch_execz .LBB485_54
; %bb.53:
	v_mov_b32_e32 v39, 0
	v_lshl_add_u64 v[22:23], s[4:5], 0, v[38:39]
	v_lshlrev_b32_e32 v24, 1, v36
	v_mov_b32_e32 v25, v39
	v_lshl_add_u64 v[22:23], v[22:23], 0, v[24:25]
	global_load_dwordx4 v[22:25], v[22:23], off
.LBB485_54:
	s_or_b64 exec, exec, s[2:3]
	v_mov_b32_e32 v33, 0
	v_mov_b32_e32 v26, 0
	;; [unrolled: 1-line block ×5, first 2 shown]
	s_and_saveexec_b64 s[2:3], vcc
	s_cbranch_execz .LBB485_56
; %bb.55:
	v_mov_b32_e32 v31, 0
	v_lshl_add_u64 v[26:27], s[4:5], 0, v[30:31]
	v_lshlrev_b32_e32 v30, 1, v36
	v_lshl_add_u64 v[26:27], v[26:27], 0, v[30:31]
	global_load_dwordx4 v[26:29], v[26:27], off offset:128
.LBB485_56:
	s_or_b64 exec, exec, s[2:3]
	v_mov_b32_e32 v32, 0
	v_mov_b32_e32 v31, 0
	;; [unrolled: 1-line block ×3, first 2 shown]
	s_and_saveexec_b64 s[2:3], s[0:1]
	s_cbranch_execz .LBB485_58
; %bb.57:
	v_mov_b32_e32 v39, 0
	v_lshl_add_u64 v[30:31], s[4:5], 0, v[38:39]
	v_lshlrev_b32_e32 v38, 1, v36
	v_lshl_add_u64 v[30:31], v[30:31], 0, v[38:39]
	global_load_dwordx4 v[30:33], v[30:31], off offset:128
.LBB485_58:
	s_or_b64 exec, exec, s[2:3]
	s_branch .LBB485_61
.LBB485_59:
                                        ; implicit-def: $vgpr21
                                        ; implicit-def: $vgpr25
                                        ; implicit-def: $vgpr29
                                        ; implicit-def: $vgpr33
	s_cbranch_execz .LBB485_61
; %bb.60:
	s_waitcnt vmcnt(0)
	v_lshlrev_b32_e32 v18, 1, v36
	v_lshl_or_b32 v36, v35, 9, v18
	s_and_b32 s5, s5, 0xffff
	s_mov_b32 s7, 0x20000
	s_movk_i32 s6, 0x4000
	s_movk_i32 s0, 0x80
	buffer_load_dwordx4 v[18:21], v36, s[4:7], 0 offen
	buffer_load_dwordx4 v[22:25], v36, s[4:7], 0 offen offset:256
	buffer_load_dwordx4 v[26:29], v36, s[4:7], s0 offen
	buffer_load_dwordx4 v[30:33], v36, s[4:7], s0 offen offset:256
.LBB485_61:
	ds_read_b64 v[38:39], v44 offset:32768
	v_add_u32_e32 v36, 0xb000, v42
	ds_read2_b64 v[50:53], v36 offset1:16
	ds_read_b64 v[54:55], v45 offset:32768
	ds_read_b64 v[56:57], v46 offset:32768
	ds_read_b64 v[60:61], v47 offset:32768
	v_and_b32_e32 v36, 6, v0
	v_xor_b32_e32 v35, v35, v36
	v_lshlrev_b32_e32 v35, 2, v35
	v_and_b32_e32 v49, 1, v0
	v_cmp_eq_u32_e32 vcc, 0, v49
	s_mov_b32 s0, 0x1000504
	s_waitcnt lgkmcnt(3)
	v_mfma_f32_16x16x16_bf16 a[0:3], v[38:39], v[50:51], a[0:3]
	s_mov_b32 s1, 0x3020706
	v_mfma_f32_16x16x16_bf16 a[4:7], v[38:39], v[52:53], a[4:7]
	ds_read2st64_b64 v[44:47], v42 offset0:90 offset1:92
	ds_read2st64_b64 v[50:53], v43 offset0:90 offset1:92
	s_waitcnt lgkmcnt(1)
	v_mfma_f32_16x16x16_bf16 a[0:3], v[54:55], v[44:45], a[0:3]
	ds_read_b64 v[38:39], v42 offset:48128
	ds_read_b64 v[44:45], v43 offset:48128
	s_waitcnt lgkmcnt(2)
	v_mfma_f32_16x16x16_bf16 a[4:7], v[54:55], v[50:51], a[4:7]
	v_mfma_f32_16x16x16_bf16 a[0:3], v[56:57], v[46:47], a[0:3]
	v_xor_b32_e32 v46, 0x440, v35
	v_cndmask_b32_e32 v35, v46, v35, vcc
	v_lshl_or_b32 v35, v36, 10, v35
	v_mfma_f32_16x16x16_bf16 a[8:11], v[56:57], v[52:53], a[4:7]
	s_waitcnt vmcnt(0)
	v_perm_b32 v36, v18, v22, s0
	v_perm_b32 v18, v18, v22, s1
	v_perm_b32 v22, v26, v30, s1
	s_waitcnt lgkmcnt(1)
	v_mfma_f32_16x16x16_bf16 a[4:7], v[60:61], v[38:39], a[0:3]
	v_perm_b32 v38, v26, v30, s0
	ds_write2st64_b32 v35, v36, v38 offset0:32 offset1:64
	v_xor_b32_e32 v36, 8, v35
	v_add_u32_e32 v26, 0x80, v36
	ds_write2st64_b32 v26, v18, v22 offset0:32 offset1:64
	v_xor_b32_e32 v18, 16, v35
	v_perm_b32 v22, v19, v23, s0
	v_perm_b32 v26, v27, v31, s0
	ds_write2st64_b32 v18, v22, v26 offset0:33 offset1:65
	v_xor_b32_e32 v18, 24, v35
	v_perm_b32 v19, v19, v23, s1
	v_perm_b32 v22, v27, v31, s1
	v_add_u32_e32 v18, 0x80, v18
	ds_write2st64_b32 v18, v19, v22 offset0:33 offset1:65
	v_xor_b32_e32 v18, 32, v35
	v_perm_b32 v19, v20, v24, s0
	v_perm_b32 v22, v28, v32, s0
	ds_write2st64_b32 v18, v19, v22 offset0:34 offset1:66
	v_xor_b32_e32 v18, 40, v35
	s_waitcnt lgkmcnt(5)
	v_mfma_f32_16x16x16_bf16 a[0:3], v[60:61], v[44:45], a[8:11]
	v_perm_b32 v19, v20, v24, s1
	v_perm_b32 v20, v28, v32, s1
	v_add_u32_e32 v18, 0x80, v18
	ds_write2st64_b32 v18, v19, v20 offset0:34 offset1:66
	v_xor_b32_e32 v18, 48, v35
	v_perm_b32 v19, v21, v25, s0
	v_perm_b32 v20, v29, v33, s0
	ds_write2st64_b32 v18, v19, v20 offset0:35 offset1:67
	v_xor_b32_e32 v18, 56, v35
	v_and_or_b32 v45, v48, 12, v59
	v_perm_b32 v19, v21, v25, s1
	v_perm_b32 v20, v29, v33, s1
	v_add_u32_e32 v18, 0x80, v18
	v_cmp_gt_i32_e32 vcc, s56, v45
	v_mov_b32_e32 v36, 0
	v_mov_b32_e32 v39, 0
	ds_write2st64_b32 v18, v19, v20 offset0:35 offset1:67
	s_and_saveexec_b64 s[0:1], vcc
	s_cbranch_execz .LBB485_63
; %bb.62:
	v_add_u32_e32 v18, s8, v45
	v_ashrrev_i32_e32 v19, 31, v18
	v_mul_lo_u32 v20, v19, s22
	v_mul_lo_u32 v21, v18, s23
	v_mad_u64_u32 v[18:19], s[2:3], v18, s22, 0
	v_add3_u32 v19, v19, v21, v20
	v_lshl_add_u64 v[18:19], v[18:19], 2, s[12:13]
	global_load_dword v18, v[18:19], off
	s_waitcnt vmcnt(0)
	v_sub_f32_e32 v18, s16, v18
	v_mul_f32_e32 v18, 0x3fb8aa3b, v18
	v_exp_f32_e32 v39, v18
.LBB485_63:
	s_or_b64 exec, exec, s[0:1]
	v_or_b32_e32 v29, 1, v45
	v_cmp_gt_i32_e64 s[0:1], s56, v29
	s_and_saveexec_b64 s[2:3], s[0:1]
	s_cbranch_execz .LBB485_65
; %bb.64:
	v_add_u32_e32 v18, s8, v29
	v_ashrrev_i32_e32 v19, 31, v18
	v_mul_lo_u32 v20, v19, s22
	v_mul_lo_u32 v21, v18, s23
	v_mad_u64_u32 v[18:19], s[4:5], v18, s22, 0
	v_add3_u32 v19, v19, v21, v20
	v_lshl_add_u64 v[18:19], v[18:19], 2, s[12:13]
	global_load_dword v18, v[18:19], off
	s_waitcnt vmcnt(0)
	v_sub_f32_e32 v18, s16, v18
	v_mul_f32_e32 v18, 0x3fb8aa3b, v18
	v_exp_f32_e32 v36, v18
.LBB485_65:
	s_or_b64 exec, exec, s[2:3]
	v_or_b32_e32 v28, 2, v45
	v_cmp_gt_i32_e64 s[2:3], s56, v28
	v_mov_b32_e32 v38, 0
	v_mov_b32_e32 v44, 0
	s_and_saveexec_b64 s[4:5], s[2:3]
	s_cbranch_execz .LBB485_67
; %bb.66:
	v_add_u32_e32 v18, s8, v28
	v_ashrrev_i32_e32 v19, 31, v18
	v_mul_lo_u32 v20, v19, s22
	v_mul_lo_u32 v21, v18, s23
	v_mad_u64_u32 v[18:19], s[6:7], v18, s22, 0
	v_add3_u32 v19, v19, v21, v20
	v_lshl_add_u64 v[18:19], v[18:19], 2, s[12:13]
	global_load_dword v18, v[18:19], off
	s_waitcnt vmcnt(0)
	v_sub_f32_e32 v18, s16, v18
	v_mul_f32_e32 v18, 0x3fb8aa3b, v18
	v_exp_f32_e32 v44, v18
.LBB485_67:
	s_or_b64 exec, exec, s[4:5]
	v_or_b32_e32 v46, 3, v45
	v_cmp_gt_i32_e64 s[4:5], s56, v46
	s_and_saveexec_b64 s[6:7], s[4:5]
	s_cbranch_execz .LBB485_69
; %bb.68:
	v_add_u32_e32 v18, s8, v46
	v_ashrrev_i32_e32 v19, 31, v18
	v_mul_lo_u32 v20, v19, s22
	v_mul_lo_u32 v21, v18, s23
	v_mad_u64_u32 v[18:19], s[14:15], v18, s22, 0
	v_add3_u32 v19, v19, v21, v20
	v_lshl_add_u64 v[18:19], v[18:19], 2, s[12:13]
	global_load_dword v18, v[18:19], off
	s_waitcnt vmcnt(0)
	v_sub_f32_e32 v18, s16, v18
	v_mul_f32_e32 v18, 0x3fb8aa3b, v18
	v_exp_f32_e32 v38, v18
.LBB485_69:
	s_or_b64 exec, exec, s[6:7]
	s_add_u32 s6, s28, s10
	s_addc_u32 s7, s29, s11
	s_add_u32 s10, s18, s10
	v_ashrrev_i32_e32 v35, 31, v34
	v_accvgpr_read_b32 v21, a7
	s_addc_u32 s11, s19, s11
	v_lshlrev_b64 v[22:23], 1, v[34:35]
	v_accvgpr_read_b32 v20, a6
	v_accvgpr_read_b32 v19, a5
	;; [unrolled: 1-line block ×3, first 2 shown]
	v_lshl_add_u64 v[24:25], s[6:7], 0, v[22:23]
	v_lshl_add_u64 v[22:23], s[10:11], 0, v[22:23]
	v_mov_b32_e32 v31, 0
	v_lshlrev_b32_e32 v26, 8, v45
	v_mov_b32_e32 v27, 0
	s_and_saveexec_b64 s[6:7], vcc
	s_cbranch_execz .LBB485_71
; %bb.70:
	v_mov_b32_e32 v27, 0
	v_lshl_add_u64 v[32:33], v[24:25], 0, v[26:27]
	global_load_ushort v30, v[32:33], off
	v_lshl_add_u64 v[32:33], v[22:23], 0, v[26:27]
	s_waitcnt vmcnt(0)
	v_lshlrev_b32_e32 v27, 16, v30
	v_sub_f32_e32 v18, v27, v18
	global_store_short_d16_hi v[32:33], v18, off
	v_mul_f32_e32 v18, v39, v18
	v_lshrrev_b32_e32 v27, 16, v18
.LBB485_71:
	s_or_b64 exec, exec, s[6:7]
	v_lshlrev_b32_e32 v30, 8, v29
	s_and_saveexec_b64 s[6:7], s[0:1]
	s_cbranch_execz .LBB485_73
; %bb.72:
	v_mov_b32_e32 v31, 0
	v_lshl_add_u64 v[32:33], v[24:25], 0, v[30:31]
	global_load_ushort v18, v[32:33], off
	v_lshl_add_u64 v[32:33], v[22:23], 0, v[30:31]
	s_waitcnt vmcnt(0)
	v_lshlrev_b32_e32 v18, 16, v18
	v_sub_f32_e32 v18, v18, v19
	global_store_short_d16_hi v[32:33], v18, off
	v_mul_f32_e32 v18, v36, v18
	v_lshrrev_b32_e32 v31, 16, v18
.LBB485_73:
	s_or_b64 exec, exec, s[6:7]
	v_mov_b32_e32 v29, 0
	v_lshlrev_b32_e32 v32, 8, v28
	v_mov_b32_e32 v33, 0
	s_and_saveexec_b64 s[6:7], s[2:3]
	s_cbranch_execz .LBB485_75
; %bb.74:
	v_mov_b32_e32 v33, 0
	v_lshl_add_u64 v[18:19], v[24:25], 0, v[32:33]
	global_load_ushort v28, v[18:19], off
	v_lshl_add_u64 v[18:19], v[22:23], 0, v[32:33]
	s_waitcnt vmcnt(0)
	v_lshlrev_b32_e32 v28, 16, v28
	v_sub_f32_e32 v20, v28, v20
	global_store_short_d16_hi v[18:19], v20, off
	v_mul_f32_e32 v18, v44, v20
	v_lshrrev_b32_e32 v33, 16, v18
.LBB485_75:
	s_or_b64 exec, exec, s[6:7]
	v_lshlrev_b32_e32 v28, 8, v46
	s_and_saveexec_b64 s[6:7], s[4:5]
	s_cbranch_execz .LBB485_77
; %bb.76:
	v_mov_b32_e32 v29, 0
	v_lshl_add_u64 v[18:19], v[24:25], 0, v[28:29]
	global_load_ushort v20, v[18:19], off
	v_lshl_add_u64 v[18:19], v[22:23], 0, v[28:29]
	s_waitcnt vmcnt(0)
	v_lshlrev_b32_e32 v20, 16, v20
	v_sub_f32_e32 v20, v20, v21
	global_store_short_d16_hi v[18:19], v20, off
	v_mul_f32_e32 v18, v38, v20
	v_lshrrev_b32_e32 v29, 16, v18
.LBB485_77:
	s_or_b64 exec, exec, s[6:7]
	v_lshlrev_b32_e32 v35, 5, v45
	s_mov_b32 s6, 0x5040100
	v_perm_b32 v46, v31, v27, s6
	v_or_b32_e32 v27, v35, v40
	v_accvgpr_read_b32 v21, a3
	v_perm_b32 v47, v29, v33, s6
	v_lshlrev_b32_e32 v27, 1, v27
	v_accvgpr_read_b32 v20, a2
	v_accvgpr_read_b32 v19, a1
	;; [unrolled: 1-line block ×3, first 2 shown]
	ds_write_b64 v27, v[46:47] offset:45056
	v_mov_b32_e32 v31, 0
	v_mov_b32_e32 v27, 0
	s_and_saveexec_b64 s[6:7], vcc
	s_cbranch_execz .LBB485_79
; %bb.78:
	v_mov_b32_e32 v27, 0
	v_lshl_add_u64 v[46:47], v[24:25], 0, v[26:27]
	global_load_ushort v29, v[46:47], off offset:32
	v_lshl_add_u64 v[26:27], v[22:23], 0, v[26:27]
	s_waitcnt vmcnt(0)
	v_lshlrev_b32_e32 v29, 16, v29
	v_sub_f32_e32 v18, v29, v18
	global_store_short_d16_hi v[26:27], v18, off offset:32
	v_mul_f32_e32 v18, v39, v18
	v_lshrrev_b32_e32 v27, 16, v18
.LBB485_79:
	s_or_b64 exec, exec, s[6:7]
	s_and_saveexec_b64 s[6:7], s[0:1]
	s_cbranch_execz .LBB485_81
; %bb.80:
	v_mov_b32_e32 v31, 0
	v_lshl_add_u64 v[46:47], v[24:25], 0, v[30:31]
	global_load_ushort v18, v[46:47], off offset:32
	v_lshl_add_u64 v[30:31], v[22:23], 0, v[30:31]
	s_waitcnt vmcnt(0)
	v_lshlrev_b32_e32 v18, 16, v18
	v_sub_f32_e32 v18, v18, v19
	global_store_short_d16_hi v[30:31], v18, off offset:32
	v_mul_f32_e32 v18, v36, v18
	v_lshrrev_b32_e32 v31, 16, v18
.LBB485_81:
	s_or_b64 exec, exec, s[6:7]
	v_mov_b32_e32 v26, 0
	v_mov_b32_e32 v30, 0
	s_and_saveexec_b64 s[0:1], s[2:3]
	s_cbranch_execz .LBB485_83
; %bb.82:
	v_mov_b32_e32 v33, 0
	v_lshl_add_u64 v[18:19], v[24:25], 0, v[32:33]
	global_load_ushort v29, v[18:19], off offset:32
	v_lshl_add_u64 v[18:19], v[22:23], 0, v[32:33]
	s_waitcnt vmcnt(0)
	v_lshlrev_b32_e32 v29, 16, v29
	v_sub_f32_e32 v20, v29, v20
	global_store_short_d16_hi v[18:19], v20, off offset:32
	v_mul_f32_e32 v18, v44, v20
	v_lshrrev_b32_e32 v30, 16, v18
.LBB485_83:
	s_or_b64 exec, exec, s[0:1]
	v_or_b32_e32 v19, 0xb000, v42
	v_or_b32_e32 v18, 0xb000, v43
	s_and_saveexec_b64 s[0:1], s[4:5]
	s_cbranch_execz .LBB485_85
; %bb.84:
	v_mov_b32_e32 v29, 0
	v_lshl_add_u64 v[24:25], v[24:25], 0, v[28:29]
	global_load_ushort v20, v[24:25], off offset:32
	v_lshl_add_u64 v[22:23], v[22:23], 0, v[28:29]
	s_waitcnt vmcnt(0)
	v_lshlrev_b32_e32 v20, 16, v20
	v_sub_f32_e32 v20, v20, v21
	global_store_short_d16_hi v[22:23], v20, off offset:32
	v_mul_f32_e32 v20, v38, v20
	v_lshrrev_b32_e32 v26, 16, v20
.LBB485_85:
	s_or_b64 exec, exec, s[0:1]
	s_mov_b32 s0, 0x5040100
	v_or_b32_e32 v22, v35, v37
	v_perm_b32 v21, v26, v30, s0
	v_perm_b32 v20, v31, v27, s0
	v_lshlrev_b32_e32 v22, 1, v22
	s_movk_i32 s0, 0x100
	ds_write_b64 v22, v[20:21] offset:45056
	v_and_b32_e32 v20, 7, v0
	v_and_b32_e32 v21, 8, v0
	v_cmp_gt_u32_e32 vcc, s0, v0
	v_lshrrev_b32_e32 v0, 1, v0
	v_lshlrev_b32_e32 v35, 3, v20
	v_lshlrev_b32_e32 v36, 7, v20
	v_mov_b32_e32 v20, 0x4000
	v_mov_b32_e32 v22, 0x2000
	v_lshlrev_b32_e32 v38, 3, v58
	v_and_b32_e32 v0, 24, v0
	v_cndmask_b32_e32 v37, v20, v22, vcc
	v_xor_b32_e32 v20, v38, v0
	v_or_b32_e32 v26, 32, v0
	v_or_b32_e32 v22, 0x440, v20
	v_cmp_eq_u32_e32 vcc, 0, v21
	v_xor_b32_e32 v26, v38, v26
	v_or_b32_e32 v27, 0x440, v26
	v_cndmask_b32_e32 v20, v22, v20, vcc
	v_or_b32_e32 v20, v20, v41
	v_cndmask_b32_e32 v26, v27, v26, vcc
	v_xad_u32 v40, v20, v35, v36
	v_or_b32_e32 v26, v26, v41
	v_add_u32_e32 v20, v37, v40
	v_xad_u32 v42, v26, v35, v36
	s_waitcnt lgkmcnt(0)
	s_barrier
	ds_read_b64 v[24:25], v20
	ds_read2_b64 v[20:23], v19 offset1:16
	v_add_u32_e32 v26, v37, v42
	ds_read_b64 v[32:33], v26
	s_waitcnt lgkmcnt(1)
	v_mfma_f32_16x16x16_bf16 a[0:3], v[24:25], v[20:21], 0
	ds_read2st64_b64 v[28:31], v18 offset0:2 offset1:4
	v_mfma_f32_16x16x16_bf16 a[4:7], v[24:25], v[22:23], 0
	ds_read2st64_b64 v[24:27], v19 offset0:2 offset1:4
	s_waitcnt lgkmcnt(0)
	v_mfma_f32_16x16x16_bf16 a[0:3], v[32:33], v[24:25], a[0:3]
	v_mfma_f32_16x16x16_bf16 a[4:7], v[32:33], v[28:29], a[4:7]
	v_or_b32_e32 v32, 64, v0
	v_xor_b32_e32 v32, v38, v32
	v_xor_b32_e32 v33, 0x440, v32
	v_cndmask_b32_e32 v32, v33, v32, vcc
	v_or_b32_e32 v32, v32, v41
	v_or_b32_e32 v0, 0x60, v0
	v_xad_u32 v43, v32, v35, v36
	v_xor_b32_e32 v0, v38, v0
	v_add_u32_e32 v32, v37, v43
	v_xor_b32_e32 v38, 0x440, v0
	ds_read_b64 v[32:33], v32
	v_cndmask_b32_e32 v0, v38, v0, vcc
	v_or_b32_e32 v0, v0, v41
	v_xad_u32 v0, v0, v35, v36
	v_add_u32_e32 v35, v37, v0
	ds_read_b64 v[36:37], v35
	s_waitcnt lgkmcnt(1)
	v_mfma_f32_16x16x16_bf16 a[0:3], v[32:33], v[26:27], a[0:3]
	v_mov_b32_e32 v35, 0x3fb8aa3b
	v_mfma_f32_16x16x16_bf16 a[4:7], v[32:33], v[30:31], a[4:7]
	ds_read_b64 v[32:33], v19 offset:3072
	ds_read_b64 v[38:39], v18 offset:3072
	;; [unrolled: 1-line block ×3, first 2 shown]
	s_waitcnt lgkmcnt(2)
	v_mfma_f32_16x16x16_bf16 a[0:3], v[36:37], v[32:33], a[0:3]
	s_waitcnt lgkmcnt(1)
	v_mfma_f32_16x16x16_bf16 a[4:7], v[36:37], v[38:39], a[4:7]
	ds_read_b64 v[36:37], v42 offset:16384
	s_waitcnt lgkmcnt(1)
	v_mfma_f32_16x16x16_bf16 a[8:11], v[18:19], v[20:21], 0
	v_mul_f32_e32 v20, s16, v35
	v_exp_f32_e32 v35, v20
	v_accvgpr_read_b32 v21, a3
	v_mfma_f32_16x16x16_bf16 a[12:15], v[18:19], v[22:23], 0
	ds_read_b64 v[22:23], v43 offset:16384
	v_accvgpr_read_b32 v18, a0
	v_fma_f32 v18, v2, v35, v18
	v_accvgpr_read_b32 v2, a1
	v_fma_f32 v19, v3, v35, v2
	v_accvgpr_read_b32 v2, a2
	v_fma_f32 v20, v4, v35, v2
	ds_read_b64 v[2:3], v0 offset:16384
	s_waitcnt lgkmcnt(2)
	v_mfma_f32_16x16x16_bf16 a[8:11], v[36:37], v[24:25], a[8:11]
	v_accvgpr_read_b32 v0, a4
	v_fmac_f32_e32 v21, v5, v35
	v_mfma_f32_16x16x16_bf16 a[12:15], v[36:37], v[28:29], a[12:15]
	v_accvgpr_read_b32 v29, a7
	v_fmac_f32_e32 v29, v13, v35
	s_waitcnt lgkmcnt(1)
	v_mfma_f32_16x16x16_bf16 a[0:3], v[22:23], v[26:27], a[8:11]
	v_fma_f32 v26, v10, v35, v0
	v_accvgpr_read_b32 v0, a5
	v_fma_f32 v27, v11, v35, v0
	v_mfma_f32_16x16x16_bf16 a[8:11], v[22:23], v[30:31], a[12:15]
	v_accvgpr_read_b32 v0, a6
	v_fma_f32 v28, v12, v35, v0
	s_waitcnt lgkmcnt(0)
	v_mfma_f32_16x16x16_bf16 a[0:3], v[2:3], v[32:33], a[0:3]
	v_mfma_f32_16x16x16_bf16 a[4:7], v[2:3], v[38:39], a[8:11]
	s_nop 5
	v_accvgpr_read_b32 v0, a0
	v_fma_f32 v22, v6, v35, v0
	v_accvgpr_read_b32 v0, a1
	v_fma_f32 v23, v7, v35, v0
	;; [unrolled: 2-line block ×4, first 2 shown]
	v_accvgpr_read_b32 v0, a5
	v_accvgpr_read_b32 v25, a3
	v_fma_f32 v31, v15, v35, v0
	v_accvgpr_read_b32 v0, a6
	v_accvgpr_read_b32 v33, a7
	v_fmac_f32_e32 v25, v9, v35
	v_fma_f32 v32, v16, v35, v0
	v_fmac_f32_e32 v33, v17, v35
	v_mov_b64_e32 v[2:3], v[18:19]
	v_mov_b64_e32 v[4:5], v[20:21]
	;; [unrolled: 1-line block ×8, first 2 shown]
	v_mov_b32_e32 v18, v34
.LBB485_86:
	s_mul_i32 s0, s33, s35
	s_mul_hi_u32 s1, s33, s34
	s_add_i32 s0, s1, s0
	s_mul_i32 s1, s50, s34
	s_add_i32 s1, s0, s1
	s_mul_i32 s0, s33, s34
	s_add_u32 s0, s0, s51
	s_addc_u32 s1, s1, s9
	s_lshl_b64 s[0:1], s[0:1], 16
	s_add_u32 s0, s20, s0
	v_lshlrev_b32_e32 v18, 7, v18
	s_addc_u32 s1, s21, s1
	v_ashrrev_i32_e32 v19, 31, v18
	v_lshl_add_u64 v[20:21], v[18:19], 2, s[0:1]
	v_lshlrev_b32_e32 v0, 2, v1
	v_mov_b32_e32 v1, 0
	v_lshl_add_u64 v[20:21], v[20:21], 0, v[0:1]
	global_store_dwordx4 v[20:21], v[2:5], off
	global_store_dwordx4 v[20:21], v[6:9], off offset:256
	s_nop 0
	v_or_b32_e32 v2, 0x800, v18
	v_ashrrev_i32_e32 v3, 31, v2
	v_lshl_add_u64 v[2:3], v[2:3], 2, s[0:1]
	v_lshl_add_u64 v[0:1], v[2:3], 0, v[0:1]
	global_store_dwordx4 v[0:1], v[10:13], off
	global_store_dwordx4 v[0:1], v[14:17], off offset:256
	s_endpgm
	.section	.rodata,"a",@progbits
	.p2align	6, 0x0
	.amdhsa_kernel _ZN12_GLOBAL__N_139chunk_gated_delta_rule_fwd_h_hip_kernelILi32ELb0ELb1ELb1ELb1ELb0ELb0ELb1ELb0EEEvPK12hip_bfloat16S3_S3_PKfS5_PKvPS1_S8_PvPKiSB_iiiiilll
		.amdhsa_group_segment_fixed_size 49152
		.amdhsa_private_segment_fixed_size 0
		.amdhsa_kernarg_size 136
		.amdhsa_user_sgpr_count 2
		.amdhsa_user_sgpr_dispatch_ptr 0
		.amdhsa_user_sgpr_queue_ptr 0
		.amdhsa_user_sgpr_kernarg_segment_ptr 1
		.amdhsa_user_sgpr_dispatch_id 0
		.amdhsa_user_sgpr_kernarg_preload_length 0
		.amdhsa_user_sgpr_kernarg_preload_offset 0
		.amdhsa_user_sgpr_private_segment_size 0
		.amdhsa_uses_dynamic_stack 0
		.amdhsa_enable_private_segment 0
		.amdhsa_system_sgpr_workgroup_id_x 1
		.amdhsa_system_sgpr_workgroup_id_y 1
		.amdhsa_system_sgpr_workgroup_id_z 0
		.amdhsa_system_sgpr_workgroup_info 0
		.amdhsa_system_vgpr_workitem_id 0
		.amdhsa_next_free_vgpr 152
		.amdhsa_next_free_sgpr 68
		.amdhsa_accum_offset 136
		.amdhsa_reserve_vcc 1
		.amdhsa_float_round_mode_32 0
		.amdhsa_float_round_mode_16_64 0
		.amdhsa_float_denorm_mode_32 3
		.amdhsa_float_denorm_mode_16_64 3
		.amdhsa_dx10_clamp 1
		.amdhsa_ieee_mode 1
		.amdhsa_fp16_overflow 0
		.amdhsa_tg_split 0
		.amdhsa_exception_fp_ieee_invalid_op 0
		.amdhsa_exception_fp_denorm_src 0
		.amdhsa_exception_fp_ieee_div_zero 0
		.amdhsa_exception_fp_ieee_overflow 0
		.amdhsa_exception_fp_ieee_underflow 0
		.amdhsa_exception_fp_ieee_inexact 0
		.amdhsa_exception_int_div_zero 0
	.end_amdhsa_kernel
	.section	.text._ZN12_GLOBAL__N_139chunk_gated_delta_rule_fwd_h_hip_kernelILi32ELb0ELb1ELb1ELb1ELb0ELb0ELb1ELb0EEEvPK12hip_bfloat16S3_S3_PKfS5_PKvPS1_S8_PvPKiSB_iiiiilll,"axG",@progbits,_ZN12_GLOBAL__N_139chunk_gated_delta_rule_fwd_h_hip_kernelILi32ELb0ELb1ELb1ELb1ELb0ELb0ELb1ELb0EEEvPK12hip_bfloat16S3_S3_PKfS5_PKvPS1_S8_PvPKiSB_iiiiilll,comdat
.Lfunc_end485:
	.size	_ZN12_GLOBAL__N_139chunk_gated_delta_rule_fwd_h_hip_kernelILi32ELb0ELb1ELb1ELb1ELb0ELb0ELb1ELb0EEEvPK12hip_bfloat16S3_S3_PKfS5_PKvPS1_S8_PvPKiSB_iiiiilll, .Lfunc_end485-_ZN12_GLOBAL__N_139chunk_gated_delta_rule_fwd_h_hip_kernelILi32ELb0ELb1ELb1ELb1ELb0ELb0ELb1ELb0EEEvPK12hip_bfloat16S3_S3_PKfS5_PKvPS1_S8_PvPKiSB_iiiiilll
                                        ; -- End function
	.section	.AMDGPU.csdata,"",@progbits
; Kernel info:
; codeLenInByte = 9580
; NumSgprs: 74
; NumVgprs: 134
; NumAgprs: 16
; TotalNumVgprs: 152
; ScratchSize: 0
; MemoryBound: 0
; FloatMode: 240
; IeeeMode: 1
; LDSByteSize: 49152 bytes/workgroup (compile time only)
; SGPRBlocks: 9
; VGPRBlocks: 18
; NumSGPRsForWavesPerEU: 74
; NumVGPRsForWavesPerEU: 152
; AccumOffset: 136
; Occupancy: 1
; WaveLimiterHint : 1
; COMPUTE_PGM_RSRC2:SCRATCH_EN: 0
; COMPUTE_PGM_RSRC2:USER_SGPR: 2
; COMPUTE_PGM_RSRC2:TRAP_HANDLER: 0
; COMPUTE_PGM_RSRC2:TGID_X_EN: 1
; COMPUTE_PGM_RSRC2:TGID_Y_EN: 1
; COMPUTE_PGM_RSRC2:TGID_Z_EN: 0
; COMPUTE_PGM_RSRC2:TIDIG_COMP_CNT: 0
; COMPUTE_PGM_RSRC3_GFX90A:ACCUM_OFFSET: 33
; COMPUTE_PGM_RSRC3_GFX90A:TG_SPLIT: 0
	.section	.text._ZN12_GLOBAL__N_139chunk_gated_delta_rule_fwd_h_hip_kernelILi32ELb0ELb1ELb0ELb1ELb0ELb0ELb1ELb0EEEvPK12hip_bfloat16S3_S3_PKfS5_PKvPS1_S8_PvPKiSB_iiiiilll,"axG",@progbits,_ZN12_GLOBAL__N_139chunk_gated_delta_rule_fwd_h_hip_kernelILi32ELb0ELb1ELb0ELb1ELb0ELb0ELb1ELb0EEEvPK12hip_bfloat16S3_S3_PKfS5_PKvPS1_S8_PvPKiSB_iiiiilll,comdat
	.globl	_ZN12_GLOBAL__N_139chunk_gated_delta_rule_fwd_h_hip_kernelILi32ELb0ELb1ELb0ELb1ELb0ELb0ELb1ELb0EEEvPK12hip_bfloat16S3_S3_PKfS5_PKvPS1_S8_PvPKiSB_iiiiilll ; -- Begin function _ZN12_GLOBAL__N_139chunk_gated_delta_rule_fwd_h_hip_kernelILi32ELb0ELb1ELb0ELb1ELb0ELb0ELb1ELb0EEEvPK12hip_bfloat16S3_S3_PKfS5_PKvPS1_S8_PvPKiSB_iiiiilll
	.p2align	8
	.type	_ZN12_GLOBAL__N_139chunk_gated_delta_rule_fwd_h_hip_kernelILi32ELb0ELb1ELb0ELb1ELb0ELb0ELb1ELb0EEEvPK12hip_bfloat16S3_S3_PKfS5_PKvPS1_S8_PvPKiSB_iiiiilll,@function
_ZN12_GLOBAL__N_139chunk_gated_delta_rule_fwd_h_hip_kernelILi32ELb0ELb1ELb0ELb1ELb0ELb0ELb1ELb0EEEvPK12hip_bfloat16S3_S3_PKfS5_PKvPS1_S8_PvPKiSB_iiiiilll: ; @_ZN12_GLOBAL__N_139chunk_gated_delta_rule_fwd_h_hip_kernelILi32ELb0ELb1ELb0ELb1ELb0ELb0ELb1ELb0EEEvPK12hip_bfloat16S3_S3_PKfS5_PKvPS1_S8_PvPKiSB_iiiiilll
; %bb.0:
	s_load_dwordx4 s[28:31], s[0:1], 0x5c
	s_load_dwordx2 s[4:5], s[0:1], 0x50
	s_abs_i32 s7, s3
	s_ashr_i32 s6, s3, 31
	s_load_dwordx8 s[16:23], s[0:1], 0x0
	s_load_dwordx4 s[24:27], s[0:1], 0x40
	s_load_dwordx2 s[42:43], s[0:1], 0x30
	s_waitcnt lgkmcnt(0)
	s_abs_i32 s10, s29
	v_cvt_f32_u32_e32 v1, s10
	s_sub_i32 s8, 0, s10
	s_ashr_i32 s48, s29, 31
	s_xor_b32 s6, s6, s48
	v_rcp_iflag_f32_e32 v1, v1
	v_lshrrev_b32_e32 v56, 6, v0
	v_bfe_u32 v59, v0, 4, 2
	v_lshlrev_b32_e32 v57, 4, v56
	v_mul_f32_e32 v1, 0x4f7ffffe, v1
	v_cvt_u32_f32_e32 v1, v1
	v_lshlrev_b32_e32 v18, 2, v59
	v_and_b32_e32 v58, 63, v0
	s_mov_b32 s33, s29
	v_readfirstlane_b32 s9, v1
	s_mul_i32 s8, s8, s9
	s_mul_hi_u32 s8, s9, s8
	s_add_i32 s9, s9, s8
	s_mul_hi_u32 s8, s7, s9
	s_mul_i32 s9, s8, s10
	s_sub_i32 s7, s7, s9
	s_add_i32 s9, s8, 1
	s_sub_i32 s11, s7, s10
	s_cmp_ge_u32 s7, s10
	s_cselect_b32 s8, s9, s8
	s_cselect_b32 s7, s11, s7
	s_add_i32 s9, s8, 1
	s_cmp_ge_u32 s7, s10
	s_cselect_b32 s7, s9, s8
	s_xor_b32 s7, s7, s6
	s_sub_i32 s34, s7, s6
	s_mul_i32 s6, s34, s29
	s_ashr_i32 s35, s34, 31
	s_sub_i32 s49, s3, s6
	s_lshl_b64 s[6:7], s[34:35], 2
	s_add_u32 s8, s26, s6
	s_addc_u32 s9, s27, s7
	s_add_u32 s4, s4, s6
	s_addc_u32 s5, s5, s7
	s_abs_i32 s3, s30
	v_cvt_f32_u32_e32 v1, s3
	s_load_dwordx2 s[40:41], s[8:9], 0x0
	s_load_dwordx2 s[26:27], s[0:1], 0x80
	s_load_dwordx4 s[36:39], s[0:1], 0x70
	s_sub_i32 s1, 0, s3
	v_rcp_iflag_f32_e32 v1, v1
	s_load_dword s55, s[4:5], 0x0
	s_waitcnt lgkmcnt(0)
	s_sub_i32 s46, s41, s40
	s_ashr_i32 s0, s46, 31
	v_mul_f32_e32 v1, 0x4f7ffffe, v1
	v_cvt_u32_f32_e32 v1, v1
	s_lshr_b32 s0, s0, 26
	s_add_i32 s0, s46, s0
	s_ashr_i32 s53, s0, 6
	v_readfirstlane_b32 s6, v1
	s_mul_i32 s1, s1, s6
	s_mul_hi_u32 s1, s6, s1
	s_add_i32 s6, s6, s1
	s_mul_hi_u32 s1, s10, s6
	s_mul_i32 s6, s1, s3
	s_ashr_i32 s0, s30, 31
	s_sub_i32 s6, s10, s6
	s_xor_b32 s0, s48, s0
	s_add_i32 s7, s1, 1
	s_sub_i32 s8, s6, s3
	s_cmp_ge_u32 s6, s3
	s_cselect_b32 s1, s7, s1
	s_cselect_b32 s6, s8, s6
	s_add_i32 s7, s1, 1
	s_cmp_ge_u32 s6, s3
	s_cselect_b32 s1, s7, s1
	s_xor_b32 s1, s1, s0
	s_sub_i32 s1, s1, s0
	s_abs_i32 s3, s1
	v_cvt_f32_u32_e32 v1, s3
	s_sub_i32 s5, 0, s3
	s_abs_i32 s4, s49
	s_xor_b32 s1, s49, s1
	v_rcp_iflag_f32_e32 v1, v1
	s_ashr_i32 s1, s1, 31
	s_mov_b32 s0, 0
	s_mov_b32 s14, s0
	v_mul_f32_e32 v1, 0x4f7ffffe, v1
	v_cvt_u32_f32_e32 v1, v1
	s_mov_b32 s15, s0
	s_mov_b32 s8, s0
	;; [unrolled: 1-line block ×3, first 2 shown]
	v_readfirstlane_b32 s6, v1
	s_mul_i32 s5, s5, s6
	s_mul_hi_u32 s5, s6, s5
	s_add_i32 s6, s6, s5
	s_mul_hi_u32 s5, s4, s6
	s_mul_i32 s6, s5, s3
	s_sub_i32 s4, s4, s6
	s_add_i32 s6, s5, 1
	s_sub_i32 s7, s4, s3
	s_cmp_ge_u32 s4, s3
	s_cselect_b32 s5, s6, s5
	s_cselect_b32 s4, s7, s4
	s_add_i32 s6, s5, 1
	s_cmp_ge_u32 s4, s3
	s_cselect_b32 s3, s6, s5
	s_xor_b32 s3, s3, s1
	s_sub_i32 s56, s3, s1
	v_or_b32_e32 v1, v18, v57
	s_lshl_b32 s44, s2, 5
	s_mov_b32 s1, s0
	s_mov_b32 s2, s0
	;; [unrolled: 1-line block ×11, first 2 shown]
	v_mov_b64_e32 v[16:17], s[14:15]
	v_and_b32_e32 v60, 15, v0
	v_or_b32_e32 v63, 64, v1
	s_cmp_lt_i32 s46, 64
	v_mov_b64_e32 v[14:15], s[12:13]
	v_mov_b64_e32 v[12:13], s[10:11]
	;; [unrolled: 1-line block ×7, first 2 shown]
	s_mul_hi_i32 s57, s49, s28
	s_mul_i32 s58, s49, s28
	v_lshrrev_b32_e32 v62, 3, v58
	v_lshlrev_b32_e32 v61, 3, v0
	s_mul_i32 s50, s34, s37
	s_mul_hi_u32 s51, s34, s36
	s_mul_i32 s52, s35, s36
	s_mul_i32 s12, s34, s36
	s_cbranch_scc1 .LBB486_19
; %bb.1:
	s_ashr_i32 s36, s49, 31
	s_ashr_i32 s1, s40, 31
	s_add_u32 s0, s58, s40
	s_addc_u32 s1, s57, s1
	s_lshl_b64 s[0:1], s[0:1], 8
	v_and_b32_e32 v9, 56, v61
	s_add_u32 s0, s18, s0
	v_lshl_or_b32 v5, v56, 3, v62
	v_lshlrev_b32_e32 v2, 1, v9
	s_addc_u32 s1, s19, s1
	v_lshl_or_b32 v13, v5, 8, v2
	s_and_b32 s1, s1, 0xffff
	s_mov_b32 s3, 0x20000
	s_movk_i32 s2, 0x4000
	s_movk_i32 s4, 0x80
	v_or_b32_e32 v17, 0x2000, v13
	buffer_load_dwordx4 v[20:23], v13, s[0:3], 0 offen
	buffer_load_dwordx4 v[24:27], v13, s[0:3], s4 offen
	;; [unrolled: 1-line block ×4, first 2 shown]
	v_lshlrev_b32_e32 v3, 3, v5
	v_and_or_b32 v6, v0, 7, v3
	v_and_b32_e32 v3, 0x78, v3
	v_lshlrev_b32_e32 v6, 4, v6
	v_xor_b32_e32 v64, v6, v3
	v_mul_lo_u32 v4, v5, s31
	v_or_b32_e32 v65, 0x1000, v64
	v_xor_b32_e32 v3, 8, v64
	s_cmpk_eq_i32 s31, 0x80
	s_mov_b32 s47, s40
	v_xor_b32_e32 v6, 8, v65
	s_cselect_b64 s[0:1], -1, 0
	s_cmpk_lg_i32 s31, 0x80
	s_waitcnt vmcnt(3)
	ds_write_b64 v64, v[20:21] offset:24576
	ds_write_b64 v3, v[22:23] offset:24576
	s_waitcnt vmcnt(2)
	ds_write_b64 v64, v[24:25] offset:32768
	ds_write_b64 v3, v[26:27] offset:32768
	;; [unrolled: 3-line block ×4, first 2 shown]
	v_lshl_add_u32 v3, v4, 1, v9
	s_cbranch_scc0 .LBB486_3
; %bb.2:
	v_lshlrev_b32_e32 v6, 1, v3
	v_add_lshl_u32 v4, v3, s31, 1
	s_lshl_b32 s6, s31, 7
	v_lshl_or_b32 v2, v5, 9, v2
	s_cbranch_execz .LBB486_4
	s_branch .LBB486_5
.LBB486_3:
                                        ; implicit-def: $vgpr4
                                        ; implicit-def: $vgpr6
                                        ; implicit-def: $sgpr6
	v_lshl_or_b32 v2, v5, 9, v2
.LBB486_4:
	v_or_b32_e32 v4, 0x100, v2
	s_movk_i32 s6, 0x4000
	v_mov_b32_e32 v6, v2
.LBB486_5:
	s_mul_i32 s2, s40, s30
	s_ashr_i32 s37, s56, 31
	s_mul_hi_i32 s3, s40, s30
	s_add_u32 s2, s2, s56
	s_addc_u32 s3, s3, s37
	s_lshl_b64 s[2:3], s[2:3], 8
	s_add_u32 s4, s16, s2
	s_addc_u32 s2, s17, s3
	s_and_b32 s5, s2, 0xffff
	s_mov_b32 s7, 0x20000
	s_movk_i32 s54, 0x80
	buffer_load_dwordx4 v[20:23], v6, s[4:7], 0 offen
	buffer_load_dwordx4 v[24:27], v6, s[4:7], s54 offen
	;; [unrolled: 1-line block ×4, first 2 shown]
	v_and_b32_e32 v4, 6, v0
	v_lshlrev_b32_e32 v8, 6, v1
	v_or_b32_e32 v11, 16, v60
	v_xor_b32_e32 v12, v5, v4
	v_and_b32_e32 v6, 1, v0
	v_lshl_or_b32 v16, v60, 3, v8
	v_lshl_or_b32 v8, v11, 3, v8
	v_lshlrev_b32_e32 v12, 2, v12
	v_lshlrev_b32_e32 v7, 2, v60
	s_mul_i32 s2, s49, s39
	s_mul_hi_u32 s3, s49, s38
	v_or_b32_e32 v68, 0xa000, v8
	v_or_b32_e32 v69, 0xb000, v8
	v_xor_b32_e32 v8, 0x440, v12
	v_cmp_eq_u32_e32 vcc, 0, v6
	s_add_i32 s5, s51, s50
	s_mul_i32 s4, s36, s38
	v_xor_b32_e32 v14, v1, v7
	v_xor_b32_e32 v15, v63, v7
	v_cndmask_b32_e32 v6, v8, v12, vcc
	s_add_i32 s2, s3, s2
	s_add_i32 s13, s5, s52
	s_mov_b32 s59, 0x1000504
	v_lshlrev_b32_e32 v10, 8, v60
	v_lshlrev_b32_e32 v11, 8, v11
	;; [unrolled: 1-line block ×4, first 2 shown]
	v_lshl_or_b32 v4, v4, 10, v6
	s_add_i32 s3, s2, s4
	s_lshl_b64 s[4:5], s[12:13], 2
	s_mov_b32 s60, 0x3020706
	v_or_b32_e32 v66, 0xa000, v16
	v_or_b32_e32 v67, 0xb000, v16
	;; [unrolled: 1-line block ×5, first 2 shown]
	v_xor_b32_e32 v6, 8, v4
	v_xor_b32_e32 v10, 24, v4
	;; [unrolled: 1-line block ×4, first 2 shown]
	s_mul_i32 s2, s49, s38
	s_add_u32 s4, s22, s4
	v_or_b32_e32 v72, v11, v14
	v_xor_b32_e32 v8, 16, v4
	v_xor_b32_e32 v11, 32, v4
	;; [unrolled: 1-line block ×3, first 2 shown]
	v_add_u32_e32 v6, 0x80, v6
	v_add_u32_e32 v10, 0x80, v10
	;; [unrolled: 1-line block ×4, first 2 shown]
	s_addc_u32 s5, s23, s5
	s_lshl_b64 s[2:3], s[2:3], 2
	s_add_u32 s2, s4, s2
	s_movk_i32 s4, 0xf8
	s_addc_u32 s3, s5, s3
	s_ashr_i32 s45, s44, 31
	s_lshl_b32 s10, s31, 7
	s_movk_i32 s8, 0x100
	v_mov_b32_e32 v51, 0
	v_lshlrev_b32_e32 v50, 4, v60
	v_cmp_gt_u32_e32 vcc, s8, v0
	s_mov_b32 s61, 0
	s_movk_i32 s13, 0x1000
	s_movk_i32 s6, 0x4000
	v_add_u32_e32 v91, v57, v18
	v_mov_b32_e32 v96, 0x3fb8aa3b
	v_mov_b32_e32 v98, v51
	;; [unrolled: 1-line block ×5, first 2 shown]
	s_waitcnt vmcnt(1)
	v_perm_b32 v16, v20, v28, s59
	s_waitcnt vmcnt(0)
	v_perm_b32 v19, v24, v32, s59
	v_perm_b32 v20, v20, v28, s60
	;; [unrolled: 1-line block ×15, first 2 shown]
	ds_write2st64_b32 v4, v16, v19 offset0:32 offset1:64
	ds_write2st64_b32 v6, v20, v24 offset0:32 offset1:64
	;; [unrolled: 1-line block ×8, first 2 shown]
	v_or_b32_e32 v4, v57, v60
	v_lshlrev_b32_e32 v4, 3, v4
	v_lshrrev_b32_e32 v10, 5, v58
	v_and_or_b32 v10, v4, s4, v10
	v_lshlrev_b32_e32 v8, 11, v56
	v_lshlrev_b32_e32 v10, 4, v10
	v_and_b32_e32 v4, 0x78, v4
	v_and_b32_e32 v6, 0x1000, v8
	v_xor_b32_e32 v11, v10, v4
	v_lshrrev_b32_e32 v12, 1, v0
	v_or_b32_e32 v11, v11, v6
	v_and_b32_e32 v14, 8, v12
	v_xor_b32_e32 v74, v11, v14
	v_or_b32_e32 v11, 32, v10
	v_xor_b32_e32 v11, v11, v4
	v_or_b32_e32 v11, v11, v6
	;; [unrolled: 2-line block ×4, first 2 shown]
	s_lshl_b64 s[4:5], s[44:45], 8
	v_or_b32_e32 v11, v11, v6
	v_xor_b32_e32 v4, v10, v4
	s_add_u32 s4, s42, s4
	v_lshlrev_b32_e32 v10, 1, v60
	v_xor_b32_e32 v78, v11, v14
	v_lshrrev_b32_e32 v19, 4, v0
	s_addc_u32 s5, s43, s5
	v_or_b32_e32 v11, 1, v10
	v_mov_b32_e32 v23, 0x4000
	v_mov_b32_e32 v24, 0x2000
	v_xor_b32_e32 v20, v19, v10
	v_xor_b32_e32 v21, v11, v19
	v_lshl_add_u64 v[10:11], s[4:5], 0, v[50:51]
	v_lshlrev_b32_e32 v50, 8, v19
	v_cndmask_b32_e32 v23, v23, v24, vcc
	v_lshlrev_b32_e32 v24, 3, v56
	v_and_b32_e32 v12, 24, v12
	v_lshl_or_b32 v82, v20, 3, v50
	v_and_b32_e32 v20, 8, v0
	v_xor_b32_e32 v25, v24, v12
	v_or_b32_e32 v26, 0x440, v25
	v_cmp_eq_u32_e32 vcc, 0, v20
	v_and_b32_e32 v19, 7, v0
	v_lshlrev_b32_e32 v15, 7, v59
	v_cndmask_b32_e32 v20, v26, v25, vcc
	v_lshl_or_b32 v83, v21, 3, v50
	v_lshlrev_b32_e32 v21, 3, v19
	v_lshlrev_b32_e32 v19, 7, v19
	;; [unrolled: 1-line block ×3, first 2 shown]
	v_or_b32_e32 v20, v20, v8
	v_or_b32_e32 v7, v15, v7
	v_xad_u32 v84, v20, v21, v19
	v_and_or_b32 v15, v22, 60, v15
	v_mov_b32_e32 v20, 0xb000
	v_lshl_or_b32 v85, v15, 1, v20
	v_or_b32_e32 v15, 32, v12
	v_xor_b32_e32 v15, v24, v15
	v_or_b32_e32 v20, 0x440, v15
	v_cndmask_b32_e32 v15, v20, v15, vcc
	v_or_b32_e32 v15, v15, v8
	v_xad_u32 v86, v15, v21, v19
	v_or_b32_e32 v15, 64, v12
	v_xor_b32_e32 v15, v24, v15
	v_xor_b32_e32 v20, 0x440, v15
	v_cndmask_b32_e32 v15, v20, v15, vcc
	v_or_b32_e32 v12, 0x60, v12
	v_or_b32_e32 v15, v15, v8
	v_xor_b32_e32 v12, v24, v12
	v_xad_u32 v87, v15, v21, v19
	v_xor_b32_e32 v15, 0x440, v12
	v_cndmask_b32_e32 v12, v15, v12, vcc
	v_lshlrev_b32_e32 v7, 1, v7
	v_or_b32_e32 v4, v4, v6
	v_or_b32_e32 v6, s44, v60
	v_or_b32_e32 v8, v12, v8
	v_or_b32_e32 v75, 0xa000, v7
	v_or_b32_e32 v77, 0xa080, v7
	v_xor_b32_e32 v79, v4, v14
	v_or_b32_e32 v80, 0xb000, v7
	v_or_b32_e32 v81, 0xb080, v7
	v_lshlrev_b32_e32 v4, 7, v1
	v_ashrrev_i32_e32 v7, 31, v6
	v_lshlrev_b32_e32 v14, 1, v3
	v_add_lshl_u32 v3, v3, s31, 1
	v_or_b32_e32 v16, 0x100, v2
	v_xad_u32 v88, v8, v21, v19
	v_cndmask_b32_e64 v89, v14, v2, s[0:1]
	v_cndmask_b32_e64 v90, v3, v16, s[0:1]
	v_lshl_add_u64 v[52:53], v[6:7], 1, s[20:21]
	v_lshl_add_u64 v[54:55], v[10:11], 0, v[50:51]
	s_mov_b32 s45, 0x7060302
	v_lshlrev_b32_e32 v50, 1, v4
	v_add_u32_e32 v92, v23, v84
	v_add_u32_e32 v93, v23, v86
	;; [unrolled: 1-line block ×4, first 2 shown]
	v_mov_b32_e32 v2, v51
	v_mov_b32_e32 v3, v51
	;; [unrolled: 1-line block ×12, first 2 shown]
	s_waitcnt lgkmcnt(0)
	s_barrier
.LBB486_6:                              ; =>This Inner Loop Header: Depth=1
	s_add_i32 s62, s61, 1
	s_cmp_lt_i32 s62, s53
	s_mov_b64 s[8:9], 0
	s_cselect_b64 s[14:15], -1, 0
	s_cmp_ge_i32 s62, s53
	s_mov_b64 s[4:5], 0
	s_cbranch_scc1 .LBB486_8
; %bb.7:                                ;   in Loop: Header=BB486_6 Depth=1
	s_add_i32 s0, s47, 64
	s_ashr_i32 s1, s0, 31
	s_add_u32 s0, s58, s0
	s_addc_u32 s1, s57, s1
	s_lshl_b64 s[0:1], s[0:1], 8
	s_add_u32 s4, s18, s0
	s_addc_u32 s5, s19, s1
.LBB486_8:                              ;   in Loop: Header=BB486_6 Depth=1
	v_cndmask_b32_e64 v18, 0, 1, s[14:15]
	v_cmp_ne_u32_e64 s[0:1], 1, v18
	s_andn2_b64 vcc, exec, s[14:15]
	s_cbranch_vccnz .LBB486_10
; %bb.9:                                ;   in Loop: Header=BB486_6 Depth=1
	s_add_i32 s8, s47, 64
	s_mul_hi_i32 s9, s8, s30
	s_mul_i32 s8, s8, s30
	s_add_u32 s8, s8, s56
	s_addc_u32 s9, s9, s37
	s_lshl_b64 s[8:9], s[8:9], 8
	s_add_u32 s8, s16, s8
	s_addc_u32 s9, s17, s9
.LBB486_10:                             ;   in Loop: Header=BB486_6 Depth=1
	v_perm_b32 v19, v98, v4, s45
	v_perm_b32 v18, v3, v2, s45
	;; [unrolled: 1-line block ×4, first 2 shown]
	ds_write_b64 v66, v[18:19]
	ds_write_b64 v67, v[20:21]
	;; [unrolled: 1-line block ×4, first 2 shown]
	v_perm_b32 v19, v100, v12, s45
	v_perm_b32 v18, v11, v10, s45
	;; [unrolled: 1-line block ×4, first 2 shown]
	ds_write_b64 v68, v[18:19]
	ds_write_b64 v69, v[20:21]
	;; [unrolled: 1-line block ×4, first 2 shown]
	s_waitcnt lgkmcnt(0)
	s_barrier
	ds_read_b64 v[22:23], v74 offset:24576
	ds_read2_b64 v[18:21], v75 offset1:16
	ds_read_b64 v[26:27], v77 offset:3072
	ds_read_b64 v[28:29], v75 offset:3072
	;; [unrolled: 1-line block ×3, first 2 shown]
	s_waitcnt lgkmcnt(3)
	v_mfma_f32_16x16x16_bf16 a[0:3], v[22:23], v[18:19], 0
	s_add_i32 s11, s47, 63
	s_ashr_i32 s14, s11, 31
	s_mul_i32 s15, s11, s27
	v_mfma_f32_16x16x16_bf16 a[4:7], v[22:23], v[20:21], 0
	ds_read2st64_b64 v[18:21], v75 offset0:2 offset1:4
	s_mul_hi_u32 s63, s11, s26
	s_add_i32 s15, s63, s15
	s_waitcnt lgkmcnt(0)
	v_mfma_f32_16x16x16_bf16 a[0:3], v[30:31], v[18:19], a[0:3]
	ds_read2st64_b64 v[22:25], v77 offset0:2 offset1:4
	ds_read_b64 v[18:19], v78 offset:24576
	s_mul_i32 s14, s14, s26
	s_add_i32 s15, s15, s14
	s_waitcnt lgkmcnt(1)
	v_mfma_f32_16x16x16_bf16 a[4:7], v[30:31], v[22:23], a[4:7]
	ds_read_b64 v[22:23], v79 offset:24576
	s_mul_i32 s14, s11, s26
	s_lshl_b64 s[14:15], s[14:15], 2
	s_waitcnt lgkmcnt(1)
	v_mfma_f32_16x16x16_bf16 a[0:3], v[18:19], v[20:21], a[0:3]
	s_add_u32 s14, s2, s14
	s_addc_u32 s15, s3, s15
	s_and_b64 vcc, exec, s[0:1]
	v_mfma_f32_16x16x16_bf16 a[4:7], v[18:19], v[24:25], a[4:7]
	v_mov_b32_e32 v103, 0
	v_mov_b32_e32 v102, 0
	;; [unrolled: 1-line block ×3, first 2 shown]
	s_waitcnt lgkmcnt(0)
	v_mfma_f32_16x16x16_bf16 a[0:3], v[22:23], v[28:29], a[0:3]
	v_mov_b32_e32 v18, 0
	v_mov_b32_e32 v19, 0
	;; [unrolled: 1-line block ×3, first 2 shown]
	v_mfma_f32_16x16x16_bf16 a[4:7], v[22:23], v[26:27], a[4:7]
	v_mov_b32_e32 v21, 0
	v_mov_b32_e32 v22, 0
	;; [unrolled: 1-line block ×13, first 2 shown]
	s_cbranch_vccnz .LBB486_12
; %bb.11:                               ;   in Loop: Header=BB486_6 Depth=1
	s_and_b32 s5, s5, 0xffff
	buffer_load_dwordx4 v[30:33], v13, s[4:7], 0 offen
	buffer_load_dwordx4 v[26:29], v13, s[4:7], s54 offen
	;; [unrolled: 1-line block ×4, first 2 shown]
	v_mov_b32_e32 v102, v64
	v_mov_b32_e32 v101, v65
.LBB486_12:                             ;   in Loop: Header=BB486_6 Depth=1
	ds_read_b64 v[38:39], v74 offset:32768
	ds_read2_b64 v[34:37], v80 offset1:16
	ds_read_b64 v[42:43], v76 offset:32768
	ds_read_b64 v[44:45], v78 offset:32768
	;; [unrolled: 1-line block ×3, first 2 shown]
	v_add_u32_e32 v48, s47, v91
	s_waitcnt lgkmcnt(3)
	v_mfma_f32_16x16x16_bf16 a[0:3], v[38:39], v[34:35], a[0:3]
	v_mul_lo_u32 v49, v48, s27
	v_mfma_f32_16x16x16_bf16 a[4:7], v[38:39], v[36:37], a[4:7]
	ds_read2st64_b64 v[34:37], v80 offset0:2 offset1:4
	ds_read2st64_b64 v[38:41], v81 offset0:2 offset1:4
	s_waitcnt lgkmcnt(1)
	v_mfma_f32_16x16x16_bf16 a[0:3], v[42:43], v[34:35], a[0:3]
	v_ashrrev_i32_e32 v34, 31, v48
	v_mul_lo_u32 v104, v34, s26
	v_mad_u64_u32 v[34:35], s[4:5], v48, s26, 0
	v_mfma_f32_16x16x16_bf16 a[0:3], v[44:45], v[36:37], a[0:3]
	v_add_u32_e32 v36, 1, v48
	v_ashrrev_i32_e32 v37, 31, v36
	v_add3_u32 v35, v35, v49, v104
	s_waitcnt lgkmcnt(0)
	v_mfma_f32_16x16x16_bf16 a[4:7], v[42:43], v[38:39], a[4:7]
	v_mul_lo_u32 v38, v37, s26
	v_mul_lo_u32 v39, v36, s27
	v_mad_u64_u32 v[36:37], s[4:5], v36, s26, 0
	v_add3_u32 v37, v37, v39, v38
	v_add_u32_e32 v38, 2, v48
	v_ashrrev_i32_e32 v39, 31, v38
	v_mul_lo_u32 v42, v39, s26
	v_mul_lo_u32 v43, v38, s27
	v_mad_u64_u32 v[38:39], s[4:5], v38, s26, 0
	v_add3_u32 v39, v39, v43, v42
	v_add_u32_e32 v42, 3, v48
	v_ashrrev_i32_e32 v43, 31, v42
	v_mul_lo_u32 v48, v43, s26
	v_mul_lo_u32 v49, v42, s27
	v_mad_u64_u32 v[42:43], s[4:5], v42, s26, 0
	v_add3_u32 v43, v43, v49, v48
	s_ashr_i32 s5, s47, 31
	v_lshl_add_u64 v[34:35], v[34:35], 2, s[2:3]
	v_lshl_add_u64 v[42:43], v[42:43], 2, s[2:3]
	s_add_u32 s4, s58, s47
	v_lshl_add_u64 v[36:37], v[36:37], 2, s[2:3]
	v_lshl_add_u64 v[38:39], v[38:39], 2, s[2:3]
	global_load_dword v48, v[34:35], off
	global_load_dword v49, v[36:37], off
	;; [unrolled: 1-line block ×3, first 2 shown]
	s_nop 0
	global_load_dword v42, v[42:43], off
	s_addc_u32 s5, s57, s5
	s_lshl_b64 s[4:5], s[4:5], 8
	v_lshl_add_u64 v[34:35], v[52:53], 0, s[4:5]
	v_lshl_add_u64 v[34:35], v[34:35], 0, v[50:51]
	global_load_ushort v43, v[34:35], off offset:256
	global_load_ushort v105, v[34:35], off
	global_load_ushort v106, v[34:35], off offset:768
	global_load_ushort v107, v[34:35], off offset:512
	ds_read_b64 v[36:37], v80 offset:3072
	ds_read_b64 v[38:39], v81 offset:3072
	global_load_ushort v108, v[34:35], off offset:800
	global_load_ushort v109, v[34:35], off offset:544
	global_load_ushort v110, v[34:35], off offset:288
	global_load_ushort v111, v[34:35], off offset:32
	s_load_dword s4, s[14:15], 0x0
	v_mfma_f32_16x16x16_bf16 a[4:7], v[44:45], v[40:41], a[4:7]
	s_and_b64 vcc, exec, s[0:1]
	s_waitcnt vmcnt(11) lgkmcnt(0)
	v_sub_f32_e32 v40, s4, v48
	v_mfma_f32_16x16x16_bf16 a[0:3], v[46:47], v[36:37], a[0:3]
	s_waitcnt vmcnt(10)
	v_sub_f32_e32 v45, s4, v49
	v_mul_f32_e32 v44, 0x3fb8aa3b, v40
	v_mul_f32_e32 v45, 0x3fb8aa3b, v45
	v_mfma_f32_16x16x16_bf16 a[4:7], v[46:47], v[38:39], a[4:7]
	s_waitcnt vmcnt(9)
	v_sub_f32_e32 v46, s4, v104
	s_waitcnt vmcnt(8)
	v_sub_f32_e32 v47, s4, v42
	v_mul_f32_e32 v46, 0x3fb8aa3b, v46
	v_mul_f32_e32 v47, 0x3fb8aa3b, v47
	v_exp_f32_e32 v44, v44
	v_exp_f32_e32 v45, v45
	;; [unrolled: 1-line block ×4, first 2 shown]
	v_accvgpr_read_b32 v39, a1
	v_accvgpr_read_b32 v35, a3
	;; [unrolled: 1-line block ×4, first 2 shown]
	s_waitcnt vmcnt(7)
	v_lshlrev_b32_e32 v41, 16, v43
	s_waitcnt vmcnt(6)
	v_lshlrev_b32_e32 v40, 16, v105
	;; [unrolled: 2-line block ×4, first 2 shown]
	v_pk_add_f32 v[38:39], v[40:41], v[38:39] neg_lo:[0,1] neg_hi:[0,1]
	v_pk_add_f32 v[34:35], v[42:43], v[34:35] neg_lo:[0,1] neg_hi:[0,1]
	v_pk_mul_f32 v[38:39], v[44:45], v[38:39]
	v_pk_mul_f32 v[34:35], v[46:47], v[34:35]
	v_accvgpr_read_b32 v41, a5
	v_perm_b32 v35, v35, v34, s45
	v_perm_b32 v34, v39, v38, s45
	s_waitcnt vmcnt(1)
	v_lshlrev_b32_e32 v39, 16, v110
	s_waitcnt vmcnt(0)
	v_lshlrev_b32_e32 v38, 16, v111
	v_accvgpr_read_b32 v40, a4
	v_accvgpr_read_b32 v37, a7
	;; [unrolled: 1-line block ×3, first 2 shown]
	v_pk_add_f32 v[38:39], v[38:39], v[40:41] neg_lo:[0,1] neg_hi:[0,1]
	v_lshlrev_b32_e32 v41, 16, v108
	v_lshlrev_b32_e32 v40, 16, v109
	v_pk_add_f32 v[36:37], v[40:41], v[36:37] neg_lo:[0,1] neg_hi:[0,1]
	v_pk_mul_f32 v[38:39], v[44:45], v[38:39]
	v_pk_mul_f32 v[36:37], v[46:47], v[36:37]
	v_mov_b32_e32 v104, 0
	v_perm_b32 v37, v37, v36, s45
	v_perm_b32 v36, v39, v38, s45
	ds_write2_b64 v67, v[34:35], v[36:37] offset1:16
	v_mov_b32_e32 v34, 0
	v_mov_b32_e32 v35, 0
	v_mov_b32_e32 v36, 0
	v_mov_b32_e32 v37, 0
	v_mov_b32_e32 v38, 0
	v_mov_b32_e32 v39, 0
	v_mov_b32_e32 v40, 0
	v_mov_b32_e32 v41, 0
	v_mov_b32_e32 v42, 0
	v_mov_b32_e32 v43, 0
	v_mov_b32_e32 v44, 0
	v_mov_b32_e32 v45, 0
	v_mov_b32_e32 v46, 0
	v_mov_b32_e32 v47, 0
	v_mov_b32_e32 v48, 0
	v_mov_b32_e32 v49, 0
	s_cbranch_vccnz .LBB486_14
; %bb.13:                               ;   in Loop: Header=BB486_6 Depth=1
	s_and_b32 s9, s9, 0xffff
	s_mov_b32 s11, s7
	buffer_load_dwordx4 v[46:49], v89, s[8:11], 0 offen
	buffer_load_dwordx4 v[38:41], v89, s[8:11], s54 offen
	;; [unrolled: 1-line block ×4, first 2 shown]
	v_mov_b32_e32 v103, v9
	v_mov_b32_e32 v104, v5
.LBB486_14:                             ;   in Loop: Header=BB486_6 Depth=1
	s_waitcnt lgkmcnt(0)
	s_barrier
	ds_read_b64 v[110:111], v92
	ds_read_b64 v[118:119], v85
	;; [unrolled: 1-line block ×5, first 2 shown]
	ds_read_b64 v[124:125], v86 offset:16384
	ds_read_b64 v[126:127], v84 offset:16384
	ds_read2_b64 v[106:109], v80 offset0:16 offset1:128
	s_waitcnt lgkmcnt(6)
	v_mfma_f32_16x16x16_bf16 a[0:3], v[110:111], v[118:119], 0
	ds_read_b64 v[128:129], v81 offset:3072
	ds_read_b64 v[130:131], v88 offset:16384
	s_add_i32 s5, s55, s61
	s_waitcnt lgkmcnt(2)
	v_mfma_f32_16x16x16_bf16 a[4:7], v[110:111], v[106:107], 0
	ds_read2st64_b64 v[110:113], v81 offset0:2 offset1:4
	s_mul_hi_i32 s9, s5, s33
	s_mul_i32 s5, s5, s33
	v_mfma_f32_16x16x16_bf16 a[0:3], v[114:115], v[108:109], a[0:3]
	s_add_u32 s8, s5, s49
	s_addc_u32 s9, s9, s36
	s_lshl_b64 s[8:9], s[8:9], 15
	s_waitcnt lgkmcnt(0)
	v_mfma_f32_16x16x16_bf16 a[4:7], v[114:115], v[110:111], a[4:7]
	ds_read2st64_b64 v[114:117], v80 offset0:4 offset1:6
	s_waitcnt lgkmcnt(0)
	v_mfma_f32_16x16x16_bf16 a[0:3], v[120:121], v[114:115], a[0:3]
	v_mfma_f32_16x16x16_bf16 a[8:11], v[120:121], v[112:113], a[4:7]
	;; [unrolled: 1-line block ×5, first 2 shown]
	ds_read2st64_b64 v[118:121], v83 offset1:8
	v_mfma_f32_16x16x16_bf16 a[12:15], v[126:127], v[106:107], 0
	ds_read_b64 v[126:127], v87 offset:16384
	v_mfma_f32_16x16x16_bf16 a[8:11], v[124:125], v[108:109], a[8:11]
	ds_read2st64_b64 v[106:109], v82 offset1:8
	s_waitcnt lgkmcnt(0)
	v_mov_b32_e32 v122, v106
	v_mfma_f32_16x16x16_bf16 a[12:15], v[124:125], v[110:111], a[12:15]
	v_lshl_add_u64 v[110:111], v[54:55], 0, s[8:9]
	v_add_co_u32_e32 v106, vcc, s13, v110
	v_mfma_f32_16x16x16_bf16 a[8:11], v[126:127], v[114:115], a[8:11]
	v_mov_b32_e32 v123, v107
	v_addc_co_u32_e32 v107, vcc, 0, v111, vcc
	v_mfma_f32_16x16x16_bf16 a[12:15], v[126:127], v[112:113], a[12:15]
	v_mov_b32_e32 v124, v118
	v_mov_b32_e32 v125, v119
	;; [unrolled: 1-line block ×3, first 2 shown]
	v_mfma_f32_16x16x16_bf16 a[8:11], v[130:131], v[116:117], a[8:11]
	v_mov_b32_e32 v119, v109
	s_and_b64 vcc, exec, s[0:1]
	global_store_dwordx4 v[110:111], v[122:125], off
	v_mfma_f32_16x16x16_bf16 a[12:15], v[130:131], v[128:129], a[12:15]
	global_store_dwordx4 v[106:107], v[118:121], off
	s_cbranch_vccnz .LBB486_16
; %bb.15:                               ;   in Loop: Header=BB486_6 Depth=1
	v_lshrrev_b32_e32 v105, 3, v103
	v_and_b32_e32 v105, 6, v105
	v_xor_b32_e32 v104, v105, v104
	v_lshlrev_b32_e32 v104, 2, v104
	v_and_b32_e32 v103, 8, v103
	v_xor_b32_e32 v106, 0x440, v104
	v_cmp_eq_u32_e32 vcc, 0, v103
	s_barrier
	s_nop 0
	v_cndmask_b32_e32 v103, v106, v104, vcc
	v_lshl_or_b32 v103, v105, 10, v103
	s_waitcnt vmcnt(3)
	v_perm_b32 v104, v46, v42, s59
	s_waitcnt vmcnt(2)
	v_perm_b32 v105, v38, v34, s59
	ds_write2st64_b32 v103, v104, v105 offset0:32 offset1:64
	v_xor_b32_e32 v104, 8, v103
	v_perm_b32 v42, v46, v42, s60
	v_perm_b32 v34, v38, v34, s60
	v_add_u32_e32 v38, 0x80, v104
	ds_write2st64_b32 v38, v42, v34 offset0:32 offset1:64
	v_xor_b32_e32 v34, 16, v103
	v_perm_b32 v38, v47, v43, s59
	v_perm_b32 v42, v39, v35, s59
	ds_write2st64_b32 v34, v38, v42 offset0:33 offset1:65
	v_xor_b32_e32 v34, 24, v103
	v_perm_b32 v38, v47, v43, s60
	v_perm_b32 v35, v39, v35, s60
	v_add_u32_e32 v34, 0x80, v34
	ds_write2st64_b32 v34, v38, v35 offset0:33 offset1:65
	v_xor_b32_e32 v34, 32, v103
	v_perm_b32 v35, v48, v44, s59
	;; [unrolled: 9-line block ×3, first 2 shown]
	v_perm_b32 v36, v41, v37, s59
	ds_write2st64_b32 v34, v35, v36 offset0:35 offset1:67
	v_xor_b32_e32 v34, 56, v103
	v_perm_b32 v35, v49, v45, s60
	v_perm_b32 v36, v41, v37, s60
	v_add_u32_e32 v34, 0x80, v34
	ds_write2st64_b32 v34, v35, v36 offset0:35 offset1:67
	ds_write_b64 v102, v[30:31] offset:24576
	v_xor_b32_e32 v30, 8, v102
	ds_write_b64 v30, v[32:33] offset:24576
	ds_write_b64 v102, v[26:27] offset:32768
	;; [unrolled: 1-line block ×4, first 2 shown]
	v_xor_b32_e32 v22, 8, v101
	ds_write_b64 v22, v[24:25] offset:24576
	ds_write_b64 v101, v[18:19] offset:32768
	;; [unrolled: 1-line block ×3, first 2 shown]
.LBB486_16:                             ;   in Loop: Header=BB486_6 Depth=1
	v_mul_f32_e32 v18, s4, v96
	s_waitcnt vmcnt(2)
	v_exp_f32_e32 v34, v18
	v_accvgpr_read_b32 v33, a7
	v_accvgpr_read_b32 v25, a3
	;; [unrolled: 1-line block ×16, first 2 shown]
	s_add_i32 s47, s47, 64
	v_fma_f32 v2, v2, v34, v30
	v_fma_f32 v3, v3, v34, v31
	v_fma_f32 v4, v4, v34, v32
	v_fmac_f32_e32 v33, v98, v34
	v_fma_f32 v10, v10, v34, v22
	v_fma_f32 v11, v11, v34, v23
	v_fma_f32 v12, v12, v34, v24
	v_fmac_f32_e32 v25, v100, v34
	;; [unrolled: 4-line block ×3, first 2 shown]
	v_fma_f32 v14, v14, v34, v18
	v_fma_f32 v15, v15, v34, v19
	;; [unrolled: 1-line block ×3, first 2 shown]
	s_cmp_eq_u32 s53, s62
	v_fmac_f32_e32 v21, v99, v34
	s_cbranch_scc1 .LBB486_18
; %bb.17:                               ;   in Loop: Header=BB486_6 Depth=1
	s_mov_b32 s61, s62
	v_mov_b32_e32 v98, v33
	v_mov_b32_e32 v97, v29
	v_mov_b32_e32 v100, v25
	v_mov_b32_e32 v99, v21
	s_branch .LBB486_6
.LBB486_18:
	v_mov_b32_e32 v5, v33
	v_mov_b32_e32 v9, v29
	;; [unrolled: 1-line block ×4, first 2 shown]
.LBB486_19:
	s_lshl_b32 s2, s53, 6
	s_sub_i32 s54, s46, s2
	s_cmp_gt_i32 s54, 0
	v_or_b32_e32 v34, s44, v60
	s_cbranch_scc1 .LBB486_21
; %bb.20:
	s_ashr_i32 s9, s49, 31
	v_or_b32_e32 v18, s44, v60
	s_cbranch_execz .LBB486_22
	s_branch .LBB486_86
.LBB486_21:
                                        ; implicit-def: $vgpr18
                                        ; implicit-def: $sgpr8_sgpr9
.LBB486_22:
	s_add_i32 s8, s2, s40
	s_ashr_i32 s2, s8, 31
	s_cmpk_lg_i32 s31, 0x80
	s_cselect_b64 s[36:37], -1, 0
	s_and_b64 vcc, exec, s[36:37]
	s_cbranch_vccz .LBB486_24
; %bb.23:
	s_mul_i32 s1, s8, s30
	s_ashr_i32 s3, s56, 31
	s_mul_hi_i32 s0, s8, s30
	s_add_u32 s46, s1, s56
	s_addc_u32 s47, s0, s3
	s_cbranch_execz .LBB486_25
	s_branch .LBB486_26
.LBB486_24:
                                        ; implicit-def: $sgpr46_sgpr47
.LBB486_25:
	s_mul_i32 s1, s56, s28
	s_mul_hi_i32 s0, s56, s28
	s_add_u32 s46, s1, s8
	s_addc_u32 s47, s0, s2
.LBB486_26:
	s_add_i32 s3, s53, s55
	s_ashr_i32 s9, s49, 31
	s_add_u32 s0, s58, s8
	v_lshlrev_b32_e32 v22, 5, v1
	v_lshlrev_b32_e32 v40, 2, v60
	s_addc_u32 s1, s57, s2
	s_mov_b32 s2, 0x7060302
	v_or_b32_e32 v25, v22, v40
	v_xor_b32_e32 v23, v1, v40
	v_perm_b32 v19, v5, v4, s2
	v_perm_b32 v18, v3, v2, s2
	;; [unrolled: 1-line block ×4, first 2 shown]
	v_lshlrev_b32_e32 v25, 1, v25
	s_lshl_b64 s[10:11], s[0:1], 8
	v_xor_b32_e32 v24, v63, v40
	ds_write2st64_b64 v25, v[18:19], v[20:21] offset0:80 offset1:88
	v_lshlrev_b32_e32 v23, 1, v23
	v_lshlrev_b32_e32 v25, 8, v60
	s_add_u32 s0, s18, s10
	v_or_b32_e32 v26, v23, v25
	v_lshlrev_b32_e32 v24, 1, v24
	s_addc_u32 s1, s19, s11
	ds_write_b64 v26, v[18:19]
	v_or_b32_e32 v18, v24, v25
	v_or_b32_e32 v25, 16, v60
	s_mul_hi_i32 s4, s3, s29
	s_mul_i32 s3, s3, s29
	ds_write_b64 v18, v[20:21]
	v_perm_b32 v19, v13, v12, s2
	v_perm_b32 v18, v11, v10, s2
	;; [unrolled: 1-line block ×4, first 2 shown]
	v_lshlrev_b32_e32 v37, 2, v25
	s_add_u32 s2, s3, s49
	v_or_b32_e32 v22, v22, v37
	s_addc_u32 s3, s4, s9
	v_lshlrev_b32_e32 v22, 1, v22
	s_ashr_i32 s45, s44, 31
	s_lshl_b64 s[2:3], s[2:3], 15
	ds_write2st64_b64 v22, v[18:19], v[20:21] offset0:80 offset1:88
	v_lshlrev_b32_e32 v22, 8, v25
	s_add_u32 s4, s42, s2
	v_or_b32_e32 v23, v23, v22
	s_addc_u32 s5, s43, s3
	s_lshl_b64 s[2:3], s[44:45], 8
	ds_write_b64 v23, v[18:19]
	v_or_b32_e32 v18, v24, v22
	s_add_u32 s2, s4, s2
	ds_write_b64 v18, v[20:21]
	v_lshrrev_b32_e32 v18, 4, v0
	s_addc_u32 s3, s5, s3
	v_lshlrev_b32_e32 v19, 1, v60
	v_lshlrev_b32_e32 v26, 4, v60
	v_mov_b32_e32 v27, 0
	v_or_b32_e32 v20, 1, v19
	v_xor_b32_e32 v19, v18, v19
	v_lshl_add_u64 v[28:29], s[2:3], 0, v[26:27]
	v_lshlrev_b32_e32 v26, 8, v18
	v_xor_b32_e32 v22, v20, v18
	v_lshl_or_b32 v18, v19, 3, v26
	s_waitcnt lgkmcnt(0)
	s_barrier
	ds_read2st64_b64 v[18:21], v18 offset1:8
	v_lshl_or_b32 v22, v22, 3, v26
	ds_read2st64_b64 v[22:25], v22 offset1:8
	v_lshl_add_u64 v[30:31], v[28:29], 0, v[26:27]
	s_movk_i32 s2, 0x1000
	s_waitcnt lgkmcnt(1)
	v_mov_b32_e32 v26, v18
	v_add_co_u32_e32 v18, vcc, s2, v30
	s_cmp_lg_u32 s54, 64
	v_mov_b32_e32 v27, v19
	v_addc_co_u32_e32 v19, vcc, 0, v31, vcc
	s_cselect_b64 s[14:15], -1, 0
	v_lshl_or_b32 v35, v56, 3, v62
	s_waitcnt lgkmcnt(0)
	v_mov_b32_e32 v28, v22
	v_mov_b32_e32 v29, v23
	;; [unrolled: 1-line block ×4, first 2 shown]
	s_mov_b32 s4, 0
	v_or_b32_e32 v38, 32, v35
	v_and_b32_e32 v36, 56, v61
	s_and_b64 vcc, exec, s[14:15]
	global_store_dwordx4 v[30:31], v[26:29], off
	global_store_dwordx4 v[18:19], v[22:25], off
	s_cbranch_vccz .LBB486_32
; %bb.27:
	s_mov_b32 s6, s4
	s_mov_b32 s7, s4
	;; [unrolled: 1-line block ×3, first 2 shown]
	v_mov_b64_e32 v[24:25], s[6:7]
	v_mov_b64_e32 v[22:23], s[4:5]
	;; [unrolled: 1-line block ×3, first 2 shown]
	v_cmp_gt_i32_e32 vcc, s54, v35
	v_mov_b64_e32 v[20:21], v[24:25]
	s_and_saveexec_b64 s[2:3], vcc
	s_cbranch_execz .LBB486_29
; %bb.28:
	v_lshlrev_b32_e32 v18, 8, v35
	v_mov_b32_e32 v19, 0
	v_lshl_add_u64 v[20:21], s[0:1], 0, v[18:19]
	v_lshlrev_b32_e32 v18, 1, v36
	v_lshl_add_u64 v[26:27], v[20:21], 0, v[18:19]
	global_load_dwordx4 v[22:25], v[26:27], off
	global_load_dwordx4 v[18:21], v[26:27], off offset:128
.LBB486_29:
	s_or_b64 exec, exec, s[2:3]
	s_mov_b32 s6, s4
	s_mov_b32 s7, s4
	;; [unrolled: 1-line block ×3, first 2 shown]
	v_mov_b64_e32 v[32:33], s[6:7]
	v_mov_b64_e32 v[30:31], s[4:5]
	;; [unrolled: 1-line block ×3, first 2 shown]
	v_cmp_gt_i32_e32 vcc, s54, v38
	v_lshlrev_b32_e32 v39, 7, v38
	v_mov_b64_e32 v[28:29], v[32:33]
	s_and_saveexec_b64 s[2:3], vcc
	s_cbranch_execz .LBB486_31
; %bb.30:
	v_lshlrev_b32_e32 v26, 1, v39
	v_mov_b32_e32 v27, 0
	v_lshl_add_u64 v[28:29], s[0:1], 0, v[26:27]
	v_lshlrev_b32_e32 v26, 1, v36
	v_lshl_add_u64 v[42:43], v[28:29], 0, v[26:27]
	global_load_dwordx4 v[30:33], v[42:43], off
	global_load_dwordx4 v[26:29], v[42:43], off offset:128
.LBB486_31:
	s_or_b64 exec, exec, s[2:3]
	v_lshrrev_b32_e32 v41, 3, v36
	v_lshlrev_b32_e32 v42, 3, v35
	v_or_b32_e32 v41, v42, v41
	v_lshlrev_b32_e32 v41, 4, v41
	v_and_b32_e32 v42, 0x78, v42
	v_xor_b32_e32 v41, v41, v42
	s_branch .LBB486_34
.LBB486_32:
                                        ; implicit-def: $vgpr41
                                        ; implicit-def: $vgpr39
                                        ; implicit-def: $vgpr22_vgpr23_vgpr24_vgpr25
                                        ; implicit-def: $vgpr18_vgpr19_vgpr20_vgpr21
                                        ; implicit-def: $vgpr30_vgpr31_vgpr32_vgpr33
                                        ; implicit-def: $vgpr26_vgpr27_vgpr28_vgpr29
	s_cbranch_execz .LBB486_34
; %bb.33:
	s_waitcnt vmcnt(0)
	v_lshlrev_b32_e32 v18, 1, v36
	v_lshl_or_b32 v39, v35, 8, v18
	s_and_b32 s1, s1, 0xffff
	s_mov_b32 s3, 0x20000
	s_movk_i32 s2, 0x4000
	v_lshl_or_b32 v41, v38, 8, v18
	s_movk_i32 s4, 0x80
	buffer_load_dwordx4 v[22:25], v39, s[0:3], 0 offen
	buffer_load_dwordx4 v[18:21], v39, s[0:3], s4 offen
	;; [unrolled: 1-line block ×4, first 2 shown]
	v_lshrrev_b32_e32 v39, 3, v36
	v_lshlrev_b32_e32 v41, 3, v35
	v_or_b32_e32 v39, v41, v39
	v_lshlrev_b32_e32 v39, 4, v39
	v_and_b32_e32 v41, 0x78, v41
	v_xor_b32_e32 v41, v39, v41
	v_lshlrev_b32_e32 v39, 7, v38
.LBB486_34:
	s_lshl_b64 s[0:1], s[46:47], 8
	s_add_u32 s4, s16, s0
	s_movk_i32 s0, 0x1000
	v_and_or_b32 v38, v39, s0, v41
	s_waitcnt vmcnt(1)
	ds_write_b64 v41, v[22:23] offset:24576
	v_xor_b32_e32 v22, 8, v41
	ds_write_b64 v22, v[24:25] offset:24576
	s_waitcnt vmcnt(0)
	ds_write_b64 v41, v[18:19] offset:32768
	ds_write_b64 v22, v[20:21] offset:32768
	;; [unrolled: 1-line block ×3, first 2 shown]
	v_xor_b32_e32 v18, 8, v38
	ds_write_b64 v18, v[32:33] offset:24576
	ds_write_b64 v38, v[26:27] offset:32768
	;; [unrolled: 1-line block ×3, first 2 shown]
	v_or_b32_e32 v18, v57, v60
	v_lshlrev_b32_e32 v18, 3, v18
	v_lshrrev_b32_e32 v19, 5, v58
	s_movk_i32 s7, 0xf8
	v_and_or_b32 v19, v18, s7, v19
	v_lshlrev_b32_e32 v23, 4, v19
	v_lshlrev_b32_e32 v41, 11, v56
	v_and_b32_e32 v24, 0x78, v18
	v_or_b32_e32 v26, 32, v23
	v_and_b32_e32 v22, 0x1000, v41
	v_lshrrev_b32_e32 v19, 1, v58
	v_xor_b32_e32 v26, v26, v24
	v_xor_b32_e32 v18, v23, v24
	v_and_b32_e32 v25, 8, v19
	v_or_b32_e32 v26, v26, v22
	v_or_b32_e32 v18, v18, v22
	v_xor_b32_e32 v45, v26, v25
	v_or_b32_e32 v26, 64, v23
	v_xor_b32_e32 v44, v18, v25
	v_xor_b32_e32 v26, v26, v24
	s_waitcnt lgkmcnt(0)
	s_barrier
	v_or_b32_e32 v28, v26, v22
	ds_read_b64 v[26:27], v44 offset:24576
	v_lshl_or_b32 v38, v59, 7, v40
	v_lshlrev_b32_e32 v42, 1, v38
	v_add_u32_e32 v18, 0xa000, v42
	ds_read2_b64 v[18:21], v18 offset1:16
	v_or_b32_e32 v23, 0x60, v23
	v_xor_b32_e32 v23, v23, v24
	s_waitcnt lgkmcnt(0)
	v_mfma_f32_16x16x16_bf16 a[0:3], v[26:27], v[18:19], 0
	v_or_b32_e32 v18, 64, v38
	v_or_b32_e32 v22, v23, v22
	v_lshlrev_b32_e32 v43, 1, v18
	v_xor_b32_e32 v46, v28, v25
	v_xor_b32_e32 v47, v22, v25
	ds_read_b64 v[28:29], v45 offset:24576
	ds_read_b64 v[30:31], v46 offset:24576
	;; [unrolled: 1-line block ×3, first 2 shown]
	v_mfma_f32_16x16x16_bf16 a[4:7], v[26:27], v[20:21], 0
	ds_read2st64_b64 v[18:21], v43 offset0:82 offset1:84
	ds_read2st64_b64 v[22:25], v42 offset0:82 offset1:84
	s_addc_u32 s5, s17, s1
	s_add_i32 s2, s41, -1
	s_add_i32 s0, s51, s50
	s_add_i32 s13, s0, s52
	s_mul_i32 s0, s49, s39
	s_mul_hi_u32 s1, s49, s38
	s_ashr_i32 s3, s2, 31
	s_mul_i32 s6, s2, s27
	s_mul_hi_u32 s7, s2, s26
	s_add_i32 s0, s1, s0
	s_mul_i32 s1, s9, s38
	s_add_i32 s6, s7, s6
	s_mul_i32 s3, s3, s26
	s_waitcnt lgkmcnt(1)
	v_mfma_f32_16x16x16_bf16 a[4:7], v[28:29], v[18:19], a[4:7]
	s_add_i32 s1, s0, s1
	s_add_i32 s3, s6, s3
	s_lshl_b64 s[6:7], s[12:13], 2
	s_waitcnt lgkmcnt(0)
	v_mfma_f32_16x16x16_bf16 a[0:3], v[28:29], v[22:23], a[0:3]
	s_mul_i32 s0, s49, s38
	s_add_u32 s6, s22, s6
	s_addc_u32 s7, s23, s7
	s_lshl_b64 s[0:1], s[0:1], 2
	s_mul_i32 s2, s2, s26
	s_add_u32 s12, s6, s0
	ds_read_b64 v[18:19], v42 offset:44032
	v_mfma_f32_16x16x16_bf16 a[4:7], v[30:31], v[20:21], a[4:7]
	ds_read_b64 v[20:21], v43 offset:44032
	s_addc_u32 s13, s7, s1
	s_lshl_b64 s[0:1], s[2:3], 2
	v_mfma_f32_16x16x16_bf16 a[0:3], v[30:31], v[24:25], a[0:3]
	s_add_u32 s0, s12, s0
	s_addc_u32 s1, s13, s1
	s_load_dword s16, s[0:1], 0x0
	s_waitcnt lgkmcnt(0)
	v_mfma_f32_16x16x16_bf16 a[0:3], v[32:33], v[18:19], a[0:3]
	s_and_b64 vcc, exec, s[36:37]
	v_mfma_f32_16x16x16_bf16 a[4:7], v[32:33], v[20:21], a[4:7]
	s_cbranch_vccz .LBB486_45
; %bb.35:
	v_lshlrev_b32_e32 v38, 1, v35
	s_and_b64 vcc, exec, s[14:15]
	s_cbranch_vccz .LBB486_46
; %bb.36:
	v_cmp_gt_i32_e32 vcc, s54, v38
	v_mov_b32_e32 v22, 0
	v_mov_b32_e32 v18, 0
	;; [unrolled: 1-line block ×5, first 2 shown]
	s_and_saveexec_b64 s[0:1], vcc
	s_cbranch_execz .LBB486_38
; %bb.37:
	v_mad_i64_i32 v[18:19], s[2:3], s31, v38, 0
	v_lshl_add_u64 v[18:19], v[18:19], 1, s[4:5]
	v_lshlrev_b32_e32 v20, 1, v36
	v_mov_b32_e32 v21, 0
	v_lshl_add_u64 v[18:19], v[18:19], 0, v[20:21]
	global_load_dwordx4 v[18:21], v[18:19], off
.LBB486_38:
	s_or_b64 exec, exec, s[0:1]
	v_or_b32_e32 v39, 1, v38
	v_cmp_gt_i32_e64 s[0:1], s54, v39
	v_mov_b32_e32 v23, 0
	v_mov_b32_e32 v24, 0
	;; [unrolled: 1-line block ×3, first 2 shown]
	s_and_saveexec_b64 s[2:3], s[0:1]
	s_cbranch_execz .LBB486_40
; %bb.39:
	v_mad_i64_i32 v[22:23], s[6:7], s31, v39, 0
	v_lshl_add_u64 v[22:23], v[22:23], 1, s[4:5]
	v_lshlrev_b32_e32 v24, 1, v36
	v_mov_b32_e32 v25, 0
	v_lshl_add_u64 v[22:23], v[22:23], 0, v[24:25]
	global_load_dwordx4 v[22:25], v[22:23], off
.LBB486_40:
	s_or_b64 exec, exec, s[2:3]
	v_mov_b32_e32 v33, 0
	v_mov_b32_e32 v26, 0
	;; [unrolled: 1-line block ×5, first 2 shown]
	s_and_saveexec_b64 s[2:3], vcc
	s_cbranch_execz .LBB486_42
; %bb.41:
	v_mad_i64_i32 v[26:27], s[6:7], s31, v38, 0
	v_lshl_add_u64 v[26:27], v[26:27], 1, s[4:5]
	v_lshlrev_b32_e32 v28, 1, v36
	v_mov_b32_e32 v29, 0
	v_lshl_add_u64 v[26:27], v[26:27], 0, v[28:29]
	global_load_dwordx4 v[26:29], v[26:27], off offset:128
.LBB486_42:
	s_or_b64 exec, exec, s[2:3]
	v_mov_b32_e32 v32, 0
	v_mov_b32_e32 v31, 0
	;; [unrolled: 1-line block ×3, first 2 shown]
	s_and_saveexec_b64 s[2:3], s[0:1]
	s_cbranch_execz .LBB486_44
; %bb.43:
	v_mad_i64_i32 v[30:31], s[0:1], s31, v39, 0
	v_lshl_add_u64 v[30:31], v[30:31], 1, s[4:5]
	v_lshlrev_b32_e32 v32, 1, v36
	v_mov_b32_e32 v33, 0
	v_lshl_add_u64 v[30:31], v[30:31], 0, v[32:33]
	global_load_dwordx4 v[30:33], v[30:31], off offset:128
.LBB486_44:
	s_or_b64 exec, exec, s[2:3]
	s_branch .LBB486_48
.LBB486_45:
                                        ; implicit-def: $vgpr21
                                        ; implicit-def: $vgpr25
                                        ; implicit-def: $vgpr29
                                        ; implicit-def: $vgpr33
	v_lshrrev_b32_e32 v48, 2, v58
	s_branch .LBB486_49
.LBB486_46:
                                        ; implicit-def: $vgpr21
                                        ; implicit-def: $vgpr25
                                        ; implicit-def: $vgpr29
                                        ; implicit-def: $vgpr33
	s_cbranch_execz .LBB486_48
; %bb.47:
	s_waitcnt vmcnt(0)
	v_mad_u64_u32 v[18:19], s[0:1], v38, s31, v[36:37]
	v_lshlrev_b32_e32 v38, 1, v18
	s_lshl_b32 s2, s31, 7
	s_and_b32 s1, s5, 0xffff
	s_mov_b32 s3, 0x20000
	s_mov_b32 s0, s4
	v_add_lshl_u32 v39, v18, s31, 1
	s_movk_i32 s6, 0x80
	buffer_load_dwordx4 v[18:21], v38, s[0:3], 0 offen
	buffer_load_dwordx4 v[26:29], v38, s[0:3], s6 offen
	;; [unrolled: 1-line block ×4, first 2 shown]
.LBB486_48:
	v_lshrrev_b32_e32 v48, 2, v58
	s_cbranch_execnz .LBB486_61
.LBB486_49:
	s_and_b64 vcc, exec, s[14:15]
	s_cbranch_vccz .LBB486_59
; %bb.50:
	s_waitcnt vmcnt(0)
	v_lshlrev_b32_e32 v23, 1, v35
	v_cmp_gt_i32_e32 vcc, s54, v23
	v_mov_b32_e32 v22, 0
	v_lshlrev_b32_e32 v30, 9, v35
	v_mov_b32_e32 v18, 0
	v_mov_b32_e32 v19, 0
	;; [unrolled: 1-line block ×4, first 2 shown]
	s_and_saveexec_b64 s[0:1], vcc
	s_cbranch_execz .LBB486_52
; %bb.51:
	v_mov_b32_e32 v31, 0
	v_lshl_add_u64 v[18:19], s[4:5], 0, v[30:31]
	v_lshlrev_b32_e32 v20, 1, v36
	v_mov_b32_e32 v21, v31
	v_lshl_add_u64 v[18:19], v[18:19], 0, v[20:21]
	global_load_dwordx4 v[18:21], v[18:19], off
.LBB486_52:
	s_or_b64 exec, exec, s[0:1]
	v_or_b32_e32 v23, 1, v23
	v_cmp_gt_i32_e64 s[0:1], s54, v23
	v_lshlrev_b32_e32 v38, 8, v23
	v_mov_b32_e32 v23, 0
	v_mov_b32_e32 v24, 0
	;; [unrolled: 1-line block ×3, first 2 shown]
	s_and_saveexec_b64 s[2:3], s[0:1]
	s_cbranch_execz .LBB486_54
; %bb.53:
	v_mov_b32_e32 v39, 0
	v_lshl_add_u64 v[22:23], s[4:5], 0, v[38:39]
	v_lshlrev_b32_e32 v24, 1, v36
	v_mov_b32_e32 v25, v39
	v_lshl_add_u64 v[22:23], v[22:23], 0, v[24:25]
	global_load_dwordx4 v[22:25], v[22:23], off
.LBB486_54:
	s_or_b64 exec, exec, s[2:3]
	v_mov_b32_e32 v33, 0
	v_mov_b32_e32 v26, 0
	v_mov_b32_e32 v27, 0
	v_mov_b32_e32 v28, 0
	v_mov_b32_e32 v29, 0
	s_and_saveexec_b64 s[2:3], vcc
	s_cbranch_execz .LBB486_56
; %bb.55:
	v_mov_b32_e32 v31, 0
	v_lshl_add_u64 v[26:27], s[4:5], 0, v[30:31]
	v_lshlrev_b32_e32 v30, 1, v36
	v_lshl_add_u64 v[26:27], v[26:27], 0, v[30:31]
	global_load_dwordx4 v[26:29], v[26:27], off offset:128
.LBB486_56:
	s_or_b64 exec, exec, s[2:3]
	v_mov_b32_e32 v32, 0
	v_mov_b32_e32 v31, 0
	;; [unrolled: 1-line block ×3, first 2 shown]
	s_and_saveexec_b64 s[2:3], s[0:1]
	s_cbranch_execz .LBB486_58
; %bb.57:
	v_mov_b32_e32 v39, 0
	v_lshl_add_u64 v[30:31], s[4:5], 0, v[38:39]
	v_lshlrev_b32_e32 v38, 1, v36
	v_lshl_add_u64 v[30:31], v[30:31], 0, v[38:39]
	global_load_dwordx4 v[30:33], v[30:31], off offset:128
.LBB486_58:
	s_or_b64 exec, exec, s[2:3]
	s_branch .LBB486_61
.LBB486_59:
                                        ; implicit-def: $vgpr21
                                        ; implicit-def: $vgpr25
                                        ; implicit-def: $vgpr29
                                        ; implicit-def: $vgpr33
	s_cbranch_execz .LBB486_61
; %bb.60:
	s_waitcnt vmcnt(0)
	v_lshlrev_b32_e32 v18, 1, v36
	v_lshl_or_b32 v36, v35, 9, v18
	s_and_b32 s5, s5, 0xffff
	s_mov_b32 s7, 0x20000
	s_movk_i32 s6, 0x4000
	s_movk_i32 s0, 0x80
	buffer_load_dwordx4 v[18:21], v36, s[4:7], 0 offen
	buffer_load_dwordx4 v[22:25], v36, s[4:7], 0 offen offset:256
	buffer_load_dwordx4 v[26:29], v36, s[4:7], s0 offen
	buffer_load_dwordx4 v[30:33], v36, s[4:7], s0 offen offset:256
.LBB486_61:
	ds_read_b64 v[38:39], v44 offset:32768
	v_add_u32_e32 v36, 0xb000, v42
	ds_read2_b64 v[50:53], v36 offset1:16
	ds_read_b64 v[54:55], v45 offset:32768
	ds_read_b64 v[58:59], v46 offset:32768
	;; [unrolled: 1-line block ×3, first 2 shown]
	v_and_b32_e32 v36, 6, v0
	v_xor_b32_e32 v35, v35, v36
	v_lshlrev_b32_e32 v35, 2, v35
	v_and_b32_e32 v49, 1, v0
	v_cmp_eq_u32_e32 vcc, 0, v49
	s_mov_b32 s0, 0x1000504
	s_waitcnt lgkmcnt(3)
	v_mfma_f32_16x16x16_bf16 a[0:3], v[38:39], v[50:51], a[0:3]
	s_mov_b32 s1, 0x3020706
	v_mfma_f32_16x16x16_bf16 a[4:7], v[38:39], v[52:53], a[4:7]
	ds_read2st64_b64 v[44:47], v42 offset0:90 offset1:92
	ds_read2st64_b64 v[50:53], v43 offset0:90 offset1:92
	s_waitcnt lgkmcnt(1)
	v_mfma_f32_16x16x16_bf16 a[0:3], v[54:55], v[44:45], a[0:3]
	ds_read_b64 v[38:39], v42 offset:48128
	ds_read_b64 v[44:45], v43 offset:48128
	s_waitcnt lgkmcnt(2)
	v_mfma_f32_16x16x16_bf16 a[4:7], v[54:55], v[50:51], a[4:7]
	v_mfma_f32_16x16x16_bf16 a[0:3], v[58:59], v[46:47], a[0:3]
	v_xor_b32_e32 v46, 0x440, v35
	v_cndmask_b32_e32 v35, v46, v35, vcc
	v_lshl_or_b32 v35, v36, 10, v35
	v_mfma_f32_16x16x16_bf16 a[8:11], v[58:59], v[52:53], a[4:7]
	s_waitcnt vmcnt(0)
	v_perm_b32 v36, v18, v22, s0
	v_perm_b32 v18, v18, v22, s1
	;; [unrolled: 1-line block ×3, first 2 shown]
	s_waitcnt lgkmcnt(1)
	v_mfma_f32_16x16x16_bf16 a[4:7], v[60:61], v[38:39], a[0:3]
	v_perm_b32 v38, v26, v30, s0
	ds_write2st64_b32 v35, v36, v38 offset0:32 offset1:64
	v_xor_b32_e32 v36, 8, v35
	v_add_u32_e32 v26, 0x80, v36
	ds_write2st64_b32 v26, v18, v22 offset0:32 offset1:64
	v_xor_b32_e32 v18, 16, v35
	v_perm_b32 v22, v19, v23, s0
	v_perm_b32 v26, v27, v31, s0
	ds_write2st64_b32 v18, v22, v26 offset0:33 offset1:65
	v_xor_b32_e32 v18, 24, v35
	v_perm_b32 v19, v19, v23, s1
	v_perm_b32 v22, v27, v31, s1
	v_add_u32_e32 v18, 0x80, v18
	ds_write2st64_b32 v18, v19, v22 offset0:33 offset1:65
	v_xor_b32_e32 v18, 32, v35
	v_perm_b32 v19, v20, v24, s0
	v_perm_b32 v22, v28, v32, s0
	ds_write2st64_b32 v18, v19, v22 offset0:34 offset1:66
	v_xor_b32_e32 v18, 40, v35
	s_waitcnt lgkmcnt(5)
	v_mfma_f32_16x16x16_bf16 a[0:3], v[60:61], v[44:45], a[8:11]
	v_perm_b32 v19, v20, v24, s1
	v_perm_b32 v20, v28, v32, s1
	v_add_u32_e32 v18, 0x80, v18
	ds_write2st64_b32 v18, v19, v20 offset0:34 offset1:66
	v_xor_b32_e32 v18, 48, v35
	v_perm_b32 v19, v21, v25, s0
	v_perm_b32 v20, v29, v33, s0
	ds_write2st64_b32 v18, v19, v20 offset0:35 offset1:67
	v_xor_b32_e32 v18, 56, v35
	v_and_or_b32 v38, v48, 12, v57
	v_perm_b32 v19, v21, v25, s1
	v_perm_b32 v20, v29, v33, s1
	v_add_u32_e32 v18, 0x80, v18
	v_cmp_gt_i32_e32 vcc, s54, v38
	v_mov_b32_e32 v32, 0
	v_mov_b32_e32 v36, 0
	ds_write2st64_b32 v18, v19, v20 offset0:35 offset1:67
	s_and_saveexec_b64 s[0:1], vcc
	s_cbranch_execz .LBB486_63
; %bb.62:
	v_add_u32_e32 v18, s8, v38
	v_ashrrev_i32_e32 v19, 31, v18
	v_mul_lo_u32 v20, v19, s26
	v_mul_lo_u32 v21, v18, s27
	v_mad_u64_u32 v[18:19], s[2:3], v18, s26, 0
	v_add3_u32 v19, v19, v21, v20
	v_lshl_add_u64 v[18:19], v[18:19], 2, s[12:13]
	global_load_dword v18, v[18:19], off
	s_waitcnt vmcnt(0)
	v_sub_f32_e32 v18, s16, v18
	v_mul_f32_e32 v18, 0x3fb8aa3b, v18
	v_exp_f32_e32 v36, v18
.LBB486_63:
	s_or_b64 exec, exec, s[0:1]
	v_or_b32_e32 v26, 1, v38
	v_cmp_gt_i32_e64 s[0:1], s54, v26
	s_and_saveexec_b64 s[2:3], s[0:1]
	s_cbranch_execz .LBB486_65
; %bb.64:
	v_add_u32_e32 v18, s8, v26
	v_ashrrev_i32_e32 v19, 31, v18
	v_mul_lo_u32 v20, v19, s26
	v_mul_lo_u32 v21, v18, s27
	v_mad_u64_u32 v[18:19], s[4:5], v18, s26, 0
	v_add3_u32 v19, v19, v21, v20
	v_lshl_add_u64 v[18:19], v[18:19], 2, s[12:13]
	global_load_dword v18, v[18:19], off
	s_waitcnt vmcnt(0)
	v_sub_f32_e32 v18, s16, v18
	v_mul_f32_e32 v18, 0x3fb8aa3b, v18
	v_exp_f32_e32 v32, v18
.LBB486_65:
	s_or_b64 exec, exec, s[2:3]
	v_or_b32_e32 v27, 2, v38
	v_cmp_gt_i32_e64 s[2:3], s54, v27
	v_mov_b32_e32 v33, 0
	v_mov_b32_e32 v39, 0
	s_and_saveexec_b64 s[4:5], s[2:3]
	s_cbranch_execz .LBB486_67
; %bb.66:
	v_add_u32_e32 v18, s8, v27
	v_ashrrev_i32_e32 v19, 31, v18
	v_mul_lo_u32 v20, v19, s26
	v_mul_lo_u32 v21, v18, s27
	v_mad_u64_u32 v[18:19], s[6:7], v18, s26, 0
	v_add3_u32 v19, v19, v21, v20
	v_lshl_add_u64 v[18:19], v[18:19], 2, s[12:13]
	global_load_dword v18, v[18:19], off
	s_waitcnt vmcnt(0)
	v_sub_f32_e32 v18, s16, v18
	v_mul_f32_e32 v18, 0x3fb8aa3b, v18
	v_exp_f32_e32 v39, v18
.LBB486_67:
	s_or_b64 exec, exec, s[4:5]
	v_or_b32_e32 v44, 3, v38
	v_cmp_gt_i32_e64 s[4:5], s54, v44
	s_and_saveexec_b64 s[6:7], s[4:5]
	s_cbranch_execz .LBB486_69
; %bb.68:
	v_add_u32_e32 v18, s8, v44
	v_ashrrev_i32_e32 v19, 31, v18
	v_mul_lo_u32 v20, v19, s26
	v_mul_lo_u32 v21, v18, s27
	v_mad_u64_u32 v[18:19], s[14:15], v18, s26, 0
	v_add3_u32 v19, v19, v21, v20
	v_lshl_add_u64 v[18:19], v[18:19], 2, s[12:13]
	global_load_dword v18, v[18:19], off
	s_waitcnt vmcnt(0)
	v_sub_f32_e32 v18, s16, v18
	v_mul_f32_e32 v18, 0x3fb8aa3b, v18
	v_exp_f32_e32 v33, v18
.LBB486_69:
	s_or_b64 exec, exec, s[6:7]
	s_add_u32 s6, s20, s10
	v_accvgpr_read_b32 v21, a7
	s_addc_u32 s7, s21, s11
	v_ashrrev_i32_e32 v35, 31, v34
	v_accvgpr_read_b32 v20, a6
	v_accvgpr_read_b32 v19, a5
	;; [unrolled: 1-line block ×3, first 2 shown]
	v_lshl_add_u64 v[22:23], v[34:35], 1, s[6:7]
	v_mov_b32_e32 v29, 0
	v_lshlrev_b32_e32 v24, 8, v38
	v_mov_b32_e32 v25, 0
	s_and_saveexec_b64 s[6:7], vcc
	s_cbranch_execz .LBB486_71
; %bb.70:
	v_mov_b32_e32 v25, 0
	v_lshl_add_u64 v[30:31], v[22:23], 0, v[24:25]
	global_load_ushort v25, v[30:31], off
	s_waitcnt vmcnt(0)
	v_lshlrev_b32_e32 v25, 16, v25
	v_sub_f32_e32 v18, v25, v18
	v_mul_f32_e32 v18, v36, v18
	v_lshrrev_b32_e32 v25, 16, v18
.LBB486_71:
	s_or_b64 exec, exec, s[6:7]
	v_lshlrev_b32_e32 v28, 8, v26
	s_and_saveexec_b64 s[6:7], s[0:1]
	s_cbranch_execz .LBB486_73
; %bb.72:
	v_mov_b32_e32 v29, 0
	v_lshl_add_u64 v[30:31], v[22:23], 0, v[28:29]
	global_load_ushort v18, v[30:31], off
	s_waitcnt vmcnt(0)
	v_lshlrev_b32_e32 v18, 16, v18
	v_sub_f32_e32 v18, v18, v19
	v_mul_f32_e32 v18, v32, v18
	v_lshrrev_b32_e32 v29, 16, v18
.LBB486_73:
	s_or_b64 exec, exec, s[6:7]
	v_mov_b32_e32 v45, 0
	v_lshlrev_b32_e32 v30, 8, v27
	v_mov_b32_e32 v31, 0
	s_and_saveexec_b64 s[6:7], s[2:3]
	s_cbranch_execz .LBB486_75
; %bb.74:
	v_mov_b32_e32 v31, 0
	v_lshl_add_u64 v[18:19], v[22:23], 0, v[30:31]
	global_load_ushort v18, v[18:19], off
	s_waitcnt vmcnt(0)
	v_lshlrev_b32_e32 v18, 16, v18
	v_sub_f32_e32 v18, v18, v20
	v_mul_f32_e32 v18, v39, v18
	v_lshrrev_b32_e32 v31, 16, v18
.LBB486_75:
	s_or_b64 exec, exec, s[6:7]
	v_lshlrev_b32_e32 v26, 8, v44
	s_and_saveexec_b64 s[6:7], s[4:5]
	s_cbranch_execz .LBB486_77
; %bb.76:
	v_mov_b32_e32 v27, 0
	v_lshl_add_u64 v[18:19], v[22:23], 0, v[26:27]
	global_load_ushort v18, v[18:19], off
	s_waitcnt vmcnt(0)
	v_lshlrev_b32_e32 v18, 16, v18
	v_sub_f32_e32 v18, v18, v21
	v_mul_f32_e32 v18, v33, v18
	v_lshrrev_b32_e32 v45, 16, v18
.LBB486_77:
	s_or_b64 exec, exec, s[6:7]
	v_lshlrev_b32_e32 v35, 5, v38
	s_mov_b32 s6, 0x5040100
	v_perm_b32 v44, v29, v25, s6
	v_or_b32_e32 v25, v35, v40
	v_accvgpr_read_b32 v21, a3
	v_perm_b32 v45, v45, v31, s6
	v_lshlrev_b32_e32 v25, 1, v25
	v_accvgpr_read_b32 v20, a2
	v_accvgpr_read_b32 v19, a1
	;; [unrolled: 1-line block ×3, first 2 shown]
	ds_write_b64 v25, v[44:45] offset:45056
	v_mov_b32_e32 v29, 0
	v_mov_b32_e32 v25, 0
	s_and_saveexec_b64 s[6:7], vcc
	s_cbranch_execz .LBB486_79
; %bb.78:
	v_mov_b32_e32 v25, 0
	v_lshl_add_u64 v[24:25], v[22:23], 0, v[24:25]
	global_load_ushort v24, v[24:25], off offset:32
	s_waitcnt vmcnt(0)
	v_lshlrev_b32_e32 v24, 16, v24
	v_sub_f32_e32 v18, v24, v18
	v_mul_f32_e32 v18, v36, v18
	v_lshrrev_b32_e32 v25, 16, v18
.LBB486_79:
	s_or_b64 exec, exec, s[6:7]
	s_and_saveexec_b64 s[6:7], s[0:1]
	s_cbranch_execz .LBB486_81
; %bb.80:
	v_mov_b32_e32 v29, 0
	v_lshl_add_u64 v[28:29], v[22:23], 0, v[28:29]
	global_load_ushort v18, v[28:29], off offset:32
	s_waitcnt vmcnt(0)
	v_lshlrev_b32_e32 v18, 16, v18
	v_sub_f32_e32 v18, v18, v19
	v_mul_f32_e32 v18, v32, v18
	v_lshrrev_b32_e32 v29, 16, v18
.LBB486_81:
	s_or_b64 exec, exec, s[6:7]
	v_mov_b32_e32 v24, 0
	v_mov_b32_e32 v28, 0
	s_and_saveexec_b64 s[0:1], s[2:3]
	s_cbranch_execz .LBB486_83
; %bb.82:
	v_mov_b32_e32 v31, 0
	v_lshl_add_u64 v[18:19], v[22:23], 0, v[30:31]
	global_load_ushort v18, v[18:19], off offset:32
	s_waitcnt vmcnt(0)
	v_lshlrev_b32_e32 v18, 16, v18
	v_sub_f32_e32 v18, v18, v20
	v_mul_f32_e32 v18, v39, v18
	v_lshrrev_b32_e32 v28, 16, v18
.LBB486_83:
	s_or_b64 exec, exec, s[0:1]
	v_or_b32_e32 v19, 0xb000, v42
	v_or_b32_e32 v18, 0xb000, v43
	s_and_saveexec_b64 s[0:1], s[4:5]
	s_cbranch_execz .LBB486_85
; %bb.84:
	v_mov_b32_e32 v27, 0
	v_lshl_add_u64 v[22:23], v[22:23], 0, v[26:27]
	global_load_ushort v20, v[22:23], off offset:32
	s_waitcnt vmcnt(0)
	v_lshlrev_b32_e32 v20, 16, v20
	v_sub_f32_e32 v20, v20, v21
	v_mul_f32_e32 v20, v33, v20
	v_lshrrev_b32_e32 v24, 16, v20
.LBB486_85:
	s_or_b64 exec, exec, s[0:1]
	s_mov_b32 s0, 0x5040100
	v_or_b32_e32 v22, v35, v37
	v_perm_b32 v21, v24, v28, s0
	v_perm_b32 v20, v29, v25, s0
	v_lshlrev_b32_e32 v22, 1, v22
	s_movk_i32 s0, 0x100
	ds_write_b64 v22, v[20:21] offset:45056
	v_and_b32_e32 v20, 7, v0
	v_and_b32_e32 v21, 8, v0
	v_cmp_gt_u32_e32 vcc, s0, v0
	v_lshrrev_b32_e32 v0, 1, v0
	v_lshlrev_b32_e32 v35, 3, v20
	v_lshlrev_b32_e32 v36, 7, v20
	v_mov_b32_e32 v20, 0x4000
	v_mov_b32_e32 v22, 0x2000
	v_lshlrev_b32_e32 v38, 3, v56
	v_and_b32_e32 v0, 24, v0
	v_cndmask_b32_e32 v37, v20, v22, vcc
	v_xor_b32_e32 v20, v38, v0
	v_or_b32_e32 v26, 32, v0
	v_or_b32_e32 v22, 0x440, v20
	v_cmp_eq_u32_e32 vcc, 0, v21
	v_xor_b32_e32 v26, v38, v26
	v_or_b32_e32 v27, 0x440, v26
	v_cndmask_b32_e32 v20, v22, v20, vcc
	v_or_b32_e32 v20, v20, v41
	v_cndmask_b32_e32 v26, v27, v26, vcc
	v_xad_u32 v40, v20, v35, v36
	v_or_b32_e32 v26, v26, v41
	v_add_u32_e32 v20, v37, v40
	v_xad_u32 v42, v26, v35, v36
	s_waitcnt lgkmcnt(0)
	s_barrier
	ds_read_b64 v[24:25], v20
	ds_read2_b64 v[20:23], v19 offset1:16
	v_add_u32_e32 v26, v37, v42
	ds_read_b64 v[32:33], v26
	s_waitcnt lgkmcnt(1)
	v_mfma_f32_16x16x16_bf16 a[0:3], v[24:25], v[20:21], 0
	ds_read2st64_b64 v[28:31], v18 offset0:2 offset1:4
	v_mfma_f32_16x16x16_bf16 a[4:7], v[24:25], v[22:23], 0
	ds_read2st64_b64 v[24:27], v19 offset0:2 offset1:4
	s_waitcnt lgkmcnt(0)
	v_mfma_f32_16x16x16_bf16 a[0:3], v[32:33], v[24:25], a[0:3]
	v_mfma_f32_16x16x16_bf16 a[4:7], v[32:33], v[28:29], a[4:7]
	v_or_b32_e32 v32, 64, v0
	v_xor_b32_e32 v32, v38, v32
	v_xor_b32_e32 v33, 0x440, v32
	v_cndmask_b32_e32 v32, v33, v32, vcc
	v_or_b32_e32 v32, v32, v41
	v_or_b32_e32 v0, 0x60, v0
	v_xad_u32 v43, v32, v35, v36
	v_xor_b32_e32 v0, v38, v0
	v_add_u32_e32 v32, v37, v43
	v_xor_b32_e32 v38, 0x440, v0
	ds_read_b64 v[32:33], v32
	v_cndmask_b32_e32 v0, v38, v0, vcc
	v_or_b32_e32 v0, v0, v41
	v_xad_u32 v0, v0, v35, v36
	v_add_u32_e32 v35, v37, v0
	ds_read_b64 v[36:37], v35
	s_waitcnt lgkmcnt(1)
	v_mfma_f32_16x16x16_bf16 a[0:3], v[32:33], v[26:27], a[0:3]
	v_mov_b32_e32 v35, 0x3fb8aa3b
	v_mfma_f32_16x16x16_bf16 a[4:7], v[32:33], v[30:31], a[4:7]
	ds_read_b64 v[32:33], v19 offset:3072
	ds_read_b64 v[38:39], v18 offset:3072
	;; [unrolled: 1-line block ×3, first 2 shown]
	s_waitcnt lgkmcnt(2)
	v_mfma_f32_16x16x16_bf16 a[0:3], v[36:37], v[32:33], a[0:3]
	s_waitcnt lgkmcnt(1)
	v_mfma_f32_16x16x16_bf16 a[4:7], v[36:37], v[38:39], a[4:7]
	ds_read_b64 v[36:37], v42 offset:16384
	s_waitcnt lgkmcnt(1)
	v_mfma_f32_16x16x16_bf16 a[8:11], v[18:19], v[20:21], 0
	v_mul_f32_e32 v20, s16, v35
	v_exp_f32_e32 v35, v20
	v_accvgpr_read_b32 v21, a3
	v_mfma_f32_16x16x16_bf16 a[12:15], v[18:19], v[22:23], 0
	ds_read_b64 v[22:23], v43 offset:16384
	v_accvgpr_read_b32 v18, a0
	v_fma_f32 v18, v2, v35, v18
	v_accvgpr_read_b32 v2, a1
	v_fma_f32 v19, v3, v35, v2
	;; [unrolled: 2-line block ×3, first 2 shown]
	ds_read_b64 v[2:3], v0 offset:16384
	s_waitcnt lgkmcnt(2)
	v_mfma_f32_16x16x16_bf16 a[8:11], v[36:37], v[24:25], a[8:11]
	v_accvgpr_read_b32 v0, a4
	v_fmac_f32_e32 v21, v5, v35
	v_mfma_f32_16x16x16_bf16 a[12:15], v[36:37], v[28:29], a[12:15]
	v_accvgpr_read_b32 v29, a7
	v_fmac_f32_e32 v29, v13, v35
	s_waitcnt lgkmcnt(1)
	v_mfma_f32_16x16x16_bf16 a[0:3], v[22:23], v[26:27], a[8:11]
	v_fma_f32 v26, v10, v35, v0
	v_accvgpr_read_b32 v0, a5
	v_fma_f32 v27, v11, v35, v0
	v_mfma_f32_16x16x16_bf16 a[8:11], v[22:23], v[30:31], a[12:15]
	v_accvgpr_read_b32 v0, a6
	v_fma_f32 v28, v12, v35, v0
	s_waitcnt lgkmcnt(0)
	v_mfma_f32_16x16x16_bf16 a[0:3], v[2:3], v[32:33], a[0:3]
	v_mfma_f32_16x16x16_bf16 a[4:7], v[2:3], v[38:39], a[8:11]
	s_nop 5
	v_accvgpr_read_b32 v0, a0
	v_fma_f32 v22, v6, v35, v0
	v_accvgpr_read_b32 v0, a1
	v_fma_f32 v23, v7, v35, v0
	;; [unrolled: 2-line block ×4, first 2 shown]
	v_accvgpr_read_b32 v0, a5
	v_accvgpr_read_b32 v25, a3
	v_fma_f32 v31, v15, v35, v0
	v_accvgpr_read_b32 v0, a6
	v_accvgpr_read_b32 v33, a7
	v_fmac_f32_e32 v25, v9, v35
	v_fma_f32 v32, v16, v35, v0
	v_fmac_f32_e32 v33, v17, v35
	v_mov_b64_e32 v[2:3], v[18:19]
	v_mov_b64_e32 v[4:5], v[20:21]
	;; [unrolled: 1-line block ×8, first 2 shown]
	v_mov_b32_e32 v18, v34
.LBB486_86:
	s_mul_i32 s0, s33, s35
	s_mul_hi_u32 s1, s33, s34
	s_add_i32 s0, s1, s0
	s_mul_i32 s1, s48, s34
	s_add_i32 s1, s0, s1
	s_mul_i32 s0, s33, s34
	s_add_u32 s0, s0, s49
	s_addc_u32 s1, s1, s9
	s_lshl_b64 s[0:1], s[0:1], 16
	s_add_u32 s0, s24, s0
	v_lshlrev_b32_e32 v18, 7, v18
	s_addc_u32 s1, s25, s1
	v_ashrrev_i32_e32 v19, 31, v18
	v_lshl_add_u64 v[20:21], v[18:19], 2, s[0:1]
	v_lshlrev_b32_e32 v0, 2, v1
	v_mov_b32_e32 v1, 0
	v_lshl_add_u64 v[20:21], v[20:21], 0, v[0:1]
	global_store_dwordx4 v[20:21], v[2:5], off
	global_store_dwordx4 v[20:21], v[6:9], off offset:256
	s_nop 0
	v_or_b32_e32 v2, 0x800, v18
	v_ashrrev_i32_e32 v3, 31, v2
	v_lshl_add_u64 v[2:3], v[2:3], 2, s[0:1]
	v_lshl_add_u64 v[0:1], v[2:3], 0, v[0:1]
	global_store_dwordx4 v[0:1], v[10:13], off
	global_store_dwordx4 v[0:1], v[14:17], off offset:256
	s_endpgm
	.section	.rodata,"a",@progbits
	.p2align	6, 0x0
	.amdhsa_kernel _ZN12_GLOBAL__N_139chunk_gated_delta_rule_fwd_h_hip_kernelILi32ELb0ELb1ELb0ELb1ELb0ELb0ELb1ELb0EEEvPK12hip_bfloat16S3_S3_PKfS5_PKvPS1_S8_PvPKiSB_iiiiilll
		.amdhsa_group_segment_fixed_size 49152
		.amdhsa_private_segment_fixed_size 0
		.amdhsa_kernarg_size 136
		.amdhsa_user_sgpr_count 2
		.amdhsa_user_sgpr_dispatch_ptr 0
		.amdhsa_user_sgpr_queue_ptr 0
		.amdhsa_user_sgpr_kernarg_segment_ptr 1
		.amdhsa_user_sgpr_dispatch_id 0
		.amdhsa_user_sgpr_kernarg_preload_length 0
		.amdhsa_user_sgpr_kernarg_preload_offset 0
		.amdhsa_user_sgpr_private_segment_size 0
		.amdhsa_uses_dynamic_stack 0
		.amdhsa_enable_private_segment 0
		.amdhsa_system_sgpr_workgroup_id_x 1
		.amdhsa_system_sgpr_workgroup_id_y 1
		.amdhsa_system_sgpr_workgroup_id_z 0
		.amdhsa_system_sgpr_workgroup_info 0
		.amdhsa_system_vgpr_workitem_id 0
		.amdhsa_next_free_vgpr 148
		.amdhsa_next_free_sgpr 64
		.amdhsa_accum_offset 132
		.amdhsa_reserve_vcc 1
		.amdhsa_float_round_mode_32 0
		.amdhsa_float_round_mode_16_64 0
		.amdhsa_float_denorm_mode_32 3
		.amdhsa_float_denorm_mode_16_64 3
		.amdhsa_dx10_clamp 1
		.amdhsa_ieee_mode 1
		.amdhsa_fp16_overflow 0
		.amdhsa_tg_split 0
		.amdhsa_exception_fp_ieee_invalid_op 0
		.amdhsa_exception_fp_denorm_src 0
		.amdhsa_exception_fp_ieee_div_zero 0
		.amdhsa_exception_fp_ieee_overflow 0
		.amdhsa_exception_fp_ieee_underflow 0
		.amdhsa_exception_fp_ieee_inexact 0
		.amdhsa_exception_int_div_zero 0
	.end_amdhsa_kernel
	.section	.text._ZN12_GLOBAL__N_139chunk_gated_delta_rule_fwd_h_hip_kernelILi32ELb0ELb1ELb0ELb1ELb0ELb0ELb1ELb0EEEvPK12hip_bfloat16S3_S3_PKfS5_PKvPS1_S8_PvPKiSB_iiiiilll,"axG",@progbits,_ZN12_GLOBAL__N_139chunk_gated_delta_rule_fwd_h_hip_kernelILi32ELb0ELb1ELb0ELb1ELb0ELb0ELb1ELb0EEEvPK12hip_bfloat16S3_S3_PKfS5_PKvPS1_S8_PvPKiSB_iiiiilll,comdat
.Lfunc_end486:
	.size	_ZN12_GLOBAL__N_139chunk_gated_delta_rule_fwd_h_hip_kernelILi32ELb0ELb1ELb0ELb1ELb0ELb0ELb1ELb0EEEvPK12hip_bfloat16S3_S3_PKfS5_PKvPS1_S8_PvPKiSB_iiiiilll, .Lfunc_end486-_ZN12_GLOBAL__N_139chunk_gated_delta_rule_fwd_h_hip_kernelILi32ELb0ELb1ELb0ELb1ELb0ELb0ELb1ELb0EEEvPK12hip_bfloat16S3_S3_PKfS5_PKvPS1_S8_PvPKiSB_iiiiilll
                                        ; -- End function
	.section	.AMDGPU.csdata,"",@progbits
; Kernel info:
; codeLenInByte = 9352
; NumSgprs: 70
; NumVgprs: 132
; NumAgprs: 16
; TotalNumVgprs: 148
; ScratchSize: 0
; MemoryBound: 0
; FloatMode: 240
; IeeeMode: 1
; LDSByteSize: 49152 bytes/workgroup (compile time only)
; SGPRBlocks: 8
; VGPRBlocks: 18
; NumSGPRsForWavesPerEU: 70
; NumVGPRsForWavesPerEU: 148
; AccumOffset: 132
; Occupancy: 1
; WaveLimiterHint : 1
; COMPUTE_PGM_RSRC2:SCRATCH_EN: 0
; COMPUTE_PGM_RSRC2:USER_SGPR: 2
; COMPUTE_PGM_RSRC2:TRAP_HANDLER: 0
; COMPUTE_PGM_RSRC2:TGID_X_EN: 1
; COMPUTE_PGM_RSRC2:TGID_Y_EN: 1
; COMPUTE_PGM_RSRC2:TGID_Z_EN: 0
; COMPUTE_PGM_RSRC2:TIDIG_COMP_CNT: 0
; COMPUTE_PGM_RSRC3_GFX90A:ACCUM_OFFSET: 32
; COMPUTE_PGM_RSRC3_GFX90A:TG_SPLIT: 0
	.section	.text._ZN12_GLOBAL__N_139chunk_gated_delta_rule_fwd_h_hip_kernelILi32ELb0ELb0ELb1ELb1ELb0ELb0ELb1ELb0EEEvPK12hip_bfloat16S3_S3_PKfS5_PKvPS1_S8_PvPKiSB_iiiiilll,"axG",@progbits,_ZN12_GLOBAL__N_139chunk_gated_delta_rule_fwd_h_hip_kernelILi32ELb0ELb0ELb1ELb1ELb0ELb0ELb1ELb0EEEvPK12hip_bfloat16S3_S3_PKfS5_PKvPS1_S8_PvPKiSB_iiiiilll,comdat
	.globl	_ZN12_GLOBAL__N_139chunk_gated_delta_rule_fwd_h_hip_kernelILi32ELb0ELb0ELb1ELb1ELb0ELb0ELb1ELb0EEEvPK12hip_bfloat16S3_S3_PKfS5_PKvPS1_S8_PvPKiSB_iiiiilll ; -- Begin function _ZN12_GLOBAL__N_139chunk_gated_delta_rule_fwd_h_hip_kernelILi32ELb0ELb0ELb1ELb1ELb0ELb0ELb1ELb0EEEvPK12hip_bfloat16S3_S3_PKfS5_PKvPS1_S8_PvPKiSB_iiiiilll
	.p2align	8
	.type	_ZN12_GLOBAL__N_139chunk_gated_delta_rule_fwd_h_hip_kernelILi32ELb0ELb0ELb1ELb1ELb0ELb0ELb1ELb0EEEvPK12hip_bfloat16S3_S3_PKfS5_PKvPS1_S8_PvPKiSB_iiiiilll,@function
_ZN12_GLOBAL__N_139chunk_gated_delta_rule_fwd_h_hip_kernelILi32ELb0ELb0ELb1ELb1ELb0ELb0ELb1ELb0EEEvPK12hip_bfloat16S3_S3_PKfS5_PKvPS1_S8_PvPKiSB_iiiiilll: ; @_ZN12_GLOBAL__N_139chunk_gated_delta_rule_fwd_h_hip_kernelILi32ELb0ELb0ELb1ELb1ELb0ELb0ELb1ELb0EEEvPK12hip_bfloat16S3_S3_PKfS5_PKvPS1_S8_PvPKiSB_iiiiilll
; %bb.0:
	s_load_dwordx4 s[16:19], s[0:1], 0x5c
	s_load_dwordx4 s[20:23], s[0:1], 0x70
	s_abs_i32 s25, s3
	s_ashr_i32 s24, s3, 31
	s_load_dwordx4 s[12:15], s[0:1], 0x30
	s_load_dwordx4 s[28:31], s[0:1], 0x48
	s_waitcnt lgkmcnt(0)
	s_abs_i32 s34, s17
	v_cvt_f32_u32_e32 v1, s34
	s_sub_i32 s26, 0, s34
	s_ashr_i32 s35, s17, 31
	s_xor_b32 s24, s24, s35
	v_rcp_iflag_f32_e32 v1, v1
	s_load_dwordx8 s[4:11], s[0:1], 0x0
	v_lshrrev_b32_e32 v44, 6, v0
	v_bfe_u32 v45, v0, 4, 2
	v_mul_f32_e32 v1, 0x4f7ffffe, v1
	v_cvt_u32_f32_e32 v1, v1
	v_lshlrev_b32_e32 v2, 2, v45
	v_and_b32_e32 v43, 63, v0
	v_and_b32_e32 v42, 15, v0
	v_readfirstlane_b32 s27, v1
	s_mul_i32 s26, s26, s27
	s_mul_hi_u32 s26, s27, s26
	s_add_i32 s27, s27, s26
	s_mul_hi_u32 s26, s25, s27
	s_mul_i32 s27, s26, s34
	s_sub_i32 s25, s25, s27
	s_add_i32 s33, s26, 1
	s_sub_i32 s27, s25, s34
	s_cmp_ge_u32 s25, s34
	s_cselect_b32 s26, s33, s26
	s_cselect_b32 s25, s27, s25
	s_add_i32 s27, s26, 1
	s_cmp_ge_u32 s25, s34
	s_cselect_b32 s25, s27, s26
	s_xor_b32 s25, s25, s24
	s_sub_i32 s24, s25, s24
	s_mul_i32 s25, s24, s17
	s_sub_i32 s33, s3, s25
	s_ashr_i32 s25, s24, 31
	s_lshl_b64 s[26:27], s[24:25], 2
	s_add_u32 s28, s28, s26
	s_addc_u32 s29, s29, s27
	s_add_u32 s26, s30, s26
	s_addc_u32 s27, s31, s27
	s_abs_i32 s3, s18
	v_cvt_f32_u32_e32 v1, s3
	s_load_dwordx2 s[38:39], s[28:29], 0x0
	s_sub_i32 s29, 0, s3
	s_load_dword s46, s[26:27], 0x0
	v_rcp_iflag_f32_e32 v1, v1
	v_mov_b32_e32 v3, 0
	s_waitcnt lgkmcnt(0)
	s_sub_i32 s47, s39, s38
	s_ashr_i32 s28, s47, 31
	v_mul_f32_e32 v1, 0x4f7ffffe, v1
	v_cvt_u32_f32_e32 v1, v1
	s_lshr_b32 s28, s28, 26
	s_add_i32 s28, s47, s28
	s_ashr_i32 s45, s28, 6
	v_readfirstlane_b32 s30, v1
	s_mul_i32 s29, s29, s30
	s_mul_hi_u32 s29, s30, s29
	s_add_i32 s30, s30, s29
	s_mul_hi_u32 s29, s34, s30
	s_mul_i32 s30, s29, s3
	s_ashr_i32 s28, s18, 31
	s_sub_i32 s30, s34, s30
	s_xor_b32 s28, s35, s28
	s_add_i32 s31, s29, 1
	s_sub_i32 s34, s30, s3
	s_cmp_ge_u32 s30, s3
	s_cselect_b32 s29, s31, s29
	s_cselect_b32 s30, s34, s30
	s_add_i32 s31, s29, 1
	s_cmp_ge_u32 s30, s3
	s_cselect_b32 s3, s31, s29
	s_xor_b32 s3, s3, s28
	s_sub_i32 s3, s3, s28
	s_abs_i32 s28, s3
	v_cvt_f32_u32_e32 v1, s28
	s_load_dwordx2 s[34:35], s[0:1], 0x80
	s_xor_b32 s0, s33, s3
	s_sub_i32 s3, 0, s28
	v_rcp_iflag_f32_e32 v1, v1
	s_abs_i32 s1, s33
	s_ashr_i32 s0, s0, 31
	s_mul_hi_i32 s48, s33, s16
	v_mul_f32_e32 v1, 0x4f7ffffe, v1
	v_cvt_u32_f32_e32 v1, v1
	s_mul_i32 s49, s33, s16
	v_lshrrev_b32_e32 v47, 3, v43
	v_lshlrev_b32_e32 v46, 3, v0
	v_readfirstlane_b32 s26, v1
	s_mul_i32 s3, s3, s26
	s_mul_hi_u32 s3, s26, s3
	s_add_i32 s26, s26, s3
	s_mul_hi_u32 s3, s1, s26
	s_mul_i32 s26, s3, s28
	s_sub_i32 s1, s1, s26
	s_add_i32 s26, s3, 1
	s_sub_i32 s27, s1, s28
	s_cmp_ge_u32 s1, s28
	s_cselect_b32 s3, s26, s3
	s_cselect_b32 s1, s27, s1
	s_add_i32 s26, s3, 1
	s_cmp_ge_u32 s1, s28
	s_cselect_b32 s1, s26, s3
	s_xor_b32 s1, s1, s0
	v_lshlrev_b32_e32 v1, 4, v44
	s_sub_i32 s50, s1, s0
	v_or_b32_e32 v48, v2, v1
	s_lshl_b32 s36, s2, 5
	v_or_b32_e32 v49, 64, v48
	s_cmp_lt_i32 s47, 64
	s_mul_i32 s42, s24, s21
	s_mul_hi_u32 s43, s24, s20
	s_mul_i32 s44, s25, s20
	s_mul_i32 s20, s24, s20
	v_mov_b32_e32 v66, 0
	v_mov_b32_e32 v64, 0
	;; [unrolled: 1-line block ×15, first 2 shown]
	s_cbranch_scc1 .LBB487_18
; %bb.1:
	s_ashr_i32 s53, s33, 31
	s_ashr_i32 s1, s38, 31
	s_add_u32 s0, s49, s38
	s_addc_u32 s1, s48, s1
	s_lshl_b64 s[0:1], s[0:1], 8
	v_and_b32_e32 v51, 56, v46
	s_add_u32 s0, s6, s0
	v_lshl_or_b32 v50, v44, 3, v47
	v_lshlrev_b32_e32 v3, 1, v51
	s_addc_u32 s1, s7, s1
	v_lshl_or_b32 v52, v50, 8, v3
	s_and_b32 s1, s1, 0xffff
	s_mov_b32 s3, 0x20000
	s_movk_i32 s2, 0x4000
	s_movk_i32 s21, 0x80
	v_or_b32_e32 v53, 0x2000, v52
	buffer_load_dwordx4 v[4:7], v52, s[0:3], 0 offen
	buffer_load_dwordx4 v[8:11], v52, s[0:3], s21 offen
	;; [unrolled: 1-line block ×4, first 2 shown]
	v_lshlrev_b32_e32 v20, 3, v50
	v_and_or_b32 v22, v0, 7, v20
	v_and_b32_e32 v20, 0x78, v20
	v_lshlrev_b32_e32 v22, 4, v22
	v_xor_b32_e32 v54, v22, v20
	v_mul_lo_u32 v21, v50, s19
	v_or_b32_e32 v55, 0x1000, v54
	s_cmpk_eq_i32 s19, 0x80
	s_mov_b32 s51, s17
	s_mov_b32 s52, s38
	v_xor_b32_e32 v20, 8, v54
	v_xor_b32_e32 v22, 8, v55
	s_cselect_b64 s[0:1], -1, 0
	s_cmpk_lg_i32 s19, 0x80
	s_waitcnt vmcnt(3)
	ds_write_b64 v54, v[4:5] offset:24576
	ds_write_b64 v20, v[6:7] offset:24576
	s_waitcnt vmcnt(2)
	ds_write_b64 v54, v[8:9] offset:32768
	ds_write_b64 v20, v[10:11] offset:32768
	;; [unrolled: 3-line block ×4, first 2 shown]
	v_lshl_add_u32 v4, v21, 1, v51
	s_cbranch_scc0 .LBB487_3
; %bb.2:
	v_lshlrev_b32_e32 v6, 1, v4
	v_add_lshl_u32 v5, v4, s19, 1
	s_lshl_b32 s26, s19, 7
	v_lshl_or_b32 v3, v50, 9, v3
	s_cbranch_execz .LBB487_4
	s_branch .LBB487_5
.LBB487_3:
                                        ; implicit-def: $vgpr5
                                        ; implicit-def: $vgpr6
                                        ; implicit-def: $sgpr26
	v_lshl_or_b32 v3, v50, 9, v3
.LBB487_4:
	v_or_b32_e32 v5, 0x100, v3
	s_movk_i32 s26, 0x4000
	v_mov_b32_e32 v6, v3
.LBB487_5:
	s_mul_i32 s2, s38, s18
	s_ashr_i32 s54, s50, 31
	s_mul_hi_i32 s3, s38, s18
	s_add_u32 s2, s2, s50
	s_addc_u32 s3, s3, s54
	s_lshl_b64 s[2:3], s[2:3], 8
	s_add_u32 s24, s4, s2
	s_addc_u32 s2, s5, s3
	s_and_b32 s25, s2, 0xffff
	s_mov_b32 s27, 0x20000
	s_movk_i32 s55, 0x80
	buffer_load_dwordx4 v[8:11], v6, s[24:27], 0 offen
	buffer_load_dwordx4 v[12:15], v6, s[24:27], s55 offen
	;; [unrolled: 1-line block ×4, first 2 shown]
	v_and_b32_e32 v5, 6, v0
	v_lshlrev_b32_e32 v24, 6, v48
	v_or_b32_e32 v26, 16, v42
	v_xor_b32_e32 v27, v50, v5
	v_and_b32_e32 v6, 1, v0
	s_mul_i32 s2, s33, s23
	s_mul_hi_u32 s3, s33, s22
	v_lshl_or_b32 v30, v42, 3, v24
	v_lshl_or_b32 v24, v26, 3, v24
	v_lshlrev_b32_e32 v27, 2, v27
	s_add_i32 s21, s43, s42
	v_lshlrev_b32_e32 v7, 2, v42
	s_mul_i32 s24, s53, s22
	v_or_b32_e32 v58, 0xa000, v24
	v_or_b32_e32 v59, 0xb000, v24
	v_xor_b32_e32 v24, 0x440, v27
	v_cmp_eq_u32_e32 vcc, 0, v6
	s_add_i32 s2, s3, s2
	s_add_i32 s21, s21, s44
	v_xor_b32_e32 v28, v48, v7
	v_xor_b32_e32 v29, v49, v7
	v_cndmask_b32_e32 v6, v24, v27, vcc
	s_add_i32 s3, s2, s24
	s_lshl_b64 s[24:25], s[20:21], 2
	s_mov_b32 s56, 0x1000504
	v_lshlrev_b32_e32 v25, 8, v42
	v_lshlrev_b32_e32 v26, 8, v26
	;; [unrolled: 1-line block ×4, first 2 shown]
	v_lshl_or_b32 v5, v5, 10, v6
	s_mul_i32 s2, s33, s22
	s_add_u32 s21, s10, s24
	s_mov_b32 s57, 0x3020706
	v_or_b32_e32 v56, 0xa000, v30
	v_or_b32_e32 v57, 0xb000, v30
	;; [unrolled: 1-line block ×5, first 2 shown]
	v_xor_b32_e32 v6, 8, v5
	v_xor_b32_e32 v25, 24, v5
	;; [unrolled: 1-line block ×4, first 2 shown]
	s_addc_u32 s24, s11, s25
	s_lshl_b64 s[2:3], s[2:3], 2
	v_or_b32_e32 v62, v26, v28
	v_xor_b32_e32 v24, 16, v5
	v_xor_b32_e32 v26, 32, v5
	;; [unrolled: 1-line block ×3, first 2 shown]
	v_add_u32_e32 v6, 0x80, v6
	v_add_u32_e32 v25, 0x80, v25
	v_add_u32_e32 v27, 0x80, v27
	v_add_u32_e32 v29, 0x80, v29
	s_add_u32 s2, s21, s2
	s_addc_u32 s3, s24, s3
	s_movk_i32 s24, 0xf8
	s_ashr_i32 s37, s36, 31
	s_lshl_b32 s30, s19, 7
	s_movk_i32 s28, 0x100
	v_mov_b32_e32 v35, 0
	v_lshlrev_b32_e32 v34, 4, v42
	v_cmp_gt_u32_e32 vcc, s28, v0
	s_mov_b32 s58, 0
	s_movk_i32 s21, 0x1000
	s_movk_i32 s26, 0x4000
	v_add_u32_e32 v93, v1, v2
	v_mov_b32_e32 v94, 0x3fb8aa3b
	v_mov_b32_e32 v76, v35
	;; [unrolled: 1-line block ×13, first 2 shown]
	s_waitcnt vmcnt(1)
	v_perm_b32 v30, v8, v16, s56
	s_waitcnt vmcnt(0)
	v_perm_b32 v31, v12, v20, s56
	v_perm_b32 v8, v8, v16, s57
	;; [unrolled: 1-line block ×15, first 2 shown]
	ds_write2st64_b32 v5, v30, v31 offset0:32 offset1:64
	ds_write2st64_b32 v6, v8, v12 offset0:32 offset1:64
	;; [unrolled: 1-line block ×8, first 2 shown]
	v_or_b32_e32 v5, v1, v42
	v_lshlrev_b32_e32 v5, 3, v5
	v_lshrrev_b32_e32 v8, 5, v43
	v_and_or_b32 v8, v5, s24, v8
	v_lshlrev_b32_e32 v8, 4, v8
	v_lshlrev_b32_e32 v9, 11, v44
	v_and_b32_e32 v5, 0x78, v5
	v_or_b32_e32 v13, 32, v8
	v_and_b32_e32 v6, 0x1000, v9
	v_lshrrev_b32_e32 v11, 1, v0
	v_xor_b32_e32 v13, v13, v5
	v_and_b32_e32 v12, 8, v11
	v_or_b32_e32 v13, v13, v6
	v_xor_b32_e32 v10, v8, v5
	v_xor_b32_e32 v78, v13, v12
	v_or_b32_e32 v13, 64, v8
	v_or_b32_e32 v8, 0x60, v8
	v_xor_b32_e32 v13, v13, v5
	v_xor_b32_e32 v5, v8, v5
	v_or_b32_e32 v10, v10, v6
	v_or_b32_e32 v13, v13, v6
	;; [unrolled: 1-line block ×3, first 2 shown]
	s_lshl_b64 s[24:25], s[36:37], 8
	v_xor_b32_e32 v70, v10, v12
	v_xor_b32_e32 v80, v13, v12
	v_xor_b32_e32 v81, v5, v12
	v_lshlrev_b32_e32 v12, 1, v4
	v_add_lshl_u32 v13, v4, s19, 1
	s_add_u32 s24, s12, s24
	v_lshlrev_b32_e32 v4, 1, v42
	v_lshrrev_b32_e32 v15, 4, v0
	s_addc_u32 s25, s13, s25
	v_or_b32_e32 v5, 1, v4
	v_mov_b32_e32 v19, 0x4000
	v_mov_b32_e32 v20, 0x2000
	v_xor_b32_e32 v16, v15, v4
	v_xor_b32_e32 v17, v5, v15
	v_lshl_add_u64 v[4:5], s[24:25], 0, v[34:35]
	v_lshlrev_b32_e32 v34, 8, v15
	v_cndmask_b32_e32 v19, v19, v20, vcc
	v_lshlrev_b32_e32 v20, 3, v44
	v_and_b32_e32 v11, 24, v11
	v_lshl_or_b32 v84, v16, 3, v34
	v_and_b32_e32 v16, 8, v0
	v_xor_b32_e32 v21, v20, v11
	v_or_b32_e32 v22, 0x440, v21
	v_cmp_eq_u32_e32 vcc, 0, v16
	v_and_b32_e32 v15, 7, v0
	v_lshlrev_b32_e32 v10, 7, v45
	v_cndmask_b32_e32 v16, v22, v21, vcc
	v_lshl_or_b32 v85, v17, 3, v34
	v_lshlrev_b32_e32 v17, 3, v15
	v_lshlrev_b32_e32 v15, 7, v15
	;; [unrolled: 1-line block ×3, first 2 shown]
	v_or_b32_e32 v16, v16, v9
	v_or_b32_e32 v7, v10, v7
	v_xad_u32 v86, v16, v17, v15
	v_and_or_b32 v10, v18, 60, v10
	v_mov_b32_e32 v16, 0xb000
	v_lshl_or_b32 v87, v10, 1, v16
	v_or_b32_e32 v10, 32, v11
	v_xor_b32_e32 v10, v20, v10
	v_or_b32_e32 v16, 0x440, v10
	v_cndmask_b32_e32 v10, v16, v10, vcc
	v_or_b32_e32 v10, v10, v9
	v_xad_u32 v88, v10, v17, v15
	v_or_b32_e32 v10, 64, v11
	v_xor_b32_e32 v10, v20, v10
	v_xor_b32_e32 v16, 0x440, v10
	v_cndmask_b32_e32 v10, v16, v10, vcc
	v_or_b32_e32 v10, v10, v9
	v_xad_u32 v89, v10, v17, v15
	v_or_b32_e32 v10, 0x60, v11
	v_xor_b32_e32 v10, v20, v10
	v_xor_b32_e32 v11, 0x440, v10
	v_lshlrev_b32_e32 v7, 1, v7
	v_or_b32_e32 v6, s36, v42
	v_cndmask_b32_e32 v10, v11, v10, vcc
	v_or_b32_e32 v74, 0xa000, v7
	v_or_b32_e32 v79, 0xa080, v7
	;; [unrolled: 1-line block ×4, first 2 shown]
	v_ashrrev_i32_e32 v7, 31, v6
	v_or_b32_e32 v9, v10, v9
	v_lshlrev_b32_e32 v8, 7, v48
	v_or_b32_e32 v14, 0x100, v3
	v_xad_u32 v90, v9, v17, v15
	v_lshlrev_b64 v[6:7], 1, v[6:7]
	v_cndmask_b32_e64 v91, v12, v3, s[0:1]
	v_cndmask_b32_e64 v92, v13, v14, s[0:1]
	v_lshl_add_u64 v[36:37], s[8:9], 0, v[6:7]
	v_lshl_add_u64 v[38:39], s[14:15], 0, v[6:7]
	;; [unrolled: 1-line block ×3, first 2 shown]
	s_mov_b32 s37, 0x7060302
	v_lshlrev_b32_e32 v34, 1, v8
	v_add_u32_e32 v95, v19, v86
	v_add_u32_e32 v96, v19, v88
	;; [unrolled: 1-line block ×4, first 2 shown]
	v_mov_b32_e32 v65, v35
	v_mov_b32_e32 v64, v35
	;; [unrolled: 1-line block ×4, first 2 shown]
	s_waitcnt lgkmcnt(0)
	s_barrier
.LBB487_6:                              ; =>This Inner Loop Header: Depth=1
	s_add_i32 s59, s58, 1
	s_cmp_lt_i32 s59, s45
	s_mov_b64 s[28:29], 0
	s_cselect_b64 s[40:41], -1, 0
	s_cmp_ge_i32 s59, s45
	s_mov_b64 s[24:25], 0
	s_cbranch_scc1 .LBB487_8
; %bb.7:                                ;   in Loop: Header=BB487_6 Depth=1
	s_add_i32 s0, s52, 64
	s_ashr_i32 s1, s0, 31
	s_add_u32 s0, s49, s0
	s_addc_u32 s1, s48, s1
	s_lshl_b64 s[0:1], s[0:1], 8
	s_add_u32 s24, s6, s0
	s_addc_u32 s25, s7, s1
.LBB487_8:                              ;   in Loop: Header=BB487_6 Depth=1
	v_cndmask_b32_e64 v2, 0, 1, s[40:41]
	v_cmp_ne_u32_e64 s[0:1], 1, v2
	s_andn2_b64 vcc, exec, s[40:41]
	s_cbranch_vccnz .LBB487_10
; %bb.9:                                ;   in Loop: Header=BB487_6 Depth=1
	s_add_i32 s28, s52, 64
	s_mul_hi_i32 s29, s28, s18
	s_mul_i32 s28, s28, s18
	s_add_u32 s28, s28, s50
	s_addc_u32 s29, s29, s54
	s_lshl_b64 s[28:29], s[28:29], 8
	s_add_u32 s28, s4, s28
	s_addc_u32 s29, s5, s29
.LBB487_10:                             ;   in Loop: Header=BB487_6 Depth=1
	v_perm_b32 v3, v101, v77, s37
	v_perm_b32 v2, v75, v76, s37
	v_perm_b32 v5, v99, v73, s37
	v_perm_b32 v4, v71, v72, s37
	ds_write_b64 v56, v[2:3]
	ds_write_b64 v57, v[4:5]
	;; [unrolled: 1-line block ×4, first 2 shown]
	v_perm_b32 v3, v102, v69, s37
	v_perm_b32 v2, v67, v68, s37
	;; [unrolled: 1-line block ×4, first 2 shown]
	ds_write_b64 v58, v[2:3]
	ds_write_b64 v59, v[4:5]
	;; [unrolled: 1-line block ×4, first 2 shown]
	s_waitcnt lgkmcnt(0)
	s_barrier
	ds_read_b64 v[6:7], v70 offset:24576
	ds_read2_b64 v[2:5], v74 offset1:16
	ds_read_b64 v[10:11], v79 offset:3072
	ds_read_b64 v[12:13], v74 offset:3072
	;; [unrolled: 1-line block ×3, first 2 shown]
	s_waitcnt lgkmcnt(3)
	v_mfma_f32_16x16x16_bf16 a[0:3], v[6:7], v[2:3], 0
	s_add_i32 s31, s52, 63
	s_ashr_i32 s40, s31, 31
	s_mul_i32 s41, s31, s35
	v_mfma_f32_16x16x16_bf16 a[4:7], v[6:7], v[4:5], 0
	ds_read2st64_b64 v[2:5], v74 offset0:2 offset1:4
	s_mul_hi_u32 s60, s31, s34
	s_add_i32 s41, s60, s41
	s_waitcnt lgkmcnt(0)
	v_mfma_f32_16x16x16_bf16 a[0:3], v[14:15], v[2:3], a[0:3]
	ds_read2st64_b64 v[6:9], v79 offset0:2 offset1:4
	ds_read_b64 v[2:3], v80 offset:24576
	s_mul_i32 s40, s40, s34
	s_add_i32 s41, s41, s40
	s_waitcnt lgkmcnt(1)
	v_mfma_f32_16x16x16_bf16 a[4:7], v[14:15], v[6:7], a[4:7]
	ds_read_b64 v[6:7], v81 offset:24576
	s_mul_i32 s40, s31, s34
	s_lshl_b64 s[40:41], s[40:41], 2
	s_waitcnt lgkmcnt(1)
	v_mfma_f32_16x16x16_bf16 a[0:3], v[2:3], v[4:5], a[0:3]
	s_add_u32 s40, s2, s40
	s_addc_u32 s41, s3, s41
	s_and_b64 vcc, exec, s[0:1]
	v_mfma_f32_16x16x16_bf16 a[8:11], v[2:3], v[8:9], a[4:7]
	v_mov_b32_e32 v105, 0
	v_mov_b32_e32 v104, 0
	;; [unrolled: 1-line block ×3, first 2 shown]
	s_waitcnt lgkmcnt(0)
	v_mfma_f32_16x16x16_bf16 a[4:7], v[6:7], v[12:13], a[0:3]
	v_mov_b32_e32 v2, 0
	v_mov_b32_e32 v3, 0
	;; [unrolled: 1-line block ×3, first 2 shown]
	v_mfma_f32_16x16x16_bf16 a[0:3], v[6:7], v[10:11], a[8:11]
	v_mov_b32_e32 v5, 0
	v_mov_b32_e32 v6, 0
	;; [unrolled: 1-line block ×13, first 2 shown]
	s_cbranch_vccnz .LBB487_12
; %bb.11:                               ;   in Loop: Header=BB487_6 Depth=1
	s_and_b32 s25, s25, 0xffff
	buffer_load_dwordx4 v[14:17], v52, s[24:27], 0 offen
	buffer_load_dwordx4 v[10:13], v52, s[24:27], s55 offen
	;; [unrolled: 1-line block ×4, first 2 shown]
	v_mov_b32_e32 v104, v54
	v_mov_b32_e32 v103, v55
.LBB487_12:                             ;   in Loop: Header=BB487_6 Depth=1
	s_waitcnt vmcnt(3)
	ds_read_b64 v[26:27], v70 offset:32768
	s_waitcnt vmcnt(2)
	ds_read2_b64 v[18:21], v82 offset1:16
	ds_read_b64 v[28:29], v78 offset:32768
	ds_read_b64 v[30:31], v80 offset:32768
	;; [unrolled: 1-line block ×3, first 2 shown]
	v_add_u32_e32 v106, s52, v93
	s_waitcnt lgkmcnt(3)
	v_mfma_f32_16x16x16_bf16 a[4:7], v[26:27], v[18:19], a[4:7]
	v_ashrrev_i32_e32 v18, 31, v106
	ds_read2st64_b64 v[22:25], v82 offset0:2 offset1:4
	v_mfma_f32_16x16x16_bf16 a[0:3], v[26:27], v[20:21], a[0:3]
	v_mul_lo_u32 v20, v18, s34
	v_mul_lo_u32 v21, v106, s35
	v_mad_u64_u32 v[18:19], s[24:25], v106, s34, 0
	v_add3_u32 v19, v19, v21, v20
	v_add_u32_e32 v20, 1, v106
	v_ashrrev_i32_e32 v21, 31, v20
	v_mul_lo_u32 v26, v21, s34
	v_mul_lo_u32 v27, v20, s35
	v_mad_u64_u32 v[20:21], s[24:25], v20, s34, 0
	v_add3_u32 v21, v21, v27, v26
	v_add_u32_e32 v26, 2, v106
	v_ashrrev_i32_e32 v27, 31, v26
	v_mul_lo_u32 v107, v27, s34
	v_mul_lo_u32 v108, v26, s35
	v_mad_u64_u32 v[26:27], s[24:25], v26, s34, 0
	v_add_u32_e32 v106, 3, v106
	v_add3_u32 v27, v27, v108, v107
	v_ashrrev_i32_e32 v107, 31, v106
	v_mul_lo_u32 v108, v107, s34
	v_mul_lo_u32 v109, v106, s35
	v_mad_u64_u32 v[106:107], s[24:25], v106, s34, 0
	s_ashr_i32 s25, s52, 31
	v_add3_u32 v107, v107, v109, v108
	s_add_u32 s24, s49, s52
	v_lshl_add_u64 v[18:19], v[18:19], 2, s[2:3]
	v_lshl_add_u64 v[106:107], v[106:107], 2, s[2:3]
	s_addc_u32 s25, s48, s25
	v_lshl_add_u64 v[20:21], v[20:21], 2, s[2:3]
	v_lshl_add_u64 v[26:27], v[26:27], 2, s[2:3]
	global_load_dword v108, v[18:19], off
	global_load_dword v109, v[20:21], off
	;; [unrolled: 1-line block ×3, first 2 shown]
	s_nop 0
	global_load_dword v106, v[106:107], off
	s_lshl_b64 s[60:61], s[24:25], 8
	v_lshl_add_u64 v[18:19], v[36:37], 0, s[60:61]
	v_lshl_add_u64 v[26:27], v[18:19], 0, v[34:35]
	global_load_ushort v107, v[26:27], off offset:256
	global_load_ushort v111, v[26:27], off
	ds_read2st64_b64 v[18:21], v83 offset0:2 offset1:4
	global_load_ushort v112, v[26:27], off offset:768
	global_load_ushort v113, v[26:27], off offset:512
	;; [unrolled: 1-line block ×6, first 2 shown]
	s_waitcnt lgkmcnt(1)
	v_mfma_f32_16x16x16_bf16 a[4:7], v[28:29], v[22:23], a[4:7]
	s_and_b64 vcc, exec, s[0:1]
	s_waitcnt vmcnt(7)
	v_lshlrev_b32_e32 v27, 16, v107
	s_waitcnt lgkmcnt(0)
	v_mfma_f32_16x16x16_bf16 a[0:3], v[28:29], v[18:19], a[0:3]
	v_mfma_f32_16x16x16_bf16 a[4:7], v[30:31], v[24:25], a[4:7]
	;; [unrolled: 1-line block ×3, first 2 shown]
	ds_read_b64 v[18:19], v82 offset:3072
	ds_read_b64 v[20:21], v83 offset:3072
	s_load_dword s24, s[40:41], 0x0
	s_waitcnt lgkmcnt(0)
	v_sub_f32_e32 v26, s24, v108
	v_mfma_f32_16x16x16_bf16 a[4:7], v[32:33], v[18:19], a[4:7]
	v_sub_f32_e32 v29, s24, v109
	v_sub_f32_e32 v30, s24, v110
	;; [unrolled: 1-line block ×3, first 2 shown]
	v_mul_f32_e32 v28, 0x3fb8aa3b, v26
	v_mul_f32_e32 v29, 0x3fb8aa3b, v29
	;; [unrolled: 1-line block ×4, first 2 shown]
	v_mfma_f32_16x16x16_bf16 a[0:3], v[32:33], v[20:21], a[0:3]
	v_accvgpr_read_b32 v25, a5
	v_exp_f32_e32 v28, v28
	v_exp_f32_e32 v29, v29
	;; [unrolled: 1-line block ×4, first 2 shown]
	v_accvgpr_read_b32 v24, a4
	s_waitcnt vmcnt(6)
	v_lshlrev_b32_e32 v26, 16, v111
	v_lshl_add_u64 v[18:19], v[38:39], 0, s[60:61]
	v_accvgpr_read_b32 v21, a7
	v_accvgpr_read_b32 v20, a6
	v_pk_add_f32 v[24:25], v[26:27], v[24:25] neg_lo:[0,1] neg_hi:[0,1]
	s_waitcnt vmcnt(5)
	v_lshlrev_b32_e32 v27, 16, v112
	s_waitcnt vmcnt(4)
	v_lshlrev_b32_e32 v26, 16, v113
	v_lshl_add_u64 v[18:19], v[18:19], 0, v[34:35]
	v_pk_add_f32 v[20:21], v[26:27], v[20:21] neg_lo:[0,1] neg_hi:[0,1]
	global_store_short_d16_hi v[18:19], v24, off
	global_store_short_d16_hi v[18:19], v25, off offset:256
	global_store_short_d16_hi v[18:19], v20, off offset:512
	;; [unrolled: 1-line block ×3, first 2 shown]
	v_pk_mul_f32 v[24:25], v[28:29], v[24:25]
	v_pk_mul_f32 v[20:21], v[30:31], v[20:21]
	v_accvgpr_read_b32 v27, a1
	v_perm_b32 v21, v21, v20, s37
	v_perm_b32 v20, v25, v24, s37
	s_waitcnt vmcnt(5)
	v_lshlrev_b32_e32 v25, 16, v116
	s_waitcnt vmcnt(4)
	v_lshlrev_b32_e32 v24, 16, v117
	v_accvgpr_read_b32 v26, a0
	v_accvgpr_read_b32 v23, a3
	v_accvgpr_read_b32 v22, a2
	v_pk_add_f32 v[24:25], v[24:25], v[26:27] neg_lo:[0,1] neg_hi:[0,1]
	v_lshlrev_b32_e32 v27, 16, v114
	v_lshlrev_b32_e32 v26, 16, v115
	v_pk_add_f32 v[22:23], v[26:27], v[22:23] neg_lo:[0,1] neg_hi:[0,1]
	global_store_short_d16_hi v[18:19], v24, off offset:32
	global_store_short_d16_hi v[18:19], v25, off offset:288
	;; [unrolled: 1-line block ×4, first 2 shown]
	v_pk_mul_f32 v[18:19], v[28:29], v[24:25]
	v_pk_mul_f32 v[22:23], v[30:31], v[22:23]
	v_mov_b32_e32 v106, 0
	v_perm_b32 v23, v23, v22, s37
	v_perm_b32 v22, v19, v18, s37
	ds_write2_b64 v57, v[20:21], v[22:23] offset1:16
	v_mov_b32_e32 v18, 0
	v_mov_b32_e32 v19, 0
	;; [unrolled: 1-line block ×16, first 2 shown]
	s_cbranch_vccnz .LBB487_14
; %bb.13:                               ;   in Loop: Header=BB487_6 Depth=1
	s_and_b32 s29, s29, 0xffff
	s_mov_b32 s31, s27
	buffer_load_dwordx4 v[30:33], v91, s[28:31], 0 offen
	buffer_load_dwordx4 v[22:25], v91, s[28:31], s55 offen
	;; [unrolled: 1-line block ×4, first 2 shown]
	v_mov_b32_e32 v105, v51
	v_mov_b32_e32 v106, v50
.LBB487_14:                             ;   in Loop: Header=BB487_6 Depth=1
	s_waitcnt lgkmcnt(0)
	s_barrier
	ds_read_b64 v[112:113], v95
	ds_read_b64 v[120:121], v87
	;; [unrolled: 1-line block ×5, first 2 shown]
	ds_read_b64 v[126:127], v88 offset:16384
	ds_read_b64 v[128:129], v86 offset:16384
	ds_read2_b64 v[108:111], v82 offset0:16 offset1:128
	s_waitcnt lgkmcnt(6)
	v_mfma_f32_16x16x16_bf16 a[0:3], v[112:113], v[120:121], 0
	ds_read_b64 v[130:131], v83 offset:3072
	ds_read_b64 v[132:133], v90 offset:16384
	s_add_i32 s25, s46, s58
	s_waitcnt lgkmcnt(2)
	v_mfma_f32_16x16x16_bf16 a[4:7], v[112:113], v[108:109], 0
	ds_read2st64_b64 v[112:115], v83 offset0:2 offset1:4
	s_mul_hi_i32 s29, s25, s51
	s_mul_i32 s25, s25, s51
	v_mfma_f32_16x16x16_bf16 a[0:3], v[116:117], v[110:111], a[0:3]
	s_add_u32 s28, s25, s33
	s_addc_u32 s29, s29, s53
	s_lshl_b64 s[28:29], s[28:29], 15
	s_waitcnt lgkmcnt(0)
	v_mfma_f32_16x16x16_bf16 a[4:7], v[116:117], v[112:113], a[4:7]
	ds_read2st64_b64 v[116:119], v82 offset0:4 offset1:6
	s_waitcnt lgkmcnt(0)
	v_mfma_f32_16x16x16_bf16 a[0:3], v[122:123], v[116:117], a[0:3]
	v_mfma_f32_16x16x16_bf16 a[8:11], v[122:123], v[114:115], a[4:7]
	;; [unrolled: 1-line block ×5, first 2 shown]
	ds_read2st64_b64 v[120:123], v85 offset1:8
	v_mfma_f32_16x16x16_bf16 a[12:15], v[128:129], v[108:109], 0
	ds_read_b64 v[128:129], v89 offset:16384
	v_mfma_f32_16x16x16_bf16 a[8:11], v[126:127], v[110:111], a[8:11]
	ds_read2st64_b64 v[108:111], v84 offset1:8
	s_waitcnt lgkmcnt(0)
	v_mov_b32_e32 v124, v108
	v_mfma_f32_16x16x16_bf16 a[12:15], v[126:127], v[112:113], a[12:15]
	v_lshl_add_u64 v[112:113], v[40:41], 0, s[28:29]
	v_add_co_u32_e32 v108, vcc, s21, v112
	v_mfma_f32_16x16x16_bf16 a[8:11], v[128:129], v[116:117], a[8:11]
	v_mov_b32_e32 v125, v109
	v_addc_co_u32_e32 v109, vcc, 0, v113, vcc
	v_mfma_f32_16x16x16_bf16 a[16:19], v[128:129], v[114:115], a[12:15]
	v_mov_b32_e32 v126, v120
	v_mov_b32_e32 v127, v121
	;; [unrolled: 1-line block ×3, first 2 shown]
	v_mfma_f32_16x16x16_bf16 a[12:15], v[132:133], v[118:119], a[8:11]
	v_mov_b32_e32 v121, v111
	s_and_b64 vcc, exec, s[0:1]
	global_store_dwordx4 v[112:113], v[124:127], off
	v_mfma_f32_16x16x16_bf16 a[8:11], v[132:133], v[130:131], a[16:19]
	global_store_dwordx4 v[108:109], v[120:123], off
	s_cbranch_vccnz .LBB487_16
; %bb.15:                               ;   in Loop: Header=BB487_6 Depth=1
	v_lshrrev_b32_e32 v107, 3, v105
	v_and_b32_e32 v107, 6, v107
	v_xor_b32_e32 v106, v107, v106
	v_lshlrev_b32_e32 v106, 2, v106
	v_and_b32_e32 v105, 8, v105
	v_xor_b32_e32 v108, 0x440, v106
	v_cmp_eq_u32_e32 vcc, 0, v105
	s_barrier
	s_nop 0
	v_cndmask_b32_e32 v105, v108, v106, vcc
	v_lshl_or_b32 v105, v107, 10, v105
	s_waitcnt vmcnt(3)
	v_perm_b32 v106, v30, v26, s56
	s_waitcnt vmcnt(2)
	v_perm_b32 v107, v22, v18, s56
	ds_write2st64_b32 v105, v106, v107 offset0:32 offset1:64
	v_xor_b32_e32 v106, 8, v105
	v_perm_b32 v26, v30, v26, s57
	v_perm_b32 v18, v22, v18, s57
	v_add_u32_e32 v22, 0x80, v106
	ds_write2st64_b32 v22, v26, v18 offset0:32 offset1:64
	v_xor_b32_e32 v18, 16, v105
	v_perm_b32 v22, v31, v27, s56
	v_perm_b32 v26, v23, v19, s56
	ds_write2st64_b32 v18, v22, v26 offset0:33 offset1:65
	v_xor_b32_e32 v18, 24, v105
	v_perm_b32 v22, v31, v27, s57
	v_perm_b32 v19, v23, v19, s57
	v_add_u32_e32 v18, 0x80, v18
	ds_write2st64_b32 v18, v22, v19 offset0:33 offset1:65
	v_xor_b32_e32 v18, 32, v105
	v_perm_b32 v19, v32, v28, s56
	;; [unrolled: 9-line block ×3, first 2 shown]
	v_perm_b32 v20, v25, v21, s56
	ds_write2st64_b32 v18, v19, v20 offset0:35 offset1:67
	v_xor_b32_e32 v18, 56, v105
	v_perm_b32 v19, v33, v29, s57
	v_perm_b32 v20, v25, v21, s57
	v_add_u32_e32 v18, 0x80, v18
	ds_write2st64_b32 v18, v19, v20 offset0:35 offset1:67
	ds_write_b64 v104, v[14:15] offset:24576
	v_xor_b32_e32 v14, 8, v104
	ds_write_b64 v14, v[16:17] offset:24576
	ds_write_b64 v104, v[10:11] offset:32768
	ds_write_b64 v14, v[12:13] offset:32768
	ds_write_b64 v103, v[6:7] offset:24576
	v_xor_b32_e32 v6, 8, v103
	ds_write_b64 v6, v[8:9] offset:24576
	ds_write_b64 v103, v[2:3] offset:32768
	;; [unrolled: 1-line block ×3, first 2 shown]
.LBB487_16:                             ;   in Loop: Header=BB487_6 Depth=1
	v_mul_f32_e32 v2, s24, v94
	v_exp_f32_e32 v2, v2
	v_accvgpr_read_b32 v3, a4
	v_accvgpr_read_b32 v4, a5
	;; [unrolled: 1-line block ×3, first 2 shown]
	v_fma_f32 v76, v76, v2, v3
	v_accvgpr_read_b32 v3, a6
	v_fma_f32 v77, v77, v2, v3
	v_accvgpr_read_b32 v3, a0
	;; [unrolled: 2-line block ×11, first 2 shown]
	v_accvgpr_read_b32 v6, a15
	v_fma_f32 v66, v66, v2, v3
	v_accvgpr_read_b32 v3, a11
	s_add_i32 s52, s52, 64
	v_fmac_f32_e32 v5, v101, v2
	v_fmac_f32_e32 v4, v102, v2
	;; [unrolled: 1-line block ×3, first 2 shown]
	s_cmp_eq_u32 s45, s59
	v_fmac_f32_e32 v3, v100, v2
	s_cbranch_scc1 .LBB487_18
; %bb.17:                               ;   in Loop: Header=BB487_6 Depth=1
	s_mov_b32 s58, s59
	v_mov_b32_e32 v101, v5
	v_mov_b32_e32 v99, v6
	;; [unrolled: 1-line block ×4, first 2 shown]
	s_branch .LBB487_6
.LBB487_18:
	s_lshl_b32 s0, s45, 6
	s_sub_i32 s47, s47, s0
	s_cmp_gt_i32 s47, 0
	s_cbranch_scc0 .LBB487_83
; %bb.19:
	s_add_i32 s38, s0, s38
	s_ashr_i32 s2, s38, 31
	s_cmpk_lg_i32 s19, 0x80
	s_cselect_b64 s[30:31], -1, 0
	s_and_b64 vcc, exec, s[30:31]
	s_cbranch_vccz .LBB487_21
; %bb.20:
	s_mul_i32 s1, s38, s18
	s_ashr_i32 s3, s50, 31
	s_mul_hi_i32 s0, s38, s18
	s_add_u32 s40, s1, s50
	s_addc_u32 s41, s0, s3
	s_cbranch_execz .LBB487_22
	s_branch .LBB487_23
.LBB487_21:
                                        ; implicit-def: $sgpr40_sgpr41
.LBB487_22:
	s_mul_i32 s1, s50, s16
	s_mul_hi_i32 s0, s50, s16
	s_add_u32 s40, s1, s38
	s_addc_u32 s41, s0, s2
.LBB487_23:
	s_add_i32 s3, s45, s46
	s_ashr_i32 s16, s33, 31
	s_add_u32 s0, s49, s38
	s_addc_u32 s1, s48, s2
	v_lshlrev_b32_e32 v10, 5, v48
	s_waitcnt vmcnt(4)
	v_lshlrev_b32_e32 v22, 2, v42
	s_mov_b32 s2, 0x7060302
	v_xor_b32_e32 v2, v48, v22
	v_perm_b32 v9, v5, v77, s2
	v_or_b32_e32 v5, v10, v22
	v_perm_b32 v8, v75, v76, s2
	v_perm_b32 v7, v6, v73, s2
	;; [unrolled: 1-line block ×3, first 2 shown]
	v_lshlrev_b32_e32 v5, 1, v5
	v_lshlrev_b32_e32 v12, 1, v2
	v_lshlrev_b32_e32 v2, 8, v42
	s_lshl_b64 s[28:29], s[0:1], 8
	v_xor_b32_e32 v11, v49, v22
	ds_write2st64_b64 v5, v[8:9], v[6:7] offset0:80 offset1:88
	v_or_b32_e32 v5, v12, v2
	s_add_u32 s0, s6, s28
	ds_write_b64 v5, v[8:9]
	v_lshlrev_b32_e32 v8, 1, v11
	s_addc_u32 s1, s7, s29
	v_or_b32_e32 v2, v8, v2
	s_mul_hi_i32 s6, s3, s17
	s_mul_i32 s3, s3, s17
	ds_write_b64 v2, v[6:7]
	v_perm_b32 v5, v4, v69, s2
	v_perm_b32 v4, v67, v68, s2
	;; [unrolled: 1-line block ×4, first 2 shown]
	v_or_b32_e32 v6, 16, v42
	s_add_u32 s2, s3, s33
	s_waitcnt vmcnt(2)
	v_lshlrev_b32_e32 v19, 2, v6
	s_addc_u32 s3, s6, s16
	v_or_b32_e32 v7, v10, v19
	s_ashr_i32 s37, s36, 31
	s_lshl_b64 s[2:3], s[2:3], 15
	v_lshlrev_b32_e32 v7, 1, v7
	v_lshlrev_b32_e32 v6, 8, v6
	s_add_u32 s6, s12, s2
	ds_write2st64_b64 v7, v[4:5], v[2:3] offset0:80 offset1:88
	v_or_b32_e32 v7, v12, v6
	s_addc_u32 s7, s13, s3
	s_lshl_b64 s[2:3], s[36:37], 8
	ds_write_b64 v7, v[4:5]
	v_or_b32_e32 v4, v8, v6
	s_add_u32 s2, s6, s2
	ds_write_b64 v4, v[2:3]
	v_lshrrev_b32_e32 v2, 4, v0
	s_addc_u32 s3, s7, s3
	v_lshlrev_b32_e32 v3, 1, v42
	v_lshlrev_b32_e32 v10, 4, v42
	v_mov_b32_e32 v11, 0
	v_or_b32_e32 v4, 1, v3
	v_xor_b32_e32 v3, v2, v3
	v_lshl_add_u64 v[12:13], s[2:3], 0, v[10:11]
	v_lshlrev_b32_e32 v10, 8, v2
	v_xor_b32_e32 v6, v4, v2
	v_lshl_or_b32 v2, v3, 3, v10
	s_waitcnt lgkmcnt(0)
	s_barrier
	ds_read2st64_b64 v[2:5], v2 offset1:8
	v_lshl_or_b32 v6, v6, 3, v10
	ds_read2st64_b64 v[6:9], v6 offset1:8
	v_lshl_add_u64 v[14:15], v[12:13], 0, v[10:11]
	s_movk_i32 s2, 0x1000
	s_waitcnt lgkmcnt(1)
	v_mov_b32_e32 v10, v2
	v_add_co_u32_e32 v2, vcc, s2, v14
	s_cmp_lg_u32 s47, 64
	v_mov_b32_e32 v11, v3
	v_addc_co_u32_e32 v3, vcc, 0, v15, vcc
	s_cselect_b64 s[6:7], -1, 0
	v_lshl_or_b32 v23, v44, 3, v47
	s_waitcnt lgkmcnt(0)
	v_mov_b32_e32 v12, v6
	v_mov_b32_e32 v13, v7
	;; [unrolled: 1-line block ×4, first 2 shown]
	s_mov_b32 s24, 0
	v_or_b32_e32 v20, 32, v23
	v_and_b32_e32 v18, 56, v46
	s_and_b64 vcc, exec, s[6:7]
	global_store_dwordx4 v[14:15], v[10:13], off
	global_store_dwordx4 v[2:3], v[6:9], off
	s_cbranch_vccz .LBB487_29
; %bb.24:
	s_mov_b32 s25, s24
	s_mov_b32 s26, s24
	;; [unrolled: 1-line block ×3, first 2 shown]
	v_mov_b64_e32 v[6:7], s[24:25]
	v_mov_b64_e32 v[8:9], s[26:27]
	;; [unrolled: 1-line block ×3, first 2 shown]
	v_cmp_gt_i32_e32 vcc, s47, v23
	v_mov_b64_e32 v[4:5], v[8:9]
	s_and_saveexec_b64 s[2:3], vcc
	s_cbranch_execz .LBB487_26
; %bb.25:
	v_lshlrev_b32_e32 v2, 8, v23
	v_mov_b32_e32 v3, 0
	v_lshl_add_u64 v[4:5], s[0:1], 0, v[2:3]
	v_lshlrev_b32_e32 v2, 1, v18
	v_lshl_add_u64 v[10:11], v[4:5], 0, v[2:3]
	global_load_dwordx4 v[6:9], v[10:11], off
	global_load_dwordx4 v[2:5], v[10:11], off offset:128
.LBB487_26:
	s_or_b64 exec, exec, s[2:3]
	s_mov_b32 s25, s24
	s_mov_b32 s26, s24
	;; [unrolled: 1-line block ×3, first 2 shown]
	v_mov_b64_e32 v[14:15], s[24:25]
	v_mov_b64_e32 v[16:17], s[26:27]
	;; [unrolled: 1-line block ×3, first 2 shown]
	v_cmp_gt_i32_e32 vcc, s47, v20
	v_lshlrev_b32_e32 v21, 7, v20
	v_mov_b64_e32 v[12:13], v[16:17]
	s_and_saveexec_b64 s[2:3], vcc
	s_cbranch_execz .LBB487_28
; %bb.27:
	v_lshlrev_b32_e32 v10, 1, v21
	v_mov_b32_e32 v11, 0
	v_lshl_add_u64 v[12:13], s[0:1], 0, v[10:11]
	v_lshlrev_b32_e32 v10, 1, v18
	v_lshl_add_u64 v[24:25], v[12:13], 0, v[10:11]
	global_load_dwordx4 v[14:17], v[24:25], off
	global_load_dwordx4 v[10:13], v[24:25], off offset:128
.LBB487_28:
	s_or_b64 exec, exec, s[2:3]
	v_lshrrev_b32_e32 v24, 3, v18
	v_lshlrev_b32_e32 v25, 3, v23
	v_or_b32_e32 v24, v25, v24
	v_lshlrev_b32_e32 v24, 4, v24
	v_and_b32_e32 v25, 0x78, v25
	v_xor_b32_e32 v24, v24, v25
	s_branch .LBB487_31
.LBB487_29:
                                        ; implicit-def: $vgpr24
                                        ; implicit-def: $vgpr21
                                        ; implicit-def: $vgpr6_vgpr7_vgpr8_vgpr9
                                        ; implicit-def: $vgpr2_vgpr3_vgpr4_vgpr5
                                        ; implicit-def: $vgpr14_vgpr15_vgpr16_vgpr17
                                        ; implicit-def: $vgpr10_vgpr11_vgpr12_vgpr13
	s_cbranch_execz .LBB487_31
; %bb.30:
	s_waitcnt vmcnt(0)
	v_lshlrev_b32_e32 v2, 1, v18
	v_lshl_or_b32 v21, v23, 8, v2
	s_and_b32 s1, s1, 0xffff
	s_mov_b32 s3, 0x20000
	s_movk_i32 s2, 0x4000
	v_lshl_or_b32 v24, v20, 8, v2
	s_movk_i32 s12, 0x80
	buffer_load_dwordx4 v[6:9], v21, s[0:3], 0 offen
	buffer_load_dwordx4 v[2:5], v21, s[0:3], s12 offen
	;; [unrolled: 1-line block ×4, first 2 shown]
	v_lshrrev_b32_e32 v21, 3, v18
	v_lshlrev_b32_e32 v24, 3, v23
	v_or_b32_e32 v21, v24, v21
	v_lshlrev_b32_e32 v21, 4, v21
	v_and_b32_e32 v24, 0x78, v24
	v_xor_b32_e32 v24, v21, v24
	v_lshlrev_b32_e32 v21, 7, v20
.LBB487_31:
	s_lshl_b64 s[0:1], s[40:41], 8
	s_add_u32 s4, s4, s0
	s_movk_i32 s0, 0x1000
	v_and_or_b32 v20, v21, s0, v24
	s_waitcnt vmcnt(1)
	ds_write_b64 v24, v[6:7] offset:24576
	v_xor_b32_e32 v6, 8, v24
	ds_write_b64 v6, v[8:9] offset:24576
	s_waitcnt vmcnt(0)
	ds_write_b64 v24, v[2:3] offset:32768
	ds_write_b64 v6, v[4:5] offset:32768
	;; [unrolled: 1-line block ×3, first 2 shown]
	v_xor_b32_e32 v2, 8, v20
	ds_write_b64 v2, v[16:17] offset:24576
	ds_write_b64 v20, v[10:11] offset:32768
	ds_write_b64 v2, v[12:13] offset:32768
	v_or_b32_e32 v2, v1, v42
	v_lshlrev_b32_e32 v3, 11, v44
	v_lshlrev_b32_e32 v2, 3, v2
	v_and_b32_e32 v6, 0x1000, v3
	v_lshrrev_b32_e32 v3, 5, v43
	s_movk_i32 s13, 0xf8
	v_and_or_b32 v3, v2, s13, v3
	v_lshlrev_b32_e32 v7, 4, v3
	v_and_b32_e32 v8, 0x78, v2
	v_or_b32_e32 v10, 32, v7
	v_lshrrev_b32_e32 v3, 1, v43
	v_xor_b32_e32 v10, v10, v8
	v_xor_b32_e32 v2, v7, v8
	v_and_b32_e32 v9, 8, v3
	v_or_b32_e32 v10, v10, v6
	v_or_b32_e32 v2, v2, v6
	v_xor_b32_e32 v26, v10, v9
	v_or_b32_e32 v10, 64, v7
	v_xor_b32_e32 v25, v2, v9
	v_xor_b32_e32 v10, v10, v8
	s_waitcnt lgkmcnt(0)
	s_barrier
	v_or_b32_e32 v12, v10, v6
	ds_read_b64 v[10:11], v25 offset:24576
	v_lshl_or_b32 v20, v45, 7, v22
	v_lshlrev_b32_e32 v24, 1, v20
	v_add_u32_e32 v2, 0xa000, v24
	ds_read2_b64 v[2:5], v2 offset1:16
	v_or_b32_e32 v7, 0x60, v7
	v_xor_b32_e32 v7, v7, v8
	s_waitcnt lgkmcnt(0)
	v_mfma_f32_16x16x16_bf16 a[0:3], v[10:11], v[2:3], 0
	v_or_b32_e32 v2, 64, v20
	v_or_b32_e32 v6, v7, v6
	v_lshlrev_b32_e32 v29, 1, v2
	v_xor_b32_e32 v27, v12, v9
	v_xor_b32_e32 v28, v6, v9
	ds_read_b64 v[12:13], v26 offset:24576
	ds_read_b64 v[14:15], v27 offset:24576
	;; [unrolled: 1-line block ×3, first 2 shown]
	v_mfma_f32_16x16x16_bf16 a[4:7], v[10:11], v[4:5], 0
	ds_read2st64_b64 v[2:5], v29 offset0:82 offset1:84
	ds_read2st64_b64 v[6:9], v24 offset0:82 offset1:84
	s_addc_u32 s5, s5, s1
	s_add_i32 s2, s39, -1
	s_add_i32 s0, s43, s42
	s_add_i32 s21, s0, s44
	s_mul_i32 s0, s33, s23
	s_mul_hi_u32 s1, s33, s22
	s_ashr_i32 s3, s2, 31
	s_mul_i32 s12, s2, s35
	s_mul_hi_u32 s13, s2, s34
	s_add_i32 s0, s1, s0
	s_mul_i32 s1, s16, s22
	s_add_i32 s12, s13, s12
	s_mul_i32 s3, s3, s34
	s_waitcnt lgkmcnt(1)
	v_mfma_f32_16x16x16_bf16 a[4:7], v[12:13], v[2:3], a[4:7]
	s_add_i32 s1, s0, s1
	s_add_i32 s3, s12, s3
	s_lshl_b64 s[12:13], s[20:21], 2
	s_waitcnt lgkmcnt(0)
	v_mfma_f32_16x16x16_bf16 a[0:3], v[12:13], v[6:7], a[0:3]
	s_mul_i32 s0, s33, s22
	s_add_u32 s10, s10, s12
	s_addc_u32 s11, s11, s13
	s_lshl_b64 s[0:1], s[0:1], 2
	s_mul_i32 s2, s2, s34
	s_add_u32 s10, s10, s0
	ds_read_b64 v[2:3], v24 offset:44032
	v_mfma_f32_16x16x16_bf16 a[4:7], v[14:15], v[4:5], a[4:7]
	ds_read_b64 v[4:5], v29 offset:44032
	s_addc_u32 s11, s11, s1
	s_lshl_b64 s[0:1], s[2:3], 2
	v_mfma_f32_16x16x16_bf16 a[0:3], v[14:15], v[8:9], a[0:3]
	s_add_u32 s0, s10, s0
	s_addc_u32 s1, s11, s1
	s_load_dword s12, s[0:1], 0x0
	s_waitcnt lgkmcnt(0)
	v_mfma_f32_16x16x16_bf16 a[0:3], v[16:17], v[2:3], a[0:3]
	s_and_b64 vcc, exec, s[30:31]
	v_mfma_f32_16x16x16_bf16 a[4:7], v[16:17], v[4:5], a[4:7]
	s_cbranch_vccz .LBB487_42
; %bb.32:
	v_lshlrev_b32_e32 v20, 1, v23
	s_and_b64 vcc, exec, s[6:7]
	s_cbranch_vccz .LBB487_43
; %bb.33:
	v_cmp_gt_i32_e32 vcc, s47, v20
	v_mov_b32_e32 v6, 0
	v_mov_b32_e32 v2, 0
	;; [unrolled: 1-line block ×5, first 2 shown]
	s_and_saveexec_b64 s[0:1], vcc
	s_cbranch_execz .LBB487_35
; %bb.34:
	v_mad_i64_i32 v[2:3], s[2:3], s19, v20, 0
	v_lshl_add_u64 v[2:3], v[2:3], 1, s[4:5]
	v_lshlrev_b32_e32 v4, 1, v18
	v_mov_b32_e32 v5, 0
	v_lshl_add_u64 v[2:3], v[2:3], 0, v[4:5]
	global_load_dwordx4 v[2:5], v[2:3], off
.LBB487_35:
	s_or_b64 exec, exec, s[0:1]
	v_or_b32_e32 v21, 1, v20
	v_cmp_gt_i32_e64 s[0:1], s47, v21
	v_mov_b32_e32 v7, 0
	v_mov_b32_e32 v8, 0
	;; [unrolled: 1-line block ×3, first 2 shown]
	s_and_saveexec_b64 s[2:3], s[0:1]
	s_cbranch_execz .LBB487_37
; %bb.36:
	v_mad_i64_i32 v[6:7], s[16:17], s19, v21, 0
	v_lshl_add_u64 v[6:7], v[6:7], 1, s[4:5]
	v_lshlrev_b32_e32 v8, 1, v18
	v_mov_b32_e32 v9, 0
	v_lshl_add_u64 v[6:7], v[6:7], 0, v[8:9]
	global_load_dwordx4 v[6:9], v[6:7], off
.LBB487_37:
	s_or_b64 exec, exec, s[2:3]
	v_mov_b32_e32 v17, 0
	v_mov_b32_e32 v10, 0
	v_mov_b32_e32 v11, 0
	v_mov_b32_e32 v12, 0
	v_mov_b32_e32 v13, 0
	s_and_saveexec_b64 s[2:3], vcc
	s_cbranch_execz .LBB487_39
; %bb.38:
	v_mad_i64_i32 v[10:11], s[16:17], s19, v20, 0
	v_lshl_add_u64 v[10:11], v[10:11], 1, s[4:5]
	v_lshlrev_b32_e32 v12, 1, v18
	v_mov_b32_e32 v13, 0
	v_lshl_add_u64 v[10:11], v[10:11], 0, v[12:13]
	global_load_dwordx4 v[10:13], v[10:11], off offset:128
.LBB487_39:
	s_or_b64 exec, exec, s[2:3]
	v_mov_b32_e32 v16, 0
	v_mov_b32_e32 v15, 0
	;; [unrolled: 1-line block ×3, first 2 shown]
	s_and_saveexec_b64 s[2:3], s[0:1]
	s_cbranch_execz .LBB487_41
; %bb.40:
	v_mad_i64_i32 v[14:15], s[0:1], s19, v21, 0
	v_lshl_add_u64 v[14:15], v[14:15], 1, s[4:5]
	v_lshlrev_b32_e32 v16, 1, v18
	v_mov_b32_e32 v17, 0
	v_lshl_add_u64 v[14:15], v[14:15], 0, v[16:17]
	global_load_dwordx4 v[14:17], v[14:15], off offset:128
.LBB487_41:
	s_or_b64 exec, exec, s[2:3]
	s_branch .LBB487_45
.LBB487_42:
                                        ; implicit-def: $vgpr5
                                        ; implicit-def: $vgpr9
                                        ; implicit-def: $vgpr13
                                        ; implicit-def: $vgpr17
	v_lshrrev_b32_e32 v30, 2, v43
	s_branch .LBB487_46
.LBB487_43:
                                        ; implicit-def: $vgpr5
                                        ; implicit-def: $vgpr9
                                        ; implicit-def: $vgpr13
                                        ; implicit-def: $vgpr17
	s_cbranch_execz .LBB487_45
; %bb.44:
	s_waitcnt vmcnt(0)
	v_mad_u64_u32 v[2:3], s[0:1], v20, s19, v[18:19]
	v_lshlrev_b32_e32 v20, 1, v2
	s_lshl_b32 s2, s19, 7
	s_and_b32 s1, s5, 0xffff
	s_mov_b32 s3, 0x20000
	s_mov_b32 s0, s4
	v_add_lshl_u32 v21, v2, s19, 1
	s_movk_i32 s13, 0x80
	buffer_load_dwordx4 v[2:5], v20, s[0:3], 0 offen
	buffer_load_dwordx4 v[10:13], v20, s[0:3], s13 offen
	buffer_load_dwordx4 v[6:9], v21, s[0:3], 0 offen
	buffer_load_dwordx4 v[14:17], v21, s[0:3], s13 offen
.LBB487_45:
	v_lshrrev_b32_e32 v30, 2, v43
	s_cbranch_execnz .LBB487_58
.LBB487_46:
	s_and_b64 vcc, exec, s[6:7]
	s_cbranch_vccz .LBB487_56
; %bb.47:
	s_waitcnt vmcnt(0)
	v_lshlrev_b32_e32 v7, 1, v23
	v_cmp_gt_i32_e32 vcc, s47, v7
	v_mov_b32_e32 v6, 0
	v_lshlrev_b32_e32 v14, 9, v23
	v_mov_b32_e32 v2, 0
	v_mov_b32_e32 v3, 0
	;; [unrolled: 1-line block ×4, first 2 shown]
	s_and_saveexec_b64 s[0:1], vcc
	s_cbranch_execz .LBB487_49
; %bb.48:
	v_mov_b32_e32 v15, 0
	v_lshl_add_u64 v[2:3], s[4:5], 0, v[14:15]
	v_lshlrev_b32_e32 v4, 1, v18
	v_mov_b32_e32 v5, v15
	v_lshl_add_u64 v[2:3], v[2:3], 0, v[4:5]
	global_load_dwordx4 v[2:5], v[2:3], off
.LBB487_49:
	s_or_b64 exec, exec, s[0:1]
	v_or_b32_e32 v7, 1, v7
	v_cmp_gt_i32_e64 s[0:1], s47, v7
	v_lshlrev_b32_e32 v20, 8, v7
	v_mov_b32_e32 v7, 0
	v_mov_b32_e32 v8, 0
	;; [unrolled: 1-line block ×3, first 2 shown]
	s_and_saveexec_b64 s[2:3], s[0:1]
	s_cbranch_execz .LBB487_51
; %bb.50:
	v_mov_b32_e32 v21, 0
	v_lshl_add_u64 v[6:7], s[4:5], 0, v[20:21]
	v_lshlrev_b32_e32 v8, 1, v18
	v_mov_b32_e32 v9, v21
	v_lshl_add_u64 v[6:7], v[6:7], 0, v[8:9]
	global_load_dwordx4 v[6:9], v[6:7], off
.LBB487_51:
	s_or_b64 exec, exec, s[2:3]
	v_mov_b32_e32 v17, 0
	v_mov_b32_e32 v10, 0
	;; [unrolled: 1-line block ×5, first 2 shown]
	s_and_saveexec_b64 s[2:3], vcc
	s_cbranch_execz .LBB487_53
; %bb.52:
	v_mov_b32_e32 v15, 0
	v_lshl_add_u64 v[10:11], s[4:5], 0, v[14:15]
	v_lshlrev_b32_e32 v14, 1, v18
	v_lshl_add_u64 v[10:11], v[10:11], 0, v[14:15]
	global_load_dwordx4 v[10:13], v[10:11], off offset:128
.LBB487_53:
	s_or_b64 exec, exec, s[2:3]
	v_mov_b32_e32 v16, 0
	v_mov_b32_e32 v15, 0
	;; [unrolled: 1-line block ×3, first 2 shown]
	s_and_saveexec_b64 s[2:3], s[0:1]
	s_cbranch_execz .LBB487_55
; %bb.54:
	v_mov_b32_e32 v21, 0
	v_lshl_add_u64 v[14:15], s[4:5], 0, v[20:21]
	v_lshlrev_b32_e32 v20, 1, v18
	v_lshl_add_u64 v[14:15], v[14:15], 0, v[20:21]
	global_load_dwordx4 v[14:17], v[14:15], off offset:128
.LBB487_55:
	s_or_b64 exec, exec, s[2:3]
	s_branch .LBB487_58
.LBB487_56:
                                        ; implicit-def: $vgpr5
                                        ; implicit-def: $vgpr9
                                        ; implicit-def: $vgpr13
                                        ; implicit-def: $vgpr17
	s_cbranch_execz .LBB487_58
; %bb.57:
	s_waitcnt vmcnt(0)
	v_lshlrev_b32_e32 v2, 1, v18
	v_lshl_or_b32 v18, v23, 9, v2
	s_and_b32 s5, s5, 0xffff
	s_mov_b32 s7, 0x20000
	s_movk_i32 s6, 0x4000
	s_movk_i32 s0, 0x80
	buffer_load_dwordx4 v[2:5], v18, s[4:7], 0 offen
	buffer_load_dwordx4 v[6:9], v18, s[4:7], 0 offen offset:256
	buffer_load_dwordx4 v[10:13], v18, s[4:7], s0 offen
	buffer_load_dwordx4 v[14:17], v18, s[4:7], s0 offen offset:256
.LBB487_58:
	ds_read_b64 v[20:21], v25 offset:32768
	v_add_u32_e32 v18, 0xb000, v24
	ds_read2_b64 v[32:35], v18 offset1:16
	ds_read_b64 v[40:41], v26 offset:32768
	ds_read_b64 v[26:27], v27 offset:32768
	;; [unrolled: 1-line block ×3, first 2 shown]
	v_and_b32_e32 v18, 6, v0
	v_xor_b32_e32 v23, v23, v18
	v_lshlrev_b32_e32 v23, 2, v23
	v_and_b32_e32 v0, 1, v0
	v_xor_b32_e32 v28, 0x440, v23
	v_cmp_eq_u32_e32 vcc, 0, v0
	s_waitcnt lgkmcnt(3)
	v_mfma_f32_16x16x16_bf16 a[0:3], v[20:21], v[32:33], a[0:3]
	s_mov_b32 s0, 0x1000504
	v_cndmask_b32_e32 v0, v28, v23, vcc
	v_lshl_or_b32 v0, v18, 10, v0
	v_mfma_f32_16x16x16_bf16 a[4:7], v[20:21], v[34:35], a[4:7]
	ds_read2st64_b64 v[32:35], v24 offset0:90 offset1:92
	ds_read2st64_b64 v[36:39], v29 offset0:90 offset1:92
	ds_read_b64 v[20:21], v24 offset:48128
	ds_read_b64 v[24:25], v29 offset:48128
	s_waitcnt vmcnt(0)
	v_perm_b32 v18, v2, v6, s0
	s_waitcnt lgkmcnt(3)
	v_mfma_f32_16x16x16_bf16 a[0:3], v[40:41], v[32:33], a[0:3]
	s_mov_b32 s1, 0x3020706
	v_perm_b32 v2, v2, v6, s1
	v_perm_b32 v6, v10, v14, s1
	s_waitcnt lgkmcnt(2)
	v_mfma_f32_16x16x16_bf16 a[4:7], v[40:41], v[36:37], a[4:7]
	v_mfma_f32_16x16x16_bf16 a[0:3], v[26:27], v[34:35], a[0:3]
	;; [unrolled: 1-line block ×3, first 2 shown]
	s_waitcnt lgkmcnt(1)
	v_mfma_f32_16x16x16_bf16 a[4:7], v[44:45], v[20:21], a[0:3]
	v_perm_b32 v20, v10, v14, s0
	ds_write2st64_b32 v0, v18, v20 offset0:32 offset1:64
	v_xor_b32_e32 v18, 8, v0
	v_add_u32_e32 v10, 0x80, v18
	ds_write2st64_b32 v10, v2, v6 offset0:32 offset1:64
	v_xor_b32_e32 v2, 16, v0
	v_perm_b32 v6, v3, v7, s0
	v_perm_b32 v10, v11, v15, s0
	ds_write2st64_b32 v2, v6, v10 offset0:33 offset1:65
	v_xor_b32_e32 v2, 24, v0
	v_perm_b32 v3, v3, v7, s1
	v_perm_b32 v6, v11, v15, s1
	v_add_u32_e32 v2, 0x80, v2
	ds_write2st64_b32 v2, v3, v6 offset0:33 offset1:65
	v_xor_b32_e32 v2, 32, v0
	v_perm_b32 v3, v4, v8, s0
	v_perm_b32 v6, v12, v16, s0
	s_waitcnt lgkmcnt(4)
	v_mfma_f32_16x16x16_bf16 a[0:3], v[44:45], v[24:25], a[8:11]
	ds_write2st64_b32 v2, v3, v6 offset0:34 offset1:66
	v_xor_b32_e32 v2, 40, v0
	v_perm_b32 v3, v4, v8, s1
	v_perm_b32 v4, v12, v16, s1
	v_add_u32_e32 v2, 0x80, v2
	ds_write2st64_b32 v2, v3, v4 offset0:34 offset1:66
	v_xor_b32_e32 v2, 48, v0
	v_perm_b32 v3, v5, v9, s0
	v_perm_b32 v4, v13, v17, s0
	v_xor_b32_e32 v0, 56, v0
	v_and_or_b32 v21, v30, 12, v1
	ds_write2st64_b32 v2, v3, v4 offset0:35 offset1:67
	v_perm_b32 v2, v5, v9, s1
	v_perm_b32 v3, v13, v17, s1
	v_add_u32_e32 v0, 0x80, v0
	v_cmp_gt_i32_e32 vcc, s47, v21
	v_mov_b32_e32 v16, 0
	v_mov_b32_e32 v18, 0
	ds_write2st64_b32 v0, v2, v3 offset0:35 offset1:67
	s_and_saveexec_b64 s[0:1], vcc
	s_cbranch_execz .LBB487_60
; %bb.59:
	v_add_u32_e32 v0, s38, v21
	v_ashrrev_i32_e32 v1, 31, v0
	v_mul_lo_u32 v2, v1, s34
	v_mul_lo_u32 v3, v0, s35
	v_mad_u64_u32 v[0:1], s[2:3], v0, s34, 0
	v_add3_u32 v1, v1, v3, v2
	v_lshl_add_u64 v[0:1], v[0:1], 2, s[10:11]
	global_load_dword v0, v[0:1], off
	s_waitcnt vmcnt(0)
	v_sub_f32_e32 v0, s12, v0
	v_mul_f32_e32 v0, 0x3fb8aa3b, v0
	v_exp_f32_e32 v18, v0
.LBB487_60:
	s_or_b64 exec, exec, s[0:1]
	v_or_b32_e32 v10, 1, v21
	v_cmp_gt_i32_e64 s[0:1], s47, v10
	s_and_saveexec_b64 s[2:3], s[0:1]
	s_cbranch_execz .LBB487_62
; %bb.61:
	v_add_u32_e32 v0, s38, v10
	v_ashrrev_i32_e32 v1, 31, v0
	v_mul_lo_u32 v2, v1, s34
	v_mul_lo_u32 v3, v0, s35
	v_mad_u64_u32 v[0:1], s[4:5], v0, s34, 0
	v_add3_u32 v1, v1, v3, v2
	v_lshl_add_u64 v[0:1], v[0:1], 2, s[10:11]
	global_load_dword v0, v[0:1], off
	s_waitcnt vmcnt(0)
	v_sub_f32_e32 v0, s12, v0
	v_mul_f32_e32 v0, 0x3fb8aa3b, v0
	v_exp_f32_e32 v16, v0
.LBB487_62:
	s_or_b64 exec, exec, s[2:3]
	v_or_b32_e32 v12, 2, v21
	v_cmp_gt_i32_e64 s[2:3], s47, v12
	v_mov_b32_e32 v17, 0
	v_mov_b32_e32 v20, 0
	s_and_saveexec_b64 s[4:5], s[2:3]
	s_cbranch_execz .LBB487_64
; %bb.63:
	v_add_u32_e32 v0, s38, v12
	v_ashrrev_i32_e32 v1, 31, v0
	v_mul_lo_u32 v2, v1, s34
	v_mul_lo_u32 v3, v0, s35
	v_mad_u64_u32 v[0:1], s[6:7], v0, s34, 0
	v_add3_u32 v1, v1, v3, v2
	v_lshl_add_u64 v[0:1], v[0:1], 2, s[10:11]
	global_load_dword v0, v[0:1], off
	s_waitcnt vmcnt(0)
	v_sub_f32_e32 v0, s12, v0
	v_mul_f32_e32 v0, 0x3fb8aa3b, v0
	v_exp_f32_e32 v20, v0
.LBB487_64:
	s_or_b64 exec, exec, s[4:5]
	v_or_b32_e32 v14, 3, v21
	v_cmp_gt_i32_e64 s[4:5], s47, v14
	s_and_saveexec_b64 s[6:7], s[4:5]
	s_cbranch_execz .LBB487_66
; %bb.65:
	v_add_u32_e32 v0, s38, v14
	v_ashrrev_i32_e32 v1, 31, v0
	v_mul_lo_u32 v2, v1, s34
	v_mul_lo_u32 v3, v0, s35
	v_mad_u64_u32 v[0:1], s[16:17], v0, s34, 0
	v_add3_u32 v1, v1, v3, v2
	v_lshl_add_u64 v[0:1], v[0:1], 2, s[10:11]
	global_load_dword v0, v[0:1], off
	s_waitcnt vmcnt(0)
	v_sub_f32_e32 v0, s12, v0
	v_mul_f32_e32 v0, 0x3fb8aa3b, v0
	v_exp_f32_e32 v17, v0
.LBB487_66:
	s_or_b64 exec, exec, s[6:7]
	s_add_u32 s6, s8, s28
	v_or_b32_e32 v4, s36, v42
	s_addc_u32 s7, s9, s29
	s_add_u32 s8, s14, s28
	v_ashrrev_i32_e32 v5, 31, v4
	v_accvgpr_read_b32 v0, a4
	s_addc_u32 s9, s15, s29
	v_lshlrev_b64 v[4:5], 1, v[4:5]
	v_accvgpr_read_b32 v1, a5
	v_accvgpr_read_b32 v2, a6
	;; [unrolled: 1-line block ×3, first 2 shown]
	v_lshl_add_u64 v[6:7], s[6:7], 0, v[4:5]
	v_lshl_add_u64 v[4:5], s[8:9], 0, v[4:5]
	v_mov_b32_e32 v11, 0
	v_lshlrev_b32_e32 v8, 8, v21
	v_mov_b32_e32 v9, 0
	s_and_saveexec_b64 s[6:7], vcc
	s_cbranch_execz .LBB487_68
; %bb.67:
	v_mov_b32_e32 v9, 0
	v_lshl_add_u64 v[24:25], v[6:7], 0, v[8:9]
	global_load_ushort v13, v[24:25], off
	v_lshl_add_u64 v[24:25], v[4:5], 0, v[8:9]
	s_waitcnt vmcnt(0)
	v_lshlrev_b32_e32 v9, 16, v13
	v_sub_f32_e32 v0, v9, v0
	global_store_short_d16_hi v[24:25], v0, off
	v_mul_f32_e32 v0, v18, v0
	v_lshrrev_b32_e32 v9, 16, v0
.LBB487_68:
	s_or_b64 exec, exec, s[6:7]
	v_lshlrev_b32_e32 v10, 8, v10
	s_and_saveexec_b64 s[6:7], s[0:1]
	s_cbranch_execz .LBB487_70
; %bb.69:
	v_mov_b32_e32 v11, 0
	v_lshl_add_u64 v[24:25], v[6:7], 0, v[10:11]
	global_load_ushort v0, v[24:25], off
	v_lshl_add_u64 v[24:25], v[4:5], 0, v[10:11]
	s_waitcnt vmcnt(0)
	v_lshlrev_b32_e32 v0, 16, v0
	v_sub_f32_e32 v0, v0, v1
	global_store_short_d16_hi v[24:25], v0, off
	v_mul_f32_e32 v0, v16, v0
	v_lshrrev_b32_e32 v11, 16, v0
.LBB487_70:
	s_or_b64 exec, exec, s[6:7]
	v_mov_b32_e32 v15, 0
	v_lshlrev_b32_e32 v12, 8, v12
	v_mov_b32_e32 v13, 0
	s_and_saveexec_b64 s[6:7], s[2:3]
	s_cbranch_execz .LBB487_72
; %bb.71:
	v_mov_b32_e32 v13, 0
	v_lshl_add_u64 v[0:1], v[6:7], 0, v[12:13]
	global_load_ushort v23, v[0:1], off
	v_lshl_add_u64 v[0:1], v[4:5], 0, v[12:13]
	s_waitcnt vmcnt(0)
	v_lshlrev_b32_e32 v13, 16, v23
	v_sub_f32_e32 v2, v13, v2
	global_store_short_d16_hi v[0:1], v2, off
	v_mul_f32_e32 v0, v20, v2
	v_lshrrev_b32_e32 v13, 16, v0
.LBB487_72:
	s_or_b64 exec, exec, s[6:7]
	v_lshlrev_b32_e32 v14, 8, v14
	s_and_saveexec_b64 s[6:7], s[4:5]
	s_cbranch_execz .LBB487_74
; %bb.73:
	v_mov_b32_e32 v15, 0
	v_lshl_add_u64 v[0:1], v[6:7], 0, v[14:15]
	global_load_ushort v2, v[0:1], off
	v_lshl_add_u64 v[0:1], v[4:5], 0, v[14:15]
	s_waitcnt vmcnt(0)
	v_lshlrev_b32_e32 v2, 16, v2
	v_sub_f32_e32 v2, v2, v3
	global_store_short_d16_hi v[0:1], v2, off
	v_mul_f32_e32 v0, v17, v2
	v_lshrrev_b32_e32 v15, 16, v0
.LBB487_74:
	s_or_b64 exec, exec, s[6:7]
	v_lshlrev_b32_e32 v21, 5, v21
	s_mov_b32 s6, 0x5040100
	v_perm_b32 v24, v11, v9, s6
	v_or_b32_e32 v9, v21, v22
	v_accvgpr_read_b32 v0, a0
	v_perm_b32 v25, v15, v13, s6
	v_lshlrev_b32_e32 v9, 1, v9
	v_accvgpr_read_b32 v1, a1
	v_accvgpr_read_b32 v2, a2
	;; [unrolled: 1-line block ×3, first 2 shown]
	ds_write_b64 v9, v[24:25] offset:45056
	v_mov_b32_e32 v11, 0
	v_mov_b32_e32 v9, 0
	s_and_saveexec_b64 s[6:7], vcc
	s_cbranch_execz .LBB487_76
; %bb.75:
	v_mov_b32_e32 v9, 0
	v_lshl_add_u64 v[22:23], v[6:7], 0, v[8:9]
	global_load_ushort v13, v[22:23], off offset:32
	v_lshl_add_u64 v[8:9], v[4:5], 0, v[8:9]
	s_waitcnt vmcnt(0)
	v_lshlrev_b32_e32 v13, 16, v13
	v_sub_f32_e32 v0, v13, v0
	global_store_short_d16_hi v[8:9], v0, off offset:32
	v_mul_f32_e32 v0, v18, v0
	v_lshrrev_b32_e32 v9, 16, v0
.LBB487_76:
	s_or_b64 exec, exec, s[6:7]
	s_and_saveexec_b64 s[6:7], s[0:1]
	s_cbranch_execz .LBB487_78
; %bb.77:
	v_mov_b32_e32 v11, 0
	v_lshl_add_u64 v[22:23], v[6:7], 0, v[10:11]
	global_load_ushort v0, v[22:23], off offset:32
	v_lshl_add_u64 v[10:11], v[4:5], 0, v[10:11]
	s_waitcnt vmcnt(0)
	v_lshlrev_b32_e32 v0, 16, v0
	v_sub_f32_e32 v0, v0, v1
	global_store_short_d16_hi v[10:11], v0, off offset:32
	v_mul_f32_e32 v0, v16, v0
	v_lshrrev_b32_e32 v11, 16, v0
.LBB487_78:
	s_or_b64 exec, exec, s[6:7]
	v_mov_b32_e32 v0, 0
	v_mov_b32_e32 v1, 0
	s_and_saveexec_b64 s[0:1], s[2:3]
	s_cbranch_execz .LBB487_80
; %bb.79:
	v_mov_b32_e32 v13, 0
	v_lshl_add_u64 v[22:23], v[6:7], 0, v[12:13]
	global_load_ushort v1, v[22:23], off offset:32
	v_lshl_add_u64 v[12:13], v[4:5], 0, v[12:13]
	s_waitcnt vmcnt(0)
	v_lshlrev_b32_e32 v1, 16, v1
	v_sub_f32_e32 v1, v1, v2
	global_store_short_d16_hi v[12:13], v1, off offset:32
	v_mul_f32_e32 v1, v20, v1
	v_lshrrev_b32_e32 v1, 16, v1
.LBB487_80:
	s_or_b64 exec, exec, s[0:1]
	s_and_saveexec_b64 s[0:1], s[4:5]
	s_cbranch_execz .LBB487_82
; %bb.81:
	v_mov_b32_e32 v15, 0
	v_lshl_add_u64 v[6:7], v[6:7], 0, v[14:15]
	global_load_ushort v0, v[6:7], off offset:32
	v_lshl_add_u64 v[4:5], v[4:5], 0, v[14:15]
	s_waitcnt vmcnt(0)
	v_lshlrev_b32_e32 v0, 16, v0
	v_sub_f32_e32 v0, v0, v3
	global_store_short_d16_hi v[4:5], v0, off offset:32
	v_mul_f32_e32 v0, v17, v0
	v_lshrrev_b32_e32 v0, 16, v0
.LBB487_82:
	s_or_b64 exec, exec, s[0:1]
	s_mov_b32 s0, 0x5040100
	v_or_b32_e32 v2, v21, v19
	v_perm_b32 v1, v0, v1, s0
	v_perm_b32 v0, v11, v9, s0
	v_lshlrev_b32_e32 v2, 1, v2
	ds_write_b64 v2, v[0:1] offset:45056
	s_waitcnt lgkmcnt(0)
	s_barrier
.LBB487_83:
	s_endpgm
	.section	.rodata,"a",@progbits
	.p2align	6, 0x0
	.amdhsa_kernel _ZN12_GLOBAL__N_139chunk_gated_delta_rule_fwd_h_hip_kernelILi32ELb0ELb0ELb1ELb1ELb0ELb0ELb1ELb0EEEvPK12hip_bfloat16S3_S3_PKfS5_PKvPS1_S8_PvPKiSB_iiiiilll
		.amdhsa_group_segment_fixed_size 49152
		.amdhsa_private_segment_fixed_size 0
		.amdhsa_kernarg_size 136
		.amdhsa_user_sgpr_count 2
		.amdhsa_user_sgpr_dispatch_ptr 0
		.amdhsa_user_sgpr_queue_ptr 0
		.amdhsa_user_sgpr_kernarg_segment_ptr 1
		.amdhsa_user_sgpr_dispatch_id 0
		.amdhsa_user_sgpr_kernarg_preload_length 0
		.amdhsa_user_sgpr_kernarg_preload_offset 0
		.amdhsa_user_sgpr_private_segment_size 0
		.amdhsa_uses_dynamic_stack 0
		.amdhsa_enable_private_segment 0
		.amdhsa_system_sgpr_workgroup_id_x 1
		.amdhsa_system_sgpr_workgroup_id_y 1
		.amdhsa_system_sgpr_workgroup_id_z 0
		.amdhsa_system_sgpr_workgroup_info 0
		.amdhsa_system_vgpr_workitem_id 0
		.amdhsa_next_free_vgpr 156
		.amdhsa_next_free_sgpr 62
		.amdhsa_accum_offset 136
		.amdhsa_reserve_vcc 1
		.amdhsa_float_round_mode_32 0
		.amdhsa_float_round_mode_16_64 0
		.amdhsa_float_denorm_mode_32 3
		.amdhsa_float_denorm_mode_16_64 3
		.amdhsa_dx10_clamp 1
		.amdhsa_ieee_mode 1
		.amdhsa_fp16_overflow 0
		.amdhsa_tg_split 0
		.amdhsa_exception_fp_ieee_invalid_op 0
		.amdhsa_exception_fp_denorm_src 0
		.amdhsa_exception_fp_ieee_div_zero 0
		.amdhsa_exception_fp_ieee_overflow 0
		.amdhsa_exception_fp_ieee_underflow 0
		.amdhsa_exception_fp_ieee_inexact 0
		.amdhsa_exception_int_div_zero 0
	.end_amdhsa_kernel
	.section	.text._ZN12_GLOBAL__N_139chunk_gated_delta_rule_fwd_h_hip_kernelILi32ELb0ELb0ELb1ELb1ELb0ELb0ELb1ELb0EEEvPK12hip_bfloat16S3_S3_PKfS5_PKvPS1_S8_PvPKiSB_iiiiilll,"axG",@progbits,_ZN12_GLOBAL__N_139chunk_gated_delta_rule_fwd_h_hip_kernelILi32ELb0ELb0ELb1ELb1ELb0ELb0ELb1ELb0EEEvPK12hip_bfloat16S3_S3_PKfS5_PKvPS1_S8_PvPKiSB_iiiiilll,comdat
.Lfunc_end487:
	.size	_ZN12_GLOBAL__N_139chunk_gated_delta_rule_fwd_h_hip_kernelILi32ELb0ELb0ELb1ELb1ELb0ELb0ELb1ELb0EEEvPK12hip_bfloat16S3_S3_PKfS5_PKvPS1_S8_PvPKiSB_iiiiilll, .Lfunc_end487-_ZN12_GLOBAL__N_139chunk_gated_delta_rule_fwd_h_hip_kernelILi32ELb0ELb0ELb1ELb1ELb0ELb0ELb1ELb0EEEvPK12hip_bfloat16S3_S3_PKfS5_PKvPS1_S8_PvPKiSB_iiiiilll
                                        ; -- End function
	.section	.AMDGPU.csdata,"",@progbits
; Kernel info:
; codeLenInByte = 8604
; NumSgprs: 68
; NumVgprs: 134
; NumAgprs: 20
; TotalNumVgprs: 156
; ScratchSize: 0
; MemoryBound: 0
; FloatMode: 240
; IeeeMode: 1
; LDSByteSize: 49152 bytes/workgroup (compile time only)
; SGPRBlocks: 8
; VGPRBlocks: 19
; NumSGPRsForWavesPerEU: 68
; NumVGPRsForWavesPerEU: 156
; AccumOffset: 136
; Occupancy: 1
; WaveLimiterHint : 1
; COMPUTE_PGM_RSRC2:SCRATCH_EN: 0
; COMPUTE_PGM_RSRC2:USER_SGPR: 2
; COMPUTE_PGM_RSRC2:TRAP_HANDLER: 0
; COMPUTE_PGM_RSRC2:TGID_X_EN: 1
; COMPUTE_PGM_RSRC2:TGID_Y_EN: 1
; COMPUTE_PGM_RSRC2:TGID_Z_EN: 0
; COMPUTE_PGM_RSRC2:TIDIG_COMP_CNT: 0
; COMPUTE_PGM_RSRC3_GFX90A:ACCUM_OFFSET: 33
; COMPUTE_PGM_RSRC3_GFX90A:TG_SPLIT: 0
	.section	.text._ZN12_GLOBAL__N_139chunk_gated_delta_rule_fwd_h_hip_kernelILi32ELb0ELb0ELb0ELb1ELb0ELb0ELb1ELb0EEEvPK12hip_bfloat16S3_S3_PKfS5_PKvPS1_S8_PvPKiSB_iiiiilll,"axG",@progbits,_ZN12_GLOBAL__N_139chunk_gated_delta_rule_fwd_h_hip_kernelILi32ELb0ELb0ELb0ELb1ELb0ELb0ELb1ELb0EEEvPK12hip_bfloat16S3_S3_PKfS5_PKvPS1_S8_PvPKiSB_iiiiilll,comdat
	.globl	_ZN12_GLOBAL__N_139chunk_gated_delta_rule_fwd_h_hip_kernelILi32ELb0ELb0ELb0ELb1ELb0ELb0ELb1ELb0EEEvPK12hip_bfloat16S3_S3_PKfS5_PKvPS1_S8_PvPKiSB_iiiiilll ; -- Begin function _ZN12_GLOBAL__N_139chunk_gated_delta_rule_fwd_h_hip_kernelILi32ELb0ELb0ELb0ELb1ELb0ELb0ELb1ELb0EEEvPK12hip_bfloat16S3_S3_PKfS5_PKvPS1_S8_PvPKiSB_iiiiilll
	.p2align	8
	.type	_ZN12_GLOBAL__N_139chunk_gated_delta_rule_fwd_h_hip_kernelILi32ELb0ELb0ELb0ELb1ELb0ELb0ELb1ELb0EEEvPK12hip_bfloat16S3_S3_PKfS5_PKvPS1_S8_PvPKiSB_iiiiilll,@function
_ZN12_GLOBAL__N_139chunk_gated_delta_rule_fwd_h_hip_kernelILi32ELb0ELb0ELb0ELb1ELb0ELb0ELb1ELb0EEEvPK12hip_bfloat16S3_S3_PKfS5_PKvPS1_S8_PvPKiSB_iiiiilll: ; @_ZN12_GLOBAL__N_139chunk_gated_delta_rule_fwd_h_hip_kernelILi32ELb0ELb0ELb0ELb1ELb0ELb0ELb1ELb0EEEvPK12hip_bfloat16S3_S3_PKfS5_PKvPS1_S8_PvPKiSB_iiiiilll
; %bb.0:
	s_load_dwordx4 s[12:15], s[0:1], 0x5c
	s_load_dwordx4 s[16:19], s[0:1], 0x70
	s_abs_i32 s21, s3
	s_ashr_i32 s20, s3, 31
	s_load_dwordx2 s[36:37], s[0:1], 0x30
	s_load_dwordx4 s[24:27], s[0:1], 0x48
	s_waitcnt lgkmcnt(0)
	s_abs_i32 s28, s13
	v_cvt_f32_u32_e32 v1, s28
	s_sub_i32 s22, 0, s28
	s_ashr_i32 s29, s13, 31
	s_xor_b32 s20, s20, s29
	v_rcp_iflag_f32_e32 v1, v1
	s_load_dwordx8 s[4:11], s[0:1], 0x0
	v_lshrrev_b32_e32 v42, 6, v0
	v_bfe_u32 v43, v0, 4, 2
	v_mul_f32_e32 v1, 0x4f7ffffe, v1
	v_cvt_u32_f32_e32 v1, v1
	v_lshlrev_b32_e32 v2, 2, v43
	v_and_b32_e32 v41, 63, v0
	v_and_b32_e32 v40, 15, v0
	v_readfirstlane_b32 s23, v1
	s_mul_i32 s22, s22, s23
	s_mul_hi_u32 s22, s23, s22
	s_add_i32 s23, s23, s22
	s_mul_hi_u32 s22, s21, s23
	s_mul_i32 s23, s22, s28
	s_sub_i32 s21, s21, s23
	s_add_i32 s30, s22, 1
	s_sub_i32 s23, s21, s28
	s_cmp_ge_u32 s21, s28
	s_cselect_b32 s22, s30, s22
	s_cselect_b32 s21, s23, s21
	s_add_i32 s23, s22, 1
	s_cmp_ge_u32 s21, s28
	s_cselect_b32 s21, s23, s22
	s_xor_b32 s21, s21, s20
	s_sub_i32 s20, s21, s20
	s_mul_i32 s21, s20, s13
	s_sub_i32 s33, s3, s21
	s_ashr_i32 s21, s20, 31
	s_lshl_b64 s[22:23], s[20:21], 2
	s_add_u32 s24, s24, s22
	s_addc_u32 s25, s25, s23
	s_add_u32 s22, s26, s22
	s_addc_u32 s23, s27, s23
	s_abs_i32 s3, s14
	v_cvt_f32_u32_e32 v1, s3
	s_load_dwordx2 s[34:35], s[24:25], 0x0
	s_sub_i32 s25, 0, s3
	s_load_dword s44, s[22:23], 0x0
	v_rcp_iflag_f32_e32 v1, v1
	v_mov_b32_e32 v3, 0
	s_waitcnt lgkmcnt(0)
	s_sub_i32 s45, s35, s34
	s_ashr_i32 s24, s45, 31
	v_mul_f32_e32 v1, 0x4f7ffffe, v1
	v_cvt_u32_f32_e32 v1, v1
	s_lshr_b32 s24, s24, 26
	s_add_i32 s24, s45, s24
	s_ashr_i32 s43, s24, 6
	v_readfirstlane_b32 s26, v1
	s_mul_i32 s25, s25, s26
	s_mul_hi_u32 s25, s26, s25
	s_add_i32 s26, s26, s25
	s_mul_hi_u32 s25, s28, s26
	s_mul_i32 s26, s25, s3
	s_ashr_i32 s24, s14, 31
	s_sub_i32 s26, s28, s26
	s_xor_b32 s24, s29, s24
	s_add_i32 s27, s25, 1
	s_sub_i32 s28, s26, s3
	s_cmp_ge_u32 s26, s3
	s_cselect_b32 s25, s27, s25
	s_cselect_b32 s26, s28, s26
	s_add_i32 s27, s25, 1
	s_cmp_ge_u32 s26, s3
	s_cselect_b32 s3, s27, s25
	s_xor_b32 s3, s3, s24
	s_sub_i32 s3, s3, s24
	s_abs_i32 s24, s3
	v_cvt_f32_u32_e32 v1, s24
	s_load_dwordx2 s[28:29], s[0:1], 0x80
	s_xor_b32 s0, s33, s3
	s_sub_i32 s3, 0, s24
	v_rcp_iflag_f32_e32 v1, v1
	s_abs_i32 s1, s33
	s_ashr_i32 s0, s0, 31
	s_mul_hi_i32 s46, s33, s12
	v_mul_f32_e32 v1, 0x4f7ffffe, v1
	v_cvt_u32_f32_e32 v1, v1
	s_mul_i32 s47, s33, s12
	v_lshrrev_b32_e32 v45, 3, v41
	v_lshlrev_b32_e32 v44, 3, v0
	v_readfirstlane_b32 s22, v1
	s_mul_i32 s3, s3, s22
	s_mul_hi_u32 s3, s22, s3
	s_add_i32 s22, s22, s3
	s_mul_hi_u32 s3, s1, s22
	s_mul_i32 s22, s3, s24
	s_sub_i32 s1, s1, s22
	s_add_i32 s22, s3, 1
	s_sub_i32 s23, s1, s24
	s_cmp_ge_u32 s1, s24
	s_cselect_b32 s3, s22, s3
	s_cselect_b32 s1, s23, s1
	s_add_i32 s22, s3, 1
	s_cmp_ge_u32 s1, s24
	s_cselect_b32 s1, s22, s3
	s_xor_b32 s1, s1, s0
	v_lshlrev_b32_e32 v1, 4, v42
	s_sub_i32 s48, s1, s0
	v_or_b32_e32 v46, v2, v1
	s_lshl_b32 s30, s2, 5
	v_or_b32_e32 v47, 64, v46
	s_cmp_lt_i32 s45, 64
	s_mul_i32 s40, s20, s17
	s_mul_hi_u32 s41, s20, s16
	s_mul_i32 s42, s21, s16
	s_mul_i32 s16, s20, s16
	v_mov_b32_e32 v64, 0
	v_mov_b32_e32 v62, 0
	;; [unrolled: 1-line block ×15, first 2 shown]
	s_cbranch_scc1 .LBB488_18
; %bb.1:
	s_ashr_i32 s51, s33, 31
	s_ashr_i32 s1, s34, 31
	s_add_u32 s0, s47, s34
	s_addc_u32 s1, s46, s1
	s_lshl_b64 s[0:1], s[0:1], 8
	v_and_b32_e32 v49, 56, v44
	s_add_u32 s0, s6, s0
	v_lshl_or_b32 v48, v42, 3, v45
	v_lshlrev_b32_e32 v3, 1, v49
	s_addc_u32 s1, s7, s1
	v_lshl_or_b32 v50, v48, 8, v3
	s_and_b32 s1, s1, 0xffff
	s_mov_b32 s3, 0x20000
	s_movk_i32 s2, 0x4000
	s_movk_i32 s17, 0x80
	v_or_b32_e32 v51, 0x2000, v50
	buffer_load_dwordx4 v[4:7], v50, s[0:3], 0 offen
	buffer_load_dwordx4 v[8:11], v50, s[0:3], s17 offen
	;; [unrolled: 1-line block ×4, first 2 shown]
	v_lshlrev_b32_e32 v20, 3, v48
	v_and_or_b32 v22, v0, 7, v20
	v_and_b32_e32 v20, 0x78, v20
	v_lshlrev_b32_e32 v22, 4, v22
	v_xor_b32_e32 v52, v22, v20
	v_mul_lo_u32 v21, v48, s15
	v_or_b32_e32 v53, 0x1000, v52
	s_cmpk_eq_i32 s15, 0x80
	s_mov_b32 s49, s13
	s_mov_b32 s50, s34
	v_xor_b32_e32 v20, 8, v52
	v_xor_b32_e32 v22, 8, v53
	s_cselect_b64 s[0:1], -1, 0
	s_cmpk_lg_i32 s15, 0x80
	s_waitcnt vmcnt(3)
	ds_write_b64 v52, v[4:5] offset:24576
	ds_write_b64 v20, v[6:7] offset:24576
	s_waitcnt vmcnt(2)
	ds_write_b64 v52, v[8:9] offset:32768
	ds_write_b64 v20, v[10:11] offset:32768
	s_waitcnt vmcnt(1)
	ds_write_b64 v52, v[12:13] offset:28672
	ds_write_b64 v22, v[14:15] offset:24576
	s_waitcnt vmcnt(0)
	ds_write_b64 v52, v[16:17] offset:36864
	ds_write_b64 v22, v[18:19] offset:32768
	v_lshl_add_u32 v4, v21, 1, v49
	s_cbranch_scc0 .LBB488_3
; %bb.2:
	v_lshlrev_b32_e32 v6, 1, v4
	v_add_lshl_u32 v5, v4, s15, 1
	s_lshl_b32 s22, s15, 7
	v_lshl_or_b32 v3, v48, 9, v3
	s_cbranch_execz .LBB488_4
	s_branch .LBB488_5
.LBB488_3:
                                        ; implicit-def: $vgpr5
                                        ; implicit-def: $vgpr6
                                        ; implicit-def: $sgpr22
	v_lshl_or_b32 v3, v48, 9, v3
.LBB488_4:
	v_or_b32_e32 v5, 0x100, v3
	s_movk_i32 s22, 0x4000
	v_mov_b32_e32 v6, v3
.LBB488_5:
	s_mul_i32 s2, s34, s14
	s_ashr_i32 s52, s48, 31
	s_mul_hi_i32 s3, s34, s14
	s_add_u32 s2, s2, s48
	s_addc_u32 s3, s3, s52
	s_lshl_b64 s[2:3], s[2:3], 8
	s_add_u32 s20, s4, s2
	s_addc_u32 s2, s5, s3
	s_and_b32 s21, s2, 0xffff
	s_mov_b32 s23, 0x20000
	s_movk_i32 s53, 0x80
	buffer_load_dwordx4 v[8:11], v6, s[20:23], 0 offen
	buffer_load_dwordx4 v[12:15], v6, s[20:23], s53 offen
	;; [unrolled: 1-line block ×4, first 2 shown]
	v_and_b32_e32 v5, 6, v0
	v_lshlrev_b32_e32 v24, 6, v46
	v_or_b32_e32 v26, 16, v40
	v_xor_b32_e32 v27, v48, v5
	v_and_b32_e32 v6, 1, v0
	s_mul_i32 s2, s33, s19
	s_mul_hi_u32 s3, s33, s18
	v_lshl_or_b32 v30, v40, 3, v24
	v_lshl_or_b32 v24, v26, 3, v24
	v_lshlrev_b32_e32 v27, 2, v27
	s_add_i32 s17, s41, s40
	v_lshlrev_b32_e32 v7, 2, v40
	s_mul_i32 s20, s51, s18
	v_or_b32_e32 v56, 0xa000, v24
	v_or_b32_e32 v57, 0xb000, v24
	v_xor_b32_e32 v24, 0x440, v27
	v_cmp_eq_u32_e32 vcc, 0, v6
	s_add_i32 s2, s3, s2
	s_add_i32 s17, s17, s42
	v_xor_b32_e32 v28, v46, v7
	v_xor_b32_e32 v29, v47, v7
	v_cndmask_b32_e32 v6, v24, v27, vcc
	s_add_i32 s3, s2, s20
	s_lshl_b64 s[20:21], s[16:17], 2
	s_mov_b32 s54, 0x1000504
	v_lshlrev_b32_e32 v25, 8, v40
	v_lshlrev_b32_e32 v26, 8, v26
	;; [unrolled: 1-line block ×4, first 2 shown]
	v_lshl_or_b32 v5, v5, 10, v6
	s_mul_i32 s2, s33, s18
	s_add_u32 s17, s10, s20
	s_mov_b32 s55, 0x3020706
	v_or_b32_e32 v54, 0xa000, v30
	v_or_b32_e32 v55, 0xb000, v30
	;; [unrolled: 1-line block ×5, first 2 shown]
	v_xor_b32_e32 v6, 8, v5
	v_xor_b32_e32 v25, 24, v5
	;; [unrolled: 1-line block ×4, first 2 shown]
	s_addc_u32 s20, s11, s21
	s_lshl_b64 s[2:3], s[2:3], 2
	v_or_b32_e32 v60, v26, v28
	v_xor_b32_e32 v24, 16, v5
	v_xor_b32_e32 v26, 32, v5
	;; [unrolled: 1-line block ×3, first 2 shown]
	v_add_u32_e32 v6, 0x80, v6
	v_add_u32_e32 v25, 0x80, v25
	;; [unrolled: 1-line block ×4, first 2 shown]
	s_add_u32 s2, s17, s2
	s_addc_u32 s3, s20, s3
	s_movk_i32 s20, 0xf8
	s_ashr_i32 s31, s30, 31
	s_lshl_b32 s26, s15, 7
	s_movk_i32 s24, 0x100
	v_mov_b32_e32 v35, 0
	v_lshlrev_b32_e32 v34, 4, v40
	v_cmp_gt_u32_e32 vcc, s24, v0
	s_mov_b32 s56, 0
	s_movk_i32 s17, 0x1000
	s_movk_i32 s22, 0x4000
	v_add_u32_e32 v91, v1, v2
	v_mov_b32_e32 v92, 0x3fb8aa3b
	v_mov_b32_e32 v73, v35
	;; [unrolled: 1-line block ×13, first 2 shown]
	s_waitcnt vmcnt(1)
	v_perm_b32 v30, v8, v16, s54
	s_waitcnt vmcnt(0)
	v_perm_b32 v31, v12, v20, s54
	v_perm_b32 v8, v8, v16, s55
	;; [unrolled: 1-line block ×15, first 2 shown]
	ds_write2st64_b32 v5, v30, v31 offset0:32 offset1:64
	ds_write2st64_b32 v6, v8, v12 offset0:32 offset1:64
	;; [unrolled: 1-line block ×8, first 2 shown]
	v_or_b32_e32 v5, v1, v40
	v_lshlrev_b32_e32 v5, 3, v5
	v_lshrrev_b32_e32 v8, 5, v41
	v_and_or_b32 v8, v5, s20, v8
	v_lshlrev_b32_e32 v8, 4, v8
	v_lshlrev_b32_e32 v9, 11, v42
	v_and_b32_e32 v5, 0x78, v5
	v_or_b32_e32 v13, 32, v8
	v_and_b32_e32 v6, 0x1000, v9
	v_lshrrev_b32_e32 v11, 1, v0
	v_xor_b32_e32 v13, v13, v5
	v_and_b32_e32 v12, 8, v11
	v_or_b32_e32 v13, v13, v6
	v_xor_b32_e32 v10, v8, v5
	v_xor_b32_e32 v76, v13, v12
	v_or_b32_e32 v13, 64, v8
	v_or_b32_e32 v8, 0x60, v8
	v_xor_b32_e32 v13, v13, v5
	v_xor_b32_e32 v5, v8, v5
	v_or_b32_e32 v10, v10, v6
	v_or_b32_e32 v13, v13, v6
	;; [unrolled: 1-line block ×3, first 2 shown]
	s_lshl_b64 s[20:21], s[30:31], 8
	v_xor_b32_e32 v70, v10, v12
	v_xor_b32_e32 v78, v13, v12
	;; [unrolled: 1-line block ×3, first 2 shown]
	v_lshlrev_b32_e32 v12, 1, v4
	v_add_lshl_u32 v13, v4, s15, 1
	s_add_u32 s20, s36, s20
	v_lshlrev_b32_e32 v4, 1, v40
	v_lshrrev_b32_e32 v15, 4, v0
	s_addc_u32 s21, s37, s21
	v_or_b32_e32 v5, 1, v4
	v_mov_b32_e32 v19, 0x4000
	v_mov_b32_e32 v20, 0x2000
	v_xor_b32_e32 v16, v15, v4
	v_xor_b32_e32 v17, v5, v15
	v_lshl_add_u64 v[4:5], s[20:21], 0, v[34:35]
	v_lshlrev_b32_e32 v34, 8, v15
	v_cndmask_b32_e32 v19, v19, v20, vcc
	v_lshlrev_b32_e32 v20, 3, v42
	v_and_b32_e32 v11, 24, v11
	v_lshl_or_b32 v82, v16, 3, v34
	v_and_b32_e32 v16, 8, v0
	v_xor_b32_e32 v21, v20, v11
	v_or_b32_e32 v22, 0x440, v21
	v_cmp_eq_u32_e32 vcc, 0, v16
	v_and_b32_e32 v15, 7, v0
	v_lshlrev_b32_e32 v10, 7, v43
	v_cndmask_b32_e32 v16, v22, v21, vcc
	v_lshl_or_b32 v83, v17, 3, v34
	v_lshlrev_b32_e32 v17, 3, v15
	v_lshlrev_b32_e32 v15, 7, v15
	;; [unrolled: 1-line block ×3, first 2 shown]
	v_or_b32_e32 v16, v16, v9
	v_or_b32_e32 v7, v10, v7
	v_xad_u32 v84, v16, v17, v15
	v_and_or_b32 v10, v18, 60, v10
	v_mov_b32_e32 v16, 0xb000
	v_lshl_or_b32 v85, v10, 1, v16
	v_or_b32_e32 v10, 32, v11
	v_xor_b32_e32 v10, v20, v10
	v_or_b32_e32 v16, 0x440, v10
	v_cndmask_b32_e32 v10, v16, v10, vcc
	v_or_b32_e32 v10, v10, v9
	v_xad_u32 v86, v10, v17, v15
	v_or_b32_e32 v10, 64, v11
	v_xor_b32_e32 v10, v20, v10
	v_xor_b32_e32 v16, 0x440, v10
	v_cndmask_b32_e32 v10, v16, v10, vcc
	v_or_b32_e32 v10, v10, v9
	v_xad_u32 v87, v10, v17, v15
	v_or_b32_e32 v10, 0x60, v11
	v_xor_b32_e32 v10, v20, v10
	v_xor_b32_e32 v11, 0x440, v10
	v_cndmask_b32_e32 v10, v11, v10, vcc
	v_lshlrev_b32_e32 v7, 1, v7
	v_or_b32_e32 v6, s30, v40
	v_or_b32_e32 v9, v10, v9
	;; [unrolled: 1-line block ×6, first 2 shown]
	v_lshlrev_b32_e32 v8, 7, v46
	v_ashrrev_i32_e32 v7, 31, v6
	v_or_b32_e32 v14, 0x100, v3
	v_xad_u32 v88, v9, v17, v15
	v_cndmask_b32_e64 v89, v12, v3, s[0:1]
	v_cndmask_b32_e64 v90, v13, v14, s[0:1]
	v_lshl_add_u64 v[36:37], v[6:7], 1, s[8:9]
	v_lshl_add_u64 v[38:39], v[4:5], 0, v[34:35]
	s_mov_b32 s31, 0x7060302
	v_lshlrev_b32_e32 v34, 1, v8
	v_add_u32_e32 v93, v19, v84
	v_add_u32_e32 v94, v19, v86
	;; [unrolled: 1-line block ×4, first 2 shown]
	v_mov_b32_e32 v63, v35
	v_mov_b32_e32 v62, v35
	;; [unrolled: 1-line block ×4, first 2 shown]
	s_waitcnt lgkmcnt(0)
	s_barrier
.LBB488_6:                              ; =>This Inner Loop Header: Depth=1
	s_add_i32 s57, s56, 1
	s_cmp_lt_i32 s57, s43
	s_mov_b64 s[24:25], 0
	s_cselect_b64 s[38:39], -1, 0
	s_cmp_ge_i32 s57, s43
	s_mov_b64 s[20:21], 0
	s_cbranch_scc1 .LBB488_8
; %bb.7:                                ;   in Loop: Header=BB488_6 Depth=1
	s_add_i32 s0, s50, 64
	s_ashr_i32 s1, s0, 31
	s_add_u32 s0, s47, s0
	s_addc_u32 s1, s46, s1
	s_lshl_b64 s[0:1], s[0:1], 8
	s_add_u32 s20, s6, s0
	s_addc_u32 s21, s7, s1
.LBB488_8:                              ;   in Loop: Header=BB488_6 Depth=1
	v_cndmask_b32_e64 v2, 0, 1, s[38:39]
	v_cmp_ne_u32_e64 s[0:1], 1, v2
	s_andn2_b64 vcc, exec, s[38:39]
	s_cbranch_vccnz .LBB488_10
; %bb.9:                                ;   in Loop: Header=BB488_6 Depth=1
	s_add_i32 s24, s50, 64
	s_mul_hi_i32 s25, s24, s14
	s_mul_i32 s24, s24, s14
	s_add_u32 s24, s24, s48
	s_addc_u32 s25, s25, s52
	s_lshl_b64 s[24:25], s[24:25], 8
	s_add_u32 s24, s4, s24
	s_addc_u32 s25, s5, s25
.LBB488_10:                             ;   in Loop: Header=BB488_6 Depth=1
	v_perm_b32 v3, v99, v75, s31
	v_perm_b32 v2, v72, v73, s31
	;; [unrolled: 1-line block ×4, first 2 shown]
	ds_write_b64 v54, v[2:3]
	ds_write_b64 v55, v[4:5]
	;; [unrolled: 1-line block ×4, first 2 shown]
	v_perm_b32 v3, v100, v67, s31
	v_perm_b32 v2, v65, v66, s31
	;; [unrolled: 1-line block ×4, first 2 shown]
	ds_write_b64 v56, v[2:3]
	ds_write_b64 v57, v[4:5]
	ds_write_b64 v60, v[2:3]
	ds_write_b64 v61, v[4:5]
	s_waitcnt lgkmcnt(0)
	s_barrier
	ds_read_b64 v[6:7], v70 offset:24576
	ds_read2_b64 v[2:5], v74 offset1:16
	ds_read_b64 v[10:11], v77 offset:3072
	ds_read_b64 v[12:13], v74 offset:3072
	;; [unrolled: 1-line block ×3, first 2 shown]
	s_waitcnt lgkmcnt(3)
	v_mfma_f32_16x16x16_bf16 a[0:3], v[6:7], v[2:3], 0
	s_add_i32 s27, s50, 63
	s_ashr_i32 s38, s27, 31
	s_mul_i32 s39, s27, s29
	v_mfma_f32_16x16x16_bf16 a[4:7], v[6:7], v[4:5], 0
	ds_read2st64_b64 v[2:5], v74 offset0:2 offset1:4
	s_mul_hi_u32 s58, s27, s28
	s_add_i32 s39, s58, s39
	s_waitcnt lgkmcnt(0)
	v_mfma_f32_16x16x16_bf16 a[0:3], v[14:15], v[2:3], a[0:3]
	ds_read2st64_b64 v[6:9], v77 offset0:2 offset1:4
	ds_read_b64 v[2:3], v78 offset:24576
	s_mul_i32 s38, s38, s28
	s_add_i32 s39, s39, s38
	s_waitcnt lgkmcnt(1)
	v_mfma_f32_16x16x16_bf16 a[4:7], v[14:15], v[6:7], a[4:7]
	ds_read_b64 v[6:7], v79 offset:24576
	s_mul_i32 s38, s27, s28
	s_lshl_b64 s[38:39], s[38:39], 2
	s_waitcnt lgkmcnt(1)
	v_mfma_f32_16x16x16_bf16 a[0:3], v[2:3], v[4:5], a[0:3]
	s_add_u32 s38, s2, s38
	s_addc_u32 s39, s3, s39
	s_and_b64 vcc, exec, s[0:1]
	v_mfma_f32_16x16x16_bf16 a[4:7], v[2:3], v[8:9], a[4:7]
	v_mov_b32_e32 v103, 0
	v_mov_b32_e32 v102, 0
	;; [unrolled: 1-line block ×3, first 2 shown]
	s_waitcnt lgkmcnt(0)
	v_mfma_f32_16x16x16_bf16 a[0:3], v[6:7], v[12:13], a[0:3]
	v_mov_b32_e32 v2, 0
	v_mov_b32_e32 v3, 0
	;; [unrolled: 1-line block ×3, first 2 shown]
	v_mfma_f32_16x16x16_bf16 a[4:7], v[6:7], v[10:11], a[4:7]
	v_mov_b32_e32 v5, 0
	v_mov_b32_e32 v6, 0
	;; [unrolled: 1-line block ×13, first 2 shown]
	s_cbranch_vccnz .LBB488_12
; %bb.11:                               ;   in Loop: Header=BB488_6 Depth=1
	s_and_b32 s21, s21, 0xffff
	buffer_load_dwordx4 v[14:17], v50, s[20:23], 0 offen
	buffer_load_dwordx4 v[10:13], v50, s[20:23], s53 offen
	;; [unrolled: 1-line block ×4, first 2 shown]
	v_mov_b32_e32 v102, v52
	v_mov_b32_e32 v101, v53
.LBB488_12:                             ;   in Loop: Header=BB488_6 Depth=1
	s_waitcnt vmcnt(4)
	ds_read_b64 v[22:23], v70 offset:32768
	s_waitcnt vmcnt(2)
	ds_read2_b64 v[18:21], v80 offset1:16
	ds_read_b64 v[26:27], v76 offset:32768
	ds_read_b64 v[28:29], v78 offset:32768
	;; [unrolled: 1-line block ×3, first 2 shown]
	v_add_u32_e32 v32, s50, v91
	s_waitcnt lgkmcnt(3)
	v_mfma_f32_16x16x16_bf16 a[0:3], v[22:23], v[18:19], a[0:3]
	v_mul_lo_u32 v33, v32, s29
	v_mfma_f32_16x16x16_bf16 a[4:7], v[22:23], v[20:21], a[4:7]
	ds_read2st64_b64 v[18:21], v80 offset0:2 offset1:4
	ds_read2st64_b64 v[22:25], v81 offset0:2 offset1:4
	s_waitcnt lgkmcnt(1)
	v_mfma_f32_16x16x16_bf16 a[0:3], v[26:27], v[18:19], a[0:3]
	v_ashrrev_i32_e32 v18, 31, v32
	v_mul_lo_u32 v104, v18, s28
	v_mad_u64_u32 v[18:19], s[20:21], v32, s28, 0
	v_mfma_f32_16x16x16_bf16 a[0:3], v[28:29], v[20:21], a[0:3]
	v_add_u32_e32 v20, 1, v32
	v_ashrrev_i32_e32 v21, 31, v20
	v_add3_u32 v19, v19, v33, v104
	s_waitcnt lgkmcnt(0)
	v_mfma_f32_16x16x16_bf16 a[4:7], v[26:27], v[22:23], a[4:7]
	v_mul_lo_u32 v22, v21, s28
	v_mul_lo_u32 v23, v20, s29
	v_mad_u64_u32 v[20:21], s[20:21], v20, s28, 0
	v_add3_u32 v21, v21, v23, v22
	v_add_u32_e32 v22, 2, v32
	v_ashrrev_i32_e32 v23, 31, v22
	v_mul_lo_u32 v26, v23, s28
	v_mul_lo_u32 v27, v22, s29
	v_mad_u64_u32 v[22:23], s[20:21], v22, s28, 0
	v_add3_u32 v23, v23, v27, v26
	v_add_u32_e32 v26, 3, v32
	v_ashrrev_i32_e32 v27, 31, v26
	v_mul_lo_u32 v32, v27, s28
	v_mul_lo_u32 v33, v26, s29
	v_mad_u64_u32 v[26:27], s[20:21], v26, s28, 0
	v_add3_u32 v27, v27, v33, v32
	s_ashr_i32 s21, s50, 31
	v_lshl_add_u64 v[18:19], v[18:19], 2, s[2:3]
	v_lshl_add_u64 v[26:27], v[26:27], 2, s[2:3]
	s_add_u32 s20, s47, s50
	v_lshl_add_u64 v[20:21], v[20:21], 2, s[2:3]
	v_lshl_add_u64 v[22:23], v[22:23], 2, s[2:3]
	global_load_dword v32, v[18:19], off
	global_load_dword v33, v[20:21], off
	;; [unrolled: 1-line block ×3, first 2 shown]
	s_nop 0
	global_load_dword v26, v[26:27], off
	s_addc_u32 s21, s46, s21
	s_lshl_b64 s[20:21], s[20:21], 8
	v_lshl_add_u64 v[18:19], v[36:37], 0, s[20:21]
	v_lshl_add_u64 v[18:19], v[18:19], 0, v[34:35]
	global_load_ushort v27, v[18:19], off offset:256
	global_load_ushort v105, v[18:19], off
	global_load_ushort v106, v[18:19], off offset:768
	global_load_ushort v107, v[18:19], off offset:512
	ds_read_b64 v[20:21], v80 offset:3072
	ds_read_b64 v[22:23], v81 offset:3072
	global_load_ushort v108, v[18:19], off offset:800
	global_load_ushort v109, v[18:19], off offset:544
	;; [unrolled: 1-line block ×4, first 2 shown]
	s_load_dword s20, s[38:39], 0x0
	v_mfma_f32_16x16x16_bf16 a[4:7], v[28:29], v[24:25], a[4:7]
	s_and_b64 vcc, exec, s[0:1]
	s_waitcnt vmcnt(11) lgkmcnt(0)
	v_sub_f32_e32 v24, s20, v32
	v_mfma_f32_16x16x16_bf16 a[0:3], v[30:31], v[20:21], a[0:3]
	s_waitcnt vmcnt(10)
	v_sub_f32_e32 v29, s20, v33
	v_mul_f32_e32 v28, 0x3fb8aa3b, v24
	v_mul_f32_e32 v29, 0x3fb8aa3b, v29
	v_mfma_f32_16x16x16_bf16 a[4:7], v[30:31], v[22:23], a[4:7]
	s_waitcnt vmcnt(9)
	v_sub_f32_e32 v30, s20, v104
	s_waitcnt vmcnt(8)
	v_sub_f32_e32 v31, s20, v26
	v_mul_f32_e32 v30, 0x3fb8aa3b, v30
	v_mul_f32_e32 v31, 0x3fb8aa3b, v31
	v_exp_f32_e32 v28, v28
	v_exp_f32_e32 v29, v29
	;; [unrolled: 1-line block ×4, first 2 shown]
	v_accvgpr_read_b32 v23, a1
	v_accvgpr_read_b32 v19, a3
	v_accvgpr_read_b32 v18, a2
	v_accvgpr_read_b32 v22, a0
	s_waitcnt vmcnt(7)
	v_lshlrev_b32_e32 v25, 16, v27
	s_waitcnt vmcnt(6)
	v_lshlrev_b32_e32 v24, 16, v105
	;; [unrolled: 2-line block ×4, first 2 shown]
	v_pk_add_f32 v[22:23], v[24:25], v[22:23] neg_lo:[0,1] neg_hi:[0,1]
	v_pk_add_f32 v[18:19], v[26:27], v[18:19] neg_lo:[0,1] neg_hi:[0,1]
	v_pk_mul_f32 v[22:23], v[28:29], v[22:23]
	v_pk_mul_f32 v[18:19], v[30:31], v[18:19]
	v_accvgpr_read_b32 v25, a5
	v_perm_b32 v19, v19, v18, s31
	v_perm_b32 v18, v23, v22, s31
	s_waitcnt vmcnt(1)
	v_lshlrev_b32_e32 v23, 16, v110
	s_waitcnt vmcnt(0)
	v_lshlrev_b32_e32 v22, 16, v111
	v_accvgpr_read_b32 v24, a4
	v_accvgpr_read_b32 v21, a7
	;; [unrolled: 1-line block ×3, first 2 shown]
	v_pk_add_f32 v[22:23], v[22:23], v[24:25] neg_lo:[0,1] neg_hi:[0,1]
	v_lshlrev_b32_e32 v25, 16, v108
	v_lshlrev_b32_e32 v24, 16, v109
	v_pk_add_f32 v[20:21], v[24:25], v[20:21] neg_lo:[0,1] neg_hi:[0,1]
	v_pk_mul_f32 v[22:23], v[28:29], v[22:23]
	v_pk_mul_f32 v[20:21], v[30:31], v[20:21]
	v_mov_b32_e32 v104, 0
	v_perm_b32 v21, v21, v20, s31
	v_perm_b32 v20, v23, v22, s31
	ds_write2_b64 v55, v[18:19], v[20:21] offset1:16
	v_mov_b32_e32 v18, 0
	v_mov_b32_e32 v19, 0
	v_mov_b32_e32 v20, 0
	v_mov_b32_e32 v21, 0
	v_mov_b32_e32 v22, 0
	v_mov_b32_e32 v23, 0
	v_mov_b32_e32 v24, 0
	v_mov_b32_e32 v25, 0
	v_mov_b32_e32 v26, 0
	v_mov_b32_e32 v27, 0
	v_mov_b32_e32 v28, 0
	v_mov_b32_e32 v29, 0
	v_mov_b32_e32 v30, 0
	v_mov_b32_e32 v31, 0
	v_mov_b32_e32 v32, 0
	v_mov_b32_e32 v33, 0
	s_cbranch_vccnz .LBB488_14
; %bb.13:                               ;   in Loop: Header=BB488_6 Depth=1
	s_and_b32 s25, s25, 0xffff
	s_mov_b32 s27, s23
	buffer_load_dwordx4 v[30:33], v89, s[24:27], 0 offen
	buffer_load_dwordx4 v[22:25], v89, s[24:27], s53 offen
	;; [unrolled: 1-line block ×4, first 2 shown]
	v_mov_b32_e32 v103, v49
	v_mov_b32_e32 v104, v48
.LBB488_14:                             ;   in Loop: Header=BB488_6 Depth=1
	s_waitcnt lgkmcnt(0)
	s_barrier
	ds_read_b64 v[110:111], v93
	ds_read_b64 v[118:119], v85
	;; [unrolled: 1-line block ×5, first 2 shown]
	ds_read_b64 v[124:125], v86 offset:16384
	ds_read_b64 v[126:127], v84 offset:16384
	ds_read2_b64 v[106:109], v80 offset0:16 offset1:128
	s_waitcnt lgkmcnt(6)
	v_mfma_f32_16x16x16_bf16 a[0:3], v[110:111], v[118:119], 0
	ds_read_b64 v[128:129], v81 offset:3072
	ds_read_b64 v[130:131], v88 offset:16384
	s_add_i32 s21, s44, s56
	s_waitcnt lgkmcnt(2)
	v_mfma_f32_16x16x16_bf16 a[4:7], v[110:111], v[106:107], 0
	ds_read2st64_b64 v[110:113], v81 offset0:2 offset1:4
	s_mul_hi_i32 s25, s21, s49
	s_mul_i32 s21, s21, s49
	v_mfma_f32_16x16x16_bf16 a[0:3], v[114:115], v[108:109], a[0:3]
	s_add_u32 s24, s21, s33
	s_addc_u32 s25, s25, s51
	s_lshl_b64 s[24:25], s[24:25], 15
	s_waitcnt lgkmcnt(0)
	v_mfma_f32_16x16x16_bf16 a[4:7], v[114:115], v[110:111], a[4:7]
	ds_read2st64_b64 v[114:117], v80 offset0:4 offset1:6
	s_waitcnt lgkmcnt(0)
	v_mfma_f32_16x16x16_bf16 a[0:3], v[120:121], v[114:115], a[0:3]
	v_mfma_f32_16x16x16_bf16 a[8:11], v[120:121], v[112:113], a[4:7]
	;; [unrolled: 1-line block ×5, first 2 shown]
	ds_read2st64_b64 v[118:121], v83 offset1:8
	v_mfma_f32_16x16x16_bf16 a[12:15], v[126:127], v[106:107], 0
	ds_read_b64 v[126:127], v87 offset:16384
	v_mfma_f32_16x16x16_bf16 a[8:11], v[124:125], v[108:109], a[8:11]
	ds_read2st64_b64 v[106:109], v82 offset1:8
	s_waitcnt lgkmcnt(0)
	v_mov_b32_e32 v122, v106
	v_mfma_f32_16x16x16_bf16 a[12:15], v[124:125], v[110:111], a[12:15]
	v_lshl_add_u64 v[110:111], v[38:39], 0, s[24:25]
	v_add_co_u32_e32 v106, vcc, s17, v110
	v_mfma_f32_16x16x16_bf16 a[8:11], v[126:127], v[114:115], a[8:11]
	v_mov_b32_e32 v123, v107
	v_addc_co_u32_e32 v107, vcc, 0, v111, vcc
	v_mfma_f32_16x16x16_bf16 a[16:19], v[126:127], v[112:113], a[12:15]
	v_mov_b32_e32 v124, v118
	v_mov_b32_e32 v125, v119
	;; [unrolled: 1-line block ×3, first 2 shown]
	v_mfma_f32_16x16x16_bf16 a[12:15], v[130:131], v[116:117], a[8:11]
	v_mov_b32_e32 v119, v109
	s_and_b64 vcc, exec, s[0:1]
	global_store_dwordx4 v[110:111], v[122:125], off
	v_mfma_f32_16x16x16_bf16 a[8:11], v[130:131], v[128:129], a[16:19]
	global_store_dwordx4 v[106:107], v[118:121], off
	s_cbranch_vccnz .LBB488_16
; %bb.15:                               ;   in Loop: Header=BB488_6 Depth=1
	v_lshrrev_b32_e32 v105, 3, v103
	v_and_b32_e32 v105, 6, v105
	v_xor_b32_e32 v104, v105, v104
	v_lshlrev_b32_e32 v104, 2, v104
	v_and_b32_e32 v103, 8, v103
	v_xor_b32_e32 v106, 0x440, v104
	v_cmp_eq_u32_e32 vcc, 0, v103
	s_barrier
	s_nop 0
	v_cndmask_b32_e32 v103, v106, v104, vcc
	v_lshl_or_b32 v103, v105, 10, v103
	s_waitcnt vmcnt(3)
	v_perm_b32 v104, v30, v26, s54
	s_waitcnt vmcnt(2)
	v_perm_b32 v105, v22, v18, s54
	ds_write2st64_b32 v103, v104, v105 offset0:32 offset1:64
	v_xor_b32_e32 v104, 8, v103
	v_perm_b32 v26, v30, v26, s55
	v_perm_b32 v18, v22, v18, s55
	v_add_u32_e32 v22, 0x80, v104
	ds_write2st64_b32 v22, v26, v18 offset0:32 offset1:64
	v_xor_b32_e32 v18, 16, v103
	v_perm_b32 v22, v31, v27, s54
	v_perm_b32 v26, v23, v19, s54
	ds_write2st64_b32 v18, v22, v26 offset0:33 offset1:65
	v_xor_b32_e32 v18, 24, v103
	v_perm_b32 v22, v31, v27, s55
	v_perm_b32 v19, v23, v19, s55
	v_add_u32_e32 v18, 0x80, v18
	ds_write2st64_b32 v18, v22, v19 offset0:33 offset1:65
	v_xor_b32_e32 v18, 32, v103
	v_perm_b32 v19, v32, v28, s54
	;; [unrolled: 9-line block ×3, first 2 shown]
	v_perm_b32 v20, v25, v21, s54
	ds_write2st64_b32 v18, v19, v20 offset0:35 offset1:67
	v_xor_b32_e32 v18, 56, v103
	v_perm_b32 v19, v33, v29, s55
	v_perm_b32 v20, v25, v21, s55
	v_add_u32_e32 v18, 0x80, v18
	ds_write2st64_b32 v18, v19, v20 offset0:35 offset1:67
	ds_write_b64 v102, v[14:15] offset:24576
	v_xor_b32_e32 v14, 8, v102
	ds_write_b64 v14, v[16:17] offset:24576
	ds_write_b64 v102, v[10:11] offset:32768
	;; [unrolled: 1-line block ×4, first 2 shown]
	v_xor_b32_e32 v6, 8, v101
	ds_write_b64 v6, v[8:9] offset:24576
	ds_write_b64 v101, v[2:3] offset:32768
	;; [unrolled: 1-line block ×3, first 2 shown]
.LBB488_16:                             ;   in Loop: Header=BB488_6 Depth=1
	v_mul_f32_e32 v2, s20, v92
	v_exp_f32_e32 v2, v2
	v_accvgpr_read_b32 v3, a4
	v_accvgpr_read_b32 v4, a5
	;; [unrolled: 1-line block ×3, first 2 shown]
	v_fma_f32 v73, v73, v2, v3
	v_accvgpr_read_b32 v3, a6
	v_fma_f32 v75, v75, v2, v3
	v_accvgpr_read_b32 v3, a0
	;; [unrolled: 2-line block ×11, first 2 shown]
	v_accvgpr_read_b32 v6, a15
	v_fma_f32 v64, v64, v2, v3
	v_accvgpr_read_b32 v3, a11
	s_add_i32 s50, s50, 64
	v_fmac_f32_e32 v5, v99, v2
	v_fmac_f32_e32 v4, v100, v2
	;; [unrolled: 1-line block ×3, first 2 shown]
	s_cmp_eq_u32 s43, s57
	v_fmac_f32_e32 v3, v98, v2
	s_cbranch_scc1 .LBB488_18
; %bb.17:                               ;   in Loop: Header=BB488_6 Depth=1
	s_mov_b32 s56, s57
	v_mov_b32_e32 v99, v5
	v_mov_b32_e32 v97, v6
	;; [unrolled: 1-line block ×4, first 2 shown]
	s_branch .LBB488_6
.LBB488_18:
	s_lshl_b32 s0, s43, 6
	s_sub_i32 s45, s45, s0
	s_cmp_gt_i32 s45, 0
	s_cbranch_scc0 .LBB488_83
; %bb.19:
	s_add_i32 s34, s0, s34
	s_ashr_i32 s2, s34, 31
	s_cmpk_lg_i32 s15, 0x80
	s_cselect_b64 s[26:27], -1, 0
	s_and_b64 vcc, exec, s[26:27]
	s_cbranch_vccz .LBB488_21
; %bb.20:
	s_mul_i32 s1, s34, s14
	s_ashr_i32 s3, s48, 31
	s_mul_hi_i32 s0, s34, s14
	s_add_u32 s38, s1, s48
	s_addc_u32 s39, s0, s3
	s_cbranch_execz .LBB488_22
	s_branch .LBB488_23
.LBB488_21:
                                        ; implicit-def: $sgpr38_sgpr39
.LBB488_22:
	s_mul_i32 s1, s48, s12
	s_mul_hi_i32 s0, s48, s12
	s_add_u32 s38, s1, s34
	s_addc_u32 s39, s0, s2
.LBB488_23:
	s_add_i32 s3, s43, s44
	s_ashr_i32 s12, s33, 31
	s_add_u32 s0, s47, s34
	s_addc_u32 s1, s46, s2
	v_lshlrev_b32_e32 v10, 5, v46
	s_waitcnt vmcnt(4)
	v_lshlrev_b32_e32 v22, 2, v40
	s_mov_b32 s2, 0x7060302
	v_xor_b32_e32 v2, v46, v22
	v_perm_b32 v9, v5, v75, s2
	v_or_b32_e32 v5, v10, v22
	v_perm_b32 v8, v72, v73, s2
	v_perm_b32 v7, v6, v71, s2
	;; [unrolled: 1-line block ×3, first 2 shown]
	v_lshlrev_b32_e32 v5, 1, v5
	v_lshlrev_b32_e32 v12, 1, v2
	;; [unrolled: 1-line block ×3, first 2 shown]
	s_lshl_b64 s[24:25], s[0:1], 8
	v_xor_b32_e32 v11, v47, v22
	ds_write2st64_b64 v5, v[8:9], v[6:7] offset0:80 offset1:88
	v_or_b32_e32 v5, v12, v2
	s_add_u32 s0, s6, s24
	ds_write_b64 v5, v[8:9]
	v_lshlrev_b32_e32 v8, 1, v11
	s_addc_u32 s1, s7, s25
	v_or_b32_e32 v2, v8, v2
	s_mul_hi_i32 s6, s3, s13
	s_mul_i32 s3, s3, s13
	ds_write_b64 v2, v[6:7]
	v_perm_b32 v5, v4, v67, s2
	v_perm_b32 v4, v65, v66, s2
	;; [unrolled: 1-line block ×4, first 2 shown]
	v_or_b32_e32 v6, 16, v40
	s_add_u32 s2, s3, s33
	s_waitcnt vmcnt(2)
	v_lshlrev_b32_e32 v19, 2, v6
	s_addc_u32 s3, s6, s12
	v_or_b32_e32 v7, v10, v19
	s_ashr_i32 s31, s30, 31
	s_lshl_b64 s[2:3], s[2:3], 15
	v_lshlrev_b32_e32 v7, 1, v7
	v_lshlrev_b32_e32 v6, 8, v6
	s_add_u32 s6, s36, s2
	ds_write2st64_b64 v7, v[4:5], v[2:3] offset0:80 offset1:88
	v_or_b32_e32 v7, v12, v6
	s_addc_u32 s7, s37, s3
	s_lshl_b64 s[2:3], s[30:31], 8
	ds_write_b64 v7, v[4:5]
	v_or_b32_e32 v4, v8, v6
	s_add_u32 s2, s6, s2
	ds_write_b64 v4, v[2:3]
	v_lshrrev_b32_e32 v2, 4, v0
	s_addc_u32 s3, s7, s3
	v_lshlrev_b32_e32 v3, 1, v40
	v_lshlrev_b32_e32 v10, 4, v40
	v_mov_b32_e32 v11, 0
	v_or_b32_e32 v4, 1, v3
	v_xor_b32_e32 v3, v2, v3
	v_lshl_add_u64 v[12:13], s[2:3], 0, v[10:11]
	v_lshlrev_b32_e32 v10, 8, v2
	v_xor_b32_e32 v6, v4, v2
	v_lshl_or_b32 v2, v3, 3, v10
	s_waitcnt lgkmcnt(0)
	s_barrier
	ds_read2st64_b64 v[2:5], v2 offset1:8
	v_lshl_or_b32 v6, v6, 3, v10
	ds_read2st64_b64 v[6:9], v6 offset1:8
	v_lshl_add_u64 v[14:15], v[12:13], 0, v[10:11]
	s_movk_i32 s2, 0x1000
	s_waitcnt lgkmcnt(1)
	v_mov_b32_e32 v10, v2
	v_add_co_u32_e32 v2, vcc, s2, v14
	s_cmp_lg_u32 s45, 64
	v_mov_b32_e32 v11, v3
	v_addc_co_u32_e32 v3, vcc, 0, v15, vcc
	s_cselect_b64 s[6:7], -1, 0
	v_lshl_or_b32 v23, v42, 3, v45
	s_waitcnt lgkmcnt(0)
	v_mov_b32_e32 v12, v6
	v_mov_b32_e32 v13, v7
	;; [unrolled: 1-line block ×4, first 2 shown]
	s_mov_b32 s20, 0
	v_or_b32_e32 v20, 32, v23
	v_and_b32_e32 v18, 56, v44
	s_and_b64 vcc, exec, s[6:7]
	global_store_dwordx4 v[14:15], v[10:13], off
	global_store_dwordx4 v[2:3], v[6:9], off
	s_cbranch_vccz .LBB488_29
; %bb.24:
	s_mov_b32 s21, s20
	s_mov_b32 s22, s20
	;; [unrolled: 1-line block ×3, first 2 shown]
	v_mov_b64_e32 v[6:7], s[20:21]
	v_mov_b64_e32 v[8:9], s[22:23]
	;; [unrolled: 1-line block ×3, first 2 shown]
	v_cmp_gt_i32_e32 vcc, s45, v23
	v_mov_b64_e32 v[4:5], v[8:9]
	s_and_saveexec_b64 s[2:3], vcc
	s_cbranch_execz .LBB488_26
; %bb.25:
	v_lshlrev_b32_e32 v2, 8, v23
	v_mov_b32_e32 v3, 0
	v_lshl_add_u64 v[4:5], s[0:1], 0, v[2:3]
	v_lshlrev_b32_e32 v2, 1, v18
	v_lshl_add_u64 v[10:11], v[4:5], 0, v[2:3]
	global_load_dwordx4 v[6:9], v[10:11], off
	global_load_dwordx4 v[2:5], v[10:11], off offset:128
.LBB488_26:
	s_or_b64 exec, exec, s[2:3]
	s_mov_b32 s21, s20
	s_mov_b32 s22, s20
	;; [unrolled: 1-line block ×3, first 2 shown]
	v_mov_b64_e32 v[14:15], s[20:21]
	v_mov_b64_e32 v[16:17], s[22:23]
	v_mov_b64_e32 v[10:11], v[14:15]
	v_cmp_gt_i32_e32 vcc, s45, v20
	v_lshlrev_b32_e32 v21, 7, v20
	v_mov_b64_e32 v[12:13], v[16:17]
	s_and_saveexec_b64 s[2:3], vcc
	s_cbranch_execz .LBB488_28
; %bb.27:
	v_lshlrev_b32_e32 v10, 1, v21
	v_mov_b32_e32 v11, 0
	v_lshl_add_u64 v[12:13], s[0:1], 0, v[10:11]
	v_lshlrev_b32_e32 v10, 1, v18
	v_lshl_add_u64 v[24:25], v[12:13], 0, v[10:11]
	global_load_dwordx4 v[14:17], v[24:25], off
	global_load_dwordx4 v[10:13], v[24:25], off offset:128
.LBB488_28:
	s_or_b64 exec, exec, s[2:3]
	v_lshrrev_b32_e32 v24, 3, v18
	v_lshlrev_b32_e32 v25, 3, v23
	v_or_b32_e32 v24, v25, v24
	v_lshlrev_b32_e32 v24, 4, v24
	v_and_b32_e32 v25, 0x78, v25
	v_xor_b32_e32 v24, v24, v25
	s_branch .LBB488_31
.LBB488_29:
                                        ; implicit-def: $vgpr24
                                        ; implicit-def: $vgpr21
                                        ; implicit-def: $vgpr6_vgpr7_vgpr8_vgpr9
                                        ; implicit-def: $vgpr2_vgpr3_vgpr4_vgpr5
                                        ; implicit-def: $vgpr14_vgpr15_vgpr16_vgpr17
                                        ; implicit-def: $vgpr10_vgpr11_vgpr12_vgpr13
	s_cbranch_execz .LBB488_31
; %bb.30:
	s_waitcnt vmcnt(0)
	v_lshlrev_b32_e32 v2, 1, v18
	v_lshl_or_b32 v21, v23, 8, v2
	s_and_b32 s1, s1, 0xffff
	s_mov_b32 s3, 0x20000
	s_movk_i32 s2, 0x4000
	v_lshl_or_b32 v24, v20, 8, v2
	s_movk_i32 s13, 0x80
	buffer_load_dwordx4 v[6:9], v21, s[0:3], 0 offen
	buffer_load_dwordx4 v[2:5], v21, s[0:3], s13 offen
	;; [unrolled: 1-line block ×4, first 2 shown]
	v_lshrrev_b32_e32 v21, 3, v18
	v_lshlrev_b32_e32 v24, 3, v23
	v_or_b32_e32 v21, v24, v21
	v_lshlrev_b32_e32 v21, 4, v21
	v_and_b32_e32 v24, 0x78, v24
	v_xor_b32_e32 v24, v21, v24
	v_lshlrev_b32_e32 v21, 7, v20
.LBB488_31:
	s_lshl_b64 s[0:1], s[38:39], 8
	s_add_u32 s4, s4, s0
	s_movk_i32 s0, 0x1000
	v_and_or_b32 v20, v21, s0, v24
	s_waitcnt vmcnt(1)
	ds_write_b64 v24, v[6:7] offset:24576
	v_xor_b32_e32 v6, 8, v24
	ds_write_b64 v6, v[8:9] offset:24576
	s_waitcnt vmcnt(0)
	ds_write_b64 v24, v[2:3] offset:32768
	ds_write_b64 v6, v[4:5] offset:32768
	;; [unrolled: 1-line block ×3, first 2 shown]
	v_xor_b32_e32 v2, 8, v20
	ds_write_b64 v2, v[16:17] offset:24576
	ds_write_b64 v20, v[10:11] offset:32768
	;; [unrolled: 1-line block ×3, first 2 shown]
	v_or_b32_e32 v2, v1, v40
	v_lshlrev_b32_e32 v3, 11, v42
	v_lshlrev_b32_e32 v2, 3, v2
	v_and_b32_e32 v6, 0x1000, v3
	v_lshrrev_b32_e32 v3, 5, v41
	s_movk_i32 s13, 0xf8
	v_and_or_b32 v3, v2, s13, v3
	v_lshlrev_b32_e32 v7, 4, v3
	v_and_b32_e32 v8, 0x78, v2
	v_or_b32_e32 v10, 32, v7
	v_lshrrev_b32_e32 v3, 1, v41
	v_xor_b32_e32 v10, v10, v8
	v_xor_b32_e32 v2, v7, v8
	v_and_b32_e32 v9, 8, v3
	v_or_b32_e32 v10, v10, v6
	v_or_b32_e32 v2, v2, v6
	v_xor_b32_e32 v26, v10, v9
	v_or_b32_e32 v10, 64, v7
	v_xor_b32_e32 v25, v2, v9
	v_xor_b32_e32 v10, v10, v8
	s_waitcnt lgkmcnt(0)
	s_barrier
	v_or_b32_e32 v12, v10, v6
	ds_read_b64 v[10:11], v25 offset:24576
	v_lshl_or_b32 v20, v43, 7, v22
	v_lshlrev_b32_e32 v24, 1, v20
	v_add_u32_e32 v2, 0xa000, v24
	ds_read2_b64 v[2:5], v2 offset1:16
	v_or_b32_e32 v7, 0x60, v7
	v_xor_b32_e32 v7, v7, v8
	s_waitcnt lgkmcnt(0)
	v_mfma_f32_16x16x16_bf16 a[0:3], v[10:11], v[2:3], 0
	v_or_b32_e32 v2, 64, v20
	v_or_b32_e32 v6, v7, v6
	v_lshlrev_b32_e32 v29, 1, v2
	v_xor_b32_e32 v27, v12, v9
	v_xor_b32_e32 v28, v6, v9
	ds_read_b64 v[12:13], v26 offset:24576
	ds_read_b64 v[14:15], v27 offset:24576
	;; [unrolled: 1-line block ×3, first 2 shown]
	v_mfma_f32_16x16x16_bf16 a[4:7], v[10:11], v[4:5], 0
	ds_read2st64_b64 v[2:5], v29 offset0:82 offset1:84
	ds_read2st64_b64 v[6:9], v24 offset0:82 offset1:84
	s_addc_u32 s5, s5, s1
	s_add_i32 s0, s41, s40
	s_add_i32 s2, s35, -1
	s_add_i32 s17, s0, s42
	s_mul_i32 s0, s33, s19
	s_mul_hi_u32 s1, s33, s18
	s_add_i32 s0, s1, s0
	s_mul_i32 s1, s12, s18
	s_ashr_i32 s3, s2, 31
	s_mul_i32 s12, s2, s29
	s_mul_hi_u32 s13, s2, s28
	s_add_i32 s12, s13, s12
	s_mul_i32 s3, s3, s28
	s_waitcnt lgkmcnt(1)
	v_mfma_f32_16x16x16_bf16 a[4:7], v[12:13], v[2:3], a[4:7]
	s_add_i32 s1, s0, s1
	s_add_i32 s3, s12, s3
	s_lshl_b64 s[12:13], s[16:17], 2
	s_waitcnt lgkmcnt(0)
	v_mfma_f32_16x16x16_bf16 a[0:3], v[12:13], v[6:7], a[0:3]
	s_mul_i32 s0, s33, s18
	s_add_u32 s10, s10, s12
	s_addc_u32 s11, s11, s13
	s_lshl_b64 s[0:1], s[0:1], 2
	s_mul_i32 s2, s2, s28
	s_add_u32 s10, s10, s0
	ds_read_b64 v[2:3], v24 offset:44032
	v_mfma_f32_16x16x16_bf16 a[4:7], v[14:15], v[4:5], a[4:7]
	ds_read_b64 v[4:5], v29 offset:44032
	s_addc_u32 s11, s11, s1
	s_lshl_b64 s[0:1], s[2:3], 2
	v_mfma_f32_16x16x16_bf16 a[0:3], v[14:15], v[8:9], a[0:3]
	s_add_u32 s0, s10, s0
	s_addc_u32 s1, s11, s1
	s_load_dword s12, s[0:1], 0x0
	s_waitcnt lgkmcnt(0)
	v_mfma_f32_16x16x16_bf16 a[0:3], v[16:17], v[2:3], a[0:3]
	s_and_b64 vcc, exec, s[26:27]
	v_mfma_f32_16x16x16_bf16 a[4:7], v[16:17], v[4:5], a[4:7]
	s_cbranch_vccz .LBB488_42
; %bb.32:
	v_lshlrev_b32_e32 v20, 1, v23
	s_and_b64 vcc, exec, s[6:7]
	s_cbranch_vccz .LBB488_43
; %bb.33:
	v_cmp_gt_i32_e32 vcc, s45, v20
	v_mov_b32_e32 v6, 0
	v_mov_b32_e32 v2, 0
	;; [unrolled: 1-line block ×5, first 2 shown]
	s_and_saveexec_b64 s[0:1], vcc
	s_cbranch_execz .LBB488_35
; %bb.34:
	v_mad_i64_i32 v[2:3], s[2:3], s15, v20, 0
	v_lshl_add_u64 v[2:3], v[2:3], 1, s[4:5]
	v_lshlrev_b32_e32 v4, 1, v18
	v_mov_b32_e32 v5, 0
	v_lshl_add_u64 v[2:3], v[2:3], 0, v[4:5]
	global_load_dwordx4 v[2:5], v[2:3], off
.LBB488_35:
	s_or_b64 exec, exec, s[0:1]
	v_or_b32_e32 v21, 1, v20
	v_cmp_gt_i32_e64 s[0:1], s45, v21
	v_mov_b32_e32 v7, 0
	v_mov_b32_e32 v8, 0
	;; [unrolled: 1-line block ×3, first 2 shown]
	s_and_saveexec_b64 s[2:3], s[0:1]
	s_cbranch_execz .LBB488_37
; %bb.36:
	v_mad_i64_i32 v[6:7], s[16:17], s15, v21, 0
	v_lshl_add_u64 v[6:7], v[6:7], 1, s[4:5]
	v_lshlrev_b32_e32 v8, 1, v18
	v_mov_b32_e32 v9, 0
	v_lshl_add_u64 v[6:7], v[6:7], 0, v[8:9]
	global_load_dwordx4 v[6:9], v[6:7], off
.LBB488_37:
	s_or_b64 exec, exec, s[2:3]
	v_mov_b32_e32 v17, 0
	v_mov_b32_e32 v10, 0
	;; [unrolled: 1-line block ×5, first 2 shown]
	s_and_saveexec_b64 s[2:3], vcc
	s_cbranch_execz .LBB488_39
; %bb.38:
	v_mad_i64_i32 v[10:11], s[16:17], s15, v20, 0
	v_lshl_add_u64 v[10:11], v[10:11], 1, s[4:5]
	v_lshlrev_b32_e32 v12, 1, v18
	v_mov_b32_e32 v13, 0
	v_lshl_add_u64 v[10:11], v[10:11], 0, v[12:13]
	global_load_dwordx4 v[10:13], v[10:11], off offset:128
.LBB488_39:
	s_or_b64 exec, exec, s[2:3]
	v_mov_b32_e32 v16, 0
	v_mov_b32_e32 v15, 0
	;; [unrolled: 1-line block ×3, first 2 shown]
	s_and_saveexec_b64 s[2:3], s[0:1]
	s_cbranch_execz .LBB488_41
; %bb.40:
	v_mad_i64_i32 v[14:15], s[0:1], s15, v21, 0
	v_lshl_add_u64 v[14:15], v[14:15], 1, s[4:5]
	v_lshlrev_b32_e32 v16, 1, v18
	v_mov_b32_e32 v17, 0
	v_lshl_add_u64 v[14:15], v[14:15], 0, v[16:17]
	global_load_dwordx4 v[14:17], v[14:15], off offset:128
.LBB488_41:
	s_or_b64 exec, exec, s[2:3]
	s_branch .LBB488_45
.LBB488_42:
                                        ; implicit-def: $vgpr5
                                        ; implicit-def: $vgpr9
                                        ; implicit-def: $vgpr13
                                        ; implicit-def: $vgpr17
	v_lshrrev_b32_e32 v30, 2, v41
	s_branch .LBB488_46
.LBB488_43:
                                        ; implicit-def: $vgpr5
                                        ; implicit-def: $vgpr9
                                        ; implicit-def: $vgpr13
                                        ; implicit-def: $vgpr17
	s_cbranch_execz .LBB488_45
; %bb.44:
	s_waitcnt vmcnt(0)
	v_mad_u64_u32 v[2:3], s[0:1], v20, s15, v[18:19]
	v_lshlrev_b32_e32 v20, 1, v2
	s_lshl_b32 s2, s15, 7
	s_and_b32 s1, s5, 0xffff
	s_mov_b32 s3, 0x20000
	s_mov_b32 s0, s4
	v_add_lshl_u32 v21, v2, s15, 1
	s_movk_i32 s13, 0x80
	buffer_load_dwordx4 v[2:5], v20, s[0:3], 0 offen
	buffer_load_dwordx4 v[10:13], v20, s[0:3], s13 offen
	;; [unrolled: 1-line block ×4, first 2 shown]
.LBB488_45:
	v_lshrrev_b32_e32 v30, 2, v41
	s_cbranch_execnz .LBB488_58
.LBB488_46:
	s_and_b64 vcc, exec, s[6:7]
	s_cbranch_vccz .LBB488_56
; %bb.47:
	s_waitcnt vmcnt(0)
	v_lshlrev_b32_e32 v7, 1, v23
	v_cmp_gt_i32_e32 vcc, s45, v7
	v_mov_b32_e32 v6, 0
	v_lshlrev_b32_e32 v14, 9, v23
	v_mov_b32_e32 v2, 0
	v_mov_b32_e32 v3, 0
	;; [unrolled: 1-line block ×4, first 2 shown]
	s_and_saveexec_b64 s[0:1], vcc
	s_cbranch_execz .LBB488_49
; %bb.48:
	v_mov_b32_e32 v15, 0
	v_lshl_add_u64 v[2:3], s[4:5], 0, v[14:15]
	v_lshlrev_b32_e32 v4, 1, v18
	v_mov_b32_e32 v5, v15
	v_lshl_add_u64 v[2:3], v[2:3], 0, v[4:5]
	global_load_dwordx4 v[2:5], v[2:3], off
.LBB488_49:
	s_or_b64 exec, exec, s[0:1]
	v_or_b32_e32 v7, 1, v7
	v_cmp_gt_i32_e64 s[0:1], s45, v7
	v_lshlrev_b32_e32 v20, 8, v7
	v_mov_b32_e32 v7, 0
	v_mov_b32_e32 v8, 0
	;; [unrolled: 1-line block ×3, first 2 shown]
	s_and_saveexec_b64 s[2:3], s[0:1]
	s_cbranch_execz .LBB488_51
; %bb.50:
	v_mov_b32_e32 v21, 0
	v_lshl_add_u64 v[6:7], s[4:5], 0, v[20:21]
	v_lshlrev_b32_e32 v8, 1, v18
	v_mov_b32_e32 v9, v21
	v_lshl_add_u64 v[6:7], v[6:7], 0, v[8:9]
	global_load_dwordx4 v[6:9], v[6:7], off
.LBB488_51:
	s_or_b64 exec, exec, s[2:3]
	v_mov_b32_e32 v17, 0
	v_mov_b32_e32 v10, 0
	;; [unrolled: 1-line block ×5, first 2 shown]
	s_and_saveexec_b64 s[2:3], vcc
	s_cbranch_execz .LBB488_53
; %bb.52:
	v_mov_b32_e32 v15, 0
	v_lshl_add_u64 v[10:11], s[4:5], 0, v[14:15]
	v_lshlrev_b32_e32 v14, 1, v18
	v_lshl_add_u64 v[10:11], v[10:11], 0, v[14:15]
	global_load_dwordx4 v[10:13], v[10:11], off offset:128
.LBB488_53:
	s_or_b64 exec, exec, s[2:3]
	v_mov_b32_e32 v16, 0
	v_mov_b32_e32 v15, 0
	;; [unrolled: 1-line block ×3, first 2 shown]
	s_and_saveexec_b64 s[2:3], s[0:1]
	s_cbranch_execz .LBB488_55
; %bb.54:
	v_mov_b32_e32 v21, 0
	v_lshl_add_u64 v[14:15], s[4:5], 0, v[20:21]
	v_lshlrev_b32_e32 v20, 1, v18
	v_lshl_add_u64 v[14:15], v[14:15], 0, v[20:21]
	global_load_dwordx4 v[14:17], v[14:15], off offset:128
.LBB488_55:
	s_or_b64 exec, exec, s[2:3]
	s_branch .LBB488_58
.LBB488_56:
                                        ; implicit-def: $vgpr5
                                        ; implicit-def: $vgpr9
                                        ; implicit-def: $vgpr13
                                        ; implicit-def: $vgpr17
	s_cbranch_execz .LBB488_58
; %bb.57:
	s_waitcnt vmcnt(0)
	v_lshlrev_b32_e32 v2, 1, v18
	v_lshl_or_b32 v18, v23, 9, v2
	s_and_b32 s5, s5, 0xffff
	s_mov_b32 s7, 0x20000
	s_movk_i32 s6, 0x4000
	s_movk_i32 s0, 0x80
	buffer_load_dwordx4 v[2:5], v18, s[4:7], 0 offen
	buffer_load_dwordx4 v[6:9], v18, s[4:7], 0 offen offset:256
	buffer_load_dwordx4 v[10:13], v18, s[4:7], s0 offen
	buffer_load_dwordx4 v[14:17], v18, s[4:7], s0 offen offset:256
.LBB488_58:
	ds_read_b64 v[20:21], v25 offset:32768
	v_add_u32_e32 v18, 0xb000, v24
	ds_read2_b64 v[32:35], v18 offset1:16
	ds_read_b64 v[42:43], v26 offset:32768
	ds_read_b64 v[26:27], v27 offset:32768
	;; [unrolled: 1-line block ×3, first 2 shown]
	v_and_b32_e32 v18, 6, v0
	v_xor_b32_e32 v23, v23, v18
	v_lshlrev_b32_e32 v23, 2, v23
	v_and_b32_e32 v0, 1, v0
	v_xor_b32_e32 v28, 0x440, v23
	v_cmp_eq_u32_e32 vcc, 0, v0
	s_waitcnt lgkmcnt(3)
	v_mfma_f32_16x16x16_bf16 a[0:3], v[20:21], v[32:33], a[0:3]
	s_mov_b32 s0, 0x1000504
	v_cndmask_b32_e32 v0, v28, v23, vcc
	v_lshl_or_b32 v0, v18, 10, v0
	v_mfma_f32_16x16x16_bf16 a[4:7], v[20:21], v[34:35], a[4:7]
	ds_read2st64_b64 v[32:35], v24 offset0:90 offset1:92
	ds_read2st64_b64 v[36:39], v29 offset0:90 offset1:92
	ds_read_b64 v[20:21], v24 offset:48128
	ds_read_b64 v[24:25], v29 offset:48128
	s_waitcnt vmcnt(0)
	v_perm_b32 v18, v2, v6, s0
	s_waitcnt lgkmcnt(3)
	v_mfma_f32_16x16x16_bf16 a[0:3], v[42:43], v[32:33], a[0:3]
	s_mov_b32 s1, 0x3020706
	v_perm_b32 v2, v2, v6, s1
	v_perm_b32 v6, v10, v14, s1
	s_waitcnt lgkmcnt(2)
	v_mfma_f32_16x16x16_bf16 a[4:7], v[42:43], v[36:37], a[4:7]
	v_mfma_f32_16x16x16_bf16 a[0:3], v[26:27], v[34:35], a[0:3]
	;; [unrolled: 1-line block ×3, first 2 shown]
	s_waitcnt lgkmcnt(1)
	v_mfma_f32_16x16x16_bf16 a[4:7], v[44:45], v[20:21], a[0:3]
	v_perm_b32 v20, v10, v14, s0
	ds_write2st64_b32 v0, v18, v20 offset0:32 offset1:64
	v_xor_b32_e32 v18, 8, v0
	v_add_u32_e32 v10, 0x80, v18
	ds_write2st64_b32 v10, v2, v6 offset0:32 offset1:64
	v_xor_b32_e32 v2, 16, v0
	v_perm_b32 v6, v3, v7, s0
	v_perm_b32 v10, v11, v15, s0
	ds_write2st64_b32 v2, v6, v10 offset0:33 offset1:65
	v_xor_b32_e32 v2, 24, v0
	v_perm_b32 v3, v3, v7, s1
	v_perm_b32 v6, v11, v15, s1
	v_add_u32_e32 v2, 0x80, v2
	ds_write2st64_b32 v2, v3, v6 offset0:33 offset1:65
	v_xor_b32_e32 v2, 32, v0
	v_perm_b32 v3, v4, v8, s0
	v_perm_b32 v6, v12, v16, s0
	ds_write2st64_b32 v2, v3, v6 offset0:34 offset1:66
	v_xor_b32_e32 v2, 40, v0
	s_waitcnt lgkmcnt(5)
	v_mfma_f32_16x16x16_bf16 a[0:3], v[44:45], v[24:25], a[8:11]
	v_perm_b32 v3, v4, v8, s1
	v_perm_b32 v4, v12, v16, s1
	v_add_u32_e32 v2, 0x80, v2
	ds_write2st64_b32 v2, v3, v4 offset0:34 offset1:66
	v_xor_b32_e32 v2, 48, v0
	v_perm_b32 v3, v5, v9, s0
	v_perm_b32 v4, v13, v17, s0
	ds_write2st64_b32 v2, v3, v4 offset0:35 offset1:67
	v_xor_b32_e32 v0, 56, v0
	v_perm_b32 v3, v13, v17, s1
	v_and_or_b32 v17, v30, 12, v1
	v_perm_b32 v2, v5, v9, s1
	v_add_u32_e32 v0, 0x80, v0
	v_cmp_gt_i32_e32 vcc, s45, v17
	v_mov_b32_e32 v14, 0
	v_mov_b32_e32 v16, 0
	ds_write2st64_b32 v0, v2, v3 offset0:35 offset1:67
	s_and_saveexec_b64 s[0:1], vcc
	s_cbranch_execz .LBB488_60
; %bb.59:
	v_add_u32_e32 v0, s34, v17
	v_ashrrev_i32_e32 v1, 31, v0
	v_mul_lo_u32 v2, v1, s28
	v_mul_lo_u32 v3, v0, s29
	v_mad_u64_u32 v[0:1], s[2:3], v0, s28, 0
	v_add3_u32 v1, v1, v3, v2
	v_lshl_add_u64 v[0:1], v[0:1], 2, s[10:11]
	global_load_dword v0, v[0:1], off
	s_waitcnt vmcnt(0)
	v_sub_f32_e32 v0, s12, v0
	v_mul_f32_e32 v0, 0x3fb8aa3b, v0
	v_exp_f32_e32 v16, v0
.LBB488_60:
	s_or_b64 exec, exec, s[0:1]
	v_or_b32_e32 v8, 1, v17
	v_cmp_gt_i32_e64 s[0:1], s45, v8
	s_and_saveexec_b64 s[2:3], s[0:1]
	s_cbranch_execz .LBB488_62
; %bb.61:
	v_add_u32_e32 v0, s34, v8
	v_ashrrev_i32_e32 v1, 31, v0
	v_mul_lo_u32 v2, v1, s28
	v_mul_lo_u32 v3, v0, s29
	v_mad_u64_u32 v[0:1], s[4:5], v0, s28, 0
	v_add3_u32 v1, v1, v3, v2
	v_lshl_add_u64 v[0:1], v[0:1], 2, s[10:11]
	global_load_dword v0, v[0:1], off
	s_waitcnt vmcnt(0)
	v_sub_f32_e32 v0, s12, v0
	v_mul_f32_e32 v0, 0x3fb8aa3b, v0
	v_exp_f32_e32 v14, v0
.LBB488_62:
	s_or_b64 exec, exec, s[2:3]
	v_or_b32_e32 v10, 2, v17
	v_cmp_gt_i32_e64 s[2:3], s45, v10
	v_mov_b32_e32 v15, 0
	v_mov_b32_e32 v18, 0
	s_and_saveexec_b64 s[4:5], s[2:3]
	s_cbranch_execz .LBB488_64
; %bb.63:
	v_add_u32_e32 v0, s34, v10
	v_ashrrev_i32_e32 v1, 31, v0
	v_mul_lo_u32 v2, v1, s28
	v_mul_lo_u32 v3, v0, s29
	v_mad_u64_u32 v[0:1], s[6:7], v0, s28, 0
	v_add3_u32 v1, v1, v3, v2
	v_lshl_add_u64 v[0:1], v[0:1], 2, s[10:11]
	global_load_dword v0, v[0:1], off
	s_waitcnt vmcnt(0)
	v_sub_f32_e32 v0, s12, v0
	v_mul_f32_e32 v0, 0x3fb8aa3b, v0
	v_exp_f32_e32 v18, v0
.LBB488_64:
	s_or_b64 exec, exec, s[4:5]
	v_or_b32_e32 v12, 3, v17
	v_cmp_gt_i32_e64 s[4:5], s45, v12
	s_and_saveexec_b64 s[6:7], s[4:5]
	s_cbranch_execz .LBB488_66
; %bb.65:
	v_add_u32_e32 v0, s34, v12
	v_ashrrev_i32_e32 v1, 31, v0
	v_mul_lo_u32 v2, v1, s28
	v_mul_lo_u32 v3, v0, s29
	v_mad_u64_u32 v[0:1], s[14:15], v0, s28, 0
	v_add3_u32 v1, v1, v3, v2
	v_lshl_add_u64 v[0:1], v[0:1], 2, s[10:11]
	global_load_dword v0, v[0:1], off
	s_waitcnt vmcnt(0)
	v_sub_f32_e32 v0, s12, v0
	v_mul_f32_e32 v0, 0x3fb8aa3b, v0
	v_exp_f32_e32 v15, v0
.LBB488_66:
	s_or_b64 exec, exec, s[6:7]
	v_or_b32_e32 v4, s30, v40
	s_add_u32 s6, s8, s24
	v_accvgpr_read_b32 v0, a4
	s_addc_u32 s7, s9, s25
	v_ashrrev_i32_e32 v5, 31, v4
	v_accvgpr_read_b32 v1, a5
	v_accvgpr_read_b32 v2, a6
	;; [unrolled: 1-line block ×3, first 2 shown]
	v_lshl_add_u64 v[4:5], v[4:5], 1, s[6:7]
	v_mov_b32_e32 v9, 0
	v_lshlrev_b32_e32 v6, 8, v17
	v_mov_b32_e32 v7, 0
	s_and_saveexec_b64 s[6:7], vcc
	s_cbranch_execz .LBB488_68
; %bb.67:
	v_mov_b32_e32 v7, 0
	v_lshl_add_u64 v[20:21], v[4:5], 0, v[6:7]
	global_load_ushort v7, v[20:21], off
	s_waitcnt vmcnt(0)
	v_lshlrev_b32_e32 v7, 16, v7
	v_sub_f32_e32 v0, v7, v0
	v_mul_f32_e32 v0, v16, v0
	v_lshrrev_b32_e32 v7, 16, v0
.LBB488_68:
	s_or_b64 exec, exec, s[6:7]
	v_lshlrev_b32_e32 v8, 8, v8
	s_and_saveexec_b64 s[6:7], s[0:1]
	s_cbranch_execz .LBB488_70
; %bb.69:
	v_mov_b32_e32 v9, 0
	v_lshl_add_u64 v[20:21], v[4:5], 0, v[8:9]
	global_load_ushort v0, v[20:21], off
	s_waitcnt vmcnt(0)
	v_lshlrev_b32_e32 v0, 16, v0
	v_sub_f32_e32 v0, v0, v1
	v_mul_f32_e32 v0, v14, v0
	v_lshrrev_b32_e32 v9, 16, v0
.LBB488_70:
	s_or_b64 exec, exec, s[6:7]
	v_mov_b32_e32 v13, 0
	v_lshlrev_b32_e32 v10, 8, v10
	v_mov_b32_e32 v11, 0
	s_and_saveexec_b64 s[6:7], s[2:3]
	s_cbranch_execz .LBB488_72
; %bb.71:
	v_mov_b32_e32 v11, 0
	v_lshl_add_u64 v[0:1], v[4:5], 0, v[10:11]
	global_load_ushort v0, v[0:1], off
	s_waitcnt vmcnt(0)
	v_lshlrev_b32_e32 v0, 16, v0
	v_sub_f32_e32 v0, v0, v2
	v_mul_f32_e32 v0, v18, v0
	v_lshrrev_b32_e32 v11, 16, v0
.LBB488_72:
	s_or_b64 exec, exec, s[6:7]
	v_lshlrev_b32_e32 v12, 8, v12
	s_and_saveexec_b64 s[6:7], s[4:5]
	s_cbranch_execz .LBB488_74
; %bb.73:
	v_mov_b32_e32 v13, 0
	v_lshl_add_u64 v[0:1], v[4:5], 0, v[12:13]
	global_load_ushort v0, v[0:1], off
	s_waitcnt vmcnt(0)
	v_lshlrev_b32_e32 v0, 16, v0
	v_sub_f32_e32 v0, v0, v3
	v_mul_f32_e32 v0, v15, v0
	v_lshrrev_b32_e32 v13, 16, v0
.LBB488_74:
	s_or_b64 exec, exec, s[6:7]
	v_lshlrev_b32_e32 v17, 5, v17
	s_mov_b32 s6, 0x5040100
	v_perm_b32 v20, v9, v7, s6
	v_or_b32_e32 v7, v17, v22
	v_accvgpr_read_b32 v0, a0
	v_perm_b32 v21, v13, v11, s6
	v_lshlrev_b32_e32 v7, 1, v7
	v_accvgpr_read_b32 v1, a1
	v_accvgpr_read_b32 v2, a2
	;; [unrolled: 1-line block ×3, first 2 shown]
	ds_write_b64 v7, v[20:21] offset:45056
	v_mov_b32_e32 v9, 0
	v_mov_b32_e32 v7, 0
	s_and_saveexec_b64 s[6:7], vcc
	s_cbranch_execz .LBB488_76
; %bb.75:
	v_mov_b32_e32 v7, 0
	v_lshl_add_u64 v[6:7], v[4:5], 0, v[6:7]
	global_load_ushort v6, v[6:7], off offset:32
	s_waitcnt vmcnt(0)
	v_lshlrev_b32_e32 v6, 16, v6
	v_sub_f32_e32 v0, v6, v0
	v_mul_f32_e32 v0, v16, v0
	v_lshrrev_b32_e32 v7, 16, v0
.LBB488_76:
	s_or_b64 exec, exec, s[6:7]
	s_and_saveexec_b64 s[6:7], s[0:1]
	s_cbranch_execz .LBB488_78
; %bb.77:
	v_mov_b32_e32 v9, 0
	v_lshl_add_u64 v[8:9], v[4:5], 0, v[8:9]
	global_load_ushort v0, v[8:9], off offset:32
	s_waitcnt vmcnt(0)
	v_lshlrev_b32_e32 v0, 16, v0
	v_sub_f32_e32 v0, v0, v1
	v_mul_f32_e32 v0, v14, v0
	v_lshrrev_b32_e32 v9, 16, v0
.LBB488_78:
	s_or_b64 exec, exec, s[6:7]
	v_mov_b32_e32 v0, 0
	v_mov_b32_e32 v1, 0
	s_and_saveexec_b64 s[0:1], s[2:3]
	s_cbranch_execz .LBB488_80
; %bb.79:
	v_mov_b32_e32 v11, 0
	v_lshl_add_u64 v[10:11], v[4:5], 0, v[10:11]
	global_load_ushort v1, v[10:11], off offset:32
	s_waitcnt vmcnt(0)
	v_lshlrev_b32_e32 v1, 16, v1
	v_sub_f32_e32 v1, v1, v2
	v_mul_f32_e32 v1, v18, v1
	v_lshrrev_b32_e32 v1, 16, v1
.LBB488_80:
	s_or_b64 exec, exec, s[0:1]
	s_and_saveexec_b64 s[0:1], s[4:5]
	s_cbranch_execz .LBB488_82
; %bb.81:
	v_mov_b32_e32 v13, 0
	v_lshl_add_u64 v[4:5], v[4:5], 0, v[12:13]
	global_load_ushort v0, v[4:5], off offset:32
	s_waitcnt vmcnt(0)
	v_lshlrev_b32_e32 v0, 16, v0
	v_sub_f32_e32 v0, v0, v3
	v_mul_f32_e32 v0, v15, v0
	v_lshrrev_b32_e32 v0, 16, v0
.LBB488_82:
	s_or_b64 exec, exec, s[0:1]
	s_mov_b32 s0, 0x5040100
	v_or_b32_e32 v2, v17, v19
	v_perm_b32 v1, v0, v1, s0
	v_perm_b32 v0, v9, v7, s0
	v_lshlrev_b32_e32 v2, 1, v2
	ds_write_b64 v2, v[0:1] offset:45056
	s_waitcnt lgkmcnt(0)
	s_barrier
.LBB488_83:
	s_endpgm
	.section	.rodata,"a",@progbits
	.p2align	6, 0x0
	.amdhsa_kernel _ZN12_GLOBAL__N_139chunk_gated_delta_rule_fwd_h_hip_kernelILi32ELb0ELb0ELb0ELb1ELb0ELb0ELb1ELb0EEEvPK12hip_bfloat16S3_S3_PKfS5_PKvPS1_S8_PvPKiSB_iiiiilll
		.amdhsa_group_segment_fixed_size 49152
		.amdhsa_private_segment_fixed_size 0
		.amdhsa_kernarg_size 136
		.amdhsa_user_sgpr_count 2
		.amdhsa_user_sgpr_dispatch_ptr 0
		.amdhsa_user_sgpr_queue_ptr 0
		.amdhsa_user_sgpr_kernarg_segment_ptr 1
		.amdhsa_user_sgpr_dispatch_id 0
		.amdhsa_user_sgpr_kernarg_preload_length 0
		.amdhsa_user_sgpr_kernarg_preload_offset 0
		.amdhsa_user_sgpr_private_segment_size 0
		.amdhsa_uses_dynamic_stack 0
		.amdhsa_enable_private_segment 0
		.amdhsa_system_sgpr_workgroup_id_x 1
		.amdhsa_system_sgpr_workgroup_id_y 1
		.amdhsa_system_sgpr_workgroup_id_z 0
		.amdhsa_system_sgpr_workgroup_info 0
		.amdhsa_system_vgpr_workitem_id 0
		.amdhsa_next_free_vgpr 152
		.amdhsa_next_free_sgpr 59
		.amdhsa_accum_offset 132
		.amdhsa_reserve_vcc 1
		.amdhsa_float_round_mode_32 0
		.amdhsa_float_round_mode_16_64 0
		.amdhsa_float_denorm_mode_32 3
		.amdhsa_float_denorm_mode_16_64 3
		.amdhsa_dx10_clamp 1
		.amdhsa_ieee_mode 1
		.amdhsa_fp16_overflow 0
		.amdhsa_tg_split 0
		.amdhsa_exception_fp_ieee_invalid_op 0
		.amdhsa_exception_fp_denorm_src 0
		.amdhsa_exception_fp_ieee_div_zero 0
		.amdhsa_exception_fp_ieee_overflow 0
		.amdhsa_exception_fp_ieee_underflow 0
		.amdhsa_exception_fp_ieee_inexact 0
		.amdhsa_exception_int_div_zero 0
	.end_amdhsa_kernel
	.section	.text._ZN12_GLOBAL__N_139chunk_gated_delta_rule_fwd_h_hip_kernelILi32ELb0ELb0ELb0ELb1ELb0ELb0ELb1ELb0EEEvPK12hip_bfloat16S3_S3_PKfS5_PKvPS1_S8_PvPKiSB_iiiiilll,"axG",@progbits,_ZN12_GLOBAL__N_139chunk_gated_delta_rule_fwd_h_hip_kernelILi32ELb0ELb0ELb0ELb1ELb0ELb0ELb1ELb0EEEvPK12hip_bfloat16S3_S3_PKfS5_PKvPS1_S8_PvPKiSB_iiiiilll,comdat
.Lfunc_end488:
	.size	_ZN12_GLOBAL__N_139chunk_gated_delta_rule_fwd_h_hip_kernelILi32ELb0ELb0ELb0ELb1ELb0ELb0ELb1ELb0EEEvPK12hip_bfloat16S3_S3_PKfS5_PKvPS1_S8_PvPKiSB_iiiiilll, .Lfunc_end488-_ZN12_GLOBAL__N_139chunk_gated_delta_rule_fwd_h_hip_kernelILi32ELb0ELb0ELb0ELb1ELb0ELb0ELb1ELb0EEEvPK12hip_bfloat16S3_S3_PKfS5_PKvPS1_S8_PvPKiSB_iiiiilll
                                        ; -- End function
	.section	.AMDGPU.csdata,"",@progbits
; Kernel info:
; codeLenInByte = 8368
; NumSgprs: 65
; NumVgprs: 132
; NumAgprs: 20
; TotalNumVgprs: 152
; ScratchSize: 0
; MemoryBound: 0
; FloatMode: 240
; IeeeMode: 1
; LDSByteSize: 49152 bytes/workgroup (compile time only)
; SGPRBlocks: 8
; VGPRBlocks: 18
; NumSGPRsForWavesPerEU: 65
; NumVGPRsForWavesPerEU: 152
; AccumOffset: 132
; Occupancy: 1
; WaveLimiterHint : 1
; COMPUTE_PGM_RSRC2:SCRATCH_EN: 0
; COMPUTE_PGM_RSRC2:USER_SGPR: 2
; COMPUTE_PGM_RSRC2:TRAP_HANDLER: 0
; COMPUTE_PGM_RSRC2:TGID_X_EN: 1
; COMPUTE_PGM_RSRC2:TGID_Y_EN: 1
; COMPUTE_PGM_RSRC2:TGID_Z_EN: 0
; COMPUTE_PGM_RSRC2:TIDIG_COMP_CNT: 0
; COMPUTE_PGM_RSRC3_GFX90A:ACCUM_OFFSET: 32
; COMPUTE_PGM_RSRC3_GFX90A:TG_SPLIT: 0
	.section	.text._ZN12_GLOBAL__N_139chunk_gated_delta_rule_fwd_h_hip_kernelILi32ELb1ELb1ELb1ELb0ELb0ELb0ELb1ELb0EEEvPK12hip_bfloat16S3_S3_PKfS5_PKvPS1_S8_PvPKiSB_iiiiilll,"axG",@progbits,_ZN12_GLOBAL__N_139chunk_gated_delta_rule_fwd_h_hip_kernelILi32ELb1ELb1ELb1ELb0ELb0ELb0ELb1ELb0EEEvPK12hip_bfloat16S3_S3_PKfS5_PKvPS1_S8_PvPKiSB_iiiiilll,comdat
	.globl	_ZN12_GLOBAL__N_139chunk_gated_delta_rule_fwd_h_hip_kernelILi32ELb1ELb1ELb1ELb0ELb0ELb0ELb1ELb0EEEvPK12hip_bfloat16S3_S3_PKfS5_PKvPS1_S8_PvPKiSB_iiiiilll ; -- Begin function _ZN12_GLOBAL__N_139chunk_gated_delta_rule_fwd_h_hip_kernelILi32ELb1ELb1ELb1ELb0ELb0ELb0ELb1ELb0EEEvPK12hip_bfloat16S3_S3_PKfS5_PKvPS1_S8_PvPKiSB_iiiiilll
	.p2align	8
	.type	_ZN12_GLOBAL__N_139chunk_gated_delta_rule_fwd_h_hip_kernelILi32ELb1ELb1ELb1ELb0ELb0ELb0ELb1ELb0EEEvPK12hip_bfloat16S3_S3_PKfS5_PKvPS1_S8_PvPKiSB_iiiiilll,@function
_ZN12_GLOBAL__N_139chunk_gated_delta_rule_fwd_h_hip_kernelILi32ELb1ELb1ELb1ELb0ELb0ELb0ELb1ELb0EEEvPK12hip_bfloat16S3_S3_PKfS5_PKvPS1_S8_PvPKiSB_iiiiilll: ; @_ZN12_GLOBAL__N_139chunk_gated_delta_rule_fwd_h_hip_kernelILi32ELb1ELb1ELb1ELb0ELb0ELb0ELb1ELb0EEEvPK12hip_bfloat16S3_S3_PKfS5_PKvPS1_S8_PvPKiSB_iiiiilll
; %bb.0:
	s_load_dwordx4 s[20:23], s[0:1], 0x5c
	s_load_dwordx4 s[24:27], s[0:1], 0x70
	s_abs_i32 s6, s3
	s_ashr_i32 s5, s3, 31
	v_and_b32_e32 v68, 15, v0
	s_waitcnt lgkmcnt(0)
	s_abs_i32 s4, s21
	v_cvt_f32_u32_e32 v1, s4
	s_sub_i32 s8, 0, s4
	s_ashr_i32 s7, s21, 31
	s_xor_b32 s5, s5, s7
	v_rcp_iflag_f32_e32 v1, v1
	v_bfe_u32 v67, v0, 4, 2
	v_mov_b32_e32 v51, 0
	v_lshlrev_b32_e32 v69, 3, v0
	v_mul_f32_e32 v1, 0x4f7ffffe, v1
	v_cvt_u32_f32_e32 v1, v1
	s_nop 0
	v_readfirstlane_b32 s9, v1
	s_mul_i32 s8, s8, s9
	s_mul_hi_u32 s8, s9, s8
	s_add_i32 s9, s9, s8
	s_mul_hi_u32 s8, s6, s9
	s_mul_i32 s9, s8, s4
	s_sub_i32 s6, s6, s9
	s_add_i32 s10, s8, 1
	s_sub_i32 s9, s6, s4
	s_cmp_ge_u32 s6, s4
	s_cselect_b32 s8, s10, s8
	s_cselect_b32 s6, s9, s6
	s_add_i32 s9, s8, 1
	s_cmp_ge_u32 s6, s4
	s_cselect_b32 s6, s9, s8
	s_xor_b32 s6, s6, s5
	s_add_i32 s8, s20, 63
	s_sub_i32 s54, s6, s5
	s_ashr_i32 s9, s8, 31
	s_mul_i32 s12, s54, s21
	s_sub_i32 s52, s3, s12
	s_lshr_b32 s3, s9, 26
	s_add_i32 s8, s8, s3
	s_abs_i32 s3, s22
	v_cvt_f32_u32_e32 v1, s3
	s_ashr_i32 s53, s20, 31
	s_lshr_b32 s5, s53, 26
	s_add_i32 s5, s20, s5
	v_rcp_iflag_f32_e32 v1, v1
	s_ashr_i32 s57, s22, 31
	s_ashr_i32 s55, s5, 6
	s_xor_b32 s5, s7, s57
	v_mul_f32_e32 v1, 0x4f7ffffe, v1
	v_cvt_u32_f32_e32 v1, v1
	s_sub_i32 s6, 0, s3
	s_ashr_i32 s28, s8, 6
	s_lshl_b32 s2, s2, 5
	v_readfirstlane_b32 s7, v1
	s_mul_i32 s6, s6, s7
	s_mul_hi_u32 s6, s7, s6
	s_add_i32 s7, s7, s6
	s_mul_hi_u32 s6, s4, s7
	s_mul_i32 s7, s6, s3
	s_sub_i32 s4, s4, s7
	s_add_i32 s7, s6, 1
	s_sub_i32 s8, s4, s3
	s_cmp_ge_u32 s4, s3
	s_cselect_b32 s6, s7, s6
	s_cselect_b32 s4, s8, s4
	s_add_i32 s7, s6, 1
	s_cmp_ge_u32 s4, s3
	s_cselect_b32 s3, s7, s6
	s_xor_b32 s3, s3, s5
	s_sub_i32 s3, s3, s5
	s_abs_i32 s13, s3
	v_cvt_f32_u32_e32 v1, s13
	s_sub_i32 s15, 0, s13
	s_abs_i32 s14, s52
	s_xor_b32 s3, s52, s3
	v_rcp_iflag_f32_e32 v2, v1
	s_ashr_i32 s3, s3, 31
	s_load_dwordx8 s[4:11], s[0:1], 0x28
	v_lshrrev_b32_e32 v1, 6, v0
	v_mul_f32_e32 v2, 0x4f7ffffe, v2
	v_cvt_u32_f32_e32 v2, v2
	v_or_b32_e32 v56, s2, v68
	v_lshlrev_b32_e32 v66, 4, v1
	v_lshlrev_b32_e32 v52, 7, v56
	v_readfirstlane_b32 s16, v2
	s_mul_i32 s15, s15, s16
	s_mul_hi_u32 s15, s16, s15
	s_add_i32 s16, s16, s15
	s_mul_hi_u32 s15, s14, s16
	s_mul_i32 s16, s15, s13
	s_sub_i32 s14, s14, s16
	s_add_i32 s16, s15, 1
	s_sub_i32 s17, s14, s13
	s_cmp_ge_u32 s14, s13
	s_cselect_b32 s15, s16, s15
	s_cselect_b32 s14, s17, s14
	s_add_i32 s16, s15, 1
	s_cmp_ge_u32 s14, s13
	s_cselect_b32 s13, s16, s15
	s_xor_b32 s13, s13, s3
	s_sub_i32 s58, s13, s3
	s_ashr_i32 s3, s54, 31
	s_ashr_i32 s56, s52, 31
	s_mul_hi_i32 s13, s54, s21
	s_add_u32 s42, s12, s52
	s_addc_u32 s43, s13, s56
	s_lshl_b64 s[34:35], s[42:43], 16
	s_waitcnt lgkmcnt(0)
	s_add_u32 s4, s4, s34
	v_lshl_or_b32 v71, v67, 2, v66
	s_addc_u32 s5, s5, s35
	v_ashrrev_i32_e32 v53, 31, v52
	v_lshl_add_u64 v[2:3], v[52:53], 2, s[4:5]
	v_lshlrev_b32_e32 v50, 2, v71
	v_or_b32_e32 v54, 0x800, v52
	v_lshl_add_u64 v[10:11], v[2:3], 0, v[50:51]
	v_ashrrev_i32_e32 v55, 31, v54
	global_load_dwordx4 v[2:5], v[10:11], off
	global_load_dwordx4 v[6:9], v[10:11], off offset:256
	v_lshl_add_u64 v[10:11], v[54:55], 2, s[4:5]
	v_lshl_add_u64 v[18:19], v[10:11], 0, v[50:51]
	global_load_dwordx4 v[10:13], v[18:19], off
	global_load_dwordx4 v[14:17], v[18:19], off offset:256
	s_load_dwordx8 s[12:19], s[0:1], 0x0
	s_load_dwordx2 s[36:37], s[0:1], 0x80
	v_and_b32_e32 v51, 63, v0
	s_mul_i32 s59, s54, s28
	v_or_b32_e32 v72, 64, v71
	s_cmp_lt_i32 s20, 64
	v_lshrrev_b32_e32 v70, 3, v51
	s_mul_i32 s60, s43, s20
	s_mul_hi_u32 s61, s42, s20
	s_mul_i32 s4, s42, s20
	s_mul_i32 s33, s54, s25
	s_mul_hi_u32 s48, s54, s24
	s_mul_i32 s49, s3, s24
	s_mul_i32 s38, s54, s24
	;; [unrolled: 1-line block ×3, first 2 shown]
	s_mul_hi_u32 s50, s52, s26
	s_mul_i32 s51, s56, s26
	s_mul_i32 s40, s52, s26
	s_cbranch_scc1 .LBB489_19
; %bb.1:
	s_add_i32 s5, s61, s60
	s_lshl_b64 s[0:1], s[4:5], 8
	v_and_b32_e32 v74, 56, v69
	s_waitcnt lgkmcnt(0)
	s_add_u32 s24, s14, s0
	v_lshl_or_b32 v73, v1, 3, v70
	v_lshlrev_b32_e32 v18, 1, v74
	s_addc_u32 s0, s15, s1
	v_lshl_or_b32 v75, v73, 8, v18
	s_and_b32 s25, s0, 0xffff
	s_mov_b32 s27, 0x20000
	s_movk_i32 s26, 0x4000
	s_movk_i32 s0, 0x80
	v_or_b32_e32 v76, 0x2000, v75
	buffer_load_dwordx4 v[20:23], v75, s[24:27], 0 offen
	buffer_load_dwordx4 v[24:27], v75, s[24:27], s0 offen
	buffer_load_dwordx4 v[28:31], v76, s[24:27], 0 offen
	buffer_load_dwordx4 v[32:35], v76, s[24:27], s0 offen
	v_lshlrev_b32_e32 v19, 3, v73
	v_and_or_b32 v37, v0, 7, v19
	v_and_b32_e32 v19, 0x78, v19
	v_lshlrev_b32_e32 v37, 4, v37
	v_xor_b32_e32 v77, v37, v19
	v_mul_lo_u32 v36, v73, s23
	v_or_b32_e32 v78, 0x1000, v77
	v_xor_b32_e32 v19, 8, v77
	s_cmpk_eq_i32 s23, 0x80
	s_mov_b32 s62, s22
	v_xor_b32_e32 v37, 8, v78
	s_cselect_b64 s[0:1], -1, 0
	s_cmpk_lg_i32 s23, 0x80
	s_waitcnt vmcnt(3)
	ds_write_b64 v77, v[20:21] offset:24576
	ds_write_b64 v19, v[22:23] offset:24576
	s_waitcnt vmcnt(2)
	ds_write_b64 v77, v[24:25] offset:32768
	ds_write_b64 v19, v[26:27] offset:32768
	s_waitcnt vmcnt(1)
	ds_write_b64 v77, v[28:29] offset:28672
	ds_write_b64 v37, v[30:31] offset:24576
	s_waitcnt vmcnt(0)
	ds_write_b64 v77, v[32:33] offset:36864
	ds_write_b64 v37, v[34:35] offset:32768
	v_lshl_add_u32 v19, v36, 1, v74
	s_cbranch_scc0 .LBB489_3
; %bb.2:
	v_lshlrev_b32_e32 v21, 1, v19
	v_add_lshl_u32 v20, v19, s23, 1
	s_lshl_b32 s26, s23, 7
	v_lshl_or_b32 v18, v73, 9, v18
	s_cbranch_execz .LBB489_4
	s_branch .LBB489_5
.LBB489_3:
                                        ; implicit-def: $vgpr20
                                        ; implicit-def: $vgpr21
                                        ; implicit-def: $sgpr26
	v_lshl_or_b32 v18, v73, 9, v18
.LBB489_4:
	v_or_b32_e32 v20, 0x100, v18
	s_movk_i32 s26, 0x4000
	v_mov_b32_e32 v21, v18
.LBB489_5:
	s_mul_hi_u32 s24, s22, s20
	s_mul_i32 s25, s57, s20
	s_add_i32 s24, s24, s25
	s_mul_i32 s25, s22, s20
	s_mul_i32 s27, s25, s3
	s_mul_hi_u32 s28, s25, s54
	s_add_i32 s27, s28, s27
	s_mul_i32 s24, s24, s54
	s_add_i32 s27, s27, s24
	s_mul_i32 s25, s25, s54
	s_ashr_i32 s63, s58, 31
	s_add_u32 s24, s25, s58
	s_addc_u32 s25, s27, s63
	s_lshl_b64 s[24:25], s[24:25], 8
	s_add_u32 s24, s12, s24
	s_addc_u32 s25, s13, s25
	s_and_b32 s25, s25, 0xffff
	s_mov_b32 s27, 0x20000
	s_movk_i32 s64, 0x80
	buffer_load_dwordx4 v[22:25], v21, s[24:27], 0 offen
	buffer_load_dwordx4 v[26:29], v21, s[24:27], s64 offen
	;; [unrolled: 1-line block ×4, first 2 shown]
	v_and_b32_e32 v20, 6, v0
	v_lshlrev_b32_e32 v39, 6, v71
	v_or_b32_e32 v41, 16, v68
	v_xor_b32_e32 v42, v73, v20
	v_and_b32_e32 v21, 1, v0
	v_lshl_or_b32 v45, v68, 3, v39
	v_lshl_or_b32 v39, v41, 3, v39
	v_lshlrev_b32_e32 v42, 2, v42
	s_mul_i32 s3, s3, s20
	s_mul_hi_u32 s24, s54, s20
	v_lshlrev_b32_e32 v38, 2, v68
	v_or_b32_e32 v81, 0xa000, v39
	v_or_b32_e32 v82, 0xb000, v39
	v_xor_b32_e32 v39, 0x440, v42
	v_cmp_eq_u32_e32 vcc, 0, v21
	v_xor_b32_e32 v43, v71, v38
	v_xor_b32_e32 v44, v72, v38
	v_cndmask_b32_e32 v21, v39, v42, vcc
	s_add_i32 s69, s24, s3
	s_add_i32 s3, s48, s33
	s_mov_b32 s66, 0x1000504
	v_lshlrev_b32_e32 v40, 8, v68
	v_lshlrev_b32_e32 v43, 1, v43
	;; [unrolled: 1-line block ×3, first 2 shown]
	v_lshl_or_b32 v20, v20, 10, v21
	s_add_i32 s39, s3, s49
	s_add_i32 s3, s50, s43
	s_mov_b32 s67, 0x3020706
	v_or_b32_e32 v79, 0xa000, v45
	v_or_b32_e32 v80, 0xb000, v45
	;; [unrolled: 1-line block ×4, first 2 shown]
	v_xor_b32_e32 v21, 8, v20
	v_xor_b32_e32 v40, 24, v20
	v_xor_b32_e32 v45, 40, v20
	v_xor_b32_e32 v47, 56, v20
	s_add_i32 s41, s3, s51
	s_lshl_b64 s[24:25], s[38:39], 2
	v_xor_b32_e32 v39, 16, v20
	v_xor_b32_e32 v42, 32, v20
	;; [unrolled: 1-line block ×3, first 2 shown]
	v_add_u32_e32 v21, 0x80, v21
	v_add_u32_e32 v40, 0x80, v40
	;; [unrolled: 1-line block ×4, first 2 shown]
	s_add_u32 s3, s18, s24
	s_addc_u32 s26, s19, s25
	s_lshl_b64 s[24:25], s[40:41], 2
	s_add_u32 s44, s3, s24
	s_movk_i32 s3, 0xf8
	s_addc_u32 s45, s26, s25
	s_lshl_b32 s30, s23, 7
	s_movk_i32 s28, 0x100
	v_mov_b32_e32 v59, 0
	v_lshlrev_b32_e32 v58, 4, v68
	v_cmp_gt_u32_e32 vcc, s28, v0
	v_ashrrev_i32_e32 v57, 31, v56
	s_mov_b32 s65, 0
	s_mul_i32 s68, s54, s20
	s_movk_i32 s39, 0x1000
	s_movk_i32 s26, 0x4000
	v_mov_b32_e32 v107, 0x3fb8aa3b
	s_mov_b32 s70, 0
	s_waitcnt vmcnt(1)
	v_perm_b32 v48, v22, v30, s66
	s_waitcnt vmcnt(0)
	v_perm_b32 v49, v26, v34, s66
	v_perm_b32 v22, v22, v30, s67
	;; [unrolled: 1-line block ×15, first 2 shown]
	ds_write2st64_b32 v20, v48, v49 offset0:32 offset1:64
	ds_write2st64_b32 v21, v22, v26 offset0:32 offset1:64
	;; [unrolled: 1-line block ×8, first 2 shown]
	v_lshlrev_b32_e32 v20, 8, v41
	v_or_b32_e32 v85, v20, v43
	v_or_b32_e32 v86, v20, v44
	;; [unrolled: 1-line block ×3, first 2 shown]
	v_lshlrev_b32_e32 v20, 3, v20
	v_lshrrev_b32_e32 v23, 5, v51
	v_and_or_b32 v23, v20, s3, v23
	v_lshlrev_b32_e32 v23, 4, v23
	v_lshlrev_b32_e32 v21, 11, v1
	v_and_b32_e32 v20, 0x78, v20
	v_or_b32_e32 v28, 32, v23
	v_and_b32_e32 v22, 0x1000, v21
	v_lshrrev_b32_e32 v25, 1, v0
	v_xor_b32_e32 v28, v28, v20
	v_and_b32_e32 v26, 8, v25
	v_or_b32_e32 v28, v28, v22
	v_xor_b32_e32 v24, v23, v20
	v_xor_b32_e32 v89, v28, v26
	v_or_b32_e32 v28, 64, v23
	v_or_b32_e32 v23, 0x60, v23
	s_ashr_i32 s3, s2, 31
	v_xor_b32_e32 v28, v28, v20
	v_xor_b32_e32 v20, v23, v20
	s_lshl_b64 s[24:25], s[2:3], 8
	v_or_b32_e32 v24, v24, v22
	v_or_b32_e32 v28, v28, v22
	;; [unrolled: 1-line block ×3, first 2 shown]
	s_add_u32 s24, s6, s24
	v_lshlrev_b32_e32 v22, 1, v68
	v_xor_b32_e32 v91, v28, v26
	v_lshrrev_b32_e32 v28, 4, v0
	s_addc_u32 s25, s7, s25
	v_or_b32_e32 v23, 1, v22
	v_mov_b32_e32 v32, 0x4000
	v_mov_b32_e32 v33, 0x2000
	v_xor_b32_e32 v29, v28, v22
	v_xor_b32_e32 v30, v23, v28
	v_lshl_add_u64 v[22:23], s[24:25], 0, v[58:59]
	v_lshlrev_b32_e32 v58, 8, v28
	v_cndmask_b32_e32 v32, v32, v33, vcc
	v_lshlrev_b32_e32 v33, 3, v1
	v_and_b32_e32 v25, 24, v25
	v_lshl_or_b32 v95, v29, 3, v58
	v_and_b32_e32 v29, 8, v0
	v_xor_b32_e32 v34, v33, v25
	v_or_b32_e32 v35, 0x440, v34
	v_cmp_eq_u32_e32 vcc, 0, v29
	v_and_b32_e32 v28, 7, v0
	v_xor_b32_e32 v87, v24, v26
	v_cndmask_b32_e32 v29, v35, v34, vcc
	v_lshlrev_b32_e32 v24, 7, v67
	v_lshl_or_b32 v96, v30, 3, v58
	v_lshlrev_b32_e32 v30, 3, v28
	v_lshlrev_b32_e32 v28, 7, v28
	;; [unrolled: 1-line block ×3, first 2 shown]
	v_or_b32_e32 v29, v29, v21
	v_or_b32_e32 v27, v24, v38
	v_xad_u32 v97, v29, v30, v28
	v_and_or_b32 v24, v31, 60, v24
	v_mov_b32_e32 v29, 0xb000
	v_lshl_or_b32 v98, v24, 1, v29
	v_or_b32_e32 v24, 32, v25
	v_xor_b32_e32 v24, v33, v24
	v_or_b32_e32 v29, 0x440, v24
	v_cndmask_b32_e32 v24, v29, v24, vcc
	v_or_b32_e32 v24, v24, v21
	v_xad_u32 v99, v24, v30, v28
	v_or_b32_e32 v24, 64, v25
	v_xor_b32_e32 v24, v33, v24
	v_xor_b32_e32 v29, 0x440, v24
	v_cndmask_b32_e32 v24, v29, v24, vcc
	v_or_b32_e32 v24, v24, v21
	v_xad_u32 v100, v24, v30, v28
	v_or_b32_e32 v24, 0x60, v25
	v_xor_b32_e32 v24, v33, v24
	v_xor_b32_e32 v25, 0x440, v24
	v_lshlrev_b32_e32 v27, 1, v27
	v_cndmask_b32_e32 v24, v25, v24, vcc
	v_or_b32_e32 v88, 0xa000, v27
	v_or_b32_e32 v90, 0xa080, v27
	v_xor_b32_e32 v92, v20, v26
	v_or_b32_e32 v93, 0xb000, v27
	v_or_b32_e32 v94, 0xb080, v27
	v_lshlrev_b32_e32 v26, 1, v19
	v_add_lshl_u32 v19, v19, s23, 1
	v_or_b32_e32 v27, 0x100, v18
	v_or_b32_e32 v21, v24, v21
	v_lshlrev_b32_e32 v20, 7, v71
	v_xad_u32 v101, v21, v30, v28
	v_cndmask_b32_e64 v102, v26, v18, s[0:1]
	v_cndmask_b32_e64 v103, v19, v27, s[0:1]
	v_lshlrev_b64 v[18:19], 1, v[56:57]
	v_lshl_add_u64 v[60:61], s[16:17], 0, v[18:19]
	v_lshl_add_u64 v[62:63], s[8:9], 0, v[18:19]
	;; [unrolled: 1-line block ×3, first 2 shown]
	s_mov_b32 s3, 0x7060302
	v_lshlrev_b32_e32 v58, 1, v20
	v_add_u32_e32 v57, v32, v97
	v_add_u32_e32 v104, v32, v99
	;; [unrolled: 1-line block ×4, first 2 shown]
	s_waitcnt lgkmcnt(0)
	s_barrier
.LBB489_6:                              ; =>This Inner Loop Header: Depth=1
	s_add_i32 s41, s70, 1
	s_cmp_lt_i32 s41, s55
	s_mov_b64 s[28:29], 0
	s_cselect_b64 s[46:47], -1, 0
	s_cmp_ge_i32 s41, s55
	s_mov_b64 s[24:25], 0
	s_cbranch_scc1 .LBB489_8
; %bb.7:                                ;   in Loop: Header=BB489_6 Depth=1
	s_add_i32 s0, s65, 64
	s_add_u32 s0, s4, s0
	s_addc_u32 s1, s5, 0
	s_lshl_b64 s[0:1], s[0:1], 8
	s_add_u32 s24, s14, s0
	s_addc_u32 s25, s15, s1
.LBB489_8:                              ;   in Loop: Header=BB489_6 Depth=1
	v_cndmask_b32_e64 v18, 0, 1, s[46:47]
	v_cmp_ne_u32_e64 s[0:1], 1, v18
	s_andn2_b64 vcc, exec, s[46:47]
	s_cbranch_vccnz .LBB489_10
; %bb.9:                                ;   in Loop: Header=BB489_6 Depth=1
	s_add_i32 s28, s65, 64
	s_add_u32 s28, s68, s28
	s_addc_u32 s29, s69, 0
	s_mul_i32 s31, s28, s57
	s_mul_hi_u32 s46, s28, s62
	s_add_i32 s31, s46, s31
	s_mul_i32 s29, s29, s62
	s_add_i32 s31, s31, s29
	s_mul_i32 s28, s28, s62
	s_add_u32 s28, s28, s58
	s_addc_u32 s29, s31, s63
	s_lshl_b64 s[28:29], s[28:29], 8
	s_add_u32 s28, s12, s28
	s_addc_u32 s29, s13, s29
.LBB489_10:                             ;   in Loop: Header=BB489_6 Depth=1
	v_perm_b32 v19, v5, v4, s3
	v_perm_b32 v18, v3, v2, s3
	;; [unrolled: 1-line block ×4, first 2 shown]
	ds_write_b64 v79, v[18:19]
	ds_write_b64 v80, v[20:21]
	;; [unrolled: 1-line block ×4, first 2 shown]
	v_perm_b32 v19, v13, v12, s3
	v_perm_b32 v18, v11, v10, s3
	;; [unrolled: 1-line block ×4, first 2 shown]
	ds_write_b64 v81, v[18:19]
	ds_write_b64 v82, v[20:21]
	;; [unrolled: 1-line block ×4, first 2 shown]
	s_waitcnt lgkmcnt(0)
	s_barrier
	ds_read_b64 v[22:23], v87 offset:24576
	ds_read2_b64 v[18:21], v88 offset1:16
	ds_read_b64 v[26:27], v90 offset:3072
	ds_read_b64 v[28:29], v88 offset:3072
	ds_read_b64 v[30:31], v89 offset:24576
	s_waitcnt lgkmcnt(3)
	v_mfma_f32_16x16x16_bf16 a[0:3], v[22:23], v[18:19], 0
	s_add_i32 s31, s65, 63
	s_mul_i32 s46, s31, s37
	s_mul_hi_u32 s47, s31, s36
	v_mfma_f32_16x16x16_bf16 a[4:7], v[22:23], v[20:21], 0
	ds_read2st64_b64 v[18:21], v88 offset0:2 offset1:4
	ds_read2st64_b64 v[22:25], v90 offset0:2 offset1:4
	s_add_i32 s47, s47, s46
	s_waitcnt lgkmcnt(1)
	v_mfma_f32_16x16x16_bf16 a[0:3], v[30:31], v[18:19], a[0:3]
	s_mul_i32 s46, s31, s36
	s_lshl_b64 s[46:47], s[46:47], 2
	s_add_u32 s46, s44, s46
	s_waitcnt lgkmcnt(0)
	v_mfma_f32_16x16x16_bf16 a[4:7], v[30:31], v[22:23], a[4:7]
	ds_read_b64 v[18:19], v91 offset:24576
	ds_read_b64 v[22:23], v92 offset:24576
	s_addc_u32 s47, s45, s47
	s_and_b64 vcc, exec, s[0:1]
	s_waitcnt lgkmcnt(1)
	v_mfma_f32_16x16x16_bf16 a[0:3], v[18:19], v[20:21], a[0:3]
	v_mov_b32_e32 v110, 0
	v_mov_b32_e32 v109, 0
	;; [unrolled: 1-line block ×3, first 2 shown]
	v_mfma_f32_16x16x16_bf16 a[8:11], v[18:19], v[24:25], a[4:7]
	v_mov_b32_e32 v18, 0
	v_mov_b32_e32 v19, 0
	;; [unrolled: 1-line block ×3, first 2 shown]
	s_waitcnt lgkmcnt(0)
	v_mfma_f32_16x16x16_bf16 a[4:7], v[22:23], v[28:29], a[0:3]
	v_mov_b32_e32 v21, 0
	v_mov_b32_e32 v24, 0
	;; [unrolled: 1-line block ×3, first 2 shown]
	v_mfma_f32_16x16x16_bf16 a[0:3], v[22:23], v[26:27], a[8:11]
	v_mov_b32_e32 v22, 0
	v_mov_b32_e32 v23, 0
	;; [unrolled: 1-line block ×10, first 2 shown]
	s_cbranch_vccnz .LBB489_12
; %bb.11:                               ;   in Loop: Header=BB489_6 Depth=1
	s_and_b32 s25, s25, 0xffff
	buffer_load_dwordx4 v[30:33], v75, s[24:27], 0 offen
	buffer_load_dwordx4 v[26:29], v75, s[24:27], s64 offen
	;; [unrolled: 1-line block ×4, first 2 shown]
	v_mov_b32_e32 v109, v77
	v_mov_b32_e32 v108, v78
.LBB489_12:                             ;   in Loop: Header=BB489_6 Depth=1
	ds_read_b64 v[42:43], v87 offset:32768
	ds_read2_b64 v[34:37], v93 offset1:16
	ds_read_b64 v[44:45], v89 offset:32768
	ds_read_b64 v[46:47], v91 offset:32768
	;; [unrolled: 1-line block ×3, first 2 shown]
	v_add_u32_e32 v111, s65, v71
	s_waitcnt lgkmcnt(3)
	v_mfma_f32_16x16x16_bf16 a[4:7], v[42:43], v[34:35], a[4:7]
	v_ashrrev_i32_e32 v34, 31, v111
	ds_read2st64_b64 v[38:41], v93 offset0:2 offset1:4
	v_mfma_f32_16x16x16_bf16 a[0:3], v[42:43], v[36:37], a[0:3]
	v_mul_lo_u32 v36, v34, s36
	v_mul_lo_u32 v37, v111, s37
	v_mad_u64_u32 v[34:35], s[24:25], v111, s36, 0
	v_add3_u32 v35, v35, v37, v36
	v_add_u32_e32 v36, 1, v111
	v_ashrrev_i32_e32 v37, 31, v36
	v_mul_lo_u32 v42, v37, s36
	v_mul_lo_u32 v43, v36, s37
	v_mad_u64_u32 v[36:37], s[24:25], v36, s36, 0
	v_add3_u32 v37, v37, v43, v42
	v_add_u32_e32 v42, 2, v111
	v_ashrrev_i32_e32 v43, 31, v42
	v_mul_lo_u32 v112, v43, s36
	v_mul_lo_u32 v113, v42, s37
	v_mad_u64_u32 v[42:43], s[24:25], v42, s36, 0
	v_add_u32_e32 v111, 3, v111
	v_add3_u32 v43, v43, v113, v112
	v_ashrrev_i32_e32 v112, 31, v111
	v_mul_lo_u32 v114, v112, s36
	v_mad_u64_u32 v[112:113], s[24:25], v111, s36, 0
	s_add_u32 s24, s4, s65
	s_addc_u32 s25, s5, 0
	v_mul_lo_u32 v115, v111, s37
	s_lshl_b64 s[72:73], s[24:25], 8
	v_lshl_add_u64 v[34:35], v[34:35], 2, s[44:45]
	v_lshl_add_u64 v[36:37], v[36:37], 2, s[44:45]
	v_add3_u32 v113, v113, v115, v114
	v_lshl_add_u64 v[114:115], v[60:61], 0, s[72:73]
	v_lshl_add_u64 v[42:43], v[42:43], 2, s[44:45]
	;; [unrolled: 1-line block ×3, first 2 shown]
	global_load_dword v111, v[34:35], off
	global_load_ushort v116, v[114:115], off offset:256
	global_load_ushort v117, v[114:115], off
	v_lshl_add_u64 v[34:35], v[112:113], 2, s[44:45]
	global_load_dword v112, v[36:37], off
	global_load_dword v113, v[42:43], off
	;; [unrolled: 1-line block ×3, first 2 shown]
	ds_read2st64_b64 v[34:37], v94 offset0:2 offset1:4
	global_load_ushort v119, v[114:115], off offset:768
	global_load_ushort v120, v[114:115], off offset:512
	global_load_ushort v121, v[114:115], off offset:800
	global_load_ushort v122, v[114:115], off offset:544
	global_load_ushort v123, v[114:115], off offset:288
	s_nop 0
	global_load_ushort v114, v[114:115], off offset:32
	s_waitcnt lgkmcnt(1)
	v_mfma_f32_16x16x16_bf16 a[4:7], v[44:45], v[38:39], a[4:7]
	s_and_b64 vcc, exec, s[0:1]
	s_waitcnt vmcnt(10)
	v_lshlrev_b32_e32 v43, 16, v116
	s_waitcnt lgkmcnt(0)
	v_mfma_f32_16x16x16_bf16 a[0:3], v[44:45], v[34:35], a[0:3]
	s_waitcnt vmcnt(9)
	v_lshlrev_b32_e32 v42, 16, v117
	v_mfma_f32_16x16x16_bf16 a[4:7], v[46:47], v[40:41], a[4:7]
	v_mfma_f32_16x16x16_bf16 a[0:3], v[46:47], v[36:37], a[0:3]
	ds_read_b64 v[34:35], v93 offset:3072
	ds_read_b64 v[36:37], v94 offset:3072
	s_load_dword s24, s[46:47], 0x0
	s_waitcnt lgkmcnt(0)
	v_sub_f32_e32 v44, s24, v111
	v_mfma_f32_16x16x16_bf16 a[4:7], v[48:49], v[34:35], a[4:7]
	v_mul_f32_e32 v44, 0x3fb8aa3b, v44
	s_waitcnt vmcnt(8)
	v_sub_f32_e32 v45, s24, v112
	s_waitcnt vmcnt(7)
	v_sub_f32_e32 v46, s24, v113
	;; [unrolled: 2-line block ×3, first 2 shown]
	v_mfma_f32_16x16x16_bf16 a[0:3], v[48:49], v[36:37], a[0:3]
	v_lshl_add_u64 v[34:35], v[62:63], 0, s[72:73]
	v_lshl_add_u64 v[34:35], v[34:35], 0, v[58:59]
	v_accvgpr_read_b32 v41, a5
	v_accvgpr_read_b32 v40, a4
	v_pk_add_f32 v[40:41], v[42:43], v[40:41] neg_lo:[0,1] neg_hi:[0,1]
	v_exp_f32_e32 v42, v44
	v_mul_f32_e32 v43, 0x3fb8aa3b, v45
	v_mul_f32_e32 v44, 0x3fb8aa3b, v46
	;; [unrolled: 1-line block ×3, first 2 shown]
	v_exp_f32_e32 v43, v43
	v_exp_f32_e32 v44, v44
	;; [unrolled: 1-line block ×3, first 2 shown]
	v_accvgpr_read_b32 v37, a7
	v_accvgpr_read_b32 v36, a6
	s_waitcnt vmcnt(5)
	v_lshlrev_b32_e32 v47, 16, v119
	s_waitcnt vmcnt(4)
	v_lshlrev_b32_e32 v46, 16, v120
	v_pk_add_f32 v[36:37], v[46:47], v[36:37] neg_lo:[0,1] neg_hi:[0,1]
	global_store_short_d16_hi v[34:35], v40, off
	global_store_short_d16_hi v[34:35], v41, off offset:256
	global_store_short_d16_hi v[34:35], v36, off offset:512
	;; [unrolled: 1-line block ×3, first 2 shown]
	v_pk_mul_f32 v[40:41], v[42:43], v[40:41]
	v_pk_mul_f32 v[36:37], v[44:45], v[36:37]
	v_accvgpr_read_b32 v47, a1
	v_perm_b32 v37, v37, v36, s3
	v_perm_b32 v36, v41, v40, s3
	s_waitcnt vmcnt(5)
	v_lshlrev_b32_e32 v41, 16, v123
	s_waitcnt vmcnt(4)
	v_lshlrev_b32_e32 v40, 16, v114
	v_accvgpr_read_b32 v46, a0
	v_accvgpr_read_b32 v39, a3
	;; [unrolled: 1-line block ×3, first 2 shown]
	v_pk_add_f32 v[40:41], v[40:41], v[46:47] neg_lo:[0,1] neg_hi:[0,1]
	v_lshlrev_b32_e32 v47, 16, v121
	v_lshlrev_b32_e32 v46, 16, v122
	v_pk_add_f32 v[38:39], v[46:47], v[38:39] neg_lo:[0,1] neg_hi:[0,1]
	global_store_short_d16_hi v[34:35], v40, off offset:32
	global_store_short_d16_hi v[34:35], v41, off offset:288
	;; [unrolled: 1-line block ×4, first 2 shown]
	v_pk_mul_f32 v[34:35], v[42:43], v[40:41]
	v_pk_mul_f32 v[38:39], v[44:45], v[38:39]
	v_mov_b32_e32 v111, 0
	v_perm_b32 v39, v39, v38, s3
	v_perm_b32 v38, v35, v34, s3
	ds_write2_b64 v80, v[36:37], v[38:39] offset1:16
	v_mov_b32_e32 v34, 0
	v_mov_b32_e32 v35, 0
	;; [unrolled: 1-line block ×16, first 2 shown]
	s_cbranch_vccnz .LBB489_14
; %bb.13:                               ;   in Loop: Header=BB489_6 Depth=1
	s_and_b32 s29, s29, 0xffff
	s_mov_b32 s31, s27
	buffer_load_dwordx4 v[46:49], v102, s[28:31], 0 offen
	buffer_load_dwordx4 v[38:41], v102, s[28:31], s64 offen
	;; [unrolled: 1-line block ×4, first 2 shown]
	v_mov_b32_e32 v110, v74
	v_mov_b32_e32 v111, v73
.LBB489_14:                             ;   in Loop: Header=BB489_6 Depth=1
	s_waitcnt lgkmcnt(0)
	s_barrier
	ds_read_b64 v[116:117], v57
	ds_read_b64 v[124:125], v98
	;; [unrolled: 1-line block ×5, first 2 shown]
	ds_read_b64 v[130:131], v99 offset:16384
	ds_read_b64 v[132:133], v97 offset:16384
	ds_read2_b64 v[112:115], v93 offset0:16 offset1:128
	s_waitcnt lgkmcnt(6)
	v_mfma_f32_16x16x16_bf16 a[0:3], v[116:117], v[124:125], 0
	ds_read_b64 v[134:135], v94 offset:3072
	ds_read_b64 v[136:137], v101 offset:16384
	s_add_i32 s25, s59, s70
	s_waitcnt lgkmcnt(2)
	v_mfma_f32_16x16x16_bf16 a[4:7], v[116:117], v[112:113], 0
	ds_read2st64_b64 v[116:119], v94 offset0:2 offset1:4
	s_mul_hi_i32 s29, s25, s21
	s_mul_i32 s25, s25, s21
	v_mfma_f32_16x16x16_bf16 a[0:3], v[120:121], v[114:115], a[0:3]
	s_add_u32 s28, s25, s52
	s_addc_u32 s29, s29, s56
	s_lshl_b64 s[28:29], s[28:29], 15
	s_waitcnt lgkmcnt(0)
	v_mfma_f32_16x16x16_bf16 a[4:7], v[120:121], v[116:117], a[4:7]
	ds_read2st64_b64 v[120:123], v93 offset0:4 offset1:6
	s_waitcnt lgkmcnt(0)
	v_mfma_f32_16x16x16_bf16 a[0:3], v[126:127], v[120:121], a[0:3]
	v_mfma_f32_16x16x16_bf16 a[8:11], v[126:127], v[118:119], a[4:7]
	;; [unrolled: 1-line block ×5, first 2 shown]
	ds_read2st64_b64 v[124:127], v96 offset1:8
	v_mfma_f32_16x16x16_bf16 a[12:15], v[132:133], v[112:113], 0
	ds_read_b64 v[132:133], v100 offset:16384
	v_mfma_f32_16x16x16_bf16 a[8:11], v[130:131], v[114:115], a[8:11]
	ds_read2st64_b64 v[112:115], v95 offset1:8
	s_waitcnt lgkmcnt(0)
	v_mov_b32_e32 v128, v112
	v_mfma_f32_16x16x16_bf16 a[12:15], v[130:131], v[116:117], a[12:15]
	v_lshl_add_u64 v[116:117], v[64:65], 0, s[28:29]
	v_add_co_u32_e32 v112, vcc, s39, v116
	v_mfma_f32_16x16x16_bf16 a[8:11], v[132:133], v[120:121], a[8:11]
	v_mov_b32_e32 v129, v113
	v_addc_co_u32_e32 v113, vcc, 0, v117, vcc
	v_mfma_f32_16x16x16_bf16 a[12:15], v[132:133], v[118:119], a[12:15]
	v_mov_b32_e32 v130, v124
	v_mov_b32_e32 v131, v125
	;; [unrolled: 1-line block ×3, first 2 shown]
	v_mfma_f32_16x16x16_bf16 a[8:11], v[136:137], v[122:123], a[8:11]
	v_mov_b32_e32 v125, v115
	s_and_b64 vcc, exec, s[0:1]
	global_store_dwordx4 v[116:117], v[128:131], off
	v_mfma_f32_16x16x16_bf16 a[12:15], v[136:137], v[134:135], a[12:15]
	global_store_dwordx4 v[112:113], v[124:127], off
	s_cbranch_vccnz .LBB489_16
; %bb.15:                               ;   in Loop: Header=BB489_6 Depth=1
	v_lshrrev_b32_e32 v112, 3, v110
	v_and_b32_e32 v112, 6, v112
	v_xor_b32_e32 v111, v112, v111
	v_lshlrev_b32_e32 v111, 2, v111
	v_and_b32_e32 v110, 8, v110
	v_xor_b32_e32 v113, 0x440, v111
	v_cmp_eq_u32_e32 vcc, 0, v110
	s_barrier
	s_nop 0
	v_cndmask_b32_e32 v110, v113, v111, vcc
	v_lshl_or_b32 v110, v112, 10, v110
	s_waitcnt vmcnt(3)
	v_perm_b32 v111, v46, v42, s66
	s_waitcnt vmcnt(2)
	v_perm_b32 v112, v38, v34, s66
	ds_write2st64_b32 v110, v111, v112 offset0:32 offset1:64
	v_xor_b32_e32 v111, 8, v110
	v_perm_b32 v42, v46, v42, s67
	v_perm_b32 v34, v38, v34, s67
	v_add_u32_e32 v38, 0x80, v111
	ds_write2st64_b32 v38, v42, v34 offset0:32 offset1:64
	v_xor_b32_e32 v34, 16, v110
	v_perm_b32 v38, v47, v43, s66
	v_perm_b32 v42, v39, v35, s66
	ds_write2st64_b32 v34, v38, v42 offset0:33 offset1:65
	v_xor_b32_e32 v34, 24, v110
	v_perm_b32 v38, v47, v43, s67
	v_perm_b32 v35, v39, v35, s67
	v_add_u32_e32 v34, 0x80, v34
	ds_write2st64_b32 v34, v38, v35 offset0:33 offset1:65
	v_xor_b32_e32 v34, 32, v110
	v_perm_b32 v35, v48, v44, s66
	;; [unrolled: 9-line block ×3, first 2 shown]
	v_perm_b32 v36, v41, v37, s66
	ds_write2st64_b32 v34, v35, v36 offset0:35 offset1:67
	v_xor_b32_e32 v34, 56, v110
	v_perm_b32 v35, v49, v45, s67
	v_perm_b32 v36, v41, v37, s67
	v_add_u32_e32 v34, 0x80, v34
	ds_write2st64_b32 v34, v35, v36 offset0:35 offset1:67
	ds_write_b64 v109, v[30:31] offset:24576
	v_xor_b32_e32 v30, 8, v109
	ds_write_b64 v30, v[32:33] offset:24576
	ds_write_b64 v109, v[26:27] offset:32768
	;; [unrolled: 1-line block ×4, first 2 shown]
	v_xor_b32_e32 v22, 8, v108
	ds_write_b64 v22, v[24:25] offset:24576
	ds_write_b64 v108, v[18:19] offset:32768
	;; [unrolled: 1-line block ×3, first 2 shown]
.LBB489_16:                             ;   in Loop: Header=BB489_6 Depth=1
	v_mul_f32_e32 v18, s24, v107
	s_waitcnt vmcnt(2)
	v_exp_f32_e32 v34, v18
	v_accvgpr_read_b32 v33, a7
	v_accvgpr_read_b32 v25, a3
	;; [unrolled: 1-line block ×16, first 2 shown]
	s_add_i32 s65, s65, 64
	v_fma_f32 v2, v2, v34, v30
	v_fma_f32 v3, v3, v34, v31
	v_fma_f32 v4, v4, v34, v32
	v_fmac_f32_e32 v33, v5, v34
	v_fma_f32 v10, v10, v34, v22
	v_fma_f32 v11, v11, v34, v23
	v_fma_f32 v12, v12, v34, v24
	v_fmac_f32_e32 v25, v13, v34
	;; [unrolled: 4-line block ×3, first 2 shown]
	v_fma_f32 v14, v14, v34, v18
	v_fma_f32 v15, v15, v34, v19
	;; [unrolled: 1-line block ×3, first 2 shown]
	s_cmp_eq_u32 s55, s41
	v_fmac_f32_e32 v21, v17, v34
	s_cbranch_scc1 .LBB489_18
; %bb.17:                               ;   in Loop: Header=BB489_6 Depth=1
	s_mov_b32 s70, s41
	v_mov_b32_e32 v5, v33
	v_mov_b32_e32 v9, v29
	;; [unrolled: 1-line block ×4, first 2 shown]
	s_branch .LBB489_6
.LBB489_18:
	v_mov_b32_e32 v5, v33
	v_mov_b32_e32 v9, v29
	;; [unrolled: 1-line block ×4, first 2 shown]
.LBB489_19:
	s_lshl_b32 s30, s55, 6
	s_sub_i32 s31, s20, s30
	s_cmp_gt_i32 s31, 0
	s_cbranch_scc0 .LBB489_84
; %bb.20:
	s_ashr_i32 s3, s30, 31
	s_cmpk_lg_i32 s23, 0x80
	s_cselect_b64 s[26:27], -1, 0
	s_and_b64 vcc, exec, s[26:27]
	s_cbranch_vccz .LBB489_22
; %bb.21:
	s_mul_i32 s1, s54, s20
	s_mul_hi_i32 s0, s54, s20
	s_add_u32 s1, s1, s30
	s_addc_u32 s0, s0, s3
	s_mul_i32 s5, s1, s57
	s_mul_hi_u32 s24, s1, s22
	s_add_i32 s5, s24, s5
	s_mul_i32 s0, s0, s22
	s_add_i32 s5, s5, s0
	s_mul_i32 s1, s1, s22
	s_ashr_i32 s0, s58, 31
	s_add_u32 s28, s1, s58
	s_addc_u32 s29, s5, s0
	s_cbranch_execz .LBB489_23
	s_branch .LBB489_24
.LBB489_22:
                                        ; implicit-def: $sgpr28_sgpr29
.LBB489_23:
	s_mul_hi_i32 s0, s54, s22
	s_mul_i32 s54, s54, s22
	s_ashr_i32 s1, s58, 31
	s_add_u32 s5, s54, s58
	s_addc_u32 s0, s0, s1
	s_mul_i32 s1, s5, s53
	s_mul_hi_u32 s22, s5, s20
	s_add_i32 s1, s22, s1
	s_mul_i32 s0, s0, s20
	s_add_i32 s1, s1, s0
	s_mul_i32 s5, s5, s20
	s_add_u32 s28, s5, s30
	s_addc_u32 s29, s1, s3
.LBB489_24:
	s_mul_i32 s0, s42, s53
	s_add_i32 s0, s61, s0
	s_add_i32 s5, s59, s55
	;; [unrolled: 1-line block ×3, first 2 shown]
	s_add_u32 s0, s4, s30
	v_lshlrev_b32_e32 v22, 5, v71
	v_lshlrev_b32_e32 v38, 2, v68
	s_addc_u32 s1, s1, s3
	s_mov_b32 s3, 0x7060302
	v_or_b32_e32 v25, v22, v38
	v_xor_b32_e32 v23, v71, v38
	s_waitcnt vmcnt(3)
	v_perm_b32 v19, v5, v4, s3
	v_perm_b32 v18, v3, v2, s3
	s_waitcnt vmcnt(2)
	v_perm_b32 v21, v9, v8, s3
	v_perm_b32 v20, v7, v6, s3
	v_lshlrev_b32_e32 v25, 1, v25
	v_xor_b32_e32 v24, v72, v38
	ds_write2st64_b64 v25, v[18:19], v[20:21] offset0:80 offset1:88
	v_lshlrev_b32_e32 v23, 1, v23
	v_lshlrev_b32_e32 v25, 8, v68
	s_lshl_b64 s[24:25], s[0:1], 8
	v_or_b32_e32 v26, v23, v25
	v_lshlrev_b32_e32 v24, 1, v24
	s_waitcnt lgkmcnt(0)
	s_add_u32 s0, s14, s24
	ds_write_b64 v26, v[18:19]
	v_or_b32_e32 v18, v24, v25
	s_addc_u32 s1, s15, s25
	ds_write_b64 v18, v[20:21]
	s_waitcnt vmcnt(1)
	v_perm_b32 v19, v13, v12, s3
	v_perm_b32 v18, v11, v10, s3
	s_waitcnt vmcnt(0)
	v_perm_b32 v21, v17, v16, s3
	v_perm_b32 v20, v15, v14, s3
	v_or_b32_e32 v25, 16, v68
	s_mul_hi_i32 s3, s5, s21
	s_mul_i32 s5, s5, s21
	v_lshlrev_b32_e32 v35, 2, v25
	s_add_u32 s4, s5, s52
	v_or_b32_e32 v22, v22, v35
	s_addc_u32 s5, s3, s56
	v_lshlrev_b32_e32 v22, 1, v22
	s_ashr_i32 s3, s2, 31
	s_lshl_b64 s[4:5], s[4:5], 15
	ds_write2st64_b64 v22, v[18:19], v[20:21] offset0:80 offset1:88
	v_lshlrev_b32_e32 v22, 8, v25
	s_add_u32 s4, s6, s4
	v_or_b32_e32 v23, v23, v22
	s_addc_u32 s5, s7, s5
	s_lshl_b64 s[2:3], s[2:3], 8
	ds_write_b64 v23, v[18:19]
	v_or_b32_e32 v18, v24, v22
	s_add_u32 s2, s4, s2
	ds_write_b64 v18, v[20:21]
	v_lshrrev_b32_e32 v18, 4, v0
	s_addc_u32 s3, s5, s3
	v_lshlrev_b32_e32 v19, 1, v68
	v_lshlrev_b32_e32 v26, 4, v68
	v_mov_b32_e32 v27, 0
	v_or_b32_e32 v20, 1, v19
	v_xor_b32_e32 v19, v18, v19
	v_lshl_add_u64 v[28:29], s[2:3], 0, v[26:27]
	v_lshlrev_b32_e32 v26, 8, v18
	v_xor_b32_e32 v22, v20, v18
	v_lshl_or_b32 v18, v19, 3, v26
	s_waitcnt lgkmcnt(0)
	s_barrier
	ds_read2st64_b64 v[18:21], v18 offset1:8
	v_lshl_or_b32 v22, v22, 3, v26
	ds_read2st64_b64 v[22:25], v22 offset1:8
	v_lshl_add_u64 v[30:31], v[28:29], 0, v[26:27]
	s_movk_i32 s2, 0x1000
	s_waitcnt lgkmcnt(1)
	v_mov_b32_e32 v26, v18
	v_add_co_u32_e32 v18, vcc, s2, v30
	s_cmp_lg_u32 s31, 64
	v_mov_b32_e32 v27, v19
	v_addc_co_u32_e32 v19, vcc, 0, v31, vcc
	s_cselect_b64 s[14:15], -1, 0
	v_lshl_or_b32 v42, v1, 3, v70
	s_waitcnt lgkmcnt(0)
	v_mov_b32_e32 v28, v22
	v_mov_b32_e32 v29, v23
	;; [unrolled: 1-line block ×4, first 2 shown]
	s_mov_b32 s4, 0
	v_or_b32_e32 v36, 32, v42
	v_and_b32_e32 v34, 56, v69
	s_and_b64 vcc, exec, s[14:15]
	global_store_dwordx4 v[30:31], v[26:29], off
	global_store_dwordx4 v[18:19], v[22:25], off
	s_cbranch_vccz .LBB489_30
; %bb.25:
	s_mov_b32 s6, s4
	s_mov_b32 s7, s4
	s_mov_b32 s5, s4
	v_mov_b64_e32 v[24:25], s[6:7]
	v_mov_b64_e32 v[22:23], s[4:5]
	;; [unrolled: 1-line block ×3, first 2 shown]
	v_cmp_gt_i32_e32 vcc, s31, v42
	v_mov_b64_e32 v[20:21], v[24:25]
	s_and_saveexec_b64 s[2:3], vcc
	s_cbranch_execz .LBB489_27
; %bb.26:
	v_lshlrev_b32_e32 v18, 8, v42
	v_mov_b32_e32 v19, 0
	v_lshl_add_u64 v[20:21], s[0:1], 0, v[18:19]
	v_lshlrev_b32_e32 v18, 1, v34
	v_lshl_add_u64 v[26:27], v[20:21], 0, v[18:19]
	global_load_dwordx4 v[22:25], v[26:27], off
	global_load_dwordx4 v[18:21], v[26:27], off offset:128
.LBB489_27:
	s_or_b64 exec, exec, s[2:3]
	s_mov_b32 s6, s4
	s_mov_b32 s7, s4
	;; [unrolled: 1-line block ×3, first 2 shown]
	v_mov_b64_e32 v[32:33], s[6:7]
	v_mov_b64_e32 v[30:31], s[4:5]
	;; [unrolled: 1-line block ×3, first 2 shown]
	v_cmp_gt_i32_e32 vcc, s31, v36
	v_lshlrev_b32_e32 v37, 7, v36
	v_mov_b64_e32 v[28:29], v[32:33]
	s_and_saveexec_b64 s[2:3], vcc
	s_cbranch_execz .LBB489_29
; %bb.28:
	v_lshlrev_b32_e32 v26, 1, v37
	v_mov_b32_e32 v27, 0
	v_lshl_add_u64 v[28:29], s[0:1], 0, v[26:27]
	v_lshlrev_b32_e32 v26, 1, v34
	v_lshl_add_u64 v[40:41], v[28:29], 0, v[26:27]
	global_load_dwordx4 v[30:33], v[40:41], off
	global_load_dwordx4 v[26:29], v[40:41], off offset:128
.LBB489_29:
	s_or_b64 exec, exec, s[2:3]
	v_lshrrev_b32_e32 v39, 3, v34
	v_lshlrev_b32_e32 v40, 3, v42
	v_or_b32_e32 v39, v40, v39
	v_lshlrev_b32_e32 v39, 4, v39
	v_and_b32_e32 v40, 0x78, v40
	v_xor_b32_e32 v39, v39, v40
	s_branch .LBB489_32
.LBB489_30:
                                        ; implicit-def: $vgpr39
                                        ; implicit-def: $vgpr37
                                        ; implicit-def: $vgpr22_vgpr23_vgpr24_vgpr25
                                        ; implicit-def: $vgpr18_vgpr19_vgpr20_vgpr21
                                        ; implicit-def: $vgpr30_vgpr31_vgpr32_vgpr33
                                        ; implicit-def: $vgpr26_vgpr27_vgpr28_vgpr29
	s_cbranch_execz .LBB489_32
; %bb.31:
	s_waitcnt vmcnt(0)
	v_lshlrev_b32_e32 v18, 1, v34
	v_lshl_or_b32 v37, v42, 8, v18
	s_and_b32 s1, s1, 0xffff
	s_mov_b32 s3, 0x20000
	s_movk_i32 s2, 0x4000
	v_lshl_or_b32 v39, v36, 8, v18
	s_movk_i32 s4, 0x80
	buffer_load_dwordx4 v[22:25], v37, s[0:3], 0 offen
	buffer_load_dwordx4 v[18:21], v37, s[0:3], s4 offen
	;; [unrolled: 1-line block ×4, first 2 shown]
	v_lshrrev_b32_e32 v37, 3, v34
	v_lshlrev_b32_e32 v39, 3, v42
	v_or_b32_e32 v37, v39, v37
	v_lshlrev_b32_e32 v37, 4, v37
	v_and_b32_e32 v39, 0x78, v39
	v_xor_b32_e32 v39, v37, v39
	v_lshlrev_b32_e32 v37, 7, v36
.LBB489_32:
	s_lshl_b64 s[0:1], s[28:29], 8
	s_add_u32 s4, s12, s0
	s_movk_i32 s0, 0x1000
	v_and_or_b32 v36, v37, s0, v39
	s_waitcnt vmcnt(1)
	ds_write_b64 v39, v[22:23] offset:24576
	v_xor_b32_e32 v22, 8, v39
	ds_write_b64 v22, v[24:25] offset:24576
	s_waitcnt vmcnt(0)
	ds_write_b64 v39, v[18:19] offset:32768
	ds_write_b64 v22, v[20:21] offset:32768
	;; [unrolled: 1-line block ×3, first 2 shown]
	v_xor_b32_e32 v18, 8, v36
	ds_write_b64 v18, v[32:33] offset:24576
	ds_write_b64 v36, v[26:27] offset:32768
	;; [unrolled: 1-line block ×3, first 2 shown]
	v_or_b32_e32 v18, v66, v68
	v_lshlrev_b32_e32 v18, 3, v18
	v_lshrrev_b32_e32 v19, 5, v51
	s_movk_i32 s3, 0xf8
	v_and_or_b32 v19, v18, s3, v19
	v_lshlrev_b32_e32 v23, 4, v19
	v_lshlrev_b32_e32 v39, 11, v1
	v_and_b32_e32 v24, 0x78, v18
	v_or_b32_e32 v26, 32, v23
	v_and_b32_e32 v22, 0x1000, v39
	v_lshrrev_b32_e32 v19, 1, v51
	v_xor_b32_e32 v26, v26, v24
	v_xor_b32_e32 v18, v23, v24
	v_and_b32_e32 v25, 8, v19
	v_or_b32_e32 v26, v26, v22
	v_or_b32_e32 v18, v18, v22
	v_xor_b32_e32 v44, v26, v25
	v_or_b32_e32 v26, 64, v23
	v_xor_b32_e32 v43, v18, v25
	v_xor_b32_e32 v26, v26, v24
	s_waitcnt lgkmcnt(0)
	s_barrier
	v_or_b32_e32 v28, v26, v22
	ds_read_b64 v[26:27], v43 offset:24576
	v_lshl_or_b32 v36, v67, 7, v38
	v_lshlrev_b32_e32 v40, 1, v36
	v_add_u32_e32 v18, 0xa000, v40
	ds_read2_b64 v[18:21], v18 offset1:16
	v_or_b32_e32 v23, 0x60, v23
	v_xor_b32_e32 v23, v23, v24
	s_waitcnt lgkmcnt(0)
	v_mfma_f32_16x16x16_bf16 a[0:3], v[26:27], v[18:19], 0
	v_or_b32_e32 v18, 64, v36
	v_or_b32_e32 v22, v23, v22
	v_lshlrev_b32_e32 v41, 1, v18
	v_xor_b32_e32 v45, v28, v25
	v_xor_b32_e32 v46, v22, v25
	ds_read_b64 v[28:29], v44 offset:24576
	ds_read_b64 v[30:31], v45 offset:24576
	;; [unrolled: 1-line block ×3, first 2 shown]
	v_mfma_f32_16x16x16_bf16 a[4:7], v[26:27], v[20:21], 0
	ds_read2st64_b64 v[18:21], v41 offset0:82 offset1:84
	ds_read2st64_b64 v[22:25], v40 offset0:82 offset1:84
	s_addc_u32 s5, s13, s1
	s_add_i32 s1, s48, s33
	s_add_i32 s0, s20, -1
	s_add_i32 s39, s1, s49
	s_add_i32 s1, s50, s43
	;; [unrolled: 1-line block ×3, first 2 shown]
	s_ashr_i32 s1, s0, 31
	s_mul_i32 s2, s0, s37
	s_mul_hi_u32 s3, s0, s36
	s_add_i32 s2, s3, s2
	s_mul_i32 s1, s1, s36
	s_waitcnt lgkmcnt(1)
	v_mfma_f32_16x16x16_bf16 a[4:7], v[28:29], v[18:19], a[4:7]
	s_add_i32 s1, s2, s1
	s_lshl_b64 s[2:3], s[38:39], 2
	s_add_u32 s6, s18, s2
	s_waitcnt lgkmcnt(0)
	v_mfma_f32_16x16x16_bf16 a[0:3], v[28:29], v[22:23], a[0:3]
	s_addc_u32 s7, s19, s3
	s_lshl_b64 s[2:3], s[40:41], 2
	s_mul_i32 s0, s0, s36
	s_add_u32 s12, s6, s2
	ds_read_b64 v[18:19], v40 offset:44032
	v_mfma_f32_16x16x16_bf16 a[4:7], v[30:31], v[20:21], a[4:7]
	ds_read_b64 v[20:21], v41 offset:44032
	s_addc_u32 s13, s7, s3
	s_lshl_b64 s[0:1], s[0:1], 2
	v_mfma_f32_16x16x16_bf16 a[0:3], v[30:31], v[24:25], a[0:3]
	s_add_u32 s0, s12, s0
	s_addc_u32 s1, s13, s1
	s_load_dword s18, s[0:1], 0x0
	s_waitcnt lgkmcnt(0)
	v_mfma_f32_16x16x16_bf16 a[0:3], v[32:33], v[18:19], a[0:3]
	s_and_b64 vcc, exec, s[26:27]
	v_mfma_f32_16x16x16_bf16 a[4:7], v[32:33], v[20:21], a[4:7]
	s_cbranch_vccz .LBB489_43
; %bb.33:
	v_lshlrev_b32_e32 v36, 1, v42
	s_and_b64 vcc, exec, s[14:15]
	s_cbranch_vccz .LBB489_44
; %bb.34:
	v_cmp_gt_i32_e32 vcc, s31, v36
	v_mov_b32_e32 v22, 0
	v_mov_b32_e32 v18, 0
	;; [unrolled: 1-line block ×5, first 2 shown]
	s_and_saveexec_b64 s[0:1], vcc
	s_cbranch_execz .LBB489_36
; %bb.35:
	v_mad_i64_i32 v[18:19], s[2:3], s23, v36, 0
	v_lshl_add_u64 v[18:19], v[18:19], 1, s[4:5]
	v_lshlrev_b32_e32 v20, 1, v34
	v_mov_b32_e32 v21, 0
	v_lshl_add_u64 v[18:19], v[18:19], 0, v[20:21]
	global_load_dwordx4 v[18:21], v[18:19], off
.LBB489_36:
	s_or_b64 exec, exec, s[0:1]
	v_or_b32_e32 v37, 1, v36
	v_cmp_gt_i32_e64 s[0:1], s31, v37
	v_mov_b32_e32 v23, 0
	v_mov_b32_e32 v24, 0
	;; [unrolled: 1-line block ×3, first 2 shown]
	s_and_saveexec_b64 s[2:3], s[0:1]
	s_cbranch_execz .LBB489_38
; %bb.37:
	v_mad_i64_i32 v[22:23], s[6:7], s23, v37, 0
	v_lshl_add_u64 v[22:23], v[22:23], 1, s[4:5]
	v_lshlrev_b32_e32 v24, 1, v34
	v_mov_b32_e32 v25, 0
	v_lshl_add_u64 v[22:23], v[22:23], 0, v[24:25]
	global_load_dwordx4 v[22:25], v[22:23], off
.LBB489_38:
	s_or_b64 exec, exec, s[2:3]
	v_mov_b32_e32 v33, 0
	v_mov_b32_e32 v26, 0
	;; [unrolled: 1-line block ×5, first 2 shown]
	s_and_saveexec_b64 s[2:3], vcc
	s_cbranch_execz .LBB489_40
; %bb.39:
	v_mad_i64_i32 v[26:27], s[6:7], s23, v36, 0
	v_lshl_add_u64 v[26:27], v[26:27], 1, s[4:5]
	v_lshlrev_b32_e32 v28, 1, v34
	v_mov_b32_e32 v29, 0
	v_lshl_add_u64 v[26:27], v[26:27], 0, v[28:29]
	global_load_dwordx4 v[26:29], v[26:27], off offset:128
.LBB489_40:
	s_or_b64 exec, exec, s[2:3]
	v_mov_b32_e32 v32, 0
	v_mov_b32_e32 v31, 0
	;; [unrolled: 1-line block ×3, first 2 shown]
	s_and_saveexec_b64 s[2:3], s[0:1]
	s_cbranch_execz .LBB489_42
; %bb.41:
	v_mad_i64_i32 v[30:31], s[0:1], s23, v37, 0
	v_lshl_add_u64 v[30:31], v[30:31], 1, s[4:5]
	v_lshlrev_b32_e32 v32, 1, v34
	v_mov_b32_e32 v33, 0
	v_lshl_add_u64 v[30:31], v[30:31], 0, v[32:33]
	global_load_dwordx4 v[30:33], v[30:31], off offset:128
.LBB489_42:
	s_or_b64 exec, exec, s[2:3]
	s_branch .LBB489_46
.LBB489_43:
                                        ; implicit-def: $vgpr21
                                        ; implicit-def: $vgpr25
                                        ; implicit-def: $vgpr29
                                        ; implicit-def: $vgpr33
	v_lshrrev_b32_e32 v47, 2, v51
	s_branch .LBB489_47
.LBB489_44:
                                        ; implicit-def: $vgpr21
                                        ; implicit-def: $vgpr25
                                        ; implicit-def: $vgpr29
                                        ; implicit-def: $vgpr33
	s_cbranch_execz .LBB489_46
; %bb.45:
	s_waitcnt vmcnt(0)
	v_mad_u64_u32 v[18:19], s[0:1], v36, s23, v[34:35]
	v_lshlrev_b32_e32 v36, 1, v18
	s_lshl_b32 s2, s23, 7
	s_and_b32 s1, s5, 0xffff
	s_mov_b32 s3, 0x20000
	s_mov_b32 s0, s4
	v_add_lshl_u32 v37, v18, s23, 1
	s_movk_i32 s6, 0x80
	buffer_load_dwordx4 v[18:21], v36, s[0:3], 0 offen
	buffer_load_dwordx4 v[26:29], v36, s[0:3], s6 offen
	buffer_load_dwordx4 v[22:25], v37, s[0:3], 0 offen
	buffer_load_dwordx4 v[30:33], v37, s[0:3], s6 offen
.LBB489_46:
	v_lshrrev_b32_e32 v47, 2, v51
	s_cbranch_execnz .LBB489_59
.LBB489_47:
	s_and_b64 vcc, exec, s[14:15]
	s_cbranch_vccz .LBB489_57
; %bb.48:
	s_waitcnt vmcnt(0)
	v_lshlrev_b32_e32 v23, 1, v42
	v_cmp_gt_i32_e32 vcc, s31, v23
	v_mov_b32_e32 v22, 0
	v_lshlrev_b32_e32 v30, 9, v42
	v_mov_b32_e32 v18, 0
	v_mov_b32_e32 v19, 0
	;; [unrolled: 1-line block ×4, first 2 shown]
	s_and_saveexec_b64 s[0:1], vcc
	s_cbranch_execz .LBB489_50
; %bb.49:
	v_mov_b32_e32 v31, 0
	v_lshl_add_u64 v[18:19], s[4:5], 0, v[30:31]
	v_lshlrev_b32_e32 v20, 1, v34
	v_mov_b32_e32 v21, v31
	v_lshl_add_u64 v[18:19], v[18:19], 0, v[20:21]
	global_load_dwordx4 v[18:21], v[18:19], off
.LBB489_50:
	s_or_b64 exec, exec, s[0:1]
	v_or_b32_e32 v23, 1, v23
	v_cmp_gt_i32_e64 s[0:1], s31, v23
	v_lshlrev_b32_e32 v36, 8, v23
	v_mov_b32_e32 v23, 0
	v_mov_b32_e32 v24, 0
	v_mov_b32_e32 v25, 0
	s_and_saveexec_b64 s[2:3], s[0:1]
	s_cbranch_execz .LBB489_52
; %bb.51:
	v_mov_b32_e32 v37, 0
	v_lshl_add_u64 v[22:23], s[4:5], 0, v[36:37]
	v_lshlrev_b32_e32 v24, 1, v34
	v_mov_b32_e32 v25, v37
	v_lshl_add_u64 v[22:23], v[22:23], 0, v[24:25]
	global_load_dwordx4 v[22:25], v[22:23], off
.LBB489_52:
	s_or_b64 exec, exec, s[2:3]
	v_mov_b32_e32 v33, 0
	v_mov_b32_e32 v26, 0
	;; [unrolled: 1-line block ×5, first 2 shown]
	s_and_saveexec_b64 s[2:3], vcc
	s_cbranch_execz .LBB489_54
; %bb.53:
	v_mov_b32_e32 v31, 0
	v_lshl_add_u64 v[26:27], s[4:5], 0, v[30:31]
	v_lshlrev_b32_e32 v30, 1, v34
	v_lshl_add_u64 v[26:27], v[26:27], 0, v[30:31]
	global_load_dwordx4 v[26:29], v[26:27], off offset:128
.LBB489_54:
	s_or_b64 exec, exec, s[2:3]
	v_mov_b32_e32 v32, 0
	v_mov_b32_e32 v31, 0
	;; [unrolled: 1-line block ×3, first 2 shown]
	s_and_saveexec_b64 s[2:3], s[0:1]
	s_cbranch_execz .LBB489_56
; %bb.55:
	v_mov_b32_e32 v37, 0
	v_lshl_add_u64 v[30:31], s[4:5], 0, v[36:37]
	v_lshlrev_b32_e32 v36, 1, v34
	v_lshl_add_u64 v[30:31], v[30:31], 0, v[36:37]
	global_load_dwordx4 v[30:33], v[30:31], off offset:128
.LBB489_56:
	s_or_b64 exec, exec, s[2:3]
	s_branch .LBB489_59
.LBB489_57:
                                        ; implicit-def: $vgpr21
                                        ; implicit-def: $vgpr25
                                        ; implicit-def: $vgpr29
                                        ; implicit-def: $vgpr33
	s_cbranch_execz .LBB489_59
; %bb.58:
	s_waitcnt vmcnt(0)
	v_lshlrev_b32_e32 v18, 1, v34
	v_lshl_or_b32 v34, v42, 9, v18
	s_and_b32 s5, s5, 0xffff
	s_mov_b32 s7, 0x20000
	s_movk_i32 s6, 0x4000
	s_movk_i32 s0, 0x80
	buffer_load_dwordx4 v[18:21], v34, s[4:7], 0 offen
	buffer_load_dwordx4 v[22:25], v34, s[4:7], 0 offen offset:256
	buffer_load_dwordx4 v[26:29], v34, s[4:7], s0 offen
	buffer_load_dwordx4 v[30:33], v34, s[4:7], s0 offen offset:256
.LBB489_59:
	ds_read_b64 v[36:37], v43 offset:32768
	v_add_u32_e32 v34, 0xb000, v40
	ds_read2_b64 v[58:61], v34 offset1:16
	ds_read_b64 v[48:49], v44 offset:32768
	ds_read_b64 v[44:45], v45 offset:32768
	ds_read_b64 v[68:69], v46 offset:32768
	v_and_b32_e32 v34, 6, v0
	v_xor_b32_e32 v42, v42, v34
	v_lshlrev_b32_e32 v42, 2, v42
	v_and_b32_e32 v43, 1, v0
	v_xor_b32_e32 v46, 0x440, v42
	v_cmp_eq_u32_e32 vcc, 0, v43
	s_waitcnt lgkmcnt(3)
	v_mfma_f32_16x16x16_bf16 a[0:3], v[36:37], v[58:59], a[0:3]
	s_mov_b32 s0, 0x1000504
	v_cndmask_b32_e32 v42, v46, v42, vcc
	v_lshl_or_b32 v34, v34, 10, v42
	v_mfma_f32_16x16x16_bf16 a[4:7], v[36:37], v[60:61], a[4:7]
	ds_read2st64_b64 v[58:61], v40 offset0:90 offset1:92
	ds_read2st64_b64 v[62:65], v41 offset0:90 offset1:92
	s_waitcnt vmcnt(0)
	v_perm_b32 v42, v18, v22, s0
	s_mov_b32 s1, 0x3020706
	s_waitcnt lgkmcnt(1)
	v_mfma_f32_16x16x16_bf16 a[0:3], v[48:49], v[58:59], a[0:3]
	ds_read_b64 v[36:37], v40 offset:48128
	ds_read_b64 v[58:59], v41 offset:48128
	v_perm_b32 v18, v18, v22, s1
	v_perm_b32 v22, v26, v30, s1
	s_waitcnt lgkmcnt(2)
	v_mfma_f32_16x16x16_bf16 a[4:7], v[48:49], v[62:63], a[4:7]
	v_and_or_b32 v43, v47, 12, v66
	v_cmp_gt_i32_e32 vcc, s31, v43
	v_mfma_f32_16x16x16_bf16 a[0:3], v[44:45], v[60:61], a[0:3]
	v_mfma_f32_16x16x16_bf16 a[8:11], v[44:45], v[64:65], a[4:7]
	s_waitcnt lgkmcnt(1)
	v_mfma_f32_16x16x16_bf16 a[4:7], v[68:69], v[36:37], a[0:3]
	v_perm_b32 v36, v26, v30, s0
	ds_write2st64_b32 v34, v42, v36 offset0:32 offset1:64
	v_xor_b32_e32 v36, 8, v34
	v_add_u32_e32 v26, 0x80, v36
	ds_write2st64_b32 v26, v18, v22 offset0:32 offset1:64
	v_xor_b32_e32 v18, 16, v34
	v_perm_b32 v22, v19, v23, s0
	v_perm_b32 v26, v27, v31, s0
	ds_write2st64_b32 v18, v22, v26 offset0:33 offset1:65
	v_xor_b32_e32 v18, 24, v34
	v_perm_b32 v19, v19, v23, s1
	v_perm_b32 v22, v27, v31, s1
	v_add_u32_e32 v18, 0x80, v18
	ds_write2st64_b32 v18, v19, v22 offset0:33 offset1:65
	v_xor_b32_e32 v18, 32, v34
	v_perm_b32 v19, v20, v24, s0
	v_perm_b32 v22, v28, v32, s0
	ds_write2st64_b32 v18, v19, v22 offset0:34 offset1:66
	v_xor_b32_e32 v18, 40, v34
	s_waitcnt lgkmcnt(5)
	v_mfma_f32_16x16x16_bf16 a[0:3], v[68:69], v[58:59], a[8:11]
	v_perm_b32 v19, v20, v24, s1
	v_perm_b32 v20, v28, v32, s1
	v_add_u32_e32 v18, 0x80, v18
	ds_write2st64_b32 v18, v19, v20 offset0:34 offset1:66
	v_xor_b32_e32 v18, 48, v34
	v_perm_b32 v19, v21, v25, s0
	v_perm_b32 v20, v29, v33, s0
	ds_write2st64_b32 v18, v19, v20 offset0:35 offset1:67
	v_xor_b32_e32 v18, 56, v34
	v_perm_b32 v19, v21, v25, s1
	v_perm_b32 v20, v29, v33, s1
	v_add_u32_e32 v18, 0x80, v18
	v_mov_b32_e32 v34, 0
	v_mov_b32_e32 v37, 0
	ds_write2st64_b32 v18, v19, v20 offset0:35 offset1:67
	s_and_saveexec_b64 s[0:1], vcc
	s_cbranch_execz .LBB489_61
; %bb.60:
	v_add_u32_e32 v18, s30, v43
	v_ashrrev_i32_e32 v19, 31, v18
	v_mul_lo_u32 v20, v19, s36
	v_mul_lo_u32 v21, v18, s37
	v_mad_u64_u32 v[18:19], s[2:3], v18, s36, 0
	v_add3_u32 v19, v19, v21, v20
	v_lshl_add_u64 v[18:19], v[18:19], 2, s[12:13]
	global_load_dword v18, v[18:19], off
	s_waitcnt vmcnt(0)
	v_sub_f32_e32 v18, s18, v18
	v_mul_f32_e32 v18, 0x3fb8aa3b, v18
	v_exp_f32_e32 v37, v18
.LBB489_61:
	s_or_b64 exec, exec, s[0:1]
	v_or_b32_e32 v29, 1, v43
	v_cmp_gt_i32_e64 s[0:1], s31, v29
	s_and_saveexec_b64 s[2:3], s[0:1]
	s_cbranch_execz .LBB489_63
; %bb.62:
	v_add_u32_e32 v18, s30, v29
	v_ashrrev_i32_e32 v19, 31, v18
	v_mul_lo_u32 v20, v19, s36
	v_mul_lo_u32 v21, v18, s37
	v_mad_u64_u32 v[18:19], s[4:5], v18, s36, 0
	v_add3_u32 v19, v19, v21, v20
	v_lshl_add_u64 v[18:19], v[18:19], 2, s[12:13]
	global_load_dword v18, v[18:19], off
	s_waitcnt vmcnt(0)
	v_sub_f32_e32 v18, s18, v18
	v_mul_f32_e32 v18, 0x3fb8aa3b, v18
	v_exp_f32_e32 v34, v18
.LBB489_63:
	s_or_b64 exec, exec, s[2:3]
	v_or_b32_e32 v28, 2, v43
	v_cmp_gt_i32_e64 s[2:3], s31, v28
	v_mov_b32_e32 v36, 0
	v_mov_b32_e32 v42, 0
	s_and_saveexec_b64 s[4:5], s[2:3]
	s_cbranch_execz .LBB489_65
; %bb.64:
	v_add_u32_e32 v18, s30, v28
	v_ashrrev_i32_e32 v19, 31, v18
	v_mul_lo_u32 v20, v19, s36
	v_mul_lo_u32 v21, v18, s37
	v_mad_u64_u32 v[18:19], s[6:7], v18, s36, 0
	v_add3_u32 v19, v19, v21, v20
	v_lshl_add_u64 v[18:19], v[18:19], 2, s[12:13]
	global_load_dword v18, v[18:19], off
	s_waitcnt vmcnt(0)
	v_sub_f32_e32 v18, s18, v18
	v_mul_f32_e32 v18, 0x3fb8aa3b, v18
	v_exp_f32_e32 v42, v18
.LBB489_65:
	s_or_b64 exec, exec, s[4:5]
	v_or_b32_e32 v44, 3, v43
	v_cmp_gt_i32_e64 s[4:5], s31, v44
	s_and_saveexec_b64 s[6:7], s[4:5]
	s_cbranch_execz .LBB489_67
; %bb.66:
	v_add_u32_e32 v18, s30, v44
	v_ashrrev_i32_e32 v19, 31, v18
	v_mul_lo_u32 v20, v19, s36
	v_mul_lo_u32 v21, v18, s37
	v_mad_u64_u32 v[18:19], s[14:15], v18, s36, 0
	v_add3_u32 v19, v19, v21, v20
	v_lshl_add_u64 v[18:19], v[18:19], 2, s[12:13]
	global_load_dword v18, v[18:19], off
	s_waitcnt vmcnt(0)
	v_sub_f32_e32 v18, s18, v18
	v_mul_f32_e32 v18, 0x3fb8aa3b, v18
	v_exp_f32_e32 v36, v18
.LBB489_67:
	s_or_b64 exec, exec, s[6:7]
	s_add_u32 s6, s16, s24
	s_addc_u32 s7, s17, s25
	s_add_u32 s8, s8, s24
	v_ashrrev_i32_e32 v57, 31, v56
	v_accvgpr_read_b32 v21, a7
	s_addc_u32 s9, s9, s25
	v_lshlrev_b64 v[22:23], 1, v[56:57]
	v_accvgpr_read_b32 v20, a6
	v_accvgpr_read_b32 v19, a5
	v_accvgpr_read_b32 v18, a4
	v_lshl_add_u64 v[24:25], s[6:7], 0, v[22:23]
	v_lshl_add_u64 v[22:23], s[8:9], 0, v[22:23]
	v_mov_b32_e32 v31, 0
	v_lshlrev_b32_e32 v26, 8, v43
	v_mov_b32_e32 v27, 0
	s_and_saveexec_b64 s[6:7], vcc
	s_cbranch_execz .LBB489_69
; %bb.68:
	v_mov_b32_e32 v27, 0
	v_lshl_add_u64 v[32:33], v[24:25], 0, v[26:27]
	global_load_ushort v30, v[32:33], off
	v_lshl_add_u64 v[32:33], v[22:23], 0, v[26:27]
	s_waitcnt vmcnt(0)
	v_lshlrev_b32_e32 v27, 16, v30
	v_sub_f32_e32 v18, v27, v18
	global_store_short_d16_hi v[32:33], v18, off
	v_mul_f32_e32 v18, v37, v18
	v_lshrrev_b32_e32 v27, 16, v18
.LBB489_69:
	s_or_b64 exec, exec, s[6:7]
	v_lshlrev_b32_e32 v30, 8, v29
	s_and_saveexec_b64 s[6:7], s[0:1]
	s_cbranch_execz .LBB489_71
; %bb.70:
	v_mov_b32_e32 v31, 0
	v_lshl_add_u64 v[32:33], v[24:25], 0, v[30:31]
	global_load_ushort v18, v[32:33], off
	v_lshl_add_u64 v[32:33], v[22:23], 0, v[30:31]
	s_waitcnt vmcnt(0)
	v_lshlrev_b32_e32 v18, 16, v18
	v_sub_f32_e32 v18, v18, v19
	global_store_short_d16_hi v[32:33], v18, off
	v_mul_f32_e32 v18, v34, v18
	v_lshrrev_b32_e32 v31, 16, v18
.LBB489_71:
	s_or_b64 exec, exec, s[6:7]
	v_mov_b32_e32 v29, 0
	v_lshlrev_b32_e32 v32, 8, v28
	v_mov_b32_e32 v33, 0
	s_and_saveexec_b64 s[6:7], s[2:3]
	s_cbranch_execz .LBB489_73
; %bb.72:
	v_mov_b32_e32 v33, 0
	v_lshl_add_u64 v[18:19], v[24:25], 0, v[32:33]
	global_load_ushort v28, v[18:19], off
	v_lshl_add_u64 v[18:19], v[22:23], 0, v[32:33]
	s_waitcnt vmcnt(0)
	v_lshlrev_b32_e32 v28, 16, v28
	v_sub_f32_e32 v20, v28, v20
	global_store_short_d16_hi v[18:19], v20, off
	v_mul_f32_e32 v18, v42, v20
	v_lshrrev_b32_e32 v33, 16, v18
.LBB489_73:
	s_or_b64 exec, exec, s[6:7]
	v_lshlrev_b32_e32 v28, 8, v44
	s_and_saveexec_b64 s[6:7], s[4:5]
	s_cbranch_execz .LBB489_75
; %bb.74:
	v_mov_b32_e32 v29, 0
	v_lshl_add_u64 v[18:19], v[24:25], 0, v[28:29]
	global_load_ushort v20, v[18:19], off
	v_lshl_add_u64 v[18:19], v[22:23], 0, v[28:29]
	s_waitcnt vmcnt(0)
	v_lshlrev_b32_e32 v20, 16, v20
	v_sub_f32_e32 v20, v20, v21
	global_store_short_d16_hi v[18:19], v20, off
	v_mul_f32_e32 v18, v36, v20
	v_lshrrev_b32_e32 v29, 16, v18
.LBB489_75:
	s_or_b64 exec, exec, s[6:7]
	v_lshlrev_b32_e32 v43, 5, v43
	s_mov_b32 s6, 0x5040100
	v_perm_b32 v44, v31, v27, s6
	v_or_b32_e32 v27, v43, v38
	v_accvgpr_read_b32 v21, a3
	v_perm_b32 v45, v29, v33, s6
	v_lshlrev_b32_e32 v27, 1, v27
	v_accvgpr_read_b32 v20, a2
	v_accvgpr_read_b32 v19, a1
	;; [unrolled: 1-line block ×3, first 2 shown]
	ds_write_b64 v27, v[44:45] offset:45056
	v_mov_b32_e32 v31, 0
	v_mov_b32_e32 v27, 0
	s_and_saveexec_b64 s[6:7], vcc
	s_cbranch_execz .LBB489_77
; %bb.76:
	v_mov_b32_e32 v27, 0
	v_lshl_add_u64 v[44:45], v[24:25], 0, v[26:27]
	global_load_ushort v29, v[44:45], off offset:32
	v_lshl_add_u64 v[26:27], v[22:23], 0, v[26:27]
	s_waitcnt vmcnt(0)
	v_lshlrev_b32_e32 v29, 16, v29
	v_sub_f32_e32 v18, v29, v18
	global_store_short_d16_hi v[26:27], v18, off offset:32
	v_mul_f32_e32 v18, v37, v18
	v_lshrrev_b32_e32 v27, 16, v18
.LBB489_77:
	s_or_b64 exec, exec, s[6:7]
	s_and_saveexec_b64 s[6:7], s[0:1]
	s_cbranch_execz .LBB489_79
; %bb.78:
	v_mov_b32_e32 v31, 0
	v_lshl_add_u64 v[44:45], v[24:25], 0, v[30:31]
	global_load_ushort v18, v[44:45], off offset:32
	v_lshl_add_u64 v[30:31], v[22:23], 0, v[30:31]
	s_waitcnt vmcnt(0)
	v_lshlrev_b32_e32 v18, 16, v18
	v_sub_f32_e32 v18, v18, v19
	global_store_short_d16_hi v[30:31], v18, off offset:32
	v_mul_f32_e32 v18, v34, v18
	v_lshrrev_b32_e32 v31, 16, v18
.LBB489_79:
	s_or_b64 exec, exec, s[6:7]
	v_mov_b32_e32 v26, 0
	v_mov_b32_e32 v30, 0
	s_and_saveexec_b64 s[0:1], s[2:3]
	s_cbranch_execz .LBB489_81
; %bb.80:
	v_mov_b32_e32 v33, 0
	v_lshl_add_u64 v[18:19], v[24:25], 0, v[32:33]
	global_load_ushort v29, v[18:19], off offset:32
	v_lshl_add_u64 v[18:19], v[22:23], 0, v[32:33]
	s_waitcnt vmcnt(0)
	v_lshlrev_b32_e32 v29, 16, v29
	v_sub_f32_e32 v20, v29, v20
	global_store_short_d16_hi v[18:19], v20, off offset:32
	v_mul_f32_e32 v18, v42, v20
	v_lshrrev_b32_e32 v30, 16, v18
.LBB489_81:
	s_or_b64 exec, exec, s[0:1]
	v_or_b32_e32 v19, 0xb000, v40
	v_or_b32_e32 v18, 0xb000, v41
	s_and_saveexec_b64 s[0:1], s[4:5]
	s_cbranch_execz .LBB489_83
; %bb.82:
	v_mov_b32_e32 v29, 0
	v_lshl_add_u64 v[24:25], v[24:25], 0, v[28:29]
	global_load_ushort v20, v[24:25], off offset:32
	v_lshl_add_u64 v[22:23], v[22:23], 0, v[28:29]
	s_waitcnt vmcnt(0)
	v_lshlrev_b32_e32 v20, 16, v20
	v_sub_f32_e32 v20, v20, v21
	global_store_short_d16_hi v[22:23], v20, off offset:32
	v_mul_f32_e32 v20, v36, v20
	v_lshrrev_b32_e32 v26, 16, v20
.LBB489_83:
	s_or_b64 exec, exec, s[0:1]
	s_mov_b32 s0, 0x5040100
	v_or_b32_e32 v22, v43, v35
	v_perm_b32 v21, v26, v30, s0
	v_perm_b32 v20, v31, v27, s0
	v_lshlrev_b32_e32 v22, 1, v22
	s_movk_i32 s0, 0x100
	ds_write_b64 v22, v[20:21] offset:45056
	v_and_b32_e32 v20, 7, v0
	v_and_b32_e32 v21, 8, v0
	v_cmp_gt_u32_e32 vcc, s0, v0
	v_lshrrev_b32_e32 v0, 1, v0
	v_lshlrev_b32_e32 v37, 3, v1
	v_and_b32_e32 v38, 24, v0
	v_lshlrev_b32_e32 v34, 3, v20
	v_lshlrev_b32_e32 v35, 7, v20
	v_mov_b32_e32 v20, 0x4000
	v_mov_b32_e32 v22, 0x2000
	v_xor_b32_e32 v0, v37, v38
	v_cndmask_b32_e32 v36, v20, v22, vcc
	v_or_b32_e32 v1, 0x440, v0
	v_cmp_eq_u32_e32 vcc, 0, v21
	s_waitcnt lgkmcnt(0)
	s_barrier
	v_cndmask_b32_e32 v0, v1, v0, vcc
	v_or_b32_e32 v0, v0, v39
	v_xad_u32 v40, v0, v34, v35
	v_add_u32_e32 v0, v36, v40
	ds_read_b64 v[0:1], v0
	ds_read2_b64 v[20:23], v19 offset1:16
	v_or_b32_e32 v24, 32, v38
	v_xor_b32_e32 v24, v37, v24
	v_or_b32_e32 v25, 0x440, v24
	v_cndmask_b32_e32 v24, v25, v24, vcc
	s_waitcnt lgkmcnt(0)
	v_mfma_f32_16x16x16_bf16 a[0:3], v[0:1], v[20:21], 0
	v_or_b32_e32 v24, v24, v39
	v_xad_u32 v41, v24, v34, v35
	v_add_u32_e32 v24, v36, v41
	v_mfma_f32_16x16x16_bf16 a[4:7], v[0:1], v[22:23], 0
	v_or_b32_e32 v0, 64, v38
	v_xor_b32_e32 v0, v37, v0
	v_xor_b32_e32 v1, 0x440, v0
	ds_read_b64 v[32:33], v24
	v_cndmask_b32_e32 v0, v1, v0, vcc
	v_or_b32_e32 v0, v0, v39
	v_xad_u32 v42, v0, v34, v35
	v_add_u32_e32 v0, v36, v42
	ds_read_b64 v[0:1], v0
	ds_read2st64_b64 v[24:27], v19 offset0:2 offset1:4
	ds_read2st64_b64 v[28:31], v18 offset0:2 offset1:4
	s_waitcnt lgkmcnt(1)
	v_mfma_f32_16x16x16_bf16 a[0:3], v[32:33], v[24:25], a[0:3]
	s_waitcnt lgkmcnt(0)
	v_mfma_f32_16x16x16_bf16 a[4:7], v[32:33], v[28:29], a[4:7]
	v_or_b32_e32 v32, 0x60, v38
	v_xor_b32_e32 v32, v37, v32
	v_xor_b32_e32 v33, 0x440, v32
	v_cndmask_b32_e32 v32, v33, v32, vcc
	v_or_b32_e32 v32, v32, v39
	v_xad_u32 v37, v32, v34, v35
	v_add_u32_e32 v32, v36, v37
	ds_read_b64 v[32:33], v32
	v_mfma_f32_16x16x16_bf16 a[0:3], v[0:1], v[26:27], a[0:3]
	v_mov_b32_e32 v36, 0x3fb8aa3b
	v_mfma_f32_16x16x16_bf16 a[4:7], v[0:1], v[30:31], a[4:7]
	ds_read_b64 v[0:1], v19 offset:3072
	ds_read_b64 v[34:35], v18 offset:3072
	;; [unrolled: 1-line block ×3, first 2 shown]
	s_waitcnt lgkmcnt(2)
	v_mfma_f32_16x16x16_bf16 a[0:3], v[32:33], v[0:1], a[0:3]
	s_waitcnt lgkmcnt(1)
	v_mfma_f32_16x16x16_bf16 a[4:7], v[32:33], v[34:35], a[4:7]
	ds_read_b64 v[32:33], v41 offset:16384
	s_waitcnt lgkmcnt(1)
	v_mfma_f32_16x16x16_bf16 a[8:11], v[18:19], v[20:21], 0
	v_mul_f32_e32 v20, s18, v36
	v_exp_f32_e32 v36, v20
	v_accvgpr_read_b32 v21, a3
	v_mfma_f32_16x16x16_bf16 a[12:15], v[18:19], v[22:23], 0
	ds_read_b64 v[22:23], v42 offset:16384
	v_accvgpr_read_b32 v18, a0
	v_fma_f32 v18, v2, v36, v18
	v_accvgpr_read_b32 v2, a1
	v_fma_f32 v19, v3, v36, v2
	;; [unrolled: 2-line block ×3, first 2 shown]
	ds_read_b64 v[2:3], v37 offset:16384
	s_waitcnt lgkmcnt(2)
	v_mfma_f32_16x16x16_bf16 a[8:11], v[32:33], v[24:25], a[8:11]
	v_accvgpr_read_b32 v4, a4
	v_fmac_f32_e32 v21, v5, v36
	v_mfma_f32_16x16x16_bf16 a[12:15], v[32:33], v[28:29], a[12:15]
	v_accvgpr_read_b32 v29, a7
	v_fmac_f32_e32 v29, v13, v36
	s_waitcnt lgkmcnt(1)
	v_mfma_f32_16x16x16_bf16 a[0:3], v[22:23], v[26:27], a[8:11]
	v_fma_f32 v26, v10, v36, v4
	v_accvgpr_read_b32 v4, a5
	v_fma_f32 v27, v11, v36, v4
	v_mfma_f32_16x16x16_bf16 a[8:11], v[22:23], v[30:31], a[12:15]
	v_accvgpr_read_b32 v4, a6
	v_fma_f32 v28, v12, v36, v4
	s_waitcnt lgkmcnt(0)
	v_mfma_f32_16x16x16_bf16 a[0:3], v[2:3], v[0:1], a[0:3]
	v_mfma_f32_16x16x16_bf16 a[4:7], v[2:3], v[34:35], a[8:11]
	s_nop 5
	v_accvgpr_read_b32 v0, a0
	v_fma_f32 v22, v6, v36, v0
	v_accvgpr_read_b32 v0, a1
	v_fma_f32 v23, v7, v36, v0
	v_accvgpr_read_b32 v0, a2
	v_fma_f32 v24, v8, v36, v0
	v_accvgpr_read_b32 v0, a4
	v_fma_f32 v30, v14, v36, v0
	v_accvgpr_read_b32 v0, a5
	v_accvgpr_read_b32 v25, a3
	v_fma_f32 v31, v15, v36, v0
	v_accvgpr_read_b32 v0, a6
	v_accvgpr_read_b32 v33, a7
	v_fmac_f32_e32 v25, v9, v36
	v_fma_f32 v32, v16, v36, v0
	v_fmac_f32_e32 v33, v17, v36
	v_mov_b64_e32 v[2:3], v[18:19]
	v_mov_b64_e32 v[4:5], v[20:21]
	;; [unrolled: 1-line block ×8, first 2 shown]
.LBB489_84:
	s_add_u32 s0, s10, s34
	s_addc_u32 s1, s11, s35
	v_lshl_add_u64 v[0:1], v[52:53], 2, s[0:1]
	v_mov_b32_e32 v51, 0
	v_lshl_add_u64 v[0:1], v[0:1], 0, v[50:51]
	s_waitcnt vmcnt(3)
	global_store_dwordx4 v[0:1], v[2:5], off
	s_waitcnt vmcnt(3)
	global_store_dwordx4 v[0:1], v[6:9], off offset:256
	v_lshl_add_u64 v[0:1], v[54:55], 2, s[0:1]
	v_lshl_add_u64 v[0:1], v[0:1], 0, v[50:51]
	s_waitcnt vmcnt(3)
	global_store_dwordx4 v[0:1], v[10:13], off
	s_waitcnt vmcnt(3)
	global_store_dwordx4 v[0:1], v[14:17], off offset:256
	s_endpgm
	.section	.rodata,"a",@progbits
	.p2align	6, 0x0
	.amdhsa_kernel _ZN12_GLOBAL__N_139chunk_gated_delta_rule_fwd_h_hip_kernelILi32ELb1ELb1ELb1ELb0ELb0ELb0ELb1ELb0EEEvPK12hip_bfloat16S3_S3_PKfS5_PKvPS1_S8_PvPKiSB_iiiiilll
		.amdhsa_group_segment_fixed_size 49152
		.amdhsa_private_segment_fixed_size 0
		.amdhsa_kernarg_size 136
		.amdhsa_user_sgpr_count 2
		.amdhsa_user_sgpr_dispatch_ptr 0
		.amdhsa_user_sgpr_queue_ptr 0
		.amdhsa_user_sgpr_kernarg_segment_ptr 1
		.amdhsa_user_sgpr_dispatch_id 0
		.amdhsa_user_sgpr_kernarg_preload_length 0
		.amdhsa_user_sgpr_kernarg_preload_offset 0
		.amdhsa_user_sgpr_private_segment_size 0
		.amdhsa_uses_dynamic_stack 0
		.amdhsa_enable_private_segment 0
		.amdhsa_system_sgpr_workgroup_id_x 1
		.amdhsa_system_sgpr_workgroup_id_y 1
		.amdhsa_system_sgpr_workgroup_id_z 0
		.amdhsa_system_sgpr_workgroup_info 0
		.amdhsa_system_vgpr_workitem_id 0
		.amdhsa_next_free_vgpr 156
		.amdhsa_next_free_sgpr 74
		.amdhsa_accum_offset 140
		.amdhsa_reserve_vcc 1
		.amdhsa_float_round_mode_32 0
		.amdhsa_float_round_mode_16_64 0
		.amdhsa_float_denorm_mode_32 3
		.amdhsa_float_denorm_mode_16_64 3
		.amdhsa_dx10_clamp 1
		.amdhsa_ieee_mode 1
		.amdhsa_fp16_overflow 0
		.amdhsa_tg_split 0
		.amdhsa_exception_fp_ieee_invalid_op 0
		.amdhsa_exception_fp_denorm_src 0
		.amdhsa_exception_fp_ieee_div_zero 0
		.amdhsa_exception_fp_ieee_overflow 0
		.amdhsa_exception_fp_ieee_underflow 0
		.amdhsa_exception_fp_ieee_inexact 0
		.amdhsa_exception_int_div_zero 0
	.end_amdhsa_kernel
	.section	.text._ZN12_GLOBAL__N_139chunk_gated_delta_rule_fwd_h_hip_kernelILi32ELb1ELb1ELb1ELb0ELb0ELb0ELb1ELb0EEEvPK12hip_bfloat16S3_S3_PKfS5_PKvPS1_S8_PvPKiSB_iiiiilll,"axG",@progbits,_ZN12_GLOBAL__N_139chunk_gated_delta_rule_fwd_h_hip_kernelILi32ELb1ELb1ELb1ELb0ELb0ELb0ELb1ELb0EEEvPK12hip_bfloat16S3_S3_PKfS5_PKvPS1_S8_PvPKiSB_iiiiilll,comdat
.Lfunc_end489:
	.size	_ZN12_GLOBAL__N_139chunk_gated_delta_rule_fwd_h_hip_kernelILi32ELb1ELb1ELb1ELb0ELb0ELb0ELb1ELb0EEEvPK12hip_bfloat16S3_S3_PKfS5_PKvPS1_S8_PvPKiSB_iiiiilll, .Lfunc_end489-_ZN12_GLOBAL__N_139chunk_gated_delta_rule_fwd_h_hip_kernelILi32ELb1ELb1ELb1ELb0ELb0ELb0ELb1ELb0EEEvPK12hip_bfloat16S3_S3_PKfS5_PKvPS1_S8_PvPKiSB_iiiiilll
                                        ; -- End function
	.section	.AMDGPU.csdata,"",@progbits
; Kernel info:
; codeLenInByte = 9580
; NumSgprs: 80
; NumVgprs: 138
; NumAgprs: 16
; TotalNumVgprs: 156
; ScratchSize: 0
; MemoryBound: 0
; FloatMode: 240
; IeeeMode: 1
; LDSByteSize: 49152 bytes/workgroup (compile time only)
; SGPRBlocks: 9
; VGPRBlocks: 19
; NumSGPRsForWavesPerEU: 80
; NumVGPRsForWavesPerEU: 156
; AccumOffset: 140
; Occupancy: 1
; WaveLimiterHint : 1
; COMPUTE_PGM_RSRC2:SCRATCH_EN: 0
; COMPUTE_PGM_RSRC2:USER_SGPR: 2
; COMPUTE_PGM_RSRC2:TRAP_HANDLER: 0
; COMPUTE_PGM_RSRC2:TGID_X_EN: 1
; COMPUTE_PGM_RSRC2:TGID_Y_EN: 1
; COMPUTE_PGM_RSRC2:TGID_Z_EN: 0
; COMPUTE_PGM_RSRC2:TIDIG_COMP_CNT: 0
; COMPUTE_PGM_RSRC3_GFX90A:ACCUM_OFFSET: 34
; COMPUTE_PGM_RSRC3_GFX90A:TG_SPLIT: 0
	.section	.text._ZN12_GLOBAL__N_139chunk_gated_delta_rule_fwd_h_hip_kernelILi32ELb1ELb1ELb0ELb0ELb0ELb0ELb1ELb0EEEvPK12hip_bfloat16S3_S3_PKfS5_PKvPS1_S8_PvPKiSB_iiiiilll,"axG",@progbits,_ZN12_GLOBAL__N_139chunk_gated_delta_rule_fwd_h_hip_kernelILi32ELb1ELb1ELb0ELb0ELb0ELb0ELb1ELb0EEEvPK12hip_bfloat16S3_S3_PKfS5_PKvPS1_S8_PvPKiSB_iiiiilll,comdat
	.globl	_ZN12_GLOBAL__N_139chunk_gated_delta_rule_fwd_h_hip_kernelILi32ELb1ELb1ELb0ELb0ELb0ELb0ELb1ELb0EEEvPK12hip_bfloat16S3_S3_PKfS5_PKvPS1_S8_PvPKiSB_iiiiilll ; -- Begin function _ZN12_GLOBAL__N_139chunk_gated_delta_rule_fwd_h_hip_kernelILi32ELb1ELb1ELb0ELb0ELb0ELb0ELb1ELb0EEEvPK12hip_bfloat16S3_S3_PKfS5_PKvPS1_S8_PvPKiSB_iiiiilll
	.p2align	8
	.type	_ZN12_GLOBAL__N_139chunk_gated_delta_rule_fwd_h_hip_kernelILi32ELb1ELb1ELb0ELb0ELb0ELb0ELb1ELb0EEEvPK12hip_bfloat16S3_S3_PKfS5_PKvPS1_S8_PvPKiSB_iiiiilll,@function
_ZN12_GLOBAL__N_139chunk_gated_delta_rule_fwd_h_hip_kernelILi32ELb1ELb1ELb0ELb0ELb0ELb0ELb1ELb0EEEvPK12hip_bfloat16S3_S3_PKfS5_PKvPS1_S8_PvPKiSB_iiiiilll: ; @_ZN12_GLOBAL__N_139chunk_gated_delta_rule_fwd_h_hip_kernelILi32ELb1ELb1ELb0ELb0ELb0ELb0ELb1ELb0EEEvPK12hip_bfloat16S3_S3_PKfS5_PKvPS1_S8_PvPKiSB_iiiiilll
; %bb.0:
	s_load_dwordx4 s[12:15], s[0:1], 0x5c
	s_load_dwordx4 s[20:23], s[0:1], 0x70
	s_abs_i32 s6, s3
	s_ashr_i32 s5, s3, 31
	s_load_dwordx4 s[16:19], s[0:1], 0x28
	s_waitcnt lgkmcnt(0)
	s_abs_i32 s4, s13
	v_cvt_f32_u32_e32 v1, s4
	s_sub_i32 s8, 0, s4
	s_ashr_i32 s7, s13, 31
	s_xor_b32 s5, s5, s7
	v_rcp_iflag_f32_e32 v1, v1
	v_and_b32_e32 v66, 15, v0
	v_bfe_u32 v65, v0, 4, 2
	v_mov_b32_e32 v51, 0
	v_mul_f32_e32 v1, 0x4f7ffffe, v1
	v_cvt_u32_f32_e32 v1, v1
	v_lshlrev_b32_e32 v67, 3, v0
	v_readfirstlane_b32 s9, v1
	s_mul_i32 s8, s8, s9
	s_mul_hi_u32 s8, s9, s8
	s_add_i32 s9, s9, s8
	s_mul_hi_u32 s8, s6, s9
	s_mul_i32 s9, s8, s4
	s_sub_i32 s6, s6, s9
	s_add_i32 s10, s8, 1
	s_sub_i32 s9, s6, s4
	s_cmp_ge_u32 s6, s4
	s_cselect_b32 s8, s10, s8
	s_cselect_b32 s6, s9, s6
	s_add_i32 s9, s8, 1
	s_cmp_ge_u32 s6, s4
	s_cselect_b32 s6, s9, s8
	s_xor_b32 s6, s6, s5
	s_add_i32 s8, s12, 63
	s_sub_i32 s52, s6, s5
	s_ashr_i32 s9, s8, 31
	s_mul_i32 s5, s52, s13
	s_sub_i32 s50, s3, s5
	s_lshr_b32 s3, s9, 26
	s_add_i32 s8, s8, s3
	s_abs_i32 s3, s14
	v_cvt_f32_u32_e32 v1, s3
	s_ashr_i32 s51, s12, 31
	s_lshr_b32 s6, s51, 26
	s_add_i32 s6, s12, s6
	v_rcp_iflag_f32_e32 v1, v1
	s_ashr_i32 s55, s14, 31
	s_ashr_i32 s24, s8, 6
	;; [unrolled: 1-line block ×3, first 2 shown]
	v_mul_f32_e32 v1, 0x4f7ffffe, v1
	v_cvt_u32_f32_e32 v1, v1
	s_xor_b32 s6, s7, s55
	s_sub_i32 s7, 0, s3
	s_lshl_b32 s2, s2, 5
	v_readfirstlane_b32 s8, v1
	s_mul_i32 s7, s7, s8
	s_mul_hi_u32 s7, s8, s7
	s_add_i32 s8, s8, s7
	s_mul_hi_u32 s7, s4, s8
	s_mul_i32 s8, s7, s3
	s_sub_i32 s4, s4, s8
	s_add_i32 s8, s7, 1
	s_sub_i32 s9, s4, s3
	s_cmp_ge_u32 s4, s3
	s_cselect_b32 s7, s8, s7
	s_cselect_b32 s4, s9, s4
	s_add_i32 s8, s7, 1
	s_cmp_ge_u32 s4, s3
	s_cselect_b32 s3, s8, s7
	s_xor_b32 s3, s3, s6
	s_sub_i32 s3, s3, s6
	s_abs_i32 s4, s3
	v_cvt_f32_u32_e32 v1, s4
	s_sub_i32 s7, 0, s4
	s_abs_i32 s6, s50
	s_xor_b32 s3, s50, s3
	v_rcp_iflag_f32_e32 v2, v1
	s_ashr_i32 s3, s3, 31
	v_lshrrev_b32_e32 v1, 6, v0
	v_or_b32_e32 v56, s2, v66
	v_mul_f32_e32 v2, 0x4f7ffffe, v2
	v_cvt_u32_f32_e32 v2, v2
	v_lshlrev_b32_e32 v64, 4, v1
	v_lshlrev_b32_e32 v52, 7, v56
	v_lshl_or_b32 v69, v65, 2, v64
	v_readfirstlane_b32 s8, v2
	s_mul_i32 s7, s7, s8
	s_mul_hi_u32 s7, s8, s7
	s_add_i32 s8, s8, s7
	s_mul_hi_u32 s7, s6, s8
	s_mul_i32 s8, s7, s4
	s_sub_i32 s6, s6, s8
	s_add_i32 s8, s7, 1
	s_sub_i32 s9, s6, s4
	s_cmp_ge_u32 s6, s4
	s_cselect_b32 s7, s8, s7
	s_cselect_b32 s6, s9, s6
	s_add_i32 s8, s7, 1
	s_cmp_ge_u32 s6, s4
	s_cselect_b32 s4, s8, s7
	s_xor_b32 s4, s4, s3
	s_sub_i32 s56, s4, s3
	s_ashr_i32 s3, s52, 31
	s_ashr_i32 s54, s50, 31
	s_mul_hi_i32 s4, s52, s13
	s_add_u32 s40, s5, s50
	s_addc_u32 s41, s4, s54
	s_lshl_b64 s[28:29], s[40:41], 16
	s_add_u32 s4, s16, s28
	s_addc_u32 s5, s17, s29
	v_ashrrev_i32_e32 v53, 31, v52
	v_lshl_add_u64 v[2:3], v[52:53], 2, s[4:5]
	v_lshlrev_b32_e32 v50, 2, v69
	v_or_b32_e32 v54, 0x800, v52
	v_lshl_add_u64 v[10:11], v[2:3], 0, v[50:51]
	v_ashrrev_i32_e32 v55, 31, v54
	global_load_dwordx4 v[2:5], v[10:11], off
	global_load_dwordx4 v[6:9], v[10:11], off offset:256
	v_lshl_add_u64 v[10:11], v[54:55], 2, s[4:5]
	v_lshl_add_u64 v[18:19], v[10:11], 0, v[50:51]
	global_load_dwordx4 v[10:13], v[18:19], off
	global_load_dwordx4 v[14:17], v[18:19], off offset:256
	s_load_dwordx2 s[30:31], s[0:1], 0x40
	s_load_dwordx8 s[4:11], s[0:1], 0x0
	s_load_dwordx2 s[34:35], s[0:1], 0x80
	v_and_b32_e32 v51, 63, v0
	s_mul_i32 s57, s52, s24
	v_or_b32_e32 v70, 64, v69
	s_cmp_lt_i32 s12, 64
	v_lshrrev_b32_e32 v68, 3, v51
	s_mul_i32 s58, s41, s12
	s_mul_hi_u32 s59, s40, s12
	s_mul_i32 s16, s40, s12
	s_mul_i32 s33, s52, s21
	s_mul_hi_u32 s46, s52, s20
	s_mul_i32 s47, s3, s20
	s_mul_i32 s36, s52, s20
	;; [unrolled: 1-line block ×3, first 2 shown]
	s_mul_hi_u32 s48, s50, s22
	s_mul_i32 s49, s54, s22
	s_mul_i32 s38, s50, s22
	s_cbranch_scc1 .LBB490_19
; %bb.1:
	s_add_i32 s17, s59, s58
	s_lshl_b64 s[0:1], s[16:17], 8
	v_and_b32_e32 v72, 56, v67
	s_waitcnt lgkmcnt(0)
	s_add_u32 s20, s6, s0
	v_lshl_or_b32 v71, v1, 3, v68
	v_lshlrev_b32_e32 v18, 1, v72
	s_addc_u32 s0, s7, s1
	v_lshl_or_b32 v73, v71, 8, v18
	s_and_b32 s21, s0, 0xffff
	s_mov_b32 s23, 0x20000
	s_movk_i32 s22, 0x4000
	s_movk_i32 s0, 0x80
	v_or_b32_e32 v74, 0x2000, v73
	buffer_load_dwordx4 v[20:23], v73, s[20:23], 0 offen
	buffer_load_dwordx4 v[24:27], v73, s[20:23], s0 offen
	;; [unrolled: 1-line block ×4, first 2 shown]
	v_lshlrev_b32_e32 v19, 3, v71
	v_and_or_b32 v37, v0, 7, v19
	v_and_b32_e32 v19, 0x78, v19
	v_lshlrev_b32_e32 v37, 4, v37
	v_xor_b32_e32 v75, v37, v19
	v_mul_lo_u32 v36, v71, s15
	v_or_b32_e32 v76, 0x1000, v75
	v_xor_b32_e32 v19, 8, v75
	s_cmpk_eq_i32 s15, 0x80
	s_mov_b32 s60, s14
	v_xor_b32_e32 v37, 8, v76
	s_cselect_b64 s[0:1], -1, 0
	s_cmpk_lg_i32 s15, 0x80
	s_waitcnt vmcnt(3)
	ds_write_b64 v75, v[20:21] offset:24576
	ds_write_b64 v19, v[22:23] offset:24576
	s_waitcnt vmcnt(2)
	ds_write_b64 v75, v[24:25] offset:32768
	ds_write_b64 v19, v[26:27] offset:32768
	;; [unrolled: 3-line block ×4, first 2 shown]
	v_lshl_add_u32 v19, v36, 1, v72
	s_cbranch_scc0 .LBB490_3
; %bb.2:
	v_lshlrev_b32_e32 v21, 1, v19
	v_add_lshl_u32 v20, v19, s15, 1
	s_lshl_b32 s22, s15, 7
	v_lshl_or_b32 v18, v71, 9, v18
	s_cbranch_execz .LBB490_4
	s_branch .LBB490_5
.LBB490_3:
                                        ; implicit-def: $vgpr20
                                        ; implicit-def: $vgpr21
                                        ; implicit-def: $sgpr22
	v_lshl_or_b32 v18, v71, 9, v18
.LBB490_4:
	v_or_b32_e32 v20, 0x100, v18
	s_movk_i32 s22, 0x4000
	v_mov_b32_e32 v21, v18
.LBB490_5:
	s_mul_hi_u32 s20, s14, s12
	s_mul_i32 s21, s55, s12
	s_add_i32 s20, s20, s21
	s_mul_i32 s21, s14, s12
	s_mul_i32 s23, s21, s3
	s_mul_hi_u32 s24, s21, s52
	s_add_i32 s23, s24, s23
	s_mul_i32 s20, s20, s52
	s_add_i32 s23, s23, s20
	s_mul_i32 s21, s21, s52
	s_ashr_i32 s61, s56, 31
	s_add_u32 s20, s21, s56
	s_addc_u32 s21, s23, s61
	s_lshl_b64 s[20:21], s[20:21], 8
	s_add_u32 s20, s4, s20
	s_addc_u32 s21, s5, s21
	s_and_b32 s21, s21, 0xffff
	s_mov_b32 s23, 0x20000
	s_movk_i32 s62, 0x80
	buffer_load_dwordx4 v[22:25], v21, s[20:23], 0 offen
	buffer_load_dwordx4 v[26:29], v21, s[20:23], s62 offen
	;; [unrolled: 1-line block ×4, first 2 shown]
	v_and_b32_e32 v20, 6, v0
	v_lshlrev_b32_e32 v39, 6, v69
	v_or_b32_e32 v41, 16, v66
	v_xor_b32_e32 v42, v71, v20
	v_and_b32_e32 v21, 1, v0
	v_lshl_or_b32 v45, v66, 3, v39
	v_lshl_or_b32 v39, v41, 3, v39
	v_lshlrev_b32_e32 v42, 2, v42
	s_mul_i32 s3, s3, s12
	s_mul_hi_u32 s20, s52, s12
	v_lshlrev_b32_e32 v38, 2, v66
	v_or_b32_e32 v79, 0xa000, v39
	v_or_b32_e32 v80, 0xb000, v39
	v_xor_b32_e32 v39, 0x440, v42
	v_cmp_eq_u32_e32 vcc, 0, v21
	v_xor_b32_e32 v43, v69, v38
	v_xor_b32_e32 v44, v70, v38
	v_cndmask_b32_e32 v21, v39, v42, vcc
	s_add_i32 s67, s20, s3
	s_add_i32 s3, s46, s33
	s_mov_b32 s64, 0x1000504
	v_lshlrev_b32_e32 v40, 8, v66
	v_lshlrev_b32_e32 v43, 1, v43
	;; [unrolled: 1-line block ×3, first 2 shown]
	v_lshl_or_b32 v20, v20, 10, v21
	s_add_i32 s37, s3, s47
	s_add_i32 s3, s48, s41
	s_mov_b32 s65, 0x3020706
	v_or_b32_e32 v77, 0xa000, v45
	v_or_b32_e32 v78, 0xb000, v45
	;; [unrolled: 1-line block ×4, first 2 shown]
	v_xor_b32_e32 v21, 8, v20
	v_xor_b32_e32 v40, 24, v20
	;; [unrolled: 1-line block ×4, first 2 shown]
	s_add_i32 s39, s3, s49
	s_lshl_b64 s[20:21], s[36:37], 2
	v_xor_b32_e32 v39, 16, v20
	v_xor_b32_e32 v42, 32, v20
	;; [unrolled: 1-line block ×3, first 2 shown]
	v_add_u32_e32 v21, 0x80, v21
	v_add_u32_e32 v40, 0x80, v40
	;; [unrolled: 1-line block ×4, first 2 shown]
	s_add_u32 s3, s10, s20
	s_addc_u32 s22, s11, s21
	s_lshl_b64 s[20:21], s[38:39], 2
	s_add_u32 s42, s3, s20
	s_movk_i32 s3, 0xf8
	s_addc_u32 s43, s22, s21
	s_lshl_b32 s26, s15, 7
	s_movk_i32 s24, 0x100
	v_mov_b32_e32 v59, 0
	v_lshlrev_b32_e32 v58, 4, v66
	v_cmp_gt_u32_e32 vcc, s24, v0
	v_ashrrev_i32_e32 v57, 31, v56
	s_mov_b32 s63, 0
	s_mul_i32 s66, s52, s12
	s_movk_i32 s37, 0x1000
	s_movk_i32 s22, 0x4000
	v_lshl_add_u64 v[60:61], v[56:57], 1, s[8:9]
	v_mov_b32_e32 v105, 0x3fb8aa3b
	s_mov_b32 s68, 0
	s_waitcnt vmcnt(1)
	v_perm_b32 v48, v22, v30, s64
	s_waitcnt vmcnt(0)
	v_perm_b32 v49, v26, v34, s64
	v_perm_b32 v22, v22, v30, s65
	;; [unrolled: 1-line block ×15, first 2 shown]
	ds_write2st64_b32 v20, v48, v49 offset0:32 offset1:64
	ds_write2st64_b32 v21, v22, v26 offset0:32 offset1:64
	;; [unrolled: 1-line block ×8, first 2 shown]
	v_lshlrev_b32_e32 v20, 8, v41
	v_or_b32_e32 v83, v20, v43
	v_or_b32_e32 v84, v20, v44
	;; [unrolled: 1-line block ×3, first 2 shown]
	v_lshlrev_b32_e32 v20, 3, v20
	v_lshrrev_b32_e32 v23, 5, v51
	v_and_or_b32 v23, v20, s3, v23
	v_lshlrev_b32_e32 v23, 4, v23
	v_lshlrev_b32_e32 v21, 11, v1
	v_and_b32_e32 v20, 0x78, v20
	v_or_b32_e32 v28, 32, v23
	v_and_b32_e32 v22, 0x1000, v21
	v_lshrrev_b32_e32 v25, 1, v0
	v_xor_b32_e32 v28, v28, v20
	v_and_b32_e32 v26, 8, v25
	v_or_b32_e32 v28, v28, v22
	v_xor_b32_e32 v24, v23, v20
	v_xor_b32_e32 v87, v28, v26
	v_or_b32_e32 v28, 64, v23
	v_or_b32_e32 v23, 0x60, v23
	s_ashr_i32 s3, s2, 31
	v_xor_b32_e32 v28, v28, v20
	v_xor_b32_e32 v20, v23, v20
	s_lshl_b64 s[20:21], s[2:3], 8
	v_or_b32_e32 v24, v24, v22
	v_or_b32_e32 v28, v28, v22
	;; [unrolled: 1-line block ×3, first 2 shown]
	s_add_u32 s20, s18, s20
	v_lshlrev_b32_e32 v22, 1, v66
	v_xor_b32_e32 v89, v28, v26
	v_lshrrev_b32_e32 v28, 4, v0
	s_addc_u32 s21, s19, s21
	v_or_b32_e32 v23, 1, v22
	v_mov_b32_e32 v32, 0x4000
	v_mov_b32_e32 v33, 0x2000
	v_xor_b32_e32 v29, v28, v22
	v_xor_b32_e32 v30, v23, v28
	v_lshl_add_u64 v[22:23], s[20:21], 0, v[58:59]
	v_lshlrev_b32_e32 v58, 8, v28
	v_cndmask_b32_e32 v32, v32, v33, vcc
	v_lshlrev_b32_e32 v33, 3, v1
	v_and_b32_e32 v25, 24, v25
	v_lshl_or_b32 v93, v29, 3, v58
	v_and_b32_e32 v29, 8, v0
	v_xor_b32_e32 v34, v33, v25
	v_or_b32_e32 v35, 0x440, v34
	v_cmp_eq_u32_e32 vcc, 0, v29
	v_and_b32_e32 v28, 7, v0
	v_xor_b32_e32 v85, v24, v26
	v_cndmask_b32_e32 v29, v35, v34, vcc
	v_lshlrev_b32_e32 v24, 7, v65
	v_lshl_or_b32 v94, v30, 3, v58
	v_lshlrev_b32_e32 v30, 3, v28
	v_lshlrev_b32_e32 v28, 7, v28
	v_lshlrev_b32_e32 v31, 2, v0
	v_or_b32_e32 v29, v29, v21
	v_or_b32_e32 v27, v24, v38
	v_xad_u32 v95, v29, v30, v28
	v_and_or_b32 v24, v31, 60, v24
	v_mov_b32_e32 v29, 0xb000
	v_lshl_or_b32 v96, v24, 1, v29
	v_or_b32_e32 v24, 32, v25
	v_xor_b32_e32 v24, v33, v24
	v_or_b32_e32 v29, 0x440, v24
	v_cndmask_b32_e32 v24, v29, v24, vcc
	v_or_b32_e32 v24, v24, v21
	v_xad_u32 v97, v24, v30, v28
	v_or_b32_e32 v24, 64, v25
	v_xor_b32_e32 v24, v33, v24
	v_xor_b32_e32 v29, 0x440, v24
	v_cndmask_b32_e32 v24, v29, v24, vcc
	v_or_b32_e32 v24, v24, v21
	v_xad_u32 v98, v24, v30, v28
	v_or_b32_e32 v24, 0x60, v25
	v_xor_b32_e32 v24, v33, v24
	v_xor_b32_e32 v25, 0x440, v24
	v_cndmask_b32_e32 v24, v25, v24, vcc
	v_lshlrev_b32_e32 v27, 1, v27
	v_or_b32_e32 v21, v24, v21
	v_or_b32_e32 v86, 0xa000, v27
	;; [unrolled: 1-line block ×3, first 2 shown]
	v_xor_b32_e32 v90, v20, v26
	v_or_b32_e32 v91, 0xb000, v27
	v_or_b32_e32 v92, 0xb080, v27
	v_lshlrev_b32_e32 v20, 7, v69
	v_lshlrev_b32_e32 v26, 1, v19
	v_add_lshl_u32 v19, v19, s15, 1
	v_or_b32_e32 v27, 0x100, v18
	v_xad_u32 v99, v21, v30, v28
	v_cndmask_b32_e64 v100, v26, v18, s[0:1]
	v_cndmask_b32_e64 v101, v19, v27, s[0:1]
	v_lshl_add_u64 v[62:63], v[22:23], 0, v[58:59]
	s_mov_b32 s3, 0x7060302
	v_lshlrev_b32_e32 v58, 1, v20
	v_add_u32_e32 v57, v32, v95
	v_add_u32_e32 v102, v32, v97
	v_add_u32_e32 v103, v32, v98
	v_add_u32_e32 v104, v32, v99
	s_waitcnt lgkmcnt(0)
	s_barrier
.LBB490_6:                              ; =>This Inner Loop Header: Depth=1
	s_add_i32 s39, s68, 1
	s_cmp_lt_i32 s39, s53
	s_mov_b64 s[24:25], 0
	s_cselect_b64 s[44:45], -1, 0
	s_cmp_ge_i32 s39, s53
	s_mov_b64 s[20:21], 0
	s_cbranch_scc1 .LBB490_8
; %bb.7:                                ;   in Loop: Header=BB490_6 Depth=1
	s_add_i32 s0, s63, 64
	s_add_u32 s0, s16, s0
	s_addc_u32 s1, s17, 0
	s_lshl_b64 s[0:1], s[0:1], 8
	s_add_u32 s20, s6, s0
	s_addc_u32 s21, s7, s1
.LBB490_8:                              ;   in Loop: Header=BB490_6 Depth=1
	v_cndmask_b32_e64 v18, 0, 1, s[44:45]
	v_cmp_ne_u32_e64 s[0:1], 1, v18
	s_andn2_b64 vcc, exec, s[44:45]
	s_cbranch_vccnz .LBB490_10
; %bb.9:                                ;   in Loop: Header=BB490_6 Depth=1
	s_add_i32 s24, s63, 64
	s_add_u32 s24, s66, s24
	s_addc_u32 s25, s67, 0
	s_mul_i32 s27, s24, s55
	s_mul_hi_u32 s44, s24, s60
	s_add_i32 s27, s44, s27
	s_mul_i32 s25, s25, s60
	s_add_i32 s27, s27, s25
	s_mul_i32 s24, s24, s60
	s_add_u32 s24, s24, s56
	s_addc_u32 s25, s27, s61
	s_lshl_b64 s[24:25], s[24:25], 8
	s_add_u32 s24, s4, s24
	s_addc_u32 s25, s5, s25
.LBB490_10:                             ;   in Loop: Header=BB490_6 Depth=1
	v_perm_b32 v19, v5, v4, s3
	v_perm_b32 v18, v3, v2, s3
	;; [unrolled: 1-line block ×4, first 2 shown]
	ds_write_b64 v77, v[18:19]
	ds_write_b64 v78, v[20:21]
	;; [unrolled: 1-line block ×4, first 2 shown]
	v_perm_b32 v19, v13, v12, s3
	v_perm_b32 v18, v11, v10, s3
	;; [unrolled: 1-line block ×4, first 2 shown]
	ds_write_b64 v79, v[18:19]
	ds_write_b64 v80, v[20:21]
	ds_write_b64 v83, v[18:19]
	ds_write_b64 v84, v[20:21]
	s_waitcnt lgkmcnt(0)
	s_barrier
	ds_read_b64 v[22:23], v85 offset:24576
	ds_read2_b64 v[18:21], v86 offset1:16
	ds_read_b64 v[26:27], v88 offset:3072
	ds_read_b64 v[28:29], v86 offset:3072
	;; [unrolled: 1-line block ×3, first 2 shown]
	s_waitcnt lgkmcnt(3)
	v_mfma_f32_16x16x16_bf16 a[0:3], v[22:23], v[18:19], 0
	s_add_i32 s27, s63, 63
	s_mul_i32 s44, s27, s35
	s_mul_hi_u32 s45, s27, s34
	v_mfma_f32_16x16x16_bf16 a[4:7], v[22:23], v[20:21], 0
	ds_read2st64_b64 v[18:21], v86 offset0:2 offset1:4
	ds_read2st64_b64 v[22:25], v88 offset0:2 offset1:4
	s_add_i32 s45, s45, s44
	s_waitcnt lgkmcnt(1)
	v_mfma_f32_16x16x16_bf16 a[0:3], v[30:31], v[18:19], a[0:3]
	s_mul_i32 s44, s27, s34
	s_lshl_b64 s[44:45], s[44:45], 2
	s_add_u32 s44, s42, s44
	s_waitcnt lgkmcnt(0)
	v_mfma_f32_16x16x16_bf16 a[4:7], v[30:31], v[22:23], a[4:7]
	ds_read_b64 v[18:19], v89 offset:24576
	ds_read_b64 v[22:23], v90 offset:24576
	s_addc_u32 s45, s43, s45
	s_and_b64 vcc, exec, s[0:1]
	s_waitcnt lgkmcnt(1)
	v_mfma_f32_16x16x16_bf16 a[0:3], v[18:19], v[20:21], a[0:3]
	v_mov_b32_e32 v108, 0
	v_mov_b32_e32 v107, 0
	;; [unrolled: 1-line block ×3, first 2 shown]
	v_mfma_f32_16x16x16_bf16 a[4:7], v[18:19], v[24:25], a[4:7]
	v_mov_b32_e32 v18, 0
	v_mov_b32_e32 v19, 0
	;; [unrolled: 1-line block ×3, first 2 shown]
	s_waitcnt lgkmcnt(0)
	v_mfma_f32_16x16x16_bf16 a[0:3], v[22:23], v[28:29], a[0:3]
	v_mov_b32_e32 v21, 0
	v_mov_b32_e32 v24, 0
	;; [unrolled: 1-line block ×3, first 2 shown]
	v_mfma_f32_16x16x16_bf16 a[4:7], v[22:23], v[26:27], a[4:7]
	v_mov_b32_e32 v22, 0
	v_mov_b32_e32 v23, 0
	;; [unrolled: 1-line block ×10, first 2 shown]
	s_cbranch_vccnz .LBB490_12
; %bb.11:                               ;   in Loop: Header=BB490_6 Depth=1
	s_and_b32 s21, s21, 0xffff
	buffer_load_dwordx4 v[30:33], v73, s[20:23], 0 offen
	buffer_load_dwordx4 v[26:29], v73, s[20:23], s62 offen
	buffer_load_dwordx4 v[22:25], v74, s[20:23], 0 offen
	buffer_load_dwordx4 v[18:21], v74, s[20:23], s62 offen
	v_mov_b32_e32 v107, v75
	v_mov_b32_e32 v106, v76
.LBB490_12:                             ;   in Loop: Header=BB490_6 Depth=1
	ds_read_b64 v[38:39], v85 offset:32768
	ds_read2_b64 v[34:37], v91 offset1:16
	ds_read_b64 v[42:43], v87 offset:32768
	ds_read_b64 v[44:45], v89 offset:32768
	;; [unrolled: 1-line block ×3, first 2 shown]
	v_add_u32_e32 v48, s63, v69
	s_waitcnt lgkmcnt(3)
	v_mfma_f32_16x16x16_bf16 a[0:3], v[38:39], v[34:35], a[0:3]
	v_mul_lo_u32 v49, v48, s35
	v_mfma_f32_16x16x16_bf16 a[4:7], v[38:39], v[36:37], a[4:7]
	ds_read2st64_b64 v[34:37], v91 offset0:2 offset1:4
	ds_read2st64_b64 v[38:41], v92 offset0:2 offset1:4
	s_waitcnt lgkmcnt(1)
	v_mfma_f32_16x16x16_bf16 a[0:3], v[42:43], v[34:35], a[0:3]
	v_ashrrev_i32_e32 v34, 31, v48
	v_mul_lo_u32 v109, v34, s34
	v_mad_u64_u32 v[34:35], s[20:21], v48, s34, 0
	v_mfma_f32_16x16x16_bf16 a[0:3], v[44:45], v[36:37], a[0:3]
	v_add_u32_e32 v36, 1, v48
	v_ashrrev_i32_e32 v37, 31, v36
	v_add3_u32 v35, v35, v49, v109
	s_waitcnt lgkmcnt(0)
	v_mfma_f32_16x16x16_bf16 a[4:7], v[42:43], v[38:39], a[4:7]
	v_mul_lo_u32 v38, v37, s34
	v_mul_lo_u32 v39, v36, s35
	v_mad_u64_u32 v[36:37], s[20:21], v36, s34, 0
	v_add3_u32 v37, v37, v39, v38
	v_add_u32_e32 v38, 2, v48
	v_ashrrev_i32_e32 v39, 31, v38
	v_mul_lo_u32 v42, v39, s34
	v_mul_lo_u32 v43, v38, s35
	v_mad_u64_u32 v[38:39], s[20:21], v38, s34, 0
	v_add3_u32 v39, v39, v43, v42
	v_add_u32_e32 v42, 3, v48
	v_ashrrev_i32_e32 v43, 31, v42
	v_mul_lo_u32 v48, v43, s34
	v_mul_lo_u32 v49, v42, s35
	v_mad_u64_u32 v[42:43], s[20:21], v42, s34, 0
	s_add_u32 s20, s16, s63
	s_addc_u32 s21, s17, 0
	s_lshl_b64 s[20:21], s[20:21], 8
	v_lshl_add_u64 v[34:35], v[34:35], 2, s[42:43]
	v_lshl_add_u64 v[36:37], v[36:37], 2, s[42:43]
	v_add3_u32 v43, v43, v49, v48
	v_lshl_add_u64 v[48:49], v[60:61], 0, s[20:21]
	v_lshl_add_u64 v[38:39], v[38:39], 2, s[42:43]
	;; [unrolled: 1-line block ×3, first 2 shown]
	global_load_dword v109, v[34:35], off
	global_load_ushort v110, v[48:49], off offset:256
	global_load_ushort v111, v[48:49], off
	global_load_ushort v112, v[48:49], off offset:768
	global_load_ushort v113, v[48:49], off offset:512
	v_lshl_add_u64 v[34:35], v[42:43], 2, s[42:43]
	global_load_dword v114, v[36:37], off
	global_load_dword v115, v[38:39], off
	;; [unrolled: 1-line block ×3, first 2 shown]
	ds_read_b64 v[34:35], v91 offset:3072
	ds_read_b64 v[36:37], v92 offset:3072
	global_load_ushort v117, v[48:49], off offset:800
	global_load_ushort v118, v[48:49], off offset:544
	;; [unrolled: 1-line block ×3, first 2 shown]
	s_nop 0
	global_load_ushort v48, v[48:49], off offset:32
	s_load_dword s20, s[44:45], 0x0
	v_mfma_f32_16x16x16_bf16 a[4:7], v[44:45], v[40:41], a[4:7]
	s_and_b64 vcc, exec, s[0:1]
	v_mov_b32_e32 v49, 0
	s_waitcnt vmcnt(11) lgkmcnt(0)
	v_sub_f32_e32 v44, s20, v109
	v_mfma_f32_16x16x16_bf16 a[0:3], v[46:47], v[34:35], a[0:3]
	v_mul_f32_e32 v44, 0x3fb8aa3b, v44
	v_exp_f32_e32 v44, v44
	s_waitcnt vmcnt(6)
	v_sub_f32_e32 v45, s20, v114
	v_mfma_f32_16x16x16_bf16 a[4:7], v[46:47], v[36:37], a[4:7]
	s_waitcnt vmcnt(5)
	v_sub_f32_e32 v46, s20, v115
	s_waitcnt vmcnt(4)
	v_sub_f32_e32 v47, s20, v116
	v_mul_f32_e32 v45, 0x3fb8aa3b, v45
	v_mul_f32_e32 v46, 0x3fb8aa3b, v46
	;; [unrolled: 1-line block ×3, first 2 shown]
	v_exp_f32_e32 v45, v45
	v_exp_f32_e32 v46, v46
	;; [unrolled: 1-line block ×3, first 2 shown]
	v_accvgpr_read_b32 v39, a1
	v_accvgpr_read_b32 v35, a3
	;; [unrolled: 1-line block ×4, first 2 shown]
	v_lshlrev_b32_e32 v41, 16, v110
	v_lshlrev_b32_e32 v40, 16, v111
	;; [unrolled: 1-line block ×4, first 2 shown]
	v_pk_add_f32 v[38:39], v[40:41], v[38:39] neg_lo:[0,1] neg_hi:[0,1]
	v_pk_add_f32 v[34:35], v[42:43], v[34:35] neg_lo:[0,1] neg_hi:[0,1]
	v_pk_mul_f32 v[38:39], v[44:45], v[38:39]
	v_pk_mul_f32 v[34:35], v[46:47], v[34:35]
	v_accvgpr_read_b32 v41, a5
	v_perm_b32 v35, v35, v34, s3
	v_perm_b32 v34, v39, v38, s3
	s_waitcnt vmcnt(1)
	v_lshlrev_b32_e32 v39, 16, v119
	s_waitcnt vmcnt(0)
	v_lshlrev_b32_e32 v38, 16, v48
	v_accvgpr_read_b32 v40, a4
	v_accvgpr_read_b32 v37, a7
	;; [unrolled: 1-line block ×3, first 2 shown]
	v_pk_add_f32 v[38:39], v[38:39], v[40:41] neg_lo:[0,1] neg_hi:[0,1]
	v_lshlrev_b32_e32 v41, 16, v117
	v_lshlrev_b32_e32 v40, 16, v118
	v_pk_add_f32 v[36:37], v[40:41], v[36:37] neg_lo:[0,1] neg_hi:[0,1]
	v_pk_mul_f32 v[38:39], v[44:45], v[38:39]
	v_pk_mul_f32 v[36:37], v[46:47], v[36:37]
	v_mov_b32_e32 v109, 0
	v_perm_b32 v37, v37, v36, s3
	v_perm_b32 v36, v39, v38, s3
	ds_write2_b64 v78, v[34:35], v[36:37] offset1:16
	v_mov_b32_e32 v34, 0
	v_mov_b32_e32 v35, 0
	;; [unrolled: 1-line block ×15, first 2 shown]
	s_cbranch_vccnz .LBB490_14
; %bb.13:                               ;   in Loop: Header=BB490_6 Depth=1
	s_and_b32 s25, s25, 0xffff
	s_mov_b32 s27, s23
	buffer_load_dwordx4 v[46:49], v100, s[24:27], 0 offen
	buffer_load_dwordx4 v[38:41], v100, s[24:27], s62 offen
	;; [unrolled: 1-line block ×4, first 2 shown]
	v_mov_b32_e32 v108, v72
	v_mov_b32_e32 v109, v71
.LBB490_14:                             ;   in Loop: Header=BB490_6 Depth=1
	s_waitcnt lgkmcnt(0)
	s_barrier
	ds_read_b64 v[114:115], v57
	ds_read_b64 v[122:123], v96
	;; [unrolled: 1-line block ×5, first 2 shown]
	ds_read_b64 v[128:129], v97 offset:16384
	ds_read_b64 v[130:131], v95 offset:16384
	ds_read2_b64 v[110:113], v91 offset0:16 offset1:128
	s_waitcnt lgkmcnt(6)
	v_mfma_f32_16x16x16_bf16 a[0:3], v[114:115], v[122:123], 0
	ds_read_b64 v[132:133], v92 offset:3072
	ds_read_b64 v[134:135], v99 offset:16384
	s_add_i32 s21, s57, s68
	s_waitcnt lgkmcnt(2)
	v_mfma_f32_16x16x16_bf16 a[4:7], v[114:115], v[110:111], 0
	ds_read2st64_b64 v[114:117], v92 offset0:2 offset1:4
	s_mul_hi_i32 s25, s21, s13
	s_mul_i32 s21, s21, s13
	v_mfma_f32_16x16x16_bf16 a[0:3], v[118:119], v[112:113], a[0:3]
	s_add_u32 s24, s21, s50
	s_addc_u32 s25, s25, s54
	s_lshl_b64 s[24:25], s[24:25], 15
	s_waitcnt lgkmcnt(0)
	v_mfma_f32_16x16x16_bf16 a[4:7], v[118:119], v[114:115], a[4:7]
	ds_read2st64_b64 v[118:121], v91 offset0:4 offset1:6
	s_waitcnt lgkmcnt(0)
	v_mfma_f32_16x16x16_bf16 a[0:3], v[124:125], v[118:119], a[0:3]
	v_mfma_f32_16x16x16_bf16 a[8:11], v[124:125], v[116:117], a[4:7]
	;; [unrolled: 1-line block ×5, first 2 shown]
	ds_read2st64_b64 v[122:125], v94 offset1:8
	v_mfma_f32_16x16x16_bf16 a[12:15], v[130:131], v[110:111], 0
	ds_read_b64 v[130:131], v98 offset:16384
	v_mfma_f32_16x16x16_bf16 a[8:11], v[128:129], v[112:113], a[8:11]
	ds_read2st64_b64 v[110:113], v93 offset1:8
	s_waitcnt lgkmcnt(0)
	v_mov_b32_e32 v126, v110
	v_mfma_f32_16x16x16_bf16 a[12:15], v[128:129], v[114:115], a[12:15]
	v_lshl_add_u64 v[114:115], v[62:63], 0, s[24:25]
	v_add_co_u32_e32 v110, vcc, s37, v114
	v_mfma_f32_16x16x16_bf16 a[8:11], v[130:131], v[118:119], a[8:11]
	v_mov_b32_e32 v127, v111
	v_addc_co_u32_e32 v111, vcc, 0, v115, vcc
	v_mfma_f32_16x16x16_bf16 a[12:15], v[130:131], v[116:117], a[12:15]
	v_mov_b32_e32 v128, v122
	v_mov_b32_e32 v129, v123
	;; [unrolled: 1-line block ×3, first 2 shown]
	v_mfma_f32_16x16x16_bf16 a[8:11], v[134:135], v[120:121], a[8:11]
	v_mov_b32_e32 v123, v113
	s_and_b64 vcc, exec, s[0:1]
	global_store_dwordx4 v[114:115], v[126:129], off
	v_mfma_f32_16x16x16_bf16 a[12:15], v[134:135], v[132:133], a[12:15]
	global_store_dwordx4 v[110:111], v[122:125], off
	s_cbranch_vccnz .LBB490_16
; %bb.15:                               ;   in Loop: Header=BB490_6 Depth=1
	v_lshrrev_b32_e32 v110, 3, v108
	v_and_b32_e32 v110, 6, v110
	v_xor_b32_e32 v109, v110, v109
	v_lshlrev_b32_e32 v109, 2, v109
	v_and_b32_e32 v108, 8, v108
	v_xor_b32_e32 v111, 0x440, v109
	v_cmp_eq_u32_e32 vcc, 0, v108
	s_barrier
	s_nop 0
	v_cndmask_b32_e32 v108, v111, v109, vcc
	v_lshl_or_b32 v108, v110, 10, v108
	s_waitcnt vmcnt(3)
	v_perm_b32 v109, v46, v42, s64
	s_waitcnt vmcnt(2)
	v_perm_b32 v110, v38, v34, s64
	ds_write2st64_b32 v108, v109, v110 offset0:32 offset1:64
	v_xor_b32_e32 v109, 8, v108
	v_perm_b32 v42, v46, v42, s65
	v_perm_b32 v34, v38, v34, s65
	v_add_u32_e32 v38, 0x80, v109
	ds_write2st64_b32 v38, v42, v34 offset0:32 offset1:64
	v_xor_b32_e32 v34, 16, v108
	v_perm_b32 v38, v47, v43, s64
	v_perm_b32 v42, v39, v35, s64
	ds_write2st64_b32 v34, v38, v42 offset0:33 offset1:65
	v_xor_b32_e32 v34, 24, v108
	v_perm_b32 v38, v47, v43, s65
	v_perm_b32 v35, v39, v35, s65
	v_add_u32_e32 v34, 0x80, v34
	ds_write2st64_b32 v34, v38, v35 offset0:33 offset1:65
	v_xor_b32_e32 v34, 32, v108
	v_perm_b32 v35, v48, v44, s64
	;; [unrolled: 9-line block ×3, first 2 shown]
	v_perm_b32 v36, v41, v37, s64
	ds_write2st64_b32 v34, v35, v36 offset0:35 offset1:67
	v_xor_b32_e32 v34, 56, v108
	v_perm_b32 v35, v49, v45, s65
	v_perm_b32 v36, v41, v37, s65
	v_add_u32_e32 v34, 0x80, v34
	ds_write2st64_b32 v34, v35, v36 offset0:35 offset1:67
	ds_write_b64 v107, v[30:31] offset:24576
	v_xor_b32_e32 v30, 8, v107
	ds_write_b64 v30, v[32:33] offset:24576
	ds_write_b64 v107, v[26:27] offset:32768
	;; [unrolled: 1-line block ×4, first 2 shown]
	v_xor_b32_e32 v22, 8, v106
	ds_write_b64 v22, v[24:25] offset:24576
	ds_write_b64 v106, v[18:19] offset:32768
	;; [unrolled: 1-line block ×3, first 2 shown]
.LBB490_16:                             ;   in Loop: Header=BB490_6 Depth=1
	v_mul_f32_e32 v18, s20, v105
	s_waitcnt vmcnt(2)
	v_exp_f32_e32 v34, v18
	v_accvgpr_read_b32 v33, a7
	v_accvgpr_read_b32 v25, a3
	;; [unrolled: 1-line block ×16, first 2 shown]
	s_add_i32 s63, s63, 64
	v_fma_f32 v2, v2, v34, v30
	v_fma_f32 v3, v3, v34, v31
	v_fma_f32 v4, v4, v34, v32
	v_fmac_f32_e32 v33, v5, v34
	v_fma_f32 v10, v10, v34, v22
	v_fma_f32 v11, v11, v34, v23
	v_fma_f32 v12, v12, v34, v24
	v_fmac_f32_e32 v25, v13, v34
	;; [unrolled: 4-line block ×3, first 2 shown]
	v_fma_f32 v14, v14, v34, v18
	v_fma_f32 v15, v15, v34, v19
	;; [unrolled: 1-line block ×3, first 2 shown]
	s_cmp_eq_u32 s53, s39
	v_fmac_f32_e32 v21, v17, v34
	s_cbranch_scc1 .LBB490_18
; %bb.17:                               ;   in Loop: Header=BB490_6 Depth=1
	s_mov_b32 s68, s39
	v_mov_b32_e32 v5, v33
	v_mov_b32_e32 v9, v29
	;; [unrolled: 1-line block ×4, first 2 shown]
	s_branch .LBB490_6
.LBB490_18:
	v_mov_b32_e32 v5, v33
	v_mov_b32_e32 v9, v29
	;; [unrolled: 1-line block ×4, first 2 shown]
.LBB490_19:
	s_lshl_b32 s26, s53, 6
	s_sub_i32 s27, s12, s26
	s_cmp_gt_i32 s27, 0
	s_cbranch_scc0 .LBB490_84
; %bb.20:
	s_ashr_i32 s3, s26, 31
	s_cmpk_lg_i32 s15, 0x80
	s_cselect_b64 s[22:23], -1, 0
	s_and_b64 vcc, exec, s[22:23]
	s_cbranch_vccz .LBB490_22
; %bb.21:
	s_mul_i32 s1, s52, s12
	s_mul_hi_i32 s0, s52, s12
	s_add_u32 s1, s1, s26
	s_addc_u32 s0, s0, s3
	s_mul_i32 s17, s1, s55
	s_mul_hi_u32 s20, s1, s14
	s_add_i32 s17, s20, s17
	s_mul_i32 s0, s0, s14
	s_add_i32 s17, s17, s0
	s_mul_i32 s1, s1, s14
	s_ashr_i32 s0, s56, 31
	s_add_u32 s24, s1, s56
	s_addc_u32 s25, s17, s0
	s_cbranch_execz .LBB490_23
	s_branch .LBB490_24
.LBB490_22:
                                        ; implicit-def: $sgpr24_sgpr25
.LBB490_23:
	s_mul_hi_i32 s0, s52, s14
	s_mul_i32 s52, s52, s14
	s_ashr_i32 s1, s56, 31
	s_add_u32 s14, s52, s56
	s_addc_u32 s0, s0, s1
	s_mul_i32 s1, s14, s51
	s_mul_hi_u32 s17, s14, s12
	s_add_i32 s1, s17, s1
	s_mul_i32 s0, s0, s12
	s_add_i32 s1, s1, s0
	s_mul_i32 s14, s14, s12
	s_add_u32 s24, s14, s26
	s_addc_u32 s25, s1, s3
.LBB490_24:
	s_mul_i32 s0, s40, s51
	s_add_i32 s0, s59, s0
	s_add_i32 s14, s57, s53
	;; [unrolled: 1-line block ×3, first 2 shown]
	s_add_u32 s0, s16, s26
	v_lshlrev_b32_e32 v22, 5, v69
	v_lshlrev_b32_e32 v38, 2, v66
	s_addc_u32 s1, s1, s3
	s_mov_b32 s3, 0x7060302
	v_or_b32_e32 v25, v22, v38
	v_xor_b32_e32 v23, v69, v38
	s_waitcnt vmcnt(3)
	v_perm_b32 v19, v5, v4, s3
	v_perm_b32 v18, v3, v2, s3
	s_waitcnt vmcnt(2)
	v_perm_b32 v21, v9, v8, s3
	v_perm_b32 v20, v7, v6, s3
	v_lshlrev_b32_e32 v25, 1, v25
	v_xor_b32_e32 v24, v70, v38
	ds_write2st64_b64 v25, v[18:19], v[20:21] offset0:80 offset1:88
	v_lshlrev_b32_e32 v23, 1, v23
	v_lshlrev_b32_e32 v25, 8, v66
	s_lshl_b64 s[20:21], s[0:1], 8
	v_or_b32_e32 v26, v23, v25
	v_lshlrev_b32_e32 v24, 1, v24
	s_waitcnt lgkmcnt(0)
	s_add_u32 s0, s6, s20
	ds_write_b64 v26, v[18:19]
	v_or_b32_e32 v18, v24, v25
	s_addc_u32 s1, s7, s21
	ds_write_b64 v18, v[20:21]
	s_waitcnt vmcnt(1)
	v_perm_b32 v19, v13, v12, s3
	v_perm_b32 v18, v11, v10, s3
	s_waitcnt vmcnt(0)
	v_perm_b32 v21, v17, v16, s3
	v_perm_b32 v20, v15, v14, s3
	v_or_b32_e32 v25, 16, v66
	s_mul_hi_i32 s3, s14, s13
	s_mul_i32 s14, s14, s13
	v_lshlrev_b32_e32 v35, 2, v25
	s_add_u32 s6, s14, s50
	v_or_b32_e32 v22, v22, v35
	s_addc_u32 s7, s3, s54
	v_lshlrev_b32_e32 v22, 1, v22
	s_ashr_i32 s3, s2, 31
	s_lshl_b64 s[6:7], s[6:7], 15
	ds_write2st64_b64 v22, v[18:19], v[20:21] offset0:80 offset1:88
	v_lshlrev_b32_e32 v22, 8, v25
	s_add_u32 s6, s18, s6
	v_or_b32_e32 v23, v23, v22
	s_addc_u32 s7, s19, s7
	s_lshl_b64 s[2:3], s[2:3], 8
	ds_write_b64 v23, v[18:19]
	v_or_b32_e32 v18, v24, v22
	s_add_u32 s2, s6, s2
	ds_write_b64 v18, v[20:21]
	v_lshrrev_b32_e32 v18, 4, v0
	s_addc_u32 s3, s7, s3
	v_lshlrev_b32_e32 v19, 1, v66
	v_lshlrev_b32_e32 v26, 4, v66
	v_mov_b32_e32 v27, 0
	v_or_b32_e32 v20, 1, v19
	v_xor_b32_e32 v19, v18, v19
	v_lshl_add_u64 v[28:29], s[2:3], 0, v[26:27]
	v_lshlrev_b32_e32 v26, 8, v18
	v_xor_b32_e32 v22, v20, v18
	v_lshl_or_b32 v18, v19, 3, v26
	s_waitcnt lgkmcnt(0)
	s_barrier
	ds_read2st64_b64 v[18:21], v18 offset1:8
	v_lshl_or_b32 v22, v22, 3, v26
	ds_read2st64_b64 v[22:25], v22 offset1:8
	v_lshl_add_u64 v[30:31], v[28:29], 0, v[26:27]
	s_movk_i32 s2, 0x1000
	s_waitcnt lgkmcnt(1)
	v_mov_b32_e32 v26, v18
	v_add_co_u32_e32 v18, vcc, s2, v30
	s_cmp_lg_u32 s27, 64
	v_mov_b32_e32 v27, v19
	v_addc_co_u32_e32 v19, vcc, 0, v31, vcc
	s_cselect_b64 s[6:7], -1, 0
	v_lshl_or_b32 v42, v1, 3, v68
	s_waitcnt lgkmcnt(0)
	v_mov_b32_e32 v28, v22
	v_mov_b32_e32 v29, v23
	;; [unrolled: 1-line block ×4, first 2 shown]
	s_mov_b32 s16, 0
	v_or_b32_e32 v36, 32, v42
	v_and_b32_e32 v34, 56, v67
	s_and_b64 vcc, exec, s[6:7]
	global_store_dwordx4 v[30:31], v[26:29], off
	global_store_dwordx4 v[18:19], v[22:25], off
	s_cbranch_vccz .LBB490_30
; %bb.25:
	s_mov_b32 s18, s16
	s_mov_b32 s19, s16
	s_mov_b32 s17, s16
	v_mov_b64_e32 v[24:25], s[18:19]
	v_mov_b64_e32 v[22:23], s[16:17]
	;; [unrolled: 1-line block ×3, first 2 shown]
	v_cmp_gt_i32_e32 vcc, s27, v42
	v_mov_b64_e32 v[20:21], v[24:25]
	s_and_saveexec_b64 s[2:3], vcc
	s_cbranch_execz .LBB490_27
; %bb.26:
	v_lshlrev_b32_e32 v18, 8, v42
	v_mov_b32_e32 v19, 0
	v_lshl_add_u64 v[20:21], s[0:1], 0, v[18:19]
	v_lshlrev_b32_e32 v18, 1, v34
	v_lshl_add_u64 v[26:27], v[20:21], 0, v[18:19]
	global_load_dwordx4 v[22:25], v[26:27], off
	global_load_dwordx4 v[18:21], v[26:27], off offset:128
.LBB490_27:
	s_or_b64 exec, exec, s[2:3]
	s_mov_b32 s18, s16
	s_mov_b32 s19, s16
	;; [unrolled: 1-line block ×3, first 2 shown]
	v_mov_b64_e32 v[32:33], s[18:19]
	v_mov_b64_e32 v[30:31], s[16:17]
	v_mov_b64_e32 v[26:27], v[30:31]
	v_cmp_gt_i32_e32 vcc, s27, v36
	v_lshlrev_b32_e32 v37, 7, v36
	v_mov_b64_e32 v[28:29], v[32:33]
	s_and_saveexec_b64 s[2:3], vcc
	s_cbranch_execz .LBB490_29
; %bb.28:
	v_lshlrev_b32_e32 v26, 1, v37
	v_mov_b32_e32 v27, 0
	v_lshl_add_u64 v[28:29], s[0:1], 0, v[26:27]
	v_lshlrev_b32_e32 v26, 1, v34
	v_lshl_add_u64 v[40:41], v[28:29], 0, v[26:27]
	global_load_dwordx4 v[30:33], v[40:41], off
	global_load_dwordx4 v[26:29], v[40:41], off offset:128
.LBB490_29:
	s_or_b64 exec, exec, s[2:3]
	v_lshrrev_b32_e32 v39, 3, v34
	v_lshlrev_b32_e32 v40, 3, v42
	v_or_b32_e32 v39, v40, v39
	v_lshlrev_b32_e32 v39, 4, v39
	v_and_b32_e32 v40, 0x78, v40
	v_xor_b32_e32 v39, v39, v40
	s_branch .LBB490_32
.LBB490_30:
                                        ; implicit-def: $vgpr39
                                        ; implicit-def: $vgpr37
                                        ; implicit-def: $vgpr22_vgpr23_vgpr24_vgpr25
                                        ; implicit-def: $vgpr18_vgpr19_vgpr20_vgpr21
                                        ; implicit-def: $vgpr30_vgpr31_vgpr32_vgpr33
                                        ; implicit-def: $vgpr26_vgpr27_vgpr28_vgpr29
	s_cbranch_execz .LBB490_32
; %bb.31:
	s_waitcnt vmcnt(0)
	v_lshlrev_b32_e32 v18, 1, v34
	v_lshl_or_b32 v37, v42, 8, v18
	s_and_b32 s1, s1, 0xffff
	s_mov_b32 s3, 0x20000
	s_movk_i32 s2, 0x4000
	v_lshl_or_b32 v39, v36, 8, v18
	s_movk_i32 s13, 0x80
	buffer_load_dwordx4 v[22:25], v37, s[0:3], 0 offen
	buffer_load_dwordx4 v[18:21], v37, s[0:3], s13 offen
	;; [unrolled: 1-line block ×4, first 2 shown]
	v_lshrrev_b32_e32 v37, 3, v34
	v_lshlrev_b32_e32 v39, 3, v42
	v_or_b32_e32 v37, v39, v37
	v_lshlrev_b32_e32 v37, 4, v37
	v_and_b32_e32 v39, 0x78, v39
	v_xor_b32_e32 v39, v37, v39
	v_lshlrev_b32_e32 v37, 7, v36
.LBB490_32:
	s_lshl_b64 s[0:1], s[24:25], 8
	s_add_u32 s4, s4, s0
	s_movk_i32 s0, 0x1000
	v_and_or_b32 v36, v37, s0, v39
	s_waitcnt vmcnt(1)
	ds_write_b64 v39, v[22:23] offset:24576
	v_xor_b32_e32 v22, 8, v39
	ds_write_b64 v22, v[24:25] offset:24576
	s_waitcnt vmcnt(0)
	ds_write_b64 v39, v[18:19] offset:32768
	ds_write_b64 v22, v[20:21] offset:32768
	ds_write_b64 v36, v[30:31] offset:24576
	v_xor_b32_e32 v18, 8, v36
	ds_write_b64 v18, v[32:33] offset:24576
	ds_write_b64 v36, v[26:27] offset:32768
	;; [unrolled: 1-line block ×3, first 2 shown]
	v_or_b32_e32 v18, v64, v66
	v_lshlrev_b32_e32 v18, 3, v18
	v_lshrrev_b32_e32 v19, 5, v51
	s_movk_i32 s3, 0xf8
	v_and_or_b32 v19, v18, s3, v19
	v_lshlrev_b32_e32 v23, 4, v19
	v_lshlrev_b32_e32 v39, 11, v1
	v_and_b32_e32 v24, 0x78, v18
	v_or_b32_e32 v26, 32, v23
	v_and_b32_e32 v22, 0x1000, v39
	v_lshrrev_b32_e32 v19, 1, v51
	v_xor_b32_e32 v26, v26, v24
	v_xor_b32_e32 v18, v23, v24
	v_and_b32_e32 v25, 8, v19
	v_or_b32_e32 v26, v26, v22
	v_or_b32_e32 v18, v18, v22
	v_xor_b32_e32 v44, v26, v25
	v_or_b32_e32 v26, 64, v23
	v_xor_b32_e32 v43, v18, v25
	v_xor_b32_e32 v26, v26, v24
	s_waitcnt lgkmcnt(0)
	s_barrier
	v_or_b32_e32 v28, v26, v22
	ds_read_b64 v[26:27], v43 offset:24576
	v_lshl_or_b32 v36, v65, 7, v38
	v_lshlrev_b32_e32 v40, 1, v36
	v_add_u32_e32 v18, 0xa000, v40
	ds_read2_b64 v[18:21], v18 offset1:16
	v_or_b32_e32 v23, 0x60, v23
	v_xor_b32_e32 v23, v23, v24
	s_waitcnt lgkmcnt(0)
	v_mfma_f32_16x16x16_bf16 a[0:3], v[26:27], v[18:19], 0
	v_or_b32_e32 v18, 64, v36
	v_or_b32_e32 v22, v23, v22
	v_lshlrev_b32_e32 v41, 1, v18
	v_xor_b32_e32 v45, v28, v25
	v_xor_b32_e32 v46, v22, v25
	ds_read_b64 v[28:29], v44 offset:24576
	ds_read_b64 v[30:31], v45 offset:24576
	;; [unrolled: 1-line block ×3, first 2 shown]
	v_mfma_f32_16x16x16_bf16 a[4:7], v[26:27], v[20:21], 0
	ds_read2st64_b64 v[18:21], v41 offset0:82 offset1:84
	ds_read2st64_b64 v[22:25], v40 offset0:82 offset1:84
	s_addc_u32 s5, s5, s1
	s_add_i32 s1, s46, s33
	s_add_i32 s0, s12, -1
	s_add_i32 s37, s1, s47
	s_add_i32 s1, s48, s41
	s_add_i32 s39, s1, s49
	s_ashr_i32 s1, s0, 31
	s_mul_i32 s2, s0, s35
	s_mul_hi_u32 s3, s0, s34
	s_add_i32 s2, s3, s2
	s_mul_i32 s1, s1, s34
	s_waitcnt lgkmcnt(1)
	v_mfma_f32_16x16x16_bf16 a[4:7], v[28:29], v[18:19], a[4:7]
	s_add_i32 s1, s2, s1
	s_lshl_b64 s[2:3], s[36:37], 2
	s_add_u32 s10, s10, s2
	s_waitcnt lgkmcnt(0)
	v_mfma_f32_16x16x16_bf16 a[0:3], v[28:29], v[22:23], a[0:3]
	s_addc_u32 s11, s11, s3
	s_lshl_b64 s[2:3], s[38:39], 2
	s_mul_i32 s0, s0, s34
	s_add_u32 s10, s10, s2
	ds_read_b64 v[18:19], v40 offset:44032
	v_mfma_f32_16x16x16_bf16 a[4:7], v[30:31], v[20:21], a[4:7]
	ds_read_b64 v[20:21], v41 offset:44032
	s_addc_u32 s11, s11, s3
	s_lshl_b64 s[0:1], s[0:1], 2
	v_mfma_f32_16x16x16_bf16 a[0:3], v[30:31], v[24:25], a[0:3]
	s_add_u32 s0, s10, s0
	s_addc_u32 s1, s11, s1
	s_load_dword s12, s[0:1], 0x0
	s_waitcnt lgkmcnt(0)
	v_mfma_f32_16x16x16_bf16 a[0:3], v[32:33], v[18:19], a[0:3]
	s_and_b64 vcc, exec, s[22:23]
	v_mfma_f32_16x16x16_bf16 a[4:7], v[32:33], v[20:21], a[4:7]
	s_cbranch_vccz .LBB490_43
; %bb.33:
	v_lshlrev_b32_e32 v36, 1, v42
	s_and_b64 vcc, exec, s[6:7]
	s_cbranch_vccz .LBB490_44
; %bb.34:
	v_cmp_gt_i32_e32 vcc, s27, v36
	v_mov_b32_e32 v22, 0
	v_mov_b32_e32 v18, 0
	;; [unrolled: 1-line block ×5, first 2 shown]
	s_and_saveexec_b64 s[0:1], vcc
	s_cbranch_execz .LBB490_36
; %bb.35:
	v_mad_i64_i32 v[18:19], s[2:3], s15, v36, 0
	v_lshl_add_u64 v[18:19], v[18:19], 1, s[4:5]
	v_lshlrev_b32_e32 v20, 1, v34
	v_mov_b32_e32 v21, 0
	v_lshl_add_u64 v[18:19], v[18:19], 0, v[20:21]
	global_load_dwordx4 v[18:21], v[18:19], off
.LBB490_36:
	s_or_b64 exec, exec, s[0:1]
	v_or_b32_e32 v37, 1, v36
	v_cmp_gt_i32_e64 s[0:1], s27, v37
	v_mov_b32_e32 v23, 0
	v_mov_b32_e32 v24, 0
	;; [unrolled: 1-line block ×3, first 2 shown]
	s_and_saveexec_b64 s[2:3], s[0:1]
	s_cbranch_execz .LBB490_38
; %bb.37:
	v_mad_i64_i32 v[22:23], s[16:17], s15, v37, 0
	v_lshl_add_u64 v[22:23], v[22:23], 1, s[4:5]
	v_lshlrev_b32_e32 v24, 1, v34
	v_mov_b32_e32 v25, 0
	v_lshl_add_u64 v[22:23], v[22:23], 0, v[24:25]
	global_load_dwordx4 v[22:25], v[22:23], off
.LBB490_38:
	s_or_b64 exec, exec, s[2:3]
	v_mov_b32_e32 v33, 0
	v_mov_b32_e32 v26, 0
	;; [unrolled: 1-line block ×5, first 2 shown]
	s_and_saveexec_b64 s[2:3], vcc
	s_cbranch_execz .LBB490_40
; %bb.39:
	v_mad_i64_i32 v[26:27], s[16:17], s15, v36, 0
	v_lshl_add_u64 v[26:27], v[26:27], 1, s[4:5]
	v_lshlrev_b32_e32 v28, 1, v34
	v_mov_b32_e32 v29, 0
	v_lshl_add_u64 v[26:27], v[26:27], 0, v[28:29]
	global_load_dwordx4 v[26:29], v[26:27], off offset:128
.LBB490_40:
	s_or_b64 exec, exec, s[2:3]
	v_mov_b32_e32 v32, 0
	v_mov_b32_e32 v31, 0
	;; [unrolled: 1-line block ×3, first 2 shown]
	s_and_saveexec_b64 s[2:3], s[0:1]
	s_cbranch_execz .LBB490_42
; %bb.41:
	v_mad_i64_i32 v[30:31], s[0:1], s15, v37, 0
	v_lshl_add_u64 v[30:31], v[30:31], 1, s[4:5]
	v_lshlrev_b32_e32 v32, 1, v34
	v_mov_b32_e32 v33, 0
	v_lshl_add_u64 v[30:31], v[30:31], 0, v[32:33]
	global_load_dwordx4 v[30:33], v[30:31], off offset:128
.LBB490_42:
	s_or_b64 exec, exec, s[2:3]
	s_branch .LBB490_46
.LBB490_43:
                                        ; implicit-def: $vgpr21
                                        ; implicit-def: $vgpr25
                                        ; implicit-def: $vgpr29
                                        ; implicit-def: $vgpr33
	v_lshrrev_b32_e32 v47, 2, v51
	s_branch .LBB490_47
.LBB490_44:
                                        ; implicit-def: $vgpr21
                                        ; implicit-def: $vgpr25
                                        ; implicit-def: $vgpr29
                                        ; implicit-def: $vgpr33
	s_cbranch_execz .LBB490_46
; %bb.45:
	s_waitcnt vmcnt(0)
	v_mad_u64_u32 v[18:19], s[0:1], v36, s15, v[34:35]
	v_lshlrev_b32_e32 v36, 1, v18
	s_lshl_b32 s2, s15, 7
	s_and_b32 s1, s5, 0xffff
	s_mov_b32 s3, 0x20000
	s_mov_b32 s0, s4
	v_add_lshl_u32 v37, v18, s15, 1
	s_movk_i32 s13, 0x80
	buffer_load_dwordx4 v[18:21], v36, s[0:3], 0 offen
	buffer_load_dwordx4 v[26:29], v36, s[0:3], s13 offen
	;; [unrolled: 1-line block ×4, first 2 shown]
.LBB490_46:
	v_lshrrev_b32_e32 v47, 2, v51
	s_cbranch_execnz .LBB490_59
.LBB490_47:
	s_and_b64 vcc, exec, s[6:7]
	s_cbranch_vccz .LBB490_57
; %bb.48:
	s_waitcnt vmcnt(0)
	v_lshlrev_b32_e32 v23, 1, v42
	v_cmp_gt_i32_e32 vcc, s27, v23
	v_mov_b32_e32 v22, 0
	v_lshlrev_b32_e32 v30, 9, v42
	v_mov_b32_e32 v18, 0
	v_mov_b32_e32 v19, 0
	;; [unrolled: 1-line block ×4, first 2 shown]
	s_and_saveexec_b64 s[0:1], vcc
	s_cbranch_execz .LBB490_50
; %bb.49:
	v_mov_b32_e32 v31, 0
	v_lshl_add_u64 v[18:19], s[4:5], 0, v[30:31]
	v_lshlrev_b32_e32 v20, 1, v34
	v_mov_b32_e32 v21, v31
	v_lshl_add_u64 v[18:19], v[18:19], 0, v[20:21]
	global_load_dwordx4 v[18:21], v[18:19], off
.LBB490_50:
	s_or_b64 exec, exec, s[0:1]
	v_or_b32_e32 v23, 1, v23
	v_cmp_gt_i32_e64 s[0:1], s27, v23
	v_lshlrev_b32_e32 v36, 8, v23
	v_mov_b32_e32 v23, 0
	v_mov_b32_e32 v24, 0
	;; [unrolled: 1-line block ×3, first 2 shown]
	s_and_saveexec_b64 s[2:3], s[0:1]
	s_cbranch_execz .LBB490_52
; %bb.51:
	v_mov_b32_e32 v37, 0
	v_lshl_add_u64 v[22:23], s[4:5], 0, v[36:37]
	v_lshlrev_b32_e32 v24, 1, v34
	v_mov_b32_e32 v25, v37
	v_lshl_add_u64 v[22:23], v[22:23], 0, v[24:25]
	global_load_dwordx4 v[22:25], v[22:23], off
.LBB490_52:
	s_or_b64 exec, exec, s[2:3]
	v_mov_b32_e32 v33, 0
	v_mov_b32_e32 v26, 0
	;; [unrolled: 1-line block ×5, first 2 shown]
	s_and_saveexec_b64 s[2:3], vcc
	s_cbranch_execz .LBB490_54
; %bb.53:
	v_mov_b32_e32 v31, 0
	v_lshl_add_u64 v[26:27], s[4:5], 0, v[30:31]
	v_lshlrev_b32_e32 v30, 1, v34
	v_lshl_add_u64 v[26:27], v[26:27], 0, v[30:31]
	global_load_dwordx4 v[26:29], v[26:27], off offset:128
.LBB490_54:
	s_or_b64 exec, exec, s[2:3]
	v_mov_b32_e32 v32, 0
	v_mov_b32_e32 v31, 0
	;; [unrolled: 1-line block ×3, first 2 shown]
	s_and_saveexec_b64 s[2:3], s[0:1]
	s_cbranch_execz .LBB490_56
; %bb.55:
	v_mov_b32_e32 v37, 0
	v_lshl_add_u64 v[30:31], s[4:5], 0, v[36:37]
	v_lshlrev_b32_e32 v36, 1, v34
	v_lshl_add_u64 v[30:31], v[30:31], 0, v[36:37]
	global_load_dwordx4 v[30:33], v[30:31], off offset:128
.LBB490_56:
	s_or_b64 exec, exec, s[2:3]
	s_branch .LBB490_59
.LBB490_57:
                                        ; implicit-def: $vgpr21
                                        ; implicit-def: $vgpr25
                                        ; implicit-def: $vgpr29
                                        ; implicit-def: $vgpr33
	s_cbranch_execz .LBB490_59
; %bb.58:
	s_waitcnt vmcnt(0)
	v_lshlrev_b32_e32 v18, 1, v34
	v_lshl_or_b32 v34, v42, 9, v18
	s_and_b32 s5, s5, 0xffff
	s_mov_b32 s7, 0x20000
	s_movk_i32 s6, 0x4000
	s_movk_i32 s0, 0x80
	buffer_load_dwordx4 v[18:21], v34, s[4:7], 0 offen
	buffer_load_dwordx4 v[22:25], v34, s[4:7], 0 offen offset:256
	buffer_load_dwordx4 v[26:29], v34, s[4:7], s0 offen
	buffer_load_dwordx4 v[30:33], v34, s[4:7], s0 offen offset:256
.LBB490_59:
	ds_read_b64 v[36:37], v43 offset:32768
	v_add_u32_e32 v34, 0xb000, v40
	ds_read2_b64 v[58:61], v34 offset1:16
	ds_read_b64 v[48:49], v44 offset:32768
	ds_read_b64 v[44:45], v45 offset:32768
	ds_read_b64 v[62:63], v46 offset:32768
	v_and_b32_e32 v34, 6, v0
	v_xor_b32_e32 v42, v42, v34
	v_lshlrev_b32_e32 v42, 2, v42
	v_and_b32_e32 v43, 1, v0
	v_xor_b32_e32 v46, 0x440, v42
	v_cmp_eq_u32_e32 vcc, 0, v43
	s_waitcnt lgkmcnt(3)
	v_mfma_f32_16x16x16_bf16 a[0:3], v[36:37], v[58:59], a[0:3]
	s_mov_b32 s0, 0x1000504
	v_cndmask_b32_e32 v42, v46, v42, vcc
	v_lshl_or_b32 v34, v34, 10, v42
	v_mfma_f32_16x16x16_bf16 a[4:7], v[36:37], v[60:61], a[4:7]
	ds_read2st64_b64 v[58:61], v40 offset0:90 offset1:92
	ds_read2st64_b64 v[66:69], v41 offset0:90 offset1:92
	s_waitcnt vmcnt(0)
	v_perm_b32 v42, v18, v22, s0
	s_mov_b32 s1, 0x3020706
	s_waitcnt lgkmcnt(1)
	v_mfma_f32_16x16x16_bf16 a[0:3], v[48:49], v[58:59], a[0:3]
	ds_read_b64 v[36:37], v40 offset:48128
	ds_read_b64 v[58:59], v41 offset:48128
	v_perm_b32 v18, v18, v22, s1
	v_perm_b32 v22, v26, v30, s1
	s_waitcnt lgkmcnt(2)
	v_mfma_f32_16x16x16_bf16 a[4:7], v[48:49], v[66:67], a[4:7]
	v_mfma_f32_16x16x16_bf16 a[0:3], v[44:45], v[60:61], a[0:3]
	;; [unrolled: 1-line block ×3, first 2 shown]
	s_waitcnt lgkmcnt(1)
	v_mfma_f32_16x16x16_bf16 a[4:7], v[62:63], v[36:37], a[0:3]
	v_perm_b32 v36, v26, v30, s0
	ds_write2st64_b32 v34, v42, v36 offset0:32 offset1:64
	v_xor_b32_e32 v36, 8, v34
	v_add_u32_e32 v26, 0x80, v36
	ds_write2st64_b32 v26, v18, v22 offset0:32 offset1:64
	v_xor_b32_e32 v18, 16, v34
	v_perm_b32 v22, v19, v23, s0
	v_perm_b32 v26, v27, v31, s0
	ds_write2st64_b32 v18, v22, v26 offset0:33 offset1:65
	v_xor_b32_e32 v18, 24, v34
	v_perm_b32 v19, v19, v23, s1
	v_perm_b32 v22, v27, v31, s1
	v_add_u32_e32 v18, 0x80, v18
	ds_write2st64_b32 v18, v19, v22 offset0:33 offset1:65
	v_xor_b32_e32 v18, 32, v34
	v_perm_b32 v19, v20, v24, s0
	v_perm_b32 v22, v28, v32, s0
	ds_write2st64_b32 v18, v19, v22 offset0:34 offset1:66
	v_xor_b32_e32 v18, 40, v34
	s_waitcnt lgkmcnt(5)
	v_mfma_f32_16x16x16_bf16 a[0:3], v[62:63], v[58:59], a[8:11]
	v_perm_b32 v19, v20, v24, s1
	v_perm_b32 v20, v28, v32, s1
	v_add_u32_e32 v18, 0x80, v18
	ds_write2st64_b32 v18, v19, v20 offset0:34 offset1:66
	v_xor_b32_e32 v18, 48, v34
	v_perm_b32 v19, v21, v25, s0
	v_perm_b32 v20, v29, v33, s0
	ds_write2st64_b32 v18, v19, v20 offset0:35 offset1:67
	v_xor_b32_e32 v18, 56, v34
	v_and_or_b32 v36, v47, 12, v64
	v_perm_b32 v19, v21, v25, s1
	v_perm_b32 v20, v29, v33, s1
	v_add_u32_e32 v18, 0x80, v18
	v_cmp_gt_i32_e32 vcc, s27, v36
	v_mov_b32_e32 v32, 0
	v_mov_b32_e32 v34, 0
	ds_write2st64_b32 v18, v19, v20 offset0:35 offset1:67
	s_and_saveexec_b64 s[0:1], vcc
	s_cbranch_execz .LBB490_61
; %bb.60:
	v_add_u32_e32 v18, s26, v36
	v_ashrrev_i32_e32 v19, 31, v18
	v_mul_lo_u32 v20, v19, s34
	v_mul_lo_u32 v21, v18, s35
	v_mad_u64_u32 v[18:19], s[2:3], v18, s34, 0
	v_add3_u32 v19, v19, v21, v20
	v_lshl_add_u64 v[18:19], v[18:19], 2, s[10:11]
	global_load_dword v18, v[18:19], off
	s_waitcnt vmcnt(0)
	v_sub_f32_e32 v18, s12, v18
	v_mul_f32_e32 v18, 0x3fb8aa3b, v18
	v_exp_f32_e32 v34, v18
.LBB490_61:
	s_or_b64 exec, exec, s[0:1]
	v_or_b32_e32 v26, 1, v36
	v_cmp_gt_i32_e64 s[0:1], s27, v26
	s_and_saveexec_b64 s[2:3], s[0:1]
	s_cbranch_execz .LBB490_63
; %bb.62:
	v_add_u32_e32 v18, s26, v26
	v_ashrrev_i32_e32 v19, 31, v18
	v_mul_lo_u32 v20, v19, s34
	v_mul_lo_u32 v21, v18, s35
	v_mad_u64_u32 v[18:19], s[4:5], v18, s34, 0
	v_add3_u32 v19, v19, v21, v20
	v_lshl_add_u64 v[18:19], v[18:19], 2, s[10:11]
	global_load_dword v18, v[18:19], off
	s_waitcnt vmcnt(0)
	v_sub_f32_e32 v18, s12, v18
	v_mul_f32_e32 v18, 0x3fb8aa3b, v18
	v_exp_f32_e32 v32, v18
.LBB490_63:
	s_or_b64 exec, exec, s[2:3]
	v_or_b32_e32 v27, 2, v36
	v_cmp_gt_i32_e64 s[2:3], s27, v27
	v_mov_b32_e32 v33, 0
	v_mov_b32_e32 v37, 0
	s_and_saveexec_b64 s[4:5], s[2:3]
	s_cbranch_execz .LBB490_65
; %bb.64:
	v_add_u32_e32 v18, s26, v27
	v_ashrrev_i32_e32 v19, 31, v18
	v_mul_lo_u32 v20, v19, s34
	v_mul_lo_u32 v21, v18, s35
	v_mad_u64_u32 v[18:19], s[6:7], v18, s34, 0
	v_add3_u32 v19, v19, v21, v20
	v_lshl_add_u64 v[18:19], v[18:19], 2, s[10:11]
	global_load_dword v18, v[18:19], off
	s_waitcnt vmcnt(0)
	v_sub_f32_e32 v18, s12, v18
	v_mul_f32_e32 v18, 0x3fb8aa3b, v18
	v_exp_f32_e32 v37, v18
.LBB490_65:
	s_or_b64 exec, exec, s[4:5]
	v_or_b32_e32 v42, 3, v36
	v_cmp_gt_i32_e64 s[4:5], s27, v42
	s_and_saveexec_b64 s[6:7], s[4:5]
	s_cbranch_execz .LBB490_67
; %bb.66:
	v_add_u32_e32 v18, s26, v42
	v_ashrrev_i32_e32 v19, 31, v18
	v_mul_lo_u32 v20, v19, s34
	v_mul_lo_u32 v21, v18, s35
	v_mad_u64_u32 v[18:19], s[14:15], v18, s34, 0
	v_add3_u32 v19, v19, v21, v20
	v_lshl_add_u64 v[18:19], v[18:19], 2, s[10:11]
	global_load_dword v18, v[18:19], off
	s_waitcnt vmcnt(0)
	v_sub_f32_e32 v18, s12, v18
	v_mul_f32_e32 v18, 0x3fb8aa3b, v18
	v_exp_f32_e32 v33, v18
.LBB490_67:
	s_or_b64 exec, exec, s[6:7]
	s_add_u32 s6, s8, s20
	v_accvgpr_read_b32 v21, a7
	s_addc_u32 s7, s9, s21
	v_ashrrev_i32_e32 v57, 31, v56
	v_accvgpr_read_b32 v20, a6
	v_accvgpr_read_b32 v19, a5
	;; [unrolled: 1-line block ×3, first 2 shown]
	v_lshl_add_u64 v[22:23], v[56:57], 1, s[6:7]
	v_mov_b32_e32 v29, 0
	v_lshlrev_b32_e32 v24, 8, v36
	v_mov_b32_e32 v25, 0
	s_and_saveexec_b64 s[6:7], vcc
	s_cbranch_execz .LBB490_69
; %bb.68:
	v_mov_b32_e32 v25, 0
	v_lshl_add_u64 v[30:31], v[22:23], 0, v[24:25]
	global_load_ushort v25, v[30:31], off
	s_waitcnt vmcnt(0)
	v_lshlrev_b32_e32 v25, 16, v25
	v_sub_f32_e32 v18, v25, v18
	v_mul_f32_e32 v18, v34, v18
	v_lshrrev_b32_e32 v25, 16, v18
.LBB490_69:
	s_or_b64 exec, exec, s[6:7]
	v_lshlrev_b32_e32 v28, 8, v26
	s_and_saveexec_b64 s[6:7], s[0:1]
	s_cbranch_execz .LBB490_71
; %bb.70:
	v_mov_b32_e32 v29, 0
	v_lshl_add_u64 v[30:31], v[22:23], 0, v[28:29]
	global_load_ushort v18, v[30:31], off
	s_waitcnt vmcnt(0)
	v_lshlrev_b32_e32 v18, 16, v18
	v_sub_f32_e32 v18, v18, v19
	v_mul_f32_e32 v18, v32, v18
	v_lshrrev_b32_e32 v29, 16, v18
.LBB490_71:
	s_or_b64 exec, exec, s[6:7]
	v_mov_b32_e32 v43, 0
	v_lshlrev_b32_e32 v30, 8, v27
	v_mov_b32_e32 v31, 0
	s_and_saveexec_b64 s[6:7], s[2:3]
	s_cbranch_execz .LBB490_73
; %bb.72:
	v_mov_b32_e32 v31, 0
	v_lshl_add_u64 v[18:19], v[22:23], 0, v[30:31]
	global_load_ushort v18, v[18:19], off
	s_waitcnt vmcnt(0)
	v_lshlrev_b32_e32 v18, 16, v18
	v_sub_f32_e32 v18, v18, v20
	v_mul_f32_e32 v18, v37, v18
	v_lshrrev_b32_e32 v31, 16, v18
.LBB490_73:
	s_or_b64 exec, exec, s[6:7]
	v_lshlrev_b32_e32 v26, 8, v42
	s_and_saveexec_b64 s[6:7], s[4:5]
	s_cbranch_execz .LBB490_75
; %bb.74:
	v_mov_b32_e32 v27, 0
	v_lshl_add_u64 v[18:19], v[22:23], 0, v[26:27]
	global_load_ushort v18, v[18:19], off
	s_waitcnt vmcnt(0)
	v_lshlrev_b32_e32 v18, 16, v18
	v_sub_f32_e32 v18, v18, v21
	v_mul_f32_e32 v18, v33, v18
	v_lshrrev_b32_e32 v43, 16, v18
.LBB490_75:
	s_or_b64 exec, exec, s[6:7]
	v_lshlrev_b32_e32 v36, 5, v36
	s_mov_b32 s6, 0x5040100
	v_perm_b32 v42, v29, v25, s6
	v_or_b32_e32 v25, v36, v38
	v_accvgpr_read_b32 v21, a3
	v_perm_b32 v43, v43, v31, s6
	v_lshlrev_b32_e32 v25, 1, v25
	v_accvgpr_read_b32 v20, a2
	v_accvgpr_read_b32 v19, a1
	;; [unrolled: 1-line block ×3, first 2 shown]
	ds_write_b64 v25, v[42:43] offset:45056
	v_mov_b32_e32 v29, 0
	v_mov_b32_e32 v25, 0
	s_and_saveexec_b64 s[6:7], vcc
	s_cbranch_execz .LBB490_77
; %bb.76:
	v_mov_b32_e32 v25, 0
	v_lshl_add_u64 v[24:25], v[22:23], 0, v[24:25]
	global_load_ushort v24, v[24:25], off offset:32
	s_waitcnt vmcnt(0)
	v_lshlrev_b32_e32 v24, 16, v24
	v_sub_f32_e32 v18, v24, v18
	v_mul_f32_e32 v18, v34, v18
	v_lshrrev_b32_e32 v25, 16, v18
.LBB490_77:
	s_or_b64 exec, exec, s[6:7]
	s_and_saveexec_b64 s[6:7], s[0:1]
	s_cbranch_execz .LBB490_79
; %bb.78:
	v_mov_b32_e32 v29, 0
	v_lshl_add_u64 v[28:29], v[22:23], 0, v[28:29]
	global_load_ushort v18, v[28:29], off offset:32
	s_waitcnt vmcnt(0)
	v_lshlrev_b32_e32 v18, 16, v18
	v_sub_f32_e32 v18, v18, v19
	v_mul_f32_e32 v18, v32, v18
	v_lshrrev_b32_e32 v29, 16, v18
.LBB490_79:
	s_or_b64 exec, exec, s[6:7]
	v_mov_b32_e32 v24, 0
	v_mov_b32_e32 v28, 0
	s_and_saveexec_b64 s[0:1], s[2:3]
	s_cbranch_execz .LBB490_81
; %bb.80:
	v_mov_b32_e32 v31, 0
	v_lshl_add_u64 v[18:19], v[22:23], 0, v[30:31]
	global_load_ushort v18, v[18:19], off offset:32
	s_waitcnt vmcnt(0)
	v_lshlrev_b32_e32 v18, 16, v18
	v_sub_f32_e32 v18, v18, v20
	v_mul_f32_e32 v18, v37, v18
	v_lshrrev_b32_e32 v28, 16, v18
.LBB490_81:
	s_or_b64 exec, exec, s[0:1]
	v_or_b32_e32 v19, 0xb000, v40
	v_or_b32_e32 v18, 0xb000, v41
	s_and_saveexec_b64 s[0:1], s[4:5]
	s_cbranch_execz .LBB490_83
; %bb.82:
	v_mov_b32_e32 v27, 0
	v_lshl_add_u64 v[22:23], v[22:23], 0, v[26:27]
	global_load_ushort v20, v[22:23], off offset:32
	s_waitcnt vmcnt(0)
	v_lshlrev_b32_e32 v20, 16, v20
	v_sub_f32_e32 v20, v20, v21
	v_mul_f32_e32 v20, v33, v20
	v_lshrrev_b32_e32 v24, 16, v20
.LBB490_83:
	s_or_b64 exec, exec, s[0:1]
	s_mov_b32 s0, 0x5040100
	v_or_b32_e32 v22, v36, v35
	v_perm_b32 v21, v24, v28, s0
	v_perm_b32 v20, v29, v25, s0
	v_lshlrev_b32_e32 v22, 1, v22
	s_movk_i32 s0, 0x100
	ds_write_b64 v22, v[20:21] offset:45056
	v_and_b32_e32 v20, 7, v0
	v_and_b32_e32 v21, 8, v0
	v_cmp_gt_u32_e32 vcc, s0, v0
	v_lshrrev_b32_e32 v0, 1, v0
	v_lshlrev_b32_e32 v37, 3, v1
	v_and_b32_e32 v38, 24, v0
	v_lshlrev_b32_e32 v34, 3, v20
	v_lshlrev_b32_e32 v35, 7, v20
	v_mov_b32_e32 v20, 0x4000
	v_mov_b32_e32 v22, 0x2000
	v_xor_b32_e32 v0, v37, v38
	v_cndmask_b32_e32 v36, v20, v22, vcc
	v_or_b32_e32 v1, 0x440, v0
	v_cmp_eq_u32_e32 vcc, 0, v21
	s_waitcnt lgkmcnt(0)
	s_barrier
	v_cndmask_b32_e32 v0, v1, v0, vcc
	v_or_b32_e32 v0, v0, v39
	v_xad_u32 v40, v0, v34, v35
	v_add_u32_e32 v0, v36, v40
	ds_read_b64 v[0:1], v0
	ds_read2_b64 v[20:23], v19 offset1:16
	v_or_b32_e32 v24, 32, v38
	v_xor_b32_e32 v24, v37, v24
	v_or_b32_e32 v25, 0x440, v24
	v_cndmask_b32_e32 v24, v25, v24, vcc
	s_waitcnt lgkmcnt(0)
	v_mfma_f32_16x16x16_bf16 a[0:3], v[0:1], v[20:21], 0
	v_or_b32_e32 v24, v24, v39
	v_xad_u32 v41, v24, v34, v35
	v_add_u32_e32 v24, v36, v41
	v_mfma_f32_16x16x16_bf16 a[4:7], v[0:1], v[22:23], 0
	v_or_b32_e32 v0, 64, v38
	v_xor_b32_e32 v0, v37, v0
	v_xor_b32_e32 v1, 0x440, v0
	ds_read_b64 v[32:33], v24
	v_cndmask_b32_e32 v0, v1, v0, vcc
	v_or_b32_e32 v0, v0, v39
	v_xad_u32 v42, v0, v34, v35
	v_add_u32_e32 v0, v36, v42
	ds_read_b64 v[0:1], v0
	ds_read2st64_b64 v[24:27], v19 offset0:2 offset1:4
	ds_read2st64_b64 v[28:31], v18 offset0:2 offset1:4
	s_waitcnt lgkmcnt(1)
	v_mfma_f32_16x16x16_bf16 a[0:3], v[32:33], v[24:25], a[0:3]
	s_waitcnt lgkmcnt(0)
	v_mfma_f32_16x16x16_bf16 a[4:7], v[32:33], v[28:29], a[4:7]
	v_or_b32_e32 v32, 0x60, v38
	v_xor_b32_e32 v32, v37, v32
	v_xor_b32_e32 v33, 0x440, v32
	v_cndmask_b32_e32 v32, v33, v32, vcc
	v_or_b32_e32 v32, v32, v39
	v_xad_u32 v37, v32, v34, v35
	v_add_u32_e32 v32, v36, v37
	ds_read_b64 v[32:33], v32
	v_mfma_f32_16x16x16_bf16 a[0:3], v[0:1], v[26:27], a[0:3]
	v_mov_b32_e32 v36, 0x3fb8aa3b
	v_mfma_f32_16x16x16_bf16 a[4:7], v[0:1], v[30:31], a[4:7]
	ds_read_b64 v[0:1], v19 offset:3072
	ds_read_b64 v[34:35], v18 offset:3072
	;; [unrolled: 1-line block ×3, first 2 shown]
	s_waitcnt lgkmcnt(2)
	v_mfma_f32_16x16x16_bf16 a[0:3], v[32:33], v[0:1], a[0:3]
	s_waitcnt lgkmcnt(1)
	v_mfma_f32_16x16x16_bf16 a[4:7], v[32:33], v[34:35], a[4:7]
	ds_read_b64 v[32:33], v41 offset:16384
	s_waitcnt lgkmcnt(1)
	v_mfma_f32_16x16x16_bf16 a[8:11], v[18:19], v[20:21], 0
	v_mul_f32_e32 v20, s12, v36
	v_exp_f32_e32 v36, v20
	v_accvgpr_read_b32 v21, a3
	v_mfma_f32_16x16x16_bf16 a[12:15], v[18:19], v[22:23], 0
	ds_read_b64 v[22:23], v42 offset:16384
	v_accvgpr_read_b32 v18, a0
	v_fma_f32 v18, v2, v36, v18
	v_accvgpr_read_b32 v2, a1
	v_fma_f32 v19, v3, v36, v2
	v_accvgpr_read_b32 v2, a2
	v_fma_f32 v20, v4, v36, v2
	ds_read_b64 v[2:3], v37 offset:16384
	s_waitcnt lgkmcnt(2)
	v_mfma_f32_16x16x16_bf16 a[8:11], v[32:33], v[24:25], a[8:11]
	v_accvgpr_read_b32 v4, a4
	v_fmac_f32_e32 v21, v5, v36
	v_mfma_f32_16x16x16_bf16 a[12:15], v[32:33], v[28:29], a[12:15]
	v_accvgpr_read_b32 v29, a7
	v_fmac_f32_e32 v29, v13, v36
	s_waitcnt lgkmcnt(1)
	v_mfma_f32_16x16x16_bf16 a[0:3], v[22:23], v[26:27], a[8:11]
	v_fma_f32 v26, v10, v36, v4
	v_accvgpr_read_b32 v4, a5
	v_fma_f32 v27, v11, v36, v4
	v_mfma_f32_16x16x16_bf16 a[8:11], v[22:23], v[30:31], a[12:15]
	v_accvgpr_read_b32 v4, a6
	v_fma_f32 v28, v12, v36, v4
	s_waitcnt lgkmcnt(0)
	v_mfma_f32_16x16x16_bf16 a[0:3], v[2:3], v[0:1], a[0:3]
	v_mfma_f32_16x16x16_bf16 a[4:7], v[2:3], v[34:35], a[8:11]
	s_nop 5
	v_accvgpr_read_b32 v0, a0
	v_fma_f32 v22, v6, v36, v0
	v_accvgpr_read_b32 v0, a1
	v_fma_f32 v23, v7, v36, v0
	;; [unrolled: 2-line block ×4, first 2 shown]
	v_accvgpr_read_b32 v0, a5
	v_accvgpr_read_b32 v25, a3
	v_fma_f32 v31, v15, v36, v0
	v_accvgpr_read_b32 v0, a6
	v_accvgpr_read_b32 v33, a7
	v_fmac_f32_e32 v25, v9, v36
	v_fma_f32 v32, v16, v36, v0
	v_fmac_f32_e32 v33, v17, v36
	v_mov_b64_e32 v[2:3], v[18:19]
	v_mov_b64_e32 v[4:5], v[20:21]
	;; [unrolled: 1-line block ×8, first 2 shown]
.LBB490_84:
	s_waitcnt lgkmcnt(0)
	s_add_u32 s0, s30, s28
	s_addc_u32 s1, s31, s29
	v_lshl_add_u64 v[0:1], v[52:53], 2, s[0:1]
	v_mov_b32_e32 v51, 0
	v_lshl_add_u64 v[0:1], v[0:1], 0, v[50:51]
	s_waitcnt vmcnt(3)
	global_store_dwordx4 v[0:1], v[2:5], off
	s_waitcnt vmcnt(3)
	global_store_dwordx4 v[0:1], v[6:9], off offset:256
	v_lshl_add_u64 v[0:1], v[54:55], 2, s[0:1]
	v_lshl_add_u64 v[0:1], v[0:1], 0, v[50:51]
	s_waitcnt vmcnt(3)
	global_store_dwordx4 v[0:1], v[10:13], off
	s_waitcnt vmcnt(3)
	global_store_dwordx4 v[0:1], v[14:17], off offset:256
	s_endpgm
	.section	.rodata,"a",@progbits
	.p2align	6, 0x0
	.amdhsa_kernel _ZN12_GLOBAL__N_139chunk_gated_delta_rule_fwd_h_hip_kernelILi32ELb1ELb1ELb0ELb0ELb0ELb0ELb1ELb0EEEvPK12hip_bfloat16S3_S3_PKfS5_PKvPS1_S8_PvPKiSB_iiiiilll
		.amdhsa_group_segment_fixed_size 49152
		.amdhsa_private_segment_fixed_size 0
		.amdhsa_kernarg_size 136
		.amdhsa_user_sgpr_count 2
		.amdhsa_user_sgpr_dispatch_ptr 0
		.amdhsa_user_sgpr_queue_ptr 0
		.amdhsa_user_sgpr_kernarg_segment_ptr 1
		.amdhsa_user_sgpr_dispatch_id 0
		.amdhsa_user_sgpr_kernarg_preload_length 0
		.amdhsa_user_sgpr_kernarg_preload_offset 0
		.amdhsa_user_sgpr_private_segment_size 0
		.amdhsa_uses_dynamic_stack 0
		.amdhsa_enable_private_segment 0
		.amdhsa_system_sgpr_workgroup_id_x 1
		.amdhsa_system_sgpr_workgroup_id_y 1
		.amdhsa_system_sgpr_workgroup_id_z 0
		.amdhsa_system_sgpr_workgroup_info 0
		.amdhsa_system_vgpr_workitem_id 0
		.amdhsa_next_free_vgpr 152
		.amdhsa_next_free_sgpr 69
		.amdhsa_accum_offset 136
		.amdhsa_reserve_vcc 1
		.amdhsa_float_round_mode_32 0
		.amdhsa_float_round_mode_16_64 0
		.amdhsa_float_denorm_mode_32 3
		.amdhsa_float_denorm_mode_16_64 3
		.amdhsa_dx10_clamp 1
		.amdhsa_ieee_mode 1
		.amdhsa_fp16_overflow 0
		.amdhsa_tg_split 0
		.amdhsa_exception_fp_ieee_invalid_op 0
		.amdhsa_exception_fp_denorm_src 0
		.amdhsa_exception_fp_ieee_div_zero 0
		.amdhsa_exception_fp_ieee_overflow 0
		.amdhsa_exception_fp_ieee_underflow 0
		.amdhsa_exception_fp_ieee_inexact 0
		.amdhsa_exception_int_div_zero 0
	.end_amdhsa_kernel
	.section	.text._ZN12_GLOBAL__N_139chunk_gated_delta_rule_fwd_h_hip_kernelILi32ELb1ELb1ELb0ELb0ELb0ELb0ELb1ELb0EEEvPK12hip_bfloat16S3_S3_PKfS5_PKvPS1_S8_PvPKiSB_iiiiilll,"axG",@progbits,_ZN12_GLOBAL__N_139chunk_gated_delta_rule_fwd_h_hip_kernelILi32ELb1ELb1ELb0ELb0ELb0ELb0ELb1ELb0EEEvPK12hip_bfloat16S3_S3_PKfS5_PKvPS1_S8_PvPKiSB_iiiiilll,comdat
.Lfunc_end490:
	.size	_ZN12_GLOBAL__N_139chunk_gated_delta_rule_fwd_h_hip_kernelILi32ELb1ELb1ELb0ELb0ELb0ELb0ELb1ELb0EEEvPK12hip_bfloat16S3_S3_PKfS5_PKvPS1_S8_PvPKiSB_iiiiilll, .Lfunc_end490-_ZN12_GLOBAL__N_139chunk_gated_delta_rule_fwd_h_hip_kernelILi32ELb1ELb1ELb0ELb0ELb0ELb0ELb1ELb0EEEvPK12hip_bfloat16S3_S3_PKfS5_PKvPS1_S8_PvPKiSB_iiiiilll
                                        ; -- End function
	.section	.AMDGPU.csdata,"",@progbits
; Kernel info:
; codeLenInByte = 9320
; NumSgprs: 75
; NumVgprs: 136
; NumAgprs: 16
; TotalNumVgprs: 152
; ScratchSize: 0
; MemoryBound: 0
; FloatMode: 240
; IeeeMode: 1
; LDSByteSize: 49152 bytes/workgroup (compile time only)
; SGPRBlocks: 9
; VGPRBlocks: 18
; NumSGPRsForWavesPerEU: 75
; NumVGPRsForWavesPerEU: 152
; AccumOffset: 136
; Occupancy: 1
; WaveLimiterHint : 1
; COMPUTE_PGM_RSRC2:SCRATCH_EN: 0
; COMPUTE_PGM_RSRC2:USER_SGPR: 2
; COMPUTE_PGM_RSRC2:TRAP_HANDLER: 0
; COMPUTE_PGM_RSRC2:TGID_X_EN: 1
; COMPUTE_PGM_RSRC2:TGID_Y_EN: 1
; COMPUTE_PGM_RSRC2:TGID_Z_EN: 0
; COMPUTE_PGM_RSRC2:TIDIG_COMP_CNT: 0
; COMPUTE_PGM_RSRC3_GFX90A:ACCUM_OFFSET: 33
; COMPUTE_PGM_RSRC3_GFX90A:TG_SPLIT: 0
	.section	.text._ZN12_GLOBAL__N_139chunk_gated_delta_rule_fwd_h_hip_kernelILi32ELb1ELb0ELb1ELb0ELb0ELb0ELb1ELb0EEEvPK12hip_bfloat16S3_S3_PKfS5_PKvPS1_S8_PvPKiSB_iiiiilll,"axG",@progbits,_ZN12_GLOBAL__N_139chunk_gated_delta_rule_fwd_h_hip_kernelILi32ELb1ELb0ELb1ELb0ELb0ELb0ELb1ELb0EEEvPK12hip_bfloat16S3_S3_PKfS5_PKvPS1_S8_PvPKiSB_iiiiilll,comdat
	.globl	_ZN12_GLOBAL__N_139chunk_gated_delta_rule_fwd_h_hip_kernelILi32ELb1ELb0ELb1ELb0ELb0ELb0ELb1ELb0EEEvPK12hip_bfloat16S3_S3_PKfS5_PKvPS1_S8_PvPKiSB_iiiiilll ; -- Begin function _ZN12_GLOBAL__N_139chunk_gated_delta_rule_fwd_h_hip_kernelILi32ELb1ELb0ELb1ELb0ELb0ELb0ELb1ELb0EEEvPK12hip_bfloat16S3_S3_PKfS5_PKvPS1_S8_PvPKiSB_iiiiilll
	.p2align	8
	.type	_ZN12_GLOBAL__N_139chunk_gated_delta_rule_fwd_h_hip_kernelILi32ELb1ELb0ELb1ELb0ELb0ELb0ELb1ELb0EEEvPK12hip_bfloat16S3_S3_PKfS5_PKvPS1_S8_PvPKiSB_iiiiilll,@function
_ZN12_GLOBAL__N_139chunk_gated_delta_rule_fwd_h_hip_kernelILi32ELb1ELb0ELb1ELb0ELb0ELb0ELb1ELb0EEEvPK12hip_bfloat16S3_S3_PKfS5_PKvPS1_S8_PvPKiSB_iiiiilll: ; @_ZN12_GLOBAL__N_139chunk_gated_delta_rule_fwd_h_hip_kernelILi32ELb1ELb0ELb1ELb0ELb0ELb0ELb1ELb0EEEvPK12hip_bfloat16S3_S3_PKfS5_PKvPS1_S8_PvPKiSB_iiiiilll
; %bb.0:
	s_load_dwordx4 s[12:15], s[0:1], 0x5c
	s_load_dwordx4 s[20:23], s[0:1], 0x70
	s_abs_i32 s6, s3
	s_ashr_i32 s5, s3, 31
	s_load_dwordx4 s[16:19], s[0:1], 0x28
	s_load_dwordx2 s[28:29], s[0:1], 0x38
	s_waitcnt lgkmcnt(0)
	s_abs_i32 s4, s13
	v_cvt_f32_u32_e32 v1, s4
	s_sub_i32 s8, 0, s4
	s_ashr_i32 s7, s13, 31
	s_xor_b32 s5, s5, s7
	v_rcp_iflag_f32_e32 v1, v1
	v_and_b32_e32 v63, 15, v0
	v_lshrrev_b32_e32 v61, 6, v0
	v_bfe_u32 v62, v0, 4, 2
	v_mul_f32_e32 v1, 0x4f7ffffe, v1
	v_cvt_u32_f32_e32 v1, v1
	v_mov_b32_e32 v7, 0
	v_and_b32_e32 v60, 63, v0
	v_lshrrev_b32_e32 v65, 3, v60
	v_readfirstlane_b32 s9, v1
	s_mul_i32 s8, s8, s9
	s_mul_hi_u32 s8, s9, s8
	s_add_i32 s9, s9, s8
	s_mul_hi_u32 s8, s6, s9
	s_mul_i32 s9, s8, s4
	s_sub_i32 s6, s6, s9
	s_add_i32 s10, s8, 1
	s_sub_i32 s9, s6, s4
	s_cmp_ge_u32 s6, s4
	s_cselect_b32 s8, s10, s8
	s_cselect_b32 s6, s9, s6
	s_add_i32 s9, s8, 1
	s_cmp_ge_u32 s6, s4
	s_cselect_b32 s6, s9, s8
	s_xor_b32 s6, s6, s5
	s_add_i32 s8, s12, 63
	s_sub_i32 s50, s6, s5
	s_ashr_i32 s9, s8, 31
	s_mul_i32 s5, s50, s13
	s_sub_i32 s48, s3, s5
	s_lshr_b32 s3, s9, 26
	s_add_i32 s8, s8, s3
	s_abs_i32 s3, s14
	v_cvt_f32_u32_e32 v1, s3
	s_ashr_i32 s49, s12, 31
	s_lshr_b32 s6, s49, 26
	s_add_i32 s6, s12, s6
	v_rcp_iflag_f32_e32 v1, v1
	s_ashr_i32 s53, s14, 31
	s_ashr_i32 s24, s8, 6
	;; [unrolled: 1-line block ×3, first 2 shown]
	v_mul_f32_e32 v1, 0x4f7ffffe, v1
	v_cvt_u32_f32_e32 v1, v1
	s_xor_b32 s6, s7, s53
	s_sub_i32 s7, 0, s3
	s_lshl_b32 s2, s2, 5
	v_readfirstlane_b32 s8, v1
	s_mul_i32 s7, s7, s8
	s_mul_hi_u32 s7, s8, s7
	s_add_i32 s8, s8, s7
	s_mul_hi_u32 s7, s4, s8
	s_mul_i32 s8, s7, s3
	s_sub_i32 s4, s4, s8
	s_add_i32 s8, s7, 1
	s_sub_i32 s9, s4, s3
	s_cmp_ge_u32 s4, s3
	s_cselect_b32 s7, s8, s7
	s_cselect_b32 s4, s9, s4
	s_add_i32 s8, s7, 1
	s_cmp_ge_u32 s4, s3
	s_cselect_b32 s3, s8, s7
	s_xor_b32 s3, s3, s6
	s_sub_i32 s3, s3, s6
	s_abs_i32 s4, s3
	v_cvt_f32_u32_e32 v1, s4
	s_sub_i32 s7, 0, s4
	s_abs_i32 s6, s48
	s_xor_b32 s3, s48, s3
	v_rcp_iflag_f32_e32 v1, v1
	s_ashr_i32 s3, s3, 31
	v_or_b32_e32 v50, s2, v63
	v_lshlrev_b32_e32 v2, 7, v50
	v_mul_f32_e32 v1, 0x4f7ffffe, v1
	v_cvt_u32_f32_e32 v1, v1
	v_ashrrev_i32_e32 v3, 31, v2
	s_mul_i32 s55, s50, s24
	v_lshlrev_b32_e32 v64, 3, v0
	v_readfirstlane_b32 s8, v1
	s_mul_i32 s7, s7, s8
	s_mul_hi_u32 s7, s8, s7
	s_add_i32 s8, s8, s7
	s_mul_hi_u32 s7, s6, s8
	s_mul_i32 s8, s7, s4
	s_sub_i32 s6, s6, s8
	s_add_i32 s8, s7, 1
	s_sub_i32 s9, s6, s4
	s_cmp_ge_u32 s6, s4
	s_cselect_b32 s7, s8, s7
	s_cselect_b32 s6, s9, s6
	s_add_i32 s8, s7, 1
	s_cmp_ge_u32 s6, s4
	s_cselect_b32 s4, s8, s7
	s_xor_b32 s4, s4, s3
	s_sub_i32 s54, s4, s3
	s_ashr_i32 s3, s50, 31
	s_ashr_i32 s52, s48, 31
	s_mul_hi_i32 s4, s50, s13
	s_add_u32 s38, s5, s48
	s_addc_u32 s39, s4, s52
	s_lshl_b64 s[4:5], s[38:39], 16
	s_add_u32 s4, s16, s4
	s_addc_u32 s5, s17, s5
	v_lshlrev_b32_e32 v1, 4, v61
	v_lshl_add_u64 v[4:5], v[2:3], 2, s[4:5]
	v_or_b32_e32 v2, 0x800, v2
	v_lshl_or_b32 v66, v62, 2, v1
	v_ashrrev_i32_e32 v3, 31, v2
	v_lshlrev_b32_e32 v6, 2, v66
	v_lshl_add_u64 v[2:3], v[2:3], 2, s[4:5]
	v_lshl_add_u64 v[4:5], v[4:5], 0, v[6:7]
	;; [unrolled: 1-line block ×3, first 2 shown]
	global_load_dwordx4 v[14:17], v[4:5], off
	global_load_dwordx4 v[10:13], v[4:5], off offset:256
	global_load_dwordx4 v[6:9], v[18:19], off
	s_nop 0
	global_load_dwordx4 v[2:5], v[18:19], off offset:256
	s_load_dwordx8 s[4:11], s[0:1], 0x0
	s_load_dwordx2 s[30:31], s[0:1], 0x80
	v_or_b32_e32 v67, 64, v66
	s_cmp_lt_i32 s12, 64
	s_mul_i32 s56, s39, s12
	s_mul_hi_u32 s57, s38, s12
	s_mul_i32 s16, s38, s12
	s_mul_i32 s33, s50, s21
	s_mul_hi_u32 s44, s50, s20
	s_mul_i32 s45, s3, s20
	s_mul_i32 s34, s50, s20
	;; [unrolled: 1-line block ×3, first 2 shown]
	s_mul_hi_u32 s46, s48, s22
	s_mul_i32 s47, s52, s22
	s_mul_i32 s36, s48, s22
	s_cbranch_scc1 .LBB491_3
; %bb.1:
	s_add_i32 s17, s57, s56
	s_lshl_b64 s[0:1], s[16:17], 8
	v_and_b32_e32 v69, 56, v64
	s_waitcnt lgkmcnt(0)
	s_add_u32 s20, s6, s0
	v_lshl_or_b32 v68, v61, 3, v65
	v_lshlrev_b32_e32 v18, 1, v69
	s_addc_u32 s0, s7, s1
	v_lshl_or_b32 v70, v68, 8, v18
	s_and_b32 s21, s0, 0xffff
	s_mov_b32 s23, 0x20000
	s_movk_i32 s22, 0x4000
	s_movk_i32 s0, 0x80
	v_or_b32_e32 v71, 0x2000, v70
	buffer_load_dwordx4 v[20:23], v70, s[20:23], 0 offen
	buffer_load_dwordx4 v[24:27], v70, s[20:23], s0 offen
	;; [unrolled: 1-line block ×4, first 2 shown]
	v_lshlrev_b32_e32 v19, 3, v68
	v_and_or_b32 v37, v0, 7, v19
	v_and_b32_e32 v19, 0x78, v19
	v_lshlrev_b32_e32 v37, 4, v37
	v_xor_b32_e32 v72, v37, v19
	v_mul_lo_u32 v36, v68, s15
	v_or_b32_e32 v73, 0x1000, v72
	v_xor_b32_e32 v19, 8, v72
	s_cmpk_eq_i32 s15, 0x80
	s_mov_b32 s58, s14
	v_xor_b32_e32 v37, 8, v73
	s_cselect_b64 s[0:1], -1, 0
	s_cmpk_lg_i32 s15, 0x80
	s_waitcnt vmcnt(3)
	ds_write_b64 v72, v[20:21] offset:24576
	ds_write_b64 v19, v[22:23] offset:24576
	s_waitcnt vmcnt(2)
	ds_write_b64 v72, v[24:25] offset:32768
	ds_write_b64 v19, v[26:27] offset:32768
	s_waitcnt vmcnt(1)
	ds_write_b64 v72, v[28:29] offset:28672
	ds_write_b64 v37, v[30:31] offset:24576
	s_waitcnt vmcnt(0)
	ds_write_b64 v72, v[32:33] offset:36864
	ds_write_b64 v37, v[34:35] offset:32768
	v_lshl_add_u32 v19, v36, 1, v69
	s_cbranch_scc0 .LBB491_29
; %bb.2:
	v_lshlrev_b32_e32 v21, 1, v19
	v_add_lshl_u32 v20, v19, s15, 1
	s_lshl_b32 s22, s15, 7
	v_lshl_or_b32 v18, v68, 9, v18
	s_cbranch_execz .LBB491_30
	s_branch .LBB491_31
.LBB491_3:
	s_waitcnt vmcnt(0)
	v_mov_b32_e32 v19, v5
	v_mov_b32_e32 v18, v9
	;; [unrolled: 1-line block ×4, first 2 shown]
.LBB491_4:
	s_lshl_b32 s26, s51, 6
	s_sub_i32 s27, s12, s26
	s_cmp_gt_i32 s27, 0
	s_cbranch_scc0 .LBB491_84
; %bb.5:
	s_ashr_i32 s3, s26, 31
	s_cmpk_lg_i32 s15, 0x80
	s_cselect_b64 s[22:23], -1, 0
	s_and_b64 vcc, exec, s[22:23]
	s_cbranch_vccz .LBB491_7
; %bb.6:
	s_mul_i32 s1, s50, s12
	s_mul_hi_i32 s0, s50, s12
	s_add_u32 s1, s1, s26
	s_addc_u32 s0, s0, s3
	s_mul_i32 s17, s1, s53
	s_mul_hi_u32 s20, s1, s14
	s_add_i32 s17, s20, s17
	s_mul_i32 s0, s0, s14
	s_add_i32 s17, s17, s0
	s_mul_i32 s1, s1, s14
	s_ashr_i32 s0, s54, 31
	s_add_u32 s24, s1, s54
	s_addc_u32 s25, s17, s0
	s_cbranch_execz .LBB491_8
	s_branch .LBB491_9
.LBB491_7:
                                        ; implicit-def: $sgpr24_sgpr25
.LBB491_8:
	s_mul_hi_i32 s0, s50, s14
	s_mul_i32 s50, s50, s14
	s_ashr_i32 s1, s54, 31
	s_add_u32 s14, s50, s54
	s_addc_u32 s0, s0, s1
	s_mul_i32 s1, s14, s49
	s_mul_hi_u32 s17, s14, s12
	s_add_i32 s1, s17, s1
	s_mul_i32 s0, s0, s12
	s_add_i32 s1, s1, s0
	s_mul_i32 s14, s14, s12
	s_add_u32 s24, s14, s26
	s_addc_u32 s25, s1, s3
.LBB491_9:
	s_mul_i32 s0, s38, s49
	s_add_i32 s0, s57, s0
	s_add_i32 s14, s55, s51
	;; [unrolled: 1-line block ×3, first 2 shown]
	s_add_u32 s0, s16, s26
	s_addc_u32 s1, s1, s3
	v_lshlrev_b32_e32 v21, 5, v66
	v_lshlrev_b32_e32 v22, 2, v63
	s_mov_b32 s3, 0x7060302
	v_xor_b32_e32 v5, v66, v22
	v_xor_b32_e32 v23, v67, v22
	v_perm_b32 v13, v9, v12, s3
	v_or_b32_e32 v9, v21, v22
	s_lshl_b64 s[20:21], s[0:1], 8
	v_perm_b32 v17, v20, v16, s3
	v_perm_b32 v16, v15, v14, s3
	;; [unrolled: 1-line block ×3, first 2 shown]
	v_lshlrev_b32_e32 v9, 1, v9
	v_lshlrev_b32_e32 v10, 1, v5
	v_lshlrev_b32_e32 v5, 8, v63
	v_lshlrev_b32_e32 v11, 1, v23
	s_waitcnt lgkmcnt(0)
	s_add_u32 s0, s6, s20
	ds_write2st64_b64 v9, v[16:17], v[12:13] offset0:80 offset1:88
	v_or_b32_e32 v9, v10, v5
	v_or_b32_e32 v5, v11, v5
	s_addc_u32 s1, s7, s21
	ds_write_b64 v9, v[16:17]
	ds_write_b64 v5, v[12:13]
	v_perm_b32 v9, v18, v8, s3
	v_perm_b32 v8, v7, v6, s3
	;; [unrolled: 1-line block ×4, first 2 shown]
	s_mul_hi_i32 s3, s14, s13
	s_mul_i32 s14, s14, s13
	s_add_u32 s6, s14, s48
	v_or_b32_e32 v2, 16, v63
	s_addc_u32 s7, s3, s52
	v_lshlrev_b32_e32 v19, 2, v2
	s_ashr_i32 s3, s2, 31
	s_lshl_b64 s[6:7], s[6:7], 15
	v_or_b32_e32 v3, v21, v19
	s_add_u32 s6, s18, s6
	v_lshlrev_b32_e32 v3, 1, v3
	v_lshlrev_b32_e32 v2, 8, v2
	s_addc_u32 s7, s19, s7
	s_lshl_b64 s[2:3], s[2:3], 8
	ds_write2st64_b64 v3, v[8:9], v[4:5] offset0:80 offset1:88
	v_or_b32_e32 v3, v10, v2
	v_or_b32_e32 v2, v11, v2
	s_add_u32 s2, s6, s2
	ds_write_b64 v3, v[8:9]
	ds_write_b64 v2, v[4:5]
	v_lshrrev_b32_e32 v2, 4, v0
	s_addc_u32 s3, s7, s3
	v_lshlrev_b32_e32 v3, 1, v63
	v_lshlrev_b32_e32 v10, 4, v63
	v_mov_b32_e32 v11, 0
	v_or_b32_e32 v4, 1, v3
	v_xor_b32_e32 v3, v2, v3
	v_lshl_add_u64 v[12:13], s[2:3], 0, v[10:11]
	v_lshlrev_b32_e32 v10, 8, v2
	v_xor_b32_e32 v6, v4, v2
	v_lshl_or_b32 v2, v3, 3, v10
	s_waitcnt lgkmcnt(0)
	s_barrier
	ds_read2st64_b64 v[2:5], v2 offset1:8
	v_lshl_or_b32 v6, v6, 3, v10
	ds_read2st64_b64 v[6:9], v6 offset1:8
	v_lshl_add_u64 v[14:15], v[12:13], 0, v[10:11]
	s_movk_i32 s2, 0x1000
	s_waitcnt lgkmcnt(1)
	v_mov_b32_e32 v10, v2
	v_add_co_u32_e32 v2, vcc, s2, v14
	s_cmp_lg_u32 s27, 64
	v_mov_b32_e32 v11, v3
	v_addc_co_u32_e32 v3, vcc, 0, v15, vcc
	s_cselect_b64 s[6:7], -1, 0
	v_lshl_or_b32 v23, v61, 3, v65
	s_waitcnt lgkmcnt(0)
	v_mov_b32_e32 v12, v6
	v_mov_b32_e32 v13, v7
	;; [unrolled: 1-line block ×4, first 2 shown]
	s_mov_b32 s16, 0
	v_or_b32_e32 v20, 32, v23
	v_and_b32_e32 v18, 56, v64
	s_and_b64 vcc, exec, s[6:7]
	global_store_dwordx4 v[14:15], v[10:13], off
	global_store_dwordx4 v[2:3], v[6:9], off
	s_cbranch_vccz .LBB491_15
; %bb.10:
	s_mov_b32 s17, s16
	s_mov_b32 s18, s16
	;; [unrolled: 1-line block ×3, first 2 shown]
	v_mov_b64_e32 v[6:7], s[16:17]
	v_mov_b64_e32 v[8:9], s[18:19]
	;; [unrolled: 1-line block ×3, first 2 shown]
	v_cmp_gt_i32_e32 vcc, s27, v23
	v_mov_b64_e32 v[4:5], v[8:9]
	s_and_saveexec_b64 s[2:3], vcc
	s_cbranch_execz .LBB491_12
; %bb.11:
	v_lshlrev_b32_e32 v2, 8, v23
	v_mov_b32_e32 v3, 0
	v_lshl_add_u64 v[4:5], s[0:1], 0, v[2:3]
	v_lshlrev_b32_e32 v2, 1, v18
	v_lshl_add_u64 v[10:11], v[4:5], 0, v[2:3]
	global_load_dwordx4 v[6:9], v[10:11], off
	global_load_dwordx4 v[2:5], v[10:11], off offset:128
.LBB491_12:
	s_or_b64 exec, exec, s[2:3]
	s_mov_b32 s17, s16
	s_mov_b32 s18, s16
	;; [unrolled: 1-line block ×3, first 2 shown]
	v_mov_b64_e32 v[14:15], s[16:17]
	v_mov_b64_e32 v[16:17], s[18:19]
	;; [unrolled: 1-line block ×3, first 2 shown]
	v_cmp_gt_i32_e32 vcc, s27, v20
	v_lshlrev_b32_e32 v21, 7, v20
	v_mov_b64_e32 v[12:13], v[16:17]
	s_and_saveexec_b64 s[2:3], vcc
	s_cbranch_execz .LBB491_14
; %bb.13:
	v_lshlrev_b32_e32 v10, 1, v21
	v_mov_b32_e32 v11, 0
	v_lshl_add_u64 v[12:13], s[0:1], 0, v[10:11]
	v_lshlrev_b32_e32 v10, 1, v18
	v_lshl_add_u64 v[24:25], v[12:13], 0, v[10:11]
	global_load_dwordx4 v[14:17], v[24:25], off
	global_load_dwordx4 v[10:13], v[24:25], off offset:128
.LBB491_14:
	s_or_b64 exec, exec, s[2:3]
	v_lshrrev_b32_e32 v24, 3, v18
	v_lshlrev_b32_e32 v25, 3, v23
	v_or_b32_e32 v24, v25, v24
	v_lshlrev_b32_e32 v24, 4, v24
	v_and_b32_e32 v25, 0x78, v25
	v_xor_b32_e32 v24, v24, v25
	s_branch .LBB491_17
.LBB491_15:
                                        ; implicit-def: $vgpr24
                                        ; implicit-def: $vgpr21
                                        ; implicit-def: $vgpr6_vgpr7_vgpr8_vgpr9
                                        ; implicit-def: $vgpr2_vgpr3_vgpr4_vgpr5
                                        ; implicit-def: $vgpr14_vgpr15_vgpr16_vgpr17
                                        ; implicit-def: $vgpr10_vgpr11_vgpr12_vgpr13
	s_cbranch_execz .LBB491_17
; %bb.16:
	s_waitcnt vmcnt(0)
	v_lshlrev_b32_e32 v2, 1, v18
	v_lshl_or_b32 v21, v23, 8, v2
	s_and_b32 s1, s1, 0xffff
	s_mov_b32 s3, 0x20000
	s_movk_i32 s2, 0x4000
	v_lshl_or_b32 v24, v20, 8, v2
	s_movk_i32 s13, 0x80
	buffer_load_dwordx4 v[6:9], v21, s[0:3], 0 offen
	buffer_load_dwordx4 v[2:5], v21, s[0:3], s13 offen
	;; [unrolled: 1-line block ×4, first 2 shown]
	v_lshrrev_b32_e32 v21, 3, v18
	v_lshlrev_b32_e32 v24, 3, v23
	v_or_b32_e32 v21, v24, v21
	v_lshlrev_b32_e32 v21, 4, v21
	v_and_b32_e32 v24, 0x78, v24
	v_xor_b32_e32 v24, v21, v24
	v_lshlrev_b32_e32 v21, 7, v20
.LBB491_17:
	s_lshl_b64 s[0:1], s[24:25], 8
	s_add_u32 s4, s4, s0
	s_movk_i32 s0, 0x1000
	v_and_or_b32 v20, v21, s0, v24
	s_waitcnt vmcnt(1)
	ds_write_b64 v24, v[6:7] offset:24576
	v_xor_b32_e32 v6, 8, v24
	ds_write_b64 v6, v[8:9] offset:24576
	s_waitcnt vmcnt(0)
	ds_write_b64 v24, v[2:3] offset:32768
	ds_write_b64 v6, v[4:5] offset:32768
	;; [unrolled: 1-line block ×3, first 2 shown]
	v_xor_b32_e32 v2, 8, v20
	ds_write_b64 v2, v[16:17] offset:24576
	ds_write_b64 v20, v[10:11] offset:32768
	;; [unrolled: 1-line block ×3, first 2 shown]
	v_or_b32_e32 v2, v1, v63
	v_lshlrev_b32_e32 v3, 11, v61
	v_lshlrev_b32_e32 v2, 3, v2
	v_and_b32_e32 v6, 0x1000, v3
	v_lshrrev_b32_e32 v3, 5, v60
	s_movk_i32 s3, 0xf8
	v_and_or_b32 v3, v2, s3, v3
	v_lshlrev_b32_e32 v7, 4, v3
	v_and_b32_e32 v8, 0x78, v2
	v_or_b32_e32 v10, 32, v7
	v_lshrrev_b32_e32 v3, 1, v60
	v_xor_b32_e32 v10, v10, v8
	v_xor_b32_e32 v2, v7, v8
	v_and_b32_e32 v9, 8, v3
	v_or_b32_e32 v10, v10, v6
	v_or_b32_e32 v2, v2, v6
	v_xor_b32_e32 v26, v10, v9
	v_or_b32_e32 v10, 64, v7
	v_xor_b32_e32 v25, v2, v9
	v_xor_b32_e32 v10, v10, v8
	s_waitcnt lgkmcnt(0)
	s_barrier
	v_or_b32_e32 v12, v10, v6
	ds_read_b64 v[10:11], v25 offset:24576
	v_lshl_or_b32 v20, v62, 7, v22
	v_lshlrev_b32_e32 v24, 1, v20
	v_add_u32_e32 v2, 0xa000, v24
	ds_read2_b64 v[2:5], v2 offset1:16
	v_or_b32_e32 v7, 0x60, v7
	v_xor_b32_e32 v7, v7, v8
	s_waitcnt lgkmcnt(0)
	v_mfma_f32_16x16x16_bf16 a[0:3], v[10:11], v[2:3], 0
	v_or_b32_e32 v2, 64, v20
	v_or_b32_e32 v6, v7, v6
	v_lshlrev_b32_e32 v29, 1, v2
	v_xor_b32_e32 v27, v12, v9
	v_xor_b32_e32 v28, v6, v9
	ds_read_b64 v[12:13], v26 offset:24576
	ds_read_b64 v[14:15], v27 offset:24576
	;; [unrolled: 1-line block ×3, first 2 shown]
	v_mfma_f32_16x16x16_bf16 a[4:7], v[10:11], v[4:5], 0
	ds_read2st64_b64 v[2:5], v29 offset0:82 offset1:84
	ds_read2st64_b64 v[6:9], v24 offset0:82 offset1:84
	s_addc_u32 s5, s5, s1
	s_add_i32 s1, s44, s33
	s_add_i32 s0, s12, -1
	s_add_i32 s35, s1, s45
	s_add_i32 s1, s46, s39
	;; [unrolled: 1-line block ×3, first 2 shown]
	s_ashr_i32 s1, s0, 31
	s_mul_i32 s2, s0, s31
	s_mul_hi_u32 s3, s0, s30
	s_add_i32 s2, s3, s2
	s_mul_i32 s1, s1, s30
	s_waitcnt lgkmcnt(1)
	v_mfma_f32_16x16x16_bf16 a[4:7], v[12:13], v[2:3], a[4:7]
	s_add_i32 s1, s2, s1
	s_lshl_b64 s[2:3], s[34:35], 2
	s_add_u32 s10, s10, s2
	s_waitcnt lgkmcnt(0)
	v_mfma_f32_16x16x16_bf16 a[0:3], v[12:13], v[6:7], a[0:3]
	s_addc_u32 s11, s11, s3
	s_lshl_b64 s[2:3], s[36:37], 2
	s_mul_i32 s0, s0, s30
	s_add_u32 s10, s10, s2
	ds_read_b64 v[2:3], v24 offset:44032
	v_mfma_f32_16x16x16_bf16 a[4:7], v[14:15], v[4:5], a[4:7]
	ds_read_b64 v[4:5], v29 offset:44032
	s_addc_u32 s11, s11, s3
	s_lshl_b64 s[0:1], s[0:1], 2
	v_mfma_f32_16x16x16_bf16 a[0:3], v[14:15], v[8:9], a[0:3]
	s_add_u32 s0, s10, s0
	s_addc_u32 s1, s11, s1
	s_load_dword s12, s[0:1], 0x0
	s_waitcnt lgkmcnt(0)
	v_mfma_f32_16x16x16_bf16 a[0:3], v[16:17], v[2:3], a[0:3]
	s_and_b64 vcc, exec, s[22:23]
	v_mfma_f32_16x16x16_bf16 a[4:7], v[16:17], v[4:5], a[4:7]
	s_cbranch_vccz .LBB491_28
; %bb.18:
	v_lshlrev_b32_e32 v20, 1, v23
	s_and_b64 vcc, exec, s[6:7]
	s_cbranch_vccz .LBB491_44
; %bb.19:
	v_cmp_gt_i32_e32 vcc, s27, v20
	v_mov_b32_e32 v6, 0
	v_mov_b32_e32 v2, 0
	;; [unrolled: 1-line block ×5, first 2 shown]
	s_and_saveexec_b64 s[0:1], vcc
	s_cbranch_execz .LBB491_21
; %bb.20:
	v_mad_i64_i32 v[2:3], s[2:3], s15, v20, 0
	v_lshl_add_u64 v[2:3], v[2:3], 1, s[4:5]
	v_lshlrev_b32_e32 v4, 1, v18
	v_mov_b32_e32 v5, 0
	v_lshl_add_u64 v[2:3], v[2:3], 0, v[4:5]
	global_load_dwordx4 v[2:5], v[2:3], off
.LBB491_21:
	s_or_b64 exec, exec, s[0:1]
	v_or_b32_e32 v21, 1, v20
	v_cmp_gt_i32_e64 s[0:1], s27, v21
	v_mov_b32_e32 v7, 0
	v_mov_b32_e32 v8, 0
	;; [unrolled: 1-line block ×3, first 2 shown]
	s_and_saveexec_b64 s[2:3], s[0:1]
	s_cbranch_execz .LBB491_23
; %bb.22:
	v_mad_i64_i32 v[6:7], s[16:17], s15, v21, 0
	v_lshl_add_u64 v[6:7], v[6:7], 1, s[4:5]
	v_lshlrev_b32_e32 v8, 1, v18
	v_mov_b32_e32 v9, 0
	v_lshl_add_u64 v[6:7], v[6:7], 0, v[8:9]
	global_load_dwordx4 v[6:9], v[6:7], off
.LBB491_23:
	s_or_b64 exec, exec, s[2:3]
	v_mov_b32_e32 v17, 0
	v_mov_b32_e32 v10, 0
	;; [unrolled: 1-line block ×5, first 2 shown]
	s_and_saveexec_b64 s[2:3], vcc
	s_cbranch_execz .LBB491_25
; %bb.24:
	v_mad_i64_i32 v[10:11], s[16:17], s15, v20, 0
	v_lshl_add_u64 v[10:11], v[10:11], 1, s[4:5]
	v_lshlrev_b32_e32 v12, 1, v18
	v_mov_b32_e32 v13, 0
	v_lshl_add_u64 v[10:11], v[10:11], 0, v[12:13]
	global_load_dwordx4 v[10:13], v[10:11], off offset:128
.LBB491_25:
	s_or_b64 exec, exec, s[2:3]
	v_mov_b32_e32 v16, 0
	v_mov_b32_e32 v15, 0
	;; [unrolled: 1-line block ×3, first 2 shown]
	s_and_saveexec_b64 s[2:3], s[0:1]
	s_cbranch_execz .LBB491_27
; %bb.26:
	v_mad_i64_i32 v[14:15], s[0:1], s15, v21, 0
	v_lshl_add_u64 v[14:15], v[14:15], 1, s[4:5]
	v_lshlrev_b32_e32 v16, 1, v18
	v_mov_b32_e32 v17, 0
	v_lshl_add_u64 v[14:15], v[14:15], 0, v[16:17]
	global_load_dwordx4 v[14:17], v[14:15], off offset:128
.LBB491_27:
	s_or_b64 exec, exec, s[2:3]
	s_branch .LBB491_46
.LBB491_28:
                                        ; implicit-def: $vgpr5
                                        ; implicit-def: $vgpr9
                                        ; implicit-def: $vgpr13
                                        ; implicit-def: $vgpr17
	v_lshrrev_b32_e32 v30, 2, v60
	s_branch .LBB491_47
.LBB491_29:
                                        ; implicit-def: $vgpr20
                                        ; implicit-def: $vgpr21
                                        ; implicit-def: $sgpr22
	v_lshl_or_b32 v18, v68, 9, v18
.LBB491_30:
	v_or_b32_e32 v20, 0x100, v18
	s_movk_i32 s22, 0x4000
	v_mov_b32_e32 v21, v18
.LBB491_31:
	s_mul_hi_u32 s20, s14, s12
	s_mul_i32 s21, s53, s12
	s_add_i32 s20, s20, s21
	s_mul_i32 s21, s14, s12
	s_mul_i32 s23, s21, s3
	s_mul_hi_u32 s24, s21, s50
	s_add_i32 s23, s24, s23
	s_mul_i32 s20, s20, s50
	s_add_i32 s23, s23, s20
	s_mul_i32 s21, s21, s50
	s_ashr_i32 s59, s54, 31
	s_add_u32 s20, s21, s54
	s_addc_u32 s21, s23, s59
	s_lshl_b64 s[20:21], s[20:21], 8
	s_add_u32 s20, s4, s20
	s_addc_u32 s21, s5, s21
	s_and_b32 s21, s21, 0xffff
	s_mov_b32 s23, 0x20000
	s_movk_i32 s60, 0x80
	buffer_load_dwordx4 v[22:25], v21, s[20:23], 0 offen
	buffer_load_dwordx4 v[26:29], v21, s[20:23], s60 offen
	;; [unrolled: 1-line block ×4, first 2 shown]
	v_and_b32_e32 v20, 6, v0
	v_lshlrev_b32_e32 v39, 6, v66
	v_or_b32_e32 v41, 16, v63
	v_xor_b32_e32 v42, v68, v20
	v_and_b32_e32 v21, 1, v0
	v_lshl_or_b32 v45, v63, 3, v39
	v_lshl_or_b32 v39, v41, 3, v39
	v_lshlrev_b32_e32 v42, 2, v42
	s_mul_i32 s3, s3, s12
	s_mul_hi_u32 s20, s50, s12
	v_lshlrev_b32_e32 v38, 2, v63
	v_or_b32_e32 v76, 0xa000, v39
	v_or_b32_e32 v77, 0xb000, v39
	v_xor_b32_e32 v39, 0x440, v42
	v_cmp_eq_u32_e32 vcc, 0, v21
	v_xor_b32_e32 v43, v66, v38
	v_xor_b32_e32 v44, v67, v38
	v_cndmask_b32_e32 v21, v39, v42, vcc
	s_add_i32 s65, s20, s3
	s_add_i32 s3, s44, s33
	s_mov_b32 s62, 0x1000504
	v_lshlrev_b32_e32 v40, 8, v63
	v_lshlrev_b32_e32 v43, 1, v43
	;; [unrolled: 1-line block ×3, first 2 shown]
	v_lshl_or_b32 v20, v20, 10, v21
	s_add_i32 s35, s3, s45
	s_add_i32 s3, s46, s39
	s_mov_b32 s63, 0x3020706
	v_or_b32_e32 v74, 0xa000, v45
	v_or_b32_e32 v75, 0xb000, v45
	;; [unrolled: 1-line block ×4, first 2 shown]
	v_xor_b32_e32 v21, 8, v20
	v_xor_b32_e32 v40, 24, v20
	;; [unrolled: 1-line block ×4, first 2 shown]
	s_add_i32 s37, s3, s47
	s_lshl_b64 s[20:21], s[34:35], 2
	v_xor_b32_e32 v39, 16, v20
	v_xor_b32_e32 v42, 32, v20
	;; [unrolled: 1-line block ×3, first 2 shown]
	v_add_u32_e32 v21, 0x80, v21
	v_add_u32_e32 v40, 0x80, v40
	v_add_u32_e32 v45, 0x80, v45
	v_add_u32_e32 v47, 0x80, v47
	s_add_u32 s3, s10, s20
	s_addc_u32 s22, s11, s21
	s_lshl_b64 s[20:21], s[36:37], 2
	s_add_u32 s40, s3, s20
	s_movk_i32 s3, 0xf8
	s_addc_u32 s41, s22, s21
	s_lshl_b32 s26, s15, 7
	s_movk_i32 s24, 0x100
	v_mov_b32_e32 v53, 0
	v_lshlrev_b32_e32 v52, 4, v63
	v_cmp_gt_u32_e32 vcc, s24, v0
	v_ashrrev_i32_e32 v51, 31, v50
	s_mov_b32 s61, 0
	s_mul_i32 s64, s50, s12
	s_movk_i32 s35, 0x1000
	s_movk_i32 s22, 0x4000
	s_mov_b32 s66, 0
	s_waitcnt vmcnt(1)
	v_perm_b32 v48, v22, v30, s62
	s_waitcnt vmcnt(0)
	v_perm_b32 v49, v26, v34, s62
	v_perm_b32 v22, v22, v30, s63
	;; [unrolled: 1-line block ×15, first 2 shown]
	ds_write2st64_b32 v20, v48, v49 offset0:32 offset1:64
	ds_write2st64_b32 v21, v22, v26 offset0:32 offset1:64
	;; [unrolled: 1-line block ×8, first 2 shown]
	v_lshlrev_b32_e32 v20, 8, v41
	v_or_b32_e32 v80, v20, v43
	v_or_b32_e32 v81, v20, v44
	;; [unrolled: 1-line block ×3, first 2 shown]
	v_lshlrev_b32_e32 v20, 3, v20
	v_lshrrev_b32_e32 v23, 5, v60
	v_and_or_b32 v23, v20, s3, v23
	v_lshlrev_b32_e32 v23, 4, v23
	v_lshlrev_b32_e32 v21, 11, v61
	v_and_b32_e32 v20, 0x78, v20
	v_or_b32_e32 v28, 32, v23
	v_and_b32_e32 v22, 0x1000, v21
	v_lshrrev_b32_e32 v25, 1, v0
	v_xor_b32_e32 v28, v28, v20
	v_and_b32_e32 v26, 8, v25
	v_or_b32_e32 v28, v28, v22
	v_xor_b32_e32 v24, v23, v20
	v_xor_b32_e32 v84, v28, v26
	v_or_b32_e32 v28, 64, v23
	v_or_b32_e32 v23, 0x60, v23
	s_ashr_i32 s3, s2, 31
	v_xor_b32_e32 v28, v28, v20
	v_xor_b32_e32 v20, v23, v20
	s_lshl_b64 s[20:21], s[2:3], 8
	v_or_b32_e32 v24, v24, v22
	v_or_b32_e32 v28, v28, v22
	;; [unrolled: 1-line block ×3, first 2 shown]
	s_add_u32 s20, s18, s20
	v_lshlrev_b32_e32 v22, 1, v63
	v_xor_b32_e32 v86, v28, v26
	v_lshrrev_b32_e32 v28, 4, v0
	s_addc_u32 s21, s19, s21
	v_or_b32_e32 v23, 1, v22
	v_mov_b32_e32 v32, 0x4000
	v_mov_b32_e32 v33, 0x2000
	v_xor_b32_e32 v29, v28, v22
	v_xor_b32_e32 v30, v23, v28
	v_lshl_add_u64 v[22:23], s[20:21], 0, v[52:53]
	v_lshlrev_b32_e32 v52, 8, v28
	v_cndmask_b32_e32 v32, v32, v33, vcc
	v_lshlrev_b32_e32 v33, 3, v61
	v_and_b32_e32 v25, 24, v25
	v_lshl_or_b32 v90, v29, 3, v52
	v_and_b32_e32 v29, 8, v0
	v_xor_b32_e32 v34, v33, v25
	v_or_b32_e32 v35, 0x440, v34
	v_cmp_eq_u32_e32 vcc, 0, v29
	v_and_b32_e32 v28, 7, v0
	v_xor_b32_e32 v82, v24, v26
	v_cndmask_b32_e32 v29, v35, v34, vcc
	v_lshlrev_b32_e32 v24, 7, v62
	v_lshl_or_b32 v91, v30, 3, v52
	v_lshlrev_b32_e32 v30, 3, v28
	v_lshlrev_b32_e32 v28, 7, v28
	;; [unrolled: 1-line block ×3, first 2 shown]
	v_or_b32_e32 v29, v29, v21
	v_or_b32_e32 v27, v24, v38
	v_xad_u32 v92, v29, v30, v28
	v_and_or_b32 v24, v31, 60, v24
	v_mov_b32_e32 v29, 0xb000
	v_lshl_or_b32 v93, v24, 1, v29
	v_or_b32_e32 v24, 32, v25
	v_xor_b32_e32 v24, v33, v24
	v_or_b32_e32 v29, 0x440, v24
	v_cndmask_b32_e32 v24, v29, v24, vcc
	v_or_b32_e32 v24, v24, v21
	v_xad_u32 v94, v24, v30, v28
	v_or_b32_e32 v24, 64, v25
	v_xor_b32_e32 v24, v33, v24
	v_xor_b32_e32 v29, 0x440, v24
	v_cndmask_b32_e32 v24, v29, v24, vcc
	v_or_b32_e32 v24, v24, v21
	v_xad_u32 v95, v24, v30, v28
	v_or_b32_e32 v24, 0x60, v25
	v_xor_b32_e32 v24, v33, v24
	v_xor_b32_e32 v25, 0x440, v24
	v_lshlrev_b32_e32 v27, 1, v27
	v_cndmask_b32_e32 v24, v25, v24, vcc
	v_or_b32_e32 v83, 0xa000, v27
	v_or_b32_e32 v85, 0xa080, v27
	v_xor_b32_e32 v87, v20, v26
	v_or_b32_e32 v88, 0xb000, v27
	v_or_b32_e32 v89, 0xb080, v27
	v_lshlrev_b32_e32 v26, 1, v19
	v_add_lshl_u32 v19, v19, s15, 1
	v_or_b32_e32 v27, 0x100, v18
	v_or_b32_e32 v21, v24, v21
	v_lshlrev_b32_e32 v20, 7, v66
	v_xad_u32 v96, v21, v30, v28
	v_cndmask_b32_e64 v97, v26, v18, s[0:1]
	v_cndmask_b32_e64 v98, v19, v27, s[0:1]
	v_lshlrev_b64 v[18:19], 1, v[50:51]
	v_lshl_add_u64 v[54:55], s[8:9], 0, v[18:19]
	v_lshl_add_u64 v[56:57], s[28:29], 0, v[18:19]
	;; [unrolled: 1-line block ×3, first 2 shown]
	s_mov_b32 s3, 0x7060302
	v_lshlrev_b32_e32 v52, 1, v20
	v_mov_b32_e32 v51, 0x3fb8aa3b
	v_add_u32_e32 v99, v32, v92
	v_add_u32_e32 v100, v32, v94
	v_add_u32_e32 v101, v32, v95
	v_add_u32_e32 v102, v32, v96
	s_waitcnt lgkmcnt(0)
	s_barrier
.LBB491_32:                             ; =>This Inner Loop Header: Depth=1
	s_add_i32 s37, s66, 1
	s_cmp_lt_i32 s37, s51
	s_mov_b64 s[24:25], 0
	s_cselect_b64 s[42:43], -1, 0
	s_cmp_ge_i32 s37, s51
	s_mov_b64 s[20:21], 0
	s_cbranch_scc1 .LBB491_34
; %bb.33:                               ;   in Loop: Header=BB491_32 Depth=1
	s_add_i32 s0, s61, 64
	s_add_u32 s0, s16, s0
	s_addc_u32 s1, s17, 0
	s_lshl_b64 s[0:1], s[0:1], 8
	s_add_u32 s20, s6, s0
	s_addc_u32 s21, s7, s1
.LBB491_34:                             ;   in Loop: Header=BB491_32 Depth=1
	v_cndmask_b32_e64 v18, 0, 1, s[42:43]
	v_cmp_ne_u32_e64 s[0:1], 1, v18
	s_andn2_b64 vcc, exec, s[42:43]
	s_cbranch_vccnz .LBB491_36
; %bb.35:                               ;   in Loop: Header=BB491_32 Depth=1
	s_add_i32 s24, s61, 64
	s_add_u32 s24, s64, s24
	s_addc_u32 s25, s65, 0
	s_mul_i32 s27, s24, s53
	s_mul_hi_u32 s42, s24, s58
	s_add_i32 s27, s42, s27
	s_mul_i32 s25, s25, s58
	s_add_i32 s27, s27, s25
	s_mul_i32 s24, s24, s58
	s_add_u32 s24, s24, s54
	s_addc_u32 s25, s27, s59
	s_lshl_b64 s[24:25], s[24:25], 8
	s_add_u32 s24, s4, s24
	s_addc_u32 s25, s5, s25
.LBB491_36:                             ;   in Loop: Header=BB491_32 Depth=1
	v_perm_b32 v19, v17, v16, s3
	v_perm_b32 v18, v15, v14, s3
	;; [unrolled: 1-line block ×4, first 2 shown]
	ds_write_b64 v74, v[18:19]
	ds_write_b64 v75, v[20:21]
	;; [unrolled: 1-line block ×4, first 2 shown]
	v_perm_b32 v19, v9, v8, s3
	v_perm_b32 v18, v7, v6, s3
	;; [unrolled: 1-line block ×4, first 2 shown]
	ds_write_b64 v76, v[18:19]
	ds_write_b64 v77, v[20:21]
	;; [unrolled: 1-line block ×4, first 2 shown]
	s_waitcnt lgkmcnt(0)
	s_barrier
	ds_read_b64 v[22:23], v82 offset:24576
	ds_read2_b64 v[18:21], v83 offset1:16
	ds_read_b64 v[26:27], v85 offset:3072
	ds_read_b64 v[28:29], v83 offset:3072
	;; [unrolled: 1-line block ×3, first 2 shown]
	s_waitcnt lgkmcnt(3)
	v_mfma_f32_16x16x16_bf16 a[0:3], v[22:23], v[18:19], 0
	s_add_i32 s27, s61, 63
	s_mul_i32 s42, s27, s31
	s_mul_hi_u32 s43, s27, s30
	v_mfma_f32_16x16x16_bf16 a[4:7], v[22:23], v[20:21], 0
	ds_read2st64_b64 v[18:21], v83 offset0:2 offset1:4
	ds_read2st64_b64 v[22:25], v85 offset0:2 offset1:4
	s_add_i32 s43, s43, s42
	s_waitcnt lgkmcnt(1)
	v_mfma_f32_16x16x16_bf16 a[0:3], v[30:31], v[18:19], a[0:3]
	s_mul_i32 s42, s27, s30
	s_lshl_b64 s[42:43], s[42:43], 2
	s_add_u32 s42, s40, s42
	s_waitcnt lgkmcnt(0)
	v_mfma_f32_16x16x16_bf16 a[4:7], v[30:31], v[22:23], a[4:7]
	ds_read_b64 v[18:19], v86 offset:24576
	ds_read_b64 v[22:23], v87 offset:24576
	s_addc_u32 s43, s41, s43
	s_and_b64 vcc, exec, s[0:1]
	s_waitcnt lgkmcnt(1)
	v_mfma_f32_16x16x16_bf16 a[0:3], v[18:19], v[20:21], a[0:3]
	v_mov_b32_e32 v105, 0
	v_mov_b32_e32 v104, 0
	;; [unrolled: 1-line block ×3, first 2 shown]
	v_mfma_f32_16x16x16_bf16 a[8:11], v[18:19], v[24:25], a[4:7]
	v_mov_b32_e32 v18, 0
	v_mov_b32_e32 v19, 0
	;; [unrolled: 1-line block ×3, first 2 shown]
	s_waitcnt lgkmcnt(0)
	v_mfma_f32_16x16x16_bf16 a[4:7], v[22:23], v[28:29], a[0:3]
	v_mov_b32_e32 v21, 0
	v_mov_b32_e32 v24, 0
	;; [unrolled: 1-line block ×3, first 2 shown]
	v_mfma_f32_16x16x16_bf16 a[0:3], v[22:23], v[26:27], a[8:11]
	v_mov_b32_e32 v22, 0
	v_mov_b32_e32 v23, 0
	v_mov_b32_e32 v26, 0
	v_mov_b32_e32 v27, 0
	v_mov_b32_e32 v28, 0
	v_mov_b32_e32 v29, 0
	v_mov_b32_e32 v30, 0
	v_mov_b32_e32 v31, 0
	v_mov_b32_e32 v32, 0
	v_mov_b32_e32 v33, 0
	s_cbranch_vccnz .LBB491_38
; %bb.37:                               ;   in Loop: Header=BB491_32 Depth=1
	s_and_b32 s21, s21, 0xffff
	buffer_load_dwordx4 v[30:33], v70, s[20:23], 0 offen
	buffer_load_dwordx4 v[26:29], v70, s[20:23], s60 offen
	;; [unrolled: 1-line block ×4, first 2 shown]
	v_mov_b32_e32 v104, v72
	v_mov_b32_e32 v103, v73
.LBB491_38:                             ;   in Loop: Header=BB491_32 Depth=1
	s_waitcnt vmcnt(3)
	ds_read_b64 v[42:43], v82 offset:32768
	s_waitcnt vmcnt(2)
	ds_read2_b64 v[34:37], v88 offset1:16
	ds_read_b64 v[44:45], v84 offset:32768
	ds_read_b64 v[46:47], v86 offset:32768
	;; [unrolled: 1-line block ×3, first 2 shown]
	v_add_u32_e32 v106, s61, v66
	s_waitcnt lgkmcnt(3)
	v_mfma_f32_16x16x16_bf16 a[4:7], v[42:43], v[34:35], a[4:7]
	v_ashrrev_i32_e32 v34, 31, v106
	ds_read2st64_b64 v[38:41], v88 offset0:2 offset1:4
	v_mfma_f32_16x16x16_bf16 a[0:3], v[42:43], v[36:37], a[0:3]
	v_mul_lo_u32 v36, v34, s30
	v_mul_lo_u32 v37, v106, s31
	v_mad_u64_u32 v[34:35], s[20:21], v106, s30, 0
	v_add3_u32 v35, v35, v37, v36
	v_add_u32_e32 v36, 1, v106
	v_ashrrev_i32_e32 v37, 31, v36
	v_mul_lo_u32 v42, v37, s30
	v_mul_lo_u32 v43, v36, s31
	v_mad_u64_u32 v[36:37], s[20:21], v36, s30, 0
	v_add3_u32 v37, v37, v43, v42
	v_add_u32_e32 v42, 2, v106
	v_ashrrev_i32_e32 v43, 31, v42
	v_mul_lo_u32 v107, v43, s30
	v_mul_lo_u32 v108, v42, s31
	v_mad_u64_u32 v[42:43], s[20:21], v42, s30, 0
	v_add_u32_e32 v106, 3, v106
	v_add3_u32 v43, v43, v108, v107
	v_ashrrev_i32_e32 v107, 31, v106
	v_mul_lo_u32 v108, v107, s30
	v_mul_lo_u32 v109, v106, s31
	v_mad_u64_u32 v[106:107], s[20:21], v106, s30, 0
	s_add_u32 s20, s16, s61
	s_addc_u32 s21, s17, 0
	s_lshl_b64 s[68:69], s[20:21], 8
	v_lshl_add_u64 v[34:35], v[34:35], 2, s[40:41]
	v_lshl_add_u64 v[36:37], v[36:37], 2, s[40:41]
	v_add3_u32 v107, v107, v109, v108
	v_lshl_add_u64 v[108:109], v[54:55], 0, s[68:69]
	v_lshl_add_u64 v[42:43], v[42:43], 2, s[40:41]
	;; [unrolled: 1-line block ×3, first 2 shown]
	global_load_dword v110, v[34:35], off
	global_load_ushort v111, v[108:109], off offset:256
	global_load_ushort v112, v[108:109], off
	v_lshl_add_u64 v[34:35], v[106:107], 2, s[40:41]
	global_load_dword v106, v[36:37], off
	global_load_dword v107, v[42:43], off
	;; [unrolled: 1-line block ×3, first 2 shown]
	ds_read2st64_b64 v[34:37], v89 offset0:2 offset1:4
	global_load_ushort v114, v[108:109], off offset:768
	global_load_ushort v115, v[108:109], off offset:512
	;; [unrolled: 1-line block ×5, first 2 shown]
	s_nop 0
	global_load_ushort v108, v[108:109], off offset:32
	s_waitcnt lgkmcnt(1)
	v_mfma_f32_16x16x16_bf16 a[4:7], v[44:45], v[38:39], a[4:7]
	s_and_b64 vcc, exec, s[0:1]
	s_waitcnt vmcnt(10)
	v_lshlrev_b32_e32 v43, 16, v111
	s_waitcnt lgkmcnt(0)
	v_mfma_f32_16x16x16_bf16 a[0:3], v[44:45], v[34:35], a[0:3]
	s_waitcnt vmcnt(9)
	v_lshlrev_b32_e32 v42, 16, v112
	v_mfma_f32_16x16x16_bf16 a[4:7], v[46:47], v[40:41], a[4:7]
	v_mfma_f32_16x16x16_bf16 a[0:3], v[46:47], v[36:37], a[0:3]
	ds_read_b64 v[34:35], v88 offset:3072
	ds_read_b64 v[36:37], v89 offset:3072
	s_load_dword s20, s[42:43], 0x0
	s_waitcnt lgkmcnt(0)
	v_sub_f32_e32 v44, s20, v110
	v_mfma_f32_16x16x16_bf16 a[4:7], v[48:49], v[34:35], a[4:7]
	v_mul_f32_e32 v44, 0x3fb8aa3b, v44
	s_waitcnt vmcnt(8)
	v_sub_f32_e32 v45, s20, v106
	s_waitcnt vmcnt(7)
	v_sub_f32_e32 v46, s20, v107
	s_waitcnt vmcnt(6)
	v_sub_f32_e32 v47, s20, v113
	v_mfma_f32_16x16x16_bf16 a[0:3], v[48:49], v[36:37], a[0:3]
	v_lshl_add_u64 v[34:35], v[56:57], 0, s[68:69]
	v_lshl_add_u64 v[34:35], v[34:35], 0, v[52:53]
	v_accvgpr_read_b32 v41, a5
	v_accvgpr_read_b32 v40, a4
	v_pk_add_f32 v[40:41], v[42:43], v[40:41] neg_lo:[0,1] neg_hi:[0,1]
	v_exp_f32_e32 v42, v44
	v_mul_f32_e32 v43, 0x3fb8aa3b, v45
	v_mul_f32_e32 v44, 0x3fb8aa3b, v46
	;; [unrolled: 1-line block ×3, first 2 shown]
	v_exp_f32_e32 v43, v43
	v_exp_f32_e32 v44, v44
	v_exp_f32_e32 v45, v45
	v_accvgpr_read_b32 v37, a7
	v_accvgpr_read_b32 v36, a6
	s_waitcnt vmcnt(5)
	v_lshlrev_b32_e32 v47, 16, v114
	s_waitcnt vmcnt(4)
	v_lshlrev_b32_e32 v46, 16, v115
	v_pk_add_f32 v[36:37], v[46:47], v[36:37] neg_lo:[0,1] neg_hi:[0,1]
	global_store_short_d16_hi v[34:35], v40, off
	global_store_short_d16_hi v[34:35], v41, off offset:256
	global_store_short_d16_hi v[34:35], v36, off offset:512
	;; [unrolled: 1-line block ×3, first 2 shown]
	v_pk_mul_f32 v[40:41], v[42:43], v[40:41]
	v_pk_mul_f32 v[36:37], v[44:45], v[36:37]
	v_accvgpr_read_b32 v47, a1
	v_perm_b32 v37, v37, v36, s3
	v_perm_b32 v36, v41, v40, s3
	s_waitcnt vmcnt(5)
	v_lshlrev_b32_e32 v41, 16, v118
	s_waitcnt vmcnt(4)
	v_lshlrev_b32_e32 v40, 16, v108
	v_accvgpr_read_b32 v46, a0
	v_accvgpr_read_b32 v39, a3
	;; [unrolled: 1-line block ×3, first 2 shown]
	v_pk_add_f32 v[40:41], v[40:41], v[46:47] neg_lo:[0,1] neg_hi:[0,1]
	v_lshlrev_b32_e32 v47, 16, v116
	v_lshlrev_b32_e32 v46, 16, v117
	v_pk_add_f32 v[38:39], v[46:47], v[38:39] neg_lo:[0,1] neg_hi:[0,1]
	global_store_short_d16_hi v[34:35], v40, off offset:32
	global_store_short_d16_hi v[34:35], v41, off offset:288
	;; [unrolled: 1-line block ×4, first 2 shown]
	v_pk_mul_f32 v[34:35], v[42:43], v[40:41]
	v_pk_mul_f32 v[38:39], v[44:45], v[38:39]
	v_mov_b32_e32 v106, 0
	v_perm_b32 v39, v39, v38, s3
	v_perm_b32 v38, v35, v34, s3
	ds_write2_b64 v75, v[36:37], v[38:39] offset1:16
	v_mov_b32_e32 v34, 0
	v_mov_b32_e32 v35, 0
	;; [unrolled: 1-line block ×16, first 2 shown]
	s_cbranch_vccnz .LBB491_40
; %bb.39:                               ;   in Loop: Header=BB491_32 Depth=1
	s_and_b32 s25, s25, 0xffff
	s_mov_b32 s27, s23
	buffer_load_dwordx4 v[46:49], v97, s[24:27], 0 offen
	buffer_load_dwordx4 v[38:41], v97, s[24:27], s60 offen
	;; [unrolled: 1-line block ×4, first 2 shown]
	v_mov_b32_e32 v105, v69
	v_mov_b32_e32 v106, v68
.LBB491_40:                             ;   in Loop: Header=BB491_32 Depth=1
	s_waitcnt lgkmcnt(0)
	s_barrier
	ds_read_b64 v[112:113], v99
	ds_read_b64 v[120:121], v93
	;; [unrolled: 1-line block ×5, first 2 shown]
	ds_read_b64 v[126:127], v94 offset:16384
	ds_read_b64 v[128:129], v92 offset:16384
	ds_read2_b64 v[108:111], v88 offset0:16 offset1:128
	s_waitcnt lgkmcnt(6)
	v_mfma_f32_16x16x16_bf16 a[0:3], v[112:113], v[120:121], 0
	ds_read_b64 v[130:131], v89 offset:3072
	ds_read_b64 v[132:133], v96 offset:16384
	s_add_i32 s21, s55, s66
	s_waitcnt lgkmcnt(2)
	v_mfma_f32_16x16x16_bf16 a[4:7], v[112:113], v[108:109], 0
	ds_read2st64_b64 v[112:115], v89 offset0:2 offset1:4
	s_mul_hi_i32 s25, s21, s13
	s_mul_i32 s21, s21, s13
	v_mfma_f32_16x16x16_bf16 a[0:3], v[116:117], v[110:111], a[0:3]
	s_add_u32 s24, s21, s48
	s_addc_u32 s25, s25, s52
	s_lshl_b64 s[24:25], s[24:25], 15
	s_waitcnt lgkmcnt(0)
	v_mfma_f32_16x16x16_bf16 a[4:7], v[116:117], v[112:113], a[4:7]
	ds_read2st64_b64 v[116:119], v88 offset0:4 offset1:6
	s_waitcnt lgkmcnt(0)
	v_mfma_f32_16x16x16_bf16 a[0:3], v[122:123], v[116:117], a[0:3]
	v_mfma_f32_16x16x16_bf16 a[8:11], v[122:123], v[114:115], a[4:7]
	v_mfma_f32_16x16x16_bf16 a[4:7], v[124:125], v[118:119], a[0:3]
	v_mfma_f32_16x16x16_bf16 a[0:3], v[124:125], v[130:131], a[8:11]
	v_mfma_f32_16x16x16_bf16 a[8:11], v[128:129], v[120:121], 0
	ds_read2st64_b64 v[120:123], v91 offset1:8
	v_mfma_f32_16x16x16_bf16 a[12:15], v[128:129], v[108:109], 0
	ds_read_b64 v[128:129], v95 offset:16384
	v_mfma_f32_16x16x16_bf16 a[8:11], v[126:127], v[110:111], a[8:11]
	ds_read2st64_b64 v[108:111], v90 offset1:8
	s_waitcnt lgkmcnt(0)
	v_mov_b32_e32 v124, v108
	v_mfma_f32_16x16x16_bf16 a[12:15], v[126:127], v[112:113], a[12:15]
	v_lshl_add_u64 v[112:113], v[58:59], 0, s[24:25]
	v_add_co_u32_e32 v108, vcc, s35, v112
	v_mfma_f32_16x16x16_bf16 a[8:11], v[128:129], v[116:117], a[8:11]
	v_mov_b32_e32 v125, v109
	v_addc_co_u32_e32 v109, vcc, 0, v113, vcc
	v_mfma_f32_16x16x16_bf16 a[16:19], v[128:129], v[114:115], a[12:15]
	v_mov_b32_e32 v126, v120
	v_mov_b32_e32 v127, v121
	;; [unrolled: 1-line block ×3, first 2 shown]
	v_mfma_f32_16x16x16_bf16 a[12:15], v[132:133], v[118:119], a[8:11]
	v_mov_b32_e32 v121, v111
	s_and_b64 vcc, exec, s[0:1]
	global_store_dwordx4 v[112:113], v[124:127], off
	v_mfma_f32_16x16x16_bf16 a[8:11], v[132:133], v[130:131], a[16:19]
	global_store_dwordx4 v[108:109], v[120:123], off
	s_cbranch_vccnz .LBB491_42
; %bb.41:                               ;   in Loop: Header=BB491_32 Depth=1
	v_lshrrev_b32_e32 v107, 3, v105
	v_and_b32_e32 v107, 6, v107
	v_xor_b32_e32 v106, v107, v106
	v_lshlrev_b32_e32 v106, 2, v106
	v_and_b32_e32 v105, 8, v105
	v_xor_b32_e32 v108, 0x440, v106
	v_cmp_eq_u32_e32 vcc, 0, v105
	s_barrier
	s_nop 0
	v_cndmask_b32_e32 v105, v108, v106, vcc
	v_lshl_or_b32 v105, v107, 10, v105
	s_waitcnt vmcnt(3)
	v_perm_b32 v106, v46, v42, s62
	s_waitcnt vmcnt(2)
	v_perm_b32 v107, v38, v34, s62
	ds_write2st64_b32 v105, v106, v107 offset0:32 offset1:64
	v_xor_b32_e32 v106, 8, v105
	v_perm_b32 v42, v46, v42, s63
	v_perm_b32 v34, v38, v34, s63
	v_add_u32_e32 v38, 0x80, v106
	ds_write2st64_b32 v38, v42, v34 offset0:32 offset1:64
	v_xor_b32_e32 v34, 16, v105
	v_perm_b32 v38, v47, v43, s62
	v_perm_b32 v42, v39, v35, s62
	ds_write2st64_b32 v34, v38, v42 offset0:33 offset1:65
	v_xor_b32_e32 v34, 24, v105
	v_perm_b32 v38, v47, v43, s63
	v_perm_b32 v35, v39, v35, s63
	v_add_u32_e32 v34, 0x80, v34
	ds_write2st64_b32 v34, v38, v35 offset0:33 offset1:65
	v_xor_b32_e32 v34, 32, v105
	v_perm_b32 v35, v48, v44, s62
	v_perm_b32 v38, v40, v36, s62
	ds_write2st64_b32 v34, v35, v38 offset0:34 offset1:66
	v_xor_b32_e32 v34, 40, v105
	v_perm_b32 v35, v48, v44, s63
	v_perm_b32 v36, v40, v36, s63
	v_add_u32_e32 v34, 0x80, v34
	ds_write2st64_b32 v34, v35, v36 offset0:34 offset1:66
	v_xor_b32_e32 v34, 48, v105
	v_perm_b32 v35, v49, v45, s62
	v_perm_b32 v36, v41, v37, s62
	ds_write2st64_b32 v34, v35, v36 offset0:35 offset1:67
	v_xor_b32_e32 v34, 56, v105
	v_perm_b32 v35, v49, v45, s63
	v_perm_b32 v36, v41, v37, s63
	v_add_u32_e32 v34, 0x80, v34
	ds_write2st64_b32 v34, v35, v36 offset0:35 offset1:67
	ds_write_b64 v104, v[30:31] offset:24576
	v_xor_b32_e32 v30, 8, v104
	ds_write_b64 v30, v[32:33] offset:24576
	ds_write_b64 v104, v[26:27] offset:32768
	;; [unrolled: 1-line block ×4, first 2 shown]
	v_xor_b32_e32 v22, 8, v103
	ds_write_b64 v22, v[24:25] offset:24576
	ds_write_b64 v103, v[18:19] offset:32768
	ds_write_b64 v22, v[20:21] offset:32768
.LBB491_42:                             ;   in Loop: Header=BB491_32 Depth=1
	v_mul_f32_e32 v18, s20, v51
	v_exp_f32_e32 v21, v18
	v_accvgpr_read_b32 v18, a4
	v_accvgpr_read_b32 v20, a7
	;; [unrolled: 1-line block ×3, first 2 shown]
	v_fma_f32 v14, v14, v21, v18
	v_accvgpr_read_b32 v18, a6
	v_fma_f32 v16, v16, v21, v18
	v_accvgpr_read_b32 v18, a3
	v_fmac_f32_e32 v18, v9, v21
	v_accvgpr_read_b32 v9, a12
	v_fma_f32 v10, v10, v21, v9
	v_accvgpr_read_b32 v9, a13
	v_fma_f32 v11, v11, v21, v9
	;; [unrolled: 2-line block ×3, first 2 shown]
	v_accvgpr_read_b32 v9, a15
	v_fmac_f32_e32 v20, v17, v21
	v_accvgpr_read_b32 v17, a0
	v_fmac_f32_e32 v9, v13, v21
	v_accvgpr_read_b32 v13, a8
	v_fma_f32 v6, v6, v21, v17
	v_accvgpr_read_b32 v17, a1
	v_fma_f32 v2, v2, v21, v13
	;; [unrolled: 2-line block ×3, first 2 shown]
	v_fma_f32 v7, v7, v21, v17
	v_accvgpr_read_b32 v17, a2
	v_fma_f32 v3, v3, v21, v13
	v_accvgpr_read_b32 v13, a10
	v_accvgpr_read_b32 v19, a11
	s_add_i32 s61, s61, 64
	v_fma_f32 v8, v8, v21, v17
	v_fma_f32 v4, v4, v21, v13
	s_cmp_eq_u32 s51, s37
	v_fmac_f32_e32 v19, v5, v21
	s_cbranch_scc1 .LBB491_4
; %bb.43:                               ;   in Loop: Header=BB491_32 Depth=1
	s_mov_b32 s66, s37
	v_mov_b32_e32 v17, v20
	v_mov_b32_e32 v13, v9
	;; [unrolled: 1-line block ×4, first 2 shown]
	s_branch .LBB491_32
.LBB491_44:
                                        ; implicit-def: $vgpr5
                                        ; implicit-def: $vgpr9
                                        ; implicit-def: $vgpr13
                                        ; implicit-def: $vgpr17
	s_cbranch_execz .LBB491_46
; %bb.45:
	s_waitcnt vmcnt(0)
	v_mad_u64_u32 v[2:3], s[0:1], v20, s15, v[18:19]
	v_lshlrev_b32_e32 v20, 1, v2
	s_lshl_b32 s2, s15, 7
	s_and_b32 s1, s5, 0xffff
	s_mov_b32 s3, 0x20000
	s_mov_b32 s0, s4
	v_add_lshl_u32 v21, v2, s15, 1
	s_movk_i32 s13, 0x80
	buffer_load_dwordx4 v[2:5], v20, s[0:3], 0 offen
	buffer_load_dwordx4 v[10:13], v20, s[0:3], s13 offen
	;; [unrolled: 1-line block ×4, first 2 shown]
.LBB491_46:
	v_lshrrev_b32_e32 v30, 2, v60
	s_cbranch_execnz .LBB491_59
.LBB491_47:
	s_and_b64 vcc, exec, s[6:7]
	s_cbranch_vccz .LBB491_57
; %bb.48:
	s_waitcnt vmcnt(0)
	v_lshlrev_b32_e32 v7, 1, v23
	v_cmp_gt_i32_e32 vcc, s27, v7
	v_mov_b32_e32 v6, 0
	v_lshlrev_b32_e32 v14, 9, v23
	v_mov_b32_e32 v2, 0
	v_mov_b32_e32 v3, 0
	;; [unrolled: 1-line block ×4, first 2 shown]
	s_and_saveexec_b64 s[0:1], vcc
	s_cbranch_execz .LBB491_50
; %bb.49:
	v_mov_b32_e32 v15, 0
	v_lshl_add_u64 v[2:3], s[4:5], 0, v[14:15]
	v_lshlrev_b32_e32 v4, 1, v18
	v_mov_b32_e32 v5, v15
	v_lshl_add_u64 v[2:3], v[2:3], 0, v[4:5]
	global_load_dwordx4 v[2:5], v[2:3], off
.LBB491_50:
	s_or_b64 exec, exec, s[0:1]
	v_or_b32_e32 v7, 1, v7
	v_cmp_gt_i32_e64 s[0:1], s27, v7
	v_lshlrev_b32_e32 v20, 8, v7
	v_mov_b32_e32 v7, 0
	v_mov_b32_e32 v8, 0
	v_mov_b32_e32 v9, 0
	s_and_saveexec_b64 s[2:3], s[0:1]
	s_cbranch_execz .LBB491_52
; %bb.51:
	v_mov_b32_e32 v21, 0
	v_lshl_add_u64 v[6:7], s[4:5], 0, v[20:21]
	v_lshlrev_b32_e32 v8, 1, v18
	v_mov_b32_e32 v9, v21
	v_lshl_add_u64 v[6:7], v[6:7], 0, v[8:9]
	global_load_dwordx4 v[6:9], v[6:7], off
.LBB491_52:
	s_or_b64 exec, exec, s[2:3]
	v_mov_b32_e32 v17, 0
	v_mov_b32_e32 v10, 0
	;; [unrolled: 1-line block ×5, first 2 shown]
	s_and_saveexec_b64 s[2:3], vcc
	s_cbranch_execz .LBB491_54
; %bb.53:
	v_mov_b32_e32 v15, 0
	v_lshl_add_u64 v[10:11], s[4:5], 0, v[14:15]
	v_lshlrev_b32_e32 v14, 1, v18
	v_lshl_add_u64 v[10:11], v[10:11], 0, v[14:15]
	global_load_dwordx4 v[10:13], v[10:11], off offset:128
.LBB491_54:
	s_or_b64 exec, exec, s[2:3]
	v_mov_b32_e32 v16, 0
	v_mov_b32_e32 v15, 0
	;; [unrolled: 1-line block ×3, first 2 shown]
	s_and_saveexec_b64 s[2:3], s[0:1]
	s_cbranch_execz .LBB491_56
; %bb.55:
	v_mov_b32_e32 v21, 0
	v_lshl_add_u64 v[14:15], s[4:5], 0, v[20:21]
	v_lshlrev_b32_e32 v20, 1, v18
	v_lshl_add_u64 v[14:15], v[14:15], 0, v[20:21]
	global_load_dwordx4 v[14:17], v[14:15], off offset:128
.LBB491_56:
	s_or_b64 exec, exec, s[2:3]
	s_branch .LBB491_59
.LBB491_57:
                                        ; implicit-def: $vgpr5
                                        ; implicit-def: $vgpr9
                                        ; implicit-def: $vgpr13
                                        ; implicit-def: $vgpr17
	s_cbranch_execz .LBB491_59
; %bb.58:
	s_waitcnt vmcnt(0)
	v_lshlrev_b32_e32 v2, 1, v18
	v_lshl_or_b32 v18, v23, 9, v2
	s_and_b32 s5, s5, 0xffff
	s_mov_b32 s7, 0x20000
	s_movk_i32 s6, 0x4000
	s_movk_i32 s0, 0x80
	buffer_load_dwordx4 v[2:5], v18, s[4:7], 0 offen
	buffer_load_dwordx4 v[6:9], v18, s[4:7], 0 offen offset:256
	buffer_load_dwordx4 v[10:13], v18, s[4:7], s0 offen
	buffer_load_dwordx4 v[14:17], v18, s[4:7], s0 offen offset:256
.LBB491_59:
	ds_read_b64 v[20:21], v25 offset:32768
	v_add_u32_e32 v18, 0xb000, v24
	ds_read2_b64 v[32:35], v18 offset1:16
	ds_read_b64 v[40:41], v26 offset:32768
	ds_read_b64 v[26:27], v27 offset:32768
	;; [unrolled: 1-line block ×3, first 2 shown]
	v_and_b32_e32 v18, 6, v0
	v_xor_b32_e32 v23, v23, v18
	v_lshlrev_b32_e32 v23, 2, v23
	v_and_b32_e32 v0, 1, v0
	v_xor_b32_e32 v28, 0x440, v23
	v_cmp_eq_u32_e32 vcc, 0, v0
	s_waitcnt lgkmcnt(3)
	v_mfma_f32_16x16x16_bf16 a[0:3], v[20:21], v[32:33], a[0:3]
	s_mov_b32 s0, 0x1000504
	v_cndmask_b32_e32 v0, v28, v23, vcc
	v_lshl_or_b32 v0, v18, 10, v0
	v_mfma_f32_16x16x16_bf16 a[4:7], v[20:21], v[34:35], a[4:7]
	ds_read2st64_b64 v[32:35], v24 offset0:90 offset1:92
	ds_read2st64_b64 v[36:39], v29 offset0:90 offset1:92
	ds_read_b64 v[20:21], v24 offset:48128
	ds_read_b64 v[24:25], v29 offset:48128
	s_waitcnt vmcnt(0)
	v_perm_b32 v18, v2, v6, s0
	s_waitcnt lgkmcnt(3)
	v_mfma_f32_16x16x16_bf16 a[0:3], v[40:41], v[32:33], a[0:3]
	s_mov_b32 s1, 0x3020706
	v_perm_b32 v2, v2, v6, s1
	v_perm_b32 v6, v10, v14, s1
	s_waitcnt lgkmcnt(2)
	v_mfma_f32_16x16x16_bf16 a[4:7], v[40:41], v[36:37], a[4:7]
	v_mfma_f32_16x16x16_bf16 a[0:3], v[26:27], v[34:35], a[0:3]
	;; [unrolled: 1-line block ×3, first 2 shown]
	s_waitcnt lgkmcnt(1)
	v_mfma_f32_16x16x16_bf16 a[4:7], v[42:43], v[20:21], a[0:3]
	v_perm_b32 v20, v10, v14, s0
	ds_write2st64_b32 v0, v18, v20 offset0:32 offset1:64
	v_xor_b32_e32 v18, 8, v0
	v_add_u32_e32 v10, 0x80, v18
	ds_write2st64_b32 v10, v2, v6 offset0:32 offset1:64
	v_xor_b32_e32 v2, 16, v0
	v_perm_b32 v6, v3, v7, s0
	v_perm_b32 v10, v11, v15, s0
	ds_write2st64_b32 v2, v6, v10 offset0:33 offset1:65
	v_xor_b32_e32 v2, 24, v0
	v_perm_b32 v3, v3, v7, s1
	v_perm_b32 v6, v11, v15, s1
	v_add_u32_e32 v2, 0x80, v2
	ds_write2st64_b32 v2, v3, v6 offset0:33 offset1:65
	v_xor_b32_e32 v2, 32, v0
	v_perm_b32 v3, v4, v8, s0
	v_perm_b32 v6, v12, v16, s0
	s_waitcnt lgkmcnt(4)
	v_mfma_f32_16x16x16_bf16 a[0:3], v[42:43], v[24:25], a[8:11]
	ds_write2st64_b32 v2, v3, v6 offset0:34 offset1:66
	v_xor_b32_e32 v2, 40, v0
	v_perm_b32 v3, v4, v8, s1
	v_perm_b32 v4, v12, v16, s1
	v_add_u32_e32 v2, 0x80, v2
	ds_write2st64_b32 v2, v3, v4 offset0:34 offset1:66
	v_xor_b32_e32 v2, 48, v0
	v_perm_b32 v3, v5, v9, s0
	v_perm_b32 v4, v13, v17, s0
	v_xor_b32_e32 v0, 56, v0
	v_and_or_b32 v21, v30, 12, v1
	ds_write2st64_b32 v2, v3, v4 offset0:35 offset1:67
	v_perm_b32 v2, v5, v9, s1
	v_perm_b32 v3, v13, v17, s1
	v_add_u32_e32 v0, 0x80, v0
	v_cmp_gt_i32_e32 vcc, s27, v21
	v_mov_b32_e32 v16, 0
	v_mov_b32_e32 v18, 0
	ds_write2st64_b32 v0, v2, v3 offset0:35 offset1:67
	s_and_saveexec_b64 s[0:1], vcc
	s_cbranch_execz .LBB491_61
; %bb.60:
	v_add_u32_e32 v0, s26, v21
	v_ashrrev_i32_e32 v1, 31, v0
	v_mul_lo_u32 v2, v1, s30
	v_mul_lo_u32 v3, v0, s31
	v_mad_u64_u32 v[0:1], s[2:3], v0, s30, 0
	v_add3_u32 v1, v1, v3, v2
	v_lshl_add_u64 v[0:1], v[0:1], 2, s[10:11]
	global_load_dword v0, v[0:1], off
	s_waitcnt vmcnt(0)
	v_sub_f32_e32 v0, s12, v0
	v_mul_f32_e32 v0, 0x3fb8aa3b, v0
	v_exp_f32_e32 v18, v0
.LBB491_61:
	s_or_b64 exec, exec, s[0:1]
	v_or_b32_e32 v10, 1, v21
	v_cmp_gt_i32_e64 s[0:1], s27, v10
	s_and_saveexec_b64 s[2:3], s[0:1]
	s_cbranch_execz .LBB491_63
; %bb.62:
	v_add_u32_e32 v0, s26, v10
	v_ashrrev_i32_e32 v1, 31, v0
	v_mul_lo_u32 v2, v1, s30
	v_mul_lo_u32 v3, v0, s31
	v_mad_u64_u32 v[0:1], s[4:5], v0, s30, 0
	v_add3_u32 v1, v1, v3, v2
	v_lshl_add_u64 v[0:1], v[0:1], 2, s[10:11]
	global_load_dword v0, v[0:1], off
	s_waitcnt vmcnt(0)
	v_sub_f32_e32 v0, s12, v0
	v_mul_f32_e32 v0, 0x3fb8aa3b, v0
	v_exp_f32_e32 v16, v0
.LBB491_63:
	s_or_b64 exec, exec, s[2:3]
	v_or_b32_e32 v12, 2, v21
	v_cmp_gt_i32_e64 s[2:3], s27, v12
	v_mov_b32_e32 v17, 0
	v_mov_b32_e32 v20, 0
	s_and_saveexec_b64 s[4:5], s[2:3]
	s_cbranch_execz .LBB491_65
; %bb.64:
	v_add_u32_e32 v0, s26, v12
	v_ashrrev_i32_e32 v1, 31, v0
	v_mul_lo_u32 v2, v1, s30
	v_mul_lo_u32 v3, v0, s31
	v_mad_u64_u32 v[0:1], s[6:7], v0, s30, 0
	v_add3_u32 v1, v1, v3, v2
	v_lshl_add_u64 v[0:1], v[0:1], 2, s[10:11]
	global_load_dword v0, v[0:1], off
	s_waitcnt vmcnt(0)
	v_sub_f32_e32 v0, s12, v0
	v_mul_f32_e32 v0, 0x3fb8aa3b, v0
	v_exp_f32_e32 v20, v0
.LBB491_65:
	s_or_b64 exec, exec, s[4:5]
	v_or_b32_e32 v14, 3, v21
	v_cmp_gt_i32_e64 s[4:5], s27, v14
	s_and_saveexec_b64 s[6:7], s[4:5]
	s_cbranch_execz .LBB491_67
; %bb.66:
	v_add_u32_e32 v0, s26, v14
	v_ashrrev_i32_e32 v1, 31, v0
	v_mul_lo_u32 v2, v1, s30
	v_mul_lo_u32 v3, v0, s31
	v_mad_u64_u32 v[0:1], s[14:15], v0, s30, 0
	v_add3_u32 v1, v1, v3, v2
	v_lshl_add_u64 v[0:1], v[0:1], 2, s[10:11]
	global_load_dword v0, v[0:1], off
	s_waitcnt vmcnt(0)
	v_sub_f32_e32 v0, s12, v0
	v_mul_f32_e32 v0, 0x3fb8aa3b, v0
	v_exp_f32_e32 v17, v0
.LBB491_67:
	s_or_b64 exec, exec, s[6:7]
	s_add_u32 s6, s8, s20
	s_addc_u32 s7, s9, s21
	s_add_u32 s8, s28, s20
	v_ashrrev_i32_e32 v51, 31, v50
	v_accvgpr_read_b32 v0, a4
	s_addc_u32 s9, s29, s21
	v_lshlrev_b64 v[4:5], 1, v[50:51]
	v_accvgpr_read_b32 v1, a5
	v_accvgpr_read_b32 v2, a6
	;; [unrolled: 1-line block ×3, first 2 shown]
	v_lshl_add_u64 v[6:7], s[6:7], 0, v[4:5]
	v_lshl_add_u64 v[4:5], s[8:9], 0, v[4:5]
	v_mov_b32_e32 v11, 0
	v_lshlrev_b32_e32 v8, 8, v21
	v_mov_b32_e32 v9, 0
	s_and_saveexec_b64 s[6:7], vcc
	s_cbranch_execz .LBB491_69
; %bb.68:
	v_mov_b32_e32 v9, 0
	v_lshl_add_u64 v[24:25], v[6:7], 0, v[8:9]
	global_load_ushort v13, v[24:25], off
	v_lshl_add_u64 v[24:25], v[4:5], 0, v[8:9]
	s_waitcnt vmcnt(0)
	v_lshlrev_b32_e32 v9, 16, v13
	v_sub_f32_e32 v0, v9, v0
	global_store_short_d16_hi v[24:25], v0, off
	v_mul_f32_e32 v0, v18, v0
	v_lshrrev_b32_e32 v9, 16, v0
.LBB491_69:
	s_or_b64 exec, exec, s[6:7]
	v_lshlrev_b32_e32 v10, 8, v10
	s_and_saveexec_b64 s[6:7], s[0:1]
	s_cbranch_execz .LBB491_71
; %bb.70:
	v_mov_b32_e32 v11, 0
	v_lshl_add_u64 v[24:25], v[6:7], 0, v[10:11]
	global_load_ushort v0, v[24:25], off
	v_lshl_add_u64 v[24:25], v[4:5], 0, v[10:11]
	s_waitcnt vmcnt(0)
	v_lshlrev_b32_e32 v0, 16, v0
	v_sub_f32_e32 v0, v0, v1
	global_store_short_d16_hi v[24:25], v0, off
	v_mul_f32_e32 v0, v16, v0
	v_lshrrev_b32_e32 v11, 16, v0
.LBB491_71:
	s_or_b64 exec, exec, s[6:7]
	v_mov_b32_e32 v15, 0
	v_lshlrev_b32_e32 v12, 8, v12
	v_mov_b32_e32 v13, 0
	s_and_saveexec_b64 s[6:7], s[2:3]
	s_cbranch_execz .LBB491_73
; %bb.72:
	v_mov_b32_e32 v13, 0
	v_lshl_add_u64 v[0:1], v[6:7], 0, v[12:13]
	global_load_ushort v23, v[0:1], off
	v_lshl_add_u64 v[0:1], v[4:5], 0, v[12:13]
	s_waitcnt vmcnt(0)
	v_lshlrev_b32_e32 v13, 16, v23
	v_sub_f32_e32 v2, v13, v2
	global_store_short_d16_hi v[0:1], v2, off
	v_mul_f32_e32 v0, v20, v2
	v_lshrrev_b32_e32 v13, 16, v0
.LBB491_73:
	s_or_b64 exec, exec, s[6:7]
	v_lshlrev_b32_e32 v14, 8, v14
	s_and_saveexec_b64 s[6:7], s[4:5]
	s_cbranch_execz .LBB491_75
; %bb.74:
	v_mov_b32_e32 v15, 0
	v_lshl_add_u64 v[0:1], v[6:7], 0, v[14:15]
	global_load_ushort v2, v[0:1], off
	v_lshl_add_u64 v[0:1], v[4:5], 0, v[14:15]
	s_waitcnt vmcnt(0)
	v_lshlrev_b32_e32 v2, 16, v2
	v_sub_f32_e32 v2, v2, v3
	global_store_short_d16_hi v[0:1], v2, off
	v_mul_f32_e32 v0, v17, v2
	v_lshrrev_b32_e32 v15, 16, v0
.LBB491_75:
	s_or_b64 exec, exec, s[6:7]
	v_lshlrev_b32_e32 v21, 5, v21
	s_mov_b32 s6, 0x5040100
	v_perm_b32 v24, v11, v9, s6
	v_or_b32_e32 v9, v21, v22
	v_accvgpr_read_b32 v0, a0
	v_perm_b32 v25, v15, v13, s6
	v_lshlrev_b32_e32 v9, 1, v9
	v_accvgpr_read_b32 v1, a1
	v_accvgpr_read_b32 v2, a2
	;; [unrolled: 1-line block ×3, first 2 shown]
	ds_write_b64 v9, v[24:25] offset:45056
	v_mov_b32_e32 v11, 0
	v_mov_b32_e32 v9, 0
	s_and_saveexec_b64 s[6:7], vcc
	s_cbranch_execz .LBB491_77
; %bb.76:
	v_mov_b32_e32 v9, 0
	v_lshl_add_u64 v[22:23], v[6:7], 0, v[8:9]
	global_load_ushort v13, v[22:23], off offset:32
	v_lshl_add_u64 v[8:9], v[4:5], 0, v[8:9]
	s_waitcnt vmcnt(0)
	v_lshlrev_b32_e32 v13, 16, v13
	v_sub_f32_e32 v0, v13, v0
	global_store_short_d16_hi v[8:9], v0, off offset:32
	v_mul_f32_e32 v0, v18, v0
	v_lshrrev_b32_e32 v9, 16, v0
.LBB491_77:
	s_or_b64 exec, exec, s[6:7]
	s_and_saveexec_b64 s[6:7], s[0:1]
	s_cbranch_execz .LBB491_79
; %bb.78:
	v_mov_b32_e32 v11, 0
	v_lshl_add_u64 v[22:23], v[6:7], 0, v[10:11]
	global_load_ushort v0, v[22:23], off offset:32
	v_lshl_add_u64 v[10:11], v[4:5], 0, v[10:11]
	s_waitcnt vmcnt(0)
	v_lshlrev_b32_e32 v0, 16, v0
	v_sub_f32_e32 v0, v0, v1
	global_store_short_d16_hi v[10:11], v0, off offset:32
	v_mul_f32_e32 v0, v16, v0
	v_lshrrev_b32_e32 v11, 16, v0
.LBB491_79:
	s_or_b64 exec, exec, s[6:7]
	v_mov_b32_e32 v0, 0
	v_mov_b32_e32 v1, 0
	s_and_saveexec_b64 s[0:1], s[2:3]
	s_cbranch_execz .LBB491_81
; %bb.80:
	v_mov_b32_e32 v13, 0
	v_lshl_add_u64 v[22:23], v[6:7], 0, v[12:13]
	global_load_ushort v1, v[22:23], off offset:32
	v_lshl_add_u64 v[12:13], v[4:5], 0, v[12:13]
	s_waitcnt vmcnt(0)
	v_lshlrev_b32_e32 v1, 16, v1
	v_sub_f32_e32 v1, v1, v2
	global_store_short_d16_hi v[12:13], v1, off offset:32
	v_mul_f32_e32 v1, v20, v1
	v_lshrrev_b32_e32 v1, 16, v1
.LBB491_81:
	s_or_b64 exec, exec, s[0:1]
	s_and_saveexec_b64 s[0:1], s[4:5]
	s_cbranch_execz .LBB491_83
; %bb.82:
	v_mov_b32_e32 v15, 0
	v_lshl_add_u64 v[6:7], v[6:7], 0, v[14:15]
	global_load_ushort v0, v[6:7], off offset:32
	v_lshl_add_u64 v[4:5], v[4:5], 0, v[14:15]
	s_waitcnt vmcnt(0)
	v_lshlrev_b32_e32 v0, 16, v0
	v_sub_f32_e32 v0, v0, v3
	global_store_short_d16_hi v[4:5], v0, off offset:32
	v_mul_f32_e32 v0, v17, v0
	v_lshrrev_b32_e32 v0, 16, v0
.LBB491_83:
	s_or_b64 exec, exec, s[0:1]
	s_mov_b32 s0, 0x5040100
	v_or_b32_e32 v2, v21, v19
	v_perm_b32 v1, v0, v1, s0
	v_perm_b32 v0, v11, v9, s0
	v_lshlrev_b32_e32 v2, 1, v2
	ds_write_b64 v2, v[0:1] offset:45056
	s_waitcnt lgkmcnt(0)
	s_barrier
.LBB491_84:
	s_endpgm
	.section	.rodata,"a",@progbits
	.p2align	6, 0x0
	.amdhsa_kernel _ZN12_GLOBAL__N_139chunk_gated_delta_rule_fwd_h_hip_kernelILi32ELb1ELb0ELb1ELb0ELb0ELb0ELb1ELb0EEEvPK12hip_bfloat16S3_S3_PKfS5_PKvPS1_S8_PvPKiSB_iiiiilll
		.amdhsa_group_segment_fixed_size 49152
		.amdhsa_private_segment_fixed_size 0
		.amdhsa_kernarg_size 136
		.amdhsa_user_sgpr_count 2
		.amdhsa_user_sgpr_dispatch_ptr 0
		.amdhsa_user_sgpr_queue_ptr 0
		.amdhsa_user_sgpr_kernarg_segment_ptr 1
		.amdhsa_user_sgpr_dispatch_id 0
		.amdhsa_user_sgpr_kernarg_preload_length 0
		.amdhsa_user_sgpr_kernarg_preload_offset 0
		.amdhsa_user_sgpr_private_segment_size 0
		.amdhsa_uses_dynamic_stack 0
		.amdhsa_enable_private_segment 0
		.amdhsa_system_sgpr_workgroup_id_x 1
		.amdhsa_system_sgpr_workgroup_id_y 1
		.amdhsa_system_sgpr_workgroup_id_z 0
		.amdhsa_system_sgpr_workgroup_info 0
		.amdhsa_system_vgpr_workitem_id 0
		.amdhsa_next_free_vgpr 156
		.amdhsa_next_free_sgpr 70
		.amdhsa_accum_offset 136
		.amdhsa_reserve_vcc 1
		.amdhsa_float_round_mode_32 0
		.amdhsa_float_round_mode_16_64 0
		.amdhsa_float_denorm_mode_32 3
		.amdhsa_float_denorm_mode_16_64 3
		.amdhsa_dx10_clamp 1
		.amdhsa_ieee_mode 1
		.amdhsa_fp16_overflow 0
		.amdhsa_tg_split 0
		.amdhsa_exception_fp_ieee_invalid_op 0
		.amdhsa_exception_fp_denorm_src 0
		.amdhsa_exception_fp_ieee_div_zero 0
		.amdhsa_exception_fp_ieee_overflow 0
		.amdhsa_exception_fp_ieee_underflow 0
		.amdhsa_exception_fp_ieee_inexact 0
		.amdhsa_exception_int_div_zero 0
	.end_amdhsa_kernel
	.section	.text._ZN12_GLOBAL__N_139chunk_gated_delta_rule_fwd_h_hip_kernelILi32ELb1ELb0ELb1ELb0ELb0ELb0ELb1ELb0EEEvPK12hip_bfloat16S3_S3_PKfS5_PKvPS1_S8_PvPKiSB_iiiiilll,"axG",@progbits,_ZN12_GLOBAL__N_139chunk_gated_delta_rule_fwd_h_hip_kernelILi32ELb1ELb0ELb1ELb0ELb0ELb0ELb1ELb0EEEvPK12hip_bfloat16S3_S3_PKfS5_PKvPS1_S8_PvPKiSB_iiiiilll,comdat
.Lfunc_end491:
	.size	_ZN12_GLOBAL__N_139chunk_gated_delta_rule_fwd_h_hip_kernelILi32ELb1ELb0ELb1ELb0ELb0ELb0ELb1ELb0EEEvPK12hip_bfloat16S3_S3_PKfS5_PKvPS1_S8_PvPKiSB_iiiiilll, .Lfunc_end491-_ZN12_GLOBAL__N_139chunk_gated_delta_rule_fwd_h_hip_kernelILi32ELb1ELb0ELb1ELb0ELb0ELb0ELb1ELb0EEEvPK12hip_bfloat16S3_S3_PKfS5_PKvPS1_S8_PvPKiSB_iiiiilll
                                        ; -- End function
	.section	.AMDGPU.csdata,"",@progbits
; Kernel info:
; codeLenInByte = 8704
; NumSgprs: 76
; NumVgprs: 134
; NumAgprs: 20
; TotalNumVgprs: 156
; ScratchSize: 0
; MemoryBound: 0
; FloatMode: 240
; IeeeMode: 1
; LDSByteSize: 49152 bytes/workgroup (compile time only)
; SGPRBlocks: 9
; VGPRBlocks: 19
; NumSGPRsForWavesPerEU: 76
; NumVGPRsForWavesPerEU: 156
; AccumOffset: 136
; Occupancy: 1
; WaveLimiterHint : 1
; COMPUTE_PGM_RSRC2:SCRATCH_EN: 0
; COMPUTE_PGM_RSRC2:USER_SGPR: 2
; COMPUTE_PGM_RSRC2:TRAP_HANDLER: 0
; COMPUTE_PGM_RSRC2:TGID_X_EN: 1
; COMPUTE_PGM_RSRC2:TGID_Y_EN: 1
; COMPUTE_PGM_RSRC2:TGID_Z_EN: 0
; COMPUTE_PGM_RSRC2:TIDIG_COMP_CNT: 0
; COMPUTE_PGM_RSRC3_GFX90A:ACCUM_OFFSET: 33
; COMPUTE_PGM_RSRC3_GFX90A:TG_SPLIT: 0
	.section	.text._ZN12_GLOBAL__N_139chunk_gated_delta_rule_fwd_h_hip_kernelILi32ELb1ELb0ELb0ELb0ELb0ELb0ELb1ELb0EEEvPK12hip_bfloat16S3_S3_PKfS5_PKvPS1_S8_PvPKiSB_iiiiilll,"axG",@progbits,_ZN12_GLOBAL__N_139chunk_gated_delta_rule_fwd_h_hip_kernelILi32ELb1ELb0ELb0ELb0ELb0ELb0ELb1ELb0EEEvPK12hip_bfloat16S3_S3_PKfS5_PKvPS1_S8_PvPKiSB_iiiiilll,comdat
	.globl	_ZN12_GLOBAL__N_139chunk_gated_delta_rule_fwd_h_hip_kernelILi32ELb1ELb0ELb0ELb0ELb0ELb0ELb1ELb0EEEvPK12hip_bfloat16S3_S3_PKfS5_PKvPS1_S8_PvPKiSB_iiiiilll ; -- Begin function _ZN12_GLOBAL__N_139chunk_gated_delta_rule_fwd_h_hip_kernelILi32ELb1ELb0ELb0ELb0ELb0ELb0ELb1ELb0EEEvPK12hip_bfloat16S3_S3_PKfS5_PKvPS1_S8_PvPKiSB_iiiiilll
	.p2align	8
	.type	_ZN12_GLOBAL__N_139chunk_gated_delta_rule_fwd_h_hip_kernelILi32ELb1ELb0ELb0ELb0ELb0ELb0ELb1ELb0EEEvPK12hip_bfloat16S3_S3_PKfS5_PKvPS1_S8_PvPKiSB_iiiiilll,@function
_ZN12_GLOBAL__N_139chunk_gated_delta_rule_fwd_h_hip_kernelILi32ELb1ELb0ELb0ELb0ELb0ELb0ELb1ELb0EEEvPK12hip_bfloat16S3_S3_PKfS5_PKvPS1_S8_PvPKiSB_iiiiilll: ; @_ZN12_GLOBAL__N_139chunk_gated_delta_rule_fwd_h_hip_kernelILi32ELb1ELb0ELb0ELb0ELb0ELb0ELb1ELb0EEEvPK12hip_bfloat16S3_S3_PKfS5_PKvPS1_S8_PvPKiSB_iiiiilll
; %bb.0:
	s_load_dwordx4 s[12:15], s[0:1], 0x5c
	s_load_dwordx4 s[16:19], s[0:1], 0x28
	s_abs_i32 s6, s3
	s_ashr_i32 s5, s3, 31
	v_and_b32_e32 v61, 15, v0
	s_waitcnt lgkmcnt(0)
	s_abs_i32 s4, s13
	v_cvt_f32_u32_e32 v1, s4
	s_sub_i32 s8, 0, s4
	s_ashr_i32 s7, s13, 31
	s_xor_b32 s5, s5, s7
	v_rcp_iflag_f32_e32 v1, v1
	v_lshrrev_b32_e32 v59, 6, v0
	v_bfe_u32 v60, v0, 4, 2
	v_mov_b32_e32 v7, 0
	v_mul_f32_e32 v1, 0x4f7ffffe, v1
	v_cvt_u32_f32_e32 v1, v1
	v_and_b32_e32 v58, 63, v0
	v_lshrrev_b32_e32 v63, 3, v58
	v_lshlrev_b32_e32 v62, 3, v0
	v_readfirstlane_b32 s9, v1
	s_mul_i32 s8, s8, s9
	s_mul_hi_u32 s8, s9, s8
	s_add_i32 s9, s9, s8
	s_mul_hi_u32 s8, s6, s9
	s_mul_i32 s9, s8, s4
	s_sub_i32 s6, s6, s9
	s_add_i32 s10, s8, 1
	s_sub_i32 s9, s6, s4
	s_cmp_ge_u32 s6, s4
	s_cselect_b32 s8, s10, s8
	s_cselect_b32 s6, s9, s6
	s_add_i32 s9, s8, 1
	s_cmp_ge_u32 s6, s4
	s_cselect_b32 s6, s9, s8
	s_xor_b32 s6, s6, s5
	s_sub_i32 s48, s6, s5
	s_mul_i32 s6, s48, s13
	s_sub_i32 s46, s3, s6
	s_abs_i32 s3, s14
	v_cvt_f32_u32_e32 v1, s3
	s_add_i32 s8, s12, 63
	s_ashr_i32 s9, s8, 31
	s_lshr_b32 s5, s9, 26
	v_rcp_iflag_f32_e32 v1, v1
	s_ashr_i32 s47, s12, 31
	s_add_i32 s8, s8, s5
	s_lshr_b32 s5, s47, 26
	v_mul_f32_e32 v1, 0x4f7ffffe, v1
	v_cvt_u32_f32_e32 v1, v1
	s_add_i32 s5, s12, s5
	s_ashr_i32 s51, s14, 31
	s_ashr_i32 s24, s8, 6
	;; [unrolled: 1-line block ×3, first 2 shown]
	s_xor_b32 s5, s7, s51
	s_sub_i32 s7, 0, s3
	v_readfirstlane_b32 s8, v1
	s_mul_i32 s7, s7, s8
	s_mul_hi_u32 s7, s8, s7
	s_add_i32 s8, s8, s7
	s_mul_hi_u32 s7, s4, s8
	s_mul_i32 s8, s7, s3
	s_sub_i32 s4, s4, s8
	s_lshl_b32 s2, s2, 5
	s_add_i32 s8, s7, 1
	s_sub_i32 s9, s4, s3
	s_cmp_ge_u32 s4, s3
	s_cselect_b32 s7, s8, s7
	s_cselect_b32 s4, s9, s4
	s_add_i32 s8, s7, 1
	s_cmp_ge_u32 s4, s3
	s_cselect_b32 s3, s8, s7
	s_xor_b32 s3, s3, s5
	s_sub_i32 s3, s3, s5
	s_abs_i32 s4, s3
	v_cvt_f32_u32_e32 v1, s4
	s_sub_i32 s7, 0, s4
	s_abs_i32 s5, s46
	s_xor_b32 s3, s46, s3
	v_rcp_iflag_f32_e32 v1, v1
	s_ashr_i32 s3, s3, 31
	v_or_b32_e32 v50, s2, v61
	v_lshlrev_b32_e32 v2, 7, v50
	v_mul_f32_e32 v1, 0x4f7ffffe, v1
	v_cvt_u32_f32_e32 v1, v1
	v_ashrrev_i32_e32 v3, 31, v2
	s_mul_i32 s53, s48, s24
	v_readfirstlane_b32 s8, v1
	s_mul_i32 s7, s7, s8
	s_mul_hi_u32 s7, s8, s7
	s_add_i32 s8, s8, s7
	s_mul_hi_u32 s7, s5, s8
	s_mul_i32 s8, s7, s4
	s_sub_i32 s5, s5, s8
	s_add_i32 s8, s7, 1
	s_sub_i32 s9, s5, s4
	s_cmp_ge_u32 s5, s4
	s_cselect_b32 s7, s8, s7
	s_cselect_b32 s5, s9, s5
	s_add_i32 s8, s7, 1
	s_cmp_ge_u32 s5, s4
	s_cselect_b32 s4, s8, s7
	s_xor_b32 s4, s4, s3
	s_sub_i32 s52, s4, s3
	s_ashr_i32 s3, s48, 31
	s_ashr_i32 s50, s46, 31
	s_mul_hi_i32 s4, s48, s13
	s_add_u32 s36, s6, s46
	s_addc_u32 s37, s4, s50
	s_lshl_b64 s[4:5], s[36:37], 16
	s_add_u32 s4, s16, s4
	s_addc_u32 s5, s17, s5
	v_lshlrev_b32_e32 v1, 4, v59
	v_lshl_add_u64 v[4:5], v[2:3], 2, s[4:5]
	v_or_b32_e32 v2, 0x800, v2
	v_lshl_or_b32 v64, v60, 2, v1
	v_ashrrev_i32_e32 v3, 31, v2
	v_lshlrev_b32_e32 v6, 2, v64
	v_lshl_add_u64 v[2:3], v[2:3], 2, s[4:5]
	v_lshl_add_u64 v[4:5], v[4:5], 0, v[6:7]
	;; [unrolled: 1-line block ×3, first 2 shown]
	global_load_dwordx4 v[14:17], v[4:5], off
	global_load_dwordx4 v[10:13], v[4:5], off offset:256
	global_load_dwordx4 v[6:9], v[18:19], off
	s_nop 0
	global_load_dwordx4 v[2:5], v[18:19], off offset:256
	s_load_dwordx8 s[4:11], s[0:1], 0x0
	s_load_dwordx2 s[28:29], s[0:1], 0x80
	s_load_dwordx4 s[20:23], s[0:1], 0x70
	v_or_b32_e32 v65, 64, v64
	s_cmp_lt_i32 s12, 64
	s_mul_i32 s54, s37, s12
	s_mul_hi_u32 s55, s36, s12
	s_mul_i32 s16, s36, s12
	s_waitcnt lgkmcnt(0)
	s_mul_i32 s33, s48, s21
	s_mul_hi_u32 s42, s48, s20
	s_mul_i32 s43, s3, s20
	s_mul_i32 s30, s48, s20
	;; [unrolled: 1-line block ×3, first 2 shown]
	s_mul_hi_u32 s44, s46, s22
	s_mul_i32 s45, s50, s22
	s_mul_i32 s34, s46, s22
	s_cbranch_scc1 .LBB492_3
; %bb.1:
	s_add_i32 s17, s55, s54
	s_lshl_b64 s[0:1], s[16:17], 8
	v_and_b32_e32 v67, 56, v62
	s_add_u32 s20, s6, s0
	v_lshl_or_b32 v66, v59, 3, v63
	v_lshlrev_b32_e32 v18, 1, v67
	s_addc_u32 s0, s7, s1
	v_lshl_or_b32 v68, v66, 8, v18
	s_and_b32 s21, s0, 0xffff
	s_mov_b32 s23, 0x20000
	s_movk_i32 s22, 0x4000
	s_movk_i32 s0, 0x80
	v_or_b32_e32 v69, 0x2000, v68
	buffer_load_dwordx4 v[20:23], v68, s[20:23], 0 offen
	buffer_load_dwordx4 v[24:27], v68, s[20:23], s0 offen
	;; [unrolled: 1-line block ×4, first 2 shown]
	v_lshlrev_b32_e32 v19, 3, v66
	v_and_or_b32 v37, v0, 7, v19
	v_and_b32_e32 v19, 0x78, v19
	v_lshlrev_b32_e32 v37, 4, v37
	v_xor_b32_e32 v70, v37, v19
	v_mul_lo_u32 v36, v66, s15
	v_or_b32_e32 v71, 0x1000, v70
	v_xor_b32_e32 v19, 8, v70
	s_cmpk_eq_i32 s15, 0x80
	s_mov_b32 s56, s14
	v_xor_b32_e32 v37, 8, v71
	s_cselect_b64 s[0:1], -1, 0
	s_cmpk_lg_i32 s15, 0x80
	s_waitcnt vmcnt(3)
	ds_write_b64 v70, v[20:21] offset:24576
	ds_write_b64 v19, v[22:23] offset:24576
	s_waitcnt vmcnt(2)
	ds_write_b64 v70, v[24:25] offset:32768
	ds_write_b64 v19, v[26:27] offset:32768
	s_waitcnt vmcnt(1)
	ds_write_b64 v70, v[28:29] offset:28672
	ds_write_b64 v37, v[30:31] offset:24576
	s_waitcnt vmcnt(0)
	ds_write_b64 v70, v[32:33] offset:36864
	ds_write_b64 v37, v[34:35] offset:32768
	v_lshl_add_u32 v19, v36, 1, v67
	s_cbranch_scc0 .LBB492_29
; %bb.2:
	v_lshlrev_b32_e32 v21, 1, v19
	v_add_lshl_u32 v20, v19, s15, 1
	s_lshl_b32 s22, s15, 7
	v_lshl_or_b32 v18, v66, 9, v18
	s_cbranch_execz .LBB492_30
	s_branch .LBB492_31
.LBB492_3:
	s_waitcnt vmcnt(0)
	v_mov_b32_e32 v19, v5
	v_mov_b32_e32 v18, v9
	;; [unrolled: 1-line block ×4, first 2 shown]
.LBB492_4:
	s_lshl_b32 s26, s49, 6
	s_sub_i32 s27, s12, s26
	s_cmp_gt_i32 s27, 0
	s_cbranch_scc0 .LBB492_84
; %bb.5:
	s_ashr_i32 s3, s26, 31
	s_cmpk_lg_i32 s15, 0x80
	s_cselect_b64 s[22:23], -1, 0
	s_and_b64 vcc, exec, s[22:23]
	s_cbranch_vccz .LBB492_7
; %bb.6:
	s_mul_i32 s1, s48, s12
	s_mul_hi_i32 s0, s48, s12
	s_add_u32 s1, s1, s26
	s_addc_u32 s0, s0, s3
	s_mul_i32 s17, s1, s51
	s_mul_hi_u32 s20, s1, s14
	s_add_i32 s17, s20, s17
	s_mul_i32 s0, s0, s14
	s_add_i32 s17, s17, s0
	s_mul_i32 s1, s1, s14
	s_ashr_i32 s0, s52, 31
	s_add_u32 s24, s1, s52
	s_addc_u32 s25, s17, s0
	s_cbranch_execz .LBB492_8
	s_branch .LBB492_9
.LBB492_7:
                                        ; implicit-def: $sgpr24_sgpr25
.LBB492_8:
	s_mul_hi_i32 s0, s48, s14
	s_mul_i32 s48, s48, s14
	s_ashr_i32 s1, s52, 31
	s_add_u32 s14, s48, s52
	s_addc_u32 s0, s0, s1
	s_mul_i32 s1, s14, s47
	s_mul_hi_u32 s17, s14, s12
	s_add_i32 s1, s17, s1
	s_mul_i32 s0, s0, s12
	s_add_i32 s1, s1, s0
	s_mul_i32 s14, s14, s12
	s_add_u32 s24, s14, s26
	s_addc_u32 s25, s1, s3
.LBB492_9:
	s_mul_i32 s0, s36, s47
	s_add_i32 s0, s55, s0
	s_add_i32 s14, s53, s49
	;; [unrolled: 1-line block ×3, first 2 shown]
	s_add_u32 s0, s16, s26
	s_addc_u32 s1, s1, s3
	v_lshlrev_b32_e32 v21, 5, v64
	v_lshlrev_b32_e32 v22, 2, v61
	s_mov_b32 s3, 0x7060302
	v_xor_b32_e32 v5, v64, v22
	v_xor_b32_e32 v23, v65, v22
	v_perm_b32 v13, v9, v12, s3
	v_or_b32_e32 v9, v21, v22
	s_lshl_b64 s[20:21], s[0:1], 8
	v_perm_b32 v17, v20, v16, s3
	v_perm_b32 v16, v15, v14, s3
	;; [unrolled: 1-line block ×3, first 2 shown]
	v_lshlrev_b32_e32 v9, 1, v9
	v_lshlrev_b32_e32 v10, 1, v5
	;; [unrolled: 1-line block ×4, first 2 shown]
	s_add_u32 s0, s6, s20
	ds_write2st64_b64 v9, v[16:17], v[12:13] offset0:80 offset1:88
	v_or_b32_e32 v9, v10, v5
	v_or_b32_e32 v5, v11, v5
	s_addc_u32 s1, s7, s21
	ds_write_b64 v9, v[16:17]
	ds_write_b64 v5, v[12:13]
	v_perm_b32 v9, v18, v8, s3
	v_perm_b32 v8, v7, v6, s3
	;; [unrolled: 1-line block ×4, first 2 shown]
	s_mul_hi_i32 s3, s14, s13
	s_mul_i32 s14, s14, s13
	s_add_u32 s6, s14, s46
	v_or_b32_e32 v2, 16, v61
	s_addc_u32 s7, s3, s50
	v_lshlrev_b32_e32 v19, 2, v2
	s_ashr_i32 s3, s2, 31
	s_lshl_b64 s[6:7], s[6:7], 15
	v_or_b32_e32 v3, v21, v19
	s_add_u32 s6, s18, s6
	v_lshlrev_b32_e32 v3, 1, v3
	v_lshlrev_b32_e32 v2, 8, v2
	s_addc_u32 s7, s19, s7
	s_lshl_b64 s[2:3], s[2:3], 8
	ds_write2st64_b64 v3, v[8:9], v[4:5] offset0:80 offset1:88
	v_or_b32_e32 v3, v10, v2
	v_or_b32_e32 v2, v11, v2
	s_add_u32 s2, s6, s2
	ds_write_b64 v3, v[8:9]
	ds_write_b64 v2, v[4:5]
	v_lshrrev_b32_e32 v2, 4, v0
	s_addc_u32 s3, s7, s3
	v_lshlrev_b32_e32 v3, 1, v61
	v_lshlrev_b32_e32 v10, 4, v61
	v_mov_b32_e32 v11, 0
	v_or_b32_e32 v4, 1, v3
	v_xor_b32_e32 v3, v2, v3
	v_lshl_add_u64 v[12:13], s[2:3], 0, v[10:11]
	v_lshlrev_b32_e32 v10, 8, v2
	v_xor_b32_e32 v6, v4, v2
	v_lshl_or_b32 v2, v3, 3, v10
	s_waitcnt lgkmcnt(0)
	s_barrier
	ds_read2st64_b64 v[2:5], v2 offset1:8
	v_lshl_or_b32 v6, v6, 3, v10
	ds_read2st64_b64 v[6:9], v6 offset1:8
	v_lshl_add_u64 v[14:15], v[12:13], 0, v[10:11]
	s_movk_i32 s2, 0x1000
	s_waitcnt lgkmcnt(1)
	v_mov_b32_e32 v10, v2
	v_add_co_u32_e32 v2, vcc, s2, v14
	s_cmp_lg_u32 s27, 64
	v_mov_b32_e32 v11, v3
	v_addc_co_u32_e32 v3, vcc, 0, v15, vcc
	s_cselect_b64 s[6:7], -1, 0
	v_lshl_or_b32 v23, v59, 3, v63
	s_waitcnt lgkmcnt(0)
	v_mov_b32_e32 v12, v6
	v_mov_b32_e32 v13, v7
	v_mov_b32_e32 v6, v4
	v_mov_b32_e32 v7, v5
	s_mov_b32 s16, 0
	v_or_b32_e32 v20, 32, v23
	v_and_b32_e32 v18, 56, v62
	s_and_b64 vcc, exec, s[6:7]
	global_store_dwordx4 v[14:15], v[10:13], off
	global_store_dwordx4 v[2:3], v[6:9], off
	s_cbranch_vccz .LBB492_15
; %bb.10:
	s_mov_b32 s17, s16
	s_mov_b32 s18, s16
	;; [unrolled: 1-line block ×3, first 2 shown]
	v_mov_b64_e32 v[6:7], s[16:17]
	v_mov_b64_e32 v[8:9], s[18:19]
	;; [unrolled: 1-line block ×3, first 2 shown]
	v_cmp_gt_i32_e32 vcc, s27, v23
	v_mov_b64_e32 v[4:5], v[8:9]
	s_and_saveexec_b64 s[2:3], vcc
	s_cbranch_execz .LBB492_12
; %bb.11:
	v_lshlrev_b32_e32 v2, 8, v23
	v_mov_b32_e32 v3, 0
	v_lshl_add_u64 v[4:5], s[0:1], 0, v[2:3]
	v_lshlrev_b32_e32 v2, 1, v18
	v_lshl_add_u64 v[10:11], v[4:5], 0, v[2:3]
	global_load_dwordx4 v[6:9], v[10:11], off
	global_load_dwordx4 v[2:5], v[10:11], off offset:128
.LBB492_12:
	s_or_b64 exec, exec, s[2:3]
	s_mov_b32 s17, s16
	s_mov_b32 s18, s16
	;; [unrolled: 1-line block ×3, first 2 shown]
	v_mov_b64_e32 v[14:15], s[16:17]
	v_mov_b64_e32 v[16:17], s[18:19]
	;; [unrolled: 1-line block ×3, first 2 shown]
	v_cmp_gt_i32_e32 vcc, s27, v20
	v_lshlrev_b32_e32 v21, 7, v20
	v_mov_b64_e32 v[12:13], v[16:17]
	s_and_saveexec_b64 s[2:3], vcc
	s_cbranch_execz .LBB492_14
; %bb.13:
	v_lshlrev_b32_e32 v10, 1, v21
	v_mov_b32_e32 v11, 0
	v_lshl_add_u64 v[12:13], s[0:1], 0, v[10:11]
	v_lshlrev_b32_e32 v10, 1, v18
	v_lshl_add_u64 v[24:25], v[12:13], 0, v[10:11]
	global_load_dwordx4 v[14:17], v[24:25], off
	global_load_dwordx4 v[10:13], v[24:25], off offset:128
.LBB492_14:
	s_or_b64 exec, exec, s[2:3]
	v_lshrrev_b32_e32 v24, 3, v18
	v_lshlrev_b32_e32 v25, 3, v23
	v_or_b32_e32 v24, v25, v24
	v_lshlrev_b32_e32 v24, 4, v24
	v_and_b32_e32 v25, 0x78, v25
	v_xor_b32_e32 v24, v24, v25
	s_branch .LBB492_17
.LBB492_15:
                                        ; implicit-def: $vgpr24
                                        ; implicit-def: $vgpr21
                                        ; implicit-def: $vgpr6_vgpr7_vgpr8_vgpr9
                                        ; implicit-def: $vgpr2_vgpr3_vgpr4_vgpr5
                                        ; implicit-def: $vgpr14_vgpr15_vgpr16_vgpr17
                                        ; implicit-def: $vgpr10_vgpr11_vgpr12_vgpr13
	s_cbranch_execz .LBB492_17
; %bb.16:
	s_waitcnt vmcnt(0)
	v_lshlrev_b32_e32 v2, 1, v18
	v_lshl_or_b32 v21, v23, 8, v2
	s_and_b32 s1, s1, 0xffff
	s_mov_b32 s3, 0x20000
	s_movk_i32 s2, 0x4000
	v_lshl_or_b32 v24, v20, 8, v2
	s_movk_i32 s13, 0x80
	buffer_load_dwordx4 v[6:9], v21, s[0:3], 0 offen
	buffer_load_dwordx4 v[2:5], v21, s[0:3], s13 offen
	;; [unrolled: 1-line block ×4, first 2 shown]
	v_lshrrev_b32_e32 v21, 3, v18
	v_lshlrev_b32_e32 v24, 3, v23
	v_or_b32_e32 v21, v24, v21
	v_lshlrev_b32_e32 v21, 4, v21
	v_and_b32_e32 v24, 0x78, v24
	v_xor_b32_e32 v24, v21, v24
	v_lshlrev_b32_e32 v21, 7, v20
.LBB492_17:
	s_lshl_b64 s[0:1], s[24:25], 8
	s_add_u32 s4, s4, s0
	s_movk_i32 s0, 0x1000
	v_and_or_b32 v20, v21, s0, v24
	s_waitcnt vmcnt(1)
	ds_write_b64 v24, v[6:7] offset:24576
	v_xor_b32_e32 v6, 8, v24
	ds_write_b64 v6, v[8:9] offset:24576
	s_waitcnt vmcnt(0)
	ds_write_b64 v24, v[2:3] offset:32768
	ds_write_b64 v6, v[4:5] offset:32768
	;; [unrolled: 1-line block ×3, first 2 shown]
	v_xor_b32_e32 v2, 8, v20
	ds_write_b64 v2, v[16:17] offset:24576
	ds_write_b64 v20, v[10:11] offset:32768
	;; [unrolled: 1-line block ×3, first 2 shown]
	v_or_b32_e32 v2, v1, v61
	v_lshlrev_b32_e32 v3, 11, v59
	v_lshlrev_b32_e32 v2, 3, v2
	v_and_b32_e32 v6, 0x1000, v3
	v_lshrrev_b32_e32 v3, 5, v58
	s_movk_i32 s3, 0xf8
	v_and_or_b32 v3, v2, s3, v3
	v_lshlrev_b32_e32 v7, 4, v3
	v_and_b32_e32 v8, 0x78, v2
	v_or_b32_e32 v10, 32, v7
	v_lshrrev_b32_e32 v3, 1, v58
	v_xor_b32_e32 v10, v10, v8
	v_xor_b32_e32 v2, v7, v8
	v_and_b32_e32 v9, 8, v3
	v_or_b32_e32 v10, v10, v6
	v_or_b32_e32 v2, v2, v6
	v_xor_b32_e32 v26, v10, v9
	v_or_b32_e32 v10, 64, v7
	v_xor_b32_e32 v25, v2, v9
	v_xor_b32_e32 v10, v10, v8
	s_waitcnt lgkmcnt(0)
	s_barrier
	v_or_b32_e32 v12, v10, v6
	ds_read_b64 v[10:11], v25 offset:24576
	v_lshl_or_b32 v20, v60, 7, v22
	v_lshlrev_b32_e32 v24, 1, v20
	v_add_u32_e32 v2, 0xa000, v24
	ds_read2_b64 v[2:5], v2 offset1:16
	v_or_b32_e32 v7, 0x60, v7
	v_xor_b32_e32 v7, v7, v8
	s_waitcnt lgkmcnt(0)
	v_mfma_f32_16x16x16_bf16 a[0:3], v[10:11], v[2:3], 0
	v_or_b32_e32 v2, 64, v20
	v_or_b32_e32 v6, v7, v6
	v_lshlrev_b32_e32 v29, 1, v2
	v_xor_b32_e32 v27, v12, v9
	v_xor_b32_e32 v28, v6, v9
	ds_read_b64 v[12:13], v26 offset:24576
	ds_read_b64 v[14:15], v27 offset:24576
	;; [unrolled: 1-line block ×3, first 2 shown]
	v_mfma_f32_16x16x16_bf16 a[4:7], v[10:11], v[4:5], 0
	ds_read2st64_b64 v[2:5], v29 offset0:82 offset1:84
	ds_read2st64_b64 v[6:9], v24 offset0:82 offset1:84
	s_addc_u32 s5, s5, s1
	s_add_i32 s1, s42, s33
	s_add_i32 s0, s12, -1
	s_add_i32 s31, s1, s43
	s_add_i32 s1, s44, s37
	;; [unrolled: 1-line block ×3, first 2 shown]
	s_ashr_i32 s1, s0, 31
	s_mul_i32 s2, s0, s29
	s_mul_hi_u32 s3, s0, s28
	s_add_i32 s2, s3, s2
	s_mul_i32 s1, s1, s28
	s_waitcnt lgkmcnt(1)
	v_mfma_f32_16x16x16_bf16 a[4:7], v[12:13], v[2:3], a[4:7]
	s_add_i32 s1, s2, s1
	s_lshl_b64 s[2:3], s[30:31], 2
	s_add_u32 s10, s10, s2
	s_waitcnt lgkmcnt(0)
	v_mfma_f32_16x16x16_bf16 a[0:3], v[12:13], v[6:7], a[0:3]
	s_addc_u32 s11, s11, s3
	s_lshl_b64 s[2:3], s[34:35], 2
	s_mul_i32 s0, s0, s28
	s_add_u32 s10, s10, s2
	ds_read_b64 v[2:3], v24 offset:44032
	v_mfma_f32_16x16x16_bf16 a[4:7], v[14:15], v[4:5], a[4:7]
	ds_read_b64 v[4:5], v29 offset:44032
	s_addc_u32 s11, s11, s3
	s_lshl_b64 s[0:1], s[0:1], 2
	v_mfma_f32_16x16x16_bf16 a[0:3], v[14:15], v[8:9], a[0:3]
	s_add_u32 s0, s10, s0
	s_addc_u32 s1, s11, s1
	s_load_dword s12, s[0:1], 0x0
	s_waitcnt lgkmcnt(0)
	v_mfma_f32_16x16x16_bf16 a[0:3], v[16:17], v[2:3], a[0:3]
	s_and_b64 vcc, exec, s[22:23]
	v_mfma_f32_16x16x16_bf16 a[4:7], v[16:17], v[4:5], a[4:7]
	s_cbranch_vccz .LBB492_28
; %bb.18:
	v_lshlrev_b32_e32 v20, 1, v23
	s_and_b64 vcc, exec, s[6:7]
	s_cbranch_vccz .LBB492_44
; %bb.19:
	v_cmp_gt_i32_e32 vcc, s27, v20
	v_mov_b32_e32 v6, 0
	v_mov_b32_e32 v2, 0
	;; [unrolled: 1-line block ×5, first 2 shown]
	s_and_saveexec_b64 s[0:1], vcc
	s_cbranch_execz .LBB492_21
; %bb.20:
	v_mad_i64_i32 v[2:3], s[2:3], s15, v20, 0
	v_lshl_add_u64 v[2:3], v[2:3], 1, s[4:5]
	v_lshlrev_b32_e32 v4, 1, v18
	v_mov_b32_e32 v5, 0
	v_lshl_add_u64 v[2:3], v[2:3], 0, v[4:5]
	global_load_dwordx4 v[2:5], v[2:3], off
.LBB492_21:
	s_or_b64 exec, exec, s[0:1]
	v_or_b32_e32 v21, 1, v20
	v_cmp_gt_i32_e64 s[0:1], s27, v21
	v_mov_b32_e32 v7, 0
	v_mov_b32_e32 v8, 0
	;; [unrolled: 1-line block ×3, first 2 shown]
	s_and_saveexec_b64 s[2:3], s[0:1]
	s_cbranch_execz .LBB492_23
; %bb.22:
	v_mad_i64_i32 v[6:7], s[16:17], s15, v21, 0
	v_lshl_add_u64 v[6:7], v[6:7], 1, s[4:5]
	v_lshlrev_b32_e32 v8, 1, v18
	v_mov_b32_e32 v9, 0
	v_lshl_add_u64 v[6:7], v[6:7], 0, v[8:9]
	global_load_dwordx4 v[6:9], v[6:7], off
.LBB492_23:
	s_or_b64 exec, exec, s[2:3]
	v_mov_b32_e32 v17, 0
	v_mov_b32_e32 v10, 0
	v_mov_b32_e32 v11, 0
	v_mov_b32_e32 v12, 0
	v_mov_b32_e32 v13, 0
	s_and_saveexec_b64 s[2:3], vcc
	s_cbranch_execz .LBB492_25
; %bb.24:
	v_mad_i64_i32 v[10:11], s[16:17], s15, v20, 0
	v_lshl_add_u64 v[10:11], v[10:11], 1, s[4:5]
	v_lshlrev_b32_e32 v12, 1, v18
	v_mov_b32_e32 v13, 0
	v_lshl_add_u64 v[10:11], v[10:11], 0, v[12:13]
	global_load_dwordx4 v[10:13], v[10:11], off offset:128
.LBB492_25:
	s_or_b64 exec, exec, s[2:3]
	v_mov_b32_e32 v16, 0
	v_mov_b32_e32 v15, 0
	;; [unrolled: 1-line block ×3, first 2 shown]
	s_and_saveexec_b64 s[2:3], s[0:1]
	s_cbranch_execz .LBB492_27
; %bb.26:
	v_mad_i64_i32 v[14:15], s[0:1], s15, v21, 0
	v_lshl_add_u64 v[14:15], v[14:15], 1, s[4:5]
	v_lshlrev_b32_e32 v16, 1, v18
	v_mov_b32_e32 v17, 0
	v_lshl_add_u64 v[14:15], v[14:15], 0, v[16:17]
	global_load_dwordx4 v[14:17], v[14:15], off offset:128
.LBB492_27:
	s_or_b64 exec, exec, s[2:3]
	s_branch .LBB492_46
.LBB492_28:
                                        ; implicit-def: $vgpr5
                                        ; implicit-def: $vgpr9
                                        ; implicit-def: $vgpr13
                                        ; implicit-def: $vgpr17
	v_lshrrev_b32_e32 v30, 2, v58
	s_branch .LBB492_47
.LBB492_29:
                                        ; implicit-def: $vgpr20
                                        ; implicit-def: $vgpr21
                                        ; implicit-def: $sgpr22
	v_lshl_or_b32 v18, v66, 9, v18
.LBB492_30:
	v_or_b32_e32 v20, 0x100, v18
	s_movk_i32 s22, 0x4000
	v_mov_b32_e32 v21, v18
.LBB492_31:
	s_mul_hi_u32 s20, s14, s12
	s_mul_i32 s21, s51, s12
	s_add_i32 s20, s20, s21
	s_mul_i32 s21, s14, s12
	s_mul_i32 s23, s21, s3
	s_mul_hi_u32 s24, s21, s48
	s_add_i32 s23, s24, s23
	s_mul_i32 s20, s20, s48
	s_add_i32 s23, s23, s20
	s_mul_i32 s21, s21, s48
	s_ashr_i32 s57, s52, 31
	s_add_u32 s20, s21, s52
	s_addc_u32 s21, s23, s57
	s_lshl_b64 s[20:21], s[20:21], 8
	s_add_u32 s20, s4, s20
	s_addc_u32 s21, s5, s21
	s_and_b32 s21, s21, 0xffff
	s_mov_b32 s23, 0x20000
	s_movk_i32 s58, 0x80
	buffer_load_dwordx4 v[22:25], v21, s[20:23], 0 offen
	buffer_load_dwordx4 v[26:29], v21, s[20:23], s58 offen
	;; [unrolled: 1-line block ×4, first 2 shown]
	v_and_b32_e32 v20, 6, v0
	v_lshlrev_b32_e32 v39, 6, v64
	v_or_b32_e32 v41, 16, v61
	v_xor_b32_e32 v42, v66, v20
	v_and_b32_e32 v21, 1, v0
	v_lshl_or_b32 v45, v61, 3, v39
	v_lshl_or_b32 v39, v41, 3, v39
	v_lshlrev_b32_e32 v42, 2, v42
	s_mul_i32 s3, s3, s12
	s_mul_hi_u32 s20, s48, s12
	v_lshlrev_b32_e32 v38, 2, v61
	v_or_b32_e32 v74, 0xa000, v39
	v_or_b32_e32 v75, 0xb000, v39
	v_xor_b32_e32 v39, 0x440, v42
	v_cmp_eq_u32_e32 vcc, 0, v21
	v_xor_b32_e32 v43, v64, v38
	v_xor_b32_e32 v44, v65, v38
	v_cndmask_b32_e32 v21, v39, v42, vcc
	s_add_i32 s63, s20, s3
	s_add_i32 s3, s42, s33
	s_mov_b32 s60, 0x1000504
	v_lshlrev_b32_e32 v40, 8, v61
	v_lshlrev_b32_e32 v43, 1, v43
	;; [unrolled: 1-line block ×3, first 2 shown]
	v_lshl_or_b32 v20, v20, 10, v21
	s_add_i32 s31, s3, s43
	s_add_i32 s3, s44, s37
	s_mov_b32 s61, 0x3020706
	v_or_b32_e32 v72, 0xa000, v45
	v_or_b32_e32 v73, 0xb000, v45
	;; [unrolled: 1-line block ×4, first 2 shown]
	v_xor_b32_e32 v21, 8, v20
	v_xor_b32_e32 v40, 24, v20
	;; [unrolled: 1-line block ×4, first 2 shown]
	s_add_i32 s35, s3, s45
	s_lshl_b64 s[20:21], s[30:31], 2
	v_xor_b32_e32 v39, 16, v20
	v_xor_b32_e32 v42, 32, v20
	;; [unrolled: 1-line block ×3, first 2 shown]
	v_add_u32_e32 v21, 0x80, v21
	v_add_u32_e32 v40, 0x80, v40
	;; [unrolled: 1-line block ×4, first 2 shown]
	s_add_u32 s3, s10, s20
	s_addc_u32 s22, s11, s21
	s_lshl_b64 s[20:21], s[34:35], 2
	s_add_u32 s38, s3, s20
	s_movk_i32 s3, 0xf8
	s_addc_u32 s39, s22, s21
	s_lshl_b32 s26, s15, 7
	s_movk_i32 s24, 0x100
	v_mov_b32_e32 v53, 0
	v_lshlrev_b32_e32 v52, 4, v61
	v_cmp_gt_u32_e32 vcc, s24, v0
	v_ashrrev_i32_e32 v51, 31, v50
	s_mov_b32 s59, 0
	s_mul_i32 s62, s48, s12
	s_movk_i32 s31, 0x1000
	s_movk_i32 s22, 0x4000
	v_lshl_add_u64 v[54:55], v[50:51], 1, s[8:9]
	v_mov_b32_e32 v51, 0x3fb8aa3b
	s_mov_b32 s64, 0
	s_waitcnt vmcnt(1)
	v_perm_b32 v48, v22, v30, s60
	s_waitcnt vmcnt(0)
	v_perm_b32 v49, v26, v34, s60
	v_perm_b32 v22, v22, v30, s61
	;; [unrolled: 1-line block ×15, first 2 shown]
	ds_write2st64_b32 v20, v48, v49 offset0:32 offset1:64
	ds_write2st64_b32 v21, v22, v26 offset0:32 offset1:64
	;; [unrolled: 1-line block ×8, first 2 shown]
	v_lshlrev_b32_e32 v20, 8, v41
	v_or_b32_e32 v78, v20, v43
	v_or_b32_e32 v79, v20, v44
	;; [unrolled: 1-line block ×3, first 2 shown]
	v_lshlrev_b32_e32 v20, 3, v20
	v_lshrrev_b32_e32 v23, 5, v58
	v_and_or_b32 v23, v20, s3, v23
	v_lshlrev_b32_e32 v23, 4, v23
	v_lshlrev_b32_e32 v21, 11, v59
	v_and_b32_e32 v20, 0x78, v20
	v_or_b32_e32 v28, 32, v23
	v_and_b32_e32 v22, 0x1000, v21
	v_lshrrev_b32_e32 v25, 1, v0
	v_xor_b32_e32 v28, v28, v20
	v_and_b32_e32 v26, 8, v25
	v_or_b32_e32 v28, v28, v22
	v_xor_b32_e32 v24, v23, v20
	v_xor_b32_e32 v82, v28, v26
	v_or_b32_e32 v28, 64, v23
	v_or_b32_e32 v23, 0x60, v23
	s_ashr_i32 s3, s2, 31
	v_xor_b32_e32 v28, v28, v20
	v_xor_b32_e32 v20, v23, v20
	s_lshl_b64 s[20:21], s[2:3], 8
	v_or_b32_e32 v24, v24, v22
	v_or_b32_e32 v28, v28, v22
	;; [unrolled: 1-line block ×3, first 2 shown]
	s_add_u32 s20, s18, s20
	v_lshlrev_b32_e32 v22, 1, v61
	v_xor_b32_e32 v84, v28, v26
	v_lshrrev_b32_e32 v28, 4, v0
	s_addc_u32 s21, s19, s21
	v_or_b32_e32 v23, 1, v22
	v_mov_b32_e32 v32, 0x4000
	v_mov_b32_e32 v33, 0x2000
	v_xor_b32_e32 v29, v28, v22
	v_xor_b32_e32 v30, v23, v28
	v_lshl_add_u64 v[22:23], s[20:21], 0, v[52:53]
	v_lshlrev_b32_e32 v52, 8, v28
	v_cndmask_b32_e32 v32, v32, v33, vcc
	v_lshlrev_b32_e32 v33, 3, v59
	v_and_b32_e32 v25, 24, v25
	v_lshl_or_b32 v88, v29, 3, v52
	v_and_b32_e32 v29, 8, v0
	v_xor_b32_e32 v34, v33, v25
	v_or_b32_e32 v35, 0x440, v34
	v_cmp_eq_u32_e32 vcc, 0, v29
	v_and_b32_e32 v28, 7, v0
	v_xor_b32_e32 v80, v24, v26
	v_cndmask_b32_e32 v29, v35, v34, vcc
	v_lshlrev_b32_e32 v24, 7, v60
	v_lshl_or_b32 v89, v30, 3, v52
	v_lshlrev_b32_e32 v30, 3, v28
	v_lshlrev_b32_e32 v28, 7, v28
	;; [unrolled: 1-line block ×3, first 2 shown]
	v_or_b32_e32 v29, v29, v21
	v_or_b32_e32 v27, v24, v38
	v_xad_u32 v90, v29, v30, v28
	v_and_or_b32 v24, v31, 60, v24
	v_mov_b32_e32 v29, 0xb000
	v_lshl_or_b32 v91, v24, 1, v29
	v_or_b32_e32 v24, 32, v25
	v_xor_b32_e32 v24, v33, v24
	v_or_b32_e32 v29, 0x440, v24
	v_cndmask_b32_e32 v24, v29, v24, vcc
	v_or_b32_e32 v24, v24, v21
	v_xad_u32 v92, v24, v30, v28
	v_or_b32_e32 v24, 64, v25
	v_xor_b32_e32 v24, v33, v24
	v_xor_b32_e32 v29, 0x440, v24
	v_cndmask_b32_e32 v24, v29, v24, vcc
	v_or_b32_e32 v24, v24, v21
	v_xad_u32 v93, v24, v30, v28
	v_or_b32_e32 v24, 0x60, v25
	v_xor_b32_e32 v24, v33, v24
	v_xor_b32_e32 v25, 0x440, v24
	v_cndmask_b32_e32 v24, v25, v24, vcc
	v_lshlrev_b32_e32 v27, 1, v27
	v_or_b32_e32 v21, v24, v21
	v_or_b32_e32 v81, 0xa000, v27
	;; [unrolled: 1-line block ×3, first 2 shown]
	v_xor_b32_e32 v85, v20, v26
	v_or_b32_e32 v86, 0xb000, v27
	v_or_b32_e32 v87, 0xb080, v27
	v_lshlrev_b32_e32 v20, 7, v64
	v_lshlrev_b32_e32 v26, 1, v19
	v_add_lshl_u32 v19, v19, s15, 1
	v_or_b32_e32 v27, 0x100, v18
	v_xad_u32 v94, v21, v30, v28
	v_cndmask_b32_e64 v95, v26, v18, s[0:1]
	v_cndmask_b32_e64 v96, v19, v27, s[0:1]
	v_lshl_add_u64 v[56:57], v[22:23], 0, v[52:53]
	s_mov_b32 s3, 0x7060302
	v_lshlrev_b32_e32 v52, 1, v20
	v_add_u32_e32 v97, v32, v90
	v_add_u32_e32 v98, v32, v92
	;; [unrolled: 1-line block ×4, first 2 shown]
	s_waitcnt lgkmcnt(0)
	s_barrier
.LBB492_32:                             ; =>This Inner Loop Header: Depth=1
	s_add_i32 s35, s64, 1
	s_cmp_lt_i32 s35, s49
	s_mov_b64 s[24:25], 0
	s_cselect_b64 s[40:41], -1, 0
	s_cmp_ge_i32 s35, s49
	s_mov_b64 s[20:21], 0
	s_cbranch_scc1 .LBB492_34
; %bb.33:                               ;   in Loop: Header=BB492_32 Depth=1
	s_add_i32 s0, s59, 64
	s_add_u32 s0, s16, s0
	s_addc_u32 s1, s17, 0
	s_lshl_b64 s[0:1], s[0:1], 8
	s_add_u32 s20, s6, s0
	s_addc_u32 s21, s7, s1
.LBB492_34:                             ;   in Loop: Header=BB492_32 Depth=1
	v_cndmask_b32_e64 v18, 0, 1, s[40:41]
	v_cmp_ne_u32_e64 s[0:1], 1, v18
	s_andn2_b64 vcc, exec, s[40:41]
	s_cbranch_vccnz .LBB492_36
; %bb.35:                               ;   in Loop: Header=BB492_32 Depth=1
	s_add_i32 s24, s59, 64
	s_add_u32 s24, s62, s24
	s_addc_u32 s25, s63, 0
	s_mul_i32 s27, s24, s51
	s_mul_hi_u32 s40, s24, s56
	s_add_i32 s27, s40, s27
	s_mul_i32 s25, s25, s56
	s_add_i32 s27, s27, s25
	s_mul_i32 s24, s24, s56
	s_add_u32 s24, s24, s52
	s_addc_u32 s25, s27, s57
	s_lshl_b64 s[24:25], s[24:25], 8
	s_add_u32 s24, s4, s24
	s_addc_u32 s25, s5, s25
.LBB492_36:                             ;   in Loop: Header=BB492_32 Depth=1
	v_perm_b32 v19, v17, v16, s3
	v_perm_b32 v18, v15, v14, s3
	;; [unrolled: 1-line block ×4, first 2 shown]
	ds_write_b64 v72, v[18:19]
	ds_write_b64 v73, v[20:21]
	;; [unrolled: 1-line block ×4, first 2 shown]
	v_perm_b32 v19, v9, v8, s3
	v_perm_b32 v18, v7, v6, s3
	;; [unrolled: 1-line block ×4, first 2 shown]
	ds_write_b64 v74, v[18:19]
	ds_write_b64 v75, v[20:21]
	;; [unrolled: 1-line block ×4, first 2 shown]
	s_waitcnt lgkmcnt(0)
	s_barrier
	ds_read_b64 v[22:23], v80 offset:24576
	ds_read2_b64 v[18:21], v81 offset1:16
	ds_read_b64 v[26:27], v83 offset:3072
	ds_read_b64 v[28:29], v81 offset:3072
	;; [unrolled: 1-line block ×3, first 2 shown]
	s_waitcnt lgkmcnt(3)
	v_mfma_f32_16x16x16_bf16 a[0:3], v[22:23], v[18:19], 0
	s_add_i32 s27, s59, 63
	s_mul_i32 s40, s27, s29
	s_mul_hi_u32 s41, s27, s28
	v_mfma_f32_16x16x16_bf16 a[4:7], v[22:23], v[20:21], 0
	ds_read2st64_b64 v[18:21], v81 offset0:2 offset1:4
	ds_read2st64_b64 v[22:25], v83 offset0:2 offset1:4
	s_add_i32 s41, s41, s40
	s_waitcnt lgkmcnt(1)
	v_mfma_f32_16x16x16_bf16 a[0:3], v[30:31], v[18:19], a[0:3]
	s_mul_i32 s40, s27, s28
	s_lshl_b64 s[40:41], s[40:41], 2
	s_add_u32 s40, s38, s40
	s_waitcnt lgkmcnt(0)
	v_mfma_f32_16x16x16_bf16 a[4:7], v[30:31], v[22:23], a[4:7]
	ds_read_b64 v[18:19], v84 offset:24576
	ds_read_b64 v[22:23], v85 offset:24576
	s_addc_u32 s41, s39, s41
	s_and_b64 vcc, exec, s[0:1]
	s_waitcnt lgkmcnt(1)
	v_mfma_f32_16x16x16_bf16 a[0:3], v[18:19], v[20:21], a[0:3]
	v_mov_b32_e32 v103, 0
	v_mov_b32_e32 v102, 0
	;; [unrolled: 1-line block ×3, first 2 shown]
	v_mfma_f32_16x16x16_bf16 a[4:7], v[18:19], v[24:25], a[4:7]
	v_mov_b32_e32 v18, 0
	v_mov_b32_e32 v19, 0
	;; [unrolled: 1-line block ×3, first 2 shown]
	s_waitcnt lgkmcnt(0)
	v_mfma_f32_16x16x16_bf16 a[0:3], v[22:23], v[28:29], a[0:3]
	v_mov_b32_e32 v21, 0
	v_mov_b32_e32 v24, 0
	;; [unrolled: 1-line block ×3, first 2 shown]
	v_mfma_f32_16x16x16_bf16 a[4:7], v[22:23], v[26:27], a[4:7]
	v_mov_b32_e32 v22, 0
	v_mov_b32_e32 v23, 0
	;; [unrolled: 1-line block ×10, first 2 shown]
	s_cbranch_vccnz .LBB492_38
; %bb.37:                               ;   in Loop: Header=BB492_32 Depth=1
	s_and_b32 s21, s21, 0xffff
	buffer_load_dwordx4 v[30:33], v68, s[20:23], 0 offen
	buffer_load_dwordx4 v[26:29], v68, s[20:23], s58 offen
	;; [unrolled: 1-line block ×4, first 2 shown]
	v_mov_b32_e32 v102, v70
	v_mov_b32_e32 v101, v71
.LBB492_38:                             ;   in Loop: Header=BB492_32 Depth=1
	s_waitcnt vmcnt(4)
	ds_read_b64 v[38:39], v80 offset:32768
	s_waitcnt vmcnt(2)
	ds_read2_b64 v[34:37], v86 offset1:16
	ds_read_b64 v[42:43], v82 offset:32768
	ds_read_b64 v[44:45], v84 offset:32768
	;; [unrolled: 1-line block ×3, first 2 shown]
	v_add_u32_e32 v48, s59, v64
	s_waitcnt lgkmcnt(3)
	v_mfma_f32_16x16x16_bf16 a[0:3], v[38:39], v[34:35], a[0:3]
	v_mul_lo_u32 v49, v48, s29
	v_mfma_f32_16x16x16_bf16 a[4:7], v[38:39], v[36:37], a[4:7]
	ds_read2st64_b64 v[34:37], v86 offset0:2 offset1:4
	ds_read2st64_b64 v[38:41], v87 offset0:2 offset1:4
	s_waitcnt lgkmcnt(1)
	v_mfma_f32_16x16x16_bf16 a[0:3], v[42:43], v[34:35], a[0:3]
	v_ashrrev_i32_e32 v34, 31, v48
	v_mul_lo_u32 v104, v34, s28
	v_mad_u64_u32 v[34:35], s[20:21], v48, s28, 0
	v_mfma_f32_16x16x16_bf16 a[0:3], v[44:45], v[36:37], a[0:3]
	v_add_u32_e32 v36, 1, v48
	v_ashrrev_i32_e32 v37, 31, v36
	v_add3_u32 v35, v35, v49, v104
	s_waitcnt lgkmcnt(0)
	v_mfma_f32_16x16x16_bf16 a[4:7], v[42:43], v[38:39], a[4:7]
	v_mul_lo_u32 v38, v37, s28
	v_mul_lo_u32 v39, v36, s29
	v_mad_u64_u32 v[36:37], s[20:21], v36, s28, 0
	v_add3_u32 v37, v37, v39, v38
	v_add_u32_e32 v38, 2, v48
	v_ashrrev_i32_e32 v39, 31, v38
	v_mul_lo_u32 v42, v39, s28
	v_mul_lo_u32 v43, v38, s29
	v_mad_u64_u32 v[38:39], s[20:21], v38, s28, 0
	v_add3_u32 v39, v39, v43, v42
	v_add_u32_e32 v42, 3, v48
	v_ashrrev_i32_e32 v43, 31, v42
	v_mul_lo_u32 v48, v43, s28
	v_mul_lo_u32 v49, v42, s29
	v_mad_u64_u32 v[42:43], s[20:21], v42, s28, 0
	s_add_u32 s20, s16, s59
	s_addc_u32 s21, s17, 0
	s_lshl_b64 s[20:21], s[20:21], 8
	v_lshl_add_u64 v[34:35], v[34:35], 2, s[38:39]
	v_lshl_add_u64 v[36:37], v[36:37], 2, s[38:39]
	v_add3_u32 v43, v43, v49, v48
	v_lshl_add_u64 v[48:49], v[54:55], 0, s[20:21]
	v_lshl_add_u64 v[38:39], v[38:39], 2, s[38:39]
	;; [unrolled: 1-line block ×3, first 2 shown]
	global_load_dword v104, v[34:35], off
	global_load_ushort v105, v[48:49], off offset:256
	global_load_ushort v106, v[48:49], off
	global_load_ushort v107, v[48:49], off offset:768
	global_load_ushort v108, v[48:49], off offset:512
	v_lshl_add_u64 v[34:35], v[42:43], 2, s[38:39]
	global_load_dword v109, v[36:37], off
	global_load_dword v110, v[38:39], off
	;; [unrolled: 1-line block ×3, first 2 shown]
	ds_read_b64 v[34:35], v86 offset:3072
	ds_read_b64 v[36:37], v87 offset:3072
	global_load_ushort v112, v[48:49], off offset:800
	global_load_ushort v113, v[48:49], off offset:544
	;; [unrolled: 1-line block ×3, first 2 shown]
	s_nop 0
	global_load_ushort v48, v[48:49], off offset:32
	s_load_dword s20, s[40:41], 0x0
	v_mfma_f32_16x16x16_bf16 a[4:7], v[44:45], v[40:41], a[4:7]
	s_and_b64 vcc, exec, s[0:1]
	v_mov_b32_e32 v49, 0
	s_waitcnt vmcnt(11) lgkmcnt(0)
	v_sub_f32_e32 v44, s20, v104
	v_mfma_f32_16x16x16_bf16 a[0:3], v[46:47], v[34:35], a[0:3]
	v_mul_f32_e32 v44, 0x3fb8aa3b, v44
	v_exp_f32_e32 v44, v44
	s_waitcnt vmcnt(6)
	v_sub_f32_e32 v45, s20, v109
	v_mfma_f32_16x16x16_bf16 a[4:7], v[46:47], v[36:37], a[4:7]
	s_waitcnt vmcnt(5)
	v_sub_f32_e32 v46, s20, v110
	s_waitcnt vmcnt(4)
	v_sub_f32_e32 v47, s20, v111
	v_mul_f32_e32 v45, 0x3fb8aa3b, v45
	v_mul_f32_e32 v46, 0x3fb8aa3b, v46
	;; [unrolled: 1-line block ×3, first 2 shown]
	v_exp_f32_e32 v45, v45
	v_exp_f32_e32 v46, v46
	;; [unrolled: 1-line block ×3, first 2 shown]
	v_accvgpr_read_b32 v39, a1
	v_accvgpr_read_b32 v35, a3
	;; [unrolled: 1-line block ×4, first 2 shown]
	v_lshlrev_b32_e32 v41, 16, v105
	v_lshlrev_b32_e32 v40, 16, v106
	;; [unrolled: 1-line block ×4, first 2 shown]
	v_pk_add_f32 v[38:39], v[40:41], v[38:39] neg_lo:[0,1] neg_hi:[0,1]
	v_pk_add_f32 v[34:35], v[42:43], v[34:35] neg_lo:[0,1] neg_hi:[0,1]
	v_pk_mul_f32 v[38:39], v[44:45], v[38:39]
	v_pk_mul_f32 v[34:35], v[46:47], v[34:35]
	v_accvgpr_read_b32 v41, a5
	v_perm_b32 v35, v35, v34, s3
	v_perm_b32 v34, v39, v38, s3
	s_waitcnt vmcnt(1)
	v_lshlrev_b32_e32 v39, 16, v114
	s_waitcnt vmcnt(0)
	v_lshlrev_b32_e32 v38, 16, v48
	v_accvgpr_read_b32 v40, a4
	v_accvgpr_read_b32 v37, a7
	;; [unrolled: 1-line block ×3, first 2 shown]
	v_pk_add_f32 v[38:39], v[38:39], v[40:41] neg_lo:[0,1] neg_hi:[0,1]
	v_lshlrev_b32_e32 v41, 16, v112
	v_lshlrev_b32_e32 v40, 16, v113
	v_pk_add_f32 v[36:37], v[40:41], v[36:37] neg_lo:[0,1] neg_hi:[0,1]
	v_pk_mul_f32 v[38:39], v[44:45], v[38:39]
	v_pk_mul_f32 v[36:37], v[46:47], v[36:37]
	v_mov_b32_e32 v104, 0
	v_perm_b32 v37, v37, v36, s3
	v_perm_b32 v36, v39, v38, s3
	ds_write2_b64 v73, v[34:35], v[36:37] offset1:16
	v_mov_b32_e32 v34, 0
	v_mov_b32_e32 v35, 0
	;; [unrolled: 1-line block ×15, first 2 shown]
	s_cbranch_vccnz .LBB492_40
; %bb.39:                               ;   in Loop: Header=BB492_32 Depth=1
	s_and_b32 s25, s25, 0xffff
	s_mov_b32 s27, s23
	buffer_load_dwordx4 v[46:49], v95, s[24:27], 0 offen
	buffer_load_dwordx4 v[38:41], v95, s[24:27], s58 offen
	buffer_load_dwordx4 v[42:45], v96, s[24:27], 0 offen
	buffer_load_dwordx4 v[34:37], v96, s[24:27], s58 offen
	v_mov_b32_e32 v103, v67
	v_mov_b32_e32 v104, v66
.LBB492_40:                             ;   in Loop: Header=BB492_32 Depth=1
	s_waitcnt lgkmcnt(0)
	s_barrier
	ds_read_b64 v[110:111], v97
	ds_read_b64 v[118:119], v91
	;; [unrolled: 1-line block ×5, first 2 shown]
	ds_read_b64 v[124:125], v92 offset:16384
	ds_read_b64 v[126:127], v90 offset:16384
	ds_read2_b64 v[106:109], v86 offset0:16 offset1:128
	s_waitcnt lgkmcnt(6)
	v_mfma_f32_16x16x16_bf16 a[0:3], v[110:111], v[118:119], 0
	ds_read_b64 v[128:129], v87 offset:3072
	ds_read_b64 v[130:131], v94 offset:16384
	s_add_i32 s21, s53, s64
	s_waitcnt lgkmcnt(2)
	v_mfma_f32_16x16x16_bf16 a[4:7], v[110:111], v[106:107], 0
	ds_read2st64_b64 v[110:113], v87 offset0:2 offset1:4
	s_mul_hi_i32 s25, s21, s13
	s_mul_i32 s21, s21, s13
	v_mfma_f32_16x16x16_bf16 a[0:3], v[114:115], v[108:109], a[0:3]
	s_add_u32 s24, s21, s46
	s_addc_u32 s25, s25, s50
	s_lshl_b64 s[24:25], s[24:25], 15
	s_waitcnt lgkmcnt(0)
	v_mfma_f32_16x16x16_bf16 a[4:7], v[114:115], v[110:111], a[4:7]
	ds_read2st64_b64 v[114:117], v86 offset0:4 offset1:6
	s_waitcnt lgkmcnt(0)
	v_mfma_f32_16x16x16_bf16 a[0:3], v[120:121], v[114:115], a[0:3]
	v_mfma_f32_16x16x16_bf16 a[8:11], v[120:121], v[112:113], a[4:7]
	;; [unrolled: 1-line block ×5, first 2 shown]
	ds_read2st64_b64 v[118:121], v89 offset1:8
	v_mfma_f32_16x16x16_bf16 a[12:15], v[126:127], v[106:107], 0
	ds_read_b64 v[126:127], v93 offset:16384
	v_mfma_f32_16x16x16_bf16 a[8:11], v[124:125], v[108:109], a[8:11]
	ds_read2st64_b64 v[106:109], v88 offset1:8
	s_waitcnt lgkmcnt(0)
	v_mov_b32_e32 v122, v106
	v_mfma_f32_16x16x16_bf16 a[12:15], v[124:125], v[110:111], a[12:15]
	v_lshl_add_u64 v[110:111], v[56:57], 0, s[24:25]
	v_add_co_u32_e32 v106, vcc, s31, v110
	v_mfma_f32_16x16x16_bf16 a[8:11], v[126:127], v[114:115], a[8:11]
	v_mov_b32_e32 v123, v107
	v_addc_co_u32_e32 v107, vcc, 0, v111, vcc
	v_mfma_f32_16x16x16_bf16 a[16:19], v[126:127], v[112:113], a[12:15]
	v_mov_b32_e32 v124, v118
	v_mov_b32_e32 v125, v119
	;; [unrolled: 1-line block ×3, first 2 shown]
	v_mfma_f32_16x16x16_bf16 a[12:15], v[130:131], v[116:117], a[8:11]
	v_mov_b32_e32 v119, v109
	s_and_b64 vcc, exec, s[0:1]
	global_store_dwordx4 v[110:111], v[122:125], off
	v_mfma_f32_16x16x16_bf16 a[8:11], v[130:131], v[128:129], a[16:19]
	global_store_dwordx4 v[106:107], v[118:121], off
	s_cbranch_vccnz .LBB492_42
; %bb.41:                               ;   in Loop: Header=BB492_32 Depth=1
	v_lshrrev_b32_e32 v105, 3, v103
	v_and_b32_e32 v105, 6, v105
	v_xor_b32_e32 v104, v105, v104
	v_lshlrev_b32_e32 v104, 2, v104
	v_and_b32_e32 v103, 8, v103
	v_xor_b32_e32 v106, 0x440, v104
	v_cmp_eq_u32_e32 vcc, 0, v103
	s_barrier
	s_nop 0
	v_cndmask_b32_e32 v103, v106, v104, vcc
	v_lshl_or_b32 v103, v105, 10, v103
	s_waitcnt vmcnt(3)
	v_perm_b32 v104, v46, v42, s60
	s_waitcnt vmcnt(2)
	v_perm_b32 v105, v38, v34, s60
	ds_write2st64_b32 v103, v104, v105 offset0:32 offset1:64
	v_xor_b32_e32 v104, 8, v103
	v_perm_b32 v42, v46, v42, s61
	v_perm_b32 v34, v38, v34, s61
	v_add_u32_e32 v38, 0x80, v104
	ds_write2st64_b32 v38, v42, v34 offset0:32 offset1:64
	v_xor_b32_e32 v34, 16, v103
	v_perm_b32 v38, v47, v43, s60
	v_perm_b32 v42, v39, v35, s60
	ds_write2st64_b32 v34, v38, v42 offset0:33 offset1:65
	v_xor_b32_e32 v34, 24, v103
	v_perm_b32 v38, v47, v43, s61
	v_perm_b32 v35, v39, v35, s61
	v_add_u32_e32 v34, 0x80, v34
	ds_write2st64_b32 v34, v38, v35 offset0:33 offset1:65
	v_xor_b32_e32 v34, 32, v103
	v_perm_b32 v35, v48, v44, s60
	;; [unrolled: 9-line block ×3, first 2 shown]
	v_perm_b32 v36, v41, v37, s60
	ds_write2st64_b32 v34, v35, v36 offset0:35 offset1:67
	v_xor_b32_e32 v34, 56, v103
	v_perm_b32 v35, v49, v45, s61
	v_perm_b32 v36, v41, v37, s61
	v_add_u32_e32 v34, 0x80, v34
	ds_write2st64_b32 v34, v35, v36 offset0:35 offset1:67
	ds_write_b64 v102, v[30:31] offset:24576
	v_xor_b32_e32 v30, 8, v102
	ds_write_b64 v30, v[32:33] offset:24576
	ds_write_b64 v102, v[26:27] offset:32768
	;; [unrolled: 1-line block ×4, first 2 shown]
	v_xor_b32_e32 v22, 8, v101
	ds_write_b64 v22, v[24:25] offset:24576
	ds_write_b64 v101, v[18:19] offset:32768
	;; [unrolled: 1-line block ×3, first 2 shown]
.LBB492_42:                             ;   in Loop: Header=BB492_32 Depth=1
	v_mul_f32_e32 v18, s20, v51
	v_exp_f32_e32 v21, v18
	v_accvgpr_read_b32 v18, a4
	v_accvgpr_read_b32 v20, a7
	;; [unrolled: 1-line block ×3, first 2 shown]
	v_fma_f32 v14, v14, v21, v18
	v_accvgpr_read_b32 v18, a6
	v_fma_f32 v16, v16, v21, v18
	v_accvgpr_read_b32 v18, a3
	v_fmac_f32_e32 v18, v9, v21
	v_accvgpr_read_b32 v9, a12
	v_fma_f32 v10, v10, v21, v9
	v_accvgpr_read_b32 v9, a13
	v_fma_f32 v11, v11, v21, v9
	;; [unrolled: 2-line block ×3, first 2 shown]
	v_accvgpr_read_b32 v9, a15
	v_fmac_f32_e32 v20, v17, v21
	v_accvgpr_read_b32 v17, a0
	v_fmac_f32_e32 v9, v13, v21
	v_accvgpr_read_b32 v13, a8
	v_fma_f32 v6, v6, v21, v17
	v_accvgpr_read_b32 v17, a1
	v_fma_f32 v2, v2, v21, v13
	v_accvgpr_read_b32 v13, a9
	v_fma_f32 v15, v15, v21, v19
	v_fma_f32 v7, v7, v21, v17
	v_accvgpr_read_b32 v17, a2
	v_fma_f32 v3, v3, v21, v13
	v_accvgpr_read_b32 v13, a10
	v_accvgpr_read_b32 v19, a11
	s_add_i32 s59, s59, 64
	v_fma_f32 v8, v8, v21, v17
	v_fma_f32 v4, v4, v21, v13
	s_cmp_eq_u32 s49, s35
	v_fmac_f32_e32 v19, v5, v21
	s_cbranch_scc1 .LBB492_4
; %bb.43:                               ;   in Loop: Header=BB492_32 Depth=1
	s_mov_b32 s64, s35
	v_mov_b32_e32 v17, v20
	v_mov_b32_e32 v13, v9
	;; [unrolled: 1-line block ×4, first 2 shown]
	s_branch .LBB492_32
.LBB492_44:
                                        ; implicit-def: $vgpr5
                                        ; implicit-def: $vgpr9
                                        ; implicit-def: $vgpr13
                                        ; implicit-def: $vgpr17
	s_cbranch_execz .LBB492_46
; %bb.45:
	s_waitcnt vmcnt(0)
	v_mad_u64_u32 v[2:3], s[0:1], v20, s15, v[18:19]
	v_lshlrev_b32_e32 v20, 1, v2
	s_lshl_b32 s2, s15, 7
	s_and_b32 s1, s5, 0xffff
	s_mov_b32 s3, 0x20000
	s_mov_b32 s0, s4
	v_add_lshl_u32 v21, v2, s15, 1
	s_movk_i32 s13, 0x80
	buffer_load_dwordx4 v[2:5], v20, s[0:3], 0 offen
	buffer_load_dwordx4 v[10:13], v20, s[0:3], s13 offen
	buffer_load_dwordx4 v[6:9], v21, s[0:3], 0 offen
	buffer_load_dwordx4 v[14:17], v21, s[0:3], s13 offen
.LBB492_46:
	v_lshrrev_b32_e32 v30, 2, v58
	s_cbranch_execnz .LBB492_59
.LBB492_47:
	s_and_b64 vcc, exec, s[6:7]
	s_cbranch_vccz .LBB492_57
; %bb.48:
	s_waitcnt vmcnt(0)
	v_lshlrev_b32_e32 v7, 1, v23
	v_cmp_gt_i32_e32 vcc, s27, v7
	v_mov_b32_e32 v6, 0
	v_lshlrev_b32_e32 v14, 9, v23
	v_mov_b32_e32 v2, 0
	v_mov_b32_e32 v3, 0
	;; [unrolled: 1-line block ×4, first 2 shown]
	s_and_saveexec_b64 s[0:1], vcc
	s_cbranch_execz .LBB492_50
; %bb.49:
	v_mov_b32_e32 v15, 0
	v_lshl_add_u64 v[2:3], s[4:5], 0, v[14:15]
	v_lshlrev_b32_e32 v4, 1, v18
	v_mov_b32_e32 v5, v15
	v_lshl_add_u64 v[2:3], v[2:3], 0, v[4:5]
	global_load_dwordx4 v[2:5], v[2:3], off
.LBB492_50:
	s_or_b64 exec, exec, s[0:1]
	v_or_b32_e32 v7, 1, v7
	v_cmp_gt_i32_e64 s[0:1], s27, v7
	v_lshlrev_b32_e32 v20, 8, v7
	v_mov_b32_e32 v7, 0
	v_mov_b32_e32 v8, 0
	;; [unrolled: 1-line block ×3, first 2 shown]
	s_and_saveexec_b64 s[2:3], s[0:1]
	s_cbranch_execz .LBB492_52
; %bb.51:
	v_mov_b32_e32 v21, 0
	v_lshl_add_u64 v[6:7], s[4:5], 0, v[20:21]
	v_lshlrev_b32_e32 v8, 1, v18
	v_mov_b32_e32 v9, v21
	v_lshl_add_u64 v[6:7], v[6:7], 0, v[8:9]
	global_load_dwordx4 v[6:9], v[6:7], off
.LBB492_52:
	s_or_b64 exec, exec, s[2:3]
	v_mov_b32_e32 v17, 0
	v_mov_b32_e32 v10, 0
	v_mov_b32_e32 v11, 0
	v_mov_b32_e32 v12, 0
	v_mov_b32_e32 v13, 0
	s_and_saveexec_b64 s[2:3], vcc
	s_cbranch_execz .LBB492_54
; %bb.53:
	v_mov_b32_e32 v15, 0
	v_lshl_add_u64 v[10:11], s[4:5], 0, v[14:15]
	v_lshlrev_b32_e32 v14, 1, v18
	v_lshl_add_u64 v[10:11], v[10:11], 0, v[14:15]
	global_load_dwordx4 v[10:13], v[10:11], off offset:128
.LBB492_54:
	s_or_b64 exec, exec, s[2:3]
	v_mov_b32_e32 v16, 0
	v_mov_b32_e32 v15, 0
	;; [unrolled: 1-line block ×3, first 2 shown]
	s_and_saveexec_b64 s[2:3], s[0:1]
	s_cbranch_execz .LBB492_56
; %bb.55:
	v_mov_b32_e32 v21, 0
	v_lshl_add_u64 v[14:15], s[4:5], 0, v[20:21]
	v_lshlrev_b32_e32 v20, 1, v18
	v_lshl_add_u64 v[14:15], v[14:15], 0, v[20:21]
	global_load_dwordx4 v[14:17], v[14:15], off offset:128
.LBB492_56:
	s_or_b64 exec, exec, s[2:3]
	s_branch .LBB492_59
.LBB492_57:
                                        ; implicit-def: $vgpr5
                                        ; implicit-def: $vgpr9
                                        ; implicit-def: $vgpr13
                                        ; implicit-def: $vgpr17
	s_cbranch_execz .LBB492_59
; %bb.58:
	s_waitcnt vmcnt(0)
	v_lshlrev_b32_e32 v2, 1, v18
	v_lshl_or_b32 v18, v23, 9, v2
	s_and_b32 s5, s5, 0xffff
	s_mov_b32 s7, 0x20000
	s_movk_i32 s6, 0x4000
	s_movk_i32 s0, 0x80
	buffer_load_dwordx4 v[2:5], v18, s[4:7], 0 offen
	buffer_load_dwordx4 v[6:9], v18, s[4:7], 0 offen offset:256
	buffer_load_dwordx4 v[10:13], v18, s[4:7], s0 offen
	buffer_load_dwordx4 v[14:17], v18, s[4:7], s0 offen offset:256
.LBB492_59:
	ds_read_b64 v[20:21], v25 offset:32768
	v_add_u32_e32 v18, 0xb000, v24
	ds_read2_b64 v[32:35], v18 offset1:16
	ds_read_b64 v[40:41], v26 offset:32768
	ds_read_b64 v[26:27], v27 offset:32768
	;; [unrolled: 1-line block ×3, first 2 shown]
	v_and_b32_e32 v18, 6, v0
	v_xor_b32_e32 v23, v23, v18
	v_lshlrev_b32_e32 v23, 2, v23
	v_and_b32_e32 v0, 1, v0
	v_xor_b32_e32 v28, 0x440, v23
	v_cmp_eq_u32_e32 vcc, 0, v0
	s_waitcnt lgkmcnt(3)
	v_mfma_f32_16x16x16_bf16 a[0:3], v[20:21], v[32:33], a[0:3]
	s_mov_b32 s0, 0x1000504
	v_cndmask_b32_e32 v0, v28, v23, vcc
	v_lshl_or_b32 v0, v18, 10, v0
	v_mfma_f32_16x16x16_bf16 a[4:7], v[20:21], v[34:35], a[4:7]
	ds_read2st64_b64 v[32:35], v24 offset0:90 offset1:92
	ds_read2st64_b64 v[36:39], v29 offset0:90 offset1:92
	ds_read_b64 v[20:21], v24 offset:48128
	ds_read_b64 v[24:25], v29 offset:48128
	s_waitcnt vmcnt(0)
	v_perm_b32 v18, v2, v6, s0
	s_waitcnt lgkmcnt(3)
	v_mfma_f32_16x16x16_bf16 a[0:3], v[40:41], v[32:33], a[0:3]
	s_mov_b32 s1, 0x3020706
	v_perm_b32 v2, v2, v6, s1
	v_perm_b32 v6, v10, v14, s1
	s_waitcnt lgkmcnt(2)
	v_mfma_f32_16x16x16_bf16 a[4:7], v[40:41], v[36:37], a[4:7]
	v_mfma_f32_16x16x16_bf16 a[0:3], v[26:27], v[34:35], a[0:3]
	;; [unrolled: 1-line block ×3, first 2 shown]
	s_waitcnt lgkmcnt(1)
	v_mfma_f32_16x16x16_bf16 a[4:7], v[42:43], v[20:21], a[0:3]
	v_perm_b32 v20, v10, v14, s0
	ds_write2st64_b32 v0, v18, v20 offset0:32 offset1:64
	v_xor_b32_e32 v18, 8, v0
	v_add_u32_e32 v10, 0x80, v18
	ds_write2st64_b32 v10, v2, v6 offset0:32 offset1:64
	v_xor_b32_e32 v2, 16, v0
	v_perm_b32 v6, v3, v7, s0
	v_perm_b32 v10, v11, v15, s0
	ds_write2st64_b32 v2, v6, v10 offset0:33 offset1:65
	v_xor_b32_e32 v2, 24, v0
	v_perm_b32 v3, v3, v7, s1
	v_perm_b32 v6, v11, v15, s1
	v_add_u32_e32 v2, 0x80, v2
	ds_write2st64_b32 v2, v3, v6 offset0:33 offset1:65
	v_xor_b32_e32 v2, 32, v0
	v_perm_b32 v3, v4, v8, s0
	v_perm_b32 v6, v12, v16, s0
	ds_write2st64_b32 v2, v3, v6 offset0:34 offset1:66
	v_xor_b32_e32 v2, 40, v0
	s_waitcnt lgkmcnt(5)
	v_mfma_f32_16x16x16_bf16 a[0:3], v[42:43], v[24:25], a[8:11]
	v_perm_b32 v3, v4, v8, s1
	v_perm_b32 v4, v12, v16, s1
	v_add_u32_e32 v2, 0x80, v2
	ds_write2st64_b32 v2, v3, v4 offset0:34 offset1:66
	v_xor_b32_e32 v2, 48, v0
	v_perm_b32 v3, v5, v9, s0
	v_perm_b32 v4, v13, v17, s0
	ds_write2st64_b32 v2, v3, v4 offset0:35 offset1:67
	v_xor_b32_e32 v0, 56, v0
	v_perm_b32 v3, v13, v17, s1
	v_and_or_b32 v17, v30, 12, v1
	v_perm_b32 v2, v5, v9, s1
	v_add_u32_e32 v0, 0x80, v0
	v_cmp_gt_i32_e32 vcc, s27, v17
	v_mov_b32_e32 v14, 0
	v_mov_b32_e32 v16, 0
	ds_write2st64_b32 v0, v2, v3 offset0:35 offset1:67
	s_and_saveexec_b64 s[0:1], vcc
	s_cbranch_execz .LBB492_61
; %bb.60:
	v_add_u32_e32 v0, s26, v17
	v_ashrrev_i32_e32 v1, 31, v0
	v_mul_lo_u32 v2, v1, s28
	v_mul_lo_u32 v3, v0, s29
	v_mad_u64_u32 v[0:1], s[2:3], v0, s28, 0
	v_add3_u32 v1, v1, v3, v2
	v_lshl_add_u64 v[0:1], v[0:1], 2, s[10:11]
	global_load_dword v0, v[0:1], off
	s_waitcnt vmcnt(0)
	v_sub_f32_e32 v0, s12, v0
	v_mul_f32_e32 v0, 0x3fb8aa3b, v0
	v_exp_f32_e32 v16, v0
.LBB492_61:
	s_or_b64 exec, exec, s[0:1]
	v_or_b32_e32 v8, 1, v17
	v_cmp_gt_i32_e64 s[0:1], s27, v8
	s_and_saveexec_b64 s[2:3], s[0:1]
	s_cbranch_execz .LBB492_63
; %bb.62:
	v_add_u32_e32 v0, s26, v8
	v_ashrrev_i32_e32 v1, 31, v0
	v_mul_lo_u32 v2, v1, s28
	v_mul_lo_u32 v3, v0, s29
	v_mad_u64_u32 v[0:1], s[4:5], v0, s28, 0
	v_add3_u32 v1, v1, v3, v2
	v_lshl_add_u64 v[0:1], v[0:1], 2, s[10:11]
	global_load_dword v0, v[0:1], off
	s_waitcnt vmcnt(0)
	v_sub_f32_e32 v0, s12, v0
	v_mul_f32_e32 v0, 0x3fb8aa3b, v0
	v_exp_f32_e32 v14, v0
.LBB492_63:
	s_or_b64 exec, exec, s[2:3]
	v_or_b32_e32 v10, 2, v17
	v_cmp_gt_i32_e64 s[2:3], s27, v10
	v_mov_b32_e32 v15, 0
	v_mov_b32_e32 v18, 0
	s_and_saveexec_b64 s[4:5], s[2:3]
	s_cbranch_execz .LBB492_65
; %bb.64:
	v_add_u32_e32 v0, s26, v10
	v_ashrrev_i32_e32 v1, 31, v0
	v_mul_lo_u32 v2, v1, s28
	v_mul_lo_u32 v3, v0, s29
	v_mad_u64_u32 v[0:1], s[6:7], v0, s28, 0
	v_add3_u32 v1, v1, v3, v2
	v_lshl_add_u64 v[0:1], v[0:1], 2, s[10:11]
	global_load_dword v0, v[0:1], off
	s_waitcnt vmcnt(0)
	v_sub_f32_e32 v0, s12, v0
	v_mul_f32_e32 v0, 0x3fb8aa3b, v0
	v_exp_f32_e32 v18, v0
.LBB492_65:
	s_or_b64 exec, exec, s[4:5]
	v_or_b32_e32 v12, 3, v17
	v_cmp_gt_i32_e64 s[4:5], s27, v12
	s_and_saveexec_b64 s[6:7], s[4:5]
	s_cbranch_execz .LBB492_67
; %bb.66:
	v_add_u32_e32 v0, s26, v12
	v_ashrrev_i32_e32 v1, 31, v0
	v_mul_lo_u32 v2, v1, s28
	v_mul_lo_u32 v3, v0, s29
	v_mad_u64_u32 v[0:1], s[14:15], v0, s28, 0
	v_add3_u32 v1, v1, v3, v2
	v_lshl_add_u64 v[0:1], v[0:1], 2, s[10:11]
	global_load_dword v0, v[0:1], off
	s_waitcnt vmcnt(0)
	v_sub_f32_e32 v0, s12, v0
	v_mul_f32_e32 v0, 0x3fb8aa3b, v0
	v_exp_f32_e32 v15, v0
.LBB492_67:
	s_or_b64 exec, exec, s[6:7]
	s_add_u32 s6, s8, s20
	v_accvgpr_read_b32 v0, a4
	s_addc_u32 s7, s9, s21
	v_ashrrev_i32_e32 v51, 31, v50
	v_accvgpr_read_b32 v1, a5
	v_accvgpr_read_b32 v2, a6
	;; [unrolled: 1-line block ×3, first 2 shown]
	v_lshl_add_u64 v[4:5], v[50:51], 1, s[6:7]
	v_mov_b32_e32 v9, 0
	v_lshlrev_b32_e32 v6, 8, v17
	v_mov_b32_e32 v7, 0
	s_and_saveexec_b64 s[6:7], vcc
	s_cbranch_execz .LBB492_69
; %bb.68:
	v_mov_b32_e32 v7, 0
	v_lshl_add_u64 v[20:21], v[4:5], 0, v[6:7]
	global_load_ushort v7, v[20:21], off
	s_waitcnt vmcnt(0)
	v_lshlrev_b32_e32 v7, 16, v7
	v_sub_f32_e32 v0, v7, v0
	v_mul_f32_e32 v0, v16, v0
	v_lshrrev_b32_e32 v7, 16, v0
.LBB492_69:
	s_or_b64 exec, exec, s[6:7]
	v_lshlrev_b32_e32 v8, 8, v8
	s_and_saveexec_b64 s[6:7], s[0:1]
	s_cbranch_execz .LBB492_71
; %bb.70:
	v_mov_b32_e32 v9, 0
	v_lshl_add_u64 v[20:21], v[4:5], 0, v[8:9]
	global_load_ushort v0, v[20:21], off
	s_waitcnt vmcnt(0)
	v_lshlrev_b32_e32 v0, 16, v0
	v_sub_f32_e32 v0, v0, v1
	v_mul_f32_e32 v0, v14, v0
	v_lshrrev_b32_e32 v9, 16, v0
.LBB492_71:
	s_or_b64 exec, exec, s[6:7]
	v_mov_b32_e32 v13, 0
	v_lshlrev_b32_e32 v10, 8, v10
	v_mov_b32_e32 v11, 0
	s_and_saveexec_b64 s[6:7], s[2:3]
	s_cbranch_execz .LBB492_73
; %bb.72:
	v_mov_b32_e32 v11, 0
	v_lshl_add_u64 v[0:1], v[4:5], 0, v[10:11]
	global_load_ushort v0, v[0:1], off
	s_waitcnt vmcnt(0)
	v_lshlrev_b32_e32 v0, 16, v0
	v_sub_f32_e32 v0, v0, v2
	v_mul_f32_e32 v0, v18, v0
	v_lshrrev_b32_e32 v11, 16, v0
.LBB492_73:
	s_or_b64 exec, exec, s[6:7]
	v_lshlrev_b32_e32 v12, 8, v12
	s_and_saveexec_b64 s[6:7], s[4:5]
	s_cbranch_execz .LBB492_75
; %bb.74:
	v_mov_b32_e32 v13, 0
	v_lshl_add_u64 v[0:1], v[4:5], 0, v[12:13]
	global_load_ushort v0, v[0:1], off
	s_waitcnt vmcnt(0)
	v_lshlrev_b32_e32 v0, 16, v0
	v_sub_f32_e32 v0, v0, v3
	v_mul_f32_e32 v0, v15, v0
	v_lshrrev_b32_e32 v13, 16, v0
.LBB492_75:
	s_or_b64 exec, exec, s[6:7]
	v_lshlrev_b32_e32 v17, 5, v17
	s_mov_b32 s6, 0x5040100
	v_perm_b32 v20, v9, v7, s6
	v_or_b32_e32 v7, v17, v22
	v_accvgpr_read_b32 v0, a0
	v_perm_b32 v21, v13, v11, s6
	v_lshlrev_b32_e32 v7, 1, v7
	v_accvgpr_read_b32 v1, a1
	v_accvgpr_read_b32 v2, a2
	;; [unrolled: 1-line block ×3, first 2 shown]
	ds_write_b64 v7, v[20:21] offset:45056
	v_mov_b32_e32 v9, 0
	v_mov_b32_e32 v7, 0
	s_and_saveexec_b64 s[6:7], vcc
	s_cbranch_execz .LBB492_77
; %bb.76:
	v_mov_b32_e32 v7, 0
	v_lshl_add_u64 v[6:7], v[4:5], 0, v[6:7]
	global_load_ushort v6, v[6:7], off offset:32
	s_waitcnt vmcnt(0)
	v_lshlrev_b32_e32 v6, 16, v6
	v_sub_f32_e32 v0, v6, v0
	v_mul_f32_e32 v0, v16, v0
	v_lshrrev_b32_e32 v7, 16, v0
.LBB492_77:
	s_or_b64 exec, exec, s[6:7]
	s_and_saveexec_b64 s[6:7], s[0:1]
	s_cbranch_execz .LBB492_79
; %bb.78:
	v_mov_b32_e32 v9, 0
	v_lshl_add_u64 v[8:9], v[4:5], 0, v[8:9]
	global_load_ushort v0, v[8:9], off offset:32
	s_waitcnt vmcnt(0)
	v_lshlrev_b32_e32 v0, 16, v0
	v_sub_f32_e32 v0, v0, v1
	v_mul_f32_e32 v0, v14, v0
	v_lshrrev_b32_e32 v9, 16, v0
.LBB492_79:
	s_or_b64 exec, exec, s[6:7]
	v_mov_b32_e32 v0, 0
	v_mov_b32_e32 v1, 0
	s_and_saveexec_b64 s[0:1], s[2:3]
	s_cbranch_execz .LBB492_81
; %bb.80:
	v_mov_b32_e32 v11, 0
	v_lshl_add_u64 v[10:11], v[4:5], 0, v[10:11]
	global_load_ushort v1, v[10:11], off offset:32
	s_waitcnt vmcnt(0)
	v_lshlrev_b32_e32 v1, 16, v1
	v_sub_f32_e32 v1, v1, v2
	v_mul_f32_e32 v1, v18, v1
	v_lshrrev_b32_e32 v1, 16, v1
.LBB492_81:
	s_or_b64 exec, exec, s[0:1]
	s_and_saveexec_b64 s[0:1], s[4:5]
	s_cbranch_execz .LBB492_83
; %bb.82:
	v_mov_b32_e32 v13, 0
	v_lshl_add_u64 v[4:5], v[4:5], 0, v[12:13]
	global_load_ushort v0, v[4:5], off offset:32
	s_waitcnt vmcnt(0)
	v_lshlrev_b32_e32 v0, 16, v0
	v_sub_f32_e32 v0, v0, v3
	v_mul_f32_e32 v0, v15, v0
	v_lshrrev_b32_e32 v0, 16, v0
.LBB492_83:
	s_or_b64 exec, exec, s[0:1]
	s_mov_b32 s0, 0x5040100
	v_or_b32_e32 v2, v17, v19
	v_perm_b32 v1, v0, v1, s0
	v_perm_b32 v0, v9, v7, s0
	v_lshlrev_b32_e32 v2, 1, v2
	ds_write_b64 v2, v[0:1] offset:45056
	s_waitcnt lgkmcnt(0)
	s_barrier
.LBB492_84:
	s_endpgm
	.section	.rodata,"a",@progbits
	.p2align	6, 0x0
	.amdhsa_kernel _ZN12_GLOBAL__N_139chunk_gated_delta_rule_fwd_h_hip_kernelILi32ELb1ELb0ELb0ELb0ELb0ELb0ELb1ELb0EEEvPK12hip_bfloat16S3_S3_PKfS5_PKvPS1_S8_PvPKiSB_iiiiilll
		.amdhsa_group_segment_fixed_size 49152
		.amdhsa_private_segment_fixed_size 0
		.amdhsa_kernarg_size 136
		.amdhsa_user_sgpr_count 2
		.amdhsa_user_sgpr_dispatch_ptr 0
		.amdhsa_user_sgpr_queue_ptr 0
		.amdhsa_user_sgpr_kernarg_segment_ptr 1
		.amdhsa_user_sgpr_dispatch_id 0
		.amdhsa_user_sgpr_kernarg_preload_length 0
		.amdhsa_user_sgpr_kernarg_preload_offset 0
		.amdhsa_user_sgpr_private_segment_size 0
		.amdhsa_uses_dynamic_stack 0
		.amdhsa_enable_private_segment 0
		.amdhsa_system_sgpr_workgroup_id_x 1
		.amdhsa_system_sgpr_workgroup_id_y 1
		.amdhsa_system_sgpr_workgroup_id_z 0
		.amdhsa_system_sgpr_workgroup_info 0
		.amdhsa_system_vgpr_workitem_id 0
		.amdhsa_next_free_vgpr 152
		.amdhsa_next_free_sgpr 65
		.amdhsa_accum_offset 132
		.amdhsa_reserve_vcc 1
		.amdhsa_float_round_mode_32 0
		.amdhsa_float_round_mode_16_64 0
		.amdhsa_float_denorm_mode_32 3
		.amdhsa_float_denorm_mode_16_64 3
		.amdhsa_dx10_clamp 1
		.amdhsa_ieee_mode 1
		.amdhsa_fp16_overflow 0
		.amdhsa_tg_split 0
		.amdhsa_exception_fp_ieee_invalid_op 0
		.amdhsa_exception_fp_denorm_src 0
		.amdhsa_exception_fp_ieee_div_zero 0
		.amdhsa_exception_fp_ieee_overflow 0
		.amdhsa_exception_fp_ieee_underflow 0
		.amdhsa_exception_fp_ieee_inexact 0
		.amdhsa_exception_int_div_zero 0
	.end_amdhsa_kernel
	.section	.text._ZN12_GLOBAL__N_139chunk_gated_delta_rule_fwd_h_hip_kernelILi32ELb1ELb0ELb0ELb0ELb0ELb0ELb1ELb0EEEvPK12hip_bfloat16S3_S3_PKfS5_PKvPS1_S8_PvPKiSB_iiiiilll,"axG",@progbits,_ZN12_GLOBAL__N_139chunk_gated_delta_rule_fwd_h_hip_kernelILi32ELb1ELb0ELb0ELb0ELb0ELb0ELb1ELb0EEEvPK12hip_bfloat16S3_S3_PKfS5_PKvPS1_S8_PvPKiSB_iiiiilll,comdat
.Lfunc_end492:
	.size	_ZN12_GLOBAL__N_139chunk_gated_delta_rule_fwd_h_hip_kernelILi32ELb1ELb0ELb0ELb0ELb0ELb0ELb1ELb0EEEvPK12hip_bfloat16S3_S3_PKfS5_PKvPS1_S8_PvPKiSB_iiiiilll, .Lfunc_end492-_ZN12_GLOBAL__N_139chunk_gated_delta_rule_fwd_h_hip_kernelILi32ELb1ELb0ELb0ELb0ELb0ELb0ELb1ELb0EEEvPK12hip_bfloat16S3_S3_PKfS5_PKvPS1_S8_PvPKiSB_iiiiilll
                                        ; -- End function
	.section	.AMDGPU.csdata,"",@progbits
; Kernel info:
; codeLenInByte = 8428
; NumSgprs: 71
; NumVgprs: 132
; NumAgprs: 20
; TotalNumVgprs: 152
; ScratchSize: 0
; MemoryBound: 0
; FloatMode: 240
; IeeeMode: 1
; LDSByteSize: 49152 bytes/workgroup (compile time only)
; SGPRBlocks: 8
; VGPRBlocks: 18
; NumSGPRsForWavesPerEU: 71
; NumVGPRsForWavesPerEU: 152
; AccumOffset: 132
; Occupancy: 1
; WaveLimiterHint : 1
; COMPUTE_PGM_RSRC2:SCRATCH_EN: 0
; COMPUTE_PGM_RSRC2:USER_SGPR: 2
; COMPUTE_PGM_RSRC2:TRAP_HANDLER: 0
; COMPUTE_PGM_RSRC2:TGID_X_EN: 1
; COMPUTE_PGM_RSRC2:TGID_Y_EN: 1
; COMPUTE_PGM_RSRC2:TGID_Z_EN: 0
; COMPUTE_PGM_RSRC2:TIDIG_COMP_CNT: 0
; COMPUTE_PGM_RSRC3_GFX90A:ACCUM_OFFSET: 32
; COMPUTE_PGM_RSRC3_GFX90A:TG_SPLIT: 0
	.section	.text._ZN12_GLOBAL__N_139chunk_gated_delta_rule_fwd_h_hip_kernelILi32ELb0ELb1ELb1ELb0ELb0ELb0ELb1ELb0EEEvPK12hip_bfloat16S3_S3_PKfS5_PKvPS1_S8_PvPKiSB_iiiiilll,"axG",@progbits,_ZN12_GLOBAL__N_139chunk_gated_delta_rule_fwd_h_hip_kernelILi32ELb0ELb1ELb1ELb0ELb0ELb0ELb1ELb0EEEvPK12hip_bfloat16S3_S3_PKfS5_PKvPS1_S8_PvPKiSB_iiiiilll,comdat
	.globl	_ZN12_GLOBAL__N_139chunk_gated_delta_rule_fwd_h_hip_kernelILi32ELb0ELb1ELb1ELb0ELb0ELb0ELb1ELb0EEEvPK12hip_bfloat16S3_S3_PKfS5_PKvPS1_S8_PvPKiSB_iiiiilll ; -- Begin function _ZN12_GLOBAL__N_139chunk_gated_delta_rule_fwd_h_hip_kernelILi32ELb0ELb1ELb1ELb0ELb0ELb0ELb1ELb0EEEvPK12hip_bfloat16S3_S3_PKfS5_PKvPS1_S8_PvPKiSB_iiiiilll
	.p2align	8
	.type	_ZN12_GLOBAL__N_139chunk_gated_delta_rule_fwd_h_hip_kernelILi32ELb0ELb1ELb1ELb0ELb0ELb0ELb1ELb0EEEvPK12hip_bfloat16S3_S3_PKfS5_PKvPS1_S8_PvPKiSB_iiiiilll,@function
_ZN12_GLOBAL__N_139chunk_gated_delta_rule_fwd_h_hip_kernelILi32ELb0ELb1ELb1ELb0ELb0ELb0ELb1ELb0EEEvPK12hip_bfloat16S3_S3_PKfS5_PKvPS1_S8_PvPKiSB_iiiiilll: ; @_ZN12_GLOBAL__N_139chunk_gated_delta_rule_fwd_h_hip_kernelILi32ELb0ELb1ELb1ELb0ELb0ELb0ELb1ELb0EEEvPK12hip_bfloat16S3_S3_PKfS5_PKvPS1_S8_PvPKiSB_iiiiilll
; %bb.0:
	s_load_dwordx4 s[28:31], s[0:1], 0x5c
	s_load_dwordx4 s[36:39], s[0:1], 0x70
	s_abs_i32 s6, s3
	s_ashr_i32 s5, s3, 31
	s_load_dwordx8 s[16:23], s[0:1], 0x0
	s_waitcnt lgkmcnt(0)
	s_abs_i32 s4, s29
	v_cvt_f32_u32_e32 v1, s4
	s_sub_i32 s8, 0, s4
	s_ashr_i32 s7, s29, 31
	s_xor_b32 s5, s5, s7
	v_rcp_iflag_f32_e32 v1, v1
	s_load_dwordx2 s[34:35], s[0:1], 0x40
	s_load_dwordx4 s[24:27], s[0:1], 0x30
	s_load_dwordx2 s[40:41], s[0:1], 0x80
	s_mov_b32 s0, 0
	v_mul_f32_e32 v1, 0x4f7ffffe, v1
	v_cvt_u32_f32_e32 v1, v1
	v_lshrrev_b32_e32 v58, 6, v0
	v_bfe_u32 v61, v0, 4, 2
	v_lshlrev_b32_e32 v59, 4, v58
	v_readfirstlane_b32 s9, v1
	s_mul_i32 s8, s8, s9
	s_mul_hi_u32 s8, s9, s8
	s_add_i32 s9, s9, s8
	s_mul_hi_u32 s8, s6, s9
	s_mul_i32 s9, s8, s4
	s_sub_i32 s6, s6, s9
	s_add_i32 s10, s8, 1
	s_sub_i32 s9, s6, s4
	s_cmp_ge_u32 s6, s4
	s_cselect_b32 s8, s10, s8
	s_cselect_b32 s6, s9, s6
	s_add_i32 s9, s8, 1
	s_cmp_ge_u32 s6, s4
	s_cselect_b32 s6, s9, s8
	s_xor_b32 s6, s6, s5
	s_sub_i32 s51, s6, s5
	s_abs_i32 s6, s30
	v_cvt_f32_u32_e32 v1, s6
	s_mul_i32 s49, s51, s29
	s_sub_i32 s33, s3, s49
	s_add_i32 s3, s28, 63
	v_rcp_iflag_f32_e32 v1, v1
	s_ashr_i32 s5, s3, 31
	s_lshr_b32 s5, s5, 26
	s_ashr_i32 s50, s28, 31
	v_mul_f32_e32 v1, 0x4f7ffffe, v1
	v_cvt_u32_f32_e32 v1, v1
	s_add_i32 s3, s3, s5
	s_lshr_b32 s5, s50, 26
	s_add_i32 s5, s28, s5
	s_ashr_i32 s46, s30, 31
	s_ashr_i32 s52, s5, 6
	s_xor_b32 s5, s7, s46
	s_sub_i32 s7, 0, s6
	v_readfirstlane_b32 s8, v1
	s_mul_i32 s7, s7, s8
	s_mul_hi_u32 s7, s8, s7
	s_add_i32 s8, s8, s7
	s_mul_hi_u32 s7, s4, s8
	s_mul_i32 s8, s7, s6
	s_sub_i32 s4, s4, s8
	s_ashr_i32 s3, s3, 6
	s_add_i32 s8, s7, 1
	s_sub_i32 s9, s4, s6
	s_cmp_ge_u32 s4, s6
	s_cselect_b32 s7, s8, s7
	s_cselect_b32 s4, s9, s4
	s_add_i32 s8, s7, 1
	s_cmp_ge_u32 s4, s6
	s_cselect_b32 s4, s8, s7
	s_xor_b32 s4, s4, s5
	s_sub_i32 s4, s4, s5
	s_abs_i32 s5, s4
	v_cvt_f32_u32_e32 v1, s5
	s_sub_i32 s6, 0, s5
	s_xor_b32 s1, s33, s4
	s_abs_i32 s4, s33
	v_rcp_iflag_f32_e32 v1, v1
	s_ashr_i32 s1, s1, 31
	v_lshlrev_b32_e32 v18, 2, v61
	s_mov_b32 s14, s0
	v_mul_f32_e32 v1, 0x4f7ffffe, v1
	v_cvt_u32_f32_e32 v1, v1
	s_mov_b32 s15, s0
	v_and_b32_e32 v60, 63, v0
	s_mul_i32 s55, s51, s3
	v_readfirstlane_b32 s7, v1
	s_mul_i32 s6, s6, s7
	s_mul_hi_u32 s6, s7, s6
	s_add_i32 s7, s7, s6
	s_mul_hi_u32 s6, s4, s7
	s_mul_i32 s7, s6, s5
	s_sub_i32 s4, s4, s7
	s_add_i32 s7, s6, 1
	s_sub_i32 s8, s4, s5
	s_cmp_ge_u32 s4, s5
	s_cselect_b32 s6, s7, s6
	s_cselect_b32 s4, s8, s4
	s_add_i32 s7, s6, 1
	s_cmp_ge_u32 s4, s5
	s_cselect_b32 s4, s7, s6
	s_xor_b32 s4, s4, s1
	s_sub_i32 s56, s4, s1
	v_or_b32_e32 v1, v18, v59
	s_lshl_b32 s42, s2, 5
	s_mov_b32 s1, s0
	s_mov_b32 s2, s0
	;; [unrolled: 1-line block ×13, first 2 shown]
	v_mov_b64_e32 v[16:17], s[14:15]
	v_and_b32_e32 v62, 15, v0
	v_or_b32_e32 v65, 64, v1
	s_cmp_lt_i32 s28, 64
	v_mov_b64_e32 v[14:15], s[12:13]
	v_mov_b64_e32 v[12:13], s[10:11]
	;; [unrolled: 1-line block ×7, first 2 shown]
	s_mul_hi_i32 s57, s51, s29
	v_lshrrev_b32_e32 v64, 3, v60
	v_lshlrev_b32_e32 v63, 3, v0
	s_mul_i32 s37, s51, s37
	s_mul_hi_u32 s48, s51, s36
	s_mul_i32 s12, s51, s36
	s_cbranch_scc1 .LBB493_19
; %bb.1:
	s_ashr_i32 s8, s51, 31
	s_ashr_i32 s53, s33, 31
	s_add_u32 s0, s49, s33
	s_addc_u32 s1, s57, s53
	s_mul_i32 s1, s28, s1
	s_mul_hi_u32 s2, s28, s0
	s_add_i32 s3, s2, s1
	s_mul_i32 s2, s28, s0
	s_lshl_b64 s[0:1], s[2:3], 8
	v_and_b32_e32 v9, 56, v63
	s_add_u32 s4, s18, s0
	v_lshl_or_b32 v5, v58, 3, v64
	v_lshlrev_b32_e32 v2, 1, v9
	s_addc_u32 s0, s19, s1
	v_lshl_or_b32 v13, v5, 8, v2
	s_and_b32 s5, s0, 0xffff
	s_mov_b32 s7, 0x20000
	s_movk_i32 s6, 0x4000
	s_movk_i32 s0, 0x80
	v_or_b32_e32 v17, 0x2000, v13
	buffer_load_dwordx4 v[20:23], v13, s[4:7], 0 offen
	buffer_load_dwordx4 v[24:27], v13, s[4:7], s0 offen
	;; [unrolled: 1-line block ×4, first 2 shown]
	v_lshlrev_b32_e32 v3, 3, v5
	v_and_or_b32 v6, v0, 7, v3
	v_and_b32_e32 v3, 0x78, v3
	v_lshlrev_b32_e32 v6, 4, v6
	v_xor_b32_e32 v66, v6, v3
	v_mul_lo_u32 v4, v5, s31
	v_or_b32_e32 v67, 0x1000, v66
	v_xor_b32_e32 v3, 8, v66
	s_cmpk_eq_i32 s31, 0x80
	s_mov_b32 s47, s30
	v_xor_b32_e32 v6, 8, v67
	s_cselect_b64 s[0:1], -1, 0
	s_cmpk_lg_i32 s31, 0x80
	s_waitcnt vmcnt(3)
	ds_write_b64 v66, v[20:21] offset:24576
	ds_write_b64 v3, v[22:23] offset:24576
	s_waitcnt vmcnt(2)
	ds_write_b64 v66, v[24:25] offset:32768
	ds_write_b64 v3, v[26:27] offset:32768
	;; [unrolled: 3-line block ×4, first 2 shown]
	v_lshl_add_u32 v3, v4, 1, v9
	s_cbranch_scc0 .LBB493_3
; %bb.2:
	v_lshlrev_b32_e32 v6, 1, v3
	v_add_lshl_u32 v4, v3, s31, 1
	s_lshl_b32 s6, s31, 7
	v_lshl_or_b32 v2, v5, 9, v2
	s_cbranch_execz .LBB493_4
	s_branch .LBB493_5
.LBB493_3:
                                        ; implicit-def: $vgpr4
                                        ; implicit-def: $vgpr6
                                        ; implicit-def: $sgpr6
	v_lshl_or_b32 v2, v5, 9, v2
.LBB493_4:
	v_or_b32_e32 v4, 0x100, v2
	s_movk_i32 s6, 0x4000
	v_mov_b32_e32 v6, v2
.LBB493_5:
	s_mul_hi_u32 s4, s30, s28
	s_mul_i32 s5, s46, s28
	s_add_i32 s4, s4, s5
	s_mul_i32 s5, s30, s28
	s_mul_i32 s7, s5, s8
	s_mul_hi_u32 s9, s5, s51
	s_add_i32 s7, s9, s7
	s_mul_i32 s4, s4, s51
	s_add_i32 s7, s7, s4
	s_mul_i32 s5, s5, s51
	s_ashr_i32 s54, s56, 31
	s_add_u32 s4, s5, s56
	s_addc_u32 s5, s7, s54
	s_lshl_b64 s[4:5], s[4:5], 8
	s_add_u32 s4, s16, s4
	s_addc_u32 s5, s17, s5
	s_and_b32 s5, s5, 0xffff
	s_mov_b32 s7, 0x20000
	s_movk_i32 s58, 0x80
	buffer_load_dwordx4 v[20:23], v6, s[4:7], 0 offen
	buffer_load_dwordx4 v[24:27], v6, s[4:7], s58 offen
	;; [unrolled: 1-line block ×4, first 2 shown]
	v_and_b32_e32 v4, 6, v0
	v_lshlrev_b32_e32 v8, 6, v1
	v_or_b32_e32 v11, 16, v62
	v_xor_b32_e32 v12, v5, v4
	v_and_b32_e32 v6, 1, v0
	s_mul_i32 s4, s8, s28
	s_mul_hi_u32 s5, s51, s28
	v_lshl_or_b32 v16, v62, 3, v8
	v_lshl_or_b32 v8, v11, 3, v8
	v_lshlrev_b32_e32 v12, 2, v12
	v_lshlrev_b32_e32 v7, 2, v62
	v_or_b32_e32 v70, 0xa000, v8
	v_or_b32_e32 v71, 0xb000, v8
	v_xor_b32_e32 v8, 0x440, v12
	v_cmp_eq_u32_e32 vcc, 0, v6
	s_add_i32 s63, s5, s4
	s_add_i32 s4, s48, s37
	s_mul_i32 s8, s8, s36
	v_xor_b32_e32 v14, v1, v7
	v_xor_b32_e32 v15, v65, v7
	v_cndmask_b32_e32 v6, v8, v12, vcc
	s_add_i32 s13, s4, s8
	s_mul_i32 s4, s33, s39
	s_mul_hi_u32 s5, s33, s38
	s_mov_b32 s60, 0x1000504
	v_lshlrev_b32_e32 v10, 8, v62
	v_lshlrev_b32_e32 v14, 1, v14
	;; [unrolled: 1-line block ×3, first 2 shown]
	v_lshl_or_b32 v4, v4, 10, v6
	s_add_i32 s4, s5, s4
	s_mul_i32 s5, s53, s38
	s_mov_b32 s61, 0x3020706
	v_or_b32_e32 v68, 0xa000, v16
	v_or_b32_e32 v69, 0xb000, v16
	;; [unrolled: 1-line block ×4, first 2 shown]
	v_xor_b32_e32 v6, 8, v4
	v_xor_b32_e32 v10, 24, v4
	;; [unrolled: 1-line block ×4, first 2 shown]
	s_add_i32 s5, s4, s5
	s_lshl_b64 s[8:9], s[12:13], 2
	v_xor_b32_e32 v8, 16, v4
	v_xor_b32_e32 v12, 32, v4
	;; [unrolled: 1-line block ×3, first 2 shown]
	v_add_u32_e32 v6, 0x80, v6
	v_add_u32_e32 v10, 0x80, v10
	;; [unrolled: 1-line block ×4, first 2 shown]
	s_mul_i32 s4, s33, s38
	s_add_u32 s6, s22, s8
	s_addc_u32 s8, s23, s9
	s_lshl_b64 s[4:5], s[4:5], 2
	s_add_u32 s14, s6, s4
	s_movk_i32 s4, 0xf8
	s_addc_u32 s15, s8, s5
	s_ashr_i32 s43, s42, 31
	s_lshl_b32 s10, s31, 7
	s_movk_i32 s8, 0x100
	v_mov_b32_e32 v51, 0
	v_lshlrev_b32_e32 v50, 4, v62
	v_cmp_gt_u32_e32 vcc, s8, v0
	s_mov_b32 s59, 0
	s_mul_i32 s62, s51, s28
	s_movk_i32 s13, 0x1000
	s_movk_i32 s6, 0x4000
	v_add_u32_e32 v93, v59, v18
	v_mov_b32_e32 v98, 0x3fb8aa3b
	s_mov_b32 s65, 0
	v_mov_b32_e32 v100, v51
	v_mov_b32_e32 v99, v51
	;; [unrolled: 1-line block ×4, first 2 shown]
	s_waitcnt vmcnt(1)
	v_perm_b32 v37, v20, v28, s60
	s_waitcnt vmcnt(0)
	v_perm_b32 v38, v24, v32, s60
	v_perm_b32 v20, v20, v28, s61
	;; [unrolled: 1-line block ×15, first 2 shown]
	ds_write2st64_b32 v4, v37, v38 offset0:32 offset1:64
	ds_write2st64_b32 v6, v20, v24 offset0:32 offset1:64
	;; [unrolled: 1-line block ×8, first 2 shown]
	v_lshlrev_b32_e32 v4, 8, v11
	v_or_b32_e32 v74, v4, v14
	v_or_b32_e32 v75, v4, v15
	;; [unrolled: 1-line block ×3, first 2 shown]
	v_lshlrev_b32_e32 v4, 3, v4
	v_lshrrev_b32_e32 v10, 5, v60
	v_and_or_b32 v10, v4, s4, v10
	v_lshlrev_b32_e32 v8, 11, v58
	v_lshlrev_b32_e32 v10, 4, v10
	v_and_b32_e32 v4, 0x78, v4
	v_and_b32_e32 v6, 0x1000, v8
	v_xor_b32_e32 v11, v10, v4
	v_lshrrev_b32_e32 v12, 1, v0
	v_or_b32_e32 v11, v11, v6
	v_and_b32_e32 v14, 8, v12
	v_xor_b32_e32 v76, v11, v14
	v_or_b32_e32 v11, 32, v10
	v_xor_b32_e32 v11, v11, v4
	v_or_b32_e32 v11, v11, v6
	;; [unrolled: 2-line block ×4, first 2 shown]
	s_lshl_b64 s[4:5], s[42:43], 8
	v_or_b32_e32 v11, v11, v6
	v_xor_b32_e32 v4, v10, v4
	s_waitcnt lgkmcnt(0)
	s_add_u32 s4, s24, s4
	v_lshlrev_b32_e32 v10, 1, v62
	v_xor_b32_e32 v80, v11, v14
	v_lshrrev_b32_e32 v19, 4, v0
	s_addc_u32 s5, s25, s5
	v_or_b32_e32 v11, 1, v10
	v_mov_b32_e32 v23, 0x4000
	v_mov_b32_e32 v24, 0x2000
	v_xor_b32_e32 v20, v19, v10
	v_xor_b32_e32 v21, v11, v19
	v_lshl_add_u64 v[10:11], s[4:5], 0, v[50:51]
	v_lshlrev_b32_e32 v50, 8, v19
	v_cndmask_b32_e32 v23, v23, v24, vcc
	v_lshlrev_b32_e32 v24, 3, v58
	v_and_b32_e32 v12, 24, v12
	v_lshl_or_b32 v84, v20, 3, v50
	v_and_b32_e32 v20, 8, v0
	v_xor_b32_e32 v25, v24, v12
	v_or_b32_e32 v26, 0x440, v25
	v_cmp_eq_u32_e32 vcc, 0, v20
	v_and_b32_e32 v19, 7, v0
	v_lshlrev_b32_e32 v15, 7, v61
	v_cndmask_b32_e32 v20, v26, v25, vcc
	v_lshl_or_b32 v85, v21, 3, v50
	v_lshlrev_b32_e32 v21, 3, v19
	v_lshlrev_b32_e32 v19, 7, v19
	;; [unrolled: 1-line block ×3, first 2 shown]
	v_or_b32_e32 v20, v20, v8
	v_or_b32_e32 v7, v15, v7
	v_xad_u32 v86, v20, v21, v19
	v_and_or_b32 v15, v22, 60, v15
	v_mov_b32_e32 v20, 0xb000
	v_lshl_or_b32 v87, v15, 1, v20
	v_or_b32_e32 v15, 32, v12
	v_xor_b32_e32 v15, v24, v15
	v_or_b32_e32 v20, 0x440, v15
	v_cndmask_b32_e32 v15, v20, v15, vcc
	v_or_b32_e32 v15, v15, v8
	v_xad_u32 v88, v15, v21, v19
	v_or_b32_e32 v15, 64, v12
	v_xor_b32_e32 v15, v24, v15
	v_xor_b32_e32 v20, 0x440, v15
	v_cndmask_b32_e32 v15, v20, v15, vcc
	v_or_b32_e32 v12, 0x60, v12
	v_or_b32_e32 v15, v15, v8
	v_xor_b32_e32 v12, v24, v12
	v_xad_u32 v89, v15, v21, v19
	v_xor_b32_e32 v15, 0x440, v12
	v_lshlrev_b32_e32 v7, 1, v7
	v_or_b32_e32 v4, v4, v6
	v_or_b32_e32 v6, s42, v62
	v_cndmask_b32_e32 v12, v15, v12, vcc
	v_or_b32_e32 v77, 0xa000, v7
	v_or_b32_e32 v79, 0xa080, v7
	v_xor_b32_e32 v81, v4, v14
	v_or_b32_e32 v82, 0xb000, v7
	v_or_b32_e32 v83, 0xb080, v7
	v_ashrrev_i32_e32 v7, 31, v6
	v_lshlrev_b32_e32 v14, 1, v3
	v_add_lshl_u32 v3, v3, s31, 1
	v_or_b32_e32 v16, 0x100, v2
	v_or_b32_e32 v8, v12, v8
	v_lshlrev_b32_e32 v4, 7, v1
	v_xad_u32 v90, v8, v21, v19
	v_cndmask_b32_e64 v91, v14, v2, s[0:1]
	v_cndmask_b32_e64 v92, v3, v16, s[0:1]
	v_lshlrev_b64 v[2:3], 1, v[6:7]
	v_lshl_add_u64 v[52:53], s[20:21], 0, v[2:3]
	v_lshl_add_u64 v[54:55], s[26:27], 0, v[2:3]
	;; [unrolled: 1-line block ×3, first 2 shown]
	s_mov_b32 s43, 0x7060302
	v_lshlrev_b32_e32 v50, 1, v4
	v_add_u32_e32 v94, v23, v86
	v_add_u32_e32 v95, v23, v88
	;; [unrolled: 1-line block ×4, first 2 shown]
	v_mov_b32_e32 v2, v51
	v_mov_b32_e32 v3, v51
	;; [unrolled: 1-line block ×12, first 2 shown]
	s_barrier
.LBB493_6:                              ; =>This Inner Loop Header: Depth=1
	s_add_i32 s64, s65, 1
	s_cmp_lt_i32 s64, s52
	s_mov_b64 s[8:9], 0
	s_cselect_b64 s[44:45], -1, 0
	s_cmp_ge_i32 s64, s52
	s_mov_b64 s[4:5], 0
	s_cbranch_scc1 .LBB493_8
; %bb.7:                                ;   in Loop: Header=BB493_6 Depth=1
	s_add_i32 s0, s59, 64
	s_add_u32 s0, s2, s0
	s_addc_u32 s1, s3, 0
	s_lshl_b64 s[0:1], s[0:1], 8
	s_add_u32 s4, s18, s0
	s_addc_u32 s5, s19, s1
.LBB493_8:                              ;   in Loop: Header=BB493_6 Depth=1
	v_cndmask_b32_e64 v18, 0, 1, s[44:45]
	v_cmp_ne_u32_e64 s[0:1], 1, v18
	s_andn2_b64 vcc, exec, s[44:45]
	s_cbranch_vccnz .LBB493_10
; %bb.9:                                ;   in Loop: Header=BB493_6 Depth=1
	s_add_i32 s8, s59, 64
	s_add_u32 s8, s62, s8
	s_addc_u32 s9, s63, 0
	s_mul_i32 s11, s8, s46
	s_mul_hi_u32 s44, s8, s47
	s_add_i32 s11, s44, s11
	s_mul_i32 s9, s9, s47
	s_add_i32 s11, s11, s9
	s_mul_i32 s8, s8, s47
	s_add_u32 s8, s8, s56
	s_addc_u32 s9, s11, s54
	s_lshl_b64 s[8:9], s[8:9], 8
	s_add_u32 s8, s16, s8
	s_addc_u32 s9, s17, s9
.LBB493_10:                             ;   in Loop: Header=BB493_6 Depth=1
	v_perm_b32 v19, v100, v4, s43
	v_perm_b32 v18, v3, v2, s43
	;; [unrolled: 1-line block ×4, first 2 shown]
	ds_write_b64 v68, v[18:19]
	ds_write_b64 v69, v[20:21]
	;; [unrolled: 1-line block ×4, first 2 shown]
	v_perm_b32 v19, v102, v12, s43
	v_perm_b32 v18, v11, v10, s43
	v_perm_b32 v21, v101, v16, s43
	v_perm_b32 v20, v15, v14, s43
	ds_write_b64 v70, v[18:19]
	ds_write_b64 v71, v[20:21]
	;; [unrolled: 1-line block ×4, first 2 shown]
	s_waitcnt lgkmcnt(0)
	s_barrier
	ds_read_b64 v[22:23], v76 offset:24576
	ds_read2_b64 v[18:21], v77 offset1:16
	ds_read_b64 v[26:27], v79 offset:3072
	ds_read_b64 v[28:29], v77 offset:3072
	;; [unrolled: 1-line block ×3, first 2 shown]
	s_waitcnt lgkmcnt(3)
	v_mfma_f32_16x16x16_bf16 a[0:3], v[22:23], v[18:19], 0
	s_add_i32 s11, s59, 63
	s_mul_i32 s44, s11, s41
	s_mul_hi_u32 s45, s11, s40
	v_mfma_f32_16x16x16_bf16 a[4:7], v[22:23], v[20:21], 0
	ds_read2st64_b64 v[18:21], v77 offset0:2 offset1:4
	ds_read2st64_b64 v[22:25], v79 offset0:2 offset1:4
	s_add_i32 s45, s45, s44
	s_waitcnt lgkmcnt(1)
	v_mfma_f32_16x16x16_bf16 a[0:3], v[30:31], v[18:19], a[0:3]
	s_mul_i32 s44, s11, s40
	s_lshl_b64 s[44:45], s[44:45], 2
	s_add_u32 s44, s14, s44
	s_waitcnt lgkmcnt(0)
	v_mfma_f32_16x16x16_bf16 a[4:7], v[30:31], v[22:23], a[4:7]
	ds_read_b64 v[18:19], v80 offset:24576
	ds_read_b64 v[22:23], v81 offset:24576
	s_addc_u32 s45, s15, s45
	s_and_b64 vcc, exec, s[0:1]
	s_waitcnt lgkmcnt(1)
	v_mfma_f32_16x16x16_bf16 a[0:3], v[18:19], v[20:21], a[0:3]
	v_mov_b32_e32 v105, 0
	v_mov_b32_e32 v104, 0
	;; [unrolled: 1-line block ×3, first 2 shown]
	v_mfma_f32_16x16x16_bf16 a[8:11], v[18:19], v[24:25], a[4:7]
	v_mov_b32_e32 v18, 0
	v_mov_b32_e32 v19, 0
	;; [unrolled: 1-line block ×3, first 2 shown]
	s_waitcnt lgkmcnt(0)
	v_mfma_f32_16x16x16_bf16 a[4:7], v[22:23], v[28:29], a[0:3]
	v_mov_b32_e32 v21, 0
	v_mov_b32_e32 v24, 0
	;; [unrolled: 1-line block ×3, first 2 shown]
	v_mfma_f32_16x16x16_bf16 a[0:3], v[22:23], v[26:27], a[8:11]
	v_mov_b32_e32 v22, 0
	v_mov_b32_e32 v23, 0
	;; [unrolled: 1-line block ×10, first 2 shown]
	s_cbranch_vccnz .LBB493_12
; %bb.11:                               ;   in Loop: Header=BB493_6 Depth=1
	s_and_b32 s5, s5, 0xffff
	buffer_load_dwordx4 v[30:33], v13, s[4:7], 0 offen
	buffer_load_dwordx4 v[26:29], v13, s[4:7], s58 offen
	;; [unrolled: 1-line block ×4, first 2 shown]
	v_mov_b32_e32 v104, v66
	v_mov_b32_e32 v103, v67
.LBB493_12:                             ;   in Loop: Header=BB493_6 Depth=1
	ds_read_b64 v[42:43], v76 offset:32768
	ds_read2_b64 v[34:37], v82 offset1:16
	ds_read_b64 v[44:45], v78 offset:32768
	ds_read_b64 v[46:47], v80 offset:32768
	ds_read_b64 v[48:49], v81 offset:32768
	v_add_u32_e32 v106, s59, v93
	s_waitcnt lgkmcnt(3)
	v_mfma_f32_16x16x16_bf16 a[4:7], v[42:43], v[34:35], a[4:7]
	v_ashrrev_i32_e32 v34, 31, v106
	ds_read2st64_b64 v[38:41], v82 offset0:2 offset1:4
	v_mfma_f32_16x16x16_bf16 a[0:3], v[42:43], v[36:37], a[0:3]
	v_mul_lo_u32 v36, v34, s40
	v_mul_lo_u32 v37, v106, s41
	v_mad_u64_u32 v[34:35], s[4:5], v106, s40, 0
	v_add3_u32 v35, v35, v37, v36
	v_add_u32_e32 v36, 1, v106
	v_ashrrev_i32_e32 v37, 31, v36
	v_mul_lo_u32 v42, v37, s40
	v_mul_lo_u32 v43, v36, s41
	v_mad_u64_u32 v[36:37], s[4:5], v36, s40, 0
	v_add3_u32 v37, v37, v43, v42
	v_add_u32_e32 v42, 2, v106
	v_ashrrev_i32_e32 v43, 31, v42
	v_mul_lo_u32 v107, v43, s40
	v_mul_lo_u32 v108, v42, s41
	v_mad_u64_u32 v[42:43], s[4:5], v42, s40, 0
	v_add_u32_e32 v106, 3, v106
	v_add3_u32 v43, v43, v108, v107
	v_ashrrev_i32_e32 v107, 31, v106
	v_mul_lo_u32 v108, v107, s40
	v_mul_lo_u32 v109, v106, s41
	v_mad_u64_u32 v[106:107], s[4:5], v106, s40, 0
	s_add_u32 s4, s2, s59
	s_addc_u32 s5, s3, 0
	s_lshl_b64 s[66:67], s[4:5], 8
	v_lshl_add_u64 v[34:35], v[34:35], 2, s[14:15]
	v_lshl_add_u64 v[36:37], v[36:37], 2, s[14:15]
	v_add3_u32 v107, v107, v109, v108
	v_lshl_add_u64 v[108:109], v[52:53], 0, s[66:67]
	v_lshl_add_u64 v[42:43], v[42:43], 2, s[14:15]
	v_lshl_add_u64 v[108:109], v[108:109], 0, v[50:51]
	global_load_dword v110, v[34:35], off
	global_load_ushort v111, v[108:109], off offset:256
	global_load_ushort v112, v[108:109], off
	v_lshl_add_u64 v[34:35], v[106:107], 2, s[14:15]
	global_load_dword v106, v[36:37], off
	global_load_dword v107, v[42:43], off
	;; [unrolled: 1-line block ×3, first 2 shown]
	ds_read2st64_b64 v[34:37], v83 offset0:2 offset1:4
	global_load_ushort v114, v[108:109], off offset:768
	global_load_ushort v115, v[108:109], off offset:512
	;; [unrolled: 1-line block ×5, first 2 shown]
	s_nop 0
	global_load_ushort v108, v[108:109], off offset:32
	s_waitcnt lgkmcnt(1)
	v_mfma_f32_16x16x16_bf16 a[4:7], v[44:45], v[38:39], a[4:7]
	s_and_b64 vcc, exec, s[0:1]
	s_waitcnt vmcnt(10)
	v_lshlrev_b32_e32 v43, 16, v111
	s_waitcnt lgkmcnt(0)
	v_mfma_f32_16x16x16_bf16 a[0:3], v[44:45], v[34:35], a[0:3]
	s_waitcnt vmcnt(9)
	v_lshlrev_b32_e32 v42, 16, v112
	v_mfma_f32_16x16x16_bf16 a[4:7], v[46:47], v[40:41], a[4:7]
	v_mfma_f32_16x16x16_bf16 a[0:3], v[46:47], v[36:37], a[0:3]
	ds_read_b64 v[34:35], v82 offset:3072
	ds_read_b64 v[36:37], v83 offset:3072
	s_load_dword s4, s[44:45], 0x0
	s_waitcnt lgkmcnt(0)
	v_sub_f32_e32 v44, s4, v110
	v_mfma_f32_16x16x16_bf16 a[4:7], v[48:49], v[34:35], a[4:7]
	v_mul_f32_e32 v44, 0x3fb8aa3b, v44
	s_waitcnt vmcnt(8)
	v_sub_f32_e32 v45, s4, v106
	s_waitcnt vmcnt(7)
	v_sub_f32_e32 v46, s4, v107
	;; [unrolled: 2-line block ×3, first 2 shown]
	v_mfma_f32_16x16x16_bf16 a[0:3], v[48:49], v[36:37], a[0:3]
	v_lshl_add_u64 v[34:35], v[54:55], 0, s[66:67]
	v_lshl_add_u64 v[34:35], v[34:35], 0, v[50:51]
	v_accvgpr_read_b32 v41, a5
	v_accvgpr_read_b32 v40, a4
	v_pk_add_f32 v[40:41], v[42:43], v[40:41] neg_lo:[0,1] neg_hi:[0,1]
	v_exp_f32_e32 v42, v44
	v_mul_f32_e32 v43, 0x3fb8aa3b, v45
	v_mul_f32_e32 v44, 0x3fb8aa3b, v46
	;; [unrolled: 1-line block ×3, first 2 shown]
	v_exp_f32_e32 v43, v43
	v_exp_f32_e32 v44, v44
	;; [unrolled: 1-line block ×3, first 2 shown]
	v_accvgpr_read_b32 v37, a7
	v_accvgpr_read_b32 v36, a6
	s_waitcnt vmcnt(5)
	v_lshlrev_b32_e32 v47, 16, v114
	s_waitcnt vmcnt(4)
	v_lshlrev_b32_e32 v46, 16, v115
	v_pk_add_f32 v[36:37], v[46:47], v[36:37] neg_lo:[0,1] neg_hi:[0,1]
	global_store_short_d16_hi v[34:35], v40, off
	global_store_short_d16_hi v[34:35], v41, off offset:256
	global_store_short_d16_hi v[34:35], v36, off offset:512
	;; [unrolled: 1-line block ×3, first 2 shown]
	v_pk_mul_f32 v[40:41], v[42:43], v[40:41]
	v_pk_mul_f32 v[36:37], v[44:45], v[36:37]
	v_accvgpr_read_b32 v47, a1
	v_perm_b32 v37, v37, v36, s43
	v_perm_b32 v36, v41, v40, s43
	s_waitcnt vmcnt(5)
	v_lshlrev_b32_e32 v41, 16, v118
	s_waitcnt vmcnt(4)
	v_lshlrev_b32_e32 v40, 16, v108
	v_accvgpr_read_b32 v46, a0
	v_accvgpr_read_b32 v39, a3
	;; [unrolled: 1-line block ×3, first 2 shown]
	v_pk_add_f32 v[40:41], v[40:41], v[46:47] neg_lo:[0,1] neg_hi:[0,1]
	v_lshlrev_b32_e32 v47, 16, v116
	v_lshlrev_b32_e32 v46, 16, v117
	v_pk_add_f32 v[38:39], v[46:47], v[38:39] neg_lo:[0,1] neg_hi:[0,1]
	global_store_short_d16_hi v[34:35], v40, off offset:32
	global_store_short_d16_hi v[34:35], v41, off offset:288
	;; [unrolled: 1-line block ×4, first 2 shown]
	v_pk_mul_f32 v[34:35], v[42:43], v[40:41]
	v_pk_mul_f32 v[38:39], v[44:45], v[38:39]
	v_mov_b32_e32 v106, 0
	v_perm_b32 v39, v39, v38, s43
	v_perm_b32 v38, v35, v34, s43
	ds_write2_b64 v69, v[36:37], v[38:39] offset1:16
	v_mov_b32_e32 v34, 0
	v_mov_b32_e32 v35, 0
	;; [unrolled: 1-line block ×16, first 2 shown]
	s_cbranch_vccnz .LBB493_14
; %bb.13:                               ;   in Loop: Header=BB493_6 Depth=1
	s_and_b32 s9, s9, 0xffff
	s_mov_b32 s11, s7
	buffer_load_dwordx4 v[46:49], v91, s[8:11], 0 offen
	buffer_load_dwordx4 v[38:41], v91, s[8:11], s58 offen
	buffer_load_dwordx4 v[42:45], v92, s[8:11], 0 offen
	buffer_load_dwordx4 v[34:37], v92, s[8:11], s58 offen
	v_mov_b32_e32 v105, v9
	v_mov_b32_e32 v106, v5
.LBB493_14:                             ;   in Loop: Header=BB493_6 Depth=1
	s_waitcnt lgkmcnt(0)
	s_barrier
	ds_read_b64 v[112:113], v94
	ds_read_b64 v[120:121], v87
	;; [unrolled: 1-line block ×5, first 2 shown]
	ds_read_b64 v[126:127], v88 offset:16384
	ds_read_b64 v[128:129], v86 offset:16384
	ds_read2_b64 v[108:111], v82 offset0:16 offset1:128
	s_waitcnt lgkmcnt(6)
	v_mfma_f32_16x16x16_bf16 a[0:3], v[112:113], v[120:121], 0
	ds_read_b64 v[130:131], v83 offset:3072
	ds_read_b64 v[132:133], v90 offset:16384
	s_add_i32 s5, s55, s65
	s_waitcnt lgkmcnt(2)
	v_mfma_f32_16x16x16_bf16 a[4:7], v[112:113], v[108:109], 0
	ds_read2st64_b64 v[112:115], v83 offset0:2 offset1:4
	s_mul_hi_i32 s9, s5, s29
	s_mul_i32 s5, s5, s29
	v_mfma_f32_16x16x16_bf16 a[0:3], v[116:117], v[110:111], a[0:3]
	s_add_u32 s8, s5, s33
	s_addc_u32 s9, s9, s53
	s_lshl_b64 s[8:9], s[8:9], 15
	s_waitcnt lgkmcnt(0)
	v_mfma_f32_16x16x16_bf16 a[4:7], v[116:117], v[112:113], a[4:7]
	ds_read2st64_b64 v[116:119], v82 offset0:4 offset1:6
	s_waitcnt lgkmcnt(0)
	v_mfma_f32_16x16x16_bf16 a[0:3], v[122:123], v[116:117], a[0:3]
	v_mfma_f32_16x16x16_bf16 a[8:11], v[122:123], v[114:115], a[4:7]
	;; [unrolled: 1-line block ×5, first 2 shown]
	ds_read2st64_b64 v[120:123], v85 offset1:8
	v_mfma_f32_16x16x16_bf16 a[12:15], v[128:129], v[108:109], 0
	ds_read_b64 v[128:129], v89 offset:16384
	v_mfma_f32_16x16x16_bf16 a[8:11], v[126:127], v[110:111], a[8:11]
	ds_read2st64_b64 v[108:111], v84 offset1:8
	s_waitcnt lgkmcnt(0)
	v_mov_b32_e32 v124, v108
	v_mfma_f32_16x16x16_bf16 a[12:15], v[126:127], v[112:113], a[12:15]
	v_lshl_add_u64 v[112:113], v[56:57], 0, s[8:9]
	v_add_co_u32_e32 v108, vcc, s13, v112
	v_mfma_f32_16x16x16_bf16 a[8:11], v[128:129], v[116:117], a[8:11]
	v_mov_b32_e32 v125, v109
	v_addc_co_u32_e32 v109, vcc, 0, v113, vcc
	v_mfma_f32_16x16x16_bf16 a[12:15], v[128:129], v[114:115], a[12:15]
	v_mov_b32_e32 v126, v120
	v_mov_b32_e32 v127, v121
	;; [unrolled: 1-line block ×3, first 2 shown]
	v_mfma_f32_16x16x16_bf16 a[8:11], v[132:133], v[118:119], a[8:11]
	v_mov_b32_e32 v121, v111
	s_and_b64 vcc, exec, s[0:1]
	global_store_dwordx4 v[112:113], v[124:127], off
	v_mfma_f32_16x16x16_bf16 a[12:15], v[132:133], v[130:131], a[12:15]
	global_store_dwordx4 v[108:109], v[120:123], off
	s_cbranch_vccnz .LBB493_16
; %bb.15:                               ;   in Loop: Header=BB493_6 Depth=1
	v_lshrrev_b32_e32 v107, 3, v105
	v_and_b32_e32 v107, 6, v107
	v_xor_b32_e32 v106, v107, v106
	v_lshlrev_b32_e32 v106, 2, v106
	v_and_b32_e32 v105, 8, v105
	v_xor_b32_e32 v108, 0x440, v106
	v_cmp_eq_u32_e32 vcc, 0, v105
	s_barrier
	s_nop 0
	v_cndmask_b32_e32 v105, v108, v106, vcc
	v_lshl_or_b32 v105, v107, 10, v105
	s_waitcnt vmcnt(3)
	v_perm_b32 v106, v46, v42, s60
	s_waitcnt vmcnt(2)
	v_perm_b32 v107, v38, v34, s60
	ds_write2st64_b32 v105, v106, v107 offset0:32 offset1:64
	v_xor_b32_e32 v106, 8, v105
	v_perm_b32 v42, v46, v42, s61
	v_perm_b32 v34, v38, v34, s61
	v_add_u32_e32 v38, 0x80, v106
	ds_write2st64_b32 v38, v42, v34 offset0:32 offset1:64
	v_xor_b32_e32 v34, 16, v105
	v_perm_b32 v38, v47, v43, s60
	v_perm_b32 v42, v39, v35, s60
	ds_write2st64_b32 v34, v38, v42 offset0:33 offset1:65
	v_xor_b32_e32 v34, 24, v105
	v_perm_b32 v38, v47, v43, s61
	v_perm_b32 v35, v39, v35, s61
	v_add_u32_e32 v34, 0x80, v34
	ds_write2st64_b32 v34, v38, v35 offset0:33 offset1:65
	v_xor_b32_e32 v34, 32, v105
	v_perm_b32 v35, v48, v44, s60
	;; [unrolled: 9-line block ×3, first 2 shown]
	v_perm_b32 v36, v41, v37, s60
	ds_write2st64_b32 v34, v35, v36 offset0:35 offset1:67
	v_xor_b32_e32 v34, 56, v105
	v_perm_b32 v35, v49, v45, s61
	v_perm_b32 v36, v41, v37, s61
	v_add_u32_e32 v34, 0x80, v34
	ds_write2st64_b32 v34, v35, v36 offset0:35 offset1:67
	ds_write_b64 v104, v[30:31] offset:24576
	v_xor_b32_e32 v30, 8, v104
	ds_write_b64 v30, v[32:33] offset:24576
	ds_write_b64 v104, v[26:27] offset:32768
	;; [unrolled: 1-line block ×4, first 2 shown]
	v_xor_b32_e32 v22, 8, v103
	ds_write_b64 v22, v[24:25] offset:24576
	ds_write_b64 v103, v[18:19] offset:32768
	;; [unrolled: 1-line block ×3, first 2 shown]
.LBB493_16:                             ;   in Loop: Header=BB493_6 Depth=1
	v_mul_f32_e32 v18, s4, v98
	s_waitcnt vmcnt(2)
	v_exp_f32_e32 v34, v18
	v_accvgpr_read_b32 v33, a7
	v_accvgpr_read_b32 v25, a3
	;; [unrolled: 1-line block ×16, first 2 shown]
	s_add_i32 s59, s59, 64
	v_fma_f32 v2, v2, v34, v30
	v_fma_f32 v3, v3, v34, v31
	v_fma_f32 v4, v4, v34, v32
	v_fmac_f32_e32 v33, v100, v34
	v_fma_f32 v10, v10, v34, v22
	v_fma_f32 v11, v11, v34, v23
	v_fma_f32 v12, v12, v34, v24
	v_fmac_f32_e32 v25, v102, v34
	v_fma_f32 v6, v6, v34, v26
	v_fma_f32 v7, v7, v34, v27
	v_fma_f32 v8, v8, v34, v28
	v_fmac_f32_e32 v29, v99, v34
	v_fma_f32 v14, v14, v34, v18
	v_fma_f32 v15, v15, v34, v19
	;; [unrolled: 1-line block ×3, first 2 shown]
	s_cmp_eq_u32 s52, s64
	v_fmac_f32_e32 v21, v101, v34
	s_cbranch_scc1 .LBB493_18
; %bb.17:                               ;   in Loop: Header=BB493_6 Depth=1
	s_mov_b32 s65, s64
	v_mov_b32_e32 v100, v33
	v_mov_b32_e32 v99, v29
	;; [unrolled: 1-line block ×4, first 2 shown]
	s_branch .LBB493_6
.LBB493_18:
	v_mov_b32_e32 v5, v33
	v_mov_b32_e32 v9, v29
	;; [unrolled: 1-line block ×4, first 2 shown]
.LBB493_19:
	s_lshl_b32 s53, s52, 6
	s_sub_i32 s54, s28, s53
	s_cmp_gt_i32 s54, 0
	v_or_b32_e32 v34, s42, v62
	s_cbranch_scc1 .LBB493_21
; %bb.20:
	s_ashr_i32 s0, s33, 31
	s_add_u32 s8, s49, s33
	s_addc_u32 s9, s57, s0
	v_or_b32_e32 v18, s42, v62
	s_cbranch_execz .LBB493_22
	s_branch .LBB493_86
.LBB493_21:
                                        ; implicit-def: $sgpr8_sgpr9
                                        ; implicit-def: $vgpr18
.LBB493_22:
	s_ashr_i32 s13, s51, 31
	s_ashr_i32 s2, s53, 31
	s_cmpk_lg_i32 s31, 0x80
	s_cselect_b64 s[44:45], -1, 0
	s_and_b64 vcc, exec, s[44:45]
	s_cbranch_vccz .LBB493_24
; %bb.23:
	s_mul_i32 s1, s51, s28
	s_mul_hi_i32 s0, s51, s28
	s_add_u32 s1, s1, s53
	s_addc_u32 s0, s0, s2
	s_mul_i32 s3, s1, s46
	s_mul_hi_u32 s4, s1, s30
	s_add_i32 s3, s4, s3
	s_mul_i32 s0, s0, s30
	s_add_i32 s3, s3, s0
	s_mul_i32 s1, s1, s30
	s_ashr_i32 s0, s56, 31
	s_add_u32 s46, s1, s56
	s_addc_u32 s47, s3, s0
	s_cbranch_execz .LBB493_25
	s_branch .LBB493_26
.LBB493_24:
                                        ; implicit-def: $sgpr46_sgpr47
.LBB493_25:
	s_mul_hi_i32 s0, s51, s30
	s_mul_i32 s51, s51, s30
	s_ashr_i32 s1, s56, 31
	s_add_u32 s3, s51, s56
	s_addc_u32 s0, s0, s1
	s_mul_i32 s1, s3, s50
	s_mul_hi_u32 s4, s3, s28
	s_add_i32 s1, s4, s1
	s_mul_i32 s0, s0, s28
	s_add_i32 s1, s1, s0
	s_mul_i32 s3, s3, s28
	s_add_u32 s46, s3, s53
	s_addc_u32 s47, s1, s2
.LBB493_26:
	s_add_i32 s3, s55, s52
	s_ashr_i32 s30, s33, 31
	s_add_u32 s8, s49, s33
	s_addc_u32 s9, s57, s30
	s_mul_i32 s0, s8, s50
	s_mul_hi_u32 s1, s8, s28
	s_add_i32 s0, s1, s0
	s_mul_i32 s1, s9, s28
	s_add_i32 s1, s0, s1
	s_mul_i32 s0, s8, s28
	s_add_u32 s0, s0, s53
	v_lshlrev_b32_e32 v22, 5, v1
	v_lshlrev_b32_e32 v40, 2, v62
	s_addc_u32 s1, s1, s2
	s_mov_b32 s2, 0x7060302
	v_or_b32_e32 v25, v22, v40
	v_xor_b32_e32 v23, v1, v40
	v_perm_b32 v19, v5, v4, s2
	v_perm_b32 v18, v3, v2, s2
	;; [unrolled: 1-line block ×4, first 2 shown]
	v_lshlrev_b32_e32 v25, 1, v25
	s_lshl_b64 s[10:11], s[0:1], 8
	v_xor_b32_e32 v24, v65, v40
	ds_write2st64_b64 v25, v[18:19], v[20:21] offset0:80 offset1:88
	v_lshlrev_b32_e32 v23, 1, v23
	v_lshlrev_b32_e32 v25, 8, v62
	s_add_u32 s0, s18, s10
	v_or_b32_e32 v26, v23, v25
	v_lshlrev_b32_e32 v24, 1, v24
	s_addc_u32 s1, s19, s11
	ds_write_b64 v26, v[18:19]
	v_or_b32_e32 v18, v24, v25
	v_or_b32_e32 v25, 16, v62
	s_mul_hi_i32 s4, s3, s29
	s_mul_i32 s3, s3, s29
	ds_write_b64 v18, v[20:21]
	v_perm_b32 v19, v13, v12, s2
	v_perm_b32 v18, v11, v10, s2
	v_perm_b32 v21, v17, v16, s2
	v_perm_b32 v20, v15, v14, s2
	v_lshlrev_b32_e32 v37, 2, v25
	s_add_u32 s2, s3, s33
	v_or_b32_e32 v22, v22, v37
	s_addc_u32 s3, s4, s30
	v_lshlrev_b32_e32 v22, 1, v22
	s_ashr_i32 s43, s42, 31
	s_lshl_b64 s[2:3], s[2:3], 15
	ds_write2st64_b64 v22, v[18:19], v[20:21] offset0:80 offset1:88
	v_lshlrev_b32_e32 v22, 8, v25
	s_waitcnt lgkmcnt(0)
	s_add_u32 s4, s24, s2
	v_or_b32_e32 v23, v23, v22
	s_addc_u32 s5, s25, s3
	s_lshl_b64 s[2:3], s[42:43], 8
	ds_write_b64 v23, v[18:19]
	v_or_b32_e32 v18, v24, v22
	s_add_u32 s2, s4, s2
	ds_write_b64 v18, v[20:21]
	v_lshrrev_b32_e32 v18, 4, v0
	s_addc_u32 s3, s5, s3
	v_lshlrev_b32_e32 v19, 1, v62
	v_lshlrev_b32_e32 v26, 4, v62
	v_mov_b32_e32 v27, 0
	v_or_b32_e32 v20, 1, v19
	v_xor_b32_e32 v19, v18, v19
	v_lshl_add_u64 v[28:29], s[2:3], 0, v[26:27]
	v_lshlrev_b32_e32 v26, 8, v18
	v_xor_b32_e32 v22, v20, v18
	v_lshl_or_b32 v18, v19, 3, v26
	s_waitcnt lgkmcnt(0)
	s_barrier
	ds_read2st64_b64 v[18:21], v18 offset1:8
	v_lshl_or_b32 v22, v22, 3, v26
	ds_read2st64_b64 v[22:25], v22 offset1:8
	v_lshl_add_u64 v[30:31], v[28:29], 0, v[26:27]
	s_movk_i32 s2, 0x1000
	s_waitcnt lgkmcnt(1)
	v_mov_b32_e32 v26, v18
	v_add_co_u32_e32 v18, vcc, s2, v30
	s_cmp_lg_u32 s54, 64
	v_mov_b32_e32 v27, v19
	v_addc_co_u32_e32 v19, vcc, 0, v31, vcc
	s_cselect_b64 s[14:15], -1, 0
	v_lshl_or_b32 v35, v58, 3, v64
	s_waitcnt lgkmcnt(0)
	v_mov_b32_e32 v28, v22
	v_mov_b32_e32 v29, v23
	;; [unrolled: 1-line block ×4, first 2 shown]
	s_mov_b32 s4, 0
	v_or_b32_e32 v38, 32, v35
	v_and_b32_e32 v36, 56, v63
	s_and_b64 vcc, exec, s[14:15]
	global_store_dwordx4 v[30:31], v[26:29], off
	global_store_dwordx4 v[18:19], v[22:25], off
	s_cbranch_vccz .LBB493_32
; %bb.27:
	s_mov_b32 s6, s4
	s_mov_b32 s7, s4
	;; [unrolled: 1-line block ×3, first 2 shown]
	v_mov_b64_e32 v[24:25], s[6:7]
	v_mov_b64_e32 v[22:23], s[4:5]
	;; [unrolled: 1-line block ×3, first 2 shown]
	v_cmp_gt_i32_e32 vcc, s54, v35
	v_mov_b64_e32 v[20:21], v[24:25]
	s_and_saveexec_b64 s[2:3], vcc
	s_cbranch_execz .LBB493_29
; %bb.28:
	v_lshlrev_b32_e32 v18, 8, v35
	v_mov_b32_e32 v19, 0
	v_lshl_add_u64 v[20:21], s[0:1], 0, v[18:19]
	v_lshlrev_b32_e32 v18, 1, v36
	v_lshl_add_u64 v[26:27], v[20:21], 0, v[18:19]
	global_load_dwordx4 v[22:25], v[26:27], off
	global_load_dwordx4 v[18:21], v[26:27], off offset:128
.LBB493_29:
	s_or_b64 exec, exec, s[2:3]
	s_mov_b32 s6, s4
	s_mov_b32 s7, s4
	;; [unrolled: 1-line block ×3, first 2 shown]
	v_mov_b64_e32 v[32:33], s[6:7]
	v_mov_b64_e32 v[30:31], s[4:5]
	;; [unrolled: 1-line block ×3, first 2 shown]
	v_cmp_gt_i32_e32 vcc, s54, v38
	v_lshlrev_b32_e32 v39, 7, v38
	v_mov_b64_e32 v[28:29], v[32:33]
	s_and_saveexec_b64 s[2:3], vcc
	s_cbranch_execz .LBB493_31
; %bb.30:
	v_lshlrev_b32_e32 v26, 1, v39
	v_mov_b32_e32 v27, 0
	v_lshl_add_u64 v[28:29], s[0:1], 0, v[26:27]
	v_lshlrev_b32_e32 v26, 1, v36
	v_lshl_add_u64 v[42:43], v[28:29], 0, v[26:27]
	global_load_dwordx4 v[30:33], v[42:43], off
	global_load_dwordx4 v[26:29], v[42:43], off offset:128
.LBB493_31:
	s_or_b64 exec, exec, s[2:3]
	v_lshrrev_b32_e32 v41, 3, v36
	v_lshlrev_b32_e32 v42, 3, v35
	v_or_b32_e32 v41, v42, v41
	v_lshlrev_b32_e32 v41, 4, v41
	v_and_b32_e32 v42, 0x78, v42
	v_xor_b32_e32 v41, v41, v42
	s_branch .LBB493_34
.LBB493_32:
                                        ; implicit-def: $vgpr41
                                        ; implicit-def: $vgpr39
                                        ; implicit-def: $vgpr22_vgpr23_vgpr24_vgpr25
                                        ; implicit-def: $vgpr18_vgpr19_vgpr20_vgpr21
                                        ; implicit-def: $vgpr30_vgpr31_vgpr32_vgpr33
                                        ; implicit-def: $vgpr26_vgpr27_vgpr28_vgpr29
	s_cbranch_execz .LBB493_34
; %bb.33:
	s_waitcnt vmcnt(0)
	v_lshlrev_b32_e32 v18, 1, v36
	v_lshl_or_b32 v39, v35, 8, v18
	s_and_b32 s1, s1, 0xffff
	s_mov_b32 s3, 0x20000
	s_movk_i32 s2, 0x4000
	v_lshl_or_b32 v41, v38, 8, v18
	s_movk_i32 s4, 0x80
	buffer_load_dwordx4 v[22:25], v39, s[0:3], 0 offen
	buffer_load_dwordx4 v[18:21], v39, s[0:3], s4 offen
	;; [unrolled: 1-line block ×4, first 2 shown]
	v_lshrrev_b32_e32 v39, 3, v36
	v_lshlrev_b32_e32 v41, 3, v35
	v_or_b32_e32 v39, v41, v39
	v_lshlrev_b32_e32 v39, 4, v39
	v_and_b32_e32 v41, 0x78, v41
	v_xor_b32_e32 v41, v39, v41
	v_lshlrev_b32_e32 v39, 7, v38
.LBB493_34:
	s_lshl_b64 s[0:1], s[46:47], 8
	s_add_u32 s4, s16, s0
	s_movk_i32 s0, 0x1000
	v_and_or_b32 v38, v39, s0, v41
	s_waitcnt vmcnt(1)
	ds_write_b64 v41, v[22:23] offset:24576
	v_xor_b32_e32 v22, 8, v41
	ds_write_b64 v22, v[24:25] offset:24576
	s_waitcnt vmcnt(0)
	ds_write_b64 v41, v[18:19] offset:32768
	ds_write_b64 v22, v[20:21] offset:32768
	;; [unrolled: 1-line block ×3, first 2 shown]
	v_xor_b32_e32 v18, 8, v38
	ds_write_b64 v18, v[32:33] offset:24576
	ds_write_b64 v38, v[26:27] offset:32768
	;; [unrolled: 1-line block ×3, first 2 shown]
	v_or_b32_e32 v18, v59, v62
	v_lshlrev_b32_e32 v18, 3, v18
	v_lshrrev_b32_e32 v19, 5, v60
	s_movk_i32 s7, 0xf8
	v_and_or_b32 v19, v18, s7, v19
	v_lshlrev_b32_e32 v23, 4, v19
	v_lshlrev_b32_e32 v41, 11, v58
	v_and_b32_e32 v24, 0x78, v18
	v_or_b32_e32 v26, 32, v23
	v_and_b32_e32 v22, 0x1000, v41
	v_lshrrev_b32_e32 v19, 1, v60
	v_xor_b32_e32 v26, v26, v24
	v_xor_b32_e32 v18, v23, v24
	v_and_b32_e32 v25, 8, v19
	v_or_b32_e32 v26, v26, v22
	v_or_b32_e32 v18, v18, v22
	v_xor_b32_e32 v45, v26, v25
	v_or_b32_e32 v26, 64, v23
	v_xor_b32_e32 v44, v18, v25
	v_xor_b32_e32 v26, v26, v24
	s_waitcnt lgkmcnt(0)
	s_barrier
	v_or_b32_e32 v28, v26, v22
	ds_read_b64 v[26:27], v44 offset:24576
	v_lshl_or_b32 v38, v61, 7, v40
	v_lshlrev_b32_e32 v42, 1, v38
	v_add_u32_e32 v18, 0xa000, v42
	ds_read2_b64 v[18:21], v18 offset1:16
	v_or_b32_e32 v23, 0x60, v23
	v_xor_b32_e32 v23, v23, v24
	s_waitcnt lgkmcnt(0)
	v_mfma_f32_16x16x16_bf16 a[0:3], v[26:27], v[18:19], 0
	v_or_b32_e32 v18, 64, v38
	v_or_b32_e32 v22, v23, v22
	v_lshlrev_b32_e32 v43, 1, v18
	v_xor_b32_e32 v46, v28, v25
	v_xor_b32_e32 v47, v22, v25
	ds_read_b64 v[28:29], v45 offset:24576
	ds_read_b64 v[30:31], v46 offset:24576
	;; [unrolled: 1-line block ×3, first 2 shown]
	v_mfma_f32_16x16x16_bf16 a[4:7], v[26:27], v[20:21], 0
	ds_read2st64_b64 v[18:21], v43 offset0:82 offset1:84
	ds_read2st64_b64 v[22:25], v42 offset0:82 offset1:84
	s_addc_u32 s5, s17, s1
	s_add_i32 s2, s28, -1
	s_add_i32 s0, s48, s37
	s_mul_i32 s13, s13, s36
	s_add_i32 s13, s0, s13
	s_mul_i32 s0, s33, s39
	s_mul_hi_u32 s1, s33, s38
	s_ashr_i32 s3, s2, 31
	s_mul_i32 s6, s2, s41
	s_mul_hi_u32 s7, s2, s40
	s_add_i32 s0, s1, s0
	s_mul_i32 s1, s30, s38
	s_add_i32 s6, s7, s6
	s_mul_i32 s3, s3, s40
	s_waitcnt lgkmcnt(1)
	v_mfma_f32_16x16x16_bf16 a[4:7], v[28:29], v[18:19], a[4:7]
	s_add_i32 s1, s0, s1
	s_add_i32 s3, s6, s3
	s_lshl_b64 s[6:7], s[12:13], 2
	s_waitcnt lgkmcnt(0)
	v_mfma_f32_16x16x16_bf16 a[0:3], v[28:29], v[22:23], a[0:3]
	s_mul_i32 s0, s33, s38
	s_add_u32 s6, s22, s6
	s_addc_u32 s7, s23, s7
	s_lshl_b64 s[0:1], s[0:1], 2
	s_mul_i32 s2, s2, s40
	s_add_u32 s12, s6, s0
	ds_read_b64 v[18:19], v42 offset:44032
	v_mfma_f32_16x16x16_bf16 a[4:7], v[30:31], v[20:21], a[4:7]
	ds_read_b64 v[20:21], v43 offset:44032
	s_addc_u32 s13, s7, s1
	s_lshl_b64 s[0:1], s[2:3], 2
	v_mfma_f32_16x16x16_bf16 a[0:3], v[30:31], v[24:25], a[0:3]
	s_add_u32 s0, s12, s0
	s_addc_u32 s1, s13, s1
	s_load_dword s16, s[0:1], 0x0
	s_waitcnt lgkmcnt(0)
	v_mfma_f32_16x16x16_bf16 a[0:3], v[32:33], v[18:19], a[0:3]
	s_and_b64 vcc, exec, s[44:45]
	v_mfma_f32_16x16x16_bf16 a[4:7], v[32:33], v[20:21], a[4:7]
	s_cbranch_vccz .LBB493_45
; %bb.35:
	v_lshlrev_b32_e32 v38, 1, v35
	s_and_b64 vcc, exec, s[14:15]
	s_cbranch_vccz .LBB493_46
; %bb.36:
	v_cmp_gt_i32_e32 vcc, s54, v38
	v_mov_b32_e32 v22, 0
	v_mov_b32_e32 v18, 0
	;; [unrolled: 1-line block ×5, first 2 shown]
	s_and_saveexec_b64 s[0:1], vcc
	s_cbranch_execz .LBB493_38
; %bb.37:
	v_mad_i64_i32 v[18:19], s[2:3], s31, v38, 0
	v_lshl_add_u64 v[18:19], v[18:19], 1, s[4:5]
	v_lshlrev_b32_e32 v20, 1, v36
	v_mov_b32_e32 v21, 0
	v_lshl_add_u64 v[18:19], v[18:19], 0, v[20:21]
	global_load_dwordx4 v[18:21], v[18:19], off
.LBB493_38:
	s_or_b64 exec, exec, s[0:1]
	v_or_b32_e32 v39, 1, v38
	v_cmp_gt_i32_e64 s[0:1], s54, v39
	v_mov_b32_e32 v23, 0
	v_mov_b32_e32 v24, 0
	;; [unrolled: 1-line block ×3, first 2 shown]
	s_and_saveexec_b64 s[2:3], s[0:1]
	s_cbranch_execz .LBB493_40
; %bb.39:
	v_mad_i64_i32 v[22:23], s[6:7], s31, v39, 0
	v_lshl_add_u64 v[22:23], v[22:23], 1, s[4:5]
	v_lshlrev_b32_e32 v24, 1, v36
	v_mov_b32_e32 v25, 0
	v_lshl_add_u64 v[22:23], v[22:23], 0, v[24:25]
	global_load_dwordx4 v[22:25], v[22:23], off
.LBB493_40:
	s_or_b64 exec, exec, s[2:3]
	v_mov_b32_e32 v33, 0
	v_mov_b32_e32 v26, 0
	;; [unrolled: 1-line block ×5, first 2 shown]
	s_and_saveexec_b64 s[2:3], vcc
	s_cbranch_execz .LBB493_42
; %bb.41:
	v_mad_i64_i32 v[26:27], s[6:7], s31, v38, 0
	v_lshl_add_u64 v[26:27], v[26:27], 1, s[4:5]
	v_lshlrev_b32_e32 v28, 1, v36
	v_mov_b32_e32 v29, 0
	v_lshl_add_u64 v[26:27], v[26:27], 0, v[28:29]
	global_load_dwordx4 v[26:29], v[26:27], off offset:128
.LBB493_42:
	s_or_b64 exec, exec, s[2:3]
	v_mov_b32_e32 v32, 0
	v_mov_b32_e32 v31, 0
	v_mov_b32_e32 v30, 0
	s_and_saveexec_b64 s[2:3], s[0:1]
	s_cbranch_execz .LBB493_44
; %bb.43:
	v_mad_i64_i32 v[30:31], s[0:1], s31, v39, 0
	v_lshl_add_u64 v[30:31], v[30:31], 1, s[4:5]
	v_lshlrev_b32_e32 v32, 1, v36
	v_mov_b32_e32 v33, 0
	v_lshl_add_u64 v[30:31], v[30:31], 0, v[32:33]
	global_load_dwordx4 v[30:33], v[30:31], off offset:128
.LBB493_44:
	s_or_b64 exec, exec, s[2:3]
	s_branch .LBB493_48
.LBB493_45:
                                        ; implicit-def: $vgpr21
                                        ; implicit-def: $vgpr25
                                        ; implicit-def: $vgpr29
                                        ; implicit-def: $vgpr33
	v_lshrrev_b32_e32 v48, 2, v60
	s_branch .LBB493_49
.LBB493_46:
                                        ; implicit-def: $vgpr21
                                        ; implicit-def: $vgpr25
                                        ; implicit-def: $vgpr29
                                        ; implicit-def: $vgpr33
	s_cbranch_execz .LBB493_48
; %bb.47:
	s_waitcnt vmcnt(0)
	v_mad_u64_u32 v[18:19], s[0:1], v38, s31, v[36:37]
	v_lshlrev_b32_e32 v38, 1, v18
	s_lshl_b32 s2, s31, 7
	s_and_b32 s1, s5, 0xffff
	s_mov_b32 s3, 0x20000
	s_mov_b32 s0, s4
	v_add_lshl_u32 v39, v18, s31, 1
	s_movk_i32 s6, 0x80
	buffer_load_dwordx4 v[18:21], v38, s[0:3], 0 offen
	buffer_load_dwordx4 v[26:29], v38, s[0:3], s6 offen
	;; [unrolled: 1-line block ×4, first 2 shown]
.LBB493_48:
	v_lshrrev_b32_e32 v48, 2, v60
	s_cbranch_execnz .LBB493_61
.LBB493_49:
	s_and_b64 vcc, exec, s[14:15]
	s_cbranch_vccz .LBB493_59
; %bb.50:
	s_waitcnt vmcnt(0)
	v_lshlrev_b32_e32 v23, 1, v35
	v_cmp_gt_i32_e32 vcc, s54, v23
	v_mov_b32_e32 v22, 0
	v_lshlrev_b32_e32 v30, 9, v35
	v_mov_b32_e32 v18, 0
	v_mov_b32_e32 v19, 0
	;; [unrolled: 1-line block ×4, first 2 shown]
	s_and_saveexec_b64 s[0:1], vcc
	s_cbranch_execz .LBB493_52
; %bb.51:
	v_mov_b32_e32 v31, 0
	v_lshl_add_u64 v[18:19], s[4:5], 0, v[30:31]
	v_lshlrev_b32_e32 v20, 1, v36
	v_mov_b32_e32 v21, v31
	v_lshl_add_u64 v[18:19], v[18:19], 0, v[20:21]
	global_load_dwordx4 v[18:21], v[18:19], off
.LBB493_52:
	s_or_b64 exec, exec, s[0:1]
	v_or_b32_e32 v23, 1, v23
	v_cmp_gt_i32_e64 s[0:1], s54, v23
	v_lshlrev_b32_e32 v38, 8, v23
	v_mov_b32_e32 v23, 0
	v_mov_b32_e32 v24, 0
	;; [unrolled: 1-line block ×3, first 2 shown]
	s_and_saveexec_b64 s[2:3], s[0:1]
	s_cbranch_execz .LBB493_54
; %bb.53:
	v_mov_b32_e32 v39, 0
	v_lshl_add_u64 v[22:23], s[4:5], 0, v[38:39]
	v_lshlrev_b32_e32 v24, 1, v36
	v_mov_b32_e32 v25, v39
	v_lshl_add_u64 v[22:23], v[22:23], 0, v[24:25]
	global_load_dwordx4 v[22:25], v[22:23], off
.LBB493_54:
	s_or_b64 exec, exec, s[2:3]
	v_mov_b32_e32 v33, 0
	v_mov_b32_e32 v26, 0
	;; [unrolled: 1-line block ×5, first 2 shown]
	s_and_saveexec_b64 s[2:3], vcc
	s_cbranch_execz .LBB493_56
; %bb.55:
	v_mov_b32_e32 v31, 0
	v_lshl_add_u64 v[26:27], s[4:5], 0, v[30:31]
	v_lshlrev_b32_e32 v30, 1, v36
	v_lshl_add_u64 v[26:27], v[26:27], 0, v[30:31]
	global_load_dwordx4 v[26:29], v[26:27], off offset:128
.LBB493_56:
	s_or_b64 exec, exec, s[2:3]
	v_mov_b32_e32 v32, 0
	v_mov_b32_e32 v31, 0
	;; [unrolled: 1-line block ×3, first 2 shown]
	s_and_saveexec_b64 s[2:3], s[0:1]
	s_cbranch_execz .LBB493_58
; %bb.57:
	v_mov_b32_e32 v39, 0
	v_lshl_add_u64 v[30:31], s[4:5], 0, v[38:39]
	v_lshlrev_b32_e32 v38, 1, v36
	v_lshl_add_u64 v[30:31], v[30:31], 0, v[38:39]
	global_load_dwordx4 v[30:33], v[30:31], off offset:128
.LBB493_58:
	s_or_b64 exec, exec, s[2:3]
	s_branch .LBB493_61
.LBB493_59:
                                        ; implicit-def: $vgpr21
                                        ; implicit-def: $vgpr25
                                        ; implicit-def: $vgpr29
                                        ; implicit-def: $vgpr33
	s_cbranch_execz .LBB493_61
; %bb.60:
	s_waitcnt vmcnt(0)
	v_lshlrev_b32_e32 v18, 1, v36
	v_lshl_or_b32 v36, v35, 9, v18
	s_and_b32 s5, s5, 0xffff
	s_mov_b32 s7, 0x20000
	s_movk_i32 s6, 0x4000
	s_movk_i32 s0, 0x80
	buffer_load_dwordx4 v[18:21], v36, s[4:7], 0 offen
	buffer_load_dwordx4 v[22:25], v36, s[4:7], 0 offen offset:256
	buffer_load_dwordx4 v[26:29], v36, s[4:7], s0 offen
	buffer_load_dwordx4 v[30:33], v36, s[4:7], s0 offen offset:256
.LBB493_61:
	ds_read_b64 v[38:39], v44 offset:32768
	v_add_u32_e32 v36, 0xb000, v42
	ds_read2_b64 v[50:53], v36 offset1:16
	ds_read_b64 v[54:55], v45 offset:32768
	ds_read_b64 v[56:57], v46 offset:32768
	ds_read_b64 v[60:61], v47 offset:32768
	v_and_b32_e32 v36, 6, v0
	v_xor_b32_e32 v35, v35, v36
	v_lshlrev_b32_e32 v35, 2, v35
	v_and_b32_e32 v49, 1, v0
	v_cmp_eq_u32_e32 vcc, 0, v49
	s_mov_b32 s0, 0x1000504
	s_waitcnt lgkmcnt(3)
	v_mfma_f32_16x16x16_bf16 a[0:3], v[38:39], v[50:51], a[0:3]
	s_mov_b32 s1, 0x3020706
	v_mfma_f32_16x16x16_bf16 a[4:7], v[38:39], v[52:53], a[4:7]
	ds_read2st64_b64 v[44:47], v42 offset0:90 offset1:92
	ds_read2st64_b64 v[50:53], v43 offset0:90 offset1:92
	s_waitcnt lgkmcnt(1)
	v_mfma_f32_16x16x16_bf16 a[0:3], v[54:55], v[44:45], a[0:3]
	ds_read_b64 v[38:39], v42 offset:48128
	ds_read_b64 v[44:45], v43 offset:48128
	s_waitcnt lgkmcnt(2)
	v_mfma_f32_16x16x16_bf16 a[4:7], v[54:55], v[50:51], a[4:7]
	v_mfma_f32_16x16x16_bf16 a[0:3], v[56:57], v[46:47], a[0:3]
	v_xor_b32_e32 v46, 0x440, v35
	v_cndmask_b32_e32 v35, v46, v35, vcc
	v_lshl_or_b32 v35, v36, 10, v35
	v_mfma_f32_16x16x16_bf16 a[8:11], v[56:57], v[52:53], a[4:7]
	s_waitcnt vmcnt(0)
	v_perm_b32 v36, v18, v22, s0
	v_perm_b32 v18, v18, v22, s1
	;; [unrolled: 1-line block ×3, first 2 shown]
	s_waitcnt lgkmcnt(1)
	v_mfma_f32_16x16x16_bf16 a[4:7], v[60:61], v[38:39], a[0:3]
	v_perm_b32 v38, v26, v30, s0
	ds_write2st64_b32 v35, v36, v38 offset0:32 offset1:64
	v_xor_b32_e32 v36, 8, v35
	v_add_u32_e32 v26, 0x80, v36
	ds_write2st64_b32 v26, v18, v22 offset0:32 offset1:64
	v_xor_b32_e32 v18, 16, v35
	v_perm_b32 v22, v19, v23, s0
	v_perm_b32 v26, v27, v31, s0
	ds_write2st64_b32 v18, v22, v26 offset0:33 offset1:65
	v_xor_b32_e32 v18, 24, v35
	v_perm_b32 v19, v19, v23, s1
	v_perm_b32 v22, v27, v31, s1
	v_add_u32_e32 v18, 0x80, v18
	ds_write2st64_b32 v18, v19, v22 offset0:33 offset1:65
	v_xor_b32_e32 v18, 32, v35
	v_perm_b32 v19, v20, v24, s0
	v_perm_b32 v22, v28, v32, s0
	ds_write2st64_b32 v18, v19, v22 offset0:34 offset1:66
	v_xor_b32_e32 v18, 40, v35
	s_waitcnt lgkmcnt(5)
	v_mfma_f32_16x16x16_bf16 a[0:3], v[60:61], v[44:45], a[8:11]
	v_perm_b32 v19, v20, v24, s1
	v_perm_b32 v20, v28, v32, s1
	v_add_u32_e32 v18, 0x80, v18
	ds_write2st64_b32 v18, v19, v20 offset0:34 offset1:66
	v_xor_b32_e32 v18, 48, v35
	v_perm_b32 v19, v21, v25, s0
	v_perm_b32 v20, v29, v33, s0
	ds_write2st64_b32 v18, v19, v20 offset0:35 offset1:67
	v_xor_b32_e32 v18, 56, v35
	v_and_or_b32 v45, v48, 12, v59
	v_perm_b32 v19, v21, v25, s1
	v_perm_b32 v20, v29, v33, s1
	v_add_u32_e32 v18, 0x80, v18
	v_cmp_gt_i32_e32 vcc, s54, v45
	v_mov_b32_e32 v36, 0
	v_mov_b32_e32 v39, 0
	ds_write2st64_b32 v18, v19, v20 offset0:35 offset1:67
	s_and_saveexec_b64 s[0:1], vcc
	s_cbranch_execz .LBB493_63
; %bb.62:
	v_add_u32_e32 v18, s53, v45
	v_ashrrev_i32_e32 v19, 31, v18
	v_mul_lo_u32 v20, v19, s40
	v_mul_lo_u32 v21, v18, s41
	v_mad_u64_u32 v[18:19], s[2:3], v18, s40, 0
	v_add3_u32 v19, v19, v21, v20
	v_lshl_add_u64 v[18:19], v[18:19], 2, s[12:13]
	global_load_dword v18, v[18:19], off
	s_waitcnt vmcnt(0)
	v_sub_f32_e32 v18, s16, v18
	v_mul_f32_e32 v18, 0x3fb8aa3b, v18
	v_exp_f32_e32 v39, v18
.LBB493_63:
	s_or_b64 exec, exec, s[0:1]
	v_or_b32_e32 v29, 1, v45
	v_cmp_gt_i32_e64 s[0:1], s54, v29
	s_and_saveexec_b64 s[2:3], s[0:1]
	s_cbranch_execz .LBB493_65
; %bb.64:
	v_add_u32_e32 v18, s53, v29
	v_ashrrev_i32_e32 v19, 31, v18
	v_mul_lo_u32 v20, v19, s40
	v_mul_lo_u32 v21, v18, s41
	v_mad_u64_u32 v[18:19], s[4:5], v18, s40, 0
	v_add3_u32 v19, v19, v21, v20
	v_lshl_add_u64 v[18:19], v[18:19], 2, s[12:13]
	global_load_dword v18, v[18:19], off
	s_waitcnt vmcnt(0)
	v_sub_f32_e32 v18, s16, v18
	v_mul_f32_e32 v18, 0x3fb8aa3b, v18
	v_exp_f32_e32 v36, v18
.LBB493_65:
	s_or_b64 exec, exec, s[2:3]
	v_or_b32_e32 v28, 2, v45
	v_cmp_gt_i32_e64 s[2:3], s54, v28
	v_mov_b32_e32 v38, 0
	v_mov_b32_e32 v44, 0
	s_and_saveexec_b64 s[4:5], s[2:3]
	s_cbranch_execz .LBB493_67
; %bb.66:
	v_add_u32_e32 v18, s53, v28
	v_ashrrev_i32_e32 v19, 31, v18
	v_mul_lo_u32 v20, v19, s40
	v_mul_lo_u32 v21, v18, s41
	v_mad_u64_u32 v[18:19], s[6:7], v18, s40, 0
	v_add3_u32 v19, v19, v21, v20
	v_lshl_add_u64 v[18:19], v[18:19], 2, s[12:13]
	global_load_dword v18, v[18:19], off
	s_waitcnt vmcnt(0)
	v_sub_f32_e32 v18, s16, v18
	v_mul_f32_e32 v18, 0x3fb8aa3b, v18
	v_exp_f32_e32 v44, v18
.LBB493_67:
	s_or_b64 exec, exec, s[4:5]
	v_or_b32_e32 v46, 3, v45
	v_cmp_gt_i32_e64 s[4:5], s54, v46
	s_and_saveexec_b64 s[6:7], s[4:5]
	s_cbranch_execz .LBB493_69
; %bb.68:
	v_add_u32_e32 v18, s53, v46
	v_ashrrev_i32_e32 v19, 31, v18
	v_mul_lo_u32 v20, v19, s40
	v_mul_lo_u32 v21, v18, s41
	v_mad_u64_u32 v[18:19], s[14:15], v18, s40, 0
	v_add3_u32 v19, v19, v21, v20
	v_lshl_add_u64 v[18:19], v[18:19], 2, s[12:13]
	global_load_dword v18, v[18:19], off
	s_waitcnt vmcnt(0)
	v_sub_f32_e32 v18, s16, v18
	v_mul_f32_e32 v18, 0x3fb8aa3b, v18
	v_exp_f32_e32 v38, v18
.LBB493_69:
	s_or_b64 exec, exec, s[6:7]
	s_add_u32 s6, s20, s10
	s_addc_u32 s7, s21, s11
	s_add_u32 s10, s26, s10
	v_ashrrev_i32_e32 v35, 31, v34
	v_accvgpr_read_b32 v21, a7
	s_addc_u32 s11, s27, s11
	v_lshlrev_b64 v[22:23], 1, v[34:35]
	v_accvgpr_read_b32 v20, a6
	v_accvgpr_read_b32 v19, a5
	;; [unrolled: 1-line block ×3, first 2 shown]
	v_lshl_add_u64 v[24:25], s[6:7], 0, v[22:23]
	v_lshl_add_u64 v[22:23], s[10:11], 0, v[22:23]
	v_mov_b32_e32 v31, 0
	v_lshlrev_b32_e32 v26, 8, v45
	v_mov_b32_e32 v27, 0
	s_and_saveexec_b64 s[6:7], vcc
	s_cbranch_execz .LBB493_71
; %bb.70:
	v_mov_b32_e32 v27, 0
	v_lshl_add_u64 v[32:33], v[24:25], 0, v[26:27]
	global_load_ushort v30, v[32:33], off
	v_lshl_add_u64 v[32:33], v[22:23], 0, v[26:27]
	s_waitcnt vmcnt(0)
	v_lshlrev_b32_e32 v27, 16, v30
	v_sub_f32_e32 v18, v27, v18
	global_store_short_d16_hi v[32:33], v18, off
	v_mul_f32_e32 v18, v39, v18
	v_lshrrev_b32_e32 v27, 16, v18
.LBB493_71:
	s_or_b64 exec, exec, s[6:7]
	v_lshlrev_b32_e32 v30, 8, v29
	s_and_saveexec_b64 s[6:7], s[0:1]
	s_cbranch_execz .LBB493_73
; %bb.72:
	v_mov_b32_e32 v31, 0
	v_lshl_add_u64 v[32:33], v[24:25], 0, v[30:31]
	global_load_ushort v18, v[32:33], off
	v_lshl_add_u64 v[32:33], v[22:23], 0, v[30:31]
	s_waitcnt vmcnt(0)
	v_lshlrev_b32_e32 v18, 16, v18
	v_sub_f32_e32 v18, v18, v19
	global_store_short_d16_hi v[32:33], v18, off
	v_mul_f32_e32 v18, v36, v18
	v_lshrrev_b32_e32 v31, 16, v18
.LBB493_73:
	s_or_b64 exec, exec, s[6:7]
	v_mov_b32_e32 v29, 0
	v_lshlrev_b32_e32 v32, 8, v28
	v_mov_b32_e32 v33, 0
	s_and_saveexec_b64 s[6:7], s[2:3]
	s_cbranch_execz .LBB493_75
; %bb.74:
	v_mov_b32_e32 v33, 0
	v_lshl_add_u64 v[18:19], v[24:25], 0, v[32:33]
	global_load_ushort v28, v[18:19], off
	v_lshl_add_u64 v[18:19], v[22:23], 0, v[32:33]
	s_waitcnt vmcnt(0)
	v_lshlrev_b32_e32 v28, 16, v28
	v_sub_f32_e32 v20, v28, v20
	global_store_short_d16_hi v[18:19], v20, off
	v_mul_f32_e32 v18, v44, v20
	v_lshrrev_b32_e32 v33, 16, v18
.LBB493_75:
	s_or_b64 exec, exec, s[6:7]
	v_lshlrev_b32_e32 v28, 8, v46
	s_and_saveexec_b64 s[6:7], s[4:5]
	s_cbranch_execz .LBB493_77
; %bb.76:
	v_mov_b32_e32 v29, 0
	v_lshl_add_u64 v[18:19], v[24:25], 0, v[28:29]
	global_load_ushort v20, v[18:19], off
	v_lshl_add_u64 v[18:19], v[22:23], 0, v[28:29]
	s_waitcnt vmcnt(0)
	v_lshlrev_b32_e32 v20, 16, v20
	v_sub_f32_e32 v20, v20, v21
	global_store_short_d16_hi v[18:19], v20, off
	v_mul_f32_e32 v18, v38, v20
	v_lshrrev_b32_e32 v29, 16, v18
.LBB493_77:
	s_or_b64 exec, exec, s[6:7]
	v_lshlrev_b32_e32 v35, 5, v45
	s_mov_b32 s6, 0x5040100
	v_perm_b32 v46, v31, v27, s6
	v_or_b32_e32 v27, v35, v40
	v_accvgpr_read_b32 v21, a3
	v_perm_b32 v47, v29, v33, s6
	v_lshlrev_b32_e32 v27, 1, v27
	v_accvgpr_read_b32 v20, a2
	v_accvgpr_read_b32 v19, a1
	;; [unrolled: 1-line block ×3, first 2 shown]
	ds_write_b64 v27, v[46:47] offset:45056
	v_mov_b32_e32 v31, 0
	v_mov_b32_e32 v27, 0
	s_and_saveexec_b64 s[6:7], vcc
	s_cbranch_execz .LBB493_79
; %bb.78:
	v_mov_b32_e32 v27, 0
	v_lshl_add_u64 v[46:47], v[24:25], 0, v[26:27]
	global_load_ushort v29, v[46:47], off offset:32
	v_lshl_add_u64 v[26:27], v[22:23], 0, v[26:27]
	s_waitcnt vmcnt(0)
	v_lshlrev_b32_e32 v29, 16, v29
	v_sub_f32_e32 v18, v29, v18
	global_store_short_d16_hi v[26:27], v18, off offset:32
	v_mul_f32_e32 v18, v39, v18
	v_lshrrev_b32_e32 v27, 16, v18
.LBB493_79:
	s_or_b64 exec, exec, s[6:7]
	s_and_saveexec_b64 s[6:7], s[0:1]
	s_cbranch_execz .LBB493_81
; %bb.80:
	v_mov_b32_e32 v31, 0
	v_lshl_add_u64 v[46:47], v[24:25], 0, v[30:31]
	global_load_ushort v18, v[46:47], off offset:32
	v_lshl_add_u64 v[30:31], v[22:23], 0, v[30:31]
	s_waitcnt vmcnt(0)
	v_lshlrev_b32_e32 v18, 16, v18
	v_sub_f32_e32 v18, v18, v19
	global_store_short_d16_hi v[30:31], v18, off offset:32
	v_mul_f32_e32 v18, v36, v18
	v_lshrrev_b32_e32 v31, 16, v18
.LBB493_81:
	s_or_b64 exec, exec, s[6:7]
	v_mov_b32_e32 v26, 0
	v_mov_b32_e32 v30, 0
	s_and_saveexec_b64 s[0:1], s[2:3]
	s_cbranch_execz .LBB493_83
; %bb.82:
	v_mov_b32_e32 v33, 0
	v_lshl_add_u64 v[18:19], v[24:25], 0, v[32:33]
	global_load_ushort v29, v[18:19], off offset:32
	v_lshl_add_u64 v[18:19], v[22:23], 0, v[32:33]
	s_waitcnt vmcnt(0)
	v_lshlrev_b32_e32 v29, 16, v29
	v_sub_f32_e32 v20, v29, v20
	global_store_short_d16_hi v[18:19], v20, off offset:32
	v_mul_f32_e32 v18, v44, v20
	v_lshrrev_b32_e32 v30, 16, v18
.LBB493_83:
	s_or_b64 exec, exec, s[0:1]
	v_or_b32_e32 v19, 0xb000, v42
	v_or_b32_e32 v18, 0xb000, v43
	s_and_saveexec_b64 s[0:1], s[4:5]
	s_cbranch_execz .LBB493_85
; %bb.84:
	v_mov_b32_e32 v29, 0
	v_lshl_add_u64 v[24:25], v[24:25], 0, v[28:29]
	global_load_ushort v20, v[24:25], off offset:32
	v_lshl_add_u64 v[22:23], v[22:23], 0, v[28:29]
	s_waitcnt vmcnt(0)
	v_lshlrev_b32_e32 v20, 16, v20
	v_sub_f32_e32 v20, v20, v21
	global_store_short_d16_hi v[22:23], v20, off offset:32
	v_mul_f32_e32 v20, v38, v20
	v_lshrrev_b32_e32 v26, 16, v20
.LBB493_85:
	s_or_b64 exec, exec, s[0:1]
	s_mov_b32 s0, 0x5040100
	v_or_b32_e32 v22, v35, v37
	v_perm_b32 v21, v26, v30, s0
	v_perm_b32 v20, v31, v27, s0
	v_lshlrev_b32_e32 v22, 1, v22
	s_movk_i32 s0, 0x100
	ds_write_b64 v22, v[20:21] offset:45056
	v_and_b32_e32 v20, 7, v0
	v_and_b32_e32 v21, 8, v0
	v_cmp_gt_u32_e32 vcc, s0, v0
	v_lshrrev_b32_e32 v0, 1, v0
	v_lshlrev_b32_e32 v35, 3, v20
	v_lshlrev_b32_e32 v36, 7, v20
	v_mov_b32_e32 v20, 0x4000
	v_mov_b32_e32 v22, 0x2000
	v_lshlrev_b32_e32 v38, 3, v58
	v_and_b32_e32 v0, 24, v0
	v_cndmask_b32_e32 v37, v20, v22, vcc
	v_xor_b32_e32 v20, v38, v0
	v_or_b32_e32 v26, 32, v0
	v_or_b32_e32 v22, 0x440, v20
	v_cmp_eq_u32_e32 vcc, 0, v21
	v_xor_b32_e32 v26, v38, v26
	v_or_b32_e32 v27, 0x440, v26
	v_cndmask_b32_e32 v20, v22, v20, vcc
	v_or_b32_e32 v20, v20, v41
	v_cndmask_b32_e32 v26, v27, v26, vcc
	v_xad_u32 v40, v20, v35, v36
	v_or_b32_e32 v26, v26, v41
	v_add_u32_e32 v20, v37, v40
	v_xad_u32 v42, v26, v35, v36
	s_waitcnt lgkmcnt(0)
	s_barrier
	ds_read_b64 v[24:25], v20
	ds_read2_b64 v[20:23], v19 offset1:16
	v_add_u32_e32 v26, v37, v42
	ds_read_b64 v[32:33], v26
	s_waitcnt lgkmcnt(1)
	v_mfma_f32_16x16x16_bf16 a[0:3], v[24:25], v[20:21], 0
	ds_read2st64_b64 v[28:31], v18 offset0:2 offset1:4
	v_mfma_f32_16x16x16_bf16 a[4:7], v[24:25], v[22:23], 0
	ds_read2st64_b64 v[24:27], v19 offset0:2 offset1:4
	s_waitcnt lgkmcnt(0)
	v_mfma_f32_16x16x16_bf16 a[0:3], v[32:33], v[24:25], a[0:3]
	v_mfma_f32_16x16x16_bf16 a[4:7], v[32:33], v[28:29], a[4:7]
	v_or_b32_e32 v32, 64, v0
	v_xor_b32_e32 v32, v38, v32
	v_xor_b32_e32 v33, 0x440, v32
	v_cndmask_b32_e32 v32, v33, v32, vcc
	v_or_b32_e32 v32, v32, v41
	v_or_b32_e32 v0, 0x60, v0
	v_xad_u32 v43, v32, v35, v36
	v_xor_b32_e32 v0, v38, v0
	v_add_u32_e32 v32, v37, v43
	v_xor_b32_e32 v38, 0x440, v0
	ds_read_b64 v[32:33], v32
	v_cndmask_b32_e32 v0, v38, v0, vcc
	v_or_b32_e32 v0, v0, v41
	v_xad_u32 v0, v0, v35, v36
	v_add_u32_e32 v35, v37, v0
	ds_read_b64 v[36:37], v35
	s_waitcnt lgkmcnt(1)
	v_mfma_f32_16x16x16_bf16 a[0:3], v[32:33], v[26:27], a[0:3]
	v_mov_b32_e32 v35, 0x3fb8aa3b
	v_mfma_f32_16x16x16_bf16 a[4:7], v[32:33], v[30:31], a[4:7]
	ds_read_b64 v[32:33], v19 offset:3072
	ds_read_b64 v[38:39], v18 offset:3072
	;; [unrolled: 1-line block ×3, first 2 shown]
	s_waitcnt lgkmcnt(2)
	v_mfma_f32_16x16x16_bf16 a[0:3], v[36:37], v[32:33], a[0:3]
	s_waitcnt lgkmcnt(1)
	v_mfma_f32_16x16x16_bf16 a[4:7], v[36:37], v[38:39], a[4:7]
	ds_read_b64 v[36:37], v42 offset:16384
	s_waitcnt lgkmcnt(1)
	v_mfma_f32_16x16x16_bf16 a[8:11], v[18:19], v[20:21], 0
	v_mul_f32_e32 v20, s16, v35
	v_exp_f32_e32 v35, v20
	v_accvgpr_read_b32 v21, a3
	v_mfma_f32_16x16x16_bf16 a[12:15], v[18:19], v[22:23], 0
	ds_read_b64 v[22:23], v43 offset:16384
	v_accvgpr_read_b32 v18, a0
	v_fma_f32 v18, v2, v35, v18
	v_accvgpr_read_b32 v2, a1
	v_fma_f32 v19, v3, v35, v2
	;; [unrolled: 2-line block ×3, first 2 shown]
	ds_read_b64 v[2:3], v0 offset:16384
	s_waitcnt lgkmcnt(2)
	v_mfma_f32_16x16x16_bf16 a[8:11], v[36:37], v[24:25], a[8:11]
	v_accvgpr_read_b32 v0, a4
	v_fmac_f32_e32 v21, v5, v35
	v_mfma_f32_16x16x16_bf16 a[12:15], v[36:37], v[28:29], a[12:15]
	v_accvgpr_read_b32 v29, a7
	v_fmac_f32_e32 v29, v13, v35
	s_waitcnt lgkmcnt(1)
	v_mfma_f32_16x16x16_bf16 a[0:3], v[22:23], v[26:27], a[8:11]
	v_fma_f32 v26, v10, v35, v0
	v_accvgpr_read_b32 v0, a5
	v_fma_f32 v27, v11, v35, v0
	v_mfma_f32_16x16x16_bf16 a[8:11], v[22:23], v[30:31], a[12:15]
	v_accvgpr_read_b32 v0, a6
	v_fma_f32 v28, v12, v35, v0
	s_waitcnt lgkmcnt(0)
	v_mfma_f32_16x16x16_bf16 a[0:3], v[2:3], v[32:33], a[0:3]
	v_mfma_f32_16x16x16_bf16 a[4:7], v[2:3], v[38:39], a[8:11]
	s_nop 5
	v_accvgpr_read_b32 v0, a0
	v_fma_f32 v22, v6, v35, v0
	v_accvgpr_read_b32 v0, a1
	v_fma_f32 v23, v7, v35, v0
	;; [unrolled: 2-line block ×4, first 2 shown]
	v_accvgpr_read_b32 v0, a5
	v_accvgpr_read_b32 v25, a3
	v_fma_f32 v31, v15, v35, v0
	v_accvgpr_read_b32 v0, a6
	v_accvgpr_read_b32 v33, a7
	v_fmac_f32_e32 v25, v9, v35
	v_fma_f32 v32, v16, v35, v0
	v_fmac_f32_e32 v33, v17, v35
	v_mov_b64_e32 v[2:3], v[18:19]
	v_mov_b64_e32 v[4:5], v[20:21]
	;; [unrolled: 1-line block ×8, first 2 shown]
	v_mov_b32_e32 v18, v34
.LBB493_86:
	s_lshl_b64 s[0:1], s[8:9], 16
	s_waitcnt lgkmcnt(0)
	s_add_u32 s0, s34, s0
	v_lshlrev_b32_e32 v18, 7, v18
	s_addc_u32 s1, s35, s1
	v_ashrrev_i32_e32 v19, 31, v18
	v_lshl_add_u64 v[20:21], v[18:19], 2, s[0:1]
	v_lshlrev_b32_e32 v0, 2, v1
	v_mov_b32_e32 v1, 0
	v_lshl_add_u64 v[20:21], v[20:21], 0, v[0:1]
	global_store_dwordx4 v[20:21], v[2:5], off
	global_store_dwordx4 v[20:21], v[6:9], off offset:256
	s_nop 0
	v_or_b32_e32 v2, 0x800, v18
	v_ashrrev_i32_e32 v3, 31, v2
	v_lshl_add_u64 v[2:3], v[2:3], 2, s[0:1]
	v_lshl_add_u64 v[0:1], v[2:3], 0, v[0:1]
	global_store_dwordx4 v[0:1], v[10:13], off
	global_store_dwordx4 v[0:1], v[14:17], off offset:256
	s_endpgm
	.section	.rodata,"a",@progbits
	.p2align	6, 0x0
	.amdhsa_kernel _ZN12_GLOBAL__N_139chunk_gated_delta_rule_fwd_h_hip_kernelILi32ELb0ELb1ELb1ELb0ELb0ELb0ELb1ELb0EEEvPK12hip_bfloat16S3_S3_PKfS5_PKvPS1_S8_PvPKiSB_iiiiilll
		.amdhsa_group_segment_fixed_size 49152
		.amdhsa_private_segment_fixed_size 0
		.amdhsa_kernarg_size 136
		.amdhsa_user_sgpr_count 2
		.amdhsa_user_sgpr_dispatch_ptr 0
		.amdhsa_user_sgpr_queue_ptr 0
		.amdhsa_user_sgpr_kernarg_segment_ptr 1
		.amdhsa_user_sgpr_dispatch_id 0
		.amdhsa_user_sgpr_kernarg_preload_length 0
		.amdhsa_user_sgpr_kernarg_preload_offset 0
		.amdhsa_user_sgpr_private_segment_size 0
		.amdhsa_uses_dynamic_stack 0
		.amdhsa_enable_private_segment 0
		.amdhsa_system_sgpr_workgroup_id_x 1
		.amdhsa_system_sgpr_workgroup_id_y 1
		.amdhsa_system_sgpr_workgroup_id_z 0
		.amdhsa_system_sgpr_workgroup_info 0
		.amdhsa_system_vgpr_workitem_id 0
		.amdhsa_next_free_vgpr 152
		.amdhsa_next_free_sgpr 68
		.amdhsa_accum_offset 136
		.amdhsa_reserve_vcc 1
		.amdhsa_float_round_mode_32 0
		.amdhsa_float_round_mode_16_64 0
		.amdhsa_float_denorm_mode_32 3
		.amdhsa_float_denorm_mode_16_64 3
		.amdhsa_dx10_clamp 1
		.amdhsa_ieee_mode 1
		.amdhsa_fp16_overflow 0
		.amdhsa_tg_split 0
		.amdhsa_exception_fp_ieee_invalid_op 0
		.amdhsa_exception_fp_denorm_src 0
		.amdhsa_exception_fp_ieee_div_zero 0
		.amdhsa_exception_fp_ieee_overflow 0
		.amdhsa_exception_fp_ieee_underflow 0
		.amdhsa_exception_fp_ieee_inexact 0
		.amdhsa_exception_int_div_zero 0
	.end_amdhsa_kernel
	.section	.text._ZN12_GLOBAL__N_139chunk_gated_delta_rule_fwd_h_hip_kernelILi32ELb0ELb1ELb1ELb0ELb0ELb0ELb1ELb0EEEvPK12hip_bfloat16S3_S3_PKfS5_PKvPS1_S8_PvPKiSB_iiiiilll,"axG",@progbits,_ZN12_GLOBAL__N_139chunk_gated_delta_rule_fwd_h_hip_kernelILi32ELb0ELb1ELb1ELb0ELb0ELb0ELb1ELb0EEEvPK12hip_bfloat16S3_S3_PKfS5_PKvPS1_S8_PvPKiSB_iiiiilll,comdat
.Lfunc_end493:
	.size	_ZN12_GLOBAL__N_139chunk_gated_delta_rule_fwd_h_hip_kernelILi32ELb0ELb1ELb1ELb0ELb0ELb0ELb1ELb0EEEvPK12hip_bfloat16S3_S3_PKfS5_PKvPS1_S8_PvPKiSB_iiiiilll, .Lfunc_end493-_ZN12_GLOBAL__N_139chunk_gated_delta_rule_fwd_h_hip_kernelILi32ELb0ELb1ELb1ELb0ELb0ELb0ELb1ELb0EEEvPK12hip_bfloat16S3_S3_PKfS5_PKvPS1_S8_PvPKiSB_iiiiilll
                                        ; -- End function
	.section	.AMDGPU.csdata,"",@progbits
; Kernel info:
; codeLenInByte = 9720
; NumSgprs: 74
; NumVgprs: 134
; NumAgprs: 16
; TotalNumVgprs: 152
; ScratchSize: 0
; MemoryBound: 0
; FloatMode: 240
; IeeeMode: 1
; LDSByteSize: 49152 bytes/workgroup (compile time only)
; SGPRBlocks: 9
; VGPRBlocks: 18
; NumSGPRsForWavesPerEU: 74
; NumVGPRsForWavesPerEU: 152
; AccumOffset: 136
; Occupancy: 1
; WaveLimiterHint : 1
; COMPUTE_PGM_RSRC2:SCRATCH_EN: 0
; COMPUTE_PGM_RSRC2:USER_SGPR: 2
; COMPUTE_PGM_RSRC2:TRAP_HANDLER: 0
; COMPUTE_PGM_RSRC2:TGID_X_EN: 1
; COMPUTE_PGM_RSRC2:TGID_Y_EN: 1
; COMPUTE_PGM_RSRC2:TGID_Z_EN: 0
; COMPUTE_PGM_RSRC2:TIDIG_COMP_CNT: 0
; COMPUTE_PGM_RSRC3_GFX90A:ACCUM_OFFSET: 33
; COMPUTE_PGM_RSRC3_GFX90A:TG_SPLIT: 0
	.section	.text._ZN12_GLOBAL__N_139chunk_gated_delta_rule_fwd_h_hip_kernelILi32ELb0ELb1ELb0ELb0ELb0ELb0ELb1ELb0EEEvPK12hip_bfloat16S3_S3_PKfS5_PKvPS1_S8_PvPKiSB_iiiiilll,"axG",@progbits,_ZN12_GLOBAL__N_139chunk_gated_delta_rule_fwd_h_hip_kernelILi32ELb0ELb1ELb0ELb0ELb0ELb0ELb1ELb0EEEvPK12hip_bfloat16S3_S3_PKfS5_PKvPS1_S8_PvPKiSB_iiiiilll,comdat
	.globl	_ZN12_GLOBAL__N_139chunk_gated_delta_rule_fwd_h_hip_kernelILi32ELb0ELb1ELb0ELb0ELb0ELb0ELb1ELb0EEEvPK12hip_bfloat16S3_S3_PKfS5_PKvPS1_S8_PvPKiSB_iiiiilll ; -- Begin function _ZN12_GLOBAL__N_139chunk_gated_delta_rule_fwd_h_hip_kernelILi32ELb0ELb1ELb0ELb0ELb0ELb0ELb1ELb0EEEvPK12hip_bfloat16S3_S3_PKfS5_PKvPS1_S8_PvPKiSB_iiiiilll
	.p2align	8
	.type	_ZN12_GLOBAL__N_139chunk_gated_delta_rule_fwd_h_hip_kernelILi32ELb0ELb1ELb0ELb0ELb0ELb0ELb1ELb0EEEvPK12hip_bfloat16S3_S3_PKfS5_PKvPS1_S8_PvPKiSB_iiiiilll,@function
_ZN12_GLOBAL__N_139chunk_gated_delta_rule_fwd_h_hip_kernelILi32ELb0ELb1ELb0ELb0ELb0ELb0ELb1ELb0EEEvPK12hip_bfloat16S3_S3_PKfS5_PKvPS1_S8_PvPKiSB_iiiiilll: ; @_ZN12_GLOBAL__N_139chunk_gated_delta_rule_fwd_h_hip_kernelILi32ELb0ELb1ELb0ELb0ELb0ELb0ELb1ELb0EEEvPK12hip_bfloat16S3_S3_PKfS5_PKvPS1_S8_PvPKiSB_iiiiilll
; %bb.0:
	s_load_dwordx4 s[24:27], s[0:1], 0x5c
	s_load_dwordx4 s[28:31], s[0:1], 0x70
	s_abs_i32 s6, s3
	s_ashr_i32 s5, s3, 31
	s_load_dwordx8 s[16:23], s[0:1], 0x0
	s_waitcnt lgkmcnt(0)
	s_abs_i32 s4, s25
	v_cvt_f32_u32_e32 v1, s4
	s_sub_i32 s8, 0, s4
	s_ashr_i32 s7, s25, 31
	s_xor_b32 s5, s5, s7
	v_rcp_iflag_f32_e32 v1, v1
	s_load_dwordx2 s[34:35], s[0:1], 0x40
	s_load_dwordx2 s[38:39], s[0:1], 0x30
	;; [unrolled: 1-line block ×3, first 2 shown]
	s_mov_b32 s0, 0
	v_mul_f32_e32 v1, 0x4f7ffffe, v1
	v_cvt_u32_f32_e32 v1, v1
	v_lshrrev_b32_e32 v56, 6, v0
	v_bfe_u32 v59, v0, 4, 2
	v_lshlrev_b32_e32 v57, 4, v56
	v_readfirstlane_b32 s9, v1
	s_mul_i32 s8, s8, s9
	s_mul_hi_u32 s8, s9, s8
	s_add_i32 s9, s9, s8
	s_mul_hi_u32 s8, s6, s9
	s_mul_i32 s9, s8, s4
	s_sub_i32 s6, s6, s9
	s_add_i32 s10, s8, 1
	s_sub_i32 s9, s6, s4
	s_cmp_ge_u32 s6, s4
	s_cselect_b32 s8, s10, s8
	s_cselect_b32 s6, s9, s6
	s_add_i32 s9, s8, 1
	s_cmp_ge_u32 s6, s4
	s_cselect_b32 s6, s9, s8
	s_xor_b32 s6, s6, s5
	s_sub_i32 s49, s6, s5
	s_abs_i32 s6, s26
	v_cvt_f32_u32_e32 v1, s6
	s_mul_i32 s47, s49, s25
	s_sub_i32 s33, s3, s47
	s_add_i32 s3, s24, 63
	v_rcp_iflag_f32_e32 v1, v1
	s_ashr_i32 s5, s3, 31
	s_lshr_b32 s5, s5, 26
	s_ashr_i32 s48, s24, 31
	v_mul_f32_e32 v1, 0x4f7ffffe, v1
	v_cvt_u32_f32_e32 v1, v1
	s_add_i32 s3, s3, s5
	s_lshr_b32 s5, s48, 26
	s_add_i32 s5, s24, s5
	s_ashr_i32 s44, s26, 31
	s_ashr_i32 s50, s5, 6
	s_xor_b32 s5, s7, s44
	s_sub_i32 s7, 0, s6
	v_readfirstlane_b32 s8, v1
	s_mul_i32 s7, s7, s8
	s_mul_hi_u32 s7, s8, s7
	s_add_i32 s8, s8, s7
	s_mul_hi_u32 s7, s4, s8
	s_mul_i32 s8, s7, s6
	s_sub_i32 s4, s4, s8
	s_ashr_i32 s3, s3, 6
	s_add_i32 s8, s7, 1
	s_sub_i32 s9, s4, s6
	s_cmp_ge_u32 s4, s6
	s_cselect_b32 s7, s8, s7
	s_cselect_b32 s4, s9, s4
	s_add_i32 s8, s7, 1
	s_cmp_ge_u32 s4, s6
	s_cselect_b32 s4, s8, s7
	s_xor_b32 s4, s4, s5
	s_sub_i32 s4, s4, s5
	s_abs_i32 s5, s4
	v_cvt_f32_u32_e32 v1, s5
	s_sub_i32 s6, 0, s5
	s_xor_b32 s1, s33, s4
	s_abs_i32 s4, s33
	v_rcp_iflag_f32_e32 v1, v1
	s_ashr_i32 s1, s1, 31
	v_lshlrev_b32_e32 v18, 2, v59
	s_mov_b32 s14, s0
	v_mul_f32_e32 v1, 0x4f7ffffe, v1
	v_cvt_u32_f32_e32 v1, v1
	s_mov_b32 s15, s0
	v_and_b32_e32 v58, 63, v0
	s_mul_i32 s53, s49, s3
	v_readfirstlane_b32 s7, v1
	s_mul_i32 s6, s6, s7
	s_mul_hi_u32 s6, s7, s6
	s_add_i32 s7, s7, s6
	s_mul_hi_u32 s6, s4, s7
	s_mul_i32 s7, s6, s5
	s_sub_i32 s4, s4, s7
	s_add_i32 s7, s6, 1
	s_sub_i32 s8, s4, s5
	s_cmp_ge_u32 s4, s5
	s_cselect_b32 s6, s7, s6
	s_cselect_b32 s4, s8, s4
	s_add_i32 s7, s6, 1
	s_cmp_ge_u32 s4, s5
	s_cselect_b32 s4, s7, s6
	s_xor_b32 s4, s4, s1
	s_sub_i32 s54, s4, s1
	v_or_b32_e32 v1, v18, v57
	s_lshl_b32 s40, s2, 5
	s_mov_b32 s1, s0
	s_mov_b32 s2, s0
	;; [unrolled: 1-line block ×13, first 2 shown]
	v_mov_b64_e32 v[16:17], s[14:15]
	v_and_b32_e32 v60, 15, v0
	v_or_b32_e32 v63, 64, v1
	s_cmp_lt_i32 s24, 64
	v_mov_b64_e32 v[14:15], s[12:13]
	v_mov_b64_e32 v[12:13], s[10:11]
	;; [unrolled: 1-line block ×7, first 2 shown]
	s_mul_hi_i32 s55, s49, s25
	v_lshrrev_b32_e32 v62, 3, v58
	v_lshlrev_b32_e32 v61, 3, v0
	s_mul_i32 s29, s49, s29
	s_mul_hi_u32 s46, s49, s28
	s_mul_i32 s12, s49, s28
	s_cbranch_scc1 .LBB494_19
; %bb.1:
	s_ashr_i32 s8, s49, 31
	s_ashr_i32 s51, s33, 31
	s_add_u32 s0, s47, s33
	s_addc_u32 s1, s55, s51
	s_mul_i32 s1, s24, s1
	s_mul_hi_u32 s2, s24, s0
	s_add_i32 s3, s2, s1
	s_mul_i32 s2, s24, s0
	s_lshl_b64 s[0:1], s[2:3], 8
	v_and_b32_e32 v9, 56, v61
	s_add_u32 s4, s18, s0
	v_lshl_or_b32 v5, v56, 3, v62
	v_lshlrev_b32_e32 v2, 1, v9
	s_addc_u32 s0, s19, s1
	v_lshl_or_b32 v13, v5, 8, v2
	s_and_b32 s5, s0, 0xffff
	s_mov_b32 s7, 0x20000
	s_movk_i32 s6, 0x4000
	s_movk_i32 s0, 0x80
	v_or_b32_e32 v17, 0x2000, v13
	buffer_load_dwordx4 v[20:23], v13, s[4:7], 0 offen
	buffer_load_dwordx4 v[24:27], v13, s[4:7], s0 offen
	;; [unrolled: 1-line block ×4, first 2 shown]
	v_lshlrev_b32_e32 v3, 3, v5
	v_and_or_b32 v6, v0, 7, v3
	v_and_b32_e32 v3, 0x78, v3
	v_lshlrev_b32_e32 v6, 4, v6
	v_xor_b32_e32 v64, v6, v3
	v_mul_lo_u32 v4, v5, s27
	v_or_b32_e32 v65, 0x1000, v64
	v_xor_b32_e32 v3, 8, v64
	s_cmpk_eq_i32 s27, 0x80
	s_mov_b32 s45, s26
	v_xor_b32_e32 v6, 8, v65
	s_cselect_b64 s[0:1], -1, 0
	s_cmpk_lg_i32 s27, 0x80
	s_waitcnt vmcnt(3)
	ds_write_b64 v64, v[20:21] offset:24576
	ds_write_b64 v3, v[22:23] offset:24576
	s_waitcnt vmcnt(2)
	ds_write_b64 v64, v[24:25] offset:32768
	ds_write_b64 v3, v[26:27] offset:32768
	;; [unrolled: 3-line block ×4, first 2 shown]
	v_lshl_add_u32 v3, v4, 1, v9
	s_cbranch_scc0 .LBB494_3
; %bb.2:
	v_lshlrev_b32_e32 v6, 1, v3
	v_add_lshl_u32 v4, v3, s27, 1
	s_lshl_b32 s6, s27, 7
	v_lshl_or_b32 v2, v5, 9, v2
	s_cbranch_execz .LBB494_4
	s_branch .LBB494_5
.LBB494_3:
                                        ; implicit-def: $vgpr4
                                        ; implicit-def: $vgpr6
                                        ; implicit-def: $sgpr6
	v_lshl_or_b32 v2, v5, 9, v2
.LBB494_4:
	v_or_b32_e32 v4, 0x100, v2
	s_movk_i32 s6, 0x4000
	v_mov_b32_e32 v6, v2
.LBB494_5:
	s_mul_hi_u32 s4, s26, s24
	s_mul_i32 s5, s44, s24
	s_add_i32 s4, s4, s5
	s_mul_i32 s5, s26, s24
	s_mul_i32 s7, s5, s8
	s_mul_hi_u32 s9, s5, s49
	s_add_i32 s7, s9, s7
	s_mul_i32 s4, s4, s49
	s_add_i32 s7, s7, s4
	s_mul_i32 s5, s5, s49
	s_ashr_i32 s52, s54, 31
	s_add_u32 s4, s5, s54
	s_addc_u32 s5, s7, s52
	s_lshl_b64 s[4:5], s[4:5], 8
	s_add_u32 s4, s16, s4
	s_addc_u32 s5, s17, s5
	s_and_b32 s5, s5, 0xffff
	s_mov_b32 s7, 0x20000
	s_movk_i32 s56, 0x80
	buffer_load_dwordx4 v[20:23], v6, s[4:7], 0 offen
	buffer_load_dwordx4 v[24:27], v6, s[4:7], s56 offen
	;; [unrolled: 1-line block ×4, first 2 shown]
	v_and_b32_e32 v4, 6, v0
	v_lshlrev_b32_e32 v8, 6, v1
	v_or_b32_e32 v11, 16, v60
	v_xor_b32_e32 v12, v5, v4
	v_and_b32_e32 v6, 1, v0
	s_mul_i32 s4, s8, s24
	s_mul_hi_u32 s5, s49, s24
	v_lshl_or_b32 v16, v60, 3, v8
	v_lshl_or_b32 v8, v11, 3, v8
	v_lshlrev_b32_e32 v12, 2, v12
	v_lshlrev_b32_e32 v7, 2, v60
	v_or_b32_e32 v68, 0xa000, v8
	v_or_b32_e32 v69, 0xb000, v8
	v_xor_b32_e32 v8, 0x440, v12
	v_cmp_eq_u32_e32 vcc, 0, v6
	s_add_i32 s61, s5, s4
	s_add_i32 s4, s46, s29
	s_mul_i32 s8, s8, s28
	v_xor_b32_e32 v14, v1, v7
	v_xor_b32_e32 v15, v63, v7
	v_cndmask_b32_e32 v6, v8, v12, vcc
	s_add_i32 s13, s4, s8
	s_mul_i32 s4, s33, s31
	s_mul_hi_u32 s5, s33, s30
	s_mov_b32 s58, 0x1000504
	v_lshlrev_b32_e32 v10, 8, v60
	v_lshlrev_b32_e32 v14, 1, v14
	v_lshlrev_b32_e32 v15, 1, v15
	v_lshl_or_b32 v4, v4, 10, v6
	s_add_i32 s4, s5, s4
	s_mul_i32 s5, s51, s30
	s_mov_b32 s59, 0x3020706
	v_or_b32_e32 v66, 0xa000, v16
	v_or_b32_e32 v67, 0xb000, v16
	;; [unrolled: 1-line block ×4, first 2 shown]
	v_xor_b32_e32 v6, 8, v4
	v_xor_b32_e32 v10, 24, v4
	;; [unrolled: 1-line block ×4, first 2 shown]
	s_add_i32 s5, s4, s5
	s_lshl_b64 s[8:9], s[12:13], 2
	v_xor_b32_e32 v8, 16, v4
	v_xor_b32_e32 v12, 32, v4
	;; [unrolled: 1-line block ×3, first 2 shown]
	v_add_u32_e32 v6, 0x80, v6
	v_add_u32_e32 v10, 0x80, v10
	v_add_u32_e32 v16, 0x80, v16
	v_add_u32_e32 v36, 0x80, v36
	s_mul_i32 s4, s33, s30
	s_add_u32 s6, s22, s8
	s_addc_u32 s8, s23, s9
	s_lshl_b64 s[4:5], s[4:5], 2
	s_add_u32 s14, s6, s4
	s_movk_i32 s4, 0xf8
	s_addc_u32 s15, s8, s5
	s_ashr_i32 s41, s40, 31
	s_lshl_b32 s10, s27, 7
	s_movk_i32 s8, 0x100
	v_mov_b32_e32 v51, 0
	v_lshlrev_b32_e32 v50, 4, v60
	v_cmp_gt_u32_e32 vcc, s8, v0
	s_mov_b32 s57, 0
	s_mul_i32 s60, s49, s24
	s_movk_i32 s13, 0x1000
	s_movk_i32 s6, 0x4000
	v_add_u32_e32 v91, v57, v18
	v_mov_b32_e32 v96, 0x3fb8aa3b
	s_mov_b32 s63, 0
	v_mov_b32_e32 v98, v51
	v_mov_b32_e32 v97, v51
	;; [unrolled: 1-line block ×4, first 2 shown]
	s_waitcnt vmcnt(1)
	v_perm_b32 v37, v20, v28, s58
	s_waitcnt vmcnt(0)
	v_perm_b32 v38, v24, v32, s58
	v_perm_b32 v20, v20, v28, s59
	;; [unrolled: 1-line block ×15, first 2 shown]
	ds_write2st64_b32 v4, v37, v38 offset0:32 offset1:64
	ds_write2st64_b32 v6, v20, v24 offset0:32 offset1:64
	;; [unrolled: 1-line block ×8, first 2 shown]
	v_lshlrev_b32_e32 v4, 8, v11
	v_or_b32_e32 v72, v4, v14
	v_or_b32_e32 v73, v4, v15
	;; [unrolled: 1-line block ×3, first 2 shown]
	v_lshlrev_b32_e32 v4, 3, v4
	v_lshrrev_b32_e32 v10, 5, v58
	v_and_or_b32 v10, v4, s4, v10
	v_lshlrev_b32_e32 v8, 11, v56
	v_lshlrev_b32_e32 v10, 4, v10
	v_and_b32_e32 v4, 0x78, v4
	v_and_b32_e32 v6, 0x1000, v8
	v_xor_b32_e32 v11, v10, v4
	v_lshrrev_b32_e32 v12, 1, v0
	v_or_b32_e32 v11, v11, v6
	v_and_b32_e32 v14, 8, v12
	v_xor_b32_e32 v74, v11, v14
	v_or_b32_e32 v11, 32, v10
	v_xor_b32_e32 v11, v11, v4
	v_or_b32_e32 v11, v11, v6
	;; [unrolled: 2-line block ×4, first 2 shown]
	s_lshl_b64 s[4:5], s[40:41], 8
	v_or_b32_e32 v11, v11, v6
	v_xor_b32_e32 v4, v10, v4
	s_waitcnt lgkmcnt(0)
	s_add_u32 s4, s38, s4
	v_lshlrev_b32_e32 v10, 1, v60
	v_xor_b32_e32 v78, v11, v14
	v_lshrrev_b32_e32 v19, 4, v0
	s_addc_u32 s5, s39, s5
	v_or_b32_e32 v11, 1, v10
	v_mov_b32_e32 v23, 0x4000
	v_mov_b32_e32 v24, 0x2000
	v_xor_b32_e32 v20, v19, v10
	v_xor_b32_e32 v21, v11, v19
	v_lshl_add_u64 v[10:11], s[4:5], 0, v[50:51]
	v_lshlrev_b32_e32 v50, 8, v19
	v_cndmask_b32_e32 v23, v23, v24, vcc
	v_lshlrev_b32_e32 v24, 3, v56
	v_and_b32_e32 v12, 24, v12
	v_lshl_or_b32 v82, v20, 3, v50
	v_and_b32_e32 v20, 8, v0
	v_xor_b32_e32 v25, v24, v12
	v_or_b32_e32 v26, 0x440, v25
	v_cmp_eq_u32_e32 vcc, 0, v20
	v_and_b32_e32 v19, 7, v0
	v_lshlrev_b32_e32 v15, 7, v59
	v_cndmask_b32_e32 v20, v26, v25, vcc
	v_lshl_or_b32 v83, v21, 3, v50
	v_lshlrev_b32_e32 v21, 3, v19
	v_lshlrev_b32_e32 v19, 7, v19
	v_lshlrev_b32_e32 v22, 2, v0
	v_or_b32_e32 v20, v20, v8
	v_or_b32_e32 v7, v15, v7
	v_xad_u32 v84, v20, v21, v19
	v_and_or_b32 v15, v22, 60, v15
	v_mov_b32_e32 v20, 0xb000
	v_lshl_or_b32 v85, v15, 1, v20
	v_or_b32_e32 v15, 32, v12
	v_xor_b32_e32 v15, v24, v15
	v_or_b32_e32 v20, 0x440, v15
	v_cndmask_b32_e32 v15, v20, v15, vcc
	v_or_b32_e32 v15, v15, v8
	v_xad_u32 v86, v15, v21, v19
	v_or_b32_e32 v15, 64, v12
	v_xor_b32_e32 v15, v24, v15
	v_xor_b32_e32 v20, 0x440, v15
	v_cndmask_b32_e32 v15, v20, v15, vcc
	v_or_b32_e32 v12, 0x60, v12
	v_or_b32_e32 v15, v15, v8
	v_xor_b32_e32 v12, v24, v12
	v_xad_u32 v87, v15, v21, v19
	v_xor_b32_e32 v15, 0x440, v12
	v_cndmask_b32_e32 v12, v15, v12, vcc
	v_lshlrev_b32_e32 v7, 1, v7
	v_or_b32_e32 v4, v4, v6
	v_or_b32_e32 v6, s40, v60
	;; [unrolled: 1-line block ×5, first 2 shown]
	v_xor_b32_e32 v79, v4, v14
	v_or_b32_e32 v80, 0xb000, v7
	v_or_b32_e32 v81, 0xb080, v7
	v_lshlrev_b32_e32 v4, 7, v1
	v_ashrrev_i32_e32 v7, 31, v6
	v_lshlrev_b32_e32 v14, 1, v3
	v_add_lshl_u32 v3, v3, s27, 1
	v_or_b32_e32 v16, 0x100, v2
	v_xad_u32 v88, v8, v21, v19
	v_cndmask_b32_e64 v89, v14, v2, s[0:1]
	v_cndmask_b32_e64 v90, v3, v16, s[0:1]
	v_lshl_add_u64 v[52:53], v[6:7], 1, s[20:21]
	v_lshl_add_u64 v[54:55], v[10:11], 0, v[50:51]
	s_mov_b32 s41, 0x7060302
	v_lshlrev_b32_e32 v50, 1, v4
	v_add_u32_e32 v92, v23, v84
	v_add_u32_e32 v93, v23, v86
	;; [unrolled: 1-line block ×4, first 2 shown]
	v_mov_b32_e32 v2, v51
	v_mov_b32_e32 v3, v51
	v_mov_b32_e32 v4, v51
	v_mov_b32_e32 v6, v51
	v_mov_b32_e32 v7, v51
	v_mov_b32_e32 v8, v51
	v_mov_b32_e32 v10, v51
	v_mov_b32_e32 v11, v51
	v_mov_b32_e32 v12, v51
	v_mov_b32_e32 v14, v51
	v_mov_b32_e32 v15, v51
	v_mov_b32_e32 v16, v51
	s_barrier
.LBB494_6:                              ; =>This Inner Loop Header: Depth=1
	s_add_i32 s62, s63, 1
	s_cmp_lt_i32 s62, s50
	s_mov_b64 s[8:9], 0
	s_cselect_b64 s[42:43], -1, 0
	s_cmp_ge_i32 s62, s50
	s_mov_b64 s[4:5], 0
	s_cbranch_scc1 .LBB494_8
; %bb.7:                                ;   in Loop: Header=BB494_6 Depth=1
	s_add_i32 s0, s57, 64
	s_add_u32 s0, s2, s0
	s_addc_u32 s1, s3, 0
	s_lshl_b64 s[0:1], s[0:1], 8
	s_add_u32 s4, s18, s0
	s_addc_u32 s5, s19, s1
.LBB494_8:                              ;   in Loop: Header=BB494_6 Depth=1
	v_cndmask_b32_e64 v18, 0, 1, s[42:43]
	v_cmp_ne_u32_e64 s[0:1], 1, v18
	s_andn2_b64 vcc, exec, s[42:43]
	s_cbranch_vccnz .LBB494_10
; %bb.9:                                ;   in Loop: Header=BB494_6 Depth=1
	s_add_i32 s8, s57, 64
	s_add_u32 s8, s60, s8
	s_addc_u32 s9, s61, 0
	s_mul_i32 s11, s8, s44
	s_mul_hi_u32 s42, s8, s45
	s_add_i32 s11, s42, s11
	s_mul_i32 s9, s9, s45
	s_add_i32 s11, s11, s9
	s_mul_i32 s8, s8, s45
	s_add_u32 s8, s8, s54
	s_addc_u32 s9, s11, s52
	s_lshl_b64 s[8:9], s[8:9], 8
	s_add_u32 s8, s16, s8
	s_addc_u32 s9, s17, s9
.LBB494_10:                             ;   in Loop: Header=BB494_6 Depth=1
	v_perm_b32 v19, v98, v4, s41
	v_perm_b32 v18, v3, v2, s41
	;; [unrolled: 1-line block ×4, first 2 shown]
	ds_write_b64 v66, v[18:19]
	ds_write_b64 v67, v[20:21]
	;; [unrolled: 1-line block ×4, first 2 shown]
	v_perm_b32 v19, v100, v12, s41
	v_perm_b32 v18, v11, v10, s41
	;; [unrolled: 1-line block ×4, first 2 shown]
	ds_write_b64 v68, v[18:19]
	ds_write_b64 v69, v[20:21]
	;; [unrolled: 1-line block ×4, first 2 shown]
	s_waitcnt lgkmcnt(0)
	s_barrier
	ds_read_b64 v[22:23], v74 offset:24576
	ds_read2_b64 v[18:21], v75 offset1:16
	ds_read_b64 v[26:27], v77 offset:3072
	ds_read_b64 v[28:29], v75 offset:3072
	;; [unrolled: 1-line block ×3, first 2 shown]
	s_waitcnt lgkmcnt(3)
	v_mfma_f32_16x16x16_bf16 a[0:3], v[22:23], v[18:19], 0
	s_add_i32 s11, s57, 63
	s_mul_i32 s42, s11, s37
	s_mul_hi_u32 s43, s11, s36
	v_mfma_f32_16x16x16_bf16 a[4:7], v[22:23], v[20:21], 0
	ds_read2st64_b64 v[18:21], v75 offset0:2 offset1:4
	ds_read2st64_b64 v[22:25], v77 offset0:2 offset1:4
	s_add_i32 s43, s43, s42
	s_waitcnt lgkmcnt(1)
	v_mfma_f32_16x16x16_bf16 a[0:3], v[30:31], v[18:19], a[0:3]
	s_mul_i32 s42, s11, s36
	s_lshl_b64 s[42:43], s[42:43], 2
	s_add_u32 s42, s14, s42
	s_waitcnt lgkmcnt(0)
	v_mfma_f32_16x16x16_bf16 a[4:7], v[30:31], v[22:23], a[4:7]
	ds_read_b64 v[18:19], v78 offset:24576
	ds_read_b64 v[22:23], v79 offset:24576
	s_addc_u32 s43, s15, s43
	s_and_b64 vcc, exec, s[0:1]
	s_waitcnt lgkmcnt(1)
	v_mfma_f32_16x16x16_bf16 a[0:3], v[18:19], v[20:21], a[0:3]
	v_mov_b32_e32 v103, 0
	v_mov_b32_e32 v102, 0
	;; [unrolled: 1-line block ×3, first 2 shown]
	v_mfma_f32_16x16x16_bf16 a[4:7], v[18:19], v[24:25], a[4:7]
	v_mov_b32_e32 v18, 0
	v_mov_b32_e32 v19, 0
	;; [unrolled: 1-line block ×3, first 2 shown]
	s_waitcnt lgkmcnt(0)
	v_mfma_f32_16x16x16_bf16 a[0:3], v[22:23], v[28:29], a[0:3]
	v_mov_b32_e32 v21, 0
	v_mov_b32_e32 v24, 0
	;; [unrolled: 1-line block ×3, first 2 shown]
	v_mfma_f32_16x16x16_bf16 a[4:7], v[22:23], v[26:27], a[4:7]
	v_mov_b32_e32 v22, 0
	v_mov_b32_e32 v23, 0
	;; [unrolled: 1-line block ×10, first 2 shown]
	s_cbranch_vccnz .LBB494_12
; %bb.11:                               ;   in Loop: Header=BB494_6 Depth=1
	s_and_b32 s5, s5, 0xffff
	buffer_load_dwordx4 v[30:33], v13, s[4:7], 0 offen
	buffer_load_dwordx4 v[26:29], v13, s[4:7], s56 offen
	;; [unrolled: 1-line block ×4, first 2 shown]
	v_mov_b32_e32 v102, v64
	v_mov_b32_e32 v101, v65
.LBB494_12:                             ;   in Loop: Header=BB494_6 Depth=1
	ds_read_b64 v[38:39], v74 offset:32768
	ds_read2_b64 v[34:37], v80 offset1:16
	ds_read_b64 v[42:43], v76 offset:32768
	ds_read_b64 v[44:45], v78 offset:32768
	;; [unrolled: 1-line block ×3, first 2 shown]
	v_add_u32_e32 v48, s57, v91
	s_waitcnt lgkmcnt(3)
	v_mfma_f32_16x16x16_bf16 a[0:3], v[38:39], v[34:35], a[0:3]
	v_mul_lo_u32 v49, v48, s37
	v_mfma_f32_16x16x16_bf16 a[4:7], v[38:39], v[36:37], a[4:7]
	ds_read2st64_b64 v[34:37], v80 offset0:2 offset1:4
	ds_read2st64_b64 v[38:41], v81 offset0:2 offset1:4
	s_waitcnt lgkmcnt(1)
	v_mfma_f32_16x16x16_bf16 a[0:3], v[42:43], v[34:35], a[0:3]
	v_ashrrev_i32_e32 v34, 31, v48
	v_mul_lo_u32 v104, v34, s36
	v_mad_u64_u32 v[34:35], s[4:5], v48, s36, 0
	v_mfma_f32_16x16x16_bf16 a[0:3], v[44:45], v[36:37], a[0:3]
	v_add_u32_e32 v36, 1, v48
	v_ashrrev_i32_e32 v37, 31, v36
	v_add3_u32 v35, v35, v49, v104
	s_waitcnt lgkmcnt(0)
	v_mfma_f32_16x16x16_bf16 a[4:7], v[42:43], v[38:39], a[4:7]
	v_mul_lo_u32 v38, v37, s36
	v_mul_lo_u32 v39, v36, s37
	v_mad_u64_u32 v[36:37], s[4:5], v36, s36, 0
	v_add3_u32 v37, v37, v39, v38
	v_add_u32_e32 v38, 2, v48
	v_ashrrev_i32_e32 v39, 31, v38
	v_mul_lo_u32 v42, v39, s36
	v_mul_lo_u32 v43, v38, s37
	v_mad_u64_u32 v[38:39], s[4:5], v38, s36, 0
	v_add3_u32 v39, v39, v43, v42
	v_add_u32_e32 v42, 3, v48
	v_ashrrev_i32_e32 v43, 31, v42
	v_mul_lo_u32 v48, v43, s36
	v_mul_lo_u32 v49, v42, s37
	v_mad_u64_u32 v[42:43], s[4:5], v42, s36, 0
	s_add_u32 s4, s2, s57
	s_addc_u32 s5, s3, 0
	s_lshl_b64 s[4:5], s[4:5], 8
	v_lshl_add_u64 v[34:35], v[34:35], 2, s[14:15]
	v_lshl_add_u64 v[36:37], v[36:37], 2, s[14:15]
	v_add3_u32 v43, v43, v49, v48
	v_lshl_add_u64 v[48:49], v[52:53], 0, s[4:5]
	v_lshl_add_u64 v[38:39], v[38:39], 2, s[14:15]
	;; [unrolled: 1-line block ×3, first 2 shown]
	global_load_dword v104, v[34:35], off
	global_load_ushort v105, v[48:49], off offset:256
	global_load_ushort v106, v[48:49], off
	global_load_ushort v107, v[48:49], off offset:768
	global_load_ushort v108, v[48:49], off offset:512
	v_lshl_add_u64 v[34:35], v[42:43], 2, s[14:15]
	global_load_dword v109, v[36:37], off
	global_load_dword v110, v[38:39], off
	;; [unrolled: 1-line block ×3, first 2 shown]
	ds_read_b64 v[34:35], v80 offset:3072
	ds_read_b64 v[36:37], v81 offset:3072
	global_load_ushort v112, v[48:49], off offset:800
	global_load_ushort v113, v[48:49], off offset:544
	global_load_ushort v114, v[48:49], off offset:288
	s_nop 0
	global_load_ushort v48, v[48:49], off offset:32
	s_load_dword s4, s[42:43], 0x0
	v_mfma_f32_16x16x16_bf16 a[4:7], v[44:45], v[40:41], a[4:7]
	s_and_b64 vcc, exec, s[0:1]
	v_mov_b32_e32 v49, 0
	s_waitcnt vmcnt(11) lgkmcnt(0)
	v_sub_f32_e32 v44, s4, v104
	v_mfma_f32_16x16x16_bf16 a[0:3], v[46:47], v[34:35], a[0:3]
	v_mul_f32_e32 v44, 0x3fb8aa3b, v44
	v_exp_f32_e32 v44, v44
	s_waitcnt vmcnt(6)
	v_sub_f32_e32 v45, s4, v109
	v_mfma_f32_16x16x16_bf16 a[4:7], v[46:47], v[36:37], a[4:7]
	s_waitcnt vmcnt(5)
	v_sub_f32_e32 v46, s4, v110
	s_waitcnt vmcnt(4)
	v_sub_f32_e32 v47, s4, v111
	v_mul_f32_e32 v45, 0x3fb8aa3b, v45
	v_mul_f32_e32 v46, 0x3fb8aa3b, v46
	;; [unrolled: 1-line block ×3, first 2 shown]
	v_exp_f32_e32 v45, v45
	v_exp_f32_e32 v46, v46
	;; [unrolled: 1-line block ×3, first 2 shown]
	v_accvgpr_read_b32 v39, a1
	v_accvgpr_read_b32 v35, a3
	;; [unrolled: 1-line block ×4, first 2 shown]
	v_lshlrev_b32_e32 v41, 16, v105
	v_lshlrev_b32_e32 v40, 16, v106
	;; [unrolled: 1-line block ×4, first 2 shown]
	v_pk_add_f32 v[38:39], v[40:41], v[38:39] neg_lo:[0,1] neg_hi:[0,1]
	v_pk_add_f32 v[34:35], v[42:43], v[34:35] neg_lo:[0,1] neg_hi:[0,1]
	v_pk_mul_f32 v[38:39], v[44:45], v[38:39]
	v_pk_mul_f32 v[34:35], v[46:47], v[34:35]
	v_accvgpr_read_b32 v41, a5
	v_perm_b32 v35, v35, v34, s41
	v_perm_b32 v34, v39, v38, s41
	s_waitcnt vmcnt(1)
	v_lshlrev_b32_e32 v39, 16, v114
	s_waitcnt vmcnt(0)
	v_lshlrev_b32_e32 v38, 16, v48
	v_accvgpr_read_b32 v40, a4
	v_accvgpr_read_b32 v37, a7
	;; [unrolled: 1-line block ×3, first 2 shown]
	v_pk_add_f32 v[38:39], v[38:39], v[40:41] neg_lo:[0,1] neg_hi:[0,1]
	v_lshlrev_b32_e32 v41, 16, v112
	v_lshlrev_b32_e32 v40, 16, v113
	v_pk_add_f32 v[36:37], v[40:41], v[36:37] neg_lo:[0,1] neg_hi:[0,1]
	v_pk_mul_f32 v[38:39], v[44:45], v[38:39]
	v_pk_mul_f32 v[36:37], v[46:47], v[36:37]
	v_mov_b32_e32 v104, 0
	v_perm_b32 v37, v37, v36, s41
	v_perm_b32 v36, v39, v38, s41
	ds_write2_b64 v67, v[34:35], v[36:37] offset1:16
	v_mov_b32_e32 v34, 0
	v_mov_b32_e32 v35, 0
	;; [unrolled: 1-line block ×15, first 2 shown]
	s_cbranch_vccnz .LBB494_14
; %bb.13:                               ;   in Loop: Header=BB494_6 Depth=1
	s_and_b32 s9, s9, 0xffff
	s_mov_b32 s11, s7
	buffer_load_dwordx4 v[46:49], v89, s[8:11], 0 offen
	buffer_load_dwordx4 v[38:41], v89, s[8:11], s56 offen
	buffer_load_dwordx4 v[42:45], v90, s[8:11], 0 offen
	buffer_load_dwordx4 v[34:37], v90, s[8:11], s56 offen
	v_mov_b32_e32 v103, v9
	v_mov_b32_e32 v104, v5
.LBB494_14:                             ;   in Loop: Header=BB494_6 Depth=1
	s_waitcnt lgkmcnt(0)
	s_barrier
	ds_read_b64 v[110:111], v92
	ds_read_b64 v[118:119], v85
	;; [unrolled: 1-line block ×5, first 2 shown]
	ds_read_b64 v[124:125], v86 offset:16384
	ds_read_b64 v[126:127], v84 offset:16384
	ds_read2_b64 v[106:109], v80 offset0:16 offset1:128
	s_waitcnt lgkmcnt(6)
	v_mfma_f32_16x16x16_bf16 a[0:3], v[110:111], v[118:119], 0
	ds_read_b64 v[128:129], v81 offset:3072
	ds_read_b64 v[130:131], v88 offset:16384
	s_add_i32 s5, s53, s63
	s_waitcnt lgkmcnt(2)
	v_mfma_f32_16x16x16_bf16 a[4:7], v[110:111], v[106:107], 0
	ds_read2st64_b64 v[110:113], v81 offset0:2 offset1:4
	s_mul_hi_i32 s9, s5, s25
	s_mul_i32 s5, s5, s25
	v_mfma_f32_16x16x16_bf16 a[0:3], v[114:115], v[108:109], a[0:3]
	s_add_u32 s8, s5, s33
	s_addc_u32 s9, s9, s51
	s_lshl_b64 s[8:9], s[8:9], 15
	s_waitcnt lgkmcnt(0)
	v_mfma_f32_16x16x16_bf16 a[4:7], v[114:115], v[110:111], a[4:7]
	ds_read2st64_b64 v[114:117], v80 offset0:4 offset1:6
	s_waitcnt lgkmcnt(0)
	v_mfma_f32_16x16x16_bf16 a[0:3], v[120:121], v[114:115], a[0:3]
	v_mfma_f32_16x16x16_bf16 a[8:11], v[120:121], v[112:113], a[4:7]
	v_mfma_f32_16x16x16_bf16 a[4:7], v[122:123], v[116:117], a[0:3]
	v_mfma_f32_16x16x16_bf16 a[0:3], v[122:123], v[128:129], a[8:11]
	v_mfma_f32_16x16x16_bf16 a[8:11], v[126:127], v[118:119], 0
	ds_read2st64_b64 v[118:121], v83 offset1:8
	v_mfma_f32_16x16x16_bf16 a[12:15], v[126:127], v[106:107], 0
	ds_read_b64 v[126:127], v87 offset:16384
	v_mfma_f32_16x16x16_bf16 a[8:11], v[124:125], v[108:109], a[8:11]
	ds_read2st64_b64 v[106:109], v82 offset1:8
	s_waitcnt lgkmcnt(0)
	v_mov_b32_e32 v122, v106
	v_mfma_f32_16x16x16_bf16 a[12:15], v[124:125], v[110:111], a[12:15]
	v_lshl_add_u64 v[110:111], v[54:55], 0, s[8:9]
	v_add_co_u32_e32 v106, vcc, s13, v110
	v_mfma_f32_16x16x16_bf16 a[8:11], v[126:127], v[114:115], a[8:11]
	v_mov_b32_e32 v123, v107
	v_addc_co_u32_e32 v107, vcc, 0, v111, vcc
	v_mfma_f32_16x16x16_bf16 a[12:15], v[126:127], v[112:113], a[12:15]
	v_mov_b32_e32 v124, v118
	v_mov_b32_e32 v125, v119
	;; [unrolled: 1-line block ×3, first 2 shown]
	v_mfma_f32_16x16x16_bf16 a[8:11], v[130:131], v[116:117], a[8:11]
	v_mov_b32_e32 v119, v109
	s_and_b64 vcc, exec, s[0:1]
	global_store_dwordx4 v[110:111], v[122:125], off
	v_mfma_f32_16x16x16_bf16 a[12:15], v[130:131], v[128:129], a[12:15]
	global_store_dwordx4 v[106:107], v[118:121], off
	s_cbranch_vccnz .LBB494_16
; %bb.15:                               ;   in Loop: Header=BB494_6 Depth=1
	v_lshrrev_b32_e32 v105, 3, v103
	v_and_b32_e32 v105, 6, v105
	v_xor_b32_e32 v104, v105, v104
	v_lshlrev_b32_e32 v104, 2, v104
	v_and_b32_e32 v103, 8, v103
	v_xor_b32_e32 v106, 0x440, v104
	v_cmp_eq_u32_e32 vcc, 0, v103
	s_barrier
	s_nop 0
	v_cndmask_b32_e32 v103, v106, v104, vcc
	v_lshl_or_b32 v103, v105, 10, v103
	s_waitcnt vmcnt(3)
	v_perm_b32 v104, v46, v42, s58
	s_waitcnt vmcnt(2)
	v_perm_b32 v105, v38, v34, s58
	ds_write2st64_b32 v103, v104, v105 offset0:32 offset1:64
	v_xor_b32_e32 v104, 8, v103
	v_perm_b32 v42, v46, v42, s59
	v_perm_b32 v34, v38, v34, s59
	v_add_u32_e32 v38, 0x80, v104
	ds_write2st64_b32 v38, v42, v34 offset0:32 offset1:64
	v_xor_b32_e32 v34, 16, v103
	v_perm_b32 v38, v47, v43, s58
	v_perm_b32 v42, v39, v35, s58
	ds_write2st64_b32 v34, v38, v42 offset0:33 offset1:65
	v_xor_b32_e32 v34, 24, v103
	v_perm_b32 v38, v47, v43, s59
	v_perm_b32 v35, v39, v35, s59
	v_add_u32_e32 v34, 0x80, v34
	ds_write2st64_b32 v34, v38, v35 offset0:33 offset1:65
	v_xor_b32_e32 v34, 32, v103
	v_perm_b32 v35, v48, v44, s58
	;; [unrolled: 9-line block ×3, first 2 shown]
	v_perm_b32 v36, v41, v37, s58
	ds_write2st64_b32 v34, v35, v36 offset0:35 offset1:67
	v_xor_b32_e32 v34, 56, v103
	v_perm_b32 v35, v49, v45, s59
	v_perm_b32 v36, v41, v37, s59
	v_add_u32_e32 v34, 0x80, v34
	ds_write2st64_b32 v34, v35, v36 offset0:35 offset1:67
	ds_write_b64 v102, v[30:31] offset:24576
	v_xor_b32_e32 v30, 8, v102
	ds_write_b64 v30, v[32:33] offset:24576
	ds_write_b64 v102, v[26:27] offset:32768
	;; [unrolled: 1-line block ×4, first 2 shown]
	v_xor_b32_e32 v22, 8, v101
	ds_write_b64 v22, v[24:25] offset:24576
	ds_write_b64 v101, v[18:19] offset:32768
	;; [unrolled: 1-line block ×3, first 2 shown]
.LBB494_16:                             ;   in Loop: Header=BB494_6 Depth=1
	v_mul_f32_e32 v18, s4, v96
	s_waitcnt vmcnt(2)
	v_exp_f32_e32 v34, v18
	v_accvgpr_read_b32 v33, a7
	v_accvgpr_read_b32 v25, a3
	;; [unrolled: 1-line block ×16, first 2 shown]
	s_add_i32 s57, s57, 64
	v_fma_f32 v2, v2, v34, v30
	v_fma_f32 v3, v3, v34, v31
	v_fma_f32 v4, v4, v34, v32
	v_fmac_f32_e32 v33, v98, v34
	v_fma_f32 v10, v10, v34, v22
	v_fma_f32 v11, v11, v34, v23
	v_fma_f32 v12, v12, v34, v24
	v_fmac_f32_e32 v25, v100, v34
	;; [unrolled: 4-line block ×3, first 2 shown]
	v_fma_f32 v14, v14, v34, v18
	v_fma_f32 v15, v15, v34, v19
	;; [unrolled: 1-line block ×3, first 2 shown]
	s_cmp_eq_u32 s50, s62
	v_fmac_f32_e32 v21, v99, v34
	s_cbranch_scc1 .LBB494_18
; %bb.17:                               ;   in Loop: Header=BB494_6 Depth=1
	s_mov_b32 s63, s62
	v_mov_b32_e32 v98, v33
	v_mov_b32_e32 v97, v29
	;; [unrolled: 1-line block ×4, first 2 shown]
	s_branch .LBB494_6
.LBB494_18:
	v_mov_b32_e32 v5, v33
	v_mov_b32_e32 v9, v29
	;; [unrolled: 1-line block ×4, first 2 shown]
.LBB494_19:
	s_lshl_b32 s51, s50, 6
	s_sub_i32 s52, s24, s51
	s_cmp_gt_i32 s52, 0
	v_or_b32_e32 v34, s40, v60
	s_cbranch_scc1 .LBB494_21
; %bb.20:
	s_ashr_i32 s0, s33, 31
	s_add_u32 s8, s47, s33
	s_addc_u32 s9, s55, s0
	v_or_b32_e32 v18, s40, v60
	s_cbranch_execz .LBB494_22
	s_branch .LBB494_86
.LBB494_21:
                                        ; implicit-def: $sgpr8_sgpr9
                                        ; implicit-def: $vgpr18
.LBB494_22:
	s_ashr_i32 s13, s49, 31
	s_ashr_i32 s2, s51, 31
	s_cmpk_lg_i32 s27, 0x80
	s_cselect_b64 s[42:43], -1, 0
	s_and_b64 vcc, exec, s[42:43]
	s_cbranch_vccz .LBB494_24
; %bb.23:
	s_mul_i32 s1, s49, s24
	s_mul_hi_i32 s0, s49, s24
	s_add_u32 s1, s1, s51
	s_addc_u32 s0, s0, s2
	s_mul_i32 s3, s1, s44
	s_mul_hi_u32 s4, s1, s26
	s_add_i32 s3, s4, s3
	s_mul_i32 s0, s0, s26
	s_add_i32 s3, s3, s0
	s_mul_i32 s1, s1, s26
	s_ashr_i32 s0, s54, 31
	s_add_u32 s44, s1, s54
	s_addc_u32 s45, s3, s0
	s_cbranch_execz .LBB494_25
	s_branch .LBB494_26
.LBB494_24:
                                        ; implicit-def: $sgpr44_sgpr45
.LBB494_25:
	s_mul_hi_i32 s0, s49, s26
	s_mul_i32 s49, s49, s26
	s_ashr_i32 s1, s54, 31
	s_add_u32 s3, s49, s54
	s_addc_u32 s0, s0, s1
	s_mul_i32 s1, s3, s48
	s_mul_hi_u32 s4, s3, s24
	s_add_i32 s1, s4, s1
	s_mul_i32 s0, s0, s24
	s_add_i32 s1, s1, s0
	s_mul_i32 s3, s3, s24
	s_add_u32 s44, s3, s51
	s_addc_u32 s45, s1, s2
.LBB494_26:
	s_add_i32 s3, s53, s50
	s_ashr_i32 s26, s33, 31
	s_add_u32 s8, s47, s33
	s_addc_u32 s9, s55, s26
	s_mul_i32 s0, s8, s48
	s_mul_hi_u32 s1, s8, s24
	s_add_i32 s0, s1, s0
	s_mul_i32 s1, s9, s24
	s_add_i32 s1, s0, s1
	s_mul_i32 s0, s8, s24
	s_add_u32 s0, s0, s51
	v_lshlrev_b32_e32 v22, 5, v1
	v_lshlrev_b32_e32 v40, 2, v60
	s_addc_u32 s1, s1, s2
	s_mov_b32 s2, 0x7060302
	v_or_b32_e32 v25, v22, v40
	v_xor_b32_e32 v23, v1, v40
	v_perm_b32 v19, v5, v4, s2
	v_perm_b32 v18, v3, v2, s2
	;; [unrolled: 1-line block ×4, first 2 shown]
	v_lshlrev_b32_e32 v25, 1, v25
	s_lshl_b64 s[10:11], s[0:1], 8
	v_xor_b32_e32 v24, v63, v40
	ds_write2st64_b64 v25, v[18:19], v[20:21] offset0:80 offset1:88
	v_lshlrev_b32_e32 v23, 1, v23
	v_lshlrev_b32_e32 v25, 8, v60
	s_add_u32 s0, s18, s10
	v_or_b32_e32 v26, v23, v25
	v_lshlrev_b32_e32 v24, 1, v24
	s_addc_u32 s1, s19, s11
	ds_write_b64 v26, v[18:19]
	v_or_b32_e32 v18, v24, v25
	v_or_b32_e32 v25, 16, v60
	s_mul_hi_i32 s4, s3, s25
	s_mul_i32 s3, s3, s25
	ds_write_b64 v18, v[20:21]
	v_perm_b32 v19, v13, v12, s2
	v_perm_b32 v18, v11, v10, s2
	;; [unrolled: 1-line block ×4, first 2 shown]
	v_lshlrev_b32_e32 v37, 2, v25
	s_add_u32 s2, s3, s33
	v_or_b32_e32 v22, v22, v37
	s_addc_u32 s3, s4, s26
	v_lshlrev_b32_e32 v22, 1, v22
	s_ashr_i32 s41, s40, 31
	s_lshl_b64 s[2:3], s[2:3], 15
	ds_write2st64_b64 v22, v[18:19], v[20:21] offset0:80 offset1:88
	v_lshlrev_b32_e32 v22, 8, v25
	s_waitcnt lgkmcnt(0)
	s_add_u32 s4, s38, s2
	v_or_b32_e32 v23, v23, v22
	s_addc_u32 s5, s39, s3
	s_lshl_b64 s[2:3], s[40:41], 8
	ds_write_b64 v23, v[18:19]
	v_or_b32_e32 v18, v24, v22
	s_add_u32 s2, s4, s2
	ds_write_b64 v18, v[20:21]
	v_lshrrev_b32_e32 v18, 4, v0
	s_addc_u32 s3, s5, s3
	v_lshlrev_b32_e32 v19, 1, v60
	v_lshlrev_b32_e32 v26, 4, v60
	v_mov_b32_e32 v27, 0
	v_or_b32_e32 v20, 1, v19
	v_xor_b32_e32 v19, v18, v19
	v_lshl_add_u64 v[28:29], s[2:3], 0, v[26:27]
	v_lshlrev_b32_e32 v26, 8, v18
	v_xor_b32_e32 v22, v20, v18
	v_lshl_or_b32 v18, v19, 3, v26
	s_waitcnt lgkmcnt(0)
	s_barrier
	ds_read2st64_b64 v[18:21], v18 offset1:8
	v_lshl_or_b32 v22, v22, 3, v26
	ds_read2st64_b64 v[22:25], v22 offset1:8
	v_lshl_add_u64 v[30:31], v[28:29], 0, v[26:27]
	s_movk_i32 s2, 0x1000
	s_waitcnt lgkmcnt(1)
	v_mov_b32_e32 v26, v18
	v_add_co_u32_e32 v18, vcc, s2, v30
	s_cmp_lg_u32 s52, 64
	v_mov_b32_e32 v27, v19
	v_addc_co_u32_e32 v19, vcc, 0, v31, vcc
	s_cselect_b64 s[14:15], -1, 0
	v_lshl_or_b32 v35, v56, 3, v62
	s_waitcnt lgkmcnt(0)
	v_mov_b32_e32 v28, v22
	v_mov_b32_e32 v29, v23
	;; [unrolled: 1-line block ×4, first 2 shown]
	s_mov_b32 s4, 0
	v_or_b32_e32 v38, 32, v35
	v_and_b32_e32 v36, 56, v61
	s_and_b64 vcc, exec, s[14:15]
	global_store_dwordx4 v[30:31], v[26:29], off
	global_store_dwordx4 v[18:19], v[22:25], off
	s_cbranch_vccz .LBB494_32
; %bb.27:
	s_mov_b32 s6, s4
	s_mov_b32 s7, s4
	s_mov_b32 s5, s4
	v_mov_b64_e32 v[24:25], s[6:7]
	v_mov_b64_e32 v[22:23], s[4:5]
	;; [unrolled: 1-line block ×3, first 2 shown]
	v_cmp_gt_i32_e32 vcc, s52, v35
	v_mov_b64_e32 v[20:21], v[24:25]
	s_and_saveexec_b64 s[2:3], vcc
	s_cbranch_execz .LBB494_29
; %bb.28:
	v_lshlrev_b32_e32 v18, 8, v35
	v_mov_b32_e32 v19, 0
	v_lshl_add_u64 v[20:21], s[0:1], 0, v[18:19]
	v_lshlrev_b32_e32 v18, 1, v36
	v_lshl_add_u64 v[26:27], v[20:21], 0, v[18:19]
	global_load_dwordx4 v[22:25], v[26:27], off
	global_load_dwordx4 v[18:21], v[26:27], off offset:128
.LBB494_29:
	s_or_b64 exec, exec, s[2:3]
	s_mov_b32 s6, s4
	s_mov_b32 s7, s4
	;; [unrolled: 1-line block ×3, first 2 shown]
	v_mov_b64_e32 v[32:33], s[6:7]
	v_mov_b64_e32 v[30:31], s[4:5]
	;; [unrolled: 1-line block ×3, first 2 shown]
	v_cmp_gt_i32_e32 vcc, s52, v38
	v_lshlrev_b32_e32 v39, 7, v38
	v_mov_b64_e32 v[28:29], v[32:33]
	s_and_saveexec_b64 s[2:3], vcc
	s_cbranch_execz .LBB494_31
; %bb.30:
	v_lshlrev_b32_e32 v26, 1, v39
	v_mov_b32_e32 v27, 0
	v_lshl_add_u64 v[28:29], s[0:1], 0, v[26:27]
	v_lshlrev_b32_e32 v26, 1, v36
	v_lshl_add_u64 v[42:43], v[28:29], 0, v[26:27]
	global_load_dwordx4 v[30:33], v[42:43], off
	global_load_dwordx4 v[26:29], v[42:43], off offset:128
.LBB494_31:
	s_or_b64 exec, exec, s[2:3]
	v_lshrrev_b32_e32 v41, 3, v36
	v_lshlrev_b32_e32 v42, 3, v35
	v_or_b32_e32 v41, v42, v41
	v_lshlrev_b32_e32 v41, 4, v41
	v_and_b32_e32 v42, 0x78, v42
	v_xor_b32_e32 v41, v41, v42
	s_branch .LBB494_34
.LBB494_32:
                                        ; implicit-def: $vgpr41
                                        ; implicit-def: $vgpr39
                                        ; implicit-def: $vgpr22_vgpr23_vgpr24_vgpr25
                                        ; implicit-def: $vgpr18_vgpr19_vgpr20_vgpr21
                                        ; implicit-def: $vgpr30_vgpr31_vgpr32_vgpr33
                                        ; implicit-def: $vgpr26_vgpr27_vgpr28_vgpr29
	s_cbranch_execz .LBB494_34
; %bb.33:
	s_waitcnt vmcnt(0)
	v_lshlrev_b32_e32 v18, 1, v36
	v_lshl_or_b32 v39, v35, 8, v18
	s_and_b32 s1, s1, 0xffff
	s_mov_b32 s3, 0x20000
	s_movk_i32 s2, 0x4000
	v_lshl_or_b32 v41, v38, 8, v18
	s_movk_i32 s4, 0x80
	buffer_load_dwordx4 v[22:25], v39, s[0:3], 0 offen
	buffer_load_dwordx4 v[18:21], v39, s[0:3], s4 offen
	;; [unrolled: 1-line block ×4, first 2 shown]
	v_lshrrev_b32_e32 v39, 3, v36
	v_lshlrev_b32_e32 v41, 3, v35
	v_or_b32_e32 v39, v41, v39
	v_lshlrev_b32_e32 v39, 4, v39
	v_and_b32_e32 v41, 0x78, v41
	v_xor_b32_e32 v41, v39, v41
	v_lshlrev_b32_e32 v39, 7, v38
.LBB494_34:
	s_lshl_b64 s[0:1], s[44:45], 8
	s_add_u32 s4, s16, s0
	s_movk_i32 s0, 0x1000
	v_and_or_b32 v38, v39, s0, v41
	s_waitcnt vmcnt(1)
	ds_write_b64 v41, v[22:23] offset:24576
	v_xor_b32_e32 v22, 8, v41
	ds_write_b64 v22, v[24:25] offset:24576
	s_waitcnt vmcnt(0)
	ds_write_b64 v41, v[18:19] offset:32768
	ds_write_b64 v22, v[20:21] offset:32768
	;; [unrolled: 1-line block ×3, first 2 shown]
	v_xor_b32_e32 v18, 8, v38
	ds_write_b64 v18, v[32:33] offset:24576
	ds_write_b64 v38, v[26:27] offset:32768
	;; [unrolled: 1-line block ×3, first 2 shown]
	v_or_b32_e32 v18, v57, v60
	v_lshlrev_b32_e32 v18, 3, v18
	v_lshrrev_b32_e32 v19, 5, v58
	s_movk_i32 s7, 0xf8
	v_and_or_b32 v19, v18, s7, v19
	v_lshlrev_b32_e32 v23, 4, v19
	v_lshlrev_b32_e32 v41, 11, v56
	v_and_b32_e32 v24, 0x78, v18
	v_or_b32_e32 v26, 32, v23
	v_and_b32_e32 v22, 0x1000, v41
	v_lshrrev_b32_e32 v19, 1, v58
	v_xor_b32_e32 v26, v26, v24
	v_xor_b32_e32 v18, v23, v24
	v_and_b32_e32 v25, 8, v19
	v_or_b32_e32 v26, v26, v22
	v_or_b32_e32 v18, v18, v22
	v_xor_b32_e32 v45, v26, v25
	v_or_b32_e32 v26, 64, v23
	v_xor_b32_e32 v44, v18, v25
	v_xor_b32_e32 v26, v26, v24
	s_waitcnt lgkmcnt(0)
	s_barrier
	v_or_b32_e32 v28, v26, v22
	ds_read_b64 v[26:27], v44 offset:24576
	v_lshl_or_b32 v38, v59, 7, v40
	v_lshlrev_b32_e32 v42, 1, v38
	v_add_u32_e32 v18, 0xa000, v42
	ds_read2_b64 v[18:21], v18 offset1:16
	v_or_b32_e32 v23, 0x60, v23
	v_xor_b32_e32 v23, v23, v24
	s_waitcnt lgkmcnt(0)
	v_mfma_f32_16x16x16_bf16 a[0:3], v[26:27], v[18:19], 0
	v_or_b32_e32 v18, 64, v38
	v_or_b32_e32 v22, v23, v22
	v_lshlrev_b32_e32 v43, 1, v18
	v_xor_b32_e32 v46, v28, v25
	v_xor_b32_e32 v47, v22, v25
	ds_read_b64 v[28:29], v45 offset:24576
	ds_read_b64 v[30:31], v46 offset:24576
	;; [unrolled: 1-line block ×3, first 2 shown]
	v_mfma_f32_16x16x16_bf16 a[4:7], v[26:27], v[20:21], 0
	ds_read2st64_b64 v[18:21], v43 offset0:82 offset1:84
	ds_read2st64_b64 v[22:25], v42 offset0:82 offset1:84
	s_addc_u32 s5, s17, s1
	s_add_i32 s2, s24, -1
	s_add_i32 s0, s46, s29
	s_mul_i32 s13, s13, s28
	s_add_i32 s13, s0, s13
	s_mul_i32 s0, s33, s31
	s_mul_hi_u32 s1, s33, s30
	s_ashr_i32 s3, s2, 31
	s_mul_i32 s6, s2, s37
	s_mul_hi_u32 s7, s2, s36
	s_add_i32 s0, s1, s0
	s_mul_i32 s1, s26, s30
	s_add_i32 s6, s7, s6
	s_mul_i32 s3, s3, s36
	s_waitcnt lgkmcnt(1)
	v_mfma_f32_16x16x16_bf16 a[4:7], v[28:29], v[18:19], a[4:7]
	s_add_i32 s1, s0, s1
	s_add_i32 s3, s6, s3
	s_lshl_b64 s[6:7], s[12:13], 2
	s_waitcnt lgkmcnt(0)
	v_mfma_f32_16x16x16_bf16 a[0:3], v[28:29], v[22:23], a[0:3]
	s_mul_i32 s0, s33, s30
	s_add_u32 s6, s22, s6
	s_addc_u32 s7, s23, s7
	s_lshl_b64 s[0:1], s[0:1], 2
	s_mul_i32 s2, s2, s36
	s_add_u32 s12, s6, s0
	ds_read_b64 v[18:19], v42 offset:44032
	v_mfma_f32_16x16x16_bf16 a[4:7], v[30:31], v[20:21], a[4:7]
	ds_read_b64 v[20:21], v43 offset:44032
	s_addc_u32 s13, s7, s1
	s_lshl_b64 s[0:1], s[2:3], 2
	v_mfma_f32_16x16x16_bf16 a[0:3], v[30:31], v[24:25], a[0:3]
	s_add_u32 s0, s12, s0
	s_addc_u32 s1, s13, s1
	s_load_dword s16, s[0:1], 0x0
	s_waitcnt lgkmcnt(0)
	v_mfma_f32_16x16x16_bf16 a[0:3], v[32:33], v[18:19], a[0:3]
	s_and_b64 vcc, exec, s[42:43]
	v_mfma_f32_16x16x16_bf16 a[4:7], v[32:33], v[20:21], a[4:7]
	s_cbranch_vccz .LBB494_45
; %bb.35:
	v_lshlrev_b32_e32 v38, 1, v35
	s_and_b64 vcc, exec, s[14:15]
	s_cbranch_vccz .LBB494_46
; %bb.36:
	v_cmp_gt_i32_e32 vcc, s52, v38
	v_mov_b32_e32 v22, 0
	v_mov_b32_e32 v18, 0
	;; [unrolled: 1-line block ×5, first 2 shown]
	s_and_saveexec_b64 s[0:1], vcc
	s_cbranch_execz .LBB494_38
; %bb.37:
	v_mad_i64_i32 v[18:19], s[2:3], s27, v38, 0
	v_lshl_add_u64 v[18:19], v[18:19], 1, s[4:5]
	v_lshlrev_b32_e32 v20, 1, v36
	v_mov_b32_e32 v21, 0
	v_lshl_add_u64 v[18:19], v[18:19], 0, v[20:21]
	global_load_dwordx4 v[18:21], v[18:19], off
.LBB494_38:
	s_or_b64 exec, exec, s[0:1]
	v_or_b32_e32 v39, 1, v38
	v_cmp_gt_i32_e64 s[0:1], s52, v39
	v_mov_b32_e32 v23, 0
	v_mov_b32_e32 v24, 0
	v_mov_b32_e32 v25, 0
	s_and_saveexec_b64 s[2:3], s[0:1]
	s_cbranch_execz .LBB494_40
; %bb.39:
	v_mad_i64_i32 v[22:23], s[6:7], s27, v39, 0
	v_lshl_add_u64 v[22:23], v[22:23], 1, s[4:5]
	v_lshlrev_b32_e32 v24, 1, v36
	v_mov_b32_e32 v25, 0
	v_lshl_add_u64 v[22:23], v[22:23], 0, v[24:25]
	global_load_dwordx4 v[22:25], v[22:23], off
.LBB494_40:
	s_or_b64 exec, exec, s[2:3]
	v_mov_b32_e32 v33, 0
	v_mov_b32_e32 v26, 0
	;; [unrolled: 1-line block ×5, first 2 shown]
	s_and_saveexec_b64 s[2:3], vcc
	s_cbranch_execz .LBB494_42
; %bb.41:
	v_mad_i64_i32 v[26:27], s[6:7], s27, v38, 0
	v_lshl_add_u64 v[26:27], v[26:27], 1, s[4:5]
	v_lshlrev_b32_e32 v28, 1, v36
	v_mov_b32_e32 v29, 0
	v_lshl_add_u64 v[26:27], v[26:27], 0, v[28:29]
	global_load_dwordx4 v[26:29], v[26:27], off offset:128
.LBB494_42:
	s_or_b64 exec, exec, s[2:3]
	v_mov_b32_e32 v32, 0
	v_mov_b32_e32 v31, 0
	v_mov_b32_e32 v30, 0
	s_and_saveexec_b64 s[2:3], s[0:1]
	s_cbranch_execz .LBB494_44
; %bb.43:
	v_mad_i64_i32 v[30:31], s[0:1], s27, v39, 0
	v_lshl_add_u64 v[30:31], v[30:31], 1, s[4:5]
	v_lshlrev_b32_e32 v32, 1, v36
	v_mov_b32_e32 v33, 0
	v_lshl_add_u64 v[30:31], v[30:31], 0, v[32:33]
	global_load_dwordx4 v[30:33], v[30:31], off offset:128
.LBB494_44:
	s_or_b64 exec, exec, s[2:3]
	s_branch .LBB494_48
.LBB494_45:
                                        ; implicit-def: $vgpr21
                                        ; implicit-def: $vgpr25
                                        ; implicit-def: $vgpr29
                                        ; implicit-def: $vgpr33
	v_lshrrev_b32_e32 v48, 2, v58
	s_branch .LBB494_49
.LBB494_46:
                                        ; implicit-def: $vgpr21
                                        ; implicit-def: $vgpr25
                                        ; implicit-def: $vgpr29
                                        ; implicit-def: $vgpr33
	s_cbranch_execz .LBB494_48
; %bb.47:
	s_waitcnt vmcnt(0)
	v_mad_u64_u32 v[18:19], s[0:1], v38, s27, v[36:37]
	v_lshlrev_b32_e32 v38, 1, v18
	s_lshl_b32 s2, s27, 7
	s_and_b32 s1, s5, 0xffff
	s_mov_b32 s3, 0x20000
	s_mov_b32 s0, s4
	v_add_lshl_u32 v39, v18, s27, 1
	s_movk_i32 s6, 0x80
	buffer_load_dwordx4 v[18:21], v38, s[0:3], 0 offen
	buffer_load_dwordx4 v[26:29], v38, s[0:3], s6 offen
	;; [unrolled: 1-line block ×4, first 2 shown]
.LBB494_48:
	v_lshrrev_b32_e32 v48, 2, v58
	s_cbranch_execnz .LBB494_61
.LBB494_49:
	s_and_b64 vcc, exec, s[14:15]
	s_cbranch_vccz .LBB494_59
; %bb.50:
	s_waitcnt vmcnt(0)
	v_lshlrev_b32_e32 v23, 1, v35
	v_cmp_gt_i32_e32 vcc, s52, v23
	v_mov_b32_e32 v22, 0
	v_lshlrev_b32_e32 v30, 9, v35
	v_mov_b32_e32 v18, 0
	v_mov_b32_e32 v19, 0
	;; [unrolled: 1-line block ×4, first 2 shown]
	s_and_saveexec_b64 s[0:1], vcc
	s_cbranch_execz .LBB494_52
; %bb.51:
	v_mov_b32_e32 v31, 0
	v_lshl_add_u64 v[18:19], s[4:5], 0, v[30:31]
	v_lshlrev_b32_e32 v20, 1, v36
	v_mov_b32_e32 v21, v31
	v_lshl_add_u64 v[18:19], v[18:19], 0, v[20:21]
	global_load_dwordx4 v[18:21], v[18:19], off
.LBB494_52:
	s_or_b64 exec, exec, s[0:1]
	v_or_b32_e32 v23, 1, v23
	v_cmp_gt_i32_e64 s[0:1], s52, v23
	v_lshlrev_b32_e32 v38, 8, v23
	v_mov_b32_e32 v23, 0
	v_mov_b32_e32 v24, 0
	v_mov_b32_e32 v25, 0
	s_and_saveexec_b64 s[2:3], s[0:1]
	s_cbranch_execz .LBB494_54
; %bb.53:
	v_mov_b32_e32 v39, 0
	v_lshl_add_u64 v[22:23], s[4:5], 0, v[38:39]
	v_lshlrev_b32_e32 v24, 1, v36
	v_mov_b32_e32 v25, v39
	v_lshl_add_u64 v[22:23], v[22:23], 0, v[24:25]
	global_load_dwordx4 v[22:25], v[22:23], off
.LBB494_54:
	s_or_b64 exec, exec, s[2:3]
	v_mov_b32_e32 v33, 0
	v_mov_b32_e32 v26, 0
	;; [unrolled: 1-line block ×5, first 2 shown]
	s_and_saveexec_b64 s[2:3], vcc
	s_cbranch_execz .LBB494_56
; %bb.55:
	v_mov_b32_e32 v31, 0
	v_lshl_add_u64 v[26:27], s[4:5], 0, v[30:31]
	v_lshlrev_b32_e32 v30, 1, v36
	v_lshl_add_u64 v[26:27], v[26:27], 0, v[30:31]
	global_load_dwordx4 v[26:29], v[26:27], off offset:128
.LBB494_56:
	s_or_b64 exec, exec, s[2:3]
	v_mov_b32_e32 v32, 0
	v_mov_b32_e32 v31, 0
	;; [unrolled: 1-line block ×3, first 2 shown]
	s_and_saveexec_b64 s[2:3], s[0:1]
	s_cbranch_execz .LBB494_58
; %bb.57:
	v_mov_b32_e32 v39, 0
	v_lshl_add_u64 v[30:31], s[4:5], 0, v[38:39]
	v_lshlrev_b32_e32 v38, 1, v36
	v_lshl_add_u64 v[30:31], v[30:31], 0, v[38:39]
	global_load_dwordx4 v[30:33], v[30:31], off offset:128
.LBB494_58:
	s_or_b64 exec, exec, s[2:3]
	s_branch .LBB494_61
.LBB494_59:
                                        ; implicit-def: $vgpr21
                                        ; implicit-def: $vgpr25
                                        ; implicit-def: $vgpr29
                                        ; implicit-def: $vgpr33
	s_cbranch_execz .LBB494_61
; %bb.60:
	s_waitcnt vmcnt(0)
	v_lshlrev_b32_e32 v18, 1, v36
	v_lshl_or_b32 v36, v35, 9, v18
	s_and_b32 s5, s5, 0xffff
	s_mov_b32 s7, 0x20000
	s_movk_i32 s6, 0x4000
	s_movk_i32 s0, 0x80
	buffer_load_dwordx4 v[18:21], v36, s[4:7], 0 offen
	buffer_load_dwordx4 v[22:25], v36, s[4:7], 0 offen offset:256
	buffer_load_dwordx4 v[26:29], v36, s[4:7], s0 offen
	buffer_load_dwordx4 v[30:33], v36, s[4:7], s0 offen offset:256
.LBB494_61:
	ds_read_b64 v[38:39], v44 offset:32768
	v_add_u32_e32 v36, 0xb000, v42
	ds_read2_b64 v[50:53], v36 offset1:16
	ds_read_b64 v[54:55], v45 offset:32768
	ds_read_b64 v[58:59], v46 offset:32768
	;; [unrolled: 1-line block ×3, first 2 shown]
	v_and_b32_e32 v36, 6, v0
	v_xor_b32_e32 v35, v35, v36
	v_lshlrev_b32_e32 v35, 2, v35
	v_and_b32_e32 v49, 1, v0
	v_cmp_eq_u32_e32 vcc, 0, v49
	s_mov_b32 s0, 0x1000504
	s_waitcnt lgkmcnt(3)
	v_mfma_f32_16x16x16_bf16 a[0:3], v[38:39], v[50:51], a[0:3]
	s_mov_b32 s1, 0x3020706
	v_mfma_f32_16x16x16_bf16 a[4:7], v[38:39], v[52:53], a[4:7]
	ds_read2st64_b64 v[44:47], v42 offset0:90 offset1:92
	ds_read2st64_b64 v[50:53], v43 offset0:90 offset1:92
	s_waitcnt lgkmcnt(1)
	v_mfma_f32_16x16x16_bf16 a[0:3], v[54:55], v[44:45], a[0:3]
	ds_read_b64 v[38:39], v42 offset:48128
	ds_read_b64 v[44:45], v43 offset:48128
	s_waitcnt lgkmcnt(2)
	v_mfma_f32_16x16x16_bf16 a[4:7], v[54:55], v[50:51], a[4:7]
	v_mfma_f32_16x16x16_bf16 a[0:3], v[58:59], v[46:47], a[0:3]
	v_xor_b32_e32 v46, 0x440, v35
	v_cndmask_b32_e32 v35, v46, v35, vcc
	v_lshl_or_b32 v35, v36, 10, v35
	v_mfma_f32_16x16x16_bf16 a[8:11], v[58:59], v[52:53], a[4:7]
	s_waitcnt vmcnt(0)
	v_perm_b32 v36, v18, v22, s0
	v_perm_b32 v18, v18, v22, s1
	;; [unrolled: 1-line block ×3, first 2 shown]
	s_waitcnt lgkmcnt(1)
	v_mfma_f32_16x16x16_bf16 a[4:7], v[60:61], v[38:39], a[0:3]
	v_perm_b32 v38, v26, v30, s0
	ds_write2st64_b32 v35, v36, v38 offset0:32 offset1:64
	v_xor_b32_e32 v36, 8, v35
	v_add_u32_e32 v26, 0x80, v36
	ds_write2st64_b32 v26, v18, v22 offset0:32 offset1:64
	v_xor_b32_e32 v18, 16, v35
	v_perm_b32 v22, v19, v23, s0
	v_perm_b32 v26, v27, v31, s0
	ds_write2st64_b32 v18, v22, v26 offset0:33 offset1:65
	v_xor_b32_e32 v18, 24, v35
	v_perm_b32 v19, v19, v23, s1
	v_perm_b32 v22, v27, v31, s1
	v_add_u32_e32 v18, 0x80, v18
	ds_write2st64_b32 v18, v19, v22 offset0:33 offset1:65
	v_xor_b32_e32 v18, 32, v35
	v_perm_b32 v19, v20, v24, s0
	v_perm_b32 v22, v28, v32, s0
	ds_write2st64_b32 v18, v19, v22 offset0:34 offset1:66
	v_xor_b32_e32 v18, 40, v35
	s_waitcnt lgkmcnt(5)
	v_mfma_f32_16x16x16_bf16 a[0:3], v[60:61], v[44:45], a[8:11]
	v_perm_b32 v19, v20, v24, s1
	v_perm_b32 v20, v28, v32, s1
	v_add_u32_e32 v18, 0x80, v18
	ds_write2st64_b32 v18, v19, v20 offset0:34 offset1:66
	v_xor_b32_e32 v18, 48, v35
	v_perm_b32 v19, v21, v25, s0
	v_perm_b32 v20, v29, v33, s0
	ds_write2st64_b32 v18, v19, v20 offset0:35 offset1:67
	v_xor_b32_e32 v18, 56, v35
	v_and_or_b32 v38, v48, 12, v57
	v_perm_b32 v19, v21, v25, s1
	v_perm_b32 v20, v29, v33, s1
	v_add_u32_e32 v18, 0x80, v18
	v_cmp_gt_i32_e32 vcc, s52, v38
	v_mov_b32_e32 v32, 0
	v_mov_b32_e32 v36, 0
	ds_write2st64_b32 v18, v19, v20 offset0:35 offset1:67
	s_and_saveexec_b64 s[0:1], vcc
	s_cbranch_execz .LBB494_63
; %bb.62:
	v_add_u32_e32 v18, s51, v38
	v_ashrrev_i32_e32 v19, 31, v18
	v_mul_lo_u32 v20, v19, s36
	v_mul_lo_u32 v21, v18, s37
	v_mad_u64_u32 v[18:19], s[2:3], v18, s36, 0
	v_add3_u32 v19, v19, v21, v20
	v_lshl_add_u64 v[18:19], v[18:19], 2, s[12:13]
	global_load_dword v18, v[18:19], off
	s_waitcnt vmcnt(0)
	v_sub_f32_e32 v18, s16, v18
	v_mul_f32_e32 v18, 0x3fb8aa3b, v18
	v_exp_f32_e32 v36, v18
.LBB494_63:
	s_or_b64 exec, exec, s[0:1]
	v_or_b32_e32 v26, 1, v38
	v_cmp_gt_i32_e64 s[0:1], s52, v26
	s_and_saveexec_b64 s[2:3], s[0:1]
	s_cbranch_execz .LBB494_65
; %bb.64:
	v_add_u32_e32 v18, s51, v26
	v_ashrrev_i32_e32 v19, 31, v18
	v_mul_lo_u32 v20, v19, s36
	v_mul_lo_u32 v21, v18, s37
	v_mad_u64_u32 v[18:19], s[4:5], v18, s36, 0
	v_add3_u32 v19, v19, v21, v20
	v_lshl_add_u64 v[18:19], v[18:19], 2, s[12:13]
	global_load_dword v18, v[18:19], off
	s_waitcnt vmcnt(0)
	v_sub_f32_e32 v18, s16, v18
	v_mul_f32_e32 v18, 0x3fb8aa3b, v18
	v_exp_f32_e32 v32, v18
.LBB494_65:
	s_or_b64 exec, exec, s[2:3]
	v_or_b32_e32 v27, 2, v38
	v_cmp_gt_i32_e64 s[2:3], s52, v27
	v_mov_b32_e32 v33, 0
	v_mov_b32_e32 v39, 0
	s_and_saveexec_b64 s[4:5], s[2:3]
	s_cbranch_execz .LBB494_67
; %bb.66:
	v_add_u32_e32 v18, s51, v27
	v_ashrrev_i32_e32 v19, 31, v18
	v_mul_lo_u32 v20, v19, s36
	v_mul_lo_u32 v21, v18, s37
	v_mad_u64_u32 v[18:19], s[6:7], v18, s36, 0
	v_add3_u32 v19, v19, v21, v20
	v_lshl_add_u64 v[18:19], v[18:19], 2, s[12:13]
	global_load_dword v18, v[18:19], off
	s_waitcnt vmcnt(0)
	v_sub_f32_e32 v18, s16, v18
	v_mul_f32_e32 v18, 0x3fb8aa3b, v18
	v_exp_f32_e32 v39, v18
.LBB494_67:
	s_or_b64 exec, exec, s[4:5]
	v_or_b32_e32 v44, 3, v38
	v_cmp_gt_i32_e64 s[4:5], s52, v44
	s_and_saveexec_b64 s[6:7], s[4:5]
	s_cbranch_execz .LBB494_69
; %bb.68:
	v_add_u32_e32 v18, s51, v44
	v_ashrrev_i32_e32 v19, 31, v18
	v_mul_lo_u32 v20, v19, s36
	v_mul_lo_u32 v21, v18, s37
	v_mad_u64_u32 v[18:19], s[14:15], v18, s36, 0
	v_add3_u32 v19, v19, v21, v20
	v_lshl_add_u64 v[18:19], v[18:19], 2, s[12:13]
	global_load_dword v18, v[18:19], off
	s_waitcnt vmcnt(0)
	v_sub_f32_e32 v18, s16, v18
	v_mul_f32_e32 v18, 0x3fb8aa3b, v18
	v_exp_f32_e32 v33, v18
.LBB494_69:
	s_or_b64 exec, exec, s[6:7]
	s_add_u32 s6, s20, s10
	v_accvgpr_read_b32 v21, a7
	s_addc_u32 s7, s21, s11
	v_ashrrev_i32_e32 v35, 31, v34
	v_accvgpr_read_b32 v20, a6
	v_accvgpr_read_b32 v19, a5
	;; [unrolled: 1-line block ×3, first 2 shown]
	v_lshl_add_u64 v[22:23], v[34:35], 1, s[6:7]
	v_mov_b32_e32 v29, 0
	v_lshlrev_b32_e32 v24, 8, v38
	v_mov_b32_e32 v25, 0
	s_and_saveexec_b64 s[6:7], vcc
	s_cbranch_execz .LBB494_71
; %bb.70:
	v_mov_b32_e32 v25, 0
	v_lshl_add_u64 v[30:31], v[22:23], 0, v[24:25]
	global_load_ushort v25, v[30:31], off
	s_waitcnt vmcnt(0)
	v_lshlrev_b32_e32 v25, 16, v25
	v_sub_f32_e32 v18, v25, v18
	v_mul_f32_e32 v18, v36, v18
	v_lshrrev_b32_e32 v25, 16, v18
.LBB494_71:
	s_or_b64 exec, exec, s[6:7]
	v_lshlrev_b32_e32 v28, 8, v26
	s_and_saveexec_b64 s[6:7], s[0:1]
	s_cbranch_execz .LBB494_73
; %bb.72:
	v_mov_b32_e32 v29, 0
	v_lshl_add_u64 v[30:31], v[22:23], 0, v[28:29]
	global_load_ushort v18, v[30:31], off
	s_waitcnt vmcnt(0)
	v_lshlrev_b32_e32 v18, 16, v18
	v_sub_f32_e32 v18, v18, v19
	v_mul_f32_e32 v18, v32, v18
	v_lshrrev_b32_e32 v29, 16, v18
.LBB494_73:
	s_or_b64 exec, exec, s[6:7]
	v_mov_b32_e32 v45, 0
	v_lshlrev_b32_e32 v30, 8, v27
	v_mov_b32_e32 v31, 0
	s_and_saveexec_b64 s[6:7], s[2:3]
	s_cbranch_execz .LBB494_75
; %bb.74:
	v_mov_b32_e32 v31, 0
	v_lshl_add_u64 v[18:19], v[22:23], 0, v[30:31]
	global_load_ushort v18, v[18:19], off
	s_waitcnt vmcnt(0)
	v_lshlrev_b32_e32 v18, 16, v18
	v_sub_f32_e32 v18, v18, v20
	v_mul_f32_e32 v18, v39, v18
	v_lshrrev_b32_e32 v31, 16, v18
.LBB494_75:
	s_or_b64 exec, exec, s[6:7]
	v_lshlrev_b32_e32 v26, 8, v44
	s_and_saveexec_b64 s[6:7], s[4:5]
	s_cbranch_execz .LBB494_77
; %bb.76:
	v_mov_b32_e32 v27, 0
	v_lshl_add_u64 v[18:19], v[22:23], 0, v[26:27]
	global_load_ushort v18, v[18:19], off
	s_waitcnt vmcnt(0)
	v_lshlrev_b32_e32 v18, 16, v18
	v_sub_f32_e32 v18, v18, v21
	v_mul_f32_e32 v18, v33, v18
	v_lshrrev_b32_e32 v45, 16, v18
.LBB494_77:
	s_or_b64 exec, exec, s[6:7]
	v_lshlrev_b32_e32 v35, 5, v38
	s_mov_b32 s6, 0x5040100
	v_perm_b32 v44, v29, v25, s6
	v_or_b32_e32 v25, v35, v40
	v_accvgpr_read_b32 v21, a3
	v_perm_b32 v45, v45, v31, s6
	v_lshlrev_b32_e32 v25, 1, v25
	v_accvgpr_read_b32 v20, a2
	v_accvgpr_read_b32 v19, a1
	;; [unrolled: 1-line block ×3, first 2 shown]
	ds_write_b64 v25, v[44:45] offset:45056
	v_mov_b32_e32 v29, 0
	v_mov_b32_e32 v25, 0
	s_and_saveexec_b64 s[6:7], vcc
	s_cbranch_execz .LBB494_79
; %bb.78:
	v_mov_b32_e32 v25, 0
	v_lshl_add_u64 v[24:25], v[22:23], 0, v[24:25]
	global_load_ushort v24, v[24:25], off offset:32
	s_waitcnt vmcnt(0)
	v_lshlrev_b32_e32 v24, 16, v24
	v_sub_f32_e32 v18, v24, v18
	v_mul_f32_e32 v18, v36, v18
	v_lshrrev_b32_e32 v25, 16, v18
.LBB494_79:
	s_or_b64 exec, exec, s[6:7]
	s_and_saveexec_b64 s[6:7], s[0:1]
	s_cbranch_execz .LBB494_81
; %bb.80:
	v_mov_b32_e32 v29, 0
	v_lshl_add_u64 v[28:29], v[22:23], 0, v[28:29]
	global_load_ushort v18, v[28:29], off offset:32
	s_waitcnt vmcnt(0)
	v_lshlrev_b32_e32 v18, 16, v18
	v_sub_f32_e32 v18, v18, v19
	v_mul_f32_e32 v18, v32, v18
	v_lshrrev_b32_e32 v29, 16, v18
.LBB494_81:
	s_or_b64 exec, exec, s[6:7]
	v_mov_b32_e32 v24, 0
	v_mov_b32_e32 v28, 0
	s_and_saveexec_b64 s[0:1], s[2:3]
	s_cbranch_execz .LBB494_83
; %bb.82:
	v_mov_b32_e32 v31, 0
	v_lshl_add_u64 v[18:19], v[22:23], 0, v[30:31]
	global_load_ushort v18, v[18:19], off offset:32
	s_waitcnt vmcnt(0)
	v_lshlrev_b32_e32 v18, 16, v18
	v_sub_f32_e32 v18, v18, v20
	v_mul_f32_e32 v18, v39, v18
	v_lshrrev_b32_e32 v28, 16, v18
.LBB494_83:
	s_or_b64 exec, exec, s[0:1]
	v_or_b32_e32 v19, 0xb000, v42
	v_or_b32_e32 v18, 0xb000, v43
	s_and_saveexec_b64 s[0:1], s[4:5]
	s_cbranch_execz .LBB494_85
; %bb.84:
	v_mov_b32_e32 v27, 0
	v_lshl_add_u64 v[22:23], v[22:23], 0, v[26:27]
	global_load_ushort v20, v[22:23], off offset:32
	s_waitcnt vmcnt(0)
	v_lshlrev_b32_e32 v20, 16, v20
	v_sub_f32_e32 v20, v20, v21
	v_mul_f32_e32 v20, v33, v20
	v_lshrrev_b32_e32 v24, 16, v20
.LBB494_85:
	s_or_b64 exec, exec, s[0:1]
	s_mov_b32 s0, 0x5040100
	v_or_b32_e32 v22, v35, v37
	v_perm_b32 v21, v24, v28, s0
	v_perm_b32 v20, v29, v25, s0
	v_lshlrev_b32_e32 v22, 1, v22
	s_movk_i32 s0, 0x100
	ds_write_b64 v22, v[20:21] offset:45056
	v_and_b32_e32 v20, 7, v0
	v_and_b32_e32 v21, 8, v0
	v_cmp_gt_u32_e32 vcc, s0, v0
	v_lshrrev_b32_e32 v0, 1, v0
	v_lshlrev_b32_e32 v35, 3, v20
	v_lshlrev_b32_e32 v36, 7, v20
	v_mov_b32_e32 v20, 0x4000
	v_mov_b32_e32 v22, 0x2000
	v_lshlrev_b32_e32 v38, 3, v56
	v_and_b32_e32 v0, 24, v0
	v_cndmask_b32_e32 v37, v20, v22, vcc
	v_xor_b32_e32 v20, v38, v0
	v_or_b32_e32 v26, 32, v0
	v_or_b32_e32 v22, 0x440, v20
	v_cmp_eq_u32_e32 vcc, 0, v21
	v_xor_b32_e32 v26, v38, v26
	v_or_b32_e32 v27, 0x440, v26
	v_cndmask_b32_e32 v20, v22, v20, vcc
	v_or_b32_e32 v20, v20, v41
	v_cndmask_b32_e32 v26, v27, v26, vcc
	v_xad_u32 v40, v20, v35, v36
	v_or_b32_e32 v26, v26, v41
	v_add_u32_e32 v20, v37, v40
	v_xad_u32 v42, v26, v35, v36
	s_waitcnt lgkmcnt(0)
	s_barrier
	ds_read_b64 v[24:25], v20
	ds_read2_b64 v[20:23], v19 offset1:16
	v_add_u32_e32 v26, v37, v42
	ds_read_b64 v[32:33], v26
	s_waitcnt lgkmcnt(1)
	v_mfma_f32_16x16x16_bf16 a[0:3], v[24:25], v[20:21], 0
	ds_read2st64_b64 v[28:31], v18 offset0:2 offset1:4
	v_mfma_f32_16x16x16_bf16 a[4:7], v[24:25], v[22:23], 0
	ds_read2st64_b64 v[24:27], v19 offset0:2 offset1:4
	s_waitcnt lgkmcnt(0)
	v_mfma_f32_16x16x16_bf16 a[0:3], v[32:33], v[24:25], a[0:3]
	v_mfma_f32_16x16x16_bf16 a[4:7], v[32:33], v[28:29], a[4:7]
	v_or_b32_e32 v32, 64, v0
	v_xor_b32_e32 v32, v38, v32
	v_xor_b32_e32 v33, 0x440, v32
	v_cndmask_b32_e32 v32, v33, v32, vcc
	v_or_b32_e32 v32, v32, v41
	v_or_b32_e32 v0, 0x60, v0
	v_xad_u32 v43, v32, v35, v36
	v_xor_b32_e32 v0, v38, v0
	v_add_u32_e32 v32, v37, v43
	v_xor_b32_e32 v38, 0x440, v0
	ds_read_b64 v[32:33], v32
	v_cndmask_b32_e32 v0, v38, v0, vcc
	v_or_b32_e32 v0, v0, v41
	v_xad_u32 v0, v0, v35, v36
	v_add_u32_e32 v35, v37, v0
	ds_read_b64 v[36:37], v35
	s_waitcnt lgkmcnt(1)
	v_mfma_f32_16x16x16_bf16 a[0:3], v[32:33], v[26:27], a[0:3]
	v_mov_b32_e32 v35, 0x3fb8aa3b
	v_mfma_f32_16x16x16_bf16 a[4:7], v[32:33], v[30:31], a[4:7]
	ds_read_b64 v[32:33], v19 offset:3072
	ds_read_b64 v[38:39], v18 offset:3072
	;; [unrolled: 1-line block ×3, first 2 shown]
	s_waitcnt lgkmcnt(2)
	v_mfma_f32_16x16x16_bf16 a[0:3], v[36:37], v[32:33], a[0:3]
	s_waitcnt lgkmcnt(1)
	v_mfma_f32_16x16x16_bf16 a[4:7], v[36:37], v[38:39], a[4:7]
	ds_read_b64 v[36:37], v42 offset:16384
	s_waitcnt lgkmcnt(1)
	v_mfma_f32_16x16x16_bf16 a[8:11], v[18:19], v[20:21], 0
	v_mul_f32_e32 v20, s16, v35
	v_exp_f32_e32 v35, v20
	v_accvgpr_read_b32 v21, a3
	v_mfma_f32_16x16x16_bf16 a[12:15], v[18:19], v[22:23], 0
	ds_read_b64 v[22:23], v43 offset:16384
	v_accvgpr_read_b32 v18, a0
	v_fma_f32 v18, v2, v35, v18
	v_accvgpr_read_b32 v2, a1
	v_fma_f32 v19, v3, v35, v2
	;; [unrolled: 2-line block ×3, first 2 shown]
	ds_read_b64 v[2:3], v0 offset:16384
	s_waitcnt lgkmcnt(2)
	v_mfma_f32_16x16x16_bf16 a[8:11], v[36:37], v[24:25], a[8:11]
	v_accvgpr_read_b32 v0, a4
	v_fmac_f32_e32 v21, v5, v35
	v_mfma_f32_16x16x16_bf16 a[12:15], v[36:37], v[28:29], a[12:15]
	v_accvgpr_read_b32 v29, a7
	v_fmac_f32_e32 v29, v13, v35
	s_waitcnt lgkmcnt(1)
	v_mfma_f32_16x16x16_bf16 a[0:3], v[22:23], v[26:27], a[8:11]
	v_fma_f32 v26, v10, v35, v0
	v_accvgpr_read_b32 v0, a5
	v_fma_f32 v27, v11, v35, v0
	v_mfma_f32_16x16x16_bf16 a[8:11], v[22:23], v[30:31], a[12:15]
	v_accvgpr_read_b32 v0, a6
	v_fma_f32 v28, v12, v35, v0
	s_waitcnt lgkmcnt(0)
	v_mfma_f32_16x16x16_bf16 a[0:3], v[2:3], v[32:33], a[0:3]
	v_mfma_f32_16x16x16_bf16 a[4:7], v[2:3], v[38:39], a[8:11]
	s_nop 5
	v_accvgpr_read_b32 v0, a0
	v_fma_f32 v22, v6, v35, v0
	v_accvgpr_read_b32 v0, a1
	v_fma_f32 v23, v7, v35, v0
	;; [unrolled: 2-line block ×4, first 2 shown]
	v_accvgpr_read_b32 v0, a5
	v_accvgpr_read_b32 v25, a3
	v_fma_f32 v31, v15, v35, v0
	v_accvgpr_read_b32 v0, a6
	v_accvgpr_read_b32 v33, a7
	v_fmac_f32_e32 v25, v9, v35
	v_fma_f32 v32, v16, v35, v0
	v_fmac_f32_e32 v33, v17, v35
	v_mov_b64_e32 v[2:3], v[18:19]
	v_mov_b64_e32 v[4:5], v[20:21]
	;; [unrolled: 1-line block ×8, first 2 shown]
	v_mov_b32_e32 v18, v34
.LBB494_86:
	s_lshl_b64 s[0:1], s[8:9], 16
	s_waitcnt lgkmcnt(0)
	s_add_u32 s0, s34, s0
	v_lshlrev_b32_e32 v18, 7, v18
	s_addc_u32 s1, s35, s1
	v_ashrrev_i32_e32 v19, 31, v18
	v_lshl_add_u64 v[20:21], v[18:19], 2, s[0:1]
	v_lshlrev_b32_e32 v0, 2, v1
	v_mov_b32_e32 v1, 0
	v_lshl_add_u64 v[20:21], v[20:21], 0, v[0:1]
	global_store_dwordx4 v[20:21], v[2:5], off
	global_store_dwordx4 v[20:21], v[6:9], off offset:256
	s_nop 0
	v_or_b32_e32 v2, 0x800, v18
	v_ashrrev_i32_e32 v3, 31, v2
	v_lshl_add_u64 v[2:3], v[2:3], 2, s[0:1]
	v_lshl_add_u64 v[0:1], v[2:3], 0, v[0:1]
	global_store_dwordx4 v[0:1], v[10:13], off
	global_store_dwordx4 v[0:1], v[14:17], off offset:256
	s_endpgm
	.section	.rodata,"a",@progbits
	.p2align	6, 0x0
	.amdhsa_kernel _ZN12_GLOBAL__N_139chunk_gated_delta_rule_fwd_h_hip_kernelILi32ELb0ELb1ELb0ELb0ELb0ELb0ELb1ELb0EEEvPK12hip_bfloat16S3_S3_PKfS5_PKvPS1_S8_PvPKiSB_iiiiilll
		.amdhsa_group_segment_fixed_size 49152
		.amdhsa_private_segment_fixed_size 0
		.amdhsa_kernarg_size 136
		.amdhsa_user_sgpr_count 2
		.amdhsa_user_sgpr_dispatch_ptr 0
		.amdhsa_user_sgpr_queue_ptr 0
		.amdhsa_user_sgpr_kernarg_segment_ptr 1
		.amdhsa_user_sgpr_dispatch_id 0
		.amdhsa_user_sgpr_kernarg_preload_length 0
		.amdhsa_user_sgpr_kernarg_preload_offset 0
		.amdhsa_user_sgpr_private_segment_size 0
		.amdhsa_uses_dynamic_stack 0
		.amdhsa_enable_private_segment 0
		.amdhsa_system_sgpr_workgroup_id_x 1
		.amdhsa_system_sgpr_workgroup_id_y 1
		.amdhsa_system_sgpr_workgroup_id_z 0
		.amdhsa_system_sgpr_workgroup_info 0
		.amdhsa_system_vgpr_workitem_id 0
		.amdhsa_next_free_vgpr 148
		.amdhsa_next_free_sgpr 64
		.amdhsa_accum_offset 132
		.amdhsa_reserve_vcc 1
		.amdhsa_float_round_mode_32 0
		.amdhsa_float_round_mode_16_64 0
		.amdhsa_float_denorm_mode_32 3
		.amdhsa_float_denorm_mode_16_64 3
		.amdhsa_dx10_clamp 1
		.amdhsa_ieee_mode 1
		.amdhsa_fp16_overflow 0
		.amdhsa_tg_split 0
		.amdhsa_exception_fp_ieee_invalid_op 0
		.amdhsa_exception_fp_denorm_src 0
		.amdhsa_exception_fp_ieee_div_zero 0
		.amdhsa_exception_fp_ieee_overflow 0
		.amdhsa_exception_fp_ieee_underflow 0
		.amdhsa_exception_fp_ieee_inexact 0
		.amdhsa_exception_int_div_zero 0
	.end_amdhsa_kernel
	.section	.text._ZN12_GLOBAL__N_139chunk_gated_delta_rule_fwd_h_hip_kernelILi32ELb0ELb1ELb0ELb0ELb0ELb0ELb1ELb0EEEvPK12hip_bfloat16S3_S3_PKfS5_PKvPS1_S8_PvPKiSB_iiiiilll,"axG",@progbits,_ZN12_GLOBAL__N_139chunk_gated_delta_rule_fwd_h_hip_kernelILi32ELb0ELb1ELb0ELb0ELb0ELb0ELb1ELb0EEEvPK12hip_bfloat16S3_S3_PKfS5_PKvPS1_S8_PvPKiSB_iiiiilll,comdat
.Lfunc_end494:
	.size	_ZN12_GLOBAL__N_139chunk_gated_delta_rule_fwd_h_hip_kernelILi32ELb0ELb1ELb0ELb0ELb0ELb0ELb1ELb0EEEvPK12hip_bfloat16S3_S3_PKfS5_PKvPS1_S8_PvPKiSB_iiiiilll, .Lfunc_end494-_ZN12_GLOBAL__N_139chunk_gated_delta_rule_fwd_h_hip_kernelILi32ELb0ELb1ELb0ELb0ELb0ELb0ELb1ELb0EEEvPK12hip_bfloat16S3_S3_PKfS5_PKvPS1_S8_PvPKiSB_iiiiilll
                                        ; -- End function
	.section	.AMDGPU.csdata,"",@progbits
; Kernel info:
; codeLenInByte = 9456
; NumSgprs: 70
; NumVgprs: 132
; NumAgprs: 16
; TotalNumVgprs: 148
; ScratchSize: 0
; MemoryBound: 0
; FloatMode: 240
; IeeeMode: 1
; LDSByteSize: 49152 bytes/workgroup (compile time only)
; SGPRBlocks: 8
; VGPRBlocks: 18
; NumSGPRsForWavesPerEU: 70
; NumVGPRsForWavesPerEU: 148
; AccumOffset: 132
; Occupancy: 1
; WaveLimiterHint : 1
; COMPUTE_PGM_RSRC2:SCRATCH_EN: 0
; COMPUTE_PGM_RSRC2:USER_SGPR: 2
; COMPUTE_PGM_RSRC2:TRAP_HANDLER: 0
; COMPUTE_PGM_RSRC2:TGID_X_EN: 1
; COMPUTE_PGM_RSRC2:TGID_Y_EN: 1
; COMPUTE_PGM_RSRC2:TGID_Z_EN: 0
; COMPUTE_PGM_RSRC2:TIDIG_COMP_CNT: 0
; COMPUTE_PGM_RSRC3_GFX90A:ACCUM_OFFSET: 32
; COMPUTE_PGM_RSRC3_GFX90A:TG_SPLIT: 0
	.section	.text._ZN12_GLOBAL__N_139chunk_gated_delta_rule_fwd_h_hip_kernelILi32ELb0ELb0ELb1ELb0ELb0ELb0ELb1ELb0EEEvPK12hip_bfloat16S3_S3_PKfS5_PKvPS1_S8_PvPKiSB_iiiiilll,"axG",@progbits,_ZN12_GLOBAL__N_139chunk_gated_delta_rule_fwd_h_hip_kernelILi32ELb0ELb0ELb1ELb0ELb0ELb0ELb1ELb0EEEvPK12hip_bfloat16S3_S3_PKfS5_PKvPS1_S8_PvPKiSB_iiiiilll,comdat
	.globl	_ZN12_GLOBAL__N_139chunk_gated_delta_rule_fwd_h_hip_kernelILi32ELb0ELb0ELb1ELb0ELb0ELb0ELb1ELb0EEEvPK12hip_bfloat16S3_S3_PKfS5_PKvPS1_S8_PvPKiSB_iiiiilll ; -- Begin function _ZN12_GLOBAL__N_139chunk_gated_delta_rule_fwd_h_hip_kernelILi32ELb0ELb0ELb1ELb0ELb0ELb0ELb1ELb0EEEvPK12hip_bfloat16S3_S3_PKfS5_PKvPS1_S8_PvPKiSB_iiiiilll
	.p2align	8
	.type	_ZN12_GLOBAL__N_139chunk_gated_delta_rule_fwd_h_hip_kernelILi32ELb0ELb0ELb1ELb0ELb0ELb0ELb1ELb0EEEvPK12hip_bfloat16S3_S3_PKfS5_PKvPS1_S8_PvPKiSB_iiiiilll,@function
_ZN12_GLOBAL__N_139chunk_gated_delta_rule_fwd_h_hip_kernelILi32ELb0ELb0ELb1ELb0ELb0ELb0ELb1ELb0EEEvPK12hip_bfloat16S3_S3_PKfS5_PKvPS1_S8_PvPKiSB_iiiiilll: ; @_ZN12_GLOBAL__N_139chunk_gated_delta_rule_fwd_h_hip_kernelILi32ELb0ELb0ELb1ELb0ELb0ELb0ELb1ELb0EEEvPK12hip_bfloat16S3_S3_PKfS5_PKvPS1_S8_PvPKiSB_iiiiilll
; %bb.0:
	s_load_dwordx4 s[16:19], s[0:1], 0x5c
	s_load_dwordx4 s[12:15], s[0:1], 0x30
	s_abs_i32 s22, s3
	s_ashr_i32 s21, s3, 31
	s_load_dwordx8 s[4:11], s[0:1], 0x0
	s_waitcnt lgkmcnt(0)
	s_abs_i32 s20, s17
	v_cvt_f32_u32_e32 v1, s20
	s_sub_i32 s24, 0, s20
	s_ashr_i32 s23, s17, 31
	s_xor_b32 s21, s21, s23
	v_rcp_iflag_f32_e32 v1, v1
	v_lshrrev_b32_e32 v44, 6, v0
	v_bfe_u32 v45, v0, 4, 2
	v_lshlrev_b32_e32 v2, 2, v45
	v_mul_f32_e32 v1, 0x4f7ffffe, v1
	v_cvt_u32_f32_e32 v1, v1
	v_and_b32_e32 v43, 63, v0
	v_and_b32_e32 v42, 15, v0
	v_mov_b32_e32 v3, 0
	v_readfirstlane_b32 s25, v1
	s_mul_i32 s24, s24, s25
	s_mul_hi_u32 s24, s25, s24
	s_add_i32 s25, s25, s24
	s_mul_hi_u32 s24, s22, s25
	s_mul_i32 s25, s24, s20
	s_sub_i32 s22, s22, s25
	s_add_i32 s26, s24, 1
	s_sub_i32 s25, s22, s20
	s_cmp_ge_u32 s22, s20
	s_cselect_b32 s24, s26, s24
	s_cselect_b32 s22, s25, s22
	s_add_i32 s25, s24, 1
	s_cmp_ge_u32 s22, s20
	s_cselect_b32 s22, s25, s24
	s_xor_b32 s22, s22, s21
	s_sub_i32 s47, s22, s21
	s_abs_i32 s21, s18
	v_cvt_f32_u32_e32 v1, s21
	s_add_i32 s24, s16, 63
	s_mul_i32 s45, s47, s17
	s_sub_i32 s33, s3, s45
	v_rcp_iflag_f32_e32 v1, v1
	s_ashr_i32 s3, s24, 31
	s_ashr_i32 s46, s16, 31
	s_lshr_b32 s3, s3, 26
	v_mul_f32_e32 v1, 0x4f7ffffe, v1
	v_cvt_u32_f32_e32 v1, v1
	s_lshr_b32 s22, s46, 26
	s_add_i32 s24, s24, s3
	s_add_i32 s22, s16, s22
	s_ashr_i32 s49, s18, 31
	s_ashr_i32 s3, s24, 6
	;; [unrolled: 1-line block ×3, first 2 shown]
	s_xor_b32 s22, s23, s49
	s_sub_i32 s23, 0, s21
	v_readfirstlane_b32 s24, v1
	s_mul_i32 s23, s23, s24
	s_mul_hi_u32 s23, s24, s23
	s_add_i32 s24, s24, s23
	s_mul_hi_u32 s23, s20, s24
	s_mul_i32 s24, s23, s21
	s_sub_i32 s20, s20, s24
	s_add_i32 s24, s23, 1
	s_sub_i32 s25, s20, s21
	s_cmp_ge_u32 s20, s21
	s_cselect_b32 s23, s24, s23
	s_cselect_b32 s20, s25, s20
	s_add_i32 s24, s23, 1
	s_cmp_ge_u32 s20, s21
	s_cselect_b32 s20, s24, s23
	s_xor_b32 s20, s20, s22
	s_sub_i32 s24, s20, s22
	s_abs_i32 s25, s24
	v_cvt_f32_u32_e32 v1, s25
	s_load_dwordx2 s[34:35], s[0:1], 0x80
	s_load_dwordx4 s[20:23], s[0:1], 0x70
	s_xor_b32 s0, s33, s24
	s_sub_i32 s24, 0, s25
	v_rcp_iflag_f32_e32 v1, v1
	s_abs_i32 s1, s33
	s_ashr_i32 s0, s0, 31
	s_mul_i32 s50, s47, s3
	v_mul_f32_e32 v1, 0x4f7ffffe, v1
	v_cvt_u32_f32_e32 v1, v1
	s_mul_hi_i32 s51, s47, s17
	v_lshrrev_b32_e32 v47, 3, v43
	v_lshlrev_b32_e32 v46, 3, v0
	v_readfirstlane_b32 s26, v1
	s_mul_i32 s24, s24, s26
	s_mul_hi_u32 s24, s26, s24
	s_add_i32 s26, s26, s24
	s_mul_hi_u32 s24, s1, s26
	s_mul_i32 s26, s24, s25
	s_sub_i32 s1, s1, s26
	s_add_i32 s26, s24, 1
	s_sub_i32 s27, s1, s25
	s_cmp_ge_u32 s1, s25
	s_cselect_b32 s24, s26, s24
	s_cselect_b32 s1, s27, s1
	s_add_i32 s26, s24, 1
	s_cmp_ge_u32 s1, s25
	s_cselect_b32 s1, s26, s24
	s_xor_b32 s1, s1, s0
	v_lshlrev_b32_e32 v1, 4, v44
	s_sub_i32 s52, s1, s0
	v_or_b32_e32 v48, v2, v1
	s_lshl_b32 s36, s2, 5
	v_or_b32_e32 v49, 64, v48
	s_cmp_lt_i32 s16, 64
	s_waitcnt lgkmcnt(0)
	s_mul_i32 s21, s47, s21
	s_mul_hi_u32 s44, s47, s20
	s_mul_i32 s38, s47, s20
	v_mov_b32_e32 v64, 0
	v_mov_b32_e32 v62, 0
	;; [unrolled: 1-line block ×15, first 2 shown]
	s_cbranch_scc1 .LBB495_18
; %bb.1:
	s_ashr_i32 s28, s47, 31
	s_ashr_i32 s54, s33, 31
	s_add_u32 s0, s45, s33
	s_addc_u32 s1, s51, s54
	s_mul_i32 s1, s16, s1
	s_mul_hi_u32 s2, s16, s0
	s_add_i32 s3, s2, s1
	s_mul_i32 s2, s16, s0
	s_lshl_b64 s[0:1], s[2:3], 8
	v_and_b32_e32 v51, 56, v46
	s_add_u32 s24, s6, s0
	v_lshl_or_b32 v50, v44, 3, v47
	v_lshlrev_b32_e32 v3, 1, v51
	s_addc_u32 s0, s7, s1
	v_lshl_or_b32 v52, v50, 8, v3
	s_and_b32 s25, s0, 0xffff
	s_mov_b32 s27, 0x20000
	s_movk_i32 s26, 0x4000
	s_movk_i32 s0, 0x80
	v_or_b32_e32 v53, 0x2000, v52
	buffer_load_dwordx4 v[4:7], v52, s[24:27], 0 offen
	buffer_load_dwordx4 v[8:11], v52, s[24:27], s0 offen
	;; [unrolled: 1-line block ×4, first 2 shown]
	v_lshlrev_b32_e32 v20, 3, v50
	v_and_or_b32 v22, v0, 7, v20
	v_and_b32_e32 v20, 0x78, v20
	v_lshlrev_b32_e32 v22, 4, v22
	v_xor_b32_e32 v54, v22, v20
	v_mul_lo_u32 v21, v50, s19
	v_or_b32_e32 v55, 0x1000, v54
	s_cmpk_eq_i32 s19, 0x80
	s_mov_b32 s53, s18
	v_xor_b32_e32 v20, 8, v54
	v_xor_b32_e32 v22, 8, v55
	s_cselect_b64 s[0:1], -1, 0
	s_cmpk_lg_i32 s19, 0x80
	s_waitcnt vmcnt(3)
	ds_write_b64 v54, v[4:5] offset:24576
	ds_write_b64 v20, v[6:7] offset:24576
	s_waitcnt vmcnt(2)
	ds_write_b64 v54, v[8:9] offset:32768
	ds_write_b64 v20, v[10:11] offset:32768
	;; [unrolled: 3-line block ×4, first 2 shown]
	v_lshl_add_u32 v4, v21, 1, v51
	s_cbranch_scc0 .LBB495_3
; %bb.2:
	v_lshlrev_b32_e32 v6, 1, v4
	v_add_lshl_u32 v5, v4, s19, 1
	s_lshl_b32 s26, s19, 7
	v_lshl_or_b32 v3, v50, 9, v3
	s_cbranch_execz .LBB495_4
	s_branch .LBB495_5
.LBB495_3:
                                        ; implicit-def: $vgpr5
                                        ; implicit-def: $vgpr6
                                        ; implicit-def: $sgpr26
	v_lshl_or_b32 v3, v50, 9, v3
.LBB495_4:
	v_or_b32_e32 v5, 0x100, v3
	s_movk_i32 s26, 0x4000
	v_mov_b32_e32 v6, v3
.LBB495_5:
	s_mul_hi_u32 s24, s18, s16
	s_mul_i32 s25, s49, s16
	s_add_i32 s24, s24, s25
	s_mul_i32 s25, s18, s16
	s_mul_i32 s27, s25, s28
	s_mul_hi_u32 s29, s25, s47
	s_add_i32 s27, s29, s27
	s_mul_i32 s24, s24, s47
	s_add_i32 s27, s27, s24
	s_mul_i32 s25, s25, s47
	s_ashr_i32 s55, s52, 31
	s_add_u32 s24, s25, s52
	s_addc_u32 s25, s27, s55
	s_lshl_b64 s[24:25], s[24:25], 8
	s_add_u32 s24, s4, s24
	s_addc_u32 s25, s5, s25
	s_and_b32 s25, s25, 0xffff
	s_mov_b32 s27, 0x20000
	s_movk_i32 s56, 0x80
	buffer_load_dwordx4 v[8:11], v6, s[24:27], 0 offen
	buffer_load_dwordx4 v[12:15], v6, s[24:27], s56 offen
	;; [unrolled: 1-line block ×4, first 2 shown]
	v_and_b32_e32 v5, 6, v0
	v_lshlrev_b32_e32 v24, 6, v48
	v_or_b32_e32 v26, 16, v42
	v_xor_b32_e32 v27, v50, v5
	v_and_b32_e32 v6, 1, v0
	s_mul_i32 s24, s28, s16
	s_mul_hi_u32 s25, s47, s16
	v_lshl_or_b32 v30, v42, 3, v24
	v_lshl_or_b32 v24, v26, 3, v24
	v_lshlrev_b32_e32 v27, 2, v27
	v_lshlrev_b32_e32 v7, 2, v42
	v_or_b32_e32 v58, 0xa000, v24
	v_or_b32_e32 v59, 0xb000, v24
	v_xor_b32_e32 v24, 0x440, v27
	v_cmp_eq_u32_e32 vcc, 0, v6
	s_add_i32 s61, s25, s24
	s_add_i32 s24, s44, s21
	s_mul_i32 s28, s28, s20
	v_xor_b32_e32 v28, v48, v7
	v_xor_b32_e32 v29, v49, v7
	v_cndmask_b32_e32 v6, v24, v27, vcc
	s_add_i32 s39, s24, s28
	s_mul_i32 s24, s33, s23
	s_mul_hi_u32 s25, s33, s22
	s_mov_b32 s58, 0x1000504
	v_lshlrev_b32_e32 v25, 8, v42
	v_lshlrev_b32_e32 v28, 1, v28
	;; [unrolled: 1-line block ×3, first 2 shown]
	v_lshl_or_b32 v5, v5, 10, v6
	s_add_i32 s24, s25, s24
	s_mul_i32 s25, s54, s22
	s_mov_b32 s59, 0x3020706
	v_or_b32_e32 v56, 0xa000, v30
	v_or_b32_e32 v57, 0xb000, v30
	;; [unrolled: 1-line block ×4, first 2 shown]
	v_xor_b32_e32 v6, 8, v5
	v_xor_b32_e32 v25, 24, v5
	;; [unrolled: 1-line block ×4, first 2 shown]
	s_add_i32 s25, s24, s25
	s_lshl_b64 s[28:29], s[38:39], 2
	v_xor_b32_e32 v24, 16, v5
	v_xor_b32_e32 v27, 32, v5
	;; [unrolled: 1-line block ×3, first 2 shown]
	v_add_u32_e32 v6, 0x80, v6
	v_add_u32_e32 v25, 0x80, v25
	;; [unrolled: 1-line block ×4, first 2 shown]
	s_mul_i32 s24, s33, s22
	s_add_u32 s26, s10, s28
	s_addc_u32 s28, s11, s29
	s_lshl_b64 s[24:25], s[24:25], 2
	s_add_u32 s40, s26, s24
	s_movk_i32 s24, 0xf8
	s_addc_u32 s41, s28, s25
	s_ashr_i32 s37, s36, 31
	s_lshl_b32 s30, s19, 7
	s_movk_i32 s28, 0x100
	v_mov_b32_e32 v35, 0
	v_cmp_gt_u32_e32 vcc, s28, v0
	s_mov_b32 s57, 0
	s_mul_i32 s60, s47, s16
	s_movk_i32 s39, 0x1000
	s_movk_i32 s26, 0x4000
	v_add_u32_e32 v93, v1, v2
	v_mov_b32_e32 v94, 0x3fb8aa3b
	s_mov_b32 s63, 0
	v_mov_b32_e32 v74, v35
	v_mov_b32_e32 v73, v35
	;; [unrolled: 1-line block ×10, first 2 shown]
	s_waitcnt vmcnt(1)
	v_perm_b32 v33, v8, v16, s58
	s_waitcnt vmcnt(0)
	v_perm_b32 v34, v12, v20, s58
	v_perm_b32 v8, v8, v16, s59
	;; [unrolled: 1-line block ×15, first 2 shown]
	ds_write2st64_b32 v5, v33, v34 offset0:32 offset1:64
	ds_write2st64_b32 v6, v8, v12 offset0:32 offset1:64
	;; [unrolled: 1-line block ×8, first 2 shown]
	v_lshlrev_b32_e32 v5, 8, v26
	v_or_b32_e32 v68, v5, v28
	v_or_b32_e32 v69, v5, v29
	;; [unrolled: 1-line block ×3, first 2 shown]
	v_lshlrev_b32_e32 v5, 3, v5
	v_lshrrev_b32_e32 v8, 5, v43
	v_and_or_b32 v8, v5, s24, v8
	v_lshlrev_b32_e32 v8, 4, v8
	v_lshlrev_b32_e32 v9, 11, v44
	v_and_b32_e32 v5, 0x78, v5
	v_or_b32_e32 v13, 32, v8
	v_and_b32_e32 v6, 0x1000, v9
	v_lshrrev_b32_e32 v11, 1, v0
	v_xor_b32_e32 v13, v13, v5
	v_and_b32_e32 v12, 8, v11
	v_or_b32_e32 v13, v13, v6
	v_xor_b32_e32 v10, v8, v5
	v_xor_b32_e32 v78, v13, v12
	v_or_b32_e32 v13, 64, v8
	v_or_b32_e32 v8, 0x60, v8
	v_xor_b32_e32 v13, v13, v5
	v_xor_b32_e32 v5, v8, v5
	v_or_b32_e32 v10, v10, v6
	v_or_b32_e32 v13, v13, v6
	;; [unrolled: 1-line block ×3, first 2 shown]
	s_lshl_b64 s[24:25], s[36:37], 8
	v_xor_b32_e32 v76, v10, v12
	v_xor_b32_e32 v80, v13, v12
	;; [unrolled: 1-line block ×3, first 2 shown]
	v_lshlrev_b32_e32 v12, 1, v4
	v_add_lshl_u32 v13, v4, s19, 1
	s_add_u32 s24, s12, s24
	v_lshlrev_b32_e32 v4, 1, v42
	v_lshrrev_b32_e32 v15, 4, v0
	s_addc_u32 s25, s13, s25
	v_or_b32_e32 v5, 1, v4
	v_lshlrev_b32_e32 v34, 4, v42
	v_mov_b32_e32 v19, 0x4000
	v_mov_b32_e32 v20, 0x2000
	v_xor_b32_e32 v16, v15, v4
	v_xor_b32_e32 v17, v5, v15
	v_lshl_add_u64 v[4:5], s[24:25], 0, v[34:35]
	v_lshlrev_b32_e32 v34, 8, v15
	v_cndmask_b32_e32 v19, v19, v20, vcc
	v_lshlrev_b32_e32 v20, 3, v44
	v_and_b32_e32 v11, 24, v11
	v_lshl_or_b32 v84, v16, 3, v34
	v_and_b32_e32 v16, 8, v0
	v_xor_b32_e32 v21, v20, v11
	v_or_b32_e32 v22, 0x440, v21
	v_cmp_eq_u32_e32 vcc, 0, v16
	v_and_b32_e32 v15, 7, v0
	v_lshlrev_b32_e32 v10, 7, v45
	v_cndmask_b32_e32 v16, v22, v21, vcc
	v_lshl_or_b32 v85, v17, 3, v34
	v_lshlrev_b32_e32 v17, 3, v15
	v_lshlrev_b32_e32 v15, 7, v15
	v_lshlrev_b32_e32 v18, 2, v0
	v_or_b32_e32 v16, v16, v9
	v_or_b32_e32 v7, v10, v7
	v_xad_u32 v86, v16, v17, v15
	v_and_or_b32 v10, v18, 60, v10
	v_mov_b32_e32 v16, 0xb000
	v_lshl_or_b32 v87, v10, 1, v16
	v_or_b32_e32 v10, 32, v11
	v_xor_b32_e32 v10, v20, v10
	v_or_b32_e32 v16, 0x440, v10
	v_cndmask_b32_e32 v10, v16, v10, vcc
	v_or_b32_e32 v10, v10, v9
	v_xad_u32 v88, v10, v17, v15
	v_or_b32_e32 v10, 64, v11
	v_xor_b32_e32 v10, v20, v10
	v_xor_b32_e32 v16, 0x440, v10
	v_cndmask_b32_e32 v10, v16, v10, vcc
	v_or_b32_e32 v10, v10, v9
	v_xad_u32 v89, v10, v17, v15
	v_or_b32_e32 v10, 0x60, v11
	v_xor_b32_e32 v10, v20, v10
	v_xor_b32_e32 v11, 0x440, v10
	v_lshlrev_b32_e32 v7, 1, v7
	v_or_b32_e32 v6, s36, v42
	v_cndmask_b32_e32 v10, v11, v10, vcc
	v_or_b32_e32 v77, 0xa000, v7
	v_or_b32_e32 v79, 0xa080, v7
	;; [unrolled: 1-line block ×4, first 2 shown]
	v_ashrrev_i32_e32 v7, 31, v6
	v_or_b32_e32 v9, v10, v9
	v_lshlrev_b32_e32 v8, 7, v48
	v_or_b32_e32 v14, 0x100, v3
	v_xad_u32 v90, v9, v17, v15
	v_lshlrev_b64 v[6:7], 1, v[6:7]
	v_cndmask_b32_e64 v91, v12, v3, s[0:1]
	v_cndmask_b32_e64 v92, v13, v14, s[0:1]
	v_lshl_add_u64 v[36:37], s[8:9], 0, v[6:7]
	v_lshl_add_u64 v[38:39], s[14:15], 0, v[6:7]
	;; [unrolled: 1-line block ×3, first 2 shown]
	s_mov_b32 s37, 0x7060302
	v_lshlrev_b32_e32 v34, 1, v8
	v_add_u32_e32 v95, v19, v86
	v_add_u32_e32 v96, v19, v88
	;; [unrolled: 1-line block ×4, first 2 shown]
	v_mov_b32_e32 v67, v35
	v_mov_b32_e32 v102, v35
	;; [unrolled: 1-line block ×6, first 2 shown]
	s_waitcnt lgkmcnt(0)
	s_barrier
.LBB495_6:                              ; =>This Inner Loop Header: Depth=1
	s_add_i32 s62, s63, 1
	s_cmp_lt_i32 s62, s48
	s_mov_b64 s[28:29], 0
	s_cselect_b64 s[42:43], -1, 0
	s_cmp_ge_i32 s62, s48
	s_mov_b64 s[24:25], 0
	s_cbranch_scc1 .LBB495_8
; %bb.7:                                ;   in Loop: Header=BB495_6 Depth=1
	s_add_i32 s0, s57, 64
	s_add_u32 s0, s2, s0
	s_addc_u32 s1, s3, 0
	s_lshl_b64 s[0:1], s[0:1], 8
	s_add_u32 s24, s6, s0
	s_addc_u32 s25, s7, s1
.LBB495_8:                              ;   in Loop: Header=BB495_6 Depth=1
	v_cndmask_b32_e64 v2, 0, 1, s[42:43]
	v_cmp_ne_u32_e64 s[0:1], 1, v2
	s_andn2_b64 vcc, exec, s[42:43]
	s_cbranch_vccnz .LBB495_10
; %bb.9:                                ;   in Loop: Header=BB495_6 Depth=1
	s_add_i32 s28, s57, 64
	s_add_u32 s28, s60, s28
	s_addc_u32 s29, s61, 0
	s_mul_i32 s31, s28, s49
	s_mul_hi_u32 s42, s28, s53
	s_add_i32 s31, s42, s31
	s_mul_i32 s29, s29, s53
	s_add_i32 s31, s31, s29
	s_mul_i32 s28, s28, s53
	s_add_u32 s28, s28, s52
	s_addc_u32 s29, s31, s55
	s_lshl_b64 s[28:29], s[28:29], 8
	s_add_u32 s28, s4, s28
	s_addc_u32 s29, s5, s29
.LBB495_10:                             ;   in Loop: Header=BB495_6 Depth=1
	v_perm_b32 v3, v101, v75, s37
	v_perm_b32 v2, v73, v74, s37
	;; [unrolled: 1-line block ×4, first 2 shown]
	ds_write_b64 v56, v[2:3]
	ds_write_b64 v57, v[4:5]
	;; [unrolled: 1-line block ×4, first 2 shown]
	v_perm_b32 v3, v102, v67, s37
	v_perm_b32 v2, v65, v66, s37
	v_perm_b32 v5, v100, v64, s37
	v_perm_b32 v4, v62, v63, s37
	ds_write_b64 v58, v[2:3]
	ds_write_b64 v59, v[4:5]
	;; [unrolled: 1-line block ×4, first 2 shown]
	s_waitcnt lgkmcnt(0)
	s_barrier
	ds_read_b64 v[6:7], v76 offset:24576
	ds_read2_b64 v[2:5], v77 offset1:16
	ds_read_b64 v[10:11], v79 offset:3072
	ds_read_b64 v[12:13], v77 offset:3072
	;; [unrolled: 1-line block ×3, first 2 shown]
	s_waitcnt lgkmcnt(3)
	v_mfma_f32_16x16x16_bf16 a[0:3], v[6:7], v[2:3], 0
	s_add_i32 s31, s57, 63
	s_mul_i32 s42, s31, s35
	s_mul_hi_u32 s43, s31, s34
	v_mfma_f32_16x16x16_bf16 a[4:7], v[6:7], v[4:5], 0
	ds_read2st64_b64 v[2:5], v77 offset0:2 offset1:4
	ds_read2st64_b64 v[6:9], v79 offset0:2 offset1:4
	s_add_i32 s43, s43, s42
	s_waitcnt lgkmcnt(1)
	v_mfma_f32_16x16x16_bf16 a[0:3], v[14:15], v[2:3], a[0:3]
	s_mul_i32 s42, s31, s34
	s_lshl_b64 s[42:43], s[42:43], 2
	s_add_u32 s42, s40, s42
	s_waitcnt lgkmcnt(0)
	v_mfma_f32_16x16x16_bf16 a[4:7], v[14:15], v[6:7], a[4:7]
	ds_read_b64 v[2:3], v80 offset:24576
	ds_read_b64 v[6:7], v81 offset:24576
	s_addc_u32 s43, s41, s43
	s_and_b64 vcc, exec, s[0:1]
	s_waitcnt lgkmcnt(1)
	v_mfma_f32_16x16x16_bf16 a[0:3], v[2:3], v[4:5], a[0:3]
	v_mov_b32_e32 v105, 0
	v_mov_b32_e32 v104, 0
	;; [unrolled: 1-line block ×3, first 2 shown]
	v_mfma_f32_16x16x16_bf16 a[8:11], v[2:3], v[8:9], a[4:7]
	v_mov_b32_e32 v2, 0
	v_mov_b32_e32 v3, 0
	;; [unrolled: 1-line block ×3, first 2 shown]
	s_waitcnt lgkmcnt(0)
	v_mfma_f32_16x16x16_bf16 a[4:7], v[6:7], v[12:13], a[0:3]
	v_mov_b32_e32 v5, 0
	v_mov_b32_e32 v8, 0
	;; [unrolled: 1-line block ×3, first 2 shown]
	v_mfma_f32_16x16x16_bf16 a[0:3], v[6:7], v[10:11], a[8:11]
	v_mov_b32_e32 v6, 0
	v_mov_b32_e32 v7, 0
	;; [unrolled: 1-line block ×10, first 2 shown]
	s_cbranch_vccnz .LBB495_12
; %bb.11:                               ;   in Loop: Header=BB495_6 Depth=1
	s_and_b32 s25, s25, 0xffff
	buffer_load_dwordx4 v[14:17], v52, s[24:27], 0 offen
	buffer_load_dwordx4 v[10:13], v52, s[24:27], s56 offen
	buffer_load_dwordx4 v[6:9], v53, s[24:27], 0 offen
	buffer_load_dwordx4 v[2:5], v53, s[24:27], s56 offen
	v_mov_b32_e32 v104, v54
	v_mov_b32_e32 v103, v55
.LBB495_12:                             ;   in Loop: Header=BB495_6 Depth=1
	s_waitcnt vmcnt(3)
	ds_read_b64 v[26:27], v76 offset:32768
	s_waitcnt vmcnt(2)
	ds_read2_b64 v[18:21], v82 offset1:16
	ds_read_b64 v[28:29], v78 offset:32768
	ds_read_b64 v[30:31], v80 offset:32768
	;; [unrolled: 1-line block ×3, first 2 shown]
	v_add_u32_e32 v106, s57, v93
	s_waitcnt lgkmcnt(3)
	v_mfma_f32_16x16x16_bf16 a[4:7], v[26:27], v[18:19], a[4:7]
	v_ashrrev_i32_e32 v18, 31, v106
	ds_read2st64_b64 v[22:25], v82 offset0:2 offset1:4
	v_mfma_f32_16x16x16_bf16 a[0:3], v[26:27], v[20:21], a[0:3]
	v_mul_lo_u32 v20, v18, s34
	v_mul_lo_u32 v21, v106, s35
	v_mad_u64_u32 v[18:19], s[24:25], v106, s34, 0
	v_add3_u32 v19, v19, v21, v20
	v_add_u32_e32 v20, 1, v106
	v_ashrrev_i32_e32 v21, 31, v20
	v_mul_lo_u32 v26, v21, s34
	v_mul_lo_u32 v27, v20, s35
	v_mad_u64_u32 v[20:21], s[24:25], v20, s34, 0
	v_add3_u32 v21, v21, v27, v26
	v_add_u32_e32 v26, 2, v106
	v_ashrrev_i32_e32 v27, 31, v26
	v_mul_lo_u32 v107, v27, s34
	v_mul_lo_u32 v108, v26, s35
	v_mad_u64_u32 v[26:27], s[24:25], v26, s34, 0
	v_add_u32_e32 v106, 3, v106
	v_add3_u32 v27, v27, v108, v107
	v_ashrrev_i32_e32 v107, 31, v106
	v_mul_lo_u32 v108, v107, s34
	v_mul_lo_u32 v109, v106, s35
	v_mad_u64_u32 v[106:107], s[24:25], v106, s34, 0
	s_add_u32 s24, s2, s57
	s_addc_u32 s25, s3, 0
	s_lshl_b64 s[64:65], s[24:25], 8
	v_lshl_add_u64 v[18:19], v[18:19], 2, s[40:41]
	v_lshl_add_u64 v[20:21], v[20:21], 2, s[40:41]
	v_add3_u32 v107, v107, v109, v108
	v_lshl_add_u64 v[108:109], v[36:37], 0, s[64:65]
	v_lshl_add_u64 v[26:27], v[26:27], 2, s[40:41]
	v_lshl_add_u64 v[108:109], v[108:109], 0, v[34:35]
	global_load_dword v110, v[18:19], off
	global_load_ushort v111, v[108:109], off offset:256
	global_load_ushort v112, v[108:109], off
	v_lshl_add_u64 v[18:19], v[106:107], 2, s[40:41]
	global_load_dword v106, v[20:21], off
	global_load_dword v107, v[26:27], off
	global_load_dword v113, v[18:19], off
	ds_read2st64_b64 v[18:21], v83 offset0:2 offset1:4
	global_load_ushort v114, v[108:109], off offset:768
	global_load_ushort v115, v[108:109], off offset:512
	;; [unrolled: 1-line block ×5, first 2 shown]
	s_nop 0
	global_load_ushort v108, v[108:109], off offset:32
	s_waitcnt lgkmcnt(1)
	v_mfma_f32_16x16x16_bf16 a[4:7], v[28:29], v[22:23], a[4:7]
	s_and_b64 vcc, exec, s[0:1]
	s_waitcnt vmcnt(10)
	v_lshlrev_b32_e32 v27, 16, v111
	s_waitcnt lgkmcnt(0)
	v_mfma_f32_16x16x16_bf16 a[0:3], v[28:29], v[18:19], a[0:3]
	s_waitcnt vmcnt(9)
	v_lshlrev_b32_e32 v26, 16, v112
	v_mfma_f32_16x16x16_bf16 a[4:7], v[30:31], v[24:25], a[4:7]
	v_mfma_f32_16x16x16_bf16 a[0:3], v[30:31], v[20:21], a[0:3]
	ds_read_b64 v[18:19], v82 offset:3072
	ds_read_b64 v[20:21], v83 offset:3072
	s_load_dword s24, s[42:43], 0x0
	s_waitcnt lgkmcnt(0)
	v_sub_f32_e32 v28, s24, v110
	v_mfma_f32_16x16x16_bf16 a[4:7], v[32:33], v[18:19], a[4:7]
	v_mul_f32_e32 v28, 0x3fb8aa3b, v28
	s_waitcnt vmcnt(8)
	v_sub_f32_e32 v29, s24, v106
	s_waitcnt vmcnt(7)
	v_sub_f32_e32 v30, s24, v107
	;; [unrolled: 2-line block ×3, first 2 shown]
	v_mfma_f32_16x16x16_bf16 a[0:3], v[32:33], v[20:21], a[0:3]
	v_lshl_add_u64 v[18:19], v[38:39], 0, s[64:65]
	v_lshl_add_u64 v[18:19], v[18:19], 0, v[34:35]
	v_accvgpr_read_b32 v25, a5
	v_accvgpr_read_b32 v24, a4
	v_pk_add_f32 v[24:25], v[26:27], v[24:25] neg_lo:[0,1] neg_hi:[0,1]
	v_exp_f32_e32 v26, v28
	v_mul_f32_e32 v27, 0x3fb8aa3b, v29
	v_mul_f32_e32 v28, 0x3fb8aa3b, v30
	;; [unrolled: 1-line block ×3, first 2 shown]
	v_exp_f32_e32 v27, v27
	v_exp_f32_e32 v28, v28
	;; [unrolled: 1-line block ×3, first 2 shown]
	v_accvgpr_read_b32 v21, a7
	v_accvgpr_read_b32 v20, a6
	s_waitcnt vmcnt(5)
	v_lshlrev_b32_e32 v31, 16, v114
	s_waitcnt vmcnt(4)
	v_lshlrev_b32_e32 v30, 16, v115
	v_pk_add_f32 v[20:21], v[30:31], v[20:21] neg_lo:[0,1] neg_hi:[0,1]
	global_store_short_d16_hi v[18:19], v24, off
	global_store_short_d16_hi v[18:19], v25, off offset:256
	global_store_short_d16_hi v[18:19], v20, off offset:512
	;; [unrolled: 1-line block ×3, first 2 shown]
	v_pk_mul_f32 v[24:25], v[26:27], v[24:25]
	v_pk_mul_f32 v[20:21], v[28:29], v[20:21]
	v_accvgpr_read_b32 v31, a1
	v_perm_b32 v21, v21, v20, s37
	v_perm_b32 v20, v25, v24, s37
	s_waitcnt vmcnt(5)
	v_lshlrev_b32_e32 v25, 16, v118
	s_waitcnt vmcnt(4)
	v_lshlrev_b32_e32 v24, 16, v108
	v_accvgpr_read_b32 v30, a0
	v_accvgpr_read_b32 v23, a3
	;; [unrolled: 1-line block ×3, first 2 shown]
	v_pk_add_f32 v[24:25], v[24:25], v[30:31] neg_lo:[0,1] neg_hi:[0,1]
	v_lshlrev_b32_e32 v31, 16, v116
	v_lshlrev_b32_e32 v30, 16, v117
	v_pk_add_f32 v[22:23], v[30:31], v[22:23] neg_lo:[0,1] neg_hi:[0,1]
	global_store_short_d16_hi v[18:19], v24, off offset:32
	global_store_short_d16_hi v[18:19], v25, off offset:288
	;; [unrolled: 1-line block ×4, first 2 shown]
	v_pk_mul_f32 v[18:19], v[26:27], v[24:25]
	v_pk_mul_f32 v[22:23], v[28:29], v[22:23]
	v_mov_b32_e32 v106, 0
	v_perm_b32 v23, v23, v22, s37
	v_perm_b32 v22, v19, v18, s37
	ds_write2_b64 v57, v[20:21], v[22:23] offset1:16
	v_mov_b32_e32 v18, 0
	v_mov_b32_e32 v19, 0
	;; [unrolled: 1-line block ×16, first 2 shown]
	s_cbranch_vccnz .LBB495_14
; %bb.13:                               ;   in Loop: Header=BB495_6 Depth=1
	s_and_b32 s29, s29, 0xffff
	s_mov_b32 s31, s27
	buffer_load_dwordx4 v[30:33], v91, s[28:31], 0 offen
	buffer_load_dwordx4 v[22:25], v91, s[28:31], s56 offen
	;; [unrolled: 1-line block ×4, first 2 shown]
	v_mov_b32_e32 v105, v51
	v_mov_b32_e32 v106, v50
.LBB495_14:                             ;   in Loop: Header=BB495_6 Depth=1
	s_waitcnt lgkmcnt(0)
	s_barrier
	ds_read_b64 v[112:113], v95
	ds_read_b64 v[120:121], v87
	;; [unrolled: 1-line block ×5, first 2 shown]
	ds_read_b64 v[126:127], v88 offset:16384
	ds_read_b64 v[128:129], v86 offset:16384
	ds_read2_b64 v[108:111], v82 offset0:16 offset1:128
	s_waitcnt lgkmcnt(6)
	v_mfma_f32_16x16x16_bf16 a[0:3], v[112:113], v[120:121], 0
	ds_read_b64 v[130:131], v83 offset:3072
	ds_read_b64 v[132:133], v90 offset:16384
	s_add_i32 s25, s50, s63
	s_waitcnt lgkmcnt(2)
	v_mfma_f32_16x16x16_bf16 a[4:7], v[112:113], v[108:109], 0
	ds_read2st64_b64 v[112:115], v83 offset0:2 offset1:4
	s_mul_hi_i32 s29, s25, s17
	s_mul_i32 s25, s25, s17
	v_mfma_f32_16x16x16_bf16 a[0:3], v[116:117], v[110:111], a[0:3]
	s_add_u32 s28, s25, s33
	s_addc_u32 s29, s29, s54
	s_lshl_b64 s[28:29], s[28:29], 15
	s_waitcnt lgkmcnt(0)
	v_mfma_f32_16x16x16_bf16 a[4:7], v[116:117], v[112:113], a[4:7]
	ds_read2st64_b64 v[116:119], v82 offset0:4 offset1:6
	s_waitcnt lgkmcnt(0)
	v_mfma_f32_16x16x16_bf16 a[0:3], v[122:123], v[116:117], a[0:3]
	v_mfma_f32_16x16x16_bf16 a[8:11], v[122:123], v[114:115], a[4:7]
	;; [unrolled: 1-line block ×5, first 2 shown]
	ds_read2st64_b64 v[120:123], v85 offset1:8
	v_mfma_f32_16x16x16_bf16 a[12:15], v[128:129], v[108:109], 0
	ds_read_b64 v[128:129], v89 offset:16384
	v_mfma_f32_16x16x16_bf16 a[8:11], v[126:127], v[110:111], a[8:11]
	ds_read2st64_b64 v[108:111], v84 offset1:8
	s_waitcnt lgkmcnt(0)
	v_mov_b32_e32 v124, v108
	v_mfma_f32_16x16x16_bf16 a[12:15], v[126:127], v[112:113], a[12:15]
	v_lshl_add_u64 v[112:113], v[40:41], 0, s[28:29]
	v_add_co_u32_e32 v108, vcc, s39, v112
	v_mfma_f32_16x16x16_bf16 a[8:11], v[128:129], v[116:117], a[8:11]
	v_mov_b32_e32 v125, v109
	v_addc_co_u32_e32 v109, vcc, 0, v113, vcc
	v_mfma_f32_16x16x16_bf16 a[16:19], v[128:129], v[114:115], a[12:15]
	v_mov_b32_e32 v126, v120
	v_mov_b32_e32 v127, v121
	;; [unrolled: 1-line block ×3, first 2 shown]
	v_mfma_f32_16x16x16_bf16 a[12:15], v[132:133], v[118:119], a[8:11]
	v_mov_b32_e32 v121, v111
	s_and_b64 vcc, exec, s[0:1]
	global_store_dwordx4 v[112:113], v[124:127], off
	v_mfma_f32_16x16x16_bf16 a[8:11], v[132:133], v[130:131], a[16:19]
	global_store_dwordx4 v[108:109], v[120:123], off
	s_cbranch_vccnz .LBB495_16
; %bb.15:                               ;   in Loop: Header=BB495_6 Depth=1
	v_lshrrev_b32_e32 v107, 3, v105
	v_and_b32_e32 v107, 6, v107
	v_xor_b32_e32 v106, v107, v106
	v_lshlrev_b32_e32 v106, 2, v106
	v_and_b32_e32 v105, 8, v105
	v_xor_b32_e32 v108, 0x440, v106
	v_cmp_eq_u32_e32 vcc, 0, v105
	s_barrier
	s_nop 0
	v_cndmask_b32_e32 v105, v108, v106, vcc
	v_lshl_or_b32 v105, v107, 10, v105
	s_waitcnt vmcnt(3)
	v_perm_b32 v106, v30, v26, s58
	s_waitcnt vmcnt(2)
	v_perm_b32 v107, v22, v18, s58
	ds_write2st64_b32 v105, v106, v107 offset0:32 offset1:64
	v_xor_b32_e32 v106, 8, v105
	v_perm_b32 v26, v30, v26, s59
	v_perm_b32 v18, v22, v18, s59
	v_add_u32_e32 v22, 0x80, v106
	ds_write2st64_b32 v22, v26, v18 offset0:32 offset1:64
	v_xor_b32_e32 v18, 16, v105
	v_perm_b32 v22, v31, v27, s58
	v_perm_b32 v26, v23, v19, s58
	ds_write2st64_b32 v18, v22, v26 offset0:33 offset1:65
	v_xor_b32_e32 v18, 24, v105
	v_perm_b32 v22, v31, v27, s59
	v_perm_b32 v19, v23, v19, s59
	v_add_u32_e32 v18, 0x80, v18
	ds_write2st64_b32 v18, v22, v19 offset0:33 offset1:65
	v_xor_b32_e32 v18, 32, v105
	v_perm_b32 v19, v32, v28, s58
	;; [unrolled: 9-line block ×3, first 2 shown]
	v_perm_b32 v20, v25, v21, s58
	ds_write2st64_b32 v18, v19, v20 offset0:35 offset1:67
	v_xor_b32_e32 v18, 56, v105
	v_perm_b32 v19, v33, v29, s59
	v_perm_b32 v20, v25, v21, s59
	v_add_u32_e32 v18, 0x80, v18
	ds_write2st64_b32 v18, v19, v20 offset0:35 offset1:67
	ds_write_b64 v104, v[14:15] offset:24576
	v_xor_b32_e32 v14, 8, v104
	ds_write_b64 v14, v[16:17] offset:24576
	ds_write_b64 v104, v[10:11] offset:32768
	;; [unrolled: 1-line block ×4, first 2 shown]
	v_xor_b32_e32 v6, 8, v103
	ds_write_b64 v6, v[8:9] offset:24576
	ds_write_b64 v103, v[2:3] offset:32768
	ds_write_b64 v6, v[4:5] offset:32768
.LBB495_16:                             ;   in Loop: Header=BB495_6 Depth=1
	v_mul_f32_e32 v2, s24, v94
	v_exp_f32_e32 v2, v2
	v_accvgpr_read_b32 v3, a4
	v_accvgpr_read_b32 v4, a5
	;; [unrolled: 1-line block ×3, first 2 shown]
	v_fma_f32 v74, v74, v2, v3
	v_accvgpr_read_b32 v3, a6
	v_fma_f32 v75, v75, v2, v3
	v_accvgpr_read_b32 v3, a0
	;; [unrolled: 2-line block ×11, first 2 shown]
	v_accvgpr_read_b32 v6, a15
	v_fma_f32 v64, v64, v2, v3
	v_accvgpr_read_b32 v3, a11
	s_add_i32 s57, s57, 64
	v_fmac_f32_e32 v5, v101, v2
	v_fmac_f32_e32 v4, v102, v2
	;; [unrolled: 1-line block ×3, first 2 shown]
	s_cmp_eq_u32 s48, s62
	v_fmac_f32_e32 v3, v100, v2
	s_cbranch_scc1 .LBB495_18
; %bb.17:                               ;   in Loop: Header=BB495_6 Depth=1
	s_mov_b32 s63, s62
	v_mov_b32_e32 v101, v5
	v_mov_b32_e32 v99, v6
	;; [unrolled: 1-line block ×4, first 2 shown]
	s_branch .LBB495_6
.LBB495_18:
	s_lshl_b32 s42, s48, 6
	s_sub_i32 s43, s16, s42
	s_cmp_gt_i32 s43, 0
	s_cbranch_scc0 .LBB495_83
; %bb.19:
	s_ashr_i32 s39, s47, 31
	s_ashr_i32 s2, s42, 31
	s_cmpk_lg_i32 s19, 0x80
	s_cselect_b64 s[30:31], -1, 0
	s_and_b64 vcc, exec, s[30:31]
	s_cbranch_vccz .LBB495_21
; %bb.20:
	s_mul_i32 s1, s47, s16
	s_mul_hi_i32 s0, s47, s16
	s_add_u32 s1, s1, s42
	s_addc_u32 s0, s0, s2
	s_mul_i32 s3, s1, s49
	s_mul_hi_u32 s24, s1, s18
	s_add_i32 s3, s24, s3
	s_mul_i32 s0, s0, s18
	s_add_i32 s3, s3, s0
	s_mul_i32 s1, s1, s18
	s_ashr_i32 s0, s52, 31
	s_add_u32 s40, s1, s52
	s_addc_u32 s41, s3, s0
	s_cbranch_execz .LBB495_22
	s_branch .LBB495_23
.LBB495_21:
                                        ; implicit-def: $sgpr40_sgpr41
.LBB495_22:
	s_mul_hi_i32 s0, s47, s18
	s_mul_i32 s47, s47, s18
	s_ashr_i32 s1, s52, 31
	s_add_u32 s3, s47, s52
	s_addc_u32 s0, s0, s1
	s_mul_i32 s1, s3, s46
	s_mul_hi_u32 s18, s3, s16
	s_add_i32 s1, s18, s1
	s_mul_i32 s0, s0, s16
	s_add_i32 s1, s1, s0
	s_mul_i32 s3, s3, s16
	s_add_u32 s40, s3, s42
	s_addc_u32 s41, s1, s2
.LBB495_23:
	s_add_i32 s3, s50, s48
	s_ashr_i32 s18, s33, 31
	s_add_u32 s0, s45, s33
	s_addc_u32 s1, s51, s18
	s_mul_i32 s24, s0, s46
	s_mul_hi_u32 s25, s0, s16
	s_add_i32 s24, s25, s24
	s_mul_i32 s1, s1, s16
	s_add_i32 s24, s24, s1
	s_mul_i32 s0, s0, s16
	s_add_u32 s0, s0, s42
	s_addc_u32 s1, s24, s2
	v_lshlrev_b32_e32 v10, 5, v48
	s_waitcnt vmcnt(4)
	v_lshlrev_b32_e32 v22, 2, v42
	s_mov_b32 s2, 0x7060302
	v_xor_b32_e32 v2, v48, v22
	v_perm_b32 v9, v5, v75, s2
	v_or_b32_e32 v5, v10, v22
	v_perm_b32 v8, v73, v74, s2
	v_perm_b32 v7, v6, v72, s2
	;; [unrolled: 1-line block ×3, first 2 shown]
	v_lshlrev_b32_e32 v5, 1, v5
	v_lshlrev_b32_e32 v12, 1, v2
	;; [unrolled: 1-line block ×3, first 2 shown]
	s_lshl_b64 s[28:29], s[0:1], 8
	v_xor_b32_e32 v11, v49, v22
	ds_write2st64_b64 v5, v[8:9], v[6:7] offset0:80 offset1:88
	v_or_b32_e32 v5, v12, v2
	s_add_u32 s0, s6, s28
	ds_write_b64 v5, v[8:9]
	v_lshlrev_b32_e32 v8, 1, v11
	s_addc_u32 s1, s7, s29
	v_or_b32_e32 v2, v8, v2
	s_mul_hi_i32 s6, s3, s17
	s_mul_i32 s3, s3, s17
	ds_write_b64 v2, v[6:7]
	v_perm_b32 v5, v4, v67, s2
	v_perm_b32 v4, v65, v66, s2
	;; [unrolled: 1-line block ×4, first 2 shown]
	v_or_b32_e32 v6, 16, v42
	s_add_u32 s2, s3, s33
	s_waitcnt vmcnt(2)
	v_lshlrev_b32_e32 v19, 2, v6
	s_addc_u32 s3, s6, s18
	v_or_b32_e32 v7, v10, v19
	s_ashr_i32 s37, s36, 31
	s_lshl_b64 s[2:3], s[2:3], 15
	v_lshlrev_b32_e32 v7, 1, v7
	v_lshlrev_b32_e32 v6, 8, v6
	s_add_u32 s6, s12, s2
	ds_write2st64_b64 v7, v[4:5], v[2:3] offset0:80 offset1:88
	v_or_b32_e32 v7, v12, v6
	s_addc_u32 s7, s13, s3
	s_lshl_b64 s[2:3], s[36:37], 8
	ds_write_b64 v7, v[4:5]
	v_or_b32_e32 v4, v8, v6
	s_add_u32 s2, s6, s2
	ds_write_b64 v4, v[2:3]
	v_lshrrev_b32_e32 v2, 4, v0
	s_addc_u32 s3, s7, s3
	v_lshlrev_b32_e32 v3, 1, v42
	v_lshlrev_b32_e32 v10, 4, v42
	v_mov_b32_e32 v11, 0
	v_or_b32_e32 v4, 1, v3
	v_xor_b32_e32 v3, v2, v3
	v_lshl_add_u64 v[12:13], s[2:3], 0, v[10:11]
	v_lshlrev_b32_e32 v10, 8, v2
	v_xor_b32_e32 v6, v4, v2
	v_lshl_or_b32 v2, v3, 3, v10
	s_waitcnt lgkmcnt(0)
	s_barrier
	ds_read2st64_b64 v[2:5], v2 offset1:8
	v_lshl_or_b32 v6, v6, 3, v10
	ds_read2st64_b64 v[6:9], v6 offset1:8
	v_lshl_add_u64 v[14:15], v[12:13], 0, v[10:11]
	s_movk_i32 s2, 0x1000
	s_waitcnt lgkmcnt(1)
	v_mov_b32_e32 v10, v2
	v_add_co_u32_e32 v2, vcc, s2, v14
	s_cmp_lg_u32 s43, 64
	v_mov_b32_e32 v11, v3
	v_addc_co_u32_e32 v3, vcc, 0, v15, vcc
	s_cselect_b64 s[6:7], -1, 0
	v_lshl_or_b32 v23, v44, 3, v47
	s_waitcnt lgkmcnt(0)
	v_mov_b32_e32 v12, v6
	v_mov_b32_e32 v13, v7
	;; [unrolled: 1-line block ×4, first 2 shown]
	s_mov_b32 s24, 0
	v_or_b32_e32 v20, 32, v23
	v_and_b32_e32 v18, 56, v46
	s_and_b64 vcc, exec, s[6:7]
	global_store_dwordx4 v[14:15], v[10:13], off
	global_store_dwordx4 v[2:3], v[6:9], off
	s_cbranch_vccz .LBB495_29
; %bb.24:
	s_mov_b32 s25, s24
	s_mov_b32 s26, s24
	;; [unrolled: 1-line block ×3, first 2 shown]
	v_mov_b64_e32 v[6:7], s[24:25]
	v_mov_b64_e32 v[8:9], s[26:27]
	;; [unrolled: 1-line block ×3, first 2 shown]
	v_cmp_gt_i32_e32 vcc, s43, v23
	v_mov_b64_e32 v[4:5], v[8:9]
	s_and_saveexec_b64 s[2:3], vcc
	s_cbranch_execz .LBB495_26
; %bb.25:
	v_lshlrev_b32_e32 v2, 8, v23
	v_mov_b32_e32 v3, 0
	v_lshl_add_u64 v[4:5], s[0:1], 0, v[2:3]
	v_lshlrev_b32_e32 v2, 1, v18
	v_lshl_add_u64 v[10:11], v[4:5], 0, v[2:3]
	global_load_dwordx4 v[6:9], v[10:11], off
	global_load_dwordx4 v[2:5], v[10:11], off offset:128
.LBB495_26:
	s_or_b64 exec, exec, s[2:3]
	s_mov_b32 s25, s24
	s_mov_b32 s26, s24
	;; [unrolled: 1-line block ×3, first 2 shown]
	v_mov_b64_e32 v[14:15], s[24:25]
	v_mov_b64_e32 v[16:17], s[26:27]
	;; [unrolled: 1-line block ×3, first 2 shown]
	v_cmp_gt_i32_e32 vcc, s43, v20
	v_lshlrev_b32_e32 v21, 7, v20
	v_mov_b64_e32 v[12:13], v[16:17]
	s_and_saveexec_b64 s[2:3], vcc
	s_cbranch_execz .LBB495_28
; %bb.27:
	v_lshlrev_b32_e32 v10, 1, v21
	v_mov_b32_e32 v11, 0
	v_lshl_add_u64 v[12:13], s[0:1], 0, v[10:11]
	v_lshlrev_b32_e32 v10, 1, v18
	v_lshl_add_u64 v[24:25], v[12:13], 0, v[10:11]
	global_load_dwordx4 v[14:17], v[24:25], off
	global_load_dwordx4 v[10:13], v[24:25], off offset:128
.LBB495_28:
	s_or_b64 exec, exec, s[2:3]
	v_lshrrev_b32_e32 v24, 3, v18
	v_lshlrev_b32_e32 v25, 3, v23
	v_or_b32_e32 v24, v25, v24
	v_lshlrev_b32_e32 v24, 4, v24
	v_and_b32_e32 v25, 0x78, v25
	v_xor_b32_e32 v24, v24, v25
	s_branch .LBB495_31
.LBB495_29:
                                        ; implicit-def: $vgpr24
                                        ; implicit-def: $vgpr21
                                        ; implicit-def: $vgpr6_vgpr7_vgpr8_vgpr9
                                        ; implicit-def: $vgpr2_vgpr3_vgpr4_vgpr5
                                        ; implicit-def: $vgpr14_vgpr15_vgpr16_vgpr17
                                        ; implicit-def: $vgpr10_vgpr11_vgpr12_vgpr13
	s_cbranch_execz .LBB495_31
; %bb.30:
	s_waitcnt vmcnt(0)
	v_lshlrev_b32_e32 v2, 1, v18
	v_lshl_or_b32 v21, v23, 8, v2
	s_and_b32 s1, s1, 0xffff
	s_mov_b32 s3, 0x20000
	s_movk_i32 s2, 0x4000
	v_lshl_or_b32 v24, v20, 8, v2
	s_movk_i32 s12, 0x80
	buffer_load_dwordx4 v[6:9], v21, s[0:3], 0 offen
	buffer_load_dwordx4 v[2:5], v21, s[0:3], s12 offen
	;; [unrolled: 1-line block ×4, first 2 shown]
	v_lshrrev_b32_e32 v21, 3, v18
	v_lshlrev_b32_e32 v24, 3, v23
	v_or_b32_e32 v21, v24, v21
	v_lshlrev_b32_e32 v21, 4, v21
	v_and_b32_e32 v24, 0x78, v24
	v_xor_b32_e32 v24, v21, v24
	v_lshlrev_b32_e32 v21, 7, v20
.LBB495_31:
	s_lshl_b64 s[0:1], s[40:41], 8
	s_add_u32 s4, s4, s0
	s_movk_i32 s0, 0x1000
	v_and_or_b32 v20, v21, s0, v24
	s_waitcnt vmcnt(1)
	ds_write_b64 v24, v[6:7] offset:24576
	v_xor_b32_e32 v6, 8, v24
	ds_write_b64 v6, v[8:9] offset:24576
	s_waitcnt vmcnt(0)
	ds_write_b64 v24, v[2:3] offset:32768
	ds_write_b64 v6, v[4:5] offset:32768
	;; [unrolled: 1-line block ×3, first 2 shown]
	v_xor_b32_e32 v2, 8, v20
	ds_write_b64 v2, v[16:17] offset:24576
	ds_write_b64 v20, v[10:11] offset:32768
	ds_write_b64 v2, v[12:13] offset:32768
	v_or_b32_e32 v2, v1, v42
	v_lshlrev_b32_e32 v3, 11, v44
	v_lshlrev_b32_e32 v2, 3, v2
	v_and_b32_e32 v6, 0x1000, v3
	v_lshrrev_b32_e32 v3, 5, v43
	s_movk_i32 s13, 0xf8
	v_and_or_b32 v3, v2, s13, v3
	v_lshlrev_b32_e32 v7, 4, v3
	v_and_b32_e32 v8, 0x78, v2
	v_or_b32_e32 v10, 32, v7
	v_lshrrev_b32_e32 v3, 1, v43
	v_xor_b32_e32 v10, v10, v8
	v_xor_b32_e32 v2, v7, v8
	v_and_b32_e32 v9, 8, v3
	v_or_b32_e32 v10, v10, v6
	v_or_b32_e32 v2, v2, v6
	v_xor_b32_e32 v26, v10, v9
	v_or_b32_e32 v10, 64, v7
	v_xor_b32_e32 v25, v2, v9
	v_xor_b32_e32 v10, v10, v8
	s_waitcnt lgkmcnt(0)
	s_barrier
	v_or_b32_e32 v12, v10, v6
	ds_read_b64 v[10:11], v25 offset:24576
	v_lshl_or_b32 v20, v45, 7, v22
	v_lshlrev_b32_e32 v24, 1, v20
	v_add_u32_e32 v2, 0xa000, v24
	ds_read2_b64 v[2:5], v2 offset1:16
	v_or_b32_e32 v7, 0x60, v7
	v_xor_b32_e32 v7, v7, v8
	s_waitcnt lgkmcnt(0)
	v_mfma_f32_16x16x16_bf16 a[0:3], v[10:11], v[2:3], 0
	v_or_b32_e32 v2, 64, v20
	v_or_b32_e32 v6, v7, v6
	v_lshlrev_b32_e32 v29, 1, v2
	v_xor_b32_e32 v27, v12, v9
	v_xor_b32_e32 v28, v6, v9
	ds_read_b64 v[12:13], v26 offset:24576
	ds_read_b64 v[14:15], v27 offset:24576
	;; [unrolled: 1-line block ×3, first 2 shown]
	v_mfma_f32_16x16x16_bf16 a[4:7], v[10:11], v[4:5], 0
	ds_read2st64_b64 v[2:5], v29 offset0:82 offset1:84
	ds_read2st64_b64 v[6:9], v24 offset0:82 offset1:84
	s_addc_u32 s5, s5, s1
	s_add_i32 s2, s16, -1
	s_add_i32 s0, s44, s21
	s_mul_i32 s39, s39, s20
	s_add_i32 s39, s0, s39
	s_mul_i32 s0, s33, s23
	s_mul_hi_u32 s1, s33, s22
	s_ashr_i32 s3, s2, 31
	s_mul_i32 s12, s2, s35
	s_mul_hi_u32 s13, s2, s34
	s_add_i32 s0, s1, s0
	s_mul_i32 s1, s18, s22
	s_add_i32 s12, s13, s12
	s_mul_i32 s3, s3, s34
	s_waitcnt lgkmcnt(1)
	v_mfma_f32_16x16x16_bf16 a[4:7], v[12:13], v[2:3], a[4:7]
	s_add_i32 s1, s0, s1
	s_add_i32 s3, s12, s3
	s_lshl_b64 s[12:13], s[38:39], 2
	s_waitcnt lgkmcnt(0)
	v_mfma_f32_16x16x16_bf16 a[0:3], v[12:13], v[6:7], a[0:3]
	s_mul_i32 s0, s33, s22
	s_add_u32 s10, s10, s12
	s_addc_u32 s11, s11, s13
	s_lshl_b64 s[0:1], s[0:1], 2
	s_mul_i32 s2, s2, s34
	s_add_u32 s10, s10, s0
	ds_read_b64 v[2:3], v24 offset:44032
	v_mfma_f32_16x16x16_bf16 a[4:7], v[14:15], v[4:5], a[4:7]
	ds_read_b64 v[4:5], v29 offset:44032
	s_addc_u32 s11, s11, s1
	s_lshl_b64 s[0:1], s[2:3], 2
	v_mfma_f32_16x16x16_bf16 a[0:3], v[14:15], v[8:9], a[0:3]
	s_add_u32 s0, s10, s0
	s_addc_u32 s1, s11, s1
	s_load_dword s12, s[0:1], 0x0
	s_waitcnt lgkmcnt(0)
	v_mfma_f32_16x16x16_bf16 a[0:3], v[16:17], v[2:3], a[0:3]
	s_and_b64 vcc, exec, s[30:31]
	v_mfma_f32_16x16x16_bf16 a[4:7], v[16:17], v[4:5], a[4:7]
	s_cbranch_vccz .LBB495_42
; %bb.32:
	v_lshlrev_b32_e32 v20, 1, v23
	s_and_b64 vcc, exec, s[6:7]
	s_cbranch_vccz .LBB495_43
; %bb.33:
	v_cmp_gt_i32_e32 vcc, s43, v20
	v_mov_b32_e32 v6, 0
	v_mov_b32_e32 v2, 0
	;; [unrolled: 1-line block ×5, first 2 shown]
	s_and_saveexec_b64 s[0:1], vcc
	s_cbranch_execz .LBB495_35
; %bb.34:
	v_mad_i64_i32 v[2:3], s[2:3], s19, v20, 0
	v_lshl_add_u64 v[2:3], v[2:3], 1, s[4:5]
	v_lshlrev_b32_e32 v4, 1, v18
	v_mov_b32_e32 v5, 0
	v_lshl_add_u64 v[2:3], v[2:3], 0, v[4:5]
	global_load_dwordx4 v[2:5], v[2:3], off
.LBB495_35:
	s_or_b64 exec, exec, s[0:1]
	v_or_b32_e32 v21, 1, v20
	v_cmp_gt_i32_e64 s[0:1], s43, v21
	v_mov_b32_e32 v7, 0
	v_mov_b32_e32 v8, 0
	;; [unrolled: 1-line block ×3, first 2 shown]
	s_and_saveexec_b64 s[2:3], s[0:1]
	s_cbranch_execz .LBB495_37
; %bb.36:
	v_mad_i64_i32 v[6:7], s[16:17], s19, v21, 0
	v_lshl_add_u64 v[6:7], v[6:7], 1, s[4:5]
	v_lshlrev_b32_e32 v8, 1, v18
	v_mov_b32_e32 v9, 0
	v_lshl_add_u64 v[6:7], v[6:7], 0, v[8:9]
	global_load_dwordx4 v[6:9], v[6:7], off
.LBB495_37:
	s_or_b64 exec, exec, s[2:3]
	v_mov_b32_e32 v17, 0
	v_mov_b32_e32 v10, 0
	v_mov_b32_e32 v11, 0
	v_mov_b32_e32 v12, 0
	v_mov_b32_e32 v13, 0
	s_and_saveexec_b64 s[2:3], vcc
	s_cbranch_execz .LBB495_39
; %bb.38:
	v_mad_i64_i32 v[10:11], s[16:17], s19, v20, 0
	v_lshl_add_u64 v[10:11], v[10:11], 1, s[4:5]
	v_lshlrev_b32_e32 v12, 1, v18
	v_mov_b32_e32 v13, 0
	v_lshl_add_u64 v[10:11], v[10:11], 0, v[12:13]
	global_load_dwordx4 v[10:13], v[10:11], off offset:128
.LBB495_39:
	s_or_b64 exec, exec, s[2:3]
	v_mov_b32_e32 v16, 0
	v_mov_b32_e32 v15, 0
	;; [unrolled: 1-line block ×3, first 2 shown]
	s_and_saveexec_b64 s[2:3], s[0:1]
	s_cbranch_execz .LBB495_41
; %bb.40:
	v_mad_i64_i32 v[14:15], s[0:1], s19, v21, 0
	v_lshl_add_u64 v[14:15], v[14:15], 1, s[4:5]
	v_lshlrev_b32_e32 v16, 1, v18
	v_mov_b32_e32 v17, 0
	v_lshl_add_u64 v[14:15], v[14:15], 0, v[16:17]
	global_load_dwordx4 v[14:17], v[14:15], off offset:128
.LBB495_41:
	s_or_b64 exec, exec, s[2:3]
	s_branch .LBB495_45
.LBB495_42:
                                        ; implicit-def: $vgpr5
                                        ; implicit-def: $vgpr9
                                        ; implicit-def: $vgpr13
                                        ; implicit-def: $vgpr17
	v_lshrrev_b32_e32 v30, 2, v43
	s_branch .LBB495_46
.LBB495_43:
                                        ; implicit-def: $vgpr5
                                        ; implicit-def: $vgpr9
                                        ; implicit-def: $vgpr13
                                        ; implicit-def: $vgpr17
	s_cbranch_execz .LBB495_45
; %bb.44:
	s_waitcnt vmcnt(0)
	v_mad_u64_u32 v[2:3], s[0:1], v20, s19, v[18:19]
	v_lshlrev_b32_e32 v20, 1, v2
	s_lshl_b32 s2, s19, 7
	s_and_b32 s1, s5, 0xffff
	s_mov_b32 s3, 0x20000
	s_mov_b32 s0, s4
	v_add_lshl_u32 v21, v2, s19, 1
	s_movk_i32 s13, 0x80
	buffer_load_dwordx4 v[2:5], v20, s[0:3], 0 offen
	buffer_load_dwordx4 v[10:13], v20, s[0:3], s13 offen
	;; [unrolled: 1-line block ×4, first 2 shown]
.LBB495_45:
	v_lshrrev_b32_e32 v30, 2, v43
	s_cbranch_execnz .LBB495_58
.LBB495_46:
	s_and_b64 vcc, exec, s[6:7]
	s_cbranch_vccz .LBB495_56
; %bb.47:
	s_waitcnt vmcnt(0)
	v_lshlrev_b32_e32 v7, 1, v23
	v_cmp_gt_i32_e32 vcc, s43, v7
	v_mov_b32_e32 v6, 0
	v_lshlrev_b32_e32 v14, 9, v23
	v_mov_b32_e32 v2, 0
	v_mov_b32_e32 v3, 0
	v_mov_b32_e32 v4, 0
	v_mov_b32_e32 v5, 0
	s_and_saveexec_b64 s[0:1], vcc
	s_cbranch_execz .LBB495_49
; %bb.48:
	v_mov_b32_e32 v15, 0
	v_lshl_add_u64 v[2:3], s[4:5], 0, v[14:15]
	v_lshlrev_b32_e32 v4, 1, v18
	v_mov_b32_e32 v5, v15
	v_lshl_add_u64 v[2:3], v[2:3], 0, v[4:5]
	global_load_dwordx4 v[2:5], v[2:3], off
.LBB495_49:
	s_or_b64 exec, exec, s[0:1]
	v_or_b32_e32 v7, 1, v7
	v_cmp_gt_i32_e64 s[0:1], s43, v7
	v_lshlrev_b32_e32 v20, 8, v7
	v_mov_b32_e32 v7, 0
	v_mov_b32_e32 v8, 0
	;; [unrolled: 1-line block ×3, first 2 shown]
	s_and_saveexec_b64 s[2:3], s[0:1]
	s_cbranch_execz .LBB495_51
; %bb.50:
	v_mov_b32_e32 v21, 0
	v_lshl_add_u64 v[6:7], s[4:5], 0, v[20:21]
	v_lshlrev_b32_e32 v8, 1, v18
	v_mov_b32_e32 v9, v21
	v_lshl_add_u64 v[6:7], v[6:7], 0, v[8:9]
	global_load_dwordx4 v[6:9], v[6:7], off
.LBB495_51:
	s_or_b64 exec, exec, s[2:3]
	v_mov_b32_e32 v17, 0
	v_mov_b32_e32 v10, 0
	;; [unrolled: 1-line block ×5, first 2 shown]
	s_and_saveexec_b64 s[2:3], vcc
	s_cbranch_execz .LBB495_53
; %bb.52:
	v_mov_b32_e32 v15, 0
	v_lshl_add_u64 v[10:11], s[4:5], 0, v[14:15]
	v_lshlrev_b32_e32 v14, 1, v18
	v_lshl_add_u64 v[10:11], v[10:11], 0, v[14:15]
	global_load_dwordx4 v[10:13], v[10:11], off offset:128
.LBB495_53:
	s_or_b64 exec, exec, s[2:3]
	v_mov_b32_e32 v16, 0
	v_mov_b32_e32 v15, 0
	;; [unrolled: 1-line block ×3, first 2 shown]
	s_and_saveexec_b64 s[2:3], s[0:1]
	s_cbranch_execz .LBB495_55
; %bb.54:
	v_mov_b32_e32 v21, 0
	v_lshl_add_u64 v[14:15], s[4:5], 0, v[20:21]
	v_lshlrev_b32_e32 v20, 1, v18
	v_lshl_add_u64 v[14:15], v[14:15], 0, v[20:21]
	global_load_dwordx4 v[14:17], v[14:15], off offset:128
.LBB495_55:
	s_or_b64 exec, exec, s[2:3]
	s_branch .LBB495_58
.LBB495_56:
                                        ; implicit-def: $vgpr5
                                        ; implicit-def: $vgpr9
                                        ; implicit-def: $vgpr13
                                        ; implicit-def: $vgpr17
	s_cbranch_execz .LBB495_58
; %bb.57:
	s_waitcnt vmcnt(0)
	v_lshlrev_b32_e32 v2, 1, v18
	v_lshl_or_b32 v18, v23, 9, v2
	s_and_b32 s5, s5, 0xffff
	s_mov_b32 s7, 0x20000
	s_movk_i32 s6, 0x4000
	s_movk_i32 s0, 0x80
	buffer_load_dwordx4 v[2:5], v18, s[4:7], 0 offen
	buffer_load_dwordx4 v[6:9], v18, s[4:7], 0 offen offset:256
	buffer_load_dwordx4 v[10:13], v18, s[4:7], s0 offen
	buffer_load_dwordx4 v[14:17], v18, s[4:7], s0 offen offset:256
.LBB495_58:
	ds_read_b64 v[20:21], v25 offset:32768
	v_add_u32_e32 v18, 0xb000, v24
	ds_read2_b64 v[32:35], v18 offset1:16
	ds_read_b64 v[40:41], v26 offset:32768
	ds_read_b64 v[26:27], v27 offset:32768
	;; [unrolled: 1-line block ×3, first 2 shown]
	v_and_b32_e32 v18, 6, v0
	v_xor_b32_e32 v23, v23, v18
	v_lshlrev_b32_e32 v23, 2, v23
	v_and_b32_e32 v0, 1, v0
	v_xor_b32_e32 v28, 0x440, v23
	v_cmp_eq_u32_e32 vcc, 0, v0
	s_waitcnt lgkmcnt(3)
	v_mfma_f32_16x16x16_bf16 a[0:3], v[20:21], v[32:33], a[0:3]
	s_mov_b32 s0, 0x1000504
	v_cndmask_b32_e32 v0, v28, v23, vcc
	v_lshl_or_b32 v0, v18, 10, v0
	v_mfma_f32_16x16x16_bf16 a[4:7], v[20:21], v[34:35], a[4:7]
	ds_read2st64_b64 v[32:35], v24 offset0:90 offset1:92
	ds_read2st64_b64 v[36:39], v29 offset0:90 offset1:92
	ds_read_b64 v[20:21], v24 offset:48128
	ds_read_b64 v[24:25], v29 offset:48128
	s_waitcnt vmcnt(0)
	v_perm_b32 v18, v2, v6, s0
	s_waitcnt lgkmcnt(3)
	v_mfma_f32_16x16x16_bf16 a[0:3], v[40:41], v[32:33], a[0:3]
	s_mov_b32 s1, 0x3020706
	v_perm_b32 v2, v2, v6, s1
	v_perm_b32 v6, v10, v14, s1
	s_waitcnt lgkmcnt(2)
	v_mfma_f32_16x16x16_bf16 a[4:7], v[40:41], v[36:37], a[4:7]
	v_mfma_f32_16x16x16_bf16 a[0:3], v[26:27], v[34:35], a[0:3]
	;; [unrolled: 1-line block ×3, first 2 shown]
	s_waitcnt lgkmcnt(1)
	v_mfma_f32_16x16x16_bf16 a[4:7], v[44:45], v[20:21], a[0:3]
	v_perm_b32 v20, v10, v14, s0
	ds_write2st64_b32 v0, v18, v20 offset0:32 offset1:64
	v_xor_b32_e32 v18, 8, v0
	v_add_u32_e32 v10, 0x80, v18
	ds_write2st64_b32 v10, v2, v6 offset0:32 offset1:64
	v_xor_b32_e32 v2, 16, v0
	v_perm_b32 v6, v3, v7, s0
	v_perm_b32 v10, v11, v15, s0
	ds_write2st64_b32 v2, v6, v10 offset0:33 offset1:65
	v_xor_b32_e32 v2, 24, v0
	v_perm_b32 v3, v3, v7, s1
	v_perm_b32 v6, v11, v15, s1
	v_add_u32_e32 v2, 0x80, v2
	ds_write2st64_b32 v2, v3, v6 offset0:33 offset1:65
	v_xor_b32_e32 v2, 32, v0
	v_perm_b32 v3, v4, v8, s0
	v_perm_b32 v6, v12, v16, s0
	s_waitcnt lgkmcnt(4)
	v_mfma_f32_16x16x16_bf16 a[0:3], v[44:45], v[24:25], a[8:11]
	ds_write2st64_b32 v2, v3, v6 offset0:34 offset1:66
	v_xor_b32_e32 v2, 40, v0
	v_perm_b32 v3, v4, v8, s1
	v_perm_b32 v4, v12, v16, s1
	v_add_u32_e32 v2, 0x80, v2
	ds_write2st64_b32 v2, v3, v4 offset0:34 offset1:66
	v_xor_b32_e32 v2, 48, v0
	v_perm_b32 v3, v5, v9, s0
	v_perm_b32 v4, v13, v17, s0
	v_xor_b32_e32 v0, 56, v0
	v_and_or_b32 v21, v30, 12, v1
	ds_write2st64_b32 v2, v3, v4 offset0:35 offset1:67
	v_perm_b32 v2, v5, v9, s1
	v_perm_b32 v3, v13, v17, s1
	v_add_u32_e32 v0, 0x80, v0
	v_cmp_gt_i32_e32 vcc, s43, v21
	v_mov_b32_e32 v16, 0
	v_mov_b32_e32 v18, 0
	ds_write2st64_b32 v0, v2, v3 offset0:35 offset1:67
	s_and_saveexec_b64 s[0:1], vcc
	s_cbranch_execz .LBB495_60
; %bb.59:
	v_add_u32_e32 v0, s42, v21
	v_ashrrev_i32_e32 v1, 31, v0
	v_mul_lo_u32 v2, v1, s34
	v_mul_lo_u32 v3, v0, s35
	v_mad_u64_u32 v[0:1], s[2:3], v0, s34, 0
	v_add3_u32 v1, v1, v3, v2
	v_lshl_add_u64 v[0:1], v[0:1], 2, s[10:11]
	global_load_dword v0, v[0:1], off
	s_waitcnt vmcnt(0)
	v_sub_f32_e32 v0, s12, v0
	v_mul_f32_e32 v0, 0x3fb8aa3b, v0
	v_exp_f32_e32 v18, v0
.LBB495_60:
	s_or_b64 exec, exec, s[0:1]
	v_or_b32_e32 v10, 1, v21
	v_cmp_gt_i32_e64 s[0:1], s43, v10
	s_and_saveexec_b64 s[2:3], s[0:1]
	s_cbranch_execz .LBB495_62
; %bb.61:
	v_add_u32_e32 v0, s42, v10
	v_ashrrev_i32_e32 v1, 31, v0
	v_mul_lo_u32 v2, v1, s34
	v_mul_lo_u32 v3, v0, s35
	v_mad_u64_u32 v[0:1], s[4:5], v0, s34, 0
	v_add3_u32 v1, v1, v3, v2
	v_lshl_add_u64 v[0:1], v[0:1], 2, s[10:11]
	global_load_dword v0, v[0:1], off
	s_waitcnt vmcnt(0)
	v_sub_f32_e32 v0, s12, v0
	v_mul_f32_e32 v0, 0x3fb8aa3b, v0
	v_exp_f32_e32 v16, v0
.LBB495_62:
	s_or_b64 exec, exec, s[2:3]
	v_or_b32_e32 v12, 2, v21
	v_cmp_gt_i32_e64 s[2:3], s43, v12
	v_mov_b32_e32 v17, 0
	v_mov_b32_e32 v20, 0
	s_and_saveexec_b64 s[4:5], s[2:3]
	s_cbranch_execz .LBB495_64
; %bb.63:
	v_add_u32_e32 v0, s42, v12
	v_ashrrev_i32_e32 v1, 31, v0
	v_mul_lo_u32 v2, v1, s34
	v_mul_lo_u32 v3, v0, s35
	v_mad_u64_u32 v[0:1], s[6:7], v0, s34, 0
	v_add3_u32 v1, v1, v3, v2
	v_lshl_add_u64 v[0:1], v[0:1], 2, s[10:11]
	global_load_dword v0, v[0:1], off
	s_waitcnt vmcnt(0)
	v_sub_f32_e32 v0, s12, v0
	v_mul_f32_e32 v0, 0x3fb8aa3b, v0
	v_exp_f32_e32 v20, v0
.LBB495_64:
	s_or_b64 exec, exec, s[4:5]
	v_or_b32_e32 v14, 3, v21
	v_cmp_gt_i32_e64 s[4:5], s43, v14
	s_and_saveexec_b64 s[6:7], s[4:5]
	s_cbranch_execz .LBB495_66
; %bb.65:
	v_add_u32_e32 v0, s42, v14
	v_ashrrev_i32_e32 v1, 31, v0
	v_mul_lo_u32 v2, v1, s34
	v_mul_lo_u32 v3, v0, s35
	v_mad_u64_u32 v[0:1], s[16:17], v0, s34, 0
	v_add3_u32 v1, v1, v3, v2
	v_lshl_add_u64 v[0:1], v[0:1], 2, s[10:11]
	global_load_dword v0, v[0:1], off
	s_waitcnt vmcnt(0)
	v_sub_f32_e32 v0, s12, v0
	v_mul_f32_e32 v0, 0x3fb8aa3b, v0
	v_exp_f32_e32 v17, v0
.LBB495_66:
	s_or_b64 exec, exec, s[6:7]
	s_add_u32 s6, s8, s28
	v_or_b32_e32 v4, s36, v42
	s_addc_u32 s7, s9, s29
	s_add_u32 s8, s14, s28
	v_ashrrev_i32_e32 v5, 31, v4
	v_accvgpr_read_b32 v0, a4
	s_addc_u32 s9, s15, s29
	v_lshlrev_b64 v[4:5], 1, v[4:5]
	v_accvgpr_read_b32 v1, a5
	v_accvgpr_read_b32 v2, a6
	v_accvgpr_read_b32 v3, a7
	v_lshl_add_u64 v[6:7], s[6:7], 0, v[4:5]
	v_lshl_add_u64 v[4:5], s[8:9], 0, v[4:5]
	v_mov_b32_e32 v11, 0
	v_lshlrev_b32_e32 v8, 8, v21
	v_mov_b32_e32 v9, 0
	s_and_saveexec_b64 s[6:7], vcc
	s_cbranch_execz .LBB495_68
; %bb.67:
	v_mov_b32_e32 v9, 0
	v_lshl_add_u64 v[24:25], v[6:7], 0, v[8:9]
	global_load_ushort v13, v[24:25], off
	v_lshl_add_u64 v[24:25], v[4:5], 0, v[8:9]
	s_waitcnt vmcnt(0)
	v_lshlrev_b32_e32 v9, 16, v13
	v_sub_f32_e32 v0, v9, v0
	global_store_short_d16_hi v[24:25], v0, off
	v_mul_f32_e32 v0, v18, v0
	v_lshrrev_b32_e32 v9, 16, v0
.LBB495_68:
	s_or_b64 exec, exec, s[6:7]
	v_lshlrev_b32_e32 v10, 8, v10
	s_and_saveexec_b64 s[6:7], s[0:1]
	s_cbranch_execz .LBB495_70
; %bb.69:
	v_mov_b32_e32 v11, 0
	v_lshl_add_u64 v[24:25], v[6:7], 0, v[10:11]
	global_load_ushort v0, v[24:25], off
	v_lshl_add_u64 v[24:25], v[4:5], 0, v[10:11]
	s_waitcnt vmcnt(0)
	v_lshlrev_b32_e32 v0, 16, v0
	v_sub_f32_e32 v0, v0, v1
	global_store_short_d16_hi v[24:25], v0, off
	v_mul_f32_e32 v0, v16, v0
	v_lshrrev_b32_e32 v11, 16, v0
.LBB495_70:
	s_or_b64 exec, exec, s[6:7]
	v_mov_b32_e32 v15, 0
	v_lshlrev_b32_e32 v12, 8, v12
	v_mov_b32_e32 v13, 0
	s_and_saveexec_b64 s[6:7], s[2:3]
	s_cbranch_execz .LBB495_72
; %bb.71:
	v_mov_b32_e32 v13, 0
	v_lshl_add_u64 v[0:1], v[6:7], 0, v[12:13]
	global_load_ushort v23, v[0:1], off
	v_lshl_add_u64 v[0:1], v[4:5], 0, v[12:13]
	s_waitcnt vmcnt(0)
	v_lshlrev_b32_e32 v13, 16, v23
	v_sub_f32_e32 v2, v13, v2
	global_store_short_d16_hi v[0:1], v2, off
	v_mul_f32_e32 v0, v20, v2
	v_lshrrev_b32_e32 v13, 16, v0
.LBB495_72:
	s_or_b64 exec, exec, s[6:7]
	v_lshlrev_b32_e32 v14, 8, v14
	s_and_saveexec_b64 s[6:7], s[4:5]
	s_cbranch_execz .LBB495_74
; %bb.73:
	v_mov_b32_e32 v15, 0
	v_lshl_add_u64 v[0:1], v[6:7], 0, v[14:15]
	global_load_ushort v2, v[0:1], off
	v_lshl_add_u64 v[0:1], v[4:5], 0, v[14:15]
	s_waitcnt vmcnt(0)
	v_lshlrev_b32_e32 v2, 16, v2
	v_sub_f32_e32 v2, v2, v3
	global_store_short_d16_hi v[0:1], v2, off
	v_mul_f32_e32 v0, v17, v2
	v_lshrrev_b32_e32 v15, 16, v0
.LBB495_74:
	s_or_b64 exec, exec, s[6:7]
	v_lshlrev_b32_e32 v21, 5, v21
	s_mov_b32 s6, 0x5040100
	v_perm_b32 v24, v11, v9, s6
	v_or_b32_e32 v9, v21, v22
	v_accvgpr_read_b32 v0, a0
	v_perm_b32 v25, v15, v13, s6
	v_lshlrev_b32_e32 v9, 1, v9
	v_accvgpr_read_b32 v1, a1
	v_accvgpr_read_b32 v2, a2
	;; [unrolled: 1-line block ×3, first 2 shown]
	ds_write_b64 v9, v[24:25] offset:45056
	v_mov_b32_e32 v11, 0
	v_mov_b32_e32 v9, 0
	s_and_saveexec_b64 s[6:7], vcc
	s_cbranch_execz .LBB495_76
; %bb.75:
	v_mov_b32_e32 v9, 0
	v_lshl_add_u64 v[22:23], v[6:7], 0, v[8:9]
	global_load_ushort v13, v[22:23], off offset:32
	v_lshl_add_u64 v[8:9], v[4:5], 0, v[8:9]
	s_waitcnt vmcnt(0)
	v_lshlrev_b32_e32 v13, 16, v13
	v_sub_f32_e32 v0, v13, v0
	global_store_short_d16_hi v[8:9], v0, off offset:32
	v_mul_f32_e32 v0, v18, v0
	v_lshrrev_b32_e32 v9, 16, v0
.LBB495_76:
	s_or_b64 exec, exec, s[6:7]
	s_and_saveexec_b64 s[6:7], s[0:1]
	s_cbranch_execz .LBB495_78
; %bb.77:
	v_mov_b32_e32 v11, 0
	v_lshl_add_u64 v[22:23], v[6:7], 0, v[10:11]
	global_load_ushort v0, v[22:23], off offset:32
	v_lshl_add_u64 v[10:11], v[4:5], 0, v[10:11]
	s_waitcnt vmcnt(0)
	v_lshlrev_b32_e32 v0, 16, v0
	v_sub_f32_e32 v0, v0, v1
	global_store_short_d16_hi v[10:11], v0, off offset:32
	v_mul_f32_e32 v0, v16, v0
	v_lshrrev_b32_e32 v11, 16, v0
.LBB495_78:
	s_or_b64 exec, exec, s[6:7]
	v_mov_b32_e32 v0, 0
	v_mov_b32_e32 v1, 0
	s_and_saveexec_b64 s[0:1], s[2:3]
	s_cbranch_execz .LBB495_80
; %bb.79:
	v_mov_b32_e32 v13, 0
	v_lshl_add_u64 v[22:23], v[6:7], 0, v[12:13]
	global_load_ushort v1, v[22:23], off offset:32
	v_lshl_add_u64 v[12:13], v[4:5], 0, v[12:13]
	s_waitcnt vmcnt(0)
	v_lshlrev_b32_e32 v1, 16, v1
	v_sub_f32_e32 v1, v1, v2
	global_store_short_d16_hi v[12:13], v1, off offset:32
	v_mul_f32_e32 v1, v20, v1
	v_lshrrev_b32_e32 v1, 16, v1
.LBB495_80:
	s_or_b64 exec, exec, s[0:1]
	s_and_saveexec_b64 s[0:1], s[4:5]
	s_cbranch_execz .LBB495_82
; %bb.81:
	v_mov_b32_e32 v15, 0
	v_lshl_add_u64 v[6:7], v[6:7], 0, v[14:15]
	global_load_ushort v0, v[6:7], off offset:32
	v_lshl_add_u64 v[4:5], v[4:5], 0, v[14:15]
	s_waitcnt vmcnt(0)
	v_lshlrev_b32_e32 v0, 16, v0
	v_sub_f32_e32 v0, v0, v3
	global_store_short_d16_hi v[4:5], v0, off offset:32
	v_mul_f32_e32 v0, v17, v0
	v_lshrrev_b32_e32 v0, 16, v0
.LBB495_82:
	s_or_b64 exec, exec, s[0:1]
	s_mov_b32 s0, 0x5040100
	v_or_b32_e32 v2, v21, v19
	v_perm_b32 v1, v0, v1, s0
	v_perm_b32 v0, v11, v9, s0
	v_lshlrev_b32_e32 v2, 1, v2
	ds_write_b64 v2, v[0:1] offset:45056
	s_waitcnt lgkmcnt(0)
	s_barrier
.LBB495_83:
	s_endpgm
	.section	.rodata,"a",@progbits
	.p2align	6, 0x0
	.amdhsa_kernel _ZN12_GLOBAL__N_139chunk_gated_delta_rule_fwd_h_hip_kernelILi32ELb0ELb0ELb1ELb0ELb0ELb0ELb1ELb0EEEvPK12hip_bfloat16S3_S3_PKfS5_PKvPS1_S8_PvPKiSB_iiiiilll
		.amdhsa_group_segment_fixed_size 49152
		.amdhsa_private_segment_fixed_size 0
		.amdhsa_kernarg_size 136
		.amdhsa_user_sgpr_count 2
		.amdhsa_user_sgpr_dispatch_ptr 0
		.amdhsa_user_sgpr_queue_ptr 0
		.amdhsa_user_sgpr_kernarg_segment_ptr 1
		.amdhsa_user_sgpr_dispatch_id 0
		.amdhsa_user_sgpr_kernarg_preload_length 0
		.amdhsa_user_sgpr_kernarg_preload_offset 0
		.amdhsa_user_sgpr_private_segment_size 0
		.amdhsa_uses_dynamic_stack 0
		.amdhsa_enable_private_segment 0
		.amdhsa_system_sgpr_workgroup_id_x 1
		.amdhsa_system_sgpr_workgroup_id_y 1
		.amdhsa_system_sgpr_workgroup_id_z 0
		.amdhsa_system_sgpr_workgroup_info 0
		.amdhsa_system_vgpr_workitem_id 0
		.amdhsa_next_free_vgpr 156
		.amdhsa_next_free_sgpr 66
		.amdhsa_accum_offset 136
		.amdhsa_reserve_vcc 1
		.amdhsa_float_round_mode_32 0
		.amdhsa_float_round_mode_16_64 0
		.amdhsa_float_denorm_mode_32 3
		.amdhsa_float_denorm_mode_16_64 3
		.amdhsa_dx10_clamp 1
		.amdhsa_ieee_mode 1
		.amdhsa_fp16_overflow 0
		.amdhsa_tg_split 0
		.amdhsa_exception_fp_ieee_invalid_op 0
		.amdhsa_exception_fp_denorm_src 0
		.amdhsa_exception_fp_ieee_div_zero 0
		.amdhsa_exception_fp_ieee_overflow 0
		.amdhsa_exception_fp_ieee_underflow 0
		.amdhsa_exception_fp_ieee_inexact 0
		.amdhsa_exception_int_div_zero 0
	.end_amdhsa_kernel
	.section	.text._ZN12_GLOBAL__N_139chunk_gated_delta_rule_fwd_h_hip_kernelILi32ELb0ELb0ELb1ELb0ELb0ELb0ELb1ELb0EEEvPK12hip_bfloat16S3_S3_PKfS5_PKvPS1_S8_PvPKiSB_iiiiilll,"axG",@progbits,_ZN12_GLOBAL__N_139chunk_gated_delta_rule_fwd_h_hip_kernelILi32ELb0ELb0ELb1ELb0ELb0ELb0ELb1ELb0EEEvPK12hip_bfloat16S3_S3_PKfS5_PKvPS1_S8_PvPKiSB_iiiiilll,comdat
.Lfunc_end495:
	.size	_ZN12_GLOBAL__N_139chunk_gated_delta_rule_fwd_h_hip_kernelILi32ELb0ELb0ELb1ELb0ELb0ELb0ELb1ELb0EEEvPK12hip_bfloat16S3_S3_PKfS5_PKvPS1_S8_PvPKiSB_iiiiilll, .Lfunc_end495-_ZN12_GLOBAL__N_139chunk_gated_delta_rule_fwd_h_hip_kernelILi32ELb0ELb0ELb1ELb0ELb0ELb0ELb1ELb0EEEvPK12hip_bfloat16S3_S3_PKfS5_PKvPS1_S8_PvPKiSB_iiiiilll
                                        ; -- End function
	.section	.AMDGPU.csdata,"",@progbits
; Kernel info:
; codeLenInByte = 8756
; NumSgprs: 72
; NumVgprs: 134
; NumAgprs: 20
; TotalNumVgprs: 156
; ScratchSize: 0
; MemoryBound: 0
; FloatMode: 240
; IeeeMode: 1
; LDSByteSize: 49152 bytes/workgroup (compile time only)
; SGPRBlocks: 8
; VGPRBlocks: 19
; NumSGPRsForWavesPerEU: 72
; NumVGPRsForWavesPerEU: 156
; AccumOffset: 136
; Occupancy: 1
; WaveLimiterHint : 1
; COMPUTE_PGM_RSRC2:SCRATCH_EN: 0
; COMPUTE_PGM_RSRC2:USER_SGPR: 2
; COMPUTE_PGM_RSRC2:TRAP_HANDLER: 0
; COMPUTE_PGM_RSRC2:TGID_X_EN: 1
; COMPUTE_PGM_RSRC2:TGID_Y_EN: 1
; COMPUTE_PGM_RSRC2:TGID_Z_EN: 0
; COMPUTE_PGM_RSRC2:TIDIG_COMP_CNT: 0
; COMPUTE_PGM_RSRC3_GFX90A:ACCUM_OFFSET: 33
; COMPUTE_PGM_RSRC3_GFX90A:TG_SPLIT: 0
	.section	.text._ZN12_GLOBAL__N_139chunk_gated_delta_rule_fwd_h_hip_kernelILi32ELb0ELb0ELb0ELb0ELb0ELb0ELb1ELb0EEEvPK12hip_bfloat16S3_S3_PKfS5_PKvPS1_S8_PvPKiSB_iiiiilll,"axG",@progbits,_ZN12_GLOBAL__N_139chunk_gated_delta_rule_fwd_h_hip_kernelILi32ELb0ELb0ELb0ELb0ELb0ELb0ELb1ELb0EEEvPK12hip_bfloat16S3_S3_PKfS5_PKvPS1_S8_PvPKiSB_iiiiilll,comdat
	.globl	_ZN12_GLOBAL__N_139chunk_gated_delta_rule_fwd_h_hip_kernelILi32ELb0ELb0ELb0ELb0ELb0ELb0ELb1ELb0EEEvPK12hip_bfloat16S3_S3_PKfS5_PKvPS1_S8_PvPKiSB_iiiiilll ; -- Begin function _ZN12_GLOBAL__N_139chunk_gated_delta_rule_fwd_h_hip_kernelILi32ELb0ELb0ELb0ELb0ELb0ELb0ELb1ELb0EEEvPK12hip_bfloat16S3_S3_PKfS5_PKvPS1_S8_PvPKiSB_iiiiilll
	.p2align	8
	.type	_ZN12_GLOBAL__N_139chunk_gated_delta_rule_fwd_h_hip_kernelILi32ELb0ELb0ELb0ELb0ELb0ELb0ELb1ELb0EEEvPK12hip_bfloat16S3_S3_PKfS5_PKvPS1_S8_PvPKiSB_iiiiilll,@function
_ZN12_GLOBAL__N_139chunk_gated_delta_rule_fwd_h_hip_kernelILi32ELb0ELb0ELb0ELb0ELb0ELb0ELb1ELb0EEEvPK12hip_bfloat16S3_S3_PKfS5_PKvPS1_S8_PvPKiSB_iiiiilll: ; @_ZN12_GLOBAL__N_139chunk_gated_delta_rule_fwd_h_hip_kernelILi32ELb0ELb0ELb0ELb0ELb0ELb0ELb1ELb0EEEvPK12hip_bfloat16S3_S3_PKfS5_PKvPS1_S8_PvPKiSB_iiiiilll
; %bb.0:
	s_load_dwordx4 s[12:15], s[0:1], 0x5c
	s_load_dwordx2 s[36:37], s[0:1], 0x30
	s_abs_i32 s18, s3
	s_ashr_i32 s17, s3, 31
	s_load_dwordx8 s[4:11], s[0:1], 0x0
	s_waitcnt lgkmcnt(0)
	s_abs_i32 s16, s13
	v_cvt_f32_u32_e32 v1, s16
	s_sub_i32 s20, 0, s16
	s_ashr_i32 s19, s13, 31
	s_xor_b32 s17, s17, s19
	v_rcp_iflag_f32_e32 v1, v1
	v_lshrrev_b32_e32 v42, 6, v0
	v_bfe_u32 v43, v0, 4, 2
	v_lshlrev_b32_e32 v2, 2, v43
	v_mul_f32_e32 v1, 0x4f7ffffe, v1
	v_cvt_u32_f32_e32 v1, v1
	v_and_b32_e32 v41, 63, v0
	v_and_b32_e32 v40, 15, v0
	v_mov_b32_e32 v3, 0
	v_readfirstlane_b32 s21, v1
	s_mul_i32 s20, s20, s21
	s_mul_hi_u32 s20, s21, s20
	s_add_i32 s21, s21, s20
	s_mul_hi_u32 s20, s18, s21
	s_mul_i32 s21, s20, s16
	s_sub_i32 s18, s18, s21
	s_add_i32 s22, s20, 1
	s_sub_i32 s21, s18, s16
	s_cmp_ge_u32 s18, s16
	s_cselect_b32 s20, s22, s20
	s_cselect_b32 s18, s21, s18
	s_add_i32 s21, s20, 1
	s_cmp_ge_u32 s18, s16
	s_cselect_b32 s18, s21, s20
	s_xor_b32 s18, s18, s17
	s_sub_i32 s45, s18, s17
	s_abs_i32 s17, s14
	v_cvt_f32_u32_e32 v1, s17
	s_add_i32 s20, s12, 63
	s_mul_i32 s43, s45, s13
	s_sub_i32 s33, s3, s43
	v_rcp_iflag_f32_e32 v1, v1
	s_ashr_i32 s3, s20, 31
	s_ashr_i32 s44, s12, 31
	s_lshr_b32 s3, s3, 26
	v_mul_f32_e32 v1, 0x4f7ffffe, v1
	v_cvt_u32_f32_e32 v1, v1
	s_lshr_b32 s18, s44, 26
	s_add_i32 s20, s20, s3
	s_add_i32 s18, s12, s18
	s_ashr_i32 s47, s14, 31
	s_ashr_i32 s3, s20, 6
	;; [unrolled: 1-line block ×3, first 2 shown]
	s_xor_b32 s18, s19, s47
	s_sub_i32 s19, 0, s17
	v_readfirstlane_b32 s20, v1
	s_mul_i32 s19, s19, s20
	s_mul_hi_u32 s19, s20, s19
	s_add_i32 s20, s20, s19
	s_mul_hi_u32 s19, s16, s20
	s_mul_i32 s20, s19, s17
	s_sub_i32 s16, s16, s20
	s_add_i32 s20, s19, 1
	s_sub_i32 s21, s16, s17
	s_cmp_ge_u32 s16, s17
	s_cselect_b32 s19, s20, s19
	s_cselect_b32 s16, s21, s16
	s_add_i32 s20, s19, 1
	s_cmp_ge_u32 s16, s17
	s_cselect_b32 s16, s20, s19
	s_xor_b32 s16, s16, s18
	s_sub_i32 s20, s16, s18
	s_abs_i32 s21, s20
	v_cvt_f32_u32_e32 v1, s21
	s_load_dwordx2 s[28:29], s[0:1], 0x80
	s_load_dwordx4 s[16:19], s[0:1], 0x70
	s_xor_b32 s0, s33, s20
	s_sub_i32 s20, 0, s21
	v_rcp_iflag_f32_e32 v1, v1
	s_abs_i32 s1, s33
	s_ashr_i32 s0, s0, 31
	s_mul_i32 s48, s45, s3
	v_mul_f32_e32 v1, 0x4f7ffffe, v1
	v_cvt_u32_f32_e32 v1, v1
	s_mul_hi_i32 s49, s45, s13
	v_lshrrev_b32_e32 v45, 3, v41
	v_lshlrev_b32_e32 v44, 3, v0
	v_readfirstlane_b32 s22, v1
	s_mul_i32 s20, s20, s22
	s_mul_hi_u32 s20, s22, s20
	s_add_i32 s22, s22, s20
	s_mul_hi_u32 s20, s1, s22
	s_mul_i32 s22, s20, s21
	s_sub_i32 s1, s1, s22
	s_add_i32 s22, s20, 1
	s_sub_i32 s23, s1, s21
	s_cmp_ge_u32 s1, s21
	s_cselect_b32 s20, s22, s20
	s_cselect_b32 s1, s23, s1
	s_add_i32 s22, s20, 1
	s_cmp_ge_u32 s1, s21
	s_cselect_b32 s1, s22, s20
	s_xor_b32 s1, s1, s0
	v_lshlrev_b32_e32 v1, 4, v42
	s_sub_i32 s50, s1, s0
	v_or_b32_e32 v46, v2, v1
	s_lshl_b32 s30, s2, 5
	v_or_b32_e32 v47, 64, v46
	s_cmp_lt_i32 s12, 64
	s_waitcnt lgkmcnt(0)
	s_mul_i32 s17, s45, s17
	s_mul_hi_u32 s42, s45, s16
	s_mul_i32 s34, s45, s16
	v_mov_b32_e32 v62, 0
	v_mov_b32_e32 v60, 0
	;; [unrolled: 1-line block ×15, first 2 shown]
	s_cbranch_scc1 .LBB496_18
; %bb.1:
	s_ashr_i32 s24, s45, 31
	s_ashr_i32 s52, s33, 31
	s_add_u32 s0, s43, s33
	s_addc_u32 s1, s49, s52
	s_mul_i32 s1, s12, s1
	s_mul_hi_u32 s2, s12, s0
	s_add_i32 s3, s2, s1
	s_mul_i32 s2, s12, s0
	s_lshl_b64 s[0:1], s[2:3], 8
	v_and_b32_e32 v49, 56, v44
	s_add_u32 s20, s6, s0
	v_lshl_or_b32 v48, v42, 3, v45
	v_lshlrev_b32_e32 v3, 1, v49
	s_addc_u32 s0, s7, s1
	v_lshl_or_b32 v50, v48, 8, v3
	s_and_b32 s21, s0, 0xffff
	s_mov_b32 s23, 0x20000
	s_movk_i32 s22, 0x4000
	s_movk_i32 s0, 0x80
	v_or_b32_e32 v51, 0x2000, v50
	buffer_load_dwordx4 v[4:7], v50, s[20:23], 0 offen
	buffer_load_dwordx4 v[8:11], v50, s[20:23], s0 offen
	;; [unrolled: 1-line block ×4, first 2 shown]
	v_lshlrev_b32_e32 v20, 3, v48
	v_and_or_b32 v22, v0, 7, v20
	v_and_b32_e32 v20, 0x78, v20
	v_lshlrev_b32_e32 v22, 4, v22
	v_xor_b32_e32 v52, v22, v20
	v_mul_lo_u32 v21, v48, s15
	v_or_b32_e32 v53, 0x1000, v52
	s_cmpk_eq_i32 s15, 0x80
	s_mov_b32 s51, s14
	v_xor_b32_e32 v20, 8, v52
	v_xor_b32_e32 v22, 8, v53
	s_cselect_b64 s[0:1], -1, 0
	s_cmpk_lg_i32 s15, 0x80
	s_waitcnt vmcnt(3)
	ds_write_b64 v52, v[4:5] offset:24576
	ds_write_b64 v20, v[6:7] offset:24576
	s_waitcnt vmcnt(2)
	ds_write_b64 v52, v[8:9] offset:32768
	ds_write_b64 v20, v[10:11] offset:32768
	;; [unrolled: 3-line block ×4, first 2 shown]
	v_lshl_add_u32 v4, v21, 1, v49
	s_cbranch_scc0 .LBB496_3
; %bb.2:
	v_lshlrev_b32_e32 v6, 1, v4
	v_add_lshl_u32 v5, v4, s15, 1
	s_lshl_b32 s22, s15, 7
	v_lshl_or_b32 v3, v48, 9, v3
	s_cbranch_execz .LBB496_4
	s_branch .LBB496_5
.LBB496_3:
                                        ; implicit-def: $vgpr5
                                        ; implicit-def: $vgpr6
                                        ; implicit-def: $sgpr22
	v_lshl_or_b32 v3, v48, 9, v3
.LBB496_4:
	v_or_b32_e32 v5, 0x100, v3
	s_movk_i32 s22, 0x4000
	v_mov_b32_e32 v6, v3
.LBB496_5:
	s_mul_hi_u32 s20, s14, s12
	s_mul_i32 s21, s47, s12
	s_add_i32 s20, s20, s21
	s_mul_i32 s21, s14, s12
	s_mul_i32 s23, s21, s24
	s_mul_hi_u32 s25, s21, s45
	s_add_i32 s23, s25, s23
	s_mul_i32 s20, s20, s45
	s_add_i32 s23, s23, s20
	s_mul_i32 s21, s21, s45
	s_ashr_i32 s53, s50, 31
	s_add_u32 s20, s21, s50
	s_addc_u32 s21, s23, s53
	s_lshl_b64 s[20:21], s[20:21], 8
	s_add_u32 s20, s4, s20
	s_addc_u32 s21, s5, s21
	s_and_b32 s21, s21, 0xffff
	s_mov_b32 s23, 0x20000
	s_movk_i32 s54, 0x80
	buffer_load_dwordx4 v[8:11], v6, s[20:23], 0 offen
	buffer_load_dwordx4 v[12:15], v6, s[20:23], s54 offen
	;; [unrolled: 1-line block ×4, first 2 shown]
	v_and_b32_e32 v5, 6, v0
	v_lshlrev_b32_e32 v24, 6, v46
	v_or_b32_e32 v26, 16, v40
	v_xor_b32_e32 v27, v48, v5
	v_and_b32_e32 v6, 1, v0
	s_mul_i32 s20, s24, s12
	s_mul_hi_u32 s21, s45, s12
	v_lshl_or_b32 v30, v40, 3, v24
	v_lshl_or_b32 v24, v26, 3, v24
	v_lshlrev_b32_e32 v27, 2, v27
	v_lshlrev_b32_e32 v7, 2, v40
	v_or_b32_e32 v56, 0xa000, v24
	v_or_b32_e32 v57, 0xb000, v24
	v_xor_b32_e32 v24, 0x440, v27
	v_cmp_eq_u32_e32 vcc, 0, v6
	s_add_i32 s59, s21, s20
	s_add_i32 s20, s42, s17
	s_mul_i32 s24, s24, s16
	v_xor_b32_e32 v28, v46, v7
	v_xor_b32_e32 v29, v47, v7
	v_cndmask_b32_e32 v6, v24, v27, vcc
	s_add_i32 s35, s20, s24
	s_mul_i32 s20, s33, s19
	s_mul_hi_u32 s21, s33, s18
	s_mov_b32 s56, 0x1000504
	v_lshlrev_b32_e32 v25, 8, v40
	v_lshlrev_b32_e32 v28, 1, v28
	;; [unrolled: 1-line block ×3, first 2 shown]
	v_lshl_or_b32 v5, v5, 10, v6
	s_add_i32 s20, s21, s20
	s_mul_i32 s21, s52, s18
	s_mov_b32 s57, 0x3020706
	v_or_b32_e32 v54, 0xa000, v30
	v_or_b32_e32 v55, 0xb000, v30
	;; [unrolled: 1-line block ×4, first 2 shown]
	v_xor_b32_e32 v6, 8, v5
	v_xor_b32_e32 v25, 24, v5
	;; [unrolled: 1-line block ×4, first 2 shown]
	s_add_i32 s21, s20, s21
	s_lshl_b64 s[24:25], s[34:35], 2
	v_xor_b32_e32 v24, 16, v5
	v_xor_b32_e32 v27, 32, v5
	;; [unrolled: 1-line block ×3, first 2 shown]
	v_add_u32_e32 v6, 0x80, v6
	v_add_u32_e32 v25, 0x80, v25
	;; [unrolled: 1-line block ×4, first 2 shown]
	s_mul_i32 s20, s33, s18
	s_add_u32 s22, s10, s24
	s_addc_u32 s24, s11, s25
	s_lshl_b64 s[20:21], s[20:21], 2
	s_add_u32 s38, s22, s20
	s_movk_i32 s20, 0xf8
	s_addc_u32 s39, s24, s21
	s_ashr_i32 s31, s30, 31
	s_lshl_b32 s26, s15, 7
	s_movk_i32 s24, 0x100
	v_mov_b32_e32 v35, 0
	v_cmp_gt_u32_e32 vcc, s24, v0
	s_mov_b32 s55, 0
	s_mul_i32 s58, s45, s12
	s_movk_i32 s35, 0x1000
	s_movk_i32 s22, 0x4000
	v_add_u32_e32 v91, v1, v2
	v_mov_b32_e32 v92, 0x3fb8aa3b
	s_mov_b32 s61, 0
	v_mov_b32_e32 v72, v35
	v_mov_b32_e32 v71, v35
	;; [unrolled: 1-line block ×10, first 2 shown]
	s_waitcnt vmcnt(1)
	v_perm_b32 v33, v8, v16, s56
	s_waitcnt vmcnt(0)
	v_perm_b32 v34, v12, v20, s56
	v_perm_b32 v8, v8, v16, s57
	;; [unrolled: 1-line block ×15, first 2 shown]
	ds_write2st64_b32 v5, v33, v34 offset0:32 offset1:64
	ds_write2st64_b32 v6, v8, v12 offset0:32 offset1:64
	;; [unrolled: 1-line block ×8, first 2 shown]
	v_lshlrev_b32_e32 v5, 8, v26
	v_or_b32_e32 v66, v5, v28
	v_or_b32_e32 v67, v5, v29
	;; [unrolled: 1-line block ×3, first 2 shown]
	v_lshlrev_b32_e32 v5, 3, v5
	v_lshrrev_b32_e32 v8, 5, v41
	v_and_or_b32 v8, v5, s20, v8
	v_lshlrev_b32_e32 v8, 4, v8
	v_lshlrev_b32_e32 v9, 11, v42
	v_and_b32_e32 v5, 0x78, v5
	v_or_b32_e32 v13, 32, v8
	v_and_b32_e32 v6, 0x1000, v9
	v_lshrrev_b32_e32 v11, 1, v0
	v_xor_b32_e32 v13, v13, v5
	v_and_b32_e32 v12, 8, v11
	v_or_b32_e32 v13, v13, v6
	v_xor_b32_e32 v10, v8, v5
	v_xor_b32_e32 v76, v13, v12
	v_or_b32_e32 v13, 64, v8
	v_or_b32_e32 v8, 0x60, v8
	v_xor_b32_e32 v13, v13, v5
	v_xor_b32_e32 v5, v8, v5
	v_or_b32_e32 v10, v10, v6
	v_or_b32_e32 v13, v13, v6
	;; [unrolled: 1-line block ×3, first 2 shown]
	s_lshl_b64 s[20:21], s[30:31], 8
	v_xor_b32_e32 v74, v10, v12
	v_xor_b32_e32 v78, v13, v12
	;; [unrolled: 1-line block ×3, first 2 shown]
	v_lshlrev_b32_e32 v12, 1, v4
	v_add_lshl_u32 v13, v4, s15, 1
	s_add_u32 s20, s36, s20
	v_lshlrev_b32_e32 v4, 1, v40
	v_lshrrev_b32_e32 v15, 4, v0
	s_addc_u32 s21, s37, s21
	v_or_b32_e32 v5, 1, v4
	v_lshlrev_b32_e32 v34, 4, v40
	v_mov_b32_e32 v19, 0x4000
	v_mov_b32_e32 v20, 0x2000
	v_xor_b32_e32 v16, v15, v4
	v_xor_b32_e32 v17, v5, v15
	v_lshl_add_u64 v[4:5], s[20:21], 0, v[34:35]
	v_lshlrev_b32_e32 v34, 8, v15
	v_cndmask_b32_e32 v19, v19, v20, vcc
	v_lshlrev_b32_e32 v20, 3, v42
	v_and_b32_e32 v11, 24, v11
	v_lshl_or_b32 v82, v16, 3, v34
	v_and_b32_e32 v16, 8, v0
	v_xor_b32_e32 v21, v20, v11
	v_or_b32_e32 v22, 0x440, v21
	v_cmp_eq_u32_e32 vcc, 0, v16
	v_and_b32_e32 v15, 7, v0
	v_lshlrev_b32_e32 v10, 7, v43
	v_cndmask_b32_e32 v16, v22, v21, vcc
	v_lshl_or_b32 v83, v17, 3, v34
	v_lshlrev_b32_e32 v17, 3, v15
	v_lshlrev_b32_e32 v15, 7, v15
	;; [unrolled: 1-line block ×3, first 2 shown]
	v_or_b32_e32 v16, v16, v9
	v_or_b32_e32 v7, v10, v7
	v_xad_u32 v84, v16, v17, v15
	v_and_or_b32 v10, v18, 60, v10
	v_mov_b32_e32 v16, 0xb000
	v_lshl_or_b32 v85, v10, 1, v16
	v_or_b32_e32 v10, 32, v11
	v_xor_b32_e32 v10, v20, v10
	v_or_b32_e32 v16, 0x440, v10
	v_cndmask_b32_e32 v10, v16, v10, vcc
	v_or_b32_e32 v10, v10, v9
	v_xad_u32 v86, v10, v17, v15
	v_or_b32_e32 v10, 64, v11
	v_xor_b32_e32 v10, v20, v10
	v_xor_b32_e32 v16, 0x440, v10
	v_cndmask_b32_e32 v10, v16, v10, vcc
	v_or_b32_e32 v10, v10, v9
	v_xad_u32 v87, v10, v17, v15
	v_or_b32_e32 v10, 0x60, v11
	v_xor_b32_e32 v10, v20, v10
	v_xor_b32_e32 v11, 0x440, v10
	v_cndmask_b32_e32 v10, v11, v10, vcc
	v_lshlrev_b32_e32 v7, 1, v7
	v_or_b32_e32 v6, s30, v40
	v_or_b32_e32 v9, v10, v9
	;; [unrolled: 1-line block ×6, first 2 shown]
	v_lshlrev_b32_e32 v8, 7, v46
	v_ashrrev_i32_e32 v7, 31, v6
	v_or_b32_e32 v14, 0x100, v3
	v_xad_u32 v88, v9, v17, v15
	v_cndmask_b32_e64 v89, v12, v3, s[0:1]
	v_cndmask_b32_e64 v90, v13, v14, s[0:1]
	v_lshl_add_u64 v[36:37], v[6:7], 1, s[8:9]
	v_lshl_add_u64 v[38:39], v[4:5], 0, v[34:35]
	s_mov_b32 s31, 0x7060302
	v_lshlrev_b32_e32 v34, 1, v8
	v_add_u32_e32 v93, v19, v84
	v_add_u32_e32 v94, v19, v86
	;; [unrolled: 1-line block ×4, first 2 shown]
	v_mov_b32_e32 v65, v35
	v_mov_b32_e32 v100, v35
	;; [unrolled: 1-line block ×6, first 2 shown]
	s_waitcnt lgkmcnt(0)
	s_barrier
.LBB496_6:                              ; =>This Inner Loop Header: Depth=1
	s_add_i32 s60, s61, 1
	s_cmp_lt_i32 s60, s46
	s_mov_b64 s[24:25], 0
	s_cselect_b64 s[40:41], -1, 0
	s_cmp_ge_i32 s60, s46
	s_mov_b64 s[20:21], 0
	s_cbranch_scc1 .LBB496_8
; %bb.7:                                ;   in Loop: Header=BB496_6 Depth=1
	s_add_i32 s0, s55, 64
	s_add_u32 s0, s2, s0
	s_addc_u32 s1, s3, 0
	s_lshl_b64 s[0:1], s[0:1], 8
	s_add_u32 s20, s6, s0
	s_addc_u32 s21, s7, s1
.LBB496_8:                              ;   in Loop: Header=BB496_6 Depth=1
	v_cndmask_b32_e64 v2, 0, 1, s[40:41]
	v_cmp_ne_u32_e64 s[0:1], 1, v2
	s_andn2_b64 vcc, exec, s[40:41]
	s_cbranch_vccnz .LBB496_10
; %bb.9:                                ;   in Loop: Header=BB496_6 Depth=1
	s_add_i32 s24, s55, 64
	s_add_u32 s24, s58, s24
	s_addc_u32 s25, s59, 0
	s_mul_i32 s27, s24, s47
	s_mul_hi_u32 s40, s24, s51
	s_add_i32 s27, s40, s27
	s_mul_i32 s25, s25, s51
	s_add_i32 s27, s27, s25
	s_mul_i32 s24, s24, s51
	s_add_u32 s24, s24, s50
	s_addc_u32 s25, s27, s53
	s_lshl_b64 s[24:25], s[24:25], 8
	s_add_u32 s24, s4, s24
	s_addc_u32 s25, s5, s25
.LBB496_10:                             ;   in Loop: Header=BB496_6 Depth=1
	v_perm_b32 v3, v99, v73, s31
	v_perm_b32 v2, v71, v72, s31
	;; [unrolled: 1-line block ×4, first 2 shown]
	ds_write_b64 v54, v[2:3]
	ds_write_b64 v55, v[4:5]
	;; [unrolled: 1-line block ×4, first 2 shown]
	v_perm_b32 v3, v100, v65, s31
	v_perm_b32 v2, v63, v64, s31
	;; [unrolled: 1-line block ×4, first 2 shown]
	ds_write_b64 v56, v[2:3]
	ds_write_b64 v57, v[4:5]
	;; [unrolled: 1-line block ×4, first 2 shown]
	s_waitcnt lgkmcnt(0)
	s_barrier
	ds_read_b64 v[6:7], v74 offset:24576
	ds_read2_b64 v[2:5], v75 offset1:16
	ds_read_b64 v[10:11], v77 offset:3072
	ds_read_b64 v[12:13], v75 offset:3072
	;; [unrolled: 1-line block ×3, first 2 shown]
	s_waitcnt lgkmcnt(3)
	v_mfma_f32_16x16x16_bf16 a[0:3], v[6:7], v[2:3], 0
	s_add_i32 s27, s55, 63
	s_mul_i32 s40, s27, s29
	s_mul_hi_u32 s41, s27, s28
	v_mfma_f32_16x16x16_bf16 a[4:7], v[6:7], v[4:5], 0
	ds_read2st64_b64 v[2:5], v75 offset0:2 offset1:4
	ds_read2st64_b64 v[6:9], v77 offset0:2 offset1:4
	s_add_i32 s41, s41, s40
	s_waitcnt lgkmcnt(1)
	v_mfma_f32_16x16x16_bf16 a[0:3], v[14:15], v[2:3], a[0:3]
	s_mul_i32 s40, s27, s28
	s_lshl_b64 s[40:41], s[40:41], 2
	s_add_u32 s40, s38, s40
	s_waitcnt lgkmcnt(0)
	v_mfma_f32_16x16x16_bf16 a[4:7], v[14:15], v[6:7], a[4:7]
	ds_read_b64 v[2:3], v78 offset:24576
	ds_read_b64 v[6:7], v79 offset:24576
	s_addc_u32 s41, s39, s41
	s_and_b64 vcc, exec, s[0:1]
	s_waitcnt lgkmcnt(1)
	v_mfma_f32_16x16x16_bf16 a[0:3], v[2:3], v[4:5], a[0:3]
	v_mov_b32_e32 v103, 0
	v_mov_b32_e32 v102, 0
	;; [unrolled: 1-line block ×3, first 2 shown]
	v_mfma_f32_16x16x16_bf16 a[4:7], v[2:3], v[8:9], a[4:7]
	v_mov_b32_e32 v2, 0
	v_mov_b32_e32 v3, 0
	;; [unrolled: 1-line block ×3, first 2 shown]
	s_waitcnt lgkmcnt(0)
	v_mfma_f32_16x16x16_bf16 a[0:3], v[6:7], v[12:13], a[0:3]
	v_mov_b32_e32 v5, 0
	v_mov_b32_e32 v8, 0
	v_mov_b32_e32 v9, 0
	v_mfma_f32_16x16x16_bf16 a[4:7], v[6:7], v[10:11], a[4:7]
	v_mov_b32_e32 v6, 0
	v_mov_b32_e32 v7, 0
	v_mov_b32_e32 v10, 0
	v_mov_b32_e32 v11, 0
	v_mov_b32_e32 v12, 0
	v_mov_b32_e32 v13, 0
	v_mov_b32_e32 v14, 0
	v_mov_b32_e32 v15, 0
	v_mov_b32_e32 v16, 0
	v_mov_b32_e32 v17, 0
	s_cbranch_vccnz .LBB496_12
; %bb.11:                               ;   in Loop: Header=BB496_6 Depth=1
	s_and_b32 s21, s21, 0xffff
	buffer_load_dwordx4 v[14:17], v50, s[20:23], 0 offen
	buffer_load_dwordx4 v[10:13], v50, s[20:23], s54 offen
	buffer_load_dwordx4 v[6:9], v51, s[20:23], 0 offen
	buffer_load_dwordx4 v[2:5], v51, s[20:23], s54 offen
	v_mov_b32_e32 v102, v52
	v_mov_b32_e32 v101, v53
.LBB496_12:                             ;   in Loop: Header=BB496_6 Depth=1
	s_waitcnt vmcnt(4)
	ds_read_b64 v[22:23], v74 offset:32768
	s_waitcnt vmcnt(2)
	ds_read2_b64 v[18:21], v80 offset1:16
	ds_read_b64 v[26:27], v76 offset:32768
	ds_read_b64 v[28:29], v78 offset:32768
	;; [unrolled: 1-line block ×3, first 2 shown]
	v_add_u32_e32 v32, s55, v91
	s_waitcnt lgkmcnt(3)
	v_mfma_f32_16x16x16_bf16 a[0:3], v[22:23], v[18:19], a[0:3]
	v_mul_lo_u32 v33, v32, s29
	v_mfma_f32_16x16x16_bf16 a[4:7], v[22:23], v[20:21], a[4:7]
	ds_read2st64_b64 v[18:21], v80 offset0:2 offset1:4
	ds_read2st64_b64 v[22:25], v81 offset0:2 offset1:4
	s_waitcnt lgkmcnt(1)
	v_mfma_f32_16x16x16_bf16 a[0:3], v[26:27], v[18:19], a[0:3]
	v_ashrrev_i32_e32 v18, 31, v32
	v_mul_lo_u32 v104, v18, s28
	v_mad_u64_u32 v[18:19], s[20:21], v32, s28, 0
	v_mfma_f32_16x16x16_bf16 a[0:3], v[28:29], v[20:21], a[0:3]
	v_add_u32_e32 v20, 1, v32
	v_ashrrev_i32_e32 v21, 31, v20
	v_add3_u32 v19, v19, v33, v104
	s_waitcnt lgkmcnt(0)
	v_mfma_f32_16x16x16_bf16 a[4:7], v[26:27], v[22:23], a[4:7]
	v_mul_lo_u32 v22, v21, s28
	v_mul_lo_u32 v23, v20, s29
	v_mad_u64_u32 v[20:21], s[20:21], v20, s28, 0
	v_add3_u32 v21, v21, v23, v22
	v_add_u32_e32 v22, 2, v32
	v_ashrrev_i32_e32 v23, 31, v22
	v_mul_lo_u32 v26, v23, s28
	v_mul_lo_u32 v27, v22, s29
	v_mad_u64_u32 v[22:23], s[20:21], v22, s28, 0
	v_add3_u32 v23, v23, v27, v26
	v_add_u32_e32 v26, 3, v32
	v_ashrrev_i32_e32 v27, 31, v26
	v_mul_lo_u32 v32, v27, s28
	v_mul_lo_u32 v33, v26, s29
	v_mad_u64_u32 v[26:27], s[20:21], v26, s28, 0
	s_add_u32 s20, s2, s55
	s_addc_u32 s21, s3, 0
	s_lshl_b64 s[20:21], s[20:21], 8
	v_lshl_add_u64 v[18:19], v[18:19], 2, s[38:39]
	v_lshl_add_u64 v[20:21], v[20:21], 2, s[38:39]
	v_add3_u32 v27, v27, v33, v32
	v_lshl_add_u64 v[32:33], v[36:37], 0, s[20:21]
	v_lshl_add_u64 v[22:23], v[22:23], 2, s[38:39]
	;; [unrolled: 1-line block ×3, first 2 shown]
	global_load_dword v104, v[18:19], off
	global_load_ushort v105, v[32:33], off offset:256
	global_load_ushort v106, v[32:33], off
	global_load_ushort v107, v[32:33], off offset:768
	global_load_ushort v108, v[32:33], off offset:512
	v_lshl_add_u64 v[18:19], v[26:27], 2, s[38:39]
	global_load_dword v109, v[20:21], off
	global_load_dword v110, v[22:23], off
	;; [unrolled: 1-line block ×3, first 2 shown]
	ds_read_b64 v[18:19], v80 offset:3072
	ds_read_b64 v[20:21], v81 offset:3072
	global_load_ushort v112, v[32:33], off offset:800
	global_load_ushort v113, v[32:33], off offset:544
	;; [unrolled: 1-line block ×3, first 2 shown]
	s_nop 0
	global_load_ushort v32, v[32:33], off offset:32
	s_load_dword s20, s[40:41], 0x0
	v_mfma_f32_16x16x16_bf16 a[4:7], v[28:29], v[24:25], a[4:7]
	s_and_b64 vcc, exec, s[0:1]
	v_mov_b32_e32 v33, 0
	s_waitcnt vmcnt(11) lgkmcnt(0)
	v_sub_f32_e32 v28, s20, v104
	v_mfma_f32_16x16x16_bf16 a[0:3], v[30:31], v[18:19], a[0:3]
	v_mul_f32_e32 v28, 0x3fb8aa3b, v28
	v_exp_f32_e32 v28, v28
	s_waitcnt vmcnt(6)
	v_sub_f32_e32 v29, s20, v109
	v_mfma_f32_16x16x16_bf16 a[4:7], v[30:31], v[20:21], a[4:7]
	s_waitcnt vmcnt(5)
	v_sub_f32_e32 v30, s20, v110
	s_waitcnt vmcnt(4)
	v_sub_f32_e32 v31, s20, v111
	v_mul_f32_e32 v29, 0x3fb8aa3b, v29
	v_mul_f32_e32 v30, 0x3fb8aa3b, v30
	;; [unrolled: 1-line block ×3, first 2 shown]
	v_exp_f32_e32 v29, v29
	v_exp_f32_e32 v30, v30
	;; [unrolled: 1-line block ×3, first 2 shown]
	v_accvgpr_read_b32 v23, a1
	v_accvgpr_read_b32 v19, a3
	;; [unrolled: 1-line block ×4, first 2 shown]
	v_lshlrev_b32_e32 v25, 16, v105
	v_lshlrev_b32_e32 v24, 16, v106
	;; [unrolled: 1-line block ×4, first 2 shown]
	v_pk_add_f32 v[22:23], v[24:25], v[22:23] neg_lo:[0,1] neg_hi:[0,1]
	v_pk_add_f32 v[18:19], v[26:27], v[18:19] neg_lo:[0,1] neg_hi:[0,1]
	v_pk_mul_f32 v[22:23], v[28:29], v[22:23]
	v_pk_mul_f32 v[18:19], v[30:31], v[18:19]
	v_accvgpr_read_b32 v25, a5
	v_perm_b32 v19, v19, v18, s31
	v_perm_b32 v18, v23, v22, s31
	s_waitcnt vmcnt(1)
	v_lshlrev_b32_e32 v23, 16, v114
	s_waitcnt vmcnt(0)
	v_lshlrev_b32_e32 v22, 16, v32
	v_accvgpr_read_b32 v24, a4
	v_accvgpr_read_b32 v21, a7
	;; [unrolled: 1-line block ×3, first 2 shown]
	v_pk_add_f32 v[22:23], v[22:23], v[24:25] neg_lo:[0,1] neg_hi:[0,1]
	v_lshlrev_b32_e32 v25, 16, v112
	v_lshlrev_b32_e32 v24, 16, v113
	v_pk_add_f32 v[20:21], v[24:25], v[20:21] neg_lo:[0,1] neg_hi:[0,1]
	v_pk_mul_f32 v[22:23], v[28:29], v[22:23]
	v_pk_mul_f32 v[20:21], v[30:31], v[20:21]
	v_mov_b32_e32 v104, 0
	v_perm_b32 v21, v21, v20, s31
	v_perm_b32 v20, v23, v22, s31
	ds_write2_b64 v55, v[18:19], v[20:21] offset1:16
	v_mov_b32_e32 v18, 0
	v_mov_b32_e32 v19, 0
	;; [unrolled: 1-line block ×15, first 2 shown]
	s_cbranch_vccnz .LBB496_14
; %bb.13:                               ;   in Loop: Header=BB496_6 Depth=1
	s_and_b32 s25, s25, 0xffff
	s_mov_b32 s27, s23
	buffer_load_dwordx4 v[30:33], v89, s[24:27], 0 offen
	buffer_load_dwordx4 v[22:25], v89, s[24:27], s54 offen
	buffer_load_dwordx4 v[26:29], v90, s[24:27], 0 offen
	buffer_load_dwordx4 v[18:21], v90, s[24:27], s54 offen
	v_mov_b32_e32 v103, v49
	v_mov_b32_e32 v104, v48
.LBB496_14:                             ;   in Loop: Header=BB496_6 Depth=1
	s_waitcnt lgkmcnt(0)
	s_barrier
	ds_read_b64 v[110:111], v93
	ds_read_b64 v[118:119], v85
	;; [unrolled: 1-line block ×5, first 2 shown]
	ds_read_b64 v[124:125], v86 offset:16384
	ds_read_b64 v[126:127], v84 offset:16384
	ds_read2_b64 v[106:109], v80 offset0:16 offset1:128
	s_waitcnt lgkmcnt(6)
	v_mfma_f32_16x16x16_bf16 a[0:3], v[110:111], v[118:119], 0
	ds_read_b64 v[128:129], v81 offset:3072
	ds_read_b64 v[130:131], v88 offset:16384
	s_add_i32 s21, s48, s61
	s_waitcnt lgkmcnt(2)
	v_mfma_f32_16x16x16_bf16 a[4:7], v[110:111], v[106:107], 0
	ds_read2st64_b64 v[110:113], v81 offset0:2 offset1:4
	s_mul_hi_i32 s25, s21, s13
	s_mul_i32 s21, s21, s13
	v_mfma_f32_16x16x16_bf16 a[0:3], v[114:115], v[108:109], a[0:3]
	s_add_u32 s24, s21, s33
	s_addc_u32 s25, s25, s52
	s_lshl_b64 s[24:25], s[24:25], 15
	s_waitcnt lgkmcnt(0)
	v_mfma_f32_16x16x16_bf16 a[4:7], v[114:115], v[110:111], a[4:7]
	ds_read2st64_b64 v[114:117], v80 offset0:4 offset1:6
	s_waitcnt lgkmcnt(0)
	v_mfma_f32_16x16x16_bf16 a[0:3], v[120:121], v[114:115], a[0:3]
	v_mfma_f32_16x16x16_bf16 a[8:11], v[120:121], v[112:113], a[4:7]
	;; [unrolled: 1-line block ×5, first 2 shown]
	ds_read2st64_b64 v[118:121], v83 offset1:8
	v_mfma_f32_16x16x16_bf16 a[12:15], v[126:127], v[106:107], 0
	ds_read_b64 v[126:127], v87 offset:16384
	v_mfma_f32_16x16x16_bf16 a[8:11], v[124:125], v[108:109], a[8:11]
	ds_read2st64_b64 v[106:109], v82 offset1:8
	s_waitcnt lgkmcnt(0)
	v_mov_b32_e32 v122, v106
	v_mfma_f32_16x16x16_bf16 a[12:15], v[124:125], v[110:111], a[12:15]
	v_lshl_add_u64 v[110:111], v[38:39], 0, s[24:25]
	v_add_co_u32_e32 v106, vcc, s35, v110
	v_mfma_f32_16x16x16_bf16 a[8:11], v[126:127], v[114:115], a[8:11]
	v_mov_b32_e32 v123, v107
	v_addc_co_u32_e32 v107, vcc, 0, v111, vcc
	v_mfma_f32_16x16x16_bf16 a[16:19], v[126:127], v[112:113], a[12:15]
	v_mov_b32_e32 v124, v118
	v_mov_b32_e32 v125, v119
	;; [unrolled: 1-line block ×3, first 2 shown]
	v_mfma_f32_16x16x16_bf16 a[12:15], v[130:131], v[116:117], a[8:11]
	v_mov_b32_e32 v119, v109
	s_and_b64 vcc, exec, s[0:1]
	global_store_dwordx4 v[110:111], v[122:125], off
	v_mfma_f32_16x16x16_bf16 a[8:11], v[130:131], v[128:129], a[16:19]
	global_store_dwordx4 v[106:107], v[118:121], off
	s_cbranch_vccnz .LBB496_16
; %bb.15:                               ;   in Loop: Header=BB496_6 Depth=1
	v_lshrrev_b32_e32 v105, 3, v103
	v_and_b32_e32 v105, 6, v105
	v_xor_b32_e32 v104, v105, v104
	v_lshlrev_b32_e32 v104, 2, v104
	v_and_b32_e32 v103, 8, v103
	v_xor_b32_e32 v106, 0x440, v104
	v_cmp_eq_u32_e32 vcc, 0, v103
	s_barrier
	s_nop 0
	v_cndmask_b32_e32 v103, v106, v104, vcc
	v_lshl_or_b32 v103, v105, 10, v103
	s_waitcnt vmcnt(3)
	v_perm_b32 v104, v30, v26, s56
	s_waitcnt vmcnt(2)
	v_perm_b32 v105, v22, v18, s56
	ds_write2st64_b32 v103, v104, v105 offset0:32 offset1:64
	v_xor_b32_e32 v104, 8, v103
	v_perm_b32 v26, v30, v26, s57
	v_perm_b32 v18, v22, v18, s57
	v_add_u32_e32 v22, 0x80, v104
	ds_write2st64_b32 v22, v26, v18 offset0:32 offset1:64
	v_xor_b32_e32 v18, 16, v103
	v_perm_b32 v22, v31, v27, s56
	v_perm_b32 v26, v23, v19, s56
	ds_write2st64_b32 v18, v22, v26 offset0:33 offset1:65
	v_xor_b32_e32 v18, 24, v103
	v_perm_b32 v22, v31, v27, s57
	v_perm_b32 v19, v23, v19, s57
	v_add_u32_e32 v18, 0x80, v18
	ds_write2st64_b32 v18, v22, v19 offset0:33 offset1:65
	v_xor_b32_e32 v18, 32, v103
	v_perm_b32 v19, v32, v28, s56
	;; [unrolled: 9-line block ×3, first 2 shown]
	v_perm_b32 v20, v25, v21, s56
	ds_write2st64_b32 v18, v19, v20 offset0:35 offset1:67
	v_xor_b32_e32 v18, 56, v103
	v_perm_b32 v19, v33, v29, s57
	v_perm_b32 v20, v25, v21, s57
	v_add_u32_e32 v18, 0x80, v18
	ds_write2st64_b32 v18, v19, v20 offset0:35 offset1:67
	ds_write_b64 v102, v[14:15] offset:24576
	v_xor_b32_e32 v14, 8, v102
	ds_write_b64 v14, v[16:17] offset:24576
	ds_write_b64 v102, v[10:11] offset:32768
	;; [unrolled: 1-line block ×4, first 2 shown]
	v_xor_b32_e32 v6, 8, v101
	ds_write_b64 v6, v[8:9] offset:24576
	ds_write_b64 v101, v[2:3] offset:32768
	ds_write_b64 v6, v[4:5] offset:32768
.LBB496_16:                             ;   in Loop: Header=BB496_6 Depth=1
	v_mul_f32_e32 v2, s20, v92
	v_exp_f32_e32 v2, v2
	v_accvgpr_read_b32 v3, a4
	v_accvgpr_read_b32 v4, a5
	;; [unrolled: 1-line block ×3, first 2 shown]
	v_fma_f32 v72, v72, v2, v3
	v_accvgpr_read_b32 v3, a6
	v_fma_f32 v73, v73, v2, v3
	v_accvgpr_read_b32 v3, a0
	;; [unrolled: 2-line block ×11, first 2 shown]
	v_accvgpr_read_b32 v6, a15
	v_fma_f32 v62, v62, v2, v3
	v_accvgpr_read_b32 v3, a11
	s_add_i32 s55, s55, 64
	v_fmac_f32_e32 v5, v99, v2
	v_fmac_f32_e32 v4, v100, v2
	v_fmac_f32_e32 v6, v97, v2
	s_cmp_eq_u32 s46, s60
	v_fmac_f32_e32 v3, v98, v2
	s_cbranch_scc1 .LBB496_18
; %bb.17:                               ;   in Loop: Header=BB496_6 Depth=1
	s_mov_b32 s61, s60
	v_mov_b32_e32 v99, v5
	v_mov_b32_e32 v97, v6
	;; [unrolled: 1-line block ×4, first 2 shown]
	s_branch .LBB496_6
.LBB496_18:
	s_lshl_b32 s40, s46, 6
	s_sub_i32 s41, s12, s40
	s_cmp_gt_i32 s41, 0
	s_cbranch_scc0 .LBB496_83
; %bb.19:
	s_ashr_i32 s35, s45, 31
	s_ashr_i32 s2, s40, 31
	s_cmpk_lg_i32 s15, 0x80
	s_cselect_b64 s[26:27], -1, 0
	s_and_b64 vcc, exec, s[26:27]
	s_cbranch_vccz .LBB496_21
; %bb.20:
	s_mul_i32 s1, s45, s12
	s_mul_hi_i32 s0, s45, s12
	s_add_u32 s1, s1, s40
	s_addc_u32 s0, s0, s2
	s_mul_i32 s3, s1, s47
	s_mul_hi_u32 s20, s1, s14
	s_add_i32 s3, s20, s3
	s_mul_i32 s0, s0, s14
	s_add_i32 s3, s3, s0
	s_mul_i32 s1, s1, s14
	s_ashr_i32 s0, s50, 31
	s_add_u32 s38, s1, s50
	s_addc_u32 s39, s3, s0
	s_cbranch_execz .LBB496_22
	s_branch .LBB496_23
.LBB496_21:
                                        ; implicit-def: $sgpr38_sgpr39
.LBB496_22:
	s_mul_hi_i32 s0, s45, s14
	s_mul_i32 s45, s45, s14
	s_ashr_i32 s1, s50, 31
	s_add_u32 s3, s45, s50
	s_addc_u32 s0, s0, s1
	s_mul_i32 s1, s3, s44
	s_mul_hi_u32 s14, s3, s12
	s_add_i32 s1, s14, s1
	s_mul_i32 s0, s0, s12
	s_add_i32 s1, s1, s0
	s_mul_i32 s3, s3, s12
	s_add_u32 s38, s3, s40
	s_addc_u32 s39, s1, s2
.LBB496_23:
	s_add_i32 s3, s48, s46
	s_ashr_i32 s14, s33, 31
	s_add_u32 s0, s43, s33
	s_addc_u32 s1, s49, s14
	s_mul_i32 s20, s0, s44
	s_mul_hi_u32 s21, s0, s12
	s_add_i32 s20, s21, s20
	s_mul_i32 s1, s1, s12
	s_add_i32 s20, s20, s1
	s_mul_i32 s0, s0, s12
	s_add_u32 s0, s0, s40
	s_addc_u32 s1, s20, s2
	v_lshlrev_b32_e32 v10, 5, v46
	s_waitcnt vmcnt(4)
	v_lshlrev_b32_e32 v22, 2, v40
	s_mov_b32 s2, 0x7060302
	v_xor_b32_e32 v2, v46, v22
	v_perm_b32 v9, v5, v73, s2
	v_or_b32_e32 v5, v10, v22
	v_perm_b32 v8, v71, v72, s2
	v_perm_b32 v7, v6, v70, s2
	;; [unrolled: 1-line block ×3, first 2 shown]
	v_lshlrev_b32_e32 v5, 1, v5
	v_lshlrev_b32_e32 v12, 1, v2
	;; [unrolled: 1-line block ×3, first 2 shown]
	s_lshl_b64 s[24:25], s[0:1], 8
	v_xor_b32_e32 v11, v47, v22
	ds_write2st64_b64 v5, v[8:9], v[6:7] offset0:80 offset1:88
	v_or_b32_e32 v5, v12, v2
	s_add_u32 s0, s6, s24
	ds_write_b64 v5, v[8:9]
	v_lshlrev_b32_e32 v8, 1, v11
	s_addc_u32 s1, s7, s25
	v_or_b32_e32 v2, v8, v2
	s_mul_hi_i32 s6, s3, s13
	s_mul_i32 s3, s3, s13
	ds_write_b64 v2, v[6:7]
	v_perm_b32 v5, v4, v65, s2
	v_perm_b32 v4, v63, v64, s2
	;; [unrolled: 1-line block ×4, first 2 shown]
	v_or_b32_e32 v6, 16, v40
	s_add_u32 s2, s3, s33
	s_waitcnt vmcnt(2)
	v_lshlrev_b32_e32 v19, 2, v6
	s_addc_u32 s3, s6, s14
	v_or_b32_e32 v7, v10, v19
	s_ashr_i32 s31, s30, 31
	s_lshl_b64 s[2:3], s[2:3], 15
	v_lshlrev_b32_e32 v7, 1, v7
	v_lshlrev_b32_e32 v6, 8, v6
	s_add_u32 s6, s36, s2
	ds_write2st64_b64 v7, v[4:5], v[2:3] offset0:80 offset1:88
	v_or_b32_e32 v7, v12, v6
	s_addc_u32 s7, s37, s3
	s_lshl_b64 s[2:3], s[30:31], 8
	ds_write_b64 v7, v[4:5]
	v_or_b32_e32 v4, v8, v6
	s_add_u32 s2, s6, s2
	ds_write_b64 v4, v[2:3]
	v_lshrrev_b32_e32 v2, 4, v0
	s_addc_u32 s3, s7, s3
	v_lshlrev_b32_e32 v3, 1, v40
	v_lshlrev_b32_e32 v10, 4, v40
	v_mov_b32_e32 v11, 0
	v_or_b32_e32 v4, 1, v3
	v_xor_b32_e32 v3, v2, v3
	v_lshl_add_u64 v[12:13], s[2:3], 0, v[10:11]
	v_lshlrev_b32_e32 v10, 8, v2
	v_xor_b32_e32 v6, v4, v2
	v_lshl_or_b32 v2, v3, 3, v10
	s_waitcnt lgkmcnt(0)
	s_barrier
	ds_read2st64_b64 v[2:5], v2 offset1:8
	v_lshl_or_b32 v6, v6, 3, v10
	ds_read2st64_b64 v[6:9], v6 offset1:8
	v_lshl_add_u64 v[14:15], v[12:13], 0, v[10:11]
	s_movk_i32 s2, 0x1000
	s_waitcnt lgkmcnt(1)
	v_mov_b32_e32 v10, v2
	v_add_co_u32_e32 v2, vcc, s2, v14
	s_cmp_lg_u32 s41, 64
	v_mov_b32_e32 v11, v3
	v_addc_co_u32_e32 v3, vcc, 0, v15, vcc
	s_cselect_b64 s[6:7], -1, 0
	v_lshl_or_b32 v23, v42, 3, v45
	s_waitcnt lgkmcnt(0)
	v_mov_b32_e32 v12, v6
	v_mov_b32_e32 v13, v7
	;; [unrolled: 1-line block ×4, first 2 shown]
	s_mov_b32 s20, 0
	v_or_b32_e32 v20, 32, v23
	v_and_b32_e32 v18, 56, v44
	s_and_b64 vcc, exec, s[6:7]
	global_store_dwordx4 v[14:15], v[10:13], off
	global_store_dwordx4 v[2:3], v[6:9], off
	s_cbranch_vccz .LBB496_29
; %bb.24:
	s_mov_b32 s21, s20
	s_mov_b32 s22, s20
	;; [unrolled: 1-line block ×3, first 2 shown]
	v_mov_b64_e32 v[6:7], s[20:21]
	v_mov_b64_e32 v[8:9], s[22:23]
	;; [unrolled: 1-line block ×3, first 2 shown]
	v_cmp_gt_i32_e32 vcc, s41, v23
	v_mov_b64_e32 v[4:5], v[8:9]
	s_and_saveexec_b64 s[2:3], vcc
	s_cbranch_execz .LBB496_26
; %bb.25:
	v_lshlrev_b32_e32 v2, 8, v23
	v_mov_b32_e32 v3, 0
	v_lshl_add_u64 v[4:5], s[0:1], 0, v[2:3]
	v_lshlrev_b32_e32 v2, 1, v18
	v_lshl_add_u64 v[10:11], v[4:5], 0, v[2:3]
	global_load_dwordx4 v[6:9], v[10:11], off
	global_load_dwordx4 v[2:5], v[10:11], off offset:128
.LBB496_26:
	s_or_b64 exec, exec, s[2:3]
	s_mov_b32 s21, s20
	s_mov_b32 s22, s20
	;; [unrolled: 1-line block ×3, first 2 shown]
	v_mov_b64_e32 v[14:15], s[20:21]
	v_mov_b64_e32 v[16:17], s[22:23]
	;; [unrolled: 1-line block ×3, first 2 shown]
	v_cmp_gt_i32_e32 vcc, s41, v20
	v_lshlrev_b32_e32 v21, 7, v20
	v_mov_b64_e32 v[12:13], v[16:17]
	s_and_saveexec_b64 s[2:3], vcc
	s_cbranch_execz .LBB496_28
; %bb.27:
	v_lshlrev_b32_e32 v10, 1, v21
	v_mov_b32_e32 v11, 0
	v_lshl_add_u64 v[12:13], s[0:1], 0, v[10:11]
	v_lshlrev_b32_e32 v10, 1, v18
	v_lshl_add_u64 v[24:25], v[12:13], 0, v[10:11]
	global_load_dwordx4 v[14:17], v[24:25], off
	global_load_dwordx4 v[10:13], v[24:25], off offset:128
.LBB496_28:
	s_or_b64 exec, exec, s[2:3]
	v_lshrrev_b32_e32 v24, 3, v18
	v_lshlrev_b32_e32 v25, 3, v23
	v_or_b32_e32 v24, v25, v24
	v_lshlrev_b32_e32 v24, 4, v24
	v_and_b32_e32 v25, 0x78, v25
	v_xor_b32_e32 v24, v24, v25
	s_branch .LBB496_31
.LBB496_29:
                                        ; implicit-def: $vgpr24
                                        ; implicit-def: $vgpr21
                                        ; implicit-def: $vgpr6_vgpr7_vgpr8_vgpr9
                                        ; implicit-def: $vgpr2_vgpr3_vgpr4_vgpr5
                                        ; implicit-def: $vgpr14_vgpr15_vgpr16_vgpr17
                                        ; implicit-def: $vgpr10_vgpr11_vgpr12_vgpr13
	s_cbranch_execz .LBB496_31
; %bb.30:
	s_waitcnt vmcnt(0)
	v_lshlrev_b32_e32 v2, 1, v18
	v_lshl_or_b32 v21, v23, 8, v2
	s_and_b32 s1, s1, 0xffff
	s_mov_b32 s3, 0x20000
	s_movk_i32 s2, 0x4000
	v_lshl_or_b32 v24, v20, 8, v2
	s_movk_i32 s13, 0x80
	buffer_load_dwordx4 v[6:9], v21, s[0:3], 0 offen
	buffer_load_dwordx4 v[2:5], v21, s[0:3], s13 offen
	;; [unrolled: 1-line block ×4, first 2 shown]
	v_lshrrev_b32_e32 v21, 3, v18
	v_lshlrev_b32_e32 v24, 3, v23
	v_or_b32_e32 v21, v24, v21
	v_lshlrev_b32_e32 v21, 4, v21
	v_and_b32_e32 v24, 0x78, v24
	v_xor_b32_e32 v24, v21, v24
	v_lshlrev_b32_e32 v21, 7, v20
.LBB496_31:
	s_lshl_b64 s[0:1], s[38:39], 8
	s_add_u32 s4, s4, s0
	s_movk_i32 s0, 0x1000
	v_and_or_b32 v20, v21, s0, v24
	s_waitcnt vmcnt(1)
	ds_write_b64 v24, v[6:7] offset:24576
	v_xor_b32_e32 v6, 8, v24
	ds_write_b64 v6, v[8:9] offset:24576
	s_waitcnt vmcnt(0)
	ds_write_b64 v24, v[2:3] offset:32768
	ds_write_b64 v6, v[4:5] offset:32768
	;; [unrolled: 1-line block ×3, first 2 shown]
	v_xor_b32_e32 v2, 8, v20
	ds_write_b64 v2, v[16:17] offset:24576
	ds_write_b64 v20, v[10:11] offset:32768
	;; [unrolled: 1-line block ×3, first 2 shown]
	v_or_b32_e32 v2, v1, v40
	v_lshlrev_b32_e32 v3, 11, v42
	v_lshlrev_b32_e32 v2, 3, v2
	v_and_b32_e32 v6, 0x1000, v3
	v_lshrrev_b32_e32 v3, 5, v41
	s_movk_i32 s13, 0xf8
	v_and_or_b32 v3, v2, s13, v3
	v_lshlrev_b32_e32 v7, 4, v3
	v_and_b32_e32 v8, 0x78, v2
	v_or_b32_e32 v10, 32, v7
	v_lshrrev_b32_e32 v3, 1, v41
	v_xor_b32_e32 v10, v10, v8
	v_xor_b32_e32 v2, v7, v8
	v_and_b32_e32 v9, 8, v3
	v_or_b32_e32 v10, v10, v6
	v_or_b32_e32 v2, v2, v6
	v_xor_b32_e32 v26, v10, v9
	v_or_b32_e32 v10, 64, v7
	v_xor_b32_e32 v25, v2, v9
	v_xor_b32_e32 v10, v10, v8
	s_waitcnt lgkmcnt(0)
	s_barrier
	v_or_b32_e32 v12, v10, v6
	ds_read_b64 v[10:11], v25 offset:24576
	v_lshl_or_b32 v20, v43, 7, v22
	v_lshlrev_b32_e32 v24, 1, v20
	v_add_u32_e32 v2, 0xa000, v24
	ds_read2_b64 v[2:5], v2 offset1:16
	v_or_b32_e32 v7, 0x60, v7
	v_xor_b32_e32 v7, v7, v8
	s_waitcnt lgkmcnt(0)
	v_mfma_f32_16x16x16_bf16 a[0:3], v[10:11], v[2:3], 0
	v_or_b32_e32 v2, 64, v20
	v_or_b32_e32 v6, v7, v6
	v_lshlrev_b32_e32 v29, 1, v2
	v_xor_b32_e32 v27, v12, v9
	v_xor_b32_e32 v28, v6, v9
	ds_read_b64 v[12:13], v26 offset:24576
	ds_read_b64 v[14:15], v27 offset:24576
	;; [unrolled: 1-line block ×3, first 2 shown]
	v_mfma_f32_16x16x16_bf16 a[4:7], v[10:11], v[4:5], 0
	ds_read2st64_b64 v[2:5], v29 offset0:82 offset1:84
	ds_read2st64_b64 v[6:9], v24 offset0:82 offset1:84
	s_addc_u32 s5, s5, s1
	s_add_i32 s2, s12, -1
	s_add_i32 s0, s42, s17
	s_mul_i32 s35, s35, s16
	s_add_i32 s35, s0, s35
	s_mul_i32 s0, s33, s19
	s_mul_hi_u32 s1, s33, s18
	s_ashr_i32 s3, s2, 31
	s_mul_i32 s12, s2, s29
	s_mul_hi_u32 s13, s2, s28
	s_add_i32 s0, s1, s0
	s_mul_i32 s1, s14, s18
	s_add_i32 s12, s13, s12
	s_mul_i32 s3, s3, s28
	s_waitcnt lgkmcnt(1)
	v_mfma_f32_16x16x16_bf16 a[4:7], v[12:13], v[2:3], a[4:7]
	s_add_i32 s1, s0, s1
	s_add_i32 s3, s12, s3
	s_lshl_b64 s[12:13], s[34:35], 2
	s_waitcnt lgkmcnt(0)
	v_mfma_f32_16x16x16_bf16 a[0:3], v[12:13], v[6:7], a[0:3]
	s_mul_i32 s0, s33, s18
	s_add_u32 s10, s10, s12
	s_addc_u32 s11, s11, s13
	s_lshl_b64 s[0:1], s[0:1], 2
	s_mul_i32 s2, s2, s28
	s_add_u32 s10, s10, s0
	ds_read_b64 v[2:3], v24 offset:44032
	v_mfma_f32_16x16x16_bf16 a[4:7], v[14:15], v[4:5], a[4:7]
	ds_read_b64 v[4:5], v29 offset:44032
	s_addc_u32 s11, s11, s1
	s_lshl_b64 s[0:1], s[2:3], 2
	v_mfma_f32_16x16x16_bf16 a[0:3], v[14:15], v[8:9], a[0:3]
	s_add_u32 s0, s10, s0
	s_addc_u32 s1, s11, s1
	s_load_dword s12, s[0:1], 0x0
	s_waitcnt lgkmcnt(0)
	v_mfma_f32_16x16x16_bf16 a[0:3], v[16:17], v[2:3], a[0:3]
	s_and_b64 vcc, exec, s[26:27]
	v_mfma_f32_16x16x16_bf16 a[4:7], v[16:17], v[4:5], a[4:7]
	s_cbranch_vccz .LBB496_42
; %bb.32:
	v_lshlrev_b32_e32 v20, 1, v23
	s_and_b64 vcc, exec, s[6:7]
	s_cbranch_vccz .LBB496_43
; %bb.33:
	v_cmp_gt_i32_e32 vcc, s41, v20
	v_mov_b32_e32 v6, 0
	v_mov_b32_e32 v2, 0
	;; [unrolled: 1-line block ×5, first 2 shown]
	s_and_saveexec_b64 s[0:1], vcc
	s_cbranch_execz .LBB496_35
; %bb.34:
	v_mad_i64_i32 v[2:3], s[2:3], s15, v20, 0
	v_lshl_add_u64 v[2:3], v[2:3], 1, s[4:5]
	v_lshlrev_b32_e32 v4, 1, v18
	v_mov_b32_e32 v5, 0
	v_lshl_add_u64 v[2:3], v[2:3], 0, v[4:5]
	global_load_dwordx4 v[2:5], v[2:3], off
.LBB496_35:
	s_or_b64 exec, exec, s[0:1]
	v_or_b32_e32 v21, 1, v20
	v_cmp_gt_i32_e64 s[0:1], s41, v21
	v_mov_b32_e32 v7, 0
	v_mov_b32_e32 v8, 0
	;; [unrolled: 1-line block ×3, first 2 shown]
	s_and_saveexec_b64 s[2:3], s[0:1]
	s_cbranch_execz .LBB496_37
; %bb.36:
	v_mad_i64_i32 v[6:7], s[16:17], s15, v21, 0
	v_lshl_add_u64 v[6:7], v[6:7], 1, s[4:5]
	v_lshlrev_b32_e32 v8, 1, v18
	v_mov_b32_e32 v9, 0
	v_lshl_add_u64 v[6:7], v[6:7], 0, v[8:9]
	global_load_dwordx4 v[6:9], v[6:7], off
.LBB496_37:
	s_or_b64 exec, exec, s[2:3]
	v_mov_b32_e32 v17, 0
	v_mov_b32_e32 v10, 0
	;; [unrolled: 1-line block ×5, first 2 shown]
	s_and_saveexec_b64 s[2:3], vcc
	s_cbranch_execz .LBB496_39
; %bb.38:
	v_mad_i64_i32 v[10:11], s[16:17], s15, v20, 0
	v_lshl_add_u64 v[10:11], v[10:11], 1, s[4:5]
	v_lshlrev_b32_e32 v12, 1, v18
	v_mov_b32_e32 v13, 0
	v_lshl_add_u64 v[10:11], v[10:11], 0, v[12:13]
	global_load_dwordx4 v[10:13], v[10:11], off offset:128
.LBB496_39:
	s_or_b64 exec, exec, s[2:3]
	v_mov_b32_e32 v16, 0
	v_mov_b32_e32 v15, 0
	;; [unrolled: 1-line block ×3, first 2 shown]
	s_and_saveexec_b64 s[2:3], s[0:1]
	s_cbranch_execz .LBB496_41
; %bb.40:
	v_mad_i64_i32 v[14:15], s[0:1], s15, v21, 0
	v_lshl_add_u64 v[14:15], v[14:15], 1, s[4:5]
	v_lshlrev_b32_e32 v16, 1, v18
	v_mov_b32_e32 v17, 0
	v_lshl_add_u64 v[14:15], v[14:15], 0, v[16:17]
	global_load_dwordx4 v[14:17], v[14:15], off offset:128
.LBB496_41:
	s_or_b64 exec, exec, s[2:3]
	s_branch .LBB496_45
.LBB496_42:
                                        ; implicit-def: $vgpr5
                                        ; implicit-def: $vgpr9
                                        ; implicit-def: $vgpr13
                                        ; implicit-def: $vgpr17
	v_lshrrev_b32_e32 v30, 2, v41
	s_branch .LBB496_46
.LBB496_43:
                                        ; implicit-def: $vgpr5
                                        ; implicit-def: $vgpr9
                                        ; implicit-def: $vgpr13
                                        ; implicit-def: $vgpr17
	s_cbranch_execz .LBB496_45
; %bb.44:
	s_waitcnt vmcnt(0)
	v_mad_u64_u32 v[2:3], s[0:1], v20, s15, v[18:19]
	v_lshlrev_b32_e32 v20, 1, v2
	s_lshl_b32 s2, s15, 7
	s_and_b32 s1, s5, 0xffff
	s_mov_b32 s3, 0x20000
	s_mov_b32 s0, s4
	v_add_lshl_u32 v21, v2, s15, 1
	s_movk_i32 s13, 0x80
	buffer_load_dwordx4 v[2:5], v20, s[0:3], 0 offen
	buffer_load_dwordx4 v[10:13], v20, s[0:3], s13 offen
	;; [unrolled: 1-line block ×4, first 2 shown]
.LBB496_45:
	v_lshrrev_b32_e32 v30, 2, v41
	s_cbranch_execnz .LBB496_58
.LBB496_46:
	s_and_b64 vcc, exec, s[6:7]
	s_cbranch_vccz .LBB496_56
; %bb.47:
	s_waitcnt vmcnt(0)
	v_lshlrev_b32_e32 v7, 1, v23
	v_cmp_gt_i32_e32 vcc, s41, v7
	v_mov_b32_e32 v6, 0
	v_lshlrev_b32_e32 v14, 9, v23
	v_mov_b32_e32 v2, 0
	v_mov_b32_e32 v3, 0
	;; [unrolled: 1-line block ×4, first 2 shown]
	s_and_saveexec_b64 s[0:1], vcc
	s_cbranch_execz .LBB496_49
; %bb.48:
	v_mov_b32_e32 v15, 0
	v_lshl_add_u64 v[2:3], s[4:5], 0, v[14:15]
	v_lshlrev_b32_e32 v4, 1, v18
	v_mov_b32_e32 v5, v15
	v_lshl_add_u64 v[2:3], v[2:3], 0, v[4:5]
	global_load_dwordx4 v[2:5], v[2:3], off
.LBB496_49:
	s_or_b64 exec, exec, s[0:1]
	v_or_b32_e32 v7, 1, v7
	v_cmp_gt_i32_e64 s[0:1], s41, v7
	v_lshlrev_b32_e32 v20, 8, v7
	v_mov_b32_e32 v7, 0
	v_mov_b32_e32 v8, 0
	;; [unrolled: 1-line block ×3, first 2 shown]
	s_and_saveexec_b64 s[2:3], s[0:1]
	s_cbranch_execz .LBB496_51
; %bb.50:
	v_mov_b32_e32 v21, 0
	v_lshl_add_u64 v[6:7], s[4:5], 0, v[20:21]
	v_lshlrev_b32_e32 v8, 1, v18
	v_mov_b32_e32 v9, v21
	v_lshl_add_u64 v[6:7], v[6:7], 0, v[8:9]
	global_load_dwordx4 v[6:9], v[6:7], off
.LBB496_51:
	s_or_b64 exec, exec, s[2:3]
	v_mov_b32_e32 v17, 0
	v_mov_b32_e32 v10, 0
	;; [unrolled: 1-line block ×5, first 2 shown]
	s_and_saveexec_b64 s[2:3], vcc
	s_cbranch_execz .LBB496_53
; %bb.52:
	v_mov_b32_e32 v15, 0
	v_lshl_add_u64 v[10:11], s[4:5], 0, v[14:15]
	v_lshlrev_b32_e32 v14, 1, v18
	v_lshl_add_u64 v[10:11], v[10:11], 0, v[14:15]
	global_load_dwordx4 v[10:13], v[10:11], off offset:128
.LBB496_53:
	s_or_b64 exec, exec, s[2:3]
	v_mov_b32_e32 v16, 0
	v_mov_b32_e32 v15, 0
	;; [unrolled: 1-line block ×3, first 2 shown]
	s_and_saveexec_b64 s[2:3], s[0:1]
	s_cbranch_execz .LBB496_55
; %bb.54:
	v_mov_b32_e32 v21, 0
	v_lshl_add_u64 v[14:15], s[4:5], 0, v[20:21]
	v_lshlrev_b32_e32 v20, 1, v18
	v_lshl_add_u64 v[14:15], v[14:15], 0, v[20:21]
	global_load_dwordx4 v[14:17], v[14:15], off offset:128
.LBB496_55:
	s_or_b64 exec, exec, s[2:3]
	s_branch .LBB496_58
.LBB496_56:
                                        ; implicit-def: $vgpr5
                                        ; implicit-def: $vgpr9
                                        ; implicit-def: $vgpr13
                                        ; implicit-def: $vgpr17
	s_cbranch_execz .LBB496_58
; %bb.57:
	s_waitcnt vmcnt(0)
	v_lshlrev_b32_e32 v2, 1, v18
	v_lshl_or_b32 v18, v23, 9, v2
	s_and_b32 s5, s5, 0xffff
	s_mov_b32 s7, 0x20000
	s_movk_i32 s6, 0x4000
	s_movk_i32 s0, 0x80
	buffer_load_dwordx4 v[2:5], v18, s[4:7], 0 offen
	buffer_load_dwordx4 v[6:9], v18, s[4:7], 0 offen offset:256
	buffer_load_dwordx4 v[10:13], v18, s[4:7], s0 offen
	buffer_load_dwordx4 v[14:17], v18, s[4:7], s0 offen offset:256
.LBB496_58:
	ds_read_b64 v[20:21], v25 offset:32768
	v_add_u32_e32 v18, 0xb000, v24
	ds_read2_b64 v[32:35], v18 offset1:16
	ds_read_b64 v[42:43], v26 offset:32768
	ds_read_b64 v[26:27], v27 offset:32768
	;; [unrolled: 1-line block ×3, first 2 shown]
	v_and_b32_e32 v18, 6, v0
	v_xor_b32_e32 v23, v23, v18
	v_lshlrev_b32_e32 v23, 2, v23
	v_and_b32_e32 v0, 1, v0
	v_xor_b32_e32 v28, 0x440, v23
	v_cmp_eq_u32_e32 vcc, 0, v0
	s_waitcnt lgkmcnt(3)
	v_mfma_f32_16x16x16_bf16 a[0:3], v[20:21], v[32:33], a[0:3]
	s_mov_b32 s0, 0x1000504
	v_cndmask_b32_e32 v0, v28, v23, vcc
	v_lshl_or_b32 v0, v18, 10, v0
	v_mfma_f32_16x16x16_bf16 a[4:7], v[20:21], v[34:35], a[4:7]
	ds_read2st64_b64 v[32:35], v24 offset0:90 offset1:92
	ds_read2st64_b64 v[36:39], v29 offset0:90 offset1:92
	ds_read_b64 v[20:21], v24 offset:48128
	ds_read_b64 v[24:25], v29 offset:48128
	s_waitcnt vmcnt(0)
	v_perm_b32 v18, v2, v6, s0
	s_waitcnt lgkmcnt(3)
	v_mfma_f32_16x16x16_bf16 a[0:3], v[42:43], v[32:33], a[0:3]
	s_mov_b32 s1, 0x3020706
	v_perm_b32 v2, v2, v6, s1
	v_perm_b32 v6, v10, v14, s1
	s_waitcnt lgkmcnt(2)
	v_mfma_f32_16x16x16_bf16 a[4:7], v[42:43], v[36:37], a[4:7]
	v_mfma_f32_16x16x16_bf16 a[0:3], v[26:27], v[34:35], a[0:3]
	;; [unrolled: 1-line block ×3, first 2 shown]
	s_waitcnt lgkmcnt(1)
	v_mfma_f32_16x16x16_bf16 a[4:7], v[44:45], v[20:21], a[0:3]
	v_perm_b32 v20, v10, v14, s0
	ds_write2st64_b32 v0, v18, v20 offset0:32 offset1:64
	v_xor_b32_e32 v18, 8, v0
	v_add_u32_e32 v10, 0x80, v18
	ds_write2st64_b32 v10, v2, v6 offset0:32 offset1:64
	v_xor_b32_e32 v2, 16, v0
	v_perm_b32 v6, v3, v7, s0
	v_perm_b32 v10, v11, v15, s0
	ds_write2st64_b32 v2, v6, v10 offset0:33 offset1:65
	v_xor_b32_e32 v2, 24, v0
	v_perm_b32 v3, v3, v7, s1
	v_perm_b32 v6, v11, v15, s1
	v_add_u32_e32 v2, 0x80, v2
	ds_write2st64_b32 v2, v3, v6 offset0:33 offset1:65
	v_xor_b32_e32 v2, 32, v0
	v_perm_b32 v3, v4, v8, s0
	v_perm_b32 v6, v12, v16, s0
	ds_write2st64_b32 v2, v3, v6 offset0:34 offset1:66
	v_xor_b32_e32 v2, 40, v0
	s_waitcnt lgkmcnt(5)
	v_mfma_f32_16x16x16_bf16 a[0:3], v[44:45], v[24:25], a[8:11]
	v_perm_b32 v3, v4, v8, s1
	v_perm_b32 v4, v12, v16, s1
	v_add_u32_e32 v2, 0x80, v2
	ds_write2st64_b32 v2, v3, v4 offset0:34 offset1:66
	v_xor_b32_e32 v2, 48, v0
	v_perm_b32 v3, v5, v9, s0
	v_perm_b32 v4, v13, v17, s0
	ds_write2st64_b32 v2, v3, v4 offset0:35 offset1:67
	v_xor_b32_e32 v0, 56, v0
	v_perm_b32 v3, v13, v17, s1
	v_and_or_b32 v17, v30, 12, v1
	v_perm_b32 v2, v5, v9, s1
	v_add_u32_e32 v0, 0x80, v0
	v_cmp_gt_i32_e32 vcc, s41, v17
	v_mov_b32_e32 v14, 0
	v_mov_b32_e32 v16, 0
	ds_write2st64_b32 v0, v2, v3 offset0:35 offset1:67
	s_and_saveexec_b64 s[0:1], vcc
	s_cbranch_execz .LBB496_60
; %bb.59:
	v_add_u32_e32 v0, s40, v17
	v_ashrrev_i32_e32 v1, 31, v0
	v_mul_lo_u32 v2, v1, s28
	v_mul_lo_u32 v3, v0, s29
	v_mad_u64_u32 v[0:1], s[2:3], v0, s28, 0
	v_add3_u32 v1, v1, v3, v2
	v_lshl_add_u64 v[0:1], v[0:1], 2, s[10:11]
	global_load_dword v0, v[0:1], off
	s_waitcnt vmcnt(0)
	v_sub_f32_e32 v0, s12, v0
	v_mul_f32_e32 v0, 0x3fb8aa3b, v0
	v_exp_f32_e32 v16, v0
.LBB496_60:
	s_or_b64 exec, exec, s[0:1]
	v_or_b32_e32 v8, 1, v17
	v_cmp_gt_i32_e64 s[0:1], s41, v8
	s_and_saveexec_b64 s[2:3], s[0:1]
	s_cbranch_execz .LBB496_62
; %bb.61:
	v_add_u32_e32 v0, s40, v8
	v_ashrrev_i32_e32 v1, 31, v0
	v_mul_lo_u32 v2, v1, s28
	v_mul_lo_u32 v3, v0, s29
	v_mad_u64_u32 v[0:1], s[4:5], v0, s28, 0
	v_add3_u32 v1, v1, v3, v2
	v_lshl_add_u64 v[0:1], v[0:1], 2, s[10:11]
	global_load_dword v0, v[0:1], off
	s_waitcnt vmcnt(0)
	v_sub_f32_e32 v0, s12, v0
	v_mul_f32_e32 v0, 0x3fb8aa3b, v0
	v_exp_f32_e32 v14, v0
.LBB496_62:
	s_or_b64 exec, exec, s[2:3]
	v_or_b32_e32 v10, 2, v17
	v_cmp_gt_i32_e64 s[2:3], s41, v10
	v_mov_b32_e32 v15, 0
	v_mov_b32_e32 v18, 0
	s_and_saveexec_b64 s[4:5], s[2:3]
	s_cbranch_execz .LBB496_64
; %bb.63:
	v_add_u32_e32 v0, s40, v10
	v_ashrrev_i32_e32 v1, 31, v0
	v_mul_lo_u32 v2, v1, s28
	v_mul_lo_u32 v3, v0, s29
	v_mad_u64_u32 v[0:1], s[6:7], v0, s28, 0
	v_add3_u32 v1, v1, v3, v2
	v_lshl_add_u64 v[0:1], v[0:1], 2, s[10:11]
	global_load_dword v0, v[0:1], off
	s_waitcnt vmcnt(0)
	v_sub_f32_e32 v0, s12, v0
	v_mul_f32_e32 v0, 0x3fb8aa3b, v0
	v_exp_f32_e32 v18, v0
.LBB496_64:
	s_or_b64 exec, exec, s[4:5]
	v_or_b32_e32 v12, 3, v17
	v_cmp_gt_i32_e64 s[4:5], s41, v12
	s_and_saveexec_b64 s[6:7], s[4:5]
	s_cbranch_execz .LBB496_66
; %bb.65:
	v_add_u32_e32 v0, s40, v12
	v_ashrrev_i32_e32 v1, 31, v0
	v_mul_lo_u32 v2, v1, s28
	v_mul_lo_u32 v3, v0, s29
	v_mad_u64_u32 v[0:1], s[14:15], v0, s28, 0
	v_add3_u32 v1, v1, v3, v2
	v_lshl_add_u64 v[0:1], v[0:1], 2, s[10:11]
	global_load_dword v0, v[0:1], off
	s_waitcnt vmcnt(0)
	v_sub_f32_e32 v0, s12, v0
	v_mul_f32_e32 v0, 0x3fb8aa3b, v0
	v_exp_f32_e32 v15, v0
.LBB496_66:
	s_or_b64 exec, exec, s[6:7]
	v_or_b32_e32 v4, s30, v40
	s_add_u32 s6, s8, s24
	v_accvgpr_read_b32 v0, a4
	s_addc_u32 s7, s9, s25
	v_ashrrev_i32_e32 v5, 31, v4
	v_accvgpr_read_b32 v1, a5
	v_accvgpr_read_b32 v2, a6
	;; [unrolled: 1-line block ×3, first 2 shown]
	v_lshl_add_u64 v[4:5], v[4:5], 1, s[6:7]
	v_mov_b32_e32 v9, 0
	v_lshlrev_b32_e32 v6, 8, v17
	v_mov_b32_e32 v7, 0
	s_and_saveexec_b64 s[6:7], vcc
	s_cbranch_execz .LBB496_68
; %bb.67:
	v_mov_b32_e32 v7, 0
	v_lshl_add_u64 v[20:21], v[4:5], 0, v[6:7]
	global_load_ushort v7, v[20:21], off
	s_waitcnt vmcnt(0)
	v_lshlrev_b32_e32 v7, 16, v7
	v_sub_f32_e32 v0, v7, v0
	v_mul_f32_e32 v0, v16, v0
	v_lshrrev_b32_e32 v7, 16, v0
.LBB496_68:
	s_or_b64 exec, exec, s[6:7]
	v_lshlrev_b32_e32 v8, 8, v8
	s_and_saveexec_b64 s[6:7], s[0:1]
	s_cbranch_execz .LBB496_70
; %bb.69:
	v_mov_b32_e32 v9, 0
	v_lshl_add_u64 v[20:21], v[4:5], 0, v[8:9]
	global_load_ushort v0, v[20:21], off
	s_waitcnt vmcnt(0)
	v_lshlrev_b32_e32 v0, 16, v0
	v_sub_f32_e32 v0, v0, v1
	v_mul_f32_e32 v0, v14, v0
	v_lshrrev_b32_e32 v9, 16, v0
.LBB496_70:
	s_or_b64 exec, exec, s[6:7]
	v_mov_b32_e32 v13, 0
	v_lshlrev_b32_e32 v10, 8, v10
	v_mov_b32_e32 v11, 0
	s_and_saveexec_b64 s[6:7], s[2:3]
	s_cbranch_execz .LBB496_72
; %bb.71:
	v_mov_b32_e32 v11, 0
	v_lshl_add_u64 v[0:1], v[4:5], 0, v[10:11]
	global_load_ushort v0, v[0:1], off
	s_waitcnt vmcnt(0)
	v_lshlrev_b32_e32 v0, 16, v0
	v_sub_f32_e32 v0, v0, v2
	v_mul_f32_e32 v0, v18, v0
	v_lshrrev_b32_e32 v11, 16, v0
.LBB496_72:
	s_or_b64 exec, exec, s[6:7]
	v_lshlrev_b32_e32 v12, 8, v12
	s_and_saveexec_b64 s[6:7], s[4:5]
	s_cbranch_execz .LBB496_74
; %bb.73:
	v_mov_b32_e32 v13, 0
	v_lshl_add_u64 v[0:1], v[4:5], 0, v[12:13]
	global_load_ushort v0, v[0:1], off
	s_waitcnt vmcnt(0)
	v_lshlrev_b32_e32 v0, 16, v0
	v_sub_f32_e32 v0, v0, v3
	v_mul_f32_e32 v0, v15, v0
	v_lshrrev_b32_e32 v13, 16, v0
.LBB496_74:
	s_or_b64 exec, exec, s[6:7]
	v_lshlrev_b32_e32 v17, 5, v17
	s_mov_b32 s6, 0x5040100
	v_perm_b32 v20, v9, v7, s6
	v_or_b32_e32 v7, v17, v22
	v_accvgpr_read_b32 v0, a0
	v_perm_b32 v21, v13, v11, s6
	v_lshlrev_b32_e32 v7, 1, v7
	v_accvgpr_read_b32 v1, a1
	v_accvgpr_read_b32 v2, a2
	v_accvgpr_read_b32 v3, a3
	ds_write_b64 v7, v[20:21] offset:45056
	v_mov_b32_e32 v9, 0
	v_mov_b32_e32 v7, 0
	s_and_saveexec_b64 s[6:7], vcc
	s_cbranch_execz .LBB496_76
; %bb.75:
	v_mov_b32_e32 v7, 0
	v_lshl_add_u64 v[6:7], v[4:5], 0, v[6:7]
	global_load_ushort v6, v[6:7], off offset:32
	s_waitcnt vmcnt(0)
	v_lshlrev_b32_e32 v6, 16, v6
	v_sub_f32_e32 v0, v6, v0
	v_mul_f32_e32 v0, v16, v0
	v_lshrrev_b32_e32 v7, 16, v0
.LBB496_76:
	s_or_b64 exec, exec, s[6:7]
	s_and_saveexec_b64 s[6:7], s[0:1]
	s_cbranch_execz .LBB496_78
; %bb.77:
	v_mov_b32_e32 v9, 0
	v_lshl_add_u64 v[8:9], v[4:5], 0, v[8:9]
	global_load_ushort v0, v[8:9], off offset:32
	s_waitcnt vmcnt(0)
	v_lshlrev_b32_e32 v0, 16, v0
	v_sub_f32_e32 v0, v0, v1
	v_mul_f32_e32 v0, v14, v0
	v_lshrrev_b32_e32 v9, 16, v0
.LBB496_78:
	s_or_b64 exec, exec, s[6:7]
	v_mov_b32_e32 v0, 0
	v_mov_b32_e32 v1, 0
	s_and_saveexec_b64 s[0:1], s[2:3]
	s_cbranch_execz .LBB496_80
; %bb.79:
	v_mov_b32_e32 v11, 0
	v_lshl_add_u64 v[10:11], v[4:5], 0, v[10:11]
	global_load_ushort v1, v[10:11], off offset:32
	s_waitcnt vmcnt(0)
	v_lshlrev_b32_e32 v1, 16, v1
	v_sub_f32_e32 v1, v1, v2
	v_mul_f32_e32 v1, v18, v1
	v_lshrrev_b32_e32 v1, 16, v1
.LBB496_80:
	s_or_b64 exec, exec, s[0:1]
	s_and_saveexec_b64 s[0:1], s[4:5]
	s_cbranch_execz .LBB496_82
; %bb.81:
	v_mov_b32_e32 v13, 0
	v_lshl_add_u64 v[4:5], v[4:5], 0, v[12:13]
	global_load_ushort v0, v[4:5], off offset:32
	s_waitcnt vmcnt(0)
	v_lshlrev_b32_e32 v0, 16, v0
	v_sub_f32_e32 v0, v0, v3
	v_mul_f32_e32 v0, v15, v0
	v_lshrrev_b32_e32 v0, 16, v0
.LBB496_82:
	s_or_b64 exec, exec, s[0:1]
	s_mov_b32 s0, 0x5040100
	v_or_b32_e32 v2, v17, v19
	v_perm_b32 v1, v0, v1, s0
	v_perm_b32 v0, v9, v7, s0
	v_lshlrev_b32_e32 v2, 1, v2
	ds_write_b64 v2, v[0:1] offset:45056
	s_waitcnt lgkmcnt(0)
	s_barrier
.LBB496_83:
	s_endpgm
	.section	.rodata,"a",@progbits
	.p2align	6, 0x0
	.amdhsa_kernel _ZN12_GLOBAL__N_139chunk_gated_delta_rule_fwd_h_hip_kernelILi32ELb0ELb0ELb0ELb0ELb0ELb0ELb1ELb0EEEvPK12hip_bfloat16S3_S3_PKfS5_PKvPS1_S8_PvPKiSB_iiiiilll
		.amdhsa_group_segment_fixed_size 49152
		.amdhsa_private_segment_fixed_size 0
		.amdhsa_kernarg_size 136
		.amdhsa_user_sgpr_count 2
		.amdhsa_user_sgpr_dispatch_ptr 0
		.amdhsa_user_sgpr_queue_ptr 0
		.amdhsa_user_sgpr_kernarg_segment_ptr 1
		.amdhsa_user_sgpr_dispatch_id 0
		.amdhsa_user_sgpr_kernarg_preload_length 0
		.amdhsa_user_sgpr_kernarg_preload_offset 0
		.amdhsa_user_sgpr_private_segment_size 0
		.amdhsa_uses_dynamic_stack 0
		.amdhsa_enable_private_segment 0
		.amdhsa_system_sgpr_workgroup_id_x 1
		.amdhsa_system_sgpr_workgroup_id_y 1
		.amdhsa_system_sgpr_workgroup_id_z 0
		.amdhsa_system_sgpr_workgroup_info 0
		.amdhsa_system_vgpr_workitem_id 0
		.amdhsa_next_free_vgpr 152
		.amdhsa_next_free_sgpr 62
		.amdhsa_accum_offset 132
		.amdhsa_reserve_vcc 1
		.amdhsa_float_round_mode_32 0
		.amdhsa_float_round_mode_16_64 0
		.amdhsa_float_denorm_mode_32 3
		.amdhsa_float_denorm_mode_16_64 3
		.amdhsa_dx10_clamp 1
		.amdhsa_ieee_mode 1
		.amdhsa_fp16_overflow 0
		.amdhsa_tg_split 0
		.amdhsa_exception_fp_ieee_invalid_op 0
		.amdhsa_exception_fp_denorm_src 0
		.amdhsa_exception_fp_ieee_div_zero 0
		.amdhsa_exception_fp_ieee_overflow 0
		.amdhsa_exception_fp_ieee_underflow 0
		.amdhsa_exception_fp_ieee_inexact 0
		.amdhsa_exception_int_div_zero 0
	.end_amdhsa_kernel
	.section	.text._ZN12_GLOBAL__N_139chunk_gated_delta_rule_fwd_h_hip_kernelILi32ELb0ELb0ELb0ELb0ELb0ELb0ELb1ELb0EEEvPK12hip_bfloat16S3_S3_PKfS5_PKvPS1_S8_PvPKiSB_iiiiilll,"axG",@progbits,_ZN12_GLOBAL__N_139chunk_gated_delta_rule_fwd_h_hip_kernelILi32ELb0ELb0ELb0ELb0ELb0ELb0ELb1ELb0EEEvPK12hip_bfloat16S3_S3_PKfS5_PKvPS1_S8_PvPKiSB_iiiiilll,comdat
.Lfunc_end496:
	.size	_ZN12_GLOBAL__N_139chunk_gated_delta_rule_fwd_h_hip_kernelILi32ELb0ELb0ELb0ELb0ELb0ELb0ELb1ELb0EEEvPK12hip_bfloat16S3_S3_PKfS5_PKvPS1_S8_PvPKiSB_iiiiilll, .Lfunc_end496-_ZN12_GLOBAL__N_139chunk_gated_delta_rule_fwd_h_hip_kernelILi32ELb0ELb0ELb0ELb0ELb0ELb0ELb1ELb0EEEvPK12hip_bfloat16S3_S3_PKfS5_PKvPS1_S8_PvPKiSB_iiiiilll
                                        ; -- End function
	.section	.AMDGPU.csdata,"",@progbits
; Kernel info:
; codeLenInByte = 8492
; NumSgprs: 68
; NumVgprs: 132
; NumAgprs: 20
; TotalNumVgprs: 152
; ScratchSize: 0
; MemoryBound: 0
; FloatMode: 240
; IeeeMode: 1
; LDSByteSize: 49152 bytes/workgroup (compile time only)
; SGPRBlocks: 8
; VGPRBlocks: 18
; NumSGPRsForWavesPerEU: 68
; NumVGPRsForWavesPerEU: 152
; AccumOffset: 132
; Occupancy: 1
; WaveLimiterHint : 1
; COMPUTE_PGM_RSRC2:SCRATCH_EN: 0
; COMPUTE_PGM_RSRC2:USER_SGPR: 2
; COMPUTE_PGM_RSRC2:TRAP_HANDLER: 0
; COMPUTE_PGM_RSRC2:TGID_X_EN: 1
; COMPUTE_PGM_RSRC2:TGID_Y_EN: 1
; COMPUTE_PGM_RSRC2:TGID_Z_EN: 0
; COMPUTE_PGM_RSRC2:TIDIG_COMP_CNT: 0
; COMPUTE_PGM_RSRC3_GFX90A:ACCUM_OFFSET: 32
; COMPUTE_PGM_RSRC3_GFX90A:TG_SPLIT: 0
	.section	.text._ZN12_GLOBAL__N_139chunk_gated_delta_rule_fwd_h_hip_kernelILi32ELb1ELb1ELb1ELb1ELb0ELb0ELb0ELb0EEEvPK12hip_bfloat16S3_S3_PKfS5_PKvPS1_S8_PvPKiSB_iiiiilll,"axG",@progbits,_ZN12_GLOBAL__N_139chunk_gated_delta_rule_fwd_h_hip_kernelILi32ELb1ELb1ELb1ELb1ELb0ELb0ELb0ELb0EEEvPK12hip_bfloat16S3_S3_PKfS5_PKvPS1_S8_PvPKiSB_iiiiilll,comdat
	.globl	_ZN12_GLOBAL__N_139chunk_gated_delta_rule_fwd_h_hip_kernelILi32ELb1ELb1ELb1ELb1ELb0ELb0ELb0ELb0EEEvPK12hip_bfloat16S3_S3_PKfS5_PKvPS1_S8_PvPKiSB_iiiiilll ; -- Begin function _ZN12_GLOBAL__N_139chunk_gated_delta_rule_fwd_h_hip_kernelILi32ELb1ELb1ELb1ELb1ELb0ELb0ELb0ELb0EEEvPK12hip_bfloat16S3_S3_PKfS5_PKvPS1_S8_PvPKiSB_iiiiilll
	.p2align	8
	.type	_ZN12_GLOBAL__N_139chunk_gated_delta_rule_fwd_h_hip_kernelILi32ELb1ELb1ELb1ELb1ELb0ELb0ELb0ELb0EEEvPK12hip_bfloat16S3_S3_PKfS5_PKvPS1_S8_PvPKiSB_iiiiilll,@function
_ZN12_GLOBAL__N_139chunk_gated_delta_rule_fwd_h_hip_kernelILi32ELb1ELb1ELb1ELb1ELb0ELb0ELb0ELb0EEEvPK12hip_bfloat16S3_S3_PKfS5_PKvPS1_S8_PvPKiSB_iiiiilll: ; @_ZN12_GLOBAL__N_139chunk_gated_delta_rule_fwd_h_hip_kernelILi32ELb1ELb1ELb1ELb1ELb0ELb0ELb0ELb0EEEvPK12hip_bfloat16S3_S3_PKfS5_PKvPS1_S8_PvPKiSB_iiiiilll
; %bb.0:
	s_load_dwordx4 s[20:23], s[0:1], 0x5c
	s_load_dwordx4 s[4:7], s[0:1], 0x48
	s_abs_i32 s9, s3
	s_ashr_i32 s8, s3, 31
	v_and_b32_e32 v68, 15, v0
	s_waitcnt lgkmcnt(0)
	s_abs_i32 s10, s21
	v_cvt_f32_u32_e32 v1, s10
	s_sub_i32 s12, 0, s10
	s_ashr_i32 s11, s21, 31
	s_xor_b32 s8, s8, s11
	v_rcp_iflag_f32_e32 v1, v1
	v_bfe_u32 v67, v0, 4, 2
	v_mov_b32_e32 v51, 0
	v_lshlrev_b32_e32 v69, 3, v0
	v_mul_f32_e32 v1, 0x4f7ffffe, v1
	v_cvt_u32_f32_e32 v1, v1
	s_nop 0
	v_readfirstlane_b32 s13, v1
	s_mul_i32 s12, s12, s13
	s_mul_hi_u32 s12, s13, s12
	s_add_i32 s13, s13, s12
	s_mul_hi_u32 s12, s9, s13
	s_mul_i32 s13, s12, s10
	s_sub_i32 s9, s9, s13
	s_add_i32 s14, s12, 1
	s_sub_i32 s13, s9, s10
	s_cmp_ge_u32 s9, s10
	s_cselect_b32 s12, s14, s12
	s_cselect_b32 s9, s13, s9
	s_add_i32 s13, s12, 1
	s_cmp_ge_u32 s9, s10
	s_cselect_b32 s9, s13, s12
	s_xor_b32 s9, s9, s8
	s_sub_i32 s24, s9, s8
	s_mul_i32 s12, s24, s21
	s_ashr_i32 s25, s24, 31
	s_sub_i32 s51, s3, s12
	s_lshl_b64 s[8:9], s[24:25], 2
	s_add_u32 s4, s4, s8
	s_addc_u32 s5, s5, s9
	s_add_u32 s26, s6, s8
	s_addc_u32 s27, s7, s9
	s_abs_i32 s3, s22
	v_cvt_f32_u32_e32 v1, s3
	s_load_dwordx2 s[38:39], s[4:5], 0x0
	s_sub_i32 s5, 0, s3
	s_lshl_b32 s2, s2, 5
	v_rcp_iflag_f32_e32 v1, v1
	v_or_b32_e32 v56, s2, v68
	s_waitcnt lgkmcnt(0)
	s_sub_i32 s54, s39, s38
	s_ashr_i32 s4, s54, 31
	v_mul_f32_e32 v1, 0x4f7ffffe, v1
	v_cvt_u32_f32_e32 v1, v1
	s_lshr_b32 s4, s4, 26
	s_add_i32 s4, s54, s4
	s_ashr_i32 s52, s4, 6
	v_readfirstlane_b32 s6, v1
	s_mul_i32 s5, s5, s6
	s_mul_hi_u32 s5, s6, s5
	s_add_i32 s6, s6, s5
	s_mul_hi_u32 s5, s10, s6
	s_mul_i32 s6, s5, s3
	s_ashr_i32 s4, s22, 31
	s_sub_i32 s6, s10, s6
	s_xor_b32 s4, s11, s4
	s_add_i32 s7, s5, 1
	s_sub_i32 s8, s6, s3
	s_cmp_ge_u32 s6, s3
	s_cselect_b32 s5, s7, s5
	s_cselect_b32 s6, s8, s6
	s_add_i32 s7, s5, 1
	s_cmp_ge_u32 s6, s3
	s_cselect_b32 s3, s7, s5
	s_xor_b32 s3, s3, s4
	s_sub_i32 s3, s3, s4
	s_abs_i32 s13, s3
	v_cvt_f32_u32_e32 v1, s13
	s_sub_i32 s15, 0, s13
	s_abs_i32 s14, s51
	s_xor_b32 s3, s51, s3
	v_rcp_iflag_f32_e32 v2, v1
	s_ashr_i32 s3, s3, 31
	s_load_dwordx8 s[4:11], s[0:1], 0x28
	v_lshrrev_b32_e32 v1, 6, v0
	v_mul_f32_e32 v2, 0x4f7ffffe, v2
	v_cvt_u32_f32_e32 v2, v2
	v_lshlrev_b32_e32 v66, 4, v1
	v_lshlrev_b32_e32 v52, 7, v56
	v_lshl_or_b32 v71, v67, 2, v66
	v_readfirstlane_b32 s16, v2
	s_mul_i32 s15, s15, s16
	s_mul_hi_u32 s15, s16, s15
	s_add_i32 s16, s16, s15
	s_mul_hi_u32 s15, s14, s16
	s_mul_i32 s16, s15, s13
	s_sub_i32 s14, s14, s16
	s_add_i32 s16, s15, 1
	s_sub_i32 s17, s14, s13
	s_cmp_ge_u32 s14, s13
	s_cselect_b32 s15, s16, s15
	s_cselect_b32 s14, s17, s14
	s_add_i32 s16, s15, 1
	s_cmp_ge_u32 s14, s13
	s_cselect_b32 s13, s16, s15
	s_xor_b32 s13, s13, s3
	s_sub_i32 s55, s13, s3
	s_ashr_i32 s53, s51, 31
	s_mul_hi_i32 s3, s24, s21
	s_add_u32 s12, s12, s51
	s_addc_u32 s13, s3, s53
	s_lshl_b64 s[34:35], s[12:13], 16
	s_waitcnt lgkmcnt(0)
	s_add_u32 s4, s4, s34
	s_addc_u32 s5, s5, s35
	v_ashrrev_i32_e32 v53, 31, v52
	v_lshl_add_u64 v[2:3], v[52:53], 2, s[4:5]
	v_lshlrev_b32_e32 v50, 2, v71
	v_or_b32_e32 v54, 0x800, v52
	v_lshl_add_u64 v[10:11], v[2:3], 0, v[50:51]
	v_ashrrev_i32_e32 v55, 31, v54
	global_load_dwordx4 v[2:5], v[10:11], off
	global_load_dwordx4 v[6:9], v[10:11], off offset:256
	v_lshl_add_u64 v[10:11], v[54:55], 2, s[4:5]
	v_lshl_add_u64 v[18:19], v[10:11], 0, v[50:51]
	global_load_dwordx4 v[10:13], v[18:19], off
	global_load_dwordx4 v[14:17], v[18:19], off offset:256
	s_load_dwordx8 s[12:19], s[0:1], 0x0
	s_load_dwordx2 s[36:37], s[0:1], 0x80
	s_load_dwordx4 s[28:31], s[0:1], 0x70
	s_load_dword s56, s[26:27], 0x0
	v_and_b32_e32 v51, 63, v0
	v_or_b32_e32 v72, 64, v71
	s_cmp_lt_i32 s54, 64
	s_mul_hi_i32 s57, s51, s20
	s_mul_i32 s58, s51, s20
	v_lshrrev_b32_e32 v70, 3, v51
	s_waitcnt lgkmcnt(0)
	s_mul_i32 s33, s24, s29
	s_mul_hi_u32 s47, s24, s28
	s_mul_i32 s48, s25, s28
	s_mul_i32 s40, s24, s28
	;; [unrolled: 1-line block ×3, first 2 shown]
	s_mul_hi_u32 s49, s51, s30
	s_mul_i32 s50, s53, s30
	s_mul_i32 s42, s51, s30
	s_cbranch_scc1 .LBB497_19
; %bb.1:
	s_ashr_i32 s1, s38, 31
	s_add_u32 s0, s58, s38
	s_addc_u32 s1, s57, s1
	s_lshl_b64 s[0:1], s[0:1], 8
	v_and_b32_e32 v74, 56, v69
	s_add_u32 s24, s14, s0
	v_lshl_or_b32 v73, v1, 3, v70
	v_lshlrev_b32_e32 v18, 1, v74
	s_addc_u32 s0, s15, s1
	v_lshl_or_b32 v75, v73, 8, v18
	s_and_b32 s25, s0, 0xffff
	s_mov_b32 s27, 0x20000
	s_movk_i32 s26, 0x4000
	s_movk_i32 s0, 0x80
	v_or_b32_e32 v76, 0x2000, v75
	buffer_load_dwordx4 v[20:23], v75, s[24:27], 0 offen
	buffer_load_dwordx4 v[24:27], v75, s[24:27], s0 offen
	;; [unrolled: 1-line block ×4, first 2 shown]
	v_lshlrev_b32_e32 v19, 3, v73
	v_and_or_b32 v37, v0, 7, v19
	v_and_b32_e32 v19, 0x78, v19
	v_lshlrev_b32_e32 v37, 4, v37
	v_xor_b32_e32 v77, v37, v19
	v_mul_lo_u32 v36, v73, s23
	v_or_b32_e32 v78, 0x1000, v77
	v_xor_b32_e32 v19, 8, v77
	s_cmpk_eq_i32 s23, 0x80
	s_mov_b32 s59, s38
	v_xor_b32_e32 v37, 8, v78
	s_cselect_b64 s[0:1], -1, 0
	s_cmpk_lg_i32 s23, 0x80
	s_waitcnt vmcnt(3)
	ds_write_b64 v77, v[20:21] offset:24576
	ds_write_b64 v19, v[22:23] offset:24576
	s_waitcnt vmcnt(2)
	ds_write_b64 v77, v[24:25] offset:32768
	ds_write_b64 v19, v[26:27] offset:32768
	;; [unrolled: 3-line block ×4, first 2 shown]
	v_lshl_add_u32 v19, v36, 1, v74
	s_cbranch_scc0 .LBB497_3
; %bb.2:
	v_lshlrev_b32_e32 v21, 1, v19
	v_add_lshl_u32 v20, v19, s23, 1
	s_lshl_b32 s26, s23, 7
	v_lshl_or_b32 v18, v73, 9, v18
	s_cbranch_execz .LBB497_4
	s_branch .LBB497_5
.LBB497_3:
                                        ; implicit-def: $vgpr20
                                        ; implicit-def: $vgpr21
                                        ; implicit-def: $sgpr26
	v_lshl_or_b32 v18, v73, 9, v18
.LBB497_4:
	v_or_b32_e32 v20, 0x100, v18
	s_movk_i32 s26, 0x4000
	v_mov_b32_e32 v21, v18
.LBB497_5:
	s_mul_i32 s4, s38, s22
	s_ashr_i32 s60, s55, 31
	s_mul_hi_i32 s3, s38, s22
	s_add_u32 s4, s4, s55
	s_addc_u32 s5, s3, s60
	s_lshl_b64 s[4:5], s[4:5], 8
	s_add_u32 s24, s12, s4
	s_addc_u32 s3, s13, s5
	s_and_b32 s25, s3, 0xffff
	s_movk_i32 s61, 0x80
	buffer_load_dwordx4 v[22:25], v21, s[24:27], 0 offen
	buffer_load_dwordx4 v[26:29], v21, s[24:27], s61 offen
	;; [unrolled: 1-line block ×4, first 2 shown]
	v_and_b32_e32 v20, 6, v0
	v_lshlrev_b32_e32 v39, 6, v71
	v_or_b32_e32 v41, 16, v68
	v_xor_b32_e32 v42, v73, v20
	v_and_b32_e32 v21, 1, v0
	v_lshl_or_b32 v45, v68, 3, v39
	v_lshl_or_b32 v39, v41, 3, v39
	v_lshlrev_b32_e32 v42, 2, v42
	v_lshlrev_b32_e32 v38, 2, v68
	v_or_b32_e32 v81, 0xa000, v39
	v_or_b32_e32 v82, 0xb000, v39
	v_xor_b32_e32 v39, 0x440, v42
	v_cmp_eq_u32_e32 vcc, 0, v21
	s_add_i32 s3, s47, s33
	v_xor_b32_e32 v43, v71, v38
	v_xor_b32_e32 v44, v72, v38
	v_cndmask_b32_e32 v21, v39, v42, vcc
	s_add_i32 s4, s49, s46
	s_add_i32 s41, s3, s48
	s_mov_b32 s62, 0x1000504
	v_lshlrev_b32_e32 v40, 8, v68
	v_lshlrev_b32_e32 v41, 8, v41
	;; [unrolled: 1-line block ×4, first 2 shown]
	v_lshl_or_b32 v20, v20, 10, v21
	s_add_i32 s43, s4, s50
	s_lshl_b64 s[4:5], s[40:41], 2
	s_mov_b32 s63, 0x3020706
	v_or_b32_e32 v79, 0xa000, v45
	v_or_b32_e32 v80, 0xb000, v45
	;; [unrolled: 1-line block ×5, first 2 shown]
	v_xor_b32_e32 v21, 8, v20
	v_xor_b32_e32 v40, 24, v20
	v_xor_b32_e32 v42, 40, v20
	v_xor_b32_e32 v44, 56, v20
	s_add_u32 s3, s18, s4
	v_or_b32_e32 v85, v41, v43
	v_xor_b32_e32 v39, 16, v20
	v_xor_b32_e32 v41, 32, v20
	;; [unrolled: 1-line block ×3, first 2 shown]
	v_add_u32_e32 v21, 0x80, v21
	v_add_u32_e32 v40, 0x80, v40
	;; [unrolled: 1-line block ×4, first 2 shown]
	s_addc_u32 s24, s19, s5
	s_lshl_b64 s[4:5], s[42:43], 2
	s_add_u32 s4, s3, s4
	s_movk_i32 s3, 0xf8
	s_addc_u32 s5, s24, s5
	s_lshl_b32 s30, s23, 7
	s_movk_i32 s28, 0x100
	v_mov_b32_e32 v59, 0
	v_lshlrev_b32_e32 v58, 4, v68
	v_cmp_gt_u32_e32 vcc, s28, v0
	v_ashrrev_i32_e32 v57, 31, v56
	s_mov_b32 s64, 0
	s_movk_i32 s41, 0x1000
	s_movk_i32 s26, 0x4000
	v_mov_b32_e32 v107, 0x3fb8aa3b
	s_waitcnt vmcnt(1)
	v_perm_b32 v45, v22, v30, s62
	s_waitcnt vmcnt(0)
	v_perm_b32 v46, v26, v34, s62
	v_perm_b32 v22, v22, v30, s63
	;; [unrolled: 1-line block ×15, first 2 shown]
	ds_write2st64_b32 v20, v45, v46 offset0:32 offset1:64
	ds_write2st64_b32 v21, v22, v26 offset0:32 offset1:64
	;; [unrolled: 1-line block ×8, first 2 shown]
	v_or_b32_e32 v20, v66, v68
	v_lshlrev_b32_e32 v20, 3, v20
	v_lshrrev_b32_e32 v23, 5, v51
	v_and_or_b32 v23, v20, s3, v23
	v_lshlrev_b32_e32 v23, 4, v23
	v_lshlrev_b32_e32 v21, 11, v1
	v_and_b32_e32 v20, 0x78, v20
	v_or_b32_e32 v28, 32, v23
	v_and_b32_e32 v22, 0x1000, v21
	v_lshrrev_b32_e32 v25, 1, v0
	v_xor_b32_e32 v28, v28, v20
	v_and_b32_e32 v26, 8, v25
	v_or_b32_e32 v28, v28, v22
	v_xor_b32_e32 v24, v23, v20
	v_xor_b32_e32 v89, v28, v26
	v_or_b32_e32 v28, 64, v23
	v_or_b32_e32 v23, 0x60, v23
	s_ashr_i32 s3, s2, 31
	v_xor_b32_e32 v28, v28, v20
	v_xor_b32_e32 v20, v23, v20
	s_lshl_b64 s[24:25], s[2:3], 8
	v_or_b32_e32 v24, v24, v22
	v_or_b32_e32 v28, v28, v22
	;; [unrolled: 1-line block ×3, first 2 shown]
	s_add_u32 s24, s6, s24
	v_lshlrev_b32_e32 v22, 1, v68
	v_xor_b32_e32 v91, v28, v26
	v_lshrrev_b32_e32 v28, 4, v0
	s_addc_u32 s25, s7, s25
	v_or_b32_e32 v23, 1, v22
	v_mov_b32_e32 v32, 0x4000
	v_mov_b32_e32 v33, 0x2000
	v_xor_b32_e32 v29, v28, v22
	v_xor_b32_e32 v30, v23, v28
	v_lshl_add_u64 v[22:23], s[24:25], 0, v[58:59]
	v_lshlrev_b32_e32 v58, 8, v28
	v_cndmask_b32_e32 v32, v32, v33, vcc
	v_lshlrev_b32_e32 v33, 3, v1
	v_and_b32_e32 v25, 24, v25
	v_lshl_or_b32 v95, v29, 3, v58
	v_and_b32_e32 v29, 8, v0
	v_xor_b32_e32 v34, v33, v25
	v_or_b32_e32 v35, 0x440, v34
	v_cmp_eq_u32_e32 vcc, 0, v29
	v_and_b32_e32 v28, 7, v0
	v_xor_b32_e32 v87, v24, v26
	v_cndmask_b32_e32 v29, v35, v34, vcc
	v_lshlrev_b32_e32 v24, 7, v67
	v_lshl_or_b32 v96, v30, 3, v58
	v_lshlrev_b32_e32 v30, 3, v28
	v_lshlrev_b32_e32 v28, 7, v28
	;; [unrolled: 1-line block ×3, first 2 shown]
	v_or_b32_e32 v29, v29, v21
	v_or_b32_e32 v27, v24, v38
	v_xad_u32 v97, v29, v30, v28
	v_and_or_b32 v24, v31, 60, v24
	v_mov_b32_e32 v29, 0xb000
	v_lshl_or_b32 v98, v24, 1, v29
	v_or_b32_e32 v24, 32, v25
	v_xor_b32_e32 v24, v33, v24
	v_or_b32_e32 v29, 0x440, v24
	v_cndmask_b32_e32 v24, v29, v24, vcc
	v_or_b32_e32 v24, v24, v21
	v_xad_u32 v99, v24, v30, v28
	v_or_b32_e32 v24, 64, v25
	v_xor_b32_e32 v24, v33, v24
	v_xor_b32_e32 v29, 0x440, v24
	v_cndmask_b32_e32 v24, v29, v24, vcc
	v_or_b32_e32 v24, v24, v21
	v_xad_u32 v100, v24, v30, v28
	v_or_b32_e32 v24, 0x60, v25
	v_xor_b32_e32 v24, v33, v24
	v_xor_b32_e32 v25, 0x440, v24
	v_lshlrev_b32_e32 v27, 1, v27
	v_cndmask_b32_e32 v24, v25, v24, vcc
	v_or_b32_e32 v88, 0xa000, v27
	v_or_b32_e32 v90, 0xa080, v27
	v_xor_b32_e32 v92, v20, v26
	v_or_b32_e32 v93, 0xb000, v27
	v_or_b32_e32 v94, 0xb080, v27
	v_lshlrev_b32_e32 v26, 1, v19
	v_add_lshl_u32 v19, v19, s23, 1
	v_or_b32_e32 v27, 0x100, v18
	v_or_b32_e32 v21, v24, v21
	v_lshlrev_b32_e32 v20, 7, v71
	v_xad_u32 v101, v21, v30, v28
	v_cndmask_b32_e64 v102, v26, v18, s[0:1]
	v_cndmask_b32_e64 v103, v19, v27, s[0:1]
	v_lshlrev_b64 v[18:19], 1, v[56:57]
	v_lshl_add_u64 v[60:61], s[16:17], 0, v[18:19]
	v_lshl_add_u64 v[62:63], s[8:9], 0, v[18:19]
	;; [unrolled: 1-line block ×3, first 2 shown]
	s_mov_b32 s3, 0x7060302
	v_lshlrev_b32_e32 v58, 1, v20
	v_add_u32_e32 v57, v32, v97
	v_add_u32_e32 v104, v32, v99
	;; [unrolled: 1-line block ×4, first 2 shown]
	s_waitcnt lgkmcnt(0)
	s_barrier
.LBB497_6:                              ; =>This Inner Loop Header: Depth=1
	s_add_i32 s43, s64, 1
	s_cmp_lt_i32 s43, s52
	s_mov_b64 s[28:29], 0
	s_cselect_b64 s[44:45], -1, 0
	s_cmp_ge_i32 s43, s52
	s_mov_b64 s[24:25], 0
	s_cbranch_scc1 .LBB497_8
; %bb.7:                                ;   in Loop: Header=BB497_6 Depth=1
	s_add_i32 s0, s59, 64
	s_ashr_i32 s1, s0, 31
	s_add_u32 s0, s58, s0
	s_addc_u32 s1, s57, s1
	s_lshl_b64 s[0:1], s[0:1], 8
	s_add_u32 s24, s14, s0
	s_addc_u32 s25, s15, s1
.LBB497_8:                              ;   in Loop: Header=BB497_6 Depth=1
	v_cndmask_b32_e64 v18, 0, 1, s[44:45]
	v_cmp_ne_u32_e64 s[0:1], 1, v18
	s_andn2_b64 vcc, exec, s[44:45]
	s_cbranch_vccnz .LBB497_10
; %bb.9:                                ;   in Loop: Header=BB497_6 Depth=1
	s_add_i32 s28, s59, 64
	s_mul_hi_i32 s29, s28, s22
	s_mul_i32 s28, s28, s22
	s_add_u32 s28, s28, s55
	s_addc_u32 s29, s29, s60
	s_lshl_b64 s[28:29], s[28:29], 8
	s_add_u32 s28, s12, s28
	s_addc_u32 s29, s13, s29
.LBB497_10:                             ;   in Loop: Header=BB497_6 Depth=1
	v_perm_b32 v19, v5, v4, s3
	v_perm_b32 v18, v3, v2, s3
	;; [unrolled: 1-line block ×4, first 2 shown]
	ds_write_b64 v79, v[18:19]
	ds_write_b64 v80, v[20:21]
	;; [unrolled: 1-line block ×4, first 2 shown]
	v_perm_b32 v19, v13, v12, s3
	v_perm_b32 v18, v11, v10, s3
	;; [unrolled: 1-line block ×4, first 2 shown]
	ds_write_b64 v81, v[18:19]
	ds_write_b64 v82, v[20:21]
	;; [unrolled: 1-line block ×4, first 2 shown]
	s_waitcnt lgkmcnt(0)
	s_barrier
	ds_read_b64 v[22:23], v87 offset:24576
	ds_read2_b64 v[18:21], v88 offset1:16
	ds_read_b64 v[26:27], v90 offset:3072
	ds_read_b64 v[28:29], v88 offset:3072
	;; [unrolled: 1-line block ×3, first 2 shown]
	s_waitcnt lgkmcnt(3)
	v_mfma_f32_16x16x16_bf16 a[0:3], v[22:23], v[18:19], 0
	s_add_i32 s31, s59, 63
	s_ashr_i32 s44, s31, 31
	s_mul_i32 s45, s31, s37
	v_mfma_f32_16x16x16_bf16 a[4:7], v[22:23], v[20:21], 0
	ds_read2st64_b64 v[18:21], v88 offset0:2 offset1:4
	s_mul_hi_u32 s65, s31, s36
	s_add_i32 s45, s65, s45
	s_waitcnt lgkmcnt(0)
	v_mfma_f32_16x16x16_bf16 a[0:3], v[30:31], v[18:19], a[0:3]
	ds_read2st64_b64 v[22:25], v90 offset0:2 offset1:4
	ds_read_b64 v[18:19], v91 offset:24576
	s_mul_i32 s44, s44, s36
	s_add_i32 s45, s45, s44
	s_waitcnt lgkmcnt(1)
	v_mfma_f32_16x16x16_bf16 a[4:7], v[30:31], v[22:23], a[4:7]
	ds_read_b64 v[22:23], v92 offset:24576
	s_mul_i32 s44, s31, s36
	s_lshl_b64 s[44:45], s[44:45], 2
	s_waitcnt lgkmcnt(1)
	v_mfma_f32_16x16x16_bf16 a[0:3], v[18:19], v[20:21], a[0:3]
	s_add_u32 s44, s4, s44
	s_addc_u32 s45, s5, s45
	s_and_b64 vcc, exec, s[0:1]
	v_mfma_f32_16x16x16_bf16 a[8:11], v[18:19], v[24:25], a[4:7]
	v_mov_b32_e32 v110, 0
	v_mov_b32_e32 v109, 0
	;; [unrolled: 1-line block ×3, first 2 shown]
	s_waitcnt lgkmcnt(0)
	v_mfma_f32_16x16x16_bf16 a[4:7], v[22:23], v[28:29], a[0:3]
	v_mov_b32_e32 v18, 0
	v_mov_b32_e32 v19, 0
	;; [unrolled: 1-line block ×3, first 2 shown]
	v_mfma_f32_16x16x16_bf16 a[0:3], v[22:23], v[26:27], a[8:11]
	v_mov_b32_e32 v21, 0
	v_mov_b32_e32 v22, 0
	;; [unrolled: 1-line block ×13, first 2 shown]
	s_cbranch_vccnz .LBB497_12
; %bb.11:                               ;   in Loop: Header=BB497_6 Depth=1
	s_and_b32 s25, s25, 0xffff
	buffer_load_dwordx4 v[30:33], v75, s[24:27], 0 offen
	buffer_load_dwordx4 v[26:29], v75, s[24:27], s61 offen
	;; [unrolled: 1-line block ×4, first 2 shown]
	v_mov_b32_e32 v109, v77
	v_mov_b32_e32 v108, v78
.LBB497_12:                             ;   in Loop: Header=BB497_6 Depth=1
	ds_read_b64 v[42:43], v87 offset:32768
	ds_read2_b64 v[34:37], v93 offset1:16
	ds_read_b64 v[44:45], v89 offset:32768
	ds_read_b64 v[46:47], v91 offset:32768
	;; [unrolled: 1-line block ×3, first 2 shown]
	v_add_u32_e32 v111, s59, v71
	s_waitcnt lgkmcnt(3)
	v_mfma_f32_16x16x16_bf16 a[4:7], v[42:43], v[34:35], a[4:7]
	v_ashrrev_i32_e32 v34, 31, v111
	ds_read2st64_b64 v[38:41], v93 offset0:2 offset1:4
	v_mfma_f32_16x16x16_bf16 a[0:3], v[42:43], v[36:37], a[0:3]
	v_mul_lo_u32 v36, v34, s36
	v_mul_lo_u32 v37, v111, s37
	v_mad_u64_u32 v[34:35], s[24:25], v111, s36, 0
	v_add3_u32 v35, v35, v37, v36
	v_add_u32_e32 v36, 1, v111
	v_ashrrev_i32_e32 v37, 31, v36
	v_mul_lo_u32 v42, v37, s36
	v_mul_lo_u32 v43, v36, s37
	v_mad_u64_u32 v[36:37], s[24:25], v36, s36, 0
	v_add3_u32 v37, v37, v43, v42
	v_add_u32_e32 v42, 2, v111
	v_ashrrev_i32_e32 v43, 31, v42
	v_mul_lo_u32 v112, v43, s36
	v_mul_lo_u32 v113, v42, s37
	v_mad_u64_u32 v[42:43], s[24:25], v42, s36, 0
	v_add_u32_e32 v111, 3, v111
	v_add3_u32 v43, v43, v113, v112
	v_ashrrev_i32_e32 v112, 31, v111
	v_mul_lo_u32 v114, v112, s36
	v_mad_u64_u32 v[112:113], s[24:25], v111, s36, 0
	v_mul_lo_u32 v115, v111, s37
	s_ashr_i32 s25, s59, 31
	v_add3_u32 v113, v113, v115, v114
	s_add_u32 s24, s58, s59
	v_lshl_add_u64 v[34:35], v[34:35], 2, s[4:5]
	v_lshl_add_u64 v[112:113], v[112:113], 2, s[4:5]
	s_addc_u32 s25, s57, s25
	v_lshl_add_u64 v[36:37], v[36:37], 2, s[4:5]
	v_lshl_add_u64 v[42:43], v[42:43], 2, s[4:5]
	global_load_dword v111, v[34:35], off
	global_load_dword v114, v[36:37], off
	;; [unrolled: 1-line block ×3, first 2 shown]
	s_nop 0
	global_load_dword v112, v[112:113], off
	s_lshl_b64 s[66:67], s[24:25], 8
	v_lshl_add_u64 v[34:35], v[60:61], 0, s[66:67]
	v_lshl_add_u64 v[42:43], v[34:35], 0, v[58:59]
	global_load_ushort v113, v[42:43], off offset:256
	global_load_ushort v116, v[42:43], off
	ds_read2st64_b64 v[34:37], v94 offset0:2 offset1:4
	global_load_ushort v117, v[42:43], off offset:768
	global_load_ushort v118, v[42:43], off offset:512
	global_load_ushort v119, v[42:43], off offset:800
	global_load_ushort v120, v[42:43], off offset:544
	global_load_ushort v121, v[42:43], off offset:288
	global_load_ushort v122, v[42:43], off offset:32
	s_waitcnt lgkmcnt(1)
	v_mfma_f32_16x16x16_bf16 a[4:7], v[44:45], v[38:39], a[4:7]
	s_and_b64 vcc, exec, s[0:1]
	s_waitcnt vmcnt(7)
	v_lshlrev_b32_e32 v43, 16, v113
	s_waitcnt lgkmcnt(0)
	v_mfma_f32_16x16x16_bf16 a[0:3], v[44:45], v[34:35], a[0:3]
	v_mfma_f32_16x16x16_bf16 a[4:7], v[46:47], v[40:41], a[4:7]
	;; [unrolled: 1-line block ×3, first 2 shown]
	ds_read_b64 v[34:35], v93 offset:3072
	ds_read_b64 v[36:37], v94 offset:3072
	s_load_dword s24, s[44:45], 0x0
	s_waitcnt lgkmcnt(0)
	v_sub_f32_e32 v42, s24, v111
	v_mfma_f32_16x16x16_bf16 a[4:7], v[48:49], v[34:35], a[4:7]
	v_sub_f32_e32 v45, s24, v114
	v_sub_f32_e32 v46, s24, v115
	;; [unrolled: 1-line block ×3, first 2 shown]
	v_mul_f32_e32 v44, 0x3fb8aa3b, v42
	v_mul_f32_e32 v45, 0x3fb8aa3b, v45
	;; [unrolled: 1-line block ×4, first 2 shown]
	v_mfma_f32_16x16x16_bf16 a[0:3], v[48:49], v[36:37], a[0:3]
	v_accvgpr_read_b32 v41, a5
	v_exp_f32_e32 v44, v44
	v_exp_f32_e32 v45, v45
	;; [unrolled: 1-line block ×4, first 2 shown]
	v_accvgpr_read_b32 v40, a4
	s_waitcnt vmcnt(6)
	v_lshlrev_b32_e32 v42, 16, v116
	v_lshl_add_u64 v[34:35], v[62:63], 0, s[66:67]
	v_accvgpr_read_b32 v37, a7
	v_accvgpr_read_b32 v36, a6
	v_pk_add_f32 v[40:41], v[42:43], v[40:41] neg_lo:[0,1] neg_hi:[0,1]
	s_waitcnt vmcnt(5)
	v_lshlrev_b32_e32 v43, 16, v117
	s_waitcnt vmcnt(4)
	v_lshlrev_b32_e32 v42, 16, v118
	v_lshl_add_u64 v[34:35], v[34:35], 0, v[58:59]
	v_pk_add_f32 v[36:37], v[42:43], v[36:37] neg_lo:[0,1] neg_hi:[0,1]
	global_store_short_d16_hi v[34:35], v40, off
	global_store_short_d16_hi v[34:35], v41, off offset:256
	global_store_short_d16_hi v[34:35], v36, off offset:512
	;; [unrolled: 1-line block ×3, first 2 shown]
	v_pk_mul_f32 v[40:41], v[44:45], v[40:41]
	v_pk_mul_f32 v[36:37], v[46:47], v[36:37]
	v_accvgpr_read_b32 v43, a1
	v_perm_b32 v37, v37, v36, s3
	v_perm_b32 v36, v41, v40, s3
	s_waitcnt vmcnt(5)
	v_lshlrev_b32_e32 v41, 16, v121
	s_waitcnt vmcnt(4)
	v_lshlrev_b32_e32 v40, 16, v122
	v_accvgpr_read_b32 v42, a0
	v_accvgpr_read_b32 v39, a3
	;; [unrolled: 1-line block ×3, first 2 shown]
	v_pk_add_f32 v[40:41], v[40:41], v[42:43] neg_lo:[0,1] neg_hi:[0,1]
	v_lshlrev_b32_e32 v43, 16, v119
	v_lshlrev_b32_e32 v42, 16, v120
	v_pk_add_f32 v[38:39], v[42:43], v[38:39] neg_lo:[0,1] neg_hi:[0,1]
	global_store_short_d16_hi v[34:35], v40, off offset:32
	global_store_short_d16_hi v[34:35], v41, off offset:288
	;; [unrolled: 1-line block ×4, first 2 shown]
	v_pk_mul_f32 v[34:35], v[44:45], v[40:41]
	v_pk_mul_f32 v[38:39], v[46:47], v[38:39]
	v_mov_b32_e32 v111, 0
	v_perm_b32 v39, v39, v38, s3
	v_perm_b32 v38, v35, v34, s3
	ds_write2_b64 v80, v[36:37], v[38:39] offset1:16
	v_mov_b32_e32 v34, 0
	v_mov_b32_e32 v35, 0
	;; [unrolled: 1-line block ×16, first 2 shown]
	s_cbranch_vccnz .LBB497_14
; %bb.13:                               ;   in Loop: Header=BB497_6 Depth=1
	s_and_b32 s29, s29, 0xffff
	s_mov_b32 s31, s27
	buffer_load_dwordx4 v[46:49], v102, s[28:31], 0 offen
	buffer_load_dwordx4 v[38:41], v102, s[28:31], s61 offen
	;; [unrolled: 1-line block ×4, first 2 shown]
	v_mov_b32_e32 v110, v74
	v_mov_b32_e32 v111, v73
.LBB497_14:                             ;   in Loop: Header=BB497_6 Depth=1
	s_waitcnt lgkmcnt(0)
	s_barrier
	ds_read_b64 v[116:117], v57
	ds_read_b64 v[124:125], v98
	;; [unrolled: 1-line block ×5, first 2 shown]
	ds_read_b64 v[130:131], v99 offset:16384
	ds_read_b64 v[132:133], v97 offset:16384
	ds_read2_b64 v[112:115], v93 offset0:16 offset1:128
	s_waitcnt lgkmcnt(6)
	v_mfma_f32_16x16x16_bf16 a[0:3], v[116:117], v[124:125], 0
	ds_read_b64 v[134:135], v94 offset:3072
	ds_read_b64 v[136:137], v101 offset:16384
	s_add_i32 s25, s56, s64
	s_waitcnt lgkmcnt(2)
	v_mfma_f32_16x16x16_bf16 a[4:7], v[116:117], v[112:113], 0
	ds_read2st64_b64 v[116:119], v94 offset0:2 offset1:4
	s_mul_hi_i32 s29, s25, s21
	s_mul_i32 s25, s25, s21
	v_mfma_f32_16x16x16_bf16 a[0:3], v[120:121], v[114:115], a[0:3]
	s_add_u32 s28, s25, s51
	s_addc_u32 s29, s29, s53
	s_lshl_b64 s[28:29], s[28:29], 15
	s_waitcnt lgkmcnt(0)
	v_mfma_f32_16x16x16_bf16 a[4:7], v[120:121], v[116:117], a[4:7]
	ds_read2st64_b64 v[120:123], v93 offset0:4 offset1:6
	s_waitcnt lgkmcnt(0)
	v_mfma_f32_16x16x16_bf16 a[0:3], v[126:127], v[120:121], a[0:3]
	v_mfma_f32_16x16x16_bf16 a[8:11], v[126:127], v[118:119], a[4:7]
	v_mfma_f32_16x16x16_bf16 a[4:7], v[128:129], v[122:123], a[0:3]
	v_mfma_f32_16x16x16_bf16 a[0:3], v[128:129], v[134:135], a[8:11]
	v_mfma_f32_16x16x16_bf16 a[8:11], v[132:133], v[124:125], 0
	ds_read2st64_b64 v[124:127], v96 offset1:8
	v_mfma_f32_16x16x16_bf16 a[12:15], v[132:133], v[112:113], 0
	ds_read_b64 v[132:133], v100 offset:16384
	v_mfma_f32_16x16x16_bf16 a[8:11], v[130:131], v[114:115], a[8:11]
	ds_read2st64_b64 v[112:115], v95 offset1:8
	s_waitcnt lgkmcnt(0)
	v_mov_b32_e32 v128, v112
	v_mfma_f32_16x16x16_bf16 a[12:15], v[130:131], v[116:117], a[12:15]
	v_lshl_add_u64 v[116:117], v[64:65], 0, s[28:29]
	v_add_co_u32_e32 v112, vcc, s41, v116
	v_mfma_f32_16x16x16_bf16 a[8:11], v[132:133], v[120:121], a[8:11]
	v_mov_b32_e32 v129, v113
	v_addc_co_u32_e32 v113, vcc, 0, v117, vcc
	v_mfma_f32_16x16x16_bf16 a[12:15], v[132:133], v[118:119], a[12:15]
	v_mov_b32_e32 v130, v124
	v_mov_b32_e32 v131, v125
	;; [unrolled: 1-line block ×3, first 2 shown]
	v_mfma_f32_16x16x16_bf16 a[8:11], v[136:137], v[122:123], a[8:11]
	v_mov_b32_e32 v125, v115
	s_and_b64 vcc, exec, s[0:1]
	global_store_dwordx4 v[116:117], v[128:131], off
	v_mfma_f32_16x16x16_bf16 a[12:15], v[136:137], v[134:135], a[12:15]
	global_store_dwordx4 v[112:113], v[124:127], off
	s_cbranch_vccnz .LBB497_16
; %bb.15:                               ;   in Loop: Header=BB497_6 Depth=1
	v_lshrrev_b32_e32 v112, 3, v110
	v_and_b32_e32 v112, 6, v112
	v_xor_b32_e32 v111, v112, v111
	v_lshlrev_b32_e32 v111, 2, v111
	v_and_b32_e32 v110, 8, v110
	v_xor_b32_e32 v113, 0x440, v111
	v_cmp_eq_u32_e32 vcc, 0, v110
	s_barrier
	s_nop 0
	v_cndmask_b32_e32 v110, v113, v111, vcc
	v_lshl_or_b32 v110, v112, 10, v110
	s_waitcnt vmcnt(3)
	v_perm_b32 v111, v46, v42, s62
	s_waitcnt vmcnt(2)
	v_perm_b32 v112, v38, v34, s62
	ds_write2st64_b32 v110, v111, v112 offset0:32 offset1:64
	v_xor_b32_e32 v111, 8, v110
	v_perm_b32 v42, v46, v42, s63
	v_perm_b32 v34, v38, v34, s63
	v_add_u32_e32 v38, 0x80, v111
	ds_write2st64_b32 v38, v42, v34 offset0:32 offset1:64
	v_xor_b32_e32 v34, 16, v110
	v_perm_b32 v38, v47, v43, s62
	v_perm_b32 v42, v39, v35, s62
	ds_write2st64_b32 v34, v38, v42 offset0:33 offset1:65
	v_xor_b32_e32 v34, 24, v110
	v_perm_b32 v38, v47, v43, s63
	v_perm_b32 v35, v39, v35, s63
	v_add_u32_e32 v34, 0x80, v34
	ds_write2st64_b32 v34, v38, v35 offset0:33 offset1:65
	v_xor_b32_e32 v34, 32, v110
	v_perm_b32 v35, v48, v44, s62
	;; [unrolled: 9-line block ×3, first 2 shown]
	v_perm_b32 v36, v41, v37, s62
	ds_write2st64_b32 v34, v35, v36 offset0:35 offset1:67
	v_xor_b32_e32 v34, 56, v110
	v_perm_b32 v35, v49, v45, s63
	v_perm_b32 v36, v41, v37, s63
	v_add_u32_e32 v34, 0x80, v34
	ds_write2st64_b32 v34, v35, v36 offset0:35 offset1:67
	ds_write_b64 v109, v[30:31] offset:24576
	v_xor_b32_e32 v30, 8, v109
	ds_write_b64 v30, v[32:33] offset:24576
	ds_write_b64 v109, v[26:27] offset:32768
	;; [unrolled: 1-line block ×4, first 2 shown]
	v_xor_b32_e32 v22, 8, v108
	ds_write_b64 v22, v[24:25] offset:24576
	ds_write_b64 v108, v[18:19] offset:32768
	;; [unrolled: 1-line block ×3, first 2 shown]
.LBB497_16:                             ;   in Loop: Header=BB497_6 Depth=1
	v_mul_f32_e32 v18, s24, v107
	s_waitcnt vmcnt(2)
	v_exp_f32_e32 v34, v18
	v_accvgpr_read_b32 v33, a7
	v_accvgpr_read_b32 v25, a3
	;; [unrolled: 1-line block ×16, first 2 shown]
	s_add_i32 s59, s59, 64
	v_fma_f32 v2, v2, v34, v30
	v_fma_f32 v3, v3, v34, v31
	v_fma_f32 v4, v4, v34, v32
	v_fmac_f32_e32 v33, v5, v34
	v_fma_f32 v10, v10, v34, v22
	v_fma_f32 v11, v11, v34, v23
	v_fma_f32 v12, v12, v34, v24
	v_fmac_f32_e32 v25, v13, v34
	;; [unrolled: 4-line block ×3, first 2 shown]
	v_fma_f32 v14, v14, v34, v18
	v_fma_f32 v15, v15, v34, v19
	;; [unrolled: 1-line block ×3, first 2 shown]
	s_cmp_eq_u32 s52, s43
	v_fmac_f32_e32 v21, v17, v34
	s_cbranch_scc1 .LBB497_18
; %bb.17:                               ;   in Loop: Header=BB497_6 Depth=1
	s_mov_b32 s64, s43
	v_mov_b32_e32 v5, v33
	v_mov_b32_e32 v9, v29
	;; [unrolled: 1-line block ×4, first 2 shown]
	s_branch .LBB497_6
.LBB497_18:
	v_mov_b32_e32 v5, v33
	v_mov_b32_e32 v9, v29
	;; [unrolled: 1-line block ×4, first 2 shown]
.LBB497_19:
	s_lshl_b32 s30, s52, 6
	s_sub_i32 s31, s54, s30
	s_cmp_gt_i32 s31, 0
	s_cbranch_scc0 .LBB497_84
; %bb.20:
	s_add_i32 s30, s30, s38
	s_ashr_i32 s3, s30, 31
	s_cmpk_lg_i32 s23, 0x80
	s_cselect_b64 s[26:27], -1, 0
	s_and_b64 vcc, exec, s[26:27]
	s_cbranch_vccz .LBB497_22
; %bb.21:
	s_mul_i32 s1, s30, s22
	s_ashr_i32 s4, s55, 31
	s_mul_hi_i32 s0, s30, s22
	s_add_u32 s28, s1, s55
	s_addc_u32 s29, s0, s4
	s_cbranch_execz .LBB497_23
	s_branch .LBB497_24
.LBB497_22:
                                        ; implicit-def: $sgpr28_sgpr29
.LBB497_23:
	s_mul_i32 s1, s55, s20
	s_mul_hi_i32 s0, s55, s20
	s_add_u32 s28, s1, s30
	s_addc_u32 s29, s0, s3
.LBB497_24:
	s_add_i32 s4, s52, s56
	s_add_u32 s0, s58, s30
	v_lshlrev_b32_e32 v22, 5, v71
	v_lshlrev_b32_e32 v38, 2, v68
	s_addc_u32 s1, s57, s3
	s_mov_b32 s3, 0x7060302
	v_or_b32_e32 v25, v22, v38
	v_xor_b32_e32 v23, v71, v38
	s_waitcnt vmcnt(3)
	v_perm_b32 v19, v5, v4, s3
	v_perm_b32 v18, v3, v2, s3
	s_waitcnt vmcnt(2)
	v_perm_b32 v21, v9, v8, s3
	v_perm_b32 v20, v7, v6, s3
	v_lshlrev_b32_e32 v25, 1, v25
	v_xor_b32_e32 v24, v72, v38
	ds_write2st64_b64 v25, v[18:19], v[20:21] offset0:80 offset1:88
	v_lshlrev_b32_e32 v23, 1, v23
	v_lshlrev_b32_e32 v25, 8, v68
	s_lshl_b64 s[24:25], s[0:1], 8
	v_or_b32_e32 v26, v23, v25
	v_lshlrev_b32_e32 v24, 1, v24
	s_add_u32 s0, s14, s24
	ds_write_b64 v26, v[18:19]
	v_or_b32_e32 v18, v24, v25
	s_addc_u32 s1, s15, s25
	ds_write_b64 v18, v[20:21]
	s_waitcnt vmcnt(1)
	v_perm_b32 v19, v13, v12, s3
	v_perm_b32 v18, v11, v10, s3
	s_waitcnt vmcnt(0)
	v_perm_b32 v21, v17, v16, s3
	v_perm_b32 v20, v15, v14, s3
	v_or_b32_e32 v25, 16, v68
	s_mul_hi_i32 s3, s4, s21
	s_mul_i32 s4, s4, s21
	v_lshlrev_b32_e32 v35, 2, v25
	s_add_u32 s4, s4, s51
	v_or_b32_e32 v22, v22, v35
	s_addc_u32 s5, s3, s53
	v_lshlrev_b32_e32 v22, 1, v22
	s_ashr_i32 s3, s2, 31
	s_lshl_b64 s[4:5], s[4:5], 15
	ds_write2st64_b64 v22, v[18:19], v[20:21] offset0:80 offset1:88
	v_lshlrev_b32_e32 v22, 8, v25
	s_add_u32 s4, s6, s4
	v_or_b32_e32 v23, v23, v22
	s_addc_u32 s5, s7, s5
	s_lshl_b64 s[2:3], s[2:3], 8
	ds_write_b64 v23, v[18:19]
	v_or_b32_e32 v18, v24, v22
	s_add_u32 s2, s4, s2
	ds_write_b64 v18, v[20:21]
	v_lshrrev_b32_e32 v18, 4, v0
	s_addc_u32 s3, s5, s3
	v_lshlrev_b32_e32 v19, 1, v68
	v_lshlrev_b32_e32 v26, 4, v68
	v_mov_b32_e32 v27, 0
	v_or_b32_e32 v20, 1, v19
	v_xor_b32_e32 v19, v18, v19
	v_lshl_add_u64 v[28:29], s[2:3], 0, v[26:27]
	v_lshlrev_b32_e32 v26, 8, v18
	v_xor_b32_e32 v22, v20, v18
	v_lshl_or_b32 v18, v19, 3, v26
	s_waitcnt lgkmcnt(0)
	s_barrier
	ds_read2st64_b64 v[18:21], v18 offset1:8
	v_lshl_or_b32 v22, v22, 3, v26
	ds_read2st64_b64 v[22:25], v22 offset1:8
	v_lshl_add_u64 v[30:31], v[28:29], 0, v[26:27]
	s_movk_i32 s2, 0x1000
	s_waitcnt lgkmcnt(1)
	v_mov_b32_e32 v26, v18
	v_add_co_u32_e32 v18, vcc, s2, v30
	s_cmp_lg_u32 s31, 64
	v_mov_b32_e32 v27, v19
	v_addc_co_u32_e32 v19, vcc, 0, v31, vcc
	s_cselect_b64 s[14:15], -1, 0
	v_lshl_or_b32 v42, v1, 3, v70
	s_waitcnt lgkmcnt(0)
	v_mov_b32_e32 v28, v22
	v_mov_b32_e32 v29, v23
	;; [unrolled: 1-line block ×4, first 2 shown]
	s_mov_b32 s4, 0
	v_or_b32_e32 v36, 32, v42
	v_and_b32_e32 v34, 56, v69
	s_and_b64 vcc, exec, s[14:15]
	global_store_dwordx4 v[30:31], v[26:29], off
	global_store_dwordx4 v[18:19], v[22:25], off
	s_cbranch_vccz .LBB497_30
; %bb.25:
	s_mov_b32 s6, s4
	s_mov_b32 s7, s4
	s_mov_b32 s5, s4
	v_mov_b64_e32 v[24:25], s[6:7]
	v_mov_b64_e32 v[22:23], s[4:5]
	;; [unrolled: 1-line block ×3, first 2 shown]
	v_cmp_gt_i32_e32 vcc, s31, v42
	v_mov_b64_e32 v[20:21], v[24:25]
	s_and_saveexec_b64 s[2:3], vcc
	s_cbranch_execz .LBB497_27
; %bb.26:
	v_lshlrev_b32_e32 v18, 8, v42
	v_mov_b32_e32 v19, 0
	v_lshl_add_u64 v[20:21], s[0:1], 0, v[18:19]
	v_lshlrev_b32_e32 v18, 1, v34
	v_lshl_add_u64 v[26:27], v[20:21], 0, v[18:19]
	global_load_dwordx4 v[22:25], v[26:27], off
	global_load_dwordx4 v[18:21], v[26:27], off offset:128
.LBB497_27:
	s_or_b64 exec, exec, s[2:3]
	s_mov_b32 s6, s4
	s_mov_b32 s7, s4
	s_mov_b32 s5, s4
	v_mov_b64_e32 v[32:33], s[6:7]
	v_mov_b64_e32 v[30:31], s[4:5]
	;; [unrolled: 1-line block ×3, first 2 shown]
	v_cmp_gt_i32_e32 vcc, s31, v36
	v_lshlrev_b32_e32 v37, 7, v36
	v_mov_b64_e32 v[28:29], v[32:33]
	s_and_saveexec_b64 s[2:3], vcc
	s_cbranch_execz .LBB497_29
; %bb.28:
	v_lshlrev_b32_e32 v26, 1, v37
	v_mov_b32_e32 v27, 0
	v_lshl_add_u64 v[28:29], s[0:1], 0, v[26:27]
	v_lshlrev_b32_e32 v26, 1, v34
	v_lshl_add_u64 v[40:41], v[28:29], 0, v[26:27]
	global_load_dwordx4 v[30:33], v[40:41], off
	global_load_dwordx4 v[26:29], v[40:41], off offset:128
.LBB497_29:
	s_or_b64 exec, exec, s[2:3]
	v_lshrrev_b32_e32 v39, 3, v34
	v_lshlrev_b32_e32 v40, 3, v42
	v_or_b32_e32 v39, v40, v39
	v_lshlrev_b32_e32 v39, 4, v39
	v_and_b32_e32 v40, 0x78, v40
	v_xor_b32_e32 v39, v39, v40
	s_branch .LBB497_32
.LBB497_30:
                                        ; implicit-def: $vgpr39
                                        ; implicit-def: $vgpr37
                                        ; implicit-def: $vgpr22_vgpr23_vgpr24_vgpr25
                                        ; implicit-def: $vgpr18_vgpr19_vgpr20_vgpr21
                                        ; implicit-def: $vgpr30_vgpr31_vgpr32_vgpr33
                                        ; implicit-def: $vgpr26_vgpr27_vgpr28_vgpr29
	s_cbranch_execz .LBB497_32
; %bb.31:
	s_waitcnt vmcnt(0)
	v_lshlrev_b32_e32 v18, 1, v34
	v_lshl_or_b32 v37, v42, 8, v18
	s_and_b32 s1, s1, 0xffff
	s_mov_b32 s3, 0x20000
	s_movk_i32 s2, 0x4000
	v_lshl_or_b32 v39, v36, 8, v18
	s_movk_i32 s4, 0x80
	buffer_load_dwordx4 v[22:25], v37, s[0:3], 0 offen
	buffer_load_dwordx4 v[18:21], v37, s[0:3], s4 offen
	;; [unrolled: 1-line block ×4, first 2 shown]
	v_lshrrev_b32_e32 v37, 3, v34
	v_lshlrev_b32_e32 v39, 3, v42
	v_or_b32_e32 v37, v39, v37
	v_lshlrev_b32_e32 v37, 4, v37
	v_and_b32_e32 v39, 0x78, v39
	v_xor_b32_e32 v39, v37, v39
	v_lshlrev_b32_e32 v37, 7, v36
.LBB497_32:
	s_lshl_b64 s[0:1], s[28:29], 8
	s_add_u32 s4, s12, s0
	s_movk_i32 s0, 0x1000
	v_and_or_b32 v36, v37, s0, v39
	s_waitcnt vmcnt(1)
	ds_write_b64 v39, v[22:23] offset:24576
	v_xor_b32_e32 v22, 8, v39
	ds_write_b64 v22, v[24:25] offset:24576
	s_waitcnt vmcnt(0)
	ds_write_b64 v39, v[18:19] offset:32768
	ds_write_b64 v22, v[20:21] offset:32768
	;; [unrolled: 1-line block ×3, first 2 shown]
	v_xor_b32_e32 v18, 8, v36
	ds_write_b64 v18, v[32:33] offset:24576
	ds_write_b64 v36, v[26:27] offset:32768
	ds_write_b64 v18, v[28:29] offset:32768
	v_or_b32_e32 v18, v66, v68
	v_lshlrev_b32_e32 v18, 3, v18
	v_lshrrev_b32_e32 v19, 5, v51
	s_movk_i32 s3, 0xf8
	v_and_or_b32 v19, v18, s3, v19
	v_lshlrev_b32_e32 v23, 4, v19
	v_lshlrev_b32_e32 v39, 11, v1
	v_and_b32_e32 v24, 0x78, v18
	v_or_b32_e32 v26, 32, v23
	v_and_b32_e32 v22, 0x1000, v39
	v_lshrrev_b32_e32 v19, 1, v51
	v_xor_b32_e32 v26, v26, v24
	v_xor_b32_e32 v18, v23, v24
	v_and_b32_e32 v25, 8, v19
	v_or_b32_e32 v26, v26, v22
	v_or_b32_e32 v18, v18, v22
	v_xor_b32_e32 v44, v26, v25
	v_or_b32_e32 v26, 64, v23
	v_xor_b32_e32 v43, v18, v25
	v_xor_b32_e32 v26, v26, v24
	s_waitcnt lgkmcnt(0)
	s_barrier
	v_or_b32_e32 v28, v26, v22
	ds_read_b64 v[26:27], v43 offset:24576
	v_lshl_or_b32 v36, v67, 7, v38
	v_lshlrev_b32_e32 v40, 1, v36
	v_add_u32_e32 v18, 0xa000, v40
	ds_read2_b64 v[18:21], v18 offset1:16
	v_or_b32_e32 v23, 0x60, v23
	v_xor_b32_e32 v23, v23, v24
	s_waitcnt lgkmcnt(0)
	v_mfma_f32_16x16x16_bf16 a[0:3], v[26:27], v[18:19], 0
	v_or_b32_e32 v18, 64, v36
	v_or_b32_e32 v22, v23, v22
	v_lshlrev_b32_e32 v41, 1, v18
	v_xor_b32_e32 v45, v28, v25
	v_xor_b32_e32 v46, v22, v25
	ds_read_b64 v[28:29], v44 offset:24576
	ds_read_b64 v[30:31], v45 offset:24576
	ds_read_b64 v[32:33], v46 offset:24576
	v_mfma_f32_16x16x16_bf16 a[4:7], v[26:27], v[20:21], 0
	ds_read2st64_b64 v[18:21], v41 offset0:82 offset1:84
	ds_read2st64_b64 v[22:25], v40 offset0:82 offset1:84
	s_addc_u32 s5, s13, s1
	s_add_i32 s1, s47, s33
	s_add_i32 s0, s39, -1
	s_add_i32 s41, s1, s48
	s_add_i32 s1, s49, s46
	;; [unrolled: 1-line block ×3, first 2 shown]
	s_ashr_i32 s1, s0, 31
	s_mul_i32 s2, s0, s37
	s_mul_hi_u32 s3, s0, s36
	s_add_i32 s2, s3, s2
	s_mul_i32 s1, s1, s36
	s_waitcnt lgkmcnt(1)
	v_mfma_f32_16x16x16_bf16 a[4:7], v[28:29], v[18:19], a[4:7]
	s_add_i32 s1, s2, s1
	s_lshl_b64 s[2:3], s[40:41], 2
	s_add_u32 s6, s18, s2
	s_waitcnt lgkmcnt(0)
	v_mfma_f32_16x16x16_bf16 a[0:3], v[28:29], v[22:23], a[0:3]
	s_addc_u32 s7, s19, s3
	s_lshl_b64 s[2:3], s[42:43], 2
	s_mul_i32 s0, s0, s36
	s_add_u32 s12, s6, s2
	ds_read_b64 v[18:19], v40 offset:44032
	v_mfma_f32_16x16x16_bf16 a[4:7], v[30:31], v[20:21], a[4:7]
	ds_read_b64 v[20:21], v41 offset:44032
	s_addc_u32 s13, s7, s3
	s_lshl_b64 s[0:1], s[0:1], 2
	v_mfma_f32_16x16x16_bf16 a[0:3], v[30:31], v[24:25], a[0:3]
	s_add_u32 s0, s12, s0
	s_addc_u32 s1, s13, s1
	s_load_dword s18, s[0:1], 0x0
	s_waitcnt lgkmcnt(0)
	v_mfma_f32_16x16x16_bf16 a[0:3], v[32:33], v[18:19], a[0:3]
	s_and_b64 vcc, exec, s[26:27]
	v_mfma_f32_16x16x16_bf16 a[4:7], v[32:33], v[20:21], a[4:7]
	s_cbranch_vccz .LBB497_43
; %bb.33:
	v_lshlrev_b32_e32 v36, 1, v42
	s_and_b64 vcc, exec, s[14:15]
	s_cbranch_vccz .LBB497_44
; %bb.34:
	v_cmp_gt_i32_e32 vcc, s31, v36
	v_mov_b32_e32 v22, 0
	v_mov_b32_e32 v18, 0
	;; [unrolled: 1-line block ×5, first 2 shown]
	s_and_saveexec_b64 s[0:1], vcc
	s_cbranch_execz .LBB497_36
; %bb.35:
	v_mad_i64_i32 v[18:19], s[2:3], s23, v36, 0
	v_lshl_add_u64 v[18:19], v[18:19], 1, s[4:5]
	v_lshlrev_b32_e32 v20, 1, v34
	v_mov_b32_e32 v21, 0
	v_lshl_add_u64 v[18:19], v[18:19], 0, v[20:21]
	global_load_dwordx4 v[18:21], v[18:19], off
.LBB497_36:
	s_or_b64 exec, exec, s[0:1]
	v_or_b32_e32 v37, 1, v36
	v_cmp_gt_i32_e64 s[0:1], s31, v37
	v_mov_b32_e32 v23, 0
	v_mov_b32_e32 v24, 0
	;; [unrolled: 1-line block ×3, first 2 shown]
	s_and_saveexec_b64 s[2:3], s[0:1]
	s_cbranch_execz .LBB497_38
; %bb.37:
	v_mad_i64_i32 v[22:23], s[6:7], s23, v37, 0
	v_lshl_add_u64 v[22:23], v[22:23], 1, s[4:5]
	v_lshlrev_b32_e32 v24, 1, v34
	v_mov_b32_e32 v25, 0
	v_lshl_add_u64 v[22:23], v[22:23], 0, v[24:25]
	global_load_dwordx4 v[22:25], v[22:23], off
.LBB497_38:
	s_or_b64 exec, exec, s[2:3]
	v_mov_b32_e32 v33, 0
	v_mov_b32_e32 v26, 0
	;; [unrolled: 1-line block ×5, first 2 shown]
	s_and_saveexec_b64 s[2:3], vcc
	s_cbranch_execz .LBB497_40
; %bb.39:
	v_mad_i64_i32 v[26:27], s[6:7], s23, v36, 0
	v_lshl_add_u64 v[26:27], v[26:27], 1, s[4:5]
	v_lshlrev_b32_e32 v28, 1, v34
	v_mov_b32_e32 v29, 0
	v_lshl_add_u64 v[26:27], v[26:27], 0, v[28:29]
	global_load_dwordx4 v[26:29], v[26:27], off offset:128
.LBB497_40:
	s_or_b64 exec, exec, s[2:3]
	v_mov_b32_e32 v32, 0
	v_mov_b32_e32 v31, 0
	;; [unrolled: 1-line block ×3, first 2 shown]
	s_and_saveexec_b64 s[2:3], s[0:1]
	s_cbranch_execz .LBB497_42
; %bb.41:
	v_mad_i64_i32 v[30:31], s[0:1], s23, v37, 0
	v_lshl_add_u64 v[30:31], v[30:31], 1, s[4:5]
	v_lshlrev_b32_e32 v32, 1, v34
	v_mov_b32_e32 v33, 0
	v_lshl_add_u64 v[30:31], v[30:31], 0, v[32:33]
	global_load_dwordx4 v[30:33], v[30:31], off offset:128
.LBB497_42:
	s_or_b64 exec, exec, s[2:3]
	s_branch .LBB497_46
.LBB497_43:
                                        ; implicit-def: $vgpr21
                                        ; implicit-def: $vgpr25
                                        ; implicit-def: $vgpr29
                                        ; implicit-def: $vgpr33
	v_lshrrev_b32_e32 v47, 2, v51
	s_branch .LBB497_47
.LBB497_44:
                                        ; implicit-def: $vgpr21
                                        ; implicit-def: $vgpr25
                                        ; implicit-def: $vgpr29
                                        ; implicit-def: $vgpr33
	s_cbranch_execz .LBB497_46
; %bb.45:
	s_waitcnt vmcnt(0)
	v_mad_u64_u32 v[18:19], s[0:1], v36, s23, v[34:35]
	v_lshlrev_b32_e32 v36, 1, v18
	s_lshl_b32 s2, s23, 7
	s_and_b32 s1, s5, 0xffff
	s_mov_b32 s3, 0x20000
	s_mov_b32 s0, s4
	v_add_lshl_u32 v37, v18, s23, 1
	s_movk_i32 s6, 0x80
	buffer_load_dwordx4 v[18:21], v36, s[0:3], 0 offen
	buffer_load_dwordx4 v[26:29], v36, s[0:3], s6 offen
	buffer_load_dwordx4 v[22:25], v37, s[0:3], 0 offen
	buffer_load_dwordx4 v[30:33], v37, s[0:3], s6 offen
.LBB497_46:
	v_lshrrev_b32_e32 v47, 2, v51
	s_cbranch_execnz .LBB497_59
.LBB497_47:
	s_and_b64 vcc, exec, s[14:15]
	s_cbranch_vccz .LBB497_57
; %bb.48:
	s_waitcnt vmcnt(0)
	v_lshlrev_b32_e32 v23, 1, v42
	v_cmp_gt_i32_e32 vcc, s31, v23
	v_mov_b32_e32 v22, 0
	v_lshlrev_b32_e32 v30, 9, v42
	v_mov_b32_e32 v18, 0
	v_mov_b32_e32 v19, 0
	;; [unrolled: 1-line block ×4, first 2 shown]
	s_and_saveexec_b64 s[0:1], vcc
	s_cbranch_execz .LBB497_50
; %bb.49:
	v_mov_b32_e32 v31, 0
	v_lshl_add_u64 v[18:19], s[4:5], 0, v[30:31]
	v_lshlrev_b32_e32 v20, 1, v34
	v_mov_b32_e32 v21, v31
	v_lshl_add_u64 v[18:19], v[18:19], 0, v[20:21]
	global_load_dwordx4 v[18:21], v[18:19], off
.LBB497_50:
	s_or_b64 exec, exec, s[0:1]
	v_or_b32_e32 v23, 1, v23
	v_cmp_gt_i32_e64 s[0:1], s31, v23
	v_lshlrev_b32_e32 v36, 8, v23
	v_mov_b32_e32 v23, 0
	v_mov_b32_e32 v24, 0
	;; [unrolled: 1-line block ×3, first 2 shown]
	s_and_saveexec_b64 s[2:3], s[0:1]
	s_cbranch_execz .LBB497_52
; %bb.51:
	v_mov_b32_e32 v37, 0
	v_lshl_add_u64 v[22:23], s[4:5], 0, v[36:37]
	v_lshlrev_b32_e32 v24, 1, v34
	v_mov_b32_e32 v25, v37
	v_lshl_add_u64 v[22:23], v[22:23], 0, v[24:25]
	global_load_dwordx4 v[22:25], v[22:23], off
.LBB497_52:
	s_or_b64 exec, exec, s[2:3]
	v_mov_b32_e32 v33, 0
	v_mov_b32_e32 v26, 0
	v_mov_b32_e32 v27, 0
	v_mov_b32_e32 v28, 0
	v_mov_b32_e32 v29, 0
	s_and_saveexec_b64 s[2:3], vcc
	s_cbranch_execz .LBB497_54
; %bb.53:
	v_mov_b32_e32 v31, 0
	v_lshl_add_u64 v[26:27], s[4:5], 0, v[30:31]
	v_lshlrev_b32_e32 v30, 1, v34
	v_lshl_add_u64 v[26:27], v[26:27], 0, v[30:31]
	global_load_dwordx4 v[26:29], v[26:27], off offset:128
.LBB497_54:
	s_or_b64 exec, exec, s[2:3]
	v_mov_b32_e32 v32, 0
	v_mov_b32_e32 v31, 0
	;; [unrolled: 1-line block ×3, first 2 shown]
	s_and_saveexec_b64 s[2:3], s[0:1]
	s_cbranch_execz .LBB497_56
; %bb.55:
	v_mov_b32_e32 v37, 0
	v_lshl_add_u64 v[30:31], s[4:5], 0, v[36:37]
	v_lshlrev_b32_e32 v36, 1, v34
	v_lshl_add_u64 v[30:31], v[30:31], 0, v[36:37]
	global_load_dwordx4 v[30:33], v[30:31], off offset:128
.LBB497_56:
	s_or_b64 exec, exec, s[2:3]
	s_branch .LBB497_59
.LBB497_57:
                                        ; implicit-def: $vgpr21
                                        ; implicit-def: $vgpr25
                                        ; implicit-def: $vgpr29
                                        ; implicit-def: $vgpr33
	s_cbranch_execz .LBB497_59
; %bb.58:
	s_waitcnt vmcnt(0)
	v_lshlrev_b32_e32 v18, 1, v34
	v_lshl_or_b32 v34, v42, 9, v18
	s_and_b32 s5, s5, 0xffff
	s_mov_b32 s7, 0x20000
	s_movk_i32 s6, 0x4000
	s_movk_i32 s0, 0x80
	buffer_load_dwordx4 v[18:21], v34, s[4:7], 0 offen
	buffer_load_dwordx4 v[22:25], v34, s[4:7], 0 offen offset:256
	buffer_load_dwordx4 v[26:29], v34, s[4:7], s0 offen
	buffer_load_dwordx4 v[30:33], v34, s[4:7], s0 offen offset:256
.LBB497_59:
	ds_read_b64 v[36:37], v43 offset:32768
	v_add_u32_e32 v34, 0xb000, v40
	ds_read2_b64 v[58:61], v34 offset1:16
	ds_read_b64 v[48:49], v44 offset:32768
	ds_read_b64 v[44:45], v45 offset:32768
	;; [unrolled: 1-line block ×3, first 2 shown]
	v_and_b32_e32 v34, 6, v0
	v_xor_b32_e32 v42, v42, v34
	v_lshlrev_b32_e32 v42, 2, v42
	v_and_b32_e32 v43, 1, v0
	v_xor_b32_e32 v46, 0x440, v42
	v_cmp_eq_u32_e32 vcc, 0, v43
	s_waitcnt lgkmcnt(3)
	v_mfma_f32_16x16x16_bf16 a[0:3], v[36:37], v[58:59], a[0:3]
	s_mov_b32 s0, 0x1000504
	v_cndmask_b32_e32 v42, v46, v42, vcc
	v_lshl_or_b32 v34, v34, 10, v42
	v_mfma_f32_16x16x16_bf16 a[4:7], v[36:37], v[60:61], a[4:7]
	ds_read2st64_b64 v[58:61], v40 offset0:90 offset1:92
	ds_read2st64_b64 v[62:65], v41 offset0:90 offset1:92
	s_waitcnt vmcnt(0)
	v_perm_b32 v42, v18, v22, s0
	s_mov_b32 s1, 0x3020706
	s_waitcnt lgkmcnt(1)
	v_mfma_f32_16x16x16_bf16 a[0:3], v[48:49], v[58:59], a[0:3]
	ds_read_b64 v[36:37], v40 offset:48128
	ds_read_b64 v[58:59], v41 offset:48128
	v_perm_b32 v18, v18, v22, s1
	v_perm_b32 v22, v26, v30, s1
	s_waitcnt lgkmcnt(2)
	v_mfma_f32_16x16x16_bf16 a[4:7], v[48:49], v[62:63], a[4:7]
	v_and_or_b32 v43, v47, 12, v66
	v_cmp_gt_i32_e32 vcc, s31, v43
	v_mfma_f32_16x16x16_bf16 a[0:3], v[44:45], v[60:61], a[0:3]
	v_mfma_f32_16x16x16_bf16 a[8:11], v[44:45], v[64:65], a[4:7]
	s_waitcnt lgkmcnt(1)
	v_mfma_f32_16x16x16_bf16 a[4:7], v[68:69], v[36:37], a[0:3]
	v_perm_b32 v36, v26, v30, s0
	ds_write2st64_b32 v34, v42, v36 offset0:32 offset1:64
	v_xor_b32_e32 v36, 8, v34
	v_add_u32_e32 v26, 0x80, v36
	ds_write2st64_b32 v26, v18, v22 offset0:32 offset1:64
	v_xor_b32_e32 v18, 16, v34
	v_perm_b32 v22, v19, v23, s0
	v_perm_b32 v26, v27, v31, s0
	ds_write2st64_b32 v18, v22, v26 offset0:33 offset1:65
	v_xor_b32_e32 v18, 24, v34
	v_perm_b32 v19, v19, v23, s1
	v_perm_b32 v22, v27, v31, s1
	v_add_u32_e32 v18, 0x80, v18
	ds_write2st64_b32 v18, v19, v22 offset0:33 offset1:65
	v_xor_b32_e32 v18, 32, v34
	v_perm_b32 v19, v20, v24, s0
	v_perm_b32 v22, v28, v32, s0
	ds_write2st64_b32 v18, v19, v22 offset0:34 offset1:66
	v_xor_b32_e32 v18, 40, v34
	s_waitcnt lgkmcnt(5)
	v_mfma_f32_16x16x16_bf16 a[0:3], v[68:69], v[58:59], a[8:11]
	v_perm_b32 v19, v20, v24, s1
	v_perm_b32 v20, v28, v32, s1
	v_add_u32_e32 v18, 0x80, v18
	ds_write2st64_b32 v18, v19, v20 offset0:34 offset1:66
	v_xor_b32_e32 v18, 48, v34
	v_perm_b32 v19, v21, v25, s0
	v_perm_b32 v20, v29, v33, s0
	ds_write2st64_b32 v18, v19, v20 offset0:35 offset1:67
	v_xor_b32_e32 v18, 56, v34
	v_perm_b32 v19, v21, v25, s1
	v_perm_b32 v20, v29, v33, s1
	v_add_u32_e32 v18, 0x80, v18
	v_mov_b32_e32 v34, 0
	v_mov_b32_e32 v37, 0
	ds_write2st64_b32 v18, v19, v20 offset0:35 offset1:67
	s_and_saveexec_b64 s[0:1], vcc
	s_cbranch_execz .LBB497_61
; %bb.60:
	v_add_u32_e32 v18, s30, v43
	v_ashrrev_i32_e32 v19, 31, v18
	v_mul_lo_u32 v20, v19, s36
	v_mul_lo_u32 v21, v18, s37
	v_mad_u64_u32 v[18:19], s[2:3], v18, s36, 0
	v_add3_u32 v19, v19, v21, v20
	v_lshl_add_u64 v[18:19], v[18:19], 2, s[12:13]
	global_load_dword v18, v[18:19], off
	s_waitcnt vmcnt(0)
	v_sub_f32_e32 v18, s18, v18
	v_mul_f32_e32 v18, 0x3fb8aa3b, v18
	v_exp_f32_e32 v37, v18
.LBB497_61:
	s_or_b64 exec, exec, s[0:1]
	v_or_b32_e32 v29, 1, v43
	v_cmp_gt_i32_e64 s[0:1], s31, v29
	s_and_saveexec_b64 s[2:3], s[0:1]
	s_cbranch_execz .LBB497_63
; %bb.62:
	v_add_u32_e32 v18, s30, v29
	v_ashrrev_i32_e32 v19, 31, v18
	v_mul_lo_u32 v20, v19, s36
	v_mul_lo_u32 v21, v18, s37
	v_mad_u64_u32 v[18:19], s[4:5], v18, s36, 0
	v_add3_u32 v19, v19, v21, v20
	v_lshl_add_u64 v[18:19], v[18:19], 2, s[12:13]
	global_load_dword v18, v[18:19], off
	s_waitcnt vmcnt(0)
	v_sub_f32_e32 v18, s18, v18
	v_mul_f32_e32 v18, 0x3fb8aa3b, v18
	v_exp_f32_e32 v34, v18
.LBB497_63:
	s_or_b64 exec, exec, s[2:3]
	v_or_b32_e32 v28, 2, v43
	v_cmp_gt_i32_e64 s[2:3], s31, v28
	v_mov_b32_e32 v36, 0
	v_mov_b32_e32 v42, 0
	s_and_saveexec_b64 s[4:5], s[2:3]
	s_cbranch_execz .LBB497_65
; %bb.64:
	v_add_u32_e32 v18, s30, v28
	v_ashrrev_i32_e32 v19, 31, v18
	v_mul_lo_u32 v20, v19, s36
	v_mul_lo_u32 v21, v18, s37
	v_mad_u64_u32 v[18:19], s[6:7], v18, s36, 0
	v_add3_u32 v19, v19, v21, v20
	v_lshl_add_u64 v[18:19], v[18:19], 2, s[12:13]
	global_load_dword v18, v[18:19], off
	s_waitcnt vmcnt(0)
	v_sub_f32_e32 v18, s18, v18
	v_mul_f32_e32 v18, 0x3fb8aa3b, v18
	v_exp_f32_e32 v42, v18
.LBB497_65:
	s_or_b64 exec, exec, s[4:5]
	v_or_b32_e32 v44, 3, v43
	v_cmp_gt_i32_e64 s[4:5], s31, v44
	s_and_saveexec_b64 s[6:7], s[4:5]
	s_cbranch_execz .LBB497_67
; %bb.66:
	v_add_u32_e32 v18, s30, v44
	v_ashrrev_i32_e32 v19, 31, v18
	v_mul_lo_u32 v20, v19, s36
	v_mul_lo_u32 v21, v18, s37
	v_mad_u64_u32 v[18:19], s[14:15], v18, s36, 0
	v_add3_u32 v19, v19, v21, v20
	v_lshl_add_u64 v[18:19], v[18:19], 2, s[12:13]
	global_load_dword v18, v[18:19], off
	s_waitcnt vmcnt(0)
	v_sub_f32_e32 v18, s18, v18
	v_mul_f32_e32 v18, 0x3fb8aa3b, v18
	v_exp_f32_e32 v36, v18
.LBB497_67:
	s_or_b64 exec, exec, s[6:7]
	s_add_u32 s6, s16, s24
	s_addc_u32 s7, s17, s25
	s_add_u32 s8, s8, s24
	v_ashrrev_i32_e32 v57, 31, v56
	v_accvgpr_read_b32 v21, a7
	s_addc_u32 s9, s9, s25
	v_lshlrev_b64 v[22:23], 1, v[56:57]
	v_accvgpr_read_b32 v20, a6
	v_accvgpr_read_b32 v19, a5
	;; [unrolled: 1-line block ×3, first 2 shown]
	v_lshl_add_u64 v[24:25], s[6:7], 0, v[22:23]
	v_lshl_add_u64 v[22:23], s[8:9], 0, v[22:23]
	v_mov_b32_e32 v31, 0
	v_lshlrev_b32_e32 v26, 8, v43
	v_mov_b32_e32 v27, 0
	s_and_saveexec_b64 s[6:7], vcc
	s_cbranch_execz .LBB497_69
; %bb.68:
	v_mov_b32_e32 v27, 0
	v_lshl_add_u64 v[32:33], v[24:25], 0, v[26:27]
	global_load_ushort v30, v[32:33], off
	v_lshl_add_u64 v[32:33], v[22:23], 0, v[26:27]
	s_waitcnt vmcnt(0)
	v_lshlrev_b32_e32 v27, 16, v30
	v_sub_f32_e32 v18, v27, v18
	global_store_short_d16_hi v[32:33], v18, off
	v_mul_f32_e32 v18, v37, v18
	v_lshrrev_b32_e32 v27, 16, v18
.LBB497_69:
	s_or_b64 exec, exec, s[6:7]
	v_lshlrev_b32_e32 v30, 8, v29
	s_and_saveexec_b64 s[6:7], s[0:1]
	s_cbranch_execz .LBB497_71
; %bb.70:
	v_mov_b32_e32 v31, 0
	v_lshl_add_u64 v[32:33], v[24:25], 0, v[30:31]
	global_load_ushort v18, v[32:33], off
	v_lshl_add_u64 v[32:33], v[22:23], 0, v[30:31]
	s_waitcnt vmcnt(0)
	v_lshlrev_b32_e32 v18, 16, v18
	v_sub_f32_e32 v18, v18, v19
	global_store_short_d16_hi v[32:33], v18, off
	v_mul_f32_e32 v18, v34, v18
	v_lshrrev_b32_e32 v31, 16, v18
.LBB497_71:
	s_or_b64 exec, exec, s[6:7]
	v_mov_b32_e32 v29, 0
	v_lshlrev_b32_e32 v32, 8, v28
	v_mov_b32_e32 v33, 0
	s_and_saveexec_b64 s[6:7], s[2:3]
	s_cbranch_execz .LBB497_73
; %bb.72:
	v_mov_b32_e32 v33, 0
	v_lshl_add_u64 v[18:19], v[24:25], 0, v[32:33]
	global_load_ushort v28, v[18:19], off
	v_lshl_add_u64 v[18:19], v[22:23], 0, v[32:33]
	s_waitcnt vmcnt(0)
	v_lshlrev_b32_e32 v28, 16, v28
	v_sub_f32_e32 v20, v28, v20
	global_store_short_d16_hi v[18:19], v20, off
	v_mul_f32_e32 v18, v42, v20
	v_lshrrev_b32_e32 v33, 16, v18
.LBB497_73:
	s_or_b64 exec, exec, s[6:7]
	v_lshlrev_b32_e32 v28, 8, v44
	s_and_saveexec_b64 s[6:7], s[4:5]
	s_cbranch_execz .LBB497_75
; %bb.74:
	v_mov_b32_e32 v29, 0
	v_lshl_add_u64 v[18:19], v[24:25], 0, v[28:29]
	global_load_ushort v20, v[18:19], off
	v_lshl_add_u64 v[18:19], v[22:23], 0, v[28:29]
	s_waitcnt vmcnt(0)
	v_lshlrev_b32_e32 v20, 16, v20
	v_sub_f32_e32 v20, v20, v21
	global_store_short_d16_hi v[18:19], v20, off
	v_mul_f32_e32 v18, v36, v20
	v_lshrrev_b32_e32 v29, 16, v18
.LBB497_75:
	s_or_b64 exec, exec, s[6:7]
	v_lshlrev_b32_e32 v43, 5, v43
	s_mov_b32 s6, 0x5040100
	v_perm_b32 v44, v31, v27, s6
	v_or_b32_e32 v27, v43, v38
	v_accvgpr_read_b32 v21, a3
	v_perm_b32 v45, v29, v33, s6
	v_lshlrev_b32_e32 v27, 1, v27
	v_accvgpr_read_b32 v20, a2
	v_accvgpr_read_b32 v19, a1
	;; [unrolled: 1-line block ×3, first 2 shown]
	ds_write_b64 v27, v[44:45] offset:45056
	v_mov_b32_e32 v31, 0
	v_mov_b32_e32 v27, 0
	s_and_saveexec_b64 s[6:7], vcc
	s_cbranch_execz .LBB497_77
; %bb.76:
	v_mov_b32_e32 v27, 0
	v_lshl_add_u64 v[44:45], v[24:25], 0, v[26:27]
	global_load_ushort v29, v[44:45], off offset:32
	v_lshl_add_u64 v[26:27], v[22:23], 0, v[26:27]
	s_waitcnt vmcnt(0)
	v_lshlrev_b32_e32 v29, 16, v29
	v_sub_f32_e32 v18, v29, v18
	global_store_short_d16_hi v[26:27], v18, off offset:32
	v_mul_f32_e32 v18, v37, v18
	v_lshrrev_b32_e32 v27, 16, v18
.LBB497_77:
	s_or_b64 exec, exec, s[6:7]
	s_and_saveexec_b64 s[6:7], s[0:1]
	s_cbranch_execz .LBB497_79
; %bb.78:
	v_mov_b32_e32 v31, 0
	v_lshl_add_u64 v[44:45], v[24:25], 0, v[30:31]
	global_load_ushort v18, v[44:45], off offset:32
	v_lshl_add_u64 v[30:31], v[22:23], 0, v[30:31]
	s_waitcnt vmcnt(0)
	v_lshlrev_b32_e32 v18, 16, v18
	v_sub_f32_e32 v18, v18, v19
	global_store_short_d16_hi v[30:31], v18, off offset:32
	v_mul_f32_e32 v18, v34, v18
	v_lshrrev_b32_e32 v31, 16, v18
.LBB497_79:
	s_or_b64 exec, exec, s[6:7]
	v_mov_b32_e32 v26, 0
	v_mov_b32_e32 v30, 0
	s_and_saveexec_b64 s[0:1], s[2:3]
	s_cbranch_execz .LBB497_81
; %bb.80:
	v_mov_b32_e32 v33, 0
	v_lshl_add_u64 v[18:19], v[24:25], 0, v[32:33]
	global_load_ushort v29, v[18:19], off offset:32
	v_lshl_add_u64 v[18:19], v[22:23], 0, v[32:33]
	s_waitcnt vmcnt(0)
	v_lshlrev_b32_e32 v29, 16, v29
	v_sub_f32_e32 v20, v29, v20
	global_store_short_d16_hi v[18:19], v20, off offset:32
	v_mul_f32_e32 v18, v42, v20
	v_lshrrev_b32_e32 v30, 16, v18
.LBB497_81:
	s_or_b64 exec, exec, s[0:1]
	v_or_b32_e32 v19, 0xb000, v40
	v_or_b32_e32 v18, 0xb000, v41
	s_and_saveexec_b64 s[0:1], s[4:5]
	s_cbranch_execz .LBB497_83
; %bb.82:
	v_mov_b32_e32 v29, 0
	v_lshl_add_u64 v[24:25], v[24:25], 0, v[28:29]
	global_load_ushort v20, v[24:25], off offset:32
	v_lshl_add_u64 v[22:23], v[22:23], 0, v[28:29]
	s_waitcnt vmcnt(0)
	v_lshlrev_b32_e32 v20, 16, v20
	v_sub_f32_e32 v20, v20, v21
	global_store_short_d16_hi v[22:23], v20, off offset:32
	v_mul_f32_e32 v20, v36, v20
	v_lshrrev_b32_e32 v26, 16, v20
.LBB497_83:
	s_or_b64 exec, exec, s[0:1]
	s_mov_b32 s0, 0x5040100
	v_or_b32_e32 v22, v43, v35
	v_perm_b32 v21, v26, v30, s0
	v_perm_b32 v20, v31, v27, s0
	v_lshlrev_b32_e32 v22, 1, v22
	s_movk_i32 s0, 0x100
	ds_write_b64 v22, v[20:21] offset:45056
	v_and_b32_e32 v20, 7, v0
	v_and_b32_e32 v21, 8, v0
	v_cmp_gt_u32_e32 vcc, s0, v0
	v_lshrrev_b32_e32 v0, 1, v0
	v_lshlrev_b32_e32 v37, 3, v1
	v_and_b32_e32 v38, 24, v0
	v_lshlrev_b32_e32 v34, 3, v20
	v_lshlrev_b32_e32 v35, 7, v20
	v_mov_b32_e32 v20, 0x4000
	v_mov_b32_e32 v22, 0x2000
	v_xor_b32_e32 v0, v37, v38
	v_cndmask_b32_e32 v36, v20, v22, vcc
	v_or_b32_e32 v1, 0x440, v0
	v_cmp_eq_u32_e32 vcc, 0, v21
	s_waitcnt lgkmcnt(0)
	s_barrier
	v_cndmask_b32_e32 v0, v1, v0, vcc
	v_or_b32_e32 v0, v0, v39
	v_xad_u32 v40, v0, v34, v35
	v_add_u32_e32 v0, v36, v40
	ds_read_b64 v[0:1], v0
	ds_read2_b64 v[20:23], v19 offset1:16
	v_or_b32_e32 v24, 32, v38
	v_xor_b32_e32 v24, v37, v24
	v_or_b32_e32 v25, 0x440, v24
	v_cndmask_b32_e32 v24, v25, v24, vcc
	s_waitcnt lgkmcnt(0)
	v_mfma_f32_16x16x16_bf16 a[0:3], v[0:1], v[20:21], 0
	v_or_b32_e32 v24, v24, v39
	v_xad_u32 v41, v24, v34, v35
	v_add_u32_e32 v24, v36, v41
	v_mfma_f32_16x16x16_bf16 a[4:7], v[0:1], v[22:23], 0
	v_or_b32_e32 v0, 64, v38
	v_xor_b32_e32 v0, v37, v0
	v_xor_b32_e32 v1, 0x440, v0
	ds_read_b64 v[32:33], v24
	v_cndmask_b32_e32 v0, v1, v0, vcc
	v_or_b32_e32 v0, v0, v39
	v_xad_u32 v42, v0, v34, v35
	v_add_u32_e32 v0, v36, v42
	ds_read_b64 v[0:1], v0
	ds_read2st64_b64 v[24:27], v19 offset0:2 offset1:4
	ds_read2st64_b64 v[28:31], v18 offset0:2 offset1:4
	s_waitcnt lgkmcnt(1)
	v_mfma_f32_16x16x16_bf16 a[0:3], v[32:33], v[24:25], a[0:3]
	s_waitcnt lgkmcnt(0)
	v_mfma_f32_16x16x16_bf16 a[4:7], v[32:33], v[28:29], a[4:7]
	v_or_b32_e32 v32, 0x60, v38
	v_xor_b32_e32 v32, v37, v32
	v_xor_b32_e32 v33, 0x440, v32
	v_cndmask_b32_e32 v32, v33, v32, vcc
	v_or_b32_e32 v32, v32, v39
	v_xad_u32 v37, v32, v34, v35
	v_add_u32_e32 v32, v36, v37
	ds_read_b64 v[32:33], v32
	v_mfma_f32_16x16x16_bf16 a[0:3], v[0:1], v[26:27], a[0:3]
	v_mov_b32_e32 v36, 0x3fb8aa3b
	v_mfma_f32_16x16x16_bf16 a[4:7], v[0:1], v[30:31], a[4:7]
	ds_read_b64 v[0:1], v19 offset:3072
	ds_read_b64 v[34:35], v18 offset:3072
	;; [unrolled: 1-line block ×3, first 2 shown]
	s_waitcnt lgkmcnt(2)
	v_mfma_f32_16x16x16_bf16 a[0:3], v[32:33], v[0:1], a[0:3]
	s_waitcnt lgkmcnt(1)
	v_mfma_f32_16x16x16_bf16 a[4:7], v[32:33], v[34:35], a[4:7]
	ds_read_b64 v[32:33], v41 offset:16384
	s_waitcnt lgkmcnt(1)
	v_mfma_f32_16x16x16_bf16 a[8:11], v[18:19], v[20:21], 0
	v_mul_f32_e32 v20, s18, v36
	v_exp_f32_e32 v36, v20
	v_accvgpr_read_b32 v21, a3
	v_mfma_f32_16x16x16_bf16 a[12:15], v[18:19], v[22:23], 0
	ds_read_b64 v[22:23], v42 offset:16384
	v_accvgpr_read_b32 v18, a0
	v_fma_f32 v18, v2, v36, v18
	v_accvgpr_read_b32 v2, a1
	v_fma_f32 v19, v3, v36, v2
	;; [unrolled: 2-line block ×3, first 2 shown]
	ds_read_b64 v[2:3], v37 offset:16384
	s_waitcnt lgkmcnt(2)
	v_mfma_f32_16x16x16_bf16 a[8:11], v[32:33], v[24:25], a[8:11]
	v_accvgpr_read_b32 v4, a4
	v_fmac_f32_e32 v21, v5, v36
	v_mfma_f32_16x16x16_bf16 a[12:15], v[32:33], v[28:29], a[12:15]
	v_accvgpr_read_b32 v29, a7
	v_fmac_f32_e32 v29, v13, v36
	s_waitcnt lgkmcnt(1)
	v_mfma_f32_16x16x16_bf16 a[0:3], v[22:23], v[26:27], a[8:11]
	v_fma_f32 v26, v10, v36, v4
	v_accvgpr_read_b32 v4, a5
	v_fma_f32 v27, v11, v36, v4
	v_mfma_f32_16x16x16_bf16 a[8:11], v[22:23], v[30:31], a[12:15]
	v_accvgpr_read_b32 v4, a6
	v_fma_f32 v28, v12, v36, v4
	s_waitcnt lgkmcnt(0)
	v_mfma_f32_16x16x16_bf16 a[0:3], v[2:3], v[0:1], a[0:3]
	v_mfma_f32_16x16x16_bf16 a[4:7], v[2:3], v[34:35], a[8:11]
	s_nop 5
	v_accvgpr_read_b32 v0, a0
	v_fma_f32 v22, v6, v36, v0
	v_accvgpr_read_b32 v0, a1
	v_fma_f32 v23, v7, v36, v0
	;; [unrolled: 2-line block ×4, first 2 shown]
	v_accvgpr_read_b32 v0, a5
	v_accvgpr_read_b32 v25, a3
	v_fma_f32 v31, v15, v36, v0
	v_accvgpr_read_b32 v0, a6
	v_accvgpr_read_b32 v33, a7
	v_fmac_f32_e32 v25, v9, v36
	v_fma_f32 v32, v16, v36, v0
	v_fmac_f32_e32 v33, v17, v36
	v_mov_b64_e32 v[2:3], v[18:19]
	v_mov_b64_e32 v[4:5], v[20:21]
	;; [unrolled: 1-line block ×8, first 2 shown]
.LBB497_84:
	s_add_u32 s0, s10, s34
	s_addc_u32 s1, s11, s35
	v_lshl_add_u64 v[0:1], v[52:53], 2, s[0:1]
	v_mov_b32_e32 v51, 0
	v_lshl_add_u64 v[0:1], v[0:1], 0, v[50:51]
	s_waitcnt vmcnt(3)
	global_store_dwordx4 v[0:1], v[2:5], off
	s_waitcnt vmcnt(3)
	global_store_dwordx4 v[0:1], v[6:9], off offset:256
	v_lshl_add_u64 v[0:1], v[54:55], 2, s[0:1]
	v_lshl_add_u64 v[0:1], v[0:1], 0, v[50:51]
	s_waitcnt vmcnt(3)
	global_store_dwordx4 v[0:1], v[10:13], off
	s_waitcnt vmcnt(3)
	global_store_dwordx4 v[0:1], v[14:17], off offset:256
	s_endpgm
	.section	.rodata,"a",@progbits
	.p2align	6, 0x0
	.amdhsa_kernel _ZN12_GLOBAL__N_139chunk_gated_delta_rule_fwd_h_hip_kernelILi32ELb1ELb1ELb1ELb1ELb0ELb0ELb0ELb0EEEvPK12hip_bfloat16S3_S3_PKfS5_PKvPS1_S8_PvPKiSB_iiiiilll
		.amdhsa_group_segment_fixed_size 49152
		.amdhsa_private_segment_fixed_size 0
		.amdhsa_kernarg_size 136
		.amdhsa_user_sgpr_count 2
		.amdhsa_user_sgpr_dispatch_ptr 0
		.amdhsa_user_sgpr_queue_ptr 0
		.amdhsa_user_sgpr_kernarg_segment_ptr 1
		.amdhsa_user_sgpr_dispatch_id 0
		.amdhsa_user_sgpr_kernarg_preload_length 0
		.amdhsa_user_sgpr_kernarg_preload_offset 0
		.amdhsa_user_sgpr_private_segment_size 0
		.amdhsa_uses_dynamic_stack 0
		.amdhsa_enable_private_segment 0
		.amdhsa_system_sgpr_workgroup_id_x 1
		.amdhsa_system_sgpr_workgroup_id_y 1
		.amdhsa_system_sgpr_workgroup_id_z 0
		.amdhsa_system_sgpr_workgroup_info 0
		.amdhsa_system_vgpr_workitem_id 0
		.amdhsa_next_free_vgpr 156
		.amdhsa_next_free_sgpr 68
		.amdhsa_accum_offset 140
		.amdhsa_reserve_vcc 1
		.amdhsa_float_round_mode_32 0
		.amdhsa_float_round_mode_16_64 0
		.amdhsa_float_denorm_mode_32 3
		.amdhsa_float_denorm_mode_16_64 3
		.amdhsa_dx10_clamp 1
		.amdhsa_ieee_mode 1
		.amdhsa_fp16_overflow 0
		.amdhsa_tg_split 0
		.amdhsa_exception_fp_ieee_invalid_op 0
		.amdhsa_exception_fp_denorm_src 0
		.amdhsa_exception_fp_ieee_div_zero 0
		.amdhsa_exception_fp_ieee_overflow 0
		.amdhsa_exception_fp_ieee_underflow 0
		.amdhsa_exception_fp_ieee_inexact 0
		.amdhsa_exception_int_div_zero 0
	.end_amdhsa_kernel
	.section	.text._ZN12_GLOBAL__N_139chunk_gated_delta_rule_fwd_h_hip_kernelILi32ELb1ELb1ELb1ELb1ELb0ELb0ELb0ELb0EEEvPK12hip_bfloat16S3_S3_PKfS5_PKvPS1_S8_PvPKiSB_iiiiilll,"axG",@progbits,_ZN12_GLOBAL__N_139chunk_gated_delta_rule_fwd_h_hip_kernelILi32ELb1ELb1ELb1ELb1ELb0ELb0ELb0ELb0EEEvPK12hip_bfloat16S3_S3_PKfS5_PKvPS1_S8_PvPKiSB_iiiiilll,comdat
.Lfunc_end497:
	.size	_ZN12_GLOBAL__N_139chunk_gated_delta_rule_fwd_h_hip_kernelILi32ELb1ELb1ELb1ELb1ELb0ELb0ELb0ELb0EEEvPK12hip_bfloat16S3_S3_PKfS5_PKvPS1_S8_PvPKiSB_iiiiilll, .Lfunc_end497-_ZN12_GLOBAL__N_139chunk_gated_delta_rule_fwd_h_hip_kernelILi32ELb1ELb1ELb1ELb1ELb0ELb0ELb0ELb0EEEvPK12hip_bfloat16S3_S3_PKfS5_PKvPS1_S8_PvPKiSB_iiiiilll
                                        ; -- End function
	.section	.AMDGPU.csdata,"",@progbits
; Kernel info:
; codeLenInByte = 9456
; NumSgprs: 74
; NumVgprs: 138
; NumAgprs: 16
; TotalNumVgprs: 156
; ScratchSize: 0
; MemoryBound: 0
; FloatMode: 240
; IeeeMode: 1
; LDSByteSize: 49152 bytes/workgroup (compile time only)
; SGPRBlocks: 9
; VGPRBlocks: 19
; NumSGPRsForWavesPerEU: 74
; NumVGPRsForWavesPerEU: 156
; AccumOffset: 140
; Occupancy: 1
; WaveLimiterHint : 1
; COMPUTE_PGM_RSRC2:SCRATCH_EN: 0
; COMPUTE_PGM_RSRC2:USER_SGPR: 2
; COMPUTE_PGM_RSRC2:TRAP_HANDLER: 0
; COMPUTE_PGM_RSRC2:TGID_X_EN: 1
; COMPUTE_PGM_RSRC2:TGID_Y_EN: 1
; COMPUTE_PGM_RSRC2:TGID_Z_EN: 0
; COMPUTE_PGM_RSRC2:TIDIG_COMP_CNT: 0
; COMPUTE_PGM_RSRC3_GFX90A:ACCUM_OFFSET: 34
; COMPUTE_PGM_RSRC3_GFX90A:TG_SPLIT: 0
	.section	.text._ZN12_GLOBAL__N_139chunk_gated_delta_rule_fwd_h_hip_kernelILi32ELb1ELb1ELb0ELb1ELb0ELb0ELb0ELb0EEEvPK12hip_bfloat16S3_S3_PKfS5_PKvPS1_S8_PvPKiSB_iiiiilll,"axG",@progbits,_ZN12_GLOBAL__N_139chunk_gated_delta_rule_fwd_h_hip_kernelILi32ELb1ELb1ELb0ELb1ELb0ELb0ELb0ELb0EEEvPK12hip_bfloat16S3_S3_PKfS5_PKvPS1_S8_PvPKiSB_iiiiilll,comdat
	.globl	_ZN12_GLOBAL__N_139chunk_gated_delta_rule_fwd_h_hip_kernelILi32ELb1ELb1ELb0ELb1ELb0ELb0ELb0ELb0EEEvPK12hip_bfloat16S3_S3_PKfS5_PKvPS1_S8_PvPKiSB_iiiiilll ; -- Begin function _ZN12_GLOBAL__N_139chunk_gated_delta_rule_fwd_h_hip_kernelILi32ELb1ELb1ELb0ELb1ELb0ELb0ELb0ELb0EEEvPK12hip_bfloat16S3_S3_PKfS5_PKvPS1_S8_PvPKiSB_iiiiilll
	.p2align	8
	.type	_ZN12_GLOBAL__N_139chunk_gated_delta_rule_fwd_h_hip_kernelILi32ELb1ELb1ELb0ELb1ELb0ELb0ELb0ELb0EEEvPK12hip_bfloat16S3_S3_PKfS5_PKvPS1_S8_PvPKiSB_iiiiilll,@function
_ZN12_GLOBAL__N_139chunk_gated_delta_rule_fwd_h_hip_kernelILi32ELb1ELb1ELb0ELb1ELb0ELb0ELb0ELb0EEEvPK12hip_bfloat16S3_S3_PKfS5_PKvPS1_S8_PvPKiSB_iiiiilll: ; @_ZN12_GLOBAL__N_139chunk_gated_delta_rule_fwd_h_hip_kernelILi32ELb1ELb1ELb0ELb1ELb0ELb0ELb0ELb0EEEvPK12hip_bfloat16S3_S3_PKfS5_PKvPS1_S8_PvPKiSB_iiiiilll
; %bb.0:
	s_load_dwordx4 s[16:19], s[0:1], 0x5c
	s_load_dwordx2 s[4:5], s[0:1], 0x50
	s_abs_i32 s7, s3
	s_ashr_i32 s6, s3, 31
	s_load_dwordx4 s[12:15], s[0:1], 0x40
	s_load_dwordx4 s[20:23], s[0:1], 0x28
	s_waitcnt lgkmcnt(0)
	s_abs_i32 s10, s17
	v_cvt_f32_u32_e32 v1, s10
	s_sub_i32 s8, 0, s10
	s_ashr_i32 s11, s17, 31
	s_xor_b32 s6, s6, s11
	v_rcp_iflag_f32_e32 v1, v1
	v_and_b32_e32 v66, 15, v0
	v_bfe_u32 v65, v0, 4, 2
	v_mov_b32_e32 v51, 0
	v_mul_f32_e32 v1, 0x4f7ffffe, v1
	v_cvt_u32_f32_e32 v1, v1
	v_lshlrev_b32_e32 v67, 3, v0
	v_readfirstlane_b32 s9, v1
	s_mul_i32 s8, s8, s9
	s_mul_hi_u32 s8, s9, s8
	s_add_i32 s9, s9, s8
	s_mul_hi_u32 s8, s7, s9
	s_mul_i32 s9, s8, s10
	s_sub_i32 s7, s7, s9
	s_add_i32 s24, s8, 1
	s_sub_i32 s9, s7, s10
	s_cmp_ge_u32 s7, s10
	s_cselect_b32 s8, s24, s8
	s_cselect_b32 s7, s9, s7
	s_add_i32 s9, s8, 1
	s_cmp_ge_u32 s7, s10
	s_cselect_b32 s7, s9, s8
	s_xor_b32 s7, s7, s6
	s_sub_i32 s24, s7, s6
	s_mul_i32 s28, s24, s17
	s_ashr_i32 s25, s24, 31
	s_sub_i32 s49, s3, s28
	s_lshl_b64 s[6:7], s[24:25], 2
	s_add_u32 s8, s14, s6
	s_addc_u32 s9, s15, s7
	s_add_u32 s26, s4, s6
	s_addc_u32 s27, s5, s7
	s_abs_i32 s3, s18
	v_cvt_f32_u32_e32 v1, s3
	s_load_dwordx2 s[36:37], s[8:9], 0x0
	s_sub_i32 s5, 0, s3
	s_lshl_b32 s2, s2, 5
	v_rcp_iflag_f32_e32 v1, v1
	v_or_b32_e32 v56, s2, v66
	s_waitcnt lgkmcnt(0)
	s_sub_i32 s52, s37, s36
	s_ashr_i32 s4, s52, 31
	v_mul_f32_e32 v1, 0x4f7ffffe, v1
	v_cvt_u32_f32_e32 v1, v1
	s_lshr_b32 s4, s4, 26
	s_add_i32 s4, s52, s4
	s_ashr_i32 s50, s4, 6
	v_readfirstlane_b32 s6, v1
	s_mul_i32 s5, s5, s6
	s_mul_hi_u32 s5, s6, s5
	s_add_i32 s6, s6, s5
	s_mul_hi_u32 s5, s10, s6
	s_mul_i32 s6, s5, s3
	s_ashr_i32 s4, s18, 31
	s_sub_i32 s6, s10, s6
	s_xor_b32 s4, s11, s4
	s_add_i32 s7, s5, 1
	s_sub_i32 s8, s6, s3
	s_cmp_ge_u32 s6, s3
	s_cselect_b32 s5, s7, s5
	s_cselect_b32 s6, s8, s6
	s_add_i32 s7, s5, 1
	s_cmp_ge_u32 s6, s3
	s_cselect_b32 s3, s7, s5
	s_xor_b32 s3, s3, s4
	s_sub_i32 s3, s3, s4
	s_abs_i32 s4, s3
	v_cvt_f32_u32_e32 v1, s4
	s_sub_i32 s6, 0, s4
	s_abs_i32 s5, s49
	s_xor_b32 s3, s49, s3
	v_rcp_iflag_f32_e32 v2, v1
	s_ashr_i32 s3, s3, 31
	v_lshrrev_b32_e32 v1, 6, v0
	v_lshlrev_b32_e32 v64, 4, v1
	v_mul_f32_e32 v2, 0x4f7ffffe, v2
	v_cvt_u32_f32_e32 v2, v2
	v_lshlrev_b32_e32 v52, 7, v56
	v_lshl_or_b32 v69, v65, 2, v64
	v_ashrrev_i32_e32 v53, 31, v52
	v_readfirstlane_b32 s7, v2
	s_mul_i32 s6, s6, s7
	s_mul_hi_u32 s6, s7, s6
	s_add_i32 s7, s7, s6
	s_mul_hi_u32 s6, s5, s7
	s_mul_i32 s7, s6, s4
	s_sub_i32 s5, s5, s7
	s_add_i32 s7, s6, 1
	s_sub_i32 s8, s5, s4
	s_cmp_ge_u32 s5, s4
	s_cselect_b32 s6, s7, s6
	s_cselect_b32 s5, s8, s5
	s_add_i32 s7, s6, 1
	s_cmp_ge_u32 s5, s4
	s_cselect_b32 s4, s7, s6
	s_xor_b32 s4, s4, s3
	s_sub_i32 s53, s4, s3
	s_ashr_i32 s51, s49, 31
	s_mul_hi_i32 s3, s24, s17
	s_add_u32 s4, s28, s49
	s_addc_u32 s5, s3, s51
	s_lshl_b64 s[14:15], s[4:5], 16
	s_add_u32 s4, s20, s14
	s_addc_u32 s5, s21, s15
	v_lshl_add_u64 v[2:3], v[52:53], 2, s[4:5]
	v_lshlrev_b32_e32 v50, 2, v69
	v_or_b32_e32 v54, 0x800, v52
	v_lshl_add_u64 v[10:11], v[2:3], 0, v[50:51]
	v_ashrrev_i32_e32 v55, 31, v54
	global_load_dwordx4 v[2:5], v[10:11], off
	global_load_dwordx4 v[6:9], v[10:11], off offset:256
	v_lshl_add_u64 v[10:11], v[54:55], 2, s[4:5]
	v_lshl_add_u64 v[18:19], v[10:11], 0, v[50:51]
	global_load_dwordx4 v[10:13], v[18:19], off
	global_load_dwordx4 v[14:17], v[18:19], off offset:256
	s_load_dwordx8 s[4:11], s[0:1], 0x0
	s_load_dwordx2 s[34:35], s[0:1], 0x80
	s_load_dwordx4 s[28:31], s[0:1], 0x70
	s_load_dword s54, s[26:27], 0x0
	v_and_b32_e32 v51, 63, v0
	v_or_b32_e32 v70, 64, v69
	s_cmp_lt_i32 s52, 64
	s_mul_hi_i32 s55, s49, s16
	s_mul_i32 s56, s49, s16
	v_lshrrev_b32_e32 v68, 3, v51
	s_waitcnt lgkmcnt(0)
	s_mul_i32 s33, s24, s29
	s_mul_hi_u32 s45, s24, s28
	s_mul_i32 s46, s25, s28
	s_mul_i32 s38, s24, s28
	s_mul_i32 s44, s49, s31
	s_mul_hi_u32 s47, s49, s30
	s_mul_i32 s48, s51, s30
	s_mul_i32 s40, s49, s30
	s_cbranch_scc1 .LBB498_19
; %bb.1:
	s_ashr_i32 s1, s36, 31
	s_add_u32 s0, s56, s36
	s_addc_u32 s1, s55, s1
	s_lshl_b64 s[0:1], s[0:1], 8
	v_and_b32_e32 v72, 56, v67
	s_add_u32 s24, s6, s0
	v_lshl_or_b32 v71, v1, 3, v68
	v_lshlrev_b32_e32 v18, 1, v72
	s_addc_u32 s0, s7, s1
	v_lshl_or_b32 v73, v71, 8, v18
	s_and_b32 s25, s0, 0xffff
	s_mov_b32 s27, 0x20000
	s_movk_i32 s26, 0x4000
	s_movk_i32 s0, 0x80
	v_or_b32_e32 v74, 0x2000, v73
	buffer_load_dwordx4 v[20:23], v73, s[24:27], 0 offen
	buffer_load_dwordx4 v[24:27], v73, s[24:27], s0 offen
	;; [unrolled: 1-line block ×4, first 2 shown]
	v_lshlrev_b32_e32 v19, 3, v71
	v_and_or_b32 v37, v0, 7, v19
	v_and_b32_e32 v19, 0x78, v19
	v_lshlrev_b32_e32 v37, 4, v37
	v_xor_b32_e32 v75, v37, v19
	v_mul_lo_u32 v36, v71, s19
	v_or_b32_e32 v76, 0x1000, v75
	v_xor_b32_e32 v19, 8, v75
	s_cmpk_eq_i32 s19, 0x80
	s_mov_b32 s57, s36
	v_xor_b32_e32 v37, 8, v76
	s_cselect_b64 s[0:1], -1, 0
	s_cmpk_lg_i32 s19, 0x80
	s_waitcnt vmcnt(3)
	ds_write_b64 v75, v[20:21] offset:24576
	ds_write_b64 v19, v[22:23] offset:24576
	s_waitcnt vmcnt(2)
	ds_write_b64 v75, v[24:25] offset:32768
	ds_write_b64 v19, v[26:27] offset:32768
	;; [unrolled: 3-line block ×4, first 2 shown]
	v_lshl_add_u32 v19, v36, 1, v72
	s_cbranch_scc0 .LBB498_3
; %bb.2:
	v_lshlrev_b32_e32 v21, 1, v19
	v_add_lshl_u32 v20, v19, s19, 1
	s_lshl_b32 s26, s19, 7
	v_lshl_or_b32 v18, v71, 9, v18
	s_cbranch_execz .LBB498_4
	s_branch .LBB498_5
.LBB498_3:
                                        ; implicit-def: $vgpr20
                                        ; implicit-def: $vgpr21
                                        ; implicit-def: $sgpr26
	v_lshl_or_b32 v18, v71, 9, v18
.LBB498_4:
	v_or_b32_e32 v20, 0x100, v18
	s_movk_i32 s26, 0x4000
	v_mov_b32_e32 v21, v18
.LBB498_5:
	s_mul_i32 s20, s36, s18
	s_ashr_i32 s58, s53, 31
	s_mul_hi_i32 s3, s36, s18
	s_add_u32 s20, s20, s53
	s_addc_u32 s21, s3, s58
	s_lshl_b64 s[20:21], s[20:21], 8
	s_add_u32 s24, s4, s20
	s_addc_u32 s3, s5, s21
	s_and_b32 s25, s3, 0xffff
	s_movk_i32 s59, 0x80
	buffer_load_dwordx4 v[22:25], v21, s[24:27], 0 offen
	buffer_load_dwordx4 v[26:29], v21, s[24:27], s59 offen
	;; [unrolled: 1-line block ×4, first 2 shown]
	v_and_b32_e32 v20, 6, v0
	v_lshlrev_b32_e32 v39, 6, v69
	v_or_b32_e32 v41, 16, v66
	v_xor_b32_e32 v42, v71, v20
	v_and_b32_e32 v21, 1, v0
	v_lshl_or_b32 v45, v66, 3, v39
	v_lshl_or_b32 v39, v41, 3, v39
	v_lshlrev_b32_e32 v42, 2, v42
	v_lshlrev_b32_e32 v38, 2, v66
	v_or_b32_e32 v79, 0xa000, v39
	v_or_b32_e32 v80, 0xb000, v39
	v_xor_b32_e32 v39, 0x440, v42
	v_cmp_eq_u32_e32 vcc, 0, v21
	s_add_i32 s3, s45, s33
	v_xor_b32_e32 v43, v69, v38
	v_xor_b32_e32 v44, v70, v38
	v_cndmask_b32_e32 v21, v39, v42, vcc
	s_add_i32 s20, s47, s44
	s_add_i32 s39, s3, s46
	s_mov_b32 s60, 0x1000504
	v_lshlrev_b32_e32 v40, 8, v66
	v_lshlrev_b32_e32 v41, 8, v41
	;; [unrolled: 1-line block ×4, first 2 shown]
	v_lshl_or_b32 v20, v20, 10, v21
	s_add_i32 s41, s20, s48
	s_lshl_b64 s[20:21], s[38:39], 2
	s_mov_b32 s61, 0x3020706
	v_or_b32_e32 v77, 0xa000, v45
	v_or_b32_e32 v78, 0xb000, v45
	;; [unrolled: 1-line block ×5, first 2 shown]
	v_xor_b32_e32 v21, 8, v20
	v_xor_b32_e32 v40, 24, v20
	v_xor_b32_e32 v42, 40, v20
	v_xor_b32_e32 v44, 56, v20
	s_add_u32 s3, s10, s20
	v_or_b32_e32 v83, v41, v43
	v_xor_b32_e32 v39, 16, v20
	v_xor_b32_e32 v41, 32, v20
	;; [unrolled: 1-line block ×3, first 2 shown]
	v_add_u32_e32 v21, 0x80, v21
	v_add_u32_e32 v40, 0x80, v40
	;; [unrolled: 1-line block ×4, first 2 shown]
	s_addc_u32 s24, s11, s21
	s_lshl_b64 s[20:21], s[40:41], 2
	s_add_u32 s20, s3, s20
	s_movk_i32 s3, 0xf8
	s_addc_u32 s21, s24, s21
	s_lshl_b32 s30, s19, 7
	s_movk_i32 s28, 0x100
	v_mov_b32_e32 v59, 0
	v_lshlrev_b32_e32 v58, 4, v66
	v_cmp_gt_u32_e32 vcc, s28, v0
	v_ashrrev_i32_e32 v57, 31, v56
	s_mov_b32 s62, 0
	s_movk_i32 s39, 0x1000
	s_movk_i32 s26, 0x4000
	v_lshl_add_u64 v[60:61], v[56:57], 1, s[8:9]
	v_mov_b32_e32 v105, 0x3fb8aa3b
	s_waitcnt vmcnt(1)
	v_perm_b32 v45, v22, v30, s60
	s_waitcnt vmcnt(0)
	v_perm_b32 v46, v26, v34, s60
	v_perm_b32 v22, v22, v30, s61
	;; [unrolled: 1-line block ×15, first 2 shown]
	ds_write2st64_b32 v20, v45, v46 offset0:32 offset1:64
	ds_write2st64_b32 v21, v22, v26 offset0:32 offset1:64
	;; [unrolled: 1-line block ×8, first 2 shown]
	v_or_b32_e32 v20, v64, v66
	v_lshlrev_b32_e32 v20, 3, v20
	v_lshrrev_b32_e32 v23, 5, v51
	v_and_or_b32 v23, v20, s3, v23
	v_lshlrev_b32_e32 v23, 4, v23
	v_lshlrev_b32_e32 v21, 11, v1
	v_and_b32_e32 v20, 0x78, v20
	v_or_b32_e32 v28, 32, v23
	v_and_b32_e32 v22, 0x1000, v21
	v_lshrrev_b32_e32 v25, 1, v0
	v_xor_b32_e32 v28, v28, v20
	v_and_b32_e32 v26, 8, v25
	v_or_b32_e32 v28, v28, v22
	v_xor_b32_e32 v24, v23, v20
	v_xor_b32_e32 v87, v28, v26
	v_or_b32_e32 v28, 64, v23
	v_or_b32_e32 v23, 0x60, v23
	s_ashr_i32 s3, s2, 31
	v_xor_b32_e32 v28, v28, v20
	v_xor_b32_e32 v20, v23, v20
	s_lshl_b64 s[24:25], s[2:3], 8
	v_or_b32_e32 v24, v24, v22
	v_or_b32_e32 v28, v28, v22
	;; [unrolled: 1-line block ×3, first 2 shown]
	s_add_u32 s24, s22, s24
	v_lshlrev_b32_e32 v22, 1, v66
	v_xor_b32_e32 v89, v28, v26
	v_lshrrev_b32_e32 v28, 4, v0
	s_addc_u32 s25, s23, s25
	v_or_b32_e32 v23, 1, v22
	v_mov_b32_e32 v32, 0x4000
	v_mov_b32_e32 v33, 0x2000
	v_xor_b32_e32 v29, v28, v22
	v_xor_b32_e32 v30, v23, v28
	v_lshl_add_u64 v[22:23], s[24:25], 0, v[58:59]
	v_lshlrev_b32_e32 v58, 8, v28
	v_cndmask_b32_e32 v32, v32, v33, vcc
	v_lshlrev_b32_e32 v33, 3, v1
	v_and_b32_e32 v25, 24, v25
	v_lshl_or_b32 v93, v29, 3, v58
	v_and_b32_e32 v29, 8, v0
	v_xor_b32_e32 v34, v33, v25
	v_or_b32_e32 v35, 0x440, v34
	v_cmp_eq_u32_e32 vcc, 0, v29
	v_and_b32_e32 v28, 7, v0
	v_xor_b32_e32 v85, v24, v26
	v_cndmask_b32_e32 v29, v35, v34, vcc
	v_lshlrev_b32_e32 v24, 7, v65
	v_lshl_or_b32 v94, v30, 3, v58
	v_lshlrev_b32_e32 v30, 3, v28
	v_lshlrev_b32_e32 v28, 7, v28
	;; [unrolled: 1-line block ×3, first 2 shown]
	v_or_b32_e32 v29, v29, v21
	v_or_b32_e32 v27, v24, v38
	v_xad_u32 v95, v29, v30, v28
	v_and_or_b32 v24, v31, 60, v24
	v_mov_b32_e32 v29, 0xb000
	v_lshl_or_b32 v96, v24, 1, v29
	v_or_b32_e32 v24, 32, v25
	v_xor_b32_e32 v24, v33, v24
	v_or_b32_e32 v29, 0x440, v24
	v_cndmask_b32_e32 v24, v29, v24, vcc
	v_or_b32_e32 v24, v24, v21
	v_xad_u32 v97, v24, v30, v28
	v_or_b32_e32 v24, 64, v25
	v_xor_b32_e32 v24, v33, v24
	v_xor_b32_e32 v29, 0x440, v24
	v_cndmask_b32_e32 v24, v29, v24, vcc
	v_or_b32_e32 v24, v24, v21
	v_xad_u32 v98, v24, v30, v28
	v_or_b32_e32 v24, 0x60, v25
	v_xor_b32_e32 v24, v33, v24
	v_xor_b32_e32 v25, 0x440, v24
	v_cndmask_b32_e32 v24, v25, v24, vcc
	v_lshlrev_b32_e32 v27, 1, v27
	v_or_b32_e32 v21, v24, v21
	v_or_b32_e32 v86, 0xa000, v27
	;; [unrolled: 1-line block ×3, first 2 shown]
	v_xor_b32_e32 v90, v20, v26
	v_or_b32_e32 v91, 0xb000, v27
	v_or_b32_e32 v92, 0xb080, v27
	v_lshlrev_b32_e32 v20, 7, v69
	v_lshlrev_b32_e32 v26, 1, v19
	v_add_lshl_u32 v19, v19, s19, 1
	v_or_b32_e32 v27, 0x100, v18
	v_xad_u32 v99, v21, v30, v28
	v_cndmask_b32_e64 v100, v26, v18, s[0:1]
	v_cndmask_b32_e64 v101, v19, v27, s[0:1]
	v_lshl_add_u64 v[62:63], v[22:23], 0, v[58:59]
	s_mov_b32 s3, 0x7060302
	v_lshlrev_b32_e32 v58, 1, v20
	v_add_u32_e32 v57, v32, v95
	v_add_u32_e32 v102, v32, v97
	v_add_u32_e32 v103, v32, v98
	v_add_u32_e32 v104, v32, v99
	s_waitcnt lgkmcnt(0)
	s_barrier
.LBB498_6:                              ; =>This Inner Loop Header: Depth=1
	s_add_i32 s41, s62, 1
	s_cmp_lt_i32 s41, s50
	s_mov_b64 s[28:29], 0
	s_cselect_b64 s[42:43], -1, 0
	s_cmp_ge_i32 s41, s50
	s_mov_b64 s[24:25], 0
	s_cbranch_scc1 .LBB498_8
; %bb.7:                                ;   in Loop: Header=BB498_6 Depth=1
	s_add_i32 s0, s57, 64
	s_ashr_i32 s1, s0, 31
	s_add_u32 s0, s56, s0
	s_addc_u32 s1, s55, s1
	s_lshl_b64 s[0:1], s[0:1], 8
	s_add_u32 s24, s6, s0
	s_addc_u32 s25, s7, s1
.LBB498_8:                              ;   in Loop: Header=BB498_6 Depth=1
	v_cndmask_b32_e64 v18, 0, 1, s[42:43]
	v_cmp_ne_u32_e64 s[0:1], 1, v18
	s_andn2_b64 vcc, exec, s[42:43]
	s_cbranch_vccnz .LBB498_10
; %bb.9:                                ;   in Loop: Header=BB498_6 Depth=1
	s_add_i32 s28, s57, 64
	s_mul_hi_i32 s29, s28, s18
	s_mul_i32 s28, s28, s18
	s_add_u32 s28, s28, s53
	s_addc_u32 s29, s29, s58
	s_lshl_b64 s[28:29], s[28:29], 8
	s_add_u32 s28, s4, s28
	s_addc_u32 s29, s5, s29
.LBB498_10:                             ;   in Loop: Header=BB498_6 Depth=1
	v_perm_b32 v19, v5, v4, s3
	v_perm_b32 v18, v3, v2, s3
	;; [unrolled: 1-line block ×4, first 2 shown]
	ds_write_b64 v77, v[18:19]
	ds_write_b64 v78, v[20:21]
	ds_write_b64 v81, v[18:19]
	ds_write_b64 v82, v[20:21]
	v_perm_b32 v19, v13, v12, s3
	v_perm_b32 v18, v11, v10, s3
	;; [unrolled: 1-line block ×4, first 2 shown]
	ds_write_b64 v79, v[18:19]
	ds_write_b64 v80, v[20:21]
	;; [unrolled: 1-line block ×4, first 2 shown]
	s_waitcnt lgkmcnt(0)
	s_barrier
	ds_read_b64 v[22:23], v85 offset:24576
	ds_read2_b64 v[18:21], v86 offset1:16
	ds_read_b64 v[26:27], v88 offset:3072
	ds_read_b64 v[28:29], v86 offset:3072
	;; [unrolled: 1-line block ×3, first 2 shown]
	s_waitcnt lgkmcnt(3)
	v_mfma_f32_16x16x16_bf16 a[0:3], v[22:23], v[18:19], 0
	s_add_i32 s31, s57, 63
	s_ashr_i32 s42, s31, 31
	s_mul_i32 s43, s31, s35
	v_mfma_f32_16x16x16_bf16 a[4:7], v[22:23], v[20:21], 0
	ds_read2st64_b64 v[18:21], v86 offset0:2 offset1:4
	s_mul_hi_u32 s63, s31, s34
	s_add_i32 s43, s63, s43
	s_waitcnt lgkmcnt(0)
	v_mfma_f32_16x16x16_bf16 a[0:3], v[30:31], v[18:19], a[0:3]
	ds_read2st64_b64 v[22:25], v88 offset0:2 offset1:4
	ds_read_b64 v[18:19], v89 offset:24576
	s_mul_i32 s42, s42, s34
	s_add_i32 s43, s43, s42
	s_waitcnt lgkmcnt(1)
	v_mfma_f32_16x16x16_bf16 a[4:7], v[30:31], v[22:23], a[4:7]
	ds_read_b64 v[22:23], v90 offset:24576
	s_mul_i32 s42, s31, s34
	s_lshl_b64 s[42:43], s[42:43], 2
	s_waitcnt lgkmcnt(1)
	v_mfma_f32_16x16x16_bf16 a[0:3], v[18:19], v[20:21], a[0:3]
	s_add_u32 s42, s20, s42
	s_addc_u32 s43, s21, s43
	s_and_b64 vcc, exec, s[0:1]
	v_mfma_f32_16x16x16_bf16 a[4:7], v[18:19], v[24:25], a[4:7]
	v_mov_b32_e32 v108, 0
	v_mov_b32_e32 v107, 0
	;; [unrolled: 1-line block ×3, first 2 shown]
	s_waitcnt lgkmcnt(0)
	v_mfma_f32_16x16x16_bf16 a[0:3], v[22:23], v[28:29], a[0:3]
	v_mov_b32_e32 v18, 0
	v_mov_b32_e32 v19, 0
	;; [unrolled: 1-line block ×3, first 2 shown]
	v_mfma_f32_16x16x16_bf16 a[4:7], v[22:23], v[26:27], a[4:7]
	v_mov_b32_e32 v21, 0
	v_mov_b32_e32 v22, 0
	;; [unrolled: 1-line block ×13, first 2 shown]
	s_cbranch_vccnz .LBB498_12
; %bb.11:                               ;   in Loop: Header=BB498_6 Depth=1
	s_and_b32 s25, s25, 0xffff
	buffer_load_dwordx4 v[30:33], v73, s[24:27], 0 offen
	buffer_load_dwordx4 v[26:29], v73, s[24:27], s59 offen
	;; [unrolled: 1-line block ×4, first 2 shown]
	v_mov_b32_e32 v107, v75
	v_mov_b32_e32 v106, v76
.LBB498_12:                             ;   in Loop: Header=BB498_6 Depth=1
	ds_read_b64 v[38:39], v85 offset:32768
	ds_read2_b64 v[34:37], v91 offset1:16
	ds_read_b64 v[42:43], v87 offset:32768
	ds_read_b64 v[44:45], v89 offset:32768
	;; [unrolled: 1-line block ×3, first 2 shown]
	v_add_u32_e32 v48, s57, v69
	s_waitcnt lgkmcnt(3)
	v_mfma_f32_16x16x16_bf16 a[0:3], v[38:39], v[34:35], a[0:3]
	v_mul_lo_u32 v49, v48, s35
	v_mfma_f32_16x16x16_bf16 a[4:7], v[38:39], v[36:37], a[4:7]
	ds_read2st64_b64 v[34:37], v91 offset0:2 offset1:4
	ds_read2st64_b64 v[38:41], v92 offset0:2 offset1:4
	s_waitcnt lgkmcnt(1)
	v_mfma_f32_16x16x16_bf16 a[0:3], v[42:43], v[34:35], a[0:3]
	v_ashrrev_i32_e32 v34, 31, v48
	v_mul_lo_u32 v109, v34, s34
	v_mad_u64_u32 v[34:35], s[24:25], v48, s34, 0
	v_mfma_f32_16x16x16_bf16 a[0:3], v[44:45], v[36:37], a[0:3]
	v_add_u32_e32 v36, 1, v48
	v_ashrrev_i32_e32 v37, 31, v36
	v_add3_u32 v35, v35, v49, v109
	s_waitcnt lgkmcnt(0)
	v_mfma_f32_16x16x16_bf16 a[4:7], v[42:43], v[38:39], a[4:7]
	v_mul_lo_u32 v38, v37, s34
	v_mul_lo_u32 v39, v36, s35
	v_mad_u64_u32 v[36:37], s[24:25], v36, s34, 0
	v_add3_u32 v37, v37, v39, v38
	v_add_u32_e32 v38, 2, v48
	v_ashrrev_i32_e32 v39, 31, v38
	v_mul_lo_u32 v42, v39, s34
	v_mul_lo_u32 v43, v38, s35
	v_mad_u64_u32 v[38:39], s[24:25], v38, s34, 0
	v_add3_u32 v39, v39, v43, v42
	v_add_u32_e32 v42, 3, v48
	v_ashrrev_i32_e32 v43, 31, v42
	v_mul_lo_u32 v48, v43, s34
	v_mul_lo_u32 v49, v42, s35
	v_mad_u64_u32 v[42:43], s[24:25], v42, s34, 0
	v_add3_u32 v43, v43, v49, v48
	s_ashr_i32 s25, s57, 31
	v_lshl_add_u64 v[34:35], v[34:35], 2, s[20:21]
	v_lshl_add_u64 v[42:43], v[42:43], 2, s[20:21]
	s_add_u32 s24, s56, s57
	v_lshl_add_u64 v[36:37], v[36:37], 2, s[20:21]
	v_lshl_add_u64 v[38:39], v[38:39], 2, s[20:21]
	global_load_dword v48, v[34:35], off
	global_load_dword v49, v[36:37], off
	;; [unrolled: 1-line block ×3, first 2 shown]
	s_nop 0
	global_load_dword v42, v[42:43], off
	s_addc_u32 s25, s55, s25
	s_lshl_b64 s[24:25], s[24:25], 8
	v_lshl_add_u64 v[34:35], v[60:61], 0, s[24:25]
	v_lshl_add_u64 v[34:35], v[34:35], 0, v[58:59]
	global_load_ushort v43, v[34:35], off offset:256
	global_load_ushort v110, v[34:35], off
	global_load_ushort v111, v[34:35], off offset:768
	global_load_ushort v112, v[34:35], off offset:512
	ds_read_b64 v[36:37], v91 offset:3072
	ds_read_b64 v[38:39], v92 offset:3072
	global_load_ushort v113, v[34:35], off offset:800
	global_load_ushort v114, v[34:35], off offset:544
	;; [unrolled: 1-line block ×4, first 2 shown]
	s_load_dword s24, s[42:43], 0x0
	v_mfma_f32_16x16x16_bf16 a[4:7], v[44:45], v[40:41], a[4:7]
	s_and_b64 vcc, exec, s[0:1]
	s_waitcnt vmcnt(11) lgkmcnt(0)
	v_sub_f32_e32 v40, s24, v48
	v_mfma_f32_16x16x16_bf16 a[0:3], v[46:47], v[36:37], a[0:3]
	s_waitcnt vmcnt(10)
	v_sub_f32_e32 v45, s24, v49
	v_mul_f32_e32 v44, 0x3fb8aa3b, v40
	v_mul_f32_e32 v45, 0x3fb8aa3b, v45
	v_mfma_f32_16x16x16_bf16 a[4:7], v[46:47], v[38:39], a[4:7]
	s_waitcnt vmcnt(9)
	v_sub_f32_e32 v46, s24, v109
	s_waitcnt vmcnt(8)
	v_sub_f32_e32 v47, s24, v42
	v_mul_f32_e32 v46, 0x3fb8aa3b, v46
	v_mul_f32_e32 v47, 0x3fb8aa3b, v47
	v_exp_f32_e32 v44, v44
	v_exp_f32_e32 v45, v45
	;; [unrolled: 1-line block ×4, first 2 shown]
	v_accvgpr_read_b32 v39, a1
	v_accvgpr_read_b32 v35, a3
	;; [unrolled: 1-line block ×4, first 2 shown]
	s_waitcnt vmcnt(7)
	v_lshlrev_b32_e32 v41, 16, v43
	s_waitcnt vmcnt(6)
	v_lshlrev_b32_e32 v40, 16, v110
	;; [unrolled: 2-line block ×4, first 2 shown]
	v_pk_add_f32 v[38:39], v[40:41], v[38:39] neg_lo:[0,1] neg_hi:[0,1]
	v_pk_add_f32 v[34:35], v[42:43], v[34:35] neg_lo:[0,1] neg_hi:[0,1]
	v_pk_mul_f32 v[38:39], v[44:45], v[38:39]
	v_pk_mul_f32 v[34:35], v[46:47], v[34:35]
	v_accvgpr_read_b32 v41, a5
	v_perm_b32 v35, v35, v34, s3
	v_perm_b32 v34, v39, v38, s3
	s_waitcnt vmcnt(1)
	v_lshlrev_b32_e32 v39, 16, v115
	s_waitcnt vmcnt(0)
	v_lshlrev_b32_e32 v38, 16, v116
	v_accvgpr_read_b32 v40, a4
	v_accvgpr_read_b32 v37, a7
	;; [unrolled: 1-line block ×3, first 2 shown]
	v_pk_add_f32 v[38:39], v[38:39], v[40:41] neg_lo:[0,1] neg_hi:[0,1]
	v_lshlrev_b32_e32 v41, 16, v113
	v_lshlrev_b32_e32 v40, 16, v114
	v_pk_add_f32 v[36:37], v[40:41], v[36:37] neg_lo:[0,1] neg_hi:[0,1]
	v_pk_mul_f32 v[38:39], v[44:45], v[38:39]
	v_pk_mul_f32 v[36:37], v[46:47], v[36:37]
	v_mov_b32_e32 v109, 0
	v_perm_b32 v37, v37, v36, s3
	v_perm_b32 v36, v39, v38, s3
	ds_write2_b64 v78, v[34:35], v[36:37] offset1:16
	v_mov_b32_e32 v34, 0
	v_mov_b32_e32 v35, 0
	;; [unrolled: 1-line block ×16, first 2 shown]
	s_cbranch_vccnz .LBB498_14
; %bb.13:                               ;   in Loop: Header=BB498_6 Depth=1
	s_and_b32 s29, s29, 0xffff
	s_mov_b32 s31, s27
	buffer_load_dwordx4 v[46:49], v100, s[28:31], 0 offen
	buffer_load_dwordx4 v[38:41], v100, s[28:31], s59 offen
	;; [unrolled: 1-line block ×4, first 2 shown]
	v_mov_b32_e32 v108, v72
	v_mov_b32_e32 v109, v71
.LBB498_14:                             ;   in Loop: Header=BB498_6 Depth=1
	s_waitcnt lgkmcnt(0)
	s_barrier
	ds_read_b64 v[114:115], v57
	ds_read_b64 v[122:123], v96
	;; [unrolled: 1-line block ×5, first 2 shown]
	ds_read_b64 v[128:129], v97 offset:16384
	ds_read_b64 v[130:131], v95 offset:16384
	ds_read2_b64 v[110:113], v91 offset0:16 offset1:128
	s_waitcnt lgkmcnt(6)
	v_mfma_f32_16x16x16_bf16 a[0:3], v[114:115], v[122:123], 0
	ds_read_b64 v[132:133], v92 offset:3072
	ds_read_b64 v[134:135], v99 offset:16384
	s_add_i32 s25, s54, s62
	s_waitcnt lgkmcnt(2)
	v_mfma_f32_16x16x16_bf16 a[4:7], v[114:115], v[110:111], 0
	ds_read2st64_b64 v[114:117], v92 offset0:2 offset1:4
	s_mul_hi_i32 s29, s25, s17
	s_mul_i32 s25, s25, s17
	v_mfma_f32_16x16x16_bf16 a[0:3], v[118:119], v[112:113], a[0:3]
	s_add_u32 s28, s25, s49
	s_addc_u32 s29, s29, s51
	s_lshl_b64 s[28:29], s[28:29], 15
	s_waitcnt lgkmcnt(0)
	v_mfma_f32_16x16x16_bf16 a[4:7], v[118:119], v[114:115], a[4:7]
	ds_read2st64_b64 v[118:121], v91 offset0:4 offset1:6
	s_waitcnt lgkmcnt(0)
	v_mfma_f32_16x16x16_bf16 a[0:3], v[124:125], v[118:119], a[0:3]
	v_mfma_f32_16x16x16_bf16 a[8:11], v[124:125], v[116:117], a[4:7]
	;; [unrolled: 1-line block ×5, first 2 shown]
	ds_read2st64_b64 v[122:125], v94 offset1:8
	v_mfma_f32_16x16x16_bf16 a[12:15], v[130:131], v[110:111], 0
	ds_read_b64 v[130:131], v98 offset:16384
	v_mfma_f32_16x16x16_bf16 a[8:11], v[128:129], v[112:113], a[8:11]
	ds_read2st64_b64 v[110:113], v93 offset1:8
	s_waitcnt lgkmcnt(0)
	v_mov_b32_e32 v126, v110
	v_mfma_f32_16x16x16_bf16 a[12:15], v[128:129], v[114:115], a[12:15]
	v_lshl_add_u64 v[114:115], v[62:63], 0, s[28:29]
	v_add_co_u32_e32 v110, vcc, s39, v114
	v_mfma_f32_16x16x16_bf16 a[8:11], v[130:131], v[118:119], a[8:11]
	v_mov_b32_e32 v127, v111
	v_addc_co_u32_e32 v111, vcc, 0, v115, vcc
	v_mfma_f32_16x16x16_bf16 a[12:15], v[130:131], v[116:117], a[12:15]
	v_mov_b32_e32 v128, v122
	v_mov_b32_e32 v129, v123
	;; [unrolled: 1-line block ×3, first 2 shown]
	v_mfma_f32_16x16x16_bf16 a[8:11], v[134:135], v[120:121], a[8:11]
	v_mov_b32_e32 v123, v113
	s_and_b64 vcc, exec, s[0:1]
	global_store_dwordx4 v[114:115], v[126:129], off
	v_mfma_f32_16x16x16_bf16 a[12:15], v[134:135], v[132:133], a[12:15]
	global_store_dwordx4 v[110:111], v[122:125], off
	s_cbranch_vccnz .LBB498_16
; %bb.15:                               ;   in Loop: Header=BB498_6 Depth=1
	v_lshrrev_b32_e32 v110, 3, v108
	v_and_b32_e32 v110, 6, v110
	v_xor_b32_e32 v109, v110, v109
	v_lshlrev_b32_e32 v109, 2, v109
	v_and_b32_e32 v108, 8, v108
	v_xor_b32_e32 v111, 0x440, v109
	v_cmp_eq_u32_e32 vcc, 0, v108
	s_barrier
	s_nop 0
	v_cndmask_b32_e32 v108, v111, v109, vcc
	v_lshl_or_b32 v108, v110, 10, v108
	s_waitcnt vmcnt(3)
	v_perm_b32 v109, v46, v42, s60
	s_waitcnt vmcnt(2)
	v_perm_b32 v110, v38, v34, s60
	ds_write2st64_b32 v108, v109, v110 offset0:32 offset1:64
	v_xor_b32_e32 v109, 8, v108
	v_perm_b32 v42, v46, v42, s61
	v_perm_b32 v34, v38, v34, s61
	v_add_u32_e32 v38, 0x80, v109
	ds_write2st64_b32 v38, v42, v34 offset0:32 offset1:64
	v_xor_b32_e32 v34, 16, v108
	v_perm_b32 v38, v47, v43, s60
	v_perm_b32 v42, v39, v35, s60
	ds_write2st64_b32 v34, v38, v42 offset0:33 offset1:65
	v_xor_b32_e32 v34, 24, v108
	v_perm_b32 v38, v47, v43, s61
	v_perm_b32 v35, v39, v35, s61
	v_add_u32_e32 v34, 0x80, v34
	ds_write2st64_b32 v34, v38, v35 offset0:33 offset1:65
	v_xor_b32_e32 v34, 32, v108
	v_perm_b32 v35, v48, v44, s60
	;; [unrolled: 9-line block ×3, first 2 shown]
	v_perm_b32 v36, v41, v37, s60
	ds_write2st64_b32 v34, v35, v36 offset0:35 offset1:67
	v_xor_b32_e32 v34, 56, v108
	v_perm_b32 v35, v49, v45, s61
	v_perm_b32 v36, v41, v37, s61
	v_add_u32_e32 v34, 0x80, v34
	ds_write2st64_b32 v34, v35, v36 offset0:35 offset1:67
	ds_write_b64 v107, v[30:31] offset:24576
	v_xor_b32_e32 v30, 8, v107
	ds_write_b64 v30, v[32:33] offset:24576
	ds_write_b64 v107, v[26:27] offset:32768
	;; [unrolled: 1-line block ×4, first 2 shown]
	v_xor_b32_e32 v22, 8, v106
	ds_write_b64 v22, v[24:25] offset:24576
	ds_write_b64 v106, v[18:19] offset:32768
	;; [unrolled: 1-line block ×3, first 2 shown]
.LBB498_16:                             ;   in Loop: Header=BB498_6 Depth=1
	v_mul_f32_e32 v18, s24, v105
	s_waitcnt vmcnt(2)
	v_exp_f32_e32 v34, v18
	v_accvgpr_read_b32 v33, a7
	v_accvgpr_read_b32 v25, a3
	;; [unrolled: 1-line block ×16, first 2 shown]
	s_add_i32 s57, s57, 64
	v_fma_f32 v2, v2, v34, v30
	v_fma_f32 v3, v3, v34, v31
	v_fma_f32 v4, v4, v34, v32
	v_fmac_f32_e32 v33, v5, v34
	v_fma_f32 v10, v10, v34, v22
	v_fma_f32 v11, v11, v34, v23
	v_fma_f32 v12, v12, v34, v24
	v_fmac_f32_e32 v25, v13, v34
	;; [unrolled: 4-line block ×3, first 2 shown]
	v_fma_f32 v14, v14, v34, v18
	v_fma_f32 v15, v15, v34, v19
	;; [unrolled: 1-line block ×3, first 2 shown]
	s_cmp_eq_u32 s50, s41
	v_fmac_f32_e32 v21, v17, v34
	s_cbranch_scc1 .LBB498_18
; %bb.17:                               ;   in Loop: Header=BB498_6 Depth=1
	s_mov_b32 s62, s41
	v_mov_b32_e32 v5, v33
	v_mov_b32_e32 v9, v29
	;; [unrolled: 1-line block ×4, first 2 shown]
	s_branch .LBB498_6
.LBB498_18:
	v_mov_b32_e32 v5, v33
	v_mov_b32_e32 v9, v29
	;; [unrolled: 1-line block ×4, first 2 shown]
.LBB498_19:
	s_lshl_b32 s30, s50, 6
	s_sub_i32 s31, s52, s30
	s_cmp_gt_i32 s31, 0
	s_cbranch_scc0 .LBB498_84
; %bb.20:
	s_add_i32 s30, s30, s36
	s_ashr_i32 s3, s30, 31
	s_cmpk_lg_i32 s19, 0x80
	s_cselect_b64 s[26:27], -1, 0
	s_and_b64 vcc, exec, s[26:27]
	s_cbranch_vccz .LBB498_22
; %bb.21:
	s_mul_hi_i32 s0, s30, s18
	s_mul_i32 s1, s30, s18
	s_ashr_i32 s18, s53, 31
	s_add_u32 s28, s1, s53
	s_addc_u32 s29, s0, s18
	s_cbranch_execz .LBB498_23
	s_branch .LBB498_24
.LBB498_22:
                                        ; implicit-def: $sgpr28_sgpr29
.LBB498_23:
	s_mul_i32 s1, s53, s16
	s_mul_hi_i32 s0, s53, s16
	s_add_u32 s28, s1, s30
	s_addc_u32 s29, s0, s3
.LBB498_24:
	s_add_i32 s16, s50, s54
	s_add_u32 s0, s56, s30
	v_lshlrev_b32_e32 v22, 5, v69
	v_lshlrev_b32_e32 v38, 2, v66
	s_addc_u32 s1, s55, s3
	s_mov_b32 s3, 0x7060302
	v_or_b32_e32 v25, v22, v38
	v_xor_b32_e32 v23, v69, v38
	s_waitcnt vmcnt(3)
	v_perm_b32 v19, v5, v4, s3
	v_perm_b32 v18, v3, v2, s3
	s_waitcnt vmcnt(2)
	v_perm_b32 v21, v9, v8, s3
	v_perm_b32 v20, v7, v6, s3
	v_lshlrev_b32_e32 v25, 1, v25
	v_xor_b32_e32 v24, v70, v38
	ds_write2st64_b64 v25, v[18:19], v[20:21] offset0:80 offset1:88
	v_lshlrev_b32_e32 v23, 1, v23
	v_lshlrev_b32_e32 v25, 8, v66
	s_lshl_b64 s[24:25], s[0:1], 8
	v_or_b32_e32 v26, v23, v25
	v_lshlrev_b32_e32 v24, 1, v24
	s_add_u32 s0, s6, s24
	ds_write_b64 v26, v[18:19]
	v_or_b32_e32 v18, v24, v25
	s_addc_u32 s1, s7, s25
	ds_write_b64 v18, v[20:21]
	s_waitcnt vmcnt(1)
	v_perm_b32 v19, v13, v12, s3
	v_perm_b32 v18, v11, v10, s3
	s_waitcnt vmcnt(0)
	v_perm_b32 v21, v17, v16, s3
	v_perm_b32 v20, v15, v14, s3
	v_or_b32_e32 v25, 16, v66
	s_mul_hi_i32 s3, s16, s17
	s_mul_i32 s16, s16, s17
	v_lshlrev_b32_e32 v35, 2, v25
	s_add_u32 s6, s16, s49
	v_or_b32_e32 v22, v22, v35
	s_addc_u32 s7, s3, s51
	v_lshlrev_b32_e32 v22, 1, v22
	s_ashr_i32 s3, s2, 31
	s_lshl_b64 s[6:7], s[6:7], 15
	ds_write2st64_b64 v22, v[18:19], v[20:21] offset0:80 offset1:88
	v_lshlrev_b32_e32 v22, 8, v25
	s_add_u32 s6, s22, s6
	v_or_b32_e32 v23, v23, v22
	s_addc_u32 s7, s23, s7
	s_lshl_b64 s[2:3], s[2:3], 8
	ds_write_b64 v23, v[18:19]
	v_or_b32_e32 v18, v24, v22
	s_add_u32 s2, s6, s2
	ds_write_b64 v18, v[20:21]
	v_lshrrev_b32_e32 v18, 4, v0
	s_addc_u32 s3, s7, s3
	v_lshlrev_b32_e32 v19, 1, v66
	v_lshlrev_b32_e32 v26, 4, v66
	v_mov_b32_e32 v27, 0
	v_or_b32_e32 v20, 1, v19
	v_xor_b32_e32 v19, v18, v19
	v_lshl_add_u64 v[28:29], s[2:3], 0, v[26:27]
	v_lshlrev_b32_e32 v26, 8, v18
	v_xor_b32_e32 v22, v20, v18
	v_lshl_or_b32 v18, v19, 3, v26
	s_waitcnt lgkmcnt(0)
	s_barrier
	ds_read2st64_b64 v[18:21], v18 offset1:8
	v_lshl_or_b32 v22, v22, 3, v26
	ds_read2st64_b64 v[22:25], v22 offset1:8
	v_lshl_add_u64 v[30:31], v[28:29], 0, v[26:27]
	s_movk_i32 s2, 0x1000
	s_waitcnt lgkmcnt(1)
	v_mov_b32_e32 v26, v18
	v_add_co_u32_e32 v18, vcc, s2, v30
	s_cmp_lg_u32 s31, 64
	v_mov_b32_e32 v27, v19
	v_addc_co_u32_e32 v19, vcc, 0, v31, vcc
	s_cselect_b64 s[6:7], -1, 0
	v_lshl_or_b32 v42, v1, 3, v68
	s_waitcnt lgkmcnt(0)
	v_mov_b32_e32 v28, v22
	v_mov_b32_e32 v29, v23
	;; [unrolled: 1-line block ×4, first 2 shown]
	s_mov_b32 s20, 0
	v_or_b32_e32 v36, 32, v42
	v_and_b32_e32 v34, 56, v67
	s_and_b64 vcc, exec, s[6:7]
	global_store_dwordx4 v[30:31], v[26:29], off
	global_store_dwordx4 v[18:19], v[22:25], off
	s_cbranch_vccz .LBB498_30
; %bb.25:
	s_mov_b32 s22, s20
	s_mov_b32 s23, s20
	;; [unrolled: 1-line block ×3, first 2 shown]
	v_mov_b64_e32 v[24:25], s[22:23]
	v_mov_b64_e32 v[22:23], s[20:21]
	;; [unrolled: 1-line block ×3, first 2 shown]
	v_cmp_gt_i32_e32 vcc, s31, v42
	v_mov_b64_e32 v[20:21], v[24:25]
	s_and_saveexec_b64 s[2:3], vcc
	s_cbranch_execz .LBB498_27
; %bb.26:
	v_lshlrev_b32_e32 v18, 8, v42
	v_mov_b32_e32 v19, 0
	v_lshl_add_u64 v[20:21], s[0:1], 0, v[18:19]
	v_lshlrev_b32_e32 v18, 1, v34
	v_lshl_add_u64 v[26:27], v[20:21], 0, v[18:19]
	global_load_dwordx4 v[22:25], v[26:27], off
	global_load_dwordx4 v[18:21], v[26:27], off offset:128
.LBB498_27:
	s_or_b64 exec, exec, s[2:3]
	s_mov_b32 s22, s20
	s_mov_b32 s23, s20
	;; [unrolled: 1-line block ×3, first 2 shown]
	v_mov_b64_e32 v[32:33], s[22:23]
	v_mov_b64_e32 v[30:31], s[20:21]
	;; [unrolled: 1-line block ×3, first 2 shown]
	v_cmp_gt_i32_e32 vcc, s31, v36
	v_lshlrev_b32_e32 v37, 7, v36
	v_mov_b64_e32 v[28:29], v[32:33]
	s_and_saveexec_b64 s[2:3], vcc
	s_cbranch_execz .LBB498_29
; %bb.28:
	v_lshlrev_b32_e32 v26, 1, v37
	v_mov_b32_e32 v27, 0
	v_lshl_add_u64 v[28:29], s[0:1], 0, v[26:27]
	v_lshlrev_b32_e32 v26, 1, v34
	v_lshl_add_u64 v[40:41], v[28:29], 0, v[26:27]
	global_load_dwordx4 v[30:33], v[40:41], off
	global_load_dwordx4 v[26:29], v[40:41], off offset:128
.LBB498_29:
	s_or_b64 exec, exec, s[2:3]
	v_lshrrev_b32_e32 v39, 3, v34
	v_lshlrev_b32_e32 v40, 3, v42
	v_or_b32_e32 v39, v40, v39
	v_lshlrev_b32_e32 v39, 4, v39
	v_and_b32_e32 v40, 0x78, v40
	v_xor_b32_e32 v39, v39, v40
	s_branch .LBB498_32
.LBB498_30:
                                        ; implicit-def: $vgpr39
                                        ; implicit-def: $vgpr37
                                        ; implicit-def: $vgpr22_vgpr23_vgpr24_vgpr25
                                        ; implicit-def: $vgpr18_vgpr19_vgpr20_vgpr21
                                        ; implicit-def: $vgpr30_vgpr31_vgpr32_vgpr33
                                        ; implicit-def: $vgpr26_vgpr27_vgpr28_vgpr29
	s_cbranch_execz .LBB498_32
; %bb.31:
	s_waitcnt vmcnt(0)
	v_lshlrev_b32_e32 v18, 1, v34
	v_lshl_or_b32 v37, v42, 8, v18
	s_and_b32 s1, s1, 0xffff
	s_mov_b32 s3, 0x20000
	s_movk_i32 s2, 0x4000
	v_lshl_or_b32 v39, v36, 8, v18
	s_movk_i32 s16, 0x80
	buffer_load_dwordx4 v[22:25], v37, s[0:3], 0 offen
	buffer_load_dwordx4 v[18:21], v37, s[0:3], s16 offen
	;; [unrolled: 1-line block ×4, first 2 shown]
	v_lshrrev_b32_e32 v37, 3, v34
	v_lshlrev_b32_e32 v39, 3, v42
	v_or_b32_e32 v37, v39, v37
	v_lshlrev_b32_e32 v37, 4, v37
	v_and_b32_e32 v39, 0x78, v39
	v_xor_b32_e32 v39, v37, v39
	v_lshlrev_b32_e32 v37, 7, v36
.LBB498_32:
	s_lshl_b64 s[0:1], s[28:29], 8
	s_add_u32 s4, s4, s0
	s_movk_i32 s0, 0x1000
	v_and_or_b32 v36, v37, s0, v39
	s_waitcnt vmcnt(1)
	ds_write_b64 v39, v[22:23] offset:24576
	v_xor_b32_e32 v22, 8, v39
	ds_write_b64 v22, v[24:25] offset:24576
	s_waitcnt vmcnt(0)
	ds_write_b64 v39, v[18:19] offset:32768
	ds_write_b64 v22, v[20:21] offset:32768
	;; [unrolled: 1-line block ×3, first 2 shown]
	v_xor_b32_e32 v18, 8, v36
	ds_write_b64 v18, v[32:33] offset:24576
	ds_write_b64 v36, v[26:27] offset:32768
	;; [unrolled: 1-line block ×3, first 2 shown]
	v_or_b32_e32 v18, v64, v66
	v_lshlrev_b32_e32 v18, 3, v18
	v_lshrrev_b32_e32 v19, 5, v51
	s_movk_i32 s3, 0xf8
	v_and_or_b32 v19, v18, s3, v19
	v_lshlrev_b32_e32 v23, 4, v19
	v_lshlrev_b32_e32 v39, 11, v1
	v_and_b32_e32 v24, 0x78, v18
	v_or_b32_e32 v26, 32, v23
	v_and_b32_e32 v22, 0x1000, v39
	v_lshrrev_b32_e32 v19, 1, v51
	v_xor_b32_e32 v26, v26, v24
	v_xor_b32_e32 v18, v23, v24
	v_and_b32_e32 v25, 8, v19
	v_or_b32_e32 v26, v26, v22
	v_or_b32_e32 v18, v18, v22
	v_xor_b32_e32 v44, v26, v25
	v_or_b32_e32 v26, 64, v23
	v_xor_b32_e32 v43, v18, v25
	v_xor_b32_e32 v26, v26, v24
	s_waitcnt lgkmcnt(0)
	s_barrier
	v_or_b32_e32 v28, v26, v22
	ds_read_b64 v[26:27], v43 offset:24576
	v_lshl_or_b32 v36, v65, 7, v38
	v_lshlrev_b32_e32 v40, 1, v36
	v_add_u32_e32 v18, 0xa000, v40
	ds_read2_b64 v[18:21], v18 offset1:16
	v_or_b32_e32 v23, 0x60, v23
	v_xor_b32_e32 v23, v23, v24
	s_waitcnt lgkmcnt(0)
	v_mfma_f32_16x16x16_bf16 a[0:3], v[26:27], v[18:19], 0
	v_or_b32_e32 v18, 64, v36
	v_or_b32_e32 v22, v23, v22
	v_lshlrev_b32_e32 v41, 1, v18
	v_xor_b32_e32 v45, v28, v25
	v_xor_b32_e32 v46, v22, v25
	ds_read_b64 v[28:29], v44 offset:24576
	ds_read_b64 v[30:31], v45 offset:24576
	;; [unrolled: 1-line block ×3, first 2 shown]
	v_mfma_f32_16x16x16_bf16 a[4:7], v[26:27], v[20:21], 0
	ds_read2st64_b64 v[18:21], v41 offset0:82 offset1:84
	ds_read2st64_b64 v[22:25], v40 offset0:82 offset1:84
	s_addc_u32 s5, s5, s1
	s_add_i32 s1, s45, s33
	s_add_i32 s0, s37, -1
	s_add_i32 s39, s1, s46
	s_add_i32 s1, s47, s44
	;; [unrolled: 1-line block ×3, first 2 shown]
	s_ashr_i32 s1, s0, 31
	s_mul_i32 s2, s0, s35
	s_mul_hi_u32 s3, s0, s34
	s_add_i32 s2, s3, s2
	s_mul_i32 s1, s1, s34
	s_waitcnt lgkmcnt(1)
	v_mfma_f32_16x16x16_bf16 a[4:7], v[28:29], v[18:19], a[4:7]
	s_add_i32 s1, s2, s1
	s_lshl_b64 s[2:3], s[38:39], 2
	s_add_u32 s10, s10, s2
	s_waitcnt lgkmcnt(0)
	v_mfma_f32_16x16x16_bf16 a[0:3], v[28:29], v[22:23], a[0:3]
	s_addc_u32 s11, s11, s3
	s_lshl_b64 s[2:3], s[40:41], 2
	s_mul_i32 s0, s0, s34
	s_add_u32 s10, s10, s2
	ds_read_b64 v[18:19], v40 offset:44032
	v_mfma_f32_16x16x16_bf16 a[4:7], v[30:31], v[20:21], a[4:7]
	ds_read_b64 v[20:21], v41 offset:44032
	s_addc_u32 s11, s11, s3
	s_lshl_b64 s[0:1], s[0:1], 2
	v_mfma_f32_16x16x16_bf16 a[0:3], v[30:31], v[24:25], a[0:3]
	s_add_u32 s0, s10, s0
	s_addc_u32 s1, s11, s1
	s_load_dword s16, s[0:1], 0x0
	s_waitcnt lgkmcnt(0)
	v_mfma_f32_16x16x16_bf16 a[0:3], v[32:33], v[18:19], a[0:3]
	s_and_b64 vcc, exec, s[26:27]
	v_mfma_f32_16x16x16_bf16 a[4:7], v[32:33], v[20:21], a[4:7]
	s_cbranch_vccz .LBB498_43
; %bb.33:
	v_lshlrev_b32_e32 v36, 1, v42
	s_and_b64 vcc, exec, s[6:7]
	s_cbranch_vccz .LBB498_44
; %bb.34:
	v_cmp_gt_i32_e32 vcc, s31, v36
	v_mov_b32_e32 v22, 0
	v_mov_b32_e32 v18, 0
	;; [unrolled: 1-line block ×5, first 2 shown]
	s_and_saveexec_b64 s[0:1], vcc
	s_cbranch_execz .LBB498_36
; %bb.35:
	v_mad_i64_i32 v[18:19], s[2:3], s19, v36, 0
	v_lshl_add_u64 v[18:19], v[18:19], 1, s[4:5]
	v_lshlrev_b32_e32 v20, 1, v34
	v_mov_b32_e32 v21, 0
	v_lshl_add_u64 v[18:19], v[18:19], 0, v[20:21]
	global_load_dwordx4 v[18:21], v[18:19], off
.LBB498_36:
	s_or_b64 exec, exec, s[0:1]
	v_or_b32_e32 v37, 1, v36
	v_cmp_gt_i32_e64 s[0:1], s31, v37
	v_mov_b32_e32 v23, 0
	v_mov_b32_e32 v24, 0
	;; [unrolled: 1-line block ×3, first 2 shown]
	s_and_saveexec_b64 s[2:3], s[0:1]
	s_cbranch_execz .LBB498_38
; %bb.37:
	v_mad_i64_i32 v[22:23], s[20:21], s19, v37, 0
	v_lshl_add_u64 v[22:23], v[22:23], 1, s[4:5]
	v_lshlrev_b32_e32 v24, 1, v34
	v_mov_b32_e32 v25, 0
	v_lshl_add_u64 v[22:23], v[22:23], 0, v[24:25]
	global_load_dwordx4 v[22:25], v[22:23], off
.LBB498_38:
	s_or_b64 exec, exec, s[2:3]
	v_mov_b32_e32 v33, 0
	v_mov_b32_e32 v26, 0
	v_mov_b32_e32 v27, 0
	v_mov_b32_e32 v28, 0
	v_mov_b32_e32 v29, 0
	s_and_saveexec_b64 s[2:3], vcc
	s_cbranch_execz .LBB498_40
; %bb.39:
	v_mad_i64_i32 v[26:27], s[20:21], s19, v36, 0
	v_lshl_add_u64 v[26:27], v[26:27], 1, s[4:5]
	v_lshlrev_b32_e32 v28, 1, v34
	v_mov_b32_e32 v29, 0
	v_lshl_add_u64 v[26:27], v[26:27], 0, v[28:29]
	global_load_dwordx4 v[26:29], v[26:27], off offset:128
.LBB498_40:
	s_or_b64 exec, exec, s[2:3]
	v_mov_b32_e32 v32, 0
	v_mov_b32_e32 v31, 0
	;; [unrolled: 1-line block ×3, first 2 shown]
	s_and_saveexec_b64 s[2:3], s[0:1]
	s_cbranch_execz .LBB498_42
; %bb.41:
	v_mad_i64_i32 v[30:31], s[0:1], s19, v37, 0
	v_lshl_add_u64 v[30:31], v[30:31], 1, s[4:5]
	v_lshlrev_b32_e32 v32, 1, v34
	v_mov_b32_e32 v33, 0
	v_lshl_add_u64 v[30:31], v[30:31], 0, v[32:33]
	global_load_dwordx4 v[30:33], v[30:31], off offset:128
.LBB498_42:
	s_or_b64 exec, exec, s[2:3]
	s_branch .LBB498_46
.LBB498_43:
                                        ; implicit-def: $vgpr21
                                        ; implicit-def: $vgpr25
                                        ; implicit-def: $vgpr29
                                        ; implicit-def: $vgpr33
	v_lshrrev_b32_e32 v47, 2, v51
	s_branch .LBB498_47
.LBB498_44:
                                        ; implicit-def: $vgpr21
                                        ; implicit-def: $vgpr25
                                        ; implicit-def: $vgpr29
                                        ; implicit-def: $vgpr33
	s_cbranch_execz .LBB498_46
; %bb.45:
	s_waitcnt vmcnt(0)
	v_mad_u64_u32 v[18:19], s[0:1], v36, s19, v[34:35]
	v_lshlrev_b32_e32 v36, 1, v18
	s_lshl_b32 s2, s19, 7
	s_and_b32 s1, s5, 0xffff
	s_mov_b32 s3, 0x20000
	s_mov_b32 s0, s4
	v_add_lshl_u32 v37, v18, s19, 1
	s_movk_i32 s17, 0x80
	buffer_load_dwordx4 v[18:21], v36, s[0:3], 0 offen
	buffer_load_dwordx4 v[26:29], v36, s[0:3], s17 offen
	buffer_load_dwordx4 v[22:25], v37, s[0:3], 0 offen
	buffer_load_dwordx4 v[30:33], v37, s[0:3], s17 offen
.LBB498_46:
	v_lshrrev_b32_e32 v47, 2, v51
	s_cbranch_execnz .LBB498_59
.LBB498_47:
	s_and_b64 vcc, exec, s[6:7]
	s_cbranch_vccz .LBB498_57
; %bb.48:
	s_waitcnt vmcnt(0)
	v_lshlrev_b32_e32 v23, 1, v42
	v_cmp_gt_i32_e32 vcc, s31, v23
	v_mov_b32_e32 v22, 0
	v_lshlrev_b32_e32 v30, 9, v42
	v_mov_b32_e32 v18, 0
	v_mov_b32_e32 v19, 0
	;; [unrolled: 1-line block ×4, first 2 shown]
	s_and_saveexec_b64 s[0:1], vcc
	s_cbranch_execz .LBB498_50
; %bb.49:
	v_mov_b32_e32 v31, 0
	v_lshl_add_u64 v[18:19], s[4:5], 0, v[30:31]
	v_lshlrev_b32_e32 v20, 1, v34
	v_mov_b32_e32 v21, v31
	v_lshl_add_u64 v[18:19], v[18:19], 0, v[20:21]
	global_load_dwordx4 v[18:21], v[18:19], off
.LBB498_50:
	s_or_b64 exec, exec, s[0:1]
	v_or_b32_e32 v23, 1, v23
	v_cmp_gt_i32_e64 s[0:1], s31, v23
	v_lshlrev_b32_e32 v36, 8, v23
	v_mov_b32_e32 v23, 0
	v_mov_b32_e32 v24, 0
	;; [unrolled: 1-line block ×3, first 2 shown]
	s_and_saveexec_b64 s[2:3], s[0:1]
	s_cbranch_execz .LBB498_52
; %bb.51:
	v_mov_b32_e32 v37, 0
	v_lshl_add_u64 v[22:23], s[4:5], 0, v[36:37]
	v_lshlrev_b32_e32 v24, 1, v34
	v_mov_b32_e32 v25, v37
	v_lshl_add_u64 v[22:23], v[22:23], 0, v[24:25]
	global_load_dwordx4 v[22:25], v[22:23], off
.LBB498_52:
	s_or_b64 exec, exec, s[2:3]
	v_mov_b32_e32 v33, 0
	v_mov_b32_e32 v26, 0
	;; [unrolled: 1-line block ×5, first 2 shown]
	s_and_saveexec_b64 s[2:3], vcc
	s_cbranch_execz .LBB498_54
; %bb.53:
	v_mov_b32_e32 v31, 0
	v_lshl_add_u64 v[26:27], s[4:5], 0, v[30:31]
	v_lshlrev_b32_e32 v30, 1, v34
	v_lshl_add_u64 v[26:27], v[26:27], 0, v[30:31]
	global_load_dwordx4 v[26:29], v[26:27], off offset:128
.LBB498_54:
	s_or_b64 exec, exec, s[2:3]
	v_mov_b32_e32 v32, 0
	v_mov_b32_e32 v31, 0
	;; [unrolled: 1-line block ×3, first 2 shown]
	s_and_saveexec_b64 s[2:3], s[0:1]
	s_cbranch_execz .LBB498_56
; %bb.55:
	v_mov_b32_e32 v37, 0
	v_lshl_add_u64 v[30:31], s[4:5], 0, v[36:37]
	v_lshlrev_b32_e32 v36, 1, v34
	v_lshl_add_u64 v[30:31], v[30:31], 0, v[36:37]
	global_load_dwordx4 v[30:33], v[30:31], off offset:128
.LBB498_56:
	s_or_b64 exec, exec, s[2:3]
	s_branch .LBB498_59
.LBB498_57:
                                        ; implicit-def: $vgpr21
                                        ; implicit-def: $vgpr25
                                        ; implicit-def: $vgpr29
                                        ; implicit-def: $vgpr33
	s_cbranch_execz .LBB498_59
; %bb.58:
	s_waitcnt vmcnt(0)
	v_lshlrev_b32_e32 v18, 1, v34
	v_lshl_or_b32 v34, v42, 9, v18
	s_and_b32 s5, s5, 0xffff
	s_mov_b32 s7, 0x20000
	s_movk_i32 s6, 0x4000
	s_movk_i32 s0, 0x80
	buffer_load_dwordx4 v[18:21], v34, s[4:7], 0 offen
	buffer_load_dwordx4 v[22:25], v34, s[4:7], 0 offen offset:256
	buffer_load_dwordx4 v[26:29], v34, s[4:7], s0 offen
	buffer_load_dwordx4 v[30:33], v34, s[4:7], s0 offen offset:256
.LBB498_59:
	ds_read_b64 v[36:37], v43 offset:32768
	v_add_u32_e32 v34, 0xb000, v40
	ds_read2_b64 v[58:61], v34 offset1:16
	ds_read_b64 v[48:49], v44 offset:32768
	ds_read_b64 v[44:45], v45 offset:32768
	;; [unrolled: 1-line block ×3, first 2 shown]
	v_and_b32_e32 v34, 6, v0
	v_xor_b32_e32 v42, v42, v34
	v_lshlrev_b32_e32 v42, 2, v42
	v_and_b32_e32 v43, 1, v0
	v_xor_b32_e32 v46, 0x440, v42
	v_cmp_eq_u32_e32 vcc, 0, v43
	s_waitcnt lgkmcnt(3)
	v_mfma_f32_16x16x16_bf16 a[0:3], v[36:37], v[58:59], a[0:3]
	s_mov_b32 s0, 0x1000504
	v_cndmask_b32_e32 v42, v46, v42, vcc
	v_lshl_or_b32 v34, v34, 10, v42
	v_mfma_f32_16x16x16_bf16 a[4:7], v[36:37], v[60:61], a[4:7]
	ds_read2st64_b64 v[58:61], v40 offset0:90 offset1:92
	ds_read2st64_b64 v[66:69], v41 offset0:90 offset1:92
	s_waitcnt vmcnt(0)
	v_perm_b32 v42, v18, v22, s0
	s_mov_b32 s1, 0x3020706
	s_waitcnt lgkmcnt(1)
	v_mfma_f32_16x16x16_bf16 a[0:3], v[48:49], v[58:59], a[0:3]
	ds_read_b64 v[36:37], v40 offset:48128
	ds_read_b64 v[58:59], v41 offset:48128
	v_perm_b32 v18, v18, v22, s1
	v_perm_b32 v22, v26, v30, s1
	s_waitcnt lgkmcnt(2)
	v_mfma_f32_16x16x16_bf16 a[4:7], v[48:49], v[66:67], a[4:7]
	v_mfma_f32_16x16x16_bf16 a[0:3], v[44:45], v[60:61], a[0:3]
	;; [unrolled: 1-line block ×3, first 2 shown]
	s_waitcnt lgkmcnt(1)
	v_mfma_f32_16x16x16_bf16 a[4:7], v[62:63], v[36:37], a[0:3]
	v_perm_b32 v36, v26, v30, s0
	ds_write2st64_b32 v34, v42, v36 offset0:32 offset1:64
	v_xor_b32_e32 v36, 8, v34
	v_add_u32_e32 v26, 0x80, v36
	ds_write2st64_b32 v26, v18, v22 offset0:32 offset1:64
	v_xor_b32_e32 v18, 16, v34
	v_perm_b32 v22, v19, v23, s0
	v_perm_b32 v26, v27, v31, s0
	ds_write2st64_b32 v18, v22, v26 offset0:33 offset1:65
	v_xor_b32_e32 v18, 24, v34
	v_perm_b32 v19, v19, v23, s1
	v_perm_b32 v22, v27, v31, s1
	v_add_u32_e32 v18, 0x80, v18
	ds_write2st64_b32 v18, v19, v22 offset0:33 offset1:65
	v_xor_b32_e32 v18, 32, v34
	v_perm_b32 v19, v20, v24, s0
	v_perm_b32 v22, v28, v32, s0
	ds_write2st64_b32 v18, v19, v22 offset0:34 offset1:66
	v_xor_b32_e32 v18, 40, v34
	s_waitcnt lgkmcnt(5)
	v_mfma_f32_16x16x16_bf16 a[0:3], v[62:63], v[58:59], a[8:11]
	v_perm_b32 v19, v20, v24, s1
	v_perm_b32 v20, v28, v32, s1
	v_add_u32_e32 v18, 0x80, v18
	ds_write2st64_b32 v18, v19, v20 offset0:34 offset1:66
	v_xor_b32_e32 v18, 48, v34
	v_perm_b32 v19, v21, v25, s0
	v_perm_b32 v20, v29, v33, s0
	ds_write2st64_b32 v18, v19, v20 offset0:35 offset1:67
	v_xor_b32_e32 v18, 56, v34
	v_and_or_b32 v36, v47, 12, v64
	v_perm_b32 v19, v21, v25, s1
	v_perm_b32 v20, v29, v33, s1
	v_add_u32_e32 v18, 0x80, v18
	v_cmp_gt_i32_e32 vcc, s31, v36
	v_mov_b32_e32 v32, 0
	v_mov_b32_e32 v34, 0
	ds_write2st64_b32 v18, v19, v20 offset0:35 offset1:67
	s_and_saveexec_b64 s[0:1], vcc
	s_cbranch_execz .LBB498_61
; %bb.60:
	v_add_u32_e32 v18, s30, v36
	v_ashrrev_i32_e32 v19, 31, v18
	v_mul_lo_u32 v20, v19, s34
	v_mul_lo_u32 v21, v18, s35
	v_mad_u64_u32 v[18:19], s[2:3], v18, s34, 0
	v_add3_u32 v19, v19, v21, v20
	v_lshl_add_u64 v[18:19], v[18:19], 2, s[10:11]
	global_load_dword v18, v[18:19], off
	s_waitcnt vmcnt(0)
	v_sub_f32_e32 v18, s16, v18
	v_mul_f32_e32 v18, 0x3fb8aa3b, v18
	v_exp_f32_e32 v34, v18
.LBB498_61:
	s_or_b64 exec, exec, s[0:1]
	v_or_b32_e32 v26, 1, v36
	v_cmp_gt_i32_e64 s[0:1], s31, v26
	s_and_saveexec_b64 s[2:3], s[0:1]
	s_cbranch_execz .LBB498_63
; %bb.62:
	v_add_u32_e32 v18, s30, v26
	v_ashrrev_i32_e32 v19, 31, v18
	v_mul_lo_u32 v20, v19, s34
	v_mul_lo_u32 v21, v18, s35
	v_mad_u64_u32 v[18:19], s[4:5], v18, s34, 0
	v_add3_u32 v19, v19, v21, v20
	v_lshl_add_u64 v[18:19], v[18:19], 2, s[10:11]
	global_load_dword v18, v[18:19], off
	s_waitcnt vmcnt(0)
	v_sub_f32_e32 v18, s16, v18
	v_mul_f32_e32 v18, 0x3fb8aa3b, v18
	v_exp_f32_e32 v32, v18
.LBB498_63:
	s_or_b64 exec, exec, s[2:3]
	v_or_b32_e32 v27, 2, v36
	v_cmp_gt_i32_e64 s[2:3], s31, v27
	v_mov_b32_e32 v33, 0
	v_mov_b32_e32 v37, 0
	s_and_saveexec_b64 s[4:5], s[2:3]
	s_cbranch_execz .LBB498_65
; %bb.64:
	v_add_u32_e32 v18, s30, v27
	v_ashrrev_i32_e32 v19, 31, v18
	v_mul_lo_u32 v20, v19, s34
	v_mul_lo_u32 v21, v18, s35
	v_mad_u64_u32 v[18:19], s[6:7], v18, s34, 0
	v_add3_u32 v19, v19, v21, v20
	v_lshl_add_u64 v[18:19], v[18:19], 2, s[10:11]
	global_load_dword v18, v[18:19], off
	s_waitcnt vmcnt(0)
	v_sub_f32_e32 v18, s16, v18
	v_mul_f32_e32 v18, 0x3fb8aa3b, v18
	v_exp_f32_e32 v37, v18
.LBB498_65:
	s_or_b64 exec, exec, s[4:5]
	v_or_b32_e32 v42, 3, v36
	v_cmp_gt_i32_e64 s[4:5], s31, v42
	s_and_saveexec_b64 s[6:7], s[4:5]
	s_cbranch_execz .LBB498_67
; %bb.66:
	v_add_u32_e32 v18, s30, v42
	v_ashrrev_i32_e32 v19, 31, v18
	v_mul_lo_u32 v20, v19, s34
	v_mul_lo_u32 v21, v18, s35
	v_mad_u64_u32 v[18:19], s[18:19], v18, s34, 0
	v_add3_u32 v19, v19, v21, v20
	v_lshl_add_u64 v[18:19], v[18:19], 2, s[10:11]
	global_load_dword v18, v[18:19], off
	s_waitcnt vmcnt(0)
	v_sub_f32_e32 v18, s16, v18
	v_mul_f32_e32 v18, 0x3fb8aa3b, v18
	v_exp_f32_e32 v33, v18
.LBB498_67:
	s_or_b64 exec, exec, s[6:7]
	s_add_u32 s6, s8, s24
	v_accvgpr_read_b32 v21, a7
	s_addc_u32 s7, s9, s25
	v_ashrrev_i32_e32 v57, 31, v56
	v_accvgpr_read_b32 v20, a6
	v_accvgpr_read_b32 v19, a5
	;; [unrolled: 1-line block ×3, first 2 shown]
	v_lshl_add_u64 v[22:23], v[56:57], 1, s[6:7]
	v_mov_b32_e32 v29, 0
	v_lshlrev_b32_e32 v24, 8, v36
	v_mov_b32_e32 v25, 0
	s_and_saveexec_b64 s[6:7], vcc
	s_cbranch_execz .LBB498_69
; %bb.68:
	v_mov_b32_e32 v25, 0
	v_lshl_add_u64 v[30:31], v[22:23], 0, v[24:25]
	global_load_ushort v25, v[30:31], off
	s_waitcnt vmcnt(0)
	v_lshlrev_b32_e32 v25, 16, v25
	v_sub_f32_e32 v18, v25, v18
	v_mul_f32_e32 v18, v34, v18
	v_lshrrev_b32_e32 v25, 16, v18
.LBB498_69:
	s_or_b64 exec, exec, s[6:7]
	v_lshlrev_b32_e32 v28, 8, v26
	s_and_saveexec_b64 s[6:7], s[0:1]
	s_cbranch_execz .LBB498_71
; %bb.70:
	v_mov_b32_e32 v29, 0
	v_lshl_add_u64 v[30:31], v[22:23], 0, v[28:29]
	global_load_ushort v18, v[30:31], off
	s_waitcnt vmcnt(0)
	v_lshlrev_b32_e32 v18, 16, v18
	v_sub_f32_e32 v18, v18, v19
	v_mul_f32_e32 v18, v32, v18
	v_lshrrev_b32_e32 v29, 16, v18
.LBB498_71:
	s_or_b64 exec, exec, s[6:7]
	v_mov_b32_e32 v43, 0
	v_lshlrev_b32_e32 v30, 8, v27
	v_mov_b32_e32 v31, 0
	s_and_saveexec_b64 s[6:7], s[2:3]
	s_cbranch_execz .LBB498_73
; %bb.72:
	v_mov_b32_e32 v31, 0
	v_lshl_add_u64 v[18:19], v[22:23], 0, v[30:31]
	global_load_ushort v18, v[18:19], off
	s_waitcnt vmcnt(0)
	v_lshlrev_b32_e32 v18, 16, v18
	v_sub_f32_e32 v18, v18, v20
	v_mul_f32_e32 v18, v37, v18
	v_lshrrev_b32_e32 v31, 16, v18
.LBB498_73:
	s_or_b64 exec, exec, s[6:7]
	v_lshlrev_b32_e32 v26, 8, v42
	s_and_saveexec_b64 s[6:7], s[4:5]
	s_cbranch_execz .LBB498_75
; %bb.74:
	v_mov_b32_e32 v27, 0
	v_lshl_add_u64 v[18:19], v[22:23], 0, v[26:27]
	global_load_ushort v18, v[18:19], off
	s_waitcnt vmcnt(0)
	v_lshlrev_b32_e32 v18, 16, v18
	v_sub_f32_e32 v18, v18, v21
	v_mul_f32_e32 v18, v33, v18
	v_lshrrev_b32_e32 v43, 16, v18
.LBB498_75:
	s_or_b64 exec, exec, s[6:7]
	v_lshlrev_b32_e32 v36, 5, v36
	s_mov_b32 s6, 0x5040100
	v_perm_b32 v42, v29, v25, s6
	v_or_b32_e32 v25, v36, v38
	v_accvgpr_read_b32 v21, a3
	v_perm_b32 v43, v43, v31, s6
	v_lshlrev_b32_e32 v25, 1, v25
	v_accvgpr_read_b32 v20, a2
	v_accvgpr_read_b32 v19, a1
	;; [unrolled: 1-line block ×3, first 2 shown]
	ds_write_b64 v25, v[42:43] offset:45056
	v_mov_b32_e32 v29, 0
	v_mov_b32_e32 v25, 0
	s_and_saveexec_b64 s[6:7], vcc
	s_cbranch_execz .LBB498_77
; %bb.76:
	v_mov_b32_e32 v25, 0
	v_lshl_add_u64 v[24:25], v[22:23], 0, v[24:25]
	global_load_ushort v24, v[24:25], off offset:32
	s_waitcnt vmcnt(0)
	v_lshlrev_b32_e32 v24, 16, v24
	v_sub_f32_e32 v18, v24, v18
	v_mul_f32_e32 v18, v34, v18
	v_lshrrev_b32_e32 v25, 16, v18
.LBB498_77:
	s_or_b64 exec, exec, s[6:7]
	s_and_saveexec_b64 s[6:7], s[0:1]
	s_cbranch_execz .LBB498_79
; %bb.78:
	v_mov_b32_e32 v29, 0
	v_lshl_add_u64 v[28:29], v[22:23], 0, v[28:29]
	global_load_ushort v18, v[28:29], off offset:32
	s_waitcnt vmcnt(0)
	v_lshlrev_b32_e32 v18, 16, v18
	v_sub_f32_e32 v18, v18, v19
	v_mul_f32_e32 v18, v32, v18
	v_lshrrev_b32_e32 v29, 16, v18
.LBB498_79:
	s_or_b64 exec, exec, s[6:7]
	v_mov_b32_e32 v24, 0
	v_mov_b32_e32 v28, 0
	s_and_saveexec_b64 s[0:1], s[2:3]
	s_cbranch_execz .LBB498_81
; %bb.80:
	v_mov_b32_e32 v31, 0
	v_lshl_add_u64 v[18:19], v[22:23], 0, v[30:31]
	global_load_ushort v18, v[18:19], off offset:32
	s_waitcnt vmcnt(0)
	v_lshlrev_b32_e32 v18, 16, v18
	v_sub_f32_e32 v18, v18, v20
	v_mul_f32_e32 v18, v37, v18
	v_lshrrev_b32_e32 v28, 16, v18
.LBB498_81:
	s_or_b64 exec, exec, s[0:1]
	v_or_b32_e32 v19, 0xb000, v40
	v_or_b32_e32 v18, 0xb000, v41
	s_and_saveexec_b64 s[0:1], s[4:5]
	s_cbranch_execz .LBB498_83
; %bb.82:
	v_mov_b32_e32 v27, 0
	v_lshl_add_u64 v[22:23], v[22:23], 0, v[26:27]
	global_load_ushort v20, v[22:23], off offset:32
	s_waitcnt vmcnt(0)
	v_lshlrev_b32_e32 v20, 16, v20
	v_sub_f32_e32 v20, v20, v21
	v_mul_f32_e32 v20, v33, v20
	v_lshrrev_b32_e32 v24, 16, v20
.LBB498_83:
	s_or_b64 exec, exec, s[0:1]
	s_mov_b32 s0, 0x5040100
	v_or_b32_e32 v22, v36, v35
	v_perm_b32 v21, v24, v28, s0
	v_perm_b32 v20, v29, v25, s0
	v_lshlrev_b32_e32 v22, 1, v22
	s_movk_i32 s0, 0x100
	ds_write_b64 v22, v[20:21] offset:45056
	v_and_b32_e32 v20, 7, v0
	v_and_b32_e32 v21, 8, v0
	v_cmp_gt_u32_e32 vcc, s0, v0
	v_lshrrev_b32_e32 v0, 1, v0
	v_lshlrev_b32_e32 v37, 3, v1
	v_and_b32_e32 v38, 24, v0
	v_lshlrev_b32_e32 v34, 3, v20
	v_lshlrev_b32_e32 v35, 7, v20
	v_mov_b32_e32 v20, 0x4000
	v_mov_b32_e32 v22, 0x2000
	v_xor_b32_e32 v0, v37, v38
	v_cndmask_b32_e32 v36, v20, v22, vcc
	v_or_b32_e32 v1, 0x440, v0
	v_cmp_eq_u32_e32 vcc, 0, v21
	s_waitcnt lgkmcnt(0)
	s_barrier
	v_cndmask_b32_e32 v0, v1, v0, vcc
	v_or_b32_e32 v0, v0, v39
	v_xad_u32 v40, v0, v34, v35
	v_add_u32_e32 v0, v36, v40
	ds_read_b64 v[0:1], v0
	ds_read2_b64 v[20:23], v19 offset1:16
	v_or_b32_e32 v24, 32, v38
	v_xor_b32_e32 v24, v37, v24
	v_or_b32_e32 v25, 0x440, v24
	v_cndmask_b32_e32 v24, v25, v24, vcc
	s_waitcnt lgkmcnt(0)
	v_mfma_f32_16x16x16_bf16 a[0:3], v[0:1], v[20:21], 0
	v_or_b32_e32 v24, v24, v39
	v_xad_u32 v41, v24, v34, v35
	v_add_u32_e32 v24, v36, v41
	v_mfma_f32_16x16x16_bf16 a[4:7], v[0:1], v[22:23], 0
	v_or_b32_e32 v0, 64, v38
	v_xor_b32_e32 v0, v37, v0
	v_xor_b32_e32 v1, 0x440, v0
	ds_read_b64 v[32:33], v24
	v_cndmask_b32_e32 v0, v1, v0, vcc
	v_or_b32_e32 v0, v0, v39
	v_xad_u32 v42, v0, v34, v35
	v_add_u32_e32 v0, v36, v42
	ds_read_b64 v[0:1], v0
	ds_read2st64_b64 v[24:27], v19 offset0:2 offset1:4
	ds_read2st64_b64 v[28:31], v18 offset0:2 offset1:4
	s_waitcnt lgkmcnt(1)
	v_mfma_f32_16x16x16_bf16 a[0:3], v[32:33], v[24:25], a[0:3]
	s_waitcnt lgkmcnt(0)
	v_mfma_f32_16x16x16_bf16 a[4:7], v[32:33], v[28:29], a[4:7]
	v_or_b32_e32 v32, 0x60, v38
	v_xor_b32_e32 v32, v37, v32
	v_xor_b32_e32 v33, 0x440, v32
	v_cndmask_b32_e32 v32, v33, v32, vcc
	v_or_b32_e32 v32, v32, v39
	v_xad_u32 v37, v32, v34, v35
	v_add_u32_e32 v32, v36, v37
	ds_read_b64 v[32:33], v32
	v_mfma_f32_16x16x16_bf16 a[0:3], v[0:1], v[26:27], a[0:3]
	v_mov_b32_e32 v36, 0x3fb8aa3b
	v_mfma_f32_16x16x16_bf16 a[4:7], v[0:1], v[30:31], a[4:7]
	ds_read_b64 v[0:1], v19 offset:3072
	ds_read_b64 v[34:35], v18 offset:3072
	;; [unrolled: 1-line block ×3, first 2 shown]
	s_waitcnt lgkmcnt(2)
	v_mfma_f32_16x16x16_bf16 a[0:3], v[32:33], v[0:1], a[0:3]
	s_waitcnt lgkmcnt(1)
	v_mfma_f32_16x16x16_bf16 a[4:7], v[32:33], v[34:35], a[4:7]
	ds_read_b64 v[32:33], v41 offset:16384
	s_waitcnt lgkmcnt(1)
	v_mfma_f32_16x16x16_bf16 a[8:11], v[18:19], v[20:21], 0
	v_mul_f32_e32 v20, s16, v36
	v_exp_f32_e32 v36, v20
	v_accvgpr_read_b32 v21, a3
	v_mfma_f32_16x16x16_bf16 a[12:15], v[18:19], v[22:23], 0
	ds_read_b64 v[22:23], v42 offset:16384
	v_accvgpr_read_b32 v18, a0
	v_fma_f32 v18, v2, v36, v18
	v_accvgpr_read_b32 v2, a1
	v_fma_f32 v19, v3, v36, v2
	;; [unrolled: 2-line block ×3, first 2 shown]
	ds_read_b64 v[2:3], v37 offset:16384
	s_waitcnt lgkmcnt(2)
	v_mfma_f32_16x16x16_bf16 a[8:11], v[32:33], v[24:25], a[8:11]
	v_accvgpr_read_b32 v4, a4
	v_fmac_f32_e32 v21, v5, v36
	v_mfma_f32_16x16x16_bf16 a[12:15], v[32:33], v[28:29], a[12:15]
	v_accvgpr_read_b32 v29, a7
	v_fmac_f32_e32 v29, v13, v36
	s_waitcnt lgkmcnt(1)
	v_mfma_f32_16x16x16_bf16 a[0:3], v[22:23], v[26:27], a[8:11]
	v_fma_f32 v26, v10, v36, v4
	v_accvgpr_read_b32 v4, a5
	v_fma_f32 v27, v11, v36, v4
	v_mfma_f32_16x16x16_bf16 a[8:11], v[22:23], v[30:31], a[12:15]
	v_accvgpr_read_b32 v4, a6
	v_fma_f32 v28, v12, v36, v4
	s_waitcnt lgkmcnt(0)
	v_mfma_f32_16x16x16_bf16 a[0:3], v[2:3], v[0:1], a[0:3]
	v_mfma_f32_16x16x16_bf16 a[4:7], v[2:3], v[34:35], a[8:11]
	s_nop 5
	v_accvgpr_read_b32 v0, a0
	v_fma_f32 v22, v6, v36, v0
	v_accvgpr_read_b32 v0, a1
	v_fma_f32 v23, v7, v36, v0
	;; [unrolled: 2-line block ×4, first 2 shown]
	v_accvgpr_read_b32 v0, a5
	v_accvgpr_read_b32 v25, a3
	v_fma_f32 v31, v15, v36, v0
	v_accvgpr_read_b32 v0, a6
	v_accvgpr_read_b32 v33, a7
	v_fmac_f32_e32 v25, v9, v36
	v_fma_f32 v32, v16, v36, v0
	v_fmac_f32_e32 v33, v17, v36
	v_mov_b64_e32 v[2:3], v[18:19]
	v_mov_b64_e32 v[4:5], v[20:21]
	;; [unrolled: 1-line block ×8, first 2 shown]
.LBB498_84:
	s_add_u32 s0, s12, s14
	s_addc_u32 s1, s13, s15
	v_lshl_add_u64 v[0:1], v[52:53], 2, s[0:1]
	v_mov_b32_e32 v51, 0
	v_lshl_add_u64 v[0:1], v[0:1], 0, v[50:51]
	s_waitcnt vmcnt(3)
	global_store_dwordx4 v[0:1], v[2:5], off
	s_waitcnt vmcnt(3)
	global_store_dwordx4 v[0:1], v[6:9], off offset:256
	v_lshl_add_u64 v[0:1], v[54:55], 2, s[0:1]
	v_lshl_add_u64 v[0:1], v[0:1], 0, v[50:51]
	s_waitcnt vmcnt(3)
	global_store_dwordx4 v[0:1], v[10:13], off
	s_waitcnt vmcnt(3)
	global_store_dwordx4 v[0:1], v[14:17], off offset:256
	s_endpgm
	.section	.rodata,"a",@progbits
	.p2align	6, 0x0
	.amdhsa_kernel _ZN12_GLOBAL__N_139chunk_gated_delta_rule_fwd_h_hip_kernelILi32ELb1ELb1ELb0ELb1ELb0ELb0ELb0ELb0EEEvPK12hip_bfloat16S3_S3_PKfS5_PKvPS1_S8_PvPKiSB_iiiiilll
		.amdhsa_group_segment_fixed_size 49152
		.amdhsa_private_segment_fixed_size 0
		.amdhsa_kernarg_size 136
		.amdhsa_user_sgpr_count 2
		.amdhsa_user_sgpr_dispatch_ptr 0
		.amdhsa_user_sgpr_queue_ptr 0
		.amdhsa_user_sgpr_kernarg_segment_ptr 1
		.amdhsa_user_sgpr_dispatch_id 0
		.amdhsa_user_sgpr_kernarg_preload_length 0
		.amdhsa_user_sgpr_kernarg_preload_offset 0
		.amdhsa_user_sgpr_private_segment_size 0
		.amdhsa_uses_dynamic_stack 0
		.amdhsa_enable_private_segment 0
		.amdhsa_system_sgpr_workgroup_id_x 1
		.amdhsa_system_sgpr_workgroup_id_y 1
		.amdhsa_system_sgpr_workgroup_id_z 0
		.amdhsa_system_sgpr_workgroup_info 0
		.amdhsa_system_vgpr_workitem_id 0
		.amdhsa_next_free_vgpr 152
		.amdhsa_next_free_sgpr 64
		.amdhsa_accum_offset 136
		.amdhsa_reserve_vcc 1
		.amdhsa_float_round_mode_32 0
		.amdhsa_float_round_mode_16_64 0
		.amdhsa_float_denorm_mode_32 3
		.amdhsa_float_denorm_mode_16_64 3
		.amdhsa_dx10_clamp 1
		.amdhsa_ieee_mode 1
		.amdhsa_fp16_overflow 0
		.amdhsa_tg_split 0
		.amdhsa_exception_fp_ieee_invalid_op 0
		.amdhsa_exception_fp_denorm_src 0
		.amdhsa_exception_fp_ieee_div_zero 0
		.amdhsa_exception_fp_ieee_overflow 0
		.amdhsa_exception_fp_ieee_underflow 0
		.amdhsa_exception_fp_ieee_inexact 0
		.amdhsa_exception_int_div_zero 0
	.end_amdhsa_kernel
	.section	.text._ZN12_GLOBAL__N_139chunk_gated_delta_rule_fwd_h_hip_kernelILi32ELb1ELb1ELb0ELb1ELb0ELb0ELb0ELb0EEEvPK12hip_bfloat16S3_S3_PKfS5_PKvPS1_S8_PvPKiSB_iiiiilll,"axG",@progbits,_ZN12_GLOBAL__N_139chunk_gated_delta_rule_fwd_h_hip_kernelILi32ELb1ELb1ELb0ELb1ELb0ELb0ELb0ELb0EEEvPK12hip_bfloat16S3_S3_PKfS5_PKvPS1_S8_PvPKiSB_iiiiilll,comdat
.Lfunc_end498:
	.size	_ZN12_GLOBAL__N_139chunk_gated_delta_rule_fwd_h_hip_kernelILi32ELb1ELb1ELb0ELb1ELb0ELb0ELb0ELb0EEEvPK12hip_bfloat16S3_S3_PKfS5_PKvPS1_S8_PvPKiSB_iiiiilll, .Lfunc_end498-_ZN12_GLOBAL__N_139chunk_gated_delta_rule_fwd_h_hip_kernelILi32ELb1ELb1ELb0ELb1ELb0ELb0ELb0ELb0EEEvPK12hip_bfloat16S3_S3_PKfS5_PKvPS1_S8_PvPKiSB_iiiiilll
                                        ; -- End function
	.section	.AMDGPU.csdata,"",@progbits
; Kernel info:
; codeLenInByte = 9220
; NumSgprs: 70
; NumVgprs: 136
; NumAgprs: 16
; TotalNumVgprs: 152
; ScratchSize: 0
; MemoryBound: 0
; FloatMode: 240
; IeeeMode: 1
; LDSByteSize: 49152 bytes/workgroup (compile time only)
; SGPRBlocks: 8
; VGPRBlocks: 18
; NumSGPRsForWavesPerEU: 70
; NumVGPRsForWavesPerEU: 152
; AccumOffset: 136
; Occupancy: 1
; WaveLimiterHint : 1
; COMPUTE_PGM_RSRC2:SCRATCH_EN: 0
; COMPUTE_PGM_RSRC2:USER_SGPR: 2
; COMPUTE_PGM_RSRC2:TRAP_HANDLER: 0
; COMPUTE_PGM_RSRC2:TGID_X_EN: 1
; COMPUTE_PGM_RSRC2:TGID_Y_EN: 1
; COMPUTE_PGM_RSRC2:TGID_Z_EN: 0
; COMPUTE_PGM_RSRC2:TIDIG_COMP_CNT: 0
; COMPUTE_PGM_RSRC3_GFX90A:ACCUM_OFFSET: 33
; COMPUTE_PGM_RSRC3_GFX90A:TG_SPLIT: 0
	.section	.text._ZN12_GLOBAL__N_139chunk_gated_delta_rule_fwd_h_hip_kernelILi32ELb1ELb0ELb1ELb1ELb0ELb0ELb0ELb0EEEvPK12hip_bfloat16S3_S3_PKfS5_PKvPS1_S8_PvPKiSB_iiiiilll,"axG",@progbits,_ZN12_GLOBAL__N_139chunk_gated_delta_rule_fwd_h_hip_kernelILi32ELb1ELb0ELb1ELb1ELb0ELb0ELb0ELb0EEEvPK12hip_bfloat16S3_S3_PKfS5_PKvPS1_S8_PvPKiSB_iiiiilll,comdat
	.globl	_ZN12_GLOBAL__N_139chunk_gated_delta_rule_fwd_h_hip_kernelILi32ELb1ELb0ELb1ELb1ELb0ELb0ELb0ELb0EEEvPK12hip_bfloat16S3_S3_PKfS5_PKvPS1_S8_PvPKiSB_iiiiilll ; -- Begin function _ZN12_GLOBAL__N_139chunk_gated_delta_rule_fwd_h_hip_kernelILi32ELb1ELb0ELb1ELb1ELb0ELb0ELb0ELb0EEEvPK12hip_bfloat16S3_S3_PKfS5_PKvPS1_S8_PvPKiSB_iiiiilll
	.p2align	8
	.type	_ZN12_GLOBAL__N_139chunk_gated_delta_rule_fwd_h_hip_kernelILi32ELb1ELb0ELb1ELb1ELb0ELb0ELb0ELb0EEEvPK12hip_bfloat16S3_S3_PKfS5_PKvPS1_S8_PvPKiSB_iiiiilll,@function
_ZN12_GLOBAL__N_139chunk_gated_delta_rule_fwd_h_hip_kernelILi32ELb1ELb0ELb1ELb1ELb0ELb0ELb0ELb0EEEvPK12hip_bfloat16S3_S3_PKfS5_PKvPS1_S8_PvPKiSB_iiiiilll: ; @_ZN12_GLOBAL__N_139chunk_gated_delta_rule_fwd_h_hip_kernelILi32ELb1ELb0ELb1ELb1ELb0ELb0ELb0ELb0EEEvPK12hip_bfloat16S3_S3_PKfS5_PKvPS1_S8_PvPKiSB_iiiiilll
; %bb.0:
	s_load_dwordx4 s[12:15], s[0:1], 0x5c
	s_load_dwordx4 s[4:7], s[0:1], 0x48
	s_abs_i32 s9, s3
	s_ashr_i32 s8, s3, 31
	v_and_b32_e32 v63, 15, v0
	s_waitcnt lgkmcnt(0)
	s_abs_i32 s10, s13
	v_cvt_f32_u32_e32 v1, s10
	s_sub_i32 s16, 0, s10
	s_ashr_i32 s11, s13, 31
	s_xor_b32 s8, s8, s11
	v_rcp_iflag_f32_e32 v1, v1
	v_lshrrev_b32_e32 v61, 6, v0
	v_bfe_u32 v62, v0, 4, 2
	v_mov_b32_e32 v7, 0
	v_mul_f32_e32 v1, 0x4f7ffffe, v1
	v_cvt_u32_f32_e32 v1, v1
	v_and_b32_e32 v60, 63, v0
	v_lshrrev_b32_e32 v65, 3, v60
	v_lshlrev_b32_e32 v64, 3, v0
	v_readfirstlane_b32 s17, v1
	s_mul_i32 s16, s16, s17
	s_mul_hi_u32 s16, s17, s16
	s_add_i32 s17, s17, s16
	s_mul_hi_u32 s16, s9, s17
	s_mul_i32 s17, s16, s10
	s_sub_i32 s9, s9, s17
	s_add_i32 s18, s16, 1
	s_sub_i32 s17, s9, s10
	s_cmp_ge_u32 s9, s10
	s_cselect_b32 s16, s18, s16
	s_cselect_b32 s9, s17, s9
	s_add_i32 s17, s16, 1
	s_cmp_ge_u32 s9, s10
	s_cselect_b32 s9, s17, s16
	s_xor_b32 s9, s9, s8
	s_sub_i32 s20, s9, s8
	s_mul_i32 s24, s20, s13
	s_ashr_i32 s21, s20, 31
	s_sub_i32 s47, s3, s24
	s_lshl_b64 s[8:9], s[20:21], 2
	s_add_u32 s4, s4, s8
	s_addc_u32 s5, s5, s9
	s_add_u32 s22, s6, s8
	s_addc_u32 s23, s7, s9
	s_abs_i32 s3, s14
	v_cvt_f32_u32_e32 v1, s3
	s_load_dwordx2 s[34:35], s[4:5], 0x0
	s_sub_i32 s5, 0, s3
	s_lshl_b32 s2, s2, 5
	v_rcp_iflag_f32_e32 v1, v1
	s_load_dwordx4 s[16:19], s[0:1], 0x28
	s_load_dwordx2 s[28:29], s[0:1], 0x38
	s_waitcnt lgkmcnt(0)
	s_sub_i32 s50, s35, s34
	s_ashr_i32 s4, s50, 31
	v_mul_f32_e32 v1, 0x4f7ffffe, v1
	v_cvt_u32_f32_e32 v1, v1
	s_lshr_b32 s4, s4, 26
	s_add_i32 s4, s50, s4
	s_ashr_i32 s48, s4, 6
	v_readfirstlane_b32 s6, v1
	s_mul_i32 s5, s5, s6
	s_mul_hi_u32 s5, s6, s5
	s_add_i32 s6, s6, s5
	s_mul_hi_u32 s5, s10, s6
	s_mul_i32 s6, s5, s3
	s_ashr_i32 s4, s14, 31
	s_sub_i32 s6, s10, s6
	s_xor_b32 s4, s11, s4
	s_add_i32 s7, s5, 1
	s_sub_i32 s8, s6, s3
	s_cmp_ge_u32 s6, s3
	s_cselect_b32 s5, s7, s5
	s_cselect_b32 s6, s8, s6
	s_add_i32 s7, s5, 1
	s_cmp_ge_u32 s6, s3
	s_cselect_b32 s3, s7, s5
	s_xor_b32 s3, s3, s4
	s_sub_i32 s3, s3, s4
	s_abs_i32 s4, s3
	v_cvt_f32_u32_e32 v1, s4
	s_sub_i32 s6, 0, s4
	s_abs_i32 s5, s47
	s_xor_b32 s3, s47, s3
	v_rcp_iflag_f32_e32 v1, v1
	s_ashr_i32 s3, s3, 31
	v_or_b32_e32 v50, s2, v63
	v_lshlrev_b32_e32 v2, 7, v50
	v_mul_f32_e32 v1, 0x4f7ffffe, v1
	v_cvt_u32_f32_e32 v1, v1
	v_ashrrev_i32_e32 v3, 31, v2
	s_mul_hi_i32 s53, s47, s12
	s_mul_i32 s54, s47, s12
	v_readfirstlane_b32 s7, v1
	s_mul_i32 s6, s6, s7
	s_mul_hi_u32 s6, s7, s6
	s_add_i32 s7, s7, s6
	s_mul_hi_u32 s6, s5, s7
	s_mul_i32 s7, s6, s4
	s_sub_i32 s5, s5, s7
	s_add_i32 s7, s6, 1
	s_sub_i32 s8, s5, s4
	s_cmp_ge_u32 s5, s4
	s_cselect_b32 s6, s7, s6
	s_cselect_b32 s5, s8, s5
	s_add_i32 s7, s6, 1
	s_cmp_ge_u32 s5, s4
	s_cselect_b32 s4, s7, s6
	s_xor_b32 s4, s4, s3
	s_sub_i32 s51, s4, s3
	s_ashr_i32 s49, s47, 31
	s_mul_hi_i32 s3, s20, s13
	s_add_u32 s4, s24, s47
	s_addc_u32 s5, s3, s49
	s_lshl_b64 s[4:5], s[4:5], 16
	s_add_u32 s4, s16, s4
	s_addc_u32 s5, s17, s5
	v_lshlrev_b32_e32 v1, 4, v61
	v_lshl_add_u64 v[4:5], v[2:3], 2, s[4:5]
	v_or_b32_e32 v2, 0x800, v2
	v_lshl_or_b32 v66, v62, 2, v1
	v_ashrrev_i32_e32 v3, 31, v2
	v_lshlrev_b32_e32 v6, 2, v66
	v_lshl_add_u64 v[2:3], v[2:3], 2, s[4:5]
	v_lshl_add_u64 v[4:5], v[4:5], 0, v[6:7]
	v_lshl_add_u64 v[18:19], v[2:3], 0, v[6:7]
	global_load_dwordx4 v[14:17], v[4:5], off
	global_load_dwordx4 v[10:13], v[4:5], off offset:256
	global_load_dwordx4 v[6:9], v[18:19], off
	s_nop 0
	global_load_dwordx4 v[2:5], v[18:19], off offset:256
	s_load_dwordx8 s[4:11], s[0:1], 0x0
	s_load_dwordx2 s[30:31], s[0:1], 0x80
	s_load_dwordx4 s[24:27], s[0:1], 0x70
	s_load_dword s52, s[22:23], 0x0
	v_or_b32_e32 v67, 64, v66
	s_cmp_lt_i32 s50, 64
	s_waitcnt lgkmcnt(0)
	s_mul_i32 s33, s20, s25
	s_mul_hi_u32 s43, s20, s24
	s_mul_i32 s44, s21, s24
	s_mul_i32 s36, s20, s24
	;; [unrolled: 1-line block ×3, first 2 shown]
	s_mul_hi_u32 s45, s47, s26
	s_mul_i32 s46, s49, s26
	s_mul_i32 s38, s47, s26
	s_cbranch_scc1 .LBB499_3
; %bb.1:
	s_ashr_i32 s1, s34, 31
	s_add_u32 s0, s54, s34
	s_addc_u32 s1, s53, s1
	s_lshl_b64 s[0:1], s[0:1], 8
	v_and_b32_e32 v69, 56, v64
	s_add_u32 s20, s6, s0
	v_lshl_or_b32 v68, v61, 3, v65
	v_lshlrev_b32_e32 v18, 1, v69
	s_addc_u32 s0, s7, s1
	v_lshl_or_b32 v70, v68, 8, v18
	s_and_b32 s21, s0, 0xffff
	s_mov_b32 s23, 0x20000
	s_movk_i32 s22, 0x4000
	s_movk_i32 s0, 0x80
	v_or_b32_e32 v71, 0x2000, v70
	buffer_load_dwordx4 v[20:23], v70, s[20:23], 0 offen
	buffer_load_dwordx4 v[24:27], v70, s[20:23], s0 offen
	;; [unrolled: 1-line block ×4, first 2 shown]
	v_lshlrev_b32_e32 v19, 3, v68
	v_and_or_b32 v37, v0, 7, v19
	v_and_b32_e32 v19, 0x78, v19
	v_lshlrev_b32_e32 v37, 4, v37
	v_xor_b32_e32 v72, v37, v19
	v_mul_lo_u32 v36, v68, s15
	v_or_b32_e32 v73, 0x1000, v72
	v_xor_b32_e32 v19, 8, v72
	s_cmpk_eq_i32 s15, 0x80
	s_mov_b32 s55, s34
	v_xor_b32_e32 v37, 8, v73
	s_cselect_b64 s[0:1], -1, 0
	s_cmpk_lg_i32 s15, 0x80
	s_waitcnt vmcnt(3)
	ds_write_b64 v72, v[20:21] offset:24576
	ds_write_b64 v19, v[22:23] offset:24576
	s_waitcnt vmcnt(2)
	ds_write_b64 v72, v[24:25] offset:32768
	ds_write_b64 v19, v[26:27] offset:32768
	;; [unrolled: 3-line block ×4, first 2 shown]
	v_lshl_add_u32 v19, v36, 1, v69
	s_cbranch_scc0 .LBB499_29
; %bb.2:
	v_lshlrev_b32_e32 v21, 1, v19
	v_add_lshl_u32 v20, v19, s15, 1
	s_lshl_b32 s22, s15, 7
	v_lshl_or_b32 v18, v68, 9, v18
	s_cbranch_execz .LBB499_30
	s_branch .LBB499_31
.LBB499_3:
	s_waitcnt vmcnt(0)
	v_mov_b32_e32 v19, v5
	v_mov_b32_e32 v18, v9
	;; [unrolled: 1-line block ×4, first 2 shown]
.LBB499_4:
	s_lshl_b32 s26, s48, 6
	s_sub_i32 s27, s50, s26
	s_cmp_gt_i32 s27, 0
	s_cbranch_scc0 .LBB499_84
; %bb.5:
	s_add_i32 s26, s26, s34
	s_ashr_i32 s3, s26, 31
	s_cmpk_lg_i32 s15, 0x80
	s_cselect_b64 s[22:23], -1, 0
	s_and_b64 vcc, exec, s[22:23]
	s_cbranch_vccz .LBB499_7
; %bb.6:
	s_mul_hi_i32 s0, s26, s14
	s_mul_i32 s1, s26, s14
	s_ashr_i32 s14, s51, 31
	s_add_u32 s24, s1, s51
	s_addc_u32 s25, s0, s14
	s_cbranch_execz .LBB499_8
	s_branch .LBB499_9
.LBB499_7:
                                        ; implicit-def: $sgpr24_sgpr25
.LBB499_8:
	s_mul_i32 s1, s51, s12
	s_mul_hi_i32 s0, s51, s12
	s_add_u32 s24, s1, s26
	s_addc_u32 s25, s0, s3
.LBB499_9:
	s_add_i32 s12, s48, s52
	s_add_u32 s0, s54, s26
	s_addc_u32 s1, s53, s3
	v_lshlrev_b32_e32 v21, 5, v66
	v_lshlrev_b32_e32 v22, 2, v63
	s_mov_b32 s3, 0x7060302
	v_xor_b32_e32 v5, v66, v22
	v_xor_b32_e32 v23, v67, v22
	v_perm_b32 v13, v9, v12, s3
	v_or_b32_e32 v9, v21, v22
	s_lshl_b64 s[20:21], s[0:1], 8
	v_perm_b32 v17, v20, v16, s3
	v_perm_b32 v16, v15, v14, s3
	;; [unrolled: 1-line block ×3, first 2 shown]
	v_lshlrev_b32_e32 v9, 1, v9
	v_lshlrev_b32_e32 v10, 1, v5
	;; [unrolled: 1-line block ×4, first 2 shown]
	s_add_u32 s0, s6, s20
	ds_write2st64_b64 v9, v[16:17], v[12:13] offset0:80 offset1:88
	v_or_b32_e32 v9, v10, v5
	v_or_b32_e32 v5, v11, v5
	s_addc_u32 s1, s7, s21
	ds_write_b64 v9, v[16:17]
	ds_write_b64 v5, v[12:13]
	v_perm_b32 v9, v18, v8, s3
	v_perm_b32 v8, v7, v6, s3
	;; [unrolled: 1-line block ×4, first 2 shown]
	s_mul_hi_i32 s3, s12, s13
	s_mul_i32 s12, s12, s13
	s_add_u32 s6, s12, s47
	v_or_b32_e32 v2, 16, v63
	s_addc_u32 s7, s3, s49
	v_lshlrev_b32_e32 v19, 2, v2
	s_ashr_i32 s3, s2, 31
	s_lshl_b64 s[6:7], s[6:7], 15
	v_or_b32_e32 v3, v21, v19
	s_add_u32 s6, s18, s6
	v_lshlrev_b32_e32 v3, 1, v3
	v_lshlrev_b32_e32 v2, 8, v2
	s_addc_u32 s7, s19, s7
	s_lshl_b64 s[2:3], s[2:3], 8
	ds_write2st64_b64 v3, v[8:9], v[4:5] offset0:80 offset1:88
	v_or_b32_e32 v3, v10, v2
	v_or_b32_e32 v2, v11, v2
	s_add_u32 s2, s6, s2
	ds_write_b64 v3, v[8:9]
	ds_write_b64 v2, v[4:5]
	v_lshrrev_b32_e32 v2, 4, v0
	s_addc_u32 s3, s7, s3
	v_lshlrev_b32_e32 v3, 1, v63
	v_lshlrev_b32_e32 v10, 4, v63
	v_mov_b32_e32 v11, 0
	v_or_b32_e32 v4, 1, v3
	v_xor_b32_e32 v3, v2, v3
	v_lshl_add_u64 v[12:13], s[2:3], 0, v[10:11]
	v_lshlrev_b32_e32 v10, 8, v2
	v_xor_b32_e32 v6, v4, v2
	v_lshl_or_b32 v2, v3, 3, v10
	s_waitcnt lgkmcnt(0)
	s_barrier
	ds_read2st64_b64 v[2:5], v2 offset1:8
	v_lshl_or_b32 v6, v6, 3, v10
	ds_read2st64_b64 v[6:9], v6 offset1:8
	v_lshl_add_u64 v[14:15], v[12:13], 0, v[10:11]
	s_movk_i32 s2, 0x1000
	s_waitcnt lgkmcnt(1)
	v_mov_b32_e32 v10, v2
	v_add_co_u32_e32 v2, vcc, s2, v14
	s_cmp_lg_u32 s27, 64
	v_mov_b32_e32 v11, v3
	v_addc_co_u32_e32 v3, vcc, 0, v15, vcc
	s_cselect_b64 s[6:7], -1, 0
	v_lshl_or_b32 v23, v61, 3, v65
	s_waitcnt lgkmcnt(0)
	v_mov_b32_e32 v12, v6
	v_mov_b32_e32 v13, v7
	;; [unrolled: 1-line block ×4, first 2 shown]
	s_mov_b32 s16, 0
	v_or_b32_e32 v20, 32, v23
	v_and_b32_e32 v18, 56, v64
	s_and_b64 vcc, exec, s[6:7]
	global_store_dwordx4 v[14:15], v[10:13], off
	global_store_dwordx4 v[2:3], v[6:9], off
	s_cbranch_vccz .LBB499_15
; %bb.10:
	s_mov_b32 s17, s16
	s_mov_b32 s18, s16
	;; [unrolled: 1-line block ×3, first 2 shown]
	v_mov_b64_e32 v[6:7], s[16:17]
	v_mov_b64_e32 v[8:9], s[18:19]
	;; [unrolled: 1-line block ×3, first 2 shown]
	v_cmp_gt_i32_e32 vcc, s27, v23
	v_mov_b64_e32 v[4:5], v[8:9]
	s_and_saveexec_b64 s[2:3], vcc
	s_cbranch_execz .LBB499_12
; %bb.11:
	v_lshlrev_b32_e32 v2, 8, v23
	v_mov_b32_e32 v3, 0
	v_lshl_add_u64 v[4:5], s[0:1], 0, v[2:3]
	v_lshlrev_b32_e32 v2, 1, v18
	v_lshl_add_u64 v[10:11], v[4:5], 0, v[2:3]
	global_load_dwordx4 v[6:9], v[10:11], off
	global_load_dwordx4 v[2:5], v[10:11], off offset:128
.LBB499_12:
	s_or_b64 exec, exec, s[2:3]
	s_mov_b32 s17, s16
	s_mov_b32 s18, s16
	;; [unrolled: 1-line block ×3, first 2 shown]
	v_mov_b64_e32 v[14:15], s[16:17]
	v_mov_b64_e32 v[16:17], s[18:19]
	;; [unrolled: 1-line block ×3, first 2 shown]
	v_cmp_gt_i32_e32 vcc, s27, v20
	v_lshlrev_b32_e32 v21, 7, v20
	v_mov_b64_e32 v[12:13], v[16:17]
	s_and_saveexec_b64 s[2:3], vcc
	s_cbranch_execz .LBB499_14
; %bb.13:
	v_lshlrev_b32_e32 v10, 1, v21
	v_mov_b32_e32 v11, 0
	v_lshl_add_u64 v[12:13], s[0:1], 0, v[10:11]
	v_lshlrev_b32_e32 v10, 1, v18
	v_lshl_add_u64 v[24:25], v[12:13], 0, v[10:11]
	global_load_dwordx4 v[14:17], v[24:25], off
	global_load_dwordx4 v[10:13], v[24:25], off offset:128
.LBB499_14:
	s_or_b64 exec, exec, s[2:3]
	v_lshrrev_b32_e32 v24, 3, v18
	v_lshlrev_b32_e32 v25, 3, v23
	v_or_b32_e32 v24, v25, v24
	v_lshlrev_b32_e32 v24, 4, v24
	v_and_b32_e32 v25, 0x78, v25
	v_xor_b32_e32 v24, v24, v25
	s_branch .LBB499_17
.LBB499_15:
                                        ; implicit-def: $vgpr24
                                        ; implicit-def: $vgpr21
                                        ; implicit-def: $vgpr6_vgpr7_vgpr8_vgpr9
                                        ; implicit-def: $vgpr2_vgpr3_vgpr4_vgpr5
                                        ; implicit-def: $vgpr14_vgpr15_vgpr16_vgpr17
                                        ; implicit-def: $vgpr10_vgpr11_vgpr12_vgpr13
	s_cbranch_execz .LBB499_17
; %bb.16:
	s_waitcnt vmcnt(0)
	v_lshlrev_b32_e32 v2, 1, v18
	v_lshl_or_b32 v21, v23, 8, v2
	s_and_b32 s1, s1, 0xffff
	s_mov_b32 s3, 0x20000
	s_movk_i32 s2, 0x4000
	v_lshl_or_b32 v24, v20, 8, v2
	s_movk_i32 s12, 0x80
	buffer_load_dwordx4 v[6:9], v21, s[0:3], 0 offen
	buffer_load_dwordx4 v[2:5], v21, s[0:3], s12 offen
	;; [unrolled: 1-line block ×4, first 2 shown]
	v_lshrrev_b32_e32 v21, 3, v18
	v_lshlrev_b32_e32 v24, 3, v23
	v_or_b32_e32 v21, v24, v21
	v_lshlrev_b32_e32 v21, 4, v21
	v_and_b32_e32 v24, 0x78, v24
	v_xor_b32_e32 v24, v21, v24
	v_lshlrev_b32_e32 v21, 7, v20
.LBB499_17:
	s_lshl_b64 s[0:1], s[24:25], 8
	s_add_u32 s4, s4, s0
	s_movk_i32 s0, 0x1000
	v_and_or_b32 v20, v21, s0, v24
	s_waitcnt vmcnt(1)
	ds_write_b64 v24, v[6:7] offset:24576
	v_xor_b32_e32 v6, 8, v24
	ds_write_b64 v6, v[8:9] offset:24576
	s_waitcnt vmcnt(0)
	ds_write_b64 v24, v[2:3] offset:32768
	ds_write_b64 v6, v[4:5] offset:32768
	;; [unrolled: 1-line block ×3, first 2 shown]
	v_xor_b32_e32 v2, 8, v20
	ds_write_b64 v2, v[16:17] offset:24576
	ds_write_b64 v20, v[10:11] offset:32768
	;; [unrolled: 1-line block ×3, first 2 shown]
	v_or_b32_e32 v2, v1, v63
	v_lshlrev_b32_e32 v3, 11, v61
	v_lshlrev_b32_e32 v2, 3, v2
	v_and_b32_e32 v6, 0x1000, v3
	v_lshrrev_b32_e32 v3, 5, v60
	s_movk_i32 s3, 0xf8
	v_and_or_b32 v3, v2, s3, v3
	v_lshlrev_b32_e32 v7, 4, v3
	v_and_b32_e32 v8, 0x78, v2
	v_or_b32_e32 v10, 32, v7
	v_lshrrev_b32_e32 v3, 1, v60
	v_xor_b32_e32 v10, v10, v8
	v_xor_b32_e32 v2, v7, v8
	v_and_b32_e32 v9, 8, v3
	v_or_b32_e32 v10, v10, v6
	v_or_b32_e32 v2, v2, v6
	v_xor_b32_e32 v26, v10, v9
	v_or_b32_e32 v10, 64, v7
	v_xor_b32_e32 v25, v2, v9
	v_xor_b32_e32 v10, v10, v8
	s_waitcnt lgkmcnt(0)
	s_barrier
	v_or_b32_e32 v12, v10, v6
	ds_read_b64 v[10:11], v25 offset:24576
	v_lshl_or_b32 v20, v62, 7, v22
	v_lshlrev_b32_e32 v24, 1, v20
	v_add_u32_e32 v2, 0xa000, v24
	ds_read2_b64 v[2:5], v2 offset1:16
	v_or_b32_e32 v7, 0x60, v7
	v_xor_b32_e32 v7, v7, v8
	s_waitcnt lgkmcnt(0)
	v_mfma_f32_16x16x16_bf16 a[0:3], v[10:11], v[2:3], 0
	v_or_b32_e32 v2, 64, v20
	v_or_b32_e32 v6, v7, v6
	v_lshlrev_b32_e32 v29, 1, v2
	v_xor_b32_e32 v27, v12, v9
	v_xor_b32_e32 v28, v6, v9
	ds_read_b64 v[12:13], v26 offset:24576
	ds_read_b64 v[14:15], v27 offset:24576
	;; [unrolled: 1-line block ×3, first 2 shown]
	v_mfma_f32_16x16x16_bf16 a[4:7], v[10:11], v[4:5], 0
	ds_read2st64_b64 v[2:5], v29 offset0:82 offset1:84
	ds_read2st64_b64 v[6:9], v24 offset0:82 offset1:84
	s_addc_u32 s5, s5, s1
	s_add_i32 s1, s43, s33
	s_add_i32 s0, s35, -1
	s_add_i32 s37, s1, s44
	s_add_i32 s1, s45, s42
	;; [unrolled: 1-line block ×3, first 2 shown]
	s_ashr_i32 s1, s0, 31
	s_mul_i32 s2, s0, s31
	s_mul_hi_u32 s3, s0, s30
	s_add_i32 s2, s3, s2
	s_mul_i32 s1, s1, s30
	s_waitcnt lgkmcnt(1)
	v_mfma_f32_16x16x16_bf16 a[4:7], v[12:13], v[2:3], a[4:7]
	s_add_i32 s1, s2, s1
	s_lshl_b64 s[2:3], s[36:37], 2
	s_add_u32 s10, s10, s2
	s_waitcnt lgkmcnt(0)
	v_mfma_f32_16x16x16_bf16 a[0:3], v[12:13], v[6:7], a[0:3]
	s_addc_u32 s11, s11, s3
	s_lshl_b64 s[2:3], s[38:39], 2
	s_mul_i32 s0, s0, s30
	s_add_u32 s10, s10, s2
	ds_read_b64 v[2:3], v24 offset:44032
	v_mfma_f32_16x16x16_bf16 a[4:7], v[14:15], v[4:5], a[4:7]
	ds_read_b64 v[4:5], v29 offset:44032
	s_addc_u32 s11, s11, s3
	s_lshl_b64 s[0:1], s[0:1], 2
	v_mfma_f32_16x16x16_bf16 a[0:3], v[14:15], v[8:9], a[0:3]
	s_add_u32 s0, s10, s0
	s_addc_u32 s1, s11, s1
	s_load_dword s12, s[0:1], 0x0
	s_waitcnt lgkmcnt(0)
	v_mfma_f32_16x16x16_bf16 a[0:3], v[16:17], v[2:3], a[0:3]
	s_and_b64 vcc, exec, s[22:23]
	v_mfma_f32_16x16x16_bf16 a[4:7], v[16:17], v[4:5], a[4:7]
	s_cbranch_vccz .LBB499_28
; %bb.18:
	v_lshlrev_b32_e32 v20, 1, v23
	s_and_b64 vcc, exec, s[6:7]
	s_cbranch_vccz .LBB499_44
; %bb.19:
	v_cmp_gt_i32_e32 vcc, s27, v20
	v_mov_b32_e32 v6, 0
	v_mov_b32_e32 v2, 0
	;; [unrolled: 1-line block ×5, first 2 shown]
	s_and_saveexec_b64 s[0:1], vcc
	s_cbranch_execz .LBB499_21
; %bb.20:
	v_mad_i64_i32 v[2:3], s[2:3], s15, v20, 0
	v_lshl_add_u64 v[2:3], v[2:3], 1, s[4:5]
	v_lshlrev_b32_e32 v4, 1, v18
	v_mov_b32_e32 v5, 0
	v_lshl_add_u64 v[2:3], v[2:3], 0, v[4:5]
	global_load_dwordx4 v[2:5], v[2:3], off
.LBB499_21:
	s_or_b64 exec, exec, s[0:1]
	v_or_b32_e32 v21, 1, v20
	v_cmp_gt_i32_e64 s[0:1], s27, v21
	v_mov_b32_e32 v7, 0
	v_mov_b32_e32 v8, 0
	;; [unrolled: 1-line block ×3, first 2 shown]
	s_and_saveexec_b64 s[2:3], s[0:1]
	s_cbranch_execz .LBB499_23
; %bb.22:
	v_mad_i64_i32 v[6:7], s[16:17], s15, v21, 0
	v_lshl_add_u64 v[6:7], v[6:7], 1, s[4:5]
	v_lshlrev_b32_e32 v8, 1, v18
	v_mov_b32_e32 v9, 0
	v_lshl_add_u64 v[6:7], v[6:7], 0, v[8:9]
	global_load_dwordx4 v[6:9], v[6:7], off
.LBB499_23:
	s_or_b64 exec, exec, s[2:3]
	v_mov_b32_e32 v17, 0
	v_mov_b32_e32 v10, 0
	;; [unrolled: 1-line block ×5, first 2 shown]
	s_and_saveexec_b64 s[2:3], vcc
	s_cbranch_execz .LBB499_25
; %bb.24:
	v_mad_i64_i32 v[10:11], s[16:17], s15, v20, 0
	v_lshl_add_u64 v[10:11], v[10:11], 1, s[4:5]
	v_lshlrev_b32_e32 v12, 1, v18
	v_mov_b32_e32 v13, 0
	v_lshl_add_u64 v[10:11], v[10:11], 0, v[12:13]
	global_load_dwordx4 v[10:13], v[10:11], off offset:128
.LBB499_25:
	s_or_b64 exec, exec, s[2:3]
	v_mov_b32_e32 v16, 0
	v_mov_b32_e32 v15, 0
	;; [unrolled: 1-line block ×3, first 2 shown]
	s_and_saveexec_b64 s[2:3], s[0:1]
	s_cbranch_execz .LBB499_27
; %bb.26:
	v_mad_i64_i32 v[14:15], s[0:1], s15, v21, 0
	v_lshl_add_u64 v[14:15], v[14:15], 1, s[4:5]
	v_lshlrev_b32_e32 v16, 1, v18
	v_mov_b32_e32 v17, 0
	v_lshl_add_u64 v[14:15], v[14:15], 0, v[16:17]
	global_load_dwordx4 v[14:17], v[14:15], off offset:128
.LBB499_27:
	s_or_b64 exec, exec, s[2:3]
	s_branch .LBB499_46
.LBB499_28:
                                        ; implicit-def: $vgpr5
                                        ; implicit-def: $vgpr9
                                        ; implicit-def: $vgpr13
                                        ; implicit-def: $vgpr17
	v_lshrrev_b32_e32 v30, 2, v60
	s_branch .LBB499_47
.LBB499_29:
                                        ; implicit-def: $vgpr20
                                        ; implicit-def: $vgpr21
                                        ; implicit-def: $sgpr22
	v_lshl_or_b32 v18, v68, 9, v18
.LBB499_30:
	v_or_b32_e32 v20, 0x100, v18
	s_movk_i32 s22, 0x4000
	v_mov_b32_e32 v21, v18
.LBB499_31:
	s_mul_i32 s16, s34, s14
	s_ashr_i32 s56, s51, 31
	s_mul_hi_i32 s3, s34, s14
	s_add_u32 s16, s16, s51
	s_addc_u32 s17, s3, s56
	s_lshl_b64 s[16:17], s[16:17], 8
	s_add_u32 s20, s4, s16
	s_addc_u32 s3, s5, s17
	s_and_b32 s21, s3, 0xffff
	s_movk_i32 s57, 0x80
	buffer_load_dwordx4 v[22:25], v21, s[20:23], 0 offen
	buffer_load_dwordx4 v[26:29], v21, s[20:23], s57 offen
	;; [unrolled: 1-line block ×4, first 2 shown]
	v_and_b32_e32 v20, 6, v0
	v_lshlrev_b32_e32 v39, 6, v66
	v_or_b32_e32 v41, 16, v63
	v_xor_b32_e32 v42, v68, v20
	v_and_b32_e32 v21, 1, v0
	v_lshl_or_b32 v45, v63, 3, v39
	v_lshl_or_b32 v39, v41, 3, v39
	v_lshlrev_b32_e32 v42, 2, v42
	v_lshlrev_b32_e32 v38, 2, v63
	v_or_b32_e32 v76, 0xa000, v39
	v_or_b32_e32 v77, 0xb000, v39
	v_xor_b32_e32 v39, 0x440, v42
	v_cmp_eq_u32_e32 vcc, 0, v21
	s_add_i32 s3, s43, s33
	v_xor_b32_e32 v43, v66, v38
	v_xor_b32_e32 v44, v67, v38
	v_cndmask_b32_e32 v21, v39, v42, vcc
	s_add_i32 s16, s45, s42
	s_add_i32 s37, s3, s44
	s_mov_b32 s58, 0x1000504
	v_lshlrev_b32_e32 v40, 8, v63
	v_lshlrev_b32_e32 v41, 8, v41
	;; [unrolled: 1-line block ×4, first 2 shown]
	v_lshl_or_b32 v20, v20, 10, v21
	s_add_i32 s39, s16, s46
	s_lshl_b64 s[16:17], s[36:37], 2
	s_mov_b32 s59, 0x3020706
	v_or_b32_e32 v74, 0xa000, v45
	v_or_b32_e32 v75, 0xb000, v45
	;; [unrolled: 1-line block ×5, first 2 shown]
	v_xor_b32_e32 v21, 8, v20
	v_xor_b32_e32 v40, 24, v20
	;; [unrolled: 1-line block ×4, first 2 shown]
	s_add_u32 s3, s10, s16
	v_or_b32_e32 v80, v41, v43
	v_xor_b32_e32 v39, 16, v20
	v_xor_b32_e32 v41, 32, v20
	;; [unrolled: 1-line block ×3, first 2 shown]
	v_add_u32_e32 v21, 0x80, v21
	v_add_u32_e32 v40, 0x80, v40
	;; [unrolled: 1-line block ×4, first 2 shown]
	s_addc_u32 s20, s11, s17
	s_lshl_b64 s[16:17], s[38:39], 2
	s_add_u32 s16, s3, s16
	s_movk_i32 s3, 0xf8
	s_addc_u32 s17, s20, s17
	s_lshl_b32 s26, s15, 7
	s_movk_i32 s24, 0x100
	v_mov_b32_e32 v53, 0
	v_lshlrev_b32_e32 v52, 4, v63
	v_cmp_gt_u32_e32 vcc, s24, v0
	v_ashrrev_i32_e32 v51, 31, v50
	s_mov_b32 s60, 0
	s_movk_i32 s37, 0x1000
	s_movk_i32 s22, 0x4000
	s_waitcnt vmcnt(1)
	v_perm_b32 v45, v22, v30, s58
	s_waitcnt vmcnt(0)
	v_perm_b32 v46, v26, v34, s58
	v_perm_b32 v22, v22, v30, s59
	v_perm_b32 v26, v26, v34, s59
	v_perm_b32 v30, v23, v31, s58
	v_perm_b32 v34, v27, v35, s58
	v_perm_b32 v23, v23, v31, s59
	v_perm_b32 v27, v27, v35, s59
	v_perm_b32 v31, v24, v32, s58
	v_perm_b32 v35, v28, v36, s58
	v_perm_b32 v24, v24, v32, s59
	v_perm_b32 v28, v28, v36, s59
	v_perm_b32 v32, v25, v33, s58
	v_perm_b32 v36, v29, v37, s58
	v_perm_b32 v25, v25, v33, s59
	v_perm_b32 v29, v29, v37, s59
	ds_write2st64_b32 v20, v45, v46 offset0:32 offset1:64
	ds_write2st64_b32 v21, v22, v26 offset0:32 offset1:64
	;; [unrolled: 1-line block ×8, first 2 shown]
	v_or_b32_e32 v20, v1, v63
	v_lshlrev_b32_e32 v20, 3, v20
	v_lshrrev_b32_e32 v23, 5, v60
	v_and_or_b32 v23, v20, s3, v23
	v_lshlrev_b32_e32 v23, 4, v23
	v_lshlrev_b32_e32 v21, 11, v61
	v_and_b32_e32 v20, 0x78, v20
	v_or_b32_e32 v28, 32, v23
	v_and_b32_e32 v22, 0x1000, v21
	v_lshrrev_b32_e32 v25, 1, v0
	v_xor_b32_e32 v28, v28, v20
	v_and_b32_e32 v26, 8, v25
	v_or_b32_e32 v28, v28, v22
	v_xor_b32_e32 v24, v23, v20
	v_xor_b32_e32 v84, v28, v26
	v_or_b32_e32 v28, 64, v23
	v_or_b32_e32 v23, 0x60, v23
	s_ashr_i32 s3, s2, 31
	v_xor_b32_e32 v28, v28, v20
	v_xor_b32_e32 v20, v23, v20
	s_lshl_b64 s[20:21], s[2:3], 8
	v_or_b32_e32 v24, v24, v22
	v_or_b32_e32 v28, v28, v22
	;; [unrolled: 1-line block ×3, first 2 shown]
	s_add_u32 s20, s18, s20
	v_lshlrev_b32_e32 v22, 1, v63
	v_xor_b32_e32 v86, v28, v26
	v_lshrrev_b32_e32 v28, 4, v0
	s_addc_u32 s21, s19, s21
	v_or_b32_e32 v23, 1, v22
	v_mov_b32_e32 v32, 0x4000
	v_mov_b32_e32 v33, 0x2000
	v_xor_b32_e32 v29, v28, v22
	v_xor_b32_e32 v30, v23, v28
	v_lshl_add_u64 v[22:23], s[20:21], 0, v[52:53]
	v_lshlrev_b32_e32 v52, 8, v28
	v_cndmask_b32_e32 v32, v32, v33, vcc
	v_lshlrev_b32_e32 v33, 3, v61
	v_and_b32_e32 v25, 24, v25
	v_lshl_or_b32 v90, v29, 3, v52
	v_and_b32_e32 v29, 8, v0
	v_xor_b32_e32 v34, v33, v25
	v_or_b32_e32 v35, 0x440, v34
	v_cmp_eq_u32_e32 vcc, 0, v29
	v_and_b32_e32 v28, 7, v0
	v_xor_b32_e32 v82, v24, v26
	v_cndmask_b32_e32 v29, v35, v34, vcc
	v_lshlrev_b32_e32 v24, 7, v62
	v_lshl_or_b32 v91, v30, 3, v52
	v_lshlrev_b32_e32 v30, 3, v28
	v_lshlrev_b32_e32 v28, 7, v28
	;; [unrolled: 1-line block ×3, first 2 shown]
	v_or_b32_e32 v29, v29, v21
	v_or_b32_e32 v27, v24, v38
	v_xad_u32 v92, v29, v30, v28
	v_and_or_b32 v24, v31, 60, v24
	v_mov_b32_e32 v29, 0xb000
	v_lshl_or_b32 v93, v24, 1, v29
	v_or_b32_e32 v24, 32, v25
	v_xor_b32_e32 v24, v33, v24
	v_or_b32_e32 v29, 0x440, v24
	v_cndmask_b32_e32 v24, v29, v24, vcc
	v_or_b32_e32 v24, v24, v21
	v_xad_u32 v94, v24, v30, v28
	v_or_b32_e32 v24, 64, v25
	v_xor_b32_e32 v24, v33, v24
	v_xor_b32_e32 v29, 0x440, v24
	v_cndmask_b32_e32 v24, v29, v24, vcc
	v_or_b32_e32 v24, v24, v21
	v_xad_u32 v95, v24, v30, v28
	v_or_b32_e32 v24, 0x60, v25
	v_xor_b32_e32 v24, v33, v24
	v_xor_b32_e32 v25, 0x440, v24
	v_lshlrev_b32_e32 v27, 1, v27
	v_cndmask_b32_e32 v24, v25, v24, vcc
	v_or_b32_e32 v83, 0xa000, v27
	v_or_b32_e32 v85, 0xa080, v27
	v_xor_b32_e32 v87, v20, v26
	v_or_b32_e32 v88, 0xb000, v27
	v_or_b32_e32 v89, 0xb080, v27
	v_lshlrev_b32_e32 v26, 1, v19
	v_add_lshl_u32 v19, v19, s15, 1
	v_or_b32_e32 v27, 0x100, v18
	v_or_b32_e32 v21, v24, v21
	v_lshlrev_b32_e32 v20, 7, v66
	v_xad_u32 v96, v21, v30, v28
	v_cndmask_b32_e64 v97, v26, v18, s[0:1]
	v_cndmask_b32_e64 v98, v19, v27, s[0:1]
	v_lshlrev_b64 v[18:19], 1, v[50:51]
	v_lshl_add_u64 v[54:55], s[8:9], 0, v[18:19]
	v_lshl_add_u64 v[56:57], s[28:29], 0, v[18:19]
	;; [unrolled: 1-line block ×3, first 2 shown]
	s_mov_b32 s3, 0x7060302
	v_lshlrev_b32_e32 v52, 1, v20
	v_mov_b32_e32 v51, 0x3fb8aa3b
	v_add_u32_e32 v99, v32, v92
	v_add_u32_e32 v100, v32, v94
	;; [unrolled: 1-line block ×4, first 2 shown]
	s_waitcnt lgkmcnt(0)
	s_barrier
.LBB499_32:                             ; =>This Inner Loop Header: Depth=1
	s_add_i32 s39, s60, 1
	s_cmp_lt_i32 s39, s48
	s_mov_b64 s[24:25], 0
	s_cselect_b64 s[40:41], -1, 0
	s_cmp_ge_i32 s39, s48
	s_mov_b64 s[20:21], 0
	s_cbranch_scc1 .LBB499_34
; %bb.33:                               ;   in Loop: Header=BB499_32 Depth=1
	s_add_i32 s0, s55, 64
	s_ashr_i32 s1, s0, 31
	s_add_u32 s0, s54, s0
	s_addc_u32 s1, s53, s1
	s_lshl_b64 s[0:1], s[0:1], 8
	s_add_u32 s20, s6, s0
	s_addc_u32 s21, s7, s1
.LBB499_34:                             ;   in Loop: Header=BB499_32 Depth=1
	v_cndmask_b32_e64 v18, 0, 1, s[40:41]
	v_cmp_ne_u32_e64 s[0:1], 1, v18
	s_andn2_b64 vcc, exec, s[40:41]
	s_cbranch_vccnz .LBB499_36
; %bb.35:                               ;   in Loop: Header=BB499_32 Depth=1
	s_add_i32 s24, s55, 64
	s_mul_hi_i32 s25, s24, s14
	s_mul_i32 s24, s24, s14
	s_add_u32 s24, s24, s51
	s_addc_u32 s25, s25, s56
	s_lshl_b64 s[24:25], s[24:25], 8
	s_add_u32 s24, s4, s24
	s_addc_u32 s25, s5, s25
.LBB499_36:                             ;   in Loop: Header=BB499_32 Depth=1
	v_perm_b32 v19, v17, v16, s3
	v_perm_b32 v18, v15, v14, s3
	;; [unrolled: 1-line block ×4, first 2 shown]
	ds_write_b64 v74, v[18:19]
	ds_write_b64 v75, v[20:21]
	;; [unrolled: 1-line block ×4, first 2 shown]
	v_perm_b32 v19, v9, v8, s3
	v_perm_b32 v18, v7, v6, s3
	;; [unrolled: 1-line block ×4, first 2 shown]
	ds_write_b64 v76, v[18:19]
	ds_write_b64 v77, v[20:21]
	;; [unrolled: 1-line block ×4, first 2 shown]
	s_waitcnt lgkmcnt(0)
	s_barrier
	ds_read_b64 v[22:23], v82 offset:24576
	ds_read2_b64 v[18:21], v83 offset1:16
	ds_read_b64 v[26:27], v85 offset:3072
	ds_read_b64 v[28:29], v83 offset:3072
	;; [unrolled: 1-line block ×3, first 2 shown]
	s_waitcnt lgkmcnt(3)
	v_mfma_f32_16x16x16_bf16 a[0:3], v[22:23], v[18:19], 0
	s_add_i32 s27, s55, 63
	s_ashr_i32 s40, s27, 31
	s_mul_i32 s41, s27, s31
	v_mfma_f32_16x16x16_bf16 a[4:7], v[22:23], v[20:21], 0
	ds_read2st64_b64 v[18:21], v83 offset0:2 offset1:4
	s_mul_hi_u32 s61, s27, s30
	s_add_i32 s41, s61, s41
	s_waitcnt lgkmcnt(0)
	v_mfma_f32_16x16x16_bf16 a[0:3], v[30:31], v[18:19], a[0:3]
	ds_read2st64_b64 v[22:25], v85 offset0:2 offset1:4
	ds_read_b64 v[18:19], v86 offset:24576
	s_mul_i32 s40, s40, s30
	s_add_i32 s41, s41, s40
	s_waitcnt lgkmcnt(1)
	v_mfma_f32_16x16x16_bf16 a[4:7], v[30:31], v[22:23], a[4:7]
	ds_read_b64 v[22:23], v87 offset:24576
	s_mul_i32 s40, s27, s30
	s_lshl_b64 s[40:41], s[40:41], 2
	s_waitcnt lgkmcnt(1)
	v_mfma_f32_16x16x16_bf16 a[0:3], v[18:19], v[20:21], a[0:3]
	s_add_u32 s40, s16, s40
	s_addc_u32 s41, s17, s41
	s_and_b64 vcc, exec, s[0:1]
	v_mfma_f32_16x16x16_bf16 a[8:11], v[18:19], v[24:25], a[4:7]
	v_mov_b32_e32 v105, 0
	v_mov_b32_e32 v104, 0
	;; [unrolled: 1-line block ×3, first 2 shown]
	s_waitcnt lgkmcnt(0)
	v_mfma_f32_16x16x16_bf16 a[4:7], v[22:23], v[28:29], a[0:3]
	v_mov_b32_e32 v18, 0
	v_mov_b32_e32 v19, 0
	;; [unrolled: 1-line block ×3, first 2 shown]
	v_mfma_f32_16x16x16_bf16 a[0:3], v[22:23], v[26:27], a[8:11]
	v_mov_b32_e32 v21, 0
	v_mov_b32_e32 v22, 0
	v_mov_b32_e32 v23, 0
	v_mov_b32_e32 v24, 0
	v_mov_b32_e32 v25, 0
	v_mov_b32_e32 v26, 0
	v_mov_b32_e32 v27, 0
	v_mov_b32_e32 v28, 0
	v_mov_b32_e32 v29, 0
	v_mov_b32_e32 v30, 0
	v_mov_b32_e32 v31, 0
	v_mov_b32_e32 v32, 0
	v_mov_b32_e32 v33, 0
	s_cbranch_vccnz .LBB499_38
; %bb.37:                               ;   in Loop: Header=BB499_32 Depth=1
	s_and_b32 s21, s21, 0xffff
	buffer_load_dwordx4 v[30:33], v70, s[20:23], 0 offen
	buffer_load_dwordx4 v[26:29], v70, s[20:23], s57 offen
	;; [unrolled: 1-line block ×4, first 2 shown]
	v_mov_b32_e32 v104, v72
	v_mov_b32_e32 v103, v73
.LBB499_38:                             ;   in Loop: Header=BB499_32 Depth=1
	s_waitcnt vmcnt(3)
	ds_read_b64 v[42:43], v82 offset:32768
	s_waitcnt vmcnt(2)
	ds_read2_b64 v[34:37], v88 offset1:16
	ds_read_b64 v[44:45], v84 offset:32768
	ds_read_b64 v[46:47], v86 offset:32768
	;; [unrolled: 1-line block ×3, first 2 shown]
	v_add_u32_e32 v106, s55, v66
	s_waitcnt lgkmcnt(3)
	v_mfma_f32_16x16x16_bf16 a[4:7], v[42:43], v[34:35], a[4:7]
	v_ashrrev_i32_e32 v34, 31, v106
	ds_read2st64_b64 v[38:41], v88 offset0:2 offset1:4
	v_mfma_f32_16x16x16_bf16 a[0:3], v[42:43], v[36:37], a[0:3]
	v_mul_lo_u32 v36, v34, s30
	v_mul_lo_u32 v37, v106, s31
	v_mad_u64_u32 v[34:35], s[20:21], v106, s30, 0
	v_add3_u32 v35, v35, v37, v36
	v_add_u32_e32 v36, 1, v106
	v_ashrrev_i32_e32 v37, 31, v36
	v_mul_lo_u32 v42, v37, s30
	v_mul_lo_u32 v43, v36, s31
	v_mad_u64_u32 v[36:37], s[20:21], v36, s30, 0
	v_add3_u32 v37, v37, v43, v42
	v_add_u32_e32 v42, 2, v106
	v_ashrrev_i32_e32 v43, 31, v42
	v_mul_lo_u32 v107, v43, s30
	v_mul_lo_u32 v108, v42, s31
	v_mad_u64_u32 v[42:43], s[20:21], v42, s30, 0
	v_add_u32_e32 v106, 3, v106
	v_add3_u32 v43, v43, v108, v107
	v_ashrrev_i32_e32 v107, 31, v106
	v_mul_lo_u32 v108, v107, s30
	v_mul_lo_u32 v109, v106, s31
	v_mad_u64_u32 v[106:107], s[20:21], v106, s30, 0
	s_ashr_i32 s21, s55, 31
	v_add3_u32 v107, v107, v109, v108
	s_add_u32 s20, s54, s55
	v_lshl_add_u64 v[34:35], v[34:35], 2, s[16:17]
	v_lshl_add_u64 v[106:107], v[106:107], 2, s[16:17]
	s_addc_u32 s21, s53, s21
	v_lshl_add_u64 v[36:37], v[36:37], 2, s[16:17]
	v_lshl_add_u64 v[42:43], v[42:43], 2, s[16:17]
	global_load_dword v108, v[34:35], off
	global_load_dword v109, v[36:37], off
	;; [unrolled: 1-line block ×3, first 2 shown]
	s_nop 0
	global_load_dword v106, v[106:107], off
	s_lshl_b64 s[62:63], s[20:21], 8
	v_lshl_add_u64 v[34:35], v[54:55], 0, s[62:63]
	v_lshl_add_u64 v[42:43], v[34:35], 0, v[52:53]
	global_load_ushort v107, v[42:43], off offset:256
	global_load_ushort v111, v[42:43], off
	ds_read2st64_b64 v[34:37], v89 offset0:2 offset1:4
	global_load_ushort v112, v[42:43], off offset:768
	global_load_ushort v113, v[42:43], off offset:512
	;; [unrolled: 1-line block ×6, first 2 shown]
	s_waitcnt lgkmcnt(1)
	v_mfma_f32_16x16x16_bf16 a[4:7], v[44:45], v[38:39], a[4:7]
	s_and_b64 vcc, exec, s[0:1]
	s_waitcnt vmcnt(7)
	v_lshlrev_b32_e32 v43, 16, v107
	s_waitcnt lgkmcnt(0)
	v_mfma_f32_16x16x16_bf16 a[0:3], v[44:45], v[34:35], a[0:3]
	v_mfma_f32_16x16x16_bf16 a[4:7], v[46:47], v[40:41], a[4:7]
	;; [unrolled: 1-line block ×3, first 2 shown]
	ds_read_b64 v[34:35], v88 offset:3072
	ds_read_b64 v[36:37], v89 offset:3072
	s_load_dword s20, s[40:41], 0x0
	s_waitcnt lgkmcnt(0)
	v_sub_f32_e32 v42, s20, v108
	v_mfma_f32_16x16x16_bf16 a[4:7], v[48:49], v[34:35], a[4:7]
	v_sub_f32_e32 v45, s20, v109
	v_sub_f32_e32 v46, s20, v110
	;; [unrolled: 1-line block ×3, first 2 shown]
	v_mul_f32_e32 v44, 0x3fb8aa3b, v42
	v_mul_f32_e32 v45, 0x3fb8aa3b, v45
	;; [unrolled: 1-line block ×4, first 2 shown]
	v_mfma_f32_16x16x16_bf16 a[0:3], v[48:49], v[36:37], a[0:3]
	v_accvgpr_read_b32 v41, a5
	v_exp_f32_e32 v44, v44
	v_exp_f32_e32 v45, v45
	;; [unrolled: 1-line block ×4, first 2 shown]
	v_accvgpr_read_b32 v40, a4
	s_waitcnt vmcnt(6)
	v_lshlrev_b32_e32 v42, 16, v111
	v_lshl_add_u64 v[34:35], v[56:57], 0, s[62:63]
	v_accvgpr_read_b32 v37, a7
	v_accvgpr_read_b32 v36, a6
	v_pk_add_f32 v[40:41], v[42:43], v[40:41] neg_lo:[0,1] neg_hi:[0,1]
	s_waitcnt vmcnt(5)
	v_lshlrev_b32_e32 v43, 16, v112
	s_waitcnt vmcnt(4)
	v_lshlrev_b32_e32 v42, 16, v113
	v_lshl_add_u64 v[34:35], v[34:35], 0, v[52:53]
	v_pk_add_f32 v[36:37], v[42:43], v[36:37] neg_lo:[0,1] neg_hi:[0,1]
	global_store_short_d16_hi v[34:35], v40, off
	global_store_short_d16_hi v[34:35], v41, off offset:256
	global_store_short_d16_hi v[34:35], v36, off offset:512
	;; [unrolled: 1-line block ×3, first 2 shown]
	v_pk_mul_f32 v[40:41], v[44:45], v[40:41]
	v_pk_mul_f32 v[36:37], v[46:47], v[36:37]
	v_accvgpr_read_b32 v43, a1
	v_perm_b32 v37, v37, v36, s3
	v_perm_b32 v36, v41, v40, s3
	s_waitcnt vmcnt(5)
	v_lshlrev_b32_e32 v41, 16, v116
	s_waitcnt vmcnt(4)
	v_lshlrev_b32_e32 v40, 16, v117
	v_accvgpr_read_b32 v42, a0
	v_accvgpr_read_b32 v39, a3
	;; [unrolled: 1-line block ×3, first 2 shown]
	v_pk_add_f32 v[40:41], v[40:41], v[42:43] neg_lo:[0,1] neg_hi:[0,1]
	v_lshlrev_b32_e32 v43, 16, v114
	v_lshlrev_b32_e32 v42, 16, v115
	v_pk_add_f32 v[38:39], v[42:43], v[38:39] neg_lo:[0,1] neg_hi:[0,1]
	global_store_short_d16_hi v[34:35], v40, off offset:32
	global_store_short_d16_hi v[34:35], v41, off offset:288
	;; [unrolled: 1-line block ×4, first 2 shown]
	v_pk_mul_f32 v[34:35], v[44:45], v[40:41]
	v_pk_mul_f32 v[38:39], v[46:47], v[38:39]
	v_mov_b32_e32 v106, 0
	v_perm_b32 v39, v39, v38, s3
	v_perm_b32 v38, v35, v34, s3
	ds_write2_b64 v75, v[36:37], v[38:39] offset1:16
	v_mov_b32_e32 v34, 0
	v_mov_b32_e32 v35, 0
	;; [unrolled: 1-line block ×16, first 2 shown]
	s_cbranch_vccnz .LBB499_40
; %bb.39:                               ;   in Loop: Header=BB499_32 Depth=1
	s_and_b32 s25, s25, 0xffff
	s_mov_b32 s27, s23
	buffer_load_dwordx4 v[46:49], v97, s[24:27], 0 offen
	buffer_load_dwordx4 v[38:41], v97, s[24:27], s57 offen
	;; [unrolled: 1-line block ×4, first 2 shown]
	v_mov_b32_e32 v105, v69
	v_mov_b32_e32 v106, v68
.LBB499_40:                             ;   in Loop: Header=BB499_32 Depth=1
	s_waitcnt lgkmcnt(0)
	s_barrier
	ds_read_b64 v[112:113], v99
	ds_read_b64 v[120:121], v93
	;; [unrolled: 1-line block ×5, first 2 shown]
	ds_read_b64 v[126:127], v94 offset:16384
	ds_read_b64 v[128:129], v92 offset:16384
	ds_read2_b64 v[108:111], v88 offset0:16 offset1:128
	s_waitcnt lgkmcnt(6)
	v_mfma_f32_16x16x16_bf16 a[0:3], v[112:113], v[120:121], 0
	ds_read_b64 v[130:131], v89 offset:3072
	ds_read_b64 v[132:133], v96 offset:16384
	s_add_i32 s21, s52, s60
	s_waitcnt lgkmcnt(2)
	v_mfma_f32_16x16x16_bf16 a[4:7], v[112:113], v[108:109], 0
	ds_read2st64_b64 v[112:115], v89 offset0:2 offset1:4
	s_mul_hi_i32 s25, s21, s13
	s_mul_i32 s21, s21, s13
	v_mfma_f32_16x16x16_bf16 a[0:3], v[116:117], v[110:111], a[0:3]
	s_add_u32 s24, s21, s47
	s_addc_u32 s25, s25, s49
	s_lshl_b64 s[24:25], s[24:25], 15
	s_waitcnt lgkmcnt(0)
	v_mfma_f32_16x16x16_bf16 a[4:7], v[116:117], v[112:113], a[4:7]
	ds_read2st64_b64 v[116:119], v88 offset0:4 offset1:6
	s_waitcnt lgkmcnt(0)
	v_mfma_f32_16x16x16_bf16 a[0:3], v[122:123], v[116:117], a[0:3]
	v_mfma_f32_16x16x16_bf16 a[8:11], v[122:123], v[114:115], a[4:7]
	;; [unrolled: 1-line block ×5, first 2 shown]
	ds_read2st64_b64 v[120:123], v91 offset1:8
	v_mfma_f32_16x16x16_bf16 a[12:15], v[128:129], v[108:109], 0
	ds_read_b64 v[128:129], v95 offset:16384
	v_mfma_f32_16x16x16_bf16 a[8:11], v[126:127], v[110:111], a[8:11]
	ds_read2st64_b64 v[108:111], v90 offset1:8
	s_waitcnt lgkmcnt(0)
	v_mov_b32_e32 v124, v108
	v_mfma_f32_16x16x16_bf16 a[12:15], v[126:127], v[112:113], a[12:15]
	v_lshl_add_u64 v[112:113], v[58:59], 0, s[24:25]
	v_add_co_u32_e32 v108, vcc, s37, v112
	v_mfma_f32_16x16x16_bf16 a[8:11], v[128:129], v[116:117], a[8:11]
	v_mov_b32_e32 v125, v109
	v_addc_co_u32_e32 v109, vcc, 0, v113, vcc
	v_mfma_f32_16x16x16_bf16 a[16:19], v[128:129], v[114:115], a[12:15]
	v_mov_b32_e32 v126, v120
	v_mov_b32_e32 v127, v121
	;; [unrolled: 1-line block ×3, first 2 shown]
	v_mfma_f32_16x16x16_bf16 a[12:15], v[132:133], v[118:119], a[8:11]
	v_mov_b32_e32 v121, v111
	s_and_b64 vcc, exec, s[0:1]
	global_store_dwordx4 v[112:113], v[124:127], off
	v_mfma_f32_16x16x16_bf16 a[8:11], v[132:133], v[130:131], a[16:19]
	global_store_dwordx4 v[108:109], v[120:123], off
	s_cbranch_vccnz .LBB499_42
; %bb.41:                               ;   in Loop: Header=BB499_32 Depth=1
	v_lshrrev_b32_e32 v107, 3, v105
	v_and_b32_e32 v107, 6, v107
	v_xor_b32_e32 v106, v107, v106
	v_lshlrev_b32_e32 v106, 2, v106
	v_and_b32_e32 v105, 8, v105
	v_xor_b32_e32 v108, 0x440, v106
	v_cmp_eq_u32_e32 vcc, 0, v105
	s_barrier
	s_nop 0
	v_cndmask_b32_e32 v105, v108, v106, vcc
	v_lshl_or_b32 v105, v107, 10, v105
	s_waitcnt vmcnt(3)
	v_perm_b32 v106, v46, v42, s58
	s_waitcnt vmcnt(2)
	v_perm_b32 v107, v38, v34, s58
	ds_write2st64_b32 v105, v106, v107 offset0:32 offset1:64
	v_xor_b32_e32 v106, 8, v105
	v_perm_b32 v42, v46, v42, s59
	v_perm_b32 v34, v38, v34, s59
	v_add_u32_e32 v38, 0x80, v106
	ds_write2st64_b32 v38, v42, v34 offset0:32 offset1:64
	v_xor_b32_e32 v34, 16, v105
	v_perm_b32 v38, v47, v43, s58
	v_perm_b32 v42, v39, v35, s58
	ds_write2st64_b32 v34, v38, v42 offset0:33 offset1:65
	v_xor_b32_e32 v34, 24, v105
	v_perm_b32 v38, v47, v43, s59
	v_perm_b32 v35, v39, v35, s59
	v_add_u32_e32 v34, 0x80, v34
	ds_write2st64_b32 v34, v38, v35 offset0:33 offset1:65
	v_xor_b32_e32 v34, 32, v105
	v_perm_b32 v35, v48, v44, s58
	;; [unrolled: 9-line block ×3, first 2 shown]
	v_perm_b32 v36, v41, v37, s58
	ds_write2st64_b32 v34, v35, v36 offset0:35 offset1:67
	v_xor_b32_e32 v34, 56, v105
	v_perm_b32 v35, v49, v45, s59
	v_perm_b32 v36, v41, v37, s59
	v_add_u32_e32 v34, 0x80, v34
	ds_write2st64_b32 v34, v35, v36 offset0:35 offset1:67
	ds_write_b64 v104, v[30:31] offset:24576
	v_xor_b32_e32 v30, 8, v104
	ds_write_b64 v30, v[32:33] offset:24576
	ds_write_b64 v104, v[26:27] offset:32768
	;; [unrolled: 1-line block ×4, first 2 shown]
	v_xor_b32_e32 v22, 8, v103
	ds_write_b64 v22, v[24:25] offset:24576
	ds_write_b64 v103, v[18:19] offset:32768
	;; [unrolled: 1-line block ×3, first 2 shown]
.LBB499_42:                             ;   in Loop: Header=BB499_32 Depth=1
	v_mul_f32_e32 v18, s20, v51
	v_exp_f32_e32 v21, v18
	v_accvgpr_read_b32 v18, a4
	v_accvgpr_read_b32 v20, a7
	v_accvgpr_read_b32 v19, a5
	v_fma_f32 v14, v14, v21, v18
	v_accvgpr_read_b32 v18, a6
	v_fma_f32 v16, v16, v21, v18
	v_accvgpr_read_b32 v18, a3
	v_fmac_f32_e32 v18, v9, v21
	v_accvgpr_read_b32 v9, a12
	v_fma_f32 v10, v10, v21, v9
	v_accvgpr_read_b32 v9, a13
	v_fma_f32 v11, v11, v21, v9
	;; [unrolled: 2-line block ×3, first 2 shown]
	v_accvgpr_read_b32 v9, a15
	v_fmac_f32_e32 v20, v17, v21
	v_accvgpr_read_b32 v17, a0
	v_fmac_f32_e32 v9, v13, v21
	v_accvgpr_read_b32 v13, a8
	v_fma_f32 v6, v6, v21, v17
	v_accvgpr_read_b32 v17, a1
	v_fma_f32 v2, v2, v21, v13
	v_accvgpr_read_b32 v13, a9
	v_fma_f32 v15, v15, v21, v19
	v_fma_f32 v7, v7, v21, v17
	v_accvgpr_read_b32 v17, a2
	v_fma_f32 v3, v3, v21, v13
	v_accvgpr_read_b32 v13, a10
	v_accvgpr_read_b32 v19, a11
	s_add_i32 s55, s55, 64
	v_fma_f32 v8, v8, v21, v17
	v_fma_f32 v4, v4, v21, v13
	s_cmp_eq_u32 s48, s39
	v_fmac_f32_e32 v19, v5, v21
	s_cbranch_scc1 .LBB499_4
; %bb.43:                               ;   in Loop: Header=BB499_32 Depth=1
	s_mov_b32 s60, s39
	v_mov_b32_e32 v17, v20
	v_mov_b32_e32 v13, v9
	v_mov_b32_e32 v9, v18
	v_mov_b32_e32 v5, v19
	s_branch .LBB499_32
.LBB499_44:
                                        ; implicit-def: $vgpr5
                                        ; implicit-def: $vgpr9
                                        ; implicit-def: $vgpr13
                                        ; implicit-def: $vgpr17
	s_cbranch_execz .LBB499_46
; %bb.45:
	s_waitcnt vmcnt(0)
	v_mad_u64_u32 v[2:3], s[0:1], v20, s15, v[18:19]
	v_lshlrev_b32_e32 v20, 1, v2
	s_lshl_b32 s2, s15, 7
	s_and_b32 s1, s5, 0xffff
	s_mov_b32 s3, 0x20000
	s_mov_b32 s0, s4
	v_add_lshl_u32 v21, v2, s15, 1
	s_movk_i32 s13, 0x80
	buffer_load_dwordx4 v[2:5], v20, s[0:3], 0 offen
	buffer_load_dwordx4 v[10:13], v20, s[0:3], s13 offen
	;; [unrolled: 1-line block ×4, first 2 shown]
.LBB499_46:
	v_lshrrev_b32_e32 v30, 2, v60
	s_cbranch_execnz .LBB499_59
.LBB499_47:
	s_and_b64 vcc, exec, s[6:7]
	s_cbranch_vccz .LBB499_57
; %bb.48:
	s_waitcnt vmcnt(0)
	v_lshlrev_b32_e32 v7, 1, v23
	v_cmp_gt_i32_e32 vcc, s27, v7
	v_mov_b32_e32 v6, 0
	v_lshlrev_b32_e32 v14, 9, v23
	v_mov_b32_e32 v2, 0
	v_mov_b32_e32 v3, 0
	;; [unrolled: 1-line block ×4, first 2 shown]
	s_and_saveexec_b64 s[0:1], vcc
	s_cbranch_execz .LBB499_50
; %bb.49:
	v_mov_b32_e32 v15, 0
	v_lshl_add_u64 v[2:3], s[4:5], 0, v[14:15]
	v_lshlrev_b32_e32 v4, 1, v18
	v_mov_b32_e32 v5, v15
	v_lshl_add_u64 v[2:3], v[2:3], 0, v[4:5]
	global_load_dwordx4 v[2:5], v[2:3], off
.LBB499_50:
	s_or_b64 exec, exec, s[0:1]
	v_or_b32_e32 v7, 1, v7
	v_cmp_gt_i32_e64 s[0:1], s27, v7
	v_lshlrev_b32_e32 v20, 8, v7
	v_mov_b32_e32 v7, 0
	v_mov_b32_e32 v8, 0
	;; [unrolled: 1-line block ×3, first 2 shown]
	s_and_saveexec_b64 s[2:3], s[0:1]
	s_cbranch_execz .LBB499_52
; %bb.51:
	v_mov_b32_e32 v21, 0
	v_lshl_add_u64 v[6:7], s[4:5], 0, v[20:21]
	v_lshlrev_b32_e32 v8, 1, v18
	v_mov_b32_e32 v9, v21
	v_lshl_add_u64 v[6:7], v[6:7], 0, v[8:9]
	global_load_dwordx4 v[6:9], v[6:7], off
.LBB499_52:
	s_or_b64 exec, exec, s[2:3]
	v_mov_b32_e32 v17, 0
	v_mov_b32_e32 v10, 0
	;; [unrolled: 1-line block ×5, first 2 shown]
	s_and_saveexec_b64 s[2:3], vcc
	s_cbranch_execz .LBB499_54
; %bb.53:
	v_mov_b32_e32 v15, 0
	v_lshl_add_u64 v[10:11], s[4:5], 0, v[14:15]
	v_lshlrev_b32_e32 v14, 1, v18
	v_lshl_add_u64 v[10:11], v[10:11], 0, v[14:15]
	global_load_dwordx4 v[10:13], v[10:11], off offset:128
.LBB499_54:
	s_or_b64 exec, exec, s[2:3]
	v_mov_b32_e32 v16, 0
	v_mov_b32_e32 v15, 0
	v_mov_b32_e32 v14, 0
	s_and_saveexec_b64 s[2:3], s[0:1]
	s_cbranch_execz .LBB499_56
; %bb.55:
	v_mov_b32_e32 v21, 0
	v_lshl_add_u64 v[14:15], s[4:5], 0, v[20:21]
	v_lshlrev_b32_e32 v20, 1, v18
	v_lshl_add_u64 v[14:15], v[14:15], 0, v[20:21]
	global_load_dwordx4 v[14:17], v[14:15], off offset:128
.LBB499_56:
	s_or_b64 exec, exec, s[2:3]
	s_branch .LBB499_59
.LBB499_57:
                                        ; implicit-def: $vgpr5
                                        ; implicit-def: $vgpr9
                                        ; implicit-def: $vgpr13
                                        ; implicit-def: $vgpr17
	s_cbranch_execz .LBB499_59
; %bb.58:
	s_waitcnt vmcnt(0)
	v_lshlrev_b32_e32 v2, 1, v18
	v_lshl_or_b32 v18, v23, 9, v2
	s_and_b32 s5, s5, 0xffff
	s_mov_b32 s7, 0x20000
	s_movk_i32 s6, 0x4000
	s_movk_i32 s0, 0x80
	buffer_load_dwordx4 v[2:5], v18, s[4:7], 0 offen
	buffer_load_dwordx4 v[6:9], v18, s[4:7], 0 offen offset:256
	buffer_load_dwordx4 v[10:13], v18, s[4:7], s0 offen
	buffer_load_dwordx4 v[14:17], v18, s[4:7], s0 offen offset:256
.LBB499_59:
	ds_read_b64 v[20:21], v25 offset:32768
	v_add_u32_e32 v18, 0xb000, v24
	ds_read2_b64 v[32:35], v18 offset1:16
	ds_read_b64 v[40:41], v26 offset:32768
	ds_read_b64 v[26:27], v27 offset:32768
	;; [unrolled: 1-line block ×3, first 2 shown]
	v_and_b32_e32 v18, 6, v0
	v_xor_b32_e32 v23, v23, v18
	v_lshlrev_b32_e32 v23, 2, v23
	v_and_b32_e32 v0, 1, v0
	v_xor_b32_e32 v28, 0x440, v23
	v_cmp_eq_u32_e32 vcc, 0, v0
	s_waitcnt lgkmcnt(3)
	v_mfma_f32_16x16x16_bf16 a[0:3], v[20:21], v[32:33], a[0:3]
	s_mov_b32 s0, 0x1000504
	v_cndmask_b32_e32 v0, v28, v23, vcc
	v_lshl_or_b32 v0, v18, 10, v0
	v_mfma_f32_16x16x16_bf16 a[4:7], v[20:21], v[34:35], a[4:7]
	ds_read2st64_b64 v[32:35], v24 offset0:90 offset1:92
	ds_read2st64_b64 v[36:39], v29 offset0:90 offset1:92
	ds_read_b64 v[20:21], v24 offset:48128
	ds_read_b64 v[24:25], v29 offset:48128
	s_waitcnt vmcnt(0)
	v_perm_b32 v18, v2, v6, s0
	s_waitcnt lgkmcnt(3)
	v_mfma_f32_16x16x16_bf16 a[0:3], v[40:41], v[32:33], a[0:3]
	s_mov_b32 s1, 0x3020706
	v_perm_b32 v2, v2, v6, s1
	v_perm_b32 v6, v10, v14, s1
	s_waitcnt lgkmcnt(2)
	v_mfma_f32_16x16x16_bf16 a[4:7], v[40:41], v[36:37], a[4:7]
	v_mfma_f32_16x16x16_bf16 a[0:3], v[26:27], v[34:35], a[0:3]
	;; [unrolled: 1-line block ×3, first 2 shown]
	s_waitcnt lgkmcnt(1)
	v_mfma_f32_16x16x16_bf16 a[4:7], v[42:43], v[20:21], a[0:3]
	v_perm_b32 v20, v10, v14, s0
	ds_write2st64_b32 v0, v18, v20 offset0:32 offset1:64
	v_xor_b32_e32 v18, 8, v0
	v_add_u32_e32 v10, 0x80, v18
	ds_write2st64_b32 v10, v2, v6 offset0:32 offset1:64
	v_xor_b32_e32 v2, 16, v0
	v_perm_b32 v6, v3, v7, s0
	v_perm_b32 v10, v11, v15, s0
	ds_write2st64_b32 v2, v6, v10 offset0:33 offset1:65
	v_xor_b32_e32 v2, 24, v0
	v_perm_b32 v3, v3, v7, s1
	v_perm_b32 v6, v11, v15, s1
	v_add_u32_e32 v2, 0x80, v2
	ds_write2st64_b32 v2, v3, v6 offset0:33 offset1:65
	v_xor_b32_e32 v2, 32, v0
	v_perm_b32 v3, v4, v8, s0
	v_perm_b32 v6, v12, v16, s0
	s_waitcnt lgkmcnt(4)
	v_mfma_f32_16x16x16_bf16 a[0:3], v[42:43], v[24:25], a[8:11]
	ds_write2st64_b32 v2, v3, v6 offset0:34 offset1:66
	v_xor_b32_e32 v2, 40, v0
	v_perm_b32 v3, v4, v8, s1
	v_perm_b32 v4, v12, v16, s1
	v_add_u32_e32 v2, 0x80, v2
	ds_write2st64_b32 v2, v3, v4 offset0:34 offset1:66
	v_xor_b32_e32 v2, 48, v0
	v_perm_b32 v3, v5, v9, s0
	v_perm_b32 v4, v13, v17, s0
	v_xor_b32_e32 v0, 56, v0
	v_and_or_b32 v21, v30, 12, v1
	ds_write2st64_b32 v2, v3, v4 offset0:35 offset1:67
	v_perm_b32 v2, v5, v9, s1
	v_perm_b32 v3, v13, v17, s1
	v_add_u32_e32 v0, 0x80, v0
	v_cmp_gt_i32_e32 vcc, s27, v21
	v_mov_b32_e32 v16, 0
	v_mov_b32_e32 v18, 0
	ds_write2st64_b32 v0, v2, v3 offset0:35 offset1:67
	s_and_saveexec_b64 s[0:1], vcc
	s_cbranch_execz .LBB499_61
; %bb.60:
	v_add_u32_e32 v0, s26, v21
	v_ashrrev_i32_e32 v1, 31, v0
	v_mul_lo_u32 v2, v1, s30
	v_mul_lo_u32 v3, v0, s31
	v_mad_u64_u32 v[0:1], s[2:3], v0, s30, 0
	v_add3_u32 v1, v1, v3, v2
	v_lshl_add_u64 v[0:1], v[0:1], 2, s[10:11]
	global_load_dword v0, v[0:1], off
	s_waitcnt vmcnt(0)
	v_sub_f32_e32 v0, s12, v0
	v_mul_f32_e32 v0, 0x3fb8aa3b, v0
	v_exp_f32_e32 v18, v0
.LBB499_61:
	s_or_b64 exec, exec, s[0:1]
	v_or_b32_e32 v10, 1, v21
	v_cmp_gt_i32_e64 s[0:1], s27, v10
	s_and_saveexec_b64 s[2:3], s[0:1]
	s_cbranch_execz .LBB499_63
; %bb.62:
	v_add_u32_e32 v0, s26, v10
	v_ashrrev_i32_e32 v1, 31, v0
	v_mul_lo_u32 v2, v1, s30
	v_mul_lo_u32 v3, v0, s31
	v_mad_u64_u32 v[0:1], s[4:5], v0, s30, 0
	v_add3_u32 v1, v1, v3, v2
	v_lshl_add_u64 v[0:1], v[0:1], 2, s[10:11]
	global_load_dword v0, v[0:1], off
	s_waitcnt vmcnt(0)
	v_sub_f32_e32 v0, s12, v0
	v_mul_f32_e32 v0, 0x3fb8aa3b, v0
	v_exp_f32_e32 v16, v0
.LBB499_63:
	s_or_b64 exec, exec, s[2:3]
	v_or_b32_e32 v12, 2, v21
	v_cmp_gt_i32_e64 s[2:3], s27, v12
	v_mov_b32_e32 v17, 0
	v_mov_b32_e32 v20, 0
	s_and_saveexec_b64 s[4:5], s[2:3]
	s_cbranch_execz .LBB499_65
; %bb.64:
	v_add_u32_e32 v0, s26, v12
	v_ashrrev_i32_e32 v1, 31, v0
	v_mul_lo_u32 v2, v1, s30
	v_mul_lo_u32 v3, v0, s31
	v_mad_u64_u32 v[0:1], s[6:7], v0, s30, 0
	v_add3_u32 v1, v1, v3, v2
	v_lshl_add_u64 v[0:1], v[0:1], 2, s[10:11]
	global_load_dword v0, v[0:1], off
	s_waitcnt vmcnt(0)
	v_sub_f32_e32 v0, s12, v0
	v_mul_f32_e32 v0, 0x3fb8aa3b, v0
	v_exp_f32_e32 v20, v0
.LBB499_65:
	s_or_b64 exec, exec, s[4:5]
	v_or_b32_e32 v14, 3, v21
	v_cmp_gt_i32_e64 s[4:5], s27, v14
	s_and_saveexec_b64 s[6:7], s[4:5]
	s_cbranch_execz .LBB499_67
; %bb.66:
	v_add_u32_e32 v0, s26, v14
	v_ashrrev_i32_e32 v1, 31, v0
	v_mul_lo_u32 v2, v1, s30
	v_mul_lo_u32 v3, v0, s31
	v_mad_u64_u32 v[0:1], s[14:15], v0, s30, 0
	v_add3_u32 v1, v1, v3, v2
	v_lshl_add_u64 v[0:1], v[0:1], 2, s[10:11]
	global_load_dword v0, v[0:1], off
	s_waitcnt vmcnt(0)
	v_sub_f32_e32 v0, s12, v0
	v_mul_f32_e32 v0, 0x3fb8aa3b, v0
	v_exp_f32_e32 v17, v0
.LBB499_67:
	s_or_b64 exec, exec, s[6:7]
	s_add_u32 s6, s8, s20
	s_addc_u32 s7, s9, s21
	s_add_u32 s8, s28, s20
	v_ashrrev_i32_e32 v51, 31, v50
	v_accvgpr_read_b32 v0, a4
	s_addc_u32 s9, s29, s21
	v_lshlrev_b64 v[4:5], 1, v[50:51]
	v_accvgpr_read_b32 v1, a5
	v_accvgpr_read_b32 v2, a6
	;; [unrolled: 1-line block ×3, first 2 shown]
	v_lshl_add_u64 v[6:7], s[6:7], 0, v[4:5]
	v_lshl_add_u64 v[4:5], s[8:9], 0, v[4:5]
	v_mov_b32_e32 v11, 0
	v_lshlrev_b32_e32 v8, 8, v21
	v_mov_b32_e32 v9, 0
	s_and_saveexec_b64 s[6:7], vcc
	s_cbranch_execz .LBB499_69
; %bb.68:
	v_mov_b32_e32 v9, 0
	v_lshl_add_u64 v[24:25], v[6:7], 0, v[8:9]
	global_load_ushort v13, v[24:25], off
	v_lshl_add_u64 v[24:25], v[4:5], 0, v[8:9]
	s_waitcnt vmcnt(0)
	v_lshlrev_b32_e32 v9, 16, v13
	v_sub_f32_e32 v0, v9, v0
	global_store_short_d16_hi v[24:25], v0, off
	v_mul_f32_e32 v0, v18, v0
	v_lshrrev_b32_e32 v9, 16, v0
.LBB499_69:
	s_or_b64 exec, exec, s[6:7]
	v_lshlrev_b32_e32 v10, 8, v10
	s_and_saveexec_b64 s[6:7], s[0:1]
	s_cbranch_execz .LBB499_71
; %bb.70:
	v_mov_b32_e32 v11, 0
	v_lshl_add_u64 v[24:25], v[6:7], 0, v[10:11]
	global_load_ushort v0, v[24:25], off
	v_lshl_add_u64 v[24:25], v[4:5], 0, v[10:11]
	s_waitcnt vmcnt(0)
	v_lshlrev_b32_e32 v0, 16, v0
	v_sub_f32_e32 v0, v0, v1
	global_store_short_d16_hi v[24:25], v0, off
	v_mul_f32_e32 v0, v16, v0
	v_lshrrev_b32_e32 v11, 16, v0
.LBB499_71:
	s_or_b64 exec, exec, s[6:7]
	v_mov_b32_e32 v15, 0
	v_lshlrev_b32_e32 v12, 8, v12
	v_mov_b32_e32 v13, 0
	s_and_saveexec_b64 s[6:7], s[2:3]
	s_cbranch_execz .LBB499_73
; %bb.72:
	v_mov_b32_e32 v13, 0
	v_lshl_add_u64 v[0:1], v[6:7], 0, v[12:13]
	global_load_ushort v23, v[0:1], off
	v_lshl_add_u64 v[0:1], v[4:5], 0, v[12:13]
	s_waitcnt vmcnt(0)
	v_lshlrev_b32_e32 v13, 16, v23
	v_sub_f32_e32 v2, v13, v2
	global_store_short_d16_hi v[0:1], v2, off
	v_mul_f32_e32 v0, v20, v2
	v_lshrrev_b32_e32 v13, 16, v0
.LBB499_73:
	s_or_b64 exec, exec, s[6:7]
	v_lshlrev_b32_e32 v14, 8, v14
	s_and_saveexec_b64 s[6:7], s[4:5]
	s_cbranch_execz .LBB499_75
; %bb.74:
	v_mov_b32_e32 v15, 0
	v_lshl_add_u64 v[0:1], v[6:7], 0, v[14:15]
	global_load_ushort v2, v[0:1], off
	v_lshl_add_u64 v[0:1], v[4:5], 0, v[14:15]
	s_waitcnt vmcnt(0)
	v_lshlrev_b32_e32 v2, 16, v2
	v_sub_f32_e32 v2, v2, v3
	global_store_short_d16_hi v[0:1], v2, off
	v_mul_f32_e32 v0, v17, v2
	v_lshrrev_b32_e32 v15, 16, v0
.LBB499_75:
	s_or_b64 exec, exec, s[6:7]
	v_lshlrev_b32_e32 v21, 5, v21
	s_mov_b32 s6, 0x5040100
	v_perm_b32 v24, v11, v9, s6
	v_or_b32_e32 v9, v21, v22
	v_accvgpr_read_b32 v0, a0
	v_perm_b32 v25, v15, v13, s6
	v_lshlrev_b32_e32 v9, 1, v9
	v_accvgpr_read_b32 v1, a1
	v_accvgpr_read_b32 v2, a2
	;; [unrolled: 1-line block ×3, first 2 shown]
	ds_write_b64 v9, v[24:25] offset:45056
	v_mov_b32_e32 v11, 0
	v_mov_b32_e32 v9, 0
	s_and_saveexec_b64 s[6:7], vcc
	s_cbranch_execz .LBB499_77
; %bb.76:
	v_mov_b32_e32 v9, 0
	v_lshl_add_u64 v[22:23], v[6:7], 0, v[8:9]
	global_load_ushort v13, v[22:23], off offset:32
	v_lshl_add_u64 v[8:9], v[4:5], 0, v[8:9]
	s_waitcnt vmcnt(0)
	v_lshlrev_b32_e32 v13, 16, v13
	v_sub_f32_e32 v0, v13, v0
	global_store_short_d16_hi v[8:9], v0, off offset:32
	v_mul_f32_e32 v0, v18, v0
	v_lshrrev_b32_e32 v9, 16, v0
.LBB499_77:
	s_or_b64 exec, exec, s[6:7]
	s_and_saveexec_b64 s[6:7], s[0:1]
	s_cbranch_execz .LBB499_79
; %bb.78:
	v_mov_b32_e32 v11, 0
	v_lshl_add_u64 v[22:23], v[6:7], 0, v[10:11]
	global_load_ushort v0, v[22:23], off offset:32
	v_lshl_add_u64 v[10:11], v[4:5], 0, v[10:11]
	s_waitcnt vmcnt(0)
	v_lshlrev_b32_e32 v0, 16, v0
	v_sub_f32_e32 v0, v0, v1
	global_store_short_d16_hi v[10:11], v0, off offset:32
	v_mul_f32_e32 v0, v16, v0
	v_lshrrev_b32_e32 v11, 16, v0
.LBB499_79:
	s_or_b64 exec, exec, s[6:7]
	v_mov_b32_e32 v0, 0
	v_mov_b32_e32 v1, 0
	s_and_saveexec_b64 s[0:1], s[2:3]
	s_cbranch_execz .LBB499_81
; %bb.80:
	v_mov_b32_e32 v13, 0
	v_lshl_add_u64 v[22:23], v[6:7], 0, v[12:13]
	global_load_ushort v1, v[22:23], off offset:32
	v_lshl_add_u64 v[12:13], v[4:5], 0, v[12:13]
	s_waitcnt vmcnt(0)
	v_lshlrev_b32_e32 v1, 16, v1
	v_sub_f32_e32 v1, v1, v2
	global_store_short_d16_hi v[12:13], v1, off offset:32
	v_mul_f32_e32 v1, v20, v1
	v_lshrrev_b32_e32 v1, 16, v1
.LBB499_81:
	s_or_b64 exec, exec, s[0:1]
	s_and_saveexec_b64 s[0:1], s[4:5]
	s_cbranch_execz .LBB499_83
; %bb.82:
	v_mov_b32_e32 v15, 0
	v_lshl_add_u64 v[6:7], v[6:7], 0, v[14:15]
	global_load_ushort v0, v[6:7], off offset:32
	v_lshl_add_u64 v[4:5], v[4:5], 0, v[14:15]
	s_waitcnt vmcnt(0)
	v_lshlrev_b32_e32 v0, 16, v0
	v_sub_f32_e32 v0, v0, v3
	global_store_short_d16_hi v[4:5], v0, off offset:32
	v_mul_f32_e32 v0, v17, v0
	v_lshrrev_b32_e32 v0, 16, v0
.LBB499_83:
	s_or_b64 exec, exec, s[0:1]
	s_mov_b32 s0, 0x5040100
	v_or_b32_e32 v2, v21, v19
	v_perm_b32 v1, v0, v1, s0
	v_perm_b32 v0, v11, v9, s0
	v_lshlrev_b32_e32 v2, 1, v2
	ds_write_b64 v2, v[0:1] offset:45056
	s_waitcnt lgkmcnt(0)
	s_barrier
.LBB499_84:
	s_endpgm
	.section	.rodata,"a",@progbits
	.p2align	6, 0x0
	.amdhsa_kernel _ZN12_GLOBAL__N_139chunk_gated_delta_rule_fwd_h_hip_kernelILi32ELb1ELb0ELb1ELb1ELb0ELb0ELb0ELb0EEEvPK12hip_bfloat16S3_S3_PKfS5_PKvPS1_S8_PvPKiSB_iiiiilll
		.amdhsa_group_segment_fixed_size 49152
		.amdhsa_private_segment_fixed_size 0
		.amdhsa_kernarg_size 136
		.amdhsa_user_sgpr_count 2
		.amdhsa_user_sgpr_dispatch_ptr 0
		.amdhsa_user_sgpr_queue_ptr 0
		.amdhsa_user_sgpr_kernarg_segment_ptr 1
		.amdhsa_user_sgpr_dispatch_id 0
		.amdhsa_user_sgpr_kernarg_preload_length 0
		.amdhsa_user_sgpr_kernarg_preload_offset 0
		.amdhsa_user_sgpr_private_segment_size 0
		.amdhsa_uses_dynamic_stack 0
		.amdhsa_enable_private_segment 0
		.amdhsa_system_sgpr_workgroup_id_x 1
		.amdhsa_system_sgpr_workgroup_id_y 1
		.amdhsa_system_sgpr_workgroup_id_z 0
		.amdhsa_system_sgpr_workgroup_info 0
		.amdhsa_system_vgpr_workitem_id 0
		.amdhsa_next_free_vgpr 156
		.amdhsa_next_free_sgpr 64
		.amdhsa_accum_offset 136
		.amdhsa_reserve_vcc 1
		.amdhsa_float_round_mode_32 0
		.amdhsa_float_round_mode_16_64 0
		.amdhsa_float_denorm_mode_32 3
		.amdhsa_float_denorm_mode_16_64 3
		.amdhsa_dx10_clamp 1
		.amdhsa_ieee_mode 1
		.amdhsa_fp16_overflow 0
		.amdhsa_tg_split 0
		.amdhsa_exception_fp_ieee_invalid_op 0
		.amdhsa_exception_fp_denorm_src 0
		.amdhsa_exception_fp_ieee_div_zero 0
		.amdhsa_exception_fp_ieee_overflow 0
		.amdhsa_exception_fp_ieee_underflow 0
		.amdhsa_exception_fp_ieee_inexact 0
		.amdhsa_exception_int_div_zero 0
	.end_amdhsa_kernel
	.section	.text._ZN12_GLOBAL__N_139chunk_gated_delta_rule_fwd_h_hip_kernelILi32ELb1ELb0ELb1ELb1ELb0ELb0ELb0ELb0EEEvPK12hip_bfloat16S3_S3_PKfS5_PKvPS1_S8_PvPKiSB_iiiiilll,"axG",@progbits,_ZN12_GLOBAL__N_139chunk_gated_delta_rule_fwd_h_hip_kernelILi32ELb1ELb0ELb1ELb1ELb0ELb0ELb0ELb0EEEvPK12hip_bfloat16S3_S3_PKfS5_PKvPS1_S8_PvPKiSB_iiiiilll,comdat
.Lfunc_end499:
	.size	_ZN12_GLOBAL__N_139chunk_gated_delta_rule_fwd_h_hip_kernelILi32ELb1ELb0ELb1ELb1ELb0ELb0ELb0ELb0EEEvPK12hip_bfloat16S3_S3_PKfS5_PKvPS1_S8_PvPKiSB_iiiiilll, .Lfunc_end499-_ZN12_GLOBAL__N_139chunk_gated_delta_rule_fwd_h_hip_kernelILi32ELb1ELb0ELb1ELb1ELb0ELb0ELb0ELb0EEEvPK12hip_bfloat16S3_S3_PKfS5_PKvPS1_S8_PvPKiSB_iiiiilll
                                        ; -- End function
	.section	.AMDGPU.csdata,"",@progbits
; Kernel info:
; codeLenInByte = 8580
; NumSgprs: 70
; NumVgprs: 134
; NumAgprs: 20
; TotalNumVgprs: 156
; ScratchSize: 0
; MemoryBound: 0
; FloatMode: 240
; IeeeMode: 1
; LDSByteSize: 49152 bytes/workgroup (compile time only)
; SGPRBlocks: 8
; VGPRBlocks: 19
; NumSGPRsForWavesPerEU: 70
; NumVGPRsForWavesPerEU: 156
; AccumOffset: 136
; Occupancy: 1
; WaveLimiterHint : 1
; COMPUTE_PGM_RSRC2:SCRATCH_EN: 0
; COMPUTE_PGM_RSRC2:USER_SGPR: 2
; COMPUTE_PGM_RSRC2:TRAP_HANDLER: 0
; COMPUTE_PGM_RSRC2:TGID_X_EN: 1
; COMPUTE_PGM_RSRC2:TGID_Y_EN: 1
; COMPUTE_PGM_RSRC2:TGID_Z_EN: 0
; COMPUTE_PGM_RSRC2:TIDIG_COMP_CNT: 0
; COMPUTE_PGM_RSRC3_GFX90A:ACCUM_OFFSET: 33
; COMPUTE_PGM_RSRC3_GFX90A:TG_SPLIT: 0
	.section	.text._ZN12_GLOBAL__N_139chunk_gated_delta_rule_fwd_h_hip_kernelILi32ELb1ELb0ELb0ELb1ELb0ELb0ELb0ELb0EEEvPK12hip_bfloat16S3_S3_PKfS5_PKvPS1_S8_PvPKiSB_iiiiilll,"axG",@progbits,_ZN12_GLOBAL__N_139chunk_gated_delta_rule_fwd_h_hip_kernelILi32ELb1ELb0ELb0ELb1ELb0ELb0ELb0ELb0EEEvPK12hip_bfloat16S3_S3_PKfS5_PKvPS1_S8_PvPKiSB_iiiiilll,comdat
	.globl	_ZN12_GLOBAL__N_139chunk_gated_delta_rule_fwd_h_hip_kernelILi32ELb1ELb0ELb0ELb1ELb0ELb0ELb0ELb0EEEvPK12hip_bfloat16S3_S3_PKfS5_PKvPS1_S8_PvPKiSB_iiiiilll ; -- Begin function _ZN12_GLOBAL__N_139chunk_gated_delta_rule_fwd_h_hip_kernelILi32ELb1ELb0ELb0ELb1ELb0ELb0ELb0ELb0EEEvPK12hip_bfloat16S3_S3_PKfS5_PKvPS1_S8_PvPKiSB_iiiiilll
	.p2align	8
	.type	_ZN12_GLOBAL__N_139chunk_gated_delta_rule_fwd_h_hip_kernelILi32ELb1ELb0ELb0ELb1ELb0ELb0ELb0ELb0EEEvPK12hip_bfloat16S3_S3_PKfS5_PKvPS1_S8_PvPKiSB_iiiiilll,@function
_ZN12_GLOBAL__N_139chunk_gated_delta_rule_fwd_h_hip_kernelILi32ELb1ELb0ELb0ELb1ELb0ELb0ELb0ELb0EEEvPK12hip_bfloat16S3_S3_PKfS5_PKvPS1_S8_PvPKiSB_iiiiilll: ; @_ZN12_GLOBAL__N_139chunk_gated_delta_rule_fwd_h_hip_kernelILi32ELb1ELb0ELb0ELb1ELb0ELb0ELb0ELb0EEEvPK12hip_bfloat16S3_S3_PKfS5_PKvPS1_S8_PvPKiSB_iiiiilll
; %bb.0:
	s_load_dwordx4 s[12:15], s[0:1], 0x5c
	s_load_dwordx4 s[20:23], s[0:1], 0x70
	s_abs_i32 s9, s3
	s_ashr_i32 s8, s3, 31
	s_load_dwordx4 s[4:7], s[0:1], 0x48
	s_waitcnt lgkmcnt(0)
	s_abs_i32 s10, s13
	v_cvt_f32_u32_e32 v1, s10
	s_sub_i32 s16, 0, s10
	s_ashr_i32 s11, s13, 31
	s_xor_b32 s8, s8, s11
	v_rcp_iflag_f32_e32 v1, v1
	v_and_b32_e32 v61, 15, v0
	v_lshrrev_b32_e32 v59, 6, v0
	v_bfe_u32 v60, v0, 4, 2
	v_mul_f32_e32 v1, 0x4f7ffffe, v1
	v_cvt_u32_f32_e32 v1, v1
	v_mov_b32_e32 v7, 0
	v_and_b32_e32 v58, 63, v0
	v_lshrrev_b32_e32 v63, 3, v58
	v_readfirstlane_b32 s17, v1
	s_mul_i32 s16, s16, s17
	s_mul_hi_u32 s16, s17, s16
	s_add_i32 s17, s17, s16
	s_mul_hi_u32 s16, s9, s17
	s_mul_i32 s17, s16, s10
	s_sub_i32 s9, s9, s17
	s_add_i32 s18, s16, 1
	s_sub_i32 s17, s9, s10
	s_cmp_ge_u32 s9, s10
	s_cselect_b32 s16, s18, s16
	s_cselect_b32 s9, s17, s9
	s_add_i32 s17, s16, 1
	s_cmp_ge_u32 s9, s10
	s_cselect_b32 s9, s17, s16
	s_load_dwordx4 s[16:19], s[0:1], 0x28
	s_xor_b32 s9, s9, s8
	s_sub_i32 s24, s9, s8
	s_mul_i32 s28, s24, s13
	s_ashr_i32 s25, s24, 31
	s_sub_i32 s45, s3, s28
	s_lshl_b64 s[8:9], s[24:25], 2
	s_add_u32 s4, s4, s8
	s_addc_u32 s5, s5, s9
	s_add_u32 s26, s6, s8
	s_addc_u32 s27, s7, s9
	s_abs_i32 s3, s14
	v_cvt_f32_u32_e32 v1, s3
	s_load_dwordx2 s[30:31], s[4:5], 0x0
	s_sub_i32 s5, 0, s3
	s_lshl_b32 s2, s2, 5
	v_rcp_iflag_f32_e32 v1, v1
	v_or_b32_e32 v50, s2, v61
	s_waitcnt lgkmcnt(0)
	s_sub_i32 s48, s31, s30
	s_ashr_i32 s4, s48, 31
	v_mul_f32_e32 v1, 0x4f7ffffe, v1
	v_cvt_u32_f32_e32 v1, v1
	s_lshr_b32 s4, s4, 26
	s_add_i32 s4, s48, s4
	s_ashr_i32 s46, s4, 6
	v_readfirstlane_b32 s6, v1
	s_mul_i32 s5, s5, s6
	s_mul_hi_u32 s5, s6, s5
	s_add_i32 s6, s6, s5
	s_mul_hi_u32 s5, s10, s6
	s_mul_i32 s6, s5, s3
	s_ashr_i32 s4, s14, 31
	s_sub_i32 s6, s10, s6
	s_xor_b32 s4, s11, s4
	s_add_i32 s7, s5, 1
	s_sub_i32 s8, s6, s3
	s_cmp_ge_u32 s6, s3
	s_cselect_b32 s5, s7, s5
	s_cselect_b32 s6, s8, s6
	s_add_i32 s7, s5, 1
	s_cmp_ge_u32 s6, s3
	s_cselect_b32 s3, s7, s5
	s_xor_b32 s3, s3, s4
	s_sub_i32 s3, s3, s4
	s_abs_i32 s4, s3
	v_cvt_f32_u32_e32 v1, s4
	s_sub_i32 s6, 0, s4
	s_abs_i32 s5, s45
	s_xor_b32 s3, s45, s3
	v_rcp_iflag_f32_e32 v1, v1
	s_ashr_i32 s3, s3, 31
	v_lshlrev_b32_e32 v2, 7, v50
	v_ashrrev_i32_e32 v3, 31, v2
	v_mul_f32_e32 v1, 0x4f7ffffe, v1
	v_cvt_u32_f32_e32 v1, v1
	s_mul_hi_i32 s51, s45, s12
	s_mul_i32 s52, s45, s12
	v_lshlrev_b32_e32 v62, 3, v0
	v_readfirstlane_b32 s7, v1
	s_mul_i32 s6, s6, s7
	s_mul_hi_u32 s6, s7, s6
	s_add_i32 s7, s7, s6
	s_mul_hi_u32 s6, s5, s7
	s_mul_i32 s7, s6, s4
	s_sub_i32 s5, s5, s7
	s_add_i32 s7, s6, 1
	s_sub_i32 s8, s5, s4
	s_cmp_ge_u32 s5, s4
	s_cselect_b32 s6, s7, s6
	s_cselect_b32 s5, s8, s5
	s_add_i32 s7, s6, 1
	s_cmp_ge_u32 s5, s4
	s_cselect_b32 s4, s7, s6
	s_xor_b32 s4, s4, s3
	s_sub_i32 s49, s4, s3
	s_ashr_i32 s47, s45, 31
	s_mul_hi_i32 s3, s24, s13
	s_add_u32 s4, s28, s45
	s_addc_u32 s5, s3, s47
	s_lshl_b64 s[4:5], s[4:5], 16
	s_add_u32 s4, s16, s4
	s_addc_u32 s5, s17, s5
	v_lshlrev_b32_e32 v1, 4, v59
	v_lshl_add_u64 v[4:5], v[2:3], 2, s[4:5]
	v_or_b32_e32 v2, 0x800, v2
	v_lshl_or_b32 v64, v60, 2, v1
	v_ashrrev_i32_e32 v3, 31, v2
	v_lshlrev_b32_e32 v6, 2, v64
	v_lshl_add_u64 v[2:3], v[2:3], 2, s[4:5]
	v_lshl_add_u64 v[4:5], v[4:5], 0, v[6:7]
	;; [unrolled: 1-line block ×3, first 2 shown]
	global_load_dwordx4 v[14:17], v[4:5], off
	global_load_dwordx4 v[10:13], v[4:5], off offset:256
	global_load_dwordx4 v[6:9], v[18:19], off
	s_nop 0
	global_load_dwordx4 v[2:5], v[18:19], off offset:256
	s_load_dwordx8 s[4:11], s[0:1], 0x0
	s_load_dwordx2 s[28:29], s[0:1], 0x80
	s_load_dword s50, s[26:27], 0x0
	v_or_b32_e32 v65, 64, v64
	s_cmp_lt_i32 s48, 64
	s_mul_i32 s33, s24, s21
	s_mul_hi_u32 s41, s24, s20
	s_mul_i32 s42, s25, s20
	s_mul_i32 s34, s24, s20
	;; [unrolled: 1-line block ×3, first 2 shown]
	s_mul_hi_u32 s43, s45, s22
	s_mul_i32 s44, s47, s22
	s_mul_i32 s36, s45, s22
	s_cbranch_scc1 .LBB500_3
; %bb.1:
	s_ashr_i32 s1, s30, 31
	s_add_u32 s0, s52, s30
	s_addc_u32 s1, s51, s1
	s_lshl_b64 s[0:1], s[0:1], 8
	v_and_b32_e32 v67, 56, v62
	s_waitcnt lgkmcnt(0)
	s_add_u32 s20, s6, s0
	v_lshl_or_b32 v66, v59, 3, v63
	v_lshlrev_b32_e32 v18, 1, v67
	s_addc_u32 s0, s7, s1
	v_lshl_or_b32 v68, v66, 8, v18
	s_and_b32 s21, s0, 0xffff
	s_mov_b32 s23, 0x20000
	s_movk_i32 s22, 0x4000
	s_movk_i32 s0, 0x80
	v_or_b32_e32 v69, 0x2000, v68
	buffer_load_dwordx4 v[20:23], v68, s[20:23], 0 offen
	buffer_load_dwordx4 v[24:27], v68, s[20:23], s0 offen
	;; [unrolled: 1-line block ×4, first 2 shown]
	v_lshlrev_b32_e32 v19, 3, v66
	v_and_or_b32 v37, v0, 7, v19
	v_and_b32_e32 v19, 0x78, v19
	v_lshlrev_b32_e32 v37, 4, v37
	v_xor_b32_e32 v70, v37, v19
	v_mul_lo_u32 v36, v66, s15
	v_or_b32_e32 v71, 0x1000, v70
	v_xor_b32_e32 v19, 8, v70
	s_cmpk_eq_i32 s15, 0x80
	s_mov_b32 s53, s30
	v_xor_b32_e32 v37, 8, v71
	s_cselect_b64 s[0:1], -1, 0
	s_cmpk_lg_i32 s15, 0x80
	s_waitcnt vmcnt(3)
	ds_write_b64 v70, v[20:21] offset:24576
	ds_write_b64 v19, v[22:23] offset:24576
	s_waitcnt vmcnt(2)
	ds_write_b64 v70, v[24:25] offset:32768
	ds_write_b64 v19, v[26:27] offset:32768
	;; [unrolled: 3-line block ×4, first 2 shown]
	v_lshl_add_u32 v19, v36, 1, v67
	s_cbranch_scc0 .LBB500_29
; %bb.2:
	v_lshlrev_b32_e32 v21, 1, v19
	v_add_lshl_u32 v20, v19, s15, 1
	s_lshl_b32 s22, s15, 7
	v_lshl_or_b32 v18, v66, 9, v18
	s_cbranch_execz .LBB500_30
	s_branch .LBB500_31
.LBB500_3:
	s_waitcnt vmcnt(0)
	v_mov_b32_e32 v19, v5
	v_mov_b32_e32 v18, v9
	;; [unrolled: 1-line block ×4, first 2 shown]
.LBB500_4:
	s_lshl_b32 s26, s46, 6
	s_sub_i32 s27, s48, s26
	s_cmp_gt_i32 s27, 0
	s_cbranch_scc0 .LBB500_84
; %bb.5:
	s_add_i32 s26, s26, s30
	s_ashr_i32 s3, s26, 31
	s_cmpk_lg_i32 s15, 0x80
	s_cselect_b64 s[22:23], -1, 0
	s_and_b64 vcc, exec, s[22:23]
	s_cbranch_vccz .LBB500_7
; %bb.6:
	s_mul_hi_i32 s0, s26, s14
	s_mul_i32 s1, s26, s14
	s_ashr_i32 s14, s49, 31
	s_add_u32 s24, s1, s49
	s_addc_u32 s25, s0, s14
	s_cbranch_execz .LBB500_8
	s_branch .LBB500_9
.LBB500_7:
                                        ; implicit-def: $sgpr24_sgpr25
.LBB500_8:
	s_mul_i32 s1, s49, s12
	s_mul_hi_i32 s0, s49, s12
	s_add_u32 s24, s1, s26
	s_addc_u32 s25, s0, s3
.LBB500_9:
	s_waitcnt lgkmcnt(0)
	s_add_i32 s12, s46, s50
	s_add_u32 s0, s52, s26
	s_addc_u32 s1, s51, s3
	v_lshlrev_b32_e32 v21, 5, v64
	v_lshlrev_b32_e32 v22, 2, v61
	s_mov_b32 s3, 0x7060302
	v_xor_b32_e32 v5, v64, v22
	v_xor_b32_e32 v23, v65, v22
	v_perm_b32 v13, v9, v12, s3
	v_or_b32_e32 v9, v21, v22
	s_lshl_b64 s[20:21], s[0:1], 8
	v_perm_b32 v17, v20, v16, s3
	v_perm_b32 v16, v15, v14, s3
	;; [unrolled: 1-line block ×3, first 2 shown]
	v_lshlrev_b32_e32 v9, 1, v9
	v_lshlrev_b32_e32 v10, 1, v5
	v_lshlrev_b32_e32 v5, 8, v61
	v_lshlrev_b32_e32 v11, 1, v23
	s_add_u32 s0, s6, s20
	ds_write2st64_b64 v9, v[16:17], v[12:13] offset0:80 offset1:88
	v_or_b32_e32 v9, v10, v5
	v_or_b32_e32 v5, v11, v5
	s_addc_u32 s1, s7, s21
	ds_write_b64 v9, v[16:17]
	ds_write_b64 v5, v[12:13]
	v_perm_b32 v9, v18, v8, s3
	v_perm_b32 v8, v7, v6, s3
	v_perm_b32 v5, v19, v4, s3
	v_perm_b32 v4, v3, v2, s3
	s_mul_hi_i32 s3, s12, s13
	s_mul_i32 s12, s12, s13
	s_add_u32 s6, s12, s45
	v_or_b32_e32 v2, 16, v61
	s_addc_u32 s7, s3, s47
	v_lshlrev_b32_e32 v19, 2, v2
	s_ashr_i32 s3, s2, 31
	s_lshl_b64 s[6:7], s[6:7], 15
	v_or_b32_e32 v3, v21, v19
	s_add_u32 s6, s18, s6
	v_lshlrev_b32_e32 v3, 1, v3
	v_lshlrev_b32_e32 v2, 8, v2
	s_addc_u32 s7, s19, s7
	s_lshl_b64 s[2:3], s[2:3], 8
	ds_write2st64_b64 v3, v[8:9], v[4:5] offset0:80 offset1:88
	v_or_b32_e32 v3, v10, v2
	v_or_b32_e32 v2, v11, v2
	s_add_u32 s2, s6, s2
	ds_write_b64 v3, v[8:9]
	ds_write_b64 v2, v[4:5]
	v_lshrrev_b32_e32 v2, 4, v0
	s_addc_u32 s3, s7, s3
	v_lshlrev_b32_e32 v3, 1, v61
	v_lshlrev_b32_e32 v10, 4, v61
	v_mov_b32_e32 v11, 0
	v_or_b32_e32 v4, 1, v3
	v_xor_b32_e32 v3, v2, v3
	v_lshl_add_u64 v[12:13], s[2:3], 0, v[10:11]
	v_lshlrev_b32_e32 v10, 8, v2
	v_xor_b32_e32 v6, v4, v2
	v_lshl_or_b32 v2, v3, 3, v10
	s_waitcnt lgkmcnt(0)
	s_barrier
	ds_read2st64_b64 v[2:5], v2 offset1:8
	v_lshl_or_b32 v6, v6, 3, v10
	ds_read2st64_b64 v[6:9], v6 offset1:8
	v_lshl_add_u64 v[14:15], v[12:13], 0, v[10:11]
	s_movk_i32 s2, 0x1000
	s_waitcnt lgkmcnt(1)
	v_mov_b32_e32 v10, v2
	v_add_co_u32_e32 v2, vcc, s2, v14
	s_cmp_lg_u32 s27, 64
	v_mov_b32_e32 v11, v3
	v_addc_co_u32_e32 v3, vcc, 0, v15, vcc
	s_cselect_b64 s[6:7], -1, 0
	v_lshl_or_b32 v23, v59, 3, v63
	s_waitcnt lgkmcnt(0)
	v_mov_b32_e32 v12, v6
	v_mov_b32_e32 v13, v7
	;; [unrolled: 1-line block ×4, first 2 shown]
	s_mov_b32 s16, 0
	v_or_b32_e32 v20, 32, v23
	v_and_b32_e32 v18, 56, v62
	s_and_b64 vcc, exec, s[6:7]
	global_store_dwordx4 v[14:15], v[10:13], off
	global_store_dwordx4 v[2:3], v[6:9], off
	s_cbranch_vccz .LBB500_15
; %bb.10:
	s_mov_b32 s17, s16
	s_mov_b32 s18, s16
	;; [unrolled: 1-line block ×3, first 2 shown]
	v_mov_b64_e32 v[6:7], s[16:17]
	v_mov_b64_e32 v[8:9], s[18:19]
	;; [unrolled: 1-line block ×3, first 2 shown]
	v_cmp_gt_i32_e32 vcc, s27, v23
	v_mov_b64_e32 v[4:5], v[8:9]
	s_and_saveexec_b64 s[2:3], vcc
	s_cbranch_execz .LBB500_12
; %bb.11:
	v_lshlrev_b32_e32 v2, 8, v23
	v_mov_b32_e32 v3, 0
	v_lshl_add_u64 v[4:5], s[0:1], 0, v[2:3]
	v_lshlrev_b32_e32 v2, 1, v18
	v_lshl_add_u64 v[10:11], v[4:5], 0, v[2:3]
	global_load_dwordx4 v[6:9], v[10:11], off
	global_load_dwordx4 v[2:5], v[10:11], off offset:128
.LBB500_12:
	s_or_b64 exec, exec, s[2:3]
	s_mov_b32 s17, s16
	s_mov_b32 s18, s16
	;; [unrolled: 1-line block ×3, first 2 shown]
	v_mov_b64_e32 v[14:15], s[16:17]
	v_mov_b64_e32 v[16:17], s[18:19]
	;; [unrolled: 1-line block ×3, first 2 shown]
	v_cmp_gt_i32_e32 vcc, s27, v20
	v_lshlrev_b32_e32 v21, 7, v20
	v_mov_b64_e32 v[12:13], v[16:17]
	s_and_saveexec_b64 s[2:3], vcc
	s_cbranch_execz .LBB500_14
; %bb.13:
	v_lshlrev_b32_e32 v10, 1, v21
	v_mov_b32_e32 v11, 0
	v_lshl_add_u64 v[12:13], s[0:1], 0, v[10:11]
	v_lshlrev_b32_e32 v10, 1, v18
	v_lshl_add_u64 v[24:25], v[12:13], 0, v[10:11]
	global_load_dwordx4 v[14:17], v[24:25], off
	global_load_dwordx4 v[10:13], v[24:25], off offset:128
.LBB500_14:
	s_or_b64 exec, exec, s[2:3]
	v_lshrrev_b32_e32 v24, 3, v18
	v_lshlrev_b32_e32 v25, 3, v23
	v_or_b32_e32 v24, v25, v24
	v_lshlrev_b32_e32 v24, 4, v24
	v_and_b32_e32 v25, 0x78, v25
	v_xor_b32_e32 v24, v24, v25
	s_branch .LBB500_17
.LBB500_15:
                                        ; implicit-def: $vgpr24
                                        ; implicit-def: $vgpr21
                                        ; implicit-def: $vgpr6_vgpr7_vgpr8_vgpr9
                                        ; implicit-def: $vgpr2_vgpr3_vgpr4_vgpr5
                                        ; implicit-def: $vgpr14_vgpr15_vgpr16_vgpr17
                                        ; implicit-def: $vgpr10_vgpr11_vgpr12_vgpr13
	s_cbranch_execz .LBB500_17
; %bb.16:
	s_waitcnt vmcnt(0)
	v_lshlrev_b32_e32 v2, 1, v18
	v_lshl_or_b32 v21, v23, 8, v2
	s_and_b32 s1, s1, 0xffff
	s_mov_b32 s3, 0x20000
	s_movk_i32 s2, 0x4000
	v_lshl_or_b32 v24, v20, 8, v2
	s_movk_i32 s12, 0x80
	buffer_load_dwordx4 v[6:9], v21, s[0:3], 0 offen
	buffer_load_dwordx4 v[2:5], v21, s[0:3], s12 offen
	;; [unrolled: 1-line block ×4, first 2 shown]
	v_lshrrev_b32_e32 v21, 3, v18
	v_lshlrev_b32_e32 v24, 3, v23
	v_or_b32_e32 v21, v24, v21
	v_lshlrev_b32_e32 v21, 4, v21
	v_and_b32_e32 v24, 0x78, v24
	v_xor_b32_e32 v24, v21, v24
	v_lshlrev_b32_e32 v21, 7, v20
.LBB500_17:
	s_lshl_b64 s[0:1], s[24:25], 8
	s_add_u32 s4, s4, s0
	s_movk_i32 s0, 0x1000
	v_and_or_b32 v20, v21, s0, v24
	s_waitcnt vmcnt(1)
	ds_write_b64 v24, v[6:7] offset:24576
	v_xor_b32_e32 v6, 8, v24
	ds_write_b64 v6, v[8:9] offset:24576
	s_waitcnt vmcnt(0)
	ds_write_b64 v24, v[2:3] offset:32768
	ds_write_b64 v6, v[4:5] offset:32768
	;; [unrolled: 1-line block ×3, first 2 shown]
	v_xor_b32_e32 v2, 8, v20
	ds_write_b64 v2, v[16:17] offset:24576
	ds_write_b64 v20, v[10:11] offset:32768
	;; [unrolled: 1-line block ×3, first 2 shown]
	v_or_b32_e32 v2, v1, v61
	v_lshlrev_b32_e32 v3, 11, v59
	v_lshlrev_b32_e32 v2, 3, v2
	v_and_b32_e32 v6, 0x1000, v3
	v_lshrrev_b32_e32 v3, 5, v58
	s_movk_i32 s3, 0xf8
	v_and_or_b32 v3, v2, s3, v3
	v_lshlrev_b32_e32 v7, 4, v3
	v_and_b32_e32 v8, 0x78, v2
	v_or_b32_e32 v10, 32, v7
	v_lshrrev_b32_e32 v3, 1, v58
	v_xor_b32_e32 v10, v10, v8
	v_xor_b32_e32 v2, v7, v8
	v_and_b32_e32 v9, 8, v3
	v_or_b32_e32 v10, v10, v6
	v_or_b32_e32 v2, v2, v6
	v_xor_b32_e32 v26, v10, v9
	v_or_b32_e32 v10, 64, v7
	v_xor_b32_e32 v25, v2, v9
	v_xor_b32_e32 v10, v10, v8
	s_waitcnt lgkmcnt(0)
	s_barrier
	v_or_b32_e32 v12, v10, v6
	ds_read_b64 v[10:11], v25 offset:24576
	v_lshl_or_b32 v20, v60, 7, v22
	v_lshlrev_b32_e32 v24, 1, v20
	v_add_u32_e32 v2, 0xa000, v24
	ds_read2_b64 v[2:5], v2 offset1:16
	v_or_b32_e32 v7, 0x60, v7
	v_xor_b32_e32 v7, v7, v8
	s_waitcnt lgkmcnt(0)
	v_mfma_f32_16x16x16_bf16 a[0:3], v[10:11], v[2:3], 0
	v_or_b32_e32 v2, 64, v20
	v_or_b32_e32 v6, v7, v6
	v_lshlrev_b32_e32 v29, 1, v2
	v_xor_b32_e32 v27, v12, v9
	v_xor_b32_e32 v28, v6, v9
	ds_read_b64 v[12:13], v26 offset:24576
	ds_read_b64 v[14:15], v27 offset:24576
	;; [unrolled: 1-line block ×3, first 2 shown]
	v_mfma_f32_16x16x16_bf16 a[4:7], v[10:11], v[4:5], 0
	ds_read2st64_b64 v[2:5], v29 offset0:82 offset1:84
	ds_read2st64_b64 v[6:9], v24 offset0:82 offset1:84
	s_addc_u32 s5, s5, s1
	s_add_i32 s1, s41, s33
	s_add_i32 s0, s31, -1
	s_add_i32 s35, s1, s42
	s_add_i32 s1, s43, s40
	;; [unrolled: 1-line block ×3, first 2 shown]
	s_ashr_i32 s1, s0, 31
	s_mul_i32 s2, s0, s29
	s_mul_hi_u32 s3, s0, s28
	s_add_i32 s2, s3, s2
	s_mul_i32 s1, s1, s28
	s_waitcnt lgkmcnt(1)
	v_mfma_f32_16x16x16_bf16 a[4:7], v[12:13], v[2:3], a[4:7]
	s_add_i32 s1, s2, s1
	s_lshl_b64 s[2:3], s[34:35], 2
	s_add_u32 s10, s10, s2
	s_waitcnt lgkmcnt(0)
	v_mfma_f32_16x16x16_bf16 a[0:3], v[12:13], v[6:7], a[0:3]
	s_addc_u32 s11, s11, s3
	s_lshl_b64 s[2:3], s[36:37], 2
	s_mul_i32 s0, s0, s28
	s_add_u32 s10, s10, s2
	ds_read_b64 v[2:3], v24 offset:44032
	v_mfma_f32_16x16x16_bf16 a[4:7], v[14:15], v[4:5], a[4:7]
	ds_read_b64 v[4:5], v29 offset:44032
	s_addc_u32 s11, s11, s3
	s_lshl_b64 s[0:1], s[0:1], 2
	v_mfma_f32_16x16x16_bf16 a[0:3], v[14:15], v[8:9], a[0:3]
	s_add_u32 s0, s10, s0
	s_addc_u32 s1, s11, s1
	s_load_dword s12, s[0:1], 0x0
	s_waitcnt lgkmcnt(0)
	v_mfma_f32_16x16x16_bf16 a[0:3], v[16:17], v[2:3], a[0:3]
	s_and_b64 vcc, exec, s[22:23]
	v_mfma_f32_16x16x16_bf16 a[4:7], v[16:17], v[4:5], a[4:7]
	s_cbranch_vccz .LBB500_28
; %bb.18:
	v_lshlrev_b32_e32 v20, 1, v23
	s_and_b64 vcc, exec, s[6:7]
	s_cbranch_vccz .LBB500_44
; %bb.19:
	v_cmp_gt_i32_e32 vcc, s27, v20
	v_mov_b32_e32 v6, 0
	v_mov_b32_e32 v2, 0
	;; [unrolled: 1-line block ×5, first 2 shown]
	s_and_saveexec_b64 s[0:1], vcc
	s_cbranch_execz .LBB500_21
; %bb.20:
	v_mad_i64_i32 v[2:3], s[2:3], s15, v20, 0
	v_lshl_add_u64 v[2:3], v[2:3], 1, s[4:5]
	v_lshlrev_b32_e32 v4, 1, v18
	v_mov_b32_e32 v5, 0
	v_lshl_add_u64 v[2:3], v[2:3], 0, v[4:5]
	global_load_dwordx4 v[2:5], v[2:3], off
.LBB500_21:
	s_or_b64 exec, exec, s[0:1]
	v_or_b32_e32 v21, 1, v20
	v_cmp_gt_i32_e64 s[0:1], s27, v21
	v_mov_b32_e32 v7, 0
	v_mov_b32_e32 v8, 0
	;; [unrolled: 1-line block ×3, first 2 shown]
	s_and_saveexec_b64 s[2:3], s[0:1]
	s_cbranch_execz .LBB500_23
; %bb.22:
	v_mad_i64_i32 v[6:7], s[16:17], s15, v21, 0
	v_lshl_add_u64 v[6:7], v[6:7], 1, s[4:5]
	v_lshlrev_b32_e32 v8, 1, v18
	v_mov_b32_e32 v9, 0
	v_lshl_add_u64 v[6:7], v[6:7], 0, v[8:9]
	global_load_dwordx4 v[6:9], v[6:7], off
.LBB500_23:
	s_or_b64 exec, exec, s[2:3]
	v_mov_b32_e32 v17, 0
	v_mov_b32_e32 v10, 0
	v_mov_b32_e32 v11, 0
	v_mov_b32_e32 v12, 0
	v_mov_b32_e32 v13, 0
	s_and_saveexec_b64 s[2:3], vcc
	s_cbranch_execz .LBB500_25
; %bb.24:
	v_mad_i64_i32 v[10:11], s[16:17], s15, v20, 0
	v_lshl_add_u64 v[10:11], v[10:11], 1, s[4:5]
	v_lshlrev_b32_e32 v12, 1, v18
	v_mov_b32_e32 v13, 0
	v_lshl_add_u64 v[10:11], v[10:11], 0, v[12:13]
	global_load_dwordx4 v[10:13], v[10:11], off offset:128
.LBB500_25:
	s_or_b64 exec, exec, s[2:3]
	v_mov_b32_e32 v16, 0
	v_mov_b32_e32 v15, 0
	;; [unrolled: 1-line block ×3, first 2 shown]
	s_and_saveexec_b64 s[2:3], s[0:1]
	s_cbranch_execz .LBB500_27
; %bb.26:
	v_mad_i64_i32 v[14:15], s[0:1], s15, v21, 0
	v_lshl_add_u64 v[14:15], v[14:15], 1, s[4:5]
	v_lshlrev_b32_e32 v16, 1, v18
	v_mov_b32_e32 v17, 0
	v_lshl_add_u64 v[14:15], v[14:15], 0, v[16:17]
	global_load_dwordx4 v[14:17], v[14:15], off offset:128
.LBB500_27:
	s_or_b64 exec, exec, s[2:3]
	s_branch .LBB500_46
.LBB500_28:
                                        ; implicit-def: $vgpr5
                                        ; implicit-def: $vgpr9
                                        ; implicit-def: $vgpr13
                                        ; implicit-def: $vgpr17
	v_lshrrev_b32_e32 v30, 2, v58
	s_branch .LBB500_47
.LBB500_29:
                                        ; implicit-def: $vgpr20
                                        ; implicit-def: $vgpr21
                                        ; implicit-def: $sgpr22
	v_lshl_or_b32 v18, v66, 9, v18
.LBB500_30:
	v_or_b32_e32 v20, 0x100, v18
	s_movk_i32 s22, 0x4000
	v_mov_b32_e32 v21, v18
.LBB500_31:
	s_mul_i32 s16, s30, s14
	s_ashr_i32 s54, s49, 31
	s_mul_hi_i32 s3, s30, s14
	s_add_u32 s16, s16, s49
	s_addc_u32 s17, s3, s54
	s_lshl_b64 s[16:17], s[16:17], 8
	s_add_u32 s20, s4, s16
	s_addc_u32 s3, s5, s17
	s_and_b32 s21, s3, 0xffff
	s_movk_i32 s55, 0x80
	buffer_load_dwordx4 v[22:25], v21, s[20:23], 0 offen
	buffer_load_dwordx4 v[26:29], v21, s[20:23], s55 offen
	;; [unrolled: 1-line block ×4, first 2 shown]
	v_and_b32_e32 v20, 6, v0
	v_lshlrev_b32_e32 v39, 6, v64
	v_or_b32_e32 v41, 16, v61
	v_xor_b32_e32 v42, v66, v20
	v_and_b32_e32 v21, 1, v0
	v_lshl_or_b32 v45, v61, 3, v39
	v_lshl_or_b32 v39, v41, 3, v39
	v_lshlrev_b32_e32 v42, 2, v42
	v_lshlrev_b32_e32 v38, 2, v61
	v_or_b32_e32 v74, 0xa000, v39
	v_or_b32_e32 v75, 0xb000, v39
	v_xor_b32_e32 v39, 0x440, v42
	v_cmp_eq_u32_e32 vcc, 0, v21
	s_add_i32 s3, s41, s33
	v_xor_b32_e32 v43, v64, v38
	v_xor_b32_e32 v44, v65, v38
	v_cndmask_b32_e32 v21, v39, v42, vcc
	s_add_i32 s16, s43, s40
	s_add_i32 s35, s3, s42
	s_mov_b32 s56, 0x1000504
	v_lshlrev_b32_e32 v40, 8, v61
	v_lshlrev_b32_e32 v41, 8, v41
	v_lshlrev_b32_e32 v43, 1, v43
	v_lshlrev_b32_e32 v44, 1, v44
	v_lshl_or_b32 v20, v20, 10, v21
	s_add_i32 s37, s16, s44
	s_lshl_b64 s[16:17], s[34:35], 2
	s_mov_b32 s57, 0x3020706
	v_or_b32_e32 v72, 0xa000, v45
	v_or_b32_e32 v73, 0xb000, v45
	;; [unrolled: 1-line block ×5, first 2 shown]
	v_xor_b32_e32 v21, 8, v20
	v_xor_b32_e32 v40, 24, v20
	;; [unrolled: 1-line block ×4, first 2 shown]
	s_add_u32 s3, s10, s16
	v_or_b32_e32 v78, v41, v43
	v_xor_b32_e32 v39, 16, v20
	v_xor_b32_e32 v41, 32, v20
	;; [unrolled: 1-line block ×3, first 2 shown]
	v_add_u32_e32 v21, 0x80, v21
	v_add_u32_e32 v40, 0x80, v40
	;; [unrolled: 1-line block ×4, first 2 shown]
	s_addc_u32 s20, s11, s17
	s_lshl_b64 s[16:17], s[36:37], 2
	s_add_u32 s16, s3, s16
	s_movk_i32 s3, 0xf8
	s_addc_u32 s17, s20, s17
	s_lshl_b32 s26, s15, 7
	s_movk_i32 s24, 0x100
	v_mov_b32_e32 v53, 0
	v_lshlrev_b32_e32 v52, 4, v61
	v_cmp_gt_u32_e32 vcc, s24, v0
	v_ashrrev_i32_e32 v51, 31, v50
	s_mov_b32 s58, 0
	s_movk_i32 s35, 0x1000
	s_movk_i32 s22, 0x4000
	v_lshl_add_u64 v[54:55], v[50:51], 1, s[8:9]
	v_mov_b32_e32 v51, 0x3fb8aa3b
	s_waitcnt vmcnt(1)
	v_perm_b32 v45, v22, v30, s56
	s_waitcnt vmcnt(0)
	v_perm_b32 v46, v26, v34, s56
	v_perm_b32 v22, v22, v30, s57
	;; [unrolled: 1-line block ×15, first 2 shown]
	ds_write2st64_b32 v20, v45, v46 offset0:32 offset1:64
	ds_write2st64_b32 v21, v22, v26 offset0:32 offset1:64
	;; [unrolled: 1-line block ×8, first 2 shown]
	v_or_b32_e32 v20, v1, v61
	v_lshlrev_b32_e32 v20, 3, v20
	v_lshrrev_b32_e32 v23, 5, v58
	v_and_or_b32 v23, v20, s3, v23
	v_lshlrev_b32_e32 v23, 4, v23
	v_lshlrev_b32_e32 v21, 11, v59
	v_and_b32_e32 v20, 0x78, v20
	v_or_b32_e32 v28, 32, v23
	v_and_b32_e32 v22, 0x1000, v21
	v_lshrrev_b32_e32 v25, 1, v0
	v_xor_b32_e32 v28, v28, v20
	v_and_b32_e32 v26, 8, v25
	v_or_b32_e32 v28, v28, v22
	v_xor_b32_e32 v24, v23, v20
	v_xor_b32_e32 v82, v28, v26
	v_or_b32_e32 v28, 64, v23
	v_or_b32_e32 v23, 0x60, v23
	s_ashr_i32 s3, s2, 31
	v_xor_b32_e32 v28, v28, v20
	v_xor_b32_e32 v20, v23, v20
	s_lshl_b64 s[20:21], s[2:3], 8
	v_or_b32_e32 v24, v24, v22
	v_or_b32_e32 v28, v28, v22
	;; [unrolled: 1-line block ×3, first 2 shown]
	s_add_u32 s20, s18, s20
	v_lshlrev_b32_e32 v22, 1, v61
	v_xor_b32_e32 v84, v28, v26
	v_lshrrev_b32_e32 v28, 4, v0
	s_addc_u32 s21, s19, s21
	v_or_b32_e32 v23, 1, v22
	v_mov_b32_e32 v32, 0x4000
	v_mov_b32_e32 v33, 0x2000
	v_xor_b32_e32 v29, v28, v22
	v_xor_b32_e32 v30, v23, v28
	v_lshl_add_u64 v[22:23], s[20:21], 0, v[52:53]
	v_lshlrev_b32_e32 v52, 8, v28
	v_cndmask_b32_e32 v32, v32, v33, vcc
	v_lshlrev_b32_e32 v33, 3, v59
	v_and_b32_e32 v25, 24, v25
	v_lshl_or_b32 v88, v29, 3, v52
	v_and_b32_e32 v29, 8, v0
	v_xor_b32_e32 v34, v33, v25
	v_or_b32_e32 v35, 0x440, v34
	v_cmp_eq_u32_e32 vcc, 0, v29
	v_and_b32_e32 v28, 7, v0
	v_xor_b32_e32 v80, v24, v26
	v_cndmask_b32_e32 v29, v35, v34, vcc
	v_lshlrev_b32_e32 v24, 7, v60
	v_lshl_or_b32 v89, v30, 3, v52
	v_lshlrev_b32_e32 v30, 3, v28
	v_lshlrev_b32_e32 v28, 7, v28
	v_lshlrev_b32_e32 v31, 2, v0
	v_or_b32_e32 v29, v29, v21
	v_or_b32_e32 v27, v24, v38
	v_xad_u32 v90, v29, v30, v28
	v_and_or_b32 v24, v31, 60, v24
	v_mov_b32_e32 v29, 0xb000
	v_lshl_or_b32 v91, v24, 1, v29
	v_or_b32_e32 v24, 32, v25
	v_xor_b32_e32 v24, v33, v24
	v_or_b32_e32 v29, 0x440, v24
	v_cndmask_b32_e32 v24, v29, v24, vcc
	v_or_b32_e32 v24, v24, v21
	v_xad_u32 v92, v24, v30, v28
	v_or_b32_e32 v24, 64, v25
	v_xor_b32_e32 v24, v33, v24
	v_xor_b32_e32 v29, 0x440, v24
	v_cndmask_b32_e32 v24, v29, v24, vcc
	v_or_b32_e32 v24, v24, v21
	v_xad_u32 v93, v24, v30, v28
	v_or_b32_e32 v24, 0x60, v25
	v_xor_b32_e32 v24, v33, v24
	v_xor_b32_e32 v25, 0x440, v24
	v_cndmask_b32_e32 v24, v25, v24, vcc
	v_lshlrev_b32_e32 v27, 1, v27
	v_or_b32_e32 v21, v24, v21
	v_or_b32_e32 v81, 0xa000, v27
	;; [unrolled: 1-line block ×3, first 2 shown]
	v_xor_b32_e32 v85, v20, v26
	v_or_b32_e32 v86, 0xb000, v27
	v_or_b32_e32 v87, 0xb080, v27
	v_lshlrev_b32_e32 v20, 7, v64
	v_lshlrev_b32_e32 v26, 1, v19
	v_add_lshl_u32 v19, v19, s15, 1
	v_or_b32_e32 v27, 0x100, v18
	v_xad_u32 v94, v21, v30, v28
	v_cndmask_b32_e64 v95, v26, v18, s[0:1]
	v_cndmask_b32_e64 v96, v19, v27, s[0:1]
	v_lshl_add_u64 v[56:57], v[22:23], 0, v[52:53]
	s_mov_b32 s3, 0x7060302
	v_lshlrev_b32_e32 v52, 1, v20
	v_add_u32_e32 v97, v32, v90
	v_add_u32_e32 v98, v32, v92
	;; [unrolled: 1-line block ×4, first 2 shown]
	s_waitcnt lgkmcnt(0)
	s_barrier
.LBB500_32:                             ; =>This Inner Loop Header: Depth=1
	s_add_i32 s37, s58, 1
	s_cmp_lt_i32 s37, s46
	s_mov_b64 s[24:25], 0
	s_cselect_b64 s[38:39], -1, 0
	s_cmp_ge_i32 s37, s46
	s_mov_b64 s[20:21], 0
	s_cbranch_scc1 .LBB500_34
; %bb.33:                               ;   in Loop: Header=BB500_32 Depth=1
	s_add_i32 s0, s53, 64
	s_ashr_i32 s1, s0, 31
	s_add_u32 s0, s52, s0
	s_addc_u32 s1, s51, s1
	s_lshl_b64 s[0:1], s[0:1], 8
	s_add_u32 s20, s6, s0
	s_addc_u32 s21, s7, s1
.LBB500_34:                             ;   in Loop: Header=BB500_32 Depth=1
	v_cndmask_b32_e64 v18, 0, 1, s[38:39]
	v_cmp_ne_u32_e64 s[0:1], 1, v18
	s_andn2_b64 vcc, exec, s[38:39]
	s_cbranch_vccnz .LBB500_36
; %bb.35:                               ;   in Loop: Header=BB500_32 Depth=1
	s_add_i32 s24, s53, 64
	s_mul_hi_i32 s25, s24, s14
	s_mul_i32 s24, s24, s14
	s_add_u32 s24, s24, s49
	s_addc_u32 s25, s25, s54
	s_lshl_b64 s[24:25], s[24:25], 8
	s_add_u32 s24, s4, s24
	s_addc_u32 s25, s5, s25
.LBB500_36:                             ;   in Loop: Header=BB500_32 Depth=1
	v_perm_b32 v19, v17, v16, s3
	v_perm_b32 v18, v15, v14, s3
	;; [unrolled: 1-line block ×4, first 2 shown]
	ds_write_b64 v72, v[18:19]
	ds_write_b64 v73, v[20:21]
	;; [unrolled: 1-line block ×4, first 2 shown]
	v_perm_b32 v19, v9, v8, s3
	v_perm_b32 v18, v7, v6, s3
	v_perm_b32 v21, v5, v4, s3
	v_perm_b32 v20, v3, v2, s3
	ds_write_b64 v74, v[18:19]
	ds_write_b64 v75, v[20:21]
	;; [unrolled: 1-line block ×4, first 2 shown]
	s_waitcnt lgkmcnt(0)
	s_barrier
	ds_read_b64 v[22:23], v80 offset:24576
	ds_read2_b64 v[18:21], v81 offset1:16
	ds_read_b64 v[26:27], v83 offset:3072
	ds_read_b64 v[28:29], v81 offset:3072
	;; [unrolled: 1-line block ×3, first 2 shown]
	s_waitcnt lgkmcnt(3)
	v_mfma_f32_16x16x16_bf16 a[0:3], v[22:23], v[18:19], 0
	s_add_i32 s27, s53, 63
	s_ashr_i32 s38, s27, 31
	s_mul_i32 s39, s27, s29
	v_mfma_f32_16x16x16_bf16 a[4:7], v[22:23], v[20:21], 0
	ds_read2st64_b64 v[18:21], v81 offset0:2 offset1:4
	s_mul_hi_u32 s59, s27, s28
	s_add_i32 s39, s59, s39
	s_waitcnt lgkmcnt(0)
	v_mfma_f32_16x16x16_bf16 a[0:3], v[30:31], v[18:19], a[0:3]
	ds_read2st64_b64 v[22:25], v83 offset0:2 offset1:4
	ds_read_b64 v[18:19], v84 offset:24576
	s_mul_i32 s38, s38, s28
	s_add_i32 s39, s39, s38
	s_waitcnt lgkmcnt(1)
	v_mfma_f32_16x16x16_bf16 a[4:7], v[30:31], v[22:23], a[4:7]
	ds_read_b64 v[22:23], v85 offset:24576
	s_mul_i32 s38, s27, s28
	s_lshl_b64 s[38:39], s[38:39], 2
	s_waitcnt lgkmcnt(1)
	v_mfma_f32_16x16x16_bf16 a[0:3], v[18:19], v[20:21], a[0:3]
	s_add_u32 s38, s16, s38
	s_addc_u32 s39, s17, s39
	s_and_b64 vcc, exec, s[0:1]
	v_mfma_f32_16x16x16_bf16 a[4:7], v[18:19], v[24:25], a[4:7]
	v_mov_b32_e32 v103, 0
	v_mov_b32_e32 v102, 0
	;; [unrolled: 1-line block ×3, first 2 shown]
	s_waitcnt lgkmcnt(0)
	v_mfma_f32_16x16x16_bf16 a[0:3], v[22:23], v[28:29], a[0:3]
	v_mov_b32_e32 v18, 0
	v_mov_b32_e32 v19, 0
	;; [unrolled: 1-line block ×3, first 2 shown]
	v_mfma_f32_16x16x16_bf16 a[4:7], v[22:23], v[26:27], a[4:7]
	v_mov_b32_e32 v21, 0
	v_mov_b32_e32 v22, 0
	;; [unrolled: 1-line block ×13, first 2 shown]
	s_cbranch_vccnz .LBB500_38
; %bb.37:                               ;   in Loop: Header=BB500_32 Depth=1
	s_and_b32 s21, s21, 0xffff
	buffer_load_dwordx4 v[30:33], v68, s[20:23], 0 offen
	buffer_load_dwordx4 v[26:29], v68, s[20:23], s55 offen
	;; [unrolled: 1-line block ×4, first 2 shown]
	v_mov_b32_e32 v102, v70
	v_mov_b32_e32 v101, v71
.LBB500_38:                             ;   in Loop: Header=BB500_32 Depth=1
	s_waitcnt vmcnt(4)
	ds_read_b64 v[38:39], v80 offset:32768
	s_waitcnt vmcnt(2)
	ds_read2_b64 v[34:37], v86 offset1:16
	ds_read_b64 v[42:43], v82 offset:32768
	ds_read_b64 v[44:45], v84 offset:32768
	ds_read_b64 v[46:47], v85 offset:32768
	v_add_u32_e32 v48, s53, v64
	s_waitcnt lgkmcnt(3)
	v_mfma_f32_16x16x16_bf16 a[0:3], v[38:39], v[34:35], a[0:3]
	v_mul_lo_u32 v49, v48, s29
	v_mfma_f32_16x16x16_bf16 a[4:7], v[38:39], v[36:37], a[4:7]
	ds_read2st64_b64 v[34:37], v86 offset0:2 offset1:4
	ds_read2st64_b64 v[38:41], v87 offset0:2 offset1:4
	s_waitcnt lgkmcnt(1)
	v_mfma_f32_16x16x16_bf16 a[0:3], v[42:43], v[34:35], a[0:3]
	v_ashrrev_i32_e32 v34, 31, v48
	v_mul_lo_u32 v104, v34, s28
	v_mad_u64_u32 v[34:35], s[20:21], v48, s28, 0
	v_mfma_f32_16x16x16_bf16 a[0:3], v[44:45], v[36:37], a[0:3]
	v_add_u32_e32 v36, 1, v48
	v_ashrrev_i32_e32 v37, 31, v36
	v_add3_u32 v35, v35, v49, v104
	s_waitcnt lgkmcnt(0)
	v_mfma_f32_16x16x16_bf16 a[4:7], v[42:43], v[38:39], a[4:7]
	v_mul_lo_u32 v38, v37, s28
	v_mul_lo_u32 v39, v36, s29
	v_mad_u64_u32 v[36:37], s[20:21], v36, s28, 0
	v_add3_u32 v37, v37, v39, v38
	v_add_u32_e32 v38, 2, v48
	v_ashrrev_i32_e32 v39, 31, v38
	v_mul_lo_u32 v42, v39, s28
	v_mul_lo_u32 v43, v38, s29
	v_mad_u64_u32 v[38:39], s[20:21], v38, s28, 0
	v_add3_u32 v39, v39, v43, v42
	v_add_u32_e32 v42, 3, v48
	v_ashrrev_i32_e32 v43, 31, v42
	v_mul_lo_u32 v48, v43, s28
	v_mul_lo_u32 v49, v42, s29
	v_mad_u64_u32 v[42:43], s[20:21], v42, s28, 0
	v_add3_u32 v43, v43, v49, v48
	s_ashr_i32 s21, s53, 31
	v_lshl_add_u64 v[34:35], v[34:35], 2, s[16:17]
	v_lshl_add_u64 v[42:43], v[42:43], 2, s[16:17]
	s_add_u32 s20, s52, s53
	v_lshl_add_u64 v[36:37], v[36:37], 2, s[16:17]
	v_lshl_add_u64 v[38:39], v[38:39], 2, s[16:17]
	global_load_dword v48, v[34:35], off
	global_load_dword v49, v[36:37], off
	;; [unrolled: 1-line block ×3, first 2 shown]
	s_nop 0
	global_load_dword v42, v[42:43], off
	s_addc_u32 s21, s51, s21
	s_lshl_b64 s[20:21], s[20:21], 8
	v_lshl_add_u64 v[34:35], v[54:55], 0, s[20:21]
	v_lshl_add_u64 v[34:35], v[34:35], 0, v[52:53]
	global_load_ushort v43, v[34:35], off offset:256
	global_load_ushort v105, v[34:35], off
	global_load_ushort v106, v[34:35], off offset:768
	global_load_ushort v107, v[34:35], off offset:512
	ds_read_b64 v[36:37], v86 offset:3072
	ds_read_b64 v[38:39], v87 offset:3072
	global_load_ushort v108, v[34:35], off offset:800
	global_load_ushort v109, v[34:35], off offset:544
	;; [unrolled: 1-line block ×4, first 2 shown]
	s_load_dword s20, s[38:39], 0x0
	v_mfma_f32_16x16x16_bf16 a[4:7], v[44:45], v[40:41], a[4:7]
	s_and_b64 vcc, exec, s[0:1]
	s_waitcnt vmcnt(11) lgkmcnt(0)
	v_sub_f32_e32 v40, s20, v48
	v_mfma_f32_16x16x16_bf16 a[0:3], v[46:47], v[36:37], a[0:3]
	s_waitcnt vmcnt(10)
	v_sub_f32_e32 v45, s20, v49
	v_mul_f32_e32 v44, 0x3fb8aa3b, v40
	v_mul_f32_e32 v45, 0x3fb8aa3b, v45
	v_mfma_f32_16x16x16_bf16 a[4:7], v[46:47], v[38:39], a[4:7]
	s_waitcnt vmcnt(9)
	v_sub_f32_e32 v46, s20, v104
	s_waitcnt vmcnt(8)
	v_sub_f32_e32 v47, s20, v42
	v_mul_f32_e32 v46, 0x3fb8aa3b, v46
	v_mul_f32_e32 v47, 0x3fb8aa3b, v47
	v_exp_f32_e32 v44, v44
	v_exp_f32_e32 v45, v45
	v_exp_f32_e32 v46, v46
	v_exp_f32_e32 v47, v47
	v_accvgpr_read_b32 v39, a1
	v_accvgpr_read_b32 v35, a3
	;; [unrolled: 1-line block ×4, first 2 shown]
	s_waitcnt vmcnt(7)
	v_lshlrev_b32_e32 v41, 16, v43
	s_waitcnt vmcnt(6)
	v_lshlrev_b32_e32 v40, 16, v105
	;; [unrolled: 2-line block ×4, first 2 shown]
	v_pk_add_f32 v[38:39], v[40:41], v[38:39] neg_lo:[0,1] neg_hi:[0,1]
	v_pk_add_f32 v[34:35], v[42:43], v[34:35] neg_lo:[0,1] neg_hi:[0,1]
	v_pk_mul_f32 v[38:39], v[44:45], v[38:39]
	v_pk_mul_f32 v[34:35], v[46:47], v[34:35]
	v_accvgpr_read_b32 v41, a5
	v_perm_b32 v35, v35, v34, s3
	v_perm_b32 v34, v39, v38, s3
	s_waitcnt vmcnt(1)
	v_lshlrev_b32_e32 v39, 16, v110
	s_waitcnt vmcnt(0)
	v_lshlrev_b32_e32 v38, 16, v111
	v_accvgpr_read_b32 v40, a4
	v_accvgpr_read_b32 v37, a7
	;; [unrolled: 1-line block ×3, first 2 shown]
	v_pk_add_f32 v[38:39], v[38:39], v[40:41] neg_lo:[0,1] neg_hi:[0,1]
	v_lshlrev_b32_e32 v41, 16, v108
	v_lshlrev_b32_e32 v40, 16, v109
	v_pk_add_f32 v[36:37], v[40:41], v[36:37] neg_lo:[0,1] neg_hi:[0,1]
	v_pk_mul_f32 v[38:39], v[44:45], v[38:39]
	v_pk_mul_f32 v[36:37], v[46:47], v[36:37]
	v_mov_b32_e32 v104, 0
	v_perm_b32 v37, v37, v36, s3
	v_perm_b32 v36, v39, v38, s3
	ds_write2_b64 v73, v[34:35], v[36:37] offset1:16
	v_mov_b32_e32 v34, 0
	v_mov_b32_e32 v35, 0
	v_mov_b32_e32 v36, 0
	v_mov_b32_e32 v37, 0
	v_mov_b32_e32 v38, 0
	v_mov_b32_e32 v39, 0
	v_mov_b32_e32 v40, 0
	v_mov_b32_e32 v41, 0
	v_mov_b32_e32 v42, 0
	v_mov_b32_e32 v43, 0
	v_mov_b32_e32 v44, 0
	v_mov_b32_e32 v45, 0
	v_mov_b32_e32 v46, 0
	v_mov_b32_e32 v47, 0
	v_mov_b32_e32 v48, 0
	v_mov_b32_e32 v49, 0
	s_cbranch_vccnz .LBB500_40
; %bb.39:                               ;   in Loop: Header=BB500_32 Depth=1
	s_and_b32 s25, s25, 0xffff
	s_mov_b32 s27, s23
	buffer_load_dwordx4 v[46:49], v95, s[24:27], 0 offen
	buffer_load_dwordx4 v[38:41], v95, s[24:27], s55 offen
	;; [unrolled: 1-line block ×4, first 2 shown]
	v_mov_b32_e32 v103, v67
	v_mov_b32_e32 v104, v66
.LBB500_40:                             ;   in Loop: Header=BB500_32 Depth=1
	s_waitcnt lgkmcnt(0)
	s_barrier
	ds_read_b64 v[110:111], v97
	ds_read_b64 v[118:119], v91
	;; [unrolled: 1-line block ×5, first 2 shown]
	ds_read_b64 v[124:125], v92 offset:16384
	ds_read_b64 v[126:127], v90 offset:16384
	ds_read2_b64 v[106:109], v86 offset0:16 offset1:128
	s_waitcnt lgkmcnt(6)
	v_mfma_f32_16x16x16_bf16 a[0:3], v[110:111], v[118:119], 0
	ds_read_b64 v[128:129], v87 offset:3072
	ds_read_b64 v[130:131], v94 offset:16384
	s_add_i32 s21, s50, s58
	s_waitcnt lgkmcnt(2)
	v_mfma_f32_16x16x16_bf16 a[4:7], v[110:111], v[106:107], 0
	ds_read2st64_b64 v[110:113], v87 offset0:2 offset1:4
	s_mul_hi_i32 s25, s21, s13
	s_mul_i32 s21, s21, s13
	v_mfma_f32_16x16x16_bf16 a[0:3], v[114:115], v[108:109], a[0:3]
	s_add_u32 s24, s21, s45
	s_addc_u32 s25, s25, s47
	s_lshl_b64 s[24:25], s[24:25], 15
	s_waitcnt lgkmcnt(0)
	v_mfma_f32_16x16x16_bf16 a[4:7], v[114:115], v[110:111], a[4:7]
	ds_read2st64_b64 v[114:117], v86 offset0:4 offset1:6
	s_waitcnt lgkmcnt(0)
	v_mfma_f32_16x16x16_bf16 a[0:3], v[120:121], v[114:115], a[0:3]
	v_mfma_f32_16x16x16_bf16 a[8:11], v[120:121], v[112:113], a[4:7]
	;; [unrolled: 1-line block ×5, first 2 shown]
	ds_read2st64_b64 v[118:121], v89 offset1:8
	v_mfma_f32_16x16x16_bf16 a[12:15], v[126:127], v[106:107], 0
	ds_read_b64 v[126:127], v93 offset:16384
	v_mfma_f32_16x16x16_bf16 a[8:11], v[124:125], v[108:109], a[8:11]
	ds_read2st64_b64 v[106:109], v88 offset1:8
	s_waitcnt lgkmcnt(0)
	v_mov_b32_e32 v122, v106
	v_mfma_f32_16x16x16_bf16 a[12:15], v[124:125], v[110:111], a[12:15]
	v_lshl_add_u64 v[110:111], v[56:57], 0, s[24:25]
	v_add_co_u32_e32 v106, vcc, s35, v110
	v_mfma_f32_16x16x16_bf16 a[8:11], v[126:127], v[114:115], a[8:11]
	v_mov_b32_e32 v123, v107
	v_addc_co_u32_e32 v107, vcc, 0, v111, vcc
	v_mfma_f32_16x16x16_bf16 a[16:19], v[126:127], v[112:113], a[12:15]
	v_mov_b32_e32 v124, v118
	v_mov_b32_e32 v125, v119
	;; [unrolled: 1-line block ×3, first 2 shown]
	v_mfma_f32_16x16x16_bf16 a[12:15], v[130:131], v[116:117], a[8:11]
	v_mov_b32_e32 v119, v109
	s_and_b64 vcc, exec, s[0:1]
	global_store_dwordx4 v[110:111], v[122:125], off
	v_mfma_f32_16x16x16_bf16 a[8:11], v[130:131], v[128:129], a[16:19]
	global_store_dwordx4 v[106:107], v[118:121], off
	s_cbranch_vccnz .LBB500_42
; %bb.41:                               ;   in Loop: Header=BB500_32 Depth=1
	v_lshrrev_b32_e32 v105, 3, v103
	v_and_b32_e32 v105, 6, v105
	v_xor_b32_e32 v104, v105, v104
	v_lshlrev_b32_e32 v104, 2, v104
	v_and_b32_e32 v103, 8, v103
	v_xor_b32_e32 v106, 0x440, v104
	v_cmp_eq_u32_e32 vcc, 0, v103
	s_barrier
	s_nop 0
	v_cndmask_b32_e32 v103, v106, v104, vcc
	v_lshl_or_b32 v103, v105, 10, v103
	s_waitcnt vmcnt(3)
	v_perm_b32 v104, v46, v42, s56
	s_waitcnt vmcnt(2)
	v_perm_b32 v105, v38, v34, s56
	ds_write2st64_b32 v103, v104, v105 offset0:32 offset1:64
	v_xor_b32_e32 v104, 8, v103
	v_perm_b32 v42, v46, v42, s57
	v_perm_b32 v34, v38, v34, s57
	v_add_u32_e32 v38, 0x80, v104
	ds_write2st64_b32 v38, v42, v34 offset0:32 offset1:64
	v_xor_b32_e32 v34, 16, v103
	v_perm_b32 v38, v47, v43, s56
	v_perm_b32 v42, v39, v35, s56
	ds_write2st64_b32 v34, v38, v42 offset0:33 offset1:65
	v_xor_b32_e32 v34, 24, v103
	v_perm_b32 v38, v47, v43, s57
	v_perm_b32 v35, v39, v35, s57
	v_add_u32_e32 v34, 0x80, v34
	ds_write2st64_b32 v34, v38, v35 offset0:33 offset1:65
	v_xor_b32_e32 v34, 32, v103
	v_perm_b32 v35, v48, v44, s56
	;; [unrolled: 9-line block ×3, first 2 shown]
	v_perm_b32 v36, v41, v37, s56
	ds_write2st64_b32 v34, v35, v36 offset0:35 offset1:67
	v_xor_b32_e32 v34, 56, v103
	v_perm_b32 v35, v49, v45, s57
	v_perm_b32 v36, v41, v37, s57
	v_add_u32_e32 v34, 0x80, v34
	ds_write2st64_b32 v34, v35, v36 offset0:35 offset1:67
	ds_write_b64 v102, v[30:31] offset:24576
	v_xor_b32_e32 v30, 8, v102
	ds_write_b64 v30, v[32:33] offset:24576
	ds_write_b64 v102, v[26:27] offset:32768
	;; [unrolled: 1-line block ×4, first 2 shown]
	v_xor_b32_e32 v22, 8, v101
	ds_write_b64 v22, v[24:25] offset:24576
	ds_write_b64 v101, v[18:19] offset:32768
	;; [unrolled: 1-line block ×3, first 2 shown]
.LBB500_42:                             ;   in Loop: Header=BB500_32 Depth=1
	v_mul_f32_e32 v18, s20, v51
	v_exp_f32_e32 v21, v18
	v_accvgpr_read_b32 v18, a4
	v_accvgpr_read_b32 v20, a7
	;; [unrolled: 1-line block ×3, first 2 shown]
	v_fma_f32 v14, v14, v21, v18
	v_accvgpr_read_b32 v18, a6
	v_fma_f32 v16, v16, v21, v18
	v_accvgpr_read_b32 v18, a3
	v_fmac_f32_e32 v18, v9, v21
	v_accvgpr_read_b32 v9, a12
	v_fma_f32 v10, v10, v21, v9
	v_accvgpr_read_b32 v9, a13
	v_fma_f32 v11, v11, v21, v9
	;; [unrolled: 2-line block ×3, first 2 shown]
	v_accvgpr_read_b32 v9, a15
	v_fmac_f32_e32 v20, v17, v21
	v_accvgpr_read_b32 v17, a0
	v_fmac_f32_e32 v9, v13, v21
	v_accvgpr_read_b32 v13, a8
	v_fma_f32 v6, v6, v21, v17
	v_accvgpr_read_b32 v17, a1
	v_fma_f32 v2, v2, v21, v13
	;; [unrolled: 2-line block ×3, first 2 shown]
	v_fma_f32 v7, v7, v21, v17
	v_accvgpr_read_b32 v17, a2
	v_fma_f32 v3, v3, v21, v13
	v_accvgpr_read_b32 v13, a10
	v_accvgpr_read_b32 v19, a11
	s_add_i32 s53, s53, 64
	v_fma_f32 v8, v8, v21, v17
	v_fma_f32 v4, v4, v21, v13
	s_cmp_eq_u32 s46, s37
	v_fmac_f32_e32 v19, v5, v21
	s_cbranch_scc1 .LBB500_4
; %bb.43:                               ;   in Loop: Header=BB500_32 Depth=1
	s_mov_b32 s58, s37
	v_mov_b32_e32 v17, v20
	v_mov_b32_e32 v13, v9
	;; [unrolled: 1-line block ×4, first 2 shown]
	s_branch .LBB500_32
.LBB500_44:
                                        ; implicit-def: $vgpr5
                                        ; implicit-def: $vgpr9
                                        ; implicit-def: $vgpr13
                                        ; implicit-def: $vgpr17
	s_cbranch_execz .LBB500_46
; %bb.45:
	s_waitcnt vmcnt(0)
	v_mad_u64_u32 v[2:3], s[0:1], v20, s15, v[18:19]
	v_lshlrev_b32_e32 v20, 1, v2
	s_lshl_b32 s2, s15, 7
	s_and_b32 s1, s5, 0xffff
	s_mov_b32 s3, 0x20000
	s_mov_b32 s0, s4
	v_add_lshl_u32 v21, v2, s15, 1
	s_movk_i32 s13, 0x80
	buffer_load_dwordx4 v[2:5], v20, s[0:3], 0 offen
	buffer_load_dwordx4 v[10:13], v20, s[0:3], s13 offen
	;; [unrolled: 1-line block ×4, first 2 shown]
.LBB500_46:
	v_lshrrev_b32_e32 v30, 2, v58
	s_cbranch_execnz .LBB500_59
.LBB500_47:
	s_and_b64 vcc, exec, s[6:7]
	s_cbranch_vccz .LBB500_57
; %bb.48:
	s_waitcnt vmcnt(0)
	v_lshlrev_b32_e32 v7, 1, v23
	v_cmp_gt_i32_e32 vcc, s27, v7
	v_mov_b32_e32 v6, 0
	v_lshlrev_b32_e32 v14, 9, v23
	v_mov_b32_e32 v2, 0
	v_mov_b32_e32 v3, 0
	v_mov_b32_e32 v4, 0
	v_mov_b32_e32 v5, 0
	s_and_saveexec_b64 s[0:1], vcc
	s_cbranch_execz .LBB500_50
; %bb.49:
	v_mov_b32_e32 v15, 0
	v_lshl_add_u64 v[2:3], s[4:5], 0, v[14:15]
	v_lshlrev_b32_e32 v4, 1, v18
	v_mov_b32_e32 v5, v15
	v_lshl_add_u64 v[2:3], v[2:3], 0, v[4:5]
	global_load_dwordx4 v[2:5], v[2:3], off
.LBB500_50:
	s_or_b64 exec, exec, s[0:1]
	v_or_b32_e32 v7, 1, v7
	v_cmp_gt_i32_e64 s[0:1], s27, v7
	v_lshlrev_b32_e32 v20, 8, v7
	v_mov_b32_e32 v7, 0
	v_mov_b32_e32 v8, 0
	v_mov_b32_e32 v9, 0
	s_and_saveexec_b64 s[2:3], s[0:1]
	s_cbranch_execz .LBB500_52
; %bb.51:
	v_mov_b32_e32 v21, 0
	v_lshl_add_u64 v[6:7], s[4:5], 0, v[20:21]
	v_lshlrev_b32_e32 v8, 1, v18
	v_mov_b32_e32 v9, v21
	v_lshl_add_u64 v[6:7], v[6:7], 0, v[8:9]
	global_load_dwordx4 v[6:9], v[6:7], off
.LBB500_52:
	s_or_b64 exec, exec, s[2:3]
	v_mov_b32_e32 v17, 0
	v_mov_b32_e32 v10, 0
	;; [unrolled: 1-line block ×5, first 2 shown]
	s_and_saveexec_b64 s[2:3], vcc
	s_cbranch_execz .LBB500_54
; %bb.53:
	v_mov_b32_e32 v15, 0
	v_lshl_add_u64 v[10:11], s[4:5], 0, v[14:15]
	v_lshlrev_b32_e32 v14, 1, v18
	v_lshl_add_u64 v[10:11], v[10:11], 0, v[14:15]
	global_load_dwordx4 v[10:13], v[10:11], off offset:128
.LBB500_54:
	s_or_b64 exec, exec, s[2:3]
	v_mov_b32_e32 v16, 0
	v_mov_b32_e32 v15, 0
	v_mov_b32_e32 v14, 0
	s_and_saveexec_b64 s[2:3], s[0:1]
	s_cbranch_execz .LBB500_56
; %bb.55:
	v_mov_b32_e32 v21, 0
	v_lshl_add_u64 v[14:15], s[4:5], 0, v[20:21]
	v_lshlrev_b32_e32 v20, 1, v18
	v_lshl_add_u64 v[14:15], v[14:15], 0, v[20:21]
	global_load_dwordx4 v[14:17], v[14:15], off offset:128
.LBB500_56:
	s_or_b64 exec, exec, s[2:3]
	s_branch .LBB500_59
.LBB500_57:
                                        ; implicit-def: $vgpr5
                                        ; implicit-def: $vgpr9
                                        ; implicit-def: $vgpr13
                                        ; implicit-def: $vgpr17
	s_cbranch_execz .LBB500_59
; %bb.58:
	s_waitcnt vmcnt(0)
	v_lshlrev_b32_e32 v2, 1, v18
	v_lshl_or_b32 v18, v23, 9, v2
	s_and_b32 s5, s5, 0xffff
	s_mov_b32 s7, 0x20000
	s_movk_i32 s6, 0x4000
	s_movk_i32 s0, 0x80
	buffer_load_dwordx4 v[2:5], v18, s[4:7], 0 offen
	buffer_load_dwordx4 v[6:9], v18, s[4:7], 0 offen offset:256
	buffer_load_dwordx4 v[10:13], v18, s[4:7], s0 offen
	buffer_load_dwordx4 v[14:17], v18, s[4:7], s0 offen offset:256
.LBB500_59:
	ds_read_b64 v[20:21], v25 offset:32768
	v_add_u32_e32 v18, 0xb000, v24
	ds_read2_b64 v[32:35], v18 offset1:16
	ds_read_b64 v[40:41], v26 offset:32768
	ds_read_b64 v[26:27], v27 offset:32768
	;; [unrolled: 1-line block ×3, first 2 shown]
	v_and_b32_e32 v18, 6, v0
	v_xor_b32_e32 v23, v23, v18
	v_lshlrev_b32_e32 v23, 2, v23
	v_and_b32_e32 v0, 1, v0
	v_xor_b32_e32 v28, 0x440, v23
	v_cmp_eq_u32_e32 vcc, 0, v0
	s_waitcnt lgkmcnt(3)
	v_mfma_f32_16x16x16_bf16 a[0:3], v[20:21], v[32:33], a[0:3]
	s_mov_b32 s0, 0x1000504
	v_cndmask_b32_e32 v0, v28, v23, vcc
	v_lshl_or_b32 v0, v18, 10, v0
	v_mfma_f32_16x16x16_bf16 a[4:7], v[20:21], v[34:35], a[4:7]
	ds_read2st64_b64 v[32:35], v24 offset0:90 offset1:92
	ds_read2st64_b64 v[36:39], v29 offset0:90 offset1:92
	ds_read_b64 v[20:21], v24 offset:48128
	ds_read_b64 v[24:25], v29 offset:48128
	s_waitcnt vmcnt(0)
	v_perm_b32 v18, v2, v6, s0
	s_waitcnt lgkmcnt(3)
	v_mfma_f32_16x16x16_bf16 a[0:3], v[40:41], v[32:33], a[0:3]
	s_mov_b32 s1, 0x3020706
	v_perm_b32 v2, v2, v6, s1
	v_perm_b32 v6, v10, v14, s1
	s_waitcnt lgkmcnt(2)
	v_mfma_f32_16x16x16_bf16 a[4:7], v[40:41], v[36:37], a[4:7]
	v_mfma_f32_16x16x16_bf16 a[0:3], v[26:27], v[34:35], a[0:3]
	;; [unrolled: 1-line block ×3, first 2 shown]
	s_waitcnt lgkmcnt(1)
	v_mfma_f32_16x16x16_bf16 a[4:7], v[42:43], v[20:21], a[0:3]
	v_perm_b32 v20, v10, v14, s0
	ds_write2st64_b32 v0, v18, v20 offset0:32 offset1:64
	v_xor_b32_e32 v18, 8, v0
	v_add_u32_e32 v10, 0x80, v18
	ds_write2st64_b32 v10, v2, v6 offset0:32 offset1:64
	v_xor_b32_e32 v2, 16, v0
	v_perm_b32 v6, v3, v7, s0
	v_perm_b32 v10, v11, v15, s0
	ds_write2st64_b32 v2, v6, v10 offset0:33 offset1:65
	v_xor_b32_e32 v2, 24, v0
	v_perm_b32 v3, v3, v7, s1
	v_perm_b32 v6, v11, v15, s1
	v_add_u32_e32 v2, 0x80, v2
	ds_write2st64_b32 v2, v3, v6 offset0:33 offset1:65
	v_xor_b32_e32 v2, 32, v0
	v_perm_b32 v3, v4, v8, s0
	v_perm_b32 v6, v12, v16, s0
	ds_write2st64_b32 v2, v3, v6 offset0:34 offset1:66
	v_xor_b32_e32 v2, 40, v0
	s_waitcnt lgkmcnt(5)
	v_mfma_f32_16x16x16_bf16 a[0:3], v[42:43], v[24:25], a[8:11]
	v_perm_b32 v3, v4, v8, s1
	v_perm_b32 v4, v12, v16, s1
	v_add_u32_e32 v2, 0x80, v2
	ds_write2st64_b32 v2, v3, v4 offset0:34 offset1:66
	v_xor_b32_e32 v2, 48, v0
	v_perm_b32 v3, v5, v9, s0
	v_perm_b32 v4, v13, v17, s0
	ds_write2st64_b32 v2, v3, v4 offset0:35 offset1:67
	v_xor_b32_e32 v0, 56, v0
	v_perm_b32 v3, v13, v17, s1
	v_and_or_b32 v17, v30, 12, v1
	v_perm_b32 v2, v5, v9, s1
	v_add_u32_e32 v0, 0x80, v0
	v_cmp_gt_i32_e32 vcc, s27, v17
	v_mov_b32_e32 v14, 0
	v_mov_b32_e32 v16, 0
	ds_write2st64_b32 v0, v2, v3 offset0:35 offset1:67
	s_and_saveexec_b64 s[0:1], vcc
	s_cbranch_execz .LBB500_61
; %bb.60:
	v_add_u32_e32 v0, s26, v17
	v_ashrrev_i32_e32 v1, 31, v0
	v_mul_lo_u32 v2, v1, s28
	v_mul_lo_u32 v3, v0, s29
	v_mad_u64_u32 v[0:1], s[2:3], v0, s28, 0
	v_add3_u32 v1, v1, v3, v2
	v_lshl_add_u64 v[0:1], v[0:1], 2, s[10:11]
	global_load_dword v0, v[0:1], off
	s_waitcnt vmcnt(0)
	v_sub_f32_e32 v0, s12, v0
	v_mul_f32_e32 v0, 0x3fb8aa3b, v0
	v_exp_f32_e32 v16, v0
.LBB500_61:
	s_or_b64 exec, exec, s[0:1]
	v_or_b32_e32 v8, 1, v17
	v_cmp_gt_i32_e64 s[0:1], s27, v8
	s_and_saveexec_b64 s[2:3], s[0:1]
	s_cbranch_execz .LBB500_63
; %bb.62:
	v_add_u32_e32 v0, s26, v8
	v_ashrrev_i32_e32 v1, 31, v0
	v_mul_lo_u32 v2, v1, s28
	v_mul_lo_u32 v3, v0, s29
	v_mad_u64_u32 v[0:1], s[4:5], v0, s28, 0
	v_add3_u32 v1, v1, v3, v2
	v_lshl_add_u64 v[0:1], v[0:1], 2, s[10:11]
	global_load_dword v0, v[0:1], off
	s_waitcnt vmcnt(0)
	v_sub_f32_e32 v0, s12, v0
	v_mul_f32_e32 v0, 0x3fb8aa3b, v0
	v_exp_f32_e32 v14, v0
.LBB500_63:
	s_or_b64 exec, exec, s[2:3]
	v_or_b32_e32 v10, 2, v17
	v_cmp_gt_i32_e64 s[2:3], s27, v10
	v_mov_b32_e32 v15, 0
	v_mov_b32_e32 v18, 0
	s_and_saveexec_b64 s[4:5], s[2:3]
	s_cbranch_execz .LBB500_65
; %bb.64:
	v_add_u32_e32 v0, s26, v10
	v_ashrrev_i32_e32 v1, 31, v0
	v_mul_lo_u32 v2, v1, s28
	v_mul_lo_u32 v3, v0, s29
	v_mad_u64_u32 v[0:1], s[6:7], v0, s28, 0
	v_add3_u32 v1, v1, v3, v2
	v_lshl_add_u64 v[0:1], v[0:1], 2, s[10:11]
	global_load_dword v0, v[0:1], off
	s_waitcnt vmcnt(0)
	v_sub_f32_e32 v0, s12, v0
	v_mul_f32_e32 v0, 0x3fb8aa3b, v0
	v_exp_f32_e32 v18, v0
.LBB500_65:
	s_or_b64 exec, exec, s[4:5]
	v_or_b32_e32 v12, 3, v17
	v_cmp_gt_i32_e64 s[4:5], s27, v12
	s_and_saveexec_b64 s[6:7], s[4:5]
	s_cbranch_execz .LBB500_67
; %bb.66:
	v_add_u32_e32 v0, s26, v12
	v_ashrrev_i32_e32 v1, 31, v0
	v_mul_lo_u32 v2, v1, s28
	v_mul_lo_u32 v3, v0, s29
	v_mad_u64_u32 v[0:1], s[14:15], v0, s28, 0
	v_add3_u32 v1, v1, v3, v2
	v_lshl_add_u64 v[0:1], v[0:1], 2, s[10:11]
	global_load_dword v0, v[0:1], off
	s_waitcnt vmcnt(0)
	v_sub_f32_e32 v0, s12, v0
	v_mul_f32_e32 v0, 0x3fb8aa3b, v0
	v_exp_f32_e32 v15, v0
.LBB500_67:
	s_or_b64 exec, exec, s[6:7]
	s_add_u32 s6, s8, s20
	v_accvgpr_read_b32 v0, a4
	s_addc_u32 s7, s9, s21
	v_ashrrev_i32_e32 v51, 31, v50
	v_accvgpr_read_b32 v1, a5
	v_accvgpr_read_b32 v2, a6
	;; [unrolled: 1-line block ×3, first 2 shown]
	v_lshl_add_u64 v[4:5], v[50:51], 1, s[6:7]
	v_mov_b32_e32 v9, 0
	v_lshlrev_b32_e32 v6, 8, v17
	v_mov_b32_e32 v7, 0
	s_and_saveexec_b64 s[6:7], vcc
	s_cbranch_execz .LBB500_69
; %bb.68:
	v_mov_b32_e32 v7, 0
	v_lshl_add_u64 v[20:21], v[4:5], 0, v[6:7]
	global_load_ushort v7, v[20:21], off
	s_waitcnt vmcnt(0)
	v_lshlrev_b32_e32 v7, 16, v7
	v_sub_f32_e32 v0, v7, v0
	v_mul_f32_e32 v0, v16, v0
	v_lshrrev_b32_e32 v7, 16, v0
.LBB500_69:
	s_or_b64 exec, exec, s[6:7]
	v_lshlrev_b32_e32 v8, 8, v8
	s_and_saveexec_b64 s[6:7], s[0:1]
	s_cbranch_execz .LBB500_71
; %bb.70:
	v_mov_b32_e32 v9, 0
	v_lshl_add_u64 v[20:21], v[4:5], 0, v[8:9]
	global_load_ushort v0, v[20:21], off
	s_waitcnt vmcnt(0)
	v_lshlrev_b32_e32 v0, 16, v0
	v_sub_f32_e32 v0, v0, v1
	v_mul_f32_e32 v0, v14, v0
	v_lshrrev_b32_e32 v9, 16, v0
.LBB500_71:
	s_or_b64 exec, exec, s[6:7]
	v_mov_b32_e32 v13, 0
	v_lshlrev_b32_e32 v10, 8, v10
	v_mov_b32_e32 v11, 0
	s_and_saveexec_b64 s[6:7], s[2:3]
	s_cbranch_execz .LBB500_73
; %bb.72:
	v_mov_b32_e32 v11, 0
	v_lshl_add_u64 v[0:1], v[4:5], 0, v[10:11]
	global_load_ushort v0, v[0:1], off
	s_waitcnt vmcnt(0)
	v_lshlrev_b32_e32 v0, 16, v0
	v_sub_f32_e32 v0, v0, v2
	v_mul_f32_e32 v0, v18, v0
	v_lshrrev_b32_e32 v11, 16, v0
.LBB500_73:
	s_or_b64 exec, exec, s[6:7]
	v_lshlrev_b32_e32 v12, 8, v12
	s_and_saveexec_b64 s[6:7], s[4:5]
	s_cbranch_execz .LBB500_75
; %bb.74:
	v_mov_b32_e32 v13, 0
	v_lshl_add_u64 v[0:1], v[4:5], 0, v[12:13]
	global_load_ushort v0, v[0:1], off
	s_waitcnt vmcnt(0)
	v_lshlrev_b32_e32 v0, 16, v0
	v_sub_f32_e32 v0, v0, v3
	v_mul_f32_e32 v0, v15, v0
	v_lshrrev_b32_e32 v13, 16, v0
.LBB500_75:
	s_or_b64 exec, exec, s[6:7]
	v_lshlrev_b32_e32 v17, 5, v17
	s_mov_b32 s6, 0x5040100
	v_perm_b32 v20, v9, v7, s6
	v_or_b32_e32 v7, v17, v22
	v_accvgpr_read_b32 v0, a0
	v_perm_b32 v21, v13, v11, s6
	v_lshlrev_b32_e32 v7, 1, v7
	v_accvgpr_read_b32 v1, a1
	v_accvgpr_read_b32 v2, a2
	;; [unrolled: 1-line block ×3, first 2 shown]
	ds_write_b64 v7, v[20:21] offset:45056
	v_mov_b32_e32 v9, 0
	v_mov_b32_e32 v7, 0
	s_and_saveexec_b64 s[6:7], vcc
	s_cbranch_execz .LBB500_77
; %bb.76:
	v_mov_b32_e32 v7, 0
	v_lshl_add_u64 v[6:7], v[4:5], 0, v[6:7]
	global_load_ushort v6, v[6:7], off offset:32
	s_waitcnt vmcnt(0)
	v_lshlrev_b32_e32 v6, 16, v6
	v_sub_f32_e32 v0, v6, v0
	v_mul_f32_e32 v0, v16, v0
	v_lshrrev_b32_e32 v7, 16, v0
.LBB500_77:
	s_or_b64 exec, exec, s[6:7]
	s_and_saveexec_b64 s[6:7], s[0:1]
	s_cbranch_execz .LBB500_79
; %bb.78:
	v_mov_b32_e32 v9, 0
	v_lshl_add_u64 v[8:9], v[4:5], 0, v[8:9]
	global_load_ushort v0, v[8:9], off offset:32
	s_waitcnt vmcnt(0)
	v_lshlrev_b32_e32 v0, 16, v0
	v_sub_f32_e32 v0, v0, v1
	v_mul_f32_e32 v0, v14, v0
	v_lshrrev_b32_e32 v9, 16, v0
.LBB500_79:
	s_or_b64 exec, exec, s[6:7]
	v_mov_b32_e32 v0, 0
	v_mov_b32_e32 v1, 0
	s_and_saveexec_b64 s[0:1], s[2:3]
	s_cbranch_execz .LBB500_81
; %bb.80:
	v_mov_b32_e32 v11, 0
	v_lshl_add_u64 v[10:11], v[4:5], 0, v[10:11]
	global_load_ushort v1, v[10:11], off offset:32
	s_waitcnt vmcnt(0)
	v_lshlrev_b32_e32 v1, 16, v1
	v_sub_f32_e32 v1, v1, v2
	v_mul_f32_e32 v1, v18, v1
	v_lshrrev_b32_e32 v1, 16, v1
.LBB500_81:
	s_or_b64 exec, exec, s[0:1]
	s_and_saveexec_b64 s[0:1], s[4:5]
	s_cbranch_execz .LBB500_83
; %bb.82:
	v_mov_b32_e32 v13, 0
	v_lshl_add_u64 v[4:5], v[4:5], 0, v[12:13]
	global_load_ushort v0, v[4:5], off offset:32
	s_waitcnt vmcnt(0)
	v_lshlrev_b32_e32 v0, 16, v0
	v_sub_f32_e32 v0, v0, v3
	v_mul_f32_e32 v0, v15, v0
	v_lshrrev_b32_e32 v0, 16, v0
.LBB500_83:
	s_or_b64 exec, exec, s[0:1]
	s_mov_b32 s0, 0x5040100
	v_or_b32_e32 v2, v17, v19
	v_perm_b32 v1, v0, v1, s0
	v_perm_b32 v0, v9, v7, s0
	v_lshlrev_b32_e32 v2, 1, v2
	ds_write_b64 v2, v[0:1] offset:45056
	s_waitcnt lgkmcnt(0)
	s_barrier
.LBB500_84:
	s_endpgm
	.section	.rodata,"a",@progbits
	.p2align	6, 0x0
	.amdhsa_kernel _ZN12_GLOBAL__N_139chunk_gated_delta_rule_fwd_h_hip_kernelILi32ELb1ELb0ELb0ELb1ELb0ELb0ELb0ELb0EEEvPK12hip_bfloat16S3_S3_PKfS5_PKvPS1_S8_PvPKiSB_iiiiilll
		.amdhsa_group_segment_fixed_size 49152
		.amdhsa_private_segment_fixed_size 0
		.amdhsa_kernarg_size 136
		.amdhsa_user_sgpr_count 2
		.amdhsa_user_sgpr_dispatch_ptr 0
		.amdhsa_user_sgpr_queue_ptr 0
		.amdhsa_user_sgpr_kernarg_segment_ptr 1
		.amdhsa_user_sgpr_dispatch_id 0
		.amdhsa_user_sgpr_kernarg_preload_length 0
		.amdhsa_user_sgpr_kernarg_preload_offset 0
		.amdhsa_user_sgpr_private_segment_size 0
		.amdhsa_uses_dynamic_stack 0
		.amdhsa_enable_private_segment 0
		.amdhsa_system_sgpr_workgroup_id_x 1
		.amdhsa_system_sgpr_workgroup_id_y 1
		.amdhsa_system_sgpr_workgroup_id_z 0
		.amdhsa_system_sgpr_workgroup_info 0
		.amdhsa_system_vgpr_workitem_id 0
		.amdhsa_next_free_vgpr 152
		.amdhsa_next_free_sgpr 60
		.amdhsa_accum_offset 132
		.amdhsa_reserve_vcc 1
		.amdhsa_float_round_mode_32 0
		.amdhsa_float_round_mode_16_64 0
		.amdhsa_float_denorm_mode_32 3
		.amdhsa_float_denorm_mode_16_64 3
		.amdhsa_dx10_clamp 1
		.amdhsa_ieee_mode 1
		.amdhsa_fp16_overflow 0
		.amdhsa_tg_split 0
		.amdhsa_exception_fp_ieee_invalid_op 0
		.amdhsa_exception_fp_denorm_src 0
		.amdhsa_exception_fp_ieee_div_zero 0
		.amdhsa_exception_fp_ieee_overflow 0
		.amdhsa_exception_fp_ieee_underflow 0
		.amdhsa_exception_fp_ieee_inexact 0
		.amdhsa_exception_int_div_zero 0
	.end_amdhsa_kernel
	.section	.text._ZN12_GLOBAL__N_139chunk_gated_delta_rule_fwd_h_hip_kernelILi32ELb1ELb0ELb0ELb1ELb0ELb0ELb0ELb0EEEvPK12hip_bfloat16S3_S3_PKfS5_PKvPS1_S8_PvPKiSB_iiiiilll,"axG",@progbits,_ZN12_GLOBAL__N_139chunk_gated_delta_rule_fwd_h_hip_kernelILi32ELb1ELb0ELb0ELb1ELb0ELb0ELb0ELb0EEEvPK12hip_bfloat16S3_S3_PKfS5_PKvPS1_S8_PvPKiSB_iiiiilll,comdat
.Lfunc_end500:
	.size	_ZN12_GLOBAL__N_139chunk_gated_delta_rule_fwd_h_hip_kernelILi32ELb1ELb0ELb0ELb1ELb0ELb0ELb0ELb0EEEvPK12hip_bfloat16S3_S3_PKfS5_PKvPS1_S8_PvPKiSB_iiiiilll, .Lfunc_end500-_ZN12_GLOBAL__N_139chunk_gated_delta_rule_fwd_h_hip_kernelILi32ELb1ELb0ELb0ELb1ELb0ELb0ELb0ELb0EEEvPK12hip_bfloat16S3_S3_PKfS5_PKvPS1_S8_PvPKiSB_iiiiilll
                                        ; -- End function
	.section	.AMDGPU.csdata,"",@progbits
; Kernel info:
; codeLenInByte = 8340
; NumSgprs: 66
; NumVgprs: 132
; NumAgprs: 20
; TotalNumVgprs: 152
; ScratchSize: 0
; MemoryBound: 0
; FloatMode: 240
; IeeeMode: 1
; LDSByteSize: 49152 bytes/workgroup (compile time only)
; SGPRBlocks: 8
; VGPRBlocks: 18
; NumSGPRsForWavesPerEU: 66
; NumVGPRsForWavesPerEU: 152
; AccumOffset: 132
; Occupancy: 1
; WaveLimiterHint : 1
; COMPUTE_PGM_RSRC2:SCRATCH_EN: 0
; COMPUTE_PGM_RSRC2:USER_SGPR: 2
; COMPUTE_PGM_RSRC2:TRAP_HANDLER: 0
; COMPUTE_PGM_RSRC2:TGID_X_EN: 1
; COMPUTE_PGM_RSRC2:TGID_Y_EN: 1
; COMPUTE_PGM_RSRC2:TGID_Z_EN: 0
; COMPUTE_PGM_RSRC2:TIDIG_COMP_CNT: 0
; COMPUTE_PGM_RSRC3_GFX90A:ACCUM_OFFSET: 32
; COMPUTE_PGM_RSRC3_GFX90A:TG_SPLIT: 0
	.section	.text._ZN12_GLOBAL__N_139chunk_gated_delta_rule_fwd_h_hip_kernelILi32ELb0ELb1ELb1ELb1ELb0ELb0ELb0ELb0EEEvPK12hip_bfloat16S3_S3_PKfS5_PKvPS1_S8_PvPKiSB_iiiiilll,"axG",@progbits,_ZN12_GLOBAL__N_139chunk_gated_delta_rule_fwd_h_hip_kernelILi32ELb0ELb1ELb1ELb1ELb0ELb0ELb0ELb0EEEvPK12hip_bfloat16S3_S3_PKfS5_PKvPS1_S8_PvPKiSB_iiiiilll,comdat
	.globl	_ZN12_GLOBAL__N_139chunk_gated_delta_rule_fwd_h_hip_kernelILi32ELb0ELb1ELb1ELb1ELb0ELb0ELb0ELb0EEEvPK12hip_bfloat16S3_S3_PKfS5_PKvPS1_S8_PvPKiSB_iiiiilll ; -- Begin function _ZN12_GLOBAL__N_139chunk_gated_delta_rule_fwd_h_hip_kernelILi32ELb0ELb1ELb1ELb1ELb0ELb0ELb0ELb0EEEvPK12hip_bfloat16S3_S3_PKfS5_PKvPS1_S8_PvPKiSB_iiiiilll
	.p2align	8
	.type	_ZN12_GLOBAL__N_139chunk_gated_delta_rule_fwd_h_hip_kernelILi32ELb0ELb1ELb1ELb1ELb0ELb0ELb0ELb0EEEvPK12hip_bfloat16S3_S3_PKfS5_PKvPS1_S8_PvPKiSB_iiiiilll,@function
_ZN12_GLOBAL__N_139chunk_gated_delta_rule_fwd_h_hip_kernelILi32ELb0ELb1ELb1ELb1ELb0ELb0ELb0ELb0EEEvPK12hip_bfloat16S3_S3_PKfS5_PKvPS1_S8_PvPKiSB_iiiiilll: ; @_ZN12_GLOBAL__N_139chunk_gated_delta_rule_fwd_h_hip_kernelILi32ELb0ELb1ELb1ELb1ELb0ELb0ELb0ELb0EEEvPK12hip_bfloat16S3_S3_PKfS5_PKvPS1_S8_PvPKiSB_iiiiilll
; %bb.0:
	s_load_dwordx4 s[36:39], s[0:1], 0x5c
	s_abs_i32 s7, s3
	s_ashr_i32 s6, s3, 31
	s_load_dwordx2 s[4:5], s[0:1], 0x50
	s_load_dwordx8 s[16:23], s[0:1], 0x30
	s_load_dwordx8 s[24:31], s[0:1], 0x0
	v_lshrrev_b32_e32 v58, 6, v0
	s_waitcnt lgkmcnt(0)
	s_abs_i32 s10, s37
	v_cvt_f32_u32_e32 v1, s10
	s_sub_i32 s8, 0, s10
	s_ashr_i32 s50, s37, 31
	s_xor_b32 s6, s6, s50
	v_rcp_iflag_f32_e32 v1, v1
	v_bfe_u32 v61, v0, 4, 2
	v_lshlrev_b32_e32 v59, 4, v58
	v_lshlrev_b32_e32 v18, 2, v61
	v_mul_f32_e32 v1, 0x4f7ffffe, v1
	v_cvt_u32_f32_e32 v1, v1
	v_and_b32_e32 v60, 63, v0
	s_mov_b32 s33, s37
	v_and_b32_e32 v62, 15, v0
	v_readfirstlane_b32 s9, v1
	s_mul_i32 s8, s8, s9
	s_mul_hi_u32 s8, s9, s8
	s_add_i32 s9, s9, s8
	s_mul_hi_u32 s8, s7, s9
	s_mul_i32 s9, s8, s10
	s_sub_i32 s7, s7, s9
	s_add_i32 s11, s8, 1
	s_sub_i32 s9, s7, s10
	s_cmp_ge_u32 s7, s10
	s_cselect_b32 s8, s11, s8
	s_cselect_b32 s7, s9, s7
	s_add_i32 s9, s8, 1
	s_cmp_ge_u32 s7, s10
	s_cselect_b32 s7, s9, s8
	s_xor_b32 s7, s7, s6
	s_sub_i32 s34, s7, s6
	s_mul_i32 s6, s34, s37
	s_ashr_i32 s35, s34, 31
	s_sub_i32 s51, s3, s6
	s_lshl_b64 s[6:7], s[34:35], 2
	s_add_u32 s8, s22, s6
	s_addc_u32 s9, s23, s7
	s_add_u32 s4, s4, s6
	s_addc_u32 s5, s5, s7
	s_abs_i32 s3, s38
	v_cvt_f32_u32_e32 v1, s3
	s_load_dwordx2 s[44:45], s[8:9], 0x0
	s_load_dwordx2 s[22:23], s[0:1], 0x80
	s_load_dwordx4 s[40:43], s[0:1], 0x70
	s_sub_i32 s1, 0, s3
	v_rcp_iflag_f32_e32 v1, v1
	s_load_dword s57, s[4:5], 0x0
	s_waitcnt lgkmcnt(0)
	s_sub_i32 s48, s45, s44
	s_ashr_i32 s0, s48, 31
	v_mul_f32_e32 v1, 0x4f7ffffe, v1
	v_cvt_u32_f32_e32 v1, v1
	s_lshr_b32 s0, s0, 26
	s_add_i32 s0, s48, s0
	s_ashr_i32 s55, s0, 6
	v_readfirstlane_b32 s6, v1
	s_mul_i32 s1, s1, s6
	s_mul_hi_u32 s1, s6, s1
	s_add_i32 s6, s6, s1
	s_mul_hi_u32 s1, s10, s6
	s_mul_i32 s6, s1, s3
	s_ashr_i32 s0, s38, 31
	s_sub_i32 s6, s10, s6
	s_xor_b32 s0, s50, s0
	s_add_i32 s7, s1, 1
	s_sub_i32 s8, s6, s3
	s_cmp_ge_u32 s6, s3
	s_cselect_b32 s1, s7, s1
	s_cselect_b32 s6, s8, s6
	s_add_i32 s7, s1, 1
	s_cmp_ge_u32 s6, s3
	s_cselect_b32 s1, s7, s1
	s_xor_b32 s1, s1, s0
	s_sub_i32 s1, s1, s0
	s_abs_i32 s3, s1
	v_cvt_f32_u32_e32 v1, s3
	s_sub_i32 s5, 0, s3
	s_abs_i32 s4, s51
	s_xor_b32 s1, s51, s1
	v_rcp_iflag_f32_e32 v1, v1
	s_ashr_i32 s1, s1, 31
	s_mov_b32 s0, 0
	s_mov_b32 s14, s0
	v_mul_f32_e32 v1, 0x4f7ffffe, v1
	v_cvt_u32_f32_e32 v1, v1
	s_mov_b32 s15, s0
	s_mov_b32 s8, s0
	;; [unrolled: 1-line block ×3, first 2 shown]
	v_readfirstlane_b32 s6, v1
	s_mul_i32 s5, s5, s6
	s_mul_hi_u32 s5, s6, s5
	s_add_i32 s6, s6, s5
	s_mul_hi_u32 s5, s4, s6
	s_mul_i32 s6, s5, s3
	s_sub_i32 s4, s4, s6
	s_add_i32 s6, s5, 1
	s_sub_i32 s7, s4, s3
	s_cmp_ge_u32 s4, s3
	s_cselect_b32 s5, s6, s5
	s_cselect_b32 s4, s7, s4
	s_add_i32 s6, s5, 1
	s_cmp_ge_u32 s4, s3
	s_cselect_b32 s3, s6, s5
	s_xor_b32 s3, s3, s1
	s_sub_i32 s58, s3, s1
	v_or_b32_e32 v1, v18, v59
	s_lshl_b32 s46, s2, 5
	s_mov_b32 s1, s0
	s_mov_b32 s2, s0
	;; [unrolled: 1-line block ×11, first 2 shown]
	v_mov_b64_e32 v[16:17], s[14:15]
	v_or_b32_e32 v65, 64, v1
	s_cmp_lt_i32 s48, 64
	v_mov_b64_e32 v[14:15], s[12:13]
	v_mov_b64_e32 v[12:13], s[10:11]
	;; [unrolled: 1-line block ×7, first 2 shown]
	s_mul_hi_i32 s59, s51, s36
	s_mul_i32 s60, s51, s36
	v_lshrrev_b32_e32 v64, 3, v60
	v_lshlrev_b32_e32 v63, 3, v0
	s_mul_i32 s52, s34, s41
	s_mul_hi_u32 s53, s34, s40
	s_mul_i32 s54, s35, s40
	s_mul_i32 s12, s34, s40
	s_cbranch_scc1 .LBB501_19
; %bb.1:
	s_ashr_i32 s40, s51, 31
	s_ashr_i32 s1, s44, 31
	s_add_u32 s0, s60, s44
	s_addc_u32 s1, s59, s1
	s_lshl_b64 s[0:1], s[0:1], 8
	v_and_b32_e32 v9, 56, v63
	s_add_u32 s0, s26, s0
	v_lshl_or_b32 v5, v58, 3, v64
	v_lshlrev_b32_e32 v2, 1, v9
	s_addc_u32 s1, s27, s1
	v_lshl_or_b32 v13, v5, 8, v2
	s_and_b32 s1, s1, 0xffff
	s_mov_b32 s3, 0x20000
	s_movk_i32 s2, 0x4000
	s_movk_i32 s4, 0x80
	v_or_b32_e32 v17, 0x2000, v13
	buffer_load_dwordx4 v[20:23], v13, s[0:3], 0 offen
	buffer_load_dwordx4 v[24:27], v13, s[0:3], s4 offen
	;; [unrolled: 1-line block ×4, first 2 shown]
	v_lshlrev_b32_e32 v3, 3, v5
	v_and_or_b32 v6, v0, 7, v3
	v_and_b32_e32 v3, 0x78, v3
	v_lshlrev_b32_e32 v6, 4, v6
	v_xor_b32_e32 v66, v6, v3
	v_mul_lo_u32 v4, v5, s39
	v_or_b32_e32 v67, 0x1000, v66
	v_xor_b32_e32 v3, 8, v66
	s_cmpk_eq_i32 s39, 0x80
	s_mov_b32 s49, s44
	v_xor_b32_e32 v6, 8, v67
	s_cselect_b64 s[0:1], -1, 0
	s_cmpk_lg_i32 s39, 0x80
	s_waitcnt vmcnt(3)
	ds_write_b64 v66, v[20:21] offset:24576
	ds_write_b64 v3, v[22:23] offset:24576
	s_waitcnt vmcnt(2)
	ds_write_b64 v66, v[24:25] offset:32768
	ds_write_b64 v3, v[26:27] offset:32768
	;; [unrolled: 3-line block ×4, first 2 shown]
	v_lshl_add_u32 v3, v4, 1, v9
	s_cbranch_scc0 .LBB501_3
; %bb.2:
	v_lshlrev_b32_e32 v6, 1, v3
	v_add_lshl_u32 v4, v3, s39, 1
	s_lshl_b32 s6, s39, 7
	v_lshl_or_b32 v2, v5, 9, v2
	s_cbranch_execz .LBB501_4
	s_branch .LBB501_5
.LBB501_3:
                                        ; implicit-def: $vgpr4
                                        ; implicit-def: $vgpr6
                                        ; implicit-def: $sgpr6
	v_lshl_or_b32 v2, v5, 9, v2
.LBB501_4:
	v_or_b32_e32 v4, 0x100, v2
	s_movk_i32 s6, 0x4000
	v_mov_b32_e32 v6, v2
.LBB501_5:
	s_mul_i32 s2, s44, s38
	s_ashr_i32 s41, s58, 31
	s_mul_hi_i32 s3, s44, s38
	s_add_u32 s2, s2, s58
	s_addc_u32 s3, s3, s41
	s_lshl_b64 s[2:3], s[2:3], 8
	s_add_u32 s4, s24, s2
	s_addc_u32 s2, s25, s3
	s_and_b32 s5, s2, 0xffff
	s_mov_b32 s7, 0x20000
	s_movk_i32 s56, 0x80
	buffer_load_dwordx4 v[20:23], v6, s[4:7], 0 offen
	buffer_load_dwordx4 v[24:27], v6, s[4:7], s56 offen
	;; [unrolled: 1-line block ×4, first 2 shown]
	v_and_b32_e32 v4, 6, v0
	v_lshlrev_b32_e32 v8, 6, v1
	v_or_b32_e32 v11, 16, v62
	v_xor_b32_e32 v12, v5, v4
	v_and_b32_e32 v6, 1, v0
	v_lshl_or_b32 v16, v62, 3, v8
	v_lshl_or_b32 v8, v11, 3, v8
	v_lshlrev_b32_e32 v12, 2, v12
	v_lshlrev_b32_e32 v7, 2, v62
	s_mul_i32 s2, s51, s43
	s_mul_hi_u32 s3, s51, s42
	v_or_b32_e32 v70, 0xa000, v8
	v_or_b32_e32 v71, 0xb000, v8
	v_xor_b32_e32 v8, 0x440, v12
	v_cmp_eq_u32_e32 vcc, 0, v6
	s_add_i32 s5, s53, s52
	s_mul_i32 s4, s40, s42
	v_xor_b32_e32 v14, v1, v7
	v_xor_b32_e32 v15, v65, v7
	v_cndmask_b32_e32 v6, v8, v12, vcc
	s_add_i32 s2, s3, s2
	s_add_i32 s13, s5, s54
	s_mov_b32 s61, 0x1000504
	v_lshlrev_b32_e32 v10, 8, v62
	v_lshlrev_b32_e32 v11, 8, v11
	;; [unrolled: 1-line block ×4, first 2 shown]
	v_lshl_or_b32 v4, v4, 10, v6
	s_add_i32 s3, s2, s4
	s_lshl_b64 s[4:5], s[12:13], 2
	s_mov_b32 s62, 0x3020706
	v_or_b32_e32 v68, 0xa000, v16
	v_or_b32_e32 v69, 0xb000, v16
	;; [unrolled: 1-line block ×5, first 2 shown]
	v_xor_b32_e32 v6, 8, v4
	v_xor_b32_e32 v10, 24, v4
	;; [unrolled: 1-line block ×4, first 2 shown]
	s_mul_i32 s2, s51, s42
	s_add_u32 s4, s30, s4
	v_or_b32_e32 v74, v11, v14
	v_xor_b32_e32 v8, 16, v4
	v_xor_b32_e32 v11, 32, v4
	;; [unrolled: 1-line block ×3, first 2 shown]
	v_add_u32_e32 v6, 0x80, v6
	v_add_u32_e32 v10, 0x80, v10
	;; [unrolled: 1-line block ×4, first 2 shown]
	s_addc_u32 s5, s31, s5
	s_lshl_b64 s[2:3], s[2:3], 2
	s_add_u32 s2, s4, s2
	s_movk_i32 s4, 0xf8
	s_addc_u32 s3, s5, s3
	s_ashr_i32 s47, s46, 31
	s_lshl_b32 s10, s39, 7
	s_movk_i32 s8, 0x100
	v_mov_b32_e32 v51, 0
	v_lshlrev_b32_e32 v50, 4, v62
	v_cmp_gt_u32_e32 vcc, s8, v0
	s_mov_b32 s63, 0
	s_movk_i32 s13, 0x1000
	s_movk_i32 s6, 0x4000
	v_add_u32_e32 v93, v59, v18
	v_mov_b32_e32 v98, 0x3fb8aa3b
	v_mov_b32_e32 v100, v51
	;; [unrolled: 1-line block ×5, first 2 shown]
	s_waitcnt vmcnt(1)
	v_perm_b32 v16, v20, v28, s61
	s_waitcnt vmcnt(0)
	v_perm_b32 v19, v24, v32, s61
	v_perm_b32 v20, v20, v28, s62
	;; [unrolled: 1-line block ×15, first 2 shown]
	ds_write2st64_b32 v4, v16, v19 offset0:32 offset1:64
	ds_write2st64_b32 v6, v20, v24 offset0:32 offset1:64
	;; [unrolled: 1-line block ×8, first 2 shown]
	v_or_b32_e32 v4, v59, v62
	v_lshlrev_b32_e32 v4, 3, v4
	v_lshrrev_b32_e32 v10, 5, v60
	v_and_or_b32 v10, v4, s4, v10
	v_lshlrev_b32_e32 v8, 11, v58
	v_lshlrev_b32_e32 v10, 4, v10
	v_and_b32_e32 v4, 0x78, v4
	v_and_b32_e32 v6, 0x1000, v8
	v_xor_b32_e32 v11, v10, v4
	v_lshrrev_b32_e32 v12, 1, v0
	v_or_b32_e32 v11, v11, v6
	v_and_b32_e32 v14, 8, v12
	v_xor_b32_e32 v76, v11, v14
	v_or_b32_e32 v11, 32, v10
	v_xor_b32_e32 v11, v11, v4
	v_or_b32_e32 v11, v11, v6
	;; [unrolled: 2-line block ×4, first 2 shown]
	s_lshl_b64 s[4:5], s[46:47], 8
	v_or_b32_e32 v11, v11, v6
	v_xor_b32_e32 v4, v10, v4
	s_add_u32 s4, s16, s4
	v_lshlrev_b32_e32 v10, 1, v62
	v_xor_b32_e32 v80, v11, v14
	v_lshrrev_b32_e32 v19, 4, v0
	s_addc_u32 s5, s17, s5
	v_or_b32_e32 v11, 1, v10
	v_mov_b32_e32 v23, 0x4000
	v_mov_b32_e32 v24, 0x2000
	v_xor_b32_e32 v20, v19, v10
	v_xor_b32_e32 v21, v11, v19
	v_lshl_add_u64 v[10:11], s[4:5], 0, v[50:51]
	v_lshlrev_b32_e32 v50, 8, v19
	v_cndmask_b32_e32 v23, v23, v24, vcc
	v_lshlrev_b32_e32 v24, 3, v58
	v_and_b32_e32 v12, 24, v12
	v_lshl_or_b32 v84, v20, 3, v50
	v_and_b32_e32 v20, 8, v0
	v_xor_b32_e32 v25, v24, v12
	v_or_b32_e32 v26, 0x440, v25
	v_cmp_eq_u32_e32 vcc, 0, v20
	v_and_b32_e32 v19, 7, v0
	v_lshlrev_b32_e32 v15, 7, v61
	v_cndmask_b32_e32 v20, v26, v25, vcc
	v_lshl_or_b32 v85, v21, 3, v50
	v_lshlrev_b32_e32 v21, 3, v19
	v_lshlrev_b32_e32 v19, 7, v19
	;; [unrolled: 1-line block ×3, first 2 shown]
	v_or_b32_e32 v20, v20, v8
	v_or_b32_e32 v7, v15, v7
	v_xad_u32 v86, v20, v21, v19
	v_and_or_b32 v15, v22, 60, v15
	v_mov_b32_e32 v20, 0xb000
	v_lshl_or_b32 v87, v15, 1, v20
	v_or_b32_e32 v15, 32, v12
	v_xor_b32_e32 v15, v24, v15
	v_or_b32_e32 v20, 0x440, v15
	v_cndmask_b32_e32 v15, v20, v15, vcc
	v_or_b32_e32 v15, v15, v8
	v_xad_u32 v88, v15, v21, v19
	v_or_b32_e32 v15, 64, v12
	v_xor_b32_e32 v15, v24, v15
	v_xor_b32_e32 v20, 0x440, v15
	v_cndmask_b32_e32 v15, v20, v15, vcc
	v_or_b32_e32 v12, 0x60, v12
	v_or_b32_e32 v15, v15, v8
	v_xor_b32_e32 v12, v24, v12
	v_xad_u32 v89, v15, v21, v19
	v_xor_b32_e32 v15, 0x440, v12
	v_lshlrev_b32_e32 v7, 1, v7
	v_or_b32_e32 v4, v4, v6
	v_or_b32_e32 v6, s46, v62
	v_cndmask_b32_e32 v12, v15, v12, vcc
	v_or_b32_e32 v77, 0xa000, v7
	v_or_b32_e32 v79, 0xa080, v7
	v_xor_b32_e32 v81, v4, v14
	v_or_b32_e32 v82, 0xb000, v7
	v_or_b32_e32 v83, 0xb080, v7
	v_ashrrev_i32_e32 v7, 31, v6
	v_lshlrev_b32_e32 v14, 1, v3
	v_add_lshl_u32 v3, v3, s39, 1
	v_or_b32_e32 v16, 0x100, v2
	v_or_b32_e32 v8, v12, v8
	v_lshlrev_b32_e32 v4, 7, v1
	v_xad_u32 v90, v8, v21, v19
	v_cndmask_b32_e64 v91, v14, v2, s[0:1]
	v_cndmask_b32_e64 v92, v3, v16, s[0:1]
	v_lshlrev_b64 v[2:3], 1, v[6:7]
	v_lshl_add_u64 v[52:53], s[28:29], 0, v[2:3]
	v_lshl_add_u64 v[54:55], s[18:19], 0, v[2:3]
	v_lshl_add_u64 v[56:57], v[10:11], 0, v[50:51]
	s_mov_b32 s47, 0x7060302
	v_lshlrev_b32_e32 v50, 1, v4
	v_add_u32_e32 v94, v23, v86
	v_add_u32_e32 v95, v23, v88
	;; [unrolled: 1-line block ×4, first 2 shown]
	v_mov_b32_e32 v2, v51
	v_mov_b32_e32 v3, v51
	;; [unrolled: 1-line block ×12, first 2 shown]
	s_waitcnt lgkmcnt(0)
	s_barrier
.LBB501_6:                              ; =>This Inner Loop Header: Depth=1
	s_add_i32 s64, s63, 1
	s_cmp_lt_i32 s64, s55
	s_mov_b64 s[8:9], 0
	s_cselect_b64 s[14:15], -1, 0
	s_cmp_ge_i32 s64, s55
	s_mov_b64 s[4:5], 0
	s_cbranch_scc1 .LBB501_8
; %bb.7:                                ;   in Loop: Header=BB501_6 Depth=1
	s_add_i32 s0, s49, 64
	s_ashr_i32 s1, s0, 31
	s_add_u32 s0, s60, s0
	s_addc_u32 s1, s59, s1
	s_lshl_b64 s[0:1], s[0:1], 8
	s_add_u32 s4, s26, s0
	s_addc_u32 s5, s27, s1
.LBB501_8:                              ;   in Loop: Header=BB501_6 Depth=1
	v_cndmask_b32_e64 v18, 0, 1, s[14:15]
	v_cmp_ne_u32_e64 s[0:1], 1, v18
	s_andn2_b64 vcc, exec, s[14:15]
	s_cbranch_vccnz .LBB501_10
; %bb.9:                                ;   in Loop: Header=BB501_6 Depth=1
	s_add_i32 s8, s49, 64
	s_mul_hi_i32 s9, s8, s38
	s_mul_i32 s8, s8, s38
	s_add_u32 s8, s8, s58
	s_addc_u32 s9, s9, s41
	s_lshl_b64 s[8:9], s[8:9], 8
	s_add_u32 s8, s24, s8
	s_addc_u32 s9, s25, s9
.LBB501_10:                             ;   in Loop: Header=BB501_6 Depth=1
	v_perm_b32 v19, v100, v4, s47
	v_perm_b32 v18, v3, v2, s47
	;; [unrolled: 1-line block ×4, first 2 shown]
	ds_write_b64 v68, v[18:19]
	ds_write_b64 v69, v[20:21]
	;; [unrolled: 1-line block ×4, first 2 shown]
	v_perm_b32 v19, v102, v12, s47
	v_perm_b32 v18, v11, v10, s47
	;; [unrolled: 1-line block ×4, first 2 shown]
	ds_write_b64 v70, v[18:19]
	ds_write_b64 v71, v[20:21]
	;; [unrolled: 1-line block ×4, first 2 shown]
	s_waitcnt lgkmcnt(0)
	s_barrier
	ds_read_b64 v[22:23], v76 offset:24576
	ds_read2_b64 v[18:21], v77 offset1:16
	ds_read_b64 v[26:27], v79 offset:3072
	ds_read_b64 v[28:29], v77 offset:3072
	ds_read_b64 v[30:31], v78 offset:24576
	s_waitcnt lgkmcnt(3)
	v_mfma_f32_16x16x16_bf16 a[0:3], v[22:23], v[18:19], 0
	s_add_i32 s11, s49, 63
	s_ashr_i32 s14, s11, 31
	s_mul_i32 s15, s11, s23
	v_mfma_f32_16x16x16_bf16 a[4:7], v[22:23], v[20:21], 0
	ds_read2st64_b64 v[18:21], v77 offset0:2 offset1:4
	s_mul_hi_u32 s65, s11, s22
	s_add_i32 s15, s65, s15
	s_waitcnt lgkmcnt(0)
	v_mfma_f32_16x16x16_bf16 a[0:3], v[30:31], v[18:19], a[0:3]
	ds_read2st64_b64 v[22:25], v79 offset0:2 offset1:4
	ds_read_b64 v[18:19], v80 offset:24576
	s_mul_i32 s14, s14, s22
	s_add_i32 s15, s15, s14
	s_waitcnt lgkmcnt(1)
	v_mfma_f32_16x16x16_bf16 a[4:7], v[30:31], v[22:23], a[4:7]
	ds_read_b64 v[22:23], v81 offset:24576
	s_mul_i32 s14, s11, s22
	s_lshl_b64 s[14:15], s[14:15], 2
	s_waitcnt lgkmcnt(1)
	v_mfma_f32_16x16x16_bf16 a[0:3], v[18:19], v[20:21], a[0:3]
	s_add_u32 s14, s2, s14
	s_addc_u32 s15, s3, s15
	s_and_b64 vcc, exec, s[0:1]
	v_mfma_f32_16x16x16_bf16 a[8:11], v[18:19], v[24:25], a[4:7]
	v_mov_b32_e32 v105, 0
	v_mov_b32_e32 v104, 0
	;; [unrolled: 1-line block ×3, first 2 shown]
	s_waitcnt lgkmcnt(0)
	v_mfma_f32_16x16x16_bf16 a[4:7], v[22:23], v[28:29], a[0:3]
	v_mov_b32_e32 v18, 0
	v_mov_b32_e32 v19, 0
	;; [unrolled: 1-line block ×3, first 2 shown]
	v_mfma_f32_16x16x16_bf16 a[0:3], v[22:23], v[26:27], a[8:11]
	v_mov_b32_e32 v21, 0
	v_mov_b32_e32 v22, 0
	;; [unrolled: 1-line block ×13, first 2 shown]
	s_cbranch_vccnz .LBB501_12
; %bb.11:                               ;   in Loop: Header=BB501_6 Depth=1
	s_and_b32 s5, s5, 0xffff
	buffer_load_dwordx4 v[30:33], v13, s[4:7], 0 offen
	buffer_load_dwordx4 v[26:29], v13, s[4:7], s56 offen
	;; [unrolled: 1-line block ×4, first 2 shown]
	v_mov_b32_e32 v104, v66
	v_mov_b32_e32 v103, v67
.LBB501_12:                             ;   in Loop: Header=BB501_6 Depth=1
	ds_read_b64 v[42:43], v76 offset:32768
	ds_read2_b64 v[34:37], v82 offset1:16
	ds_read_b64 v[44:45], v78 offset:32768
	ds_read_b64 v[46:47], v80 offset:32768
	;; [unrolled: 1-line block ×3, first 2 shown]
	v_add_u32_e32 v106, s49, v93
	s_waitcnt lgkmcnt(3)
	v_mfma_f32_16x16x16_bf16 a[4:7], v[42:43], v[34:35], a[4:7]
	v_ashrrev_i32_e32 v34, 31, v106
	ds_read2st64_b64 v[38:41], v82 offset0:2 offset1:4
	v_mfma_f32_16x16x16_bf16 a[0:3], v[42:43], v[36:37], a[0:3]
	v_mul_lo_u32 v36, v34, s22
	v_mul_lo_u32 v37, v106, s23
	v_mad_u64_u32 v[34:35], s[4:5], v106, s22, 0
	v_add3_u32 v35, v35, v37, v36
	v_add_u32_e32 v36, 1, v106
	v_ashrrev_i32_e32 v37, 31, v36
	v_mul_lo_u32 v42, v37, s22
	v_mul_lo_u32 v43, v36, s23
	v_mad_u64_u32 v[36:37], s[4:5], v36, s22, 0
	v_add3_u32 v37, v37, v43, v42
	v_add_u32_e32 v42, 2, v106
	v_ashrrev_i32_e32 v43, 31, v42
	v_mul_lo_u32 v107, v43, s22
	v_mul_lo_u32 v108, v42, s23
	v_mad_u64_u32 v[42:43], s[4:5], v42, s22, 0
	v_add_u32_e32 v106, 3, v106
	v_add3_u32 v43, v43, v108, v107
	v_ashrrev_i32_e32 v107, 31, v106
	v_mul_lo_u32 v108, v107, s22
	v_mul_lo_u32 v109, v106, s23
	v_mad_u64_u32 v[106:107], s[4:5], v106, s22, 0
	s_ashr_i32 s5, s49, 31
	v_add3_u32 v107, v107, v109, v108
	s_add_u32 s4, s60, s49
	v_lshl_add_u64 v[34:35], v[34:35], 2, s[2:3]
	v_lshl_add_u64 v[106:107], v[106:107], 2, s[2:3]
	s_addc_u32 s5, s59, s5
	v_lshl_add_u64 v[36:37], v[36:37], 2, s[2:3]
	v_lshl_add_u64 v[42:43], v[42:43], 2, s[2:3]
	global_load_dword v108, v[34:35], off
	global_load_dword v109, v[36:37], off
	;; [unrolled: 1-line block ×3, first 2 shown]
	s_nop 0
	global_load_dword v106, v[106:107], off
	s_lshl_b64 s[66:67], s[4:5], 8
	v_lshl_add_u64 v[34:35], v[52:53], 0, s[66:67]
	v_lshl_add_u64 v[42:43], v[34:35], 0, v[50:51]
	global_load_ushort v107, v[42:43], off offset:256
	global_load_ushort v111, v[42:43], off
	ds_read2st64_b64 v[34:37], v83 offset0:2 offset1:4
	global_load_ushort v112, v[42:43], off offset:768
	global_load_ushort v113, v[42:43], off offset:512
	;; [unrolled: 1-line block ×6, first 2 shown]
	s_waitcnt lgkmcnt(1)
	v_mfma_f32_16x16x16_bf16 a[4:7], v[44:45], v[38:39], a[4:7]
	s_and_b64 vcc, exec, s[0:1]
	s_waitcnt vmcnt(7)
	v_lshlrev_b32_e32 v43, 16, v107
	s_waitcnt lgkmcnt(0)
	v_mfma_f32_16x16x16_bf16 a[0:3], v[44:45], v[34:35], a[0:3]
	v_mfma_f32_16x16x16_bf16 a[4:7], v[46:47], v[40:41], a[4:7]
	;; [unrolled: 1-line block ×3, first 2 shown]
	ds_read_b64 v[34:35], v82 offset:3072
	ds_read_b64 v[36:37], v83 offset:3072
	s_load_dword s4, s[14:15], 0x0
	s_waitcnt lgkmcnt(0)
	v_sub_f32_e32 v42, s4, v108
	v_mfma_f32_16x16x16_bf16 a[4:7], v[48:49], v[34:35], a[4:7]
	v_sub_f32_e32 v45, s4, v109
	v_sub_f32_e32 v46, s4, v110
	;; [unrolled: 1-line block ×3, first 2 shown]
	v_mul_f32_e32 v44, 0x3fb8aa3b, v42
	v_mul_f32_e32 v45, 0x3fb8aa3b, v45
	;; [unrolled: 1-line block ×4, first 2 shown]
	v_mfma_f32_16x16x16_bf16 a[0:3], v[48:49], v[36:37], a[0:3]
	v_accvgpr_read_b32 v41, a5
	v_exp_f32_e32 v44, v44
	v_exp_f32_e32 v45, v45
	;; [unrolled: 1-line block ×4, first 2 shown]
	v_accvgpr_read_b32 v40, a4
	s_waitcnt vmcnt(6)
	v_lshlrev_b32_e32 v42, 16, v111
	v_lshl_add_u64 v[34:35], v[54:55], 0, s[66:67]
	v_accvgpr_read_b32 v37, a7
	v_accvgpr_read_b32 v36, a6
	v_pk_add_f32 v[40:41], v[42:43], v[40:41] neg_lo:[0,1] neg_hi:[0,1]
	s_waitcnt vmcnt(5)
	v_lshlrev_b32_e32 v43, 16, v112
	s_waitcnt vmcnt(4)
	v_lshlrev_b32_e32 v42, 16, v113
	v_lshl_add_u64 v[34:35], v[34:35], 0, v[50:51]
	v_pk_add_f32 v[36:37], v[42:43], v[36:37] neg_lo:[0,1] neg_hi:[0,1]
	global_store_short_d16_hi v[34:35], v40, off
	global_store_short_d16_hi v[34:35], v41, off offset:256
	global_store_short_d16_hi v[34:35], v36, off offset:512
	;; [unrolled: 1-line block ×3, first 2 shown]
	v_pk_mul_f32 v[40:41], v[44:45], v[40:41]
	v_pk_mul_f32 v[36:37], v[46:47], v[36:37]
	v_accvgpr_read_b32 v43, a1
	v_perm_b32 v37, v37, v36, s47
	v_perm_b32 v36, v41, v40, s47
	s_waitcnt vmcnt(5)
	v_lshlrev_b32_e32 v41, 16, v116
	s_waitcnt vmcnt(4)
	v_lshlrev_b32_e32 v40, 16, v117
	v_accvgpr_read_b32 v42, a0
	v_accvgpr_read_b32 v39, a3
	;; [unrolled: 1-line block ×3, first 2 shown]
	v_pk_add_f32 v[40:41], v[40:41], v[42:43] neg_lo:[0,1] neg_hi:[0,1]
	v_lshlrev_b32_e32 v43, 16, v114
	v_lshlrev_b32_e32 v42, 16, v115
	v_pk_add_f32 v[38:39], v[42:43], v[38:39] neg_lo:[0,1] neg_hi:[0,1]
	global_store_short_d16_hi v[34:35], v40, off offset:32
	global_store_short_d16_hi v[34:35], v41, off offset:288
	;; [unrolled: 1-line block ×4, first 2 shown]
	v_pk_mul_f32 v[34:35], v[44:45], v[40:41]
	v_pk_mul_f32 v[38:39], v[46:47], v[38:39]
	v_mov_b32_e32 v106, 0
	v_perm_b32 v39, v39, v38, s47
	v_perm_b32 v38, v35, v34, s47
	ds_write2_b64 v69, v[36:37], v[38:39] offset1:16
	v_mov_b32_e32 v34, 0
	v_mov_b32_e32 v35, 0
	;; [unrolled: 1-line block ×16, first 2 shown]
	s_cbranch_vccnz .LBB501_14
; %bb.13:                               ;   in Loop: Header=BB501_6 Depth=1
	s_and_b32 s9, s9, 0xffff
	s_mov_b32 s11, s7
	buffer_load_dwordx4 v[46:49], v91, s[8:11], 0 offen
	buffer_load_dwordx4 v[38:41], v91, s[8:11], s56 offen
	;; [unrolled: 1-line block ×4, first 2 shown]
	v_mov_b32_e32 v105, v9
	v_mov_b32_e32 v106, v5
.LBB501_14:                             ;   in Loop: Header=BB501_6 Depth=1
	s_waitcnt lgkmcnt(0)
	s_barrier
	ds_read_b64 v[112:113], v94
	ds_read_b64 v[120:121], v87
	;; [unrolled: 1-line block ×5, first 2 shown]
	ds_read_b64 v[126:127], v88 offset:16384
	ds_read_b64 v[128:129], v86 offset:16384
	ds_read2_b64 v[108:111], v82 offset0:16 offset1:128
	s_waitcnt lgkmcnt(6)
	v_mfma_f32_16x16x16_bf16 a[0:3], v[112:113], v[120:121], 0
	ds_read_b64 v[130:131], v83 offset:3072
	ds_read_b64 v[132:133], v90 offset:16384
	s_add_i32 s5, s57, s63
	s_waitcnt lgkmcnt(2)
	v_mfma_f32_16x16x16_bf16 a[4:7], v[112:113], v[108:109], 0
	ds_read2st64_b64 v[112:115], v83 offset0:2 offset1:4
	s_mul_hi_i32 s9, s5, s33
	s_mul_i32 s5, s5, s33
	v_mfma_f32_16x16x16_bf16 a[0:3], v[116:117], v[110:111], a[0:3]
	s_add_u32 s8, s5, s51
	s_addc_u32 s9, s9, s40
	s_lshl_b64 s[8:9], s[8:9], 15
	s_waitcnt lgkmcnt(0)
	v_mfma_f32_16x16x16_bf16 a[4:7], v[116:117], v[112:113], a[4:7]
	ds_read2st64_b64 v[116:119], v82 offset0:4 offset1:6
	s_waitcnt lgkmcnt(0)
	v_mfma_f32_16x16x16_bf16 a[0:3], v[122:123], v[116:117], a[0:3]
	v_mfma_f32_16x16x16_bf16 a[8:11], v[122:123], v[114:115], a[4:7]
	;; [unrolled: 1-line block ×5, first 2 shown]
	ds_read2st64_b64 v[120:123], v85 offset1:8
	v_mfma_f32_16x16x16_bf16 a[12:15], v[128:129], v[108:109], 0
	ds_read_b64 v[128:129], v89 offset:16384
	v_mfma_f32_16x16x16_bf16 a[8:11], v[126:127], v[110:111], a[8:11]
	ds_read2st64_b64 v[108:111], v84 offset1:8
	s_waitcnt lgkmcnt(0)
	v_mov_b32_e32 v124, v108
	v_mfma_f32_16x16x16_bf16 a[12:15], v[126:127], v[112:113], a[12:15]
	v_lshl_add_u64 v[112:113], v[56:57], 0, s[8:9]
	v_add_co_u32_e32 v108, vcc, s13, v112
	v_mfma_f32_16x16x16_bf16 a[8:11], v[128:129], v[116:117], a[8:11]
	v_mov_b32_e32 v125, v109
	v_addc_co_u32_e32 v109, vcc, 0, v113, vcc
	v_mfma_f32_16x16x16_bf16 a[12:15], v[128:129], v[114:115], a[12:15]
	v_mov_b32_e32 v126, v120
	v_mov_b32_e32 v127, v121
	;; [unrolled: 1-line block ×3, first 2 shown]
	v_mfma_f32_16x16x16_bf16 a[8:11], v[132:133], v[118:119], a[8:11]
	v_mov_b32_e32 v121, v111
	s_and_b64 vcc, exec, s[0:1]
	global_store_dwordx4 v[112:113], v[124:127], off
	v_mfma_f32_16x16x16_bf16 a[12:15], v[132:133], v[130:131], a[12:15]
	global_store_dwordx4 v[108:109], v[120:123], off
	s_cbranch_vccnz .LBB501_16
; %bb.15:                               ;   in Loop: Header=BB501_6 Depth=1
	v_lshrrev_b32_e32 v107, 3, v105
	v_and_b32_e32 v107, 6, v107
	v_xor_b32_e32 v106, v107, v106
	v_lshlrev_b32_e32 v106, 2, v106
	v_and_b32_e32 v105, 8, v105
	v_xor_b32_e32 v108, 0x440, v106
	v_cmp_eq_u32_e32 vcc, 0, v105
	s_barrier
	s_nop 0
	v_cndmask_b32_e32 v105, v108, v106, vcc
	v_lshl_or_b32 v105, v107, 10, v105
	s_waitcnt vmcnt(3)
	v_perm_b32 v106, v46, v42, s61
	s_waitcnt vmcnt(2)
	v_perm_b32 v107, v38, v34, s61
	ds_write2st64_b32 v105, v106, v107 offset0:32 offset1:64
	v_xor_b32_e32 v106, 8, v105
	v_perm_b32 v42, v46, v42, s62
	v_perm_b32 v34, v38, v34, s62
	v_add_u32_e32 v38, 0x80, v106
	ds_write2st64_b32 v38, v42, v34 offset0:32 offset1:64
	v_xor_b32_e32 v34, 16, v105
	v_perm_b32 v38, v47, v43, s61
	v_perm_b32 v42, v39, v35, s61
	ds_write2st64_b32 v34, v38, v42 offset0:33 offset1:65
	v_xor_b32_e32 v34, 24, v105
	v_perm_b32 v38, v47, v43, s62
	v_perm_b32 v35, v39, v35, s62
	v_add_u32_e32 v34, 0x80, v34
	ds_write2st64_b32 v34, v38, v35 offset0:33 offset1:65
	v_xor_b32_e32 v34, 32, v105
	v_perm_b32 v35, v48, v44, s61
	;; [unrolled: 9-line block ×3, first 2 shown]
	v_perm_b32 v36, v41, v37, s61
	ds_write2st64_b32 v34, v35, v36 offset0:35 offset1:67
	v_xor_b32_e32 v34, 56, v105
	v_perm_b32 v35, v49, v45, s62
	v_perm_b32 v36, v41, v37, s62
	v_add_u32_e32 v34, 0x80, v34
	ds_write2st64_b32 v34, v35, v36 offset0:35 offset1:67
	ds_write_b64 v104, v[30:31] offset:24576
	v_xor_b32_e32 v30, 8, v104
	ds_write_b64 v30, v[32:33] offset:24576
	ds_write_b64 v104, v[26:27] offset:32768
	;; [unrolled: 1-line block ×4, first 2 shown]
	v_xor_b32_e32 v22, 8, v103
	ds_write_b64 v22, v[24:25] offset:24576
	ds_write_b64 v103, v[18:19] offset:32768
	;; [unrolled: 1-line block ×3, first 2 shown]
.LBB501_16:                             ;   in Loop: Header=BB501_6 Depth=1
	v_mul_f32_e32 v18, s4, v98
	s_waitcnt vmcnt(2)
	v_exp_f32_e32 v34, v18
	v_accvgpr_read_b32 v33, a7
	v_accvgpr_read_b32 v25, a3
	v_accvgpr_read_b32 v29, a11
	v_accvgpr_read_b32 v21, a15
	v_accvgpr_read_b32 v32, a6
	v_accvgpr_read_b32 v31, a5
	v_accvgpr_read_b32 v30, a4
	v_accvgpr_read_b32 v24, a2
	v_accvgpr_read_b32 v23, a1
	v_accvgpr_read_b32 v22, a0
	v_accvgpr_read_b32 v28, a10
	v_accvgpr_read_b32 v27, a9
	v_accvgpr_read_b32 v26, a8
	v_accvgpr_read_b32 v20, a14
	v_accvgpr_read_b32 v19, a13
	v_accvgpr_read_b32 v18, a12
	s_add_i32 s49, s49, 64
	v_fma_f32 v2, v2, v34, v30
	v_fma_f32 v3, v3, v34, v31
	v_fma_f32 v4, v4, v34, v32
	v_fmac_f32_e32 v33, v100, v34
	v_fma_f32 v10, v10, v34, v22
	v_fma_f32 v11, v11, v34, v23
	v_fma_f32 v12, v12, v34, v24
	v_fmac_f32_e32 v25, v102, v34
	;; [unrolled: 4-line block ×3, first 2 shown]
	v_fma_f32 v14, v14, v34, v18
	v_fma_f32 v15, v15, v34, v19
	;; [unrolled: 1-line block ×3, first 2 shown]
	s_cmp_eq_u32 s55, s64
	v_fmac_f32_e32 v21, v101, v34
	s_cbranch_scc1 .LBB501_18
; %bb.17:                               ;   in Loop: Header=BB501_6 Depth=1
	s_mov_b32 s63, s64
	v_mov_b32_e32 v100, v33
	v_mov_b32_e32 v99, v29
	;; [unrolled: 1-line block ×4, first 2 shown]
	s_branch .LBB501_6
.LBB501_18:
	v_mov_b32_e32 v5, v33
	v_mov_b32_e32 v9, v29
	v_mov_b32_e32 v13, v25
	v_mov_b32_e32 v17, v21
.LBB501_19:
	s_lshl_b32 s2, s55, 6
	s_sub_i32 s56, s48, s2
	s_cmp_gt_i32 s56, 0
	v_or_b32_e32 v34, s46, v62
	s_cbranch_scc1 .LBB501_21
; %bb.20:
	s_ashr_i32 s9, s51, 31
	v_or_b32_e32 v18, s46, v62
	s_cbranch_execz .LBB501_22
	s_branch .LBB501_86
.LBB501_21:
                                        ; implicit-def: $vgpr18
                                        ; implicit-def: $sgpr8_sgpr9
.LBB501_22:
	s_add_i32 s8, s2, s44
	s_ashr_i32 s2, s8, 31
	s_cmpk_lg_i32 s39, 0x80
	s_cselect_b64 s[40:41], -1, 0
	s_and_b64 vcc, exec, s[40:41]
	s_cbranch_vccz .LBB501_24
; %bb.23:
	s_mul_i32 s1, s8, s38
	s_ashr_i32 s3, s58, 31
	s_mul_hi_i32 s0, s8, s38
	s_add_u32 s48, s1, s58
	s_addc_u32 s49, s0, s3
	s_cbranch_execz .LBB501_25
	s_branch .LBB501_26
.LBB501_24:
                                        ; implicit-def: $sgpr48_sgpr49
.LBB501_25:
	s_mul_i32 s1, s58, s36
	s_mul_hi_i32 s0, s58, s36
	s_add_u32 s48, s1, s8
	s_addc_u32 s49, s0, s2
.LBB501_26:
	s_add_i32 s3, s55, s57
	s_ashr_i32 s9, s51, 31
	s_add_u32 s0, s60, s8
	v_lshlrev_b32_e32 v22, 5, v1
	v_lshlrev_b32_e32 v40, 2, v62
	s_addc_u32 s1, s59, s2
	s_mov_b32 s2, 0x7060302
	v_or_b32_e32 v25, v22, v40
	v_xor_b32_e32 v23, v1, v40
	v_perm_b32 v19, v5, v4, s2
	v_perm_b32 v18, v3, v2, s2
	;; [unrolled: 1-line block ×4, first 2 shown]
	v_lshlrev_b32_e32 v25, 1, v25
	s_lshl_b64 s[10:11], s[0:1], 8
	v_xor_b32_e32 v24, v65, v40
	ds_write2st64_b64 v25, v[18:19], v[20:21] offset0:80 offset1:88
	v_lshlrev_b32_e32 v23, 1, v23
	v_lshlrev_b32_e32 v25, 8, v62
	s_add_u32 s0, s26, s10
	v_or_b32_e32 v26, v23, v25
	v_lshlrev_b32_e32 v24, 1, v24
	s_addc_u32 s1, s27, s11
	ds_write_b64 v26, v[18:19]
	v_or_b32_e32 v18, v24, v25
	v_or_b32_e32 v25, 16, v62
	s_mul_hi_i32 s4, s3, s37
	s_mul_i32 s3, s3, s37
	ds_write_b64 v18, v[20:21]
	v_perm_b32 v19, v13, v12, s2
	v_perm_b32 v18, v11, v10, s2
	;; [unrolled: 1-line block ×4, first 2 shown]
	v_lshlrev_b32_e32 v37, 2, v25
	s_add_u32 s2, s3, s51
	v_or_b32_e32 v22, v22, v37
	s_addc_u32 s3, s4, s9
	v_lshlrev_b32_e32 v22, 1, v22
	s_ashr_i32 s47, s46, 31
	s_lshl_b64 s[2:3], s[2:3], 15
	ds_write2st64_b64 v22, v[18:19], v[20:21] offset0:80 offset1:88
	v_lshlrev_b32_e32 v22, 8, v25
	s_add_u32 s4, s16, s2
	v_or_b32_e32 v23, v23, v22
	s_addc_u32 s5, s17, s3
	s_lshl_b64 s[2:3], s[46:47], 8
	ds_write_b64 v23, v[18:19]
	v_or_b32_e32 v18, v24, v22
	s_add_u32 s2, s4, s2
	ds_write_b64 v18, v[20:21]
	v_lshrrev_b32_e32 v18, 4, v0
	s_addc_u32 s3, s5, s3
	v_lshlrev_b32_e32 v19, 1, v62
	v_lshlrev_b32_e32 v26, 4, v62
	v_mov_b32_e32 v27, 0
	v_or_b32_e32 v20, 1, v19
	v_xor_b32_e32 v19, v18, v19
	v_lshl_add_u64 v[28:29], s[2:3], 0, v[26:27]
	v_lshlrev_b32_e32 v26, 8, v18
	v_xor_b32_e32 v22, v20, v18
	v_lshl_or_b32 v18, v19, 3, v26
	s_waitcnt lgkmcnt(0)
	s_barrier
	ds_read2st64_b64 v[18:21], v18 offset1:8
	v_lshl_or_b32 v22, v22, 3, v26
	ds_read2st64_b64 v[22:25], v22 offset1:8
	v_lshl_add_u64 v[30:31], v[28:29], 0, v[26:27]
	s_movk_i32 s2, 0x1000
	s_waitcnt lgkmcnt(1)
	v_mov_b32_e32 v26, v18
	v_add_co_u32_e32 v18, vcc, s2, v30
	s_cmp_lg_u32 s56, 64
	v_mov_b32_e32 v27, v19
	v_addc_co_u32_e32 v19, vcc, 0, v31, vcc
	s_cselect_b64 s[14:15], -1, 0
	v_lshl_or_b32 v35, v58, 3, v64
	s_waitcnt lgkmcnt(0)
	v_mov_b32_e32 v28, v22
	v_mov_b32_e32 v29, v23
	;; [unrolled: 1-line block ×4, first 2 shown]
	s_mov_b32 s4, 0
	v_or_b32_e32 v38, 32, v35
	v_and_b32_e32 v36, 56, v63
	s_and_b64 vcc, exec, s[14:15]
	global_store_dwordx4 v[30:31], v[26:29], off
	global_store_dwordx4 v[18:19], v[22:25], off
	s_cbranch_vccz .LBB501_32
; %bb.27:
	s_mov_b32 s6, s4
	s_mov_b32 s7, s4
	s_mov_b32 s5, s4
	v_mov_b64_e32 v[24:25], s[6:7]
	v_mov_b64_e32 v[22:23], s[4:5]
	;; [unrolled: 1-line block ×3, first 2 shown]
	v_cmp_gt_i32_e32 vcc, s56, v35
	v_mov_b64_e32 v[20:21], v[24:25]
	s_and_saveexec_b64 s[2:3], vcc
	s_cbranch_execz .LBB501_29
; %bb.28:
	v_lshlrev_b32_e32 v18, 8, v35
	v_mov_b32_e32 v19, 0
	v_lshl_add_u64 v[20:21], s[0:1], 0, v[18:19]
	v_lshlrev_b32_e32 v18, 1, v36
	v_lshl_add_u64 v[26:27], v[20:21], 0, v[18:19]
	global_load_dwordx4 v[22:25], v[26:27], off
	global_load_dwordx4 v[18:21], v[26:27], off offset:128
.LBB501_29:
	s_or_b64 exec, exec, s[2:3]
	s_mov_b32 s6, s4
	s_mov_b32 s7, s4
	;; [unrolled: 1-line block ×3, first 2 shown]
	v_mov_b64_e32 v[32:33], s[6:7]
	v_mov_b64_e32 v[30:31], s[4:5]
	v_mov_b64_e32 v[26:27], v[30:31]
	v_cmp_gt_i32_e32 vcc, s56, v38
	v_lshlrev_b32_e32 v39, 7, v38
	v_mov_b64_e32 v[28:29], v[32:33]
	s_and_saveexec_b64 s[2:3], vcc
	s_cbranch_execz .LBB501_31
; %bb.30:
	v_lshlrev_b32_e32 v26, 1, v39
	v_mov_b32_e32 v27, 0
	v_lshl_add_u64 v[28:29], s[0:1], 0, v[26:27]
	v_lshlrev_b32_e32 v26, 1, v36
	v_lshl_add_u64 v[42:43], v[28:29], 0, v[26:27]
	global_load_dwordx4 v[30:33], v[42:43], off
	global_load_dwordx4 v[26:29], v[42:43], off offset:128
.LBB501_31:
	s_or_b64 exec, exec, s[2:3]
	v_lshrrev_b32_e32 v41, 3, v36
	v_lshlrev_b32_e32 v42, 3, v35
	v_or_b32_e32 v41, v42, v41
	v_lshlrev_b32_e32 v41, 4, v41
	v_and_b32_e32 v42, 0x78, v42
	v_xor_b32_e32 v41, v41, v42
	s_branch .LBB501_34
.LBB501_32:
                                        ; implicit-def: $vgpr41
                                        ; implicit-def: $vgpr39
                                        ; implicit-def: $vgpr22_vgpr23_vgpr24_vgpr25
                                        ; implicit-def: $vgpr18_vgpr19_vgpr20_vgpr21
                                        ; implicit-def: $vgpr30_vgpr31_vgpr32_vgpr33
                                        ; implicit-def: $vgpr26_vgpr27_vgpr28_vgpr29
	s_cbranch_execz .LBB501_34
; %bb.33:
	s_waitcnt vmcnt(0)
	v_lshlrev_b32_e32 v18, 1, v36
	v_lshl_or_b32 v39, v35, 8, v18
	s_and_b32 s1, s1, 0xffff
	s_mov_b32 s3, 0x20000
	s_movk_i32 s2, 0x4000
	v_lshl_or_b32 v41, v38, 8, v18
	s_movk_i32 s4, 0x80
	buffer_load_dwordx4 v[22:25], v39, s[0:3], 0 offen
	buffer_load_dwordx4 v[18:21], v39, s[0:3], s4 offen
	;; [unrolled: 1-line block ×4, first 2 shown]
	v_lshrrev_b32_e32 v39, 3, v36
	v_lshlrev_b32_e32 v41, 3, v35
	v_or_b32_e32 v39, v41, v39
	v_lshlrev_b32_e32 v39, 4, v39
	v_and_b32_e32 v41, 0x78, v41
	v_xor_b32_e32 v41, v39, v41
	v_lshlrev_b32_e32 v39, 7, v38
.LBB501_34:
	s_lshl_b64 s[0:1], s[48:49], 8
	s_add_u32 s4, s24, s0
	s_movk_i32 s0, 0x1000
	v_and_or_b32 v38, v39, s0, v41
	s_waitcnt vmcnt(1)
	ds_write_b64 v41, v[22:23] offset:24576
	v_xor_b32_e32 v22, 8, v41
	ds_write_b64 v22, v[24:25] offset:24576
	s_waitcnt vmcnt(0)
	ds_write_b64 v41, v[18:19] offset:32768
	ds_write_b64 v22, v[20:21] offset:32768
	;; [unrolled: 1-line block ×3, first 2 shown]
	v_xor_b32_e32 v18, 8, v38
	ds_write_b64 v18, v[32:33] offset:24576
	ds_write_b64 v38, v[26:27] offset:32768
	ds_write_b64 v18, v[28:29] offset:32768
	v_or_b32_e32 v18, v59, v62
	v_lshlrev_b32_e32 v18, 3, v18
	v_lshrrev_b32_e32 v19, 5, v60
	s_movk_i32 s7, 0xf8
	v_and_or_b32 v19, v18, s7, v19
	v_lshlrev_b32_e32 v23, 4, v19
	v_lshlrev_b32_e32 v41, 11, v58
	v_and_b32_e32 v24, 0x78, v18
	v_or_b32_e32 v26, 32, v23
	v_and_b32_e32 v22, 0x1000, v41
	v_lshrrev_b32_e32 v19, 1, v60
	v_xor_b32_e32 v26, v26, v24
	v_xor_b32_e32 v18, v23, v24
	v_and_b32_e32 v25, 8, v19
	v_or_b32_e32 v26, v26, v22
	v_or_b32_e32 v18, v18, v22
	v_xor_b32_e32 v45, v26, v25
	v_or_b32_e32 v26, 64, v23
	v_xor_b32_e32 v44, v18, v25
	v_xor_b32_e32 v26, v26, v24
	s_waitcnt lgkmcnt(0)
	s_barrier
	v_or_b32_e32 v28, v26, v22
	ds_read_b64 v[26:27], v44 offset:24576
	v_lshl_or_b32 v38, v61, 7, v40
	v_lshlrev_b32_e32 v42, 1, v38
	v_add_u32_e32 v18, 0xa000, v42
	ds_read2_b64 v[18:21], v18 offset1:16
	v_or_b32_e32 v23, 0x60, v23
	v_xor_b32_e32 v23, v23, v24
	s_waitcnt lgkmcnt(0)
	v_mfma_f32_16x16x16_bf16 a[0:3], v[26:27], v[18:19], 0
	v_or_b32_e32 v18, 64, v38
	v_or_b32_e32 v22, v23, v22
	v_lshlrev_b32_e32 v43, 1, v18
	v_xor_b32_e32 v46, v28, v25
	v_xor_b32_e32 v47, v22, v25
	ds_read_b64 v[28:29], v45 offset:24576
	ds_read_b64 v[30:31], v46 offset:24576
	;; [unrolled: 1-line block ×3, first 2 shown]
	v_mfma_f32_16x16x16_bf16 a[4:7], v[26:27], v[20:21], 0
	ds_read2st64_b64 v[18:21], v43 offset0:82 offset1:84
	ds_read2st64_b64 v[22:25], v42 offset0:82 offset1:84
	s_addc_u32 s5, s25, s1
	s_add_i32 s2, s45, -1
	s_add_i32 s0, s53, s52
	s_add_i32 s13, s0, s54
	s_mul_i32 s0, s51, s43
	s_mul_hi_u32 s1, s51, s42
	s_ashr_i32 s3, s2, 31
	s_mul_i32 s6, s2, s23
	s_mul_hi_u32 s7, s2, s22
	s_add_i32 s0, s1, s0
	s_mul_i32 s1, s9, s42
	s_add_i32 s6, s7, s6
	s_mul_i32 s3, s3, s22
	s_waitcnt lgkmcnt(1)
	v_mfma_f32_16x16x16_bf16 a[4:7], v[28:29], v[18:19], a[4:7]
	s_add_i32 s1, s0, s1
	s_add_i32 s3, s6, s3
	s_lshl_b64 s[6:7], s[12:13], 2
	s_waitcnt lgkmcnt(0)
	v_mfma_f32_16x16x16_bf16 a[0:3], v[28:29], v[22:23], a[0:3]
	s_mul_i32 s0, s51, s42
	s_add_u32 s6, s30, s6
	s_addc_u32 s7, s31, s7
	s_lshl_b64 s[0:1], s[0:1], 2
	s_mul_i32 s2, s2, s22
	s_add_u32 s12, s6, s0
	ds_read_b64 v[18:19], v42 offset:44032
	v_mfma_f32_16x16x16_bf16 a[4:7], v[30:31], v[20:21], a[4:7]
	ds_read_b64 v[20:21], v43 offset:44032
	s_addc_u32 s13, s7, s1
	s_lshl_b64 s[0:1], s[2:3], 2
	v_mfma_f32_16x16x16_bf16 a[0:3], v[30:31], v[24:25], a[0:3]
	s_add_u32 s0, s12, s0
	s_addc_u32 s1, s13, s1
	s_load_dword s16, s[0:1], 0x0
	s_waitcnt lgkmcnt(0)
	v_mfma_f32_16x16x16_bf16 a[0:3], v[32:33], v[18:19], a[0:3]
	s_and_b64 vcc, exec, s[40:41]
	v_mfma_f32_16x16x16_bf16 a[4:7], v[32:33], v[20:21], a[4:7]
	s_cbranch_vccz .LBB501_45
; %bb.35:
	v_lshlrev_b32_e32 v38, 1, v35
	s_and_b64 vcc, exec, s[14:15]
	s_cbranch_vccz .LBB501_46
; %bb.36:
	v_cmp_gt_i32_e32 vcc, s56, v38
	v_mov_b32_e32 v22, 0
	v_mov_b32_e32 v18, 0
	v_mov_b32_e32 v19, 0
	v_mov_b32_e32 v20, 0
	v_mov_b32_e32 v21, 0
	s_and_saveexec_b64 s[0:1], vcc
	s_cbranch_execz .LBB501_38
; %bb.37:
	v_mad_i64_i32 v[18:19], s[2:3], s39, v38, 0
	v_lshl_add_u64 v[18:19], v[18:19], 1, s[4:5]
	v_lshlrev_b32_e32 v20, 1, v36
	v_mov_b32_e32 v21, 0
	v_lshl_add_u64 v[18:19], v[18:19], 0, v[20:21]
	global_load_dwordx4 v[18:21], v[18:19], off
.LBB501_38:
	s_or_b64 exec, exec, s[0:1]
	v_or_b32_e32 v39, 1, v38
	v_cmp_gt_i32_e64 s[0:1], s56, v39
	v_mov_b32_e32 v23, 0
	v_mov_b32_e32 v24, 0
	;; [unrolled: 1-line block ×3, first 2 shown]
	s_and_saveexec_b64 s[2:3], s[0:1]
	s_cbranch_execz .LBB501_40
; %bb.39:
	v_mad_i64_i32 v[22:23], s[6:7], s39, v39, 0
	v_lshl_add_u64 v[22:23], v[22:23], 1, s[4:5]
	v_lshlrev_b32_e32 v24, 1, v36
	v_mov_b32_e32 v25, 0
	v_lshl_add_u64 v[22:23], v[22:23], 0, v[24:25]
	global_load_dwordx4 v[22:25], v[22:23], off
.LBB501_40:
	s_or_b64 exec, exec, s[2:3]
	v_mov_b32_e32 v33, 0
	v_mov_b32_e32 v26, 0
	;; [unrolled: 1-line block ×5, first 2 shown]
	s_and_saveexec_b64 s[2:3], vcc
	s_cbranch_execz .LBB501_42
; %bb.41:
	v_mad_i64_i32 v[26:27], s[6:7], s39, v38, 0
	v_lshl_add_u64 v[26:27], v[26:27], 1, s[4:5]
	v_lshlrev_b32_e32 v28, 1, v36
	v_mov_b32_e32 v29, 0
	v_lshl_add_u64 v[26:27], v[26:27], 0, v[28:29]
	global_load_dwordx4 v[26:29], v[26:27], off offset:128
.LBB501_42:
	s_or_b64 exec, exec, s[2:3]
	v_mov_b32_e32 v32, 0
	v_mov_b32_e32 v31, 0
	;; [unrolled: 1-line block ×3, first 2 shown]
	s_and_saveexec_b64 s[2:3], s[0:1]
	s_cbranch_execz .LBB501_44
; %bb.43:
	v_mad_i64_i32 v[30:31], s[0:1], s39, v39, 0
	v_lshl_add_u64 v[30:31], v[30:31], 1, s[4:5]
	v_lshlrev_b32_e32 v32, 1, v36
	v_mov_b32_e32 v33, 0
	v_lshl_add_u64 v[30:31], v[30:31], 0, v[32:33]
	global_load_dwordx4 v[30:33], v[30:31], off offset:128
.LBB501_44:
	s_or_b64 exec, exec, s[2:3]
	s_branch .LBB501_48
.LBB501_45:
                                        ; implicit-def: $vgpr21
                                        ; implicit-def: $vgpr25
                                        ; implicit-def: $vgpr29
                                        ; implicit-def: $vgpr33
	v_lshrrev_b32_e32 v48, 2, v60
	s_branch .LBB501_49
.LBB501_46:
                                        ; implicit-def: $vgpr21
                                        ; implicit-def: $vgpr25
                                        ; implicit-def: $vgpr29
                                        ; implicit-def: $vgpr33
	s_cbranch_execz .LBB501_48
; %bb.47:
	s_waitcnt vmcnt(0)
	v_mad_u64_u32 v[18:19], s[0:1], v38, s39, v[36:37]
	v_lshlrev_b32_e32 v38, 1, v18
	s_lshl_b32 s2, s39, 7
	s_and_b32 s1, s5, 0xffff
	s_mov_b32 s3, 0x20000
	s_mov_b32 s0, s4
	v_add_lshl_u32 v39, v18, s39, 1
	s_movk_i32 s6, 0x80
	buffer_load_dwordx4 v[18:21], v38, s[0:3], 0 offen
	buffer_load_dwordx4 v[26:29], v38, s[0:3], s6 offen
	;; [unrolled: 1-line block ×4, first 2 shown]
.LBB501_48:
	v_lshrrev_b32_e32 v48, 2, v60
	s_cbranch_execnz .LBB501_61
.LBB501_49:
	s_and_b64 vcc, exec, s[14:15]
	s_cbranch_vccz .LBB501_59
; %bb.50:
	s_waitcnt vmcnt(0)
	v_lshlrev_b32_e32 v23, 1, v35
	v_cmp_gt_i32_e32 vcc, s56, v23
	v_mov_b32_e32 v22, 0
	v_lshlrev_b32_e32 v30, 9, v35
	v_mov_b32_e32 v18, 0
	v_mov_b32_e32 v19, 0
	;; [unrolled: 1-line block ×4, first 2 shown]
	s_and_saveexec_b64 s[0:1], vcc
	s_cbranch_execz .LBB501_52
; %bb.51:
	v_mov_b32_e32 v31, 0
	v_lshl_add_u64 v[18:19], s[4:5], 0, v[30:31]
	v_lshlrev_b32_e32 v20, 1, v36
	v_mov_b32_e32 v21, v31
	v_lshl_add_u64 v[18:19], v[18:19], 0, v[20:21]
	global_load_dwordx4 v[18:21], v[18:19], off
.LBB501_52:
	s_or_b64 exec, exec, s[0:1]
	v_or_b32_e32 v23, 1, v23
	v_cmp_gt_i32_e64 s[0:1], s56, v23
	v_lshlrev_b32_e32 v38, 8, v23
	v_mov_b32_e32 v23, 0
	v_mov_b32_e32 v24, 0
	;; [unrolled: 1-line block ×3, first 2 shown]
	s_and_saveexec_b64 s[2:3], s[0:1]
	s_cbranch_execz .LBB501_54
; %bb.53:
	v_mov_b32_e32 v39, 0
	v_lshl_add_u64 v[22:23], s[4:5], 0, v[38:39]
	v_lshlrev_b32_e32 v24, 1, v36
	v_mov_b32_e32 v25, v39
	v_lshl_add_u64 v[22:23], v[22:23], 0, v[24:25]
	global_load_dwordx4 v[22:25], v[22:23], off
.LBB501_54:
	s_or_b64 exec, exec, s[2:3]
	v_mov_b32_e32 v33, 0
	v_mov_b32_e32 v26, 0
	v_mov_b32_e32 v27, 0
	v_mov_b32_e32 v28, 0
	v_mov_b32_e32 v29, 0
	s_and_saveexec_b64 s[2:3], vcc
	s_cbranch_execz .LBB501_56
; %bb.55:
	v_mov_b32_e32 v31, 0
	v_lshl_add_u64 v[26:27], s[4:5], 0, v[30:31]
	v_lshlrev_b32_e32 v30, 1, v36
	v_lshl_add_u64 v[26:27], v[26:27], 0, v[30:31]
	global_load_dwordx4 v[26:29], v[26:27], off offset:128
.LBB501_56:
	s_or_b64 exec, exec, s[2:3]
	v_mov_b32_e32 v32, 0
	v_mov_b32_e32 v31, 0
	;; [unrolled: 1-line block ×3, first 2 shown]
	s_and_saveexec_b64 s[2:3], s[0:1]
	s_cbranch_execz .LBB501_58
; %bb.57:
	v_mov_b32_e32 v39, 0
	v_lshl_add_u64 v[30:31], s[4:5], 0, v[38:39]
	v_lshlrev_b32_e32 v38, 1, v36
	v_lshl_add_u64 v[30:31], v[30:31], 0, v[38:39]
	global_load_dwordx4 v[30:33], v[30:31], off offset:128
.LBB501_58:
	s_or_b64 exec, exec, s[2:3]
	s_branch .LBB501_61
.LBB501_59:
                                        ; implicit-def: $vgpr21
                                        ; implicit-def: $vgpr25
                                        ; implicit-def: $vgpr29
                                        ; implicit-def: $vgpr33
	s_cbranch_execz .LBB501_61
; %bb.60:
	s_waitcnt vmcnt(0)
	v_lshlrev_b32_e32 v18, 1, v36
	v_lshl_or_b32 v36, v35, 9, v18
	s_and_b32 s5, s5, 0xffff
	s_mov_b32 s7, 0x20000
	s_movk_i32 s6, 0x4000
	s_movk_i32 s0, 0x80
	buffer_load_dwordx4 v[18:21], v36, s[4:7], 0 offen
	buffer_load_dwordx4 v[22:25], v36, s[4:7], 0 offen offset:256
	buffer_load_dwordx4 v[26:29], v36, s[4:7], s0 offen
	buffer_load_dwordx4 v[30:33], v36, s[4:7], s0 offen offset:256
.LBB501_61:
	ds_read_b64 v[38:39], v44 offset:32768
	v_add_u32_e32 v36, 0xb000, v42
	ds_read2_b64 v[50:53], v36 offset1:16
	ds_read_b64 v[54:55], v45 offset:32768
	ds_read_b64 v[56:57], v46 offset:32768
	;; [unrolled: 1-line block ×3, first 2 shown]
	v_and_b32_e32 v36, 6, v0
	v_xor_b32_e32 v35, v35, v36
	v_lshlrev_b32_e32 v35, 2, v35
	v_and_b32_e32 v49, 1, v0
	v_cmp_eq_u32_e32 vcc, 0, v49
	s_mov_b32 s0, 0x1000504
	s_waitcnt lgkmcnt(3)
	v_mfma_f32_16x16x16_bf16 a[0:3], v[38:39], v[50:51], a[0:3]
	s_mov_b32 s1, 0x3020706
	v_mfma_f32_16x16x16_bf16 a[4:7], v[38:39], v[52:53], a[4:7]
	ds_read2st64_b64 v[44:47], v42 offset0:90 offset1:92
	ds_read2st64_b64 v[50:53], v43 offset0:90 offset1:92
	s_waitcnt lgkmcnt(1)
	v_mfma_f32_16x16x16_bf16 a[0:3], v[54:55], v[44:45], a[0:3]
	ds_read_b64 v[38:39], v42 offset:48128
	ds_read_b64 v[44:45], v43 offset:48128
	s_waitcnt lgkmcnt(2)
	v_mfma_f32_16x16x16_bf16 a[4:7], v[54:55], v[50:51], a[4:7]
	v_mfma_f32_16x16x16_bf16 a[0:3], v[56:57], v[46:47], a[0:3]
	v_xor_b32_e32 v46, 0x440, v35
	v_cndmask_b32_e32 v35, v46, v35, vcc
	v_lshl_or_b32 v35, v36, 10, v35
	v_mfma_f32_16x16x16_bf16 a[8:11], v[56:57], v[52:53], a[4:7]
	s_waitcnt vmcnt(0)
	v_perm_b32 v36, v18, v22, s0
	v_perm_b32 v18, v18, v22, s1
	;; [unrolled: 1-line block ×3, first 2 shown]
	s_waitcnt lgkmcnt(1)
	v_mfma_f32_16x16x16_bf16 a[4:7], v[60:61], v[38:39], a[0:3]
	v_perm_b32 v38, v26, v30, s0
	ds_write2st64_b32 v35, v36, v38 offset0:32 offset1:64
	v_xor_b32_e32 v36, 8, v35
	v_add_u32_e32 v26, 0x80, v36
	ds_write2st64_b32 v26, v18, v22 offset0:32 offset1:64
	v_xor_b32_e32 v18, 16, v35
	v_perm_b32 v22, v19, v23, s0
	v_perm_b32 v26, v27, v31, s0
	ds_write2st64_b32 v18, v22, v26 offset0:33 offset1:65
	v_xor_b32_e32 v18, 24, v35
	v_perm_b32 v19, v19, v23, s1
	v_perm_b32 v22, v27, v31, s1
	v_add_u32_e32 v18, 0x80, v18
	ds_write2st64_b32 v18, v19, v22 offset0:33 offset1:65
	v_xor_b32_e32 v18, 32, v35
	v_perm_b32 v19, v20, v24, s0
	v_perm_b32 v22, v28, v32, s0
	ds_write2st64_b32 v18, v19, v22 offset0:34 offset1:66
	v_xor_b32_e32 v18, 40, v35
	s_waitcnt lgkmcnt(5)
	v_mfma_f32_16x16x16_bf16 a[0:3], v[60:61], v[44:45], a[8:11]
	v_perm_b32 v19, v20, v24, s1
	v_perm_b32 v20, v28, v32, s1
	v_add_u32_e32 v18, 0x80, v18
	ds_write2st64_b32 v18, v19, v20 offset0:34 offset1:66
	v_xor_b32_e32 v18, 48, v35
	v_perm_b32 v19, v21, v25, s0
	v_perm_b32 v20, v29, v33, s0
	ds_write2st64_b32 v18, v19, v20 offset0:35 offset1:67
	v_xor_b32_e32 v18, 56, v35
	v_and_or_b32 v45, v48, 12, v59
	v_perm_b32 v19, v21, v25, s1
	v_perm_b32 v20, v29, v33, s1
	v_add_u32_e32 v18, 0x80, v18
	v_cmp_gt_i32_e32 vcc, s56, v45
	v_mov_b32_e32 v36, 0
	v_mov_b32_e32 v39, 0
	ds_write2st64_b32 v18, v19, v20 offset0:35 offset1:67
	s_and_saveexec_b64 s[0:1], vcc
	s_cbranch_execz .LBB501_63
; %bb.62:
	v_add_u32_e32 v18, s8, v45
	v_ashrrev_i32_e32 v19, 31, v18
	v_mul_lo_u32 v20, v19, s22
	v_mul_lo_u32 v21, v18, s23
	v_mad_u64_u32 v[18:19], s[2:3], v18, s22, 0
	v_add3_u32 v19, v19, v21, v20
	v_lshl_add_u64 v[18:19], v[18:19], 2, s[12:13]
	global_load_dword v18, v[18:19], off
	s_waitcnt vmcnt(0)
	v_sub_f32_e32 v18, s16, v18
	v_mul_f32_e32 v18, 0x3fb8aa3b, v18
	v_exp_f32_e32 v39, v18
.LBB501_63:
	s_or_b64 exec, exec, s[0:1]
	v_or_b32_e32 v29, 1, v45
	v_cmp_gt_i32_e64 s[0:1], s56, v29
	s_and_saveexec_b64 s[2:3], s[0:1]
	s_cbranch_execz .LBB501_65
; %bb.64:
	v_add_u32_e32 v18, s8, v29
	v_ashrrev_i32_e32 v19, 31, v18
	v_mul_lo_u32 v20, v19, s22
	v_mul_lo_u32 v21, v18, s23
	v_mad_u64_u32 v[18:19], s[4:5], v18, s22, 0
	v_add3_u32 v19, v19, v21, v20
	v_lshl_add_u64 v[18:19], v[18:19], 2, s[12:13]
	global_load_dword v18, v[18:19], off
	s_waitcnt vmcnt(0)
	v_sub_f32_e32 v18, s16, v18
	v_mul_f32_e32 v18, 0x3fb8aa3b, v18
	v_exp_f32_e32 v36, v18
.LBB501_65:
	s_or_b64 exec, exec, s[2:3]
	v_or_b32_e32 v28, 2, v45
	v_cmp_gt_i32_e64 s[2:3], s56, v28
	v_mov_b32_e32 v38, 0
	v_mov_b32_e32 v44, 0
	s_and_saveexec_b64 s[4:5], s[2:3]
	s_cbranch_execz .LBB501_67
; %bb.66:
	v_add_u32_e32 v18, s8, v28
	v_ashrrev_i32_e32 v19, 31, v18
	v_mul_lo_u32 v20, v19, s22
	v_mul_lo_u32 v21, v18, s23
	v_mad_u64_u32 v[18:19], s[6:7], v18, s22, 0
	v_add3_u32 v19, v19, v21, v20
	v_lshl_add_u64 v[18:19], v[18:19], 2, s[12:13]
	global_load_dword v18, v[18:19], off
	s_waitcnt vmcnt(0)
	v_sub_f32_e32 v18, s16, v18
	v_mul_f32_e32 v18, 0x3fb8aa3b, v18
	v_exp_f32_e32 v44, v18
.LBB501_67:
	s_or_b64 exec, exec, s[4:5]
	v_or_b32_e32 v46, 3, v45
	v_cmp_gt_i32_e64 s[4:5], s56, v46
	s_and_saveexec_b64 s[6:7], s[4:5]
	s_cbranch_execz .LBB501_69
; %bb.68:
	v_add_u32_e32 v18, s8, v46
	v_ashrrev_i32_e32 v19, 31, v18
	v_mul_lo_u32 v20, v19, s22
	v_mul_lo_u32 v21, v18, s23
	v_mad_u64_u32 v[18:19], s[14:15], v18, s22, 0
	v_add3_u32 v19, v19, v21, v20
	v_lshl_add_u64 v[18:19], v[18:19], 2, s[12:13]
	global_load_dword v18, v[18:19], off
	s_waitcnt vmcnt(0)
	v_sub_f32_e32 v18, s16, v18
	v_mul_f32_e32 v18, 0x3fb8aa3b, v18
	v_exp_f32_e32 v38, v18
.LBB501_69:
	s_or_b64 exec, exec, s[6:7]
	s_add_u32 s6, s28, s10
	s_addc_u32 s7, s29, s11
	s_add_u32 s10, s18, s10
	v_ashrrev_i32_e32 v35, 31, v34
	v_accvgpr_read_b32 v21, a7
	s_addc_u32 s11, s19, s11
	v_lshlrev_b64 v[22:23], 1, v[34:35]
	v_accvgpr_read_b32 v20, a6
	v_accvgpr_read_b32 v19, a5
	;; [unrolled: 1-line block ×3, first 2 shown]
	v_lshl_add_u64 v[24:25], s[6:7], 0, v[22:23]
	v_lshl_add_u64 v[22:23], s[10:11], 0, v[22:23]
	v_mov_b32_e32 v31, 0
	v_lshlrev_b32_e32 v26, 8, v45
	v_mov_b32_e32 v27, 0
	s_and_saveexec_b64 s[6:7], vcc
	s_cbranch_execz .LBB501_71
; %bb.70:
	v_mov_b32_e32 v27, 0
	v_lshl_add_u64 v[32:33], v[24:25], 0, v[26:27]
	global_load_ushort v30, v[32:33], off
	v_lshl_add_u64 v[32:33], v[22:23], 0, v[26:27]
	s_waitcnt vmcnt(0)
	v_lshlrev_b32_e32 v27, 16, v30
	v_sub_f32_e32 v18, v27, v18
	global_store_short_d16_hi v[32:33], v18, off
	v_mul_f32_e32 v18, v39, v18
	v_lshrrev_b32_e32 v27, 16, v18
.LBB501_71:
	s_or_b64 exec, exec, s[6:7]
	v_lshlrev_b32_e32 v30, 8, v29
	s_and_saveexec_b64 s[6:7], s[0:1]
	s_cbranch_execz .LBB501_73
; %bb.72:
	v_mov_b32_e32 v31, 0
	v_lshl_add_u64 v[32:33], v[24:25], 0, v[30:31]
	global_load_ushort v18, v[32:33], off
	v_lshl_add_u64 v[32:33], v[22:23], 0, v[30:31]
	s_waitcnt vmcnt(0)
	v_lshlrev_b32_e32 v18, 16, v18
	v_sub_f32_e32 v18, v18, v19
	global_store_short_d16_hi v[32:33], v18, off
	v_mul_f32_e32 v18, v36, v18
	v_lshrrev_b32_e32 v31, 16, v18
.LBB501_73:
	s_or_b64 exec, exec, s[6:7]
	v_mov_b32_e32 v29, 0
	v_lshlrev_b32_e32 v32, 8, v28
	v_mov_b32_e32 v33, 0
	s_and_saveexec_b64 s[6:7], s[2:3]
	s_cbranch_execz .LBB501_75
; %bb.74:
	v_mov_b32_e32 v33, 0
	v_lshl_add_u64 v[18:19], v[24:25], 0, v[32:33]
	global_load_ushort v28, v[18:19], off
	v_lshl_add_u64 v[18:19], v[22:23], 0, v[32:33]
	s_waitcnt vmcnt(0)
	v_lshlrev_b32_e32 v28, 16, v28
	v_sub_f32_e32 v20, v28, v20
	global_store_short_d16_hi v[18:19], v20, off
	v_mul_f32_e32 v18, v44, v20
	v_lshrrev_b32_e32 v33, 16, v18
.LBB501_75:
	s_or_b64 exec, exec, s[6:7]
	v_lshlrev_b32_e32 v28, 8, v46
	s_and_saveexec_b64 s[6:7], s[4:5]
	s_cbranch_execz .LBB501_77
; %bb.76:
	v_mov_b32_e32 v29, 0
	v_lshl_add_u64 v[18:19], v[24:25], 0, v[28:29]
	global_load_ushort v20, v[18:19], off
	v_lshl_add_u64 v[18:19], v[22:23], 0, v[28:29]
	s_waitcnt vmcnt(0)
	v_lshlrev_b32_e32 v20, 16, v20
	v_sub_f32_e32 v20, v20, v21
	global_store_short_d16_hi v[18:19], v20, off
	v_mul_f32_e32 v18, v38, v20
	v_lshrrev_b32_e32 v29, 16, v18
.LBB501_77:
	s_or_b64 exec, exec, s[6:7]
	v_lshlrev_b32_e32 v35, 5, v45
	s_mov_b32 s6, 0x5040100
	v_perm_b32 v46, v31, v27, s6
	v_or_b32_e32 v27, v35, v40
	v_accvgpr_read_b32 v21, a3
	v_perm_b32 v47, v29, v33, s6
	v_lshlrev_b32_e32 v27, 1, v27
	v_accvgpr_read_b32 v20, a2
	v_accvgpr_read_b32 v19, a1
	;; [unrolled: 1-line block ×3, first 2 shown]
	ds_write_b64 v27, v[46:47] offset:45056
	v_mov_b32_e32 v31, 0
	v_mov_b32_e32 v27, 0
	s_and_saveexec_b64 s[6:7], vcc
	s_cbranch_execz .LBB501_79
; %bb.78:
	v_mov_b32_e32 v27, 0
	v_lshl_add_u64 v[46:47], v[24:25], 0, v[26:27]
	global_load_ushort v29, v[46:47], off offset:32
	v_lshl_add_u64 v[26:27], v[22:23], 0, v[26:27]
	s_waitcnt vmcnt(0)
	v_lshlrev_b32_e32 v29, 16, v29
	v_sub_f32_e32 v18, v29, v18
	global_store_short_d16_hi v[26:27], v18, off offset:32
	v_mul_f32_e32 v18, v39, v18
	v_lshrrev_b32_e32 v27, 16, v18
.LBB501_79:
	s_or_b64 exec, exec, s[6:7]
	s_and_saveexec_b64 s[6:7], s[0:1]
	s_cbranch_execz .LBB501_81
; %bb.80:
	v_mov_b32_e32 v31, 0
	v_lshl_add_u64 v[46:47], v[24:25], 0, v[30:31]
	global_load_ushort v18, v[46:47], off offset:32
	v_lshl_add_u64 v[30:31], v[22:23], 0, v[30:31]
	s_waitcnt vmcnt(0)
	v_lshlrev_b32_e32 v18, 16, v18
	v_sub_f32_e32 v18, v18, v19
	global_store_short_d16_hi v[30:31], v18, off offset:32
	v_mul_f32_e32 v18, v36, v18
	v_lshrrev_b32_e32 v31, 16, v18
.LBB501_81:
	s_or_b64 exec, exec, s[6:7]
	v_mov_b32_e32 v26, 0
	v_mov_b32_e32 v30, 0
	s_and_saveexec_b64 s[0:1], s[2:3]
	s_cbranch_execz .LBB501_83
; %bb.82:
	v_mov_b32_e32 v33, 0
	v_lshl_add_u64 v[18:19], v[24:25], 0, v[32:33]
	global_load_ushort v29, v[18:19], off offset:32
	v_lshl_add_u64 v[18:19], v[22:23], 0, v[32:33]
	s_waitcnt vmcnt(0)
	v_lshlrev_b32_e32 v29, 16, v29
	v_sub_f32_e32 v20, v29, v20
	global_store_short_d16_hi v[18:19], v20, off offset:32
	v_mul_f32_e32 v18, v44, v20
	v_lshrrev_b32_e32 v30, 16, v18
.LBB501_83:
	s_or_b64 exec, exec, s[0:1]
	v_or_b32_e32 v19, 0xb000, v42
	v_or_b32_e32 v18, 0xb000, v43
	s_and_saveexec_b64 s[0:1], s[4:5]
	s_cbranch_execz .LBB501_85
; %bb.84:
	v_mov_b32_e32 v29, 0
	v_lshl_add_u64 v[24:25], v[24:25], 0, v[28:29]
	global_load_ushort v20, v[24:25], off offset:32
	v_lshl_add_u64 v[22:23], v[22:23], 0, v[28:29]
	s_waitcnt vmcnt(0)
	v_lshlrev_b32_e32 v20, 16, v20
	v_sub_f32_e32 v20, v20, v21
	global_store_short_d16_hi v[22:23], v20, off offset:32
	v_mul_f32_e32 v20, v38, v20
	v_lshrrev_b32_e32 v26, 16, v20
.LBB501_85:
	s_or_b64 exec, exec, s[0:1]
	s_mov_b32 s0, 0x5040100
	v_or_b32_e32 v22, v35, v37
	v_perm_b32 v21, v26, v30, s0
	v_perm_b32 v20, v31, v27, s0
	v_lshlrev_b32_e32 v22, 1, v22
	s_movk_i32 s0, 0x100
	ds_write_b64 v22, v[20:21] offset:45056
	v_and_b32_e32 v20, 7, v0
	v_and_b32_e32 v21, 8, v0
	v_cmp_gt_u32_e32 vcc, s0, v0
	v_lshrrev_b32_e32 v0, 1, v0
	v_lshlrev_b32_e32 v35, 3, v20
	v_lshlrev_b32_e32 v36, 7, v20
	v_mov_b32_e32 v20, 0x4000
	v_mov_b32_e32 v22, 0x2000
	v_lshlrev_b32_e32 v38, 3, v58
	v_and_b32_e32 v0, 24, v0
	v_cndmask_b32_e32 v37, v20, v22, vcc
	v_xor_b32_e32 v20, v38, v0
	v_or_b32_e32 v26, 32, v0
	v_or_b32_e32 v22, 0x440, v20
	v_cmp_eq_u32_e32 vcc, 0, v21
	v_xor_b32_e32 v26, v38, v26
	v_or_b32_e32 v27, 0x440, v26
	v_cndmask_b32_e32 v20, v22, v20, vcc
	v_or_b32_e32 v20, v20, v41
	v_cndmask_b32_e32 v26, v27, v26, vcc
	v_xad_u32 v40, v20, v35, v36
	v_or_b32_e32 v26, v26, v41
	v_add_u32_e32 v20, v37, v40
	v_xad_u32 v42, v26, v35, v36
	s_waitcnt lgkmcnt(0)
	s_barrier
	ds_read_b64 v[24:25], v20
	ds_read2_b64 v[20:23], v19 offset1:16
	v_add_u32_e32 v26, v37, v42
	ds_read_b64 v[32:33], v26
	s_waitcnt lgkmcnt(1)
	v_mfma_f32_16x16x16_bf16 a[0:3], v[24:25], v[20:21], 0
	ds_read2st64_b64 v[28:31], v18 offset0:2 offset1:4
	v_mfma_f32_16x16x16_bf16 a[4:7], v[24:25], v[22:23], 0
	ds_read2st64_b64 v[24:27], v19 offset0:2 offset1:4
	s_waitcnt lgkmcnt(0)
	v_mfma_f32_16x16x16_bf16 a[0:3], v[32:33], v[24:25], a[0:3]
	v_mfma_f32_16x16x16_bf16 a[4:7], v[32:33], v[28:29], a[4:7]
	v_or_b32_e32 v32, 64, v0
	v_xor_b32_e32 v32, v38, v32
	v_xor_b32_e32 v33, 0x440, v32
	v_cndmask_b32_e32 v32, v33, v32, vcc
	v_or_b32_e32 v32, v32, v41
	v_or_b32_e32 v0, 0x60, v0
	v_xad_u32 v43, v32, v35, v36
	v_xor_b32_e32 v0, v38, v0
	v_add_u32_e32 v32, v37, v43
	v_xor_b32_e32 v38, 0x440, v0
	ds_read_b64 v[32:33], v32
	v_cndmask_b32_e32 v0, v38, v0, vcc
	v_or_b32_e32 v0, v0, v41
	v_xad_u32 v0, v0, v35, v36
	v_add_u32_e32 v35, v37, v0
	ds_read_b64 v[36:37], v35
	s_waitcnt lgkmcnt(1)
	v_mfma_f32_16x16x16_bf16 a[0:3], v[32:33], v[26:27], a[0:3]
	v_mov_b32_e32 v35, 0x3fb8aa3b
	v_mfma_f32_16x16x16_bf16 a[4:7], v[32:33], v[30:31], a[4:7]
	ds_read_b64 v[32:33], v19 offset:3072
	ds_read_b64 v[38:39], v18 offset:3072
	;; [unrolled: 1-line block ×3, first 2 shown]
	s_waitcnt lgkmcnt(2)
	v_mfma_f32_16x16x16_bf16 a[0:3], v[36:37], v[32:33], a[0:3]
	s_waitcnt lgkmcnt(1)
	v_mfma_f32_16x16x16_bf16 a[4:7], v[36:37], v[38:39], a[4:7]
	ds_read_b64 v[36:37], v42 offset:16384
	s_waitcnt lgkmcnt(1)
	v_mfma_f32_16x16x16_bf16 a[8:11], v[18:19], v[20:21], 0
	v_mul_f32_e32 v20, s16, v35
	v_exp_f32_e32 v35, v20
	v_accvgpr_read_b32 v21, a3
	v_mfma_f32_16x16x16_bf16 a[12:15], v[18:19], v[22:23], 0
	ds_read_b64 v[22:23], v43 offset:16384
	v_accvgpr_read_b32 v18, a0
	v_fma_f32 v18, v2, v35, v18
	v_accvgpr_read_b32 v2, a1
	v_fma_f32 v19, v3, v35, v2
	;; [unrolled: 2-line block ×3, first 2 shown]
	ds_read_b64 v[2:3], v0 offset:16384
	s_waitcnt lgkmcnt(2)
	v_mfma_f32_16x16x16_bf16 a[8:11], v[36:37], v[24:25], a[8:11]
	v_accvgpr_read_b32 v0, a4
	v_fmac_f32_e32 v21, v5, v35
	v_mfma_f32_16x16x16_bf16 a[12:15], v[36:37], v[28:29], a[12:15]
	v_accvgpr_read_b32 v29, a7
	v_fmac_f32_e32 v29, v13, v35
	s_waitcnt lgkmcnt(1)
	v_mfma_f32_16x16x16_bf16 a[0:3], v[22:23], v[26:27], a[8:11]
	v_fma_f32 v26, v10, v35, v0
	v_accvgpr_read_b32 v0, a5
	v_fma_f32 v27, v11, v35, v0
	v_mfma_f32_16x16x16_bf16 a[8:11], v[22:23], v[30:31], a[12:15]
	v_accvgpr_read_b32 v0, a6
	v_fma_f32 v28, v12, v35, v0
	s_waitcnt lgkmcnt(0)
	v_mfma_f32_16x16x16_bf16 a[0:3], v[2:3], v[32:33], a[0:3]
	v_mfma_f32_16x16x16_bf16 a[4:7], v[2:3], v[38:39], a[8:11]
	s_nop 5
	v_accvgpr_read_b32 v0, a0
	v_fma_f32 v22, v6, v35, v0
	v_accvgpr_read_b32 v0, a1
	v_fma_f32 v23, v7, v35, v0
	;; [unrolled: 2-line block ×4, first 2 shown]
	v_accvgpr_read_b32 v0, a5
	v_accvgpr_read_b32 v25, a3
	v_fma_f32 v31, v15, v35, v0
	v_accvgpr_read_b32 v0, a6
	v_accvgpr_read_b32 v33, a7
	v_fmac_f32_e32 v25, v9, v35
	v_fma_f32 v32, v16, v35, v0
	v_fmac_f32_e32 v33, v17, v35
	v_mov_b64_e32 v[2:3], v[18:19]
	v_mov_b64_e32 v[4:5], v[20:21]
	;; [unrolled: 1-line block ×8, first 2 shown]
	v_mov_b32_e32 v18, v34
.LBB501_86:
	s_mul_i32 s0, s33, s35
	s_mul_hi_u32 s1, s33, s34
	s_add_i32 s0, s1, s0
	s_mul_i32 s1, s50, s34
	s_add_i32 s1, s0, s1
	s_mul_i32 s0, s33, s34
	s_add_u32 s0, s0, s51
	s_addc_u32 s1, s1, s9
	s_lshl_b64 s[0:1], s[0:1], 16
	s_add_u32 s0, s20, s0
	v_lshlrev_b32_e32 v18, 7, v18
	s_addc_u32 s1, s21, s1
	v_ashrrev_i32_e32 v19, 31, v18
	v_lshl_add_u64 v[20:21], v[18:19], 2, s[0:1]
	v_lshlrev_b32_e32 v0, 2, v1
	v_mov_b32_e32 v1, 0
	v_lshl_add_u64 v[20:21], v[20:21], 0, v[0:1]
	global_store_dwordx4 v[20:21], v[2:5], off
	global_store_dwordx4 v[20:21], v[6:9], off offset:256
	s_nop 0
	v_or_b32_e32 v2, 0x800, v18
	v_ashrrev_i32_e32 v3, 31, v2
	v_lshl_add_u64 v[2:3], v[2:3], 2, s[0:1]
	v_lshl_add_u64 v[0:1], v[2:3], 0, v[0:1]
	global_store_dwordx4 v[0:1], v[10:13], off
	global_store_dwordx4 v[0:1], v[14:17], off offset:256
	s_endpgm
	.section	.rodata,"a",@progbits
	.p2align	6, 0x0
	.amdhsa_kernel _ZN12_GLOBAL__N_139chunk_gated_delta_rule_fwd_h_hip_kernelILi32ELb0ELb1ELb1ELb1ELb0ELb0ELb0ELb0EEEvPK12hip_bfloat16S3_S3_PKfS5_PKvPS1_S8_PvPKiSB_iiiiilll
		.amdhsa_group_segment_fixed_size 49152
		.amdhsa_private_segment_fixed_size 0
		.amdhsa_kernarg_size 136
		.amdhsa_user_sgpr_count 2
		.amdhsa_user_sgpr_dispatch_ptr 0
		.amdhsa_user_sgpr_queue_ptr 0
		.amdhsa_user_sgpr_kernarg_segment_ptr 1
		.amdhsa_user_sgpr_dispatch_id 0
		.amdhsa_user_sgpr_kernarg_preload_length 0
		.amdhsa_user_sgpr_kernarg_preload_offset 0
		.amdhsa_user_sgpr_private_segment_size 0
		.amdhsa_uses_dynamic_stack 0
		.amdhsa_enable_private_segment 0
		.amdhsa_system_sgpr_workgroup_id_x 1
		.amdhsa_system_sgpr_workgroup_id_y 1
		.amdhsa_system_sgpr_workgroup_id_z 0
		.amdhsa_system_sgpr_workgroup_info 0
		.amdhsa_system_vgpr_workitem_id 0
		.amdhsa_next_free_vgpr 152
		.amdhsa_next_free_sgpr 68
		.amdhsa_accum_offset 136
		.amdhsa_reserve_vcc 1
		.amdhsa_float_round_mode_32 0
		.amdhsa_float_round_mode_16_64 0
		.amdhsa_float_denorm_mode_32 3
		.amdhsa_float_denorm_mode_16_64 3
		.amdhsa_dx10_clamp 1
		.amdhsa_ieee_mode 1
		.amdhsa_fp16_overflow 0
		.amdhsa_tg_split 0
		.amdhsa_exception_fp_ieee_invalid_op 0
		.amdhsa_exception_fp_denorm_src 0
		.amdhsa_exception_fp_ieee_div_zero 0
		.amdhsa_exception_fp_ieee_overflow 0
		.amdhsa_exception_fp_ieee_underflow 0
		.amdhsa_exception_fp_ieee_inexact 0
		.amdhsa_exception_int_div_zero 0
	.end_amdhsa_kernel
	.section	.text._ZN12_GLOBAL__N_139chunk_gated_delta_rule_fwd_h_hip_kernelILi32ELb0ELb1ELb1ELb1ELb0ELb0ELb0ELb0EEEvPK12hip_bfloat16S3_S3_PKfS5_PKvPS1_S8_PvPKiSB_iiiiilll,"axG",@progbits,_ZN12_GLOBAL__N_139chunk_gated_delta_rule_fwd_h_hip_kernelILi32ELb0ELb1ELb1ELb1ELb0ELb0ELb0ELb0EEEvPK12hip_bfloat16S3_S3_PKfS5_PKvPS1_S8_PvPKiSB_iiiiilll,comdat
.Lfunc_end501:
	.size	_ZN12_GLOBAL__N_139chunk_gated_delta_rule_fwd_h_hip_kernelILi32ELb0ELb1ELb1ELb1ELb0ELb0ELb0ELb0EEEvPK12hip_bfloat16S3_S3_PKfS5_PKvPS1_S8_PvPKiSB_iiiiilll, .Lfunc_end501-_ZN12_GLOBAL__N_139chunk_gated_delta_rule_fwd_h_hip_kernelILi32ELb0ELb1ELb1ELb1ELb0ELb0ELb0ELb0EEEvPK12hip_bfloat16S3_S3_PKfS5_PKvPS1_S8_PvPKiSB_iiiiilll
                                        ; -- End function
	.section	.AMDGPU.csdata,"",@progbits
; Kernel info:
; codeLenInByte = 9580
; NumSgprs: 74
; NumVgprs: 134
; NumAgprs: 16
; TotalNumVgprs: 152
; ScratchSize: 0
; MemoryBound: 0
; FloatMode: 240
; IeeeMode: 1
; LDSByteSize: 49152 bytes/workgroup (compile time only)
; SGPRBlocks: 9
; VGPRBlocks: 18
; NumSGPRsForWavesPerEU: 74
; NumVGPRsForWavesPerEU: 152
; AccumOffset: 136
; Occupancy: 1
; WaveLimiterHint : 1
; COMPUTE_PGM_RSRC2:SCRATCH_EN: 0
; COMPUTE_PGM_RSRC2:USER_SGPR: 2
; COMPUTE_PGM_RSRC2:TRAP_HANDLER: 0
; COMPUTE_PGM_RSRC2:TGID_X_EN: 1
; COMPUTE_PGM_RSRC2:TGID_Y_EN: 1
; COMPUTE_PGM_RSRC2:TGID_Z_EN: 0
; COMPUTE_PGM_RSRC2:TIDIG_COMP_CNT: 0
; COMPUTE_PGM_RSRC3_GFX90A:ACCUM_OFFSET: 33
; COMPUTE_PGM_RSRC3_GFX90A:TG_SPLIT: 0
	.section	.text._ZN12_GLOBAL__N_139chunk_gated_delta_rule_fwd_h_hip_kernelILi32ELb0ELb1ELb0ELb1ELb0ELb0ELb0ELb0EEEvPK12hip_bfloat16S3_S3_PKfS5_PKvPS1_S8_PvPKiSB_iiiiilll,"axG",@progbits,_ZN12_GLOBAL__N_139chunk_gated_delta_rule_fwd_h_hip_kernelILi32ELb0ELb1ELb0ELb1ELb0ELb0ELb0ELb0EEEvPK12hip_bfloat16S3_S3_PKfS5_PKvPS1_S8_PvPKiSB_iiiiilll,comdat
	.globl	_ZN12_GLOBAL__N_139chunk_gated_delta_rule_fwd_h_hip_kernelILi32ELb0ELb1ELb0ELb1ELb0ELb0ELb0ELb0EEEvPK12hip_bfloat16S3_S3_PKfS5_PKvPS1_S8_PvPKiSB_iiiiilll ; -- Begin function _ZN12_GLOBAL__N_139chunk_gated_delta_rule_fwd_h_hip_kernelILi32ELb0ELb1ELb0ELb1ELb0ELb0ELb0ELb0EEEvPK12hip_bfloat16S3_S3_PKfS5_PKvPS1_S8_PvPKiSB_iiiiilll
	.p2align	8
	.type	_ZN12_GLOBAL__N_139chunk_gated_delta_rule_fwd_h_hip_kernelILi32ELb0ELb1ELb0ELb1ELb0ELb0ELb0ELb0EEEvPK12hip_bfloat16S3_S3_PKfS5_PKvPS1_S8_PvPKiSB_iiiiilll,@function
_ZN12_GLOBAL__N_139chunk_gated_delta_rule_fwd_h_hip_kernelILi32ELb0ELb1ELb0ELb1ELb0ELb0ELb0ELb0EEEvPK12hip_bfloat16S3_S3_PKfS5_PKvPS1_S8_PvPKiSB_iiiiilll: ; @_ZN12_GLOBAL__N_139chunk_gated_delta_rule_fwd_h_hip_kernelILi32ELb0ELb1ELb0ELb1ELb0ELb0ELb0ELb0EEEvPK12hip_bfloat16S3_S3_PKfS5_PKvPS1_S8_PvPKiSB_iiiiilll
; %bb.0:
	s_load_dwordx4 s[28:31], s[0:1], 0x5c
	s_load_dwordx2 s[4:5], s[0:1], 0x50
	s_abs_i32 s7, s3
	s_ashr_i32 s6, s3, 31
	s_load_dwordx8 s[16:23], s[0:1], 0x0
	s_load_dwordx4 s[24:27], s[0:1], 0x40
	s_load_dwordx2 s[42:43], s[0:1], 0x30
	s_waitcnt lgkmcnt(0)
	s_abs_i32 s10, s29
	v_cvt_f32_u32_e32 v1, s10
	s_sub_i32 s8, 0, s10
	s_ashr_i32 s48, s29, 31
	s_xor_b32 s6, s6, s48
	v_rcp_iflag_f32_e32 v1, v1
	v_lshrrev_b32_e32 v56, 6, v0
	v_bfe_u32 v59, v0, 4, 2
	v_lshlrev_b32_e32 v57, 4, v56
	v_mul_f32_e32 v1, 0x4f7ffffe, v1
	v_cvt_u32_f32_e32 v1, v1
	v_lshlrev_b32_e32 v18, 2, v59
	v_and_b32_e32 v58, 63, v0
	s_mov_b32 s33, s29
	v_readfirstlane_b32 s9, v1
	s_mul_i32 s8, s8, s9
	s_mul_hi_u32 s8, s9, s8
	s_add_i32 s9, s9, s8
	s_mul_hi_u32 s8, s7, s9
	s_mul_i32 s9, s8, s10
	s_sub_i32 s7, s7, s9
	s_add_i32 s9, s8, 1
	s_sub_i32 s11, s7, s10
	s_cmp_ge_u32 s7, s10
	s_cselect_b32 s8, s9, s8
	s_cselect_b32 s7, s11, s7
	s_add_i32 s9, s8, 1
	s_cmp_ge_u32 s7, s10
	s_cselect_b32 s7, s9, s8
	s_xor_b32 s7, s7, s6
	s_sub_i32 s34, s7, s6
	s_mul_i32 s6, s34, s29
	s_ashr_i32 s35, s34, 31
	s_sub_i32 s49, s3, s6
	s_lshl_b64 s[6:7], s[34:35], 2
	s_add_u32 s8, s26, s6
	s_addc_u32 s9, s27, s7
	s_add_u32 s4, s4, s6
	s_addc_u32 s5, s5, s7
	s_abs_i32 s3, s30
	v_cvt_f32_u32_e32 v1, s3
	s_load_dwordx2 s[40:41], s[8:9], 0x0
	s_load_dwordx2 s[26:27], s[0:1], 0x80
	s_load_dwordx4 s[36:39], s[0:1], 0x70
	s_sub_i32 s1, 0, s3
	v_rcp_iflag_f32_e32 v1, v1
	s_load_dword s55, s[4:5], 0x0
	s_waitcnt lgkmcnt(0)
	s_sub_i32 s46, s41, s40
	s_ashr_i32 s0, s46, 31
	v_mul_f32_e32 v1, 0x4f7ffffe, v1
	v_cvt_u32_f32_e32 v1, v1
	s_lshr_b32 s0, s0, 26
	s_add_i32 s0, s46, s0
	s_ashr_i32 s53, s0, 6
	v_readfirstlane_b32 s6, v1
	s_mul_i32 s1, s1, s6
	s_mul_hi_u32 s1, s6, s1
	s_add_i32 s6, s6, s1
	s_mul_hi_u32 s1, s10, s6
	s_mul_i32 s6, s1, s3
	s_ashr_i32 s0, s30, 31
	s_sub_i32 s6, s10, s6
	s_xor_b32 s0, s48, s0
	s_add_i32 s7, s1, 1
	s_sub_i32 s8, s6, s3
	s_cmp_ge_u32 s6, s3
	s_cselect_b32 s1, s7, s1
	s_cselect_b32 s6, s8, s6
	s_add_i32 s7, s1, 1
	s_cmp_ge_u32 s6, s3
	s_cselect_b32 s1, s7, s1
	s_xor_b32 s1, s1, s0
	s_sub_i32 s1, s1, s0
	s_abs_i32 s3, s1
	v_cvt_f32_u32_e32 v1, s3
	s_sub_i32 s5, 0, s3
	s_abs_i32 s4, s49
	s_xor_b32 s1, s49, s1
	v_rcp_iflag_f32_e32 v1, v1
	s_ashr_i32 s1, s1, 31
	s_mov_b32 s0, 0
	s_mov_b32 s14, s0
	v_mul_f32_e32 v1, 0x4f7ffffe, v1
	v_cvt_u32_f32_e32 v1, v1
	s_mov_b32 s15, s0
	s_mov_b32 s8, s0
	;; [unrolled: 1-line block ×3, first 2 shown]
	v_readfirstlane_b32 s6, v1
	s_mul_i32 s5, s5, s6
	s_mul_hi_u32 s5, s6, s5
	s_add_i32 s6, s6, s5
	s_mul_hi_u32 s5, s4, s6
	s_mul_i32 s6, s5, s3
	s_sub_i32 s4, s4, s6
	s_add_i32 s6, s5, 1
	s_sub_i32 s7, s4, s3
	s_cmp_ge_u32 s4, s3
	s_cselect_b32 s5, s6, s5
	s_cselect_b32 s4, s7, s4
	s_add_i32 s6, s5, 1
	s_cmp_ge_u32 s4, s3
	s_cselect_b32 s3, s6, s5
	s_xor_b32 s3, s3, s1
	s_sub_i32 s56, s3, s1
	v_or_b32_e32 v1, v18, v57
	s_lshl_b32 s44, s2, 5
	s_mov_b32 s1, s0
	s_mov_b32 s2, s0
	;; [unrolled: 1-line block ×11, first 2 shown]
	v_mov_b64_e32 v[16:17], s[14:15]
	v_and_b32_e32 v60, 15, v0
	v_or_b32_e32 v63, 64, v1
	s_cmp_lt_i32 s46, 64
	v_mov_b64_e32 v[14:15], s[12:13]
	v_mov_b64_e32 v[12:13], s[10:11]
	;; [unrolled: 1-line block ×7, first 2 shown]
	s_mul_hi_i32 s57, s49, s28
	s_mul_i32 s58, s49, s28
	v_lshrrev_b32_e32 v62, 3, v58
	v_lshlrev_b32_e32 v61, 3, v0
	s_mul_i32 s50, s34, s37
	s_mul_hi_u32 s51, s34, s36
	s_mul_i32 s52, s35, s36
	s_mul_i32 s12, s34, s36
	s_cbranch_scc1 .LBB502_19
; %bb.1:
	s_ashr_i32 s36, s49, 31
	s_ashr_i32 s1, s40, 31
	s_add_u32 s0, s58, s40
	s_addc_u32 s1, s57, s1
	s_lshl_b64 s[0:1], s[0:1], 8
	v_and_b32_e32 v9, 56, v61
	s_add_u32 s0, s18, s0
	v_lshl_or_b32 v5, v56, 3, v62
	v_lshlrev_b32_e32 v2, 1, v9
	s_addc_u32 s1, s19, s1
	v_lshl_or_b32 v13, v5, 8, v2
	s_and_b32 s1, s1, 0xffff
	s_mov_b32 s3, 0x20000
	s_movk_i32 s2, 0x4000
	s_movk_i32 s4, 0x80
	v_or_b32_e32 v17, 0x2000, v13
	buffer_load_dwordx4 v[20:23], v13, s[0:3], 0 offen
	buffer_load_dwordx4 v[24:27], v13, s[0:3], s4 offen
	;; [unrolled: 1-line block ×4, first 2 shown]
	v_lshlrev_b32_e32 v3, 3, v5
	v_and_or_b32 v6, v0, 7, v3
	v_and_b32_e32 v3, 0x78, v3
	v_lshlrev_b32_e32 v6, 4, v6
	v_xor_b32_e32 v64, v6, v3
	v_mul_lo_u32 v4, v5, s31
	v_or_b32_e32 v65, 0x1000, v64
	v_xor_b32_e32 v3, 8, v64
	s_cmpk_eq_i32 s31, 0x80
	s_mov_b32 s47, s40
	v_xor_b32_e32 v6, 8, v65
	s_cselect_b64 s[0:1], -1, 0
	s_cmpk_lg_i32 s31, 0x80
	s_waitcnt vmcnt(3)
	ds_write_b64 v64, v[20:21] offset:24576
	ds_write_b64 v3, v[22:23] offset:24576
	s_waitcnt vmcnt(2)
	ds_write_b64 v64, v[24:25] offset:32768
	ds_write_b64 v3, v[26:27] offset:32768
	s_waitcnt vmcnt(1)
	ds_write_b64 v64, v[28:29] offset:28672
	ds_write_b64 v6, v[30:31] offset:24576
	s_waitcnt vmcnt(0)
	ds_write_b64 v64, v[32:33] offset:36864
	ds_write_b64 v6, v[34:35] offset:32768
	v_lshl_add_u32 v3, v4, 1, v9
	s_cbranch_scc0 .LBB502_3
; %bb.2:
	v_lshlrev_b32_e32 v6, 1, v3
	v_add_lshl_u32 v4, v3, s31, 1
	s_lshl_b32 s6, s31, 7
	v_lshl_or_b32 v2, v5, 9, v2
	s_cbranch_execz .LBB502_4
	s_branch .LBB502_5
.LBB502_3:
                                        ; implicit-def: $vgpr4
                                        ; implicit-def: $vgpr6
                                        ; implicit-def: $sgpr6
	v_lshl_or_b32 v2, v5, 9, v2
.LBB502_4:
	v_or_b32_e32 v4, 0x100, v2
	s_movk_i32 s6, 0x4000
	v_mov_b32_e32 v6, v2
.LBB502_5:
	s_mul_i32 s2, s40, s30
	s_ashr_i32 s37, s56, 31
	s_mul_hi_i32 s3, s40, s30
	s_add_u32 s2, s2, s56
	s_addc_u32 s3, s3, s37
	s_lshl_b64 s[2:3], s[2:3], 8
	s_add_u32 s4, s16, s2
	s_addc_u32 s2, s17, s3
	s_and_b32 s5, s2, 0xffff
	s_mov_b32 s7, 0x20000
	s_movk_i32 s54, 0x80
	buffer_load_dwordx4 v[20:23], v6, s[4:7], 0 offen
	buffer_load_dwordx4 v[24:27], v6, s[4:7], s54 offen
	;; [unrolled: 1-line block ×4, first 2 shown]
	v_and_b32_e32 v4, 6, v0
	v_lshlrev_b32_e32 v8, 6, v1
	v_or_b32_e32 v11, 16, v60
	v_xor_b32_e32 v12, v5, v4
	v_and_b32_e32 v6, 1, v0
	v_lshl_or_b32 v16, v60, 3, v8
	v_lshl_or_b32 v8, v11, 3, v8
	v_lshlrev_b32_e32 v12, 2, v12
	v_lshlrev_b32_e32 v7, 2, v60
	s_mul_i32 s2, s49, s39
	s_mul_hi_u32 s3, s49, s38
	v_or_b32_e32 v68, 0xa000, v8
	v_or_b32_e32 v69, 0xb000, v8
	v_xor_b32_e32 v8, 0x440, v12
	v_cmp_eq_u32_e32 vcc, 0, v6
	s_add_i32 s5, s51, s50
	s_mul_i32 s4, s36, s38
	v_xor_b32_e32 v14, v1, v7
	v_xor_b32_e32 v15, v63, v7
	v_cndmask_b32_e32 v6, v8, v12, vcc
	s_add_i32 s2, s3, s2
	s_add_i32 s13, s5, s52
	s_mov_b32 s59, 0x1000504
	v_lshlrev_b32_e32 v10, 8, v60
	v_lshlrev_b32_e32 v11, 8, v11
	;; [unrolled: 1-line block ×4, first 2 shown]
	v_lshl_or_b32 v4, v4, 10, v6
	s_add_i32 s3, s2, s4
	s_lshl_b64 s[4:5], s[12:13], 2
	s_mov_b32 s60, 0x3020706
	v_or_b32_e32 v66, 0xa000, v16
	v_or_b32_e32 v67, 0xb000, v16
	;; [unrolled: 1-line block ×5, first 2 shown]
	v_xor_b32_e32 v6, 8, v4
	v_xor_b32_e32 v10, 24, v4
	;; [unrolled: 1-line block ×4, first 2 shown]
	s_mul_i32 s2, s49, s38
	s_add_u32 s4, s22, s4
	v_or_b32_e32 v72, v11, v14
	v_xor_b32_e32 v8, 16, v4
	v_xor_b32_e32 v11, 32, v4
	;; [unrolled: 1-line block ×3, first 2 shown]
	v_add_u32_e32 v6, 0x80, v6
	v_add_u32_e32 v10, 0x80, v10
	;; [unrolled: 1-line block ×4, first 2 shown]
	s_addc_u32 s5, s23, s5
	s_lshl_b64 s[2:3], s[2:3], 2
	s_add_u32 s2, s4, s2
	s_movk_i32 s4, 0xf8
	s_addc_u32 s3, s5, s3
	s_ashr_i32 s45, s44, 31
	s_lshl_b32 s10, s31, 7
	s_movk_i32 s8, 0x100
	v_mov_b32_e32 v51, 0
	v_lshlrev_b32_e32 v50, 4, v60
	v_cmp_gt_u32_e32 vcc, s8, v0
	s_mov_b32 s61, 0
	s_movk_i32 s13, 0x1000
	s_movk_i32 s6, 0x4000
	v_add_u32_e32 v91, v57, v18
	v_mov_b32_e32 v96, 0x3fb8aa3b
	v_mov_b32_e32 v98, v51
	;; [unrolled: 1-line block ×5, first 2 shown]
	s_waitcnt vmcnt(1)
	v_perm_b32 v16, v20, v28, s59
	s_waitcnt vmcnt(0)
	v_perm_b32 v19, v24, v32, s59
	v_perm_b32 v20, v20, v28, s60
	;; [unrolled: 1-line block ×15, first 2 shown]
	ds_write2st64_b32 v4, v16, v19 offset0:32 offset1:64
	ds_write2st64_b32 v6, v20, v24 offset0:32 offset1:64
	;; [unrolled: 1-line block ×8, first 2 shown]
	v_or_b32_e32 v4, v57, v60
	v_lshlrev_b32_e32 v4, 3, v4
	v_lshrrev_b32_e32 v10, 5, v58
	v_and_or_b32 v10, v4, s4, v10
	v_lshlrev_b32_e32 v8, 11, v56
	v_lshlrev_b32_e32 v10, 4, v10
	v_and_b32_e32 v4, 0x78, v4
	v_and_b32_e32 v6, 0x1000, v8
	v_xor_b32_e32 v11, v10, v4
	v_lshrrev_b32_e32 v12, 1, v0
	v_or_b32_e32 v11, v11, v6
	v_and_b32_e32 v14, 8, v12
	v_xor_b32_e32 v74, v11, v14
	v_or_b32_e32 v11, 32, v10
	v_xor_b32_e32 v11, v11, v4
	v_or_b32_e32 v11, v11, v6
	;; [unrolled: 2-line block ×4, first 2 shown]
	s_lshl_b64 s[4:5], s[44:45], 8
	v_or_b32_e32 v11, v11, v6
	v_xor_b32_e32 v4, v10, v4
	s_add_u32 s4, s42, s4
	v_lshlrev_b32_e32 v10, 1, v60
	v_xor_b32_e32 v78, v11, v14
	v_lshrrev_b32_e32 v19, 4, v0
	s_addc_u32 s5, s43, s5
	v_or_b32_e32 v11, 1, v10
	v_mov_b32_e32 v23, 0x4000
	v_mov_b32_e32 v24, 0x2000
	v_xor_b32_e32 v20, v19, v10
	v_xor_b32_e32 v21, v11, v19
	v_lshl_add_u64 v[10:11], s[4:5], 0, v[50:51]
	v_lshlrev_b32_e32 v50, 8, v19
	v_cndmask_b32_e32 v23, v23, v24, vcc
	v_lshlrev_b32_e32 v24, 3, v56
	v_and_b32_e32 v12, 24, v12
	v_lshl_or_b32 v82, v20, 3, v50
	v_and_b32_e32 v20, 8, v0
	v_xor_b32_e32 v25, v24, v12
	v_or_b32_e32 v26, 0x440, v25
	v_cmp_eq_u32_e32 vcc, 0, v20
	v_and_b32_e32 v19, 7, v0
	v_lshlrev_b32_e32 v15, 7, v59
	v_cndmask_b32_e32 v20, v26, v25, vcc
	v_lshl_or_b32 v83, v21, 3, v50
	v_lshlrev_b32_e32 v21, 3, v19
	v_lshlrev_b32_e32 v19, 7, v19
	;; [unrolled: 1-line block ×3, first 2 shown]
	v_or_b32_e32 v20, v20, v8
	v_or_b32_e32 v7, v15, v7
	v_xad_u32 v84, v20, v21, v19
	v_and_or_b32 v15, v22, 60, v15
	v_mov_b32_e32 v20, 0xb000
	v_lshl_or_b32 v85, v15, 1, v20
	v_or_b32_e32 v15, 32, v12
	v_xor_b32_e32 v15, v24, v15
	v_or_b32_e32 v20, 0x440, v15
	v_cndmask_b32_e32 v15, v20, v15, vcc
	v_or_b32_e32 v15, v15, v8
	v_xad_u32 v86, v15, v21, v19
	v_or_b32_e32 v15, 64, v12
	v_xor_b32_e32 v15, v24, v15
	v_xor_b32_e32 v20, 0x440, v15
	v_cndmask_b32_e32 v15, v20, v15, vcc
	v_or_b32_e32 v12, 0x60, v12
	v_or_b32_e32 v15, v15, v8
	v_xor_b32_e32 v12, v24, v12
	v_xad_u32 v87, v15, v21, v19
	v_xor_b32_e32 v15, 0x440, v12
	v_cndmask_b32_e32 v12, v15, v12, vcc
	v_lshlrev_b32_e32 v7, 1, v7
	v_or_b32_e32 v4, v4, v6
	v_or_b32_e32 v6, s44, v60
	;; [unrolled: 1-line block ×5, first 2 shown]
	v_xor_b32_e32 v79, v4, v14
	v_or_b32_e32 v80, 0xb000, v7
	v_or_b32_e32 v81, 0xb080, v7
	v_lshlrev_b32_e32 v4, 7, v1
	v_ashrrev_i32_e32 v7, 31, v6
	v_lshlrev_b32_e32 v14, 1, v3
	v_add_lshl_u32 v3, v3, s31, 1
	v_or_b32_e32 v16, 0x100, v2
	v_xad_u32 v88, v8, v21, v19
	v_cndmask_b32_e64 v89, v14, v2, s[0:1]
	v_cndmask_b32_e64 v90, v3, v16, s[0:1]
	v_lshl_add_u64 v[52:53], v[6:7], 1, s[20:21]
	v_lshl_add_u64 v[54:55], v[10:11], 0, v[50:51]
	s_mov_b32 s45, 0x7060302
	v_lshlrev_b32_e32 v50, 1, v4
	v_add_u32_e32 v92, v23, v84
	v_add_u32_e32 v93, v23, v86
	;; [unrolled: 1-line block ×4, first 2 shown]
	v_mov_b32_e32 v2, v51
	v_mov_b32_e32 v3, v51
	;; [unrolled: 1-line block ×12, first 2 shown]
	s_waitcnt lgkmcnt(0)
	s_barrier
.LBB502_6:                              ; =>This Inner Loop Header: Depth=1
	s_add_i32 s62, s61, 1
	s_cmp_lt_i32 s62, s53
	s_mov_b64 s[8:9], 0
	s_cselect_b64 s[14:15], -1, 0
	s_cmp_ge_i32 s62, s53
	s_mov_b64 s[4:5], 0
	s_cbranch_scc1 .LBB502_8
; %bb.7:                                ;   in Loop: Header=BB502_6 Depth=1
	s_add_i32 s0, s47, 64
	s_ashr_i32 s1, s0, 31
	s_add_u32 s0, s58, s0
	s_addc_u32 s1, s57, s1
	s_lshl_b64 s[0:1], s[0:1], 8
	s_add_u32 s4, s18, s0
	s_addc_u32 s5, s19, s1
.LBB502_8:                              ;   in Loop: Header=BB502_6 Depth=1
	v_cndmask_b32_e64 v18, 0, 1, s[14:15]
	v_cmp_ne_u32_e64 s[0:1], 1, v18
	s_andn2_b64 vcc, exec, s[14:15]
	s_cbranch_vccnz .LBB502_10
; %bb.9:                                ;   in Loop: Header=BB502_6 Depth=1
	s_add_i32 s8, s47, 64
	s_mul_hi_i32 s9, s8, s30
	s_mul_i32 s8, s8, s30
	s_add_u32 s8, s8, s56
	s_addc_u32 s9, s9, s37
	s_lshl_b64 s[8:9], s[8:9], 8
	s_add_u32 s8, s16, s8
	s_addc_u32 s9, s17, s9
.LBB502_10:                             ;   in Loop: Header=BB502_6 Depth=1
	v_perm_b32 v19, v98, v4, s45
	v_perm_b32 v18, v3, v2, s45
	;; [unrolled: 1-line block ×4, first 2 shown]
	ds_write_b64 v66, v[18:19]
	ds_write_b64 v67, v[20:21]
	;; [unrolled: 1-line block ×4, first 2 shown]
	v_perm_b32 v19, v100, v12, s45
	v_perm_b32 v18, v11, v10, s45
	;; [unrolled: 1-line block ×4, first 2 shown]
	ds_write_b64 v68, v[18:19]
	ds_write_b64 v69, v[20:21]
	;; [unrolled: 1-line block ×4, first 2 shown]
	s_waitcnt lgkmcnt(0)
	s_barrier
	ds_read_b64 v[22:23], v74 offset:24576
	ds_read2_b64 v[18:21], v75 offset1:16
	ds_read_b64 v[26:27], v77 offset:3072
	ds_read_b64 v[28:29], v75 offset:3072
	;; [unrolled: 1-line block ×3, first 2 shown]
	s_waitcnt lgkmcnt(3)
	v_mfma_f32_16x16x16_bf16 a[0:3], v[22:23], v[18:19], 0
	s_add_i32 s11, s47, 63
	s_ashr_i32 s14, s11, 31
	s_mul_i32 s15, s11, s27
	v_mfma_f32_16x16x16_bf16 a[4:7], v[22:23], v[20:21], 0
	ds_read2st64_b64 v[18:21], v75 offset0:2 offset1:4
	s_mul_hi_u32 s63, s11, s26
	s_add_i32 s15, s63, s15
	s_waitcnt lgkmcnt(0)
	v_mfma_f32_16x16x16_bf16 a[0:3], v[30:31], v[18:19], a[0:3]
	ds_read2st64_b64 v[22:25], v77 offset0:2 offset1:4
	ds_read_b64 v[18:19], v78 offset:24576
	s_mul_i32 s14, s14, s26
	s_add_i32 s15, s15, s14
	s_waitcnt lgkmcnt(1)
	v_mfma_f32_16x16x16_bf16 a[4:7], v[30:31], v[22:23], a[4:7]
	ds_read_b64 v[22:23], v79 offset:24576
	s_mul_i32 s14, s11, s26
	s_lshl_b64 s[14:15], s[14:15], 2
	s_waitcnt lgkmcnt(1)
	v_mfma_f32_16x16x16_bf16 a[0:3], v[18:19], v[20:21], a[0:3]
	s_add_u32 s14, s2, s14
	s_addc_u32 s15, s3, s15
	s_and_b64 vcc, exec, s[0:1]
	v_mfma_f32_16x16x16_bf16 a[4:7], v[18:19], v[24:25], a[4:7]
	v_mov_b32_e32 v103, 0
	v_mov_b32_e32 v102, 0
	;; [unrolled: 1-line block ×3, first 2 shown]
	s_waitcnt lgkmcnt(0)
	v_mfma_f32_16x16x16_bf16 a[0:3], v[22:23], v[28:29], a[0:3]
	v_mov_b32_e32 v18, 0
	v_mov_b32_e32 v19, 0
	;; [unrolled: 1-line block ×3, first 2 shown]
	v_mfma_f32_16x16x16_bf16 a[4:7], v[22:23], v[26:27], a[4:7]
	v_mov_b32_e32 v21, 0
	v_mov_b32_e32 v22, 0
	;; [unrolled: 1-line block ×13, first 2 shown]
	s_cbranch_vccnz .LBB502_12
; %bb.11:                               ;   in Loop: Header=BB502_6 Depth=1
	s_and_b32 s5, s5, 0xffff
	buffer_load_dwordx4 v[30:33], v13, s[4:7], 0 offen
	buffer_load_dwordx4 v[26:29], v13, s[4:7], s54 offen
	;; [unrolled: 1-line block ×4, first 2 shown]
	v_mov_b32_e32 v102, v64
	v_mov_b32_e32 v101, v65
.LBB502_12:                             ;   in Loop: Header=BB502_6 Depth=1
	ds_read_b64 v[38:39], v74 offset:32768
	ds_read2_b64 v[34:37], v80 offset1:16
	ds_read_b64 v[42:43], v76 offset:32768
	ds_read_b64 v[44:45], v78 offset:32768
	;; [unrolled: 1-line block ×3, first 2 shown]
	v_add_u32_e32 v48, s47, v91
	s_waitcnt lgkmcnt(3)
	v_mfma_f32_16x16x16_bf16 a[0:3], v[38:39], v[34:35], a[0:3]
	v_mul_lo_u32 v49, v48, s27
	v_mfma_f32_16x16x16_bf16 a[4:7], v[38:39], v[36:37], a[4:7]
	ds_read2st64_b64 v[34:37], v80 offset0:2 offset1:4
	ds_read2st64_b64 v[38:41], v81 offset0:2 offset1:4
	s_waitcnt lgkmcnt(1)
	v_mfma_f32_16x16x16_bf16 a[0:3], v[42:43], v[34:35], a[0:3]
	v_ashrrev_i32_e32 v34, 31, v48
	v_mul_lo_u32 v104, v34, s26
	v_mad_u64_u32 v[34:35], s[4:5], v48, s26, 0
	v_mfma_f32_16x16x16_bf16 a[0:3], v[44:45], v[36:37], a[0:3]
	v_add_u32_e32 v36, 1, v48
	v_ashrrev_i32_e32 v37, 31, v36
	v_add3_u32 v35, v35, v49, v104
	s_waitcnt lgkmcnt(0)
	v_mfma_f32_16x16x16_bf16 a[4:7], v[42:43], v[38:39], a[4:7]
	v_mul_lo_u32 v38, v37, s26
	v_mul_lo_u32 v39, v36, s27
	v_mad_u64_u32 v[36:37], s[4:5], v36, s26, 0
	v_add3_u32 v37, v37, v39, v38
	v_add_u32_e32 v38, 2, v48
	v_ashrrev_i32_e32 v39, 31, v38
	v_mul_lo_u32 v42, v39, s26
	v_mul_lo_u32 v43, v38, s27
	v_mad_u64_u32 v[38:39], s[4:5], v38, s26, 0
	v_add3_u32 v39, v39, v43, v42
	v_add_u32_e32 v42, 3, v48
	v_ashrrev_i32_e32 v43, 31, v42
	v_mul_lo_u32 v48, v43, s26
	v_mul_lo_u32 v49, v42, s27
	v_mad_u64_u32 v[42:43], s[4:5], v42, s26, 0
	v_add3_u32 v43, v43, v49, v48
	s_ashr_i32 s5, s47, 31
	v_lshl_add_u64 v[34:35], v[34:35], 2, s[2:3]
	v_lshl_add_u64 v[42:43], v[42:43], 2, s[2:3]
	s_add_u32 s4, s58, s47
	v_lshl_add_u64 v[36:37], v[36:37], 2, s[2:3]
	v_lshl_add_u64 v[38:39], v[38:39], 2, s[2:3]
	global_load_dword v48, v[34:35], off
	global_load_dword v49, v[36:37], off
	;; [unrolled: 1-line block ×3, first 2 shown]
	s_nop 0
	global_load_dword v42, v[42:43], off
	s_addc_u32 s5, s57, s5
	s_lshl_b64 s[4:5], s[4:5], 8
	v_lshl_add_u64 v[34:35], v[52:53], 0, s[4:5]
	v_lshl_add_u64 v[34:35], v[34:35], 0, v[50:51]
	global_load_ushort v43, v[34:35], off offset:256
	global_load_ushort v105, v[34:35], off
	global_load_ushort v106, v[34:35], off offset:768
	global_load_ushort v107, v[34:35], off offset:512
	ds_read_b64 v[36:37], v80 offset:3072
	ds_read_b64 v[38:39], v81 offset:3072
	global_load_ushort v108, v[34:35], off offset:800
	global_load_ushort v109, v[34:35], off offset:544
	;; [unrolled: 1-line block ×4, first 2 shown]
	s_load_dword s4, s[14:15], 0x0
	v_mfma_f32_16x16x16_bf16 a[4:7], v[44:45], v[40:41], a[4:7]
	s_and_b64 vcc, exec, s[0:1]
	s_waitcnt vmcnt(11) lgkmcnt(0)
	v_sub_f32_e32 v40, s4, v48
	v_mfma_f32_16x16x16_bf16 a[0:3], v[46:47], v[36:37], a[0:3]
	s_waitcnt vmcnt(10)
	v_sub_f32_e32 v45, s4, v49
	v_mul_f32_e32 v44, 0x3fb8aa3b, v40
	v_mul_f32_e32 v45, 0x3fb8aa3b, v45
	v_mfma_f32_16x16x16_bf16 a[4:7], v[46:47], v[38:39], a[4:7]
	s_waitcnt vmcnt(9)
	v_sub_f32_e32 v46, s4, v104
	s_waitcnt vmcnt(8)
	v_sub_f32_e32 v47, s4, v42
	v_mul_f32_e32 v46, 0x3fb8aa3b, v46
	v_mul_f32_e32 v47, 0x3fb8aa3b, v47
	v_exp_f32_e32 v44, v44
	v_exp_f32_e32 v45, v45
	;; [unrolled: 1-line block ×4, first 2 shown]
	v_accvgpr_read_b32 v39, a1
	v_accvgpr_read_b32 v35, a3
	;; [unrolled: 1-line block ×4, first 2 shown]
	s_waitcnt vmcnt(7)
	v_lshlrev_b32_e32 v41, 16, v43
	s_waitcnt vmcnt(6)
	v_lshlrev_b32_e32 v40, 16, v105
	;; [unrolled: 2-line block ×4, first 2 shown]
	v_pk_add_f32 v[38:39], v[40:41], v[38:39] neg_lo:[0,1] neg_hi:[0,1]
	v_pk_add_f32 v[34:35], v[42:43], v[34:35] neg_lo:[0,1] neg_hi:[0,1]
	v_pk_mul_f32 v[38:39], v[44:45], v[38:39]
	v_pk_mul_f32 v[34:35], v[46:47], v[34:35]
	v_accvgpr_read_b32 v41, a5
	v_perm_b32 v35, v35, v34, s45
	v_perm_b32 v34, v39, v38, s45
	s_waitcnt vmcnt(1)
	v_lshlrev_b32_e32 v39, 16, v110
	s_waitcnt vmcnt(0)
	v_lshlrev_b32_e32 v38, 16, v111
	v_accvgpr_read_b32 v40, a4
	v_accvgpr_read_b32 v37, a7
	;; [unrolled: 1-line block ×3, first 2 shown]
	v_pk_add_f32 v[38:39], v[38:39], v[40:41] neg_lo:[0,1] neg_hi:[0,1]
	v_lshlrev_b32_e32 v41, 16, v108
	v_lshlrev_b32_e32 v40, 16, v109
	v_pk_add_f32 v[36:37], v[40:41], v[36:37] neg_lo:[0,1] neg_hi:[0,1]
	v_pk_mul_f32 v[38:39], v[44:45], v[38:39]
	v_pk_mul_f32 v[36:37], v[46:47], v[36:37]
	v_mov_b32_e32 v104, 0
	v_perm_b32 v37, v37, v36, s45
	v_perm_b32 v36, v39, v38, s45
	ds_write2_b64 v67, v[34:35], v[36:37] offset1:16
	v_mov_b32_e32 v34, 0
	v_mov_b32_e32 v35, 0
	;; [unrolled: 1-line block ×16, first 2 shown]
	s_cbranch_vccnz .LBB502_14
; %bb.13:                               ;   in Loop: Header=BB502_6 Depth=1
	s_and_b32 s9, s9, 0xffff
	s_mov_b32 s11, s7
	buffer_load_dwordx4 v[46:49], v89, s[8:11], 0 offen
	buffer_load_dwordx4 v[38:41], v89, s[8:11], s54 offen
	;; [unrolled: 1-line block ×4, first 2 shown]
	v_mov_b32_e32 v103, v9
	v_mov_b32_e32 v104, v5
.LBB502_14:                             ;   in Loop: Header=BB502_6 Depth=1
	s_waitcnt lgkmcnt(0)
	s_barrier
	ds_read_b64 v[110:111], v92
	ds_read_b64 v[118:119], v85
	;; [unrolled: 1-line block ×5, first 2 shown]
	ds_read_b64 v[124:125], v86 offset:16384
	ds_read_b64 v[126:127], v84 offset:16384
	ds_read2_b64 v[106:109], v80 offset0:16 offset1:128
	s_waitcnt lgkmcnt(6)
	v_mfma_f32_16x16x16_bf16 a[0:3], v[110:111], v[118:119], 0
	ds_read_b64 v[128:129], v81 offset:3072
	ds_read_b64 v[130:131], v88 offset:16384
	s_add_i32 s5, s55, s61
	s_waitcnt lgkmcnt(2)
	v_mfma_f32_16x16x16_bf16 a[4:7], v[110:111], v[106:107], 0
	ds_read2st64_b64 v[110:113], v81 offset0:2 offset1:4
	s_mul_hi_i32 s9, s5, s33
	s_mul_i32 s5, s5, s33
	v_mfma_f32_16x16x16_bf16 a[0:3], v[114:115], v[108:109], a[0:3]
	s_add_u32 s8, s5, s49
	s_addc_u32 s9, s9, s36
	s_lshl_b64 s[8:9], s[8:9], 15
	s_waitcnt lgkmcnt(0)
	v_mfma_f32_16x16x16_bf16 a[4:7], v[114:115], v[110:111], a[4:7]
	ds_read2st64_b64 v[114:117], v80 offset0:4 offset1:6
	s_waitcnt lgkmcnt(0)
	v_mfma_f32_16x16x16_bf16 a[0:3], v[120:121], v[114:115], a[0:3]
	v_mfma_f32_16x16x16_bf16 a[8:11], v[120:121], v[112:113], a[4:7]
	;; [unrolled: 1-line block ×5, first 2 shown]
	ds_read2st64_b64 v[118:121], v83 offset1:8
	v_mfma_f32_16x16x16_bf16 a[12:15], v[126:127], v[106:107], 0
	ds_read_b64 v[126:127], v87 offset:16384
	v_mfma_f32_16x16x16_bf16 a[8:11], v[124:125], v[108:109], a[8:11]
	ds_read2st64_b64 v[106:109], v82 offset1:8
	s_waitcnt lgkmcnt(0)
	v_mov_b32_e32 v122, v106
	v_mfma_f32_16x16x16_bf16 a[12:15], v[124:125], v[110:111], a[12:15]
	v_lshl_add_u64 v[110:111], v[54:55], 0, s[8:9]
	v_add_co_u32_e32 v106, vcc, s13, v110
	v_mfma_f32_16x16x16_bf16 a[8:11], v[126:127], v[114:115], a[8:11]
	v_mov_b32_e32 v123, v107
	v_addc_co_u32_e32 v107, vcc, 0, v111, vcc
	v_mfma_f32_16x16x16_bf16 a[12:15], v[126:127], v[112:113], a[12:15]
	v_mov_b32_e32 v124, v118
	v_mov_b32_e32 v125, v119
	;; [unrolled: 1-line block ×3, first 2 shown]
	v_mfma_f32_16x16x16_bf16 a[8:11], v[130:131], v[116:117], a[8:11]
	v_mov_b32_e32 v119, v109
	s_and_b64 vcc, exec, s[0:1]
	global_store_dwordx4 v[110:111], v[122:125], off
	v_mfma_f32_16x16x16_bf16 a[12:15], v[130:131], v[128:129], a[12:15]
	global_store_dwordx4 v[106:107], v[118:121], off
	s_cbranch_vccnz .LBB502_16
; %bb.15:                               ;   in Loop: Header=BB502_6 Depth=1
	v_lshrrev_b32_e32 v105, 3, v103
	v_and_b32_e32 v105, 6, v105
	v_xor_b32_e32 v104, v105, v104
	v_lshlrev_b32_e32 v104, 2, v104
	v_and_b32_e32 v103, 8, v103
	v_xor_b32_e32 v106, 0x440, v104
	v_cmp_eq_u32_e32 vcc, 0, v103
	s_barrier
	s_nop 0
	v_cndmask_b32_e32 v103, v106, v104, vcc
	v_lshl_or_b32 v103, v105, 10, v103
	s_waitcnt vmcnt(3)
	v_perm_b32 v104, v46, v42, s59
	s_waitcnt vmcnt(2)
	v_perm_b32 v105, v38, v34, s59
	ds_write2st64_b32 v103, v104, v105 offset0:32 offset1:64
	v_xor_b32_e32 v104, 8, v103
	v_perm_b32 v42, v46, v42, s60
	v_perm_b32 v34, v38, v34, s60
	v_add_u32_e32 v38, 0x80, v104
	ds_write2st64_b32 v38, v42, v34 offset0:32 offset1:64
	v_xor_b32_e32 v34, 16, v103
	v_perm_b32 v38, v47, v43, s59
	v_perm_b32 v42, v39, v35, s59
	ds_write2st64_b32 v34, v38, v42 offset0:33 offset1:65
	v_xor_b32_e32 v34, 24, v103
	v_perm_b32 v38, v47, v43, s60
	v_perm_b32 v35, v39, v35, s60
	v_add_u32_e32 v34, 0x80, v34
	ds_write2st64_b32 v34, v38, v35 offset0:33 offset1:65
	v_xor_b32_e32 v34, 32, v103
	v_perm_b32 v35, v48, v44, s59
	;; [unrolled: 9-line block ×3, first 2 shown]
	v_perm_b32 v36, v41, v37, s59
	ds_write2st64_b32 v34, v35, v36 offset0:35 offset1:67
	v_xor_b32_e32 v34, 56, v103
	v_perm_b32 v35, v49, v45, s60
	v_perm_b32 v36, v41, v37, s60
	v_add_u32_e32 v34, 0x80, v34
	ds_write2st64_b32 v34, v35, v36 offset0:35 offset1:67
	ds_write_b64 v102, v[30:31] offset:24576
	v_xor_b32_e32 v30, 8, v102
	ds_write_b64 v30, v[32:33] offset:24576
	ds_write_b64 v102, v[26:27] offset:32768
	;; [unrolled: 1-line block ×4, first 2 shown]
	v_xor_b32_e32 v22, 8, v101
	ds_write_b64 v22, v[24:25] offset:24576
	ds_write_b64 v101, v[18:19] offset:32768
	;; [unrolled: 1-line block ×3, first 2 shown]
.LBB502_16:                             ;   in Loop: Header=BB502_6 Depth=1
	v_mul_f32_e32 v18, s4, v96
	s_waitcnt vmcnt(2)
	v_exp_f32_e32 v34, v18
	v_accvgpr_read_b32 v33, a7
	v_accvgpr_read_b32 v25, a3
	;; [unrolled: 1-line block ×16, first 2 shown]
	s_add_i32 s47, s47, 64
	v_fma_f32 v2, v2, v34, v30
	v_fma_f32 v3, v3, v34, v31
	v_fma_f32 v4, v4, v34, v32
	v_fmac_f32_e32 v33, v98, v34
	v_fma_f32 v10, v10, v34, v22
	v_fma_f32 v11, v11, v34, v23
	v_fma_f32 v12, v12, v34, v24
	v_fmac_f32_e32 v25, v100, v34
	;; [unrolled: 4-line block ×3, first 2 shown]
	v_fma_f32 v14, v14, v34, v18
	v_fma_f32 v15, v15, v34, v19
	;; [unrolled: 1-line block ×3, first 2 shown]
	s_cmp_eq_u32 s53, s62
	v_fmac_f32_e32 v21, v99, v34
	s_cbranch_scc1 .LBB502_18
; %bb.17:                               ;   in Loop: Header=BB502_6 Depth=1
	s_mov_b32 s61, s62
	v_mov_b32_e32 v98, v33
	v_mov_b32_e32 v97, v29
	;; [unrolled: 1-line block ×4, first 2 shown]
	s_branch .LBB502_6
.LBB502_18:
	v_mov_b32_e32 v5, v33
	v_mov_b32_e32 v9, v29
	;; [unrolled: 1-line block ×4, first 2 shown]
.LBB502_19:
	s_lshl_b32 s2, s53, 6
	s_sub_i32 s54, s46, s2
	s_cmp_gt_i32 s54, 0
	v_or_b32_e32 v34, s44, v60
	s_cbranch_scc1 .LBB502_21
; %bb.20:
	s_ashr_i32 s9, s49, 31
	v_or_b32_e32 v18, s44, v60
	s_cbranch_execz .LBB502_22
	s_branch .LBB502_86
.LBB502_21:
                                        ; implicit-def: $vgpr18
                                        ; implicit-def: $sgpr8_sgpr9
.LBB502_22:
	s_add_i32 s8, s2, s40
	s_ashr_i32 s2, s8, 31
	s_cmpk_lg_i32 s31, 0x80
	s_cselect_b64 s[36:37], -1, 0
	s_and_b64 vcc, exec, s[36:37]
	s_cbranch_vccz .LBB502_24
; %bb.23:
	s_mul_i32 s1, s8, s30
	s_ashr_i32 s3, s56, 31
	s_mul_hi_i32 s0, s8, s30
	s_add_u32 s46, s1, s56
	s_addc_u32 s47, s0, s3
	s_cbranch_execz .LBB502_25
	s_branch .LBB502_26
.LBB502_24:
                                        ; implicit-def: $sgpr46_sgpr47
.LBB502_25:
	s_mul_i32 s1, s56, s28
	s_mul_hi_i32 s0, s56, s28
	s_add_u32 s46, s1, s8
	s_addc_u32 s47, s0, s2
.LBB502_26:
	s_add_i32 s3, s53, s55
	s_ashr_i32 s9, s49, 31
	s_add_u32 s0, s58, s8
	v_lshlrev_b32_e32 v22, 5, v1
	v_lshlrev_b32_e32 v40, 2, v60
	s_addc_u32 s1, s57, s2
	s_mov_b32 s2, 0x7060302
	v_or_b32_e32 v25, v22, v40
	v_xor_b32_e32 v23, v1, v40
	v_perm_b32 v19, v5, v4, s2
	v_perm_b32 v18, v3, v2, s2
	;; [unrolled: 1-line block ×4, first 2 shown]
	v_lshlrev_b32_e32 v25, 1, v25
	s_lshl_b64 s[10:11], s[0:1], 8
	v_xor_b32_e32 v24, v63, v40
	ds_write2st64_b64 v25, v[18:19], v[20:21] offset0:80 offset1:88
	v_lshlrev_b32_e32 v23, 1, v23
	v_lshlrev_b32_e32 v25, 8, v60
	s_add_u32 s0, s18, s10
	v_or_b32_e32 v26, v23, v25
	v_lshlrev_b32_e32 v24, 1, v24
	s_addc_u32 s1, s19, s11
	ds_write_b64 v26, v[18:19]
	v_or_b32_e32 v18, v24, v25
	v_or_b32_e32 v25, 16, v60
	s_mul_hi_i32 s4, s3, s29
	s_mul_i32 s3, s3, s29
	ds_write_b64 v18, v[20:21]
	v_perm_b32 v19, v13, v12, s2
	v_perm_b32 v18, v11, v10, s2
	;; [unrolled: 1-line block ×4, first 2 shown]
	v_lshlrev_b32_e32 v37, 2, v25
	s_add_u32 s2, s3, s49
	v_or_b32_e32 v22, v22, v37
	s_addc_u32 s3, s4, s9
	v_lshlrev_b32_e32 v22, 1, v22
	s_ashr_i32 s45, s44, 31
	s_lshl_b64 s[2:3], s[2:3], 15
	ds_write2st64_b64 v22, v[18:19], v[20:21] offset0:80 offset1:88
	v_lshlrev_b32_e32 v22, 8, v25
	s_add_u32 s4, s42, s2
	v_or_b32_e32 v23, v23, v22
	s_addc_u32 s5, s43, s3
	s_lshl_b64 s[2:3], s[44:45], 8
	ds_write_b64 v23, v[18:19]
	v_or_b32_e32 v18, v24, v22
	s_add_u32 s2, s4, s2
	ds_write_b64 v18, v[20:21]
	v_lshrrev_b32_e32 v18, 4, v0
	s_addc_u32 s3, s5, s3
	v_lshlrev_b32_e32 v19, 1, v60
	v_lshlrev_b32_e32 v26, 4, v60
	v_mov_b32_e32 v27, 0
	v_or_b32_e32 v20, 1, v19
	v_xor_b32_e32 v19, v18, v19
	v_lshl_add_u64 v[28:29], s[2:3], 0, v[26:27]
	v_lshlrev_b32_e32 v26, 8, v18
	v_xor_b32_e32 v22, v20, v18
	v_lshl_or_b32 v18, v19, 3, v26
	s_waitcnt lgkmcnt(0)
	s_barrier
	ds_read2st64_b64 v[18:21], v18 offset1:8
	v_lshl_or_b32 v22, v22, 3, v26
	ds_read2st64_b64 v[22:25], v22 offset1:8
	v_lshl_add_u64 v[30:31], v[28:29], 0, v[26:27]
	s_movk_i32 s2, 0x1000
	s_waitcnt lgkmcnt(1)
	v_mov_b32_e32 v26, v18
	v_add_co_u32_e32 v18, vcc, s2, v30
	s_cmp_lg_u32 s54, 64
	v_mov_b32_e32 v27, v19
	v_addc_co_u32_e32 v19, vcc, 0, v31, vcc
	s_cselect_b64 s[14:15], -1, 0
	v_lshl_or_b32 v35, v56, 3, v62
	s_waitcnt lgkmcnt(0)
	v_mov_b32_e32 v28, v22
	v_mov_b32_e32 v29, v23
	;; [unrolled: 1-line block ×4, first 2 shown]
	s_mov_b32 s4, 0
	v_or_b32_e32 v38, 32, v35
	v_and_b32_e32 v36, 56, v61
	s_and_b64 vcc, exec, s[14:15]
	global_store_dwordx4 v[30:31], v[26:29], off
	global_store_dwordx4 v[18:19], v[22:25], off
	s_cbranch_vccz .LBB502_32
; %bb.27:
	s_mov_b32 s6, s4
	s_mov_b32 s7, s4
	;; [unrolled: 1-line block ×3, first 2 shown]
	v_mov_b64_e32 v[24:25], s[6:7]
	v_mov_b64_e32 v[22:23], s[4:5]
	;; [unrolled: 1-line block ×3, first 2 shown]
	v_cmp_gt_i32_e32 vcc, s54, v35
	v_mov_b64_e32 v[20:21], v[24:25]
	s_and_saveexec_b64 s[2:3], vcc
	s_cbranch_execz .LBB502_29
; %bb.28:
	v_lshlrev_b32_e32 v18, 8, v35
	v_mov_b32_e32 v19, 0
	v_lshl_add_u64 v[20:21], s[0:1], 0, v[18:19]
	v_lshlrev_b32_e32 v18, 1, v36
	v_lshl_add_u64 v[26:27], v[20:21], 0, v[18:19]
	global_load_dwordx4 v[22:25], v[26:27], off
	global_load_dwordx4 v[18:21], v[26:27], off offset:128
.LBB502_29:
	s_or_b64 exec, exec, s[2:3]
	s_mov_b32 s6, s4
	s_mov_b32 s7, s4
	;; [unrolled: 1-line block ×3, first 2 shown]
	v_mov_b64_e32 v[32:33], s[6:7]
	v_mov_b64_e32 v[30:31], s[4:5]
	;; [unrolled: 1-line block ×3, first 2 shown]
	v_cmp_gt_i32_e32 vcc, s54, v38
	v_lshlrev_b32_e32 v39, 7, v38
	v_mov_b64_e32 v[28:29], v[32:33]
	s_and_saveexec_b64 s[2:3], vcc
	s_cbranch_execz .LBB502_31
; %bb.30:
	v_lshlrev_b32_e32 v26, 1, v39
	v_mov_b32_e32 v27, 0
	v_lshl_add_u64 v[28:29], s[0:1], 0, v[26:27]
	v_lshlrev_b32_e32 v26, 1, v36
	v_lshl_add_u64 v[42:43], v[28:29], 0, v[26:27]
	global_load_dwordx4 v[30:33], v[42:43], off
	global_load_dwordx4 v[26:29], v[42:43], off offset:128
.LBB502_31:
	s_or_b64 exec, exec, s[2:3]
	v_lshrrev_b32_e32 v41, 3, v36
	v_lshlrev_b32_e32 v42, 3, v35
	v_or_b32_e32 v41, v42, v41
	v_lshlrev_b32_e32 v41, 4, v41
	v_and_b32_e32 v42, 0x78, v42
	v_xor_b32_e32 v41, v41, v42
	s_branch .LBB502_34
.LBB502_32:
                                        ; implicit-def: $vgpr41
                                        ; implicit-def: $vgpr39
                                        ; implicit-def: $vgpr22_vgpr23_vgpr24_vgpr25
                                        ; implicit-def: $vgpr18_vgpr19_vgpr20_vgpr21
                                        ; implicit-def: $vgpr30_vgpr31_vgpr32_vgpr33
                                        ; implicit-def: $vgpr26_vgpr27_vgpr28_vgpr29
	s_cbranch_execz .LBB502_34
; %bb.33:
	s_waitcnt vmcnt(0)
	v_lshlrev_b32_e32 v18, 1, v36
	v_lshl_or_b32 v39, v35, 8, v18
	s_and_b32 s1, s1, 0xffff
	s_mov_b32 s3, 0x20000
	s_movk_i32 s2, 0x4000
	v_lshl_or_b32 v41, v38, 8, v18
	s_movk_i32 s4, 0x80
	buffer_load_dwordx4 v[22:25], v39, s[0:3], 0 offen
	buffer_load_dwordx4 v[18:21], v39, s[0:3], s4 offen
	;; [unrolled: 1-line block ×4, first 2 shown]
	v_lshrrev_b32_e32 v39, 3, v36
	v_lshlrev_b32_e32 v41, 3, v35
	v_or_b32_e32 v39, v41, v39
	v_lshlrev_b32_e32 v39, 4, v39
	v_and_b32_e32 v41, 0x78, v41
	v_xor_b32_e32 v41, v39, v41
	v_lshlrev_b32_e32 v39, 7, v38
.LBB502_34:
	s_lshl_b64 s[0:1], s[46:47], 8
	s_add_u32 s4, s16, s0
	s_movk_i32 s0, 0x1000
	v_and_or_b32 v38, v39, s0, v41
	s_waitcnt vmcnt(1)
	ds_write_b64 v41, v[22:23] offset:24576
	v_xor_b32_e32 v22, 8, v41
	ds_write_b64 v22, v[24:25] offset:24576
	s_waitcnt vmcnt(0)
	ds_write_b64 v41, v[18:19] offset:32768
	ds_write_b64 v22, v[20:21] offset:32768
	;; [unrolled: 1-line block ×3, first 2 shown]
	v_xor_b32_e32 v18, 8, v38
	ds_write_b64 v18, v[32:33] offset:24576
	ds_write_b64 v38, v[26:27] offset:32768
	;; [unrolled: 1-line block ×3, first 2 shown]
	v_or_b32_e32 v18, v57, v60
	v_lshlrev_b32_e32 v18, 3, v18
	v_lshrrev_b32_e32 v19, 5, v58
	s_movk_i32 s7, 0xf8
	v_and_or_b32 v19, v18, s7, v19
	v_lshlrev_b32_e32 v23, 4, v19
	v_lshlrev_b32_e32 v41, 11, v56
	v_and_b32_e32 v24, 0x78, v18
	v_or_b32_e32 v26, 32, v23
	v_and_b32_e32 v22, 0x1000, v41
	v_lshrrev_b32_e32 v19, 1, v58
	v_xor_b32_e32 v26, v26, v24
	v_xor_b32_e32 v18, v23, v24
	v_and_b32_e32 v25, 8, v19
	v_or_b32_e32 v26, v26, v22
	v_or_b32_e32 v18, v18, v22
	v_xor_b32_e32 v45, v26, v25
	v_or_b32_e32 v26, 64, v23
	v_xor_b32_e32 v44, v18, v25
	v_xor_b32_e32 v26, v26, v24
	s_waitcnt lgkmcnt(0)
	s_barrier
	v_or_b32_e32 v28, v26, v22
	ds_read_b64 v[26:27], v44 offset:24576
	v_lshl_or_b32 v38, v59, 7, v40
	v_lshlrev_b32_e32 v42, 1, v38
	v_add_u32_e32 v18, 0xa000, v42
	ds_read2_b64 v[18:21], v18 offset1:16
	v_or_b32_e32 v23, 0x60, v23
	v_xor_b32_e32 v23, v23, v24
	s_waitcnt lgkmcnt(0)
	v_mfma_f32_16x16x16_bf16 a[0:3], v[26:27], v[18:19], 0
	v_or_b32_e32 v18, 64, v38
	v_or_b32_e32 v22, v23, v22
	v_lshlrev_b32_e32 v43, 1, v18
	v_xor_b32_e32 v46, v28, v25
	v_xor_b32_e32 v47, v22, v25
	ds_read_b64 v[28:29], v45 offset:24576
	ds_read_b64 v[30:31], v46 offset:24576
	ds_read_b64 v[32:33], v47 offset:24576
	v_mfma_f32_16x16x16_bf16 a[4:7], v[26:27], v[20:21], 0
	ds_read2st64_b64 v[18:21], v43 offset0:82 offset1:84
	ds_read2st64_b64 v[22:25], v42 offset0:82 offset1:84
	s_addc_u32 s5, s17, s1
	s_add_i32 s2, s41, -1
	s_add_i32 s0, s51, s50
	s_add_i32 s13, s0, s52
	s_mul_i32 s0, s49, s39
	s_mul_hi_u32 s1, s49, s38
	s_ashr_i32 s3, s2, 31
	s_mul_i32 s6, s2, s27
	s_mul_hi_u32 s7, s2, s26
	s_add_i32 s0, s1, s0
	s_mul_i32 s1, s9, s38
	s_add_i32 s6, s7, s6
	s_mul_i32 s3, s3, s26
	s_waitcnt lgkmcnt(1)
	v_mfma_f32_16x16x16_bf16 a[4:7], v[28:29], v[18:19], a[4:7]
	s_add_i32 s1, s0, s1
	s_add_i32 s3, s6, s3
	s_lshl_b64 s[6:7], s[12:13], 2
	s_waitcnt lgkmcnt(0)
	v_mfma_f32_16x16x16_bf16 a[0:3], v[28:29], v[22:23], a[0:3]
	s_mul_i32 s0, s49, s38
	s_add_u32 s6, s22, s6
	s_addc_u32 s7, s23, s7
	s_lshl_b64 s[0:1], s[0:1], 2
	s_mul_i32 s2, s2, s26
	s_add_u32 s12, s6, s0
	ds_read_b64 v[18:19], v42 offset:44032
	v_mfma_f32_16x16x16_bf16 a[4:7], v[30:31], v[20:21], a[4:7]
	ds_read_b64 v[20:21], v43 offset:44032
	s_addc_u32 s13, s7, s1
	s_lshl_b64 s[0:1], s[2:3], 2
	v_mfma_f32_16x16x16_bf16 a[0:3], v[30:31], v[24:25], a[0:3]
	s_add_u32 s0, s12, s0
	s_addc_u32 s1, s13, s1
	s_load_dword s16, s[0:1], 0x0
	s_waitcnt lgkmcnt(0)
	v_mfma_f32_16x16x16_bf16 a[0:3], v[32:33], v[18:19], a[0:3]
	s_and_b64 vcc, exec, s[36:37]
	v_mfma_f32_16x16x16_bf16 a[4:7], v[32:33], v[20:21], a[4:7]
	s_cbranch_vccz .LBB502_45
; %bb.35:
	v_lshlrev_b32_e32 v38, 1, v35
	s_and_b64 vcc, exec, s[14:15]
	s_cbranch_vccz .LBB502_46
; %bb.36:
	v_cmp_gt_i32_e32 vcc, s54, v38
	v_mov_b32_e32 v22, 0
	v_mov_b32_e32 v18, 0
	;; [unrolled: 1-line block ×5, first 2 shown]
	s_and_saveexec_b64 s[0:1], vcc
	s_cbranch_execz .LBB502_38
; %bb.37:
	v_mad_i64_i32 v[18:19], s[2:3], s31, v38, 0
	v_lshl_add_u64 v[18:19], v[18:19], 1, s[4:5]
	v_lshlrev_b32_e32 v20, 1, v36
	v_mov_b32_e32 v21, 0
	v_lshl_add_u64 v[18:19], v[18:19], 0, v[20:21]
	global_load_dwordx4 v[18:21], v[18:19], off
.LBB502_38:
	s_or_b64 exec, exec, s[0:1]
	v_or_b32_e32 v39, 1, v38
	v_cmp_gt_i32_e64 s[0:1], s54, v39
	v_mov_b32_e32 v23, 0
	v_mov_b32_e32 v24, 0
	;; [unrolled: 1-line block ×3, first 2 shown]
	s_and_saveexec_b64 s[2:3], s[0:1]
	s_cbranch_execz .LBB502_40
; %bb.39:
	v_mad_i64_i32 v[22:23], s[6:7], s31, v39, 0
	v_lshl_add_u64 v[22:23], v[22:23], 1, s[4:5]
	v_lshlrev_b32_e32 v24, 1, v36
	v_mov_b32_e32 v25, 0
	v_lshl_add_u64 v[22:23], v[22:23], 0, v[24:25]
	global_load_dwordx4 v[22:25], v[22:23], off
.LBB502_40:
	s_or_b64 exec, exec, s[2:3]
	v_mov_b32_e32 v33, 0
	v_mov_b32_e32 v26, 0
	;; [unrolled: 1-line block ×5, first 2 shown]
	s_and_saveexec_b64 s[2:3], vcc
	s_cbranch_execz .LBB502_42
; %bb.41:
	v_mad_i64_i32 v[26:27], s[6:7], s31, v38, 0
	v_lshl_add_u64 v[26:27], v[26:27], 1, s[4:5]
	v_lshlrev_b32_e32 v28, 1, v36
	v_mov_b32_e32 v29, 0
	v_lshl_add_u64 v[26:27], v[26:27], 0, v[28:29]
	global_load_dwordx4 v[26:29], v[26:27], off offset:128
.LBB502_42:
	s_or_b64 exec, exec, s[2:3]
	v_mov_b32_e32 v32, 0
	v_mov_b32_e32 v31, 0
	;; [unrolled: 1-line block ×3, first 2 shown]
	s_and_saveexec_b64 s[2:3], s[0:1]
	s_cbranch_execz .LBB502_44
; %bb.43:
	v_mad_i64_i32 v[30:31], s[0:1], s31, v39, 0
	v_lshl_add_u64 v[30:31], v[30:31], 1, s[4:5]
	v_lshlrev_b32_e32 v32, 1, v36
	v_mov_b32_e32 v33, 0
	v_lshl_add_u64 v[30:31], v[30:31], 0, v[32:33]
	global_load_dwordx4 v[30:33], v[30:31], off offset:128
.LBB502_44:
	s_or_b64 exec, exec, s[2:3]
	s_branch .LBB502_48
.LBB502_45:
                                        ; implicit-def: $vgpr21
                                        ; implicit-def: $vgpr25
                                        ; implicit-def: $vgpr29
                                        ; implicit-def: $vgpr33
	v_lshrrev_b32_e32 v48, 2, v58
	s_branch .LBB502_49
.LBB502_46:
                                        ; implicit-def: $vgpr21
                                        ; implicit-def: $vgpr25
                                        ; implicit-def: $vgpr29
                                        ; implicit-def: $vgpr33
	s_cbranch_execz .LBB502_48
; %bb.47:
	s_waitcnt vmcnt(0)
	v_mad_u64_u32 v[18:19], s[0:1], v38, s31, v[36:37]
	v_lshlrev_b32_e32 v38, 1, v18
	s_lshl_b32 s2, s31, 7
	s_and_b32 s1, s5, 0xffff
	s_mov_b32 s3, 0x20000
	s_mov_b32 s0, s4
	v_add_lshl_u32 v39, v18, s31, 1
	s_movk_i32 s6, 0x80
	buffer_load_dwordx4 v[18:21], v38, s[0:3], 0 offen
	buffer_load_dwordx4 v[26:29], v38, s[0:3], s6 offen
	;; [unrolled: 1-line block ×4, first 2 shown]
.LBB502_48:
	v_lshrrev_b32_e32 v48, 2, v58
	s_cbranch_execnz .LBB502_61
.LBB502_49:
	s_and_b64 vcc, exec, s[14:15]
	s_cbranch_vccz .LBB502_59
; %bb.50:
	s_waitcnt vmcnt(0)
	v_lshlrev_b32_e32 v23, 1, v35
	v_cmp_gt_i32_e32 vcc, s54, v23
	v_mov_b32_e32 v22, 0
	v_lshlrev_b32_e32 v30, 9, v35
	v_mov_b32_e32 v18, 0
	v_mov_b32_e32 v19, 0
	v_mov_b32_e32 v20, 0
	v_mov_b32_e32 v21, 0
	s_and_saveexec_b64 s[0:1], vcc
	s_cbranch_execz .LBB502_52
; %bb.51:
	v_mov_b32_e32 v31, 0
	v_lshl_add_u64 v[18:19], s[4:5], 0, v[30:31]
	v_lshlrev_b32_e32 v20, 1, v36
	v_mov_b32_e32 v21, v31
	v_lshl_add_u64 v[18:19], v[18:19], 0, v[20:21]
	global_load_dwordx4 v[18:21], v[18:19], off
.LBB502_52:
	s_or_b64 exec, exec, s[0:1]
	v_or_b32_e32 v23, 1, v23
	v_cmp_gt_i32_e64 s[0:1], s54, v23
	v_lshlrev_b32_e32 v38, 8, v23
	v_mov_b32_e32 v23, 0
	v_mov_b32_e32 v24, 0
	;; [unrolled: 1-line block ×3, first 2 shown]
	s_and_saveexec_b64 s[2:3], s[0:1]
	s_cbranch_execz .LBB502_54
; %bb.53:
	v_mov_b32_e32 v39, 0
	v_lshl_add_u64 v[22:23], s[4:5], 0, v[38:39]
	v_lshlrev_b32_e32 v24, 1, v36
	v_mov_b32_e32 v25, v39
	v_lshl_add_u64 v[22:23], v[22:23], 0, v[24:25]
	global_load_dwordx4 v[22:25], v[22:23], off
.LBB502_54:
	s_or_b64 exec, exec, s[2:3]
	v_mov_b32_e32 v33, 0
	v_mov_b32_e32 v26, 0
	;; [unrolled: 1-line block ×5, first 2 shown]
	s_and_saveexec_b64 s[2:3], vcc
	s_cbranch_execz .LBB502_56
; %bb.55:
	v_mov_b32_e32 v31, 0
	v_lshl_add_u64 v[26:27], s[4:5], 0, v[30:31]
	v_lshlrev_b32_e32 v30, 1, v36
	v_lshl_add_u64 v[26:27], v[26:27], 0, v[30:31]
	global_load_dwordx4 v[26:29], v[26:27], off offset:128
.LBB502_56:
	s_or_b64 exec, exec, s[2:3]
	v_mov_b32_e32 v32, 0
	v_mov_b32_e32 v31, 0
	;; [unrolled: 1-line block ×3, first 2 shown]
	s_and_saveexec_b64 s[2:3], s[0:1]
	s_cbranch_execz .LBB502_58
; %bb.57:
	v_mov_b32_e32 v39, 0
	v_lshl_add_u64 v[30:31], s[4:5], 0, v[38:39]
	v_lshlrev_b32_e32 v38, 1, v36
	v_lshl_add_u64 v[30:31], v[30:31], 0, v[38:39]
	global_load_dwordx4 v[30:33], v[30:31], off offset:128
.LBB502_58:
	s_or_b64 exec, exec, s[2:3]
	s_branch .LBB502_61
.LBB502_59:
                                        ; implicit-def: $vgpr21
                                        ; implicit-def: $vgpr25
                                        ; implicit-def: $vgpr29
                                        ; implicit-def: $vgpr33
	s_cbranch_execz .LBB502_61
; %bb.60:
	s_waitcnt vmcnt(0)
	v_lshlrev_b32_e32 v18, 1, v36
	v_lshl_or_b32 v36, v35, 9, v18
	s_and_b32 s5, s5, 0xffff
	s_mov_b32 s7, 0x20000
	s_movk_i32 s6, 0x4000
	s_movk_i32 s0, 0x80
	buffer_load_dwordx4 v[18:21], v36, s[4:7], 0 offen
	buffer_load_dwordx4 v[22:25], v36, s[4:7], 0 offen offset:256
	buffer_load_dwordx4 v[26:29], v36, s[4:7], s0 offen
	buffer_load_dwordx4 v[30:33], v36, s[4:7], s0 offen offset:256
.LBB502_61:
	ds_read_b64 v[38:39], v44 offset:32768
	v_add_u32_e32 v36, 0xb000, v42
	ds_read2_b64 v[50:53], v36 offset1:16
	ds_read_b64 v[54:55], v45 offset:32768
	ds_read_b64 v[58:59], v46 offset:32768
	;; [unrolled: 1-line block ×3, first 2 shown]
	v_and_b32_e32 v36, 6, v0
	v_xor_b32_e32 v35, v35, v36
	v_lshlrev_b32_e32 v35, 2, v35
	v_and_b32_e32 v49, 1, v0
	v_cmp_eq_u32_e32 vcc, 0, v49
	s_mov_b32 s0, 0x1000504
	s_waitcnt lgkmcnt(3)
	v_mfma_f32_16x16x16_bf16 a[0:3], v[38:39], v[50:51], a[0:3]
	s_mov_b32 s1, 0x3020706
	v_mfma_f32_16x16x16_bf16 a[4:7], v[38:39], v[52:53], a[4:7]
	ds_read2st64_b64 v[44:47], v42 offset0:90 offset1:92
	ds_read2st64_b64 v[50:53], v43 offset0:90 offset1:92
	s_waitcnt lgkmcnt(1)
	v_mfma_f32_16x16x16_bf16 a[0:3], v[54:55], v[44:45], a[0:3]
	ds_read_b64 v[38:39], v42 offset:48128
	ds_read_b64 v[44:45], v43 offset:48128
	s_waitcnt lgkmcnt(2)
	v_mfma_f32_16x16x16_bf16 a[4:7], v[54:55], v[50:51], a[4:7]
	v_mfma_f32_16x16x16_bf16 a[0:3], v[58:59], v[46:47], a[0:3]
	v_xor_b32_e32 v46, 0x440, v35
	v_cndmask_b32_e32 v35, v46, v35, vcc
	v_lshl_or_b32 v35, v36, 10, v35
	v_mfma_f32_16x16x16_bf16 a[8:11], v[58:59], v[52:53], a[4:7]
	s_waitcnt vmcnt(0)
	v_perm_b32 v36, v18, v22, s0
	v_perm_b32 v18, v18, v22, s1
	;; [unrolled: 1-line block ×3, first 2 shown]
	s_waitcnt lgkmcnt(1)
	v_mfma_f32_16x16x16_bf16 a[4:7], v[60:61], v[38:39], a[0:3]
	v_perm_b32 v38, v26, v30, s0
	ds_write2st64_b32 v35, v36, v38 offset0:32 offset1:64
	v_xor_b32_e32 v36, 8, v35
	v_add_u32_e32 v26, 0x80, v36
	ds_write2st64_b32 v26, v18, v22 offset0:32 offset1:64
	v_xor_b32_e32 v18, 16, v35
	v_perm_b32 v22, v19, v23, s0
	v_perm_b32 v26, v27, v31, s0
	ds_write2st64_b32 v18, v22, v26 offset0:33 offset1:65
	v_xor_b32_e32 v18, 24, v35
	v_perm_b32 v19, v19, v23, s1
	v_perm_b32 v22, v27, v31, s1
	v_add_u32_e32 v18, 0x80, v18
	ds_write2st64_b32 v18, v19, v22 offset0:33 offset1:65
	v_xor_b32_e32 v18, 32, v35
	v_perm_b32 v19, v20, v24, s0
	v_perm_b32 v22, v28, v32, s0
	ds_write2st64_b32 v18, v19, v22 offset0:34 offset1:66
	v_xor_b32_e32 v18, 40, v35
	s_waitcnt lgkmcnt(5)
	v_mfma_f32_16x16x16_bf16 a[0:3], v[60:61], v[44:45], a[8:11]
	v_perm_b32 v19, v20, v24, s1
	v_perm_b32 v20, v28, v32, s1
	v_add_u32_e32 v18, 0x80, v18
	ds_write2st64_b32 v18, v19, v20 offset0:34 offset1:66
	v_xor_b32_e32 v18, 48, v35
	v_perm_b32 v19, v21, v25, s0
	v_perm_b32 v20, v29, v33, s0
	ds_write2st64_b32 v18, v19, v20 offset0:35 offset1:67
	v_xor_b32_e32 v18, 56, v35
	v_and_or_b32 v38, v48, 12, v57
	v_perm_b32 v19, v21, v25, s1
	v_perm_b32 v20, v29, v33, s1
	v_add_u32_e32 v18, 0x80, v18
	v_cmp_gt_i32_e32 vcc, s54, v38
	v_mov_b32_e32 v32, 0
	v_mov_b32_e32 v36, 0
	ds_write2st64_b32 v18, v19, v20 offset0:35 offset1:67
	s_and_saveexec_b64 s[0:1], vcc
	s_cbranch_execz .LBB502_63
; %bb.62:
	v_add_u32_e32 v18, s8, v38
	v_ashrrev_i32_e32 v19, 31, v18
	v_mul_lo_u32 v20, v19, s26
	v_mul_lo_u32 v21, v18, s27
	v_mad_u64_u32 v[18:19], s[2:3], v18, s26, 0
	v_add3_u32 v19, v19, v21, v20
	v_lshl_add_u64 v[18:19], v[18:19], 2, s[12:13]
	global_load_dword v18, v[18:19], off
	s_waitcnt vmcnt(0)
	v_sub_f32_e32 v18, s16, v18
	v_mul_f32_e32 v18, 0x3fb8aa3b, v18
	v_exp_f32_e32 v36, v18
.LBB502_63:
	s_or_b64 exec, exec, s[0:1]
	v_or_b32_e32 v26, 1, v38
	v_cmp_gt_i32_e64 s[0:1], s54, v26
	s_and_saveexec_b64 s[2:3], s[0:1]
	s_cbranch_execz .LBB502_65
; %bb.64:
	v_add_u32_e32 v18, s8, v26
	v_ashrrev_i32_e32 v19, 31, v18
	v_mul_lo_u32 v20, v19, s26
	v_mul_lo_u32 v21, v18, s27
	v_mad_u64_u32 v[18:19], s[4:5], v18, s26, 0
	v_add3_u32 v19, v19, v21, v20
	v_lshl_add_u64 v[18:19], v[18:19], 2, s[12:13]
	global_load_dword v18, v[18:19], off
	s_waitcnt vmcnt(0)
	v_sub_f32_e32 v18, s16, v18
	v_mul_f32_e32 v18, 0x3fb8aa3b, v18
	v_exp_f32_e32 v32, v18
.LBB502_65:
	s_or_b64 exec, exec, s[2:3]
	v_or_b32_e32 v27, 2, v38
	v_cmp_gt_i32_e64 s[2:3], s54, v27
	v_mov_b32_e32 v33, 0
	v_mov_b32_e32 v39, 0
	s_and_saveexec_b64 s[4:5], s[2:3]
	s_cbranch_execz .LBB502_67
; %bb.66:
	v_add_u32_e32 v18, s8, v27
	v_ashrrev_i32_e32 v19, 31, v18
	v_mul_lo_u32 v20, v19, s26
	v_mul_lo_u32 v21, v18, s27
	v_mad_u64_u32 v[18:19], s[6:7], v18, s26, 0
	v_add3_u32 v19, v19, v21, v20
	v_lshl_add_u64 v[18:19], v[18:19], 2, s[12:13]
	global_load_dword v18, v[18:19], off
	s_waitcnt vmcnt(0)
	v_sub_f32_e32 v18, s16, v18
	v_mul_f32_e32 v18, 0x3fb8aa3b, v18
	v_exp_f32_e32 v39, v18
.LBB502_67:
	s_or_b64 exec, exec, s[4:5]
	v_or_b32_e32 v44, 3, v38
	v_cmp_gt_i32_e64 s[4:5], s54, v44
	s_and_saveexec_b64 s[6:7], s[4:5]
	s_cbranch_execz .LBB502_69
; %bb.68:
	v_add_u32_e32 v18, s8, v44
	v_ashrrev_i32_e32 v19, 31, v18
	v_mul_lo_u32 v20, v19, s26
	v_mul_lo_u32 v21, v18, s27
	v_mad_u64_u32 v[18:19], s[14:15], v18, s26, 0
	v_add3_u32 v19, v19, v21, v20
	v_lshl_add_u64 v[18:19], v[18:19], 2, s[12:13]
	global_load_dword v18, v[18:19], off
	s_waitcnt vmcnt(0)
	v_sub_f32_e32 v18, s16, v18
	v_mul_f32_e32 v18, 0x3fb8aa3b, v18
	v_exp_f32_e32 v33, v18
.LBB502_69:
	s_or_b64 exec, exec, s[6:7]
	s_add_u32 s6, s20, s10
	v_accvgpr_read_b32 v21, a7
	s_addc_u32 s7, s21, s11
	v_ashrrev_i32_e32 v35, 31, v34
	v_accvgpr_read_b32 v20, a6
	v_accvgpr_read_b32 v19, a5
	;; [unrolled: 1-line block ×3, first 2 shown]
	v_lshl_add_u64 v[22:23], v[34:35], 1, s[6:7]
	v_mov_b32_e32 v29, 0
	v_lshlrev_b32_e32 v24, 8, v38
	v_mov_b32_e32 v25, 0
	s_and_saveexec_b64 s[6:7], vcc
	s_cbranch_execz .LBB502_71
; %bb.70:
	v_mov_b32_e32 v25, 0
	v_lshl_add_u64 v[30:31], v[22:23], 0, v[24:25]
	global_load_ushort v25, v[30:31], off
	s_waitcnt vmcnt(0)
	v_lshlrev_b32_e32 v25, 16, v25
	v_sub_f32_e32 v18, v25, v18
	v_mul_f32_e32 v18, v36, v18
	v_lshrrev_b32_e32 v25, 16, v18
.LBB502_71:
	s_or_b64 exec, exec, s[6:7]
	v_lshlrev_b32_e32 v28, 8, v26
	s_and_saveexec_b64 s[6:7], s[0:1]
	s_cbranch_execz .LBB502_73
; %bb.72:
	v_mov_b32_e32 v29, 0
	v_lshl_add_u64 v[30:31], v[22:23], 0, v[28:29]
	global_load_ushort v18, v[30:31], off
	s_waitcnt vmcnt(0)
	v_lshlrev_b32_e32 v18, 16, v18
	v_sub_f32_e32 v18, v18, v19
	v_mul_f32_e32 v18, v32, v18
	v_lshrrev_b32_e32 v29, 16, v18
.LBB502_73:
	s_or_b64 exec, exec, s[6:7]
	v_mov_b32_e32 v45, 0
	v_lshlrev_b32_e32 v30, 8, v27
	v_mov_b32_e32 v31, 0
	s_and_saveexec_b64 s[6:7], s[2:3]
	s_cbranch_execz .LBB502_75
; %bb.74:
	v_mov_b32_e32 v31, 0
	v_lshl_add_u64 v[18:19], v[22:23], 0, v[30:31]
	global_load_ushort v18, v[18:19], off
	s_waitcnt vmcnt(0)
	v_lshlrev_b32_e32 v18, 16, v18
	v_sub_f32_e32 v18, v18, v20
	v_mul_f32_e32 v18, v39, v18
	v_lshrrev_b32_e32 v31, 16, v18
.LBB502_75:
	s_or_b64 exec, exec, s[6:7]
	v_lshlrev_b32_e32 v26, 8, v44
	s_and_saveexec_b64 s[6:7], s[4:5]
	s_cbranch_execz .LBB502_77
; %bb.76:
	v_mov_b32_e32 v27, 0
	v_lshl_add_u64 v[18:19], v[22:23], 0, v[26:27]
	global_load_ushort v18, v[18:19], off
	s_waitcnt vmcnt(0)
	v_lshlrev_b32_e32 v18, 16, v18
	v_sub_f32_e32 v18, v18, v21
	v_mul_f32_e32 v18, v33, v18
	v_lshrrev_b32_e32 v45, 16, v18
.LBB502_77:
	s_or_b64 exec, exec, s[6:7]
	v_lshlrev_b32_e32 v35, 5, v38
	s_mov_b32 s6, 0x5040100
	v_perm_b32 v44, v29, v25, s6
	v_or_b32_e32 v25, v35, v40
	v_accvgpr_read_b32 v21, a3
	v_perm_b32 v45, v45, v31, s6
	v_lshlrev_b32_e32 v25, 1, v25
	v_accvgpr_read_b32 v20, a2
	v_accvgpr_read_b32 v19, a1
	;; [unrolled: 1-line block ×3, first 2 shown]
	ds_write_b64 v25, v[44:45] offset:45056
	v_mov_b32_e32 v29, 0
	v_mov_b32_e32 v25, 0
	s_and_saveexec_b64 s[6:7], vcc
	s_cbranch_execz .LBB502_79
; %bb.78:
	v_mov_b32_e32 v25, 0
	v_lshl_add_u64 v[24:25], v[22:23], 0, v[24:25]
	global_load_ushort v24, v[24:25], off offset:32
	s_waitcnt vmcnt(0)
	v_lshlrev_b32_e32 v24, 16, v24
	v_sub_f32_e32 v18, v24, v18
	v_mul_f32_e32 v18, v36, v18
	v_lshrrev_b32_e32 v25, 16, v18
.LBB502_79:
	s_or_b64 exec, exec, s[6:7]
	s_and_saveexec_b64 s[6:7], s[0:1]
	s_cbranch_execz .LBB502_81
; %bb.80:
	v_mov_b32_e32 v29, 0
	v_lshl_add_u64 v[28:29], v[22:23], 0, v[28:29]
	global_load_ushort v18, v[28:29], off offset:32
	s_waitcnt vmcnt(0)
	v_lshlrev_b32_e32 v18, 16, v18
	v_sub_f32_e32 v18, v18, v19
	v_mul_f32_e32 v18, v32, v18
	v_lshrrev_b32_e32 v29, 16, v18
.LBB502_81:
	s_or_b64 exec, exec, s[6:7]
	v_mov_b32_e32 v24, 0
	v_mov_b32_e32 v28, 0
	s_and_saveexec_b64 s[0:1], s[2:3]
	s_cbranch_execz .LBB502_83
; %bb.82:
	v_mov_b32_e32 v31, 0
	v_lshl_add_u64 v[18:19], v[22:23], 0, v[30:31]
	global_load_ushort v18, v[18:19], off offset:32
	s_waitcnt vmcnt(0)
	v_lshlrev_b32_e32 v18, 16, v18
	v_sub_f32_e32 v18, v18, v20
	v_mul_f32_e32 v18, v39, v18
	v_lshrrev_b32_e32 v28, 16, v18
.LBB502_83:
	s_or_b64 exec, exec, s[0:1]
	v_or_b32_e32 v19, 0xb000, v42
	v_or_b32_e32 v18, 0xb000, v43
	s_and_saveexec_b64 s[0:1], s[4:5]
	s_cbranch_execz .LBB502_85
; %bb.84:
	v_mov_b32_e32 v27, 0
	v_lshl_add_u64 v[22:23], v[22:23], 0, v[26:27]
	global_load_ushort v20, v[22:23], off offset:32
	s_waitcnt vmcnt(0)
	v_lshlrev_b32_e32 v20, 16, v20
	v_sub_f32_e32 v20, v20, v21
	v_mul_f32_e32 v20, v33, v20
	v_lshrrev_b32_e32 v24, 16, v20
.LBB502_85:
	s_or_b64 exec, exec, s[0:1]
	s_mov_b32 s0, 0x5040100
	v_or_b32_e32 v22, v35, v37
	v_perm_b32 v21, v24, v28, s0
	v_perm_b32 v20, v29, v25, s0
	v_lshlrev_b32_e32 v22, 1, v22
	s_movk_i32 s0, 0x100
	ds_write_b64 v22, v[20:21] offset:45056
	v_and_b32_e32 v20, 7, v0
	v_and_b32_e32 v21, 8, v0
	v_cmp_gt_u32_e32 vcc, s0, v0
	v_lshrrev_b32_e32 v0, 1, v0
	v_lshlrev_b32_e32 v35, 3, v20
	v_lshlrev_b32_e32 v36, 7, v20
	v_mov_b32_e32 v20, 0x4000
	v_mov_b32_e32 v22, 0x2000
	v_lshlrev_b32_e32 v38, 3, v56
	v_and_b32_e32 v0, 24, v0
	v_cndmask_b32_e32 v37, v20, v22, vcc
	v_xor_b32_e32 v20, v38, v0
	v_or_b32_e32 v26, 32, v0
	v_or_b32_e32 v22, 0x440, v20
	v_cmp_eq_u32_e32 vcc, 0, v21
	v_xor_b32_e32 v26, v38, v26
	v_or_b32_e32 v27, 0x440, v26
	v_cndmask_b32_e32 v20, v22, v20, vcc
	v_or_b32_e32 v20, v20, v41
	v_cndmask_b32_e32 v26, v27, v26, vcc
	v_xad_u32 v40, v20, v35, v36
	v_or_b32_e32 v26, v26, v41
	v_add_u32_e32 v20, v37, v40
	v_xad_u32 v42, v26, v35, v36
	s_waitcnt lgkmcnt(0)
	s_barrier
	ds_read_b64 v[24:25], v20
	ds_read2_b64 v[20:23], v19 offset1:16
	v_add_u32_e32 v26, v37, v42
	ds_read_b64 v[32:33], v26
	s_waitcnt lgkmcnt(1)
	v_mfma_f32_16x16x16_bf16 a[0:3], v[24:25], v[20:21], 0
	ds_read2st64_b64 v[28:31], v18 offset0:2 offset1:4
	v_mfma_f32_16x16x16_bf16 a[4:7], v[24:25], v[22:23], 0
	ds_read2st64_b64 v[24:27], v19 offset0:2 offset1:4
	s_waitcnt lgkmcnt(0)
	v_mfma_f32_16x16x16_bf16 a[0:3], v[32:33], v[24:25], a[0:3]
	v_mfma_f32_16x16x16_bf16 a[4:7], v[32:33], v[28:29], a[4:7]
	v_or_b32_e32 v32, 64, v0
	v_xor_b32_e32 v32, v38, v32
	v_xor_b32_e32 v33, 0x440, v32
	v_cndmask_b32_e32 v32, v33, v32, vcc
	v_or_b32_e32 v32, v32, v41
	v_or_b32_e32 v0, 0x60, v0
	v_xad_u32 v43, v32, v35, v36
	v_xor_b32_e32 v0, v38, v0
	v_add_u32_e32 v32, v37, v43
	v_xor_b32_e32 v38, 0x440, v0
	ds_read_b64 v[32:33], v32
	v_cndmask_b32_e32 v0, v38, v0, vcc
	v_or_b32_e32 v0, v0, v41
	v_xad_u32 v0, v0, v35, v36
	v_add_u32_e32 v35, v37, v0
	ds_read_b64 v[36:37], v35
	s_waitcnt lgkmcnt(1)
	v_mfma_f32_16x16x16_bf16 a[0:3], v[32:33], v[26:27], a[0:3]
	v_mov_b32_e32 v35, 0x3fb8aa3b
	v_mfma_f32_16x16x16_bf16 a[4:7], v[32:33], v[30:31], a[4:7]
	ds_read_b64 v[32:33], v19 offset:3072
	ds_read_b64 v[38:39], v18 offset:3072
	ds_read_b64 v[18:19], v40 offset:16384
	s_waitcnt lgkmcnt(2)
	v_mfma_f32_16x16x16_bf16 a[0:3], v[36:37], v[32:33], a[0:3]
	s_waitcnt lgkmcnt(1)
	v_mfma_f32_16x16x16_bf16 a[4:7], v[36:37], v[38:39], a[4:7]
	ds_read_b64 v[36:37], v42 offset:16384
	s_waitcnt lgkmcnt(1)
	v_mfma_f32_16x16x16_bf16 a[8:11], v[18:19], v[20:21], 0
	v_mul_f32_e32 v20, s16, v35
	v_exp_f32_e32 v35, v20
	v_accvgpr_read_b32 v21, a3
	v_mfma_f32_16x16x16_bf16 a[12:15], v[18:19], v[22:23], 0
	ds_read_b64 v[22:23], v43 offset:16384
	v_accvgpr_read_b32 v18, a0
	v_fma_f32 v18, v2, v35, v18
	v_accvgpr_read_b32 v2, a1
	v_fma_f32 v19, v3, v35, v2
	;; [unrolled: 2-line block ×3, first 2 shown]
	ds_read_b64 v[2:3], v0 offset:16384
	s_waitcnt lgkmcnt(2)
	v_mfma_f32_16x16x16_bf16 a[8:11], v[36:37], v[24:25], a[8:11]
	v_accvgpr_read_b32 v0, a4
	v_fmac_f32_e32 v21, v5, v35
	v_mfma_f32_16x16x16_bf16 a[12:15], v[36:37], v[28:29], a[12:15]
	v_accvgpr_read_b32 v29, a7
	v_fmac_f32_e32 v29, v13, v35
	s_waitcnt lgkmcnt(1)
	v_mfma_f32_16x16x16_bf16 a[0:3], v[22:23], v[26:27], a[8:11]
	v_fma_f32 v26, v10, v35, v0
	v_accvgpr_read_b32 v0, a5
	v_fma_f32 v27, v11, v35, v0
	v_mfma_f32_16x16x16_bf16 a[8:11], v[22:23], v[30:31], a[12:15]
	v_accvgpr_read_b32 v0, a6
	v_fma_f32 v28, v12, v35, v0
	s_waitcnt lgkmcnt(0)
	v_mfma_f32_16x16x16_bf16 a[0:3], v[2:3], v[32:33], a[0:3]
	v_mfma_f32_16x16x16_bf16 a[4:7], v[2:3], v[38:39], a[8:11]
	s_nop 5
	v_accvgpr_read_b32 v0, a0
	v_fma_f32 v22, v6, v35, v0
	v_accvgpr_read_b32 v0, a1
	v_fma_f32 v23, v7, v35, v0
	;; [unrolled: 2-line block ×4, first 2 shown]
	v_accvgpr_read_b32 v0, a5
	v_accvgpr_read_b32 v25, a3
	v_fma_f32 v31, v15, v35, v0
	v_accvgpr_read_b32 v0, a6
	v_accvgpr_read_b32 v33, a7
	v_fmac_f32_e32 v25, v9, v35
	v_fma_f32 v32, v16, v35, v0
	v_fmac_f32_e32 v33, v17, v35
	v_mov_b64_e32 v[2:3], v[18:19]
	v_mov_b64_e32 v[4:5], v[20:21]
	;; [unrolled: 1-line block ×8, first 2 shown]
	v_mov_b32_e32 v18, v34
.LBB502_86:
	s_mul_i32 s0, s33, s35
	s_mul_hi_u32 s1, s33, s34
	s_add_i32 s0, s1, s0
	s_mul_i32 s1, s48, s34
	s_add_i32 s1, s0, s1
	s_mul_i32 s0, s33, s34
	s_add_u32 s0, s0, s49
	s_addc_u32 s1, s1, s9
	s_lshl_b64 s[0:1], s[0:1], 16
	s_add_u32 s0, s24, s0
	v_lshlrev_b32_e32 v18, 7, v18
	s_addc_u32 s1, s25, s1
	v_ashrrev_i32_e32 v19, 31, v18
	v_lshl_add_u64 v[20:21], v[18:19], 2, s[0:1]
	v_lshlrev_b32_e32 v0, 2, v1
	v_mov_b32_e32 v1, 0
	v_lshl_add_u64 v[20:21], v[20:21], 0, v[0:1]
	global_store_dwordx4 v[20:21], v[2:5], off
	global_store_dwordx4 v[20:21], v[6:9], off offset:256
	s_nop 0
	v_or_b32_e32 v2, 0x800, v18
	v_ashrrev_i32_e32 v3, 31, v2
	v_lshl_add_u64 v[2:3], v[2:3], 2, s[0:1]
	v_lshl_add_u64 v[0:1], v[2:3], 0, v[0:1]
	global_store_dwordx4 v[0:1], v[10:13], off
	global_store_dwordx4 v[0:1], v[14:17], off offset:256
	s_endpgm
	.section	.rodata,"a",@progbits
	.p2align	6, 0x0
	.amdhsa_kernel _ZN12_GLOBAL__N_139chunk_gated_delta_rule_fwd_h_hip_kernelILi32ELb0ELb1ELb0ELb1ELb0ELb0ELb0ELb0EEEvPK12hip_bfloat16S3_S3_PKfS5_PKvPS1_S8_PvPKiSB_iiiiilll
		.amdhsa_group_segment_fixed_size 49152
		.amdhsa_private_segment_fixed_size 0
		.amdhsa_kernarg_size 136
		.amdhsa_user_sgpr_count 2
		.amdhsa_user_sgpr_dispatch_ptr 0
		.amdhsa_user_sgpr_queue_ptr 0
		.amdhsa_user_sgpr_kernarg_segment_ptr 1
		.amdhsa_user_sgpr_dispatch_id 0
		.amdhsa_user_sgpr_kernarg_preload_length 0
		.amdhsa_user_sgpr_kernarg_preload_offset 0
		.amdhsa_user_sgpr_private_segment_size 0
		.amdhsa_uses_dynamic_stack 0
		.amdhsa_enable_private_segment 0
		.amdhsa_system_sgpr_workgroup_id_x 1
		.amdhsa_system_sgpr_workgroup_id_y 1
		.amdhsa_system_sgpr_workgroup_id_z 0
		.amdhsa_system_sgpr_workgroup_info 0
		.amdhsa_system_vgpr_workitem_id 0
		.amdhsa_next_free_vgpr 148
		.amdhsa_next_free_sgpr 64
		.amdhsa_accum_offset 132
		.amdhsa_reserve_vcc 1
		.amdhsa_float_round_mode_32 0
		.amdhsa_float_round_mode_16_64 0
		.amdhsa_float_denorm_mode_32 3
		.amdhsa_float_denorm_mode_16_64 3
		.amdhsa_dx10_clamp 1
		.amdhsa_ieee_mode 1
		.amdhsa_fp16_overflow 0
		.amdhsa_tg_split 0
		.amdhsa_exception_fp_ieee_invalid_op 0
		.amdhsa_exception_fp_denorm_src 0
		.amdhsa_exception_fp_ieee_div_zero 0
		.amdhsa_exception_fp_ieee_overflow 0
		.amdhsa_exception_fp_ieee_underflow 0
		.amdhsa_exception_fp_ieee_inexact 0
		.amdhsa_exception_int_div_zero 0
	.end_amdhsa_kernel
	.section	.text._ZN12_GLOBAL__N_139chunk_gated_delta_rule_fwd_h_hip_kernelILi32ELb0ELb1ELb0ELb1ELb0ELb0ELb0ELb0EEEvPK12hip_bfloat16S3_S3_PKfS5_PKvPS1_S8_PvPKiSB_iiiiilll,"axG",@progbits,_ZN12_GLOBAL__N_139chunk_gated_delta_rule_fwd_h_hip_kernelILi32ELb0ELb1ELb0ELb1ELb0ELb0ELb0ELb0EEEvPK12hip_bfloat16S3_S3_PKfS5_PKvPS1_S8_PvPKiSB_iiiiilll,comdat
.Lfunc_end502:
	.size	_ZN12_GLOBAL__N_139chunk_gated_delta_rule_fwd_h_hip_kernelILi32ELb0ELb1ELb0ELb1ELb0ELb0ELb0ELb0EEEvPK12hip_bfloat16S3_S3_PKfS5_PKvPS1_S8_PvPKiSB_iiiiilll, .Lfunc_end502-_ZN12_GLOBAL__N_139chunk_gated_delta_rule_fwd_h_hip_kernelILi32ELb0ELb1ELb0ELb1ELb0ELb0ELb0ELb0EEEvPK12hip_bfloat16S3_S3_PKfS5_PKvPS1_S8_PvPKiSB_iiiiilll
                                        ; -- End function
	.section	.AMDGPU.csdata,"",@progbits
; Kernel info:
; codeLenInByte = 9352
; NumSgprs: 70
; NumVgprs: 132
; NumAgprs: 16
; TotalNumVgprs: 148
; ScratchSize: 0
; MemoryBound: 0
; FloatMode: 240
; IeeeMode: 1
; LDSByteSize: 49152 bytes/workgroup (compile time only)
; SGPRBlocks: 8
; VGPRBlocks: 18
; NumSGPRsForWavesPerEU: 70
; NumVGPRsForWavesPerEU: 148
; AccumOffset: 132
; Occupancy: 1
; WaveLimiterHint : 1
; COMPUTE_PGM_RSRC2:SCRATCH_EN: 0
; COMPUTE_PGM_RSRC2:USER_SGPR: 2
; COMPUTE_PGM_RSRC2:TRAP_HANDLER: 0
; COMPUTE_PGM_RSRC2:TGID_X_EN: 1
; COMPUTE_PGM_RSRC2:TGID_Y_EN: 1
; COMPUTE_PGM_RSRC2:TGID_Z_EN: 0
; COMPUTE_PGM_RSRC2:TIDIG_COMP_CNT: 0
; COMPUTE_PGM_RSRC3_GFX90A:ACCUM_OFFSET: 32
; COMPUTE_PGM_RSRC3_GFX90A:TG_SPLIT: 0
	.section	.text._ZN12_GLOBAL__N_139chunk_gated_delta_rule_fwd_h_hip_kernelILi32ELb0ELb0ELb1ELb1ELb0ELb0ELb0ELb0EEEvPK12hip_bfloat16S3_S3_PKfS5_PKvPS1_S8_PvPKiSB_iiiiilll,"axG",@progbits,_ZN12_GLOBAL__N_139chunk_gated_delta_rule_fwd_h_hip_kernelILi32ELb0ELb0ELb1ELb1ELb0ELb0ELb0ELb0EEEvPK12hip_bfloat16S3_S3_PKfS5_PKvPS1_S8_PvPKiSB_iiiiilll,comdat
	.globl	_ZN12_GLOBAL__N_139chunk_gated_delta_rule_fwd_h_hip_kernelILi32ELb0ELb0ELb1ELb1ELb0ELb0ELb0ELb0EEEvPK12hip_bfloat16S3_S3_PKfS5_PKvPS1_S8_PvPKiSB_iiiiilll ; -- Begin function _ZN12_GLOBAL__N_139chunk_gated_delta_rule_fwd_h_hip_kernelILi32ELb0ELb0ELb1ELb1ELb0ELb0ELb0ELb0EEEvPK12hip_bfloat16S3_S3_PKfS5_PKvPS1_S8_PvPKiSB_iiiiilll
	.p2align	8
	.type	_ZN12_GLOBAL__N_139chunk_gated_delta_rule_fwd_h_hip_kernelILi32ELb0ELb0ELb1ELb1ELb0ELb0ELb0ELb0EEEvPK12hip_bfloat16S3_S3_PKfS5_PKvPS1_S8_PvPKiSB_iiiiilll,@function
_ZN12_GLOBAL__N_139chunk_gated_delta_rule_fwd_h_hip_kernelILi32ELb0ELb0ELb1ELb1ELb0ELb0ELb0ELb0EEEvPK12hip_bfloat16S3_S3_PKfS5_PKvPS1_S8_PvPKiSB_iiiiilll: ; @_ZN12_GLOBAL__N_139chunk_gated_delta_rule_fwd_h_hip_kernelILi32ELb0ELb0ELb1ELb1ELb0ELb0ELb0ELb0EEEvPK12hip_bfloat16S3_S3_PKfS5_PKvPS1_S8_PvPKiSB_iiiiilll
; %bb.0:
	s_load_dwordx4 s[16:19], s[0:1], 0x5c
	s_load_dwordx4 s[20:23], s[0:1], 0x70
	s_abs_i32 s25, s3
	s_ashr_i32 s24, s3, 31
	s_load_dwordx4 s[12:15], s[0:1], 0x30
	s_load_dwordx4 s[28:31], s[0:1], 0x48
	s_waitcnt lgkmcnt(0)
	s_abs_i32 s34, s17
	v_cvt_f32_u32_e32 v1, s34
	s_sub_i32 s26, 0, s34
	s_ashr_i32 s35, s17, 31
	s_xor_b32 s24, s24, s35
	v_rcp_iflag_f32_e32 v1, v1
	s_load_dwordx8 s[4:11], s[0:1], 0x0
	v_lshrrev_b32_e32 v44, 6, v0
	v_bfe_u32 v45, v0, 4, 2
	v_mul_f32_e32 v1, 0x4f7ffffe, v1
	v_cvt_u32_f32_e32 v1, v1
	v_lshlrev_b32_e32 v2, 2, v45
	v_and_b32_e32 v43, 63, v0
	v_and_b32_e32 v42, 15, v0
	v_readfirstlane_b32 s27, v1
	s_mul_i32 s26, s26, s27
	s_mul_hi_u32 s26, s27, s26
	s_add_i32 s27, s27, s26
	s_mul_hi_u32 s26, s25, s27
	s_mul_i32 s27, s26, s34
	s_sub_i32 s25, s25, s27
	s_add_i32 s33, s26, 1
	s_sub_i32 s27, s25, s34
	s_cmp_ge_u32 s25, s34
	s_cselect_b32 s26, s33, s26
	s_cselect_b32 s25, s27, s25
	s_add_i32 s27, s26, 1
	s_cmp_ge_u32 s25, s34
	s_cselect_b32 s25, s27, s26
	s_xor_b32 s25, s25, s24
	s_sub_i32 s24, s25, s24
	s_mul_i32 s25, s24, s17
	s_sub_i32 s33, s3, s25
	s_ashr_i32 s25, s24, 31
	s_lshl_b64 s[26:27], s[24:25], 2
	s_add_u32 s28, s28, s26
	s_addc_u32 s29, s29, s27
	s_add_u32 s26, s30, s26
	s_addc_u32 s27, s31, s27
	s_abs_i32 s3, s18
	v_cvt_f32_u32_e32 v1, s3
	s_load_dwordx2 s[38:39], s[28:29], 0x0
	s_sub_i32 s29, 0, s3
	s_load_dword s46, s[26:27], 0x0
	v_rcp_iflag_f32_e32 v1, v1
	v_mov_b32_e32 v3, 0
	s_waitcnt lgkmcnt(0)
	s_sub_i32 s47, s39, s38
	s_ashr_i32 s28, s47, 31
	v_mul_f32_e32 v1, 0x4f7ffffe, v1
	v_cvt_u32_f32_e32 v1, v1
	s_lshr_b32 s28, s28, 26
	s_add_i32 s28, s47, s28
	s_ashr_i32 s45, s28, 6
	v_readfirstlane_b32 s30, v1
	s_mul_i32 s29, s29, s30
	s_mul_hi_u32 s29, s30, s29
	s_add_i32 s30, s30, s29
	s_mul_hi_u32 s29, s34, s30
	s_mul_i32 s30, s29, s3
	s_ashr_i32 s28, s18, 31
	s_sub_i32 s30, s34, s30
	s_xor_b32 s28, s35, s28
	s_add_i32 s31, s29, 1
	s_sub_i32 s34, s30, s3
	s_cmp_ge_u32 s30, s3
	s_cselect_b32 s29, s31, s29
	s_cselect_b32 s30, s34, s30
	s_add_i32 s31, s29, 1
	s_cmp_ge_u32 s30, s3
	s_cselect_b32 s3, s31, s29
	s_xor_b32 s3, s3, s28
	s_sub_i32 s3, s3, s28
	s_abs_i32 s28, s3
	v_cvt_f32_u32_e32 v1, s28
	s_load_dwordx2 s[34:35], s[0:1], 0x80
	s_xor_b32 s0, s33, s3
	s_sub_i32 s3, 0, s28
	v_rcp_iflag_f32_e32 v1, v1
	s_abs_i32 s1, s33
	s_ashr_i32 s0, s0, 31
	s_mul_hi_i32 s48, s33, s16
	v_mul_f32_e32 v1, 0x4f7ffffe, v1
	v_cvt_u32_f32_e32 v1, v1
	s_mul_i32 s49, s33, s16
	v_lshrrev_b32_e32 v47, 3, v43
	v_lshlrev_b32_e32 v46, 3, v0
	v_readfirstlane_b32 s26, v1
	s_mul_i32 s3, s3, s26
	s_mul_hi_u32 s3, s26, s3
	s_add_i32 s26, s26, s3
	s_mul_hi_u32 s3, s1, s26
	s_mul_i32 s26, s3, s28
	s_sub_i32 s1, s1, s26
	s_add_i32 s26, s3, 1
	s_sub_i32 s27, s1, s28
	s_cmp_ge_u32 s1, s28
	s_cselect_b32 s3, s26, s3
	s_cselect_b32 s1, s27, s1
	s_add_i32 s26, s3, 1
	s_cmp_ge_u32 s1, s28
	s_cselect_b32 s1, s26, s3
	s_xor_b32 s1, s1, s0
	v_lshlrev_b32_e32 v1, 4, v44
	s_sub_i32 s50, s1, s0
	v_or_b32_e32 v48, v2, v1
	s_lshl_b32 s36, s2, 5
	v_or_b32_e32 v49, 64, v48
	s_cmp_lt_i32 s47, 64
	s_mul_i32 s42, s24, s21
	s_mul_hi_u32 s43, s24, s20
	s_mul_i32 s44, s25, s20
	s_mul_i32 s20, s24, s20
	v_mov_b32_e32 v66, 0
	v_mov_b32_e32 v64, 0
	;; [unrolled: 1-line block ×15, first 2 shown]
	s_cbranch_scc1 .LBB503_18
; %bb.1:
	s_ashr_i32 s53, s33, 31
	s_ashr_i32 s1, s38, 31
	s_add_u32 s0, s49, s38
	s_addc_u32 s1, s48, s1
	s_lshl_b64 s[0:1], s[0:1], 8
	v_and_b32_e32 v51, 56, v46
	s_add_u32 s0, s6, s0
	v_lshl_or_b32 v50, v44, 3, v47
	v_lshlrev_b32_e32 v3, 1, v51
	s_addc_u32 s1, s7, s1
	v_lshl_or_b32 v52, v50, 8, v3
	s_and_b32 s1, s1, 0xffff
	s_mov_b32 s3, 0x20000
	s_movk_i32 s2, 0x4000
	s_movk_i32 s21, 0x80
	v_or_b32_e32 v53, 0x2000, v52
	buffer_load_dwordx4 v[4:7], v52, s[0:3], 0 offen
	buffer_load_dwordx4 v[8:11], v52, s[0:3], s21 offen
	;; [unrolled: 1-line block ×4, first 2 shown]
	v_lshlrev_b32_e32 v20, 3, v50
	v_and_or_b32 v22, v0, 7, v20
	v_and_b32_e32 v20, 0x78, v20
	v_lshlrev_b32_e32 v22, 4, v22
	v_xor_b32_e32 v54, v22, v20
	v_mul_lo_u32 v21, v50, s19
	v_or_b32_e32 v55, 0x1000, v54
	s_cmpk_eq_i32 s19, 0x80
	s_mov_b32 s51, s17
	s_mov_b32 s52, s38
	v_xor_b32_e32 v20, 8, v54
	v_xor_b32_e32 v22, 8, v55
	s_cselect_b64 s[0:1], -1, 0
	s_cmpk_lg_i32 s19, 0x80
	s_waitcnt vmcnt(3)
	ds_write_b64 v54, v[4:5] offset:24576
	ds_write_b64 v20, v[6:7] offset:24576
	s_waitcnt vmcnt(2)
	ds_write_b64 v54, v[8:9] offset:32768
	ds_write_b64 v20, v[10:11] offset:32768
	;; [unrolled: 3-line block ×4, first 2 shown]
	v_lshl_add_u32 v4, v21, 1, v51
	s_cbranch_scc0 .LBB503_3
; %bb.2:
	v_lshlrev_b32_e32 v6, 1, v4
	v_add_lshl_u32 v5, v4, s19, 1
	s_lshl_b32 s26, s19, 7
	v_lshl_or_b32 v3, v50, 9, v3
	s_cbranch_execz .LBB503_4
	s_branch .LBB503_5
.LBB503_3:
                                        ; implicit-def: $vgpr5
                                        ; implicit-def: $vgpr6
                                        ; implicit-def: $sgpr26
	v_lshl_or_b32 v3, v50, 9, v3
.LBB503_4:
	v_or_b32_e32 v5, 0x100, v3
	s_movk_i32 s26, 0x4000
	v_mov_b32_e32 v6, v3
.LBB503_5:
	s_mul_i32 s2, s38, s18
	s_ashr_i32 s54, s50, 31
	s_mul_hi_i32 s3, s38, s18
	s_add_u32 s2, s2, s50
	s_addc_u32 s3, s3, s54
	s_lshl_b64 s[2:3], s[2:3], 8
	s_add_u32 s24, s4, s2
	s_addc_u32 s2, s5, s3
	s_and_b32 s25, s2, 0xffff
	s_mov_b32 s27, 0x20000
	s_movk_i32 s55, 0x80
	buffer_load_dwordx4 v[8:11], v6, s[24:27], 0 offen
	buffer_load_dwordx4 v[12:15], v6, s[24:27], s55 offen
	;; [unrolled: 1-line block ×4, first 2 shown]
	v_and_b32_e32 v5, 6, v0
	v_lshlrev_b32_e32 v24, 6, v48
	v_or_b32_e32 v26, 16, v42
	v_xor_b32_e32 v27, v50, v5
	v_and_b32_e32 v6, 1, v0
	s_mul_i32 s2, s33, s23
	s_mul_hi_u32 s3, s33, s22
	v_lshl_or_b32 v30, v42, 3, v24
	v_lshl_or_b32 v24, v26, 3, v24
	v_lshlrev_b32_e32 v27, 2, v27
	s_add_i32 s21, s43, s42
	v_lshlrev_b32_e32 v7, 2, v42
	s_mul_i32 s24, s53, s22
	v_or_b32_e32 v58, 0xa000, v24
	v_or_b32_e32 v59, 0xb000, v24
	v_xor_b32_e32 v24, 0x440, v27
	v_cmp_eq_u32_e32 vcc, 0, v6
	s_add_i32 s2, s3, s2
	s_add_i32 s21, s21, s44
	v_xor_b32_e32 v28, v48, v7
	v_xor_b32_e32 v29, v49, v7
	v_cndmask_b32_e32 v6, v24, v27, vcc
	s_add_i32 s3, s2, s24
	s_lshl_b64 s[24:25], s[20:21], 2
	s_mov_b32 s56, 0x1000504
	v_lshlrev_b32_e32 v25, 8, v42
	v_lshlrev_b32_e32 v26, 8, v26
	;; [unrolled: 1-line block ×4, first 2 shown]
	v_lshl_or_b32 v5, v5, 10, v6
	s_mul_i32 s2, s33, s22
	s_add_u32 s21, s10, s24
	s_mov_b32 s57, 0x3020706
	v_or_b32_e32 v56, 0xa000, v30
	v_or_b32_e32 v57, 0xb000, v30
	;; [unrolled: 1-line block ×5, first 2 shown]
	v_xor_b32_e32 v6, 8, v5
	v_xor_b32_e32 v25, 24, v5
	;; [unrolled: 1-line block ×4, first 2 shown]
	s_addc_u32 s24, s11, s25
	s_lshl_b64 s[2:3], s[2:3], 2
	v_or_b32_e32 v62, v26, v28
	v_xor_b32_e32 v24, 16, v5
	v_xor_b32_e32 v26, 32, v5
	;; [unrolled: 1-line block ×3, first 2 shown]
	v_add_u32_e32 v6, 0x80, v6
	v_add_u32_e32 v25, 0x80, v25
	;; [unrolled: 1-line block ×4, first 2 shown]
	s_add_u32 s2, s21, s2
	s_addc_u32 s3, s24, s3
	s_movk_i32 s24, 0xf8
	s_ashr_i32 s37, s36, 31
	s_lshl_b32 s30, s19, 7
	s_movk_i32 s28, 0x100
	v_mov_b32_e32 v35, 0
	v_lshlrev_b32_e32 v34, 4, v42
	v_cmp_gt_u32_e32 vcc, s28, v0
	s_mov_b32 s58, 0
	s_movk_i32 s21, 0x1000
	s_movk_i32 s26, 0x4000
	v_add_u32_e32 v93, v1, v2
	v_mov_b32_e32 v94, 0x3fb8aa3b
	v_mov_b32_e32 v76, v35
	v_mov_b32_e32 v75, v35
	v_mov_b32_e32 v77, v35
	v_mov_b32_e32 v101, v35
	v_mov_b32_e32 v72, v35
	v_mov_b32_e32 v71, v35
	v_mov_b32_e32 v73, v35
	v_mov_b32_e32 v99, v35
	v_mov_b32_e32 v68, v35
	v_mov_b32_e32 v67, v35
	v_mov_b32_e32 v69, v35
	v_mov_b32_e32 v102, v35
	s_waitcnt vmcnt(1)
	v_perm_b32 v30, v8, v16, s56
	s_waitcnt vmcnt(0)
	v_perm_b32 v31, v12, v20, s56
	v_perm_b32 v8, v8, v16, s57
	v_perm_b32 v12, v12, v20, s57
	v_perm_b32 v16, v9, v17, s56
	v_perm_b32 v20, v13, v21, s56
	v_perm_b32 v9, v9, v17, s57
	v_perm_b32 v13, v13, v21, s57
	v_perm_b32 v17, v10, v18, s56
	v_perm_b32 v21, v14, v22, s56
	v_perm_b32 v10, v10, v18, s57
	v_perm_b32 v14, v14, v22, s57
	v_perm_b32 v18, v11, v19, s56
	v_perm_b32 v22, v15, v23, s56
	v_perm_b32 v11, v11, v19, s57
	v_perm_b32 v15, v15, v23, s57
	ds_write2st64_b32 v5, v30, v31 offset0:32 offset1:64
	ds_write2st64_b32 v6, v8, v12 offset0:32 offset1:64
	ds_write2st64_b32 v24, v16, v20 offset0:33 offset1:65
	ds_write2st64_b32 v25, v9, v13 offset0:33 offset1:65
	ds_write2st64_b32 v26, v17, v21 offset0:34 offset1:66
	ds_write2st64_b32 v27, v10, v14 offset0:34 offset1:66
	ds_write2st64_b32 v28, v18, v22 offset0:35 offset1:67
	ds_write2st64_b32 v29, v11, v15 offset0:35 offset1:67
	v_or_b32_e32 v5, v1, v42
	v_lshlrev_b32_e32 v5, 3, v5
	v_lshrrev_b32_e32 v8, 5, v43
	v_and_or_b32 v8, v5, s24, v8
	v_lshlrev_b32_e32 v8, 4, v8
	v_lshlrev_b32_e32 v9, 11, v44
	v_and_b32_e32 v5, 0x78, v5
	v_or_b32_e32 v13, 32, v8
	v_and_b32_e32 v6, 0x1000, v9
	v_lshrrev_b32_e32 v11, 1, v0
	v_xor_b32_e32 v13, v13, v5
	v_and_b32_e32 v12, 8, v11
	v_or_b32_e32 v13, v13, v6
	v_xor_b32_e32 v10, v8, v5
	v_xor_b32_e32 v78, v13, v12
	v_or_b32_e32 v13, 64, v8
	v_or_b32_e32 v8, 0x60, v8
	v_xor_b32_e32 v13, v13, v5
	v_xor_b32_e32 v5, v8, v5
	v_or_b32_e32 v10, v10, v6
	v_or_b32_e32 v13, v13, v6
	;; [unrolled: 1-line block ×3, first 2 shown]
	s_lshl_b64 s[24:25], s[36:37], 8
	v_xor_b32_e32 v70, v10, v12
	v_xor_b32_e32 v80, v13, v12
	;; [unrolled: 1-line block ×3, first 2 shown]
	v_lshlrev_b32_e32 v12, 1, v4
	v_add_lshl_u32 v13, v4, s19, 1
	s_add_u32 s24, s12, s24
	v_lshlrev_b32_e32 v4, 1, v42
	v_lshrrev_b32_e32 v15, 4, v0
	s_addc_u32 s25, s13, s25
	v_or_b32_e32 v5, 1, v4
	v_mov_b32_e32 v19, 0x4000
	v_mov_b32_e32 v20, 0x2000
	v_xor_b32_e32 v16, v15, v4
	v_xor_b32_e32 v17, v5, v15
	v_lshl_add_u64 v[4:5], s[24:25], 0, v[34:35]
	v_lshlrev_b32_e32 v34, 8, v15
	v_cndmask_b32_e32 v19, v19, v20, vcc
	v_lshlrev_b32_e32 v20, 3, v44
	v_and_b32_e32 v11, 24, v11
	v_lshl_or_b32 v84, v16, 3, v34
	v_and_b32_e32 v16, 8, v0
	v_xor_b32_e32 v21, v20, v11
	v_or_b32_e32 v22, 0x440, v21
	v_cmp_eq_u32_e32 vcc, 0, v16
	v_and_b32_e32 v15, 7, v0
	v_lshlrev_b32_e32 v10, 7, v45
	v_cndmask_b32_e32 v16, v22, v21, vcc
	v_lshl_or_b32 v85, v17, 3, v34
	v_lshlrev_b32_e32 v17, 3, v15
	v_lshlrev_b32_e32 v15, 7, v15
	;; [unrolled: 1-line block ×3, first 2 shown]
	v_or_b32_e32 v16, v16, v9
	v_or_b32_e32 v7, v10, v7
	v_xad_u32 v86, v16, v17, v15
	v_and_or_b32 v10, v18, 60, v10
	v_mov_b32_e32 v16, 0xb000
	v_lshl_or_b32 v87, v10, 1, v16
	v_or_b32_e32 v10, 32, v11
	v_xor_b32_e32 v10, v20, v10
	v_or_b32_e32 v16, 0x440, v10
	v_cndmask_b32_e32 v10, v16, v10, vcc
	v_or_b32_e32 v10, v10, v9
	v_xad_u32 v88, v10, v17, v15
	v_or_b32_e32 v10, 64, v11
	v_xor_b32_e32 v10, v20, v10
	v_xor_b32_e32 v16, 0x440, v10
	v_cndmask_b32_e32 v10, v16, v10, vcc
	v_or_b32_e32 v10, v10, v9
	v_xad_u32 v89, v10, v17, v15
	v_or_b32_e32 v10, 0x60, v11
	v_xor_b32_e32 v10, v20, v10
	v_xor_b32_e32 v11, 0x440, v10
	v_lshlrev_b32_e32 v7, 1, v7
	v_or_b32_e32 v6, s36, v42
	v_cndmask_b32_e32 v10, v11, v10, vcc
	v_or_b32_e32 v74, 0xa000, v7
	v_or_b32_e32 v79, 0xa080, v7
	;; [unrolled: 1-line block ×4, first 2 shown]
	v_ashrrev_i32_e32 v7, 31, v6
	v_or_b32_e32 v9, v10, v9
	v_lshlrev_b32_e32 v8, 7, v48
	v_or_b32_e32 v14, 0x100, v3
	v_xad_u32 v90, v9, v17, v15
	v_lshlrev_b64 v[6:7], 1, v[6:7]
	v_cndmask_b32_e64 v91, v12, v3, s[0:1]
	v_cndmask_b32_e64 v92, v13, v14, s[0:1]
	v_lshl_add_u64 v[36:37], s[8:9], 0, v[6:7]
	v_lshl_add_u64 v[38:39], s[14:15], 0, v[6:7]
	;; [unrolled: 1-line block ×3, first 2 shown]
	s_mov_b32 s37, 0x7060302
	v_lshlrev_b32_e32 v34, 1, v8
	v_add_u32_e32 v95, v19, v86
	v_add_u32_e32 v96, v19, v88
	;; [unrolled: 1-line block ×4, first 2 shown]
	v_mov_b32_e32 v65, v35
	v_mov_b32_e32 v64, v35
	v_mov_b32_e32 v66, v35
	v_mov_b32_e32 v100, v35
	s_waitcnt lgkmcnt(0)
	s_barrier
.LBB503_6:                              ; =>This Inner Loop Header: Depth=1
	s_add_i32 s59, s58, 1
	s_cmp_lt_i32 s59, s45
	s_mov_b64 s[28:29], 0
	s_cselect_b64 s[40:41], -1, 0
	s_cmp_ge_i32 s59, s45
	s_mov_b64 s[24:25], 0
	s_cbranch_scc1 .LBB503_8
; %bb.7:                                ;   in Loop: Header=BB503_6 Depth=1
	s_add_i32 s0, s52, 64
	s_ashr_i32 s1, s0, 31
	s_add_u32 s0, s49, s0
	s_addc_u32 s1, s48, s1
	s_lshl_b64 s[0:1], s[0:1], 8
	s_add_u32 s24, s6, s0
	s_addc_u32 s25, s7, s1
.LBB503_8:                              ;   in Loop: Header=BB503_6 Depth=1
	v_cndmask_b32_e64 v2, 0, 1, s[40:41]
	v_cmp_ne_u32_e64 s[0:1], 1, v2
	s_andn2_b64 vcc, exec, s[40:41]
	s_cbranch_vccnz .LBB503_10
; %bb.9:                                ;   in Loop: Header=BB503_6 Depth=1
	s_add_i32 s28, s52, 64
	s_mul_hi_i32 s29, s28, s18
	s_mul_i32 s28, s28, s18
	s_add_u32 s28, s28, s50
	s_addc_u32 s29, s29, s54
	s_lshl_b64 s[28:29], s[28:29], 8
	s_add_u32 s28, s4, s28
	s_addc_u32 s29, s5, s29
.LBB503_10:                             ;   in Loop: Header=BB503_6 Depth=1
	v_perm_b32 v3, v101, v77, s37
	v_perm_b32 v2, v75, v76, s37
	;; [unrolled: 1-line block ×4, first 2 shown]
	ds_write_b64 v56, v[2:3]
	ds_write_b64 v57, v[4:5]
	;; [unrolled: 1-line block ×4, first 2 shown]
	v_perm_b32 v3, v102, v69, s37
	v_perm_b32 v2, v67, v68, s37
	;; [unrolled: 1-line block ×4, first 2 shown]
	ds_write_b64 v58, v[2:3]
	ds_write_b64 v59, v[4:5]
	;; [unrolled: 1-line block ×4, first 2 shown]
	s_waitcnt lgkmcnt(0)
	s_barrier
	ds_read_b64 v[6:7], v70 offset:24576
	ds_read2_b64 v[2:5], v74 offset1:16
	ds_read_b64 v[10:11], v79 offset:3072
	ds_read_b64 v[12:13], v74 offset:3072
	;; [unrolled: 1-line block ×3, first 2 shown]
	s_waitcnt lgkmcnt(3)
	v_mfma_f32_16x16x16_bf16 a[0:3], v[6:7], v[2:3], 0
	s_add_i32 s31, s52, 63
	s_ashr_i32 s40, s31, 31
	s_mul_i32 s41, s31, s35
	v_mfma_f32_16x16x16_bf16 a[4:7], v[6:7], v[4:5], 0
	ds_read2st64_b64 v[2:5], v74 offset0:2 offset1:4
	s_mul_hi_u32 s60, s31, s34
	s_add_i32 s41, s60, s41
	s_waitcnt lgkmcnt(0)
	v_mfma_f32_16x16x16_bf16 a[0:3], v[14:15], v[2:3], a[0:3]
	ds_read2st64_b64 v[6:9], v79 offset0:2 offset1:4
	ds_read_b64 v[2:3], v80 offset:24576
	s_mul_i32 s40, s40, s34
	s_add_i32 s41, s41, s40
	s_waitcnt lgkmcnt(1)
	v_mfma_f32_16x16x16_bf16 a[4:7], v[14:15], v[6:7], a[4:7]
	ds_read_b64 v[6:7], v81 offset:24576
	s_mul_i32 s40, s31, s34
	s_lshl_b64 s[40:41], s[40:41], 2
	s_waitcnt lgkmcnt(1)
	v_mfma_f32_16x16x16_bf16 a[0:3], v[2:3], v[4:5], a[0:3]
	s_add_u32 s40, s2, s40
	s_addc_u32 s41, s3, s41
	s_and_b64 vcc, exec, s[0:1]
	v_mfma_f32_16x16x16_bf16 a[8:11], v[2:3], v[8:9], a[4:7]
	v_mov_b32_e32 v105, 0
	v_mov_b32_e32 v104, 0
	;; [unrolled: 1-line block ×3, first 2 shown]
	s_waitcnt lgkmcnt(0)
	v_mfma_f32_16x16x16_bf16 a[4:7], v[6:7], v[12:13], a[0:3]
	v_mov_b32_e32 v2, 0
	v_mov_b32_e32 v3, 0
	;; [unrolled: 1-line block ×3, first 2 shown]
	v_mfma_f32_16x16x16_bf16 a[0:3], v[6:7], v[10:11], a[8:11]
	v_mov_b32_e32 v5, 0
	v_mov_b32_e32 v6, 0
	;; [unrolled: 1-line block ×13, first 2 shown]
	s_cbranch_vccnz .LBB503_12
; %bb.11:                               ;   in Loop: Header=BB503_6 Depth=1
	s_and_b32 s25, s25, 0xffff
	buffer_load_dwordx4 v[14:17], v52, s[24:27], 0 offen
	buffer_load_dwordx4 v[10:13], v52, s[24:27], s55 offen
	;; [unrolled: 1-line block ×4, first 2 shown]
	v_mov_b32_e32 v104, v54
	v_mov_b32_e32 v103, v55
.LBB503_12:                             ;   in Loop: Header=BB503_6 Depth=1
	s_waitcnt vmcnt(3)
	ds_read_b64 v[26:27], v70 offset:32768
	s_waitcnt vmcnt(2)
	ds_read2_b64 v[18:21], v82 offset1:16
	ds_read_b64 v[28:29], v78 offset:32768
	ds_read_b64 v[30:31], v80 offset:32768
	;; [unrolled: 1-line block ×3, first 2 shown]
	v_add_u32_e32 v106, s52, v93
	s_waitcnt lgkmcnt(3)
	v_mfma_f32_16x16x16_bf16 a[4:7], v[26:27], v[18:19], a[4:7]
	v_ashrrev_i32_e32 v18, 31, v106
	ds_read2st64_b64 v[22:25], v82 offset0:2 offset1:4
	v_mfma_f32_16x16x16_bf16 a[0:3], v[26:27], v[20:21], a[0:3]
	v_mul_lo_u32 v20, v18, s34
	v_mul_lo_u32 v21, v106, s35
	v_mad_u64_u32 v[18:19], s[24:25], v106, s34, 0
	v_add3_u32 v19, v19, v21, v20
	v_add_u32_e32 v20, 1, v106
	v_ashrrev_i32_e32 v21, 31, v20
	v_mul_lo_u32 v26, v21, s34
	v_mul_lo_u32 v27, v20, s35
	v_mad_u64_u32 v[20:21], s[24:25], v20, s34, 0
	v_add3_u32 v21, v21, v27, v26
	v_add_u32_e32 v26, 2, v106
	v_ashrrev_i32_e32 v27, 31, v26
	v_mul_lo_u32 v107, v27, s34
	v_mul_lo_u32 v108, v26, s35
	v_mad_u64_u32 v[26:27], s[24:25], v26, s34, 0
	v_add_u32_e32 v106, 3, v106
	v_add3_u32 v27, v27, v108, v107
	v_ashrrev_i32_e32 v107, 31, v106
	v_mul_lo_u32 v108, v107, s34
	v_mul_lo_u32 v109, v106, s35
	v_mad_u64_u32 v[106:107], s[24:25], v106, s34, 0
	s_ashr_i32 s25, s52, 31
	v_add3_u32 v107, v107, v109, v108
	s_add_u32 s24, s49, s52
	v_lshl_add_u64 v[18:19], v[18:19], 2, s[2:3]
	v_lshl_add_u64 v[106:107], v[106:107], 2, s[2:3]
	s_addc_u32 s25, s48, s25
	v_lshl_add_u64 v[20:21], v[20:21], 2, s[2:3]
	v_lshl_add_u64 v[26:27], v[26:27], 2, s[2:3]
	global_load_dword v108, v[18:19], off
	global_load_dword v109, v[20:21], off
	;; [unrolled: 1-line block ×3, first 2 shown]
	s_nop 0
	global_load_dword v106, v[106:107], off
	s_lshl_b64 s[60:61], s[24:25], 8
	v_lshl_add_u64 v[18:19], v[36:37], 0, s[60:61]
	v_lshl_add_u64 v[26:27], v[18:19], 0, v[34:35]
	global_load_ushort v107, v[26:27], off offset:256
	global_load_ushort v111, v[26:27], off
	ds_read2st64_b64 v[18:21], v83 offset0:2 offset1:4
	global_load_ushort v112, v[26:27], off offset:768
	global_load_ushort v113, v[26:27], off offset:512
	;; [unrolled: 1-line block ×6, first 2 shown]
	s_waitcnt lgkmcnt(1)
	v_mfma_f32_16x16x16_bf16 a[4:7], v[28:29], v[22:23], a[4:7]
	s_and_b64 vcc, exec, s[0:1]
	s_waitcnt vmcnt(7)
	v_lshlrev_b32_e32 v27, 16, v107
	s_waitcnt lgkmcnt(0)
	v_mfma_f32_16x16x16_bf16 a[0:3], v[28:29], v[18:19], a[0:3]
	v_mfma_f32_16x16x16_bf16 a[4:7], v[30:31], v[24:25], a[4:7]
	;; [unrolled: 1-line block ×3, first 2 shown]
	ds_read_b64 v[18:19], v82 offset:3072
	ds_read_b64 v[20:21], v83 offset:3072
	s_load_dword s24, s[40:41], 0x0
	s_waitcnt lgkmcnt(0)
	v_sub_f32_e32 v26, s24, v108
	v_mfma_f32_16x16x16_bf16 a[4:7], v[32:33], v[18:19], a[4:7]
	v_sub_f32_e32 v29, s24, v109
	v_sub_f32_e32 v30, s24, v110
	;; [unrolled: 1-line block ×3, first 2 shown]
	v_mul_f32_e32 v28, 0x3fb8aa3b, v26
	v_mul_f32_e32 v29, 0x3fb8aa3b, v29
	;; [unrolled: 1-line block ×4, first 2 shown]
	v_mfma_f32_16x16x16_bf16 a[0:3], v[32:33], v[20:21], a[0:3]
	v_accvgpr_read_b32 v25, a5
	v_exp_f32_e32 v28, v28
	v_exp_f32_e32 v29, v29
	;; [unrolled: 1-line block ×4, first 2 shown]
	v_accvgpr_read_b32 v24, a4
	s_waitcnt vmcnt(6)
	v_lshlrev_b32_e32 v26, 16, v111
	v_lshl_add_u64 v[18:19], v[38:39], 0, s[60:61]
	v_accvgpr_read_b32 v21, a7
	v_accvgpr_read_b32 v20, a6
	v_pk_add_f32 v[24:25], v[26:27], v[24:25] neg_lo:[0,1] neg_hi:[0,1]
	s_waitcnt vmcnt(5)
	v_lshlrev_b32_e32 v27, 16, v112
	s_waitcnt vmcnt(4)
	v_lshlrev_b32_e32 v26, 16, v113
	v_lshl_add_u64 v[18:19], v[18:19], 0, v[34:35]
	v_pk_add_f32 v[20:21], v[26:27], v[20:21] neg_lo:[0,1] neg_hi:[0,1]
	global_store_short_d16_hi v[18:19], v24, off
	global_store_short_d16_hi v[18:19], v25, off offset:256
	global_store_short_d16_hi v[18:19], v20, off offset:512
	;; [unrolled: 1-line block ×3, first 2 shown]
	v_pk_mul_f32 v[24:25], v[28:29], v[24:25]
	v_pk_mul_f32 v[20:21], v[30:31], v[20:21]
	v_accvgpr_read_b32 v27, a1
	v_perm_b32 v21, v21, v20, s37
	v_perm_b32 v20, v25, v24, s37
	s_waitcnt vmcnt(5)
	v_lshlrev_b32_e32 v25, 16, v116
	s_waitcnt vmcnt(4)
	v_lshlrev_b32_e32 v24, 16, v117
	v_accvgpr_read_b32 v26, a0
	v_accvgpr_read_b32 v23, a3
	;; [unrolled: 1-line block ×3, first 2 shown]
	v_pk_add_f32 v[24:25], v[24:25], v[26:27] neg_lo:[0,1] neg_hi:[0,1]
	v_lshlrev_b32_e32 v27, 16, v114
	v_lshlrev_b32_e32 v26, 16, v115
	v_pk_add_f32 v[22:23], v[26:27], v[22:23] neg_lo:[0,1] neg_hi:[0,1]
	global_store_short_d16_hi v[18:19], v24, off offset:32
	global_store_short_d16_hi v[18:19], v25, off offset:288
	;; [unrolled: 1-line block ×4, first 2 shown]
	v_pk_mul_f32 v[18:19], v[28:29], v[24:25]
	v_pk_mul_f32 v[22:23], v[30:31], v[22:23]
	v_mov_b32_e32 v106, 0
	v_perm_b32 v23, v23, v22, s37
	v_perm_b32 v22, v19, v18, s37
	ds_write2_b64 v57, v[20:21], v[22:23] offset1:16
	v_mov_b32_e32 v18, 0
	v_mov_b32_e32 v19, 0
	;; [unrolled: 1-line block ×16, first 2 shown]
	s_cbranch_vccnz .LBB503_14
; %bb.13:                               ;   in Loop: Header=BB503_6 Depth=1
	s_and_b32 s29, s29, 0xffff
	s_mov_b32 s31, s27
	buffer_load_dwordx4 v[30:33], v91, s[28:31], 0 offen
	buffer_load_dwordx4 v[22:25], v91, s[28:31], s55 offen
	;; [unrolled: 1-line block ×4, first 2 shown]
	v_mov_b32_e32 v105, v51
	v_mov_b32_e32 v106, v50
.LBB503_14:                             ;   in Loop: Header=BB503_6 Depth=1
	s_waitcnt lgkmcnt(0)
	s_barrier
	ds_read_b64 v[112:113], v95
	ds_read_b64 v[120:121], v87
	;; [unrolled: 1-line block ×5, first 2 shown]
	ds_read_b64 v[126:127], v88 offset:16384
	ds_read_b64 v[128:129], v86 offset:16384
	ds_read2_b64 v[108:111], v82 offset0:16 offset1:128
	s_waitcnt lgkmcnt(6)
	v_mfma_f32_16x16x16_bf16 a[0:3], v[112:113], v[120:121], 0
	ds_read_b64 v[130:131], v83 offset:3072
	ds_read_b64 v[132:133], v90 offset:16384
	s_add_i32 s25, s46, s58
	s_waitcnt lgkmcnt(2)
	v_mfma_f32_16x16x16_bf16 a[4:7], v[112:113], v[108:109], 0
	ds_read2st64_b64 v[112:115], v83 offset0:2 offset1:4
	s_mul_hi_i32 s29, s25, s51
	s_mul_i32 s25, s25, s51
	v_mfma_f32_16x16x16_bf16 a[0:3], v[116:117], v[110:111], a[0:3]
	s_add_u32 s28, s25, s33
	s_addc_u32 s29, s29, s53
	s_lshl_b64 s[28:29], s[28:29], 15
	s_waitcnt lgkmcnt(0)
	v_mfma_f32_16x16x16_bf16 a[4:7], v[116:117], v[112:113], a[4:7]
	ds_read2st64_b64 v[116:119], v82 offset0:4 offset1:6
	s_waitcnt lgkmcnt(0)
	v_mfma_f32_16x16x16_bf16 a[0:3], v[122:123], v[116:117], a[0:3]
	v_mfma_f32_16x16x16_bf16 a[8:11], v[122:123], v[114:115], a[4:7]
	;; [unrolled: 1-line block ×5, first 2 shown]
	ds_read2st64_b64 v[120:123], v85 offset1:8
	v_mfma_f32_16x16x16_bf16 a[12:15], v[128:129], v[108:109], 0
	ds_read_b64 v[128:129], v89 offset:16384
	v_mfma_f32_16x16x16_bf16 a[8:11], v[126:127], v[110:111], a[8:11]
	ds_read2st64_b64 v[108:111], v84 offset1:8
	s_waitcnt lgkmcnt(0)
	v_mov_b32_e32 v124, v108
	v_mfma_f32_16x16x16_bf16 a[12:15], v[126:127], v[112:113], a[12:15]
	v_lshl_add_u64 v[112:113], v[40:41], 0, s[28:29]
	v_add_co_u32_e32 v108, vcc, s21, v112
	v_mfma_f32_16x16x16_bf16 a[8:11], v[128:129], v[116:117], a[8:11]
	v_mov_b32_e32 v125, v109
	v_addc_co_u32_e32 v109, vcc, 0, v113, vcc
	v_mfma_f32_16x16x16_bf16 a[16:19], v[128:129], v[114:115], a[12:15]
	v_mov_b32_e32 v126, v120
	v_mov_b32_e32 v127, v121
	;; [unrolled: 1-line block ×3, first 2 shown]
	v_mfma_f32_16x16x16_bf16 a[12:15], v[132:133], v[118:119], a[8:11]
	v_mov_b32_e32 v121, v111
	s_and_b64 vcc, exec, s[0:1]
	global_store_dwordx4 v[112:113], v[124:127], off
	v_mfma_f32_16x16x16_bf16 a[8:11], v[132:133], v[130:131], a[16:19]
	global_store_dwordx4 v[108:109], v[120:123], off
	s_cbranch_vccnz .LBB503_16
; %bb.15:                               ;   in Loop: Header=BB503_6 Depth=1
	v_lshrrev_b32_e32 v107, 3, v105
	v_and_b32_e32 v107, 6, v107
	v_xor_b32_e32 v106, v107, v106
	v_lshlrev_b32_e32 v106, 2, v106
	v_and_b32_e32 v105, 8, v105
	v_xor_b32_e32 v108, 0x440, v106
	v_cmp_eq_u32_e32 vcc, 0, v105
	s_barrier
	s_nop 0
	v_cndmask_b32_e32 v105, v108, v106, vcc
	v_lshl_or_b32 v105, v107, 10, v105
	s_waitcnt vmcnt(3)
	v_perm_b32 v106, v30, v26, s56
	s_waitcnt vmcnt(2)
	v_perm_b32 v107, v22, v18, s56
	ds_write2st64_b32 v105, v106, v107 offset0:32 offset1:64
	v_xor_b32_e32 v106, 8, v105
	v_perm_b32 v26, v30, v26, s57
	v_perm_b32 v18, v22, v18, s57
	v_add_u32_e32 v22, 0x80, v106
	ds_write2st64_b32 v22, v26, v18 offset0:32 offset1:64
	v_xor_b32_e32 v18, 16, v105
	v_perm_b32 v22, v31, v27, s56
	v_perm_b32 v26, v23, v19, s56
	ds_write2st64_b32 v18, v22, v26 offset0:33 offset1:65
	v_xor_b32_e32 v18, 24, v105
	v_perm_b32 v22, v31, v27, s57
	v_perm_b32 v19, v23, v19, s57
	v_add_u32_e32 v18, 0x80, v18
	ds_write2st64_b32 v18, v22, v19 offset0:33 offset1:65
	v_xor_b32_e32 v18, 32, v105
	v_perm_b32 v19, v32, v28, s56
	;; [unrolled: 9-line block ×3, first 2 shown]
	v_perm_b32 v20, v25, v21, s56
	ds_write2st64_b32 v18, v19, v20 offset0:35 offset1:67
	v_xor_b32_e32 v18, 56, v105
	v_perm_b32 v19, v33, v29, s57
	v_perm_b32 v20, v25, v21, s57
	v_add_u32_e32 v18, 0x80, v18
	ds_write2st64_b32 v18, v19, v20 offset0:35 offset1:67
	ds_write_b64 v104, v[14:15] offset:24576
	v_xor_b32_e32 v14, 8, v104
	ds_write_b64 v14, v[16:17] offset:24576
	ds_write_b64 v104, v[10:11] offset:32768
	;; [unrolled: 1-line block ×4, first 2 shown]
	v_xor_b32_e32 v6, 8, v103
	ds_write_b64 v6, v[8:9] offset:24576
	ds_write_b64 v103, v[2:3] offset:32768
	;; [unrolled: 1-line block ×3, first 2 shown]
.LBB503_16:                             ;   in Loop: Header=BB503_6 Depth=1
	v_mul_f32_e32 v2, s24, v94
	v_exp_f32_e32 v2, v2
	v_accvgpr_read_b32 v3, a4
	v_accvgpr_read_b32 v4, a5
	;; [unrolled: 1-line block ×3, first 2 shown]
	v_fma_f32 v76, v76, v2, v3
	v_accvgpr_read_b32 v3, a6
	v_fma_f32 v77, v77, v2, v3
	v_accvgpr_read_b32 v3, a0
	;; [unrolled: 2-line block ×11, first 2 shown]
	v_accvgpr_read_b32 v6, a15
	v_fma_f32 v66, v66, v2, v3
	v_accvgpr_read_b32 v3, a11
	s_add_i32 s52, s52, 64
	v_fmac_f32_e32 v5, v101, v2
	v_fmac_f32_e32 v4, v102, v2
	;; [unrolled: 1-line block ×3, first 2 shown]
	s_cmp_eq_u32 s45, s59
	v_fmac_f32_e32 v3, v100, v2
	s_cbranch_scc1 .LBB503_18
; %bb.17:                               ;   in Loop: Header=BB503_6 Depth=1
	s_mov_b32 s58, s59
	v_mov_b32_e32 v101, v5
	v_mov_b32_e32 v99, v6
	;; [unrolled: 1-line block ×4, first 2 shown]
	s_branch .LBB503_6
.LBB503_18:
	s_lshl_b32 s0, s45, 6
	s_sub_i32 s47, s47, s0
	s_cmp_gt_i32 s47, 0
	s_cbranch_scc0 .LBB503_83
; %bb.19:
	s_add_i32 s38, s0, s38
	s_ashr_i32 s2, s38, 31
	s_cmpk_lg_i32 s19, 0x80
	s_cselect_b64 s[30:31], -1, 0
	s_and_b64 vcc, exec, s[30:31]
	s_cbranch_vccz .LBB503_21
; %bb.20:
	s_mul_i32 s1, s38, s18
	s_ashr_i32 s3, s50, 31
	s_mul_hi_i32 s0, s38, s18
	s_add_u32 s40, s1, s50
	s_addc_u32 s41, s0, s3
	s_cbranch_execz .LBB503_22
	s_branch .LBB503_23
.LBB503_21:
                                        ; implicit-def: $sgpr40_sgpr41
.LBB503_22:
	s_mul_i32 s1, s50, s16
	s_mul_hi_i32 s0, s50, s16
	s_add_u32 s40, s1, s38
	s_addc_u32 s41, s0, s2
.LBB503_23:
	s_add_i32 s3, s45, s46
	s_ashr_i32 s16, s33, 31
	s_add_u32 s0, s49, s38
	s_addc_u32 s1, s48, s2
	v_lshlrev_b32_e32 v10, 5, v48
	s_waitcnt vmcnt(4)
	v_lshlrev_b32_e32 v22, 2, v42
	s_mov_b32 s2, 0x7060302
	v_xor_b32_e32 v2, v48, v22
	v_perm_b32 v9, v5, v77, s2
	v_or_b32_e32 v5, v10, v22
	v_perm_b32 v8, v75, v76, s2
	v_perm_b32 v7, v6, v73, s2
	;; [unrolled: 1-line block ×3, first 2 shown]
	v_lshlrev_b32_e32 v5, 1, v5
	v_lshlrev_b32_e32 v12, 1, v2
	;; [unrolled: 1-line block ×3, first 2 shown]
	s_lshl_b64 s[28:29], s[0:1], 8
	v_xor_b32_e32 v11, v49, v22
	ds_write2st64_b64 v5, v[8:9], v[6:7] offset0:80 offset1:88
	v_or_b32_e32 v5, v12, v2
	s_add_u32 s0, s6, s28
	ds_write_b64 v5, v[8:9]
	v_lshlrev_b32_e32 v8, 1, v11
	s_addc_u32 s1, s7, s29
	v_or_b32_e32 v2, v8, v2
	s_mul_hi_i32 s6, s3, s17
	s_mul_i32 s3, s3, s17
	ds_write_b64 v2, v[6:7]
	v_perm_b32 v5, v4, v69, s2
	v_perm_b32 v4, v67, v68, s2
	;; [unrolled: 1-line block ×4, first 2 shown]
	v_or_b32_e32 v6, 16, v42
	s_add_u32 s2, s3, s33
	s_waitcnt vmcnt(2)
	v_lshlrev_b32_e32 v19, 2, v6
	s_addc_u32 s3, s6, s16
	v_or_b32_e32 v7, v10, v19
	s_ashr_i32 s37, s36, 31
	s_lshl_b64 s[2:3], s[2:3], 15
	v_lshlrev_b32_e32 v7, 1, v7
	v_lshlrev_b32_e32 v6, 8, v6
	s_add_u32 s6, s12, s2
	ds_write2st64_b64 v7, v[4:5], v[2:3] offset0:80 offset1:88
	v_or_b32_e32 v7, v12, v6
	s_addc_u32 s7, s13, s3
	s_lshl_b64 s[2:3], s[36:37], 8
	ds_write_b64 v7, v[4:5]
	v_or_b32_e32 v4, v8, v6
	s_add_u32 s2, s6, s2
	ds_write_b64 v4, v[2:3]
	v_lshrrev_b32_e32 v2, 4, v0
	s_addc_u32 s3, s7, s3
	v_lshlrev_b32_e32 v3, 1, v42
	v_lshlrev_b32_e32 v10, 4, v42
	v_mov_b32_e32 v11, 0
	v_or_b32_e32 v4, 1, v3
	v_xor_b32_e32 v3, v2, v3
	v_lshl_add_u64 v[12:13], s[2:3], 0, v[10:11]
	v_lshlrev_b32_e32 v10, 8, v2
	v_xor_b32_e32 v6, v4, v2
	v_lshl_or_b32 v2, v3, 3, v10
	s_waitcnt lgkmcnt(0)
	s_barrier
	ds_read2st64_b64 v[2:5], v2 offset1:8
	v_lshl_or_b32 v6, v6, 3, v10
	ds_read2st64_b64 v[6:9], v6 offset1:8
	v_lshl_add_u64 v[14:15], v[12:13], 0, v[10:11]
	s_movk_i32 s2, 0x1000
	s_waitcnt lgkmcnt(1)
	v_mov_b32_e32 v10, v2
	v_add_co_u32_e32 v2, vcc, s2, v14
	s_cmp_lg_u32 s47, 64
	v_mov_b32_e32 v11, v3
	v_addc_co_u32_e32 v3, vcc, 0, v15, vcc
	s_cselect_b64 s[6:7], -1, 0
	v_lshl_or_b32 v23, v44, 3, v47
	s_waitcnt lgkmcnt(0)
	v_mov_b32_e32 v12, v6
	v_mov_b32_e32 v13, v7
	;; [unrolled: 1-line block ×4, first 2 shown]
	s_mov_b32 s24, 0
	v_or_b32_e32 v20, 32, v23
	v_and_b32_e32 v18, 56, v46
	s_and_b64 vcc, exec, s[6:7]
	global_store_dwordx4 v[14:15], v[10:13], off
	global_store_dwordx4 v[2:3], v[6:9], off
	s_cbranch_vccz .LBB503_29
; %bb.24:
	s_mov_b32 s25, s24
	s_mov_b32 s26, s24
	;; [unrolled: 1-line block ×3, first 2 shown]
	v_mov_b64_e32 v[6:7], s[24:25]
	v_mov_b64_e32 v[8:9], s[26:27]
	;; [unrolled: 1-line block ×3, first 2 shown]
	v_cmp_gt_i32_e32 vcc, s47, v23
	v_mov_b64_e32 v[4:5], v[8:9]
	s_and_saveexec_b64 s[2:3], vcc
	s_cbranch_execz .LBB503_26
; %bb.25:
	v_lshlrev_b32_e32 v2, 8, v23
	v_mov_b32_e32 v3, 0
	v_lshl_add_u64 v[4:5], s[0:1], 0, v[2:3]
	v_lshlrev_b32_e32 v2, 1, v18
	v_lshl_add_u64 v[10:11], v[4:5], 0, v[2:3]
	global_load_dwordx4 v[6:9], v[10:11], off
	global_load_dwordx4 v[2:5], v[10:11], off offset:128
.LBB503_26:
	s_or_b64 exec, exec, s[2:3]
	s_mov_b32 s25, s24
	s_mov_b32 s26, s24
	;; [unrolled: 1-line block ×3, first 2 shown]
	v_mov_b64_e32 v[14:15], s[24:25]
	v_mov_b64_e32 v[16:17], s[26:27]
	v_mov_b64_e32 v[10:11], v[14:15]
	v_cmp_gt_i32_e32 vcc, s47, v20
	v_lshlrev_b32_e32 v21, 7, v20
	v_mov_b64_e32 v[12:13], v[16:17]
	s_and_saveexec_b64 s[2:3], vcc
	s_cbranch_execz .LBB503_28
; %bb.27:
	v_lshlrev_b32_e32 v10, 1, v21
	v_mov_b32_e32 v11, 0
	v_lshl_add_u64 v[12:13], s[0:1], 0, v[10:11]
	v_lshlrev_b32_e32 v10, 1, v18
	v_lshl_add_u64 v[24:25], v[12:13], 0, v[10:11]
	global_load_dwordx4 v[14:17], v[24:25], off
	global_load_dwordx4 v[10:13], v[24:25], off offset:128
.LBB503_28:
	s_or_b64 exec, exec, s[2:3]
	v_lshrrev_b32_e32 v24, 3, v18
	v_lshlrev_b32_e32 v25, 3, v23
	v_or_b32_e32 v24, v25, v24
	v_lshlrev_b32_e32 v24, 4, v24
	v_and_b32_e32 v25, 0x78, v25
	v_xor_b32_e32 v24, v24, v25
	s_branch .LBB503_31
.LBB503_29:
                                        ; implicit-def: $vgpr24
                                        ; implicit-def: $vgpr21
                                        ; implicit-def: $vgpr6_vgpr7_vgpr8_vgpr9
                                        ; implicit-def: $vgpr2_vgpr3_vgpr4_vgpr5
                                        ; implicit-def: $vgpr14_vgpr15_vgpr16_vgpr17
                                        ; implicit-def: $vgpr10_vgpr11_vgpr12_vgpr13
	s_cbranch_execz .LBB503_31
; %bb.30:
	s_waitcnt vmcnt(0)
	v_lshlrev_b32_e32 v2, 1, v18
	v_lshl_or_b32 v21, v23, 8, v2
	s_and_b32 s1, s1, 0xffff
	s_mov_b32 s3, 0x20000
	s_movk_i32 s2, 0x4000
	v_lshl_or_b32 v24, v20, 8, v2
	s_movk_i32 s12, 0x80
	buffer_load_dwordx4 v[6:9], v21, s[0:3], 0 offen
	buffer_load_dwordx4 v[2:5], v21, s[0:3], s12 offen
	;; [unrolled: 1-line block ×4, first 2 shown]
	v_lshrrev_b32_e32 v21, 3, v18
	v_lshlrev_b32_e32 v24, 3, v23
	v_or_b32_e32 v21, v24, v21
	v_lshlrev_b32_e32 v21, 4, v21
	v_and_b32_e32 v24, 0x78, v24
	v_xor_b32_e32 v24, v21, v24
	v_lshlrev_b32_e32 v21, 7, v20
.LBB503_31:
	s_lshl_b64 s[0:1], s[40:41], 8
	s_add_u32 s4, s4, s0
	s_movk_i32 s0, 0x1000
	v_and_or_b32 v20, v21, s0, v24
	s_waitcnt vmcnt(1)
	ds_write_b64 v24, v[6:7] offset:24576
	v_xor_b32_e32 v6, 8, v24
	ds_write_b64 v6, v[8:9] offset:24576
	s_waitcnt vmcnt(0)
	ds_write_b64 v24, v[2:3] offset:32768
	ds_write_b64 v6, v[4:5] offset:32768
	;; [unrolled: 1-line block ×3, first 2 shown]
	v_xor_b32_e32 v2, 8, v20
	ds_write_b64 v2, v[16:17] offset:24576
	ds_write_b64 v20, v[10:11] offset:32768
	;; [unrolled: 1-line block ×3, first 2 shown]
	v_or_b32_e32 v2, v1, v42
	v_lshlrev_b32_e32 v3, 11, v44
	v_lshlrev_b32_e32 v2, 3, v2
	v_and_b32_e32 v6, 0x1000, v3
	v_lshrrev_b32_e32 v3, 5, v43
	s_movk_i32 s13, 0xf8
	v_and_or_b32 v3, v2, s13, v3
	v_lshlrev_b32_e32 v7, 4, v3
	v_and_b32_e32 v8, 0x78, v2
	v_or_b32_e32 v10, 32, v7
	v_lshrrev_b32_e32 v3, 1, v43
	v_xor_b32_e32 v10, v10, v8
	v_xor_b32_e32 v2, v7, v8
	v_and_b32_e32 v9, 8, v3
	v_or_b32_e32 v10, v10, v6
	v_or_b32_e32 v2, v2, v6
	v_xor_b32_e32 v26, v10, v9
	v_or_b32_e32 v10, 64, v7
	v_xor_b32_e32 v25, v2, v9
	v_xor_b32_e32 v10, v10, v8
	s_waitcnt lgkmcnt(0)
	s_barrier
	v_or_b32_e32 v12, v10, v6
	ds_read_b64 v[10:11], v25 offset:24576
	v_lshl_or_b32 v20, v45, 7, v22
	v_lshlrev_b32_e32 v24, 1, v20
	v_add_u32_e32 v2, 0xa000, v24
	ds_read2_b64 v[2:5], v2 offset1:16
	v_or_b32_e32 v7, 0x60, v7
	v_xor_b32_e32 v7, v7, v8
	s_waitcnt lgkmcnt(0)
	v_mfma_f32_16x16x16_bf16 a[0:3], v[10:11], v[2:3], 0
	v_or_b32_e32 v2, 64, v20
	v_or_b32_e32 v6, v7, v6
	v_lshlrev_b32_e32 v29, 1, v2
	v_xor_b32_e32 v27, v12, v9
	v_xor_b32_e32 v28, v6, v9
	ds_read_b64 v[12:13], v26 offset:24576
	ds_read_b64 v[14:15], v27 offset:24576
	;; [unrolled: 1-line block ×3, first 2 shown]
	v_mfma_f32_16x16x16_bf16 a[4:7], v[10:11], v[4:5], 0
	ds_read2st64_b64 v[2:5], v29 offset0:82 offset1:84
	ds_read2st64_b64 v[6:9], v24 offset0:82 offset1:84
	s_addc_u32 s5, s5, s1
	s_add_i32 s2, s39, -1
	s_add_i32 s0, s43, s42
	s_add_i32 s21, s0, s44
	s_mul_i32 s0, s33, s23
	s_mul_hi_u32 s1, s33, s22
	s_ashr_i32 s3, s2, 31
	s_mul_i32 s12, s2, s35
	s_mul_hi_u32 s13, s2, s34
	s_add_i32 s0, s1, s0
	s_mul_i32 s1, s16, s22
	s_add_i32 s12, s13, s12
	s_mul_i32 s3, s3, s34
	s_waitcnt lgkmcnt(1)
	v_mfma_f32_16x16x16_bf16 a[4:7], v[12:13], v[2:3], a[4:7]
	s_add_i32 s1, s0, s1
	s_add_i32 s3, s12, s3
	s_lshl_b64 s[12:13], s[20:21], 2
	s_waitcnt lgkmcnt(0)
	v_mfma_f32_16x16x16_bf16 a[0:3], v[12:13], v[6:7], a[0:3]
	s_mul_i32 s0, s33, s22
	s_add_u32 s10, s10, s12
	s_addc_u32 s11, s11, s13
	s_lshl_b64 s[0:1], s[0:1], 2
	s_mul_i32 s2, s2, s34
	s_add_u32 s10, s10, s0
	ds_read_b64 v[2:3], v24 offset:44032
	v_mfma_f32_16x16x16_bf16 a[4:7], v[14:15], v[4:5], a[4:7]
	ds_read_b64 v[4:5], v29 offset:44032
	s_addc_u32 s11, s11, s1
	s_lshl_b64 s[0:1], s[2:3], 2
	v_mfma_f32_16x16x16_bf16 a[0:3], v[14:15], v[8:9], a[0:3]
	s_add_u32 s0, s10, s0
	s_addc_u32 s1, s11, s1
	s_load_dword s12, s[0:1], 0x0
	s_waitcnt lgkmcnt(0)
	v_mfma_f32_16x16x16_bf16 a[0:3], v[16:17], v[2:3], a[0:3]
	s_and_b64 vcc, exec, s[30:31]
	v_mfma_f32_16x16x16_bf16 a[4:7], v[16:17], v[4:5], a[4:7]
	s_cbranch_vccz .LBB503_42
; %bb.32:
	v_lshlrev_b32_e32 v20, 1, v23
	s_and_b64 vcc, exec, s[6:7]
	s_cbranch_vccz .LBB503_43
; %bb.33:
	v_cmp_gt_i32_e32 vcc, s47, v20
	v_mov_b32_e32 v6, 0
	v_mov_b32_e32 v2, 0
	v_mov_b32_e32 v3, 0
	v_mov_b32_e32 v4, 0
	v_mov_b32_e32 v5, 0
	s_and_saveexec_b64 s[0:1], vcc
	s_cbranch_execz .LBB503_35
; %bb.34:
	v_mad_i64_i32 v[2:3], s[2:3], s19, v20, 0
	v_lshl_add_u64 v[2:3], v[2:3], 1, s[4:5]
	v_lshlrev_b32_e32 v4, 1, v18
	v_mov_b32_e32 v5, 0
	v_lshl_add_u64 v[2:3], v[2:3], 0, v[4:5]
	global_load_dwordx4 v[2:5], v[2:3], off
.LBB503_35:
	s_or_b64 exec, exec, s[0:1]
	v_or_b32_e32 v21, 1, v20
	v_cmp_gt_i32_e64 s[0:1], s47, v21
	v_mov_b32_e32 v7, 0
	v_mov_b32_e32 v8, 0
	;; [unrolled: 1-line block ×3, first 2 shown]
	s_and_saveexec_b64 s[2:3], s[0:1]
	s_cbranch_execz .LBB503_37
; %bb.36:
	v_mad_i64_i32 v[6:7], s[16:17], s19, v21, 0
	v_lshl_add_u64 v[6:7], v[6:7], 1, s[4:5]
	v_lshlrev_b32_e32 v8, 1, v18
	v_mov_b32_e32 v9, 0
	v_lshl_add_u64 v[6:7], v[6:7], 0, v[8:9]
	global_load_dwordx4 v[6:9], v[6:7], off
.LBB503_37:
	s_or_b64 exec, exec, s[2:3]
	v_mov_b32_e32 v17, 0
	v_mov_b32_e32 v10, 0
	;; [unrolled: 1-line block ×5, first 2 shown]
	s_and_saveexec_b64 s[2:3], vcc
	s_cbranch_execz .LBB503_39
; %bb.38:
	v_mad_i64_i32 v[10:11], s[16:17], s19, v20, 0
	v_lshl_add_u64 v[10:11], v[10:11], 1, s[4:5]
	v_lshlrev_b32_e32 v12, 1, v18
	v_mov_b32_e32 v13, 0
	v_lshl_add_u64 v[10:11], v[10:11], 0, v[12:13]
	global_load_dwordx4 v[10:13], v[10:11], off offset:128
.LBB503_39:
	s_or_b64 exec, exec, s[2:3]
	v_mov_b32_e32 v16, 0
	v_mov_b32_e32 v15, 0
	;; [unrolled: 1-line block ×3, first 2 shown]
	s_and_saveexec_b64 s[2:3], s[0:1]
	s_cbranch_execz .LBB503_41
; %bb.40:
	v_mad_i64_i32 v[14:15], s[0:1], s19, v21, 0
	v_lshl_add_u64 v[14:15], v[14:15], 1, s[4:5]
	v_lshlrev_b32_e32 v16, 1, v18
	v_mov_b32_e32 v17, 0
	v_lshl_add_u64 v[14:15], v[14:15], 0, v[16:17]
	global_load_dwordx4 v[14:17], v[14:15], off offset:128
.LBB503_41:
	s_or_b64 exec, exec, s[2:3]
	s_branch .LBB503_45
.LBB503_42:
                                        ; implicit-def: $vgpr5
                                        ; implicit-def: $vgpr9
                                        ; implicit-def: $vgpr13
                                        ; implicit-def: $vgpr17
	v_lshrrev_b32_e32 v30, 2, v43
	s_branch .LBB503_46
.LBB503_43:
                                        ; implicit-def: $vgpr5
                                        ; implicit-def: $vgpr9
                                        ; implicit-def: $vgpr13
                                        ; implicit-def: $vgpr17
	s_cbranch_execz .LBB503_45
; %bb.44:
	s_waitcnt vmcnt(0)
	v_mad_u64_u32 v[2:3], s[0:1], v20, s19, v[18:19]
	v_lshlrev_b32_e32 v20, 1, v2
	s_lshl_b32 s2, s19, 7
	s_and_b32 s1, s5, 0xffff
	s_mov_b32 s3, 0x20000
	s_mov_b32 s0, s4
	v_add_lshl_u32 v21, v2, s19, 1
	s_movk_i32 s13, 0x80
	buffer_load_dwordx4 v[2:5], v20, s[0:3], 0 offen
	buffer_load_dwordx4 v[10:13], v20, s[0:3], s13 offen
	;; [unrolled: 1-line block ×4, first 2 shown]
.LBB503_45:
	v_lshrrev_b32_e32 v30, 2, v43
	s_cbranch_execnz .LBB503_58
.LBB503_46:
	s_and_b64 vcc, exec, s[6:7]
	s_cbranch_vccz .LBB503_56
; %bb.47:
	s_waitcnt vmcnt(0)
	v_lshlrev_b32_e32 v7, 1, v23
	v_cmp_gt_i32_e32 vcc, s47, v7
	v_mov_b32_e32 v6, 0
	v_lshlrev_b32_e32 v14, 9, v23
	v_mov_b32_e32 v2, 0
	v_mov_b32_e32 v3, 0
	;; [unrolled: 1-line block ×4, first 2 shown]
	s_and_saveexec_b64 s[0:1], vcc
	s_cbranch_execz .LBB503_49
; %bb.48:
	v_mov_b32_e32 v15, 0
	v_lshl_add_u64 v[2:3], s[4:5], 0, v[14:15]
	v_lshlrev_b32_e32 v4, 1, v18
	v_mov_b32_e32 v5, v15
	v_lshl_add_u64 v[2:3], v[2:3], 0, v[4:5]
	global_load_dwordx4 v[2:5], v[2:3], off
.LBB503_49:
	s_or_b64 exec, exec, s[0:1]
	v_or_b32_e32 v7, 1, v7
	v_cmp_gt_i32_e64 s[0:1], s47, v7
	v_lshlrev_b32_e32 v20, 8, v7
	v_mov_b32_e32 v7, 0
	v_mov_b32_e32 v8, 0
	v_mov_b32_e32 v9, 0
	s_and_saveexec_b64 s[2:3], s[0:1]
	s_cbranch_execz .LBB503_51
; %bb.50:
	v_mov_b32_e32 v21, 0
	v_lshl_add_u64 v[6:7], s[4:5], 0, v[20:21]
	v_lshlrev_b32_e32 v8, 1, v18
	v_mov_b32_e32 v9, v21
	v_lshl_add_u64 v[6:7], v[6:7], 0, v[8:9]
	global_load_dwordx4 v[6:9], v[6:7], off
.LBB503_51:
	s_or_b64 exec, exec, s[2:3]
	v_mov_b32_e32 v17, 0
	v_mov_b32_e32 v10, 0
	;; [unrolled: 1-line block ×5, first 2 shown]
	s_and_saveexec_b64 s[2:3], vcc
	s_cbranch_execz .LBB503_53
; %bb.52:
	v_mov_b32_e32 v15, 0
	v_lshl_add_u64 v[10:11], s[4:5], 0, v[14:15]
	v_lshlrev_b32_e32 v14, 1, v18
	v_lshl_add_u64 v[10:11], v[10:11], 0, v[14:15]
	global_load_dwordx4 v[10:13], v[10:11], off offset:128
.LBB503_53:
	s_or_b64 exec, exec, s[2:3]
	v_mov_b32_e32 v16, 0
	v_mov_b32_e32 v15, 0
	;; [unrolled: 1-line block ×3, first 2 shown]
	s_and_saveexec_b64 s[2:3], s[0:1]
	s_cbranch_execz .LBB503_55
; %bb.54:
	v_mov_b32_e32 v21, 0
	v_lshl_add_u64 v[14:15], s[4:5], 0, v[20:21]
	v_lshlrev_b32_e32 v20, 1, v18
	v_lshl_add_u64 v[14:15], v[14:15], 0, v[20:21]
	global_load_dwordx4 v[14:17], v[14:15], off offset:128
.LBB503_55:
	s_or_b64 exec, exec, s[2:3]
	s_branch .LBB503_58
.LBB503_56:
                                        ; implicit-def: $vgpr5
                                        ; implicit-def: $vgpr9
                                        ; implicit-def: $vgpr13
                                        ; implicit-def: $vgpr17
	s_cbranch_execz .LBB503_58
; %bb.57:
	s_waitcnt vmcnt(0)
	v_lshlrev_b32_e32 v2, 1, v18
	v_lshl_or_b32 v18, v23, 9, v2
	s_and_b32 s5, s5, 0xffff
	s_mov_b32 s7, 0x20000
	s_movk_i32 s6, 0x4000
	s_movk_i32 s0, 0x80
	buffer_load_dwordx4 v[2:5], v18, s[4:7], 0 offen
	buffer_load_dwordx4 v[6:9], v18, s[4:7], 0 offen offset:256
	buffer_load_dwordx4 v[10:13], v18, s[4:7], s0 offen
	buffer_load_dwordx4 v[14:17], v18, s[4:7], s0 offen offset:256
.LBB503_58:
	ds_read_b64 v[20:21], v25 offset:32768
	v_add_u32_e32 v18, 0xb000, v24
	ds_read2_b64 v[32:35], v18 offset1:16
	ds_read_b64 v[40:41], v26 offset:32768
	ds_read_b64 v[26:27], v27 offset:32768
	;; [unrolled: 1-line block ×3, first 2 shown]
	v_and_b32_e32 v18, 6, v0
	v_xor_b32_e32 v23, v23, v18
	v_lshlrev_b32_e32 v23, 2, v23
	v_and_b32_e32 v0, 1, v0
	v_xor_b32_e32 v28, 0x440, v23
	v_cmp_eq_u32_e32 vcc, 0, v0
	s_waitcnt lgkmcnt(3)
	v_mfma_f32_16x16x16_bf16 a[0:3], v[20:21], v[32:33], a[0:3]
	s_mov_b32 s0, 0x1000504
	v_cndmask_b32_e32 v0, v28, v23, vcc
	v_lshl_or_b32 v0, v18, 10, v0
	v_mfma_f32_16x16x16_bf16 a[4:7], v[20:21], v[34:35], a[4:7]
	ds_read2st64_b64 v[32:35], v24 offset0:90 offset1:92
	ds_read2st64_b64 v[36:39], v29 offset0:90 offset1:92
	ds_read_b64 v[20:21], v24 offset:48128
	ds_read_b64 v[24:25], v29 offset:48128
	s_waitcnt vmcnt(0)
	v_perm_b32 v18, v2, v6, s0
	s_waitcnt lgkmcnt(3)
	v_mfma_f32_16x16x16_bf16 a[0:3], v[40:41], v[32:33], a[0:3]
	s_mov_b32 s1, 0x3020706
	v_perm_b32 v2, v2, v6, s1
	v_perm_b32 v6, v10, v14, s1
	s_waitcnt lgkmcnt(2)
	v_mfma_f32_16x16x16_bf16 a[4:7], v[40:41], v[36:37], a[4:7]
	v_mfma_f32_16x16x16_bf16 a[0:3], v[26:27], v[34:35], a[0:3]
	;; [unrolled: 1-line block ×3, first 2 shown]
	s_waitcnt lgkmcnt(1)
	v_mfma_f32_16x16x16_bf16 a[4:7], v[44:45], v[20:21], a[0:3]
	v_perm_b32 v20, v10, v14, s0
	ds_write2st64_b32 v0, v18, v20 offset0:32 offset1:64
	v_xor_b32_e32 v18, 8, v0
	v_add_u32_e32 v10, 0x80, v18
	ds_write2st64_b32 v10, v2, v6 offset0:32 offset1:64
	v_xor_b32_e32 v2, 16, v0
	v_perm_b32 v6, v3, v7, s0
	v_perm_b32 v10, v11, v15, s0
	ds_write2st64_b32 v2, v6, v10 offset0:33 offset1:65
	v_xor_b32_e32 v2, 24, v0
	v_perm_b32 v3, v3, v7, s1
	v_perm_b32 v6, v11, v15, s1
	v_add_u32_e32 v2, 0x80, v2
	ds_write2st64_b32 v2, v3, v6 offset0:33 offset1:65
	v_xor_b32_e32 v2, 32, v0
	v_perm_b32 v3, v4, v8, s0
	v_perm_b32 v6, v12, v16, s0
	s_waitcnt lgkmcnt(4)
	v_mfma_f32_16x16x16_bf16 a[0:3], v[44:45], v[24:25], a[8:11]
	ds_write2st64_b32 v2, v3, v6 offset0:34 offset1:66
	v_xor_b32_e32 v2, 40, v0
	v_perm_b32 v3, v4, v8, s1
	v_perm_b32 v4, v12, v16, s1
	v_add_u32_e32 v2, 0x80, v2
	ds_write2st64_b32 v2, v3, v4 offset0:34 offset1:66
	v_xor_b32_e32 v2, 48, v0
	v_perm_b32 v3, v5, v9, s0
	v_perm_b32 v4, v13, v17, s0
	v_xor_b32_e32 v0, 56, v0
	v_and_or_b32 v21, v30, 12, v1
	ds_write2st64_b32 v2, v3, v4 offset0:35 offset1:67
	v_perm_b32 v2, v5, v9, s1
	v_perm_b32 v3, v13, v17, s1
	v_add_u32_e32 v0, 0x80, v0
	v_cmp_gt_i32_e32 vcc, s47, v21
	v_mov_b32_e32 v16, 0
	v_mov_b32_e32 v18, 0
	ds_write2st64_b32 v0, v2, v3 offset0:35 offset1:67
	s_and_saveexec_b64 s[0:1], vcc
	s_cbranch_execz .LBB503_60
; %bb.59:
	v_add_u32_e32 v0, s38, v21
	v_ashrrev_i32_e32 v1, 31, v0
	v_mul_lo_u32 v2, v1, s34
	v_mul_lo_u32 v3, v0, s35
	v_mad_u64_u32 v[0:1], s[2:3], v0, s34, 0
	v_add3_u32 v1, v1, v3, v2
	v_lshl_add_u64 v[0:1], v[0:1], 2, s[10:11]
	global_load_dword v0, v[0:1], off
	s_waitcnt vmcnt(0)
	v_sub_f32_e32 v0, s12, v0
	v_mul_f32_e32 v0, 0x3fb8aa3b, v0
	v_exp_f32_e32 v18, v0
.LBB503_60:
	s_or_b64 exec, exec, s[0:1]
	v_or_b32_e32 v10, 1, v21
	v_cmp_gt_i32_e64 s[0:1], s47, v10
	s_and_saveexec_b64 s[2:3], s[0:1]
	s_cbranch_execz .LBB503_62
; %bb.61:
	v_add_u32_e32 v0, s38, v10
	v_ashrrev_i32_e32 v1, 31, v0
	v_mul_lo_u32 v2, v1, s34
	v_mul_lo_u32 v3, v0, s35
	v_mad_u64_u32 v[0:1], s[4:5], v0, s34, 0
	v_add3_u32 v1, v1, v3, v2
	v_lshl_add_u64 v[0:1], v[0:1], 2, s[10:11]
	global_load_dword v0, v[0:1], off
	s_waitcnt vmcnt(0)
	v_sub_f32_e32 v0, s12, v0
	v_mul_f32_e32 v0, 0x3fb8aa3b, v0
	v_exp_f32_e32 v16, v0
.LBB503_62:
	s_or_b64 exec, exec, s[2:3]
	v_or_b32_e32 v12, 2, v21
	v_cmp_gt_i32_e64 s[2:3], s47, v12
	v_mov_b32_e32 v17, 0
	v_mov_b32_e32 v20, 0
	s_and_saveexec_b64 s[4:5], s[2:3]
	s_cbranch_execz .LBB503_64
; %bb.63:
	v_add_u32_e32 v0, s38, v12
	v_ashrrev_i32_e32 v1, 31, v0
	v_mul_lo_u32 v2, v1, s34
	v_mul_lo_u32 v3, v0, s35
	v_mad_u64_u32 v[0:1], s[6:7], v0, s34, 0
	v_add3_u32 v1, v1, v3, v2
	v_lshl_add_u64 v[0:1], v[0:1], 2, s[10:11]
	global_load_dword v0, v[0:1], off
	s_waitcnt vmcnt(0)
	v_sub_f32_e32 v0, s12, v0
	v_mul_f32_e32 v0, 0x3fb8aa3b, v0
	v_exp_f32_e32 v20, v0
.LBB503_64:
	s_or_b64 exec, exec, s[4:5]
	v_or_b32_e32 v14, 3, v21
	v_cmp_gt_i32_e64 s[4:5], s47, v14
	s_and_saveexec_b64 s[6:7], s[4:5]
	s_cbranch_execz .LBB503_66
; %bb.65:
	v_add_u32_e32 v0, s38, v14
	v_ashrrev_i32_e32 v1, 31, v0
	v_mul_lo_u32 v2, v1, s34
	v_mul_lo_u32 v3, v0, s35
	v_mad_u64_u32 v[0:1], s[16:17], v0, s34, 0
	v_add3_u32 v1, v1, v3, v2
	v_lshl_add_u64 v[0:1], v[0:1], 2, s[10:11]
	global_load_dword v0, v[0:1], off
	s_waitcnt vmcnt(0)
	v_sub_f32_e32 v0, s12, v0
	v_mul_f32_e32 v0, 0x3fb8aa3b, v0
	v_exp_f32_e32 v17, v0
.LBB503_66:
	s_or_b64 exec, exec, s[6:7]
	s_add_u32 s6, s8, s28
	v_or_b32_e32 v4, s36, v42
	s_addc_u32 s7, s9, s29
	s_add_u32 s8, s14, s28
	v_ashrrev_i32_e32 v5, 31, v4
	v_accvgpr_read_b32 v0, a4
	s_addc_u32 s9, s15, s29
	v_lshlrev_b64 v[4:5], 1, v[4:5]
	v_accvgpr_read_b32 v1, a5
	v_accvgpr_read_b32 v2, a6
	;; [unrolled: 1-line block ×3, first 2 shown]
	v_lshl_add_u64 v[6:7], s[6:7], 0, v[4:5]
	v_lshl_add_u64 v[4:5], s[8:9], 0, v[4:5]
	v_mov_b32_e32 v11, 0
	v_lshlrev_b32_e32 v8, 8, v21
	v_mov_b32_e32 v9, 0
	s_and_saveexec_b64 s[6:7], vcc
	s_cbranch_execz .LBB503_68
; %bb.67:
	v_mov_b32_e32 v9, 0
	v_lshl_add_u64 v[24:25], v[6:7], 0, v[8:9]
	global_load_ushort v13, v[24:25], off
	v_lshl_add_u64 v[24:25], v[4:5], 0, v[8:9]
	s_waitcnt vmcnt(0)
	v_lshlrev_b32_e32 v9, 16, v13
	v_sub_f32_e32 v0, v9, v0
	global_store_short_d16_hi v[24:25], v0, off
	v_mul_f32_e32 v0, v18, v0
	v_lshrrev_b32_e32 v9, 16, v0
.LBB503_68:
	s_or_b64 exec, exec, s[6:7]
	v_lshlrev_b32_e32 v10, 8, v10
	s_and_saveexec_b64 s[6:7], s[0:1]
	s_cbranch_execz .LBB503_70
; %bb.69:
	v_mov_b32_e32 v11, 0
	v_lshl_add_u64 v[24:25], v[6:7], 0, v[10:11]
	global_load_ushort v0, v[24:25], off
	v_lshl_add_u64 v[24:25], v[4:5], 0, v[10:11]
	s_waitcnt vmcnt(0)
	v_lshlrev_b32_e32 v0, 16, v0
	v_sub_f32_e32 v0, v0, v1
	global_store_short_d16_hi v[24:25], v0, off
	v_mul_f32_e32 v0, v16, v0
	v_lshrrev_b32_e32 v11, 16, v0
.LBB503_70:
	s_or_b64 exec, exec, s[6:7]
	v_mov_b32_e32 v15, 0
	v_lshlrev_b32_e32 v12, 8, v12
	v_mov_b32_e32 v13, 0
	s_and_saveexec_b64 s[6:7], s[2:3]
	s_cbranch_execz .LBB503_72
; %bb.71:
	v_mov_b32_e32 v13, 0
	v_lshl_add_u64 v[0:1], v[6:7], 0, v[12:13]
	global_load_ushort v23, v[0:1], off
	v_lshl_add_u64 v[0:1], v[4:5], 0, v[12:13]
	s_waitcnt vmcnt(0)
	v_lshlrev_b32_e32 v13, 16, v23
	v_sub_f32_e32 v2, v13, v2
	global_store_short_d16_hi v[0:1], v2, off
	v_mul_f32_e32 v0, v20, v2
	v_lshrrev_b32_e32 v13, 16, v0
.LBB503_72:
	s_or_b64 exec, exec, s[6:7]
	v_lshlrev_b32_e32 v14, 8, v14
	s_and_saveexec_b64 s[6:7], s[4:5]
	s_cbranch_execz .LBB503_74
; %bb.73:
	v_mov_b32_e32 v15, 0
	v_lshl_add_u64 v[0:1], v[6:7], 0, v[14:15]
	global_load_ushort v2, v[0:1], off
	v_lshl_add_u64 v[0:1], v[4:5], 0, v[14:15]
	s_waitcnt vmcnt(0)
	v_lshlrev_b32_e32 v2, 16, v2
	v_sub_f32_e32 v2, v2, v3
	global_store_short_d16_hi v[0:1], v2, off
	v_mul_f32_e32 v0, v17, v2
	v_lshrrev_b32_e32 v15, 16, v0
.LBB503_74:
	s_or_b64 exec, exec, s[6:7]
	v_lshlrev_b32_e32 v21, 5, v21
	s_mov_b32 s6, 0x5040100
	v_perm_b32 v24, v11, v9, s6
	v_or_b32_e32 v9, v21, v22
	v_accvgpr_read_b32 v0, a0
	v_perm_b32 v25, v15, v13, s6
	v_lshlrev_b32_e32 v9, 1, v9
	v_accvgpr_read_b32 v1, a1
	v_accvgpr_read_b32 v2, a2
	;; [unrolled: 1-line block ×3, first 2 shown]
	ds_write_b64 v9, v[24:25] offset:45056
	v_mov_b32_e32 v11, 0
	v_mov_b32_e32 v9, 0
	s_and_saveexec_b64 s[6:7], vcc
	s_cbranch_execz .LBB503_76
; %bb.75:
	v_mov_b32_e32 v9, 0
	v_lshl_add_u64 v[22:23], v[6:7], 0, v[8:9]
	global_load_ushort v13, v[22:23], off offset:32
	v_lshl_add_u64 v[8:9], v[4:5], 0, v[8:9]
	s_waitcnt vmcnt(0)
	v_lshlrev_b32_e32 v13, 16, v13
	v_sub_f32_e32 v0, v13, v0
	global_store_short_d16_hi v[8:9], v0, off offset:32
	v_mul_f32_e32 v0, v18, v0
	v_lshrrev_b32_e32 v9, 16, v0
.LBB503_76:
	s_or_b64 exec, exec, s[6:7]
	s_and_saveexec_b64 s[6:7], s[0:1]
	s_cbranch_execz .LBB503_78
; %bb.77:
	v_mov_b32_e32 v11, 0
	v_lshl_add_u64 v[22:23], v[6:7], 0, v[10:11]
	global_load_ushort v0, v[22:23], off offset:32
	v_lshl_add_u64 v[10:11], v[4:5], 0, v[10:11]
	s_waitcnt vmcnt(0)
	v_lshlrev_b32_e32 v0, 16, v0
	v_sub_f32_e32 v0, v0, v1
	global_store_short_d16_hi v[10:11], v0, off offset:32
	v_mul_f32_e32 v0, v16, v0
	v_lshrrev_b32_e32 v11, 16, v0
.LBB503_78:
	s_or_b64 exec, exec, s[6:7]
	v_mov_b32_e32 v0, 0
	v_mov_b32_e32 v1, 0
	s_and_saveexec_b64 s[0:1], s[2:3]
	s_cbranch_execz .LBB503_80
; %bb.79:
	v_mov_b32_e32 v13, 0
	v_lshl_add_u64 v[22:23], v[6:7], 0, v[12:13]
	global_load_ushort v1, v[22:23], off offset:32
	v_lshl_add_u64 v[12:13], v[4:5], 0, v[12:13]
	s_waitcnt vmcnt(0)
	v_lshlrev_b32_e32 v1, 16, v1
	v_sub_f32_e32 v1, v1, v2
	global_store_short_d16_hi v[12:13], v1, off offset:32
	v_mul_f32_e32 v1, v20, v1
	v_lshrrev_b32_e32 v1, 16, v1
.LBB503_80:
	s_or_b64 exec, exec, s[0:1]
	s_and_saveexec_b64 s[0:1], s[4:5]
	s_cbranch_execz .LBB503_82
; %bb.81:
	v_mov_b32_e32 v15, 0
	v_lshl_add_u64 v[6:7], v[6:7], 0, v[14:15]
	global_load_ushort v0, v[6:7], off offset:32
	v_lshl_add_u64 v[4:5], v[4:5], 0, v[14:15]
	s_waitcnt vmcnt(0)
	v_lshlrev_b32_e32 v0, 16, v0
	v_sub_f32_e32 v0, v0, v3
	global_store_short_d16_hi v[4:5], v0, off offset:32
	v_mul_f32_e32 v0, v17, v0
	v_lshrrev_b32_e32 v0, 16, v0
.LBB503_82:
	s_or_b64 exec, exec, s[0:1]
	s_mov_b32 s0, 0x5040100
	v_or_b32_e32 v2, v21, v19
	v_perm_b32 v1, v0, v1, s0
	v_perm_b32 v0, v11, v9, s0
	v_lshlrev_b32_e32 v2, 1, v2
	ds_write_b64 v2, v[0:1] offset:45056
	s_waitcnt lgkmcnt(0)
	s_barrier
.LBB503_83:
	s_endpgm
	.section	.rodata,"a",@progbits
	.p2align	6, 0x0
	.amdhsa_kernel _ZN12_GLOBAL__N_139chunk_gated_delta_rule_fwd_h_hip_kernelILi32ELb0ELb0ELb1ELb1ELb0ELb0ELb0ELb0EEEvPK12hip_bfloat16S3_S3_PKfS5_PKvPS1_S8_PvPKiSB_iiiiilll
		.amdhsa_group_segment_fixed_size 49152
		.amdhsa_private_segment_fixed_size 0
		.amdhsa_kernarg_size 136
		.amdhsa_user_sgpr_count 2
		.amdhsa_user_sgpr_dispatch_ptr 0
		.amdhsa_user_sgpr_queue_ptr 0
		.amdhsa_user_sgpr_kernarg_segment_ptr 1
		.amdhsa_user_sgpr_dispatch_id 0
		.amdhsa_user_sgpr_kernarg_preload_length 0
		.amdhsa_user_sgpr_kernarg_preload_offset 0
		.amdhsa_user_sgpr_private_segment_size 0
		.amdhsa_uses_dynamic_stack 0
		.amdhsa_enable_private_segment 0
		.amdhsa_system_sgpr_workgroup_id_x 1
		.amdhsa_system_sgpr_workgroup_id_y 1
		.amdhsa_system_sgpr_workgroup_id_z 0
		.amdhsa_system_sgpr_workgroup_info 0
		.amdhsa_system_vgpr_workitem_id 0
		.amdhsa_next_free_vgpr 156
		.amdhsa_next_free_sgpr 62
		.amdhsa_accum_offset 136
		.amdhsa_reserve_vcc 1
		.amdhsa_float_round_mode_32 0
		.amdhsa_float_round_mode_16_64 0
		.amdhsa_float_denorm_mode_32 3
		.amdhsa_float_denorm_mode_16_64 3
		.amdhsa_dx10_clamp 1
		.amdhsa_ieee_mode 1
		.amdhsa_fp16_overflow 0
		.amdhsa_tg_split 0
		.amdhsa_exception_fp_ieee_invalid_op 0
		.amdhsa_exception_fp_denorm_src 0
		.amdhsa_exception_fp_ieee_div_zero 0
		.amdhsa_exception_fp_ieee_overflow 0
		.amdhsa_exception_fp_ieee_underflow 0
		.amdhsa_exception_fp_ieee_inexact 0
		.amdhsa_exception_int_div_zero 0
	.end_amdhsa_kernel
	.section	.text._ZN12_GLOBAL__N_139chunk_gated_delta_rule_fwd_h_hip_kernelILi32ELb0ELb0ELb1ELb1ELb0ELb0ELb0ELb0EEEvPK12hip_bfloat16S3_S3_PKfS5_PKvPS1_S8_PvPKiSB_iiiiilll,"axG",@progbits,_ZN12_GLOBAL__N_139chunk_gated_delta_rule_fwd_h_hip_kernelILi32ELb0ELb0ELb1ELb1ELb0ELb0ELb0ELb0EEEvPK12hip_bfloat16S3_S3_PKfS5_PKvPS1_S8_PvPKiSB_iiiiilll,comdat
.Lfunc_end503:
	.size	_ZN12_GLOBAL__N_139chunk_gated_delta_rule_fwd_h_hip_kernelILi32ELb0ELb0ELb1ELb1ELb0ELb0ELb0ELb0EEEvPK12hip_bfloat16S3_S3_PKfS5_PKvPS1_S8_PvPKiSB_iiiiilll, .Lfunc_end503-_ZN12_GLOBAL__N_139chunk_gated_delta_rule_fwd_h_hip_kernelILi32ELb0ELb0ELb1ELb1ELb0ELb0ELb0ELb0EEEvPK12hip_bfloat16S3_S3_PKfS5_PKvPS1_S8_PvPKiSB_iiiiilll
                                        ; -- End function
	.section	.AMDGPU.csdata,"",@progbits
; Kernel info:
; codeLenInByte = 8604
; NumSgprs: 68
; NumVgprs: 134
; NumAgprs: 20
; TotalNumVgprs: 156
; ScratchSize: 0
; MemoryBound: 0
; FloatMode: 240
; IeeeMode: 1
; LDSByteSize: 49152 bytes/workgroup (compile time only)
; SGPRBlocks: 8
; VGPRBlocks: 19
; NumSGPRsForWavesPerEU: 68
; NumVGPRsForWavesPerEU: 156
; AccumOffset: 136
; Occupancy: 1
; WaveLimiterHint : 1
; COMPUTE_PGM_RSRC2:SCRATCH_EN: 0
; COMPUTE_PGM_RSRC2:USER_SGPR: 2
; COMPUTE_PGM_RSRC2:TRAP_HANDLER: 0
; COMPUTE_PGM_RSRC2:TGID_X_EN: 1
; COMPUTE_PGM_RSRC2:TGID_Y_EN: 1
; COMPUTE_PGM_RSRC2:TGID_Z_EN: 0
; COMPUTE_PGM_RSRC2:TIDIG_COMP_CNT: 0
; COMPUTE_PGM_RSRC3_GFX90A:ACCUM_OFFSET: 33
; COMPUTE_PGM_RSRC3_GFX90A:TG_SPLIT: 0
	.section	.text._ZN12_GLOBAL__N_139chunk_gated_delta_rule_fwd_h_hip_kernelILi32ELb0ELb0ELb0ELb1ELb0ELb0ELb0ELb0EEEvPK12hip_bfloat16S3_S3_PKfS5_PKvPS1_S8_PvPKiSB_iiiiilll,"axG",@progbits,_ZN12_GLOBAL__N_139chunk_gated_delta_rule_fwd_h_hip_kernelILi32ELb0ELb0ELb0ELb1ELb0ELb0ELb0ELb0EEEvPK12hip_bfloat16S3_S3_PKfS5_PKvPS1_S8_PvPKiSB_iiiiilll,comdat
	.globl	_ZN12_GLOBAL__N_139chunk_gated_delta_rule_fwd_h_hip_kernelILi32ELb0ELb0ELb0ELb1ELb0ELb0ELb0ELb0EEEvPK12hip_bfloat16S3_S3_PKfS5_PKvPS1_S8_PvPKiSB_iiiiilll ; -- Begin function _ZN12_GLOBAL__N_139chunk_gated_delta_rule_fwd_h_hip_kernelILi32ELb0ELb0ELb0ELb1ELb0ELb0ELb0ELb0EEEvPK12hip_bfloat16S3_S3_PKfS5_PKvPS1_S8_PvPKiSB_iiiiilll
	.p2align	8
	.type	_ZN12_GLOBAL__N_139chunk_gated_delta_rule_fwd_h_hip_kernelILi32ELb0ELb0ELb0ELb1ELb0ELb0ELb0ELb0EEEvPK12hip_bfloat16S3_S3_PKfS5_PKvPS1_S8_PvPKiSB_iiiiilll,@function
_ZN12_GLOBAL__N_139chunk_gated_delta_rule_fwd_h_hip_kernelILi32ELb0ELb0ELb0ELb1ELb0ELb0ELb0ELb0EEEvPK12hip_bfloat16S3_S3_PKfS5_PKvPS1_S8_PvPKiSB_iiiiilll: ; @_ZN12_GLOBAL__N_139chunk_gated_delta_rule_fwd_h_hip_kernelILi32ELb0ELb0ELb0ELb1ELb0ELb0ELb0ELb0EEEvPK12hip_bfloat16S3_S3_PKfS5_PKvPS1_S8_PvPKiSB_iiiiilll
; %bb.0:
	s_load_dwordx4 s[12:15], s[0:1], 0x5c
	s_load_dwordx4 s[16:19], s[0:1], 0x70
	s_abs_i32 s21, s3
	s_ashr_i32 s20, s3, 31
	s_load_dwordx2 s[36:37], s[0:1], 0x30
	s_load_dwordx4 s[24:27], s[0:1], 0x48
	s_waitcnt lgkmcnt(0)
	s_abs_i32 s28, s13
	v_cvt_f32_u32_e32 v1, s28
	s_sub_i32 s22, 0, s28
	s_ashr_i32 s29, s13, 31
	s_xor_b32 s20, s20, s29
	v_rcp_iflag_f32_e32 v1, v1
	s_load_dwordx8 s[4:11], s[0:1], 0x0
	v_lshrrev_b32_e32 v42, 6, v0
	v_bfe_u32 v43, v0, 4, 2
	v_mul_f32_e32 v1, 0x4f7ffffe, v1
	v_cvt_u32_f32_e32 v1, v1
	v_lshlrev_b32_e32 v2, 2, v43
	v_and_b32_e32 v41, 63, v0
	v_and_b32_e32 v40, 15, v0
	v_readfirstlane_b32 s23, v1
	s_mul_i32 s22, s22, s23
	s_mul_hi_u32 s22, s23, s22
	s_add_i32 s23, s23, s22
	s_mul_hi_u32 s22, s21, s23
	s_mul_i32 s23, s22, s28
	s_sub_i32 s21, s21, s23
	s_add_i32 s30, s22, 1
	s_sub_i32 s23, s21, s28
	s_cmp_ge_u32 s21, s28
	s_cselect_b32 s22, s30, s22
	s_cselect_b32 s21, s23, s21
	s_add_i32 s23, s22, 1
	s_cmp_ge_u32 s21, s28
	s_cselect_b32 s21, s23, s22
	s_xor_b32 s21, s21, s20
	s_sub_i32 s20, s21, s20
	s_mul_i32 s21, s20, s13
	s_sub_i32 s33, s3, s21
	s_ashr_i32 s21, s20, 31
	s_lshl_b64 s[22:23], s[20:21], 2
	s_add_u32 s24, s24, s22
	s_addc_u32 s25, s25, s23
	s_add_u32 s22, s26, s22
	s_addc_u32 s23, s27, s23
	s_abs_i32 s3, s14
	v_cvt_f32_u32_e32 v1, s3
	s_load_dwordx2 s[34:35], s[24:25], 0x0
	s_sub_i32 s25, 0, s3
	s_load_dword s44, s[22:23], 0x0
	v_rcp_iflag_f32_e32 v1, v1
	v_mov_b32_e32 v3, 0
	s_waitcnt lgkmcnt(0)
	s_sub_i32 s45, s35, s34
	s_ashr_i32 s24, s45, 31
	v_mul_f32_e32 v1, 0x4f7ffffe, v1
	v_cvt_u32_f32_e32 v1, v1
	s_lshr_b32 s24, s24, 26
	s_add_i32 s24, s45, s24
	s_ashr_i32 s43, s24, 6
	v_readfirstlane_b32 s26, v1
	s_mul_i32 s25, s25, s26
	s_mul_hi_u32 s25, s26, s25
	s_add_i32 s26, s26, s25
	s_mul_hi_u32 s25, s28, s26
	s_mul_i32 s26, s25, s3
	s_ashr_i32 s24, s14, 31
	s_sub_i32 s26, s28, s26
	s_xor_b32 s24, s29, s24
	s_add_i32 s27, s25, 1
	s_sub_i32 s28, s26, s3
	s_cmp_ge_u32 s26, s3
	s_cselect_b32 s25, s27, s25
	s_cselect_b32 s26, s28, s26
	s_add_i32 s27, s25, 1
	s_cmp_ge_u32 s26, s3
	s_cselect_b32 s3, s27, s25
	s_xor_b32 s3, s3, s24
	s_sub_i32 s3, s3, s24
	s_abs_i32 s24, s3
	v_cvt_f32_u32_e32 v1, s24
	s_load_dwordx2 s[28:29], s[0:1], 0x80
	s_xor_b32 s0, s33, s3
	s_sub_i32 s3, 0, s24
	v_rcp_iflag_f32_e32 v1, v1
	s_abs_i32 s1, s33
	s_ashr_i32 s0, s0, 31
	s_mul_hi_i32 s46, s33, s12
	v_mul_f32_e32 v1, 0x4f7ffffe, v1
	v_cvt_u32_f32_e32 v1, v1
	s_mul_i32 s47, s33, s12
	v_lshrrev_b32_e32 v45, 3, v41
	v_lshlrev_b32_e32 v44, 3, v0
	v_readfirstlane_b32 s22, v1
	s_mul_i32 s3, s3, s22
	s_mul_hi_u32 s3, s22, s3
	s_add_i32 s22, s22, s3
	s_mul_hi_u32 s3, s1, s22
	s_mul_i32 s22, s3, s24
	s_sub_i32 s1, s1, s22
	s_add_i32 s22, s3, 1
	s_sub_i32 s23, s1, s24
	s_cmp_ge_u32 s1, s24
	s_cselect_b32 s3, s22, s3
	s_cselect_b32 s1, s23, s1
	s_add_i32 s22, s3, 1
	s_cmp_ge_u32 s1, s24
	s_cselect_b32 s1, s22, s3
	s_xor_b32 s1, s1, s0
	v_lshlrev_b32_e32 v1, 4, v42
	s_sub_i32 s48, s1, s0
	v_or_b32_e32 v46, v2, v1
	s_lshl_b32 s30, s2, 5
	v_or_b32_e32 v47, 64, v46
	s_cmp_lt_i32 s45, 64
	s_mul_i32 s40, s20, s17
	s_mul_hi_u32 s41, s20, s16
	s_mul_i32 s42, s21, s16
	s_mul_i32 s16, s20, s16
	v_mov_b32_e32 v64, 0
	v_mov_b32_e32 v62, 0
	;; [unrolled: 1-line block ×15, first 2 shown]
	s_cbranch_scc1 .LBB504_18
; %bb.1:
	s_ashr_i32 s51, s33, 31
	s_ashr_i32 s1, s34, 31
	s_add_u32 s0, s47, s34
	s_addc_u32 s1, s46, s1
	s_lshl_b64 s[0:1], s[0:1], 8
	v_and_b32_e32 v49, 56, v44
	s_add_u32 s0, s6, s0
	v_lshl_or_b32 v48, v42, 3, v45
	v_lshlrev_b32_e32 v3, 1, v49
	s_addc_u32 s1, s7, s1
	v_lshl_or_b32 v50, v48, 8, v3
	s_and_b32 s1, s1, 0xffff
	s_mov_b32 s3, 0x20000
	s_movk_i32 s2, 0x4000
	s_movk_i32 s17, 0x80
	v_or_b32_e32 v51, 0x2000, v50
	buffer_load_dwordx4 v[4:7], v50, s[0:3], 0 offen
	buffer_load_dwordx4 v[8:11], v50, s[0:3], s17 offen
	;; [unrolled: 1-line block ×4, first 2 shown]
	v_lshlrev_b32_e32 v20, 3, v48
	v_and_or_b32 v22, v0, 7, v20
	v_and_b32_e32 v20, 0x78, v20
	v_lshlrev_b32_e32 v22, 4, v22
	v_xor_b32_e32 v52, v22, v20
	v_mul_lo_u32 v21, v48, s15
	v_or_b32_e32 v53, 0x1000, v52
	s_cmpk_eq_i32 s15, 0x80
	s_mov_b32 s49, s13
	s_mov_b32 s50, s34
	v_xor_b32_e32 v20, 8, v52
	v_xor_b32_e32 v22, 8, v53
	s_cselect_b64 s[0:1], -1, 0
	s_cmpk_lg_i32 s15, 0x80
	s_waitcnt vmcnt(3)
	ds_write_b64 v52, v[4:5] offset:24576
	ds_write_b64 v20, v[6:7] offset:24576
	s_waitcnt vmcnt(2)
	ds_write_b64 v52, v[8:9] offset:32768
	ds_write_b64 v20, v[10:11] offset:32768
	;; [unrolled: 3-line block ×4, first 2 shown]
	v_lshl_add_u32 v4, v21, 1, v49
	s_cbranch_scc0 .LBB504_3
; %bb.2:
	v_lshlrev_b32_e32 v6, 1, v4
	v_add_lshl_u32 v5, v4, s15, 1
	s_lshl_b32 s22, s15, 7
	v_lshl_or_b32 v3, v48, 9, v3
	s_cbranch_execz .LBB504_4
	s_branch .LBB504_5
.LBB504_3:
                                        ; implicit-def: $vgpr5
                                        ; implicit-def: $vgpr6
                                        ; implicit-def: $sgpr22
	v_lshl_or_b32 v3, v48, 9, v3
.LBB504_4:
	v_or_b32_e32 v5, 0x100, v3
	s_movk_i32 s22, 0x4000
	v_mov_b32_e32 v6, v3
.LBB504_5:
	s_mul_i32 s2, s34, s14
	s_ashr_i32 s52, s48, 31
	s_mul_hi_i32 s3, s34, s14
	s_add_u32 s2, s2, s48
	s_addc_u32 s3, s3, s52
	s_lshl_b64 s[2:3], s[2:3], 8
	s_add_u32 s20, s4, s2
	s_addc_u32 s2, s5, s3
	s_and_b32 s21, s2, 0xffff
	s_mov_b32 s23, 0x20000
	s_movk_i32 s53, 0x80
	buffer_load_dwordx4 v[8:11], v6, s[20:23], 0 offen
	buffer_load_dwordx4 v[12:15], v6, s[20:23], s53 offen
	;; [unrolled: 1-line block ×4, first 2 shown]
	v_and_b32_e32 v5, 6, v0
	v_lshlrev_b32_e32 v24, 6, v46
	v_or_b32_e32 v26, 16, v40
	v_xor_b32_e32 v27, v48, v5
	v_and_b32_e32 v6, 1, v0
	s_mul_i32 s2, s33, s19
	s_mul_hi_u32 s3, s33, s18
	v_lshl_or_b32 v30, v40, 3, v24
	v_lshl_or_b32 v24, v26, 3, v24
	v_lshlrev_b32_e32 v27, 2, v27
	s_add_i32 s17, s41, s40
	v_lshlrev_b32_e32 v7, 2, v40
	s_mul_i32 s20, s51, s18
	v_or_b32_e32 v56, 0xa000, v24
	v_or_b32_e32 v57, 0xb000, v24
	v_xor_b32_e32 v24, 0x440, v27
	v_cmp_eq_u32_e32 vcc, 0, v6
	s_add_i32 s2, s3, s2
	s_add_i32 s17, s17, s42
	v_xor_b32_e32 v28, v46, v7
	v_xor_b32_e32 v29, v47, v7
	v_cndmask_b32_e32 v6, v24, v27, vcc
	s_add_i32 s3, s2, s20
	s_lshl_b64 s[20:21], s[16:17], 2
	s_mov_b32 s54, 0x1000504
	v_lshlrev_b32_e32 v25, 8, v40
	v_lshlrev_b32_e32 v26, 8, v26
	;; [unrolled: 1-line block ×4, first 2 shown]
	v_lshl_or_b32 v5, v5, 10, v6
	s_mul_i32 s2, s33, s18
	s_add_u32 s17, s10, s20
	s_mov_b32 s55, 0x3020706
	v_or_b32_e32 v54, 0xa000, v30
	v_or_b32_e32 v55, 0xb000, v30
	;; [unrolled: 1-line block ×5, first 2 shown]
	v_xor_b32_e32 v6, 8, v5
	v_xor_b32_e32 v25, 24, v5
	;; [unrolled: 1-line block ×4, first 2 shown]
	s_addc_u32 s20, s11, s21
	s_lshl_b64 s[2:3], s[2:3], 2
	v_or_b32_e32 v60, v26, v28
	v_xor_b32_e32 v24, 16, v5
	v_xor_b32_e32 v26, 32, v5
	;; [unrolled: 1-line block ×3, first 2 shown]
	v_add_u32_e32 v6, 0x80, v6
	v_add_u32_e32 v25, 0x80, v25
	;; [unrolled: 1-line block ×4, first 2 shown]
	s_add_u32 s2, s17, s2
	s_addc_u32 s3, s20, s3
	s_movk_i32 s20, 0xf8
	s_ashr_i32 s31, s30, 31
	s_lshl_b32 s26, s15, 7
	s_movk_i32 s24, 0x100
	v_mov_b32_e32 v35, 0
	v_lshlrev_b32_e32 v34, 4, v40
	v_cmp_gt_u32_e32 vcc, s24, v0
	s_mov_b32 s56, 0
	s_movk_i32 s17, 0x1000
	s_movk_i32 s22, 0x4000
	v_add_u32_e32 v91, v1, v2
	v_mov_b32_e32 v92, 0x3fb8aa3b
	v_mov_b32_e32 v73, v35
	;; [unrolled: 1-line block ×13, first 2 shown]
	s_waitcnt vmcnt(1)
	v_perm_b32 v30, v8, v16, s54
	s_waitcnt vmcnt(0)
	v_perm_b32 v31, v12, v20, s54
	v_perm_b32 v8, v8, v16, s55
	;; [unrolled: 1-line block ×15, first 2 shown]
	ds_write2st64_b32 v5, v30, v31 offset0:32 offset1:64
	ds_write2st64_b32 v6, v8, v12 offset0:32 offset1:64
	;; [unrolled: 1-line block ×8, first 2 shown]
	v_or_b32_e32 v5, v1, v40
	v_lshlrev_b32_e32 v5, 3, v5
	v_lshrrev_b32_e32 v8, 5, v41
	v_and_or_b32 v8, v5, s20, v8
	v_lshlrev_b32_e32 v8, 4, v8
	v_lshlrev_b32_e32 v9, 11, v42
	v_and_b32_e32 v5, 0x78, v5
	v_or_b32_e32 v13, 32, v8
	v_and_b32_e32 v6, 0x1000, v9
	v_lshrrev_b32_e32 v11, 1, v0
	v_xor_b32_e32 v13, v13, v5
	v_and_b32_e32 v12, 8, v11
	v_or_b32_e32 v13, v13, v6
	v_xor_b32_e32 v10, v8, v5
	v_xor_b32_e32 v76, v13, v12
	v_or_b32_e32 v13, 64, v8
	v_or_b32_e32 v8, 0x60, v8
	v_xor_b32_e32 v13, v13, v5
	v_xor_b32_e32 v5, v8, v5
	v_or_b32_e32 v10, v10, v6
	v_or_b32_e32 v13, v13, v6
	;; [unrolled: 1-line block ×3, first 2 shown]
	s_lshl_b64 s[20:21], s[30:31], 8
	v_xor_b32_e32 v70, v10, v12
	v_xor_b32_e32 v78, v13, v12
	;; [unrolled: 1-line block ×3, first 2 shown]
	v_lshlrev_b32_e32 v12, 1, v4
	v_add_lshl_u32 v13, v4, s15, 1
	s_add_u32 s20, s36, s20
	v_lshlrev_b32_e32 v4, 1, v40
	v_lshrrev_b32_e32 v15, 4, v0
	s_addc_u32 s21, s37, s21
	v_or_b32_e32 v5, 1, v4
	v_mov_b32_e32 v19, 0x4000
	v_mov_b32_e32 v20, 0x2000
	v_xor_b32_e32 v16, v15, v4
	v_xor_b32_e32 v17, v5, v15
	v_lshl_add_u64 v[4:5], s[20:21], 0, v[34:35]
	v_lshlrev_b32_e32 v34, 8, v15
	v_cndmask_b32_e32 v19, v19, v20, vcc
	v_lshlrev_b32_e32 v20, 3, v42
	v_and_b32_e32 v11, 24, v11
	v_lshl_or_b32 v82, v16, 3, v34
	v_and_b32_e32 v16, 8, v0
	v_xor_b32_e32 v21, v20, v11
	v_or_b32_e32 v22, 0x440, v21
	v_cmp_eq_u32_e32 vcc, 0, v16
	v_and_b32_e32 v15, 7, v0
	v_lshlrev_b32_e32 v10, 7, v43
	v_cndmask_b32_e32 v16, v22, v21, vcc
	v_lshl_or_b32 v83, v17, 3, v34
	v_lshlrev_b32_e32 v17, 3, v15
	v_lshlrev_b32_e32 v15, 7, v15
	;; [unrolled: 1-line block ×3, first 2 shown]
	v_or_b32_e32 v16, v16, v9
	v_or_b32_e32 v7, v10, v7
	v_xad_u32 v84, v16, v17, v15
	v_and_or_b32 v10, v18, 60, v10
	v_mov_b32_e32 v16, 0xb000
	v_lshl_or_b32 v85, v10, 1, v16
	v_or_b32_e32 v10, 32, v11
	v_xor_b32_e32 v10, v20, v10
	v_or_b32_e32 v16, 0x440, v10
	v_cndmask_b32_e32 v10, v16, v10, vcc
	v_or_b32_e32 v10, v10, v9
	v_xad_u32 v86, v10, v17, v15
	v_or_b32_e32 v10, 64, v11
	v_xor_b32_e32 v10, v20, v10
	v_xor_b32_e32 v16, 0x440, v10
	v_cndmask_b32_e32 v10, v16, v10, vcc
	v_or_b32_e32 v10, v10, v9
	v_xad_u32 v87, v10, v17, v15
	v_or_b32_e32 v10, 0x60, v11
	v_xor_b32_e32 v10, v20, v10
	v_xor_b32_e32 v11, 0x440, v10
	v_cndmask_b32_e32 v10, v11, v10, vcc
	v_lshlrev_b32_e32 v7, 1, v7
	v_or_b32_e32 v6, s30, v40
	v_or_b32_e32 v9, v10, v9
	;; [unrolled: 1-line block ×6, first 2 shown]
	v_lshlrev_b32_e32 v8, 7, v46
	v_ashrrev_i32_e32 v7, 31, v6
	v_or_b32_e32 v14, 0x100, v3
	v_xad_u32 v88, v9, v17, v15
	v_cndmask_b32_e64 v89, v12, v3, s[0:1]
	v_cndmask_b32_e64 v90, v13, v14, s[0:1]
	v_lshl_add_u64 v[36:37], v[6:7], 1, s[8:9]
	v_lshl_add_u64 v[38:39], v[4:5], 0, v[34:35]
	s_mov_b32 s31, 0x7060302
	v_lshlrev_b32_e32 v34, 1, v8
	v_add_u32_e32 v93, v19, v84
	v_add_u32_e32 v94, v19, v86
	;; [unrolled: 1-line block ×4, first 2 shown]
	v_mov_b32_e32 v63, v35
	v_mov_b32_e32 v62, v35
	;; [unrolled: 1-line block ×4, first 2 shown]
	s_waitcnt lgkmcnt(0)
	s_barrier
.LBB504_6:                              ; =>This Inner Loop Header: Depth=1
	s_add_i32 s57, s56, 1
	s_cmp_lt_i32 s57, s43
	s_mov_b64 s[24:25], 0
	s_cselect_b64 s[38:39], -1, 0
	s_cmp_ge_i32 s57, s43
	s_mov_b64 s[20:21], 0
	s_cbranch_scc1 .LBB504_8
; %bb.7:                                ;   in Loop: Header=BB504_6 Depth=1
	s_add_i32 s0, s50, 64
	s_ashr_i32 s1, s0, 31
	s_add_u32 s0, s47, s0
	s_addc_u32 s1, s46, s1
	s_lshl_b64 s[0:1], s[0:1], 8
	s_add_u32 s20, s6, s0
	s_addc_u32 s21, s7, s1
.LBB504_8:                              ;   in Loop: Header=BB504_6 Depth=1
	v_cndmask_b32_e64 v2, 0, 1, s[38:39]
	v_cmp_ne_u32_e64 s[0:1], 1, v2
	s_andn2_b64 vcc, exec, s[38:39]
	s_cbranch_vccnz .LBB504_10
; %bb.9:                                ;   in Loop: Header=BB504_6 Depth=1
	s_add_i32 s24, s50, 64
	s_mul_hi_i32 s25, s24, s14
	s_mul_i32 s24, s24, s14
	s_add_u32 s24, s24, s48
	s_addc_u32 s25, s25, s52
	s_lshl_b64 s[24:25], s[24:25], 8
	s_add_u32 s24, s4, s24
	s_addc_u32 s25, s5, s25
.LBB504_10:                             ;   in Loop: Header=BB504_6 Depth=1
	v_perm_b32 v3, v99, v75, s31
	v_perm_b32 v2, v72, v73, s31
	;; [unrolled: 1-line block ×4, first 2 shown]
	ds_write_b64 v54, v[2:3]
	ds_write_b64 v55, v[4:5]
	;; [unrolled: 1-line block ×4, first 2 shown]
	v_perm_b32 v3, v100, v67, s31
	v_perm_b32 v2, v65, v66, s31
	v_perm_b32 v5, v98, v64, s31
	v_perm_b32 v4, v62, v63, s31
	ds_write_b64 v56, v[2:3]
	ds_write_b64 v57, v[4:5]
	;; [unrolled: 1-line block ×4, first 2 shown]
	s_waitcnt lgkmcnt(0)
	s_barrier
	ds_read_b64 v[6:7], v70 offset:24576
	ds_read2_b64 v[2:5], v74 offset1:16
	ds_read_b64 v[10:11], v77 offset:3072
	ds_read_b64 v[12:13], v74 offset:3072
	;; [unrolled: 1-line block ×3, first 2 shown]
	s_waitcnt lgkmcnt(3)
	v_mfma_f32_16x16x16_bf16 a[0:3], v[6:7], v[2:3], 0
	s_add_i32 s27, s50, 63
	s_ashr_i32 s38, s27, 31
	s_mul_i32 s39, s27, s29
	v_mfma_f32_16x16x16_bf16 a[4:7], v[6:7], v[4:5], 0
	ds_read2st64_b64 v[2:5], v74 offset0:2 offset1:4
	s_mul_hi_u32 s58, s27, s28
	s_add_i32 s39, s58, s39
	s_waitcnt lgkmcnt(0)
	v_mfma_f32_16x16x16_bf16 a[0:3], v[14:15], v[2:3], a[0:3]
	ds_read2st64_b64 v[6:9], v77 offset0:2 offset1:4
	ds_read_b64 v[2:3], v78 offset:24576
	s_mul_i32 s38, s38, s28
	s_add_i32 s39, s39, s38
	s_waitcnt lgkmcnt(1)
	v_mfma_f32_16x16x16_bf16 a[4:7], v[14:15], v[6:7], a[4:7]
	ds_read_b64 v[6:7], v79 offset:24576
	s_mul_i32 s38, s27, s28
	s_lshl_b64 s[38:39], s[38:39], 2
	s_waitcnt lgkmcnt(1)
	v_mfma_f32_16x16x16_bf16 a[0:3], v[2:3], v[4:5], a[0:3]
	s_add_u32 s38, s2, s38
	s_addc_u32 s39, s3, s39
	s_and_b64 vcc, exec, s[0:1]
	v_mfma_f32_16x16x16_bf16 a[4:7], v[2:3], v[8:9], a[4:7]
	v_mov_b32_e32 v103, 0
	v_mov_b32_e32 v102, 0
	v_mov_b32_e32 v101, 0
	s_waitcnt lgkmcnt(0)
	v_mfma_f32_16x16x16_bf16 a[0:3], v[6:7], v[12:13], a[0:3]
	v_mov_b32_e32 v2, 0
	v_mov_b32_e32 v3, 0
	;; [unrolled: 1-line block ×3, first 2 shown]
	v_mfma_f32_16x16x16_bf16 a[4:7], v[6:7], v[10:11], a[4:7]
	v_mov_b32_e32 v5, 0
	v_mov_b32_e32 v6, 0
	;; [unrolled: 1-line block ×13, first 2 shown]
	s_cbranch_vccnz .LBB504_12
; %bb.11:                               ;   in Loop: Header=BB504_6 Depth=1
	s_and_b32 s21, s21, 0xffff
	buffer_load_dwordx4 v[14:17], v50, s[20:23], 0 offen
	buffer_load_dwordx4 v[10:13], v50, s[20:23], s53 offen
	;; [unrolled: 1-line block ×4, first 2 shown]
	v_mov_b32_e32 v102, v52
	v_mov_b32_e32 v101, v53
.LBB504_12:                             ;   in Loop: Header=BB504_6 Depth=1
	s_waitcnt vmcnt(4)
	ds_read_b64 v[22:23], v70 offset:32768
	s_waitcnt vmcnt(2)
	ds_read2_b64 v[18:21], v80 offset1:16
	ds_read_b64 v[26:27], v76 offset:32768
	ds_read_b64 v[28:29], v78 offset:32768
	;; [unrolled: 1-line block ×3, first 2 shown]
	v_add_u32_e32 v32, s50, v91
	s_waitcnt lgkmcnt(3)
	v_mfma_f32_16x16x16_bf16 a[0:3], v[22:23], v[18:19], a[0:3]
	v_mul_lo_u32 v33, v32, s29
	v_mfma_f32_16x16x16_bf16 a[4:7], v[22:23], v[20:21], a[4:7]
	ds_read2st64_b64 v[18:21], v80 offset0:2 offset1:4
	ds_read2st64_b64 v[22:25], v81 offset0:2 offset1:4
	s_waitcnt lgkmcnt(1)
	v_mfma_f32_16x16x16_bf16 a[0:3], v[26:27], v[18:19], a[0:3]
	v_ashrrev_i32_e32 v18, 31, v32
	v_mul_lo_u32 v104, v18, s28
	v_mad_u64_u32 v[18:19], s[20:21], v32, s28, 0
	v_mfma_f32_16x16x16_bf16 a[0:3], v[28:29], v[20:21], a[0:3]
	v_add_u32_e32 v20, 1, v32
	v_ashrrev_i32_e32 v21, 31, v20
	v_add3_u32 v19, v19, v33, v104
	s_waitcnt lgkmcnt(0)
	v_mfma_f32_16x16x16_bf16 a[4:7], v[26:27], v[22:23], a[4:7]
	v_mul_lo_u32 v22, v21, s28
	v_mul_lo_u32 v23, v20, s29
	v_mad_u64_u32 v[20:21], s[20:21], v20, s28, 0
	v_add3_u32 v21, v21, v23, v22
	v_add_u32_e32 v22, 2, v32
	v_ashrrev_i32_e32 v23, 31, v22
	v_mul_lo_u32 v26, v23, s28
	v_mul_lo_u32 v27, v22, s29
	v_mad_u64_u32 v[22:23], s[20:21], v22, s28, 0
	v_add3_u32 v23, v23, v27, v26
	v_add_u32_e32 v26, 3, v32
	v_ashrrev_i32_e32 v27, 31, v26
	v_mul_lo_u32 v32, v27, s28
	v_mul_lo_u32 v33, v26, s29
	v_mad_u64_u32 v[26:27], s[20:21], v26, s28, 0
	v_add3_u32 v27, v27, v33, v32
	s_ashr_i32 s21, s50, 31
	v_lshl_add_u64 v[18:19], v[18:19], 2, s[2:3]
	v_lshl_add_u64 v[26:27], v[26:27], 2, s[2:3]
	s_add_u32 s20, s47, s50
	v_lshl_add_u64 v[20:21], v[20:21], 2, s[2:3]
	v_lshl_add_u64 v[22:23], v[22:23], 2, s[2:3]
	global_load_dword v32, v[18:19], off
	global_load_dword v33, v[20:21], off
	;; [unrolled: 1-line block ×3, first 2 shown]
	s_nop 0
	global_load_dword v26, v[26:27], off
	s_addc_u32 s21, s46, s21
	s_lshl_b64 s[20:21], s[20:21], 8
	v_lshl_add_u64 v[18:19], v[36:37], 0, s[20:21]
	v_lshl_add_u64 v[18:19], v[18:19], 0, v[34:35]
	global_load_ushort v27, v[18:19], off offset:256
	global_load_ushort v105, v[18:19], off
	global_load_ushort v106, v[18:19], off offset:768
	global_load_ushort v107, v[18:19], off offset:512
	ds_read_b64 v[20:21], v80 offset:3072
	ds_read_b64 v[22:23], v81 offset:3072
	global_load_ushort v108, v[18:19], off offset:800
	global_load_ushort v109, v[18:19], off offset:544
	global_load_ushort v110, v[18:19], off offset:288
	global_load_ushort v111, v[18:19], off offset:32
	s_load_dword s20, s[38:39], 0x0
	v_mfma_f32_16x16x16_bf16 a[4:7], v[28:29], v[24:25], a[4:7]
	s_and_b64 vcc, exec, s[0:1]
	s_waitcnt vmcnt(11) lgkmcnt(0)
	v_sub_f32_e32 v24, s20, v32
	v_mfma_f32_16x16x16_bf16 a[0:3], v[30:31], v[20:21], a[0:3]
	s_waitcnt vmcnt(10)
	v_sub_f32_e32 v29, s20, v33
	v_mul_f32_e32 v28, 0x3fb8aa3b, v24
	v_mul_f32_e32 v29, 0x3fb8aa3b, v29
	v_mfma_f32_16x16x16_bf16 a[4:7], v[30:31], v[22:23], a[4:7]
	s_waitcnt vmcnt(9)
	v_sub_f32_e32 v30, s20, v104
	s_waitcnt vmcnt(8)
	v_sub_f32_e32 v31, s20, v26
	v_mul_f32_e32 v30, 0x3fb8aa3b, v30
	v_mul_f32_e32 v31, 0x3fb8aa3b, v31
	v_exp_f32_e32 v28, v28
	v_exp_f32_e32 v29, v29
	;; [unrolled: 1-line block ×4, first 2 shown]
	v_accvgpr_read_b32 v23, a1
	v_accvgpr_read_b32 v19, a3
	;; [unrolled: 1-line block ×4, first 2 shown]
	s_waitcnt vmcnt(7)
	v_lshlrev_b32_e32 v25, 16, v27
	s_waitcnt vmcnt(6)
	v_lshlrev_b32_e32 v24, 16, v105
	;; [unrolled: 2-line block ×4, first 2 shown]
	v_pk_add_f32 v[22:23], v[24:25], v[22:23] neg_lo:[0,1] neg_hi:[0,1]
	v_pk_add_f32 v[18:19], v[26:27], v[18:19] neg_lo:[0,1] neg_hi:[0,1]
	v_pk_mul_f32 v[22:23], v[28:29], v[22:23]
	v_pk_mul_f32 v[18:19], v[30:31], v[18:19]
	v_accvgpr_read_b32 v25, a5
	v_perm_b32 v19, v19, v18, s31
	v_perm_b32 v18, v23, v22, s31
	s_waitcnt vmcnt(1)
	v_lshlrev_b32_e32 v23, 16, v110
	s_waitcnt vmcnt(0)
	v_lshlrev_b32_e32 v22, 16, v111
	v_accvgpr_read_b32 v24, a4
	v_accvgpr_read_b32 v21, a7
	;; [unrolled: 1-line block ×3, first 2 shown]
	v_pk_add_f32 v[22:23], v[22:23], v[24:25] neg_lo:[0,1] neg_hi:[0,1]
	v_lshlrev_b32_e32 v25, 16, v108
	v_lshlrev_b32_e32 v24, 16, v109
	v_pk_add_f32 v[20:21], v[24:25], v[20:21] neg_lo:[0,1] neg_hi:[0,1]
	v_pk_mul_f32 v[22:23], v[28:29], v[22:23]
	v_pk_mul_f32 v[20:21], v[30:31], v[20:21]
	v_mov_b32_e32 v104, 0
	v_perm_b32 v21, v21, v20, s31
	v_perm_b32 v20, v23, v22, s31
	ds_write2_b64 v55, v[18:19], v[20:21] offset1:16
	v_mov_b32_e32 v18, 0
	v_mov_b32_e32 v19, 0
	;; [unrolled: 1-line block ×16, first 2 shown]
	s_cbranch_vccnz .LBB504_14
; %bb.13:                               ;   in Loop: Header=BB504_6 Depth=1
	s_and_b32 s25, s25, 0xffff
	s_mov_b32 s27, s23
	buffer_load_dwordx4 v[30:33], v89, s[24:27], 0 offen
	buffer_load_dwordx4 v[22:25], v89, s[24:27], s53 offen
	;; [unrolled: 1-line block ×4, first 2 shown]
	v_mov_b32_e32 v103, v49
	v_mov_b32_e32 v104, v48
.LBB504_14:                             ;   in Loop: Header=BB504_6 Depth=1
	s_waitcnt lgkmcnt(0)
	s_barrier
	ds_read_b64 v[110:111], v93
	ds_read_b64 v[118:119], v85
	;; [unrolled: 1-line block ×5, first 2 shown]
	ds_read_b64 v[124:125], v86 offset:16384
	ds_read_b64 v[126:127], v84 offset:16384
	ds_read2_b64 v[106:109], v80 offset0:16 offset1:128
	s_waitcnt lgkmcnt(6)
	v_mfma_f32_16x16x16_bf16 a[0:3], v[110:111], v[118:119], 0
	ds_read_b64 v[128:129], v81 offset:3072
	ds_read_b64 v[130:131], v88 offset:16384
	s_add_i32 s21, s44, s56
	s_waitcnt lgkmcnt(2)
	v_mfma_f32_16x16x16_bf16 a[4:7], v[110:111], v[106:107], 0
	ds_read2st64_b64 v[110:113], v81 offset0:2 offset1:4
	s_mul_hi_i32 s25, s21, s49
	s_mul_i32 s21, s21, s49
	v_mfma_f32_16x16x16_bf16 a[0:3], v[114:115], v[108:109], a[0:3]
	s_add_u32 s24, s21, s33
	s_addc_u32 s25, s25, s51
	s_lshl_b64 s[24:25], s[24:25], 15
	s_waitcnt lgkmcnt(0)
	v_mfma_f32_16x16x16_bf16 a[4:7], v[114:115], v[110:111], a[4:7]
	ds_read2st64_b64 v[114:117], v80 offset0:4 offset1:6
	s_waitcnt lgkmcnt(0)
	v_mfma_f32_16x16x16_bf16 a[0:3], v[120:121], v[114:115], a[0:3]
	v_mfma_f32_16x16x16_bf16 a[8:11], v[120:121], v[112:113], a[4:7]
	;; [unrolled: 1-line block ×5, first 2 shown]
	ds_read2st64_b64 v[118:121], v83 offset1:8
	v_mfma_f32_16x16x16_bf16 a[12:15], v[126:127], v[106:107], 0
	ds_read_b64 v[126:127], v87 offset:16384
	v_mfma_f32_16x16x16_bf16 a[8:11], v[124:125], v[108:109], a[8:11]
	ds_read2st64_b64 v[106:109], v82 offset1:8
	s_waitcnt lgkmcnt(0)
	v_mov_b32_e32 v122, v106
	v_mfma_f32_16x16x16_bf16 a[12:15], v[124:125], v[110:111], a[12:15]
	v_lshl_add_u64 v[110:111], v[38:39], 0, s[24:25]
	v_add_co_u32_e32 v106, vcc, s17, v110
	v_mfma_f32_16x16x16_bf16 a[8:11], v[126:127], v[114:115], a[8:11]
	v_mov_b32_e32 v123, v107
	v_addc_co_u32_e32 v107, vcc, 0, v111, vcc
	v_mfma_f32_16x16x16_bf16 a[16:19], v[126:127], v[112:113], a[12:15]
	v_mov_b32_e32 v124, v118
	v_mov_b32_e32 v125, v119
	;; [unrolled: 1-line block ×3, first 2 shown]
	v_mfma_f32_16x16x16_bf16 a[12:15], v[130:131], v[116:117], a[8:11]
	v_mov_b32_e32 v119, v109
	s_and_b64 vcc, exec, s[0:1]
	global_store_dwordx4 v[110:111], v[122:125], off
	v_mfma_f32_16x16x16_bf16 a[8:11], v[130:131], v[128:129], a[16:19]
	global_store_dwordx4 v[106:107], v[118:121], off
	s_cbranch_vccnz .LBB504_16
; %bb.15:                               ;   in Loop: Header=BB504_6 Depth=1
	v_lshrrev_b32_e32 v105, 3, v103
	v_and_b32_e32 v105, 6, v105
	v_xor_b32_e32 v104, v105, v104
	v_lshlrev_b32_e32 v104, 2, v104
	v_and_b32_e32 v103, 8, v103
	v_xor_b32_e32 v106, 0x440, v104
	v_cmp_eq_u32_e32 vcc, 0, v103
	s_barrier
	s_nop 0
	v_cndmask_b32_e32 v103, v106, v104, vcc
	v_lshl_or_b32 v103, v105, 10, v103
	s_waitcnt vmcnt(3)
	v_perm_b32 v104, v30, v26, s54
	s_waitcnt vmcnt(2)
	v_perm_b32 v105, v22, v18, s54
	ds_write2st64_b32 v103, v104, v105 offset0:32 offset1:64
	v_xor_b32_e32 v104, 8, v103
	v_perm_b32 v26, v30, v26, s55
	v_perm_b32 v18, v22, v18, s55
	v_add_u32_e32 v22, 0x80, v104
	ds_write2st64_b32 v22, v26, v18 offset0:32 offset1:64
	v_xor_b32_e32 v18, 16, v103
	v_perm_b32 v22, v31, v27, s54
	v_perm_b32 v26, v23, v19, s54
	ds_write2st64_b32 v18, v22, v26 offset0:33 offset1:65
	v_xor_b32_e32 v18, 24, v103
	v_perm_b32 v22, v31, v27, s55
	v_perm_b32 v19, v23, v19, s55
	v_add_u32_e32 v18, 0x80, v18
	ds_write2st64_b32 v18, v22, v19 offset0:33 offset1:65
	v_xor_b32_e32 v18, 32, v103
	v_perm_b32 v19, v32, v28, s54
	;; [unrolled: 9-line block ×3, first 2 shown]
	v_perm_b32 v20, v25, v21, s54
	ds_write2st64_b32 v18, v19, v20 offset0:35 offset1:67
	v_xor_b32_e32 v18, 56, v103
	v_perm_b32 v19, v33, v29, s55
	v_perm_b32 v20, v25, v21, s55
	v_add_u32_e32 v18, 0x80, v18
	ds_write2st64_b32 v18, v19, v20 offset0:35 offset1:67
	ds_write_b64 v102, v[14:15] offset:24576
	v_xor_b32_e32 v14, 8, v102
	ds_write_b64 v14, v[16:17] offset:24576
	ds_write_b64 v102, v[10:11] offset:32768
	;; [unrolled: 1-line block ×4, first 2 shown]
	v_xor_b32_e32 v6, 8, v101
	ds_write_b64 v6, v[8:9] offset:24576
	ds_write_b64 v101, v[2:3] offset:32768
	;; [unrolled: 1-line block ×3, first 2 shown]
.LBB504_16:                             ;   in Loop: Header=BB504_6 Depth=1
	v_mul_f32_e32 v2, s20, v92
	v_exp_f32_e32 v2, v2
	v_accvgpr_read_b32 v3, a4
	v_accvgpr_read_b32 v4, a5
	;; [unrolled: 1-line block ×3, first 2 shown]
	v_fma_f32 v73, v73, v2, v3
	v_accvgpr_read_b32 v3, a6
	v_fma_f32 v75, v75, v2, v3
	v_accvgpr_read_b32 v3, a0
	;; [unrolled: 2-line block ×11, first 2 shown]
	v_accvgpr_read_b32 v6, a15
	v_fma_f32 v64, v64, v2, v3
	v_accvgpr_read_b32 v3, a11
	s_add_i32 s50, s50, 64
	v_fmac_f32_e32 v5, v99, v2
	v_fmac_f32_e32 v4, v100, v2
	;; [unrolled: 1-line block ×3, first 2 shown]
	s_cmp_eq_u32 s43, s57
	v_fmac_f32_e32 v3, v98, v2
	s_cbranch_scc1 .LBB504_18
; %bb.17:                               ;   in Loop: Header=BB504_6 Depth=1
	s_mov_b32 s56, s57
	v_mov_b32_e32 v99, v5
	v_mov_b32_e32 v97, v6
	v_mov_b32_e32 v100, v4
	v_mov_b32_e32 v98, v3
	s_branch .LBB504_6
.LBB504_18:
	s_lshl_b32 s0, s43, 6
	s_sub_i32 s45, s45, s0
	s_cmp_gt_i32 s45, 0
	s_cbranch_scc0 .LBB504_83
; %bb.19:
	s_add_i32 s34, s0, s34
	s_ashr_i32 s2, s34, 31
	s_cmpk_lg_i32 s15, 0x80
	s_cselect_b64 s[26:27], -1, 0
	s_and_b64 vcc, exec, s[26:27]
	s_cbranch_vccz .LBB504_21
; %bb.20:
	s_mul_i32 s1, s34, s14
	s_ashr_i32 s3, s48, 31
	s_mul_hi_i32 s0, s34, s14
	s_add_u32 s38, s1, s48
	s_addc_u32 s39, s0, s3
	s_cbranch_execz .LBB504_22
	s_branch .LBB504_23
.LBB504_21:
                                        ; implicit-def: $sgpr38_sgpr39
.LBB504_22:
	s_mul_i32 s1, s48, s12
	s_mul_hi_i32 s0, s48, s12
	s_add_u32 s38, s1, s34
	s_addc_u32 s39, s0, s2
.LBB504_23:
	s_add_i32 s3, s43, s44
	s_ashr_i32 s12, s33, 31
	s_add_u32 s0, s47, s34
	s_addc_u32 s1, s46, s2
	v_lshlrev_b32_e32 v10, 5, v46
	s_waitcnt vmcnt(4)
	v_lshlrev_b32_e32 v22, 2, v40
	s_mov_b32 s2, 0x7060302
	v_xor_b32_e32 v2, v46, v22
	v_perm_b32 v9, v5, v75, s2
	v_or_b32_e32 v5, v10, v22
	v_perm_b32 v8, v72, v73, s2
	v_perm_b32 v7, v6, v71, s2
	;; [unrolled: 1-line block ×3, first 2 shown]
	v_lshlrev_b32_e32 v5, 1, v5
	v_lshlrev_b32_e32 v12, 1, v2
	;; [unrolled: 1-line block ×3, first 2 shown]
	s_lshl_b64 s[24:25], s[0:1], 8
	v_xor_b32_e32 v11, v47, v22
	ds_write2st64_b64 v5, v[8:9], v[6:7] offset0:80 offset1:88
	v_or_b32_e32 v5, v12, v2
	s_add_u32 s0, s6, s24
	ds_write_b64 v5, v[8:9]
	v_lshlrev_b32_e32 v8, 1, v11
	s_addc_u32 s1, s7, s25
	v_or_b32_e32 v2, v8, v2
	s_mul_hi_i32 s6, s3, s13
	s_mul_i32 s3, s3, s13
	ds_write_b64 v2, v[6:7]
	v_perm_b32 v5, v4, v67, s2
	v_perm_b32 v4, v65, v66, s2
	;; [unrolled: 1-line block ×4, first 2 shown]
	v_or_b32_e32 v6, 16, v40
	s_add_u32 s2, s3, s33
	s_waitcnt vmcnt(2)
	v_lshlrev_b32_e32 v19, 2, v6
	s_addc_u32 s3, s6, s12
	v_or_b32_e32 v7, v10, v19
	s_ashr_i32 s31, s30, 31
	s_lshl_b64 s[2:3], s[2:3], 15
	v_lshlrev_b32_e32 v7, 1, v7
	v_lshlrev_b32_e32 v6, 8, v6
	s_add_u32 s6, s36, s2
	ds_write2st64_b64 v7, v[4:5], v[2:3] offset0:80 offset1:88
	v_or_b32_e32 v7, v12, v6
	s_addc_u32 s7, s37, s3
	s_lshl_b64 s[2:3], s[30:31], 8
	ds_write_b64 v7, v[4:5]
	v_or_b32_e32 v4, v8, v6
	s_add_u32 s2, s6, s2
	ds_write_b64 v4, v[2:3]
	v_lshrrev_b32_e32 v2, 4, v0
	s_addc_u32 s3, s7, s3
	v_lshlrev_b32_e32 v3, 1, v40
	v_lshlrev_b32_e32 v10, 4, v40
	v_mov_b32_e32 v11, 0
	v_or_b32_e32 v4, 1, v3
	v_xor_b32_e32 v3, v2, v3
	v_lshl_add_u64 v[12:13], s[2:3], 0, v[10:11]
	v_lshlrev_b32_e32 v10, 8, v2
	v_xor_b32_e32 v6, v4, v2
	v_lshl_or_b32 v2, v3, 3, v10
	s_waitcnt lgkmcnt(0)
	s_barrier
	ds_read2st64_b64 v[2:5], v2 offset1:8
	v_lshl_or_b32 v6, v6, 3, v10
	ds_read2st64_b64 v[6:9], v6 offset1:8
	v_lshl_add_u64 v[14:15], v[12:13], 0, v[10:11]
	s_movk_i32 s2, 0x1000
	s_waitcnt lgkmcnt(1)
	v_mov_b32_e32 v10, v2
	v_add_co_u32_e32 v2, vcc, s2, v14
	s_cmp_lg_u32 s45, 64
	v_mov_b32_e32 v11, v3
	v_addc_co_u32_e32 v3, vcc, 0, v15, vcc
	s_cselect_b64 s[6:7], -1, 0
	v_lshl_or_b32 v23, v42, 3, v45
	s_waitcnt lgkmcnt(0)
	v_mov_b32_e32 v12, v6
	v_mov_b32_e32 v13, v7
	;; [unrolled: 1-line block ×4, first 2 shown]
	s_mov_b32 s20, 0
	v_or_b32_e32 v20, 32, v23
	v_and_b32_e32 v18, 56, v44
	s_and_b64 vcc, exec, s[6:7]
	global_store_dwordx4 v[14:15], v[10:13], off
	global_store_dwordx4 v[2:3], v[6:9], off
	s_cbranch_vccz .LBB504_29
; %bb.24:
	s_mov_b32 s21, s20
	s_mov_b32 s22, s20
	;; [unrolled: 1-line block ×3, first 2 shown]
	v_mov_b64_e32 v[6:7], s[20:21]
	v_mov_b64_e32 v[8:9], s[22:23]
	;; [unrolled: 1-line block ×3, first 2 shown]
	v_cmp_gt_i32_e32 vcc, s45, v23
	v_mov_b64_e32 v[4:5], v[8:9]
	s_and_saveexec_b64 s[2:3], vcc
	s_cbranch_execz .LBB504_26
; %bb.25:
	v_lshlrev_b32_e32 v2, 8, v23
	v_mov_b32_e32 v3, 0
	v_lshl_add_u64 v[4:5], s[0:1], 0, v[2:3]
	v_lshlrev_b32_e32 v2, 1, v18
	v_lshl_add_u64 v[10:11], v[4:5], 0, v[2:3]
	global_load_dwordx4 v[6:9], v[10:11], off
	global_load_dwordx4 v[2:5], v[10:11], off offset:128
.LBB504_26:
	s_or_b64 exec, exec, s[2:3]
	s_mov_b32 s21, s20
	s_mov_b32 s22, s20
	;; [unrolled: 1-line block ×3, first 2 shown]
	v_mov_b64_e32 v[14:15], s[20:21]
	v_mov_b64_e32 v[16:17], s[22:23]
	;; [unrolled: 1-line block ×3, first 2 shown]
	v_cmp_gt_i32_e32 vcc, s45, v20
	v_lshlrev_b32_e32 v21, 7, v20
	v_mov_b64_e32 v[12:13], v[16:17]
	s_and_saveexec_b64 s[2:3], vcc
	s_cbranch_execz .LBB504_28
; %bb.27:
	v_lshlrev_b32_e32 v10, 1, v21
	v_mov_b32_e32 v11, 0
	v_lshl_add_u64 v[12:13], s[0:1], 0, v[10:11]
	v_lshlrev_b32_e32 v10, 1, v18
	v_lshl_add_u64 v[24:25], v[12:13], 0, v[10:11]
	global_load_dwordx4 v[14:17], v[24:25], off
	global_load_dwordx4 v[10:13], v[24:25], off offset:128
.LBB504_28:
	s_or_b64 exec, exec, s[2:3]
	v_lshrrev_b32_e32 v24, 3, v18
	v_lshlrev_b32_e32 v25, 3, v23
	v_or_b32_e32 v24, v25, v24
	v_lshlrev_b32_e32 v24, 4, v24
	v_and_b32_e32 v25, 0x78, v25
	v_xor_b32_e32 v24, v24, v25
	s_branch .LBB504_31
.LBB504_29:
                                        ; implicit-def: $vgpr24
                                        ; implicit-def: $vgpr21
                                        ; implicit-def: $vgpr6_vgpr7_vgpr8_vgpr9
                                        ; implicit-def: $vgpr2_vgpr3_vgpr4_vgpr5
                                        ; implicit-def: $vgpr14_vgpr15_vgpr16_vgpr17
                                        ; implicit-def: $vgpr10_vgpr11_vgpr12_vgpr13
	s_cbranch_execz .LBB504_31
; %bb.30:
	s_waitcnt vmcnt(0)
	v_lshlrev_b32_e32 v2, 1, v18
	v_lshl_or_b32 v21, v23, 8, v2
	s_and_b32 s1, s1, 0xffff
	s_mov_b32 s3, 0x20000
	s_movk_i32 s2, 0x4000
	v_lshl_or_b32 v24, v20, 8, v2
	s_movk_i32 s13, 0x80
	buffer_load_dwordx4 v[6:9], v21, s[0:3], 0 offen
	buffer_load_dwordx4 v[2:5], v21, s[0:3], s13 offen
	;; [unrolled: 1-line block ×4, first 2 shown]
	v_lshrrev_b32_e32 v21, 3, v18
	v_lshlrev_b32_e32 v24, 3, v23
	v_or_b32_e32 v21, v24, v21
	v_lshlrev_b32_e32 v21, 4, v21
	v_and_b32_e32 v24, 0x78, v24
	v_xor_b32_e32 v24, v21, v24
	v_lshlrev_b32_e32 v21, 7, v20
.LBB504_31:
	s_lshl_b64 s[0:1], s[38:39], 8
	s_add_u32 s4, s4, s0
	s_movk_i32 s0, 0x1000
	v_and_or_b32 v20, v21, s0, v24
	s_waitcnt vmcnt(1)
	ds_write_b64 v24, v[6:7] offset:24576
	v_xor_b32_e32 v6, 8, v24
	ds_write_b64 v6, v[8:9] offset:24576
	s_waitcnt vmcnt(0)
	ds_write_b64 v24, v[2:3] offset:32768
	ds_write_b64 v6, v[4:5] offset:32768
	;; [unrolled: 1-line block ×3, first 2 shown]
	v_xor_b32_e32 v2, 8, v20
	ds_write_b64 v2, v[16:17] offset:24576
	ds_write_b64 v20, v[10:11] offset:32768
	;; [unrolled: 1-line block ×3, first 2 shown]
	v_or_b32_e32 v2, v1, v40
	v_lshlrev_b32_e32 v3, 11, v42
	v_lshlrev_b32_e32 v2, 3, v2
	v_and_b32_e32 v6, 0x1000, v3
	v_lshrrev_b32_e32 v3, 5, v41
	s_movk_i32 s13, 0xf8
	v_and_or_b32 v3, v2, s13, v3
	v_lshlrev_b32_e32 v7, 4, v3
	v_and_b32_e32 v8, 0x78, v2
	v_or_b32_e32 v10, 32, v7
	v_lshrrev_b32_e32 v3, 1, v41
	v_xor_b32_e32 v10, v10, v8
	v_xor_b32_e32 v2, v7, v8
	v_and_b32_e32 v9, 8, v3
	v_or_b32_e32 v10, v10, v6
	v_or_b32_e32 v2, v2, v6
	v_xor_b32_e32 v26, v10, v9
	v_or_b32_e32 v10, 64, v7
	v_xor_b32_e32 v25, v2, v9
	v_xor_b32_e32 v10, v10, v8
	s_waitcnt lgkmcnt(0)
	s_barrier
	v_or_b32_e32 v12, v10, v6
	ds_read_b64 v[10:11], v25 offset:24576
	v_lshl_or_b32 v20, v43, 7, v22
	v_lshlrev_b32_e32 v24, 1, v20
	v_add_u32_e32 v2, 0xa000, v24
	ds_read2_b64 v[2:5], v2 offset1:16
	v_or_b32_e32 v7, 0x60, v7
	v_xor_b32_e32 v7, v7, v8
	s_waitcnt lgkmcnt(0)
	v_mfma_f32_16x16x16_bf16 a[0:3], v[10:11], v[2:3], 0
	v_or_b32_e32 v2, 64, v20
	v_or_b32_e32 v6, v7, v6
	v_lshlrev_b32_e32 v29, 1, v2
	v_xor_b32_e32 v27, v12, v9
	v_xor_b32_e32 v28, v6, v9
	ds_read_b64 v[12:13], v26 offset:24576
	ds_read_b64 v[14:15], v27 offset:24576
	;; [unrolled: 1-line block ×3, first 2 shown]
	v_mfma_f32_16x16x16_bf16 a[4:7], v[10:11], v[4:5], 0
	ds_read2st64_b64 v[2:5], v29 offset0:82 offset1:84
	ds_read2st64_b64 v[6:9], v24 offset0:82 offset1:84
	s_addc_u32 s5, s5, s1
	s_add_i32 s0, s41, s40
	s_add_i32 s2, s35, -1
	s_add_i32 s17, s0, s42
	s_mul_i32 s0, s33, s19
	s_mul_hi_u32 s1, s33, s18
	s_add_i32 s0, s1, s0
	s_mul_i32 s1, s12, s18
	s_ashr_i32 s3, s2, 31
	s_mul_i32 s12, s2, s29
	s_mul_hi_u32 s13, s2, s28
	s_add_i32 s12, s13, s12
	s_mul_i32 s3, s3, s28
	s_waitcnt lgkmcnt(1)
	v_mfma_f32_16x16x16_bf16 a[4:7], v[12:13], v[2:3], a[4:7]
	s_add_i32 s1, s0, s1
	s_add_i32 s3, s12, s3
	s_lshl_b64 s[12:13], s[16:17], 2
	s_waitcnt lgkmcnt(0)
	v_mfma_f32_16x16x16_bf16 a[0:3], v[12:13], v[6:7], a[0:3]
	s_mul_i32 s0, s33, s18
	s_add_u32 s10, s10, s12
	s_addc_u32 s11, s11, s13
	s_lshl_b64 s[0:1], s[0:1], 2
	s_mul_i32 s2, s2, s28
	s_add_u32 s10, s10, s0
	ds_read_b64 v[2:3], v24 offset:44032
	v_mfma_f32_16x16x16_bf16 a[4:7], v[14:15], v[4:5], a[4:7]
	ds_read_b64 v[4:5], v29 offset:44032
	s_addc_u32 s11, s11, s1
	s_lshl_b64 s[0:1], s[2:3], 2
	v_mfma_f32_16x16x16_bf16 a[0:3], v[14:15], v[8:9], a[0:3]
	s_add_u32 s0, s10, s0
	s_addc_u32 s1, s11, s1
	s_load_dword s12, s[0:1], 0x0
	s_waitcnt lgkmcnt(0)
	v_mfma_f32_16x16x16_bf16 a[0:3], v[16:17], v[2:3], a[0:3]
	s_and_b64 vcc, exec, s[26:27]
	v_mfma_f32_16x16x16_bf16 a[4:7], v[16:17], v[4:5], a[4:7]
	s_cbranch_vccz .LBB504_42
; %bb.32:
	v_lshlrev_b32_e32 v20, 1, v23
	s_and_b64 vcc, exec, s[6:7]
	s_cbranch_vccz .LBB504_43
; %bb.33:
	v_cmp_gt_i32_e32 vcc, s45, v20
	v_mov_b32_e32 v6, 0
	v_mov_b32_e32 v2, 0
	;; [unrolled: 1-line block ×5, first 2 shown]
	s_and_saveexec_b64 s[0:1], vcc
	s_cbranch_execz .LBB504_35
; %bb.34:
	v_mad_i64_i32 v[2:3], s[2:3], s15, v20, 0
	v_lshl_add_u64 v[2:3], v[2:3], 1, s[4:5]
	v_lshlrev_b32_e32 v4, 1, v18
	v_mov_b32_e32 v5, 0
	v_lshl_add_u64 v[2:3], v[2:3], 0, v[4:5]
	global_load_dwordx4 v[2:5], v[2:3], off
.LBB504_35:
	s_or_b64 exec, exec, s[0:1]
	v_or_b32_e32 v21, 1, v20
	v_cmp_gt_i32_e64 s[0:1], s45, v21
	v_mov_b32_e32 v7, 0
	v_mov_b32_e32 v8, 0
	;; [unrolled: 1-line block ×3, first 2 shown]
	s_and_saveexec_b64 s[2:3], s[0:1]
	s_cbranch_execz .LBB504_37
; %bb.36:
	v_mad_i64_i32 v[6:7], s[16:17], s15, v21, 0
	v_lshl_add_u64 v[6:7], v[6:7], 1, s[4:5]
	v_lshlrev_b32_e32 v8, 1, v18
	v_mov_b32_e32 v9, 0
	v_lshl_add_u64 v[6:7], v[6:7], 0, v[8:9]
	global_load_dwordx4 v[6:9], v[6:7], off
.LBB504_37:
	s_or_b64 exec, exec, s[2:3]
	v_mov_b32_e32 v17, 0
	v_mov_b32_e32 v10, 0
	v_mov_b32_e32 v11, 0
	v_mov_b32_e32 v12, 0
	v_mov_b32_e32 v13, 0
	s_and_saveexec_b64 s[2:3], vcc
	s_cbranch_execz .LBB504_39
; %bb.38:
	v_mad_i64_i32 v[10:11], s[16:17], s15, v20, 0
	v_lshl_add_u64 v[10:11], v[10:11], 1, s[4:5]
	v_lshlrev_b32_e32 v12, 1, v18
	v_mov_b32_e32 v13, 0
	v_lshl_add_u64 v[10:11], v[10:11], 0, v[12:13]
	global_load_dwordx4 v[10:13], v[10:11], off offset:128
.LBB504_39:
	s_or_b64 exec, exec, s[2:3]
	v_mov_b32_e32 v16, 0
	v_mov_b32_e32 v15, 0
	;; [unrolled: 1-line block ×3, first 2 shown]
	s_and_saveexec_b64 s[2:3], s[0:1]
	s_cbranch_execz .LBB504_41
; %bb.40:
	v_mad_i64_i32 v[14:15], s[0:1], s15, v21, 0
	v_lshl_add_u64 v[14:15], v[14:15], 1, s[4:5]
	v_lshlrev_b32_e32 v16, 1, v18
	v_mov_b32_e32 v17, 0
	v_lshl_add_u64 v[14:15], v[14:15], 0, v[16:17]
	global_load_dwordx4 v[14:17], v[14:15], off offset:128
.LBB504_41:
	s_or_b64 exec, exec, s[2:3]
	s_branch .LBB504_45
.LBB504_42:
                                        ; implicit-def: $vgpr5
                                        ; implicit-def: $vgpr9
                                        ; implicit-def: $vgpr13
                                        ; implicit-def: $vgpr17
	v_lshrrev_b32_e32 v30, 2, v41
	s_branch .LBB504_46
.LBB504_43:
                                        ; implicit-def: $vgpr5
                                        ; implicit-def: $vgpr9
                                        ; implicit-def: $vgpr13
                                        ; implicit-def: $vgpr17
	s_cbranch_execz .LBB504_45
; %bb.44:
	s_waitcnt vmcnt(0)
	v_mad_u64_u32 v[2:3], s[0:1], v20, s15, v[18:19]
	v_lshlrev_b32_e32 v20, 1, v2
	s_lshl_b32 s2, s15, 7
	s_and_b32 s1, s5, 0xffff
	s_mov_b32 s3, 0x20000
	s_mov_b32 s0, s4
	v_add_lshl_u32 v21, v2, s15, 1
	s_movk_i32 s13, 0x80
	buffer_load_dwordx4 v[2:5], v20, s[0:3], 0 offen
	buffer_load_dwordx4 v[10:13], v20, s[0:3], s13 offen
	;; [unrolled: 1-line block ×4, first 2 shown]
.LBB504_45:
	v_lshrrev_b32_e32 v30, 2, v41
	s_cbranch_execnz .LBB504_58
.LBB504_46:
	s_and_b64 vcc, exec, s[6:7]
	s_cbranch_vccz .LBB504_56
; %bb.47:
	s_waitcnt vmcnt(0)
	v_lshlrev_b32_e32 v7, 1, v23
	v_cmp_gt_i32_e32 vcc, s45, v7
	v_mov_b32_e32 v6, 0
	v_lshlrev_b32_e32 v14, 9, v23
	v_mov_b32_e32 v2, 0
	v_mov_b32_e32 v3, 0
	;; [unrolled: 1-line block ×4, first 2 shown]
	s_and_saveexec_b64 s[0:1], vcc
	s_cbranch_execz .LBB504_49
; %bb.48:
	v_mov_b32_e32 v15, 0
	v_lshl_add_u64 v[2:3], s[4:5], 0, v[14:15]
	v_lshlrev_b32_e32 v4, 1, v18
	v_mov_b32_e32 v5, v15
	v_lshl_add_u64 v[2:3], v[2:3], 0, v[4:5]
	global_load_dwordx4 v[2:5], v[2:3], off
.LBB504_49:
	s_or_b64 exec, exec, s[0:1]
	v_or_b32_e32 v7, 1, v7
	v_cmp_gt_i32_e64 s[0:1], s45, v7
	v_lshlrev_b32_e32 v20, 8, v7
	v_mov_b32_e32 v7, 0
	v_mov_b32_e32 v8, 0
	;; [unrolled: 1-line block ×3, first 2 shown]
	s_and_saveexec_b64 s[2:3], s[0:1]
	s_cbranch_execz .LBB504_51
; %bb.50:
	v_mov_b32_e32 v21, 0
	v_lshl_add_u64 v[6:7], s[4:5], 0, v[20:21]
	v_lshlrev_b32_e32 v8, 1, v18
	v_mov_b32_e32 v9, v21
	v_lshl_add_u64 v[6:7], v[6:7], 0, v[8:9]
	global_load_dwordx4 v[6:9], v[6:7], off
.LBB504_51:
	s_or_b64 exec, exec, s[2:3]
	v_mov_b32_e32 v17, 0
	v_mov_b32_e32 v10, 0
	;; [unrolled: 1-line block ×5, first 2 shown]
	s_and_saveexec_b64 s[2:3], vcc
	s_cbranch_execz .LBB504_53
; %bb.52:
	v_mov_b32_e32 v15, 0
	v_lshl_add_u64 v[10:11], s[4:5], 0, v[14:15]
	v_lshlrev_b32_e32 v14, 1, v18
	v_lshl_add_u64 v[10:11], v[10:11], 0, v[14:15]
	global_load_dwordx4 v[10:13], v[10:11], off offset:128
.LBB504_53:
	s_or_b64 exec, exec, s[2:3]
	v_mov_b32_e32 v16, 0
	v_mov_b32_e32 v15, 0
	;; [unrolled: 1-line block ×3, first 2 shown]
	s_and_saveexec_b64 s[2:3], s[0:1]
	s_cbranch_execz .LBB504_55
; %bb.54:
	v_mov_b32_e32 v21, 0
	v_lshl_add_u64 v[14:15], s[4:5], 0, v[20:21]
	v_lshlrev_b32_e32 v20, 1, v18
	v_lshl_add_u64 v[14:15], v[14:15], 0, v[20:21]
	global_load_dwordx4 v[14:17], v[14:15], off offset:128
.LBB504_55:
	s_or_b64 exec, exec, s[2:3]
	s_branch .LBB504_58
.LBB504_56:
                                        ; implicit-def: $vgpr5
                                        ; implicit-def: $vgpr9
                                        ; implicit-def: $vgpr13
                                        ; implicit-def: $vgpr17
	s_cbranch_execz .LBB504_58
; %bb.57:
	s_waitcnt vmcnt(0)
	v_lshlrev_b32_e32 v2, 1, v18
	v_lshl_or_b32 v18, v23, 9, v2
	s_and_b32 s5, s5, 0xffff
	s_mov_b32 s7, 0x20000
	s_movk_i32 s6, 0x4000
	s_movk_i32 s0, 0x80
	buffer_load_dwordx4 v[2:5], v18, s[4:7], 0 offen
	buffer_load_dwordx4 v[6:9], v18, s[4:7], 0 offen offset:256
	buffer_load_dwordx4 v[10:13], v18, s[4:7], s0 offen
	buffer_load_dwordx4 v[14:17], v18, s[4:7], s0 offen offset:256
.LBB504_58:
	ds_read_b64 v[20:21], v25 offset:32768
	v_add_u32_e32 v18, 0xb000, v24
	ds_read2_b64 v[32:35], v18 offset1:16
	ds_read_b64 v[42:43], v26 offset:32768
	ds_read_b64 v[26:27], v27 offset:32768
	;; [unrolled: 1-line block ×3, first 2 shown]
	v_and_b32_e32 v18, 6, v0
	v_xor_b32_e32 v23, v23, v18
	v_lshlrev_b32_e32 v23, 2, v23
	v_and_b32_e32 v0, 1, v0
	v_xor_b32_e32 v28, 0x440, v23
	v_cmp_eq_u32_e32 vcc, 0, v0
	s_waitcnt lgkmcnt(3)
	v_mfma_f32_16x16x16_bf16 a[0:3], v[20:21], v[32:33], a[0:3]
	s_mov_b32 s0, 0x1000504
	v_cndmask_b32_e32 v0, v28, v23, vcc
	v_lshl_or_b32 v0, v18, 10, v0
	v_mfma_f32_16x16x16_bf16 a[4:7], v[20:21], v[34:35], a[4:7]
	ds_read2st64_b64 v[32:35], v24 offset0:90 offset1:92
	ds_read2st64_b64 v[36:39], v29 offset0:90 offset1:92
	ds_read_b64 v[20:21], v24 offset:48128
	ds_read_b64 v[24:25], v29 offset:48128
	s_waitcnt vmcnt(0)
	v_perm_b32 v18, v2, v6, s0
	s_waitcnt lgkmcnt(3)
	v_mfma_f32_16x16x16_bf16 a[0:3], v[42:43], v[32:33], a[0:3]
	s_mov_b32 s1, 0x3020706
	v_perm_b32 v2, v2, v6, s1
	v_perm_b32 v6, v10, v14, s1
	s_waitcnt lgkmcnt(2)
	v_mfma_f32_16x16x16_bf16 a[4:7], v[42:43], v[36:37], a[4:7]
	v_mfma_f32_16x16x16_bf16 a[0:3], v[26:27], v[34:35], a[0:3]
	;; [unrolled: 1-line block ×3, first 2 shown]
	s_waitcnt lgkmcnt(1)
	v_mfma_f32_16x16x16_bf16 a[4:7], v[44:45], v[20:21], a[0:3]
	v_perm_b32 v20, v10, v14, s0
	ds_write2st64_b32 v0, v18, v20 offset0:32 offset1:64
	v_xor_b32_e32 v18, 8, v0
	v_add_u32_e32 v10, 0x80, v18
	ds_write2st64_b32 v10, v2, v6 offset0:32 offset1:64
	v_xor_b32_e32 v2, 16, v0
	v_perm_b32 v6, v3, v7, s0
	v_perm_b32 v10, v11, v15, s0
	ds_write2st64_b32 v2, v6, v10 offset0:33 offset1:65
	v_xor_b32_e32 v2, 24, v0
	v_perm_b32 v3, v3, v7, s1
	v_perm_b32 v6, v11, v15, s1
	v_add_u32_e32 v2, 0x80, v2
	ds_write2st64_b32 v2, v3, v6 offset0:33 offset1:65
	v_xor_b32_e32 v2, 32, v0
	v_perm_b32 v3, v4, v8, s0
	v_perm_b32 v6, v12, v16, s0
	ds_write2st64_b32 v2, v3, v6 offset0:34 offset1:66
	v_xor_b32_e32 v2, 40, v0
	s_waitcnt lgkmcnt(5)
	v_mfma_f32_16x16x16_bf16 a[0:3], v[44:45], v[24:25], a[8:11]
	v_perm_b32 v3, v4, v8, s1
	v_perm_b32 v4, v12, v16, s1
	v_add_u32_e32 v2, 0x80, v2
	ds_write2st64_b32 v2, v3, v4 offset0:34 offset1:66
	v_xor_b32_e32 v2, 48, v0
	v_perm_b32 v3, v5, v9, s0
	v_perm_b32 v4, v13, v17, s0
	ds_write2st64_b32 v2, v3, v4 offset0:35 offset1:67
	v_xor_b32_e32 v0, 56, v0
	v_perm_b32 v3, v13, v17, s1
	v_and_or_b32 v17, v30, 12, v1
	v_perm_b32 v2, v5, v9, s1
	v_add_u32_e32 v0, 0x80, v0
	v_cmp_gt_i32_e32 vcc, s45, v17
	v_mov_b32_e32 v14, 0
	v_mov_b32_e32 v16, 0
	ds_write2st64_b32 v0, v2, v3 offset0:35 offset1:67
	s_and_saveexec_b64 s[0:1], vcc
	s_cbranch_execz .LBB504_60
; %bb.59:
	v_add_u32_e32 v0, s34, v17
	v_ashrrev_i32_e32 v1, 31, v0
	v_mul_lo_u32 v2, v1, s28
	v_mul_lo_u32 v3, v0, s29
	v_mad_u64_u32 v[0:1], s[2:3], v0, s28, 0
	v_add3_u32 v1, v1, v3, v2
	v_lshl_add_u64 v[0:1], v[0:1], 2, s[10:11]
	global_load_dword v0, v[0:1], off
	s_waitcnt vmcnt(0)
	v_sub_f32_e32 v0, s12, v0
	v_mul_f32_e32 v0, 0x3fb8aa3b, v0
	v_exp_f32_e32 v16, v0
.LBB504_60:
	s_or_b64 exec, exec, s[0:1]
	v_or_b32_e32 v8, 1, v17
	v_cmp_gt_i32_e64 s[0:1], s45, v8
	s_and_saveexec_b64 s[2:3], s[0:1]
	s_cbranch_execz .LBB504_62
; %bb.61:
	v_add_u32_e32 v0, s34, v8
	v_ashrrev_i32_e32 v1, 31, v0
	v_mul_lo_u32 v2, v1, s28
	v_mul_lo_u32 v3, v0, s29
	v_mad_u64_u32 v[0:1], s[4:5], v0, s28, 0
	v_add3_u32 v1, v1, v3, v2
	v_lshl_add_u64 v[0:1], v[0:1], 2, s[10:11]
	global_load_dword v0, v[0:1], off
	s_waitcnt vmcnt(0)
	v_sub_f32_e32 v0, s12, v0
	v_mul_f32_e32 v0, 0x3fb8aa3b, v0
	v_exp_f32_e32 v14, v0
.LBB504_62:
	s_or_b64 exec, exec, s[2:3]
	v_or_b32_e32 v10, 2, v17
	v_cmp_gt_i32_e64 s[2:3], s45, v10
	v_mov_b32_e32 v15, 0
	v_mov_b32_e32 v18, 0
	s_and_saveexec_b64 s[4:5], s[2:3]
	s_cbranch_execz .LBB504_64
; %bb.63:
	v_add_u32_e32 v0, s34, v10
	v_ashrrev_i32_e32 v1, 31, v0
	v_mul_lo_u32 v2, v1, s28
	v_mul_lo_u32 v3, v0, s29
	v_mad_u64_u32 v[0:1], s[6:7], v0, s28, 0
	v_add3_u32 v1, v1, v3, v2
	v_lshl_add_u64 v[0:1], v[0:1], 2, s[10:11]
	global_load_dword v0, v[0:1], off
	s_waitcnt vmcnt(0)
	v_sub_f32_e32 v0, s12, v0
	v_mul_f32_e32 v0, 0x3fb8aa3b, v0
	v_exp_f32_e32 v18, v0
.LBB504_64:
	s_or_b64 exec, exec, s[4:5]
	v_or_b32_e32 v12, 3, v17
	v_cmp_gt_i32_e64 s[4:5], s45, v12
	s_and_saveexec_b64 s[6:7], s[4:5]
	s_cbranch_execz .LBB504_66
; %bb.65:
	v_add_u32_e32 v0, s34, v12
	v_ashrrev_i32_e32 v1, 31, v0
	v_mul_lo_u32 v2, v1, s28
	v_mul_lo_u32 v3, v0, s29
	v_mad_u64_u32 v[0:1], s[14:15], v0, s28, 0
	v_add3_u32 v1, v1, v3, v2
	v_lshl_add_u64 v[0:1], v[0:1], 2, s[10:11]
	global_load_dword v0, v[0:1], off
	s_waitcnt vmcnt(0)
	v_sub_f32_e32 v0, s12, v0
	v_mul_f32_e32 v0, 0x3fb8aa3b, v0
	v_exp_f32_e32 v15, v0
.LBB504_66:
	s_or_b64 exec, exec, s[6:7]
	v_or_b32_e32 v4, s30, v40
	s_add_u32 s6, s8, s24
	v_accvgpr_read_b32 v0, a4
	s_addc_u32 s7, s9, s25
	v_ashrrev_i32_e32 v5, 31, v4
	v_accvgpr_read_b32 v1, a5
	v_accvgpr_read_b32 v2, a6
	;; [unrolled: 1-line block ×3, first 2 shown]
	v_lshl_add_u64 v[4:5], v[4:5], 1, s[6:7]
	v_mov_b32_e32 v9, 0
	v_lshlrev_b32_e32 v6, 8, v17
	v_mov_b32_e32 v7, 0
	s_and_saveexec_b64 s[6:7], vcc
	s_cbranch_execz .LBB504_68
; %bb.67:
	v_mov_b32_e32 v7, 0
	v_lshl_add_u64 v[20:21], v[4:5], 0, v[6:7]
	global_load_ushort v7, v[20:21], off
	s_waitcnt vmcnt(0)
	v_lshlrev_b32_e32 v7, 16, v7
	v_sub_f32_e32 v0, v7, v0
	v_mul_f32_e32 v0, v16, v0
	v_lshrrev_b32_e32 v7, 16, v0
.LBB504_68:
	s_or_b64 exec, exec, s[6:7]
	v_lshlrev_b32_e32 v8, 8, v8
	s_and_saveexec_b64 s[6:7], s[0:1]
	s_cbranch_execz .LBB504_70
; %bb.69:
	v_mov_b32_e32 v9, 0
	v_lshl_add_u64 v[20:21], v[4:5], 0, v[8:9]
	global_load_ushort v0, v[20:21], off
	s_waitcnt vmcnt(0)
	v_lshlrev_b32_e32 v0, 16, v0
	v_sub_f32_e32 v0, v0, v1
	v_mul_f32_e32 v0, v14, v0
	v_lshrrev_b32_e32 v9, 16, v0
.LBB504_70:
	s_or_b64 exec, exec, s[6:7]
	v_mov_b32_e32 v13, 0
	v_lshlrev_b32_e32 v10, 8, v10
	v_mov_b32_e32 v11, 0
	s_and_saveexec_b64 s[6:7], s[2:3]
	s_cbranch_execz .LBB504_72
; %bb.71:
	v_mov_b32_e32 v11, 0
	v_lshl_add_u64 v[0:1], v[4:5], 0, v[10:11]
	global_load_ushort v0, v[0:1], off
	s_waitcnt vmcnt(0)
	v_lshlrev_b32_e32 v0, 16, v0
	v_sub_f32_e32 v0, v0, v2
	v_mul_f32_e32 v0, v18, v0
	v_lshrrev_b32_e32 v11, 16, v0
.LBB504_72:
	s_or_b64 exec, exec, s[6:7]
	v_lshlrev_b32_e32 v12, 8, v12
	s_and_saveexec_b64 s[6:7], s[4:5]
	s_cbranch_execz .LBB504_74
; %bb.73:
	v_mov_b32_e32 v13, 0
	v_lshl_add_u64 v[0:1], v[4:5], 0, v[12:13]
	global_load_ushort v0, v[0:1], off
	s_waitcnt vmcnt(0)
	v_lshlrev_b32_e32 v0, 16, v0
	v_sub_f32_e32 v0, v0, v3
	v_mul_f32_e32 v0, v15, v0
	v_lshrrev_b32_e32 v13, 16, v0
.LBB504_74:
	s_or_b64 exec, exec, s[6:7]
	v_lshlrev_b32_e32 v17, 5, v17
	s_mov_b32 s6, 0x5040100
	v_perm_b32 v20, v9, v7, s6
	v_or_b32_e32 v7, v17, v22
	v_accvgpr_read_b32 v0, a0
	v_perm_b32 v21, v13, v11, s6
	v_lshlrev_b32_e32 v7, 1, v7
	v_accvgpr_read_b32 v1, a1
	v_accvgpr_read_b32 v2, a2
	;; [unrolled: 1-line block ×3, first 2 shown]
	ds_write_b64 v7, v[20:21] offset:45056
	v_mov_b32_e32 v9, 0
	v_mov_b32_e32 v7, 0
	s_and_saveexec_b64 s[6:7], vcc
	s_cbranch_execz .LBB504_76
; %bb.75:
	v_mov_b32_e32 v7, 0
	v_lshl_add_u64 v[6:7], v[4:5], 0, v[6:7]
	global_load_ushort v6, v[6:7], off offset:32
	s_waitcnt vmcnt(0)
	v_lshlrev_b32_e32 v6, 16, v6
	v_sub_f32_e32 v0, v6, v0
	v_mul_f32_e32 v0, v16, v0
	v_lshrrev_b32_e32 v7, 16, v0
.LBB504_76:
	s_or_b64 exec, exec, s[6:7]
	s_and_saveexec_b64 s[6:7], s[0:1]
	s_cbranch_execz .LBB504_78
; %bb.77:
	v_mov_b32_e32 v9, 0
	v_lshl_add_u64 v[8:9], v[4:5], 0, v[8:9]
	global_load_ushort v0, v[8:9], off offset:32
	s_waitcnt vmcnt(0)
	v_lshlrev_b32_e32 v0, 16, v0
	v_sub_f32_e32 v0, v0, v1
	v_mul_f32_e32 v0, v14, v0
	v_lshrrev_b32_e32 v9, 16, v0
.LBB504_78:
	s_or_b64 exec, exec, s[6:7]
	v_mov_b32_e32 v0, 0
	v_mov_b32_e32 v1, 0
	s_and_saveexec_b64 s[0:1], s[2:3]
	s_cbranch_execz .LBB504_80
; %bb.79:
	v_mov_b32_e32 v11, 0
	v_lshl_add_u64 v[10:11], v[4:5], 0, v[10:11]
	global_load_ushort v1, v[10:11], off offset:32
	s_waitcnt vmcnt(0)
	v_lshlrev_b32_e32 v1, 16, v1
	v_sub_f32_e32 v1, v1, v2
	v_mul_f32_e32 v1, v18, v1
	v_lshrrev_b32_e32 v1, 16, v1
.LBB504_80:
	s_or_b64 exec, exec, s[0:1]
	s_and_saveexec_b64 s[0:1], s[4:5]
	s_cbranch_execz .LBB504_82
; %bb.81:
	v_mov_b32_e32 v13, 0
	v_lshl_add_u64 v[4:5], v[4:5], 0, v[12:13]
	global_load_ushort v0, v[4:5], off offset:32
	s_waitcnt vmcnt(0)
	v_lshlrev_b32_e32 v0, 16, v0
	v_sub_f32_e32 v0, v0, v3
	v_mul_f32_e32 v0, v15, v0
	v_lshrrev_b32_e32 v0, 16, v0
.LBB504_82:
	s_or_b64 exec, exec, s[0:1]
	s_mov_b32 s0, 0x5040100
	v_or_b32_e32 v2, v17, v19
	v_perm_b32 v1, v0, v1, s0
	v_perm_b32 v0, v9, v7, s0
	v_lshlrev_b32_e32 v2, 1, v2
	ds_write_b64 v2, v[0:1] offset:45056
	s_waitcnt lgkmcnt(0)
	s_barrier
.LBB504_83:
	s_endpgm
	.section	.rodata,"a",@progbits
	.p2align	6, 0x0
	.amdhsa_kernel _ZN12_GLOBAL__N_139chunk_gated_delta_rule_fwd_h_hip_kernelILi32ELb0ELb0ELb0ELb1ELb0ELb0ELb0ELb0EEEvPK12hip_bfloat16S3_S3_PKfS5_PKvPS1_S8_PvPKiSB_iiiiilll
		.amdhsa_group_segment_fixed_size 49152
		.amdhsa_private_segment_fixed_size 0
		.amdhsa_kernarg_size 136
		.amdhsa_user_sgpr_count 2
		.amdhsa_user_sgpr_dispatch_ptr 0
		.amdhsa_user_sgpr_queue_ptr 0
		.amdhsa_user_sgpr_kernarg_segment_ptr 1
		.amdhsa_user_sgpr_dispatch_id 0
		.amdhsa_user_sgpr_kernarg_preload_length 0
		.amdhsa_user_sgpr_kernarg_preload_offset 0
		.amdhsa_user_sgpr_private_segment_size 0
		.amdhsa_uses_dynamic_stack 0
		.amdhsa_enable_private_segment 0
		.amdhsa_system_sgpr_workgroup_id_x 1
		.amdhsa_system_sgpr_workgroup_id_y 1
		.amdhsa_system_sgpr_workgroup_id_z 0
		.amdhsa_system_sgpr_workgroup_info 0
		.amdhsa_system_vgpr_workitem_id 0
		.amdhsa_next_free_vgpr 152
		.amdhsa_next_free_sgpr 59
		.amdhsa_accum_offset 132
		.amdhsa_reserve_vcc 1
		.amdhsa_float_round_mode_32 0
		.amdhsa_float_round_mode_16_64 0
		.amdhsa_float_denorm_mode_32 3
		.amdhsa_float_denorm_mode_16_64 3
		.amdhsa_dx10_clamp 1
		.amdhsa_ieee_mode 1
		.amdhsa_fp16_overflow 0
		.amdhsa_tg_split 0
		.amdhsa_exception_fp_ieee_invalid_op 0
		.amdhsa_exception_fp_denorm_src 0
		.amdhsa_exception_fp_ieee_div_zero 0
		.amdhsa_exception_fp_ieee_overflow 0
		.amdhsa_exception_fp_ieee_underflow 0
		.amdhsa_exception_fp_ieee_inexact 0
		.amdhsa_exception_int_div_zero 0
	.end_amdhsa_kernel
	.section	.text._ZN12_GLOBAL__N_139chunk_gated_delta_rule_fwd_h_hip_kernelILi32ELb0ELb0ELb0ELb1ELb0ELb0ELb0ELb0EEEvPK12hip_bfloat16S3_S3_PKfS5_PKvPS1_S8_PvPKiSB_iiiiilll,"axG",@progbits,_ZN12_GLOBAL__N_139chunk_gated_delta_rule_fwd_h_hip_kernelILi32ELb0ELb0ELb0ELb1ELb0ELb0ELb0ELb0EEEvPK12hip_bfloat16S3_S3_PKfS5_PKvPS1_S8_PvPKiSB_iiiiilll,comdat
.Lfunc_end504:
	.size	_ZN12_GLOBAL__N_139chunk_gated_delta_rule_fwd_h_hip_kernelILi32ELb0ELb0ELb0ELb1ELb0ELb0ELb0ELb0EEEvPK12hip_bfloat16S3_S3_PKfS5_PKvPS1_S8_PvPKiSB_iiiiilll, .Lfunc_end504-_ZN12_GLOBAL__N_139chunk_gated_delta_rule_fwd_h_hip_kernelILi32ELb0ELb0ELb0ELb1ELb0ELb0ELb0ELb0EEEvPK12hip_bfloat16S3_S3_PKfS5_PKvPS1_S8_PvPKiSB_iiiiilll
                                        ; -- End function
	.section	.AMDGPU.csdata,"",@progbits
; Kernel info:
; codeLenInByte = 8368
; NumSgprs: 65
; NumVgprs: 132
; NumAgprs: 20
; TotalNumVgprs: 152
; ScratchSize: 0
; MemoryBound: 0
; FloatMode: 240
; IeeeMode: 1
; LDSByteSize: 49152 bytes/workgroup (compile time only)
; SGPRBlocks: 8
; VGPRBlocks: 18
; NumSGPRsForWavesPerEU: 65
; NumVGPRsForWavesPerEU: 152
; AccumOffset: 132
; Occupancy: 1
; WaveLimiterHint : 1
; COMPUTE_PGM_RSRC2:SCRATCH_EN: 0
; COMPUTE_PGM_RSRC2:USER_SGPR: 2
; COMPUTE_PGM_RSRC2:TRAP_HANDLER: 0
; COMPUTE_PGM_RSRC2:TGID_X_EN: 1
; COMPUTE_PGM_RSRC2:TGID_Y_EN: 1
; COMPUTE_PGM_RSRC2:TGID_Z_EN: 0
; COMPUTE_PGM_RSRC2:TIDIG_COMP_CNT: 0
; COMPUTE_PGM_RSRC3_GFX90A:ACCUM_OFFSET: 32
; COMPUTE_PGM_RSRC3_GFX90A:TG_SPLIT: 0
	.section	.text._ZN12_GLOBAL__N_139chunk_gated_delta_rule_fwd_h_hip_kernelILi32ELb1ELb1ELb1ELb0ELb0ELb0ELb0ELb0EEEvPK12hip_bfloat16S3_S3_PKfS5_PKvPS1_S8_PvPKiSB_iiiiilll,"axG",@progbits,_ZN12_GLOBAL__N_139chunk_gated_delta_rule_fwd_h_hip_kernelILi32ELb1ELb1ELb1ELb0ELb0ELb0ELb0ELb0EEEvPK12hip_bfloat16S3_S3_PKfS5_PKvPS1_S8_PvPKiSB_iiiiilll,comdat
	.globl	_ZN12_GLOBAL__N_139chunk_gated_delta_rule_fwd_h_hip_kernelILi32ELb1ELb1ELb1ELb0ELb0ELb0ELb0ELb0EEEvPK12hip_bfloat16S3_S3_PKfS5_PKvPS1_S8_PvPKiSB_iiiiilll ; -- Begin function _ZN12_GLOBAL__N_139chunk_gated_delta_rule_fwd_h_hip_kernelILi32ELb1ELb1ELb1ELb0ELb0ELb0ELb0ELb0EEEvPK12hip_bfloat16S3_S3_PKfS5_PKvPS1_S8_PvPKiSB_iiiiilll
	.p2align	8
	.type	_ZN12_GLOBAL__N_139chunk_gated_delta_rule_fwd_h_hip_kernelILi32ELb1ELb1ELb1ELb0ELb0ELb0ELb0ELb0EEEvPK12hip_bfloat16S3_S3_PKfS5_PKvPS1_S8_PvPKiSB_iiiiilll,@function
_ZN12_GLOBAL__N_139chunk_gated_delta_rule_fwd_h_hip_kernelILi32ELb1ELb1ELb1ELb0ELb0ELb0ELb0ELb0EEEvPK12hip_bfloat16S3_S3_PKfS5_PKvPS1_S8_PvPKiSB_iiiiilll: ; @_ZN12_GLOBAL__N_139chunk_gated_delta_rule_fwd_h_hip_kernelILi32ELb1ELb1ELb1ELb0ELb0ELb0ELb0ELb0EEEvPK12hip_bfloat16S3_S3_PKfS5_PKvPS1_S8_PvPKiSB_iiiiilll
; %bb.0:
	s_load_dwordx4 s[20:23], s[0:1], 0x5c
	s_load_dwordx4 s[24:27], s[0:1], 0x70
	s_abs_i32 s6, s3
	s_ashr_i32 s5, s3, 31
	v_and_b32_e32 v68, 15, v0
	s_waitcnt lgkmcnt(0)
	s_abs_i32 s4, s21
	v_cvt_f32_u32_e32 v1, s4
	s_sub_i32 s8, 0, s4
	s_ashr_i32 s7, s21, 31
	s_xor_b32 s5, s5, s7
	v_rcp_iflag_f32_e32 v1, v1
	v_bfe_u32 v67, v0, 4, 2
	v_mov_b32_e32 v51, 0
	v_lshlrev_b32_e32 v69, 3, v0
	v_mul_f32_e32 v1, 0x4f7ffffe, v1
	v_cvt_u32_f32_e32 v1, v1
	s_nop 0
	v_readfirstlane_b32 s9, v1
	s_mul_i32 s8, s8, s9
	s_mul_hi_u32 s8, s9, s8
	s_add_i32 s9, s9, s8
	s_mul_hi_u32 s8, s6, s9
	s_mul_i32 s9, s8, s4
	s_sub_i32 s6, s6, s9
	s_add_i32 s10, s8, 1
	s_sub_i32 s9, s6, s4
	s_cmp_ge_u32 s6, s4
	s_cselect_b32 s8, s10, s8
	s_cselect_b32 s6, s9, s6
	s_add_i32 s9, s8, 1
	s_cmp_ge_u32 s6, s4
	s_cselect_b32 s6, s9, s8
	s_xor_b32 s6, s6, s5
	s_add_i32 s8, s20, 63
	s_sub_i32 s54, s6, s5
	s_ashr_i32 s9, s8, 31
	s_mul_i32 s12, s54, s21
	s_sub_i32 s52, s3, s12
	s_lshr_b32 s3, s9, 26
	s_add_i32 s8, s8, s3
	s_abs_i32 s3, s22
	v_cvt_f32_u32_e32 v1, s3
	s_ashr_i32 s53, s20, 31
	s_lshr_b32 s5, s53, 26
	s_add_i32 s5, s20, s5
	v_rcp_iflag_f32_e32 v1, v1
	s_ashr_i32 s57, s22, 31
	s_ashr_i32 s55, s5, 6
	s_xor_b32 s5, s7, s57
	v_mul_f32_e32 v1, 0x4f7ffffe, v1
	v_cvt_u32_f32_e32 v1, v1
	s_sub_i32 s6, 0, s3
	s_ashr_i32 s28, s8, 6
	s_lshl_b32 s2, s2, 5
	v_readfirstlane_b32 s7, v1
	s_mul_i32 s6, s6, s7
	s_mul_hi_u32 s6, s7, s6
	s_add_i32 s7, s7, s6
	s_mul_hi_u32 s6, s4, s7
	s_mul_i32 s7, s6, s3
	s_sub_i32 s4, s4, s7
	s_add_i32 s7, s6, 1
	s_sub_i32 s8, s4, s3
	s_cmp_ge_u32 s4, s3
	s_cselect_b32 s6, s7, s6
	s_cselect_b32 s4, s8, s4
	s_add_i32 s7, s6, 1
	s_cmp_ge_u32 s4, s3
	s_cselect_b32 s3, s7, s6
	s_xor_b32 s3, s3, s5
	s_sub_i32 s3, s3, s5
	s_abs_i32 s13, s3
	v_cvt_f32_u32_e32 v1, s13
	s_sub_i32 s15, 0, s13
	s_abs_i32 s14, s52
	s_xor_b32 s3, s52, s3
	v_rcp_iflag_f32_e32 v2, v1
	s_ashr_i32 s3, s3, 31
	s_load_dwordx8 s[4:11], s[0:1], 0x28
	v_lshrrev_b32_e32 v1, 6, v0
	v_mul_f32_e32 v2, 0x4f7ffffe, v2
	v_cvt_u32_f32_e32 v2, v2
	v_or_b32_e32 v56, s2, v68
	v_lshlrev_b32_e32 v66, 4, v1
	v_lshlrev_b32_e32 v52, 7, v56
	v_readfirstlane_b32 s16, v2
	s_mul_i32 s15, s15, s16
	s_mul_hi_u32 s15, s16, s15
	s_add_i32 s16, s16, s15
	s_mul_hi_u32 s15, s14, s16
	s_mul_i32 s16, s15, s13
	s_sub_i32 s14, s14, s16
	s_add_i32 s16, s15, 1
	s_sub_i32 s17, s14, s13
	s_cmp_ge_u32 s14, s13
	s_cselect_b32 s15, s16, s15
	s_cselect_b32 s14, s17, s14
	s_add_i32 s16, s15, 1
	s_cmp_ge_u32 s14, s13
	s_cselect_b32 s13, s16, s15
	s_xor_b32 s13, s13, s3
	s_sub_i32 s58, s13, s3
	s_ashr_i32 s3, s54, 31
	s_ashr_i32 s56, s52, 31
	s_mul_hi_i32 s13, s54, s21
	s_add_u32 s42, s12, s52
	s_addc_u32 s43, s13, s56
	s_lshl_b64 s[34:35], s[42:43], 16
	s_waitcnt lgkmcnt(0)
	s_add_u32 s4, s4, s34
	v_lshl_or_b32 v71, v67, 2, v66
	s_addc_u32 s5, s5, s35
	v_ashrrev_i32_e32 v53, 31, v52
	v_lshl_add_u64 v[2:3], v[52:53], 2, s[4:5]
	v_lshlrev_b32_e32 v50, 2, v71
	v_or_b32_e32 v54, 0x800, v52
	v_lshl_add_u64 v[10:11], v[2:3], 0, v[50:51]
	v_ashrrev_i32_e32 v55, 31, v54
	global_load_dwordx4 v[2:5], v[10:11], off
	global_load_dwordx4 v[6:9], v[10:11], off offset:256
	v_lshl_add_u64 v[10:11], v[54:55], 2, s[4:5]
	v_lshl_add_u64 v[18:19], v[10:11], 0, v[50:51]
	global_load_dwordx4 v[10:13], v[18:19], off
	global_load_dwordx4 v[14:17], v[18:19], off offset:256
	s_load_dwordx8 s[12:19], s[0:1], 0x0
	s_load_dwordx2 s[36:37], s[0:1], 0x80
	v_and_b32_e32 v51, 63, v0
	s_mul_i32 s59, s54, s28
	v_or_b32_e32 v72, 64, v71
	s_cmp_lt_i32 s20, 64
	v_lshrrev_b32_e32 v70, 3, v51
	s_mul_i32 s60, s43, s20
	s_mul_hi_u32 s61, s42, s20
	s_mul_i32 s4, s42, s20
	s_mul_i32 s33, s54, s25
	s_mul_hi_u32 s48, s54, s24
	s_mul_i32 s49, s3, s24
	s_mul_i32 s38, s54, s24
	;; [unrolled: 1-line block ×3, first 2 shown]
	s_mul_hi_u32 s50, s52, s26
	s_mul_i32 s51, s56, s26
	s_mul_i32 s40, s52, s26
	s_cbranch_scc1 .LBB505_19
; %bb.1:
	s_add_i32 s5, s61, s60
	s_lshl_b64 s[0:1], s[4:5], 8
	v_and_b32_e32 v74, 56, v69
	s_waitcnt lgkmcnt(0)
	s_add_u32 s24, s14, s0
	v_lshl_or_b32 v73, v1, 3, v70
	v_lshlrev_b32_e32 v18, 1, v74
	s_addc_u32 s0, s15, s1
	v_lshl_or_b32 v75, v73, 8, v18
	s_and_b32 s25, s0, 0xffff
	s_mov_b32 s27, 0x20000
	s_movk_i32 s26, 0x4000
	s_movk_i32 s0, 0x80
	v_or_b32_e32 v76, 0x2000, v75
	buffer_load_dwordx4 v[20:23], v75, s[24:27], 0 offen
	buffer_load_dwordx4 v[24:27], v75, s[24:27], s0 offen
	;; [unrolled: 1-line block ×4, first 2 shown]
	v_lshlrev_b32_e32 v19, 3, v73
	v_and_or_b32 v37, v0, 7, v19
	v_and_b32_e32 v19, 0x78, v19
	v_lshlrev_b32_e32 v37, 4, v37
	v_xor_b32_e32 v77, v37, v19
	v_mul_lo_u32 v36, v73, s23
	v_or_b32_e32 v78, 0x1000, v77
	v_xor_b32_e32 v19, 8, v77
	s_cmpk_eq_i32 s23, 0x80
	s_mov_b32 s62, s22
	v_xor_b32_e32 v37, 8, v78
	s_cselect_b64 s[0:1], -1, 0
	s_cmpk_lg_i32 s23, 0x80
	s_waitcnt vmcnt(3)
	ds_write_b64 v77, v[20:21] offset:24576
	ds_write_b64 v19, v[22:23] offset:24576
	s_waitcnt vmcnt(2)
	ds_write_b64 v77, v[24:25] offset:32768
	ds_write_b64 v19, v[26:27] offset:32768
	;; [unrolled: 3-line block ×4, first 2 shown]
	v_lshl_add_u32 v19, v36, 1, v74
	s_cbranch_scc0 .LBB505_3
; %bb.2:
	v_lshlrev_b32_e32 v21, 1, v19
	v_add_lshl_u32 v20, v19, s23, 1
	s_lshl_b32 s26, s23, 7
	v_lshl_or_b32 v18, v73, 9, v18
	s_cbranch_execz .LBB505_4
	s_branch .LBB505_5
.LBB505_3:
                                        ; implicit-def: $vgpr20
                                        ; implicit-def: $vgpr21
                                        ; implicit-def: $sgpr26
	v_lshl_or_b32 v18, v73, 9, v18
.LBB505_4:
	v_or_b32_e32 v20, 0x100, v18
	s_movk_i32 s26, 0x4000
	v_mov_b32_e32 v21, v18
.LBB505_5:
	s_mul_hi_u32 s24, s22, s20
	s_mul_i32 s25, s57, s20
	s_add_i32 s24, s24, s25
	s_mul_i32 s25, s22, s20
	s_mul_i32 s27, s25, s3
	s_mul_hi_u32 s28, s25, s54
	s_add_i32 s27, s28, s27
	s_mul_i32 s24, s24, s54
	s_add_i32 s27, s27, s24
	s_mul_i32 s25, s25, s54
	s_ashr_i32 s63, s58, 31
	s_add_u32 s24, s25, s58
	s_addc_u32 s25, s27, s63
	s_lshl_b64 s[24:25], s[24:25], 8
	s_add_u32 s24, s12, s24
	s_addc_u32 s25, s13, s25
	s_and_b32 s25, s25, 0xffff
	s_mov_b32 s27, 0x20000
	s_movk_i32 s64, 0x80
	buffer_load_dwordx4 v[22:25], v21, s[24:27], 0 offen
	buffer_load_dwordx4 v[26:29], v21, s[24:27], s64 offen
	buffer_load_dwordx4 v[30:33], v20, s[24:27], 0 offen
	buffer_load_dwordx4 v[34:37], v20, s[24:27], s64 offen
	v_and_b32_e32 v20, 6, v0
	v_lshlrev_b32_e32 v39, 6, v71
	v_or_b32_e32 v41, 16, v68
	v_xor_b32_e32 v42, v73, v20
	v_and_b32_e32 v21, 1, v0
	v_lshl_or_b32 v45, v68, 3, v39
	v_lshl_or_b32 v39, v41, 3, v39
	v_lshlrev_b32_e32 v42, 2, v42
	s_mul_i32 s3, s3, s20
	s_mul_hi_u32 s24, s54, s20
	v_lshlrev_b32_e32 v38, 2, v68
	v_or_b32_e32 v81, 0xa000, v39
	v_or_b32_e32 v82, 0xb000, v39
	v_xor_b32_e32 v39, 0x440, v42
	v_cmp_eq_u32_e32 vcc, 0, v21
	v_xor_b32_e32 v43, v71, v38
	v_xor_b32_e32 v44, v72, v38
	v_cndmask_b32_e32 v21, v39, v42, vcc
	s_add_i32 s69, s24, s3
	s_add_i32 s3, s48, s33
	s_mov_b32 s66, 0x1000504
	v_lshlrev_b32_e32 v40, 8, v68
	v_lshlrev_b32_e32 v43, 1, v43
	v_lshlrev_b32_e32 v44, 1, v44
	v_lshl_or_b32 v20, v20, 10, v21
	s_add_i32 s39, s3, s49
	s_add_i32 s3, s50, s43
	s_mov_b32 s67, 0x3020706
	v_or_b32_e32 v79, 0xa000, v45
	v_or_b32_e32 v80, 0xb000, v45
	;; [unrolled: 1-line block ×4, first 2 shown]
	v_xor_b32_e32 v21, 8, v20
	v_xor_b32_e32 v40, 24, v20
	;; [unrolled: 1-line block ×4, first 2 shown]
	s_add_i32 s41, s3, s51
	s_lshl_b64 s[24:25], s[38:39], 2
	v_xor_b32_e32 v39, 16, v20
	v_xor_b32_e32 v42, 32, v20
	;; [unrolled: 1-line block ×3, first 2 shown]
	v_add_u32_e32 v21, 0x80, v21
	v_add_u32_e32 v40, 0x80, v40
	;; [unrolled: 1-line block ×4, first 2 shown]
	s_add_u32 s3, s18, s24
	s_addc_u32 s26, s19, s25
	s_lshl_b64 s[24:25], s[40:41], 2
	s_add_u32 s44, s3, s24
	s_movk_i32 s3, 0xf8
	s_addc_u32 s45, s26, s25
	s_lshl_b32 s30, s23, 7
	s_movk_i32 s28, 0x100
	v_mov_b32_e32 v59, 0
	v_lshlrev_b32_e32 v58, 4, v68
	v_cmp_gt_u32_e32 vcc, s28, v0
	v_ashrrev_i32_e32 v57, 31, v56
	s_mov_b32 s65, 0
	s_mul_i32 s68, s54, s20
	s_movk_i32 s39, 0x1000
	s_movk_i32 s26, 0x4000
	v_mov_b32_e32 v107, 0x3fb8aa3b
	s_mov_b32 s70, 0
	s_waitcnt vmcnt(1)
	v_perm_b32 v48, v22, v30, s66
	s_waitcnt vmcnt(0)
	v_perm_b32 v49, v26, v34, s66
	v_perm_b32 v22, v22, v30, s67
	;; [unrolled: 1-line block ×15, first 2 shown]
	ds_write2st64_b32 v20, v48, v49 offset0:32 offset1:64
	ds_write2st64_b32 v21, v22, v26 offset0:32 offset1:64
	;; [unrolled: 1-line block ×8, first 2 shown]
	v_lshlrev_b32_e32 v20, 8, v41
	v_or_b32_e32 v85, v20, v43
	v_or_b32_e32 v86, v20, v44
	;; [unrolled: 1-line block ×3, first 2 shown]
	v_lshlrev_b32_e32 v20, 3, v20
	v_lshrrev_b32_e32 v23, 5, v51
	v_and_or_b32 v23, v20, s3, v23
	v_lshlrev_b32_e32 v23, 4, v23
	v_lshlrev_b32_e32 v21, 11, v1
	v_and_b32_e32 v20, 0x78, v20
	v_or_b32_e32 v28, 32, v23
	v_and_b32_e32 v22, 0x1000, v21
	v_lshrrev_b32_e32 v25, 1, v0
	v_xor_b32_e32 v28, v28, v20
	v_and_b32_e32 v26, 8, v25
	v_or_b32_e32 v28, v28, v22
	v_xor_b32_e32 v24, v23, v20
	v_xor_b32_e32 v89, v28, v26
	v_or_b32_e32 v28, 64, v23
	v_or_b32_e32 v23, 0x60, v23
	s_ashr_i32 s3, s2, 31
	v_xor_b32_e32 v28, v28, v20
	v_xor_b32_e32 v20, v23, v20
	s_lshl_b64 s[24:25], s[2:3], 8
	v_or_b32_e32 v24, v24, v22
	v_or_b32_e32 v28, v28, v22
	;; [unrolled: 1-line block ×3, first 2 shown]
	s_add_u32 s24, s6, s24
	v_lshlrev_b32_e32 v22, 1, v68
	v_xor_b32_e32 v91, v28, v26
	v_lshrrev_b32_e32 v28, 4, v0
	s_addc_u32 s25, s7, s25
	v_or_b32_e32 v23, 1, v22
	v_mov_b32_e32 v32, 0x4000
	v_mov_b32_e32 v33, 0x2000
	v_xor_b32_e32 v29, v28, v22
	v_xor_b32_e32 v30, v23, v28
	v_lshl_add_u64 v[22:23], s[24:25], 0, v[58:59]
	v_lshlrev_b32_e32 v58, 8, v28
	v_cndmask_b32_e32 v32, v32, v33, vcc
	v_lshlrev_b32_e32 v33, 3, v1
	v_and_b32_e32 v25, 24, v25
	v_lshl_or_b32 v95, v29, 3, v58
	v_and_b32_e32 v29, 8, v0
	v_xor_b32_e32 v34, v33, v25
	v_or_b32_e32 v35, 0x440, v34
	v_cmp_eq_u32_e32 vcc, 0, v29
	v_and_b32_e32 v28, 7, v0
	v_xor_b32_e32 v87, v24, v26
	v_cndmask_b32_e32 v29, v35, v34, vcc
	v_lshlrev_b32_e32 v24, 7, v67
	v_lshl_or_b32 v96, v30, 3, v58
	v_lshlrev_b32_e32 v30, 3, v28
	v_lshlrev_b32_e32 v28, 7, v28
	;; [unrolled: 1-line block ×3, first 2 shown]
	v_or_b32_e32 v29, v29, v21
	v_or_b32_e32 v27, v24, v38
	v_xad_u32 v97, v29, v30, v28
	v_and_or_b32 v24, v31, 60, v24
	v_mov_b32_e32 v29, 0xb000
	v_lshl_or_b32 v98, v24, 1, v29
	v_or_b32_e32 v24, 32, v25
	v_xor_b32_e32 v24, v33, v24
	v_or_b32_e32 v29, 0x440, v24
	v_cndmask_b32_e32 v24, v29, v24, vcc
	v_or_b32_e32 v24, v24, v21
	v_xad_u32 v99, v24, v30, v28
	v_or_b32_e32 v24, 64, v25
	v_xor_b32_e32 v24, v33, v24
	v_xor_b32_e32 v29, 0x440, v24
	v_cndmask_b32_e32 v24, v29, v24, vcc
	v_or_b32_e32 v24, v24, v21
	v_xad_u32 v100, v24, v30, v28
	v_or_b32_e32 v24, 0x60, v25
	v_xor_b32_e32 v24, v33, v24
	v_xor_b32_e32 v25, 0x440, v24
	v_lshlrev_b32_e32 v27, 1, v27
	v_cndmask_b32_e32 v24, v25, v24, vcc
	v_or_b32_e32 v88, 0xa000, v27
	v_or_b32_e32 v90, 0xa080, v27
	v_xor_b32_e32 v92, v20, v26
	v_or_b32_e32 v93, 0xb000, v27
	v_or_b32_e32 v94, 0xb080, v27
	v_lshlrev_b32_e32 v26, 1, v19
	v_add_lshl_u32 v19, v19, s23, 1
	v_or_b32_e32 v27, 0x100, v18
	v_or_b32_e32 v21, v24, v21
	v_lshlrev_b32_e32 v20, 7, v71
	v_xad_u32 v101, v21, v30, v28
	v_cndmask_b32_e64 v102, v26, v18, s[0:1]
	v_cndmask_b32_e64 v103, v19, v27, s[0:1]
	v_lshlrev_b64 v[18:19], 1, v[56:57]
	v_lshl_add_u64 v[60:61], s[16:17], 0, v[18:19]
	v_lshl_add_u64 v[62:63], s[8:9], 0, v[18:19]
	;; [unrolled: 1-line block ×3, first 2 shown]
	s_mov_b32 s3, 0x7060302
	v_lshlrev_b32_e32 v58, 1, v20
	v_add_u32_e32 v57, v32, v97
	v_add_u32_e32 v104, v32, v99
	;; [unrolled: 1-line block ×4, first 2 shown]
	s_waitcnt lgkmcnt(0)
	s_barrier
.LBB505_6:                              ; =>This Inner Loop Header: Depth=1
	s_add_i32 s41, s70, 1
	s_cmp_lt_i32 s41, s55
	s_mov_b64 s[28:29], 0
	s_cselect_b64 s[46:47], -1, 0
	s_cmp_ge_i32 s41, s55
	s_mov_b64 s[24:25], 0
	s_cbranch_scc1 .LBB505_8
; %bb.7:                                ;   in Loop: Header=BB505_6 Depth=1
	s_add_i32 s0, s65, 64
	s_add_u32 s0, s4, s0
	s_addc_u32 s1, s5, 0
	s_lshl_b64 s[0:1], s[0:1], 8
	s_add_u32 s24, s14, s0
	s_addc_u32 s25, s15, s1
.LBB505_8:                              ;   in Loop: Header=BB505_6 Depth=1
	v_cndmask_b32_e64 v18, 0, 1, s[46:47]
	v_cmp_ne_u32_e64 s[0:1], 1, v18
	s_andn2_b64 vcc, exec, s[46:47]
	s_cbranch_vccnz .LBB505_10
; %bb.9:                                ;   in Loop: Header=BB505_6 Depth=1
	s_add_i32 s28, s65, 64
	s_add_u32 s28, s68, s28
	s_addc_u32 s29, s69, 0
	s_mul_i32 s31, s28, s57
	s_mul_hi_u32 s46, s28, s62
	s_add_i32 s31, s46, s31
	s_mul_i32 s29, s29, s62
	s_add_i32 s31, s31, s29
	s_mul_i32 s28, s28, s62
	s_add_u32 s28, s28, s58
	s_addc_u32 s29, s31, s63
	s_lshl_b64 s[28:29], s[28:29], 8
	s_add_u32 s28, s12, s28
	s_addc_u32 s29, s13, s29
.LBB505_10:                             ;   in Loop: Header=BB505_6 Depth=1
	v_perm_b32 v19, v5, v4, s3
	v_perm_b32 v18, v3, v2, s3
	;; [unrolled: 1-line block ×4, first 2 shown]
	ds_write_b64 v79, v[18:19]
	ds_write_b64 v80, v[20:21]
	;; [unrolled: 1-line block ×4, first 2 shown]
	v_perm_b32 v19, v13, v12, s3
	v_perm_b32 v18, v11, v10, s3
	;; [unrolled: 1-line block ×4, first 2 shown]
	ds_write_b64 v81, v[18:19]
	ds_write_b64 v82, v[20:21]
	ds_write_b64 v85, v[18:19]
	ds_write_b64 v86, v[20:21]
	s_waitcnt lgkmcnt(0)
	s_barrier
	ds_read_b64 v[22:23], v87 offset:24576
	ds_read2_b64 v[18:21], v88 offset1:16
	ds_read_b64 v[26:27], v90 offset:3072
	ds_read_b64 v[28:29], v88 offset:3072
	;; [unrolled: 1-line block ×3, first 2 shown]
	s_waitcnt lgkmcnt(3)
	v_mfma_f32_16x16x16_bf16 a[0:3], v[22:23], v[18:19], 0
	s_add_i32 s31, s65, 63
	s_mul_i32 s46, s31, s37
	s_mul_hi_u32 s47, s31, s36
	v_mfma_f32_16x16x16_bf16 a[4:7], v[22:23], v[20:21], 0
	ds_read2st64_b64 v[18:21], v88 offset0:2 offset1:4
	ds_read2st64_b64 v[22:25], v90 offset0:2 offset1:4
	s_add_i32 s47, s47, s46
	s_waitcnt lgkmcnt(1)
	v_mfma_f32_16x16x16_bf16 a[0:3], v[30:31], v[18:19], a[0:3]
	s_mul_i32 s46, s31, s36
	s_lshl_b64 s[46:47], s[46:47], 2
	s_add_u32 s46, s44, s46
	s_waitcnt lgkmcnt(0)
	v_mfma_f32_16x16x16_bf16 a[4:7], v[30:31], v[22:23], a[4:7]
	ds_read_b64 v[18:19], v91 offset:24576
	ds_read_b64 v[22:23], v92 offset:24576
	s_addc_u32 s47, s45, s47
	s_and_b64 vcc, exec, s[0:1]
	s_waitcnt lgkmcnt(1)
	v_mfma_f32_16x16x16_bf16 a[0:3], v[18:19], v[20:21], a[0:3]
	v_mov_b32_e32 v110, 0
	v_mov_b32_e32 v109, 0
	;; [unrolled: 1-line block ×3, first 2 shown]
	v_mfma_f32_16x16x16_bf16 a[8:11], v[18:19], v[24:25], a[4:7]
	v_mov_b32_e32 v18, 0
	v_mov_b32_e32 v19, 0
	;; [unrolled: 1-line block ×3, first 2 shown]
	s_waitcnt lgkmcnt(0)
	v_mfma_f32_16x16x16_bf16 a[4:7], v[22:23], v[28:29], a[0:3]
	v_mov_b32_e32 v21, 0
	v_mov_b32_e32 v24, 0
	;; [unrolled: 1-line block ×3, first 2 shown]
	v_mfma_f32_16x16x16_bf16 a[0:3], v[22:23], v[26:27], a[8:11]
	v_mov_b32_e32 v22, 0
	v_mov_b32_e32 v23, 0
	;; [unrolled: 1-line block ×10, first 2 shown]
	s_cbranch_vccnz .LBB505_12
; %bb.11:                               ;   in Loop: Header=BB505_6 Depth=1
	s_and_b32 s25, s25, 0xffff
	buffer_load_dwordx4 v[30:33], v75, s[24:27], 0 offen
	buffer_load_dwordx4 v[26:29], v75, s[24:27], s64 offen
	;; [unrolled: 1-line block ×4, first 2 shown]
	v_mov_b32_e32 v109, v77
	v_mov_b32_e32 v108, v78
.LBB505_12:                             ;   in Loop: Header=BB505_6 Depth=1
	ds_read_b64 v[42:43], v87 offset:32768
	ds_read2_b64 v[34:37], v93 offset1:16
	ds_read_b64 v[44:45], v89 offset:32768
	ds_read_b64 v[46:47], v91 offset:32768
	;; [unrolled: 1-line block ×3, first 2 shown]
	v_add_u32_e32 v111, s65, v71
	s_waitcnt lgkmcnt(3)
	v_mfma_f32_16x16x16_bf16 a[4:7], v[42:43], v[34:35], a[4:7]
	v_ashrrev_i32_e32 v34, 31, v111
	ds_read2st64_b64 v[38:41], v93 offset0:2 offset1:4
	v_mfma_f32_16x16x16_bf16 a[0:3], v[42:43], v[36:37], a[0:3]
	v_mul_lo_u32 v36, v34, s36
	v_mul_lo_u32 v37, v111, s37
	v_mad_u64_u32 v[34:35], s[24:25], v111, s36, 0
	v_add3_u32 v35, v35, v37, v36
	v_add_u32_e32 v36, 1, v111
	v_ashrrev_i32_e32 v37, 31, v36
	v_mul_lo_u32 v42, v37, s36
	v_mul_lo_u32 v43, v36, s37
	v_mad_u64_u32 v[36:37], s[24:25], v36, s36, 0
	v_add3_u32 v37, v37, v43, v42
	v_add_u32_e32 v42, 2, v111
	v_ashrrev_i32_e32 v43, 31, v42
	v_mul_lo_u32 v112, v43, s36
	v_mul_lo_u32 v113, v42, s37
	v_mad_u64_u32 v[42:43], s[24:25], v42, s36, 0
	v_add_u32_e32 v111, 3, v111
	v_add3_u32 v43, v43, v113, v112
	v_ashrrev_i32_e32 v112, 31, v111
	v_mul_lo_u32 v114, v112, s36
	v_mad_u64_u32 v[112:113], s[24:25], v111, s36, 0
	s_add_u32 s24, s4, s65
	s_addc_u32 s25, s5, 0
	v_mul_lo_u32 v115, v111, s37
	s_lshl_b64 s[72:73], s[24:25], 8
	v_lshl_add_u64 v[34:35], v[34:35], 2, s[44:45]
	v_lshl_add_u64 v[36:37], v[36:37], 2, s[44:45]
	v_add3_u32 v113, v113, v115, v114
	v_lshl_add_u64 v[114:115], v[60:61], 0, s[72:73]
	v_lshl_add_u64 v[42:43], v[42:43], 2, s[44:45]
	;; [unrolled: 1-line block ×3, first 2 shown]
	global_load_dword v111, v[34:35], off
	global_load_ushort v116, v[114:115], off offset:256
	global_load_ushort v117, v[114:115], off
	v_lshl_add_u64 v[34:35], v[112:113], 2, s[44:45]
	global_load_dword v112, v[36:37], off
	global_load_dword v113, v[42:43], off
	;; [unrolled: 1-line block ×3, first 2 shown]
	ds_read2st64_b64 v[34:37], v94 offset0:2 offset1:4
	global_load_ushort v119, v[114:115], off offset:768
	global_load_ushort v120, v[114:115], off offset:512
	;; [unrolled: 1-line block ×5, first 2 shown]
	s_nop 0
	global_load_ushort v114, v[114:115], off offset:32
	s_waitcnt lgkmcnt(1)
	v_mfma_f32_16x16x16_bf16 a[4:7], v[44:45], v[38:39], a[4:7]
	s_and_b64 vcc, exec, s[0:1]
	s_waitcnt vmcnt(10)
	v_lshlrev_b32_e32 v43, 16, v116
	s_waitcnt lgkmcnt(0)
	v_mfma_f32_16x16x16_bf16 a[0:3], v[44:45], v[34:35], a[0:3]
	s_waitcnt vmcnt(9)
	v_lshlrev_b32_e32 v42, 16, v117
	v_mfma_f32_16x16x16_bf16 a[4:7], v[46:47], v[40:41], a[4:7]
	v_mfma_f32_16x16x16_bf16 a[0:3], v[46:47], v[36:37], a[0:3]
	ds_read_b64 v[34:35], v93 offset:3072
	ds_read_b64 v[36:37], v94 offset:3072
	s_load_dword s24, s[46:47], 0x0
	s_waitcnt lgkmcnt(0)
	v_sub_f32_e32 v44, s24, v111
	v_mfma_f32_16x16x16_bf16 a[4:7], v[48:49], v[34:35], a[4:7]
	v_mul_f32_e32 v44, 0x3fb8aa3b, v44
	s_waitcnt vmcnt(8)
	v_sub_f32_e32 v45, s24, v112
	s_waitcnt vmcnt(7)
	v_sub_f32_e32 v46, s24, v113
	;; [unrolled: 2-line block ×3, first 2 shown]
	v_mfma_f32_16x16x16_bf16 a[0:3], v[48:49], v[36:37], a[0:3]
	v_lshl_add_u64 v[34:35], v[62:63], 0, s[72:73]
	v_lshl_add_u64 v[34:35], v[34:35], 0, v[58:59]
	v_accvgpr_read_b32 v41, a5
	v_accvgpr_read_b32 v40, a4
	v_pk_add_f32 v[40:41], v[42:43], v[40:41] neg_lo:[0,1] neg_hi:[0,1]
	v_exp_f32_e32 v42, v44
	v_mul_f32_e32 v43, 0x3fb8aa3b, v45
	v_mul_f32_e32 v44, 0x3fb8aa3b, v46
	;; [unrolled: 1-line block ×3, first 2 shown]
	v_exp_f32_e32 v43, v43
	v_exp_f32_e32 v44, v44
	;; [unrolled: 1-line block ×3, first 2 shown]
	v_accvgpr_read_b32 v37, a7
	v_accvgpr_read_b32 v36, a6
	s_waitcnt vmcnt(5)
	v_lshlrev_b32_e32 v47, 16, v119
	s_waitcnt vmcnt(4)
	v_lshlrev_b32_e32 v46, 16, v120
	v_pk_add_f32 v[36:37], v[46:47], v[36:37] neg_lo:[0,1] neg_hi:[0,1]
	global_store_short_d16_hi v[34:35], v40, off
	global_store_short_d16_hi v[34:35], v41, off offset:256
	global_store_short_d16_hi v[34:35], v36, off offset:512
	global_store_short_d16_hi v[34:35], v37, off offset:768
	v_pk_mul_f32 v[40:41], v[42:43], v[40:41]
	v_pk_mul_f32 v[36:37], v[44:45], v[36:37]
	v_accvgpr_read_b32 v47, a1
	v_perm_b32 v37, v37, v36, s3
	v_perm_b32 v36, v41, v40, s3
	s_waitcnt vmcnt(5)
	v_lshlrev_b32_e32 v41, 16, v123
	s_waitcnt vmcnt(4)
	v_lshlrev_b32_e32 v40, 16, v114
	v_accvgpr_read_b32 v46, a0
	v_accvgpr_read_b32 v39, a3
	;; [unrolled: 1-line block ×3, first 2 shown]
	v_pk_add_f32 v[40:41], v[40:41], v[46:47] neg_lo:[0,1] neg_hi:[0,1]
	v_lshlrev_b32_e32 v47, 16, v121
	v_lshlrev_b32_e32 v46, 16, v122
	v_pk_add_f32 v[38:39], v[46:47], v[38:39] neg_lo:[0,1] neg_hi:[0,1]
	global_store_short_d16_hi v[34:35], v40, off offset:32
	global_store_short_d16_hi v[34:35], v41, off offset:288
	;; [unrolled: 1-line block ×4, first 2 shown]
	v_pk_mul_f32 v[34:35], v[42:43], v[40:41]
	v_pk_mul_f32 v[38:39], v[44:45], v[38:39]
	v_mov_b32_e32 v111, 0
	v_perm_b32 v39, v39, v38, s3
	v_perm_b32 v38, v35, v34, s3
	ds_write2_b64 v80, v[36:37], v[38:39] offset1:16
	v_mov_b32_e32 v34, 0
	v_mov_b32_e32 v35, 0
	;; [unrolled: 1-line block ×16, first 2 shown]
	s_cbranch_vccnz .LBB505_14
; %bb.13:                               ;   in Loop: Header=BB505_6 Depth=1
	s_and_b32 s29, s29, 0xffff
	s_mov_b32 s31, s27
	buffer_load_dwordx4 v[46:49], v102, s[28:31], 0 offen
	buffer_load_dwordx4 v[38:41], v102, s[28:31], s64 offen
	buffer_load_dwordx4 v[42:45], v103, s[28:31], 0 offen
	buffer_load_dwordx4 v[34:37], v103, s[28:31], s64 offen
	v_mov_b32_e32 v110, v74
	v_mov_b32_e32 v111, v73
.LBB505_14:                             ;   in Loop: Header=BB505_6 Depth=1
	s_waitcnt lgkmcnt(0)
	s_barrier
	ds_read_b64 v[116:117], v57
	ds_read_b64 v[124:125], v98
	;; [unrolled: 1-line block ×5, first 2 shown]
	ds_read_b64 v[130:131], v99 offset:16384
	ds_read_b64 v[132:133], v97 offset:16384
	ds_read2_b64 v[112:115], v93 offset0:16 offset1:128
	s_waitcnt lgkmcnt(6)
	v_mfma_f32_16x16x16_bf16 a[0:3], v[116:117], v[124:125], 0
	ds_read_b64 v[134:135], v94 offset:3072
	ds_read_b64 v[136:137], v101 offset:16384
	s_add_i32 s25, s59, s70
	s_waitcnt lgkmcnt(2)
	v_mfma_f32_16x16x16_bf16 a[4:7], v[116:117], v[112:113], 0
	ds_read2st64_b64 v[116:119], v94 offset0:2 offset1:4
	s_mul_hi_i32 s29, s25, s21
	s_mul_i32 s25, s25, s21
	v_mfma_f32_16x16x16_bf16 a[0:3], v[120:121], v[114:115], a[0:3]
	s_add_u32 s28, s25, s52
	s_addc_u32 s29, s29, s56
	s_lshl_b64 s[28:29], s[28:29], 15
	s_waitcnt lgkmcnt(0)
	v_mfma_f32_16x16x16_bf16 a[4:7], v[120:121], v[116:117], a[4:7]
	ds_read2st64_b64 v[120:123], v93 offset0:4 offset1:6
	s_waitcnt lgkmcnt(0)
	v_mfma_f32_16x16x16_bf16 a[0:3], v[126:127], v[120:121], a[0:3]
	v_mfma_f32_16x16x16_bf16 a[8:11], v[126:127], v[118:119], a[4:7]
	;; [unrolled: 1-line block ×5, first 2 shown]
	ds_read2st64_b64 v[124:127], v96 offset1:8
	v_mfma_f32_16x16x16_bf16 a[12:15], v[132:133], v[112:113], 0
	ds_read_b64 v[132:133], v100 offset:16384
	v_mfma_f32_16x16x16_bf16 a[8:11], v[130:131], v[114:115], a[8:11]
	ds_read2st64_b64 v[112:115], v95 offset1:8
	s_waitcnt lgkmcnt(0)
	v_mov_b32_e32 v128, v112
	v_mfma_f32_16x16x16_bf16 a[12:15], v[130:131], v[116:117], a[12:15]
	v_lshl_add_u64 v[116:117], v[64:65], 0, s[28:29]
	v_add_co_u32_e32 v112, vcc, s39, v116
	v_mfma_f32_16x16x16_bf16 a[8:11], v[132:133], v[120:121], a[8:11]
	v_mov_b32_e32 v129, v113
	v_addc_co_u32_e32 v113, vcc, 0, v117, vcc
	v_mfma_f32_16x16x16_bf16 a[12:15], v[132:133], v[118:119], a[12:15]
	v_mov_b32_e32 v130, v124
	v_mov_b32_e32 v131, v125
	v_mov_b32_e32 v124, v114
	v_mfma_f32_16x16x16_bf16 a[8:11], v[136:137], v[122:123], a[8:11]
	v_mov_b32_e32 v125, v115
	s_and_b64 vcc, exec, s[0:1]
	global_store_dwordx4 v[116:117], v[128:131], off
	v_mfma_f32_16x16x16_bf16 a[12:15], v[136:137], v[134:135], a[12:15]
	global_store_dwordx4 v[112:113], v[124:127], off
	s_cbranch_vccnz .LBB505_16
; %bb.15:                               ;   in Loop: Header=BB505_6 Depth=1
	v_lshrrev_b32_e32 v112, 3, v110
	v_and_b32_e32 v112, 6, v112
	v_xor_b32_e32 v111, v112, v111
	v_lshlrev_b32_e32 v111, 2, v111
	v_and_b32_e32 v110, 8, v110
	v_xor_b32_e32 v113, 0x440, v111
	v_cmp_eq_u32_e32 vcc, 0, v110
	s_barrier
	s_nop 0
	v_cndmask_b32_e32 v110, v113, v111, vcc
	v_lshl_or_b32 v110, v112, 10, v110
	s_waitcnt vmcnt(3)
	v_perm_b32 v111, v46, v42, s66
	s_waitcnt vmcnt(2)
	v_perm_b32 v112, v38, v34, s66
	ds_write2st64_b32 v110, v111, v112 offset0:32 offset1:64
	v_xor_b32_e32 v111, 8, v110
	v_perm_b32 v42, v46, v42, s67
	v_perm_b32 v34, v38, v34, s67
	v_add_u32_e32 v38, 0x80, v111
	ds_write2st64_b32 v38, v42, v34 offset0:32 offset1:64
	v_xor_b32_e32 v34, 16, v110
	v_perm_b32 v38, v47, v43, s66
	v_perm_b32 v42, v39, v35, s66
	ds_write2st64_b32 v34, v38, v42 offset0:33 offset1:65
	v_xor_b32_e32 v34, 24, v110
	v_perm_b32 v38, v47, v43, s67
	v_perm_b32 v35, v39, v35, s67
	v_add_u32_e32 v34, 0x80, v34
	ds_write2st64_b32 v34, v38, v35 offset0:33 offset1:65
	v_xor_b32_e32 v34, 32, v110
	v_perm_b32 v35, v48, v44, s66
	;; [unrolled: 9-line block ×3, first 2 shown]
	v_perm_b32 v36, v41, v37, s66
	ds_write2st64_b32 v34, v35, v36 offset0:35 offset1:67
	v_xor_b32_e32 v34, 56, v110
	v_perm_b32 v35, v49, v45, s67
	v_perm_b32 v36, v41, v37, s67
	v_add_u32_e32 v34, 0x80, v34
	ds_write2st64_b32 v34, v35, v36 offset0:35 offset1:67
	ds_write_b64 v109, v[30:31] offset:24576
	v_xor_b32_e32 v30, 8, v109
	ds_write_b64 v30, v[32:33] offset:24576
	ds_write_b64 v109, v[26:27] offset:32768
	;; [unrolled: 1-line block ×4, first 2 shown]
	v_xor_b32_e32 v22, 8, v108
	ds_write_b64 v22, v[24:25] offset:24576
	ds_write_b64 v108, v[18:19] offset:32768
	;; [unrolled: 1-line block ×3, first 2 shown]
.LBB505_16:                             ;   in Loop: Header=BB505_6 Depth=1
	v_mul_f32_e32 v18, s24, v107
	s_waitcnt vmcnt(2)
	v_exp_f32_e32 v34, v18
	v_accvgpr_read_b32 v33, a7
	v_accvgpr_read_b32 v25, a3
	;; [unrolled: 1-line block ×16, first 2 shown]
	s_add_i32 s65, s65, 64
	v_fma_f32 v2, v2, v34, v30
	v_fma_f32 v3, v3, v34, v31
	v_fma_f32 v4, v4, v34, v32
	v_fmac_f32_e32 v33, v5, v34
	v_fma_f32 v10, v10, v34, v22
	v_fma_f32 v11, v11, v34, v23
	v_fma_f32 v12, v12, v34, v24
	v_fmac_f32_e32 v25, v13, v34
	;; [unrolled: 4-line block ×3, first 2 shown]
	v_fma_f32 v14, v14, v34, v18
	v_fma_f32 v15, v15, v34, v19
	v_fma_f32 v16, v16, v34, v20
	s_cmp_eq_u32 s55, s41
	v_fmac_f32_e32 v21, v17, v34
	s_cbranch_scc1 .LBB505_18
; %bb.17:                               ;   in Loop: Header=BB505_6 Depth=1
	s_mov_b32 s70, s41
	v_mov_b32_e32 v5, v33
	v_mov_b32_e32 v9, v29
	;; [unrolled: 1-line block ×4, first 2 shown]
	s_branch .LBB505_6
.LBB505_18:
	v_mov_b32_e32 v5, v33
	v_mov_b32_e32 v9, v29
	;; [unrolled: 1-line block ×4, first 2 shown]
.LBB505_19:
	s_lshl_b32 s30, s55, 6
	s_sub_i32 s31, s20, s30
	s_cmp_gt_i32 s31, 0
	s_cbranch_scc0 .LBB505_84
; %bb.20:
	s_ashr_i32 s3, s30, 31
	s_cmpk_lg_i32 s23, 0x80
	s_cselect_b64 s[26:27], -1, 0
	s_and_b64 vcc, exec, s[26:27]
	s_cbranch_vccz .LBB505_22
; %bb.21:
	s_mul_i32 s1, s54, s20
	s_mul_hi_i32 s0, s54, s20
	s_add_u32 s1, s1, s30
	s_addc_u32 s0, s0, s3
	s_mul_i32 s5, s1, s57
	s_mul_hi_u32 s24, s1, s22
	s_add_i32 s5, s24, s5
	s_mul_i32 s0, s0, s22
	s_add_i32 s5, s5, s0
	s_mul_i32 s1, s1, s22
	s_ashr_i32 s0, s58, 31
	s_add_u32 s28, s1, s58
	s_addc_u32 s29, s5, s0
	s_cbranch_execz .LBB505_23
	s_branch .LBB505_24
.LBB505_22:
                                        ; implicit-def: $sgpr28_sgpr29
.LBB505_23:
	s_mul_hi_i32 s0, s54, s22
	s_mul_i32 s54, s54, s22
	s_ashr_i32 s1, s58, 31
	s_add_u32 s5, s54, s58
	s_addc_u32 s0, s0, s1
	s_mul_i32 s1, s5, s53
	s_mul_hi_u32 s22, s5, s20
	s_add_i32 s1, s22, s1
	s_mul_i32 s0, s0, s20
	s_add_i32 s1, s1, s0
	s_mul_i32 s5, s5, s20
	s_add_u32 s28, s5, s30
	s_addc_u32 s29, s1, s3
.LBB505_24:
	s_mul_i32 s0, s42, s53
	s_add_i32 s0, s61, s0
	s_add_i32 s5, s59, s55
	;; [unrolled: 1-line block ×3, first 2 shown]
	s_add_u32 s0, s4, s30
	v_lshlrev_b32_e32 v22, 5, v71
	v_lshlrev_b32_e32 v38, 2, v68
	s_addc_u32 s1, s1, s3
	s_mov_b32 s3, 0x7060302
	v_or_b32_e32 v25, v22, v38
	v_xor_b32_e32 v23, v71, v38
	s_waitcnt vmcnt(3)
	v_perm_b32 v19, v5, v4, s3
	v_perm_b32 v18, v3, v2, s3
	s_waitcnt vmcnt(2)
	v_perm_b32 v21, v9, v8, s3
	v_perm_b32 v20, v7, v6, s3
	v_lshlrev_b32_e32 v25, 1, v25
	v_xor_b32_e32 v24, v72, v38
	ds_write2st64_b64 v25, v[18:19], v[20:21] offset0:80 offset1:88
	v_lshlrev_b32_e32 v23, 1, v23
	v_lshlrev_b32_e32 v25, 8, v68
	s_lshl_b64 s[24:25], s[0:1], 8
	v_or_b32_e32 v26, v23, v25
	v_lshlrev_b32_e32 v24, 1, v24
	s_waitcnt lgkmcnt(0)
	s_add_u32 s0, s14, s24
	ds_write_b64 v26, v[18:19]
	v_or_b32_e32 v18, v24, v25
	s_addc_u32 s1, s15, s25
	ds_write_b64 v18, v[20:21]
	s_waitcnt vmcnt(1)
	v_perm_b32 v19, v13, v12, s3
	v_perm_b32 v18, v11, v10, s3
	s_waitcnt vmcnt(0)
	v_perm_b32 v21, v17, v16, s3
	v_perm_b32 v20, v15, v14, s3
	v_or_b32_e32 v25, 16, v68
	s_mul_hi_i32 s3, s5, s21
	s_mul_i32 s5, s5, s21
	v_lshlrev_b32_e32 v35, 2, v25
	s_add_u32 s4, s5, s52
	v_or_b32_e32 v22, v22, v35
	s_addc_u32 s5, s3, s56
	v_lshlrev_b32_e32 v22, 1, v22
	s_ashr_i32 s3, s2, 31
	s_lshl_b64 s[4:5], s[4:5], 15
	ds_write2st64_b64 v22, v[18:19], v[20:21] offset0:80 offset1:88
	v_lshlrev_b32_e32 v22, 8, v25
	s_add_u32 s4, s6, s4
	v_or_b32_e32 v23, v23, v22
	s_addc_u32 s5, s7, s5
	s_lshl_b64 s[2:3], s[2:3], 8
	ds_write_b64 v23, v[18:19]
	v_or_b32_e32 v18, v24, v22
	s_add_u32 s2, s4, s2
	ds_write_b64 v18, v[20:21]
	v_lshrrev_b32_e32 v18, 4, v0
	s_addc_u32 s3, s5, s3
	v_lshlrev_b32_e32 v19, 1, v68
	v_lshlrev_b32_e32 v26, 4, v68
	v_mov_b32_e32 v27, 0
	v_or_b32_e32 v20, 1, v19
	v_xor_b32_e32 v19, v18, v19
	v_lshl_add_u64 v[28:29], s[2:3], 0, v[26:27]
	v_lshlrev_b32_e32 v26, 8, v18
	v_xor_b32_e32 v22, v20, v18
	v_lshl_or_b32 v18, v19, 3, v26
	s_waitcnt lgkmcnt(0)
	s_barrier
	ds_read2st64_b64 v[18:21], v18 offset1:8
	v_lshl_or_b32 v22, v22, 3, v26
	ds_read2st64_b64 v[22:25], v22 offset1:8
	v_lshl_add_u64 v[30:31], v[28:29], 0, v[26:27]
	s_movk_i32 s2, 0x1000
	s_waitcnt lgkmcnt(1)
	v_mov_b32_e32 v26, v18
	v_add_co_u32_e32 v18, vcc, s2, v30
	s_cmp_lg_u32 s31, 64
	v_mov_b32_e32 v27, v19
	v_addc_co_u32_e32 v19, vcc, 0, v31, vcc
	s_cselect_b64 s[14:15], -1, 0
	v_lshl_or_b32 v42, v1, 3, v70
	s_waitcnt lgkmcnt(0)
	v_mov_b32_e32 v28, v22
	v_mov_b32_e32 v29, v23
	;; [unrolled: 1-line block ×4, first 2 shown]
	s_mov_b32 s4, 0
	v_or_b32_e32 v36, 32, v42
	v_and_b32_e32 v34, 56, v69
	s_and_b64 vcc, exec, s[14:15]
	global_store_dwordx4 v[30:31], v[26:29], off
	global_store_dwordx4 v[18:19], v[22:25], off
	s_cbranch_vccz .LBB505_30
; %bb.25:
	s_mov_b32 s6, s4
	s_mov_b32 s7, s4
	;; [unrolled: 1-line block ×3, first 2 shown]
	v_mov_b64_e32 v[24:25], s[6:7]
	v_mov_b64_e32 v[22:23], s[4:5]
	;; [unrolled: 1-line block ×3, first 2 shown]
	v_cmp_gt_i32_e32 vcc, s31, v42
	v_mov_b64_e32 v[20:21], v[24:25]
	s_and_saveexec_b64 s[2:3], vcc
	s_cbranch_execz .LBB505_27
; %bb.26:
	v_lshlrev_b32_e32 v18, 8, v42
	v_mov_b32_e32 v19, 0
	v_lshl_add_u64 v[20:21], s[0:1], 0, v[18:19]
	v_lshlrev_b32_e32 v18, 1, v34
	v_lshl_add_u64 v[26:27], v[20:21], 0, v[18:19]
	global_load_dwordx4 v[22:25], v[26:27], off
	global_load_dwordx4 v[18:21], v[26:27], off offset:128
.LBB505_27:
	s_or_b64 exec, exec, s[2:3]
	s_mov_b32 s6, s4
	s_mov_b32 s7, s4
	;; [unrolled: 1-line block ×3, first 2 shown]
	v_mov_b64_e32 v[32:33], s[6:7]
	v_mov_b64_e32 v[30:31], s[4:5]
	;; [unrolled: 1-line block ×3, first 2 shown]
	v_cmp_gt_i32_e32 vcc, s31, v36
	v_lshlrev_b32_e32 v37, 7, v36
	v_mov_b64_e32 v[28:29], v[32:33]
	s_and_saveexec_b64 s[2:3], vcc
	s_cbranch_execz .LBB505_29
; %bb.28:
	v_lshlrev_b32_e32 v26, 1, v37
	v_mov_b32_e32 v27, 0
	v_lshl_add_u64 v[28:29], s[0:1], 0, v[26:27]
	v_lshlrev_b32_e32 v26, 1, v34
	v_lshl_add_u64 v[40:41], v[28:29], 0, v[26:27]
	global_load_dwordx4 v[30:33], v[40:41], off
	global_load_dwordx4 v[26:29], v[40:41], off offset:128
.LBB505_29:
	s_or_b64 exec, exec, s[2:3]
	v_lshrrev_b32_e32 v39, 3, v34
	v_lshlrev_b32_e32 v40, 3, v42
	v_or_b32_e32 v39, v40, v39
	v_lshlrev_b32_e32 v39, 4, v39
	v_and_b32_e32 v40, 0x78, v40
	v_xor_b32_e32 v39, v39, v40
	s_branch .LBB505_32
.LBB505_30:
                                        ; implicit-def: $vgpr39
                                        ; implicit-def: $vgpr37
                                        ; implicit-def: $vgpr22_vgpr23_vgpr24_vgpr25
                                        ; implicit-def: $vgpr18_vgpr19_vgpr20_vgpr21
                                        ; implicit-def: $vgpr30_vgpr31_vgpr32_vgpr33
                                        ; implicit-def: $vgpr26_vgpr27_vgpr28_vgpr29
	s_cbranch_execz .LBB505_32
; %bb.31:
	s_waitcnt vmcnt(0)
	v_lshlrev_b32_e32 v18, 1, v34
	v_lshl_or_b32 v37, v42, 8, v18
	s_and_b32 s1, s1, 0xffff
	s_mov_b32 s3, 0x20000
	s_movk_i32 s2, 0x4000
	v_lshl_or_b32 v39, v36, 8, v18
	s_movk_i32 s4, 0x80
	buffer_load_dwordx4 v[22:25], v37, s[0:3], 0 offen
	buffer_load_dwordx4 v[18:21], v37, s[0:3], s4 offen
	buffer_load_dwordx4 v[30:33], v39, s[0:3], 0 offen
	buffer_load_dwordx4 v[26:29], v39, s[0:3], s4 offen
	v_lshrrev_b32_e32 v37, 3, v34
	v_lshlrev_b32_e32 v39, 3, v42
	v_or_b32_e32 v37, v39, v37
	v_lshlrev_b32_e32 v37, 4, v37
	v_and_b32_e32 v39, 0x78, v39
	v_xor_b32_e32 v39, v37, v39
	v_lshlrev_b32_e32 v37, 7, v36
.LBB505_32:
	s_lshl_b64 s[0:1], s[28:29], 8
	s_add_u32 s4, s12, s0
	s_movk_i32 s0, 0x1000
	v_and_or_b32 v36, v37, s0, v39
	s_waitcnt vmcnt(1)
	ds_write_b64 v39, v[22:23] offset:24576
	v_xor_b32_e32 v22, 8, v39
	ds_write_b64 v22, v[24:25] offset:24576
	s_waitcnt vmcnt(0)
	ds_write_b64 v39, v[18:19] offset:32768
	ds_write_b64 v22, v[20:21] offset:32768
	;; [unrolled: 1-line block ×3, first 2 shown]
	v_xor_b32_e32 v18, 8, v36
	ds_write_b64 v18, v[32:33] offset:24576
	ds_write_b64 v36, v[26:27] offset:32768
	ds_write_b64 v18, v[28:29] offset:32768
	v_or_b32_e32 v18, v66, v68
	v_lshlrev_b32_e32 v18, 3, v18
	v_lshrrev_b32_e32 v19, 5, v51
	s_movk_i32 s3, 0xf8
	v_and_or_b32 v19, v18, s3, v19
	v_lshlrev_b32_e32 v23, 4, v19
	v_lshlrev_b32_e32 v39, 11, v1
	v_and_b32_e32 v24, 0x78, v18
	v_or_b32_e32 v26, 32, v23
	v_and_b32_e32 v22, 0x1000, v39
	v_lshrrev_b32_e32 v19, 1, v51
	v_xor_b32_e32 v26, v26, v24
	v_xor_b32_e32 v18, v23, v24
	v_and_b32_e32 v25, 8, v19
	v_or_b32_e32 v26, v26, v22
	v_or_b32_e32 v18, v18, v22
	v_xor_b32_e32 v44, v26, v25
	v_or_b32_e32 v26, 64, v23
	v_xor_b32_e32 v43, v18, v25
	v_xor_b32_e32 v26, v26, v24
	s_waitcnt lgkmcnt(0)
	s_barrier
	v_or_b32_e32 v28, v26, v22
	ds_read_b64 v[26:27], v43 offset:24576
	v_lshl_or_b32 v36, v67, 7, v38
	v_lshlrev_b32_e32 v40, 1, v36
	v_add_u32_e32 v18, 0xa000, v40
	ds_read2_b64 v[18:21], v18 offset1:16
	v_or_b32_e32 v23, 0x60, v23
	v_xor_b32_e32 v23, v23, v24
	s_waitcnt lgkmcnt(0)
	v_mfma_f32_16x16x16_bf16 a[0:3], v[26:27], v[18:19], 0
	v_or_b32_e32 v18, 64, v36
	v_or_b32_e32 v22, v23, v22
	v_lshlrev_b32_e32 v41, 1, v18
	v_xor_b32_e32 v45, v28, v25
	v_xor_b32_e32 v46, v22, v25
	ds_read_b64 v[28:29], v44 offset:24576
	ds_read_b64 v[30:31], v45 offset:24576
	;; [unrolled: 1-line block ×3, first 2 shown]
	v_mfma_f32_16x16x16_bf16 a[4:7], v[26:27], v[20:21], 0
	ds_read2st64_b64 v[18:21], v41 offset0:82 offset1:84
	ds_read2st64_b64 v[22:25], v40 offset0:82 offset1:84
	s_addc_u32 s5, s13, s1
	s_add_i32 s1, s48, s33
	s_add_i32 s0, s20, -1
	s_add_i32 s39, s1, s49
	s_add_i32 s1, s50, s43
	;; [unrolled: 1-line block ×3, first 2 shown]
	s_ashr_i32 s1, s0, 31
	s_mul_i32 s2, s0, s37
	s_mul_hi_u32 s3, s0, s36
	s_add_i32 s2, s3, s2
	s_mul_i32 s1, s1, s36
	s_waitcnt lgkmcnt(1)
	v_mfma_f32_16x16x16_bf16 a[4:7], v[28:29], v[18:19], a[4:7]
	s_add_i32 s1, s2, s1
	s_lshl_b64 s[2:3], s[38:39], 2
	s_add_u32 s6, s18, s2
	s_waitcnt lgkmcnt(0)
	v_mfma_f32_16x16x16_bf16 a[0:3], v[28:29], v[22:23], a[0:3]
	s_addc_u32 s7, s19, s3
	s_lshl_b64 s[2:3], s[40:41], 2
	s_mul_i32 s0, s0, s36
	s_add_u32 s12, s6, s2
	ds_read_b64 v[18:19], v40 offset:44032
	v_mfma_f32_16x16x16_bf16 a[4:7], v[30:31], v[20:21], a[4:7]
	ds_read_b64 v[20:21], v41 offset:44032
	s_addc_u32 s13, s7, s3
	s_lshl_b64 s[0:1], s[0:1], 2
	v_mfma_f32_16x16x16_bf16 a[0:3], v[30:31], v[24:25], a[0:3]
	s_add_u32 s0, s12, s0
	s_addc_u32 s1, s13, s1
	s_load_dword s18, s[0:1], 0x0
	s_waitcnt lgkmcnt(0)
	v_mfma_f32_16x16x16_bf16 a[0:3], v[32:33], v[18:19], a[0:3]
	s_and_b64 vcc, exec, s[26:27]
	v_mfma_f32_16x16x16_bf16 a[4:7], v[32:33], v[20:21], a[4:7]
	s_cbranch_vccz .LBB505_43
; %bb.33:
	v_lshlrev_b32_e32 v36, 1, v42
	s_and_b64 vcc, exec, s[14:15]
	s_cbranch_vccz .LBB505_44
; %bb.34:
	v_cmp_gt_i32_e32 vcc, s31, v36
	v_mov_b32_e32 v22, 0
	v_mov_b32_e32 v18, 0
	v_mov_b32_e32 v19, 0
	v_mov_b32_e32 v20, 0
	v_mov_b32_e32 v21, 0
	s_and_saveexec_b64 s[0:1], vcc
	s_cbranch_execz .LBB505_36
; %bb.35:
	v_mad_i64_i32 v[18:19], s[2:3], s23, v36, 0
	v_lshl_add_u64 v[18:19], v[18:19], 1, s[4:5]
	v_lshlrev_b32_e32 v20, 1, v34
	v_mov_b32_e32 v21, 0
	v_lshl_add_u64 v[18:19], v[18:19], 0, v[20:21]
	global_load_dwordx4 v[18:21], v[18:19], off
.LBB505_36:
	s_or_b64 exec, exec, s[0:1]
	v_or_b32_e32 v37, 1, v36
	v_cmp_gt_i32_e64 s[0:1], s31, v37
	v_mov_b32_e32 v23, 0
	v_mov_b32_e32 v24, 0
	;; [unrolled: 1-line block ×3, first 2 shown]
	s_and_saveexec_b64 s[2:3], s[0:1]
	s_cbranch_execz .LBB505_38
; %bb.37:
	v_mad_i64_i32 v[22:23], s[6:7], s23, v37, 0
	v_lshl_add_u64 v[22:23], v[22:23], 1, s[4:5]
	v_lshlrev_b32_e32 v24, 1, v34
	v_mov_b32_e32 v25, 0
	v_lshl_add_u64 v[22:23], v[22:23], 0, v[24:25]
	global_load_dwordx4 v[22:25], v[22:23], off
.LBB505_38:
	s_or_b64 exec, exec, s[2:3]
	v_mov_b32_e32 v33, 0
	v_mov_b32_e32 v26, 0
	;; [unrolled: 1-line block ×5, first 2 shown]
	s_and_saveexec_b64 s[2:3], vcc
	s_cbranch_execz .LBB505_40
; %bb.39:
	v_mad_i64_i32 v[26:27], s[6:7], s23, v36, 0
	v_lshl_add_u64 v[26:27], v[26:27], 1, s[4:5]
	v_lshlrev_b32_e32 v28, 1, v34
	v_mov_b32_e32 v29, 0
	v_lshl_add_u64 v[26:27], v[26:27], 0, v[28:29]
	global_load_dwordx4 v[26:29], v[26:27], off offset:128
.LBB505_40:
	s_or_b64 exec, exec, s[2:3]
	v_mov_b32_e32 v32, 0
	v_mov_b32_e32 v31, 0
	;; [unrolled: 1-line block ×3, first 2 shown]
	s_and_saveexec_b64 s[2:3], s[0:1]
	s_cbranch_execz .LBB505_42
; %bb.41:
	v_mad_i64_i32 v[30:31], s[0:1], s23, v37, 0
	v_lshl_add_u64 v[30:31], v[30:31], 1, s[4:5]
	v_lshlrev_b32_e32 v32, 1, v34
	v_mov_b32_e32 v33, 0
	v_lshl_add_u64 v[30:31], v[30:31], 0, v[32:33]
	global_load_dwordx4 v[30:33], v[30:31], off offset:128
.LBB505_42:
	s_or_b64 exec, exec, s[2:3]
	s_branch .LBB505_46
.LBB505_43:
                                        ; implicit-def: $vgpr21
                                        ; implicit-def: $vgpr25
                                        ; implicit-def: $vgpr29
                                        ; implicit-def: $vgpr33
	v_lshrrev_b32_e32 v47, 2, v51
	s_branch .LBB505_47
.LBB505_44:
                                        ; implicit-def: $vgpr21
                                        ; implicit-def: $vgpr25
                                        ; implicit-def: $vgpr29
                                        ; implicit-def: $vgpr33
	s_cbranch_execz .LBB505_46
; %bb.45:
	s_waitcnt vmcnt(0)
	v_mad_u64_u32 v[18:19], s[0:1], v36, s23, v[34:35]
	v_lshlrev_b32_e32 v36, 1, v18
	s_lshl_b32 s2, s23, 7
	s_and_b32 s1, s5, 0xffff
	s_mov_b32 s3, 0x20000
	s_mov_b32 s0, s4
	v_add_lshl_u32 v37, v18, s23, 1
	s_movk_i32 s6, 0x80
	buffer_load_dwordx4 v[18:21], v36, s[0:3], 0 offen
	buffer_load_dwordx4 v[26:29], v36, s[0:3], s6 offen
	;; [unrolled: 1-line block ×4, first 2 shown]
.LBB505_46:
	v_lshrrev_b32_e32 v47, 2, v51
	s_cbranch_execnz .LBB505_59
.LBB505_47:
	s_and_b64 vcc, exec, s[14:15]
	s_cbranch_vccz .LBB505_57
; %bb.48:
	s_waitcnt vmcnt(0)
	v_lshlrev_b32_e32 v23, 1, v42
	v_cmp_gt_i32_e32 vcc, s31, v23
	v_mov_b32_e32 v22, 0
	v_lshlrev_b32_e32 v30, 9, v42
	v_mov_b32_e32 v18, 0
	v_mov_b32_e32 v19, 0
	;; [unrolled: 1-line block ×4, first 2 shown]
	s_and_saveexec_b64 s[0:1], vcc
	s_cbranch_execz .LBB505_50
; %bb.49:
	v_mov_b32_e32 v31, 0
	v_lshl_add_u64 v[18:19], s[4:5], 0, v[30:31]
	v_lshlrev_b32_e32 v20, 1, v34
	v_mov_b32_e32 v21, v31
	v_lshl_add_u64 v[18:19], v[18:19], 0, v[20:21]
	global_load_dwordx4 v[18:21], v[18:19], off
.LBB505_50:
	s_or_b64 exec, exec, s[0:1]
	v_or_b32_e32 v23, 1, v23
	v_cmp_gt_i32_e64 s[0:1], s31, v23
	v_lshlrev_b32_e32 v36, 8, v23
	v_mov_b32_e32 v23, 0
	v_mov_b32_e32 v24, 0
	;; [unrolled: 1-line block ×3, first 2 shown]
	s_and_saveexec_b64 s[2:3], s[0:1]
	s_cbranch_execz .LBB505_52
; %bb.51:
	v_mov_b32_e32 v37, 0
	v_lshl_add_u64 v[22:23], s[4:5], 0, v[36:37]
	v_lshlrev_b32_e32 v24, 1, v34
	v_mov_b32_e32 v25, v37
	v_lshl_add_u64 v[22:23], v[22:23], 0, v[24:25]
	global_load_dwordx4 v[22:25], v[22:23], off
.LBB505_52:
	s_or_b64 exec, exec, s[2:3]
	v_mov_b32_e32 v33, 0
	v_mov_b32_e32 v26, 0
	;; [unrolled: 1-line block ×5, first 2 shown]
	s_and_saveexec_b64 s[2:3], vcc
	s_cbranch_execz .LBB505_54
; %bb.53:
	v_mov_b32_e32 v31, 0
	v_lshl_add_u64 v[26:27], s[4:5], 0, v[30:31]
	v_lshlrev_b32_e32 v30, 1, v34
	v_lshl_add_u64 v[26:27], v[26:27], 0, v[30:31]
	global_load_dwordx4 v[26:29], v[26:27], off offset:128
.LBB505_54:
	s_or_b64 exec, exec, s[2:3]
	v_mov_b32_e32 v32, 0
	v_mov_b32_e32 v31, 0
	;; [unrolled: 1-line block ×3, first 2 shown]
	s_and_saveexec_b64 s[2:3], s[0:1]
	s_cbranch_execz .LBB505_56
; %bb.55:
	v_mov_b32_e32 v37, 0
	v_lshl_add_u64 v[30:31], s[4:5], 0, v[36:37]
	v_lshlrev_b32_e32 v36, 1, v34
	v_lshl_add_u64 v[30:31], v[30:31], 0, v[36:37]
	global_load_dwordx4 v[30:33], v[30:31], off offset:128
.LBB505_56:
	s_or_b64 exec, exec, s[2:3]
	s_branch .LBB505_59
.LBB505_57:
                                        ; implicit-def: $vgpr21
                                        ; implicit-def: $vgpr25
                                        ; implicit-def: $vgpr29
                                        ; implicit-def: $vgpr33
	s_cbranch_execz .LBB505_59
; %bb.58:
	s_waitcnt vmcnt(0)
	v_lshlrev_b32_e32 v18, 1, v34
	v_lshl_or_b32 v34, v42, 9, v18
	s_and_b32 s5, s5, 0xffff
	s_mov_b32 s7, 0x20000
	s_movk_i32 s6, 0x4000
	s_movk_i32 s0, 0x80
	buffer_load_dwordx4 v[18:21], v34, s[4:7], 0 offen
	buffer_load_dwordx4 v[22:25], v34, s[4:7], 0 offen offset:256
	buffer_load_dwordx4 v[26:29], v34, s[4:7], s0 offen
	buffer_load_dwordx4 v[30:33], v34, s[4:7], s0 offen offset:256
.LBB505_59:
	ds_read_b64 v[36:37], v43 offset:32768
	v_add_u32_e32 v34, 0xb000, v40
	ds_read2_b64 v[58:61], v34 offset1:16
	ds_read_b64 v[48:49], v44 offset:32768
	ds_read_b64 v[44:45], v45 offset:32768
	;; [unrolled: 1-line block ×3, first 2 shown]
	v_and_b32_e32 v34, 6, v0
	v_xor_b32_e32 v42, v42, v34
	v_lshlrev_b32_e32 v42, 2, v42
	v_and_b32_e32 v43, 1, v0
	v_xor_b32_e32 v46, 0x440, v42
	v_cmp_eq_u32_e32 vcc, 0, v43
	s_waitcnt lgkmcnt(3)
	v_mfma_f32_16x16x16_bf16 a[0:3], v[36:37], v[58:59], a[0:3]
	s_mov_b32 s0, 0x1000504
	v_cndmask_b32_e32 v42, v46, v42, vcc
	v_lshl_or_b32 v34, v34, 10, v42
	v_mfma_f32_16x16x16_bf16 a[4:7], v[36:37], v[60:61], a[4:7]
	ds_read2st64_b64 v[58:61], v40 offset0:90 offset1:92
	ds_read2st64_b64 v[62:65], v41 offset0:90 offset1:92
	s_waitcnt vmcnt(0)
	v_perm_b32 v42, v18, v22, s0
	s_mov_b32 s1, 0x3020706
	s_waitcnt lgkmcnt(1)
	v_mfma_f32_16x16x16_bf16 a[0:3], v[48:49], v[58:59], a[0:3]
	ds_read_b64 v[36:37], v40 offset:48128
	ds_read_b64 v[58:59], v41 offset:48128
	v_perm_b32 v18, v18, v22, s1
	v_perm_b32 v22, v26, v30, s1
	s_waitcnt lgkmcnt(2)
	v_mfma_f32_16x16x16_bf16 a[4:7], v[48:49], v[62:63], a[4:7]
	v_and_or_b32 v43, v47, 12, v66
	v_cmp_gt_i32_e32 vcc, s31, v43
	v_mfma_f32_16x16x16_bf16 a[0:3], v[44:45], v[60:61], a[0:3]
	v_mfma_f32_16x16x16_bf16 a[8:11], v[44:45], v[64:65], a[4:7]
	s_waitcnt lgkmcnt(1)
	v_mfma_f32_16x16x16_bf16 a[4:7], v[68:69], v[36:37], a[0:3]
	v_perm_b32 v36, v26, v30, s0
	ds_write2st64_b32 v34, v42, v36 offset0:32 offset1:64
	v_xor_b32_e32 v36, 8, v34
	v_add_u32_e32 v26, 0x80, v36
	ds_write2st64_b32 v26, v18, v22 offset0:32 offset1:64
	v_xor_b32_e32 v18, 16, v34
	v_perm_b32 v22, v19, v23, s0
	v_perm_b32 v26, v27, v31, s0
	ds_write2st64_b32 v18, v22, v26 offset0:33 offset1:65
	v_xor_b32_e32 v18, 24, v34
	v_perm_b32 v19, v19, v23, s1
	v_perm_b32 v22, v27, v31, s1
	v_add_u32_e32 v18, 0x80, v18
	ds_write2st64_b32 v18, v19, v22 offset0:33 offset1:65
	v_xor_b32_e32 v18, 32, v34
	v_perm_b32 v19, v20, v24, s0
	v_perm_b32 v22, v28, v32, s0
	ds_write2st64_b32 v18, v19, v22 offset0:34 offset1:66
	v_xor_b32_e32 v18, 40, v34
	s_waitcnt lgkmcnt(5)
	v_mfma_f32_16x16x16_bf16 a[0:3], v[68:69], v[58:59], a[8:11]
	v_perm_b32 v19, v20, v24, s1
	v_perm_b32 v20, v28, v32, s1
	v_add_u32_e32 v18, 0x80, v18
	ds_write2st64_b32 v18, v19, v20 offset0:34 offset1:66
	v_xor_b32_e32 v18, 48, v34
	v_perm_b32 v19, v21, v25, s0
	v_perm_b32 v20, v29, v33, s0
	ds_write2st64_b32 v18, v19, v20 offset0:35 offset1:67
	v_xor_b32_e32 v18, 56, v34
	v_perm_b32 v19, v21, v25, s1
	v_perm_b32 v20, v29, v33, s1
	v_add_u32_e32 v18, 0x80, v18
	v_mov_b32_e32 v34, 0
	v_mov_b32_e32 v37, 0
	ds_write2st64_b32 v18, v19, v20 offset0:35 offset1:67
	s_and_saveexec_b64 s[0:1], vcc
	s_cbranch_execz .LBB505_61
; %bb.60:
	v_add_u32_e32 v18, s30, v43
	v_ashrrev_i32_e32 v19, 31, v18
	v_mul_lo_u32 v20, v19, s36
	v_mul_lo_u32 v21, v18, s37
	v_mad_u64_u32 v[18:19], s[2:3], v18, s36, 0
	v_add3_u32 v19, v19, v21, v20
	v_lshl_add_u64 v[18:19], v[18:19], 2, s[12:13]
	global_load_dword v18, v[18:19], off
	s_waitcnt vmcnt(0)
	v_sub_f32_e32 v18, s18, v18
	v_mul_f32_e32 v18, 0x3fb8aa3b, v18
	v_exp_f32_e32 v37, v18
.LBB505_61:
	s_or_b64 exec, exec, s[0:1]
	v_or_b32_e32 v29, 1, v43
	v_cmp_gt_i32_e64 s[0:1], s31, v29
	s_and_saveexec_b64 s[2:3], s[0:1]
	s_cbranch_execz .LBB505_63
; %bb.62:
	v_add_u32_e32 v18, s30, v29
	v_ashrrev_i32_e32 v19, 31, v18
	v_mul_lo_u32 v20, v19, s36
	v_mul_lo_u32 v21, v18, s37
	v_mad_u64_u32 v[18:19], s[4:5], v18, s36, 0
	v_add3_u32 v19, v19, v21, v20
	v_lshl_add_u64 v[18:19], v[18:19], 2, s[12:13]
	global_load_dword v18, v[18:19], off
	s_waitcnt vmcnt(0)
	v_sub_f32_e32 v18, s18, v18
	v_mul_f32_e32 v18, 0x3fb8aa3b, v18
	v_exp_f32_e32 v34, v18
.LBB505_63:
	s_or_b64 exec, exec, s[2:3]
	v_or_b32_e32 v28, 2, v43
	v_cmp_gt_i32_e64 s[2:3], s31, v28
	v_mov_b32_e32 v36, 0
	v_mov_b32_e32 v42, 0
	s_and_saveexec_b64 s[4:5], s[2:3]
	s_cbranch_execz .LBB505_65
; %bb.64:
	v_add_u32_e32 v18, s30, v28
	v_ashrrev_i32_e32 v19, 31, v18
	v_mul_lo_u32 v20, v19, s36
	v_mul_lo_u32 v21, v18, s37
	v_mad_u64_u32 v[18:19], s[6:7], v18, s36, 0
	v_add3_u32 v19, v19, v21, v20
	v_lshl_add_u64 v[18:19], v[18:19], 2, s[12:13]
	global_load_dword v18, v[18:19], off
	s_waitcnt vmcnt(0)
	v_sub_f32_e32 v18, s18, v18
	v_mul_f32_e32 v18, 0x3fb8aa3b, v18
	v_exp_f32_e32 v42, v18
.LBB505_65:
	s_or_b64 exec, exec, s[4:5]
	v_or_b32_e32 v44, 3, v43
	v_cmp_gt_i32_e64 s[4:5], s31, v44
	s_and_saveexec_b64 s[6:7], s[4:5]
	s_cbranch_execz .LBB505_67
; %bb.66:
	v_add_u32_e32 v18, s30, v44
	v_ashrrev_i32_e32 v19, 31, v18
	v_mul_lo_u32 v20, v19, s36
	v_mul_lo_u32 v21, v18, s37
	v_mad_u64_u32 v[18:19], s[14:15], v18, s36, 0
	v_add3_u32 v19, v19, v21, v20
	v_lshl_add_u64 v[18:19], v[18:19], 2, s[12:13]
	global_load_dword v18, v[18:19], off
	s_waitcnt vmcnt(0)
	v_sub_f32_e32 v18, s18, v18
	v_mul_f32_e32 v18, 0x3fb8aa3b, v18
	v_exp_f32_e32 v36, v18
.LBB505_67:
	s_or_b64 exec, exec, s[6:7]
	s_add_u32 s6, s16, s24
	s_addc_u32 s7, s17, s25
	s_add_u32 s8, s8, s24
	v_ashrrev_i32_e32 v57, 31, v56
	v_accvgpr_read_b32 v21, a7
	s_addc_u32 s9, s9, s25
	v_lshlrev_b64 v[22:23], 1, v[56:57]
	v_accvgpr_read_b32 v20, a6
	v_accvgpr_read_b32 v19, a5
	v_accvgpr_read_b32 v18, a4
	v_lshl_add_u64 v[24:25], s[6:7], 0, v[22:23]
	v_lshl_add_u64 v[22:23], s[8:9], 0, v[22:23]
	v_mov_b32_e32 v31, 0
	v_lshlrev_b32_e32 v26, 8, v43
	v_mov_b32_e32 v27, 0
	s_and_saveexec_b64 s[6:7], vcc
	s_cbranch_execz .LBB505_69
; %bb.68:
	v_mov_b32_e32 v27, 0
	v_lshl_add_u64 v[32:33], v[24:25], 0, v[26:27]
	global_load_ushort v30, v[32:33], off
	v_lshl_add_u64 v[32:33], v[22:23], 0, v[26:27]
	s_waitcnt vmcnt(0)
	v_lshlrev_b32_e32 v27, 16, v30
	v_sub_f32_e32 v18, v27, v18
	global_store_short_d16_hi v[32:33], v18, off
	v_mul_f32_e32 v18, v37, v18
	v_lshrrev_b32_e32 v27, 16, v18
.LBB505_69:
	s_or_b64 exec, exec, s[6:7]
	v_lshlrev_b32_e32 v30, 8, v29
	s_and_saveexec_b64 s[6:7], s[0:1]
	s_cbranch_execz .LBB505_71
; %bb.70:
	v_mov_b32_e32 v31, 0
	v_lshl_add_u64 v[32:33], v[24:25], 0, v[30:31]
	global_load_ushort v18, v[32:33], off
	v_lshl_add_u64 v[32:33], v[22:23], 0, v[30:31]
	s_waitcnt vmcnt(0)
	v_lshlrev_b32_e32 v18, 16, v18
	v_sub_f32_e32 v18, v18, v19
	global_store_short_d16_hi v[32:33], v18, off
	v_mul_f32_e32 v18, v34, v18
	v_lshrrev_b32_e32 v31, 16, v18
.LBB505_71:
	s_or_b64 exec, exec, s[6:7]
	v_mov_b32_e32 v29, 0
	v_lshlrev_b32_e32 v32, 8, v28
	v_mov_b32_e32 v33, 0
	s_and_saveexec_b64 s[6:7], s[2:3]
	s_cbranch_execz .LBB505_73
; %bb.72:
	v_mov_b32_e32 v33, 0
	v_lshl_add_u64 v[18:19], v[24:25], 0, v[32:33]
	global_load_ushort v28, v[18:19], off
	v_lshl_add_u64 v[18:19], v[22:23], 0, v[32:33]
	s_waitcnt vmcnt(0)
	v_lshlrev_b32_e32 v28, 16, v28
	v_sub_f32_e32 v20, v28, v20
	global_store_short_d16_hi v[18:19], v20, off
	v_mul_f32_e32 v18, v42, v20
	v_lshrrev_b32_e32 v33, 16, v18
.LBB505_73:
	s_or_b64 exec, exec, s[6:7]
	v_lshlrev_b32_e32 v28, 8, v44
	s_and_saveexec_b64 s[6:7], s[4:5]
	s_cbranch_execz .LBB505_75
; %bb.74:
	v_mov_b32_e32 v29, 0
	v_lshl_add_u64 v[18:19], v[24:25], 0, v[28:29]
	global_load_ushort v20, v[18:19], off
	v_lshl_add_u64 v[18:19], v[22:23], 0, v[28:29]
	s_waitcnt vmcnt(0)
	v_lshlrev_b32_e32 v20, 16, v20
	v_sub_f32_e32 v20, v20, v21
	global_store_short_d16_hi v[18:19], v20, off
	v_mul_f32_e32 v18, v36, v20
	v_lshrrev_b32_e32 v29, 16, v18
.LBB505_75:
	s_or_b64 exec, exec, s[6:7]
	v_lshlrev_b32_e32 v43, 5, v43
	s_mov_b32 s6, 0x5040100
	v_perm_b32 v44, v31, v27, s6
	v_or_b32_e32 v27, v43, v38
	v_accvgpr_read_b32 v21, a3
	v_perm_b32 v45, v29, v33, s6
	v_lshlrev_b32_e32 v27, 1, v27
	v_accvgpr_read_b32 v20, a2
	v_accvgpr_read_b32 v19, a1
	;; [unrolled: 1-line block ×3, first 2 shown]
	ds_write_b64 v27, v[44:45] offset:45056
	v_mov_b32_e32 v31, 0
	v_mov_b32_e32 v27, 0
	s_and_saveexec_b64 s[6:7], vcc
	s_cbranch_execz .LBB505_77
; %bb.76:
	v_mov_b32_e32 v27, 0
	v_lshl_add_u64 v[44:45], v[24:25], 0, v[26:27]
	global_load_ushort v29, v[44:45], off offset:32
	v_lshl_add_u64 v[26:27], v[22:23], 0, v[26:27]
	s_waitcnt vmcnt(0)
	v_lshlrev_b32_e32 v29, 16, v29
	v_sub_f32_e32 v18, v29, v18
	global_store_short_d16_hi v[26:27], v18, off offset:32
	v_mul_f32_e32 v18, v37, v18
	v_lshrrev_b32_e32 v27, 16, v18
.LBB505_77:
	s_or_b64 exec, exec, s[6:7]
	s_and_saveexec_b64 s[6:7], s[0:1]
	s_cbranch_execz .LBB505_79
; %bb.78:
	v_mov_b32_e32 v31, 0
	v_lshl_add_u64 v[44:45], v[24:25], 0, v[30:31]
	global_load_ushort v18, v[44:45], off offset:32
	v_lshl_add_u64 v[30:31], v[22:23], 0, v[30:31]
	s_waitcnt vmcnt(0)
	v_lshlrev_b32_e32 v18, 16, v18
	v_sub_f32_e32 v18, v18, v19
	global_store_short_d16_hi v[30:31], v18, off offset:32
	v_mul_f32_e32 v18, v34, v18
	v_lshrrev_b32_e32 v31, 16, v18
.LBB505_79:
	s_or_b64 exec, exec, s[6:7]
	v_mov_b32_e32 v26, 0
	v_mov_b32_e32 v30, 0
	s_and_saveexec_b64 s[0:1], s[2:3]
	s_cbranch_execz .LBB505_81
; %bb.80:
	v_mov_b32_e32 v33, 0
	v_lshl_add_u64 v[18:19], v[24:25], 0, v[32:33]
	global_load_ushort v29, v[18:19], off offset:32
	v_lshl_add_u64 v[18:19], v[22:23], 0, v[32:33]
	s_waitcnt vmcnt(0)
	v_lshlrev_b32_e32 v29, 16, v29
	v_sub_f32_e32 v20, v29, v20
	global_store_short_d16_hi v[18:19], v20, off offset:32
	v_mul_f32_e32 v18, v42, v20
	v_lshrrev_b32_e32 v30, 16, v18
.LBB505_81:
	s_or_b64 exec, exec, s[0:1]
	v_or_b32_e32 v19, 0xb000, v40
	v_or_b32_e32 v18, 0xb000, v41
	s_and_saveexec_b64 s[0:1], s[4:5]
	s_cbranch_execz .LBB505_83
; %bb.82:
	v_mov_b32_e32 v29, 0
	v_lshl_add_u64 v[24:25], v[24:25], 0, v[28:29]
	global_load_ushort v20, v[24:25], off offset:32
	v_lshl_add_u64 v[22:23], v[22:23], 0, v[28:29]
	s_waitcnt vmcnt(0)
	v_lshlrev_b32_e32 v20, 16, v20
	v_sub_f32_e32 v20, v20, v21
	global_store_short_d16_hi v[22:23], v20, off offset:32
	v_mul_f32_e32 v20, v36, v20
	v_lshrrev_b32_e32 v26, 16, v20
.LBB505_83:
	s_or_b64 exec, exec, s[0:1]
	s_mov_b32 s0, 0x5040100
	v_or_b32_e32 v22, v43, v35
	v_perm_b32 v21, v26, v30, s0
	v_perm_b32 v20, v31, v27, s0
	v_lshlrev_b32_e32 v22, 1, v22
	s_movk_i32 s0, 0x100
	ds_write_b64 v22, v[20:21] offset:45056
	v_and_b32_e32 v20, 7, v0
	v_and_b32_e32 v21, 8, v0
	v_cmp_gt_u32_e32 vcc, s0, v0
	v_lshrrev_b32_e32 v0, 1, v0
	v_lshlrev_b32_e32 v37, 3, v1
	v_and_b32_e32 v38, 24, v0
	v_lshlrev_b32_e32 v34, 3, v20
	v_lshlrev_b32_e32 v35, 7, v20
	v_mov_b32_e32 v20, 0x4000
	v_mov_b32_e32 v22, 0x2000
	v_xor_b32_e32 v0, v37, v38
	v_cndmask_b32_e32 v36, v20, v22, vcc
	v_or_b32_e32 v1, 0x440, v0
	v_cmp_eq_u32_e32 vcc, 0, v21
	s_waitcnt lgkmcnt(0)
	s_barrier
	v_cndmask_b32_e32 v0, v1, v0, vcc
	v_or_b32_e32 v0, v0, v39
	v_xad_u32 v40, v0, v34, v35
	v_add_u32_e32 v0, v36, v40
	ds_read_b64 v[0:1], v0
	ds_read2_b64 v[20:23], v19 offset1:16
	v_or_b32_e32 v24, 32, v38
	v_xor_b32_e32 v24, v37, v24
	v_or_b32_e32 v25, 0x440, v24
	v_cndmask_b32_e32 v24, v25, v24, vcc
	s_waitcnt lgkmcnt(0)
	v_mfma_f32_16x16x16_bf16 a[0:3], v[0:1], v[20:21], 0
	v_or_b32_e32 v24, v24, v39
	v_xad_u32 v41, v24, v34, v35
	v_add_u32_e32 v24, v36, v41
	v_mfma_f32_16x16x16_bf16 a[4:7], v[0:1], v[22:23], 0
	v_or_b32_e32 v0, 64, v38
	v_xor_b32_e32 v0, v37, v0
	v_xor_b32_e32 v1, 0x440, v0
	ds_read_b64 v[32:33], v24
	v_cndmask_b32_e32 v0, v1, v0, vcc
	v_or_b32_e32 v0, v0, v39
	v_xad_u32 v42, v0, v34, v35
	v_add_u32_e32 v0, v36, v42
	ds_read_b64 v[0:1], v0
	ds_read2st64_b64 v[24:27], v19 offset0:2 offset1:4
	ds_read2st64_b64 v[28:31], v18 offset0:2 offset1:4
	s_waitcnt lgkmcnt(1)
	v_mfma_f32_16x16x16_bf16 a[0:3], v[32:33], v[24:25], a[0:3]
	s_waitcnt lgkmcnt(0)
	v_mfma_f32_16x16x16_bf16 a[4:7], v[32:33], v[28:29], a[4:7]
	v_or_b32_e32 v32, 0x60, v38
	v_xor_b32_e32 v32, v37, v32
	v_xor_b32_e32 v33, 0x440, v32
	v_cndmask_b32_e32 v32, v33, v32, vcc
	v_or_b32_e32 v32, v32, v39
	v_xad_u32 v37, v32, v34, v35
	v_add_u32_e32 v32, v36, v37
	ds_read_b64 v[32:33], v32
	v_mfma_f32_16x16x16_bf16 a[0:3], v[0:1], v[26:27], a[0:3]
	v_mov_b32_e32 v36, 0x3fb8aa3b
	v_mfma_f32_16x16x16_bf16 a[4:7], v[0:1], v[30:31], a[4:7]
	ds_read_b64 v[0:1], v19 offset:3072
	ds_read_b64 v[34:35], v18 offset:3072
	;; [unrolled: 1-line block ×3, first 2 shown]
	s_waitcnt lgkmcnt(2)
	v_mfma_f32_16x16x16_bf16 a[0:3], v[32:33], v[0:1], a[0:3]
	s_waitcnt lgkmcnt(1)
	v_mfma_f32_16x16x16_bf16 a[4:7], v[32:33], v[34:35], a[4:7]
	ds_read_b64 v[32:33], v41 offset:16384
	s_waitcnt lgkmcnt(1)
	v_mfma_f32_16x16x16_bf16 a[8:11], v[18:19], v[20:21], 0
	v_mul_f32_e32 v20, s18, v36
	v_exp_f32_e32 v36, v20
	v_accvgpr_read_b32 v21, a3
	v_mfma_f32_16x16x16_bf16 a[12:15], v[18:19], v[22:23], 0
	ds_read_b64 v[22:23], v42 offset:16384
	v_accvgpr_read_b32 v18, a0
	v_fma_f32 v18, v2, v36, v18
	v_accvgpr_read_b32 v2, a1
	v_fma_f32 v19, v3, v36, v2
	;; [unrolled: 2-line block ×3, first 2 shown]
	ds_read_b64 v[2:3], v37 offset:16384
	s_waitcnt lgkmcnt(2)
	v_mfma_f32_16x16x16_bf16 a[8:11], v[32:33], v[24:25], a[8:11]
	v_accvgpr_read_b32 v4, a4
	v_fmac_f32_e32 v21, v5, v36
	v_mfma_f32_16x16x16_bf16 a[12:15], v[32:33], v[28:29], a[12:15]
	v_accvgpr_read_b32 v29, a7
	v_fmac_f32_e32 v29, v13, v36
	s_waitcnt lgkmcnt(1)
	v_mfma_f32_16x16x16_bf16 a[0:3], v[22:23], v[26:27], a[8:11]
	v_fma_f32 v26, v10, v36, v4
	v_accvgpr_read_b32 v4, a5
	v_fma_f32 v27, v11, v36, v4
	v_mfma_f32_16x16x16_bf16 a[8:11], v[22:23], v[30:31], a[12:15]
	v_accvgpr_read_b32 v4, a6
	v_fma_f32 v28, v12, v36, v4
	s_waitcnt lgkmcnt(0)
	v_mfma_f32_16x16x16_bf16 a[0:3], v[2:3], v[0:1], a[0:3]
	v_mfma_f32_16x16x16_bf16 a[4:7], v[2:3], v[34:35], a[8:11]
	s_nop 5
	v_accvgpr_read_b32 v0, a0
	v_fma_f32 v22, v6, v36, v0
	v_accvgpr_read_b32 v0, a1
	v_fma_f32 v23, v7, v36, v0
	;; [unrolled: 2-line block ×4, first 2 shown]
	v_accvgpr_read_b32 v0, a5
	v_accvgpr_read_b32 v25, a3
	v_fma_f32 v31, v15, v36, v0
	v_accvgpr_read_b32 v0, a6
	v_accvgpr_read_b32 v33, a7
	v_fmac_f32_e32 v25, v9, v36
	v_fma_f32 v32, v16, v36, v0
	v_fmac_f32_e32 v33, v17, v36
	v_mov_b64_e32 v[2:3], v[18:19]
	v_mov_b64_e32 v[4:5], v[20:21]
	;; [unrolled: 1-line block ×8, first 2 shown]
.LBB505_84:
	s_add_u32 s0, s10, s34
	s_addc_u32 s1, s11, s35
	v_lshl_add_u64 v[0:1], v[52:53], 2, s[0:1]
	v_mov_b32_e32 v51, 0
	v_lshl_add_u64 v[0:1], v[0:1], 0, v[50:51]
	s_waitcnt vmcnt(3)
	global_store_dwordx4 v[0:1], v[2:5], off
	s_waitcnt vmcnt(3)
	global_store_dwordx4 v[0:1], v[6:9], off offset:256
	v_lshl_add_u64 v[0:1], v[54:55], 2, s[0:1]
	v_lshl_add_u64 v[0:1], v[0:1], 0, v[50:51]
	s_waitcnt vmcnt(3)
	global_store_dwordx4 v[0:1], v[10:13], off
	s_waitcnt vmcnt(3)
	global_store_dwordx4 v[0:1], v[14:17], off offset:256
	s_endpgm
	.section	.rodata,"a",@progbits
	.p2align	6, 0x0
	.amdhsa_kernel _ZN12_GLOBAL__N_139chunk_gated_delta_rule_fwd_h_hip_kernelILi32ELb1ELb1ELb1ELb0ELb0ELb0ELb0ELb0EEEvPK12hip_bfloat16S3_S3_PKfS5_PKvPS1_S8_PvPKiSB_iiiiilll
		.amdhsa_group_segment_fixed_size 49152
		.amdhsa_private_segment_fixed_size 0
		.amdhsa_kernarg_size 136
		.amdhsa_user_sgpr_count 2
		.amdhsa_user_sgpr_dispatch_ptr 0
		.amdhsa_user_sgpr_queue_ptr 0
		.amdhsa_user_sgpr_kernarg_segment_ptr 1
		.amdhsa_user_sgpr_dispatch_id 0
		.amdhsa_user_sgpr_kernarg_preload_length 0
		.amdhsa_user_sgpr_kernarg_preload_offset 0
		.amdhsa_user_sgpr_private_segment_size 0
		.amdhsa_uses_dynamic_stack 0
		.amdhsa_enable_private_segment 0
		.amdhsa_system_sgpr_workgroup_id_x 1
		.amdhsa_system_sgpr_workgroup_id_y 1
		.amdhsa_system_sgpr_workgroup_id_z 0
		.amdhsa_system_sgpr_workgroup_info 0
		.amdhsa_system_vgpr_workitem_id 0
		.amdhsa_next_free_vgpr 156
		.amdhsa_next_free_sgpr 74
		.amdhsa_accum_offset 140
		.amdhsa_reserve_vcc 1
		.amdhsa_float_round_mode_32 0
		.amdhsa_float_round_mode_16_64 0
		.amdhsa_float_denorm_mode_32 3
		.amdhsa_float_denorm_mode_16_64 3
		.amdhsa_dx10_clamp 1
		.amdhsa_ieee_mode 1
		.amdhsa_fp16_overflow 0
		.amdhsa_tg_split 0
		.amdhsa_exception_fp_ieee_invalid_op 0
		.amdhsa_exception_fp_denorm_src 0
		.amdhsa_exception_fp_ieee_div_zero 0
		.amdhsa_exception_fp_ieee_overflow 0
		.amdhsa_exception_fp_ieee_underflow 0
		.amdhsa_exception_fp_ieee_inexact 0
		.amdhsa_exception_int_div_zero 0
	.end_amdhsa_kernel
	.section	.text._ZN12_GLOBAL__N_139chunk_gated_delta_rule_fwd_h_hip_kernelILi32ELb1ELb1ELb1ELb0ELb0ELb0ELb0ELb0EEEvPK12hip_bfloat16S3_S3_PKfS5_PKvPS1_S8_PvPKiSB_iiiiilll,"axG",@progbits,_ZN12_GLOBAL__N_139chunk_gated_delta_rule_fwd_h_hip_kernelILi32ELb1ELb1ELb1ELb0ELb0ELb0ELb0ELb0EEEvPK12hip_bfloat16S3_S3_PKfS5_PKvPS1_S8_PvPKiSB_iiiiilll,comdat
.Lfunc_end505:
	.size	_ZN12_GLOBAL__N_139chunk_gated_delta_rule_fwd_h_hip_kernelILi32ELb1ELb1ELb1ELb0ELb0ELb0ELb0ELb0EEEvPK12hip_bfloat16S3_S3_PKfS5_PKvPS1_S8_PvPKiSB_iiiiilll, .Lfunc_end505-_ZN12_GLOBAL__N_139chunk_gated_delta_rule_fwd_h_hip_kernelILi32ELb1ELb1ELb1ELb0ELb0ELb0ELb0ELb0EEEvPK12hip_bfloat16S3_S3_PKfS5_PKvPS1_S8_PvPKiSB_iiiiilll
                                        ; -- End function
	.section	.AMDGPU.csdata,"",@progbits
; Kernel info:
; codeLenInByte = 9580
; NumSgprs: 80
; NumVgprs: 138
; NumAgprs: 16
; TotalNumVgprs: 156
; ScratchSize: 0
; MemoryBound: 0
; FloatMode: 240
; IeeeMode: 1
; LDSByteSize: 49152 bytes/workgroup (compile time only)
; SGPRBlocks: 9
; VGPRBlocks: 19
; NumSGPRsForWavesPerEU: 80
; NumVGPRsForWavesPerEU: 156
; AccumOffset: 140
; Occupancy: 1
; WaveLimiterHint : 1
; COMPUTE_PGM_RSRC2:SCRATCH_EN: 0
; COMPUTE_PGM_RSRC2:USER_SGPR: 2
; COMPUTE_PGM_RSRC2:TRAP_HANDLER: 0
; COMPUTE_PGM_RSRC2:TGID_X_EN: 1
; COMPUTE_PGM_RSRC2:TGID_Y_EN: 1
; COMPUTE_PGM_RSRC2:TGID_Z_EN: 0
; COMPUTE_PGM_RSRC2:TIDIG_COMP_CNT: 0
; COMPUTE_PGM_RSRC3_GFX90A:ACCUM_OFFSET: 34
; COMPUTE_PGM_RSRC3_GFX90A:TG_SPLIT: 0
	.section	.text._ZN12_GLOBAL__N_139chunk_gated_delta_rule_fwd_h_hip_kernelILi32ELb1ELb1ELb0ELb0ELb0ELb0ELb0ELb0EEEvPK12hip_bfloat16S3_S3_PKfS5_PKvPS1_S8_PvPKiSB_iiiiilll,"axG",@progbits,_ZN12_GLOBAL__N_139chunk_gated_delta_rule_fwd_h_hip_kernelILi32ELb1ELb1ELb0ELb0ELb0ELb0ELb0ELb0EEEvPK12hip_bfloat16S3_S3_PKfS5_PKvPS1_S8_PvPKiSB_iiiiilll,comdat
	.globl	_ZN12_GLOBAL__N_139chunk_gated_delta_rule_fwd_h_hip_kernelILi32ELb1ELb1ELb0ELb0ELb0ELb0ELb0ELb0EEEvPK12hip_bfloat16S3_S3_PKfS5_PKvPS1_S8_PvPKiSB_iiiiilll ; -- Begin function _ZN12_GLOBAL__N_139chunk_gated_delta_rule_fwd_h_hip_kernelILi32ELb1ELb1ELb0ELb0ELb0ELb0ELb0ELb0EEEvPK12hip_bfloat16S3_S3_PKfS5_PKvPS1_S8_PvPKiSB_iiiiilll
	.p2align	8
	.type	_ZN12_GLOBAL__N_139chunk_gated_delta_rule_fwd_h_hip_kernelILi32ELb1ELb1ELb0ELb0ELb0ELb0ELb0ELb0EEEvPK12hip_bfloat16S3_S3_PKfS5_PKvPS1_S8_PvPKiSB_iiiiilll,@function
_ZN12_GLOBAL__N_139chunk_gated_delta_rule_fwd_h_hip_kernelILi32ELb1ELb1ELb0ELb0ELb0ELb0ELb0ELb0EEEvPK12hip_bfloat16S3_S3_PKfS5_PKvPS1_S8_PvPKiSB_iiiiilll: ; @_ZN12_GLOBAL__N_139chunk_gated_delta_rule_fwd_h_hip_kernelILi32ELb1ELb1ELb0ELb0ELb0ELb0ELb0ELb0EEEvPK12hip_bfloat16S3_S3_PKfS5_PKvPS1_S8_PvPKiSB_iiiiilll
; %bb.0:
	s_load_dwordx4 s[12:15], s[0:1], 0x5c
	s_load_dwordx4 s[20:23], s[0:1], 0x70
	s_abs_i32 s6, s3
	s_ashr_i32 s5, s3, 31
	s_load_dwordx4 s[16:19], s[0:1], 0x28
	s_waitcnt lgkmcnt(0)
	s_abs_i32 s4, s13
	v_cvt_f32_u32_e32 v1, s4
	s_sub_i32 s8, 0, s4
	s_ashr_i32 s7, s13, 31
	s_xor_b32 s5, s5, s7
	v_rcp_iflag_f32_e32 v1, v1
	v_and_b32_e32 v66, 15, v0
	v_bfe_u32 v65, v0, 4, 2
	v_mov_b32_e32 v51, 0
	v_mul_f32_e32 v1, 0x4f7ffffe, v1
	v_cvt_u32_f32_e32 v1, v1
	v_lshlrev_b32_e32 v67, 3, v0
	v_readfirstlane_b32 s9, v1
	s_mul_i32 s8, s8, s9
	s_mul_hi_u32 s8, s9, s8
	s_add_i32 s9, s9, s8
	s_mul_hi_u32 s8, s6, s9
	s_mul_i32 s9, s8, s4
	s_sub_i32 s6, s6, s9
	s_add_i32 s10, s8, 1
	s_sub_i32 s9, s6, s4
	s_cmp_ge_u32 s6, s4
	s_cselect_b32 s8, s10, s8
	s_cselect_b32 s6, s9, s6
	s_add_i32 s9, s8, 1
	s_cmp_ge_u32 s6, s4
	s_cselect_b32 s6, s9, s8
	s_xor_b32 s6, s6, s5
	s_add_i32 s8, s12, 63
	s_sub_i32 s52, s6, s5
	s_ashr_i32 s9, s8, 31
	s_mul_i32 s5, s52, s13
	s_sub_i32 s50, s3, s5
	s_lshr_b32 s3, s9, 26
	s_add_i32 s8, s8, s3
	s_abs_i32 s3, s14
	v_cvt_f32_u32_e32 v1, s3
	s_ashr_i32 s51, s12, 31
	s_lshr_b32 s6, s51, 26
	s_add_i32 s6, s12, s6
	v_rcp_iflag_f32_e32 v1, v1
	s_ashr_i32 s55, s14, 31
	s_ashr_i32 s24, s8, 6
	s_ashr_i32 s53, s6, 6
	v_mul_f32_e32 v1, 0x4f7ffffe, v1
	v_cvt_u32_f32_e32 v1, v1
	s_xor_b32 s6, s7, s55
	s_sub_i32 s7, 0, s3
	s_lshl_b32 s2, s2, 5
	v_readfirstlane_b32 s8, v1
	s_mul_i32 s7, s7, s8
	s_mul_hi_u32 s7, s8, s7
	s_add_i32 s8, s8, s7
	s_mul_hi_u32 s7, s4, s8
	s_mul_i32 s8, s7, s3
	s_sub_i32 s4, s4, s8
	s_add_i32 s8, s7, 1
	s_sub_i32 s9, s4, s3
	s_cmp_ge_u32 s4, s3
	s_cselect_b32 s7, s8, s7
	s_cselect_b32 s4, s9, s4
	s_add_i32 s8, s7, 1
	s_cmp_ge_u32 s4, s3
	s_cselect_b32 s3, s8, s7
	s_xor_b32 s3, s3, s6
	s_sub_i32 s3, s3, s6
	s_abs_i32 s4, s3
	v_cvt_f32_u32_e32 v1, s4
	s_sub_i32 s7, 0, s4
	s_abs_i32 s6, s50
	s_xor_b32 s3, s50, s3
	v_rcp_iflag_f32_e32 v2, v1
	s_ashr_i32 s3, s3, 31
	v_lshrrev_b32_e32 v1, 6, v0
	v_or_b32_e32 v56, s2, v66
	v_mul_f32_e32 v2, 0x4f7ffffe, v2
	v_cvt_u32_f32_e32 v2, v2
	v_lshlrev_b32_e32 v64, 4, v1
	v_lshlrev_b32_e32 v52, 7, v56
	v_lshl_or_b32 v69, v65, 2, v64
	v_readfirstlane_b32 s8, v2
	s_mul_i32 s7, s7, s8
	s_mul_hi_u32 s7, s8, s7
	s_add_i32 s8, s8, s7
	s_mul_hi_u32 s7, s6, s8
	s_mul_i32 s8, s7, s4
	s_sub_i32 s6, s6, s8
	s_add_i32 s8, s7, 1
	s_sub_i32 s9, s6, s4
	s_cmp_ge_u32 s6, s4
	s_cselect_b32 s7, s8, s7
	s_cselect_b32 s6, s9, s6
	s_add_i32 s8, s7, 1
	s_cmp_ge_u32 s6, s4
	s_cselect_b32 s4, s8, s7
	s_xor_b32 s4, s4, s3
	s_sub_i32 s56, s4, s3
	s_ashr_i32 s3, s52, 31
	s_ashr_i32 s54, s50, 31
	s_mul_hi_i32 s4, s52, s13
	s_add_u32 s40, s5, s50
	s_addc_u32 s41, s4, s54
	s_lshl_b64 s[28:29], s[40:41], 16
	s_add_u32 s4, s16, s28
	s_addc_u32 s5, s17, s29
	v_ashrrev_i32_e32 v53, 31, v52
	v_lshl_add_u64 v[2:3], v[52:53], 2, s[4:5]
	v_lshlrev_b32_e32 v50, 2, v69
	v_or_b32_e32 v54, 0x800, v52
	v_lshl_add_u64 v[10:11], v[2:3], 0, v[50:51]
	v_ashrrev_i32_e32 v55, 31, v54
	global_load_dwordx4 v[2:5], v[10:11], off
	global_load_dwordx4 v[6:9], v[10:11], off offset:256
	v_lshl_add_u64 v[10:11], v[54:55], 2, s[4:5]
	v_lshl_add_u64 v[18:19], v[10:11], 0, v[50:51]
	global_load_dwordx4 v[10:13], v[18:19], off
	global_load_dwordx4 v[14:17], v[18:19], off offset:256
	s_load_dwordx2 s[30:31], s[0:1], 0x40
	s_load_dwordx8 s[4:11], s[0:1], 0x0
	s_load_dwordx2 s[34:35], s[0:1], 0x80
	v_and_b32_e32 v51, 63, v0
	s_mul_i32 s57, s52, s24
	v_or_b32_e32 v70, 64, v69
	s_cmp_lt_i32 s12, 64
	v_lshrrev_b32_e32 v68, 3, v51
	s_mul_i32 s58, s41, s12
	s_mul_hi_u32 s59, s40, s12
	s_mul_i32 s16, s40, s12
	s_mul_i32 s33, s52, s21
	s_mul_hi_u32 s46, s52, s20
	s_mul_i32 s47, s3, s20
	s_mul_i32 s36, s52, s20
	s_mul_i32 s41, s50, s23
	s_mul_hi_u32 s48, s50, s22
	s_mul_i32 s49, s54, s22
	s_mul_i32 s38, s50, s22
	s_cbranch_scc1 .LBB506_19
; %bb.1:
	s_add_i32 s17, s59, s58
	s_lshl_b64 s[0:1], s[16:17], 8
	v_and_b32_e32 v72, 56, v67
	s_waitcnt lgkmcnt(0)
	s_add_u32 s20, s6, s0
	v_lshl_or_b32 v71, v1, 3, v68
	v_lshlrev_b32_e32 v18, 1, v72
	s_addc_u32 s0, s7, s1
	v_lshl_or_b32 v73, v71, 8, v18
	s_and_b32 s21, s0, 0xffff
	s_mov_b32 s23, 0x20000
	s_movk_i32 s22, 0x4000
	s_movk_i32 s0, 0x80
	v_or_b32_e32 v74, 0x2000, v73
	buffer_load_dwordx4 v[20:23], v73, s[20:23], 0 offen
	buffer_load_dwordx4 v[24:27], v73, s[20:23], s0 offen
	;; [unrolled: 1-line block ×4, first 2 shown]
	v_lshlrev_b32_e32 v19, 3, v71
	v_and_or_b32 v37, v0, 7, v19
	v_and_b32_e32 v19, 0x78, v19
	v_lshlrev_b32_e32 v37, 4, v37
	v_xor_b32_e32 v75, v37, v19
	v_mul_lo_u32 v36, v71, s15
	v_or_b32_e32 v76, 0x1000, v75
	v_xor_b32_e32 v19, 8, v75
	s_cmpk_eq_i32 s15, 0x80
	s_mov_b32 s60, s14
	v_xor_b32_e32 v37, 8, v76
	s_cselect_b64 s[0:1], -1, 0
	s_cmpk_lg_i32 s15, 0x80
	s_waitcnt vmcnt(3)
	ds_write_b64 v75, v[20:21] offset:24576
	ds_write_b64 v19, v[22:23] offset:24576
	s_waitcnt vmcnt(2)
	ds_write_b64 v75, v[24:25] offset:32768
	ds_write_b64 v19, v[26:27] offset:32768
	;; [unrolled: 3-line block ×4, first 2 shown]
	v_lshl_add_u32 v19, v36, 1, v72
	s_cbranch_scc0 .LBB506_3
; %bb.2:
	v_lshlrev_b32_e32 v21, 1, v19
	v_add_lshl_u32 v20, v19, s15, 1
	s_lshl_b32 s22, s15, 7
	v_lshl_or_b32 v18, v71, 9, v18
	s_cbranch_execz .LBB506_4
	s_branch .LBB506_5
.LBB506_3:
                                        ; implicit-def: $vgpr20
                                        ; implicit-def: $vgpr21
                                        ; implicit-def: $sgpr22
	v_lshl_or_b32 v18, v71, 9, v18
.LBB506_4:
	v_or_b32_e32 v20, 0x100, v18
	s_movk_i32 s22, 0x4000
	v_mov_b32_e32 v21, v18
.LBB506_5:
	s_mul_hi_u32 s20, s14, s12
	s_mul_i32 s21, s55, s12
	s_add_i32 s20, s20, s21
	s_mul_i32 s21, s14, s12
	s_mul_i32 s23, s21, s3
	s_mul_hi_u32 s24, s21, s52
	s_add_i32 s23, s24, s23
	s_mul_i32 s20, s20, s52
	s_add_i32 s23, s23, s20
	s_mul_i32 s21, s21, s52
	s_ashr_i32 s61, s56, 31
	s_add_u32 s20, s21, s56
	s_addc_u32 s21, s23, s61
	s_lshl_b64 s[20:21], s[20:21], 8
	s_add_u32 s20, s4, s20
	s_addc_u32 s21, s5, s21
	s_and_b32 s21, s21, 0xffff
	s_mov_b32 s23, 0x20000
	s_movk_i32 s62, 0x80
	buffer_load_dwordx4 v[22:25], v21, s[20:23], 0 offen
	buffer_load_dwordx4 v[26:29], v21, s[20:23], s62 offen
	;; [unrolled: 1-line block ×4, first 2 shown]
	v_and_b32_e32 v20, 6, v0
	v_lshlrev_b32_e32 v39, 6, v69
	v_or_b32_e32 v41, 16, v66
	v_xor_b32_e32 v42, v71, v20
	v_and_b32_e32 v21, 1, v0
	v_lshl_or_b32 v45, v66, 3, v39
	v_lshl_or_b32 v39, v41, 3, v39
	v_lshlrev_b32_e32 v42, 2, v42
	s_mul_i32 s3, s3, s12
	s_mul_hi_u32 s20, s52, s12
	v_lshlrev_b32_e32 v38, 2, v66
	v_or_b32_e32 v79, 0xa000, v39
	v_or_b32_e32 v80, 0xb000, v39
	v_xor_b32_e32 v39, 0x440, v42
	v_cmp_eq_u32_e32 vcc, 0, v21
	v_xor_b32_e32 v43, v69, v38
	v_xor_b32_e32 v44, v70, v38
	v_cndmask_b32_e32 v21, v39, v42, vcc
	s_add_i32 s67, s20, s3
	s_add_i32 s3, s46, s33
	s_mov_b32 s64, 0x1000504
	v_lshlrev_b32_e32 v40, 8, v66
	v_lshlrev_b32_e32 v43, 1, v43
	;; [unrolled: 1-line block ×3, first 2 shown]
	v_lshl_or_b32 v20, v20, 10, v21
	s_add_i32 s37, s3, s47
	s_add_i32 s3, s48, s41
	s_mov_b32 s65, 0x3020706
	v_or_b32_e32 v77, 0xa000, v45
	v_or_b32_e32 v78, 0xb000, v45
	;; [unrolled: 1-line block ×4, first 2 shown]
	v_xor_b32_e32 v21, 8, v20
	v_xor_b32_e32 v40, 24, v20
	;; [unrolled: 1-line block ×4, first 2 shown]
	s_add_i32 s39, s3, s49
	s_lshl_b64 s[20:21], s[36:37], 2
	v_xor_b32_e32 v39, 16, v20
	v_xor_b32_e32 v42, 32, v20
	;; [unrolled: 1-line block ×3, first 2 shown]
	v_add_u32_e32 v21, 0x80, v21
	v_add_u32_e32 v40, 0x80, v40
	;; [unrolled: 1-line block ×4, first 2 shown]
	s_add_u32 s3, s10, s20
	s_addc_u32 s22, s11, s21
	s_lshl_b64 s[20:21], s[38:39], 2
	s_add_u32 s42, s3, s20
	s_movk_i32 s3, 0xf8
	s_addc_u32 s43, s22, s21
	s_lshl_b32 s26, s15, 7
	s_movk_i32 s24, 0x100
	v_mov_b32_e32 v59, 0
	v_lshlrev_b32_e32 v58, 4, v66
	v_cmp_gt_u32_e32 vcc, s24, v0
	v_ashrrev_i32_e32 v57, 31, v56
	s_mov_b32 s63, 0
	s_mul_i32 s66, s52, s12
	s_movk_i32 s37, 0x1000
	s_movk_i32 s22, 0x4000
	v_lshl_add_u64 v[60:61], v[56:57], 1, s[8:9]
	v_mov_b32_e32 v105, 0x3fb8aa3b
	s_mov_b32 s68, 0
	s_waitcnt vmcnt(1)
	v_perm_b32 v48, v22, v30, s64
	s_waitcnt vmcnt(0)
	v_perm_b32 v49, v26, v34, s64
	v_perm_b32 v22, v22, v30, s65
	;; [unrolled: 1-line block ×15, first 2 shown]
	ds_write2st64_b32 v20, v48, v49 offset0:32 offset1:64
	ds_write2st64_b32 v21, v22, v26 offset0:32 offset1:64
	;; [unrolled: 1-line block ×8, first 2 shown]
	v_lshlrev_b32_e32 v20, 8, v41
	v_or_b32_e32 v83, v20, v43
	v_or_b32_e32 v84, v20, v44
	;; [unrolled: 1-line block ×3, first 2 shown]
	v_lshlrev_b32_e32 v20, 3, v20
	v_lshrrev_b32_e32 v23, 5, v51
	v_and_or_b32 v23, v20, s3, v23
	v_lshlrev_b32_e32 v23, 4, v23
	v_lshlrev_b32_e32 v21, 11, v1
	v_and_b32_e32 v20, 0x78, v20
	v_or_b32_e32 v28, 32, v23
	v_and_b32_e32 v22, 0x1000, v21
	v_lshrrev_b32_e32 v25, 1, v0
	v_xor_b32_e32 v28, v28, v20
	v_and_b32_e32 v26, 8, v25
	v_or_b32_e32 v28, v28, v22
	v_xor_b32_e32 v24, v23, v20
	v_xor_b32_e32 v87, v28, v26
	v_or_b32_e32 v28, 64, v23
	v_or_b32_e32 v23, 0x60, v23
	s_ashr_i32 s3, s2, 31
	v_xor_b32_e32 v28, v28, v20
	v_xor_b32_e32 v20, v23, v20
	s_lshl_b64 s[20:21], s[2:3], 8
	v_or_b32_e32 v24, v24, v22
	v_or_b32_e32 v28, v28, v22
	;; [unrolled: 1-line block ×3, first 2 shown]
	s_add_u32 s20, s18, s20
	v_lshlrev_b32_e32 v22, 1, v66
	v_xor_b32_e32 v89, v28, v26
	v_lshrrev_b32_e32 v28, 4, v0
	s_addc_u32 s21, s19, s21
	v_or_b32_e32 v23, 1, v22
	v_mov_b32_e32 v32, 0x4000
	v_mov_b32_e32 v33, 0x2000
	v_xor_b32_e32 v29, v28, v22
	v_xor_b32_e32 v30, v23, v28
	v_lshl_add_u64 v[22:23], s[20:21], 0, v[58:59]
	v_lshlrev_b32_e32 v58, 8, v28
	v_cndmask_b32_e32 v32, v32, v33, vcc
	v_lshlrev_b32_e32 v33, 3, v1
	v_and_b32_e32 v25, 24, v25
	v_lshl_or_b32 v93, v29, 3, v58
	v_and_b32_e32 v29, 8, v0
	v_xor_b32_e32 v34, v33, v25
	v_or_b32_e32 v35, 0x440, v34
	v_cmp_eq_u32_e32 vcc, 0, v29
	v_and_b32_e32 v28, 7, v0
	v_xor_b32_e32 v85, v24, v26
	v_cndmask_b32_e32 v29, v35, v34, vcc
	v_lshlrev_b32_e32 v24, 7, v65
	v_lshl_or_b32 v94, v30, 3, v58
	v_lshlrev_b32_e32 v30, 3, v28
	v_lshlrev_b32_e32 v28, 7, v28
	;; [unrolled: 1-line block ×3, first 2 shown]
	v_or_b32_e32 v29, v29, v21
	v_or_b32_e32 v27, v24, v38
	v_xad_u32 v95, v29, v30, v28
	v_and_or_b32 v24, v31, 60, v24
	v_mov_b32_e32 v29, 0xb000
	v_lshl_or_b32 v96, v24, 1, v29
	v_or_b32_e32 v24, 32, v25
	v_xor_b32_e32 v24, v33, v24
	v_or_b32_e32 v29, 0x440, v24
	v_cndmask_b32_e32 v24, v29, v24, vcc
	v_or_b32_e32 v24, v24, v21
	v_xad_u32 v97, v24, v30, v28
	v_or_b32_e32 v24, 64, v25
	v_xor_b32_e32 v24, v33, v24
	v_xor_b32_e32 v29, 0x440, v24
	v_cndmask_b32_e32 v24, v29, v24, vcc
	v_or_b32_e32 v24, v24, v21
	v_xad_u32 v98, v24, v30, v28
	v_or_b32_e32 v24, 0x60, v25
	v_xor_b32_e32 v24, v33, v24
	v_xor_b32_e32 v25, 0x440, v24
	v_cndmask_b32_e32 v24, v25, v24, vcc
	v_lshlrev_b32_e32 v27, 1, v27
	v_or_b32_e32 v21, v24, v21
	v_or_b32_e32 v86, 0xa000, v27
	v_or_b32_e32 v88, 0xa080, v27
	v_xor_b32_e32 v90, v20, v26
	v_or_b32_e32 v91, 0xb000, v27
	v_or_b32_e32 v92, 0xb080, v27
	v_lshlrev_b32_e32 v20, 7, v69
	v_lshlrev_b32_e32 v26, 1, v19
	v_add_lshl_u32 v19, v19, s15, 1
	v_or_b32_e32 v27, 0x100, v18
	v_xad_u32 v99, v21, v30, v28
	v_cndmask_b32_e64 v100, v26, v18, s[0:1]
	v_cndmask_b32_e64 v101, v19, v27, s[0:1]
	v_lshl_add_u64 v[62:63], v[22:23], 0, v[58:59]
	s_mov_b32 s3, 0x7060302
	v_lshlrev_b32_e32 v58, 1, v20
	v_add_u32_e32 v57, v32, v95
	v_add_u32_e32 v102, v32, v97
	;; [unrolled: 1-line block ×4, first 2 shown]
	s_waitcnt lgkmcnt(0)
	s_barrier
.LBB506_6:                              ; =>This Inner Loop Header: Depth=1
	s_add_i32 s39, s68, 1
	s_cmp_lt_i32 s39, s53
	s_mov_b64 s[24:25], 0
	s_cselect_b64 s[44:45], -1, 0
	s_cmp_ge_i32 s39, s53
	s_mov_b64 s[20:21], 0
	s_cbranch_scc1 .LBB506_8
; %bb.7:                                ;   in Loop: Header=BB506_6 Depth=1
	s_add_i32 s0, s63, 64
	s_add_u32 s0, s16, s0
	s_addc_u32 s1, s17, 0
	s_lshl_b64 s[0:1], s[0:1], 8
	s_add_u32 s20, s6, s0
	s_addc_u32 s21, s7, s1
.LBB506_8:                              ;   in Loop: Header=BB506_6 Depth=1
	v_cndmask_b32_e64 v18, 0, 1, s[44:45]
	v_cmp_ne_u32_e64 s[0:1], 1, v18
	s_andn2_b64 vcc, exec, s[44:45]
	s_cbranch_vccnz .LBB506_10
; %bb.9:                                ;   in Loop: Header=BB506_6 Depth=1
	s_add_i32 s24, s63, 64
	s_add_u32 s24, s66, s24
	s_addc_u32 s25, s67, 0
	s_mul_i32 s27, s24, s55
	s_mul_hi_u32 s44, s24, s60
	s_add_i32 s27, s44, s27
	s_mul_i32 s25, s25, s60
	s_add_i32 s27, s27, s25
	s_mul_i32 s24, s24, s60
	s_add_u32 s24, s24, s56
	s_addc_u32 s25, s27, s61
	s_lshl_b64 s[24:25], s[24:25], 8
	s_add_u32 s24, s4, s24
	s_addc_u32 s25, s5, s25
.LBB506_10:                             ;   in Loop: Header=BB506_6 Depth=1
	v_perm_b32 v19, v5, v4, s3
	v_perm_b32 v18, v3, v2, s3
	;; [unrolled: 1-line block ×4, first 2 shown]
	ds_write_b64 v77, v[18:19]
	ds_write_b64 v78, v[20:21]
	;; [unrolled: 1-line block ×4, first 2 shown]
	v_perm_b32 v19, v13, v12, s3
	v_perm_b32 v18, v11, v10, s3
	v_perm_b32 v21, v17, v16, s3
	v_perm_b32 v20, v15, v14, s3
	ds_write_b64 v79, v[18:19]
	ds_write_b64 v80, v[20:21]
	;; [unrolled: 1-line block ×4, first 2 shown]
	s_waitcnt lgkmcnt(0)
	s_barrier
	ds_read_b64 v[22:23], v85 offset:24576
	ds_read2_b64 v[18:21], v86 offset1:16
	ds_read_b64 v[26:27], v88 offset:3072
	ds_read_b64 v[28:29], v86 offset:3072
	;; [unrolled: 1-line block ×3, first 2 shown]
	s_waitcnt lgkmcnt(3)
	v_mfma_f32_16x16x16_bf16 a[0:3], v[22:23], v[18:19], 0
	s_add_i32 s27, s63, 63
	s_mul_i32 s44, s27, s35
	s_mul_hi_u32 s45, s27, s34
	v_mfma_f32_16x16x16_bf16 a[4:7], v[22:23], v[20:21], 0
	ds_read2st64_b64 v[18:21], v86 offset0:2 offset1:4
	ds_read2st64_b64 v[22:25], v88 offset0:2 offset1:4
	s_add_i32 s45, s45, s44
	s_waitcnt lgkmcnt(1)
	v_mfma_f32_16x16x16_bf16 a[0:3], v[30:31], v[18:19], a[0:3]
	s_mul_i32 s44, s27, s34
	s_lshl_b64 s[44:45], s[44:45], 2
	s_add_u32 s44, s42, s44
	s_waitcnt lgkmcnt(0)
	v_mfma_f32_16x16x16_bf16 a[4:7], v[30:31], v[22:23], a[4:7]
	ds_read_b64 v[18:19], v89 offset:24576
	ds_read_b64 v[22:23], v90 offset:24576
	s_addc_u32 s45, s43, s45
	s_and_b64 vcc, exec, s[0:1]
	s_waitcnt lgkmcnt(1)
	v_mfma_f32_16x16x16_bf16 a[0:3], v[18:19], v[20:21], a[0:3]
	v_mov_b32_e32 v108, 0
	v_mov_b32_e32 v107, 0
	;; [unrolled: 1-line block ×3, first 2 shown]
	v_mfma_f32_16x16x16_bf16 a[4:7], v[18:19], v[24:25], a[4:7]
	v_mov_b32_e32 v18, 0
	v_mov_b32_e32 v19, 0
	;; [unrolled: 1-line block ×3, first 2 shown]
	s_waitcnt lgkmcnt(0)
	v_mfma_f32_16x16x16_bf16 a[0:3], v[22:23], v[28:29], a[0:3]
	v_mov_b32_e32 v21, 0
	v_mov_b32_e32 v24, 0
	;; [unrolled: 1-line block ×3, first 2 shown]
	v_mfma_f32_16x16x16_bf16 a[4:7], v[22:23], v[26:27], a[4:7]
	v_mov_b32_e32 v22, 0
	v_mov_b32_e32 v23, 0
	;; [unrolled: 1-line block ×10, first 2 shown]
	s_cbranch_vccnz .LBB506_12
; %bb.11:                               ;   in Loop: Header=BB506_6 Depth=1
	s_and_b32 s21, s21, 0xffff
	buffer_load_dwordx4 v[30:33], v73, s[20:23], 0 offen
	buffer_load_dwordx4 v[26:29], v73, s[20:23], s62 offen
	;; [unrolled: 1-line block ×4, first 2 shown]
	v_mov_b32_e32 v107, v75
	v_mov_b32_e32 v106, v76
.LBB506_12:                             ;   in Loop: Header=BB506_6 Depth=1
	ds_read_b64 v[38:39], v85 offset:32768
	ds_read2_b64 v[34:37], v91 offset1:16
	ds_read_b64 v[42:43], v87 offset:32768
	ds_read_b64 v[44:45], v89 offset:32768
	;; [unrolled: 1-line block ×3, first 2 shown]
	v_add_u32_e32 v48, s63, v69
	s_waitcnt lgkmcnt(3)
	v_mfma_f32_16x16x16_bf16 a[0:3], v[38:39], v[34:35], a[0:3]
	v_mul_lo_u32 v49, v48, s35
	v_mfma_f32_16x16x16_bf16 a[4:7], v[38:39], v[36:37], a[4:7]
	ds_read2st64_b64 v[34:37], v91 offset0:2 offset1:4
	ds_read2st64_b64 v[38:41], v92 offset0:2 offset1:4
	s_waitcnt lgkmcnt(1)
	v_mfma_f32_16x16x16_bf16 a[0:3], v[42:43], v[34:35], a[0:3]
	v_ashrrev_i32_e32 v34, 31, v48
	v_mul_lo_u32 v109, v34, s34
	v_mad_u64_u32 v[34:35], s[20:21], v48, s34, 0
	v_mfma_f32_16x16x16_bf16 a[0:3], v[44:45], v[36:37], a[0:3]
	v_add_u32_e32 v36, 1, v48
	v_ashrrev_i32_e32 v37, 31, v36
	v_add3_u32 v35, v35, v49, v109
	s_waitcnt lgkmcnt(0)
	v_mfma_f32_16x16x16_bf16 a[4:7], v[42:43], v[38:39], a[4:7]
	v_mul_lo_u32 v38, v37, s34
	v_mul_lo_u32 v39, v36, s35
	v_mad_u64_u32 v[36:37], s[20:21], v36, s34, 0
	v_add3_u32 v37, v37, v39, v38
	v_add_u32_e32 v38, 2, v48
	v_ashrrev_i32_e32 v39, 31, v38
	v_mul_lo_u32 v42, v39, s34
	v_mul_lo_u32 v43, v38, s35
	v_mad_u64_u32 v[38:39], s[20:21], v38, s34, 0
	v_add3_u32 v39, v39, v43, v42
	v_add_u32_e32 v42, 3, v48
	v_ashrrev_i32_e32 v43, 31, v42
	v_mul_lo_u32 v48, v43, s34
	v_mul_lo_u32 v49, v42, s35
	v_mad_u64_u32 v[42:43], s[20:21], v42, s34, 0
	s_add_u32 s20, s16, s63
	s_addc_u32 s21, s17, 0
	s_lshl_b64 s[20:21], s[20:21], 8
	v_lshl_add_u64 v[34:35], v[34:35], 2, s[42:43]
	v_lshl_add_u64 v[36:37], v[36:37], 2, s[42:43]
	v_add3_u32 v43, v43, v49, v48
	v_lshl_add_u64 v[48:49], v[60:61], 0, s[20:21]
	v_lshl_add_u64 v[38:39], v[38:39], 2, s[42:43]
	;; [unrolled: 1-line block ×3, first 2 shown]
	global_load_dword v109, v[34:35], off
	global_load_ushort v110, v[48:49], off offset:256
	global_load_ushort v111, v[48:49], off
	global_load_ushort v112, v[48:49], off offset:768
	global_load_ushort v113, v[48:49], off offset:512
	v_lshl_add_u64 v[34:35], v[42:43], 2, s[42:43]
	global_load_dword v114, v[36:37], off
	global_load_dword v115, v[38:39], off
	;; [unrolled: 1-line block ×3, first 2 shown]
	ds_read_b64 v[34:35], v91 offset:3072
	ds_read_b64 v[36:37], v92 offset:3072
	global_load_ushort v117, v[48:49], off offset:800
	global_load_ushort v118, v[48:49], off offset:544
	;; [unrolled: 1-line block ×3, first 2 shown]
	s_nop 0
	global_load_ushort v48, v[48:49], off offset:32
	s_load_dword s20, s[44:45], 0x0
	v_mfma_f32_16x16x16_bf16 a[4:7], v[44:45], v[40:41], a[4:7]
	s_and_b64 vcc, exec, s[0:1]
	v_mov_b32_e32 v49, 0
	s_waitcnt vmcnt(11) lgkmcnt(0)
	v_sub_f32_e32 v44, s20, v109
	v_mfma_f32_16x16x16_bf16 a[0:3], v[46:47], v[34:35], a[0:3]
	v_mul_f32_e32 v44, 0x3fb8aa3b, v44
	v_exp_f32_e32 v44, v44
	s_waitcnt vmcnt(6)
	v_sub_f32_e32 v45, s20, v114
	v_mfma_f32_16x16x16_bf16 a[4:7], v[46:47], v[36:37], a[4:7]
	s_waitcnt vmcnt(5)
	v_sub_f32_e32 v46, s20, v115
	s_waitcnt vmcnt(4)
	v_sub_f32_e32 v47, s20, v116
	v_mul_f32_e32 v45, 0x3fb8aa3b, v45
	v_mul_f32_e32 v46, 0x3fb8aa3b, v46
	;; [unrolled: 1-line block ×3, first 2 shown]
	v_exp_f32_e32 v45, v45
	v_exp_f32_e32 v46, v46
	;; [unrolled: 1-line block ×3, first 2 shown]
	v_accvgpr_read_b32 v39, a1
	v_accvgpr_read_b32 v35, a3
	;; [unrolled: 1-line block ×4, first 2 shown]
	v_lshlrev_b32_e32 v41, 16, v110
	v_lshlrev_b32_e32 v40, 16, v111
	;; [unrolled: 1-line block ×4, first 2 shown]
	v_pk_add_f32 v[38:39], v[40:41], v[38:39] neg_lo:[0,1] neg_hi:[0,1]
	v_pk_add_f32 v[34:35], v[42:43], v[34:35] neg_lo:[0,1] neg_hi:[0,1]
	v_pk_mul_f32 v[38:39], v[44:45], v[38:39]
	v_pk_mul_f32 v[34:35], v[46:47], v[34:35]
	v_accvgpr_read_b32 v41, a5
	v_perm_b32 v35, v35, v34, s3
	v_perm_b32 v34, v39, v38, s3
	s_waitcnt vmcnt(1)
	v_lshlrev_b32_e32 v39, 16, v119
	s_waitcnt vmcnt(0)
	v_lshlrev_b32_e32 v38, 16, v48
	v_accvgpr_read_b32 v40, a4
	v_accvgpr_read_b32 v37, a7
	;; [unrolled: 1-line block ×3, first 2 shown]
	v_pk_add_f32 v[38:39], v[38:39], v[40:41] neg_lo:[0,1] neg_hi:[0,1]
	v_lshlrev_b32_e32 v41, 16, v117
	v_lshlrev_b32_e32 v40, 16, v118
	v_pk_add_f32 v[36:37], v[40:41], v[36:37] neg_lo:[0,1] neg_hi:[0,1]
	v_pk_mul_f32 v[38:39], v[44:45], v[38:39]
	v_pk_mul_f32 v[36:37], v[46:47], v[36:37]
	v_mov_b32_e32 v109, 0
	v_perm_b32 v37, v37, v36, s3
	v_perm_b32 v36, v39, v38, s3
	ds_write2_b64 v78, v[34:35], v[36:37] offset1:16
	v_mov_b32_e32 v34, 0
	v_mov_b32_e32 v35, 0
	;; [unrolled: 1-line block ×15, first 2 shown]
	s_cbranch_vccnz .LBB506_14
; %bb.13:                               ;   in Loop: Header=BB506_6 Depth=1
	s_and_b32 s25, s25, 0xffff
	s_mov_b32 s27, s23
	buffer_load_dwordx4 v[46:49], v100, s[24:27], 0 offen
	buffer_load_dwordx4 v[38:41], v100, s[24:27], s62 offen
	buffer_load_dwordx4 v[42:45], v101, s[24:27], 0 offen
	buffer_load_dwordx4 v[34:37], v101, s[24:27], s62 offen
	v_mov_b32_e32 v108, v72
	v_mov_b32_e32 v109, v71
.LBB506_14:                             ;   in Loop: Header=BB506_6 Depth=1
	s_waitcnt lgkmcnt(0)
	s_barrier
	ds_read_b64 v[114:115], v57
	ds_read_b64 v[122:123], v96
	;; [unrolled: 1-line block ×5, first 2 shown]
	ds_read_b64 v[128:129], v97 offset:16384
	ds_read_b64 v[130:131], v95 offset:16384
	ds_read2_b64 v[110:113], v91 offset0:16 offset1:128
	s_waitcnt lgkmcnt(6)
	v_mfma_f32_16x16x16_bf16 a[0:3], v[114:115], v[122:123], 0
	ds_read_b64 v[132:133], v92 offset:3072
	ds_read_b64 v[134:135], v99 offset:16384
	s_add_i32 s21, s57, s68
	s_waitcnt lgkmcnt(2)
	v_mfma_f32_16x16x16_bf16 a[4:7], v[114:115], v[110:111], 0
	ds_read2st64_b64 v[114:117], v92 offset0:2 offset1:4
	s_mul_hi_i32 s25, s21, s13
	s_mul_i32 s21, s21, s13
	v_mfma_f32_16x16x16_bf16 a[0:3], v[118:119], v[112:113], a[0:3]
	s_add_u32 s24, s21, s50
	s_addc_u32 s25, s25, s54
	s_lshl_b64 s[24:25], s[24:25], 15
	s_waitcnt lgkmcnt(0)
	v_mfma_f32_16x16x16_bf16 a[4:7], v[118:119], v[114:115], a[4:7]
	ds_read2st64_b64 v[118:121], v91 offset0:4 offset1:6
	s_waitcnt lgkmcnt(0)
	v_mfma_f32_16x16x16_bf16 a[0:3], v[124:125], v[118:119], a[0:3]
	v_mfma_f32_16x16x16_bf16 a[8:11], v[124:125], v[116:117], a[4:7]
	v_mfma_f32_16x16x16_bf16 a[4:7], v[126:127], v[120:121], a[0:3]
	v_mfma_f32_16x16x16_bf16 a[0:3], v[126:127], v[132:133], a[8:11]
	v_mfma_f32_16x16x16_bf16 a[8:11], v[130:131], v[122:123], 0
	ds_read2st64_b64 v[122:125], v94 offset1:8
	v_mfma_f32_16x16x16_bf16 a[12:15], v[130:131], v[110:111], 0
	ds_read_b64 v[130:131], v98 offset:16384
	v_mfma_f32_16x16x16_bf16 a[8:11], v[128:129], v[112:113], a[8:11]
	ds_read2st64_b64 v[110:113], v93 offset1:8
	s_waitcnt lgkmcnt(0)
	v_mov_b32_e32 v126, v110
	v_mfma_f32_16x16x16_bf16 a[12:15], v[128:129], v[114:115], a[12:15]
	v_lshl_add_u64 v[114:115], v[62:63], 0, s[24:25]
	v_add_co_u32_e32 v110, vcc, s37, v114
	v_mfma_f32_16x16x16_bf16 a[8:11], v[130:131], v[118:119], a[8:11]
	v_mov_b32_e32 v127, v111
	v_addc_co_u32_e32 v111, vcc, 0, v115, vcc
	v_mfma_f32_16x16x16_bf16 a[12:15], v[130:131], v[116:117], a[12:15]
	v_mov_b32_e32 v128, v122
	v_mov_b32_e32 v129, v123
	;; [unrolled: 1-line block ×3, first 2 shown]
	v_mfma_f32_16x16x16_bf16 a[8:11], v[134:135], v[120:121], a[8:11]
	v_mov_b32_e32 v123, v113
	s_and_b64 vcc, exec, s[0:1]
	global_store_dwordx4 v[114:115], v[126:129], off
	v_mfma_f32_16x16x16_bf16 a[12:15], v[134:135], v[132:133], a[12:15]
	global_store_dwordx4 v[110:111], v[122:125], off
	s_cbranch_vccnz .LBB506_16
; %bb.15:                               ;   in Loop: Header=BB506_6 Depth=1
	v_lshrrev_b32_e32 v110, 3, v108
	v_and_b32_e32 v110, 6, v110
	v_xor_b32_e32 v109, v110, v109
	v_lshlrev_b32_e32 v109, 2, v109
	v_and_b32_e32 v108, 8, v108
	v_xor_b32_e32 v111, 0x440, v109
	v_cmp_eq_u32_e32 vcc, 0, v108
	s_barrier
	s_nop 0
	v_cndmask_b32_e32 v108, v111, v109, vcc
	v_lshl_or_b32 v108, v110, 10, v108
	s_waitcnt vmcnt(3)
	v_perm_b32 v109, v46, v42, s64
	s_waitcnt vmcnt(2)
	v_perm_b32 v110, v38, v34, s64
	ds_write2st64_b32 v108, v109, v110 offset0:32 offset1:64
	v_xor_b32_e32 v109, 8, v108
	v_perm_b32 v42, v46, v42, s65
	v_perm_b32 v34, v38, v34, s65
	v_add_u32_e32 v38, 0x80, v109
	ds_write2st64_b32 v38, v42, v34 offset0:32 offset1:64
	v_xor_b32_e32 v34, 16, v108
	v_perm_b32 v38, v47, v43, s64
	v_perm_b32 v42, v39, v35, s64
	ds_write2st64_b32 v34, v38, v42 offset0:33 offset1:65
	v_xor_b32_e32 v34, 24, v108
	v_perm_b32 v38, v47, v43, s65
	v_perm_b32 v35, v39, v35, s65
	v_add_u32_e32 v34, 0x80, v34
	ds_write2st64_b32 v34, v38, v35 offset0:33 offset1:65
	v_xor_b32_e32 v34, 32, v108
	v_perm_b32 v35, v48, v44, s64
	;; [unrolled: 9-line block ×3, first 2 shown]
	v_perm_b32 v36, v41, v37, s64
	ds_write2st64_b32 v34, v35, v36 offset0:35 offset1:67
	v_xor_b32_e32 v34, 56, v108
	v_perm_b32 v35, v49, v45, s65
	v_perm_b32 v36, v41, v37, s65
	v_add_u32_e32 v34, 0x80, v34
	ds_write2st64_b32 v34, v35, v36 offset0:35 offset1:67
	ds_write_b64 v107, v[30:31] offset:24576
	v_xor_b32_e32 v30, 8, v107
	ds_write_b64 v30, v[32:33] offset:24576
	ds_write_b64 v107, v[26:27] offset:32768
	;; [unrolled: 1-line block ×4, first 2 shown]
	v_xor_b32_e32 v22, 8, v106
	ds_write_b64 v22, v[24:25] offset:24576
	ds_write_b64 v106, v[18:19] offset:32768
	;; [unrolled: 1-line block ×3, first 2 shown]
.LBB506_16:                             ;   in Loop: Header=BB506_6 Depth=1
	v_mul_f32_e32 v18, s20, v105
	s_waitcnt vmcnt(2)
	v_exp_f32_e32 v34, v18
	v_accvgpr_read_b32 v33, a7
	v_accvgpr_read_b32 v25, a3
	;; [unrolled: 1-line block ×16, first 2 shown]
	s_add_i32 s63, s63, 64
	v_fma_f32 v2, v2, v34, v30
	v_fma_f32 v3, v3, v34, v31
	v_fma_f32 v4, v4, v34, v32
	v_fmac_f32_e32 v33, v5, v34
	v_fma_f32 v10, v10, v34, v22
	v_fma_f32 v11, v11, v34, v23
	v_fma_f32 v12, v12, v34, v24
	v_fmac_f32_e32 v25, v13, v34
	;; [unrolled: 4-line block ×3, first 2 shown]
	v_fma_f32 v14, v14, v34, v18
	v_fma_f32 v15, v15, v34, v19
	;; [unrolled: 1-line block ×3, first 2 shown]
	s_cmp_eq_u32 s53, s39
	v_fmac_f32_e32 v21, v17, v34
	s_cbranch_scc1 .LBB506_18
; %bb.17:                               ;   in Loop: Header=BB506_6 Depth=1
	s_mov_b32 s68, s39
	v_mov_b32_e32 v5, v33
	v_mov_b32_e32 v9, v29
	v_mov_b32_e32 v13, v25
	v_mov_b32_e32 v17, v21
	s_branch .LBB506_6
.LBB506_18:
	v_mov_b32_e32 v5, v33
	v_mov_b32_e32 v9, v29
	;; [unrolled: 1-line block ×4, first 2 shown]
.LBB506_19:
	s_lshl_b32 s26, s53, 6
	s_sub_i32 s27, s12, s26
	s_cmp_gt_i32 s27, 0
	s_cbranch_scc0 .LBB506_84
; %bb.20:
	s_ashr_i32 s3, s26, 31
	s_cmpk_lg_i32 s15, 0x80
	s_cselect_b64 s[22:23], -1, 0
	s_and_b64 vcc, exec, s[22:23]
	s_cbranch_vccz .LBB506_22
; %bb.21:
	s_mul_i32 s1, s52, s12
	s_mul_hi_i32 s0, s52, s12
	s_add_u32 s1, s1, s26
	s_addc_u32 s0, s0, s3
	s_mul_i32 s17, s1, s55
	s_mul_hi_u32 s20, s1, s14
	s_add_i32 s17, s20, s17
	s_mul_i32 s0, s0, s14
	s_add_i32 s17, s17, s0
	s_mul_i32 s1, s1, s14
	s_ashr_i32 s0, s56, 31
	s_add_u32 s24, s1, s56
	s_addc_u32 s25, s17, s0
	s_cbranch_execz .LBB506_23
	s_branch .LBB506_24
.LBB506_22:
                                        ; implicit-def: $sgpr24_sgpr25
.LBB506_23:
	s_mul_hi_i32 s0, s52, s14
	s_mul_i32 s52, s52, s14
	s_ashr_i32 s1, s56, 31
	s_add_u32 s14, s52, s56
	s_addc_u32 s0, s0, s1
	s_mul_i32 s1, s14, s51
	s_mul_hi_u32 s17, s14, s12
	s_add_i32 s1, s17, s1
	s_mul_i32 s0, s0, s12
	s_add_i32 s1, s1, s0
	s_mul_i32 s14, s14, s12
	s_add_u32 s24, s14, s26
	s_addc_u32 s25, s1, s3
.LBB506_24:
	s_mul_i32 s0, s40, s51
	s_add_i32 s0, s59, s0
	s_add_i32 s14, s57, s53
	;; [unrolled: 1-line block ×3, first 2 shown]
	s_add_u32 s0, s16, s26
	v_lshlrev_b32_e32 v22, 5, v69
	v_lshlrev_b32_e32 v38, 2, v66
	s_addc_u32 s1, s1, s3
	s_mov_b32 s3, 0x7060302
	v_or_b32_e32 v25, v22, v38
	v_xor_b32_e32 v23, v69, v38
	s_waitcnt vmcnt(3)
	v_perm_b32 v19, v5, v4, s3
	v_perm_b32 v18, v3, v2, s3
	s_waitcnt vmcnt(2)
	v_perm_b32 v21, v9, v8, s3
	v_perm_b32 v20, v7, v6, s3
	v_lshlrev_b32_e32 v25, 1, v25
	v_xor_b32_e32 v24, v70, v38
	ds_write2st64_b64 v25, v[18:19], v[20:21] offset0:80 offset1:88
	v_lshlrev_b32_e32 v23, 1, v23
	v_lshlrev_b32_e32 v25, 8, v66
	s_lshl_b64 s[20:21], s[0:1], 8
	v_or_b32_e32 v26, v23, v25
	v_lshlrev_b32_e32 v24, 1, v24
	s_waitcnt lgkmcnt(0)
	s_add_u32 s0, s6, s20
	ds_write_b64 v26, v[18:19]
	v_or_b32_e32 v18, v24, v25
	s_addc_u32 s1, s7, s21
	ds_write_b64 v18, v[20:21]
	s_waitcnt vmcnt(1)
	v_perm_b32 v19, v13, v12, s3
	v_perm_b32 v18, v11, v10, s3
	s_waitcnt vmcnt(0)
	v_perm_b32 v21, v17, v16, s3
	v_perm_b32 v20, v15, v14, s3
	v_or_b32_e32 v25, 16, v66
	s_mul_hi_i32 s3, s14, s13
	s_mul_i32 s14, s14, s13
	v_lshlrev_b32_e32 v35, 2, v25
	s_add_u32 s6, s14, s50
	v_or_b32_e32 v22, v22, v35
	s_addc_u32 s7, s3, s54
	v_lshlrev_b32_e32 v22, 1, v22
	s_ashr_i32 s3, s2, 31
	s_lshl_b64 s[6:7], s[6:7], 15
	ds_write2st64_b64 v22, v[18:19], v[20:21] offset0:80 offset1:88
	v_lshlrev_b32_e32 v22, 8, v25
	s_add_u32 s6, s18, s6
	v_or_b32_e32 v23, v23, v22
	s_addc_u32 s7, s19, s7
	s_lshl_b64 s[2:3], s[2:3], 8
	ds_write_b64 v23, v[18:19]
	v_or_b32_e32 v18, v24, v22
	s_add_u32 s2, s6, s2
	ds_write_b64 v18, v[20:21]
	v_lshrrev_b32_e32 v18, 4, v0
	s_addc_u32 s3, s7, s3
	v_lshlrev_b32_e32 v19, 1, v66
	v_lshlrev_b32_e32 v26, 4, v66
	v_mov_b32_e32 v27, 0
	v_or_b32_e32 v20, 1, v19
	v_xor_b32_e32 v19, v18, v19
	v_lshl_add_u64 v[28:29], s[2:3], 0, v[26:27]
	v_lshlrev_b32_e32 v26, 8, v18
	v_xor_b32_e32 v22, v20, v18
	v_lshl_or_b32 v18, v19, 3, v26
	s_waitcnt lgkmcnt(0)
	s_barrier
	ds_read2st64_b64 v[18:21], v18 offset1:8
	v_lshl_or_b32 v22, v22, 3, v26
	ds_read2st64_b64 v[22:25], v22 offset1:8
	v_lshl_add_u64 v[30:31], v[28:29], 0, v[26:27]
	s_movk_i32 s2, 0x1000
	s_waitcnt lgkmcnt(1)
	v_mov_b32_e32 v26, v18
	v_add_co_u32_e32 v18, vcc, s2, v30
	s_cmp_lg_u32 s27, 64
	v_mov_b32_e32 v27, v19
	v_addc_co_u32_e32 v19, vcc, 0, v31, vcc
	s_cselect_b64 s[6:7], -1, 0
	v_lshl_or_b32 v42, v1, 3, v68
	s_waitcnt lgkmcnt(0)
	v_mov_b32_e32 v28, v22
	v_mov_b32_e32 v29, v23
	;; [unrolled: 1-line block ×4, first 2 shown]
	s_mov_b32 s16, 0
	v_or_b32_e32 v36, 32, v42
	v_and_b32_e32 v34, 56, v67
	s_and_b64 vcc, exec, s[6:7]
	global_store_dwordx4 v[30:31], v[26:29], off
	global_store_dwordx4 v[18:19], v[22:25], off
	s_cbranch_vccz .LBB506_30
; %bb.25:
	s_mov_b32 s18, s16
	s_mov_b32 s19, s16
	;; [unrolled: 1-line block ×3, first 2 shown]
	v_mov_b64_e32 v[24:25], s[18:19]
	v_mov_b64_e32 v[22:23], s[16:17]
	;; [unrolled: 1-line block ×3, first 2 shown]
	v_cmp_gt_i32_e32 vcc, s27, v42
	v_mov_b64_e32 v[20:21], v[24:25]
	s_and_saveexec_b64 s[2:3], vcc
	s_cbranch_execz .LBB506_27
; %bb.26:
	v_lshlrev_b32_e32 v18, 8, v42
	v_mov_b32_e32 v19, 0
	v_lshl_add_u64 v[20:21], s[0:1], 0, v[18:19]
	v_lshlrev_b32_e32 v18, 1, v34
	v_lshl_add_u64 v[26:27], v[20:21], 0, v[18:19]
	global_load_dwordx4 v[22:25], v[26:27], off
	global_load_dwordx4 v[18:21], v[26:27], off offset:128
.LBB506_27:
	s_or_b64 exec, exec, s[2:3]
	s_mov_b32 s18, s16
	s_mov_b32 s19, s16
	;; [unrolled: 1-line block ×3, first 2 shown]
	v_mov_b64_e32 v[32:33], s[18:19]
	v_mov_b64_e32 v[30:31], s[16:17]
	;; [unrolled: 1-line block ×3, first 2 shown]
	v_cmp_gt_i32_e32 vcc, s27, v36
	v_lshlrev_b32_e32 v37, 7, v36
	v_mov_b64_e32 v[28:29], v[32:33]
	s_and_saveexec_b64 s[2:3], vcc
	s_cbranch_execz .LBB506_29
; %bb.28:
	v_lshlrev_b32_e32 v26, 1, v37
	v_mov_b32_e32 v27, 0
	v_lshl_add_u64 v[28:29], s[0:1], 0, v[26:27]
	v_lshlrev_b32_e32 v26, 1, v34
	v_lshl_add_u64 v[40:41], v[28:29], 0, v[26:27]
	global_load_dwordx4 v[30:33], v[40:41], off
	global_load_dwordx4 v[26:29], v[40:41], off offset:128
.LBB506_29:
	s_or_b64 exec, exec, s[2:3]
	v_lshrrev_b32_e32 v39, 3, v34
	v_lshlrev_b32_e32 v40, 3, v42
	v_or_b32_e32 v39, v40, v39
	v_lshlrev_b32_e32 v39, 4, v39
	v_and_b32_e32 v40, 0x78, v40
	v_xor_b32_e32 v39, v39, v40
	s_branch .LBB506_32
.LBB506_30:
                                        ; implicit-def: $vgpr39
                                        ; implicit-def: $vgpr37
                                        ; implicit-def: $vgpr22_vgpr23_vgpr24_vgpr25
                                        ; implicit-def: $vgpr18_vgpr19_vgpr20_vgpr21
                                        ; implicit-def: $vgpr30_vgpr31_vgpr32_vgpr33
                                        ; implicit-def: $vgpr26_vgpr27_vgpr28_vgpr29
	s_cbranch_execz .LBB506_32
; %bb.31:
	s_waitcnt vmcnt(0)
	v_lshlrev_b32_e32 v18, 1, v34
	v_lshl_or_b32 v37, v42, 8, v18
	s_and_b32 s1, s1, 0xffff
	s_mov_b32 s3, 0x20000
	s_movk_i32 s2, 0x4000
	v_lshl_or_b32 v39, v36, 8, v18
	s_movk_i32 s13, 0x80
	buffer_load_dwordx4 v[22:25], v37, s[0:3], 0 offen
	buffer_load_dwordx4 v[18:21], v37, s[0:3], s13 offen
	;; [unrolled: 1-line block ×4, first 2 shown]
	v_lshrrev_b32_e32 v37, 3, v34
	v_lshlrev_b32_e32 v39, 3, v42
	v_or_b32_e32 v37, v39, v37
	v_lshlrev_b32_e32 v37, 4, v37
	v_and_b32_e32 v39, 0x78, v39
	v_xor_b32_e32 v39, v37, v39
	v_lshlrev_b32_e32 v37, 7, v36
.LBB506_32:
	s_lshl_b64 s[0:1], s[24:25], 8
	s_add_u32 s4, s4, s0
	s_movk_i32 s0, 0x1000
	v_and_or_b32 v36, v37, s0, v39
	s_waitcnt vmcnt(1)
	ds_write_b64 v39, v[22:23] offset:24576
	v_xor_b32_e32 v22, 8, v39
	ds_write_b64 v22, v[24:25] offset:24576
	s_waitcnt vmcnt(0)
	ds_write_b64 v39, v[18:19] offset:32768
	ds_write_b64 v22, v[20:21] offset:32768
	;; [unrolled: 1-line block ×3, first 2 shown]
	v_xor_b32_e32 v18, 8, v36
	ds_write_b64 v18, v[32:33] offset:24576
	ds_write_b64 v36, v[26:27] offset:32768
	;; [unrolled: 1-line block ×3, first 2 shown]
	v_or_b32_e32 v18, v64, v66
	v_lshlrev_b32_e32 v18, 3, v18
	v_lshrrev_b32_e32 v19, 5, v51
	s_movk_i32 s3, 0xf8
	v_and_or_b32 v19, v18, s3, v19
	v_lshlrev_b32_e32 v23, 4, v19
	v_lshlrev_b32_e32 v39, 11, v1
	v_and_b32_e32 v24, 0x78, v18
	v_or_b32_e32 v26, 32, v23
	v_and_b32_e32 v22, 0x1000, v39
	v_lshrrev_b32_e32 v19, 1, v51
	v_xor_b32_e32 v26, v26, v24
	v_xor_b32_e32 v18, v23, v24
	v_and_b32_e32 v25, 8, v19
	v_or_b32_e32 v26, v26, v22
	v_or_b32_e32 v18, v18, v22
	v_xor_b32_e32 v44, v26, v25
	v_or_b32_e32 v26, 64, v23
	v_xor_b32_e32 v43, v18, v25
	v_xor_b32_e32 v26, v26, v24
	s_waitcnt lgkmcnt(0)
	s_barrier
	v_or_b32_e32 v28, v26, v22
	ds_read_b64 v[26:27], v43 offset:24576
	v_lshl_or_b32 v36, v65, 7, v38
	v_lshlrev_b32_e32 v40, 1, v36
	v_add_u32_e32 v18, 0xa000, v40
	ds_read2_b64 v[18:21], v18 offset1:16
	v_or_b32_e32 v23, 0x60, v23
	v_xor_b32_e32 v23, v23, v24
	s_waitcnt lgkmcnt(0)
	v_mfma_f32_16x16x16_bf16 a[0:3], v[26:27], v[18:19], 0
	v_or_b32_e32 v18, 64, v36
	v_or_b32_e32 v22, v23, v22
	v_lshlrev_b32_e32 v41, 1, v18
	v_xor_b32_e32 v45, v28, v25
	v_xor_b32_e32 v46, v22, v25
	ds_read_b64 v[28:29], v44 offset:24576
	ds_read_b64 v[30:31], v45 offset:24576
	;; [unrolled: 1-line block ×3, first 2 shown]
	v_mfma_f32_16x16x16_bf16 a[4:7], v[26:27], v[20:21], 0
	ds_read2st64_b64 v[18:21], v41 offset0:82 offset1:84
	ds_read2st64_b64 v[22:25], v40 offset0:82 offset1:84
	s_addc_u32 s5, s5, s1
	s_add_i32 s1, s46, s33
	s_add_i32 s0, s12, -1
	s_add_i32 s37, s1, s47
	s_add_i32 s1, s48, s41
	;; [unrolled: 1-line block ×3, first 2 shown]
	s_ashr_i32 s1, s0, 31
	s_mul_i32 s2, s0, s35
	s_mul_hi_u32 s3, s0, s34
	s_add_i32 s2, s3, s2
	s_mul_i32 s1, s1, s34
	s_waitcnt lgkmcnt(1)
	v_mfma_f32_16x16x16_bf16 a[4:7], v[28:29], v[18:19], a[4:7]
	s_add_i32 s1, s2, s1
	s_lshl_b64 s[2:3], s[36:37], 2
	s_add_u32 s10, s10, s2
	s_waitcnt lgkmcnt(0)
	v_mfma_f32_16x16x16_bf16 a[0:3], v[28:29], v[22:23], a[0:3]
	s_addc_u32 s11, s11, s3
	s_lshl_b64 s[2:3], s[38:39], 2
	s_mul_i32 s0, s0, s34
	s_add_u32 s10, s10, s2
	ds_read_b64 v[18:19], v40 offset:44032
	v_mfma_f32_16x16x16_bf16 a[4:7], v[30:31], v[20:21], a[4:7]
	ds_read_b64 v[20:21], v41 offset:44032
	s_addc_u32 s11, s11, s3
	s_lshl_b64 s[0:1], s[0:1], 2
	v_mfma_f32_16x16x16_bf16 a[0:3], v[30:31], v[24:25], a[0:3]
	s_add_u32 s0, s10, s0
	s_addc_u32 s1, s11, s1
	s_load_dword s12, s[0:1], 0x0
	s_waitcnt lgkmcnt(0)
	v_mfma_f32_16x16x16_bf16 a[0:3], v[32:33], v[18:19], a[0:3]
	s_and_b64 vcc, exec, s[22:23]
	v_mfma_f32_16x16x16_bf16 a[4:7], v[32:33], v[20:21], a[4:7]
	s_cbranch_vccz .LBB506_43
; %bb.33:
	v_lshlrev_b32_e32 v36, 1, v42
	s_and_b64 vcc, exec, s[6:7]
	s_cbranch_vccz .LBB506_44
; %bb.34:
	v_cmp_gt_i32_e32 vcc, s27, v36
	v_mov_b32_e32 v22, 0
	v_mov_b32_e32 v18, 0
	;; [unrolled: 1-line block ×5, first 2 shown]
	s_and_saveexec_b64 s[0:1], vcc
	s_cbranch_execz .LBB506_36
; %bb.35:
	v_mad_i64_i32 v[18:19], s[2:3], s15, v36, 0
	v_lshl_add_u64 v[18:19], v[18:19], 1, s[4:5]
	v_lshlrev_b32_e32 v20, 1, v34
	v_mov_b32_e32 v21, 0
	v_lshl_add_u64 v[18:19], v[18:19], 0, v[20:21]
	global_load_dwordx4 v[18:21], v[18:19], off
.LBB506_36:
	s_or_b64 exec, exec, s[0:1]
	v_or_b32_e32 v37, 1, v36
	v_cmp_gt_i32_e64 s[0:1], s27, v37
	v_mov_b32_e32 v23, 0
	v_mov_b32_e32 v24, 0
	;; [unrolled: 1-line block ×3, first 2 shown]
	s_and_saveexec_b64 s[2:3], s[0:1]
	s_cbranch_execz .LBB506_38
; %bb.37:
	v_mad_i64_i32 v[22:23], s[16:17], s15, v37, 0
	v_lshl_add_u64 v[22:23], v[22:23], 1, s[4:5]
	v_lshlrev_b32_e32 v24, 1, v34
	v_mov_b32_e32 v25, 0
	v_lshl_add_u64 v[22:23], v[22:23], 0, v[24:25]
	global_load_dwordx4 v[22:25], v[22:23], off
.LBB506_38:
	s_or_b64 exec, exec, s[2:3]
	v_mov_b32_e32 v33, 0
	v_mov_b32_e32 v26, 0
	;; [unrolled: 1-line block ×5, first 2 shown]
	s_and_saveexec_b64 s[2:3], vcc
	s_cbranch_execz .LBB506_40
; %bb.39:
	v_mad_i64_i32 v[26:27], s[16:17], s15, v36, 0
	v_lshl_add_u64 v[26:27], v[26:27], 1, s[4:5]
	v_lshlrev_b32_e32 v28, 1, v34
	v_mov_b32_e32 v29, 0
	v_lshl_add_u64 v[26:27], v[26:27], 0, v[28:29]
	global_load_dwordx4 v[26:29], v[26:27], off offset:128
.LBB506_40:
	s_or_b64 exec, exec, s[2:3]
	v_mov_b32_e32 v32, 0
	v_mov_b32_e32 v31, 0
	v_mov_b32_e32 v30, 0
	s_and_saveexec_b64 s[2:3], s[0:1]
	s_cbranch_execz .LBB506_42
; %bb.41:
	v_mad_i64_i32 v[30:31], s[0:1], s15, v37, 0
	v_lshl_add_u64 v[30:31], v[30:31], 1, s[4:5]
	v_lshlrev_b32_e32 v32, 1, v34
	v_mov_b32_e32 v33, 0
	v_lshl_add_u64 v[30:31], v[30:31], 0, v[32:33]
	global_load_dwordx4 v[30:33], v[30:31], off offset:128
.LBB506_42:
	s_or_b64 exec, exec, s[2:3]
	s_branch .LBB506_46
.LBB506_43:
                                        ; implicit-def: $vgpr21
                                        ; implicit-def: $vgpr25
                                        ; implicit-def: $vgpr29
                                        ; implicit-def: $vgpr33
	v_lshrrev_b32_e32 v47, 2, v51
	s_branch .LBB506_47
.LBB506_44:
                                        ; implicit-def: $vgpr21
                                        ; implicit-def: $vgpr25
                                        ; implicit-def: $vgpr29
                                        ; implicit-def: $vgpr33
	s_cbranch_execz .LBB506_46
; %bb.45:
	s_waitcnt vmcnt(0)
	v_mad_u64_u32 v[18:19], s[0:1], v36, s15, v[34:35]
	v_lshlrev_b32_e32 v36, 1, v18
	s_lshl_b32 s2, s15, 7
	s_and_b32 s1, s5, 0xffff
	s_mov_b32 s3, 0x20000
	s_mov_b32 s0, s4
	v_add_lshl_u32 v37, v18, s15, 1
	s_movk_i32 s13, 0x80
	buffer_load_dwordx4 v[18:21], v36, s[0:3], 0 offen
	buffer_load_dwordx4 v[26:29], v36, s[0:3], s13 offen
	;; [unrolled: 1-line block ×4, first 2 shown]
.LBB506_46:
	v_lshrrev_b32_e32 v47, 2, v51
	s_cbranch_execnz .LBB506_59
.LBB506_47:
	s_and_b64 vcc, exec, s[6:7]
	s_cbranch_vccz .LBB506_57
; %bb.48:
	s_waitcnt vmcnt(0)
	v_lshlrev_b32_e32 v23, 1, v42
	v_cmp_gt_i32_e32 vcc, s27, v23
	v_mov_b32_e32 v22, 0
	v_lshlrev_b32_e32 v30, 9, v42
	v_mov_b32_e32 v18, 0
	v_mov_b32_e32 v19, 0
	;; [unrolled: 1-line block ×4, first 2 shown]
	s_and_saveexec_b64 s[0:1], vcc
	s_cbranch_execz .LBB506_50
; %bb.49:
	v_mov_b32_e32 v31, 0
	v_lshl_add_u64 v[18:19], s[4:5], 0, v[30:31]
	v_lshlrev_b32_e32 v20, 1, v34
	v_mov_b32_e32 v21, v31
	v_lshl_add_u64 v[18:19], v[18:19], 0, v[20:21]
	global_load_dwordx4 v[18:21], v[18:19], off
.LBB506_50:
	s_or_b64 exec, exec, s[0:1]
	v_or_b32_e32 v23, 1, v23
	v_cmp_gt_i32_e64 s[0:1], s27, v23
	v_lshlrev_b32_e32 v36, 8, v23
	v_mov_b32_e32 v23, 0
	v_mov_b32_e32 v24, 0
	;; [unrolled: 1-line block ×3, first 2 shown]
	s_and_saveexec_b64 s[2:3], s[0:1]
	s_cbranch_execz .LBB506_52
; %bb.51:
	v_mov_b32_e32 v37, 0
	v_lshl_add_u64 v[22:23], s[4:5], 0, v[36:37]
	v_lshlrev_b32_e32 v24, 1, v34
	v_mov_b32_e32 v25, v37
	v_lshl_add_u64 v[22:23], v[22:23], 0, v[24:25]
	global_load_dwordx4 v[22:25], v[22:23], off
.LBB506_52:
	s_or_b64 exec, exec, s[2:3]
	v_mov_b32_e32 v33, 0
	v_mov_b32_e32 v26, 0
	;; [unrolled: 1-line block ×5, first 2 shown]
	s_and_saveexec_b64 s[2:3], vcc
	s_cbranch_execz .LBB506_54
; %bb.53:
	v_mov_b32_e32 v31, 0
	v_lshl_add_u64 v[26:27], s[4:5], 0, v[30:31]
	v_lshlrev_b32_e32 v30, 1, v34
	v_lshl_add_u64 v[26:27], v[26:27], 0, v[30:31]
	global_load_dwordx4 v[26:29], v[26:27], off offset:128
.LBB506_54:
	s_or_b64 exec, exec, s[2:3]
	v_mov_b32_e32 v32, 0
	v_mov_b32_e32 v31, 0
	v_mov_b32_e32 v30, 0
	s_and_saveexec_b64 s[2:3], s[0:1]
	s_cbranch_execz .LBB506_56
; %bb.55:
	v_mov_b32_e32 v37, 0
	v_lshl_add_u64 v[30:31], s[4:5], 0, v[36:37]
	v_lshlrev_b32_e32 v36, 1, v34
	v_lshl_add_u64 v[30:31], v[30:31], 0, v[36:37]
	global_load_dwordx4 v[30:33], v[30:31], off offset:128
.LBB506_56:
	s_or_b64 exec, exec, s[2:3]
	s_branch .LBB506_59
.LBB506_57:
                                        ; implicit-def: $vgpr21
                                        ; implicit-def: $vgpr25
                                        ; implicit-def: $vgpr29
                                        ; implicit-def: $vgpr33
	s_cbranch_execz .LBB506_59
; %bb.58:
	s_waitcnt vmcnt(0)
	v_lshlrev_b32_e32 v18, 1, v34
	v_lshl_or_b32 v34, v42, 9, v18
	s_and_b32 s5, s5, 0xffff
	s_mov_b32 s7, 0x20000
	s_movk_i32 s6, 0x4000
	s_movk_i32 s0, 0x80
	buffer_load_dwordx4 v[18:21], v34, s[4:7], 0 offen
	buffer_load_dwordx4 v[22:25], v34, s[4:7], 0 offen offset:256
	buffer_load_dwordx4 v[26:29], v34, s[4:7], s0 offen
	buffer_load_dwordx4 v[30:33], v34, s[4:7], s0 offen offset:256
.LBB506_59:
	ds_read_b64 v[36:37], v43 offset:32768
	v_add_u32_e32 v34, 0xb000, v40
	ds_read2_b64 v[58:61], v34 offset1:16
	ds_read_b64 v[48:49], v44 offset:32768
	ds_read_b64 v[44:45], v45 offset:32768
	ds_read_b64 v[62:63], v46 offset:32768
	v_and_b32_e32 v34, 6, v0
	v_xor_b32_e32 v42, v42, v34
	v_lshlrev_b32_e32 v42, 2, v42
	v_and_b32_e32 v43, 1, v0
	v_xor_b32_e32 v46, 0x440, v42
	v_cmp_eq_u32_e32 vcc, 0, v43
	s_waitcnt lgkmcnt(3)
	v_mfma_f32_16x16x16_bf16 a[0:3], v[36:37], v[58:59], a[0:3]
	s_mov_b32 s0, 0x1000504
	v_cndmask_b32_e32 v42, v46, v42, vcc
	v_lshl_or_b32 v34, v34, 10, v42
	v_mfma_f32_16x16x16_bf16 a[4:7], v[36:37], v[60:61], a[4:7]
	ds_read2st64_b64 v[58:61], v40 offset0:90 offset1:92
	ds_read2st64_b64 v[66:69], v41 offset0:90 offset1:92
	s_waitcnt vmcnt(0)
	v_perm_b32 v42, v18, v22, s0
	s_mov_b32 s1, 0x3020706
	s_waitcnt lgkmcnt(1)
	v_mfma_f32_16x16x16_bf16 a[0:3], v[48:49], v[58:59], a[0:3]
	ds_read_b64 v[36:37], v40 offset:48128
	ds_read_b64 v[58:59], v41 offset:48128
	v_perm_b32 v18, v18, v22, s1
	v_perm_b32 v22, v26, v30, s1
	s_waitcnt lgkmcnt(2)
	v_mfma_f32_16x16x16_bf16 a[4:7], v[48:49], v[66:67], a[4:7]
	v_mfma_f32_16x16x16_bf16 a[0:3], v[44:45], v[60:61], a[0:3]
	;; [unrolled: 1-line block ×3, first 2 shown]
	s_waitcnt lgkmcnt(1)
	v_mfma_f32_16x16x16_bf16 a[4:7], v[62:63], v[36:37], a[0:3]
	v_perm_b32 v36, v26, v30, s0
	ds_write2st64_b32 v34, v42, v36 offset0:32 offset1:64
	v_xor_b32_e32 v36, 8, v34
	v_add_u32_e32 v26, 0x80, v36
	ds_write2st64_b32 v26, v18, v22 offset0:32 offset1:64
	v_xor_b32_e32 v18, 16, v34
	v_perm_b32 v22, v19, v23, s0
	v_perm_b32 v26, v27, v31, s0
	ds_write2st64_b32 v18, v22, v26 offset0:33 offset1:65
	v_xor_b32_e32 v18, 24, v34
	v_perm_b32 v19, v19, v23, s1
	v_perm_b32 v22, v27, v31, s1
	v_add_u32_e32 v18, 0x80, v18
	ds_write2st64_b32 v18, v19, v22 offset0:33 offset1:65
	v_xor_b32_e32 v18, 32, v34
	v_perm_b32 v19, v20, v24, s0
	v_perm_b32 v22, v28, v32, s0
	ds_write2st64_b32 v18, v19, v22 offset0:34 offset1:66
	v_xor_b32_e32 v18, 40, v34
	s_waitcnt lgkmcnt(5)
	v_mfma_f32_16x16x16_bf16 a[0:3], v[62:63], v[58:59], a[8:11]
	v_perm_b32 v19, v20, v24, s1
	v_perm_b32 v20, v28, v32, s1
	v_add_u32_e32 v18, 0x80, v18
	ds_write2st64_b32 v18, v19, v20 offset0:34 offset1:66
	v_xor_b32_e32 v18, 48, v34
	v_perm_b32 v19, v21, v25, s0
	v_perm_b32 v20, v29, v33, s0
	ds_write2st64_b32 v18, v19, v20 offset0:35 offset1:67
	v_xor_b32_e32 v18, 56, v34
	v_and_or_b32 v36, v47, 12, v64
	v_perm_b32 v19, v21, v25, s1
	v_perm_b32 v20, v29, v33, s1
	v_add_u32_e32 v18, 0x80, v18
	v_cmp_gt_i32_e32 vcc, s27, v36
	v_mov_b32_e32 v32, 0
	v_mov_b32_e32 v34, 0
	ds_write2st64_b32 v18, v19, v20 offset0:35 offset1:67
	s_and_saveexec_b64 s[0:1], vcc
	s_cbranch_execz .LBB506_61
; %bb.60:
	v_add_u32_e32 v18, s26, v36
	v_ashrrev_i32_e32 v19, 31, v18
	v_mul_lo_u32 v20, v19, s34
	v_mul_lo_u32 v21, v18, s35
	v_mad_u64_u32 v[18:19], s[2:3], v18, s34, 0
	v_add3_u32 v19, v19, v21, v20
	v_lshl_add_u64 v[18:19], v[18:19], 2, s[10:11]
	global_load_dword v18, v[18:19], off
	s_waitcnt vmcnt(0)
	v_sub_f32_e32 v18, s12, v18
	v_mul_f32_e32 v18, 0x3fb8aa3b, v18
	v_exp_f32_e32 v34, v18
.LBB506_61:
	s_or_b64 exec, exec, s[0:1]
	v_or_b32_e32 v26, 1, v36
	v_cmp_gt_i32_e64 s[0:1], s27, v26
	s_and_saveexec_b64 s[2:3], s[0:1]
	s_cbranch_execz .LBB506_63
; %bb.62:
	v_add_u32_e32 v18, s26, v26
	v_ashrrev_i32_e32 v19, 31, v18
	v_mul_lo_u32 v20, v19, s34
	v_mul_lo_u32 v21, v18, s35
	v_mad_u64_u32 v[18:19], s[4:5], v18, s34, 0
	v_add3_u32 v19, v19, v21, v20
	v_lshl_add_u64 v[18:19], v[18:19], 2, s[10:11]
	global_load_dword v18, v[18:19], off
	s_waitcnt vmcnt(0)
	v_sub_f32_e32 v18, s12, v18
	v_mul_f32_e32 v18, 0x3fb8aa3b, v18
	v_exp_f32_e32 v32, v18
.LBB506_63:
	s_or_b64 exec, exec, s[2:3]
	v_or_b32_e32 v27, 2, v36
	v_cmp_gt_i32_e64 s[2:3], s27, v27
	v_mov_b32_e32 v33, 0
	v_mov_b32_e32 v37, 0
	s_and_saveexec_b64 s[4:5], s[2:3]
	s_cbranch_execz .LBB506_65
; %bb.64:
	v_add_u32_e32 v18, s26, v27
	v_ashrrev_i32_e32 v19, 31, v18
	v_mul_lo_u32 v20, v19, s34
	v_mul_lo_u32 v21, v18, s35
	v_mad_u64_u32 v[18:19], s[6:7], v18, s34, 0
	v_add3_u32 v19, v19, v21, v20
	v_lshl_add_u64 v[18:19], v[18:19], 2, s[10:11]
	global_load_dword v18, v[18:19], off
	s_waitcnt vmcnt(0)
	v_sub_f32_e32 v18, s12, v18
	v_mul_f32_e32 v18, 0x3fb8aa3b, v18
	v_exp_f32_e32 v37, v18
.LBB506_65:
	s_or_b64 exec, exec, s[4:5]
	v_or_b32_e32 v42, 3, v36
	v_cmp_gt_i32_e64 s[4:5], s27, v42
	s_and_saveexec_b64 s[6:7], s[4:5]
	s_cbranch_execz .LBB506_67
; %bb.66:
	v_add_u32_e32 v18, s26, v42
	v_ashrrev_i32_e32 v19, 31, v18
	v_mul_lo_u32 v20, v19, s34
	v_mul_lo_u32 v21, v18, s35
	v_mad_u64_u32 v[18:19], s[14:15], v18, s34, 0
	v_add3_u32 v19, v19, v21, v20
	v_lshl_add_u64 v[18:19], v[18:19], 2, s[10:11]
	global_load_dword v18, v[18:19], off
	s_waitcnt vmcnt(0)
	v_sub_f32_e32 v18, s12, v18
	v_mul_f32_e32 v18, 0x3fb8aa3b, v18
	v_exp_f32_e32 v33, v18
.LBB506_67:
	s_or_b64 exec, exec, s[6:7]
	s_add_u32 s6, s8, s20
	v_accvgpr_read_b32 v21, a7
	s_addc_u32 s7, s9, s21
	v_ashrrev_i32_e32 v57, 31, v56
	v_accvgpr_read_b32 v20, a6
	v_accvgpr_read_b32 v19, a5
	;; [unrolled: 1-line block ×3, first 2 shown]
	v_lshl_add_u64 v[22:23], v[56:57], 1, s[6:7]
	v_mov_b32_e32 v29, 0
	v_lshlrev_b32_e32 v24, 8, v36
	v_mov_b32_e32 v25, 0
	s_and_saveexec_b64 s[6:7], vcc
	s_cbranch_execz .LBB506_69
; %bb.68:
	v_mov_b32_e32 v25, 0
	v_lshl_add_u64 v[30:31], v[22:23], 0, v[24:25]
	global_load_ushort v25, v[30:31], off
	s_waitcnt vmcnt(0)
	v_lshlrev_b32_e32 v25, 16, v25
	v_sub_f32_e32 v18, v25, v18
	v_mul_f32_e32 v18, v34, v18
	v_lshrrev_b32_e32 v25, 16, v18
.LBB506_69:
	s_or_b64 exec, exec, s[6:7]
	v_lshlrev_b32_e32 v28, 8, v26
	s_and_saveexec_b64 s[6:7], s[0:1]
	s_cbranch_execz .LBB506_71
; %bb.70:
	v_mov_b32_e32 v29, 0
	v_lshl_add_u64 v[30:31], v[22:23], 0, v[28:29]
	global_load_ushort v18, v[30:31], off
	s_waitcnt vmcnt(0)
	v_lshlrev_b32_e32 v18, 16, v18
	v_sub_f32_e32 v18, v18, v19
	v_mul_f32_e32 v18, v32, v18
	v_lshrrev_b32_e32 v29, 16, v18
.LBB506_71:
	s_or_b64 exec, exec, s[6:7]
	v_mov_b32_e32 v43, 0
	v_lshlrev_b32_e32 v30, 8, v27
	v_mov_b32_e32 v31, 0
	s_and_saveexec_b64 s[6:7], s[2:3]
	s_cbranch_execz .LBB506_73
; %bb.72:
	v_mov_b32_e32 v31, 0
	v_lshl_add_u64 v[18:19], v[22:23], 0, v[30:31]
	global_load_ushort v18, v[18:19], off
	s_waitcnt vmcnt(0)
	v_lshlrev_b32_e32 v18, 16, v18
	v_sub_f32_e32 v18, v18, v20
	v_mul_f32_e32 v18, v37, v18
	v_lshrrev_b32_e32 v31, 16, v18
.LBB506_73:
	s_or_b64 exec, exec, s[6:7]
	v_lshlrev_b32_e32 v26, 8, v42
	s_and_saveexec_b64 s[6:7], s[4:5]
	s_cbranch_execz .LBB506_75
; %bb.74:
	v_mov_b32_e32 v27, 0
	v_lshl_add_u64 v[18:19], v[22:23], 0, v[26:27]
	global_load_ushort v18, v[18:19], off
	s_waitcnt vmcnt(0)
	v_lshlrev_b32_e32 v18, 16, v18
	v_sub_f32_e32 v18, v18, v21
	v_mul_f32_e32 v18, v33, v18
	v_lshrrev_b32_e32 v43, 16, v18
.LBB506_75:
	s_or_b64 exec, exec, s[6:7]
	v_lshlrev_b32_e32 v36, 5, v36
	s_mov_b32 s6, 0x5040100
	v_perm_b32 v42, v29, v25, s6
	v_or_b32_e32 v25, v36, v38
	v_accvgpr_read_b32 v21, a3
	v_perm_b32 v43, v43, v31, s6
	v_lshlrev_b32_e32 v25, 1, v25
	v_accvgpr_read_b32 v20, a2
	v_accvgpr_read_b32 v19, a1
	;; [unrolled: 1-line block ×3, first 2 shown]
	ds_write_b64 v25, v[42:43] offset:45056
	v_mov_b32_e32 v29, 0
	v_mov_b32_e32 v25, 0
	s_and_saveexec_b64 s[6:7], vcc
	s_cbranch_execz .LBB506_77
; %bb.76:
	v_mov_b32_e32 v25, 0
	v_lshl_add_u64 v[24:25], v[22:23], 0, v[24:25]
	global_load_ushort v24, v[24:25], off offset:32
	s_waitcnt vmcnt(0)
	v_lshlrev_b32_e32 v24, 16, v24
	v_sub_f32_e32 v18, v24, v18
	v_mul_f32_e32 v18, v34, v18
	v_lshrrev_b32_e32 v25, 16, v18
.LBB506_77:
	s_or_b64 exec, exec, s[6:7]
	s_and_saveexec_b64 s[6:7], s[0:1]
	s_cbranch_execz .LBB506_79
; %bb.78:
	v_mov_b32_e32 v29, 0
	v_lshl_add_u64 v[28:29], v[22:23], 0, v[28:29]
	global_load_ushort v18, v[28:29], off offset:32
	s_waitcnt vmcnt(0)
	v_lshlrev_b32_e32 v18, 16, v18
	v_sub_f32_e32 v18, v18, v19
	v_mul_f32_e32 v18, v32, v18
	v_lshrrev_b32_e32 v29, 16, v18
.LBB506_79:
	s_or_b64 exec, exec, s[6:7]
	v_mov_b32_e32 v24, 0
	v_mov_b32_e32 v28, 0
	s_and_saveexec_b64 s[0:1], s[2:3]
	s_cbranch_execz .LBB506_81
; %bb.80:
	v_mov_b32_e32 v31, 0
	v_lshl_add_u64 v[18:19], v[22:23], 0, v[30:31]
	global_load_ushort v18, v[18:19], off offset:32
	s_waitcnt vmcnt(0)
	v_lshlrev_b32_e32 v18, 16, v18
	v_sub_f32_e32 v18, v18, v20
	v_mul_f32_e32 v18, v37, v18
	v_lshrrev_b32_e32 v28, 16, v18
.LBB506_81:
	s_or_b64 exec, exec, s[0:1]
	v_or_b32_e32 v19, 0xb000, v40
	v_or_b32_e32 v18, 0xb000, v41
	s_and_saveexec_b64 s[0:1], s[4:5]
	s_cbranch_execz .LBB506_83
; %bb.82:
	v_mov_b32_e32 v27, 0
	v_lshl_add_u64 v[22:23], v[22:23], 0, v[26:27]
	global_load_ushort v20, v[22:23], off offset:32
	s_waitcnt vmcnt(0)
	v_lshlrev_b32_e32 v20, 16, v20
	v_sub_f32_e32 v20, v20, v21
	v_mul_f32_e32 v20, v33, v20
	v_lshrrev_b32_e32 v24, 16, v20
.LBB506_83:
	s_or_b64 exec, exec, s[0:1]
	s_mov_b32 s0, 0x5040100
	v_or_b32_e32 v22, v36, v35
	v_perm_b32 v21, v24, v28, s0
	v_perm_b32 v20, v29, v25, s0
	v_lshlrev_b32_e32 v22, 1, v22
	s_movk_i32 s0, 0x100
	ds_write_b64 v22, v[20:21] offset:45056
	v_and_b32_e32 v20, 7, v0
	v_and_b32_e32 v21, 8, v0
	v_cmp_gt_u32_e32 vcc, s0, v0
	v_lshrrev_b32_e32 v0, 1, v0
	v_lshlrev_b32_e32 v37, 3, v1
	v_and_b32_e32 v38, 24, v0
	v_lshlrev_b32_e32 v34, 3, v20
	v_lshlrev_b32_e32 v35, 7, v20
	v_mov_b32_e32 v20, 0x4000
	v_mov_b32_e32 v22, 0x2000
	v_xor_b32_e32 v0, v37, v38
	v_cndmask_b32_e32 v36, v20, v22, vcc
	v_or_b32_e32 v1, 0x440, v0
	v_cmp_eq_u32_e32 vcc, 0, v21
	s_waitcnt lgkmcnt(0)
	s_barrier
	v_cndmask_b32_e32 v0, v1, v0, vcc
	v_or_b32_e32 v0, v0, v39
	v_xad_u32 v40, v0, v34, v35
	v_add_u32_e32 v0, v36, v40
	ds_read_b64 v[0:1], v0
	ds_read2_b64 v[20:23], v19 offset1:16
	v_or_b32_e32 v24, 32, v38
	v_xor_b32_e32 v24, v37, v24
	v_or_b32_e32 v25, 0x440, v24
	v_cndmask_b32_e32 v24, v25, v24, vcc
	s_waitcnt lgkmcnt(0)
	v_mfma_f32_16x16x16_bf16 a[0:3], v[0:1], v[20:21], 0
	v_or_b32_e32 v24, v24, v39
	v_xad_u32 v41, v24, v34, v35
	v_add_u32_e32 v24, v36, v41
	v_mfma_f32_16x16x16_bf16 a[4:7], v[0:1], v[22:23], 0
	v_or_b32_e32 v0, 64, v38
	v_xor_b32_e32 v0, v37, v0
	v_xor_b32_e32 v1, 0x440, v0
	ds_read_b64 v[32:33], v24
	v_cndmask_b32_e32 v0, v1, v0, vcc
	v_or_b32_e32 v0, v0, v39
	v_xad_u32 v42, v0, v34, v35
	v_add_u32_e32 v0, v36, v42
	ds_read_b64 v[0:1], v0
	ds_read2st64_b64 v[24:27], v19 offset0:2 offset1:4
	ds_read2st64_b64 v[28:31], v18 offset0:2 offset1:4
	s_waitcnt lgkmcnt(1)
	v_mfma_f32_16x16x16_bf16 a[0:3], v[32:33], v[24:25], a[0:3]
	s_waitcnt lgkmcnt(0)
	v_mfma_f32_16x16x16_bf16 a[4:7], v[32:33], v[28:29], a[4:7]
	v_or_b32_e32 v32, 0x60, v38
	v_xor_b32_e32 v32, v37, v32
	v_xor_b32_e32 v33, 0x440, v32
	v_cndmask_b32_e32 v32, v33, v32, vcc
	v_or_b32_e32 v32, v32, v39
	v_xad_u32 v37, v32, v34, v35
	v_add_u32_e32 v32, v36, v37
	ds_read_b64 v[32:33], v32
	v_mfma_f32_16x16x16_bf16 a[0:3], v[0:1], v[26:27], a[0:3]
	v_mov_b32_e32 v36, 0x3fb8aa3b
	v_mfma_f32_16x16x16_bf16 a[4:7], v[0:1], v[30:31], a[4:7]
	ds_read_b64 v[0:1], v19 offset:3072
	ds_read_b64 v[34:35], v18 offset:3072
	;; [unrolled: 1-line block ×3, first 2 shown]
	s_waitcnt lgkmcnt(2)
	v_mfma_f32_16x16x16_bf16 a[0:3], v[32:33], v[0:1], a[0:3]
	s_waitcnt lgkmcnt(1)
	v_mfma_f32_16x16x16_bf16 a[4:7], v[32:33], v[34:35], a[4:7]
	ds_read_b64 v[32:33], v41 offset:16384
	s_waitcnt lgkmcnt(1)
	v_mfma_f32_16x16x16_bf16 a[8:11], v[18:19], v[20:21], 0
	v_mul_f32_e32 v20, s12, v36
	v_exp_f32_e32 v36, v20
	v_accvgpr_read_b32 v21, a3
	v_mfma_f32_16x16x16_bf16 a[12:15], v[18:19], v[22:23], 0
	ds_read_b64 v[22:23], v42 offset:16384
	v_accvgpr_read_b32 v18, a0
	v_fma_f32 v18, v2, v36, v18
	v_accvgpr_read_b32 v2, a1
	v_fma_f32 v19, v3, v36, v2
	v_accvgpr_read_b32 v2, a2
	v_fma_f32 v20, v4, v36, v2
	ds_read_b64 v[2:3], v37 offset:16384
	s_waitcnt lgkmcnt(2)
	v_mfma_f32_16x16x16_bf16 a[8:11], v[32:33], v[24:25], a[8:11]
	v_accvgpr_read_b32 v4, a4
	v_fmac_f32_e32 v21, v5, v36
	v_mfma_f32_16x16x16_bf16 a[12:15], v[32:33], v[28:29], a[12:15]
	v_accvgpr_read_b32 v29, a7
	v_fmac_f32_e32 v29, v13, v36
	s_waitcnt lgkmcnt(1)
	v_mfma_f32_16x16x16_bf16 a[0:3], v[22:23], v[26:27], a[8:11]
	v_fma_f32 v26, v10, v36, v4
	v_accvgpr_read_b32 v4, a5
	v_fma_f32 v27, v11, v36, v4
	v_mfma_f32_16x16x16_bf16 a[8:11], v[22:23], v[30:31], a[12:15]
	v_accvgpr_read_b32 v4, a6
	v_fma_f32 v28, v12, v36, v4
	s_waitcnt lgkmcnt(0)
	v_mfma_f32_16x16x16_bf16 a[0:3], v[2:3], v[0:1], a[0:3]
	v_mfma_f32_16x16x16_bf16 a[4:7], v[2:3], v[34:35], a[8:11]
	s_nop 5
	v_accvgpr_read_b32 v0, a0
	v_fma_f32 v22, v6, v36, v0
	v_accvgpr_read_b32 v0, a1
	v_fma_f32 v23, v7, v36, v0
	;; [unrolled: 2-line block ×4, first 2 shown]
	v_accvgpr_read_b32 v0, a5
	v_accvgpr_read_b32 v25, a3
	v_fma_f32 v31, v15, v36, v0
	v_accvgpr_read_b32 v0, a6
	v_accvgpr_read_b32 v33, a7
	v_fmac_f32_e32 v25, v9, v36
	v_fma_f32 v32, v16, v36, v0
	v_fmac_f32_e32 v33, v17, v36
	v_mov_b64_e32 v[2:3], v[18:19]
	v_mov_b64_e32 v[4:5], v[20:21]
	v_mov_b64_e32 v[6:7], v[22:23]
	v_mov_b64_e32 v[8:9], v[24:25]
	v_mov_b64_e32 v[10:11], v[26:27]
	v_mov_b64_e32 v[12:13], v[28:29]
	v_mov_b64_e32 v[14:15], v[30:31]
	v_mov_b64_e32 v[16:17], v[32:33]
.LBB506_84:
	s_waitcnt lgkmcnt(0)
	s_add_u32 s0, s30, s28
	s_addc_u32 s1, s31, s29
	v_lshl_add_u64 v[0:1], v[52:53], 2, s[0:1]
	v_mov_b32_e32 v51, 0
	v_lshl_add_u64 v[0:1], v[0:1], 0, v[50:51]
	s_waitcnt vmcnt(3)
	global_store_dwordx4 v[0:1], v[2:5], off
	s_waitcnt vmcnt(3)
	global_store_dwordx4 v[0:1], v[6:9], off offset:256
	v_lshl_add_u64 v[0:1], v[54:55], 2, s[0:1]
	v_lshl_add_u64 v[0:1], v[0:1], 0, v[50:51]
	s_waitcnt vmcnt(3)
	global_store_dwordx4 v[0:1], v[10:13], off
	s_waitcnt vmcnt(3)
	global_store_dwordx4 v[0:1], v[14:17], off offset:256
	s_endpgm
	.section	.rodata,"a",@progbits
	.p2align	6, 0x0
	.amdhsa_kernel _ZN12_GLOBAL__N_139chunk_gated_delta_rule_fwd_h_hip_kernelILi32ELb1ELb1ELb0ELb0ELb0ELb0ELb0ELb0EEEvPK12hip_bfloat16S3_S3_PKfS5_PKvPS1_S8_PvPKiSB_iiiiilll
		.amdhsa_group_segment_fixed_size 49152
		.amdhsa_private_segment_fixed_size 0
		.amdhsa_kernarg_size 136
		.amdhsa_user_sgpr_count 2
		.amdhsa_user_sgpr_dispatch_ptr 0
		.amdhsa_user_sgpr_queue_ptr 0
		.amdhsa_user_sgpr_kernarg_segment_ptr 1
		.amdhsa_user_sgpr_dispatch_id 0
		.amdhsa_user_sgpr_kernarg_preload_length 0
		.amdhsa_user_sgpr_kernarg_preload_offset 0
		.amdhsa_user_sgpr_private_segment_size 0
		.amdhsa_uses_dynamic_stack 0
		.amdhsa_enable_private_segment 0
		.amdhsa_system_sgpr_workgroup_id_x 1
		.amdhsa_system_sgpr_workgroup_id_y 1
		.amdhsa_system_sgpr_workgroup_id_z 0
		.amdhsa_system_sgpr_workgroup_info 0
		.amdhsa_system_vgpr_workitem_id 0
		.amdhsa_next_free_vgpr 152
		.amdhsa_next_free_sgpr 69
		.amdhsa_accum_offset 136
		.amdhsa_reserve_vcc 1
		.amdhsa_float_round_mode_32 0
		.amdhsa_float_round_mode_16_64 0
		.amdhsa_float_denorm_mode_32 3
		.amdhsa_float_denorm_mode_16_64 3
		.amdhsa_dx10_clamp 1
		.amdhsa_ieee_mode 1
		.amdhsa_fp16_overflow 0
		.amdhsa_tg_split 0
		.amdhsa_exception_fp_ieee_invalid_op 0
		.amdhsa_exception_fp_denorm_src 0
		.amdhsa_exception_fp_ieee_div_zero 0
		.amdhsa_exception_fp_ieee_overflow 0
		.amdhsa_exception_fp_ieee_underflow 0
		.amdhsa_exception_fp_ieee_inexact 0
		.amdhsa_exception_int_div_zero 0
	.end_amdhsa_kernel
	.section	.text._ZN12_GLOBAL__N_139chunk_gated_delta_rule_fwd_h_hip_kernelILi32ELb1ELb1ELb0ELb0ELb0ELb0ELb0ELb0EEEvPK12hip_bfloat16S3_S3_PKfS5_PKvPS1_S8_PvPKiSB_iiiiilll,"axG",@progbits,_ZN12_GLOBAL__N_139chunk_gated_delta_rule_fwd_h_hip_kernelILi32ELb1ELb1ELb0ELb0ELb0ELb0ELb0ELb0EEEvPK12hip_bfloat16S3_S3_PKfS5_PKvPS1_S8_PvPKiSB_iiiiilll,comdat
.Lfunc_end506:
	.size	_ZN12_GLOBAL__N_139chunk_gated_delta_rule_fwd_h_hip_kernelILi32ELb1ELb1ELb0ELb0ELb0ELb0ELb0ELb0EEEvPK12hip_bfloat16S3_S3_PKfS5_PKvPS1_S8_PvPKiSB_iiiiilll, .Lfunc_end506-_ZN12_GLOBAL__N_139chunk_gated_delta_rule_fwd_h_hip_kernelILi32ELb1ELb1ELb0ELb0ELb0ELb0ELb0ELb0EEEvPK12hip_bfloat16S3_S3_PKfS5_PKvPS1_S8_PvPKiSB_iiiiilll
                                        ; -- End function
	.section	.AMDGPU.csdata,"",@progbits
; Kernel info:
; codeLenInByte = 9320
; NumSgprs: 75
; NumVgprs: 136
; NumAgprs: 16
; TotalNumVgprs: 152
; ScratchSize: 0
; MemoryBound: 0
; FloatMode: 240
; IeeeMode: 1
; LDSByteSize: 49152 bytes/workgroup (compile time only)
; SGPRBlocks: 9
; VGPRBlocks: 18
; NumSGPRsForWavesPerEU: 75
; NumVGPRsForWavesPerEU: 152
; AccumOffset: 136
; Occupancy: 1
; WaveLimiterHint : 1
; COMPUTE_PGM_RSRC2:SCRATCH_EN: 0
; COMPUTE_PGM_RSRC2:USER_SGPR: 2
; COMPUTE_PGM_RSRC2:TRAP_HANDLER: 0
; COMPUTE_PGM_RSRC2:TGID_X_EN: 1
; COMPUTE_PGM_RSRC2:TGID_Y_EN: 1
; COMPUTE_PGM_RSRC2:TGID_Z_EN: 0
; COMPUTE_PGM_RSRC2:TIDIG_COMP_CNT: 0
; COMPUTE_PGM_RSRC3_GFX90A:ACCUM_OFFSET: 33
; COMPUTE_PGM_RSRC3_GFX90A:TG_SPLIT: 0
	.section	.text._ZN12_GLOBAL__N_139chunk_gated_delta_rule_fwd_h_hip_kernelILi32ELb1ELb0ELb1ELb0ELb0ELb0ELb0ELb0EEEvPK12hip_bfloat16S3_S3_PKfS5_PKvPS1_S8_PvPKiSB_iiiiilll,"axG",@progbits,_ZN12_GLOBAL__N_139chunk_gated_delta_rule_fwd_h_hip_kernelILi32ELb1ELb0ELb1ELb0ELb0ELb0ELb0ELb0EEEvPK12hip_bfloat16S3_S3_PKfS5_PKvPS1_S8_PvPKiSB_iiiiilll,comdat
	.globl	_ZN12_GLOBAL__N_139chunk_gated_delta_rule_fwd_h_hip_kernelILi32ELb1ELb0ELb1ELb0ELb0ELb0ELb0ELb0EEEvPK12hip_bfloat16S3_S3_PKfS5_PKvPS1_S8_PvPKiSB_iiiiilll ; -- Begin function _ZN12_GLOBAL__N_139chunk_gated_delta_rule_fwd_h_hip_kernelILi32ELb1ELb0ELb1ELb0ELb0ELb0ELb0ELb0EEEvPK12hip_bfloat16S3_S3_PKfS5_PKvPS1_S8_PvPKiSB_iiiiilll
	.p2align	8
	.type	_ZN12_GLOBAL__N_139chunk_gated_delta_rule_fwd_h_hip_kernelILi32ELb1ELb0ELb1ELb0ELb0ELb0ELb0ELb0EEEvPK12hip_bfloat16S3_S3_PKfS5_PKvPS1_S8_PvPKiSB_iiiiilll,@function
_ZN12_GLOBAL__N_139chunk_gated_delta_rule_fwd_h_hip_kernelILi32ELb1ELb0ELb1ELb0ELb0ELb0ELb0ELb0EEEvPK12hip_bfloat16S3_S3_PKfS5_PKvPS1_S8_PvPKiSB_iiiiilll: ; @_ZN12_GLOBAL__N_139chunk_gated_delta_rule_fwd_h_hip_kernelILi32ELb1ELb0ELb1ELb0ELb0ELb0ELb0ELb0EEEvPK12hip_bfloat16S3_S3_PKfS5_PKvPS1_S8_PvPKiSB_iiiiilll
; %bb.0:
	s_load_dwordx4 s[12:15], s[0:1], 0x5c
	s_load_dwordx4 s[20:23], s[0:1], 0x70
	s_abs_i32 s6, s3
	s_ashr_i32 s5, s3, 31
	s_load_dwordx4 s[16:19], s[0:1], 0x28
	s_load_dwordx2 s[28:29], s[0:1], 0x38
	s_waitcnt lgkmcnt(0)
	s_abs_i32 s4, s13
	v_cvt_f32_u32_e32 v1, s4
	s_sub_i32 s8, 0, s4
	s_ashr_i32 s7, s13, 31
	s_xor_b32 s5, s5, s7
	v_rcp_iflag_f32_e32 v1, v1
	v_and_b32_e32 v63, 15, v0
	v_lshrrev_b32_e32 v61, 6, v0
	v_bfe_u32 v62, v0, 4, 2
	v_mul_f32_e32 v1, 0x4f7ffffe, v1
	v_cvt_u32_f32_e32 v1, v1
	v_mov_b32_e32 v7, 0
	v_and_b32_e32 v60, 63, v0
	v_lshrrev_b32_e32 v65, 3, v60
	v_readfirstlane_b32 s9, v1
	s_mul_i32 s8, s8, s9
	s_mul_hi_u32 s8, s9, s8
	s_add_i32 s9, s9, s8
	s_mul_hi_u32 s8, s6, s9
	s_mul_i32 s9, s8, s4
	s_sub_i32 s6, s6, s9
	s_add_i32 s10, s8, 1
	s_sub_i32 s9, s6, s4
	s_cmp_ge_u32 s6, s4
	s_cselect_b32 s8, s10, s8
	s_cselect_b32 s6, s9, s6
	s_add_i32 s9, s8, 1
	s_cmp_ge_u32 s6, s4
	s_cselect_b32 s6, s9, s8
	s_xor_b32 s6, s6, s5
	s_add_i32 s8, s12, 63
	s_sub_i32 s50, s6, s5
	s_ashr_i32 s9, s8, 31
	s_mul_i32 s5, s50, s13
	s_sub_i32 s48, s3, s5
	s_lshr_b32 s3, s9, 26
	s_add_i32 s8, s8, s3
	s_abs_i32 s3, s14
	v_cvt_f32_u32_e32 v1, s3
	s_ashr_i32 s49, s12, 31
	s_lshr_b32 s6, s49, 26
	s_add_i32 s6, s12, s6
	v_rcp_iflag_f32_e32 v1, v1
	s_ashr_i32 s53, s14, 31
	s_ashr_i32 s24, s8, 6
	s_ashr_i32 s51, s6, 6
	v_mul_f32_e32 v1, 0x4f7ffffe, v1
	v_cvt_u32_f32_e32 v1, v1
	s_xor_b32 s6, s7, s53
	s_sub_i32 s7, 0, s3
	s_lshl_b32 s2, s2, 5
	v_readfirstlane_b32 s8, v1
	s_mul_i32 s7, s7, s8
	s_mul_hi_u32 s7, s8, s7
	s_add_i32 s8, s8, s7
	s_mul_hi_u32 s7, s4, s8
	s_mul_i32 s8, s7, s3
	s_sub_i32 s4, s4, s8
	s_add_i32 s8, s7, 1
	s_sub_i32 s9, s4, s3
	s_cmp_ge_u32 s4, s3
	s_cselect_b32 s7, s8, s7
	s_cselect_b32 s4, s9, s4
	s_add_i32 s8, s7, 1
	s_cmp_ge_u32 s4, s3
	s_cselect_b32 s3, s8, s7
	s_xor_b32 s3, s3, s6
	s_sub_i32 s3, s3, s6
	s_abs_i32 s4, s3
	v_cvt_f32_u32_e32 v1, s4
	s_sub_i32 s7, 0, s4
	s_abs_i32 s6, s48
	s_xor_b32 s3, s48, s3
	v_rcp_iflag_f32_e32 v1, v1
	s_ashr_i32 s3, s3, 31
	v_or_b32_e32 v50, s2, v63
	v_lshlrev_b32_e32 v2, 7, v50
	v_mul_f32_e32 v1, 0x4f7ffffe, v1
	v_cvt_u32_f32_e32 v1, v1
	v_ashrrev_i32_e32 v3, 31, v2
	s_mul_i32 s55, s50, s24
	v_lshlrev_b32_e32 v64, 3, v0
	v_readfirstlane_b32 s8, v1
	s_mul_i32 s7, s7, s8
	s_mul_hi_u32 s7, s8, s7
	s_add_i32 s8, s8, s7
	s_mul_hi_u32 s7, s6, s8
	s_mul_i32 s8, s7, s4
	s_sub_i32 s6, s6, s8
	s_add_i32 s8, s7, 1
	s_sub_i32 s9, s6, s4
	s_cmp_ge_u32 s6, s4
	s_cselect_b32 s7, s8, s7
	s_cselect_b32 s6, s9, s6
	s_add_i32 s8, s7, 1
	s_cmp_ge_u32 s6, s4
	s_cselect_b32 s4, s8, s7
	s_xor_b32 s4, s4, s3
	s_sub_i32 s54, s4, s3
	s_ashr_i32 s3, s50, 31
	s_ashr_i32 s52, s48, 31
	s_mul_hi_i32 s4, s50, s13
	s_add_u32 s38, s5, s48
	s_addc_u32 s39, s4, s52
	s_lshl_b64 s[4:5], s[38:39], 16
	s_add_u32 s4, s16, s4
	s_addc_u32 s5, s17, s5
	v_lshlrev_b32_e32 v1, 4, v61
	v_lshl_add_u64 v[4:5], v[2:3], 2, s[4:5]
	v_or_b32_e32 v2, 0x800, v2
	v_lshl_or_b32 v66, v62, 2, v1
	v_ashrrev_i32_e32 v3, 31, v2
	v_lshlrev_b32_e32 v6, 2, v66
	v_lshl_add_u64 v[2:3], v[2:3], 2, s[4:5]
	v_lshl_add_u64 v[4:5], v[4:5], 0, v[6:7]
	;; [unrolled: 1-line block ×3, first 2 shown]
	global_load_dwordx4 v[14:17], v[4:5], off
	global_load_dwordx4 v[10:13], v[4:5], off offset:256
	global_load_dwordx4 v[6:9], v[18:19], off
	s_nop 0
	global_load_dwordx4 v[2:5], v[18:19], off offset:256
	s_load_dwordx8 s[4:11], s[0:1], 0x0
	s_load_dwordx2 s[30:31], s[0:1], 0x80
	v_or_b32_e32 v67, 64, v66
	s_cmp_lt_i32 s12, 64
	s_mul_i32 s56, s39, s12
	s_mul_hi_u32 s57, s38, s12
	s_mul_i32 s16, s38, s12
	s_mul_i32 s33, s50, s21
	s_mul_hi_u32 s44, s50, s20
	s_mul_i32 s45, s3, s20
	s_mul_i32 s34, s50, s20
	;; [unrolled: 1-line block ×3, first 2 shown]
	s_mul_hi_u32 s46, s48, s22
	s_mul_i32 s47, s52, s22
	s_mul_i32 s36, s48, s22
	s_cbranch_scc1 .LBB507_3
; %bb.1:
	s_add_i32 s17, s57, s56
	s_lshl_b64 s[0:1], s[16:17], 8
	v_and_b32_e32 v69, 56, v64
	s_waitcnt lgkmcnt(0)
	s_add_u32 s20, s6, s0
	v_lshl_or_b32 v68, v61, 3, v65
	v_lshlrev_b32_e32 v18, 1, v69
	s_addc_u32 s0, s7, s1
	v_lshl_or_b32 v70, v68, 8, v18
	s_and_b32 s21, s0, 0xffff
	s_mov_b32 s23, 0x20000
	s_movk_i32 s22, 0x4000
	s_movk_i32 s0, 0x80
	v_or_b32_e32 v71, 0x2000, v70
	buffer_load_dwordx4 v[20:23], v70, s[20:23], 0 offen
	buffer_load_dwordx4 v[24:27], v70, s[20:23], s0 offen
	;; [unrolled: 1-line block ×4, first 2 shown]
	v_lshlrev_b32_e32 v19, 3, v68
	v_and_or_b32 v37, v0, 7, v19
	v_and_b32_e32 v19, 0x78, v19
	v_lshlrev_b32_e32 v37, 4, v37
	v_xor_b32_e32 v72, v37, v19
	v_mul_lo_u32 v36, v68, s15
	v_or_b32_e32 v73, 0x1000, v72
	v_xor_b32_e32 v19, 8, v72
	s_cmpk_eq_i32 s15, 0x80
	s_mov_b32 s58, s14
	v_xor_b32_e32 v37, 8, v73
	s_cselect_b64 s[0:1], -1, 0
	s_cmpk_lg_i32 s15, 0x80
	s_waitcnt vmcnt(3)
	ds_write_b64 v72, v[20:21] offset:24576
	ds_write_b64 v19, v[22:23] offset:24576
	s_waitcnt vmcnt(2)
	ds_write_b64 v72, v[24:25] offset:32768
	ds_write_b64 v19, v[26:27] offset:32768
	;; [unrolled: 3-line block ×4, first 2 shown]
	v_lshl_add_u32 v19, v36, 1, v69
	s_cbranch_scc0 .LBB507_29
; %bb.2:
	v_lshlrev_b32_e32 v21, 1, v19
	v_add_lshl_u32 v20, v19, s15, 1
	s_lshl_b32 s22, s15, 7
	v_lshl_or_b32 v18, v68, 9, v18
	s_cbranch_execz .LBB507_30
	s_branch .LBB507_31
.LBB507_3:
	s_waitcnt vmcnt(0)
	v_mov_b32_e32 v19, v5
	v_mov_b32_e32 v18, v9
	;; [unrolled: 1-line block ×4, first 2 shown]
.LBB507_4:
	s_lshl_b32 s26, s51, 6
	s_sub_i32 s27, s12, s26
	s_cmp_gt_i32 s27, 0
	s_cbranch_scc0 .LBB507_84
; %bb.5:
	s_ashr_i32 s3, s26, 31
	s_cmpk_lg_i32 s15, 0x80
	s_cselect_b64 s[22:23], -1, 0
	s_and_b64 vcc, exec, s[22:23]
	s_cbranch_vccz .LBB507_7
; %bb.6:
	s_mul_i32 s1, s50, s12
	s_mul_hi_i32 s0, s50, s12
	s_add_u32 s1, s1, s26
	s_addc_u32 s0, s0, s3
	s_mul_i32 s17, s1, s53
	s_mul_hi_u32 s20, s1, s14
	s_add_i32 s17, s20, s17
	s_mul_i32 s0, s0, s14
	s_add_i32 s17, s17, s0
	s_mul_i32 s1, s1, s14
	s_ashr_i32 s0, s54, 31
	s_add_u32 s24, s1, s54
	s_addc_u32 s25, s17, s0
	s_cbranch_execz .LBB507_8
	s_branch .LBB507_9
.LBB507_7:
                                        ; implicit-def: $sgpr24_sgpr25
.LBB507_8:
	s_mul_hi_i32 s0, s50, s14
	s_mul_i32 s50, s50, s14
	s_ashr_i32 s1, s54, 31
	s_add_u32 s14, s50, s54
	s_addc_u32 s0, s0, s1
	s_mul_i32 s1, s14, s49
	s_mul_hi_u32 s17, s14, s12
	s_add_i32 s1, s17, s1
	s_mul_i32 s0, s0, s12
	s_add_i32 s1, s1, s0
	s_mul_i32 s14, s14, s12
	s_add_u32 s24, s14, s26
	s_addc_u32 s25, s1, s3
.LBB507_9:
	s_mul_i32 s0, s38, s49
	s_add_i32 s0, s57, s0
	s_add_i32 s14, s55, s51
	;; [unrolled: 1-line block ×3, first 2 shown]
	s_add_u32 s0, s16, s26
	s_addc_u32 s1, s1, s3
	v_lshlrev_b32_e32 v21, 5, v66
	v_lshlrev_b32_e32 v22, 2, v63
	s_mov_b32 s3, 0x7060302
	v_xor_b32_e32 v5, v66, v22
	v_xor_b32_e32 v23, v67, v22
	v_perm_b32 v13, v9, v12, s3
	v_or_b32_e32 v9, v21, v22
	s_lshl_b64 s[20:21], s[0:1], 8
	v_perm_b32 v17, v20, v16, s3
	v_perm_b32 v16, v15, v14, s3
	;; [unrolled: 1-line block ×3, first 2 shown]
	v_lshlrev_b32_e32 v9, 1, v9
	v_lshlrev_b32_e32 v10, 1, v5
	;; [unrolled: 1-line block ×4, first 2 shown]
	s_waitcnt lgkmcnt(0)
	s_add_u32 s0, s6, s20
	ds_write2st64_b64 v9, v[16:17], v[12:13] offset0:80 offset1:88
	v_or_b32_e32 v9, v10, v5
	v_or_b32_e32 v5, v11, v5
	s_addc_u32 s1, s7, s21
	ds_write_b64 v9, v[16:17]
	ds_write_b64 v5, v[12:13]
	v_perm_b32 v9, v18, v8, s3
	v_perm_b32 v8, v7, v6, s3
	;; [unrolled: 1-line block ×4, first 2 shown]
	s_mul_hi_i32 s3, s14, s13
	s_mul_i32 s14, s14, s13
	s_add_u32 s6, s14, s48
	v_or_b32_e32 v2, 16, v63
	s_addc_u32 s7, s3, s52
	v_lshlrev_b32_e32 v19, 2, v2
	s_ashr_i32 s3, s2, 31
	s_lshl_b64 s[6:7], s[6:7], 15
	v_or_b32_e32 v3, v21, v19
	s_add_u32 s6, s18, s6
	v_lshlrev_b32_e32 v3, 1, v3
	v_lshlrev_b32_e32 v2, 8, v2
	s_addc_u32 s7, s19, s7
	s_lshl_b64 s[2:3], s[2:3], 8
	ds_write2st64_b64 v3, v[8:9], v[4:5] offset0:80 offset1:88
	v_or_b32_e32 v3, v10, v2
	v_or_b32_e32 v2, v11, v2
	s_add_u32 s2, s6, s2
	ds_write_b64 v3, v[8:9]
	ds_write_b64 v2, v[4:5]
	v_lshrrev_b32_e32 v2, 4, v0
	s_addc_u32 s3, s7, s3
	v_lshlrev_b32_e32 v3, 1, v63
	v_lshlrev_b32_e32 v10, 4, v63
	v_mov_b32_e32 v11, 0
	v_or_b32_e32 v4, 1, v3
	v_xor_b32_e32 v3, v2, v3
	v_lshl_add_u64 v[12:13], s[2:3], 0, v[10:11]
	v_lshlrev_b32_e32 v10, 8, v2
	v_xor_b32_e32 v6, v4, v2
	v_lshl_or_b32 v2, v3, 3, v10
	s_waitcnt lgkmcnt(0)
	s_barrier
	ds_read2st64_b64 v[2:5], v2 offset1:8
	v_lshl_or_b32 v6, v6, 3, v10
	ds_read2st64_b64 v[6:9], v6 offset1:8
	v_lshl_add_u64 v[14:15], v[12:13], 0, v[10:11]
	s_movk_i32 s2, 0x1000
	s_waitcnt lgkmcnt(1)
	v_mov_b32_e32 v10, v2
	v_add_co_u32_e32 v2, vcc, s2, v14
	s_cmp_lg_u32 s27, 64
	v_mov_b32_e32 v11, v3
	v_addc_co_u32_e32 v3, vcc, 0, v15, vcc
	s_cselect_b64 s[6:7], -1, 0
	v_lshl_or_b32 v23, v61, 3, v65
	s_waitcnt lgkmcnt(0)
	v_mov_b32_e32 v12, v6
	v_mov_b32_e32 v13, v7
	;; [unrolled: 1-line block ×4, first 2 shown]
	s_mov_b32 s16, 0
	v_or_b32_e32 v20, 32, v23
	v_and_b32_e32 v18, 56, v64
	s_and_b64 vcc, exec, s[6:7]
	global_store_dwordx4 v[14:15], v[10:13], off
	global_store_dwordx4 v[2:3], v[6:9], off
	s_cbranch_vccz .LBB507_15
; %bb.10:
	s_mov_b32 s17, s16
	s_mov_b32 s18, s16
	;; [unrolled: 1-line block ×3, first 2 shown]
	v_mov_b64_e32 v[6:7], s[16:17]
	v_mov_b64_e32 v[8:9], s[18:19]
	;; [unrolled: 1-line block ×3, first 2 shown]
	v_cmp_gt_i32_e32 vcc, s27, v23
	v_mov_b64_e32 v[4:5], v[8:9]
	s_and_saveexec_b64 s[2:3], vcc
	s_cbranch_execz .LBB507_12
; %bb.11:
	v_lshlrev_b32_e32 v2, 8, v23
	v_mov_b32_e32 v3, 0
	v_lshl_add_u64 v[4:5], s[0:1], 0, v[2:3]
	v_lshlrev_b32_e32 v2, 1, v18
	v_lshl_add_u64 v[10:11], v[4:5], 0, v[2:3]
	global_load_dwordx4 v[6:9], v[10:11], off
	global_load_dwordx4 v[2:5], v[10:11], off offset:128
.LBB507_12:
	s_or_b64 exec, exec, s[2:3]
	s_mov_b32 s17, s16
	s_mov_b32 s18, s16
	;; [unrolled: 1-line block ×3, first 2 shown]
	v_mov_b64_e32 v[14:15], s[16:17]
	v_mov_b64_e32 v[16:17], s[18:19]
	;; [unrolled: 1-line block ×3, first 2 shown]
	v_cmp_gt_i32_e32 vcc, s27, v20
	v_lshlrev_b32_e32 v21, 7, v20
	v_mov_b64_e32 v[12:13], v[16:17]
	s_and_saveexec_b64 s[2:3], vcc
	s_cbranch_execz .LBB507_14
; %bb.13:
	v_lshlrev_b32_e32 v10, 1, v21
	v_mov_b32_e32 v11, 0
	v_lshl_add_u64 v[12:13], s[0:1], 0, v[10:11]
	v_lshlrev_b32_e32 v10, 1, v18
	v_lshl_add_u64 v[24:25], v[12:13], 0, v[10:11]
	global_load_dwordx4 v[14:17], v[24:25], off
	global_load_dwordx4 v[10:13], v[24:25], off offset:128
.LBB507_14:
	s_or_b64 exec, exec, s[2:3]
	v_lshrrev_b32_e32 v24, 3, v18
	v_lshlrev_b32_e32 v25, 3, v23
	v_or_b32_e32 v24, v25, v24
	v_lshlrev_b32_e32 v24, 4, v24
	v_and_b32_e32 v25, 0x78, v25
	v_xor_b32_e32 v24, v24, v25
	s_branch .LBB507_17
.LBB507_15:
                                        ; implicit-def: $vgpr24
                                        ; implicit-def: $vgpr21
                                        ; implicit-def: $vgpr6_vgpr7_vgpr8_vgpr9
                                        ; implicit-def: $vgpr2_vgpr3_vgpr4_vgpr5
                                        ; implicit-def: $vgpr14_vgpr15_vgpr16_vgpr17
                                        ; implicit-def: $vgpr10_vgpr11_vgpr12_vgpr13
	s_cbranch_execz .LBB507_17
; %bb.16:
	s_waitcnt vmcnt(0)
	v_lshlrev_b32_e32 v2, 1, v18
	v_lshl_or_b32 v21, v23, 8, v2
	s_and_b32 s1, s1, 0xffff
	s_mov_b32 s3, 0x20000
	s_movk_i32 s2, 0x4000
	v_lshl_or_b32 v24, v20, 8, v2
	s_movk_i32 s13, 0x80
	buffer_load_dwordx4 v[6:9], v21, s[0:3], 0 offen
	buffer_load_dwordx4 v[2:5], v21, s[0:3], s13 offen
	;; [unrolled: 1-line block ×4, first 2 shown]
	v_lshrrev_b32_e32 v21, 3, v18
	v_lshlrev_b32_e32 v24, 3, v23
	v_or_b32_e32 v21, v24, v21
	v_lshlrev_b32_e32 v21, 4, v21
	v_and_b32_e32 v24, 0x78, v24
	v_xor_b32_e32 v24, v21, v24
	v_lshlrev_b32_e32 v21, 7, v20
.LBB507_17:
	s_lshl_b64 s[0:1], s[24:25], 8
	s_add_u32 s4, s4, s0
	s_movk_i32 s0, 0x1000
	v_and_or_b32 v20, v21, s0, v24
	s_waitcnt vmcnt(1)
	ds_write_b64 v24, v[6:7] offset:24576
	v_xor_b32_e32 v6, 8, v24
	ds_write_b64 v6, v[8:9] offset:24576
	s_waitcnt vmcnt(0)
	ds_write_b64 v24, v[2:3] offset:32768
	ds_write_b64 v6, v[4:5] offset:32768
	;; [unrolled: 1-line block ×3, first 2 shown]
	v_xor_b32_e32 v2, 8, v20
	ds_write_b64 v2, v[16:17] offset:24576
	ds_write_b64 v20, v[10:11] offset:32768
	;; [unrolled: 1-line block ×3, first 2 shown]
	v_or_b32_e32 v2, v1, v63
	v_lshlrev_b32_e32 v3, 11, v61
	v_lshlrev_b32_e32 v2, 3, v2
	v_and_b32_e32 v6, 0x1000, v3
	v_lshrrev_b32_e32 v3, 5, v60
	s_movk_i32 s3, 0xf8
	v_and_or_b32 v3, v2, s3, v3
	v_lshlrev_b32_e32 v7, 4, v3
	v_and_b32_e32 v8, 0x78, v2
	v_or_b32_e32 v10, 32, v7
	v_lshrrev_b32_e32 v3, 1, v60
	v_xor_b32_e32 v10, v10, v8
	v_xor_b32_e32 v2, v7, v8
	v_and_b32_e32 v9, 8, v3
	v_or_b32_e32 v10, v10, v6
	v_or_b32_e32 v2, v2, v6
	v_xor_b32_e32 v26, v10, v9
	v_or_b32_e32 v10, 64, v7
	v_xor_b32_e32 v25, v2, v9
	v_xor_b32_e32 v10, v10, v8
	s_waitcnt lgkmcnt(0)
	s_barrier
	v_or_b32_e32 v12, v10, v6
	ds_read_b64 v[10:11], v25 offset:24576
	v_lshl_or_b32 v20, v62, 7, v22
	v_lshlrev_b32_e32 v24, 1, v20
	v_add_u32_e32 v2, 0xa000, v24
	ds_read2_b64 v[2:5], v2 offset1:16
	v_or_b32_e32 v7, 0x60, v7
	v_xor_b32_e32 v7, v7, v8
	s_waitcnt lgkmcnt(0)
	v_mfma_f32_16x16x16_bf16 a[0:3], v[10:11], v[2:3], 0
	v_or_b32_e32 v2, 64, v20
	v_or_b32_e32 v6, v7, v6
	v_lshlrev_b32_e32 v29, 1, v2
	v_xor_b32_e32 v27, v12, v9
	v_xor_b32_e32 v28, v6, v9
	ds_read_b64 v[12:13], v26 offset:24576
	ds_read_b64 v[14:15], v27 offset:24576
	ds_read_b64 v[16:17], v28 offset:24576
	v_mfma_f32_16x16x16_bf16 a[4:7], v[10:11], v[4:5], 0
	ds_read2st64_b64 v[2:5], v29 offset0:82 offset1:84
	ds_read2st64_b64 v[6:9], v24 offset0:82 offset1:84
	s_addc_u32 s5, s5, s1
	s_add_i32 s1, s44, s33
	s_add_i32 s0, s12, -1
	s_add_i32 s35, s1, s45
	s_add_i32 s1, s46, s39
	;; [unrolled: 1-line block ×3, first 2 shown]
	s_ashr_i32 s1, s0, 31
	s_mul_i32 s2, s0, s31
	s_mul_hi_u32 s3, s0, s30
	s_add_i32 s2, s3, s2
	s_mul_i32 s1, s1, s30
	s_waitcnt lgkmcnt(1)
	v_mfma_f32_16x16x16_bf16 a[4:7], v[12:13], v[2:3], a[4:7]
	s_add_i32 s1, s2, s1
	s_lshl_b64 s[2:3], s[34:35], 2
	s_add_u32 s10, s10, s2
	s_waitcnt lgkmcnt(0)
	v_mfma_f32_16x16x16_bf16 a[0:3], v[12:13], v[6:7], a[0:3]
	s_addc_u32 s11, s11, s3
	s_lshl_b64 s[2:3], s[36:37], 2
	s_mul_i32 s0, s0, s30
	s_add_u32 s10, s10, s2
	ds_read_b64 v[2:3], v24 offset:44032
	v_mfma_f32_16x16x16_bf16 a[4:7], v[14:15], v[4:5], a[4:7]
	ds_read_b64 v[4:5], v29 offset:44032
	s_addc_u32 s11, s11, s3
	s_lshl_b64 s[0:1], s[0:1], 2
	v_mfma_f32_16x16x16_bf16 a[0:3], v[14:15], v[8:9], a[0:3]
	s_add_u32 s0, s10, s0
	s_addc_u32 s1, s11, s1
	s_load_dword s12, s[0:1], 0x0
	s_waitcnt lgkmcnt(0)
	v_mfma_f32_16x16x16_bf16 a[0:3], v[16:17], v[2:3], a[0:3]
	s_and_b64 vcc, exec, s[22:23]
	v_mfma_f32_16x16x16_bf16 a[4:7], v[16:17], v[4:5], a[4:7]
	s_cbranch_vccz .LBB507_28
; %bb.18:
	v_lshlrev_b32_e32 v20, 1, v23
	s_and_b64 vcc, exec, s[6:7]
	s_cbranch_vccz .LBB507_44
; %bb.19:
	v_cmp_gt_i32_e32 vcc, s27, v20
	v_mov_b32_e32 v6, 0
	v_mov_b32_e32 v2, 0
	;; [unrolled: 1-line block ×5, first 2 shown]
	s_and_saveexec_b64 s[0:1], vcc
	s_cbranch_execz .LBB507_21
; %bb.20:
	v_mad_i64_i32 v[2:3], s[2:3], s15, v20, 0
	v_lshl_add_u64 v[2:3], v[2:3], 1, s[4:5]
	v_lshlrev_b32_e32 v4, 1, v18
	v_mov_b32_e32 v5, 0
	v_lshl_add_u64 v[2:3], v[2:3], 0, v[4:5]
	global_load_dwordx4 v[2:5], v[2:3], off
.LBB507_21:
	s_or_b64 exec, exec, s[0:1]
	v_or_b32_e32 v21, 1, v20
	v_cmp_gt_i32_e64 s[0:1], s27, v21
	v_mov_b32_e32 v7, 0
	v_mov_b32_e32 v8, 0
	;; [unrolled: 1-line block ×3, first 2 shown]
	s_and_saveexec_b64 s[2:3], s[0:1]
	s_cbranch_execz .LBB507_23
; %bb.22:
	v_mad_i64_i32 v[6:7], s[16:17], s15, v21, 0
	v_lshl_add_u64 v[6:7], v[6:7], 1, s[4:5]
	v_lshlrev_b32_e32 v8, 1, v18
	v_mov_b32_e32 v9, 0
	v_lshl_add_u64 v[6:7], v[6:7], 0, v[8:9]
	global_load_dwordx4 v[6:9], v[6:7], off
.LBB507_23:
	s_or_b64 exec, exec, s[2:3]
	v_mov_b32_e32 v17, 0
	v_mov_b32_e32 v10, 0
	;; [unrolled: 1-line block ×5, first 2 shown]
	s_and_saveexec_b64 s[2:3], vcc
	s_cbranch_execz .LBB507_25
; %bb.24:
	v_mad_i64_i32 v[10:11], s[16:17], s15, v20, 0
	v_lshl_add_u64 v[10:11], v[10:11], 1, s[4:5]
	v_lshlrev_b32_e32 v12, 1, v18
	v_mov_b32_e32 v13, 0
	v_lshl_add_u64 v[10:11], v[10:11], 0, v[12:13]
	global_load_dwordx4 v[10:13], v[10:11], off offset:128
.LBB507_25:
	s_or_b64 exec, exec, s[2:3]
	v_mov_b32_e32 v16, 0
	v_mov_b32_e32 v15, 0
	v_mov_b32_e32 v14, 0
	s_and_saveexec_b64 s[2:3], s[0:1]
	s_cbranch_execz .LBB507_27
; %bb.26:
	v_mad_i64_i32 v[14:15], s[0:1], s15, v21, 0
	v_lshl_add_u64 v[14:15], v[14:15], 1, s[4:5]
	v_lshlrev_b32_e32 v16, 1, v18
	v_mov_b32_e32 v17, 0
	v_lshl_add_u64 v[14:15], v[14:15], 0, v[16:17]
	global_load_dwordx4 v[14:17], v[14:15], off offset:128
.LBB507_27:
	s_or_b64 exec, exec, s[2:3]
	s_branch .LBB507_46
.LBB507_28:
                                        ; implicit-def: $vgpr5
                                        ; implicit-def: $vgpr9
                                        ; implicit-def: $vgpr13
                                        ; implicit-def: $vgpr17
	v_lshrrev_b32_e32 v30, 2, v60
	s_branch .LBB507_47
.LBB507_29:
                                        ; implicit-def: $vgpr20
                                        ; implicit-def: $vgpr21
                                        ; implicit-def: $sgpr22
	v_lshl_or_b32 v18, v68, 9, v18
.LBB507_30:
	v_or_b32_e32 v20, 0x100, v18
	s_movk_i32 s22, 0x4000
	v_mov_b32_e32 v21, v18
.LBB507_31:
	s_mul_hi_u32 s20, s14, s12
	s_mul_i32 s21, s53, s12
	s_add_i32 s20, s20, s21
	s_mul_i32 s21, s14, s12
	s_mul_i32 s23, s21, s3
	s_mul_hi_u32 s24, s21, s50
	s_add_i32 s23, s24, s23
	s_mul_i32 s20, s20, s50
	s_add_i32 s23, s23, s20
	s_mul_i32 s21, s21, s50
	s_ashr_i32 s59, s54, 31
	s_add_u32 s20, s21, s54
	s_addc_u32 s21, s23, s59
	s_lshl_b64 s[20:21], s[20:21], 8
	s_add_u32 s20, s4, s20
	s_addc_u32 s21, s5, s21
	s_and_b32 s21, s21, 0xffff
	s_mov_b32 s23, 0x20000
	s_movk_i32 s60, 0x80
	buffer_load_dwordx4 v[22:25], v21, s[20:23], 0 offen
	buffer_load_dwordx4 v[26:29], v21, s[20:23], s60 offen
	;; [unrolled: 1-line block ×4, first 2 shown]
	v_and_b32_e32 v20, 6, v0
	v_lshlrev_b32_e32 v39, 6, v66
	v_or_b32_e32 v41, 16, v63
	v_xor_b32_e32 v42, v68, v20
	v_and_b32_e32 v21, 1, v0
	v_lshl_or_b32 v45, v63, 3, v39
	v_lshl_or_b32 v39, v41, 3, v39
	v_lshlrev_b32_e32 v42, 2, v42
	s_mul_i32 s3, s3, s12
	s_mul_hi_u32 s20, s50, s12
	v_lshlrev_b32_e32 v38, 2, v63
	v_or_b32_e32 v76, 0xa000, v39
	v_or_b32_e32 v77, 0xb000, v39
	v_xor_b32_e32 v39, 0x440, v42
	v_cmp_eq_u32_e32 vcc, 0, v21
	v_xor_b32_e32 v43, v66, v38
	v_xor_b32_e32 v44, v67, v38
	v_cndmask_b32_e32 v21, v39, v42, vcc
	s_add_i32 s65, s20, s3
	s_add_i32 s3, s44, s33
	s_mov_b32 s62, 0x1000504
	v_lshlrev_b32_e32 v40, 8, v63
	v_lshlrev_b32_e32 v43, 1, v43
	;; [unrolled: 1-line block ×3, first 2 shown]
	v_lshl_or_b32 v20, v20, 10, v21
	s_add_i32 s35, s3, s45
	s_add_i32 s3, s46, s39
	s_mov_b32 s63, 0x3020706
	v_or_b32_e32 v74, 0xa000, v45
	v_or_b32_e32 v75, 0xb000, v45
	;; [unrolled: 1-line block ×4, first 2 shown]
	v_xor_b32_e32 v21, 8, v20
	v_xor_b32_e32 v40, 24, v20
	;; [unrolled: 1-line block ×4, first 2 shown]
	s_add_i32 s37, s3, s47
	s_lshl_b64 s[20:21], s[34:35], 2
	v_xor_b32_e32 v39, 16, v20
	v_xor_b32_e32 v42, 32, v20
	;; [unrolled: 1-line block ×3, first 2 shown]
	v_add_u32_e32 v21, 0x80, v21
	v_add_u32_e32 v40, 0x80, v40
	;; [unrolled: 1-line block ×4, first 2 shown]
	s_add_u32 s3, s10, s20
	s_addc_u32 s22, s11, s21
	s_lshl_b64 s[20:21], s[36:37], 2
	s_add_u32 s40, s3, s20
	s_movk_i32 s3, 0xf8
	s_addc_u32 s41, s22, s21
	s_lshl_b32 s26, s15, 7
	s_movk_i32 s24, 0x100
	v_mov_b32_e32 v53, 0
	v_lshlrev_b32_e32 v52, 4, v63
	v_cmp_gt_u32_e32 vcc, s24, v0
	v_ashrrev_i32_e32 v51, 31, v50
	s_mov_b32 s61, 0
	s_mul_i32 s64, s50, s12
	s_movk_i32 s35, 0x1000
	s_movk_i32 s22, 0x4000
	s_mov_b32 s66, 0
	s_waitcnt vmcnt(1)
	v_perm_b32 v48, v22, v30, s62
	s_waitcnt vmcnt(0)
	v_perm_b32 v49, v26, v34, s62
	v_perm_b32 v22, v22, v30, s63
	v_perm_b32 v26, v26, v34, s63
	v_perm_b32 v30, v23, v31, s62
	v_perm_b32 v34, v27, v35, s62
	v_perm_b32 v23, v23, v31, s63
	v_perm_b32 v27, v27, v35, s63
	v_perm_b32 v31, v24, v32, s62
	v_perm_b32 v35, v28, v36, s62
	v_perm_b32 v24, v24, v32, s63
	v_perm_b32 v28, v28, v36, s63
	v_perm_b32 v32, v25, v33, s62
	v_perm_b32 v36, v29, v37, s62
	v_perm_b32 v25, v25, v33, s63
	v_perm_b32 v29, v29, v37, s63
	ds_write2st64_b32 v20, v48, v49 offset0:32 offset1:64
	ds_write2st64_b32 v21, v22, v26 offset0:32 offset1:64
	;; [unrolled: 1-line block ×8, first 2 shown]
	v_lshlrev_b32_e32 v20, 8, v41
	v_or_b32_e32 v80, v20, v43
	v_or_b32_e32 v81, v20, v44
	;; [unrolled: 1-line block ×3, first 2 shown]
	v_lshlrev_b32_e32 v20, 3, v20
	v_lshrrev_b32_e32 v23, 5, v60
	v_and_or_b32 v23, v20, s3, v23
	v_lshlrev_b32_e32 v23, 4, v23
	v_lshlrev_b32_e32 v21, 11, v61
	v_and_b32_e32 v20, 0x78, v20
	v_or_b32_e32 v28, 32, v23
	v_and_b32_e32 v22, 0x1000, v21
	v_lshrrev_b32_e32 v25, 1, v0
	v_xor_b32_e32 v28, v28, v20
	v_and_b32_e32 v26, 8, v25
	v_or_b32_e32 v28, v28, v22
	v_xor_b32_e32 v24, v23, v20
	v_xor_b32_e32 v84, v28, v26
	v_or_b32_e32 v28, 64, v23
	v_or_b32_e32 v23, 0x60, v23
	s_ashr_i32 s3, s2, 31
	v_xor_b32_e32 v28, v28, v20
	v_xor_b32_e32 v20, v23, v20
	s_lshl_b64 s[20:21], s[2:3], 8
	v_or_b32_e32 v24, v24, v22
	v_or_b32_e32 v28, v28, v22
	;; [unrolled: 1-line block ×3, first 2 shown]
	s_add_u32 s20, s18, s20
	v_lshlrev_b32_e32 v22, 1, v63
	v_xor_b32_e32 v86, v28, v26
	v_lshrrev_b32_e32 v28, 4, v0
	s_addc_u32 s21, s19, s21
	v_or_b32_e32 v23, 1, v22
	v_mov_b32_e32 v32, 0x4000
	v_mov_b32_e32 v33, 0x2000
	v_xor_b32_e32 v29, v28, v22
	v_xor_b32_e32 v30, v23, v28
	v_lshl_add_u64 v[22:23], s[20:21], 0, v[52:53]
	v_lshlrev_b32_e32 v52, 8, v28
	v_cndmask_b32_e32 v32, v32, v33, vcc
	v_lshlrev_b32_e32 v33, 3, v61
	v_and_b32_e32 v25, 24, v25
	v_lshl_or_b32 v90, v29, 3, v52
	v_and_b32_e32 v29, 8, v0
	v_xor_b32_e32 v34, v33, v25
	v_or_b32_e32 v35, 0x440, v34
	v_cmp_eq_u32_e32 vcc, 0, v29
	v_and_b32_e32 v28, 7, v0
	v_xor_b32_e32 v82, v24, v26
	v_cndmask_b32_e32 v29, v35, v34, vcc
	v_lshlrev_b32_e32 v24, 7, v62
	v_lshl_or_b32 v91, v30, 3, v52
	v_lshlrev_b32_e32 v30, 3, v28
	v_lshlrev_b32_e32 v28, 7, v28
	;; [unrolled: 1-line block ×3, first 2 shown]
	v_or_b32_e32 v29, v29, v21
	v_or_b32_e32 v27, v24, v38
	v_xad_u32 v92, v29, v30, v28
	v_and_or_b32 v24, v31, 60, v24
	v_mov_b32_e32 v29, 0xb000
	v_lshl_or_b32 v93, v24, 1, v29
	v_or_b32_e32 v24, 32, v25
	v_xor_b32_e32 v24, v33, v24
	v_or_b32_e32 v29, 0x440, v24
	v_cndmask_b32_e32 v24, v29, v24, vcc
	v_or_b32_e32 v24, v24, v21
	v_xad_u32 v94, v24, v30, v28
	v_or_b32_e32 v24, 64, v25
	v_xor_b32_e32 v24, v33, v24
	v_xor_b32_e32 v29, 0x440, v24
	v_cndmask_b32_e32 v24, v29, v24, vcc
	v_or_b32_e32 v24, v24, v21
	v_xad_u32 v95, v24, v30, v28
	v_or_b32_e32 v24, 0x60, v25
	v_xor_b32_e32 v24, v33, v24
	v_xor_b32_e32 v25, 0x440, v24
	v_lshlrev_b32_e32 v27, 1, v27
	v_cndmask_b32_e32 v24, v25, v24, vcc
	v_or_b32_e32 v83, 0xa000, v27
	v_or_b32_e32 v85, 0xa080, v27
	v_xor_b32_e32 v87, v20, v26
	v_or_b32_e32 v88, 0xb000, v27
	v_or_b32_e32 v89, 0xb080, v27
	v_lshlrev_b32_e32 v26, 1, v19
	v_add_lshl_u32 v19, v19, s15, 1
	v_or_b32_e32 v27, 0x100, v18
	v_or_b32_e32 v21, v24, v21
	v_lshlrev_b32_e32 v20, 7, v66
	v_xad_u32 v96, v21, v30, v28
	v_cndmask_b32_e64 v97, v26, v18, s[0:1]
	v_cndmask_b32_e64 v98, v19, v27, s[0:1]
	v_lshlrev_b64 v[18:19], 1, v[50:51]
	v_lshl_add_u64 v[54:55], s[8:9], 0, v[18:19]
	v_lshl_add_u64 v[56:57], s[28:29], 0, v[18:19]
	;; [unrolled: 1-line block ×3, first 2 shown]
	s_mov_b32 s3, 0x7060302
	v_lshlrev_b32_e32 v52, 1, v20
	v_mov_b32_e32 v51, 0x3fb8aa3b
	v_add_u32_e32 v99, v32, v92
	v_add_u32_e32 v100, v32, v94
	v_add_u32_e32 v101, v32, v95
	v_add_u32_e32 v102, v32, v96
	s_waitcnt lgkmcnt(0)
	s_barrier
.LBB507_32:                             ; =>This Inner Loop Header: Depth=1
	s_add_i32 s37, s66, 1
	s_cmp_lt_i32 s37, s51
	s_mov_b64 s[24:25], 0
	s_cselect_b64 s[42:43], -1, 0
	s_cmp_ge_i32 s37, s51
	s_mov_b64 s[20:21], 0
	s_cbranch_scc1 .LBB507_34
; %bb.33:                               ;   in Loop: Header=BB507_32 Depth=1
	s_add_i32 s0, s61, 64
	s_add_u32 s0, s16, s0
	s_addc_u32 s1, s17, 0
	s_lshl_b64 s[0:1], s[0:1], 8
	s_add_u32 s20, s6, s0
	s_addc_u32 s21, s7, s1
.LBB507_34:                             ;   in Loop: Header=BB507_32 Depth=1
	v_cndmask_b32_e64 v18, 0, 1, s[42:43]
	v_cmp_ne_u32_e64 s[0:1], 1, v18
	s_andn2_b64 vcc, exec, s[42:43]
	s_cbranch_vccnz .LBB507_36
; %bb.35:                               ;   in Loop: Header=BB507_32 Depth=1
	s_add_i32 s24, s61, 64
	s_add_u32 s24, s64, s24
	s_addc_u32 s25, s65, 0
	s_mul_i32 s27, s24, s53
	s_mul_hi_u32 s42, s24, s58
	s_add_i32 s27, s42, s27
	s_mul_i32 s25, s25, s58
	s_add_i32 s27, s27, s25
	s_mul_i32 s24, s24, s58
	s_add_u32 s24, s24, s54
	s_addc_u32 s25, s27, s59
	s_lshl_b64 s[24:25], s[24:25], 8
	s_add_u32 s24, s4, s24
	s_addc_u32 s25, s5, s25
.LBB507_36:                             ;   in Loop: Header=BB507_32 Depth=1
	v_perm_b32 v19, v17, v16, s3
	v_perm_b32 v18, v15, v14, s3
	;; [unrolled: 1-line block ×4, first 2 shown]
	ds_write_b64 v74, v[18:19]
	ds_write_b64 v75, v[20:21]
	;; [unrolled: 1-line block ×4, first 2 shown]
	v_perm_b32 v19, v9, v8, s3
	v_perm_b32 v18, v7, v6, s3
	;; [unrolled: 1-line block ×4, first 2 shown]
	ds_write_b64 v76, v[18:19]
	ds_write_b64 v77, v[20:21]
	;; [unrolled: 1-line block ×4, first 2 shown]
	s_waitcnt lgkmcnt(0)
	s_barrier
	ds_read_b64 v[22:23], v82 offset:24576
	ds_read2_b64 v[18:21], v83 offset1:16
	ds_read_b64 v[26:27], v85 offset:3072
	ds_read_b64 v[28:29], v83 offset:3072
	ds_read_b64 v[30:31], v84 offset:24576
	s_waitcnt lgkmcnt(3)
	v_mfma_f32_16x16x16_bf16 a[0:3], v[22:23], v[18:19], 0
	s_add_i32 s27, s61, 63
	s_mul_i32 s42, s27, s31
	s_mul_hi_u32 s43, s27, s30
	v_mfma_f32_16x16x16_bf16 a[4:7], v[22:23], v[20:21], 0
	ds_read2st64_b64 v[18:21], v83 offset0:2 offset1:4
	ds_read2st64_b64 v[22:25], v85 offset0:2 offset1:4
	s_add_i32 s43, s43, s42
	s_waitcnt lgkmcnt(1)
	v_mfma_f32_16x16x16_bf16 a[0:3], v[30:31], v[18:19], a[0:3]
	s_mul_i32 s42, s27, s30
	s_lshl_b64 s[42:43], s[42:43], 2
	s_add_u32 s42, s40, s42
	s_waitcnt lgkmcnt(0)
	v_mfma_f32_16x16x16_bf16 a[4:7], v[30:31], v[22:23], a[4:7]
	ds_read_b64 v[18:19], v86 offset:24576
	ds_read_b64 v[22:23], v87 offset:24576
	s_addc_u32 s43, s41, s43
	s_and_b64 vcc, exec, s[0:1]
	s_waitcnt lgkmcnt(1)
	v_mfma_f32_16x16x16_bf16 a[0:3], v[18:19], v[20:21], a[0:3]
	v_mov_b32_e32 v105, 0
	v_mov_b32_e32 v104, 0
	;; [unrolled: 1-line block ×3, first 2 shown]
	v_mfma_f32_16x16x16_bf16 a[8:11], v[18:19], v[24:25], a[4:7]
	v_mov_b32_e32 v18, 0
	v_mov_b32_e32 v19, 0
	;; [unrolled: 1-line block ×3, first 2 shown]
	s_waitcnt lgkmcnt(0)
	v_mfma_f32_16x16x16_bf16 a[4:7], v[22:23], v[28:29], a[0:3]
	v_mov_b32_e32 v21, 0
	v_mov_b32_e32 v24, 0
	;; [unrolled: 1-line block ×3, first 2 shown]
	v_mfma_f32_16x16x16_bf16 a[0:3], v[22:23], v[26:27], a[8:11]
	v_mov_b32_e32 v22, 0
	v_mov_b32_e32 v23, 0
	;; [unrolled: 1-line block ×10, first 2 shown]
	s_cbranch_vccnz .LBB507_38
; %bb.37:                               ;   in Loop: Header=BB507_32 Depth=1
	s_and_b32 s21, s21, 0xffff
	buffer_load_dwordx4 v[30:33], v70, s[20:23], 0 offen
	buffer_load_dwordx4 v[26:29], v70, s[20:23], s60 offen
	;; [unrolled: 1-line block ×4, first 2 shown]
	v_mov_b32_e32 v104, v72
	v_mov_b32_e32 v103, v73
.LBB507_38:                             ;   in Loop: Header=BB507_32 Depth=1
	s_waitcnt vmcnt(3)
	ds_read_b64 v[42:43], v82 offset:32768
	s_waitcnt vmcnt(2)
	ds_read2_b64 v[34:37], v88 offset1:16
	ds_read_b64 v[44:45], v84 offset:32768
	ds_read_b64 v[46:47], v86 offset:32768
	ds_read_b64 v[48:49], v87 offset:32768
	v_add_u32_e32 v106, s61, v66
	s_waitcnt lgkmcnt(3)
	v_mfma_f32_16x16x16_bf16 a[4:7], v[42:43], v[34:35], a[4:7]
	v_ashrrev_i32_e32 v34, 31, v106
	ds_read2st64_b64 v[38:41], v88 offset0:2 offset1:4
	v_mfma_f32_16x16x16_bf16 a[0:3], v[42:43], v[36:37], a[0:3]
	v_mul_lo_u32 v36, v34, s30
	v_mul_lo_u32 v37, v106, s31
	v_mad_u64_u32 v[34:35], s[20:21], v106, s30, 0
	v_add3_u32 v35, v35, v37, v36
	v_add_u32_e32 v36, 1, v106
	v_ashrrev_i32_e32 v37, 31, v36
	v_mul_lo_u32 v42, v37, s30
	v_mul_lo_u32 v43, v36, s31
	v_mad_u64_u32 v[36:37], s[20:21], v36, s30, 0
	v_add3_u32 v37, v37, v43, v42
	v_add_u32_e32 v42, 2, v106
	v_ashrrev_i32_e32 v43, 31, v42
	v_mul_lo_u32 v107, v43, s30
	v_mul_lo_u32 v108, v42, s31
	v_mad_u64_u32 v[42:43], s[20:21], v42, s30, 0
	v_add_u32_e32 v106, 3, v106
	v_add3_u32 v43, v43, v108, v107
	v_ashrrev_i32_e32 v107, 31, v106
	v_mul_lo_u32 v108, v107, s30
	v_mul_lo_u32 v109, v106, s31
	v_mad_u64_u32 v[106:107], s[20:21], v106, s30, 0
	s_add_u32 s20, s16, s61
	s_addc_u32 s21, s17, 0
	s_lshl_b64 s[68:69], s[20:21], 8
	v_lshl_add_u64 v[34:35], v[34:35], 2, s[40:41]
	v_lshl_add_u64 v[36:37], v[36:37], 2, s[40:41]
	v_add3_u32 v107, v107, v109, v108
	v_lshl_add_u64 v[108:109], v[54:55], 0, s[68:69]
	v_lshl_add_u64 v[42:43], v[42:43], 2, s[40:41]
	;; [unrolled: 1-line block ×3, first 2 shown]
	global_load_dword v110, v[34:35], off
	global_load_ushort v111, v[108:109], off offset:256
	global_load_ushort v112, v[108:109], off
	v_lshl_add_u64 v[34:35], v[106:107], 2, s[40:41]
	global_load_dword v106, v[36:37], off
	global_load_dword v107, v[42:43], off
	;; [unrolled: 1-line block ×3, first 2 shown]
	ds_read2st64_b64 v[34:37], v89 offset0:2 offset1:4
	global_load_ushort v114, v[108:109], off offset:768
	global_load_ushort v115, v[108:109], off offset:512
	;; [unrolled: 1-line block ×5, first 2 shown]
	s_nop 0
	global_load_ushort v108, v[108:109], off offset:32
	s_waitcnt lgkmcnt(1)
	v_mfma_f32_16x16x16_bf16 a[4:7], v[44:45], v[38:39], a[4:7]
	s_and_b64 vcc, exec, s[0:1]
	s_waitcnt vmcnt(10)
	v_lshlrev_b32_e32 v43, 16, v111
	s_waitcnt lgkmcnt(0)
	v_mfma_f32_16x16x16_bf16 a[0:3], v[44:45], v[34:35], a[0:3]
	s_waitcnt vmcnt(9)
	v_lshlrev_b32_e32 v42, 16, v112
	v_mfma_f32_16x16x16_bf16 a[4:7], v[46:47], v[40:41], a[4:7]
	v_mfma_f32_16x16x16_bf16 a[0:3], v[46:47], v[36:37], a[0:3]
	ds_read_b64 v[34:35], v88 offset:3072
	ds_read_b64 v[36:37], v89 offset:3072
	s_load_dword s20, s[42:43], 0x0
	s_waitcnt lgkmcnt(0)
	v_sub_f32_e32 v44, s20, v110
	v_mfma_f32_16x16x16_bf16 a[4:7], v[48:49], v[34:35], a[4:7]
	v_mul_f32_e32 v44, 0x3fb8aa3b, v44
	s_waitcnt vmcnt(8)
	v_sub_f32_e32 v45, s20, v106
	s_waitcnt vmcnt(7)
	v_sub_f32_e32 v46, s20, v107
	;; [unrolled: 2-line block ×3, first 2 shown]
	v_mfma_f32_16x16x16_bf16 a[0:3], v[48:49], v[36:37], a[0:3]
	v_lshl_add_u64 v[34:35], v[56:57], 0, s[68:69]
	v_lshl_add_u64 v[34:35], v[34:35], 0, v[52:53]
	v_accvgpr_read_b32 v41, a5
	v_accvgpr_read_b32 v40, a4
	v_pk_add_f32 v[40:41], v[42:43], v[40:41] neg_lo:[0,1] neg_hi:[0,1]
	v_exp_f32_e32 v42, v44
	v_mul_f32_e32 v43, 0x3fb8aa3b, v45
	v_mul_f32_e32 v44, 0x3fb8aa3b, v46
	;; [unrolled: 1-line block ×3, first 2 shown]
	v_exp_f32_e32 v43, v43
	v_exp_f32_e32 v44, v44
	;; [unrolled: 1-line block ×3, first 2 shown]
	v_accvgpr_read_b32 v37, a7
	v_accvgpr_read_b32 v36, a6
	s_waitcnt vmcnt(5)
	v_lshlrev_b32_e32 v47, 16, v114
	s_waitcnt vmcnt(4)
	v_lshlrev_b32_e32 v46, 16, v115
	v_pk_add_f32 v[36:37], v[46:47], v[36:37] neg_lo:[0,1] neg_hi:[0,1]
	global_store_short_d16_hi v[34:35], v40, off
	global_store_short_d16_hi v[34:35], v41, off offset:256
	global_store_short_d16_hi v[34:35], v36, off offset:512
	;; [unrolled: 1-line block ×3, first 2 shown]
	v_pk_mul_f32 v[40:41], v[42:43], v[40:41]
	v_pk_mul_f32 v[36:37], v[44:45], v[36:37]
	v_accvgpr_read_b32 v47, a1
	v_perm_b32 v37, v37, v36, s3
	v_perm_b32 v36, v41, v40, s3
	s_waitcnt vmcnt(5)
	v_lshlrev_b32_e32 v41, 16, v118
	s_waitcnt vmcnt(4)
	v_lshlrev_b32_e32 v40, 16, v108
	v_accvgpr_read_b32 v46, a0
	v_accvgpr_read_b32 v39, a3
	;; [unrolled: 1-line block ×3, first 2 shown]
	v_pk_add_f32 v[40:41], v[40:41], v[46:47] neg_lo:[0,1] neg_hi:[0,1]
	v_lshlrev_b32_e32 v47, 16, v116
	v_lshlrev_b32_e32 v46, 16, v117
	v_pk_add_f32 v[38:39], v[46:47], v[38:39] neg_lo:[0,1] neg_hi:[0,1]
	global_store_short_d16_hi v[34:35], v40, off offset:32
	global_store_short_d16_hi v[34:35], v41, off offset:288
	global_store_short_d16_hi v[34:35], v38, off offset:544
	global_store_short_d16_hi v[34:35], v39, off offset:800
	v_pk_mul_f32 v[34:35], v[42:43], v[40:41]
	v_pk_mul_f32 v[38:39], v[44:45], v[38:39]
	v_mov_b32_e32 v106, 0
	v_perm_b32 v39, v39, v38, s3
	v_perm_b32 v38, v35, v34, s3
	ds_write2_b64 v75, v[36:37], v[38:39] offset1:16
	v_mov_b32_e32 v34, 0
	v_mov_b32_e32 v35, 0
	;; [unrolled: 1-line block ×16, first 2 shown]
	s_cbranch_vccnz .LBB507_40
; %bb.39:                               ;   in Loop: Header=BB507_32 Depth=1
	s_and_b32 s25, s25, 0xffff
	s_mov_b32 s27, s23
	buffer_load_dwordx4 v[46:49], v97, s[24:27], 0 offen
	buffer_load_dwordx4 v[38:41], v97, s[24:27], s60 offen
	buffer_load_dwordx4 v[42:45], v98, s[24:27], 0 offen
	buffer_load_dwordx4 v[34:37], v98, s[24:27], s60 offen
	v_mov_b32_e32 v105, v69
	v_mov_b32_e32 v106, v68
.LBB507_40:                             ;   in Loop: Header=BB507_32 Depth=1
	s_waitcnt lgkmcnt(0)
	s_barrier
	ds_read_b64 v[112:113], v99
	ds_read_b64 v[120:121], v93
	;; [unrolled: 1-line block ×5, first 2 shown]
	ds_read_b64 v[126:127], v94 offset:16384
	ds_read_b64 v[128:129], v92 offset:16384
	ds_read2_b64 v[108:111], v88 offset0:16 offset1:128
	s_waitcnt lgkmcnt(6)
	v_mfma_f32_16x16x16_bf16 a[0:3], v[112:113], v[120:121], 0
	ds_read_b64 v[130:131], v89 offset:3072
	ds_read_b64 v[132:133], v96 offset:16384
	s_add_i32 s21, s55, s66
	s_waitcnt lgkmcnt(2)
	v_mfma_f32_16x16x16_bf16 a[4:7], v[112:113], v[108:109], 0
	ds_read2st64_b64 v[112:115], v89 offset0:2 offset1:4
	s_mul_hi_i32 s25, s21, s13
	s_mul_i32 s21, s21, s13
	v_mfma_f32_16x16x16_bf16 a[0:3], v[116:117], v[110:111], a[0:3]
	s_add_u32 s24, s21, s48
	s_addc_u32 s25, s25, s52
	s_lshl_b64 s[24:25], s[24:25], 15
	s_waitcnt lgkmcnt(0)
	v_mfma_f32_16x16x16_bf16 a[4:7], v[116:117], v[112:113], a[4:7]
	ds_read2st64_b64 v[116:119], v88 offset0:4 offset1:6
	s_waitcnt lgkmcnt(0)
	v_mfma_f32_16x16x16_bf16 a[0:3], v[122:123], v[116:117], a[0:3]
	v_mfma_f32_16x16x16_bf16 a[8:11], v[122:123], v[114:115], a[4:7]
	;; [unrolled: 1-line block ×5, first 2 shown]
	ds_read2st64_b64 v[120:123], v91 offset1:8
	v_mfma_f32_16x16x16_bf16 a[12:15], v[128:129], v[108:109], 0
	ds_read_b64 v[128:129], v95 offset:16384
	v_mfma_f32_16x16x16_bf16 a[8:11], v[126:127], v[110:111], a[8:11]
	ds_read2st64_b64 v[108:111], v90 offset1:8
	s_waitcnt lgkmcnt(0)
	v_mov_b32_e32 v124, v108
	v_mfma_f32_16x16x16_bf16 a[12:15], v[126:127], v[112:113], a[12:15]
	v_lshl_add_u64 v[112:113], v[58:59], 0, s[24:25]
	v_add_co_u32_e32 v108, vcc, s35, v112
	v_mfma_f32_16x16x16_bf16 a[8:11], v[128:129], v[116:117], a[8:11]
	v_mov_b32_e32 v125, v109
	v_addc_co_u32_e32 v109, vcc, 0, v113, vcc
	v_mfma_f32_16x16x16_bf16 a[16:19], v[128:129], v[114:115], a[12:15]
	v_mov_b32_e32 v126, v120
	v_mov_b32_e32 v127, v121
	;; [unrolled: 1-line block ×3, first 2 shown]
	v_mfma_f32_16x16x16_bf16 a[12:15], v[132:133], v[118:119], a[8:11]
	v_mov_b32_e32 v121, v111
	s_and_b64 vcc, exec, s[0:1]
	global_store_dwordx4 v[112:113], v[124:127], off
	v_mfma_f32_16x16x16_bf16 a[8:11], v[132:133], v[130:131], a[16:19]
	global_store_dwordx4 v[108:109], v[120:123], off
	s_cbranch_vccnz .LBB507_42
; %bb.41:                               ;   in Loop: Header=BB507_32 Depth=1
	v_lshrrev_b32_e32 v107, 3, v105
	v_and_b32_e32 v107, 6, v107
	v_xor_b32_e32 v106, v107, v106
	v_lshlrev_b32_e32 v106, 2, v106
	v_and_b32_e32 v105, 8, v105
	v_xor_b32_e32 v108, 0x440, v106
	v_cmp_eq_u32_e32 vcc, 0, v105
	s_barrier
	s_nop 0
	v_cndmask_b32_e32 v105, v108, v106, vcc
	v_lshl_or_b32 v105, v107, 10, v105
	s_waitcnt vmcnt(3)
	v_perm_b32 v106, v46, v42, s62
	s_waitcnt vmcnt(2)
	v_perm_b32 v107, v38, v34, s62
	ds_write2st64_b32 v105, v106, v107 offset0:32 offset1:64
	v_xor_b32_e32 v106, 8, v105
	v_perm_b32 v42, v46, v42, s63
	v_perm_b32 v34, v38, v34, s63
	v_add_u32_e32 v38, 0x80, v106
	ds_write2st64_b32 v38, v42, v34 offset0:32 offset1:64
	v_xor_b32_e32 v34, 16, v105
	v_perm_b32 v38, v47, v43, s62
	v_perm_b32 v42, v39, v35, s62
	ds_write2st64_b32 v34, v38, v42 offset0:33 offset1:65
	v_xor_b32_e32 v34, 24, v105
	v_perm_b32 v38, v47, v43, s63
	v_perm_b32 v35, v39, v35, s63
	v_add_u32_e32 v34, 0x80, v34
	ds_write2st64_b32 v34, v38, v35 offset0:33 offset1:65
	v_xor_b32_e32 v34, 32, v105
	v_perm_b32 v35, v48, v44, s62
	;; [unrolled: 9-line block ×3, first 2 shown]
	v_perm_b32 v36, v41, v37, s62
	ds_write2st64_b32 v34, v35, v36 offset0:35 offset1:67
	v_xor_b32_e32 v34, 56, v105
	v_perm_b32 v35, v49, v45, s63
	v_perm_b32 v36, v41, v37, s63
	v_add_u32_e32 v34, 0x80, v34
	ds_write2st64_b32 v34, v35, v36 offset0:35 offset1:67
	ds_write_b64 v104, v[30:31] offset:24576
	v_xor_b32_e32 v30, 8, v104
	ds_write_b64 v30, v[32:33] offset:24576
	ds_write_b64 v104, v[26:27] offset:32768
	ds_write_b64 v30, v[28:29] offset:32768
	ds_write_b64 v103, v[22:23] offset:24576
	v_xor_b32_e32 v22, 8, v103
	ds_write_b64 v22, v[24:25] offset:24576
	ds_write_b64 v103, v[18:19] offset:32768
	;; [unrolled: 1-line block ×3, first 2 shown]
.LBB507_42:                             ;   in Loop: Header=BB507_32 Depth=1
	v_mul_f32_e32 v18, s20, v51
	v_exp_f32_e32 v21, v18
	v_accvgpr_read_b32 v18, a4
	v_accvgpr_read_b32 v20, a7
	;; [unrolled: 1-line block ×3, first 2 shown]
	v_fma_f32 v14, v14, v21, v18
	v_accvgpr_read_b32 v18, a6
	v_fma_f32 v16, v16, v21, v18
	v_accvgpr_read_b32 v18, a3
	v_fmac_f32_e32 v18, v9, v21
	v_accvgpr_read_b32 v9, a12
	v_fma_f32 v10, v10, v21, v9
	v_accvgpr_read_b32 v9, a13
	v_fma_f32 v11, v11, v21, v9
	;; [unrolled: 2-line block ×3, first 2 shown]
	v_accvgpr_read_b32 v9, a15
	v_fmac_f32_e32 v20, v17, v21
	v_accvgpr_read_b32 v17, a0
	v_fmac_f32_e32 v9, v13, v21
	v_accvgpr_read_b32 v13, a8
	v_fma_f32 v6, v6, v21, v17
	v_accvgpr_read_b32 v17, a1
	v_fma_f32 v2, v2, v21, v13
	;; [unrolled: 2-line block ×3, first 2 shown]
	v_fma_f32 v7, v7, v21, v17
	v_accvgpr_read_b32 v17, a2
	v_fma_f32 v3, v3, v21, v13
	v_accvgpr_read_b32 v13, a10
	v_accvgpr_read_b32 v19, a11
	s_add_i32 s61, s61, 64
	v_fma_f32 v8, v8, v21, v17
	v_fma_f32 v4, v4, v21, v13
	s_cmp_eq_u32 s51, s37
	v_fmac_f32_e32 v19, v5, v21
	s_cbranch_scc1 .LBB507_4
; %bb.43:                               ;   in Loop: Header=BB507_32 Depth=1
	s_mov_b32 s66, s37
	v_mov_b32_e32 v17, v20
	v_mov_b32_e32 v13, v9
	;; [unrolled: 1-line block ×4, first 2 shown]
	s_branch .LBB507_32
.LBB507_44:
                                        ; implicit-def: $vgpr5
                                        ; implicit-def: $vgpr9
                                        ; implicit-def: $vgpr13
                                        ; implicit-def: $vgpr17
	s_cbranch_execz .LBB507_46
; %bb.45:
	s_waitcnt vmcnt(0)
	v_mad_u64_u32 v[2:3], s[0:1], v20, s15, v[18:19]
	v_lshlrev_b32_e32 v20, 1, v2
	s_lshl_b32 s2, s15, 7
	s_and_b32 s1, s5, 0xffff
	s_mov_b32 s3, 0x20000
	s_mov_b32 s0, s4
	v_add_lshl_u32 v21, v2, s15, 1
	s_movk_i32 s13, 0x80
	buffer_load_dwordx4 v[2:5], v20, s[0:3], 0 offen
	buffer_load_dwordx4 v[10:13], v20, s[0:3], s13 offen
	;; [unrolled: 1-line block ×4, first 2 shown]
.LBB507_46:
	v_lshrrev_b32_e32 v30, 2, v60
	s_cbranch_execnz .LBB507_59
.LBB507_47:
	s_and_b64 vcc, exec, s[6:7]
	s_cbranch_vccz .LBB507_57
; %bb.48:
	s_waitcnt vmcnt(0)
	v_lshlrev_b32_e32 v7, 1, v23
	v_cmp_gt_i32_e32 vcc, s27, v7
	v_mov_b32_e32 v6, 0
	v_lshlrev_b32_e32 v14, 9, v23
	v_mov_b32_e32 v2, 0
	v_mov_b32_e32 v3, 0
	;; [unrolled: 1-line block ×4, first 2 shown]
	s_and_saveexec_b64 s[0:1], vcc
	s_cbranch_execz .LBB507_50
; %bb.49:
	v_mov_b32_e32 v15, 0
	v_lshl_add_u64 v[2:3], s[4:5], 0, v[14:15]
	v_lshlrev_b32_e32 v4, 1, v18
	v_mov_b32_e32 v5, v15
	v_lshl_add_u64 v[2:3], v[2:3], 0, v[4:5]
	global_load_dwordx4 v[2:5], v[2:3], off
.LBB507_50:
	s_or_b64 exec, exec, s[0:1]
	v_or_b32_e32 v7, 1, v7
	v_cmp_gt_i32_e64 s[0:1], s27, v7
	v_lshlrev_b32_e32 v20, 8, v7
	v_mov_b32_e32 v7, 0
	v_mov_b32_e32 v8, 0
	;; [unrolled: 1-line block ×3, first 2 shown]
	s_and_saveexec_b64 s[2:3], s[0:1]
	s_cbranch_execz .LBB507_52
; %bb.51:
	v_mov_b32_e32 v21, 0
	v_lshl_add_u64 v[6:7], s[4:5], 0, v[20:21]
	v_lshlrev_b32_e32 v8, 1, v18
	v_mov_b32_e32 v9, v21
	v_lshl_add_u64 v[6:7], v[6:7], 0, v[8:9]
	global_load_dwordx4 v[6:9], v[6:7], off
.LBB507_52:
	s_or_b64 exec, exec, s[2:3]
	v_mov_b32_e32 v17, 0
	v_mov_b32_e32 v10, 0
	v_mov_b32_e32 v11, 0
	v_mov_b32_e32 v12, 0
	v_mov_b32_e32 v13, 0
	s_and_saveexec_b64 s[2:3], vcc
	s_cbranch_execz .LBB507_54
; %bb.53:
	v_mov_b32_e32 v15, 0
	v_lshl_add_u64 v[10:11], s[4:5], 0, v[14:15]
	v_lshlrev_b32_e32 v14, 1, v18
	v_lshl_add_u64 v[10:11], v[10:11], 0, v[14:15]
	global_load_dwordx4 v[10:13], v[10:11], off offset:128
.LBB507_54:
	s_or_b64 exec, exec, s[2:3]
	v_mov_b32_e32 v16, 0
	v_mov_b32_e32 v15, 0
	v_mov_b32_e32 v14, 0
	s_and_saveexec_b64 s[2:3], s[0:1]
	s_cbranch_execz .LBB507_56
; %bb.55:
	v_mov_b32_e32 v21, 0
	v_lshl_add_u64 v[14:15], s[4:5], 0, v[20:21]
	v_lshlrev_b32_e32 v20, 1, v18
	v_lshl_add_u64 v[14:15], v[14:15], 0, v[20:21]
	global_load_dwordx4 v[14:17], v[14:15], off offset:128
.LBB507_56:
	s_or_b64 exec, exec, s[2:3]
	s_branch .LBB507_59
.LBB507_57:
                                        ; implicit-def: $vgpr5
                                        ; implicit-def: $vgpr9
                                        ; implicit-def: $vgpr13
                                        ; implicit-def: $vgpr17
	s_cbranch_execz .LBB507_59
; %bb.58:
	s_waitcnt vmcnt(0)
	v_lshlrev_b32_e32 v2, 1, v18
	v_lshl_or_b32 v18, v23, 9, v2
	s_and_b32 s5, s5, 0xffff
	s_mov_b32 s7, 0x20000
	s_movk_i32 s6, 0x4000
	s_movk_i32 s0, 0x80
	buffer_load_dwordx4 v[2:5], v18, s[4:7], 0 offen
	buffer_load_dwordx4 v[6:9], v18, s[4:7], 0 offen offset:256
	buffer_load_dwordx4 v[10:13], v18, s[4:7], s0 offen
	buffer_load_dwordx4 v[14:17], v18, s[4:7], s0 offen offset:256
.LBB507_59:
	ds_read_b64 v[20:21], v25 offset:32768
	v_add_u32_e32 v18, 0xb000, v24
	ds_read2_b64 v[32:35], v18 offset1:16
	ds_read_b64 v[40:41], v26 offset:32768
	ds_read_b64 v[26:27], v27 offset:32768
	;; [unrolled: 1-line block ×3, first 2 shown]
	v_and_b32_e32 v18, 6, v0
	v_xor_b32_e32 v23, v23, v18
	v_lshlrev_b32_e32 v23, 2, v23
	v_and_b32_e32 v0, 1, v0
	v_xor_b32_e32 v28, 0x440, v23
	v_cmp_eq_u32_e32 vcc, 0, v0
	s_waitcnt lgkmcnt(3)
	v_mfma_f32_16x16x16_bf16 a[0:3], v[20:21], v[32:33], a[0:3]
	s_mov_b32 s0, 0x1000504
	v_cndmask_b32_e32 v0, v28, v23, vcc
	v_lshl_or_b32 v0, v18, 10, v0
	v_mfma_f32_16x16x16_bf16 a[4:7], v[20:21], v[34:35], a[4:7]
	ds_read2st64_b64 v[32:35], v24 offset0:90 offset1:92
	ds_read2st64_b64 v[36:39], v29 offset0:90 offset1:92
	ds_read_b64 v[20:21], v24 offset:48128
	ds_read_b64 v[24:25], v29 offset:48128
	s_waitcnt vmcnt(0)
	v_perm_b32 v18, v2, v6, s0
	s_waitcnt lgkmcnt(3)
	v_mfma_f32_16x16x16_bf16 a[0:3], v[40:41], v[32:33], a[0:3]
	s_mov_b32 s1, 0x3020706
	v_perm_b32 v2, v2, v6, s1
	v_perm_b32 v6, v10, v14, s1
	s_waitcnt lgkmcnt(2)
	v_mfma_f32_16x16x16_bf16 a[4:7], v[40:41], v[36:37], a[4:7]
	v_mfma_f32_16x16x16_bf16 a[0:3], v[26:27], v[34:35], a[0:3]
	;; [unrolled: 1-line block ×3, first 2 shown]
	s_waitcnt lgkmcnt(1)
	v_mfma_f32_16x16x16_bf16 a[4:7], v[42:43], v[20:21], a[0:3]
	v_perm_b32 v20, v10, v14, s0
	ds_write2st64_b32 v0, v18, v20 offset0:32 offset1:64
	v_xor_b32_e32 v18, 8, v0
	v_add_u32_e32 v10, 0x80, v18
	ds_write2st64_b32 v10, v2, v6 offset0:32 offset1:64
	v_xor_b32_e32 v2, 16, v0
	v_perm_b32 v6, v3, v7, s0
	v_perm_b32 v10, v11, v15, s0
	ds_write2st64_b32 v2, v6, v10 offset0:33 offset1:65
	v_xor_b32_e32 v2, 24, v0
	v_perm_b32 v3, v3, v7, s1
	v_perm_b32 v6, v11, v15, s1
	v_add_u32_e32 v2, 0x80, v2
	ds_write2st64_b32 v2, v3, v6 offset0:33 offset1:65
	v_xor_b32_e32 v2, 32, v0
	v_perm_b32 v3, v4, v8, s0
	v_perm_b32 v6, v12, v16, s0
	s_waitcnt lgkmcnt(4)
	v_mfma_f32_16x16x16_bf16 a[0:3], v[42:43], v[24:25], a[8:11]
	ds_write2st64_b32 v2, v3, v6 offset0:34 offset1:66
	v_xor_b32_e32 v2, 40, v0
	v_perm_b32 v3, v4, v8, s1
	v_perm_b32 v4, v12, v16, s1
	v_add_u32_e32 v2, 0x80, v2
	ds_write2st64_b32 v2, v3, v4 offset0:34 offset1:66
	v_xor_b32_e32 v2, 48, v0
	v_perm_b32 v3, v5, v9, s0
	v_perm_b32 v4, v13, v17, s0
	v_xor_b32_e32 v0, 56, v0
	v_and_or_b32 v21, v30, 12, v1
	ds_write2st64_b32 v2, v3, v4 offset0:35 offset1:67
	v_perm_b32 v2, v5, v9, s1
	v_perm_b32 v3, v13, v17, s1
	v_add_u32_e32 v0, 0x80, v0
	v_cmp_gt_i32_e32 vcc, s27, v21
	v_mov_b32_e32 v16, 0
	v_mov_b32_e32 v18, 0
	ds_write2st64_b32 v0, v2, v3 offset0:35 offset1:67
	s_and_saveexec_b64 s[0:1], vcc
	s_cbranch_execz .LBB507_61
; %bb.60:
	v_add_u32_e32 v0, s26, v21
	v_ashrrev_i32_e32 v1, 31, v0
	v_mul_lo_u32 v2, v1, s30
	v_mul_lo_u32 v3, v0, s31
	v_mad_u64_u32 v[0:1], s[2:3], v0, s30, 0
	v_add3_u32 v1, v1, v3, v2
	v_lshl_add_u64 v[0:1], v[0:1], 2, s[10:11]
	global_load_dword v0, v[0:1], off
	s_waitcnt vmcnt(0)
	v_sub_f32_e32 v0, s12, v0
	v_mul_f32_e32 v0, 0x3fb8aa3b, v0
	v_exp_f32_e32 v18, v0
.LBB507_61:
	s_or_b64 exec, exec, s[0:1]
	v_or_b32_e32 v10, 1, v21
	v_cmp_gt_i32_e64 s[0:1], s27, v10
	s_and_saveexec_b64 s[2:3], s[0:1]
	s_cbranch_execz .LBB507_63
; %bb.62:
	v_add_u32_e32 v0, s26, v10
	v_ashrrev_i32_e32 v1, 31, v0
	v_mul_lo_u32 v2, v1, s30
	v_mul_lo_u32 v3, v0, s31
	v_mad_u64_u32 v[0:1], s[4:5], v0, s30, 0
	v_add3_u32 v1, v1, v3, v2
	v_lshl_add_u64 v[0:1], v[0:1], 2, s[10:11]
	global_load_dword v0, v[0:1], off
	s_waitcnt vmcnt(0)
	v_sub_f32_e32 v0, s12, v0
	v_mul_f32_e32 v0, 0x3fb8aa3b, v0
	v_exp_f32_e32 v16, v0
.LBB507_63:
	s_or_b64 exec, exec, s[2:3]
	v_or_b32_e32 v12, 2, v21
	v_cmp_gt_i32_e64 s[2:3], s27, v12
	v_mov_b32_e32 v17, 0
	v_mov_b32_e32 v20, 0
	s_and_saveexec_b64 s[4:5], s[2:3]
	s_cbranch_execz .LBB507_65
; %bb.64:
	v_add_u32_e32 v0, s26, v12
	v_ashrrev_i32_e32 v1, 31, v0
	v_mul_lo_u32 v2, v1, s30
	v_mul_lo_u32 v3, v0, s31
	v_mad_u64_u32 v[0:1], s[6:7], v0, s30, 0
	v_add3_u32 v1, v1, v3, v2
	v_lshl_add_u64 v[0:1], v[0:1], 2, s[10:11]
	global_load_dword v0, v[0:1], off
	s_waitcnt vmcnt(0)
	v_sub_f32_e32 v0, s12, v0
	v_mul_f32_e32 v0, 0x3fb8aa3b, v0
	v_exp_f32_e32 v20, v0
.LBB507_65:
	s_or_b64 exec, exec, s[4:5]
	v_or_b32_e32 v14, 3, v21
	v_cmp_gt_i32_e64 s[4:5], s27, v14
	s_and_saveexec_b64 s[6:7], s[4:5]
	s_cbranch_execz .LBB507_67
; %bb.66:
	v_add_u32_e32 v0, s26, v14
	v_ashrrev_i32_e32 v1, 31, v0
	v_mul_lo_u32 v2, v1, s30
	v_mul_lo_u32 v3, v0, s31
	v_mad_u64_u32 v[0:1], s[14:15], v0, s30, 0
	v_add3_u32 v1, v1, v3, v2
	v_lshl_add_u64 v[0:1], v[0:1], 2, s[10:11]
	global_load_dword v0, v[0:1], off
	s_waitcnt vmcnt(0)
	v_sub_f32_e32 v0, s12, v0
	v_mul_f32_e32 v0, 0x3fb8aa3b, v0
	v_exp_f32_e32 v17, v0
.LBB507_67:
	s_or_b64 exec, exec, s[6:7]
	s_add_u32 s6, s8, s20
	s_addc_u32 s7, s9, s21
	s_add_u32 s8, s28, s20
	v_ashrrev_i32_e32 v51, 31, v50
	v_accvgpr_read_b32 v0, a4
	s_addc_u32 s9, s29, s21
	v_lshlrev_b64 v[4:5], 1, v[50:51]
	v_accvgpr_read_b32 v1, a5
	v_accvgpr_read_b32 v2, a6
	;; [unrolled: 1-line block ×3, first 2 shown]
	v_lshl_add_u64 v[6:7], s[6:7], 0, v[4:5]
	v_lshl_add_u64 v[4:5], s[8:9], 0, v[4:5]
	v_mov_b32_e32 v11, 0
	v_lshlrev_b32_e32 v8, 8, v21
	v_mov_b32_e32 v9, 0
	s_and_saveexec_b64 s[6:7], vcc
	s_cbranch_execz .LBB507_69
; %bb.68:
	v_mov_b32_e32 v9, 0
	v_lshl_add_u64 v[24:25], v[6:7], 0, v[8:9]
	global_load_ushort v13, v[24:25], off
	v_lshl_add_u64 v[24:25], v[4:5], 0, v[8:9]
	s_waitcnt vmcnt(0)
	v_lshlrev_b32_e32 v9, 16, v13
	v_sub_f32_e32 v0, v9, v0
	global_store_short_d16_hi v[24:25], v0, off
	v_mul_f32_e32 v0, v18, v0
	v_lshrrev_b32_e32 v9, 16, v0
.LBB507_69:
	s_or_b64 exec, exec, s[6:7]
	v_lshlrev_b32_e32 v10, 8, v10
	s_and_saveexec_b64 s[6:7], s[0:1]
	s_cbranch_execz .LBB507_71
; %bb.70:
	v_mov_b32_e32 v11, 0
	v_lshl_add_u64 v[24:25], v[6:7], 0, v[10:11]
	global_load_ushort v0, v[24:25], off
	v_lshl_add_u64 v[24:25], v[4:5], 0, v[10:11]
	s_waitcnt vmcnt(0)
	v_lshlrev_b32_e32 v0, 16, v0
	v_sub_f32_e32 v0, v0, v1
	global_store_short_d16_hi v[24:25], v0, off
	v_mul_f32_e32 v0, v16, v0
	v_lshrrev_b32_e32 v11, 16, v0
.LBB507_71:
	s_or_b64 exec, exec, s[6:7]
	v_mov_b32_e32 v15, 0
	v_lshlrev_b32_e32 v12, 8, v12
	v_mov_b32_e32 v13, 0
	s_and_saveexec_b64 s[6:7], s[2:3]
	s_cbranch_execz .LBB507_73
; %bb.72:
	v_mov_b32_e32 v13, 0
	v_lshl_add_u64 v[0:1], v[6:7], 0, v[12:13]
	global_load_ushort v23, v[0:1], off
	v_lshl_add_u64 v[0:1], v[4:5], 0, v[12:13]
	s_waitcnt vmcnt(0)
	v_lshlrev_b32_e32 v13, 16, v23
	v_sub_f32_e32 v2, v13, v2
	global_store_short_d16_hi v[0:1], v2, off
	v_mul_f32_e32 v0, v20, v2
	v_lshrrev_b32_e32 v13, 16, v0
.LBB507_73:
	s_or_b64 exec, exec, s[6:7]
	v_lshlrev_b32_e32 v14, 8, v14
	s_and_saveexec_b64 s[6:7], s[4:5]
	s_cbranch_execz .LBB507_75
; %bb.74:
	v_mov_b32_e32 v15, 0
	v_lshl_add_u64 v[0:1], v[6:7], 0, v[14:15]
	global_load_ushort v2, v[0:1], off
	v_lshl_add_u64 v[0:1], v[4:5], 0, v[14:15]
	s_waitcnt vmcnt(0)
	v_lshlrev_b32_e32 v2, 16, v2
	v_sub_f32_e32 v2, v2, v3
	global_store_short_d16_hi v[0:1], v2, off
	v_mul_f32_e32 v0, v17, v2
	v_lshrrev_b32_e32 v15, 16, v0
.LBB507_75:
	s_or_b64 exec, exec, s[6:7]
	v_lshlrev_b32_e32 v21, 5, v21
	s_mov_b32 s6, 0x5040100
	v_perm_b32 v24, v11, v9, s6
	v_or_b32_e32 v9, v21, v22
	v_accvgpr_read_b32 v0, a0
	v_perm_b32 v25, v15, v13, s6
	v_lshlrev_b32_e32 v9, 1, v9
	v_accvgpr_read_b32 v1, a1
	v_accvgpr_read_b32 v2, a2
	;; [unrolled: 1-line block ×3, first 2 shown]
	ds_write_b64 v9, v[24:25] offset:45056
	v_mov_b32_e32 v11, 0
	v_mov_b32_e32 v9, 0
	s_and_saveexec_b64 s[6:7], vcc
	s_cbranch_execz .LBB507_77
; %bb.76:
	v_mov_b32_e32 v9, 0
	v_lshl_add_u64 v[22:23], v[6:7], 0, v[8:9]
	global_load_ushort v13, v[22:23], off offset:32
	v_lshl_add_u64 v[8:9], v[4:5], 0, v[8:9]
	s_waitcnt vmcnt(0)
	v_lshlrev_b32_e32 v13, 16, v13
	v_sub_f32_e32 v0, v13, v0
	global_store_short_d16_hi v[8:9], v0, off offset:32
	v_mul_f32_e32 v0, v18, v0
	v_lshrrev_b32_e32 v9, 16, v0
.LBB507_77:
	s_or_b64 exec, exec, s[6:7]
	s_and_saveexec_b64 s[6:7], s[0:1]
	s_cbranch_execz .LBB507_79
; %bb.78:
	v_mov_b32_e32 v11, 0
	v_lshl_add_u64 v[22:23], v[6:7], 0, v[10:11]
	global_load_ushort v0, v[22:23], off offset:32
	v_lshl_add_u64 v[10:11], v[4:5], 0, v[10:11]
	s_waitcnt vmcnt(0)
	v_lshlrev_b32_e32 v0, 16, v0
	v_sub_f32_e32 v0, v0, v1
	global_store_short_d16_hi v[10:11], v0, off offset:32
	v_mul_f32_e32 v0, v16, v0
	v_lshrrev_b32_e32 v11, 16, v0
.LBB507_79:
	s_or_b64 exec, exec, s[6:7]
	v_mov_b32_e32 v0, 0
	v_mov_b32_e32 v1, 0
	s_and_saveexec_b64 s[0:1], s[2:3]
	s_cbranch_execz .LBB507_81
; %bb.80:
	v_mov_b32_e32 v13, 0
	v_lshl_add_u64 v[22:23], v[6:7], 0, v[12:13]
	global_load_ushort v1, v[22:23], off offset:32
	v_lshl_add_u64 v[12:13], v[4:5], 0, v[12:13]
	s_waitcnt vmcnt(0)
	v_lshlrev_b32_e32 v1, 16, v1
	v_sub_f32_e32 v1, v1, v2
	global_store_short_d16_hi v[12:13], v1, off offset:32
	v_mul_f32_e32 v1, v20, v1
	v_lshrrev_b32_e32 v1, 16, v1
.LBB507_81:
	s_or_b64 exec, exec, s[0:1]
	s_and_saveexec_b64 s[0:1], s[4:5]
	s_cbranch_execz .LBB507_83
; %bb.82:
	v_mov_b32_e32 v15, 0
	v_lshl_add_u64 v[6:7], v[6:7], 0, v[14:15]
	global_load_ushort v0, v[6:7], off offset:32
	v_lshl_add_u64 v[4:5], v[4:5], 0, v[14:15]
	s_waitcnt vmcnt(0)
	v_lshlrev_b32_e32 v0, 16, v0
	v_sub_f32_e32 v0, v0, v3
	global_store_short_d16_hi v[4:5], v0, off offset:32
	v_mul_f32_e32 v0, v17, v0
	v_lshrrev_b32_e32 v0, 16, v0
.LBB507_83:
	s_or_b64 exec, exec, s[0:1]
	s_mov_b32 s0, 0x5040100
	v_or_b32_e32 v2, v21, v19
	v_perm_b32 v1, v0, v1, s0
	v_perm_b32 v0, v11, v9, s0
	v_lshlrev_b32_e32 v2, 1, v2
	ds_write_b64 v2, v[0:1] offset:45056
	s_waitcnt lgkmcnt(0)
	s_barrier
.LBB507_84:
	s_endpgm
	.section	.rodata,"a",@progbits
	.p2align	6, 0x0
	.amdhsa_kernel _ZN12_GLOBAL__N_139chunk_gated_delta_rule_fwd_h_hip_kernelILi32ELb1ELb0ELb1ELb0ELb0ELb0ELb0ELb0EEEvPK12hip_bfloat16S3_S3_PKfS5_PKvPS1_S8_PvPKiSB_iiiiilll
		.amdhsa_group_segment_fixed_size 49152
		.amdhsa_private_segment_fixed_size 0
		.amdhsa_kernarg_size 136
		.amdhsa_user_sgpr_count 2
		.amdhsa_user_sgpr_dispatch_ptr 0
		.amdhsa_user_sgpr_queue_ptr 0
		.amdhsa_user_sgpr_kernarg_segment_ptr 1
		.amdhsa_user_sgpr_dispatch_id 0
		.amdhsa_user_sgpr_kernarg_preload_length 0
		.amdhsa_user_sgpr_kernarg_preload_offset 0
		.amdhsa_user_sgpr_private_segment_size 0
		.amdhsa_uses_dynamic_stack 0
		.amdhsa_enable_private_segment 0
		.amdhsa_system_sgpr_workgroup_id_x 1
		.amdhsa_system_sgpr_workgroup_id_y 1
		.amdhsa_system_sgpr_workgroup_id_z 0
		.amdhsa_system_sgpr_workgroup_info 0
		.amdhsa_system_vgpr_workitem_id 0
		.amdhsa_next_free_vgpr 156
		.amdhsa_next_free_sgpr 70
		.amdhsa_accum_offset 136
		.amdhsa_reserve_vcc 1
		.amdhsa_float_round_mode_32 0
		.amdhsa_float_round_mode_16_64 0
		.amdhsa_float_denorm_mode_32 3
		.amdhsa_float_denorm_mode_16_64 3
		.amdhsa_dx10_clamp 1
		.amdhsa_ieee_mode 1
		.amdhsa_fp16_overflow 0
		.amdhsa_tg_split 0
		.amdhsa_exception_fp_ieee_invalid_op 0
		.amdhsa_exception_fp_denorm_src 0
		.amdhsa_exception_fp_ieee_div_zero 0
		.amdhsa_exception_fp_ieee_overflow 0
		.amdhsa_exception_fp_ieee_underflow 0
		.amdhsa_exception_fp_ieee_inexact 0
		.amdhsa_exception_int_div_zero 0
	.end_amdhsa_kernel
	.section	.text._ZN12_GLOBAL__N_139chunk_gated_delta_rule_fwd_h_hip_kernelILi32ELb1ELb0ELb1ELb0ELb0ELb0ELb0ELb0EEEvPK12hip_bfloat16S3_S3_PKfS5_PKvPS1_S8_PvPKiSB_iiiiilll,"axG",@progbits,_ZN12_GLOBAL__N_139chunk_gated_delta_rule_fwd_h_hip_kernelILi32ELb1ELb0ELb1ELb0ELb0ELb0ELb0ELb0EEEvPK12hip_bfloat16S3_S3_PKfS5_PKvPS1_S8_PvPKiSB_iiiiilll,comdat
.Lfunc_end507:
	.size	_ZN12_GLOBAL__N_139chunk_gated_delta_rule_fwd_h_hip_kernelILi32ELb1ELb0ELb1ELb0ELb0ELb0ELb0ELb0EEEvPK12hip_bfloat16S3_S3_PKfS5_PKvPS1_S8_PvPKiSB_iiiiilll, .Lfunc_end507-_ZN12_GLOBAL__N_139chunk_gated_delta_rule_fwd_h_hip_kernelILi32ELb1ELb0ELb1ELb0ELb0ELb0ELb0ELb0EEEvPK12hip_bfloat16S3_S3_PKfS5_PKvPS1_S8_PvPKiSB_iiiiilll
                                        ; -- End function
	.section	.AMDGPU.csdata,"",@progbits
; Kernel info:
; codeLenInByte = 8704
; NumSgprs: 76
; NumVgprs: 134
; NumAgprs: 20
; TotalNumVgprs: 156
; ScratchSize: 0
; MemoryBound: 0
; FloatMode: 240
; IeeeMode: 1
; LDSByteSize: 49152 bytes/workgroup (compile time only)
; SGPRBlocks: 9
; VGPRBlocks: 19
; NumSGPRsForWavesPerEU: 76
; NumVGPRsForWavesPerEU: 156
; AccumOffset: 136
; Occupancy: 1
; WaveLimiterHint : 1
; COMPUTE_PGM_RSRC2:SCRATCH_EN: 0
; COMPUTE_PGM_RSRC2:USER_SGPR: 2
; COMPUTE_PGM_RSRC2:TRAP_HANDLER: 0
; COMPUTE_PGM_RSRC2:TGID_X_EN: 1
; COMPUTE_PGM_RSRC2:TGID_Y_EN: 1
; COMPUTE_PGM_RSRC2:TGID_Z_EN: 0
; COMPUTE_PGM_RSRC2:TIDIG_COMP_CNT: 0
; COMPUTE_PGM_RSRC3_GFX90A:ACCUM_OFFSET: 33
; COMPUTE_PGM_RSRC3_GFX90A:TG_SPLIT: 0
	.section	.text._ZN12_GLOBAL__N_139chunk_gated_delta_rule_fwd_h_hip_kernelILi32ELb1ELb0ELb0ELb0ELb0ELb0ELb0ELb0EEEvPK12hip_bfloat16S3_S3_PKfS5_PKvPS1_S8_PvPKiSB_iiiiilll,"axG",@progbits,_ZN12_GLOBAL__N_139chunk_gated_delta_rule_fwd_h_hip_kernelILi32ELb1ELb0ELb0ELb0ELb0ELb0ELb0ELb0EEEvPK12hip_bfloat16S3_S3_PKfS5_PKvPS1_S8_PvPKiSB_iiiiilll,comdat
	.globl	_ZN12_GLOBAL__N_139chunk_gated_delta_rule_fwd_h_hip_kernelILi32ELb1ELb0ELb0ELb0ELb0ELb0ELb0ELb0EEEvPK12hip_bfloat16S3_S3_PKfS5_PKvPS1_S8_PvPKiSB_iiiiilll ; -- Begin function _ZN12_GLOBAL__N_139chunk_gated_delta_rule_fwd_h_hip_kernelILi32ELb1ELb0ELb0ELb0ELb0ELb0ELb0ELb0EEEvPK12hip_bfloat16S3_S3_PKfS5_PKvPS1_S8_PvPKiSB_iiiiilll
	.p2align	8
	.type	_ZN12_GLOBAL__N_139chunk_gated_delta_rule_fwd_h_hip_kernelILi32ELb1ELb0ELb0ELb0ELb0ELb0ELb0ELb0EEEvPK12hip_bfloat16S3_S3_PKfS5_PKvPS1_S8_PvPKiSB_iiiiilll,@function
_ZN12_GLOBAL__N_139chunk_gated_delta_rule_fwd_h_hip_kernelILi32ELb1ELb0ELb0ELb0ELb0ELb0ELb0ELb0EEEvPK12hip_bfloat16S3_S3_PKfS5_PKvPS1_S8_PvPKiSB_iiiiilll: ; @_ZN12_GLOBAL__N_139chunk_gated_delta_rule_fwd_h_hip_kernelILi32ELb1ELb0ELb0ELb0ELb0ELb0ELb0ELb0EEEvPK12hip_bfloat16S3_S3_PKfS5_PKvPS1_S8_PvPKiSB_iiiiilll
; %bb.0:
	s_load_dwordx4 s[12:15], s[0:1], 0x5c
	s_load_dwordx4 s[16:19], s[0:1], 0x28
	s_abs_i32 s6, s3
	s_ashr_i32 s5, s3, 31
	v_and_b32_e32 v61, 15, v0
	s_waitcnt lgkmcnt(0)
	s_abs_i32 s4, s13
	v_cvt_f32_u32_e32 v1, s4
	s_sub_i32 s8, 0, s4
	s_ashr_i32 s7, s13, 31
	s_xor_b32 s5, s5, s7
	v_rcp_iflag_f32_e32 v1, v1
	v_lshrrev_b32_e32 v59, 6, v0
	v_bfe_u32 v60, v0, 4, 2
	v_mov_b32_e32 v7, 0
	v_mul_f32_e32 v1, 0x4f7ffffe, v1
	v_cvt_u32_f32_e32 v1, v1
	v_and_b32_e32 v58, 63, v0
	v_lshrrev_b32_e32 v63, 3, v58
	v_lshlrev_b32_e32 v62, 3, v0
	v_readfirstlane_b32 s9, v1
	s_mul_i32 s8, s8, s9
	s_mul_hi_u32 s8, s9, s8
	s_add_i32 s9, s9, s8
	s_mul_hi_u32 s8, s6, s9
	s_mul_i32 s9, s8, s4
	s_sub_i32 s6, s6, s9
	s_add_i32 s10, s8, 1
	s_sub_i32 s9, s6, s4
	s_cmp_ge_u32 s6, s4
	s_cselect_b32 s8, s10, s8
	s_cselect_b32 s6, s9, s6
	s_add_i32 s9, s8, 1
	s_cmp_ge_u32 s6, s4
	s_cselect_b32 s6, s9, s8
	s_xor_b32 s6, s6, s5
	s_sub_i32 s48, s6, s5
	s_mul_i32 s6, s48, s13
	s_sub_i32 s46, s3, s6
	s_abs_i32 s3, s14
	v_cvt_f32_u32_e32 v1, s3
	s_add_i32 s8, s12, 63
	s_ashr_i32 s9, s8, 31
	s_lshr_b32 s5, s9, 26
	v_rcp_iflag_f32_e32 v1, v1
	s_ashr_i32 s47, s12, 31
	s_add_i32 s8, s8, s5
	s_lshr_b32 s5, s47, 26
	v_mul_f32_e32 v1, 0x4f7ffffe, v1
	v_cvt_u32_f32_e32 v1, v1
	s_add_i32 s5, s12, s5
	s_ashr_i32 s51, s14, 31
	s_ashr_i32 s24, s8, 6
	;; [unrolled: 1-line block ×3, first 2 shown]
	s_xor_b32 s5, s7, s51
	s_sub_i32 s7, 0, s3
	v_readfirstlane_b32 s8, v1
	s_mul_i32 s7, s7, s8
	s_mul_hi_u32 s7, s8, s7
	s_add_i32 s8, s8, s7
	s_mul_hi_u32 s7, s4, s8
	s_mul_i32 s8, s7, s3
	s_sub_i32 s4, s4, s8
	s_lshl_b32 s2, s2, 5
	s_add_i32 s8, s7, 1
	s_sub_i32 s9, s4, s3
	s_cmp_ge_u32 s4, s3
	s_cselect_b32 s7, s8, s7
	s_cselect_b32 s4, s9, s4
	s_add_i32 s8, s7, 1
	s_cmp_ge_u32 s4, s3
	s_cselect_b32 s3, s8, s7
	s_xor_b32 s3, s3, s5
	s_sub_i32 s3, s3, s5
	s_abs_i32 s4, s3
	v_cvt_f32_u32_e32 v1, s4
	s_sub_i32 s7, 0, s4
	s_abs_i32 s5, s46
	s_xor_b32 s3, s46, s3
	v_rcp_iflag_f32_e32 v1, v1
	s_ashr_i32 s3, s3, 31
	v_or_b32_e32 v50, s2, v61
	v_lshlrev_b32_e32 v2, 7, v50
	v_mul_f32_e32 v1, 0x4f7ffffe, v1
	v_cvt_u32_f32_e32 v1, v1
	v_ashrrev_i32_e32 v3, 31, v2
	s_mul_i32 s53, s48, s24
	v_readfirstlane_b32 s8, v1
	s_mul_i32 s7, s7, s8
	s_mul_hi_u32 s7, s8, s7
	s_add_i32 s8, s8, s7
	s_mul_hi_u32 s7, s5, s8
	s_mul_i32 s8, s7, s4
	s_sub_i32 s5, s5, s8
	s_add_i32 s8, s7, 1
	s_sub_i32 s9, s5, s4
	s_cmp_ge_u32 s5, s4
	s_cselect_b32 s7, s8, s7
	s_cselect_b32 s5, s9, s5
	s_add_i32 s8, s7, 1
	s_cmp_ge_u32 s5, s4
	s_cselect_b32 s4, s8, s7
	s_xor_b32 s4, s4, s3
	s_sub_i32 s52, s4, s3
	s_ashr_i32 s3, s48, 31
	s_ashr_i32 s50, s46, 31
	s_mul_hi_i32 s4, s48, s13
	s_add_u32 s36, s6, s46
	s_addc_u32 s37, s4, s50
	s_lshl_b64 s[4:5], s[36:37], 16
	s_add_u32 s4, s16, s4
	s_addc_u32 s5, s17, s5
	v_lshlrev_b32_e32 v1, 4, v59
	v_lshl_add_u64 v[4:5], v[2:3], 2, s[4:5]
	v_or_b32_e32 v2, 0x800, v2
	v_lshl_or_b32 v64, v60, 2, v1
	v_ashrrev_i32_e32 v3, 31, v2
	v_lshlrev_b32_e32 v6, 2, v64
	v_lshl_add_u64 v[2:3], v[2:3], 2, s[4:5]
	v_lshl_add_u64 v[4:5], v[4:5], 0, v[6:7]
	;; [unrolled: 1-line block ×3, first 2 shown]
	global_load_dwordx4 v[14:17], v[4:5], off
	global_load_dwordx4 v[10:13], v[4:5], off offset:256
	global_load_dwordx4 v[6:9], v[18:19], off
	s_nop 0
	global_load_dwordx4 v[2:5], v[18:19], off offset:256
	s_load_dwordx8 s[4:11], s[0:1], 0x0
	s_load_dwordx2 s[28:29], s[0:1], 0x80
	s_load_dwordx4 s[20:23], s[0:1], 0x70
	v_or_b32_e32 v65, 64, v64
	s_cmp_lt_i32 s12, 64
	s_mul_i32 s54, s37, s12
	s_mul_hi_u32 s55, s36, s12
	s_mul_i32 s16, s36, s12
	s_waitcnt lgkmcnt(0)
	s_mul_i32 s33, s48, s21
	s_mul_hi_u32 s42, s48, s20
	s_mul_i32 s43, s3, s20
	s_mul_i32 s30, s48, s20
	;; [unrolled: 1-line block ×3, first 2 shown]
	s_mul_hi_u32 s44, s46, s22
	s_mul_i32 s45, s50, s22
	s_mul_i32 s34, s46, s22
	s_cbranch_scc1 .LBB508_3
; %bb.1:
	s_add_i32 s17, s55, s54
	s_lshl_b64 s[0:1], s[16:17], 8
	v_and_b32_e32 v67, 56, v62
	s_add_u32 s20, s6, s0
	v_lshl_or_b32 v66, v59, 3, v63
	v_lshlrev_b32_e32 v18, 1, v67
	s_addc_u32 s0, s7, s1
	v_lshl_or_b32 v68, v66, 8, v18
	s_and_b32 s21, s0, 0xffff
	s_mov_b32 s23, 0x20000
	s_movk_i32 s22, 0x4000
	s_movk_i32 s0, 0x80
	v_or_b32_e32 v69, 0x2000, v68
	buffer_load_dwordx4 v[20:23], v68, s[20:23], 0 offen
	buffer_load_dwordx4 v[24:27], v68, s[20:23], s0 offen
	;; [unrolled: 1-line block ×4, first 2 shown]
	v_lshlrev_b32_e32 v19, 3, v66
	v_and_or_b32 v37, v0, 7, v19
	v_and_b32_e32 v19, 0x78, v19
	v_lshlrev_b32_e32 v37, 4, v37
	v_xor_b32_e32 v70, v37, v19
	v_mul_lo_u32 v36, v66, s15
	v_or_b32_e32 v71, 0x1000, v70
	v_xor_b32_e32 v19, 8, v70
	s_cmpk_eq_i32 s15, 0x80
	s_mov_b32 s56, s14
	v_xor_b32_e32 v37, 8, v71
	s_cselect_b64 s[0:1], -1, 0
	s_cmpk_lg_i32 s15, 0x80
	s_waitcnt vmcnt(3)
	ds_write_b64 v70, v[20:21] offset:24576
	ds_write_b64 v19, v[22:23] offset:24576
	s_waitcnt vmcnt(2)
	ds_write_b64 v70, v[24:25] offset:32768
	ds_write_b64 v19, v[26:27] offset:32768
	;; [unrolled: 3-line block ×4, first 2 shown]
	v_lshl_add_u32 v19, v36, 1, v67
	s_cbranch_scc0 .LBB508_29
; %bb.2:
	v_lshlrev_b32_e32 v21, 1, v19
	v_add_lshl_u32 v20, v19, s15, 1
	s_lshl_b32 s22, s15, 7
	v_lshl_or_b32 v18, v66, 9, v18
	s_cbranch_execz .LBB508_30
	s_branch .LBB508_31
.LBB508_3:
	s_waitcnt vmcnt(0)
	v_mov_b32_e32 v19, v5
	v_mov_b32_e32 v18, v9
	;; [unrolled: 1-line block ×4, first 2 shown]
.LBB508_4:
	s_lshl_b32 s26, s49, 6
	s_sub_i32 s27, s12, s26
	s_cmp_gt_i32 s27, 0
	s_cbranch_scc0 .LBB508_84
; %bb.5:
	s_ashr_i32 s3, s26, 31
	s_cmpk_lg_i32 s15, 0x80
	s_cselect_b64 s[22:23], -1, 0
	s_and_b64 vcc, exec, s[22:23]
	s_cbranch_vccz .LBB508_7
; %bb.6:
	s_mul_i32 s1, s48, s12
	s_mul_hi_i32 s0, s48, s12
	s_add_u32 s1, s1, s26
	s_addc_u32 s0, s0, s3
	s_mul_i32 s17, s1, s51
	s_mul_hi_u32 s20, s1, s14
	s_add_i32 s17, s20, s17
	s_mul_i32 s0, s0, s14
	s_add_i32 s17, s17, s0
	s_mul_i32 s1, s1, s14
	s_ashr_i32 s0, s52, 31
	s_add_u32 s24, s1, s52
	s_addc_u32 s25, s17, s0
	s_cbranch_execz .LBB508_8
	s_branch .LBB508_9
.LBB508_7:
                                        ; implicit-def: $sgpr24_sgpr25
.LBB508_8:
	s_mul_hi_i32 s0, s48, s14
	s_mul_i32 s48, s48, s14
	s_ashr_i32 s1, s52, 31
	s_add_u32 s14, s48, s52
	s_addc_u32 s0, s0, s1
	s_mul_i32 s1, s14, s47
	s_mul_hi_u32 s17, s14, s12
	s_add_i32 s1, s17, s1
	s_mul_i32 s0, s0, s12
	s_add_i32 s1, s1, s0
	s_mul_i32 s14, s14, s12
	s_add_u32 s24, s14, s26
	s_addc_u32 s25, s1, s3
.LBB508_9:
	s_mul_i32 s0, s36, s47
	s_add_i32 s0, s55, s0
	s_add_i32 s14, s53, s49
	;; [unrolled: 1-line block ×3, first 2 shown]
	s_add_u32 s0, s16, s26
	s_addc_u32 s1, s1, s3
	v_lshlrev_b32_e32 v21, 5, v64
	v_lshlrev_b32_e32 v22, 2, v61
	s_mov_b32 s3, 0x7060302
	v_xor_b32_e32 v5, v64, v22
	v_xor_b32_e32 v23, v65, v22
	v_perm_b32 v13, v9, v12, s3
	v_or_b32_e32 v9, v21, v22
	s_lshl_b64 s[20:21], s[0:1], 8
	v_perm_b32 v17, v20, v16, s3
	v_perm_b32 v16, v15, v14, s3
	;; [unrolled: 1-line block ×3, first 2 shown]
	v_lshlrev_b32_e32 v9, 1, v9
	v_lshlrev_b32_e32 v10, 1, v5
	;; [unrolled: 1-line block ×4, first 2 shown]
	s_add_u32 s0, s6, s20
	ds_write2st64_b64 v9, v[16:17], v[12:13] offset0:80 offset1:88
	v_or_b32_e32 v9, v10, v5
	v_or_b32_e32 v5, v11, v5
	s_addc_u32 s1, s7, s21
	ds_write_b64 v9, v[16:17]
	ds_write_b64 v5, v[12:13]
	v_perm_b32 v9, v18, v8, s3
	v_perm_b32 v8, v7, v6, s3
	;; [unrolled: 1-line block ×4, first 2 shown]
	s_mul_hi_i32 s3, s14, s13
	s_mul_i32 s14, s14, s13
	s_add_u32 s6, s14, s46
	v_or_b32_e32 v2, 16, v61
	s_addc_u32 s7, s3, s50
	v_lshlrev_b32_e32 v19, 2, v2
	s_ashr_i32 s3, s2, 31
	s_lshl_b64 s[6:7], s[6:7], 15
	v_or_b32_e32 v3, v21, v19
	s_add_u32 s6, s18, s6
	v_lshlrev_b32_e32 v3, 1, v3
	v_lshlrev_b32_e32 v2, 8, v2
	s_addc_u32 s7, s19, s7
	s_lshl_b64 s[2:3], s[2:3], 8
	ds_write2st64_b64 v3, v[8:9], v[4:5] offset0:80 offset1:88
	v_or_b32_e32 v3, v10, v2
	v_or_b32_e32 v2, v11, v2
	s_add_u32 s2, s6, s2
	ds_write_b64 v3, v[8:9]
	ds_write_b64 v2, v[4:5]
	v_lshrrev_b32_e32 v2, 4, v0
	s_addc_u32 s3, s7, s3
	v_lshlrev_b32_e32 v3, 1, v61
	v_lshlrev_b32_e32 v10, 4, v61
	v_mov_b32_e32 v11, 0
	v_or_b32_e32 v4, 1, v3
	v_xor_b32_e32 v3, v2, v3
	v_lshl_add_u64 v[12:13], s[2:3], 0, v[10:11]
	v_lshlrev_b32_e32 v10, 8, v2
	v_xor_b32_e32 v6, v4, v2
	v_lshl_or_b32 v2, v3, 3, v10
	s_waitcnt lgkmcnt(0)
	s_barrier
	ds_read2st64_b64 v[2:5], v2 offset1:8
	v_lshl_or_b32 v6, v6, 3, v10
	ds_read2st64_b64 v[6:9], v6 offset1:8
	v_lshl_add_u64 v[14:15], v[12:13], 0, v[10:11]
	s_movk_i32 s2, 0x1000
	s_waitcnt lgkmcnt(1)
	v_mov_b32_e32 v10, v2
	v_add_co_u32_e32 v2, vcc, s2, v14
	s_cmp_lg_u32 s27, 64
	v_mov_b32_e32 v11, v3
	v_addc_co_u32_e32 v3, vcc, 0, v15, vcc
	s_cselect_b64 s[6:7], -1, 0
	v_lshl_or_b32 v23, v59, 3, v63
	s_waitcnt lgkmcnt(0)
	v_mov_b32_e32 v12, v6
	v_mov_b32_e32 v13, v7
	;; [unrolled: 1-line block ×4, first 2 shown]
	s_mov_b32 s16, 0
	v_or_b32_e32 v20, 32, v23
	v_and_b32_e32 v18, 56, v62
	s_and_b64 vcc, exec, s[6:7]
	global_store_dwordx4 v[14:15], v[10:13], off
	global_store_dwordx4 v[2:3], v[6:9], off
	s_cbranch_vccz .LBB508_15
; %bb.10:
	s_mov_b32 s17, s16
	s_mov_b32 s18, s16
	;; [unrolled: 1-line block ×3, first 2 shown]
	v_mov_b64_e32 v[6:7], s[16:17]
	v_mov_b64_e32 v[8:9], s[18:19]
	;; [unrolled: 1-line block ×3, first 2 shown]
	v_cmp_gt_i32_e32 vcc, s27, v23
	v_mov_b64_e32 v[4:5], v[8:9]
	s_and_saveexec_b64 s[2:3], vcc
	s_cbranch_execz .LBB508_12
; %bb.11:
	v_lshlrev_b32_e32 v2, 8, v23
	v_mov_b32_e32 v3, 0
	v_lshl_add_u64 v[4:5], s[0:1], 0, v[2:3]
	v_lshlrev_b32_e32 v2, 1, v18
	v_lshl_add_u64 v[10:11], v[4:5], 0, v[2:3]
	global_load_dwordx4 v[6:9], v[10:11], off
	global_load_dwordx4 v[2:5], v[10:11], off offset:128
.LBB508_12:
	s_or_b64 exec, exec, s[2:3]
	s_mov_b32 s17, s16
	s_mov_b32 s18, s16
	;; [unrolled: 1-line block ×3, first 2 shown]
	v_mov_b64_e32 v[14:15], s[16:17]
	v_mov_b64_e32 v[16:17], s[18:19]
	;; [unrolled: 1-line block ×3, first 2 shown]
	v_cmp_gt_i32_e32 vcc, s27, v20
	v_lshlrev_b32_e32 v21, 7, v20
	v_mov_b64_e32 v[12:13], v[16:17]
	s_and_saveexec_b64 s[2:3], vcc
	s_cbranch_execz .LBB508_14
; %bb.13:
	v_lshlrev_b32_e32 v10, 1, v21
	v_mov_b32_e32 v11, 0
	v_lshl_add_u64 v[12:13], s[0:1], 0, v[10:11]
	v_lshlrev_b32_e32 v10, 1, v18
	v_lshl_add_u64 v[24:25], v[12:13], 0, v[10:11]
	global_load_dwordx4 v[14:17], v[24:25], off
	global_load_dwordx4 v[10:13], v[24:25], off offset:128
.LBB508_14:
	s_or_b64 exec, exec, s[2:3]
	v_lshrrev_b32_e32 v24, 3, v18
	v_lshlrev_b32_e32 v25, 3, v23
	v_or_b32_e32 v24, v25, v24
	v_lshlrev_b32_e32 v24, 4, v24
	v_and_b32_e32 v25, 0x78, v25
	v_xor_b32_e32 v24, v24, v25
	s_branch .LBB508_17
.LBB508_15:
                                        ; implicit-def: $vgpr24
                                        ; implicit-def: $vgpr21
                                        ; implicit-def: $vgpr6_vgpr7_vgpr8_vgpr9
                                        ; implicit-def: $vgpr2_vgpr3_vgpr4_vgpr5
                                        ; implicit-def: $vgpr14_vgpr15_vgpr16_vgpr17
                                        ; implicit-def: $vgpr10_vgpr11_vgpr12_vgpr13
	s_cbranch_execz .LBB508_17
; %bb.16:
	s_waitcnt vmcnt(0)
	v_lshlrev_b32_e32 v2, 1, v18
	v_lshl_or_b32 v21, v23, 8, v2
	s_and_b32 s1, s1, 0xffff
	s_mov_b32 s3, 0x20000
	s_movk_i32 s2, 0x4000
	v_lshl_or_b32 v24, v20, 8, v2
	s_movk_i32 s13, 0x80
	buffer_load_dwordx4 v[6:9], v21, s[0:3], 0 offen
	buffer_load_dwordx4 v[2:5], v21, s[0:3], s13 offen
	;; [unrolled: 1-line block ×4, first 2 shown]
	v_lshrrev_b32_e32 v21, 3, v18
	v_lshlrev_b32_e32 v24, 3, v23
	v_or_b32_e32 v21, v24, v21
	v_lshlrev_b32_e32 v21, 4, v21
	v_and_b32_e32 v24, 0x78, v24
	v_xor_b32_e32 v24, v21, v24
	v_lshlrev_b32_e32 v21, 7, v20
.LBB508_17:
	s_lshl_b64 s[0:1], s[24:25], 8
	s_add_u32 s4, s4, s0
	s_movk_i32 s0, 0x1000
	v_and_or_b32 v20, v21, s0, v24
	s_waitcnt vmcnt(1)
	ds_write_b64 v24, v[6:7] offset:24576
	v_xor_b32_e32 v6, 8, v24
	ds_write_b64 v6, v[8:9] offset:24576
	s_waitcnt vmcnt(0)
	ds_write_b64 v24, v[2:3] offset:32768
	ds_write_b64 v6, v[4:5] offset:32768
	;; [unrolled: 1-line block ×3, first 2 shown]
	v_xor_b32_e32 v2, 8, v20
	ds_write_b64 v2, v[16:17] offset:24576
	ds_write_b64 v20, v[10:11] offset:32768
	ds_write_b64 v2, v[12:13] offset:32768
	v_or_b32_e32 v2, v1, v61
	v_lshlrev_b32_e32 v3, 11, v59
	v_lshlrev_b32_e32 v2, 3, v2
	v_and_b32_e32 v6, 0x1000, v3
	v_lshrrev_b32_e32 v3, 5, v58
	s_movk_i32 s3, 0xf8
	v_and_or_b32 v3, v2, s3, v3
	v_lshlrev_b32_e32 v7, 4, v3
	v_and_b32_e32 v8, 0x78, v2
	v_or_b32_e32 v10, 32, v7
	v_lshrrev_b32_e32 v3, 1, v58
	v_xor_b32_e32 v10, v10, v8
	v_xor_b32_e32 v2, v7, v8
	v_and_b32_e32 v9, 8, v3
	v_or_b32_e32 v10, v10, v6
	v_or_b32_e32 v2, v2, v6
	v_xor_b32_e32 v26, v10, v9
	v_or_b32_e32 v10, 64, v7
	v_xor_b32_e32 v25, v2, v9
	v_xor_b32_e32 v10, v10, v8
	s_waitcnt lgkmcnt(0)
	s_barrier
	v_or_b32_e32 v12, v10, v6
	ds_read_b64 v[10:11], v25 offset:24576
	v_lshl_or_b32 v20, v60, 7, v22
	v_lshlrev_b32_e32 v24, 1, v20
	v_add_u32_e32 v2, 0xa000, v24
	ds_read2_b64 v[2:5], v2 offset1:16
	v_or_b32_e32 v7, 0x60, v7
	v_xor_b32_e32 v7, v7, v8
	s_waitcnt lgkmcnt(0)
	v_mfma_f32_16x16x16_bf16 a[0:3], v[10:11], v[2:3], 0
	v_or_b32_e32 v2, 64, v20
	v_or_b32_e32 v6, v7, v6
	v_lshlrev_b32_e32 v29, 1, v2
	v_xor_b32_e32 v27, v12, v9
	v_xor_b32_e32 v28, v6, v9
	ds_read_b64 v[12:13], v26 offset:24576
	ds_read_b64 v[14:15], v27 offset:24576
	;; [unrolled: 1-line block ×3, first 2 shown]
	v_mfma_f32_16x16x16_bf16 a[4:7], v[10:11], v[4:5], 0
	ds_read2st64_b64 v[2:5], v29 offset0:82 offset1:84
	ds_read2st64_b64 v[6:9], v24 offset0:82 offset1:84
	s_addc_u32 s5, s5, s1
	s_add_i32 s1, s42, s33
	s_add_i32 s0, s12, -1
	s_add_i32 s31, s1, s43
	s_add_i32 s1, s44, s37
	;; [unrolled: 1-line block ×3, first 2 shown]
	s_ashr_i32 s1, s0, 31
	s_mul_i32 s2, s0, s29
	s_mul_hi_u32 s3, s0, s28
	s_add_i32 s2, s3, s2
	s_mul_i32 s1, s1, s28
	s_waitcnt lgkmcnt(1)
	v_mfma_f32_16x16x16_bf16 a[4:7], v[12:13], v[2:3], a[4:7]
	s_add_i32 s1, s2, s1
	s_lshl_b64 s[2:3], s[30:31], 2
	s_add_u32 s10, s10, s2
	s_waitcnt lgkmcnt(0)
	v_mfma_f32_16x16x16_bf16 a[0:3], v[12:13], v[6:7], a[0:3]
	s_addc_u32 s11, s11, s3
	s_lshl_b64 s[2:3], s[34:35], 2
	s_mul_i32 s0, s0, s28
	s_add_u32 s10, s10, s2
	ds_read_b64 v[2:3], v24 offset:44032
	v_mfma_f32_16x16x16_bf16 a[4:7], v[14:15], v[4:5], a[4:7]
	ds_read_b64 v[4:5], v29 offset:44032
	s_addc_u32 s11, s11, s3
	s_lshl_b64 s[0:1], s[0:1], 2
	v_mfma_f32_16x16x16_bf16 a[0:3], v[14:15], v[8:9], a[0:3]
	s_add_u32 s0, s10, s0
	s_addc_u32 s1, s11, s1
	s_load_dword s12, s[0:1], 0x0
	s_waitcnt lgkmcnt(0)
	v_mfma_f32_16x16x16_bf16 a[0:3], v[16:17], v[2:3], a[0:3]
	s_and_b64 vcc, exec, s[22:23]
	v_mfma_f32_16x16x16_bf16 a[4:7], v[16:17], v[4:5], a[4:7]
	s_cbranch_vccz .LBB508_28
; %bb.18:
	v_lshlrev_b32_e32 v20, 1, v23
	s_and_b64 vcc, exec, s[6:7]
	s_cbranch_vccz .LBB508_44
; %bb.19:
	v_cmp_gt_i32_e32 vcc, s27, v20
	v_mov_b32_e32 v6, 0
	v_mov_b32_e32 v2, 0
	;; [unrolled: 1-line block ×5, first 2 shown]
	s_and_saveexec_b64 s[0:1], vcc
	s_cbranch_execz .LBB508_21
; %bb.20:
	v_mad_i64_i32 v[2:3], s[2:3], s15, v20, 0
	v_lshl_add_u64 v[2:3], v[2:3], 1, s[4:5]
	v_lshlrev_b32_e32 v4, 1, v18
	v_mov_b32_e32 v5, 0
	v_lshl_add_u64 v[2:3], v[2:3], 0, v[4:5]
	global_load_dwordx4 v[2:5], v[2:3], off
.LBB508_21:
	s_or_b64 exec, exec, s[0:1]
	v_or_b32_e32 v21, 1, v20
	v_cmp_gt_i32_e64 s[0:1], s27, v21
	v_mov_b32_e32 v7, 0
	v_mov_b32_e32 v8, 0
	;; [unrolled: 1-line block ×3, first 2 shown]
	s_and_saveexec_b64 s[2:3], s[0:1]
	s_cbranch_execz .LBB508_23
; %bb.22:
	v_mad_i64_i32 v[6:7], s[16:17], s15, v21, 0
	v_lshl_add_u64 v[6:7], v[6:7], 1, s[4:5]
	v_lshlrev_b32_e32 v8, 1, v18
	v_mov_b32_e32 v9, 0
	v_lshl_add_u64 v[6:7], v[6:7], 0, v[8:9]
	global_load_dwordx4 v[6:9], v[6:7], off
.LBB508_23:
	s_or_b64 exec, exec, s[2:3]
	v_mov_b32_e32 v17, 0
	v_mov_b32_e32 v10, 0
	;; [unrolled: 1-line block ×5, first 2 shown]
	s_and_saveexec_b64 s[2:3], vcc
	s_cbranch_execz .LBB508_25
; %bb.24:
	v_mad_i64_i32 v[10:11], s[16:17], s15, v20, 0
	v_lshl_add_u64 v[10:11], v[10:11], 1, s[4:5]
	v_lshlrev_b32_e32 v12, 1, v18
	v_mov_b32_e32 v13, 0
	v_lshl_add_u64 v[10:11], v[10:11], 0, v[12:13]
	global_load_dwordx4 v[10:13], v[10:11], off offset:128
.LBB508_25:
	s_or_b64 exec, exec, s[2:3]
	v_mov_b32_e32 v16, 0
	v_mov_b32_e32 v15, 0
	v_mov_b32_e32 v14, 0
	s_and_saveexec_b64 s[2:3], s[0:1]
	s_cbranch_execz .LBB508_27
; %bb.26:
	v_mad_i64_i32 v[14:15], s[0:1], s15, v21, 0
	v_lshl_add_u64 v[14:15], v[14:15], 1, s[4:5]
	v_lshlrev_b32_e32 v16, 1, v18
	v_mov_b32_e32 v17, 0
	v_lshl_add_u64 v[14:15], v[14:15], 0, v[16:17]
	global_load_dwordx4 v[14:17], v[14:15], off offset:128
.LBB508_27:
	s_or_b64 exec, exec, s[2:3]
	s_branch .LBB508_46
.LBB508_28:
                                        ; implicit-def: $vgpr5
                                        ; implicit-def: $vgpr9
                                        ; implicit-def: $vgpr13
                                        ; implicit-def: $vgpr17
	v_lshrrev_b32_e32 v30, 2, v58
	s_branch .LBB508_47
.LBB508_29:
                                        ; implicit-def: $vgpr20
                                        ; implicit-def: $vgpr21
                                        ; implicit-def: $sgpr22
	v_lshl_or_b32 v18, v66, 9, v18
.LBB508_30:
	v_or_b32_e32 v20, 0x100, v18
	s_movk_i32 s22, 0x4000
	v_mov_b32_e32 v21, v18
.LBB508_31:
	s_mul_hi_u32 s20, s14, s12
	s_mul_i32 s21, s51, s12
	s_add_i32 s20, s20, s21
	s_mul_i32 s21, s14, s12
	s_mul_i32 s23, s21, s3
	s_mul_hi_u32 s24, s21, s48
	s_add_i32 s23, s24, s23
	s_mul_i32 s20, s20, s48
	s_add_i32 s23, s23, s20
	s_mul_i32 s21, s21, s48
	s_ashr_i32 s57, s52, 31
	s_add_u32 s20, s21, s52
	s_addc_u32 s21, s23, s57
	s_lshl_b64 s[20:21], s[20:21], 8
	s_add_u32 s20, s4, s20
	s_addc_u32 s21, s5, s21
	s_and_b32 s21, s21, 0xffff
	s_mov_b32 s23, 0x20000
	s_movk_i32 s58, 0x80
	buffer_load_dwordx4 v[22:25], v21, s[20:23], 0 offen
	buffer_load_dwordx4 v[26:29], v21, s[20:23], s58 offen
	;; [unrolled: 1-line block ×4, first 2 shown]
	v_and_b32_e32 v20, 6, v0
	v_lshlrev_b32_e32 v39, 6, v64
	v_or_b32_e32 v41, 16, v61
	v_xor_b32_e32 v42, v66, v20
	v_and_b32_e32 v21, 1, v0
	v_lshl_or_b32 v45, v61, 3, v39
	v_lshl_or_b32 v39, v41, 3, v39
	v_lshlrev_b32_e32 v42, 2, v42
	s_mul_i32 s3, s3, s12
	s_mul_hi_u32 s20, s48, s12
	v_lshlrev_b32_e32 v38, 2, v61
	v_or_b32_e32 v74, 0xa000, v39
	v_or_b32_e32 v75, 0xb000, v39
	v_xor_b32_e32 v39, 0x440, v42
	v_cmp_eq_u32_e32 vcc, 0, v21
	v_xor_b32_e32 v43, v64, v38
	v_xor_b32_e32 v44, v65, v38
	v_cndmask_b32_e32 v21, v39, v42, vcc
	s_add_i32 s63, s20, s3
	s_add_i32 s3, s42, s33
	s_mov_b32 s60, 0x1000504
	v_lshlrev_b32_e32 v40, 8, v61
	v_lshlrev_b32_e32 v43, 1, v43
	;; [unrolled: 1-line block ×3, first 2 shown]
	v_lshl_or_b32 v20, v20, 10, v21
	s_add_i32 s31, s3, s43
	s_add_i32 s3, s44, s37
	s_mov_b32 s61, 0x3020706
	v_or_b32_e32 v72, 0xa000, v45
	v_or_b32_e32 v73, 0xb000, v45
	;; [unrolled: 1-line block ×4, first 2 shown]
	v_xor_b32_e32 v21, 8, v20
	v_xor_b32_e32 v40, 24, v20
	;; [unrolled: 1-line block ×4, first 2 shown]
	s_add_i32 s35, s3, s45
	s_lshl_b64 s[20:21], s[30:31], 2
	v_xor_b32_e32 v39, 16, v20
	v_xor_b32_e32 v42, 32, v20
	;; [unrolled: 1-line block ×3, first 2 shown]
	v_add_u32_e32 v21, 0x80, v21
	v_add_u32_e32 v40, 0x80, v40
	;; [unrolled: 1-line block ×4, first 2 shown]
	s_add_u32 s3, s10, s20
	s_addc_u32 s22, s11, s21
	s_lshl_b64 s[20:21], s[34:35], 2
	s_add_u32 s38, s3, s20
	s_movk_i32 s3, 0xf8
	s_addc_u32 s39, s22, s21
	s_lshl_b32 s26, s15, 7
	s_movk_i32 s24, 0x100
	v_mov_b32_e32 v53, 0
	v_lshlrev_b32_e32 v52, 4, v61
	v_cmp_gt_u32_e32 vcc, s24, v0
	v_ashrrev_i32_e32 v51, 31, v50
	s_mov_b32 s59, 0
	s_mul_i32 s62, s48, s12
	s_movk_i32 s31, 0x1000
	s_movk_i32 s22, 0x4000
	v_lshl_add_u64 v[54:55], v[50:51], 1, s[8:9]
	v_mov_b32_e32 v51, 0x3fb8aa3b
	s_mov_b32 s64, 0
	s_waitcnt vmcnt(1)
	v_perm_b32 v48, v22, v30, s60
	s_waitcnt vmcnt(0)
	v_perm_b32 v49, v26, v34, s60
	v_perm_b32 v22, v22, v30, s61
	;; [unrolled: 1-line block ×15, first 2 shown]
	ds_write2st64_b32 v20, v48, v49 offset0:32 offset1:64
	ds_write2st64_b32 v21, v22, v26 offset0:32 offset1:64
	;; [unrolled: 1-line block ×8, first 2 shown]
	v_lshlrev_b32_e32 v20, 8, v41
	v_or_b32_e32 v78, v20, v43
	v_or_b32_e32 v79, v20, v44
	;; [unrolled: 1-line block ×3, first 2 shown]
	v_lshlrev_b32_e32 v20, 3, v20
	v_lshrrev_b32_e32 v23, 5, v58
	v_and_or_b32 v23, v20, s3, v23
	v_lshlrev_b32_e32 v23, 4, v23
	v_lshlrev_b32_e32 v21, 11, v59
	v_and_b32_e32 v20, 0x78, v20
	v_or_b32_e32 v28, 32, v23
	v_and_b32_e32 v22, 0x1000, v21
	v_lshrrev_b32_e32 v25, 1, v0
	v_xor_b32_e32 v28, v28, v20
	v_and_b32_e32 v26, 8, v25
	v_or_b32_e32 v28, v28, v22
	v_xor_b32_e32 v24, v23, v20
	v_xor_b32_e32 v82, v28, v26
	v_or_b32_e32 v28, 64, v23
	v_or_b32_e32 v23, 0x60, v23
	s_ashr_i32 s3, s2, 31
	v_xor_b32_e32 v28, v28, v20
	v_xor_b32_e32 v20, v23, v20
	s_lshl_b64 s[20:21], s[2:3], 8
	v_or_b32_e32 v24, v24, v22
	v_or_b32_e32 v28, v28, v22
	;; [unrolled: 1-line block ×3, first 2 shown]
	s_add_u32 s20, s18, s20
	v_lshlrev_b32_e32 v22, 1, v61
	v_xor_b32_e32 v84, v28, v26
	v_lshrrev_b32_e32 v28, 4, v0
	s_addc_u32 s21, s19, s21
	v_or_b32_e32 v23, 1, v22
	v_mov_b32_e32 v32, 0x4000
	v_mov_b32_e32 v33, 0x2000
	v_xor_b32_e32 v29, v28, v22
	v_xor_b32_e32 v30, v23, v28
	v_lshl_add_u64 v[22:23], s[20:21], 0, v[52:53]
	v_lshlrev_b32_e32 v52, 8, v28
	v_cndmask_b32_e32 v32, v32, v33, vcc
	v_lshlrev_b32_e32 v33, 3, v59
	v_and_b32_e32 v25, 24, v25
	v_lshl_or_b32 v88, v29, 3, v52
	v_and_b32_e32 v29, 8, v0
	v_xor_b32_e32 v34, v33, v25
	v_or_b32_e32 v35, 0x440, v34
	v_cmp_eq_u32_e32 vcc, 0, v29
	v_and_b32_e32 v28, 7, v0
	v_xor_b32_e32 v80, v24, v26
	v_cndmask_b32_e32 v29, v35, v34, vcc
	v_lshlrev_b32_e32 v24, 7, v60
	v_lshl_or_b32 v89, v30, 3, v52
	v_lshlrev_b32_e32 v30, 3, v28
	v_lshlrev_b32_e32 v28, 7, v28
	;; [unrolled: 1-line block ×3, first 2 shown]
	v_or_b32_e32 v29, v29, v21
	v_or_b32_e32 v27, v24, v38
	v_xad_u32 v90, v29, v30, v28
	v_and_or_b32 v24, v31, 60, v24
	v_mov_b32_e32 v29, 0xb000
	v_lshl_or_b32 v91, v24, 1, v29
	v_or_b32_e32 v24, 32, v25
	v_xor_b32_e32 v24, v33, v24
	v_or_b32_e32 v29, 0x440, v24
	v_cndmask_b32_e32 v24, v29, v24, vcc
	v_or_b32_e32 v24, v24, v21
	v_xad_u32 v92, v24, v30, v28
	v_or_b32_e32 v24, 64, v25
	v_xor_b32_e32 v24, v33, v24
	v_xor_b32_e32 v29, 0x440, v24
	v_cndmask_b32_e32 v24, v29, v24, vcc
	v_or_b32_e32 v24, v24, v21
	v_xad_u32 v93, v24, v30, v28
	v_or_b32_e32 v24, 0x60, v25
	v_xor_b32_e32 v24, v33, v24
	v_xor_b32_e32 v25, 0x440, v24
	v_cndmask_b32_e32 v24, v25, v24, vcc
	v_lshlrev_b32_e32 v27, 1, v27
	v_or_b32_e32 v21, v24, v21
	v_or_b32_e32 v81, 0xa000, v27
	;; [unrolled: 1-line block ×3, first 2 shown]
	v_xor_b32_e32 v85, v20, v26
	v_or_b32_e32 v86, 0xb000, v27
	v_or_b32_e32 v87, 0xb080, v27
	v_lshlrev_b32_e32 v20, 7, v64
	v_lshlrev_b32_e32 v26, 1, v19
	v_add_lshl_u32 v19, v19, s15, 1
	v_or_b32_e32 v27, 0x100, v18
	v_xad_u32 v94, v21, v30, v28
	v_cndmask_b32_e64 v95, v26, v18, s[0:1]
	v_cndmask_b32_e64 v96, v19, v27, s[0:1]
	v_lshl_add_u64 v[56:57], v[22:23], 0, v[52:53]
	s_mov_b32 s3, 0x7060302
	v_lshlrev_b32_e32 v52, 1, v20
	v_add_u32_e32 v97, v32, v90
	v_add_u32_e32 v98, v32, v92
	v_add_u32_e32 v99, v32, v93
	v_add_u32_e32 v100, v32, v94
	s_waitcnt lgkmcnt(0)
	s_barrier
.LBB508_32:                             ; =>This Inner Loop Header: Depth=1
	s_add_i32 s35, s64, 1
	s_cmp_lt_i32 s35, s49
	s_mov_b64 s[24:25], 0
	s_cselect_b64 s[40:41], -1, 0
	s_cmp_ge_i32 s35, s49
	s_mov_b64 s[20:21], 0
	s_cbranch_scc1 .LBB508_34
; %bb.33:                               ;   in Loop: Header=BB508_32 Depth=1
	s_add_i32 s0, s59, 64
	s_add_u32 s0, s16, s0
	s_addc_u32 s1, s17, 0
	s_lshl_b64 s[0:1], s[0:1], 8
	s_add_u32 s20, s6, s0
	s_addc_u32 s21, s7, s1
.LBB508_34:                             ;   in Loop: Header=BB508_32 Depth=1
	v_cndmask_b32_e64 v18, 0, 1, s[40:41]
	v_cmp_ne_u32_e64 s[0:1], 1, v18
	s_andn2_b64 vcc, exec, s[40:41]
	s_cbranch_vccnz .LBB508_36
; %bb.35:                               ;   in Loop: Header=BB508_32 Depth=1
	s_add_i32 s24, s59, 64
	s_add_u32 s24, s62, s24
	s_addc_u32 s25, s63, 0
	s_mul_i32 s27, s24, s51
	s_mul_hi_u32 s40, s24, s56
	s_add_i32 s27, s40, s27
	s_mul_i32 s25, s25, s56
	s_add_i32 s27, s27, s25
	s_mul_i32 s24, s24, s56
	s_add_u32 s24, s24, s52
	s_addc_u32 s25, s27, s57
	s_lshl_b64 s[24:25], s[24:25], 8
	s_add_u32 s24, s4, s24
	s_addc_u32 s25, s5, s25
.LBB508_36:                             ;   in Loop: Header=BB508_32 Depth=1
	v_perm_b32 v19, v17, v16, s3
	v_perm_b32 v18, v15, v14, s3
	;; [unrolled: 1-line block ×4, first 2 shown]
	ds_write_b64 v72, v[18:19]
	ds_write_b64 v73, v[20:21]
	;; [unrolled: 1-line block ×4, first 2 shown]
	v_perm_b32 v19, v9, v8, s3
	v_perm_b32 v18, v7, v6, s3
	;; [unrolled: 1-line block ×4, first 2 shown]
	ds_write_b64 v74, v[18:19]
	ds_write_b64 v75, v[20:21]
	;; [unrolled: 1-line block ×4, first 2 shown]
	s_waitcnt lgkmcnt(0)
	s_barrier
	ds_read_b64 v[22:23], v80 offset:24576
	ds_read2_b64 v[18:21], v81 offset1:16
	ds_read_b64 v[26:27], v83 offset:3072
	ds_read_b64 v[28:29], v81 offset:3072
	;; [unrolled: 1-line block ×3, first 2 shown]
	s_waitcnt lgkmcnt(3)
	v_mfma_f32_16x16x16_bf16 a[0:3], v[22:23], v[18:19], 0
	s_add_i32 s27, s59, 63
	s_mul_i32 s40, s27, s29
	s_mul_hi_u32 s41, s27, s28
	v_mfma_f32_16x16x16_bf16 a[4:7], v[22:23], v[20:21], 0
	ds_read2st64_b64 v[18:21], v81 offset0:2 offset1:4
	ds_read2st64_b64 v[22:25], v83 offset0:2 offset1:4
	s_add_i32 s41, s41, s40
	s_waitcnt lgkmcnt(1)
	v_mfma_f32_16x16x16_bf16 a[0:3], v[30:31], v[18:19], a[0:3]
	s_mul_i32 s40, s27, s28
	s_lshl_b64 s[40:41], s[40:41], 2
	s_add_u32 s40, s38, s40
	s_waitcnt lgkmcnt(0)
	v_mfma_f32_16x16x16_bf16 a[4:7], v[30:31], v[22:23], a[4:7]
	ds_read_b64 v[18:19], v84 offset:24576
	ds_read_b64 v[22:23], v85 offset:24576
	s_addc_u32 s41, s39, s41
	s_and_b64 vcc, exec, s[0:1]
	s_waitcnt lgkmcnt(1)
	v_mfma_f32_16x16x16_bf16 a[0:3], v[18:19], v[20:21], a[0:3]
	v_mov_b32_e32 v103, 0
	v_mov_b32_e32 v102, 0
	;; [unrolled: 1-line block ×3, first 2 shown]
	v_mfma_f32_16x16x16_bf16 a[4:7], v[18:19], v[24:25], a[4:7]
	v_mov_b32_e32 v18, 0
	v_mov_b32_e32 v19, 0
	;; [unrolled: 1-line block ×3, first 2 shown]
	s_waitcnt lgkmcnt(0)
	v_mfma_f32_16x16x16_bf16 a[0:3], v[22:23], v[28:29], a[0:3]
	v_mov_b32_e32 v21, 0
	v_mov_b32_e32 v24, 0
	;; [unrolled: 1-line block ×3, first 2 shown]
	v_mfma_f32_16x16x16_bf16 a[4:7], v[22:23], v[26:27], a[4:7]
	v_mov_b32_e32 v22, 0
	v_mov_b32_e32 v23, 0
	;; [unrolled: 1-line block ×10, first 2 shown]
	s_cbranch_vccnz .LBB508_38
; %bb.37:                               ;   in Loop: Header=BB508_32 Depth=1
	s_and_b32 s21, s21, 0xffff
	buffer_load_dwordx4 v[30:33], v68, s[20:23], 0 offen
	buffer_load_dwordx4 v[26:29], v68, s[20:23], s58 offen
	;; [unrolled: 1-line block ×4, first 2 shown]
	v_mov_b32_e32 v102, v70
	v_mov_b32_e32 v101, v71
.LBB508_38:                             ;   in Loop: Header=BB508_32 Depth=1
	s_waitcnt vmcnt(4)
	ds_read_b64 v[38:39], v80 offset:32768
	s_waitcnt vmcnt(2)
	ds_read2_b64 v[34:37], v86 offset1:16
	ds_read_b64 v[42:43], v82 offset:32768
	ds_read_b64 v[44:45], v84 offset:32768
	ds_read_b64 v[46:47], v85 offset:32768
	v_add_u32_e32 v48, s59, v64
	s_waitcnt lgkmcnt(3)
	v_mfma_f32_16x16x16_bf16 a[0:3], v[38:39], v[34:35], a[0:3]
	v_mul_lo_u32 v49, v48, s29
	v_mfma_f32_16x16x16_bf16 a[4:7], v[38:39], v[36:37], a[4:7]
	ds_read2st64_b64 v[34:37], v86 offset0:2 offset1:4
	ds_read2st64_b64 v[38:41], v87 offset0:2 offset1:4
	s_waitcnt lgkmcnt(1)
	v_mfma_f32_16x16x16_bf16 a[0:3], v[42:43], v[34:35], a[0:3]
	v_ashrrev_i32_e32 v34, 31, v48
	v_mul_lo_u32 v104, v34, s28
	v_mad_u64_u32 v[34:35], s[20:21], v48, s28, 0
	v_mfma_f32_16x16x16_bf16 a[0:3], v[44:45], v[36:37], a[0:3]
	v_add_u32_e32 v36, 1, v48
	v_ashrrev_i32_e32 v37, 31, v36
	v_add3_u32 v35, v35, v49, v104
	s_waitcnt lgkmcnt(0)
	v_mfma_f32_16x16x16_bf16 a[4:7], v[42:43], v[38:39], a[4:7]
	v_mul_lo_u32 v38, v37, s28
	v_mul_lo_u32 v39, v36, s29
	v_mad_u64_u32 v[36:37], s[20:21], v36, s28, 0
	v_add3_u32 v37, v37, v39, v38
	v_add_u32_e32 v38, 2, v48
	v_ashrrev_i32_e32 v39, 31, v38
	v_mul_lo_u32 v42, v39, s28
	v_mul_lo_u32 v43, v38, s29
	v_mad_u64_u32 v[38:39], s[20:21], v38, s28, 0
	v_add3_u32 v39, v39, v43, v42
	v_add_u32_e32 v42, 3, v48
	v_ashrrev_i32_e32 v43, 31, v42
	v_mul_lo_u32 v48, v43, s28
	v_mul_lo_u32 v49, v42, s29
	v_mad_u64_u32 v[42:43], s[20:21], v42, s28, 0
	s_add_u32 s20, s16, s59
	s_addc_u32 s21, s17, 0
	s_lshl_b64 s[20:21], s[20:21], 8
	v_lshl_add_u64 v[34:35], v[34:35], 2, s[38:39]
	v_lshl_add_u64 v[36:37], v[36:37], 2, s[38:39]
	v_add3_u32 v43, v43, v49, v48
	v_lshl_add_u64 v[48:49], v[54:55], 0, s[20:21]
	v_lshl_add_u64 v[38:39], v[38:39], 2, s[38:39]
	;; [unrolled: 1-line block ×3, first 2 shown]
	global_load_dword v104, v[34:35], off
	global_load_ushort v105, v[48:49], off offset:256
	global_load_ushort v106, v[48:49], off
	global_load_ushort v107, v[48:49], off offset:768
	global_load_ushort v108, v[48:49], off offset:512
	v_lshl_add_u64 v[34:35], v[42:43], 2, s[38:39]
	global_load_dword v109, v[36:37], off
	global_load_dword v110, v[38:39], off
	;; [unrolled: 1-line block ×3, first 2 shown]
	ds_read_b64 v[34:35], v86 offset:3072
	ds_read_b64 v[36:37], v87 offset:3072
	global_load_ushort v112, v[48:49], off offset:800
	global_load_ushort v113, v[48:49], off offset:544
	;; [unrolled: 1-line block ×3, first 2 shown]
	s_nop 0
	global_load_ushort v48, v[48:49], off offset:32
	s_load_dword s20, s[40:41], 0x0
	v_mfma_f32_16x16x16_bf16 a[4:7], v[44:45], v[40:41], a[4:7]
	s_and_b64 vcc, exec, s[0:1]
	v_mov_b32_e32 v49, 0
	s_waitcnt vmcnt(11) lgkmcnt(0)
	v_sub_f32_e32 v44, s20, v104
	v_mfma_f32_16x16x16_bf16 a[0:3], v[46:47], v[34:35], a[0:3]
	v_mul_f32_e32 v44, 0x3fb8aa3b, v44
	v_exp_f32_e32 v44, v44
	s_waitcnt vmcnt(6)
	v_sub_f32_e32 v45, s20, v109
	v_mfma_f32_16x16x16_bf16 a[4:7], v[46:47], v[36:37], a[4:7]
	s_waitcnt vmcnt(5)
	v_sub_f32_e32 v46, s20, v110
	s_waitcnt vmcnt(4)
	v_sub_f32_e32 v47, s20, v111
	v_mul_f32_e32 v45, 0x3fb8aa3b, v45
	v_mul_f32_e32 v46, 0x3fb8aa3b, v46
	v_mul_f32_e32 v47, 0x3fb8aa3b, v47
	v_exp_f32_e32 v45, v45
	v_exp_f32_e32 v46, v46
	v_exp_f32_e32 v47, v47
	v_accvgpr_read_b32 v39, a1
	v_accvgpr_read_b32 v35, a3
	;; [unrolled: 1-line block ×4, first 2 shown]
	v_lshlrev_b32_e32 v41, 16, v105
	v_lshlrev_b32_e32 v40, 16, v106
	;; [unrolled: 1-line block ×4, first 2 shown]
	v_pk_add_f32 v[38:39], v[40:41], v[38:39] neg_lo:[0,1] neg_hi:[0,1]
	v_pk_add_f32 v[34:35], v[42:43], v[34:35] neg_lo:[0,1] neg_hi:[0,1]
	v_pk_mul_f32 v[38:39], v[44:45], v[38:39]
	v_pk_mul_f32 v[34:35], v[46:47], v[34:35]
	v_accvgpr_read_b32 v41, a5
	v_perm_b32 v35, v35, v34, s3
	v_perm_b32 v34, v39, v38, s3
	s_waitcnt vmcnt(1)
	v_lshlrev_b32_e32 v39, 16, v114
	s_waitcnt vmcnt(0)
	v_lshlrev_b32_e32 v38, 16, v48
	v_accvgpr_read_b32 v40, a4
	v_accvgpr_read_b32 v37, a7
	v_accvgpr_read_b32 v36, a6
	v_pk_add_f32 v[38:39], v[38:39], v[40:41] neg_lo:[0,1] neg_hi:[0,1]
	v_lshlrev_b32_e32 v41, 16, v112
	v_lshlrev_b32_e32 v40, 16, v113
	v_pk_add_f32 v[36:37], v[40:41], v[36:37] neg_lo:[0,1] neg_hi:[0,1]
	v_pk_mul_f32 v[38:39], v[44:45], v[38:39]
	v_pk_mul_f32 v[36:37], v[46:47], v[36:37]
	v_mov_b32_e32 v104, 0
	v_perm_b32 v37, v37, v36, s3
	v_perm_b32 v36, v39, v38, s3
	ds_write2_b64 v73, v[34:35], v[36:37] offset1:16
	v_mov_b32_e32 v34, 0
	v_mov_b32_e32 v35, 0
	;; [unrolled: 1-line block ×15, first 2 shown]
	s_cbranch_vccnz .LBB508_40
; %bb.39:                               ;   in Loop: Header=BB508_32 Depth=1
	s_and_b32 s25, s25, 0xffff
	s_mov_b32 s27, s23
	buffer_load_dwordx4 v[46:49], v95, s[24:27], 0 offen
	buffer_load_dwordx4 v[38:41], v95, s[24:27], s58 offen
	;; [unrolled: 1-line block ×4, first 2 shown]
	v_mov_b32_e32 v103, v67
	v_mov_b32_e32 v104, v66
.LBB508_40:                             ;   in Loop: Header=BB508_32 Depth=1
	s_waitcnt lgkmcnt(0)
	s_barrier
	ds_read_b64 v[110:111], v97
	ds_read_b64 v[118:119], v91
	;; [unrolled: 1-line block ×5, first 2 shown]
	ds_read_b64 v[124:125], v92 offset:16384
	ds_read_b64 v[126:127], v90 offset:16384
	ds_read2_b64 v[106:109], v86 offset0:16 offset1:128
	s_waitcnt lgkmcnt(6)
	v_mfma_f32_16x16x16_bf16 a[0:3], v[110:111], v[118:119], 0
	ds_read_b64 v[128:129], v87 offset:3072
	ds_read_b64 v[130:131], v94 offset:16384
	s_add_i32 s21, s53, s64
	s_waitcnt lgkmcnt(2)
	v_mfma_f32_16x16x16_bf16 a[4:7], v[110:111], v[106:107], 0
	ds_read2st64_b64 v[110:113], v87 offset0:2 offset1:4
	s_mul_hi_i32 s25, s21, s13
	s_mul_i32 s21, s21, s13
	v_mfma_f32_16x16x16_bf16 a[0:3], v[114:115], v[108:109], a[0:3]
	s_add_u32 s24, s21, s46
	s_addc_u32 s25, s25, s50
	s_lshl_b64 s[24:25], s[24:25], 15
	s_waitcnt lgkmcnt(0)
	v_mfma_f32_16x16x16_bf16 a[4:7], v[114:115], v[110:111], a[4:7]
	ds_read2st64_b64 v[114:117], v86 offset0:4 offset1:6
	s_waitcnt lgkmcnt(0)
	v_mfma_f32_16x16x16_bf16 a[0:3], v[120:121], v[114:115], a[0:3]
	v_mfma_f32_16x16x16_bf16 a[8:11], v[120:121], v[112:113], a[4:7]
	;; [unrolled: 1-line block ×5, first 2 shown]
	ds_read2st64_b64 v[118:121], v89 offset1:8
	v_mfma_f32_16x16x16_bf16 a[12:15], v[126:127], v[106:107], 0
	ds_read_b64 v[126:127], v93 offset:16384
	v_mfma_f32_16x16x16_bf16 a[8:11], v[124:125], v[108:109], a[8:11]
	ds_read2st64_b64 v[106:109], v88 offset1:8
	s_waitcnt lgkmcnt(0)
	v_mov_b32_e32 v122, v106
	v_mfma_f32_16x16x16_bf16 a[12:15], v[124:125], v[110:111], a[12:15]
	v_lshl_add_u64 v[110:111], v[56:57], 0, s[24:25]
	v_add_co_u32_e32 v106, vcc, s31, v110
	v_mfma_f32_16x16x16_bf16 a[8:11], v[126:127], v[114:115], a[8:11]
	v_mov_b32_e32 v123, v107
	v_addc_co_u32_e32 v107, vcc, 0, v111, vcc
	v_mfma_f32_16x16x16_bf16 a[16:19], v[126:127], v[112:113], a[12:15]
	v_mov_b32_e32 v124, v118
	v_mov_b32_e32 v125, v119
	;; [unrolled: 1-line block ×3, first 2 shown]
	v_mfma_f32_16x16x16_bf16 a[12:15], v[130:131], v[116:117], a[8:11]
	v_mov_b32_e32 v119, v109
	s_and_b64 vcc, exec, s[0:1]
	global_store_dwordx4 v[110:111], v[122:125], off
	v_mfma_f32_16x16x16_bf16 a[8:11], v[130:131], v[128:129], a[16:19]
	global_store_dwordx4 v[106:107], v[118:121], off
	s_cbranch_vccnz .LBB508_42
; %bb.41:                               ;   in Loop: Header=BB508_32 Depth=1
	v_lshrrev_b32_e32 v105, 3, v103
	v_and_b32_e32 v105, 6, v105
	v_xor_b32_e32 v104, v105, v104
	v_lshlrev_b32_e32 v104, 2, v104
	v_and_b32_e32 v103, 8, v103
	v_xor_b32_e32 v106, 0x440, v104
	v_cmp_eq_u32_e32 vcc, 0, v103
	s_barrier
	s_nop 0
	v_cndmask_b32_e32 v103, v106, v104, vcc
	v_lshl_or_b32 v103, v105, 10, v103
	s_waitcnt vmcnt(3)
	v_perm_b32 v104, v46, v42, s60
	s_waitcnt vmcnt(2)
	v_perm_b32 v105, v38, v34, s60
	ds_write2st64_b32 v103, v104, v105 offset0:32 offset1:64
	v_xor_b32_e32 v104, 8, v103
	v_perm_b32 v42, v46, v42, s61
	v_perm_b32 v34, v38, v34, s61
	v_add_u32_e32 v38, 0x80, v104
	ds_write2st64_b32 v38, v42, v34 offset0:32 offset1:64
	v_xor_b32_e32 v34, 16, v103
	v_perm_b32 v38, v47, v43, s60
	v_perm_b32 v42, v39, v35, s60
	ds_write2st64_b32 v34, v38, v42 offset0:33 offset1:65
	v_xor_b32_e32 v34, 24, v103
	v_perm_b32 v38, v47, v43, s61
	v_perm_b32 v35, v39, v35, s61
	v_add_u32_e32 v34, 0x80, v34
	ds_write2st64_b32 v34, v38, v35 offset0:33 offset1:65
	v_xor_b32_e32 v34, 32, v103
	v_perm_b32 v35, v48, v44, s60
	;; [unrolled: 9-line block ×3, first 2 shown]
	v_perm_b32 v36, v41, v37, s60
	ds_write2st64_b32 v34, v35, v36 offset0:35 offset1:67
	v_xor_b32_e32 v34, 56, v103
	v_perm_b32 v35, v49, v45, s61
	v_perm_b32 v36, v41, v37, s61
	v_add_u32_e32 v34, 0x80, v34
	ds_write2st64_b32 v34, v35, v36 offset0:35 offset1:67
	ds_write_b64 v102, v[30:31] offset:24576
	v_xor_b32_e32 v30, 8, v102
	ds_write_b64 v30, v[32:33] offset:24576
	ds_write_b64 v102, v[26:27] offset:32768
	;; [unrolled: 1-line block ×4, first 2 shown]
	v_xor_b32_e32 v22, 8, v101
	ds_write_b64 v22, v[24:25] offset:24576
	ds_write_b64 v101, v[18:19] offset:32768
	;; [unrolled: 1-line block ×3, first 2 shown]
.LBB508_42:                             ;   in Loop: Header=BB508_32 Depth=1
	v_mul_f32_e32 v18, s20, v51
	v_exp_f32_e32 v21, v18
	v_accvgpr_read_b32 v18, a4
	v_accvgpr_read_b32 v20, a7
	v_accvgpr_read_b32 v19, a5
	v_fma_f32 v14, v14, v21, v18
	v_accvgpr_read_b32 v18, a6
	v_fma_f32 v16, v16, v21, v18
	v_accvgpr_read_b32 v18, a3
	v_fmac_f32_e32 v18, v9, v21
	v_accvgpr_read_b32 v9, a12
	v_fma_f32 v10, v10, v21, v9
	v_accvgpr_read_b32 v9, a13
	v_fma_f32 v11, v11, v21, v9
	;; [unrolled: 2-line block ×3, first 2 shown]
	v_accvgpr_read_b32 v9, a15
	v_fmac_f32_e32 v20, v17, v21
	v_accvgpr_read_b32 v17, a0
	v_fmac_f32_e32 v9, v13, v21
	v_accvgpr_read_b32 v13, a8
	v_fma_f32 v6, v6, v21, v17
	v_accvgpr_read_b32 v17, a1
	v_fma_f32 v2, v2, v21, v13
	;; [unrolled: 2-line block ×3, first 2 shown]
	v_fma_f32 v7, v7, v21, v17
	v_accvgpr_read_b32 v17, a2
	v_fma_f32 v3, v3, v21, v13
	v_accvgpr_read_b32 v13, a10
	v_accvgpr_read_b32 v19, a11
	s_add_i32 s59, s59, 64
	v_fma_f32 v8, v8, v21, v17
	v_fma_f32 v4, v4, v21, v13
	s_cmp_eq_u32 s49, s35
	v_fmac_f32_e32 v19, v5, v21
	s_cbranch_scc1 .LBB508_4
; %bb.43:                               ;   in Loop: Header=BB508_32 Depth=1
	s_mov_b32 s64, s35
	v_mov_b32_e32 v17, v20
	v_mov_b32_e32 v13, v9
	;; [unrolled: 1-line block ×4, first 2 shown]
	s_branch .LBB508_32
.LBB508_44:
                                        ; implicit-def: $vgpr5
                                        ; implicit-def: $vgpr9
                                        ; implicit-def: $vgpr13
                                        ; implicit-def: $vgpr17
	s_cbranch_execz .LBB508_46
; %bb.45:
	s_waitcnt vmcnt(0)
	v_mad_u64_u32 v[2:3], s[0:1], v20, s15, v[18:19]
	v_lshlrev_b32_e32 v20, 1, v2
	s_lshl_b32 s2, s15, 7
	s_and_b32 s1, s5, 0xffff
	s_mov_b32 s3, 0x20000
	s_mov_b32 s0, s4
	v_add_lshl_u32 v21, v2, s15, 1
	s_movk_i32 s13, 0x80
	buffer_load_dwordx4 v[2:5], v20, s[0:3], 0 offen
	buffer_load_dwordx4 v[10:13], v20, s[0:3], s13 offen
	;; [unrolled: 1-line block ×4, first 2 shown]
.LBB508_46:
	v_lshrrev_b32_e32 v30, 2, v58
	s_cbranch_execnz .LBB508_59
.LBB508_47:
	s_and_b64 vcc, exec, s[6:7]
	s_cbranch_vccz .LBB508_57
; %bb.48:
	s_waitcnt vmcnt(0)
	v_lshlrev_b32_e32 v7, 1, v23
	v_cmp_gt_i32_e32 vcc, s27, v7
	v_mov_b32_e32 v6, 0
	v_lshlrev_b32_e32 v14, 9, v23
	v_mov_b32_e32 v2, 0
	v_mov_b32_e32 v3, 0
	;; [unrolled: 1-line block ×4, first 2 shown]
	s_and_saveexec_b64 s[0:1], vcc
	s_cbranch_execz .LBB508_50
; %bb.49:
	v_mov_b32_e32 v15, 0
	v_lshl_add_u64 v[2:3], s[4:5], 0, v[14:15]
	v_lshlrev_b32_e32 v4, 1, v18
	v_mov_b32_e32 v5, v15
	v_lshl_add_u64 v[2:3], v[2:3], 0, v[4:5]
	global_load_dwordx4 v[2:5], v[2:3], off
.LBB508_50:
	s_or_b64 exec, exec, s[0:1]
	v_or_b32_e32 v7, 1, v7
	v_cmp_gt_i32_e64 s[0:1], s27, v7
	v_lshlrev_b32_e32 v20, 8, v7
	v_mov_b32_e32 v7, 0
	v_mov_b32_e32 v8, 0
	;; [unrolled: 1-line block ×3, first 2 shown]
	s_and_saveexec_b64 s[2:3], s[0:1]
	s_cbranch_execz .LBB508_52
; %bb.51:
	v_mov_b32_e32 v21, 0
	v_lshl_add_u64 v[6:7], s[4:5], 0, v[20:21]
	v_lshlrev_b32_e32 v8, 1, v18
	v_mov_b32_e32 v9, v21
	v_lshl_add_u64 v[6:7], v[6:7], 0, v[8:9]
	global_load_dwordx4 v[6:9], v[6:7], off
.LBB508_52:
	s_or_b64 exec, exec, s[2:3]
	v_mov_b32_e32 v17, 0
	v_mov_b32_e32 v10, 0
	;; [unrolled: 1-line block ×5, first 2 shown]
	s_and_saveexec_b64 s[2:3], vcc
	s_cbranch_execz .LBB508_54
; %bb.53:
	v_mov_b32_e32 v15, 0
	v_lshl_add_u64 v[10:11], s[4:5], 0, v[14:15]
	v_lshlrev_b32_e32 v14, 1, v18
	v_lshl_add_u64 v[10:11], v[10:11], 0, v[14:15]
	global_load_dwordx4 v[10:13], v[10:11], off offset:128
.LBB508_54:
	s_or_b64 exec, exec, s[2:3]
	v_mov_b32_e32 v16, 0
	v_mov_b32_e32 v15, 0
	;; [unrolled: 1-line block ×3, first 2 shown]
	s_and_saveexec_b64 s[2:3], s[0:1]
	s_cbranch_execz .LBB508_56
; %bb.55:
	v_mov_b32_e32 v21, 0
	v_lshl_add_u64 v[14:15], s[4:5], 0, v[20:21]
	v_lshlrev_b32_e32 v20, 1, v18
	v_lshl_add_u64 v[14:15], v[14:15], 0, v[20:21]
	global_load_dwordx4 v[14:17], v[14:15], off offset:128
.LBB508_56:
	s_or_b64 exec, exec, s[2:3]
	s_branch .LBB508_59
.LBB508_57:
                                        ; implicit-def: $vgpr5
                                        ; implicit-def: $vgpr9
                                        ; implicit-def: $vgpr13
                                        ; implicit-def: $vgpr17
	s_cbranch_execz .LBB508_59
; %bb.58:
	s_waitcnt vmcnt(0)
	v_lshlrev_b32_e32 v2, 1, v18
	v_lshl_or_b32 v18, v23, 9, v2
	s_and_b32 s5, s5, 0xffff
	s_mov_b32 s7, 0x20000
	s_movk_i32 s6, 0x4000
	s_movk_i32 s0, 0x80
	buffer_load_dwordx4 v[2:5], v18, s[4:7], 0 offen
	buffer_load_dwordx4 v[6:9], v18, s[4:7], 0 offen offset:256
	buffer_load_dwordx4 v[10:13], v18, s[4:7], s0 offen
	buffer_load_dwordx4 v[14:17], v18, s[4:7], s0 offen offset:256
.LBB508_59:
	ds_read_b64 v[20:21], v25 offset:32768
	v_add_u32_e32 v18, 0xb000, v24
	ds_read2_b64 v[32:35], v18 offset1:16
	ds_read_b64 v[40:41], v26 offset:32768
	ds_read_b64 v[26:27], v27 offset:32768
	;; [unrolled: 1-line block ×3, first 2 shown]
	v_and_b32_e32 v18, 6, v0
	v_xor_b32_e32 v23, v23, v18
	v_lshlrev_b32_e32 v23, 2, v23
	v_and_b32_e32 v0, 1, v0
	v_xor_b32_e32 v28, 0x440, v23
	v_cmp_eq_u32_e32 vcc, 0, v0
	s_waitcnt lgkmcnt(3)
	v_mfma_f32_16x16x16_bf16 a[0:3], v[20:21], v[32:33], a[0:3]
	s_mov_b32 s0, 0x1000504
	v_cndmask_b32_e32 v0, v28, v23, vcc
	v_lshl_or_b32 v0, v18, 10, v0
	v_mfma_f32_16x16x16_bf16 a[4:7], v[20:21], v[34:35], a[4:7]
	ds_read2st64_b64 v[32:35], v24 offset0:90 offset1:92
	ds_read2st64_b64 v[36:39], v29 offset0:90 offset1:92
	ds_read_b64 v[20:21], v24 offset:48128
	ds_read_b64 v[24:25], v29 offset:48128
	s_waitcnt vmcnt(0)
	v_perm_b32 v18, v2, v6, s0
	s_waitcnt lgkmcnt(3)
	v_mfma_f32_16x16x16_bf16 a[0:3], v[40:41], v[32:33], a[0:3]
	s_mov_b32 s1, 0x3020706
	v_perm_b32 v2, v2, v6, s1
	v_perm_b32 v6, v10, v14, s1
	s_waitcnt lgkmcnt(2)
	v_mfma_f32_16x16x16_bf16 a[4:7], v[40:41], v[36:37], a[4:7]
	v_mfma_f32_16x16x16_bf16 a[0:3], v[26:27], v[34:35], a[0:3]
	;; [unrolled: 1-line block ×3, first 2 shown]
	s_waitcnt lgkmcnt(1)
	v_mfma_f32_16x16x16_bf16 a[4:7], v[42:43], v[20:21], a[0:3]
	v_perm_b32 v20, v10, v14, s0
	ds_write2st64_b32 v0, v18, v20 offset0:32 offset1:64
	v_xor_b32_e32 v18, 8, v0
	v_add_u32_e32 v10, 0x80, v18
	ds_write2st64_b32 v10, v2, v6 offset0:32 offset1:64
	v_xor_b32_e32 v2, 16, v0
	v_perm_b32 v6, v3, v7, s0
	v_perm_b32 v10, v11, v15, s0
	ds_write2st64_b32 v2, v6, v10 offset0:33 offset1:65
	v_xor_b32_e32 v2, 24, v0
	v_perm_b32 v3, v3, v7, s1
	v_perm_b32 v6, v11, v15, s1
	v_add_u32_e32 v2, 0x80, v2
	ds_write2st64_b32 v2, v3, v6 offset0:33 offset1:65
	v_xor_b32_e32 v2, 32, v0
	v_perm_b32 v3, v4, v8, s0
	v_perm_b32 v6, v12, v16, s0
	ds_write2st64_b32 v2, v3, v6 offset0:34 offset1:66
	v_xor_b32_e32 v2, 40, v0
	s_waitcnt lgkmcnt(5)
	v_mfma_f32_16x16x16_bf16 a[0:3], v[42:43], v[24:25], a[8:11]
	v_perm_b32 v3, v4, v8, s1
	v_perm_b32 v4, v12, v16, s1
	v_add_u32_e32 v2, 0x80, v2
	ds_write2st64_b32 v2, v3, v4 offset0:34 offset1:66
	v_xor_b32_e32 v2, 48, v0
	v_perm_b32 v3, v5, v9, s0
	v_perm_b32 v4, v13, v17, s0
	ds_write2st64_b32 v2, v3, v4 offset0:35 offset1:67
	v_xor_b32_e32 v0, 56, v0
	v_perm_b32 v3, v13, v17, s1
	v_and_or_b32 v17, v30, 12, v1
	v_perm_b32 v2, v5, v9, s1
	v_add_u32_e32 v0, 0x80, v0
	v_cmp_gt_i32_e32 vcc, s27, v17
	v_mov_b32_e32 v14, 0
	v_mov_b32_e32 v16, 0
	ds_write2st64_b32 v0, v2, v3 offset0:35 offset1:67
	s_and_saveexec_b64 s[0:1], vcc
	s_cbranch_execz .LBB508_61
; %bb.60:
	v_add_u32_e32 v0, s26, v17
	v_ashrrev_i32_e32 v1, 31, v0
	v_mul_lo_u32 v2, v1, s28
	v_mul_lo_u32 v3, v0, s29
	v_mad_u64_u32 v[0:1], s[2:3], v0, s28, 0
	v_add3_u32 v1, v1, v3, v2
	v_lshl_add_u64 v[0:1], v[0:1], 2, s[10:11]
	global_load_dword v0, v[0:1], off
	s_waitcnt vmcnt(0)
	v_sub_f32_e32 v0, s12, v0
	v_mul_f32_e32 v0, 0x3fb8aa3b, v0
	v_exp_f32_e32 v16, v0
.LBB508_61:
	s_or_b64 exec, exec, s[0:1]
	v_or_b32_e32 v8, 1, v17
	v_cmp_gt_i32_e64 s[0:1], s27, v8
	s_and_saveexec_b64 s[2:3], s[0:1]
	s_cbranch_execz .LBB508_63
; %bb.62:
	v_add_u32_e32 v0, s26, v8
	v_ashrrev_i32_e32 v1, 31, v0
	v_mul_lo_u32 v2, v1, s28
	v_mul_lo_u32 v3, v0, s29
	v_mad_u64_u32 v[0:1], s[4:5], v0, s28, 0
	v_add3_u32 v1, v1, v3, v2
	v_lshl_add_u64 v[0:1], v[0:1], 2, s[10:11]
	global_load_dword v0, v[0:1], off
	s_waitcnt vmcnt(0)
	v_sub_f32_e32 v0, s12, v0
	v_mul_f32_e32 v0, 0x3fb8aa3b, v0
	v_exp_f32_e32 v14, v0
.LBB508_63:
	s_or_b64 exec, exec, s[2:3]
	v_or_b32_e32 v10, 2, v17
	v_cmp_gt_i32_e64 s[2:3], s27, v10
	v_mov_b32_e32 v15, 0
	v_mov_b32_e32 v18, 0
	s_and_saveexec_b64 s[4:5], s[2:3]
	s_cbranch_execz .LBB508_65
; %bb.64:
	v_add_u32_e32 v0, s26, v10
	v_ashrrev_i32_e32 v1, 31, v0
	v_mul_lo_u32 v2, v1, s28
	v_mul_lo_u32 v3, v0, s29
	v_mad_u64_u32 v[0:1], s[6:7], v0, s28, 0
	v_add3_u32 v1, v1, v3, v2
	v_lshl_add_u64 v[0:1], v[0:1], 2, s[10:11]
	global_load_dword v0, v[0:1], off
	s_waitcnt vmcnt(0)
	v_sub_f32_e32 v0, s12, v0
	v_mul_f32_e32 v0, 0x3fb8aa3b, v0
	v_exp_f32_e32 v18, v0
.LBB508_65:
	s_or_b64 exec, exec, s[4:5]
	v_or_b32_e32 v12, 3, v17
	v_cmp_gt_i32_e64 s[4:5], s27, v12
	s_and_saveexec_b64 s[6:7], s[4:5]
	s_cbranch_execz .LBB508_67
; %bb.66:
	v_add_u32_e32 v0, s26, v12
	v_ashrrev_i32_e32 v1, 31, v0
	v_mul_lo_u32 v2, v1, s28
	v_mul_lo_u32 v3, v0, s29
	v_mad_u64_u32 v[0:1], s[14:15], v0, s28, 0
	v_add3_u32 v1, v1, v3, v2
	v_lshl_add_u64 v[0:1], v[0:1], 2, s[10:11]
	global_load_dword v0, v[0:1], off
	s_waitcnt vmcnt(0)
	v_sub_f32_e32 v0, s12, v0
	v_mul_f32_e32 v0, 0x3fb8aa3b, v0
	v_exp_f32_e32 v15, v0
.LBB508_67:
	s_or_b64 exec, exec, s[6:7]
	s_add_u32 s6, s8, s20
	v_accvgpr_read_b32 v0, a4
	s_addc_u32 s7, s9, s21
	v_ashrrev_i32_e32 v51, 31, v50
	v_accvgpr_read_b32 v1, a5
	v_accvgpr_read_b32 v2, a6
	;; [unrolled: 1-line block ×3, first 2 shown]
	v_lshl_add_u64 v[4:5], v[50:51], 1, s[6:7]
	v_mov_b32_e32 v9, 0
	v_lshlrev_b32_e32 v6, 8, v17
	v_mov_b32_e32 v7, 0
	s_and_saveexec_b64 s[6:7], vcc
	s_cbranch_execz .LBB508_69
; %bb.68:
	v_mov_b32_e32 v7, 0
	v_lshl_add_u64 v[20:21], v[4:5], 0, v[6:7]
	global_load_ushort v7, v[20:21], off
	s_waitcnt vmcnt(0)
	v_lshlrev_b32_e32 v7, 16, v7
	v_sub_f32_e32 v0, v7, v0
	v_mul_f32_e32 v0, v16, v0
	v_lshrrev_b32_e32 v7, 16, v0
.LBB508_69:
	s_or_b64 exec, exec, s[6:7]
	v_lshlrev_b32_e32 v8, 8, v8
	s_and_saveexec_b64 s[6:7], s[0:1]
	s_cbranch_execz .LBB508_71
; %bb.70:
	v_mov_b32_e32 v9, 0
	v_lshl_add_u64 v[20:21], v[4:5], 0, v[8:9]
	global_load_ushort v0, v[20:21], off
	s_waitcnt vmcnt(0)
	v_lshlrev_b32_e32 v0, 16, v0
	v_sub_f32_e32 v0, v0, v1
	v_mul_f32_e32 v0, v14, v0
	v_lshrrev_b32_e32 v9, 16, v0
.LBB508_71:
	s_or_b64 exec, exec, s[6:7]
	v_mov_b32_e32 v13, 0
	v_lshlrev_b32_e32 v10, 8, v10
	v_mov_b32_e32 v11, 0
	s_and_saveexec_b64 s[6:7], s[2:3]
	s_cbranch_execz .LBB508_73
; %bb.72:
	v_mov_b32_e32 v11, 0
	v_lshl_add_u64 v[0:1], v[4:5], 0, v[10:11]
	global_load_ushort v0, v[0:1], off
	s_waitcnt vmcnt(0)
	v_lshlrev_b32_e32 v0, 16, v0
	v_sub_f32_e32 v0, v0, v2
	v_mul_f32_e32 v0, v18, v0
	v_lshrrev_b32_e32 v11, 16, v0
.LBB508_73:
	s_or_b64 exec, exec, s[6:7]
	v_lshlrev_b32_e32 v12, 8, v12
	s_and_saveexec_b64 s[6:7], s[4:5]
	s_cbranch_execz .LBB508_75
; %bb.74:
	v_mov_b32_e32 v13, 0
	v_lshl_add_u64 v[0:1], v[4:5], 0, v[12:13]
	global_load_ushort v0, v[0:1], off
	s_waitcnt vmcnt(0)
	v_lshlrev_b32_e32 v0, 16, v0
	v_sub_f32_e32 v0, v0, v3
	v_mul_f32_e32 v0, v15, v0
	v_lshrrev_b32_e32 v13, 16, v0
.LBB508_75:
	s_or_b64 exec, exec, s[6:7]
	v_lshlrev_b32_e32 v17, 5, v17
	s_mov_b32 s6, 0x5040100
	v_perm_b32 v20, v9, v7, s6
	v_or_b32_e32 v7, v17, v22
	v_accvgpr_read_b32 v0, a0
	v_perm_b32 v21, v13, v11, s6
	v_lshlrev_b32_e32 v7, 1, v7
	v_accvgpr_read_b32 v1, a1
	v_accvgpr_read_b32 v2, a2
	;; [unrolled: 1-line block ×3, first 2 shown]
	ds_write_b64 v7, v[20:21] offset:45056
	v_mov_b32_e32 v9, 0
	v_mov_b32_e32 v7, 0
	s_and_saveexec_b64 s[6:7], vcc
	s_cbranch_execz .LBB508_77
; %bb.76:
	v_mov_b32_e32 v7, 0
	v_lshl_add_u64 v[6:7], v[4:5], 0, v[6:7]
	global_load_ushort v6, v[6:7], off offset:32
	s_waitcnt vmcnt(0)
	v_lshlrev_b32_e32 v6, 16, v6
	v_sub_f32_e32 v0, v6, v0
	v_mul_f32_e32 v0, v16, v0
	v_lshrrev_b32_e32 v7, 16, v0
.LBB508_77:
	s_or_b64 exec, exec, s[6:7]
	s_and_saveexec_b64 s[6:7], s[0:1]
	s_cbranch_execz .LBB508_79
; %bb.78:
	v_mov_b32_e32 v9, 0
	v_lshl_add_u64 v[8:9], v[4:5], 0, v[8:9]
	global_load_ushort v0, v[8:9], off offset:32
	s_waitcnt vmcnt(0)
	v_lshlrev_b32_e32 v0, 16, v0
	v_sub_f32_e32 v0, v0, v1
	v_mul_f32_e32 v0, v14, v0
	v_lshrrev_b32_e32 v9, 16, v0
.LBB508_79:
	s_or_b64 exec, exec, s[6:7]
	v_mov_b32_e32 v0, 0
	v_mov_b32_e32 v1, 0
	s_and_saveexec_b64 s[0:1], s[2:3]
	s_cbranch_execz .LBB508_81
; %bb.80:
	v_mov_b32_e32 v11, 0
	v_lshl_add_u64 v[10:11], v[4:5], 0, v[10:11]
	global_load_ushort v1, v[10:11], off offset:32
	s_waitcnt vmcnt(0)
	v_lshlrev_b32_e32 v1, 16, v1
	v_sub_f32_e32 v1, v1, v2
	v_mul_f32_e32 v1, v18, v1
	v_lshrrev_b32_e32 v1, 16, v1
.LBB508_81:
	s_or_b64 exec, exec, s[0:1]
	s_and_saveexec_b64 s[0:1], s[4:5]
	s_cbranch_execz .LBB508_83
; %bb.82:
	v_mov_b32_e32 v13, 0
	v_lshl_add_u64 v[4:5], v[4:5], 0, v[12:13]
	global_load_ushort v0, v[4:5], off offset:32
	s_waitcnt vmcnt(0)
	v_lshlrev_b32_e32 v0, 16, v0
	v_sub_f32_e32 v0, v0, v3
	v_mul_f32_e32 v0, v15, v0
	v_lshrrev_b32_e32 v0, 16, v0
.LBB508_83:
	s_or_b64 exec, exec, s[0:1]
	s_mov_b32 s0, 0x5040100
	v_or_b32_e32 v2, v17, v19
	v_perm_b32 v1, v0, v1, s0
	v_perm_b32 v0, v9, v7, s0
	v_lshlrev_b32_e32 v2, 1, v2
	ds_write_b64 v2, v[0:1] offset:45056
	s_waitcnt lgkmcnt(0)
	s_barrier
.LBB508_84:
	s_endpgm
	.section	.rodata,"a",@progbits
	.p2align	6, 0x0
	.amdhsa_kernel _ZN12_GLOBAL__N_139chunk_gated_delta_rule_fwd_h_hip_kernelILi32ELb1ELb0ELb0ELb0ELb0ELb0ELb0ELb0EEEvPK12hip_bfloat16S3_S3_PKfS5_PKvPS1_S8_PvPKiSB_iiiiilll
		.amdhsa_group_segment_fixed_size 49152
		.amdhsa_private_segment_fixed_size 0
		.amdhsa_kernarg_size 136
		.amdhsa_user_sgpr_count 2
		.amdhsa_user_sgpr_dispatch_ptr 0
		.amdhsa_user_sgpr_queue_ptr 0
		.amdhsa_user_sgpr_kernarg_segment_ptr 1
		.amdhsa_user_sgpr_dispatch_id 0
		.amdhsa_user_sgpr_kernarg_preload_length 0
		.amdhsa_user_sgpr_kernarg_preload_offset 0
		.amdhsa_user_sgpr_private_segment_size 0
		.amdhsa_uses_dynamic_stack 0
		.amdhsa_enable_private_segment 0
		.amdhsa_system_sgpr_workgroup_id_x 1
		.amdhsa_system_sgpr_workgroup_id_y 1
		.amdhsa_system_sgpr_workgroup_id_z 0
		.amdhsa_system_sgpr_workgroup_info 0
		.amdhsa_system_vgpr_workitem_id 0
		.amdhsa_next_free_vgpr 152
		.amdhsa_next_free_sgpr 65
		.amdhsa_accum_offset 132
		.amdhsa_reserve_vcc 1
		.amdhsa_float_round_mode_32 0
		.amdhsa_float_round_mode_16_64 0
		.amdhsa_float_denorm_mode_32 3
		.amdhsa_float_denorm_mode_16_64 3
		.amdhsa_dx10_clamp 1
		.amdhsa_ieee_mode 1
		.amdhsa_fp16_overflow 0
		.amdhsa_tg_split 0
		.amdhsa_exception_fp_ieee_invalid_op 0
		.amdhsa_exception_fp_denorm_src 0
		.amdhsa_exception_fp_ieee_div_zero 0
		.amdhsa_exception_fp_ieee_overflow 0
		.amdhsa_exception_fp_ieee_underflow 0
		.amdhsa_exception_fp_ieee_inexact 0
		.amdhsa_exception_int_div_zero 0
	.end_amdhsa_kernel
	.section	.text._ZN12_GLOBAL__N_139chunk_gated_delta_rule_fwd_h_hip_kernelILi32ELb1ELb0ELb0ELb0ELb0ELb0ELb0ELb0EEEvPK12hip_bfloat16S3_S3_PKfS5_PKvPS1_S8_PvPKiSB_iiiiilll,"axG",@progbits,_ZN12_GLOBAL__N_139chunk_gated_delta_rule_fwd_h_hip_kernelILi32ELb1ELb0ELb0ELb0ELb0ELb0ELb0ELb0EEEvPK12hip_bfloat16S3_S3_PKfS5_PKvPS1_S8_PvPKiSB_iiiiilll,comdat
.Lfunc_end508:
	.size	_ZN12_GLOBAL__N_139chunk_gated_delta_rule_fwd_h_hip_kernelILi32ELb1ELb0ELb0ELb0ELb0ELb0ELb0ELb0EEEvPK12hip_bfloat16S3_S3_PKfS5_PKvPS1_S8_PvPKiSB_iiiiilll, .Lfunc_end508-_ZN12_GLOBAL__N_139chunk_gated_delta_rule_fwd_h_hip_kernelILi32ELb1ELb0ELb0ELb0ELb0ELb0ELb0ELb0EEEvPK12hip_bfloat16S3_S3_PKfS5_PKvPS1_S8_PvPKiSB_iiiiilll
                                        ; -- End function
	.section	.AMDGPU.csdata,"",@progbits
; Kernel info:
; codeLenInByte = 8428
; NumSgprs: 71
; NumVgprs: 132
; NumAgprs: 20
; TotalNumVgprs: 152
; ScratchSize: 0
; MemoryBound: 0
; FloatMode: 240
; IeeeMode: 1
; LDSByteSize: 49152 bytes/workgroup (compile time only)
; SGPRBlocks: 8
; VGPRBlocks: 18
; NumSGPRsForWavesPerEU: 71
; NumVGPRsForWavesPerEU: 152
; AccumOffset: 132
; Occupancy: 1
; WaveLimiterHint : 1
; COMPUTE_PGM_RSRC2:SCRATCH_EN: 0
; COMPUTE_PGM_RSRC2:USER_SGPR: 2
; COMPUTE_PGM_RSRC2:TRAP_HANDLER: 0
; COMPUTE_PGM_RSRC2:TGID_X_EN: 1
; COMPUTE_PGM_RSRC2:TGID_Y_EN: 1
; COMPUTE_PGM_RSRC2:TGID_Z_EN: 0
; COMPUTE_PGM_RSRC2:TIDIG_COMP_CNT: 0
; COMPUTE_PGM_RSRC3_GFX90A:ACCUM_OFFSET: 32
; COMPUTE_PGM_RSRC3_GFX90A:TG_SPLIT: 0
	.section	.text._ZN12_GLOBAL__N_139chunk_gated_delta_rule_fwd_h_hip_kernelILi32ELb0ELb1ELb1ELb0ELb0ELb0ELb0ELb0EEEvPK12hip_bfloat16S3_S3_PKfS5_PKvPS1_S8_PvPKiSB_iiiiilll,"axG",@progbits,_ZN12_GLOBAL__N_139chunk_gated_delta_rule_fwd_h_hip_kernelILi32ELb0ELb1ELb1ELb0ELb0ELb0ELb0ELb0EEEvPK12hip_bfloat16S3_S3_PKfS5_PKvPS1_S8_PvPKiSB_iiiiilll,comdat
	.globl	_ZN12_GLOBAL__N_139chunk_gated_delta_rule_fwd_h_hip_kernelILi32ELb0ELb1ELb1ELb0ELb0ELb0ELb0ELb0EEEvPK12hip_bfloat16S3_S3_PKfS5_PKvPS1_S8_PvPKiSB_iiiiilll ; -- Begin function _ZN12_GLOBAL__N_139chunk_gated_delta_rule_fwd_h_hip_kernelILi32ELb0ELb1ELb1ELb0ELb0ELb0ELb0ELb0EEEvPK12hip_bfloat16S3_S3_PKfS5_PKvPS1_S8_PvPKiSB_iiiiilll
	.p2align	8
	.type	_ZN12_GLOBAL__N_139chunk_gated_delta_rule_fwd_h_hip_kernelILi32ELb0ELb1ELb1ELb0ELb0ELb0ELb0ELb0EEEvPK12hip_bfloat16S3_S3_PKfS5_PKvPS1_S8_PvPKiSB_iiiiilll,@function
_ZN12_GLOBAL__N_139chunk_gated_delta_rule_fwd_h_hip_kernelILi32ELb0ELb1ELb1ELb0ELb0ELb0ELb0ELb0EEEvPK12hip_bfloat16S3_S3_PKfS5_PKvPS1_S8_PvPKiSB_iiiiilll: ; @_ZN12_GLOBAL__N_139chunk_gated_delta_rule_fwd_h_hip_kernelILi32ELb0ELb1ELb1ELb0ELb0ELb0ELb0ELb0EEEvPK12hip_bfloat16S3_S3_PKfS5_PKvPS1_S8_PvPKiSB_iiiiilll
; %bb.0:
	s_load_dwordx4 s[28:31], s[0:1], 0x5c
	s_load_dwordx4 s[36:39], s[0:1], 0x70
	s_abs_i32 s6, s3
	s_ashr_i32 s5, s3, 31
	s_load_dwordx8 s[16:23], s[0:1], 0x0
	s_waitcnt lgkmcnt(0)
	s_abs_i32 s4, s29
	v_cvt_f32_u32_e32 v1, s4
	s_sub_i32 s8, 0, s4
	s_ashr_i32 s7, s29, 31
	s_xor_b32 s5, s5, s7
	v_rcp_iflag_f32_e32 v1, v1
	s_load_dwordx2 s[34:35], s[0:1], 0x40
	s_load_dwordx4 s[24:27], s[0:1], 0x30
	s_load_dwordx2 s[40:41], s[0:1], 0x80
	s_mov_b32 s0, 0
	v_mul_f32_e32 v1, 0x4f7ffffe, v1
	v_cvt_u32_f32_e32 v1, v1
	v_lshrrev_b32_e32 v58, 6, v0
	v_bfe_u32 v61, v0, 4, 2
	v_lshlrev_b32_e32 v59, 4, v58
	v_readfirstlane_b32 s9, v1
	s_mul_i32 s8, s8, s9
	s_mul_hi_u32 s8, s9, s8
	s_add_i32 s9, s9, s8
	s_mul_hi_u32 s8, s6, s9
	s_mul_i32 s9, s8, s4
	s_sub_i32 s6, s6, s9
	s_add_i32 s10, s8, 1
	s_sub_i32 s9, s6, s4
	s_cmp_ge_u32 s6, s4
	s_cselect_b32 s8, s10, s8
	s_cselect_b32 s6, s9, s6
	s_add_i32 s9, s8, 1
	s_cmp_ge_u32 s6, s4
	s_cselect_b32 s6, s9, s8
	s_xor_b32 s6, s6, s5
	s_sub_i32 s51, s6, s5
	s_abs_i32 s6, s30
	v_cvt_f32_u32_e32 v1, s6
	s_mul_i32 s49, s51, s29
	s_sub_i32 s33, s3, s49
	s_add_i32 s3, s28, 63
	v_rcp_iflag_f32_e32 v1, v1
	s_ashr_i32 s5, s3, 31
	s_lshr_b32 s5, s5, 26
	s_ashr_i32 s50, s28, 31
	v_mul_f32_e32 v1, 0x4f7ffffe, v1
	v_cvt_u32_f32_e32 v1, v1
	s_add_i32 s3, s3, s5
	s_lshr_b32 s5, s50, 26
	s_add_i32 s5, s28, s5
	s_ashr_i32 s46, s30, 31
	s_ashr_i32 s52, s5, 6
	s_xor_b32 s5, s7, s46
	s_sub_i32 s7, 0, s6
	v_readfirstlane_b32 s8, v1
	s_mul_i32 s7, s7, s8
	s_mul_hi_u32 s7, s8, s7
	s_add_i32 s8, s8, s7
	s_mul_hi_u32 s7, s4, s8
	s_mul_i32 s8, s7, s6
	s_sub_i32 s4, s4, s8
	s_ashr_i32 s3, s3, 6
	s_add_i32 s8, s7, 1
	s_sub_i32 s9, s4, s6
	s_cmp_ge_u32 s4, s6
	s_cselect_b32 s7, s8, s7
	s_cselect_b32 s4, s9, s4
	s_add_i32 s8, s7, 1
	s_cmp_ge_u32 s4, s6
	s_cselect_b32 s4, s8, s7
	s_xor_b32 s4, s4, s5
	s_sub_i32 s4, s4, s5
	s_abs_i32 s5, s4
	v_cvt_f32_u32_e32 v1, s5
	s_sub_i32 s6, 0, s5
	s_xor_b32 s1, s33, s4
	s_abs_i32 s4, s33
	v_rcp_iflag_f32_e32 v1, v1
	s_ashr_i32 s1, s1, 31
	v_lshlrev_b32_e32 v18, 2, v61
	s_mov_b32 s14, s0
	v_mul_f32_e32 v1, 0x4f7ffffe, v1
	v_cvt_u32_f32_e32 v1, v1
	s_mov_b32 s15, s0
	v_and_b32_e32 v60, 63, v0
	s_mul_i32 s55, s51, s3
	v_readfirstlane_b32 s7, v1
	s_mul_i32 s6, s6, s7
	s_mul_hi_u32 s6, s7, s6
	s_add_i32 s7, s7, s6
	s_mul_hi_u32 s6, s4, s7
	s_mul_i32 s7, s6, s5
	s_sub_i32 s4, s4, s7
	s_add_i32 s7, s6, 1
	s_sub_i32 s8, s4, s5
	s_cmp_ge_u32 s4, s5
	s_cselect_b32 s6, s7, s6
	s_cselect_b32 s4, s8, s4
	s_add_i32 s7, s6, 1
	s_cmp_ge_u32 s4, s5
	s_cselect_b32 s4, s7, s6
	s_xor_b32 s4, s4, s1
	s_sub_i32 s56, s4, s1
	v_or_b32_e32 v1, v18, v59
	s_lshl_b32 s42, s2, 5
	s_mov_b32 s1, s0
	s_mov_b32 s2, s0
	s_mov_b32 s3, s0
	s_mov_b32 s4, s0
	s_mov_b32 s5, s0
	s_mov_b32 s6, s0
	s_mov_b32 s7, s0
	s_mov_b32 s8, s0
	s_mov_b32 s9, s0
	s_mov_b32 s10, s0
	s_mov_b32 s11, s0
	s_mov_b32 s12, s0
	s_mov_b32 s13, s0
	v_mov_b64_e32 v[16:17], s[14:15]
	v_and_b32_e32 v62, 15, v0
	v_or_b32_e32 v65, 64, v1
	s_cmp_lt_i32 s28, 64
	v_mov_b64_e32 v[14:15], s[12:13]
	v_mov_b64_e32 v[12:13], s[10:11]
	;; [unrolled: 1-line block ×7, first 2 shown]
	s_mul_hi_i32 s57, s51, s29
	v_lshrrev_b32_e32 v64, 3, v60
	v_lshlrev_b32_e32 v63, 3, v0
	s_mul_i32 s37, s51, s37
	s_mul_hi_u32 s48, s51, s36
	s_mul_i32 s12, s51, s36
	s_cbranch_scc1 .LBB509_19
; %bb.1:
	s_ashr_i32 s8, s51, 31
	s_ashr_i32 s53, s33, 31
	s_add_u32 s0, s49, s33
	s_addc_u32 s1, s57, s53
	s_mul_i32 s1, s28, s1
	s_mul_hi_u32 s2, s28, s0
	s_add_i32 s3, s2, s1
	s_mul_i32 s2, s28, s0
	s_lshl_b64 s[0:1], s[2:3], 8
	v_and_b32_e32 v9, 56, v63
	s_add_u32 s4, s18, s0
	v_lshl_or_b32 v5, v58, 3, v64
	v_lshlrev_b32_e32 v2, 1, v9
	s_addc_u32 s0, s19, s1
	v_lshl_or_b32 v13, v5, 8, v2
	s_and_b32 s5, s0, 0xffff
	s_mov_b32 s7, 0x20000
	s_movk_i32 s6, 0x4000
	s_movk_i32 s0, 0x80
	v_or_b32_e32 v17, 0x2000, v13
	buffer_load_dwordx4 v[20:23], v13, s[4:7], 0 offen
	buffer_load_dwordx4 v[24:27], v13, s[4:7], s0 offen
	;; [unrolled: 1-line block ×4, first 2 shown]
	v_lshlrev_b32_e32 v3, 3, v5
	v_and_or_b32 v6, v0, 7, v3
	v_and_b32_e32 v3, 0x78, v3
	v_lshlrev_b32_e32 v6, 4, v6
	v_xor_b32_e32 v66, v6, v3
	v_mul_lo_u32 v4, v5, s31
	v_or_b32_e32 v67, 0x1000, v66
	v_xor_b32_e32 v3, 8, v66
	s_cmpk_eq_i32 s31, 0x80
	s_mov_b32 s47, s30
	v_xor_b32_e32 v6, 8, v67
	s_cselect_b64 s[0:1], -1, 0
	s_cmpk_lg_i32 s31, 0x80
	s_waitcnt vmcnt(3)
	ds_write_b64 v66, v[20:21] offset:24576
	ds_write_b64 v3, v[22:23] offset:24576
	s_waitcnt vmcnt(2)
	ds_write_b64 v66, v[24:25] offset:32768
	ds_write_b64 v3, v[26:27] offset:32768
	;; [unrolled: 3-line block ×4, first 2 shown]
	v_lshl_add_u32 v3, v4, 1, v9
	s_cbranch_scc0 .LBB509_3
; %bb.2:
	v_lshlrev_b32_e32 v6, 1, v3
	v_add_lshl_u32 v4, v3, s31, 1
	s_lshl_b32 s6, s31, 7
	v_lshl_or_b32 v2, v5, 9, v2
	s_cbranch_execz .LBB509_4
	s_branch .LBB509_5
.LBB509_3:
                                        ; implicit-def: $vgpr4
                                        ; implicit-def: $vgpr6
                                        ; implicit-def: $sgpr6
	v_lshl_or_b32 v2, v5, 9, v2
.LBB509_4:
	v_or_b32_e32 v4, 0x100, v2
	s_movk_i32 s6, 0x4000
	v_mov_b32_e32 v6, v2
.LBB509_5:
	s_mul_hi_u32 s4, s30, s28
	s_mul_i32 s5, s46, s28
	s_add_i32 s4, s4, s5
	s_mul_i32 s5, s30, s28
	s_mul_i32 s7, s5, s8
	s_mul_hi_u32 s9, s5, s51
	s_add_i32 s7, s9, s7
	s_mul_i32 s4, s4, s51
	s_add_i32 s7, s7, s4
	s_mul_i32 s5, s5, s51
	s_ashr_i32 s54, s56, 31
	s_add_u32 s4, s5, s56
	s_addc_u32 s5, s7, s54
	s_lshl_b64 s[4:5], s[4:5], 8
	s_add_u32 s4, s16, s4
	s_addc_u32 s5, s17, s5
	s_and_b32 s5, s5, 0xffff
	s_mov_b32 s7, 0x20000
	s_movk_i32 s58, 0x80
	buffer_load_dwordx4 v[20:23], v6, s[4:7], 0 offen
	buffer_load_dwordx4 v[24:27], v6, s[4:7], s58 offen
	;; [unrolled: 1-line block ×4, first 2 shown]
	v_and_b32_e32 v4, 6, v0
	v_lshlrev_b32_e32 v8, 6, v1
	v_or_b32_e32 v11, 16, v62
	v_xor_b32_e32 v12, v5, v4
	v_and_b32_e32 v6, 1, v0
	s_mul_i32 s4, s8, s28
	s_mul_hi_u32 s5, s51, s28
	v_lshl_or_b32 v16, v62, 3, v8
	v_lshl_or_b32 v8, v11, 3, v8
	v_lshlrev_b32_e32 v12, 2, v12
	v_lshlrev_b32_e32 v7, 2, v62
	v_or_b32_e32 v70, 0xa000, v8
	v_or_b32_e32 v71, 0xb000, v8
	v_xor_b32_e32 v8, 0x440, v12
	v_cmp_eq_u32_e32 vcc, 0, v6
	s_add_i32 s63, s5, s4
	s_add_i32 s4, s48, s37
	s_mul_i32 s8, s8, s36
	v_xor_b32_e32 v14, v1, v7
	v_xor_b32_e32 v15, v65, v7
	v_cndmask_b32_e32 v6, v8, v12, vcc
	s_add_i32 s13, s4, s8
	s_mul_i32 s4, s33, s39
	s_mul_hi_u32 s5, s33, s38
	s_mov_b32 s60, 0x1000504
	v_lshlrev_b32_e32 v10, 8, v62
	v_lshlrev_b32_e32 v14, 1, v14
	;; [unrolled: 1-line block ×3, first 2 shown]
	v_lshl_or_b32 v4, v4, 10, v6
	s_add_i32 s4, s5, s4
	s_mul_i32 s5, s53, s38
	s_mov_b32 s61, 0x3020706
	v_or_b32_e32 v68, 0xa000, v16
	v_or_b32_e32 v69, 0xb000, v16
	;; [unrolled: 1-line block ×4, first 2 shown]
	v_xor_b32_e32 v6, 8, v4
	v_xor_b32_e32 v10, 24, v4
	;; [unrolled: 1-line block ×4, first 2 shown]
	s_add_i32 s5, s4, s5
	s_lshl_b64 s[8:9], s[12:13], 2
	v_xor_b32_e32 v8, 16, v4
	v_xor_b32_e32 v12, 32, v4
	;; [unrolled: 1-line block ×3, first 2 shown]
	v_add_u32_e32 v6, 0x80, v6
	v_add_u32_e32 v10, 0x80, v10
	;; [unrolled: 1-line block ×4, first 2 shown]
	s_mul_i32 s4, s33, s38
	s_add_u32 s6, s22, s8
	s_addc_u32 s8, s23, s9
	s_lshl_b64 s[4:5], s[4:5], 2
	s_add_u32 s14, s6, s4
	s_movk_i32 s4, 0xf8
	s_addc_u32 s15, s8, s5
	s_ashr_i32 s43, s42, 31
	s_lshl_b32 s10, s31, 7
	s_movk_i32 s8, 0x100
	v_mov_b32_e32 v51, 0
	v_lshlrev_b32_e32 v50, 4, v62
	v_cmp_gt_u32_e32 vcc, s8, v0
	s_mov_b32 s59, 0
	s_mul_i32 s62, s51, s28
	s_movk_i32 s13, 0x1000
	s_movk_i32 s6, 0x4000
	v_add_u32_e32 v93, v59, v18
	v_mov_b32_e32 v98, 0x3fb8aa3b
	s_mov_b32 s65, 0
	v_mov_b32_e32 v100, v51
	v_mov_b32_e32 v99, v51
	;; [unrolled: 1-line block ×4, first 2 shown]
	s_waitcnt vmcnt(1)
	v_perm_b32 v37, v20, v28, s60
	s_waitcnt vmcnt(0)
	v_perm_b32 v38, v24, v32, s60
	v_perm_b32 v20, v20, v28, s61
	;; [unrolled: 1-line block ×15, first 2 shown]
	ds_write2st64_b32 v4, v37, v38 offset0:32 offset1:64
	ds_write2st64_b32 v6, v20, v24 offset0:32 offset1:64
	ds_write2st64_b32 v8, v28, v32 offset0:33 offset1:65
	ds_write2st64_b32 v10, v21, v25 offset0:33 offset1:65
	ds_write2st64_b32 v12, v29, v33 offset0:34 offset1:66
	ds_write2st64_b32 v16, v22, v26 offset0:34 offset1:66
	ds_write2st64_b32 v19, v30, v34 offset0:35 offset1:67
	ds_write2st64_b32 v36, v23, v27 offset0:35 offset1:67
	v_lshlrev_b32_e32 v4, 8, v11
	v_or_b32_e32 v74, v4, v14
	v_or_b32_e32 v75, v4, v15
	;; [unrolled: 1-line block ×3, first 2 shown]
	v_lshlrev_b32_e32 v4, 3, v4
	v_lshrrev_b32_e32 v10, 5, v60
	v_and_or_b32 v10, v4, s4, v10
	v_lshlrev_b32_e32 v8, 11, v58
	v_lshlrev_b32_e32 v10, 4, v10
	v_and_b32_e32 v4, 0x78, v4
	v_and_b32_e32 v6, 0x1000, v8
	v_xor_b32_e32 v11, v10, v4
	v_lshrrev_b32_e32 v12, 1, v0
	v_or_b32_e32 v11, v11, v6
	v_and_b32_e32 v14, 8, v12
	v_xor_b32_e32 v76, v11, v14
	v_or_b32_e32 v11, 32, v10
	v_xor_b32_e32 v11, v11, v4
	v_or_b32_e32 v11, v11, v6
	v_xor_b32_e32 v78, v11, v14
	v_or_b32_e32 v11, 64, v10
	v_xor_b32_e32 v11, v11, v4
	v_or_b32_e32 v10, 0x60, v10
	s_lshl_b64 s[4:5], s[42:43], 8
	v_or_b32_e32 v11, v11, v6
	v_xor_b32_e32 v4, v10, v4
	s_waitcnt lgkmcnt(0)
	s_add_u32 s4, s24, s4
	v_lshlrev_b32_e32 v10, 1, v62
	v_xor_b32_e32 v80, v11, v14
	v_lshrrev_b32_e32 v19, 4, v0
	s_addc_u32 s5, s25, s5
	v_or_b32_e32 v11, 1, v10
	v_mov_b32_e32 v23, 0x4000
	v_mov_b32_e32 v24, 0x2000
	v_xor_b32_e32 v20, v19, v10
	v_xor_b32_e32 v21, v11, v19
	v_lshl_add_u64 v[10:11], s[4:5], 0, v[50:51]
	v_lshlrev_b32_e32 v50, 8, v19
	v_cndmask_b32_e32 v23, v23, v24, vcc
	v_lshlrev_b32_e32 v24, 3, v58
	v_and_b32_e32 v12, 24, v12
	v_lshl_or_b32 v84, v20, 3, v50
	v_and_b32_e32 v20, 8, v0
	v_xor_b32_e32 v25, v24, v12
	v_or_b32_e32 v26, 0x440, v25
	v_cmp_eq_u32_e32 vcc, 0, v20
	v_and_b32_e32 v19, 7, v0
	v_lshlrev_b32_e32 v15, 7, v61
	v_cndmask_b32_e32 v20, v26, v25, vcc
	v_lshl_or_b32 v85, v21, 3, v50
	v_lshlrev_b32_e32 v21, 3, v19
	v_lshlrev_b32_e32 v19, 7, v19
	;; [unrolled: 1-line block ×3, first 2 shown]
	v_or_b32_e32 v20, v20, v8
	v_or_b32_e32 v7, v15, v7
	v_xad_u32 v86, v20, v21, v19
	v_and_or_b32 v15, v22, 60, v15
	v_mov_b32_e32 v20, 0xb000
	v_lshl_or_b32 v87, v15, 1, v20
	v_or_b32_e32 v15, 32, v12
	v_xor_b32_e32 v15, v24, v15
	v_or_b32_e32 v20, 0x440, v15
	v_cndmask_b32_e32 v15, v20, v15, vcc
	v_or_b32_e32 v15, v15, v8
	v_xad_u32 v88, v15, v21, v19
	v_or_b32_e32 v15, 64, v12
	v_xor_b32_e32 v15, v24, v15
	v_xor_b32_e32 v20, 0x440, v15
	v_cndmask_b32_e32 v15, v20, v15, vcc
	v_or_b32_e32 v12, 0x60, v12
	v_or_b32_e32 v15, v15, v8
	v_xor_b32_e32 v12, v24, v12
	v_xad_u32 v89, v15, v21, v19
	v_xor_b32_e32 v15, 0x440, v12
	v_lshlrev_b32_e32 v7, 1, v7
	v_or_b32_e32 v4, v4, v6
	v_or_b32_e32 v6, s42, v62
	v_cndmask_b32_e32 v12, v15, v12, vcc
	v_or_b32_e32 v77, 0xa000, v7
	v_or_b32_e32 v79, 0xa080, v7
	v_xor_b32_e32 v81, v4, v14
	v_or_b32_e32 v82, 0xb000, v7
	v_or_b32_e32 v83, 0xb080, v7
	v_ashrrev_i32_e32 v7, 31, v6
	v_lshlrev_b32_e32 v14, 1, v3
	v_add_lshl_u32 v3, v3, s31, 1
	v_or_b32_e32 v16, 0x100, v2
	v_or_b32_e32 v8, v12, v8
	v_lshlrev_b32_e32 v4, 7, v1
	v_xad_u32 v90, v8, v21, v19
	v_cndmask_b32_e64 v91, v14, v2, s[0:1]
	v_cndmask_b32_e64 v92, v3, v16, s[0:1]
	v_lshlrev_b64 v[2:3], 1, v[6:7]
	v_lshl_add_u64 v[52:53], s[20:21], 0, v[2:3]
	v_lshl_add_u64 v[54:55], s[26:27], 0, v[2:3]
	;; [unrolled: 1-line block ×3, first 2 shown]
	s_mov_b32 s43, 0x7060302
	v_lshlrev_b32_e32 v50, 1, v4
	v_add_u32_e32 v94, v23, v86
	v_add_u32_e32 v95, v23, v88
	;; [unrolled: 1-line block ×4, first 2 shown]
	v_mov_b32_e32 v2, v51
	v_mov_b32_e32 v3, v51
	;; [unrolled: 1-line block ×12, first 2 shown]
	s_barrier
.LBB509_6:                              ; =>This Inner Loop Header: Depth=1
	s_add_i32 s64, s65, 1
	s_cmp_lt_i32 s64, s52
	s_mov_b64 s[8:9], 0
	s_cselect_b64 s[44:45], -1, 0
	s_cmp_ge_i32 s64, s52
	s_mov_b64 s[4:5], 0
	s_cbranch_scc1 .LBB509_8
; %bb.7:                                ;   in Loop: Header=BB509_6 Depth=1
	s_add_i32 s0, s59, 64
	s_add_u32 s0, s2, s0
	s_addc_u32 s1, s3, 0
	s_lshl_b64 s[0:1], s[0:1], 8
	s_add_u32 s4, s18, s0
	s_addc_u32 s5, s19, s1
.LBB509_8:                              ;   in Loop: Header=BB509_6 Depth=1
	v_cndmask_b32_e64 v18, 0, 1, s[44:45]
	v_cmp_ne_u32_e64 s[0:1], 1, v18
	s_andn2_b64 vcc, exec, s[44:45]
	s_cbranch_vccnz .LBB509_10
; %bb.9:                                ;   in Loop: Header=BB509_6 Depth=1
	s_add_i32 s8, s59, 64
	s_add_u32 s8, s62, s8
	s_addc_u32 s9, s63, 0
	s_mul_i32 s11, s8, s46
	s_mul_hi_u32 s44, s8, s47
	s_add_i32 s11, s44, s11
	s_mul_i32 s9, s9, s47
	s_add_i32 s11, s11, s9
	s_mul_i32 s8, s8, s47
	s_add_u32 s8, s8, s56
	s_addc_u32 s9, s11, s54
	s_lshl_b64 s[8:9], s[8:9], 8
	s_add_u32 s8, s16, s8
	s_addc_u32 s9, s17, s9
.LBB509_10:                             ;   in Loop: Header=BB509_6 Depth=1
	v_perm_b32 v19, v100, v4, s43
	v_perm_b32 v18, v3, v2, s43
	;; [unrolled: 1-line block ×4, first 2 shown]
	ds_write_b64 v68, v[18:19]
	ds_write_b64 v69, v[20:21]
	;; [unrolled: 1-line block ×4, first 2 shown]
	v_perm_b32 v19, v102, v12, s43
	v_perm_b32 v18, v11, v10, s43
	;; [unrolled: 1-line block ×4, first 2 shown]
	ds_write_b64 v70, v[18:19]
	ds_write_b64 v71, v[20:21]
	;; [unrolled: 1-line block ×4, first 2 shown]
	s_waitcnt lgkmcnt(0)
	s_barrier
	ds_read_b64 v[22:23], v76 offset:24576
	ds_read2_b64 v[18:21], v77 offset1:16
	ds_read_b64 v[26:27], v79 offset:3072
	ds_read_b64 v[28:29], v77 offset:3072
	;; [unrolled: 1-line block ×3, first 2 shown]
	s_waitcnt lgkmcnt(3)
	v_mfma_f32_16x16x16_bf16 a[0:3], v[22:23], v[18:19], 0
	s_add_i32 s11, s59, 63
	s_mul_i32 s44, s11, s41
	s_mul_hi_u32 s45, s11, s40
	v_mfma_f32_16x16x16_bf16 a[4:7], v[22:23], v[20:21], 0
	ds_read2st64_b64 v[18:21], v77 offset0:2 offset1:4
	ds_read2st64_b64 v[22:25], v79 offset0:2 offset1:4
	s_add_i32 s45, s45, s44
	s_waitcnt lgkmcnt(1)
	v_mfma_f32_16x16x16_bf16 a[0:3], v[30:31], v[18:19], a[0:3]
	s_mul_i32 s44, s11, s40
	s_lshl_b64 s[44:45], s[44:45], 2
	s_add_u32 s44, s14, s44
	s_waitcnt lgkmcnt(0)
	v_mfma_f32_16x16x16_bf16 a[4:7], v[30:31], v[22:23], a[4:7]
	ds_read_b64 v[18:19], v80 offset:24576
	ds_read_b64 v[22:23], v81 offset:24576
	s_addc_u32 s45, s15, s45
	s_and_b64 vcc, exec, s[0:1]
	s_waitcnt lgkmcnt(1)
	v_mfma_f32_16x16x16_bf16 a[0:3], v[18:19], v[20:21], a[0:3]
	v_mov_b32_e32 v105, 0
	v_mov_b32_e32 v104, 0
	v_mov_b32_e32 v103, 0
	v_mfma_f32_16x16x16_bf16 a[8:11], v[18:19], v[24:25], a[4:7]
	v_mov_b32_e32 v18, 0
	v_mov_b32_e32 v19, 0
	;; [unrolled: 1-line block ×3, first 2 shown]
	s_waitcnt lgkmcnt(0)
	v_mfma_f32_16x16x16_bf16 a[4:7], v[22:23], v[28:29], a[0:3]
	v_mov_b32_e32 v21, 0
	v_mov_b32_e32 v24, 0
	;; [unrolled: 1-line block ×3, first 2 shown]
	v_mfma_f32_16x16x16_bf16 a[0:3], v[22:23], v[26:27], a[8:11]
	v_mov_b32_e32 v22, 0
	v_mov_b32_e32 v23, 0
	;; [unrolled: 1-line block ×10, first 2 shown]
	s_cbranch_vccnz .LBB509_12
; %bb.11:                               ;   in Loop: Header=BB509_6 Depth=1
	s_and_b32 s5, s5, 0xffff
	buffer_load_dwordx4 v[30:33], v13, s[4:7], 0 offen
	buffer_load_dwordx4 v[26:29], v13, s[4:7], s58 offen
	;; [unrolled: 1-line block ×4, first 2 shown]
	v_mov_b32_e32 v104, v66
	v_mov_b32_e32 v103, v67
.LBB509_12:                             ;   in Loop: Header=BB509_6 Depth=1
	ds_read_b64 v[42:43], v76 offset:32768
	ds_read2_b64 v[34:37], v82 offset1:16
	ds_read_b64 v[44:45], v78 offset:32768
	ds_read_b64 v[46:47], v80 offset:32768
	;; [unrolled: 1-line block ×3, first 2 shown]
	v_add_u32_e32 v106, s59, v93
	s_waitcnt lgkmcnt(3)
	v_mfma_f32_16x16x16_bf16 a[4:7], v[42:43], v[34:35], a[4:7]
	v_ashrrev_i32_e32 v34, 31, v106
	ds_read2st64_b64 v[38:41], v82 offset0:2 offset1:4
	v_mfma_f32_16x16x16_bf16 a[0:3], v[42:43], v[36:37], a[0:3]
	v_mul_lo_u32 v36, v34, s40
	v_mul_lo_u32 v37, v106, s41
	v_mad_u64_u32 v[34:35], s[4:5], v106, s40, 0
	v_add3_u32 v35, v35, v37, v36
	v_add_u32_e32 v36, 1, v106
	v_ashrrev_i32_e32 v37, 31, v36
	v_mul_lo_u32 v42, v37, s40
	v_mul_lo_u32 v43, v36, s41
	v_mad_u64_u32 v[36:37], s[4:5], v36, s40, 0
	v_add3_u32 v37, v37, v43, v42
	v_add_u32_e32 v42, 2, v106
	v_ashrrev_i32_e32 v43, 31, v42
	v_mul_lo_u32 v107, v43, s40
	v_mul_lo_u32 v108, v42, s41
	v_mad_u64_u32 v[42:43], s[4:5], v42, s40, 0
	v_add_u32_e32 v106, 3, v106
	v_add3_u32 v43, v43, v108, v107
	v_ashrrev_i32_e32 v107, 31, v106
	v_mul_lo_u32 v108, v107, s40
	v_mul_lo_u32 v109, v106, s41
	v_mad_u64_u32 v[106:107], s[4:5], v106, s40, 0
	s_add_u32 s4, s2, s59
	s_addc_u32 s5, s3, 0
	s_lshl_b64 s[66:67], s[4:5], 8
	v_lshl_add_u64 v[34:35], v[34:35], 2, s[14:15]
	v_lshl_add_u64 v[36:37], v[36:37], 2, s[14:15]
	v_add3_u32 v107, v107, v109, v108
	v_lshl_add_u64 v[108:109], v[52:53], 0, s[66:67]
	v_lshl_add_u64 v[42:43], v[42:43], 2, s[14:15]
	;; [unrolled: 1-line block ×3, first 2 shown]
	global_load_dword v110, v[34:35], off
	global_load_ushort v111, v[108:109], off offset:256
	global_load_ushort v112, v[108:109], off
	v_lshl_add_u64 v[34:35], v[106:107], 2, s[14:15]
	global_load_dword v106, v[36:37], off
	global_load_dword v107, v[42:43], off
	;; [unrolled: 1-line block ×3, first 2 shown]
	ds_read2st64_b64 v[34:37], v83 offset0:2 offset1:4
	global_load_ushort v114, v[108:109], off offset:768
	global_load_ushort v115, v[108:109], off offset:512
	;; [unrolled: 1-line block ×5, first 2 shown]
	s_nop 0
	global_load_ushort v108, v[108:109], off offset:32
	s_waitcnt lgkmcnt(1)
	v_mfma_f32_16x16x16_bf16 a[4:7], v[44:45], v[38:39], a[4:7]
	s_and_b64 vcc, exec, s[0:1]
	s_waitcnt vmcnt(10)
	v_lshlrev_b32_e32 v43, 16, v111
	s_waitcnt lgkmcnt(0)
	v_mfma_f32_16x16x16_bf16 a[0:3], v[44:45], v[34:35], a[0:3]
	s_waitcnt vmcnt(9)
	v_lshlrev_b32_e32 v42, 16, v112
	v_mfma_f32_16x16x16_bf16 a[4:7], v[46:47], v[40:41], a[4:7]
	v_mfma_f32_16x16x16_bf16 a[0:3], v[46:47], v[36:37], a[0:3]
	ds_read_b64 v[34:35], v82 offset:3072
	ds_read_b64 v[36:37], v83 offset:3072
	s_load_dword s4, s[44:45], 0x0
	s_waitcnt lgkmcnt(0)
	v_sub_f32_e32 v44, s4, v110
	v_mfma_f32_16x16x16_bf16 a[4:7], v[48:49], v[34:35], a[4:7]
	v_mul_f32_e32 v44, 0x3fb8aa3b, v44
	s_waitcnt vmcnt(8)
	v_sub_f32_e32 v45, s4, v106
	s_waitcnt vmcnt(7)
	v_sub_f32_e32 v46, s4, v107
	;; [unrolled: 2-line block ×3, first 2 shown]
	v_mfma_f32_16x16x16_bf16 a[0:3], v[48:49], v[36:37], a[0:3]
	v_lshl_add_u64 v[34:35], v[54:55], 0, s[66:67]
	v_lshl_add_u64 v[34:35], v[34:35], 0, v[50:51]
	v_accvgpr_read_b32 v41, a5
	v_accvgpr_read_b32 v40, a4
	v_pk_add_f32 v[40:41], v[42:43], v[40:41] neg_lo:[0,1] neg_hi:[0,1]
	v_exp_f32_e32 v42, v44
	v_mul_f32_e32 v43, 0x3fb8aa3b, v45
	v_mul_f32_e32 v44, 0x3fb8aa3b, v46
	;; [unrolled: 1-line block ×3, first 2 shown]
	v_exp_f32_e32 v43, v43
	v_exp_f32_e32 v44, v44
	;; [unrolled: 1-line block ×3, first 2 shown]
	v_accvgpr_read_b32 v37, a7
	v_accvgpr_read_b32 v36, a6
	s_waitcnt vmcnt(5)
	v_lshlrev_b32_e32 v47, 16, v114
	s_waitcnt vmcnt(4)
	v_lshlrev_b32_e32 v46, 16, v115
	v_pk_add_f32 v[36:37], v[46:47], v[36:37] neg_lo:[0,1] neg_hi:[0,1]
	global_store_short_d16_hi v[34:35], v40, off
	global_store_short_d16_hi v[34:35], v41, off offset:256
	global_store_short_d16_hi v[34:35], v36, off offset:512
	;; [unrolled: 1-line block ×3, first 2 shown]
	v_pk_mul_f32 v[40:41], v[42:43], v[40:41]
	v_pk_mul_f32 v[36:37], v[44:45], v[36:37]
	v_accvgpr_read_b32 v47, a1
	v_perm_b32 v37, v37, v36, s43
	v_perm_b32 v36, v41, v40, s43
	s_waitcnt vmcnt(5)
	v_lshlrev_b32_e32 v41, 16, v118
	s_waitcnt vmcnt(4)
	v_lshlrev_b32_e32 v40, 16, v108
	v_accvgpr_read_b32 v46, a0
	v_accvgpr_read_b32 v39, a3
	;; [unrolled: 1-line block ×3, first 2 shown]
	v_pk_add_f32 v[40:41], v[40:41], v[46:47] neg_lo:[0,1] neg_hi:[0,1]
	v_lshlrev_b32_e32 v47, 16, v116
	v_lshlrev_b32_e32 v46, 16, v117
	v_pk_add_f32 v[38:39], v[46:47], v[38:39] neg_lo:[0,1] neg_hi:[0,1]
	global_store_short_d16_hi v[34:35], v40, off offset:32
	global_store_short_d16_hi v[34:35], v41, off offset:288
	;; [unrolled: 1-line block ×4, first 2 shown]
	v_pk_mul_f32 v[34:35], v[42:43], v[40:41]
	v_pk_mul_f32 v[38:39], v[44:45], v[38:39]
	v_mov_b32_e32 v106, 0
	v_perm_b32 v39, v39, v38, s43
	v_perm_b32 v38, v35, v34, s43
	ds_write2_b64 v69, v[36:37], v[38:39] offset1:16
	v_mov_b32_e32 v34, 0
	v_mov_b32_e32 v35, 0
	;; [unrolled: 1-line block ×16, first 2 shown]
	s_cbranch_vccnz .LBB509_14
; %bb.13:                               ;   in Loop: Header=BB509_6 Depth=1
	s_and_b32 s9, s9, 0xffff
	s_mov_b32 s11, s7
	buffer_load_dwordx4 v[46:49], v91, s[8:11], 0 offen
	buffer_load_dwordx4 v[38:41], v91, s[8:11], s58 offen
	buffer_load_dwordx4 v[42:45], v92, s[8:11], 0 offen
	buffer_load_dwordx4 v[34:37], v92, s[8:11], s58 offen
	v_mov_b32_e32 v105, v9
	v_mov_b32_e32 v106, v5
.LBB509_14:                             ;   in Loop: Header=BB509_6 Depth=1
	s_waitcnt lgkmcnt(0)
	s_barrier
	ds_read_b64 v[112:113], v94
	ds_read_b64 v[120:121], v87
	;; [unrolled: 1-line block ×5, first 2 shown]
	ds_read_b64 v[126:127], v88 offset:16384
	ds_read_b64 v[128:129], v86 offset:16384
	ds_read2_b64 v[108:111], v82 offset0:16 offset1:128
	s_waitcnt lgkmcnt(6)
	v_mfma_f32_16x16x16_bf16 a[0:3], v[112:113], v[120:121], 0
	ds_read_b64 v[130:131], v83 offset:3072
	ds_read_b64 v[132:133], v90 offset:16384
	s_add_i32 s5, s55, s65
	s_waitcnt lgkmcnt(2)
	v_mfma_f32_16x16x16_bf16 a[4:7], v[112:113], v[108:109], 0
	ds_read2st64_b64 v[112:115], v83 offset0:2 offset1:4
	s_mul_hi_i32 s9, s5, s29
	s_mul_i32 s5, s5, s29
	v_mfma_f32_16x16x16_bf16 a[0:3], v[116:117], v[110:111], a[0:3]
	s_add_u32 s8, s5, s33
	s_addc_u32 s9, s9, s53
	s_lshl_b64 s[8:9], s[8:9], 15
	s_waitcnt lgkmcnt(0)
	v_mfma_f32_16x16x16_bf16 a[4:7], v[116:117], v[112:113], a[4:7]
	ds_read2st64_b64 v[116:119], v82 offset0:4 offset1:6
	s_waitcnt lgkmcnt(0)
	v_mfma_f32_16x16x16_bf16 a[0:3], v[122:123], v[116:117], a[0:3]
	v_mfma_f32_16x16x16_bf16 a[8:11], v[122:123], v[114:115], a[4:7]
	;; [unrolled: 1-line block ×5, first 2 shown]
	ds_read2st64_b64 v[120:123], v85 offset1:8
	v_mfma_f32_16x16x16_bf16 a[12:15], v[128:129], v[108:109], 0
	ds_read_b64 v[128:129], v89 offset:16384
	v_mfma_f32_16x16x16_bf16 a[8:11], v[126:127], v[110:111], a[8:11]
	ds_read2st64_b64 v[108:111], v84 offset1:8
	s_waitcnt lgkmcnt(0)
	v_mov_b32_e32 v124, v108
	v_mfma_f32_16x16x16_bf16 a[12:15], v[126:127], v[112:113], a[12:15]
	v_lshl_add_u64 v[112:113], v[56:57], 0, s[8:9]
	v_add_co_u32_e32 v108, vcc, s13, v112
	v_mfma_f32_16x16x16_bf16 a[8:11], v[128:129], v[116:117], a[8:11]
	v_mov_b32_e32 v125, v109
	v_addc_co_u32_e32 v109, vcc, 0, v113, vcc
	v_mfma_f32_16x16x16_bf16 a[12:15], v[128:129], v[114:115], a[12:15]
	v_mov_b32_e32 v126, v120
	v_mov_b32_e32 v127, v121
	;; [unrolled: 1-line block ×3, first 2 shown]
	v_mfma_f32_16x16x16_bf16 a[8:11], v[132:133], v[118:119], a[8:11]
	v_mov_b32_e32 v121, v111
	s_and_b64 vcc, exec, s[0:1]
	global_store_dwordx4 v[112:113], v[124:127], off
	v_mfma_f32_16x16x16_bf16 a[12:15], v[132:133], v[130:131], a[12:15]
	global_store_dwordx4 v[108:109], v[120:123], off
	s_cbranch_vccnz .LBB509_16
; %bb.15:                               ;   in Loop: Header=BB509_6 Depth=1
	v_lshrrev_b32_e32 v107, 3, v105
	v_and_b32_e32 v107, 6, v107
	v_xor_b32_e32 v106, v107, v106
	v_lshlrev_b32_e32 v106, 2, v106
	v_and_b32_e32 v105, 8, v105
	v_xor_b32_e32 v108, 0x440, v106
	v_cmp_eq_u32_e32 vcc, 0, v105
	s_barrier
	s_nop 0
	v_cndmask_b32_e32 v105, v108, v106, vcc
	v_lshl_or_b32 v105, v107, 10, v105
	s_waitcnt vmcnt(3)
	v_perm_b32 v106, v46, v42, s60
	s_waitcnt vmcnt(2)
	v_perm_b32 v107, v38, v34, s60
	ds_write2st64_b32 v105, v106, v107 offset0:32 offset1:64
	v_xor_b32_e32 v106, 8, v105
	v_perm_b32 v42, v46, v42, s61
	v_perm_b32 v34, v38, v34, s61
	v_add_u32_e32 v38, 0x80, v106
	ds_write2st64_b32 v38, v42, v34 offset0:32 offset1:64
	v_xor_b32_e32 v34, 16, v105
	v_perm_b32 v38, v47, v43, s60
	v_perm_b32 v42, v39, v35, s60
	ds_write2st64_b32 v34, v38, v42 offset0:33 offset1:65
	v_xor_b32_e32 v34, 24, v105
	v_perm_b32 v38, v47, v43, s61
	v_perm_b32 v35, v39, v35, s61
	v_add_u32_e32 v34, 0x80, v34
	ds_write2st64_b32 v34, v38, v35 offset0:33 offset1:65
	v_xor_b32_e32 v34, 32, v105
	v_perm_b32 v35, v48, v44, s60
	;; [unrolled: 9-line block ×3, first 2 shown]
	v_perm_b32 v36, v41, v37, s60
	ds_write2st64_b32 v34, v35, v36 offset0:35 offset1:67
	v_xor_b32_e32 v34, 56, v105
	v_perm_b32 v35, v49, v45, s61
	v_perm_b32 v36, v41, v37, s61
	v_add_u32_e32 v34, 0x80, v34
	ds_write2st64_b32 v34, v35, v36 offset0:35 offset1:67
	ds_write_b64 v104, v[30:31] offset:24576
	v_xor_b32_e32 v30, 8, v104
	ds_write_b64 v30, v[32:33] offset:24576
	ds_write_b64 v104, v[26:27] offset:32768
	;; [unrolled: 1-line block ×4, first 2 shown]
	v_xor_b32_e32 v22, 8, v103
	ds_write_b64 v22, v[24:25] offset:24576
	ds_write_b64 v103, v[18:19] offset:32768
	;; [unrolled: 1-line block ×3, first 2 shown]
.LBB509_16:                             ;   in Loop: Header=BB509_6 Depth=1
	v_mul_f32_e32 v18, s4, v98
	s_waitcnt vmcnt(2)
	v_exp_f32_e32 v34, v18
	v_accvgpr_read_b32 v33, a7
	v_accvgpr_read_b32 v25, a3
	;; [unrolled: 1-line block ×16, first 2 shown]
	s_add_i32 s59, s59, 64
	v_fma_f32 v2, v2, v34, v30
	v_fma_f32 v3, v3, v34, v31
	v_fma_f32 v4, v4, v34, v32
	v_fmac_f32_e32 v33, v100, v34
	v_fma_f32 v10, v10, v34, v22
	v_fma_f32 v11, v11, v34, v23
	v_fma_f32 v12, v12, v34, v24
	v_fmac_f32_e32 v25, v102, v34
	;; [unrolled: 4-line block ×3, first 2 shown]
	v_fma_f32 v14, v14, v34, v18
	v_fma_f32 v15, v15, v34, v19
	;; [unrolled: 1-line block ×3, first 2 shown]
	s_cmp_eq_u32 s52, s64
	v_fmac_f32_e32 v21, v101, v34
	s_cbranch_scc1 .LBB509_18
; %bb.17:                               ;   in Loop: Header=BB509_6 Depth=1
	s_mov_b32 s65, s64
	v_mov_b32_e32 v100, v33
	v_mov_b32_e32 v99, v29
	;; [unrolled: 1-line block ×4, first 2 shown]
	s_branch .LBB509_6
.LBB509_18:
	v_mov_b32_e32 v5, v33
	v_mov_b32_e32 v9, v29
	;; [unrolled: 1-line block ×4, first 2 shown]
.LBB509_19:
	s_lshl_b32 s53, s52, 6
	s_sub_i32 s54, s28, s53
	s_cmp_gt_i32 s54, 0
	v_or_b32_e32 v34, s42, v62
	s_cbranch_scc1 .LBB509_21
; %bb.20:
	s_ashr_i32 s0, s33, 31
	s_add_u32 s8, s49, s33
	s_addc_u32 s9, s57, s0
	v_or_b32_e32 v18, s42, v62
	s_cbranch_execz .LBB509_22
	s_branch .LBB509_86
.LBB509_21:
                                        ; implicit-def: $sgpr8_sgpr9
                                        ; implicit-def: $vgpr18
.LBB509_22:
	s_ashr_i32 s13, s51, 31
	s_ashr_i32 s2, s53, 31
	s_cmpk_lg_i32 s31, 0x80
	s_cselect_b64 s[44:45], -1, 0
	s_and_b64 vcc, exec, s[44:45]
	s_cbranch_vccz .LBB509_24
; %bb.23:
	s_mul_i32 s1, s51, s28
	s_mul_hi_i32 s0, s51, s28
	s_add_u32 s1, s1, s53
	s_addc_u32 s0, s0, s2
	s_mul_i32 s3, s1, s46
	s_mul_hi_u32 s4, s1, s30
	s_add_i32 s3, s4, s3
	s_mul_i32 s0, s0, s30
	s_add_i32 s3, s3, s0
	s_mul_i32 s1, s1, s30
	s_ashr_i32 s0, s56, 31
	s_add_u32 s46, s1, s56
	s_addc_u32 s47, s3, s0
	s_cbranch_execz .LBB509_25
	s_branch .LBB509_26
.LBB509_24:
                                        ; implicit-def: $sgpr46_sgpr47
.LBB509_25:
	s_mul_hi_i32 s0, s51, s30
	s_mul_i32 s51, s51, s30
	s_ashr_i32 s1, s56, 31
	s_add_u32 s3, s51, s56
	s_addc_u32 s0, s0, s1
	s_mul_i32 s1, s3, s50
	s_mul_hi_u32 s4, s3, s28
	s_add_i32 s1, s4, s1
	s_mul_i32 s0, s0, s28
	s_add_i32 s1, s1, s0
	s_mul_i32 s3, s3, s28
	s_add_u32 s46, s3, s53
	s_addc_u32 s47, s1, s2
.LBB509_26:
	s_add_i32 s3, s55, s52
	s_ashr_i32 s30, s33, 31
	s_add_u32 s8, s49, s33
	s_addc_u32 s9, s57, s30
	s_mul_i32 s0, s8, s50
	s_mul_hi_u32 s1, s8, s28
	s_add_i32 s0, s1, s0
	s_mul_i32 s1, s9, s28
	s_add_i32 s1, s0, s1
	s_mul_i32 s0, s8, s28
	s_add_u32 s0, s0, s53
	v_lshlrev_b32_e32 v22, 5, v1
	v_lshlrev_b32_e32 v40, 2, v62
	s_addc_u32 s1, s1, s2
	s_mov_b32 s2, 0x7060302
	v_or_b32_e32 v25, v22, v40
	v_xor_b32_e32 v23, v1, v40
	v_perm_b32 v19, v5, v4, s2
	v_perm_b32 v18, v3, v2, s2
	;; [unrolled: 1-line block ×4, first 2 shown]
	v_lshlrev_b32_e32 v25, 1, v25
	s_lshl_b64 s[10:11], s[0:1], 8
	v_xor_b32_e32 v24, v65, v40
	ds_write2st64_b64 v25, v[18:19], v[20:21] offset0:80 offset1:88
	v_lshlrev_b32_e32 v23, 1, v23
	v_lshlrev_b32_e32 v25, 8, v62
	s_add_u32 s0, s18, s10
	v_or_b32_e32 v26, v23, v25
	v_lshlrev_b32_e32 v24, 1, v24
	s_addc_u32 s1, s19, s11
	ds_write_b64 v26, v[18:19]
	v_or_b32_e32 v18, v24, v25
	v_or_b32_e32 v25, 16, v62
	s_mul_hi_i32 s4, s3, s29
	s_mul_i32 s3, s3, s29
	ds_write_b64 v18, v[20:21]
	v_perm_b32 v19, v13, v12, s2
	v_perm_b32 v18, v11, v10, s2
	;; [unrolled: 1-line block ×4, first 2 shown]
	v_lshlrev_b32_e32 v37, 2, v25
	s_add_u32 s2, s3, s33
	v_or_b32_e32 v22, v22, v37
	s_addc_u32 s3, s4, s30
	v_lshlrev_b32_e32 v22, 1, v22
	s_ashr_i32 s43, s42, 31
	s_lshl_b64 s[2:3], s[2:3], 15
	ds_write2st64_b64 v22, v[18:19], v[20:21] offset0:80 offset1:88
	v_lshlrev_b32_e32 v22, 8, v25
	s_waitcnt lgkmcnt(0)
	s_add_u32 s4, s24, s2
	v_or_b32_e32 v23, v23, v22
	s_addc_u32 s5, s25, s3
	s_lshl_b64 s[2:3], s[42:43], 8
	ds_write_b64 v23, v[18:19]
	v_or_b32_e32 v18, v24, v22
	s_add_u32 s2, s4, s2
	ds_write_b64 v18, v[20:21]
	v_lshrrev_b32_e32 v18, 4, v0
	s_addc_u32 s3, s5, s3
	v_lshlrev_b32_e32 v19, 1, v62
	v_lshlrev_b32_e32 v26, 4, v62
	v_mov_b32_e32 v27, 0
	v_or_b32_e32 v20, 1, v19
	v_xor_b32_e32 v19, v18, v19
	v_lshl_add_u64 v[28:29], s[2:3], 0, v[26:27]
	v_lshlrev_b32_e32 v26, 8, v18
	v_xor_b32_e32 v22, v20, v18
	v_lshl_or_b32 v18, v19, 3, v26
	s_waitcnt lgkmcnt(0)
	s_barrier
	ds_read2st64_b64 v[18:21], v18 offset1:8
	v_lshl_or_b32 v22, v22, 3, v26
	ds_read2st64_b64 v[22:25], v22 offset1:8
	v_lshl_add_u64 v[30:31], v[28:29], 0, v[26:27]
	s_movk_i32 s2, 0x1000
	s_waitcnt lgkmcnt(1)
	v_mov_b32_e32 v26, v18
	v_add_co_u32_e32 v18, vcc, s2, v30
	s_cmp_lg_u32 s54, 64
	v_mov_b32_e32 v27, v19
	v_addc_co_u32_e32 v19, vcc, 0, v31, vcc
	s_cselect_b64 s[14:15], -1, 0
	v_lshl_or_b32 v35, v58, 3, v64
	s_waitcnt lgkmcnt(0)
	v_mov_b32_e32 v28, v22
	v_mov_b32_e32 v29, v23
	;; [unrolled: 1-line block ×4, first 2 shown]
	s_mov_b32 s4, 0
	v_or_b32_e32 v38, 32, v35
	v_and_b32_e32 v36, 56, v63
	s_and_b64 vcc, exec, s[14:15]
	global_store_dwordx4 v[30:31], v[26:29], off
	global_store_dwordx4 v[18:19], v[22:25], off
	s_cbranch_vccz .LBB509_32
; %bb.27:
	s_mov_b32 s6, s4
	s_mov_b32 s7, s4
	;; [unrolled: 1-line block ×3, first 2 shown]
	v_mov_b64_e32 v[24:25], s[6:7]
	v_mov_b64_e32 v[22:23], s[4:5]
	;; [unrolled: 1-line block ×3, first 2 shown]
	v_cmp_gt_i32_e32 vcc, s54, v35
	v_mov_b64_e32 v[20:21], v[24:25]
	s_and_saveexec_b64 s[2:3], vcc
	s_cbranch_execz .LBB509_29
; %bb.28:
	v_lshlrev_b32_e32 v18, 8, v35
	v_mov_b32_e32 v19, 0
	v_lshl_add_u64 v[20:21], s[0:1], 0, v[18:19]
	v_lshlrev_b32_e32 v18, 1, v36
	v_lshl_add_u64 v[26:27], v[20:21], 0, v[18:19]
	global_load_dwordx4 v[22:25], v[26:27], off
	global_load_dwordx4 v[18:21], v[26:27], off offset:128
.LBB509_29:
	s_or_b64 exec, exec, s[2:3]
	s_mov_b32 s6, s4
	s_mov_b32 s7, s4
	;; [unrolled: 1-line block ×3, first 2 shown]
	v_mov_b64_e32 v[32:33], s[6:7]
	v_mov_b64_e32 v[30:31], s[4:5]
	;; [unrolled: 1-line block ×3, first 2 shown]
	v_cmp_gt_i32_e32 vcc, s54, v38
	v_lshlrev_b32_e32 v39, 7, v38
	v_mov_b64_e32 v[28:29], v[32:33]
	s_and_saveexec_b64 s[2:3], vcc
	s_cbranch_execz .LBB509_31
; %bb.30:
	v_lshlrev_b32_e32 v26, 1, v39
	v_mov_b32_e32 v27, 0
	v_lshl_add_u64 v[28:29], s[0:1], 0, v[26:27]
	v_lshlrev_b32_e32 v26, 1, v36
	v_lshl_add_u64 v[42:43], v[28:29], 0, v[26:27]
	global_load_dwordx4 v[30:33], v[42:43], off
	global_load_dwordx4 v[26:29], v[42:43], off offset:128
.LBB509_31:
	s_or_b64 exec, exec, s[2:3]
	v_lshrrev_b32_e32 v41, 3, v36
	v_lshlrev_b32_e32 v42, 3, v35
	v_or_b32_e32 v41, v42, v41
	v_lshlrev_b32_e32 v41, 4, v41
	v_and_b32_e32 v42, 0x78, v42
	v_xor_b32_e32 v41, v41, v42
	s_branch .LBB509_34
.LBB509_32:
                                        ; implicit-def: $vgpr41
                                        ; implicit-def: $vgpr39
                                        ; implicit-def: $vgpr22_vgpr23_vgpr24_vgpr25
                                        ; implicit-def: $vgpr18_vgpr19_vgpr20_vgpr21
                                        ; implicit-def: $vgpr30_vgpr31_vgpr32_vgpr33
                                        ; implicit-def: $vgpr26_vgpr27_vgpr28_vgpr29
	s_cbranch_execz .LBB509_34
; %bb.33:
	s_waitcnt vmcnt(0)
	v_lshlrev_b32_e32 v18, 1, v36
	v_lshl_or_b32 v39, v35, 8, v18
	s_and_b32 s1, s1, 0xffff
	s_mov_b32 s3, 0x20000
	s_movk_i32 s2, 0x4000
	v_lshl_or_b32 v41, v38, 8, v18
	s_movk_i32 s4, 0x80
	buffer_load_dwordx4 v[22:25], v39, s[0:3], 0 offen
	buffer_load_dwordx4 v[18:21], v39, s[0:3], s4 offen
	;; [unrolled: 1-line block ×4, first 2 shown]
	v_lshrrev_b32_e32 v39, 3, v36
	v_lshlrev_b32_e32 v41, 3, v35
	v_or_b32_e32 v39, v41, v39
	v_lshlrev_b32_e32 v39, 4, v39
	v_and_b32_e32 v41, 0x78, v41
	v_xor_b32_e32 v41, v39, v41
	v_lshlrev_b32_e32 v39, 7, v38
.LBB509_34:
	s_lshl_b64 s[0:1], s[46:47], 8
	s_add_u32 s4, s16, s0
	s_movk_i32 s0, 0x1000
	v_and_or_b32 v38, v39, s0, v41
	s_waitcnt vmcnt(1)
	ds_write_b64 v41, v[22:23] offset:24576
	v_xor_b32_e32 v22, 8, v41
	ds_write_b64 v22, v[24:25] offset:24576
	s_waitcnt vmcnt(0)
	ds_write_b64 v41, v[18:19] offset:32768
	ds_write_b64 v22, v[20:21] offset:32768
	;; [unrolled: 1-line block ×3, first 2 shown]
	v_xor_b32_e32 v18, 8, v38
	ds_write_b64 v18, v[32:33] offset:24576
	ds_write_b64 v38, v[26:27] offset:32768
	;; [unrolled: 1-line block ×3, first 2 shown]
	v_or_b32_e32 v18, v59, v62
	v_lshlrev_b32_e32 v18, 3, v18
	v_lshrrev_b32_e32 v19, 5, v60
	s_movk_i32 s7, 0xf8
	v_and_or_b32 v19, v18, s7, v19
	v_lshlrev_b32_e32 v23, 4, v19
	v_lshlrev_b32_e32 v41, 11, v58
	v_and_b32_e32 v24, 0x78, v18
	v_or_b32_e32 v26, 32, v23
	v_and_b32_e32 v22, 0x1000, v41
	v_lshrrev_b32_e32 v19, 1, v60
	v_xor_b32_e32 v26, v26, v24
	v_xor_b32_e32 v18, v23, v24
	v_and_b32_e32 v25, 8, v19
	v_or_b32_e32 v26, v26, v22
	v_or_b32_e32 v18, v18, v22
	v_xor_b32_e32 v45, v26, v25
	v_or_b32_e32 v26, 64, v23
	v_xor_b32_e32 v44, v18, v25
	v_xor_b32_e32 v26, v26, v24
	s_waitcnt lgkmcnt(0)
	s_barrier
	v_or_b32_e32 v28, v26, v22
	ds_read_b64 v[26:27], v44 offset:24576
	v_lshl_or_b32 v38, v61, 7, v40
	v_lshlrev_b32_e32 v42, 1, v38
	v_add_u32_e32 v18, 0xa000, v42
	ds_read2_b64 v[18:21], v18 offset1:16
	v_or_b32_e32 v23, 0x60, v23
	v_xor_b32_e32 v23, v23, v24
	s_waitcnt lgkmcnt(0)
	v_mfma_f32_16x16x16_bf16 a[0:3], v[26:27], v[18:19], 0
	v_or_b32_e32 v18, 64, v38
	v_or_b32_e32 v22, v23, v22
	v_lshlrev_b32_e32 v43, 1, v18
	v_xor_b32_e32 v46, v28, v25
	v_xor_b32_e32 v47, v22, v25
	ds_read_b64 v[28:29], v45 offset:24576
	ds_read_b64 v[30:31], v46 offset:24576
	;; [unrolled: 1-line block ×3, first 2 shown]
	v_mfma_f32_16x16x16_bf16 a[4:7], v[26:27], v[20:21], 0
	ds_read2st64_b64 v[18:21], v43 offset0:82 offset1:84
	ds_read2st64_b64 v[22:25], v42 offset0:82 offset1:84
	s_addc_u32 s5, s17, s1
	s_add_i32 s2, s28, -1
	s_add_i32 s0, s48, s37
	s_mul_i32 s13, s13, s36
	s_add_i32 s13, s0, s13
	s_mul_i32 s0, s33, s39
	s_mul_hi_u32 s1, s33, s38
	s_ashr_i32 s3, s2, 31
	s_mul_i32 s6, s2, s41
	s_mul_hi_u32 s7, s2, s40
	s_add_i32 s0, s1, s0
	s_mul_i32 s1, s30, s38
	s_add_i32 s6, s7, s6
	s_mul_i32 s3, s3, s40
	s_waitcnt lgkmcnt(1)
	v_mfma_f32_16x16x16_bf16 a[4:7], v[28:29], v[18:19], a[4:7]
	s_add_i32 s1, s0, s1
	s_add_i32 s3, s6, s3
	s_lshl_b64 s[6:7], s[12:13], 2
	s_waitcnt lgkmcnt(0)
	v_mfma_f32_16x16x16_bf16 a[0:3], v[28:29], v[22:23], a[0:3]
	s_mul_i32 s0, s33, s38
	s_add_u32 s6, s22, s6
	s_addc_u32 s7, s23, s7
	s_lshl_b64 s[0:1], s[0:1], 2
	s_mul_i32 s2, s2, s40
	s_add_u32 s12, s6, s0
	ds_read_b64 v[18:19], v42 offset:44032
	v_mfma_f32_16x16x16_bf16 a[4:7], v[30:31], v[20:21], a[4:7]
	ds_read_b64 v[20:21], v43 offset:44032
	s_addc_u32 s13, s7, s1
	s_lshl_b64 s[0:1], s[2:3], 2
	v_mfma_f32_16x16x16_bf16 a[0:3], v[30:31], v[24:25], a[0:3]
	s_add_u32 s0, s12, s0
	s_addc_u32 s1, s13, s1
	s_load_dword s16, s[0:1], 0x0
	s_waitcnt lgkmcnt(0)
	v_mfma_f32_16x16x16_bf16 a[0:3], v[32:33], v[18:19], a[0:3]
	s_and_b64 vcc, exec, s[44:45]
	v_mfma_f32_16x16x16_bf16 a[4:7], v[32:33], v[20:21], a[4:7]
	s_cbranch_vccz .LBB509_45
; %bb.35:
	v_lshlrev_b32_e32 v38, 1, v35
	s_and_b64 vcc, exec, s[14:15]
	s_cbranch_vccz .LBB509_46
; %bb.36:
	v_cmp_gt_i32_e32 vcc, s54, v38
	v_mov_b32_e32 v22, 0
	v_mov_b32_e32 v18, 0
	;; [unrolled: 1-line block ×5, first 2 shown]
	s_and_saveexec_b64 s[0:1], vcc
	s_cbranch_execz .LBB509_38
; %bb.37:
	v_mad_i64_i32 v[18:19], s[2:3], s31, v38, 0
	v_lshl_add_u64 v[18:19], v[18:19], 1, s[4:5]
	v_lshlrev_b32_e32 v20, 1, v36
	v_mov_b32_e32 v21, 0
	v_lshl_add_u64 v[18:19], v[18:19], 0, v[20:21]
	global_load_dwordx4 v[18:21], v[18:19], off
.LBB509_38:
	s_or_b64 exec, exec, s[0:1]
	v_or_b32_e32 v39, 1, v38
	v_cmp_gt_i32_e64 s[0:1], s54, v39
	v_mov_b32_e32 v23, 0
	v_mov_b32_e32 v24, 0
	;; [unrolled: 1-line block ×3, first 2 shown]
	s_and_saveexec_b64 s[2:3], s[0:1]
	s_cbranch_execz .LBB509_40
; %bb.39:
	v_mad_i64_i32 v[22:23], s[6:7], s31, v39, 0
	v_lshl_add_u64 v[22:23], v[22:23], 1, s[4:5]
	v_lshlrev_b32_e32 v24, 1, v36
	v_mov_b32_e32 v25, 0
	v_lshl_add_u64 v[22:23], v[22:23], 0, v[24:25]
	global_load_dwordx4 v[22:25], v[22:23], off
.LBB509_40:
	s_or_b64 exec, exec, s[2:3]
	v_mov_b32_e32 v33, 0
	v_mov_b32_e32 v26, 0
	;; [unrolled: 1-line block ×5, first 2 shown]
	s_and_saveexec_b64 s[2:3], vcc
	s_cbranch_execz .LBB509_42
; %bb.41:
	v_mad_i64_i32 v[26:27], s[6:7], s31, v38, 0
	v_lshl_add_u64 v[26:27], v[26:27], 1, s[4:5]
	v_lshlrev_b32_e32 v28, 1, v36
	v_mov_b32_e32 v29, 0
	v_lshl_add_u64 v[26:27], v[26:27], 0, v[28:29]
	global_load_dwordx4 v[26:29], v[26:27], off offset:128
.LBB509_42:
	s_or_b64 exec, exec, s[2:3]
	v_mov_b32_e32 v32, 0
	v_mov_b32_e32 v31, 0
	v_mov_b32_e32 v30, 0
	s_and_saveexec_b64 s[2:3], s[0:1]
	s_cbranch_execz .LBB509_44
; %bb.43:
	v_mad_i64_i32 v[30:31], s[0:1], s31, v39, 0
	v_lshl_add_u64 v[30:31], v[30:31], 1, s[4:5]
	v_lshlrev_b32_e32 v32, 1, v36
	v_mov_b32_e32 v33, 0
	v_lshl_add_u64 v[30:31], v[30:31], 0, v[32:33]
	global_load_dwordx4 v[30:33], v[30:31], off offset:128
.LBB509_44:
	s_or_b64 exec, exec, s[2:3]
	s_branch .LBB509_48
.LBB509_45:
                                        ; implicit-def: $vgpr21
                                        ; implicit-def: $vgpr25
                                        ; implicit-def: $vgpr29
                                        ; implicit-def: $vgpr33
	v_lshrrev_b32_e32 v48, 2, v60
	s_branch .LBB509_49
.LBB509_46:
                                        ; implicit-def: $vgpr21
                                        ; implicit-def: $vgpr25
                                        ; implicit-def: $vgpr29
                                        ; implicit-def: $vgpr33
	s_cbranch_execz .LBB509_48
; %bb.47:
	s_waitcnt vmcnt(0)
	v_mad_u64_u32 v[18:19], s[0:1], v38, s31, v[36:37]
	v_lshlrev_b32_e32 v38, 1, v18
	s_lshl_b32 s2, s31, 7
	s_and_b32 s1, s5, 0xffff
	s_mov_b32 s3, 0x20000
	s_mov_b32 s0, s4
	v_add_lshl_u32 v39, v18, s31, 1
	s_movk_i32 s6, 0x80
	buffer_load_dwordx4 v[18:21], v38, s[0:3], 0 offen
	buffer_load_dwordx4 v[26:29], v38, s[0:3], s6 offen
	;; [unrolled: 1-line block ×4, first 2 shown]
.LBB509_48:
	v_lshrrev_b32_e32 v48, 2, v60
	s_cbranch_execnz .LBB509_61
.LBB509_49:
	s_and_b64 vcc, exec, s[14:15]
	s_cbranch_vccz .LBB509_59
; %bb.50:
	s_waitcnt vmcnt(0)
	v_lshlrev_b32_e32 v23, 1, v35
	v_cmp_gt_i32_e32 vcc, s54, v23
	v_mov_b32_e32 v22, 0
	v_lshlrev_b32_e32 v30, 9, v35
	v_mov_b32_e32 v18, 0
	v_mov_b32_e32 v19, 0
	v_mov_b32_e32 v20, 0
	v_mov_b32_e32 v21, 0
	s_and_saveexec_b64 s[0:1], vcc
	s_cbranch_execz .LBB509_52
; %bb.51:
	v_mov_b32_e32 v31, 0
	v_lshl_add_u64 v[18:19], s[4:5], 0, v[30:31]
	v_lshlrev_b32_e32 v20, 1, v36
	v_mov_b32_e32 v21, v31
	v_lshl_add_u64 v[18:19], v[18:19], 0, v[20:21]
	global_load_dwordx4 v[18:21], v[18:19], off
.LBB509_52:
	s_or_b64 exec, exec, s[0:1]
	v_or_b32_e32 v23, 1, v23
	v_cmp_gt_i32_e64 s[0:1], s54, v23
	v_lshlrev_b32_e32 v38, 8, v23
	v_mov_b32_e32 v23, 0
	v_mov_b32_e32 v24, 0
	;; [unrolled: 1-line block ×3, first 2 shown]
	s_and_saveexec_b64 s[2:3], s[0:1]
	s_cbranch_execz .LBB509_54
; %bb.53:
	v_mov_b32_e32 v39, 0
	v_lshl_add_u64 v[22:23], s[4:5], 0, v[38:39]
	v_lshlrev_b32_e32 v24, 1, v36
	v_mov_b32_e32 v25, v39
	v_lshl_add_u64 v[22:23], v[22:23], 0, v[24:25]
	global_load_dwordx4 v[22:25], v[22:23], off
.LBB509_54:
	s_or_b64 exec, exec, s[2:3]
	v_mov_b32_e32 v33, 0
	v_mov_b32_e32 v26, 0
	;; [unrolled: 1-line block ×5, first 2 shown]
	s_and_saveexec_b64 s[2:3], vcc
	s_cbranch_execz .LBB509_56
; %bb.55:
	v_mov_b32_e32 v31, 0
	v_lshl_add_u64 v[26:27], s[4:5], 0, v[30:31]
	v_lshlrev_b32_e32 v30, 1, v36
	v_lshl_add_u64 v[26:27], v[26:27], 0, v[30:31]
	global_load_dwordx4 v[26:29], v[26:27], off offset:128
.LBB509_56:
	s_or_b64 exec, exec, s[2:3]
	v_mov_b32_e32 v32, 0
	v_mov_b32_e32 v31, 0
	;; [unrolled: 1-line block ×3, first 2 shown]
	s_and_saveexec_b64 s[2:3], s[0:1]
	s_cbranch_execz .LBB509_58
; %bb.57:
	v_mov_b32_e32 v39, 0
	v_lshl_add_u64 v[30:31], s[4:5], 0, v[38:39]
	v_lshlrev_b32_e32 v38, 1, v36
	v_lshl_add_u64 v[30:31], v[30:31], 0, v[38:39]
	global_load_dwordx4 v[30:33], v[30:31], off offset:128
.LBB509_58:
	s_or_b64 exec, exec, s[2:3]
	s_branch .LBB509_61
.LBB509_59:
                                        ; implicit-def: $vgpr21
                                        ; implicit-def: $vgpr25
                                        ; implicit-def: $vgpr29
                                        ; implicit-def: $vgpr33
	s_cbranch_execz .LBB509_61
; %bb.60:
	s_waitcnt vmcnt(0)
	v_lshlrev_b32_e32 v18, 1, v36
	v_lshl_or_b32 v36, v35, 9, v18
	s_and_b32 s5, s5, 0xffff
	s_mov_b32 s7, 0x20000
	s_movk_i32 s6, 0x4000
	s_movk_i32 s0, 0x80
	buffer_load_dwordx4 v[18:21], v36, s[4:7], 0 offen
	buffer_load_dwordx4 v[22:25], v36, s[4:7], 0 offen offset:256
	buffer_load_dwordx4 v[26:29], v36, s[4:7], s0 offen
	buffer_load_dwordx4 v[30:33], v36, s[4:7], s0 offen offset:256
.LBB509_61:
	ds_read_b64 v[38:39], v44 offset:32768
	v_add_u32_e32 v36, 0xb000, v42
	ds_read2_b64 v[50:53], v36 offset1:16
	ds_read_b64 v[54:55], v45 offset:32768
	ds_read_b64 v[56:57], v46 offset:32768
	;; [unrolled: 1-line block ×3, first 2 shown]
	v_and_b32_e32 v36, 6, v0
	v_xor_b32_e32 v35, v35, v36
	v_lshlrev_b32_e32 v35, 2, v35
	v_and_b32_e32 v49, 1, v0
	v_cmp_eq_u32_e32 vcc, 0, v49
	s_mov_b32 s0, 0x1000504
	s_waitcnt lgkmcnt(3)
	v_mfma_f32_16x16x16_bf16 a[0:3], v[38:39], v[50:51], a[0:3]
	s_mov_b32 s1, 0x3020706
	v_mfma_f32_16x16x16_bf16 a[4:7], v[38:39], v[52:53], a[4:7]
	ds_read2st64_b64 v[44:47], v42 offset0:90 offset1:92
	ds_read2st64_b64 v[50:53], v43 offset0:90 offset1:92
	s_waitcnt lgkmcnt(1)
	v_mfma_f32_16x16x16_bf16 a[0:3], v[54:55], v[44:45], a[0:3]
	ds_read_b64 v[38:39], v42 offset:48128
	ds_read_b64 v[44:45], v43 offset:48128
	s_waitcnt lgkmcnt(2)
	v_mfma_f32_16x16x16_bf16 a[4:7], v[54:55], v[50:51], a[4:7]
	v_mfma_f32_16x16x16_bf16 a[0:3], v[56:57], v[46:47], a[0:3]
	v_xor_b32_e32 v46, 0x440, v35
	v_cndmask_b32_e32 v35, v46, v35, vcc
	v_lshl_or_b32 v35, v36, 10, v35
	v_mfma_f32_16x16x16_bf16 a[8:11], v[56:57], v[52:53], a[4:7]
	s_waitcnt vmcnt(0)
	v_perm_b32 v36, v18, v22, s0
	v_perm_b32 v18, v18, v22, s1
	;; [unrolled: 1-line block ×3, first 2 shown]
	s_waitcnt lgkmcnt(1)
	v_mfma_f32_16x16x16_bf16 a[4:7], v[60:61], v[38:39], a[0:3]
	v_perm_b32 v38, v26, v30, s0
	ds_write2st64_b32 v35, v36, v38 offset0:32 offset1:64
	v_xor_b32_e32 v36, 8, v35
	v_add_u32_e32 v26, 0x80, v36
	ds_write2st64_b32 v26, v18, v22 offset0:32 offset1:64
	v_xor_b32_e32 v18, 16, v35
	v_perm_b32 v22, v19, v23, s0
	v_perm_b32 v26, v27, v31, s0
	ds_write2st64_b32 v18, v22, v26 offset0:33 offset1:65
	v_xor_b32_e32 v18, 24, v35
	v_perm_b32 v19, v19, v23, s1
	v_perm_b32 v22, v27, v31, s1
	v_add_u32_e32 v18, 0x80, v18
	ds_write2st64_b32 v18, v19, v22 offset0:33 offset1:65
	v_xor_b32_e32 v18, 32, v35
	v_perm_b32 v19, v20, v24, s0
	v_perm_b32 v22, v28, v32, s0
	ds_write2st64_b32 v18, v19, v22 offset0:34 offset1:66
	v_xor_b32_e32 v18, 40, v35
	s_waitcnt lgkmcnt(5)
	v_mfma_f32_16x16x16_bf16 a[0:3], v[60:61], v[44:45], a[8:11]
	v_perm_b32 v19, v20, v24, s1
	v_perm_b32 v20, v28, v32, s1
	v_add_u32_e32 v18, 0x80, v18
	ds_write2st64_b32 v18, v19, v20 offset0:34 offset1:66
	v_xor_b32_e32 v18, 48, v35
	v_perm_b32 v19, v21, v25, s0
	v_perm_b32 v20, v29, v33, s0
	ds_write2st64_b32 v18, v19, v20 offset0:35 offset1:67
	v_xor_b32_e32 v18, 56, v35
	v_and_or_b32 v45, v48, 12, v59
	v_perm_b32 v19, v21, v25, s1
	v_perm_b32 v20, v29, v33, s1
	v_add_u32_e32 v18, 0x80, v18
	v_cmp_gt_i32_e32 vcc, s54, v45
	v_mov_b32_e32 v36, 0
	v_mov_b32_e32 v39, 0
	ds_write2st64_b32 v18, v19, v20 offset0:35 offset1:67
	s_and_saveexec_b64 s[0:1], vcc
	s_cbranch_execz .LBB509_63
; %bb.62:
	v_add_u32_e32 v18, s53, v45
	v_ashrrev_i32_e32 v19, 31, v18
	v_mul_lo_u32 v20, v19, s40
	v_mul_lo_u32 v21, v18, s41
	v_mad_u64_u32 v[18:19], s[2:3], v18, s40, 0
	v_add3_u32 v19, v19, v21, v20
	v_lshl_add_u64 v[18:19], v[18:19], 2, s[12:13]
	global_load_dword v18, v[18:19], off
	s_waitcnt vmcnt(0)
	v_sub_f32_e32 v18, s16, v18
	v_mul_f32_e32 v18, 0x3fb8aa3b, v18
	v_exp_f32_e32 v39, v18
.LBB509_63:
	s_or_b64 exec, exec, s[0:1]
	v_or_b32_e32 v29, 1, v45
	v_cmp_gt_i32_e64 s[0:1], s54, v29
	s_and_saveexec_b64 s[2:3], s[0:1]
	s_cbranch_execz .LBB509_65
; %bb.64:
	v_add_u32_e32 v18, s53, v29
	v_ashrrev_i32_e32 v19, 31, v18
	v_mul_lo_u32 v20, v19, s40
	v_mul_lo_u32 v21, v18, s41
	v_mad_u64_u32 v[18:19], s[4:5], v18, s40, 0
	v_add3_u32 v19, v19, v21, v20
	v_lshl_add_u64 v[18:19], v[18:19], 2, s[12:13]
	global_load_dword v18, v[18:19], off
	s_waitcnt vmcnt(0)
	v_sub_f32_e32 v18, s16, v18
	v_mul_f32_e32 v18, 0x3fb8aa3b, v18
	v_exp_f32_e32 v36, v18
.LBB509_65:
	s_or_b64 exec, exec, s[2:3]
	v_or_b32_e32 v28, 2, v45
	v_cmp_gt_i32_e64 s[2:3], s54, v28
	v_mov_b32_e32 v38, 0
	v_mov_b32_e32 v44, 0
	s_and_saveexec_b64 s[4:5], s[2:3]
	s_cbranch_execz .LBB509_67
; %bb.66:
	v_add_u32_e32 v18, s53, v28
	v_ashrrev_i32_e32 v19, 31, v18
	v_mul_lo_u32 v20, v19, s40
	v_mul_lo_u32 v21, v18, s41
	v_mad_u64_u32 v[18:19], s[6:7], v18, s40, 0
	v_add3_u32 v19, v19, v21, v20
	v_lshl_add_u64 v[18:19], v[18:19], 2, s[12:13]
	global_load_dword v18, v[18:19], off
	s_waitcnt vmcnt(0)
	v_sub_f32_e32 v18, s16, v18
	v_mul_f32_e32 v18, 0x3fb8aa3b, v18
	v_exp_f32_e32 v44, v18
.LBB509_67:
	s_or_b64 exec, exec, s[4:5]
	v_or_b32_e32 v46, 3, v45
	v_cmp_gt_i32_e64 s[4:5], s54, v46
	s_and_saveexec_b64 s[6:7], s[4:5]
	s_cbranch_execz .LBB509_69
; %bb.68:
	v_add_u32_e32 v18, s53, v46
	v_ashrrev_i32_e32 v19, 31, v18
	v_mul_lo_u32 v20, v19, s40
	v_mul_lo_u32 v21, v18, s41
	v_mad_u64_u32 v[18:19], s[14:15], v18, s40, 0
	v_add3_u32 v19, v19, v21, v20
	v_lshl_add_u64 v[18:19], v[18:19], 2, s[12:13]
	global_load_dword v18, v[18:19], off
	s_waitcnt vmcnt(0)
	v_sub_f32_e32 v18, s16, v18
	v_mul_f32_e32 v18, 0x3fb8aa3b, v18
	v_exp_f32_e32 v38, v18
.LBB509_69:
	s_or_b64 exec, exec, s[6:7]
	s_add_u32 s6, s20, s10
	s_addc_u32 s7, s21, s11
	s_add_u32 s10, s26, s10
	v_ashrrev_i32_e32 v35, 31, v34
	v_accvgpr_read_b32 v21, a7
	s_addc_u32 s11, s27, s11
	v_lshlrev_b64 v[22:23], 1, v[34:35]
	v_accvgpr_read_b32 v20, a6
	v_accvgpr_read_b32 v19, a5
	;; [unrolled: 1-line block ×3, first 2 shown]
	v_lshl_add_u64 v[24:25], s[6:7], 0, v[22:23]
	v_lshl_add_u64 v[22:23], s[10:11], 0, v[22:23]
	v_mov_b32_e32 v31, 0
	v_lshlrev_b32_e32 v26, 8, v45
	v_mov_b32_e32 v27, 0
	s_and_saveexec_b64 s[6:7], vcc
	s_cbranch_execz .LBB509_71
; %bb.70:
	v_mov_b32_e32 v27, 0
	v_lshl_add_u64 v[32:33], v[24:25], 0, v[26:27]
	global_load_ushort v30, v[32:33], off
	v_lshl_add_u64 v[32:33], v[22:23], 0, v[26:27]
	s_waitcnt vmcnt(0)
	v_lshlrev_b32_e32 v27, 16, v30
	v_sub_f32_e32 v18, v27, v18
	global_store_short_d16_hi v[32:33], v18, off
	v_mul_f32_e32 v18, v39, v18
	v_lshrrev_b32_e32 v27, 16, v18
.LBB509_71:
	s_or_b64 exec, exec, s[6:7]
	v_lshlrev_b32_e32 v30, 8, v29
	s_and_saveexec_b64 s[6:7], s[0:1]
	s_cbranch_execz .LBB509_73
; %bb.72:
	v_mov_b32_e32 v31, 0
	v_lshl_add_u64 v[32:33], v[24:25], 0, v[30:31]
	global_load_ushort v18, v[32:33], off
	v_lshl_add_u64 v[32:33], v[22:23], 0, v[30:31]
	s_waitcnt vmcnt(0)
	v_lshlrev_b32_e32 v18, 16, v18
	v_sub_f32_e32 v18, v18, v19
	global_store_short_d16_hi v[32:33], v18, off
	v_mul_f32_e32 v18, v36, v18
	v_lshrrev_b32_e32 v31, 16, v18
.LBB509_73:
	s_or_b64 exec, exec, s[6:7]
	v_mov_b32_e32 v29, 0
	v_lshlrev_b32_e32 v32, 8, v28
	v_mov_b32_e32 v33, 0
	s_and_saveexec_b64 s[6:7], s[2:3]
	s_cbranch_execz .LBB509_75
; %bb.74:
	v_mov_b32_e32 v33, 0
	v_lshl_add_u64 v[18:19], v[24:25], 0, v[32:33]
	global_load_ushort v28, v[18:19], off
	v_lshl_add_u64 v[18:19], v[22:23], 0, v[32:33]
	s_waitcnt vmcnt(0)
	v_lshlrev_b32_e32 v28, 16, v28
	v_sub_f32_e32 v20, v28, v20
	global_store_short_d16_hi v[18:19], v20, off
	v_mul_f32_e32 v18, v44, v20
	v_lshrrev_b32_e32 v33, 16, v18
.LBB509_75:
	s_or_b64 exec, exec, s[6:7]
	v_lshlrev_b32_e32 v28, 8, v46
	s_and_saveexec_b64 s[6:7], s[4:5]
	s_cbranch_execz .LBB509_77
; %bb.76:
	v_mov_b32_e32 v29, 0
	v_lshl_add_u64 v[18:19], v[24:25], 0, v[28:29]
	global_load_ushort v20, v[18:19], off
	v_lshl_add_u64 v[18:19], v[22:23], 0, v[28:29]
	s_waitcnt vmcnt(0)
	v_lshlrev_b32_e32 v20, 16, v20
	v_sub_f32_e32 v20, v20, v21
	global_store_short_d16_hi v[18:19], v20, off
	v_mul_f32_e32 v18, v38, v20
	v_lshrrev_b32_e32 v29, 16, v18
.LBB509_77:
	s_or_b64 exec, exec, s[6:7]
	v_lshlrev_b32_e32 v35, 5, v45
	s_mov_b32 s6, 0x5040100
	v_perm_b32 v46, v31, v27, s6
	v_or_b32_e32 v27, v35, v40
	v_accvgpr_read_b32 v21, a3
	v_perm_b32 v47, v29, v33, s6
	v_lshlrev_b32_e32 v27, 1, v27
	v_accvgpr_read_b32 v20, a2
	v_accvgpr_read_b32 v19, a1
	;; [unrolled: 1-line block ×3, first 2 shown]
	ds_write_b64 v27, v[46:47] offset:45056
	v_mov_b32_e32 v31, 0
	v_mov_b32_e32 v27, 0
	s_and_saveexec_b64 s[6:7], vcc
	s_cbranch_execz .LBB509_79
; %bb.78:
	v_mov_b32_e32 v27, 0
	v_lshl_add_u64 v[46:47], v[24:25], 0, v[26:27]
	global_load_ushort v29, v[46:47], off offset:32
	v_lshl_add_u64 v[26:27], v[22:23], 0, v[26:27]
	s_waitcnt vmcnt(0)
	v_lshlrev_b32_e32 v29, 16, v29
	v_sub_f32_e32 v18, v29, v18
	global_store_short_d16_hi v[26:27], v18, off offset:32
	v_mul_f32_e32 v18, v39, v18
	v_lshrrev_b32_e32 v27, 16, v18
.LBB509_79:
	s_or_b64 exec, exec, s[6:7]
	s_and_saveexec_b64 s[6:7], s[0:1]
	s_cbranch_execz .LBB509_81
; %bb.80:
	v_mov_b32_e32 v31, 0
	v_lshl_add_u64 v[46:47], v[24:25], 0, v[30:31]
	global_load_ushort v18, v[46:47], off offset:32
	v_lshl_add_u64 v[30:31], v[22:23], 0, v[30:31]
	s_waitcnt vmcnt(0)
	v_lshlrev_b32_e32 v18, 16, v18
	v_sub_f32_e32 v18, v18, v19
	global_store_short_d16_hi v[30:31], v18, off offset:32
	v_mul_f32_e32 v18, v36, v18
	v_lshrrev_b32_e32 v31, 16, v18
.LBB509_81:
	s_or_b64 exec, exec, s[6:7]
	v_mov_b32_e32 v26, 0
	v_mov_b32_e32 v30, 0
	s_and_saveexec_b64 s[0:1], s[2:3]
	s_cbranch_execz .LBB509_83
; %bb.82:
	v_mov_b32_e32 v33, 0
	v_lshl_add_u64 v[18:19], v[24:25], 0, v[32:33]
	global_load_ushort v29, v[18:19], off offset:32
	v_lshl_add_u64 v[18:19], v[22:23], 0, v[32:33]
	s_waitcnt vmcnt(0)
	v_lshlrev_b32_e32 v29, 16, v29
	v_sub_f32_e32 v20, v29, v20
	global_store_short_d16_hi v[18:19], v20, off offset:32
	v_mul_f32_e32 v18, v44, v20
	v_lshrrev_b32_e32 v30, 16, v18
.LBB509_83:
	s_or_b64 exec, exec, s[0:1]
	v_or_b32_e32 v19, 0xb000, v42
	v_or_b32_e32 v18, 0xb000, v43
	s_and_saveexec_b64 s[0:1], s[4:5]
	s_cbranch_execz .LBB509_85
; %bb.84:
	v_mov_b32_e32 v29, 0
	v_lshl_add_u64 v[24:25], v[24:25], 0, v[28:29]
	global_load_ushort v20, v[24:25], off offset:32
	v_lshl_add_u64 v[22:23], v[22:23], 0, v[28:29]
	s_waitcnt vmcnt(0)
	v_lshlrev_b32_e32 v20, 16, v20
	v_sub_f32_e32 v20, v20, v21
	global_store_short_d16_hi v[22:23], v20, off offset:32
	v_mul_f32_e32 v20, v38, v20
	v_lshrrev_b32_e32 v26, 16, v20
.LBB509_85:
	s_or_b64 exec, exec, s[0:1]
	s_mov_b32 s0, 0x5040100
	v_or_b32_e32 v22, v35, v37
	v_perm_b32 v21, v26, v30, s0
	v_perm_b32 v20, v31, v27, s0
	v_lshlrev_b32_e32 v22, 1, v22
	s_movk_i32 s0, 0x100
	ds_write_b64 v22, v[20:21] offset:45056
	v_and_b32_e32 v20, 7, v0
	v_and_b32_e32 v21, 8, v0
	v_cmp_gt_u32_e32 vcc, s0, v0
	v_lshrrev_b32_e32 v0, 1, v0
	v_lshlrev_b32_e32 v35, 3, v20
	v_lshlrev_b32_e32 v36, 7, v20
	v_mov_b32_e32 v20, 0x4000
	v_mov_b32_e32 v22, 0x2000
	v_lshlrev_b32_e32 v38, 3, v58
	v_and_b32_e32 v0, 24, v0
	v_cndmask_b32_e32 v37, v20, v22, vcc
	v_xor_b32_e32 v20, v38, v0
	v_or_b32_e32 v26, 32, v0
	v_or_b32_e32 v22, 0x440, v20
	v_cmp_eq_u32_e32 vcc, 0, v21
	v_xor_b32_e32 v26, v38, v26
	v_or_b32_e32 v27, 0x440, v26
	v_cndmask_b32_e32 v20, v22, v20, vcc
	v_or_b32_e32 v20, v20, v41
	v_cndmask_b32_e32 v26, v27, v26, vcc
	v_xad_u32 v40, v20, v35, v36
	v_or_b32_e32 v26, v26, v41
	v_add_u32_e32 v20, v37, v40
	v_xad_u32 v42, v26, v35, v36
	s_waitcnt lgkmcnt(0)
	s_barrier
	ds_read_b64 v[24:25], v20
	ds_read2_b64 v[20:23], v19 offset1:16
	v_add_u32_e32 v26, v37, v42
	ds_read_b64 v[32:33], v26
	s_waitcnt lgkmcnt(1)
	v_mfma_f32_16x16x16_bf16 a[0:3], v[24:25], v[20:21], 0
	ds_read2st64_b64 v[28:31], v18 offset0:2 offset1:4
	v_mfma_f32_16x16x16_bf16 a[4:7], v[24:25], v[22:23], 0
	ds_read2st64_b64 v[24:27], v19 offset0:2 offset1:4
	s_waitcnt lgkmcnt(0)
	v_mfma_f32_16x16x16_bf16 a[0:3], v[32:33], v[24:25], a[0:3]
	v_mfma_f32_16x16x16_bf16 a[4:7], v[32:33], v[28:29], a[4:7]
	v_or_b32_e32 v32, 64, v0
	v_xor_b32_e32 v32, v38, v32
	v_xor_b32_e32 v33, 0x440, v32
	v_cndmask_b32_e32 v32, v33, v32, vcc
	v_or_b32_e32 v32, v32, v41
	v_or_b32_e32 v0, 0x60, v0
	v_xad_u32 v43, v32, v35, v36
	v_xor_b32_e32 v0, v38, v0
	v_add_u32_e32 v32, v37, v43
	v_xor_b32_e32 v38, 0x440, v0
	ds_read_b64 v[32:33], v32
	v_cndmask_b32_e32 v0, v38, v0, vcc
	v_or_b32_e32 v0, v0, v41
	v_xad_u32 v0, v0, v35, v36
	v_add_u32_e32 v35, v37, v0
	ds_read_b64 v[36:37], v35
	s_waitcnt lgkmcnt(1)
	v_mfma_f32_16x16x16_bf16 a[0:3], v[32:33], v[26:27], a[0:3]
	v_mov_b32_e32 v35, 0x3fb8aa3b
	v_mfma_f32_16x16x16_bf16 a[4:7], v[32:33], v[30:31], a[4:7]
	ds_read_b64 v[32:33], v19 offset:3072
	ds_read_b64 v[38:39], v18 offset:3072
	;; [unrolled: 1-line block ×3, first 2 shown]
	s_waitcnt lgkmcnt(2)
	v_mfma_f32_16x16x16_bf16 a[0:3], v[36:37], v[32:33], a[0:3]
	s_waitcnt lgkmcnt(1)
	v_mfma_f32_16x16x16_bf16 a[4:7], v[36:37], v[38:39], a[4:7]
	ds_read_b64 v[36:37], v42 offset:16384
	s_waitcnt lgkmcnt(1)
	v_mfma_f32_16x16x16_bf16 a[8:11], v[18:19], v[20:21], 0
	v_mul_f32_e32 v20, s16, v35
	v_exp_f32_e32 v35, v20
	v_accvgpr_read_b32 v21, a3
	v_mfma_f32_16x16x16_bf16 a[12:15], v[18:19], v[22:23], 0
	ds_read_b64 v[22:23], v43 offset:16384
	v_accvgpr_read_b32 v18, a0
	v_fma_f32 v18, v2, v35, v18
	v_accvgpr_read_b32 v2, a1
	v_fma_f32 v19, v3, v35, v2
	;; [unrolled: 2-line block ×3, first 2 shown]
	ds_read_b64 v[2:3], v0 offset:16384
	s_waitcnt lgkmcnt(2)
	v_mfma_f32_16x16x16_bf16 a[8:11], v[36:37], v[24:25], a[8:11]
	v_accvgpr_read_b32 v0, a4
	v_fmac_f32_e32 v21, v5, v35
	v_mfma_f32_16x16x16_bf16 a[12:15], v[36:37], v[28:29], a[12:15]
	v_accvgpr_read_b32 v29, a7
	v_fmac_f32_e32 v29, v13, v35
	s_waitcnt lgkmcnt(1)
	v_mfma_f32_16x16x16_bf16 a[0:3], v[22:23], v[26:27], a[8:11]
	v_fma_f32 v26, v10, v35, v0
	v_accvgpr_read_b32 v0, a5
	v_fma_f32 v27, v11, v35, v0
	v_mfma_f32_16x16x16_bf16 a[8:11], v[22:23], v[30:31], a[12:15]
	v_accvgpr_read_b32 v0, a6
	v_fma_f32 v28, v12, v35, v0
	s_waitcnt lgkmcnt(0)
	v_mfma_f32_16x16x16_bf16 a[0:3], v[2:3], v[32:33], a[0:3]
	v_mfma_f32_16x16x16_bf16 a[4:7], v[2:3], v[38:39], a[8:11]
	s_nop 5
	v_accvgpr_read_b32 v0, a0
	v_fma_f32 v22, v6, v35, v0
	v_accvgpr_read_b32 v0, a1
	v_fma_f32 v23, v7, v35, v0
	;; [unrolled: 2-line block ×4, first 2 shown]
	v_accvgpr_read_b32 v0, a5
	v_accvgpr_read_b32 v25, a3
	v_fma_f32 v31, v15, v35, v0
	v_accvgpr_read_b32 v0, a6
	v_accvgpr_read_b32 v33, a7
	v_fmac_f32_e32 v25, v9, v35
	v_fma_f32 v32, v16, v35, v0
	v_fmac_f32_e32 v33, v17, v35
	v_mov_b64_e32 v[2:3], v[18:19]
	v_mov_b64_e32 v[4:5], v[20:21]
	;; [unrolled: 1-line block ×8, first 2 shown]
	v_mov_b32_e32 v18, v34
.LBB509_86:
	s_lshl_b64 s[0:1], s[8:9], 16
	s_waitcnt lgkmcnt(0)
	s_add_u32 s0, s34, s0
	v_lshlrev_b32_e32 v18, 7, v18
	s_addc_u32 s1, s35, s1
	v_ashrrev_i32_e32 v19, 31, v18
	v_lshl_add_u64 v[20:21], v[18:19], 2, s[0:1]
	v_lshlrev_b32_e32 v0, 2, v1
	v_mov_b32_e32 v1, 0
	v_lshl_add_u64 v[20:21], v[20:21], 0, v[0:1]
	global_store_dwordx4 v[20:21], v[2:5], off
	global_store_dwordx4 v[20:21], v[6:9], off offset:256
	s_nop 0
	v_or_b32_e32 v2, 0x800, v18
	v_ashrrev_i32_e32 v3, 31, v2
	v_lshl_add_u64 v[2:3], v[2:3], 2, s[0:1]
	v_lshl_add_u64 v[0:1], v[2:3], 0, v[0:1]
	global_store_dwordx4 v[0:1], v[10:13], off
	global_store_dwordx4 v[0:1], v[14:17], off offset:256
	s_endpgm
	.section	.rodata,"a",@progbits
	.p2align	6, 0x0
	.amdhsa_kernel _ZN12_GLOBAL__N_139chunk_gated_delta_rule_fwd_h_hip_kernelILi32ELb0ELb1ELb1ELb0ELb0ELb0ELb0ELb0EEEvPK12hip_bfloat16S3_S3_PKfS5_PKvPS1_S8_PvPKiSB_iiiiilll
		.amdhsa_group_segment_fixed_size 49152
		.amdhsa_private_segment_fixed_size 0
		.amdhsa_kernarg_size 136
		.amdhsa_user_sgpr_count 2
		.amdhsa_user_sgpr_dispatch_ptr 0
		.amdhsa_user_sgpr_queue_ptr 0
		.amdhsa_user_sgpr_kernarg_segment_ptr 1
		.amdhsa_user_sgpr_dispatch_id 0
		.amdhsa_user_sgpr_kernarg_preload_length 0
		.amdhsa_user_sgpr_kernarg_preload_offset 0
		.amdhsa_user_sgpr_private_segment_size 0
		.amdhsa_uses_dynamic_stack 0
		.amdhsa_enable_private_segment 0
		.amdhsa_system_sgpr_workgroup_id_x 1
		.amdhsa_system_sgpr_workgroup_id_y 1
		.amdhsa_system_sgpr_workgroup_id_z 0
		.amdhsa_system_sgpr_workgroup_info 0
		.amdhsa_system_vgpr_workitem_id 0
		.amdhsa_next_free_vgpr 152
		.amdhsa_next_free_sgpr 68
		.amdhsa_accum_offset 136
		.amdhsa_reserve_vcc 1
		.amdhsa_float_round_mode_32 0
		.amdhsa_float_round_mode_16_64 0
		.amdhsa_float_denorm_mode_32 3
		.amdhsa_float_denorm_mode_16_64 3
		.amdhsa_dx10_clamp 1
		.amdhsa_ieee_mode 1
		.amdhsa_fp16_overflow 0
		.amdhsa_tg_split 0
		.amdhsa_exception_fp_ieee_invalid_op 0
		.amdhsa_exception_fp_denorm_src 0
		.amdhsa_exception_fp_ieee_div_zero 0
		.amdhsa_exception_fp_ieee_overflow 0
		.amdhsa_exception_fp_ieee_underflow 0
		.amdhsa_exception_fp_ieee_inexact 0
		.amdhsa_exception_int_div_zero 0
	.end_amdhsa_kernel
	.section	.text._ZN12_GLOBAL__N_139chunk_gated_delta_rule_fwd_h_hip_kernelILi32ELb0ELb1ELb1ELb0ELb0ELb0ELb0ELb0EEEvPK12hip_bfloat16S3_S3_PKfS5_PKvPS1_S8_PvPKiSB_iiiiilll,"axG",@progbits,_ZN12_GLOBAL__N_139chunk_gated_delta_rule_fwd_h_hip_kernelILi32ELb0ELb1ELb1ELb0ELb0ELb0ELb0ELb0EEEvPK12hip_bfloat16S3_S3_PKfS5_PKvPS1_S8_PvPKiSB_iiiiilll,comdat
.Lfunc_end509:
	.size	_ZN12_GLOBAL__N_139chunk_gated_delta_rule_fwd_h_hip_kernelILi32ELb0ELb1ELb1ELb0ELb0ELb0ELb0ELb0EEEvPK12hip_bfloat16S3_S3_PKfS5_PKvPS1_S8_PvPKiSB_iiiiilll, .Lfunc_end509-_ZN12_GLOBAL__N_139chunk_gated_delta_rule_fwd_h_hip_kernelILi32ELb0ELb1ELb1ELb0ELb0ELb0ELb0ELb0EEEvPK12hip_bfloat16S3_S3_PKfS5_PKvPS1_S8_PvPKiSB_iiiiilll
                                        ; -- End function
	.section	.AMDGPU.csdata,"",@progbits
; Kernel info:
; codeLenInByte = 9720
; NumSgprs: 74
; NumVgprs: 134
; NumAgprs: 16
; TotalNumVgprs: 152
; ScratchSize: 0
; MemoryBound: 0
; FloatMode: 240
; IeeeMode: 1
; LDSByteSize: 49152 bytes/workgroup (compile time only)
; SGPRBlocks: 9
; VGPRBlocks: 18
; NumSGPRsForWavesPerEU: 74
; NumVGPRsForWavesPerEU: 152
; AccumOffset: 136
; Occupancy: 1
; WaveLimiterHint : 1
; COMPUTE_PGM_RSRC2:SCRATCH_EN: 0
; COMPUTE_PGM_RSRC2:USER_SGPR: 2
; COMPUTE_PGM_RSRC2:TRAP_HANDLER: 0
; COMPUTE_PGM_RSRC2:TGID_X_EN: 1
; COMPUTE_PGM_RSRC2:TGID_Y_EN: 1
; COMPUTE_PGM_RSRC2:TGID_Z_EN: 0
; COMPUTE_PGM_RSRC2:TIDIG_COMP_CNT: 0
; COMPUTE_PGM_RSRC3_GFX90A:ACCUM_OFFSET: 33
; COMPUTE_PGM_RSRC3_GFX90A:TG_SPLIT: 0
	.section	.text._ZN12_GLOBAL__N_139chunk_gated_delta_rule_fwd_h_hip_kernelILi32ELb0ELb1ELb0ELb0ELb0ELb0ELb0ELb0EEEvPK12hip_bfloat16S3_S3_PKfS5_PKvPS1_S8_PvPKiSB_iiiiilll,"axG",@progbits,_ZN12_GLOBAL__N_139chunk_gated_delta_rule_fwd_h_hip_kernelILi32ELb0ELb1ELb0ELb0ELb0ELb0ELb0ELb0EEEvPK12hip_bfloat16S3_S3_PKfS5_PKvPS1_S8_PvPKiSB_iiiiilll,comdat
	.globl	_ZN12_GLOBAL__N_139chunk_gated_delta_rule_fwd_h_hip_kernelILi32ELb0ELb1ELb0ELb0ELb0ELb0ELb0ELb0EEEvPK12hip_bfloat16S3_S3_PKfS5_PKvPS1_S8_PvPKiSB_iiiiilll ; -- Begin function _ZN12_GLOBAL__N_139chunk_gated_delta_rule_fwd_h_hip_kernelILi32ELb0ELb1ELb0ELb0ELb0ELb0ELb0ELb0EEEvPK12hip_bfloat16S3_S3_PKfS5_PKvPS1_S8_PvPKiSB_iiiiilll
	.p2align	8
	.type	_ZN12_GLOBAL__N_139chunk_gated_delta_rule_fwd_h_hip_kernelILi32ELb0ELb1ELb0ELb0ELb0ELb0ELb0ELb0EEEvPK12hip_bfloat16S3_S3_PKfS5_PKvPS1_S8_PvPKiSB_iiiiilll,@function
_ZN12_GLOBAL__N_139chunk_gated_delta_rule_fwd_h_hip_kernelILi32ELb0ELb1ELb0ELb0ELb0ELb0ELb0ELb0EEEvPK12hip_bfloat16S3_S3_PKfS5_PKvPS1_S8_PvPKiSB_iiiiilll: ; @_ZN12_GLOBAL__N_139chunk_gated_delta_rule_fwd_h_hip_kernelILi32ELb0ELb1ELb0ELb0ELb0ELb0ELb0ELb0EEEvPK12hip_bfloat16S3_S3_PKfS5_PKvPS1_S8_PvPKiSB_iiiiilll
; %bb.0:
	s_load_dwordx4 s[24:27], s[0:1], 0x5c
	s_load_dwordx4 s[28:31], s[0:1], 0x70
	s_abs_i32 s6, s3
	s_ashr_i32 s5, s3, 31
	s_load_dwordx8 s[16:23], s[0:1], 0x0
	s_waitcnt lgkmcnt(0)
	s_abs_i32 s4, s25
	v_cvt_f32_u32_e32 v1, s4
	s_sub_i32 s8, 0, s4
	s_ashr_i32 s7, s25, 31
	s_xor_b32 s5, s5, s7
	v_rcp_iflag_f32_e32 v1, v1
	s_load_dwordx2 s[34:35], s[0:1], 0x40
	s_load_dwordx2 s[38:39], s[0:1], 0x30
	;; [unrolled: 1-line block ×3, first 2 shown]
	s_mov_b32 s0, 0
	v_mul_f32_e32 v1, 0x4f7ffffe, v1
	v_cvt_u32_f32_e32 v1, v1
	v_lshrrev_b32_e32 v56, 6, v0
	v_bfe_u32 v59, v0, 4, 2
	v_lshlrev_b32_e32 v57, 4, v56
	v_readfirstlane_b32 s9, v1
	s_mul_i32 s8, s8, s9
	s_mul_hi_u32 s8, s9, s8
	s_add_i32 s9, s9, s8
	s_mul_hi_u32 s8, s6, s9
	s_mul_i32 s9, s8, s4
	s_sub_i32 s6, s6, s9
	s_add_i32 s10, s8, 1
	s_sub_i32 s9, s6, s4
	s_cmp_ge_u32 s6, s4
	s_cselect_b32 s8, s10, s8
	s_cselect_b32 s6, s9, s6
	s_add_i32 s9, s8, 1
	s_cmp_ge_u32 s6, s4
	s_cselect_b32 s6, s9, s8
	s_xor_b32 s6, s6, s5
	s_sub_i32 s49, s6, s5
	s_abs_i32 s6, s26
	v_cvt_f32_u32_e32 v1, s6
	s_mul_i32 s47, s49, s25
	s_sub_i32 s33, s3, s47
	s_add_i32 s3, s24, 63
	v_rcp_iflag_f32_e32 v1, v1
	s_ashr_i32 s5, s3, 31
	s_lshr_b32 s5, s5, 26
	s_ashr_i32 s48, s24, 31
	v_mul_f32_e32 v1, 0x4f7ffffe, v1
	v_cvt_u32_f32_e32 v1, v1
	s_add_i32 s3, s3, s5
	s_lshr_b32 s5, s48, 26
	s_add_i32 s5, s24, s5
	s_ashr_i32 s44, s26, 31
	s_ashr_i32 s50, s5, 6
	s_xor_b32 s5, s7, s44
	s_sub_i32 s7, 0, s6
	v_readfirstlane_b32 s8, v1
	s_mul_i32 s7, s7, s8
	s_mul_hi_u32 s7, s8, s7
	s_add_i32 s8, s8, s7
	s_mul_hi_u32 s7, s4, s8
	s_mul_i32 s8, s7, s6
	s_sub_i32 s4, s4, s8
	s_ashr_i32 s3, s3, 6
	s_add_i32 s8, s7, 1
	s_sub_i32 s9, s4, s6
	s_cmp_ge_u32 s4, s6
	s_cselect_b32 s7, s8, s7
	s_cselect_b32 s4, s9, s4
	s_add_i32 s8, s7, 1
	s_cmp_ge_u32 s4, s6
	s_cselect_b32 s4, s8, s7
	s_xor_b32 s4, s4, s5
	s_sub_i32 s4, s4, s5
	s_abs_i32 s5, s4
	v_cvt_f32_u32_e32 v1, s5
	s_sub_i32 s6, 0, s5
	s_xor_b32 s1, s33, s4
	s_abs_i32 s4, s33
	v_rcp_iflag_f32_e32 v1, v1
	s_ashr_i32 s1, s1, 31
	v_lshlrev_b32_e32 v18, 2, v59
	s_mov_b32 s14, s0
	v_mul_f32_e32 v1, 0x4f7ffffe, v1
	v_cvt_u32_f32_e32 v1, v1
	s_mov_b32 s15, s0
	v_and_b32_e32 v58, 63, v0
	s_mul_i32 s53, s49, s3
	v_readfirstlane_b32 s7, v1
	s_mul_i32 s6, s6, s7
	s_mul_hi_u32 s6, s7, s6
	s_add_i32 s7, s7, s6
	s_mul_hi_u32 s6, s4, s7
	s_mul_i32 s7, s6, s5
	s_sub_i32 s4, s4, s7
	s_add_i32 s7, s6, 1
	s_sub_i32 s8, s4, s5
	s_cmp_ge_u32 s4, s5
	s_cselect_b32 s6, s7, s6
	s_cselect_b32 s4, s8, s4
	s_add_i32 s7, s6, 1
	s_cmp_ge_u32 s4, s5
	s_cselect_b32 s4, s7, s6
	s_xor_b32 s4, s4, s1
	s_sub_i32 s54, s4, s1
	v_or_b32_e32 v1, v18, v57
	s_lshl_b32 s40, s2, 5
	s_mov_b32 s1, s0
	s_mov_b32 s2, s0
	;; [unrolled: 1-line block ×13, first 2 shown]
	v_mov_b64_e32 v[16:17], s[14:15]
	v_and_b32_e32 v60, 15, v0
	v_or_b32_e32 v63, 64, v1
	s_cmp_lt_i32 s24, 64
	v_mov_b64_e32 v[14:15], s[12:13]
	v_mov_b64_e32 v[12:13], s[10:11]
	;; [unrolled: 1-line block ×7, first 2 shown]
	s_mul_hi_i32 s55, s49, s25
	v_lshrrev_b32_e32 v62, 3, v58
	v_lshlrev_b32_e32 v61, 3, v0
	s_mul_i32 s29, s49, s29
	s_mul_hi_u32 s46, s49, s28
	s_mul_i32 s12, s49, s28
	s_cbranch_scc1 .LBB510_19
; %bb.1:
	s_ashr_i32 s8, s49, 31
	s_ashr_i32 s51, s33, 31
	s_add_u32 s0, s47, s33
	s_addc_u32 s1, s55, s51
	s_mul_i32 s1, s24, s1
	s_mul_hi_u32 s2, s24, s0
	s_add_i32 s3, s2, s1
	s_mul_i32 s2, s24, s0
	s_lshl_b64 s[0:1], s[2:3], 8
	v_and_b32_e32 v9, 56, v61
	s_add_u32 s4, s18, s0
	v_lshl_or_b32 v5, v56, 3, v62
	v_lshlrev_b32_e32 v2, 1, v9
	s_addc_u32 s0, s19, s1
	v_lshl_or_b32 v13, v5, 8, v2
	s_and_b32 s5, s0, 0xffff
	s_mov_b32 s7, 0x20000
	s_movk_i32 s6, 0x4000
	s_movk_i32 s0, 0x80
	v_or_b32_e32 v17, 0x2000, v13
	buffer_load_dwordx4 v[20:23], v13, s[4:7], 0 offen
	buffer_load_dwordx4 v[24:27], v13, s[4:7], s0 offen
	;; [unrolled: 1-line block ×4, first 2 shown]
	v_lshlrev_b32_e32 v3, 3, v5
	v_and_or_b32 v6, v0, 7, v3
	v_and_b32_e32 v3, 0x78, v3
	v_lshlrev_b32_e32 v6, 4, v6
	v_xor_b32_e32 v64, v6, v3
	v_mul_lo_u32 v4, v5, s27
	v_or_b32_e32 v65, 0x1000, v64
	v_xor_b32_e32 v3, 8, v64
	s_cmpk_eq_i32 s27, 0x80
	s_mov_b32 s45, s26
	v_xor_b32_e32 v6, 8, v65
	s_cselect_b64 s[0:1], -1, 0
	s_cmpk_lg_i32 s27, 0x80
	s_waitcnt vmcnt(3)
	ds_write_b64 v64, v[20:21] offset:24576
	ds_write_b64 v3, v[22:23] offset:24576
	s_waitcnt vmcnt(2)
	ds_write_b64 v64, v[24:25] offset:32768
	ds_write_b64 v3, v[26:27] offset:32768
	s_waitcnt vmcnt(1)
	ds_write_b64 v64, v[28:29] offset:28672
	ds_write_b64 v6, v[30:31] offset:24576
	s_waitcnt vmcnt(0)
	ds_write_b64 v64, v[32:33] offset:36864
	ds_write_b64 v6, v[34:35] offset:32768
	v_lshl_add_u32 v3, v4, 1, v9
	s_cbranch_scc0 .LBB510_3
; %bb.2:
	v_lshlrev_b32_e32 v6, 1, v3
	v_add_lshl_u32 v4, v3, s27, 1
	s_lshl_b32 s6, s27, 7
	v_lshl_or_b32 v2, v5, 9, v2
	s_cbranch_execz .LBB510_4
	s_branch .LBB510_5
.LBB510_3:
                                        ; implicit-def: $vgpr4
                                        ; implicit-def: $vgpr6
                                        ; implicit-def: $sgpr6
	v_lshl_or_b32 v2, v5, 9, v2
.LBB510_4:
	v_or_b32_e32 v4, 0x100, v2
	s_movk_i32 s6, 0x4000
	v_mov_b32_e32 v6, v2
.LBB510_5:
	s_mul_hi_u32 s4, s26, s24
	s_mul_i32 s5, s44, s24
	s_add_i32 s4, s4, s5
	s_mul_i32 s5, s26, s24
	s_mul_i32 s7, s5, s8
	s_mul_hi_u32 s9, s5, s49
	s_add_i32 s7, s9, s7
	s_mul_i32 s4, s4, s49
	s_add_i32 s7, s7, s4
	s_mul_i32 s5, s5, s49
	s_ashr_i32 s52, s54, 31
	s_add_u32 s4, s5, s54
	s_addc_u32 s5, s7, s52
	s_lshl_b64 s[4:5], s[4:5], 8
	s_add_u32 s4, s16, s4
	s_addc_u32 s5, s17, s5
	s_and_b32 s5, s5, 0xffff
	s_mov_b32 s7, 0x20000
	s_movk_i32 s56, 0x80
	buffer_load_dwordx4 v[20:23], v6, s[4:7], 0 offen
	buffer_load_dwordx4 v[24:27], v6, s[4:7], s56 offen
	;; [unrolled: 1-line block ×4, first 2 shown]
	v_and_b32_e32 v4, 6, v0
	v_lshlrev_b32_e32 v8, 6, v1
	v_or_b32_e32 v11, 16, v60
	v_xor_b32_e32 v12, v5, v4
	v_and_b32_e32 v6, 1, v0
	s_mul_i32 s4, s8, s24
	s_mul_hi_u32 s5, s49, s24
	v_lshl_or_b32 v16, v60, 3, v8
	v_lshl_or_b32 v8, v11, 3, v8
	v_lshlrev_b32_e32 v12, 2, v12
	v_lshlrev_b32_e32 v7, 2, v60
	v_or_b32_e32 v68, 0xa000, v8
	v_or_b32_e32 v69, 0xb000, v8
	v_xor_b32_e32 v8, 0x440, v12
	v_cmp_eq_u32_e32 vcc, 0, v6
	s_add_i32 s61, s5, s4
	s_add_i32 s4, s46, s29
	s_mul_i32 s8, s8, s28
	v_xor_b32_e32 v14, v1, v7
	v_xor_b32_e32 v15, v63, v7
	v_cndmask_b32_e32 v6, v8, v12, vcc
	s_add_i32 s13, s4, s8
	s_mul_i32 s4, s33, s31
	s_mul_hi_u32 s5, s33, s30
	s_mov_b32 s58, 0x1000504
	v_lshlrev_b32_e32 v10, 8, v60
	v_lshlrev_b32_e32 v14, 1, v14
	v_lshlrev_b32_e32 v15, 1, v15
	v_lshl_or_b32 v4, v4, 10, v6
	s_add_i32 s4, s5, s4
	s_mul_i32 s5, s51, s30
	s_mov_b32 s59, 0x3020706
	v_or_b32_e32 v66, 0xa000, v16
	v_or_b32_e32 v67, 0xb000, v16
	;; [unrolled: 1-line block ×4, first 2 shown]
	v_xor_b32_e32 v6, 8, v4
	v_xor_b32_e32 v10, 24, v4
	;; [unrolled: 1-line block ×4, first 2 shown]
	s_add_i32 s5, s4, s5
	s_lshl_b64 s[8:9], s[12:13], 2
	v_xor_b32_e32 v8, 16, v4
	v_xor_b32_e32 v12, 32, v4
	;; [unrolled: 1-line block ×3, first 2 shown]
	v_add_u32_e32 v6, 0x80, v6
	v_add_u32_e32 v10, 0x80, v10
	;; [unrolled: 1-line block ×4, first 2 shown]
	s_mul_i32 s4, s33, s30
	s_add_u32 s6, s22, s8
	s_addc_u32 s8, s23, s9
	s_lshl_b64 s[4:5], s[4:5], 2
	s_add_u32 s14, s6, s4
	s_movk_i32 s4, 0xf8
	s_addc_u32 s15, s8, s5
	s_ashr_i32 s41, s40, 31
	s_lshl_b32 s10, s27, 7
	s_movk_i32 s8, 0x100
	v_mov_b32_e32 v51, 0
	v_lshlrev_b32_e32 v50, 4, v60
	v_cmp_gt_u32_e32 vcc, s8, v0
	s_mov_b32 s57, 0
	s_mul_i32 s60, s49, s24
	s_movk_i32 s13, 0x1000
	s_movk_i32 s6, 0x4000
	v_add_u32_e32 v91, v57, v18
	v_mov_b32_e32 v96, 0x3fb8aa3b
	s_mov_b32 s63, 0
	v_mov_b32_e32 v98, v51
	v_mov_b32_e32 v97, v51
	;; [unrolled: 1-line block ×4, first 2 shown]
	s_waitcnt vmcnt(1)
	v_perm_b32 v37, v20, v28, s58
	s_waitcnt vmcnt(0)
	v_perm_b32 v38, v24, v32, s58
	v_perm_b32 v20, v20, v28, s59
	;; [unrolled: 1-line block ×15, first 2 shown]
	ds_write2st64_b32 v4, v37, v38 offset0:32 offset1:64
	ds_write2st64_b32 v6, v20, v24 offset0:32 offset1:64
	;; [unrolled: 1-line block ×8, first 2 shown]
	v_lshlrev_b32_e32 v4, 8, v11
	v_or_b32_e32 v72, v4, v14
	v_or_b32_e32 v73, v4, v15
	;; [unrolled: 1-line block ×3, first 2 shown]
	v_lshlrev_b32_e32 v4, 3, v4
	v_lshrrev_b32_e32 v10, 5, v58
	v_and_or_b32 v10, v4, s4, v10
	v_lshlrev_b32_e32 v8, 11, v56
	v_lshlrev_b32_e32 v10, 4, v10
	v_and_b32_e32 v4, 0x78, v4
	v_and_b32_e32 v6, 0x1000, v8
	v_xor_b32_e32 v11, v10, v4
	v_lshrrev_b32_e32 v12, 1, v0
	v_or_b32_e32 v11, v11, v6
	v_and_b32_e32 v14, 8, v12
	v_xor_b32_e32 v74, v11, v14
	v_or_b32_e32 v11, 32, v10
	v_xor_b32_e32 v11, v11, v4
	v_or_b32_e32 v11, v11, v6
	;; [unrolled: 2-line block ×4, first 2 shown]
	s_lshl_b64 s[4:5], s[40:41], 8
	v_or_b32_e32 v11, v11, v6
	v_xor_b32_e32 v4, v10, v4
	s_waitcnt lgkmcnt(0)
	s_add_u32 s4, s38, s4
	v_lshlrev_b32_e32 v10, 1, v60
	v_xor_b32_e32 v78, v11, v14
	v_lshrrev_b32_e32 v19, 4, v0
	s_addc_u32 s5, s39, s5
	v_or_b32_e32 v11, 1, v10
	v_mov_b32_e32 v23, 0x4000
	v_mov_b32_e32 v24, 0x2000
	v_xor_b32_e32 v20, v19, v10
	v_xor_b32_e32 v21, v11, v19
	v_lshl_add_u64 v[10:11], s[4:5], 0, v[50:51]
	v_lshlrev_b32_e32 v50, 8, v19
	v_cndmask_b32_e32 v23, v23, v24, vcc
	v_lshlrev_b32_e32 v24, 3, v56
	v_and_b32_e32 v12, 24, v12
	v_lshl_or_b32 v82, v20, 3, v50
	v_and_b32_e32 v20, 8, v0
	v_xor_b32_e32 v25, v24, v12
	v_or_b32_e32 v26, 0x440, v25
	v_cmp_eq_u32_e32 vcc, 0, v20
	v_and_b32_e32 v19, 7, v0
	v_lshlrev_b32_e32 v15, 7, v59
	v_cndmask_b32_e32 v20, v26, v25, vcc
	v_lshl_or_b32 v83, v21, 3, v50
	v_lshlrev_b32_e32 v21, 3, v19
	v_lshlrev_b32_e32 v19, 7, v19
	;; [unrolled: 1-line block ×3, first 2 shown]
	v_or_b32_e32 v20, v20, v8
	v_or_b32_e32 v7, v15, v7
	v_xad_u32 v84, v20, v21, v19
	v_and_or_b32 v15, v22, 60, v15
	v_mov_b32_e32 v20, 0xb000
	v_lshl_or_b32 v85, v15, 1, v20
	v_or_b32_e32 v15, 32, v12
	v_xor_b32_e32 v15, v24, v15
	v_or_b32_e32 v20, 0x440, v15
	v_cndmask_b32_e32 v15, v20, v15, vcc
	v_or_b32_e32 v15, v15, v8
	v_xad_u32 v86, v15, v21, v19
	v_or_b32_e32 v15, 64, v12
	v_xor_b32_e32 v15, v24, v15
	v_xor_b32_e32 v20, 0x440, v15
	v_cndmask_b32_e32 v15, v20, v15, vcc
	v_or_b32_e32 v12, 0x60, v12
	v_or_b32_e32 v15, v15, v8
	v_xor_b32_e32 v12, v24, v12
	v_xad_u32 v87, v15, v21, v19
	v_xor_b32_e32 v15, 0x440, v12
	v_cndmask_b32_e32 v12, v15, v12, vcc
	v_lshlrev_b32_e32 v7, 1, v7
	v_or_b32_e32 v4, v4, v6
	v_or_b32_e32 v6, s40, v60
	;; [unrolled: 1-line block ×5, first 2 shown]
	v_xor_b32_e32 v79, v4, v14
	v_or_b32_e32 v80, 0xb000, v7
	v_or_b32_e32 v81, 0xb080, v7
	v_lshlrev_b32_e32 v4, 7, v1
	v_ashrrev_i32_e32 v7, 31, v6
	v_lshlrev_b32_e32 v14, 1, v3
	v_add_lshl_u32 v3, v3, s27, 1
	v_or_b32_e32 v16, 0x100, v2
	v_xad_u32 v88, v8, v21, v19
	v_cndmask_b32_e64 v89, v14, v2, s[0:1]
	v_cndmask_b32_e64 v90, v3, v16, s[0:1]
	v_lshl_add_u64 v[52:53], v[6:7], 1, s[20:21]
	v_lshl_add_u64 v[54:55], v[10:11], 0, v[50:51]
	s_mov_b32 s41, 0x7060302
	v_lshlrev_b32_e32 v50, 1, v4
	v_add_u32_e32 v92, v23, v84
	v_add_u32_e32 v93, v23, v86
	;; [unrolled: 1-line block ×4, first 2 shown]
	v_mov_b32_e32 v2, v51
	v_mov_b32_e32 v3, v51
	v_mov_b32_e32 v4, v51
	v_mov_b32_e32 v6, v51
	v_mov_b32_e32 v7, v51
	v_mov_b32_e32 v8, v51
	v_mov_b32_e32 v10, v51
	v_mov_b32_e32 v11, v51
	v_mov_b32_e32 v12, v51
	v_mov_b32_e32 v14, v51
	v_mov_b32_e32 v15, v51
	v_mov_b32_e32 v16, v51
	s_barrier
.LBB510_6:                              ; =>This Inner Loop Header: Depth=1
	s_add_i32 s62, s63, 1
	s_cmp_lt_i32 s62, s50
	s_mov_b64 s[8:9], 0
	s_cselect_b64 s[42:43], -1, 0
	s_cmp_ge_i32 s62, s50
	s_mov_b64 s[4:5], 0
	s_cbranch_scc1 .LBB510_8
; %bb.7:                                ;   in Loop: Header=BB510_6 Depth=1
	s_add_i32 s0, s57, 64
	s_add_u32 s0, s2, s0
	s_addc_u32 s1, s3, 0
	s_lshl_b64 s[0:1], s[0:1], 8
	s_add_u32 s4, s18, s0
	s_addc_u32 s5, s19, s1
.LBB510_8:                              ;   in Loop: Header=BB510_6 Depth=1
	v_cndmask_b32_e64 v18, 0, 1, s[42:43]
	v_cmp_ne_u32_e64 s[0:1], 1, v18
	s_andn2_b64 vcc, exec, s[42:43]
	s_cbranch_vccnz .LBB510_10
; %bb.9:                                ;   in Loop: Header=BB510_6 Depth=1
	s_add_i32 s8, s57, 64
	s_add_u32 s8, s60, s8
	s_addc_u32 s9, s61, 0
	s_mul_i32 s11, s8, s44
	s_mul_hi_u32 s42, s8, s45
	s_add_i32 s11, s42, s11
	s_mul_i32 s9, s9, s45
	s_add_i32 s11, s11, s9
	s_mul_i32 s8, s8, s45
	s_add_u32 s8, s8, s54
	s_addc_u32 s9, s11, s52
	s_lshl_b64 s[8:9], s[8:9], 8
	s_add_u32 s8, s16, s8
	s_addc_u32 s9, s17, s9
.LBB510_10:                             ;   in Loop: Header=BB510_6 Depth=1
	v_perm_b32 v19, v98, v4, s41
	v_perm_b32 v18, v3, v2, s41
	;; [unrolled: 1-line block ×4, first 2 shown]
	ds_write_b64 v66, v[18:19]
	ds_write_b64 v67, v[20:21]
	;; [unrolled: 1-line block ×4, first 2 shown]
	v_perm_b32 v19, v100, v12, s41
	v_perm_b32 v18, v11, v10, s41
	;; [unrolled: 1-line block ×4, first 2 shown]
	ds_write_b64 v68, v[18:19]
	ds_write_b64 v69, v[20:21]
	;; [unrolled: 1-line block ×4, first 2 shown]
	s_waitcnt lgkmcnt(0)
	s_barrier
	ds_read_b64 v[22:23], v74 offset:24576
	ds_read2_b64 v[18:21], v75 offset1:16
	ds_read_b64 v[26:27], v77 offset:3072
	ds_read_b64 v[28:29], v75 offset:3072
	;; [unrolled: 1-line block ×3, first 2 shown]
	s_waitcnt lgkmcnt(3)
	v_mfma_f32_16x16x16_bf16 a[0:3], v[22:23], v[18:19], 0
	s_add_i32 s11, s57, 63
	s_mul_i32 s42, s11, s37
	s_mul_hi_u32 s43, s11, s36
	v_mfma_f32_16x16x16_bf16 a[4:7], v[22:23], v[20:21], 0
	ds_read2st64_b64 v[18:21], v75 offset0:2 offset1:4
	ds_read2st64_b64 v[22:25], v77 offset0:2 offset1:4
	s_add_i32 s43, s43, s42
	s_waitcnt lgkmcnt(1)
	v_mfma_f32_16x16x16_bf16 a[0:3], v[30:31], v[18:19], a[0:3]
	s_mul_i32 s42, s11, s36
	s_lshl_b64 s[42:43], s[42:43], 2
	s_add_u32 s42, s14, s42
	s_waitcnt lgkmcnt(0)
	v_mfma_f32_16x16x16_bf16 a[4:7], v[30:31], v[22:23], a[4:7]
	ds_read_b64 v[18:19], v78 offset:24576
	ds_read_b64 v[22:23], v79 offset:24576
	s_addc_u32 s43, s15, s43
	s_and_b64 vcc, exec, s[0:1]
	s_waitcnt lgkmcnt(1)
	v_mfma_f32_16x16x16_bf16 a[0:3], v[18:19], v[20:21], a[0:3]
	v_mov_b32_e32 v103, 0
	v_mov_b32_e32 v102, 0
	;; [unrolled: 1-line block ×3, first 2 shown]
	v_mfma_f32_16x16x16_bf16 a[4:7], v[18:19], v[24:25], a[4:7]
	v_mov_b32_e32 v18, 0
	v_mov_b32_e32 v19, 0
	;; [unrolled: 1-line block ×3, first 2 shown]
	s_waitcnt lgkmcnt(0)
	v_mfma_f32_16x16x16_bf16 a[0:3], v[22:23], v[28:29], a[0:3]
	v_mov_b32_e32 v21, 0
	v_mov_b32_e32 v24, 0
	;; [unrolled: 1-line block ×3, first 2 shown]
	v_mfma_f32_16x16x16_bf16 a[4:7], v[22:23], v[26:27], a[4:7]
	v_mov_b32_e32 v22, 0
	v_mov_b32_e32 v23, 0
	;; [unrolled: 1-line block ×10, first 2 shown]
	s_cbranch_vccnz .LBB510_12
; %bb.11:                               ;   in Loop: Header=BB510_6 Depth=1
	s_and_b32 s5, s5, 0xffff
	buffer_load_dwordx4 v[30:33], v13, s[4:7], 0 offen
	buffer_load_dwordx4 v[26:29], v13, s[4:7], s56 offen
	;; [unrolled: 1-line block ×4, first 2 shown]
	v_mov_b32_e32 v102, v64
	v_mov_b32_e32 v101, v65
.LBB510_12:                             ;   in Loop: Header=BB510_6 Depth=1
	ds_read_b64 v[38:39], v74 offset:32768
	ds_read2_b64 v[34:37], v80 offset1:16
	ds_read_b64 v[42:43], v76 offset:32768
	ds_read_b64 v[44:45], v78 offset:32768
	;; [unrolled: 1-line block ×3, first 2 shown]
	v_add_u32_e32 v48, s57, v91
	s_waitcnt lgkmcnt(3)
	v_mfma_f32_16x16x16_bf16 a[0:3], v[38:39], v[34:35], a[0:3]
	v_mul_lo_u32 v49, v48, s37
	v_mfma_f32_16x16x16_bf16 a[4:7], v[38:39], v[36:37], a[4:7]
	ds_read2st64_b64 v[34:37], v80 offset0:2 offset1:4
	ds_read2st64_b64 v[38:41], v81 offset0:2 offset1:4
	s_waitcnt lgkmcnt(1)
	v_mfma_f32_16x16x16_bf16 a[0:3], v[42:43], v[34:35], a[0:3]
	v_ashrrev_i32_e32 v34, 31, v48
	v_mul_lo_u32 v104, v34, s36
	v_mad_u64_u32 v[34:35], s[4:5], v48, s36, 0
	v_mfma_f32_16x16x16_bf16 a[0:3], v[44:45], v[36:37], a[0:3]
	v_add_u32_e32 v36, 1, v48
	v_ashrrev_i32_e32 v37, 31, v36
	v_add3_u32 v35, v35, v49, v104
	s_waitcnt lgkmcnt(0)
	v_mfma_f32_16x16x16_bf16 a[4:7], v[42:43], v[38:39], a[4:7]
	v_mul_lo_u32 v38, v37, s36
	v_mul_lo_u32 v39, v36, s37
	v_mad_u64_u32 v[36:37], s[4:5], v36, s36, 0
	v_add3_u32 v37, v37, v39, v38
	v_add_u32_e32 v38, 2, v48
	v_ashrrev_i32_e32 v39, 31, v38
	v_mul_lo_u32 v42, v39, s36
	v_mul_lo_u32 v43, v38, s37
	v_mad_u64_u32 v[38:39], s[4:5], v38, s36, 0
	v_add3_u32 v39, v39, v43, v42
	v_add_u32_e32 v42, 3, v48
	v_ashrrev_i32_e32 v43, 31, v42
	v_mul_lo_u32 v48, v43, s36
	v_mul_lo_u32 v49, v42, s37
	v_mad_u64_u32 v[42:43], s[4:5], v42, s36, 0
	s_add_u32 s4, s2, s57
	s_addc_u32 s5, s3, 0
	s_lshl_b64 s[4:5], s[4:5], 8
	v_lshl_add_u64 v[34:35], v[34:35], 2, s[14:15]
	v_lshl_add_u64 v[36:37], v[36:37], 2, s[14:15]
	v_add3_u32 v43, v43, v49, v48
	v_lshl_add_u64 v[48:49], v[52:53], 0, s[4:5]
	v_lshl_add_u64 v[38:39], v[38:39], 2, s[14:15]
	;; [unrolled: 1-line block ×3, first 2 shown]
	global_load_dword v104, v[34:35], off
	global_load_ushort v105, v[48:49], off offset:256
	global_load_ushort v106, v[48:49], off
	global_load_ushort v107, v[48:49], off offset:768
	global_load_ushort v108, v[48:49], off offset:512
	v_lshl_add_u64 v[34:35], v[42:43], 2, s[14:15]
	global_load_dword v109, v[36:37], off
	global_load_dword v110, v[38:39], off
	;; [unrolled: 1-line block ×3, first 2 shown]
	ds_read_b64 v[34:35], v80 offset:3072
	ds_read_b64 v[36:37], v81 offset:3072
	global_load_ushort v112, v[48:49], off offset:800
	global_load_ushort v113, v[48:49], off offset:544
	;; [unrolled: 1-line block ×3, first 2 shown]
	s_nop 0
	global_load_ushort v48, v[48:49], off offset:32
	s_load_dword s4, s[42:43], 0x0
	v_mfma_f32_16x16x16_bf16 a[4:7], v[44:45], v[40:41], a[4:7]
	s_and_b64 vcc, exec, s[0:1]
	v_mov_b32_e32 v49, 0
	s_waitcnt vmcnt(11) lgkmcnt(0)
	v_sub_f32_e32 v44, s4, v104
	v_mfma_f32_16x16x16_bf16 a[0:3], v[46:47], v[34:35], a[0:3]
	v_mul_f32_e32 v44, 0x3fb8aa3b, v44
	v_exp_f32_e32 v44, v44
	s_waitcnt vmcnt(6)
	v_sub_f32_e32 v45, s4, v109
	v_mfma_f32_16x16x16_bf16 a[4:7], v[46:47], v[36:37], a[4:7]
	s_waitcnt vmcnt(5)
	v_sub_f32_e32 v46, s4, v110
	s_waitcnt vmcnt(4)
	v_sub_f32_e32 v47, s4, v111
	v_mul_f32_e32 v45, 0x3fb8aa3b, v45
	v_mul_f32_e32 v46, 0x3fb8aa3b, v46
	;; [unrolled: 1-line block ×3, first 2 shown]
	v_exp_f32_e32 v45, v45
	v_exp_f32_e32 v46, v46
	;; [unrolled: 1-line block ×3, first 2 shown]
	v_accvgpr_read_b32 v39, a1
	v_accvgpr_read_b32 v35, a3
	;; [unrolled: 1-line block ×4, first 2 shown]
	v_lshlrev_b32_e32 v41, 16, v105
	v_lshlrev_b32_e32 v40, 16, v106
	;; [unrolled: 1-line block ×4, first 2 shown]
	v_pk_add_f32 v[38:39], v[40:41], v[38:39] neg_lo:[0,1] neg_hi:[0,1]
	v_pk_add_f32 v[34:35], v[42:43], v[34:35] neg_lo:[0,1] neg_hi:[0,1]
	v_pk_mul_f32 v[38:39], v[44:45], v[38:39]
	v_pk_mul_f32 v[34:35], v[46:47], v[34:35]
	v_accvgpr_read_b32 v41, a5
	v_perm_b32 v35, v35, v34, s41
	v_perm_b32 v34, v39, v38, s41
	s_waitcnt vmcnt(1)
	v_lshlrev_b32_e32 v39, 16, v114
	s_waitcnt vmcnt(0)
	v_lshlrev_b32_e32 v38, 16, v48
	v_accvgpr_read_b32 v40, a4
	v_accvgpr_read_b32 v37, a7
	;; [unrolled: 1-line block ×3, first 2 shown]
	v_pk_add_f32 v[38:39], v[38:39], v[40:41] neg_lo:[0,1] neg_hi:[0,1]
	v_lshlrev_b32_e32 v41, 16, v112
	v_lshlrev_b32_e32 v40, 16, v113
	v_pk_add_f32 v[36:37], v[40:41], v[36:37] neg_lo:[0,1] neg_hi:[0,1]
	v_pk_mul_f32 v[38:39], v[44:45], v[38:39]
	v_pk_mul_f32 v[36:37], v[46:47], v[36:37]
	v_mov_b32_e32 v104, 0
	v_perm_b32 v37, v37, v36, s41
	v_perm_b32 v36, v39, v38, s41
	ds_write2_b64 v67, v[34:35], v[36:37] offset1:16
	v_mov_b32_e32 v34, 0
	v_mov_b32_e32 v35, 0
	;; [unrolled: 1-line block ×15, first 2 shown]
	s_cbranch_vccnz .LBB510_14
; %bb.13:                               ;   in Loop: Header=BB510_6 Depth=1
	s_and_b32 s9, s9, 0xffff
	s_mov_b32 s11, s7
	buffer_load_dwordx4 v[46:49], v89, s[8:11], 0 offen
	buffer_load_dwordx4 v[38:41], v89, s[8:11], s56 offen
	;; [unrolled: 1-line block ×4, first 2 shown]
	v_mov_b32_e32 v103, v9
	v_mov_b32_e32 v104, v5
.LBB510_14:                             ;   in Loop: Header=BB510_6 Depth=1
	s_waitcnt lgkmcnt(0)
	s_barrier
	ds_read_b64 v[110:111], v92
	ds_read_b64 v[118:119], v85
	;; [unrolled: 1-line block ×5, first 2 shown]
	ds_read_b64 v[124:125], v86 offset:16384
	ds_read_b64 v[126:127], v84 offset:16384
	ds_read2_b64 v[106:109], v80 offset0:16 offset1:128
	s_waitcnt lgkmcnt(6)
	v_mfma_f32_16x16x16_bf16 a[0:3], v[110:111], v[118:119], 0
	ds_read_b64 v[128:129], v81 offset:3072
	ds_read_b64 v[130:131], v88 offset:16384
	s_add_i32 s5, s53, s63
	s_waitcnt lgkmcnt(2)
	v_mfma_f32_16x16x16_bf16 a[4:7], v[110:111], v[106:107], 0
	ds_read2st64_b64 v[110:113], v81 offset0:2 offset1:4
	s_mul_hi_i32 s9, s5, s25
	s_mul_i32 s5, s5, s25
	v_mfma_f32_16x16x16_bf16 a[0:3], v[114:115], v[108:109], a[0:3]
	s_add_u32 s8, s5, s33
	s_addc_u32 s9, s9, s51
	s_lshl_b64 s[8:9], s[8:9], 15
	s_waitcnt lgkmcnt(0)
	v_mfma_f32_16x16x16_bf16 a[4:7], v[114:115], v[110:111], a[4:7]
	ds_read2st64_b64 v[114:117], v80 offset0:4 offset1:6
	s_waitcnt lgkmcnt(0)
	v_mfma_f32_16x16x16_bf16 a[0:3], v[120:121], v[114:115], a[0:3]
	v_mfma_f32_16x16x16_bf16 a[8:11], v[120:121], v[112:113], a[4:7]
	;; [unrolled: 1-line block ×5, first 2 shown]
	ds_read2st64_b64 v[118:121], v83 offset1:8
	v_mfma_f32_16x16x16_bf16 a[12:15], v[126:127], v[106:107], 0
	ds_read_b64 v[126:127], v87 offset:16384
	v_mfma_f32_16x16x16_bf16 a[8:11], v[124:125], v[108:109], a[8:11]
	ds_read2st64_b64 v[106:109], v82 offset1:8
	s_waitcnt lgkmcnt(0)
	v_mov_b32_e32 v122, v106
	v_mfma_f32_16x16x16_bf16 a[12:15], v[124:125], v[110:111], a[12:15]
	v_lshl_add_u64 v[110:111], v[54:55], 0, s[8:9]
	v_add_co_u32_e32 v106, vcc, s13, v110
	v_mfma_f32_16x16x16_bf16 a[8:11], v[126:127], v[114:115], a[8:11]
	v_mov_b32_e32 v123, v107
	v_addc_co_u32_e32 v107, vcc, 0, v111, vcc
	v_mfma_f32_16x16x16_bf16 a[12:15], v[126:127], v[112:113], a[12:15]
	v_mov_b32_e32 v124, v118
	v_mov_b32_e32 v125, v119
	;; [unrolled: 1-line block ×3, first 2 shown]
	v_mfma_f32_16x16x16_bf16 a[8:11], v[130:131], v[116:117], a[8:11]
	v_mov_b32_e32 v119, v109
	s_and_b64 vcc, exec, s[0:1]
	global_store_dwordx4 v[110:111], v[122:125], off
	v_mfma_f32_16x16x16_bf16 a[12:15], v[130:131], v[128:129], a[12:15]
	global_store_dwordx4 v[106:107], v[118:121], off
	s_cbranch_vccnz .LBB510_16
; %bb.15:                               ;   in Loop: Header=BB510_6 Depth=1
	v_lshrrev_b32_e32 v105, 3, v103
	v_and_b32_e32 v105, 6, v105
	v_xor_b32_e32 v104, v105, v104
	v_lshlrev_b32_e32 v104, 2, v104
	v_and_b32_e32 v103, 8, v103
	v_xor_b32_e32 v106, 0x440, v104
	v_cmp_eq_u32_e32 vcc, 0, v103
	s_barrier
	s_nop 0
	v_cndmask_b32_e32 v103, v106, v104, vcc
	v_lshl_or_b32 v103, v105, 10, v103
	s_waitcnt vmcnt(3)
	v_perm_b32 v104, v46, v42, s58
	s_waitcnt vmcnt(2)
	v_perm_b32 v105, v38, v34, s58
	ds_write2st64_b32 v103, v104, v105 offset0:32 offset1:64
	v_xor_b32_e32 v104, 8, v103
	v_perm_b32 v42, v46, v42, s59
	v_perm_b32 v34, v38, v34, s59
	v_add_u32_e32 v38, 0x80, v104
	ds_write2st64_b32 v38, v42, v34 offset0:32 offset1:64
	v_xor_b32_e32 v34, 16, v103
	v_perm_b32 v38, v47, v43, s58
	v_perm_b32 v42, v39, v35, s58
	ds_write2st64_b32 v34, v38, v42 offset0:33 offset1:65
	v_xor_b32_e32 v34, 24, v103
	v_perm_b32 v38, v47, v43, s59
	v_perm_b32 v35, v39, v35, s59
	v_add_u32_e32 v34, 0x80, v34
	ds_write2st64_b32 v34, v38, v35 offset0:33 offset1:65
	v_xor_b32_e32 v34, 32, v103
	v_perm_b32 v35, v48, v44, s58
	;; [unrolled: 9-line block ×3, first 2 shown]
	v_perm_b32 v36, v41, v37, s58
	ds_write2st64_b32 v34, v35, v36 offset0:35 offset1:67
	v_xor_b32_e32 v34, 56, v103
	v_perm_b32 v35, v49, v45, s59
	v_perm_b32 v36, v41, v37, s59
	v_add_u32_e32 v34, 0x80, v34
	ds_write2st64_b32 v34, v35, v36 offset0:35 offset1:67
	ds_write_b64 v102, v[30:31] offset:24576
	v_xor_b32_e32 v30, 8, v102
	ds_write_b64 v30, v[32:33] offset:24576
	ds_write_b64 v102, v[26:27] offset:32768
	;; [unrolled: 1-line block ×4, first 2 shown]
	v_xor_b32_e32 v22, 8, v101
	ds_write_b64 v22, v[24:25] offset:24576
	ds_write_b64 v101, v[18:19] offset:32768
	;; [unrolled: 1-line block ×3, first 2 shown]
.LBB510_16:                             ;   in Loop: Header=BB510_6 Depth=1
	v_mul_f32_e32 v18, s4, v96
	s_waitcnt vmcnt(2)
	v_exp_f32_e32 v34, v18
	v_accvgpr_read_b32 v33, a7
	v_accvgpr_read_b32 v25, a3
	v_accvgpr_read_b32 v29, a11
	v_accvgpr_read_b32 v21, a15
	v_accvgpr_read_b32 v32, a6
	v_accvgpr_read_b32 v31, a5
	v_accvgpr_read_b32 v30, a4
	v_accvgpr_read_b32 v24, a2
	v_accvgpr_read_b32 v23, a1
	v_accvgpr_read_b32 v22, a0
	v_accvgpr_read_b32 v28, a10
	v_accvgpr_read_b32 v27, a9
	v_accvgpr_read_b32 v26, a8
	v_accvgpr_read_b32 v20, a14
	v_accvgpr_read_b32 v19, a13
	v_accvgpr_read_b32 v18, a12
	s_add_i32 s57, s57, 64
	v_fma_f32 v2, v2, v34, v30
	v_fma_f32 v3, v3, v34, v31
	v_fma_f32 v4, v4, v34, v32
	v_fmac_f32_e32 v33, v98, v34
	v_fma_f32 v10, v10, v34, v22
	v_fma_f32 v11, v11, v34, v23
	v_fma_f32 v12, v12, v34, v24
	v_fmac_f32_e32 v25, v100, v34
	;; [unrolled: 4-line block ×3, first 2 shown]
	v_fma_f32 v14, v14, v34, v18
	v_fma_f32 v15, v15, v34, v19
	;; [unrolled: 1-line block ×3, first 2 shown]
	s_cmp_eq_u32 s50, s62
	v_fmac_f32_e32 v21, v99, v34
	s_cbranch_scc1 .LBB510_18
; %bb.17:                               ;   in Loop: Header=BB510_6 Depth=1
	s_mov_b32 s63, s62
	v_mov_b32_e32 v98, v33
	v_mov_b32_e32 v97, v29
	v_mov_b32_e32 v100, v25
	v_mov_b32_e32 v99, v21
	s_branch .LBB510_6
.LBB510_18:
	v_mov_b32_e32 v5, v33
	v_mov_b32_e32 v9, v29
	;; [unrolled: 1-line block ×4, first 2 shown]
.LBB510_19:
	s_lshl_b32 s51, s50, 6
	s_sub_i32 s52, s24, s51
	s_cmp_gt_i32 s52, 0
	v_or_b32_e32 v34, s40, v60
	s_cbranch_scc1 .LBB510_21
; %bb.20:
	s_ashr_i32 s0, s33, 31
	s_add_u32 s8, s47, s33
	s_addc_u32 s9, s55, s0
	v_or_b32_e32 v18, s40, v60
	s_cbranch_execz .LBB510_22
	s_branch .LBB510_86
.LBB510_21:
                                        ; implicit-def: $sgpr8_sgpr9
                                        ; implicit-def: $vgpr18
.LBB510_22:
	s_ashr_i32 s13, s49, 31
	s_ashr_i32 s2, s51, 31
	s_cmpk_lg_i32 s27, 0x80
	s_cselect_b64 s[42:43], -1, 0
	s_and_b64 vcc, exec, s[42:43]
	s_cbranch_vccz .LBB510_24
; %bb.23:
	s_mul_i32 s1, s49, s24
	s_mul_hi_i32 s0, s49, s24
	s_add_u32 s1, s1, s51
	s_addc_u32 s0, s0, s2
	s_mul_i32 s3, s1, s44
	s_mul_hi_u32 s4, s1, s26
	s_add_i32 s3, s4, s3
	s_mul_i32 s0, s0, s26
	s_add_i32 s3, s3, s0
	s_mul_i32 s1, s1, s26
	s_ashr_i32 s0, s54, 31
	s_add_u32 s44, s1, s54
	s_addc_u32 s45, s3, s0
	s_cbranch_execz .LBB510_25
	s_branch .LBB510_26
.LBB510_24:
                                        ; implicit-def: $sgpr44_sgpr45
.LBB510_25:
	s_mul_hi_i32 s0, s49, s26
	s_mul_i32 s49, s49, s26
	s_ashr_i32 s1, s54, 31
	s_add_u32 s3, s49, s54
	s_addc_u32 s0, s0, s1
	s_mul_i32 s1, s3, s48
	s_mul_hi_u32 s4, s3, s24
	s_add_i32 s1, s4, s1
	s_mul_i32 s0, s0, s24
	s_add_i32 s1, s1, s0
	s_mul_i32 s3, s3, s24
	s_add_u32 s44, s3, s51
	s_addc_u32 s45, s1, s2
.LBB510_26:
	s_add_i32 s3, s53, s50
	s_ashr_i32 s26, s33, 31
	s_add_u32 s8, s47, s33
	s_addc_u32 s9, s55, s26
	s_mul_i32 s0, s8, s48
	s_mul_hi_u32 s1, s8, s24
	s_add_i32 s0, s1, s0
	s_mul_i32 s1, s9, s24
	s_add_i32 s1, s0, s1
	s_mul_i32 s0, s8, s24
	s_add_u32 s0, s0, s51
	v_lshlrev_b32_e32 v22, 5, v1
	v_lshlrev_b32_e32 v40, 2, v60
	s_addc_u32 s1, s1, s2
	s_mov_b32 s2, 0x7060302
	v_or_b32_e32 v25, v22, v40
	v_xor_b32_e32 v23, v1, v40
	v_perm_b32 v19, v5, v4, s2
	v_perm_b32 v18, v3, v2, s2
	v_perm_b32 v21, v9, v8, s2
	v_perm_b32 v20, v7, v6, s2
	v_lshlrev_b32_e32 v25, 1, v25
	s_lshl_b64 s[10:11], s[0:1], 8
	v_xor_b32_e32 v24, v63, v40
	ds_write2st64_b64 v25, v[18:19], v[20:21] offset0:80 offset1:88
	v_lshlrev_b32_e32 v23, 1, v23
	v_lshlrev_b32_e32 v25, 8, v60
	s_add_u32 s0, s18, s10
	v_or_b32_e32 v26, v23, v25
	v_lshlrev_b32_e32 v24, 1, v24
	s_addc_u32 s1, s19, s11
	ds_write_b64 v26, v[18:19]
	v_or_b32_e32 v18, v24, v25
	v_or_b32_e32 v25, 16, v60
	s_mul_hi_i32 s4, s3, s25
	s_mul_i32 s3, s3, s25
	ds_write_b64 v18, v[20:21]
	v_perm_b32 v19, v13, v12, s2
	v_perm_b32 v18, v11, v10, s2
	;; [unrolled: 1-line block ×4, first 2 shown]
	v_lshlrev_b32_e32 v37, 2, v25
	s_add_u32 s2, s3, s33
	v_or_b32_e32 v22, v22, v37
	s_addc_u32 s3, s4, s26
	v_lshlrev_b32_e32 v22, 1, v22
	s_ashr_i32 s41, s40, 31
	s_lshl_b64 s[2:3], s[2:3], 15
	ds_write2st64_b64 v22, v[18:19], v[20:21] offset0:80 offset1:88
	v_lshlrev_b32_e32 v22, 8, v25
	s_waitcnt lgkmcnt(0)
	s_add_u32 s4, s38, s2
	v_or_b32_e32 v23, v23, v22
	s_addc_u32 s5, s39, s3
	s_lshl_b64 s[2:3], s[40:41], 8
	ds_write_b64 v23, v[18:19]
	v_or_b32_e32 v18, v24, v22
	s_add_u32 s2, s4, s2
	ds_write_b64 v18, v[20:21]
	v_lshrrev_b32_e32 v18, 4, v0
	s_addc_u32 s3, s5, s3
	v_lshlrev_b32_e32 v19, 1, v60
	v_lshlrev_b32_e32 v26, 4, v60
	v_mov_b32_e32 v27, 0
	v_or_b32_e32 v20, 1, v19
	v_xor_b32_e32 v19, v18, v19
	v_lshl_add_u64 v[28:29], s[2:3], 0, v[26:27]
	v_lshlrev_b32_e32 v26, 8, v18
	v_xor_b32_e32 v22, v20, v18
	v_lshl_or_b32 v18, v19, 3, v26
	s_waitcnt lgkmcnt(0)
	s_barrier
	ds_read2st64_b64 v[18:21], v18 offset1:8
	v_lshl_or_b32 v22, v22, 3, v26
	ds_read2st64_b64 v[22:25], v22 offset1:8
	v_lshl_add_u64 v[30:31], v[28:29], 0, v[26:27]
	s_movk_i32 s2, 0x1000
	s_waitcnt lgkmcnt(1)
	v_mov_b32_e32 v26, v18
	v_add_co_u32_e32 v18, vcc, s2, v30
	s_cmp_lg_u32 s52, 64
	v_mov_b32_e32 v27, v19
	v_addc_co_u32_e32 v19, vcc, 0, v31, vcc
	s_cselect_b64 s[14:15], -1, 0
	v_lshl_or_b32 v35, v56, 3, v62
	s_waitcnt lgkmcnt(0)
	v_mov_b32_e32 v28, v22
	v_mov_b32_e32 v29, v23
	;; [unrolled: 1-line block ×4, first 2 shown]
	s_mov_b32 s4, 0
	v_or_b32_e32 v38, 32, v35
	v_and_b32_e32 v36, 56, v61
	s_and_b64 vcc, exec, s[14:15]
	global_store_dwordx4 v[30:31], v[26:29], off
	global_store_dwordx4 v[18:19], v[22:25], off
	s_cbranch_vccz .LBB510_32
; %bb.27:
	s_mov_b32 s6, s4
	s_mov_b32 s7, s4
	;; [unrolled: 1-line block ×3, first 2 shown]
	v_mov_b64_e32 v[24:25], s[6:7]
	v_mov_b64_e32 v[22:23], s[4:5]
	;; [unrolled: 1-line block ×3, first 2 shown]
	v_cmp_gt_i32_e32 vcc, s52, v35
	v_mov_b64_e32 v[20:21], v[24:25]
	s_and_saveexec_b64 s[2:3], vcc
	s_cbranch_execz .LBB510_29
; %bb.28:
	v_lshlrev_b32_e32 v18, 8, v35
	v_mov_b32_e32 v19, 0
	v_lshl_add_u64 v[20:21], s[0:1], 0, v[18:19]
	v_lshlrev_b32_e32 v18, 1, v36
	v_lshl_add_u64 v[26:27], v[20:21], 0, v[18:19]
	global_load_dwordx4 v[22:25], v[26:27], off
	global_load_dwordx4 v[18:21], v[26:27], off offset:128
.LBB510_29:
	s_or_b64 exec, exec, s[2:3]
	s_mov_b32 s6, s4
	s_mov_b32 s7, s4
	;; [unrolled: 1-line block ×3, first 2 shown]
	v_mov_b64_e32 v[32:33], s[6:7]
	v_mov_b64_e32 v[30:31], s[4:5]
	;; [unrolled: 1-line block ×3, first 2 shown]
	v_cmp_gt_i32_e32 vcc, s52, v38
	v_lshlrev_b32_e32 v39, 7, v38
	v_mov_b64_e32 v[28:29], v[32:33]
	s_and_saveexec_b64 s[2:3], vcc
	s_cbranch_execz .LBB510_31
; %bb.30:
	v_lshlrev_b32_e32 v26, 1, v39
	v_mov_b32_e32 v27, 0
	v_lshl_add_u64 v[28:29], s[0:1], 0, v[26:27]
	v_lshlrev_b32_e32 v26, 1, v36
	v_lshl_add_u64 v[42:43], v[28:29], 0, v[26:27]
	global_load_dwordx4 v[30:33], v[42:43], off
	global_load_dwordx4 v[26:29], v[42:43], off offset:128
.LBB510_31:
	s_or_b64 exec, exec, s[2:3]
	v_lshrrev_b32_e32 v41, 3, v36
	v_lshlrev_b32_e32 v42, 3, v35
	v_or_b32_e32 v41, v42, v41
	v_lshlrev_b32_e32 v41, 4, v41
	v_and_b32_e32 v42, 0x78, v42
	v_xor_b32_e32 v41, v41, v42
	s_branch .LBB510_34
.LBB510_32:
                                        ; implicit-def: $vgpr41
                                        ; implicit-def: $vgpr39
                                        ; implicit-def: $vgpr22_vgpr23_vgpr24_vgpr25
                                        ; implicit-def: $vgpr18_vgpr19_vgpr20_vgpr21
                                        ; implicit-def: $vgpr30_vgpr31_vgpr32_vgpr33
                                        ; implicit-def: $vgpr26_vgpr27_vgpr28_vgpr29
	s_cbranch_execz .LBB510_34
; %bb.33:
	s_waitcnt vmcnt(0)
	v_lshlrev_b32_e32 v18, 1, v36
	v_lshl_or_b32 v39, v35, 8, v18
	s_and_b32 s1, s1, 0xffff
	s_mov_b32 s3, 0x20000
	s_movk_i32 s2, 0x4000
	v_lshl_or_b32 v41, v38, 8, v18
	s_movk_i32 s4, 0x80
	buffer_load_dwordx4 v[22:25], v39, s[0:3], 0 offen
	buffer_load_dwordx4 v[18:21], v39, s[0:3], s4 offen
	;; [unrolled: 1-line block ×4, first 2 shown]
	v_lshrrev_b32_e32 v39, 3, v36
	v_lshlrev_b32_e32 v41, 3, v35
	v_or_b32_e32 v39, v41, v39
	v_lshlrev_b32_e32 v39, 4, v39
	v_and_b32_e32 v41, 0x78, v41
	v_xor_b32_e32 v41, v39, v41
	v_lshlrev_b32_e32 v39, 7, v38
.LBB510_34:
	s_lshl_b64 s[0:1], s[44:45], 8
	s_add_u32 s4, s16, s0
	s_movk_i32 s0, 0x1000
	v_and_or_b32 v38, v39, s0, v41
	s_waitcnt vmcnt(1)
	ds_write_b64 v41, v[22:23] offset:24576
	v_xor_b32_e32 v22, 8, v41
	ds_write_b64 v22, v[24:25] offset:24576
	s_waitcnt vmcnt(0)
	ds_write_b64 v41, v[18:19] offset:32768
	ds_write_b64 v22, v[20:21] offset:32768
	;; [unrolled: 1-line block ×3, first 2 shown]
	v_xor_b32_e32 v18, 8, v38
	ds_write_b64 v18, v[32:33] offset:24576
	ds_write_b64 v38, v[26:27] offset:32768
	;; [unrolled: 1-line block ×3, first 2 shown]
	v_or_b32_e32 v18, v57, v60
	v_lshlrev_b32_e32 v18, 3, v18
	v_lshrrev_b32_e32 v19, 5, v58
	s_movk_i32 s7, 0xf8
	v_and_or_b32 v19, v18, s7, v19
	v_lshlrev_b32_e32 v23, 4, v19
	v_lshlrev_b32_e32 v41, 11, v56
	v_and_b32_e32 v24, 0x78, v18
	v_or_b32_e32 v26, 32, v23
	v_and_b32_e32 v22, 0x1000, v41
	v_lshrrev_b32_e32 v19, 1, v58
	v_xor_b32_e32 v26, v26, v24
	v_xor_b32_e32 v18, v23, v24
	v_and_b32_e32 v25, 8, v19
	v_or_b32_e32 v26, v26, v22
	v_or_b32_e32 v18, v18, v22
	v_xor_b32_e32 v45, v26, v25
	v_or_b32_e32 v26, 64, v23
	v_xor_b32_e32 v44, v18, v25
	v_xor_b32_e32 v26, v26, v24
	s_waitcnt lgkmcnt(0)
	s_barrier
	v_or_b32_e32 v28, v26, v22
	ds_read_b64 v[26:27], v44 offset:24576
	v_lshl_or_b32 v38, v59, 7, v40
	v_lshlrev_b32_e32 v42, 1, v38
	v_add_u32_e32 v18, 0xa000, v42
	ds_read2_b64 v[18:21], v18 offset1:16
	v_or_b32_e32 v23, 0x60, v23
	v_xor_b32_e32 v23, v23, v24
	s_waitcnt lgkmcnt(0)
	v_mfma_f32_16x16x16_bf16 a[0:3], v[26:27], v[18:19], 0
	v_or_b32_e32 v18, 64, v38
	v_or_b32_e32 v22, v23, v22
	v_lshlrev_b32_e32 v43, 1, v18
	v_xor_b32_e32 v46, v28, v25
	v_xor_b32_e32 v47, v22, v25
	ds_read_b64 v[28:29], v45 offset:24576
	ds_read_b64 v[30:31], v46 offset:24576
	;; [unrolled: 1-line block ×3, first 2 shown]
	v_mfma_f32_16x16x16_bf16 a[4:7], v[26:27], v[20:21], 0
	ds_read2st64_b64 v[18:21], v43 offset0:82 offset1:84
	ds_read2st64_b64 v[22:25], v42 offset0:82 offset1:84
	s_addc_u32 s5, s17, s1
	s_add_i32 s2, s24, -1
	s_add_i32 s0, s46, s29
	s_mul_i32 s13, s13, s28
	s_add_i32 s13, s0, s13
	s_mul_i32 s0, s33, s31
	s_mul_hi_u32 s1, s33, s30
	s_ashr_i32 s3, s2, 31
	s_mul_i32 s6, s2, s37
	s_mul_hi_u32 s7, s2, s36
	s_add_i32 s0, s1, s0
	s_mul_i32 s1, s26, s30
	s_add_i32 s6, s7, s6
	s_mul_i32 s3, s3, s36
	s_waitcnt lgkmcnt(1)
	v_mfma_f32_16x16x16_bf16 a[4:7], v[28:29], v[18:19], a[4:7]
	s_add_i32 s1, s0, s1
	s_add_i32 s3, s6, s3
	s_lshl_b64 s[6:7], s[12:13], 2
	s_waitcnt lgkmcnt(0)
	v_mfma_f32_16x16x16_bf16 a[0:3], v[28:29], v[22:23], a[0:3]
	s_mul_i32 s0, s33, s30
	s_add_u32 s6, s22, s6
	s_addc_u32 s7, s23, s7
	s_lshl_b64 s[0:1], s[0:1], 2
	s_mul_i32 s2, s2, s36
	s_add_u32 s12, s6, s0
	ds_read_b64 v[18:19], v42 offset:44032
	v_mfma_f32_16x16x16_bf16 a[4:7], v[30:31], v[20:21], a[4:7]
	ds_read_b64 v[20:21], v43 offset:44032
	s_addc_u32 s13, s7, s1
	s_lshl_b64 s[0:1], s[2:3], 2
	v_mfma_f32_16x16x16_bf16 a[0:3], v[30:31], v[24:25], a[0:3]
	s_add_u32 s0, s12, s0
	s_addc_u32 s1, s13, s1
	s_load_dword s16, s[0:1], 0x0
	s_waitcnt lgkmcnt(0)
	v_mfma_f32_16x16x16_bf16 a[0:3], v[32:33], v[18:19], a[0:3]
	s_and_b64 vcc, exec, s[42:43]
	v_mfma_f32_16x16x16_bf16 a[4:7], v[32:33], v[20:21], a[4:7]
	s_cbranch_vccz .LBB510_45
; %bb.35:
	v_lshlrev_b32_e32 v38, 1, v35
	s_and_b64 vcc, exec, s[14:15]
	s_cbranch_vccz .LBB510_46
; %bb.36:
	v_cmp_gt_i32_e32 vcc, s52, v38
	v_mov_b32_e32 v22, 0
	v_mov_b32_e32 v18, 0
	;; [unrolled: 1-line block ×5, first 2 shown]
	s_and_saveexec_b64 s[0:1], vcc
	s_cbranch_execz .LBB510_38
; %bb.37:
	v_mad_i64_i32 v[18:19], s[2:3], s27, v38, 0
	v_lshl_add_u64 v[18:19], v[18:19], 1, s[4:5]
	v_lshlrev_b32_e32 v20, 1, v36
	v_mov_b32_e32 v21, 0
	v_lshl_add_u64 v[18:19], v[18:19], 0, v[20:21]
	global_load_dwordx4 v[18:21], v[18:19], off
.LBB510_38:
	s_or_b64 exec, exec, s[0:1]
	v_or_b32_e32 v39, 1, v38
	v_cmp_gt_i32_e64 s[0:1], s52, v39
	v_mov_b32_e32 v23, 0
	v_mov_b32_e32 v24, 0
	;; [unrolled: 1-line block ×3, first 2 shown]
	s_and_saveexec_b64 s[2:3], s[0:1]
	s_cbranch_execz .LBB510_40
; %bb.39:
	v_mad_i64_i32 v[22:23], s[6:7], s27, v39, 0
	v_lshl_add_u64 v[22:23], v[22:23], 1, s[4:5]
	v_lshlrev_b32_e32 v24, 1, v36
	v_mov_b32_e32 v25, 0
	v_lshl_add_u64 v[22:23], v[22:23], 0, v[24:25]
	global_load_dwordx4 v[22:25], v[22:23], off
.LBB510_40:
	s_or_b64 exec, exec, s[2:3]
	v_mov_b32_e32 v33, 0
	v_mov_b32_e32 v26, 0
	;; [unrolled: 1-line block ×5, first 2 shown]
	s_and_saveexec_b64 s[2:3], vcc
	s_cbranch_execz .LBB510_42
; %bb.41:
	v_mad_i64_i32 v[26:27], s[6:7], s27, v38, 0
	v_lshl_add_u64 v[26:27], v[26:27], 1, s[4:5]
	v_lshlrev_b32_e32 v28, 1, v36
	v_mov_b32_e32 v29, 0
	v_lshl_add_u64 v[26:27], v[26:27], 0, v[28:29]
	global_load_dwordx4 v[26:29], v[26:27], off offset:128
.LBB510_42:
	s_or_b64 exec, exec, s[2:3]
	v_mov_b32_e32 v32, 0
	v_mov_b32_e32 v31, 0
	;; [unrolled: 1-line block ×3, first 2 shown]
	s_and_saveexec_b64 s[2:3], s[0:1]
	s_cbranch_execz .LBB510_44
; %bb.43:
	v_mad_i64_i32 v[30:31], s[0:1], s27, v39, 0
	v_lshl_add_u64 v[30:31], v[30:31], 1, s[4:5]
	v_lshlrev_b32_e32 v32, 1, v36
	v_mov_b32_e32 v33, 0
	v_lshl_add_u64 v[30:31], v[30:31], 0, v[32:33]
	global_load_dwordx4 v[30:33], v[30:31], off offset:128
.LBB510_44:
	s_or_b64 exec, exec, s[2:3]
	s_branch .LBB510_48
.LBB510_45:
                                        ; implicit-def: $vgpr21
                                        ; implicit-def: $vgpr25
                                        ; implicit-def: $vgpr29
                                        ; implicit-def: $vgpr33
	v_lshrrev_b32_e32 v48, 2, v58
	s_branch .LBB510_49
.LBB510_46:
                                        ; implicit-def: $vgpr21
                                        ; implicit-def: $vgpr25
                                        ; implicit-def: $vgpr29
                                        ; implicit-def: $vgpr33
	s_cbranch_execz .LBB510_48
; %bb.47:
	s_waitcnt vmcnt(0)
	v_mad_u64_u32 v[18:19], s[0:1], v38, s27, v[36:37]
	v_lshlrev_b32_e32 v38, 1, v18
	s_lshl_b32 s2, s27, 7
	s_and_b32 s1, s5, 0xffff
	s_mov_b32 s3, 0x20000
	s_mov_b32 s0, s4
	v_add_lshl_u32 v39, v18, s27, 1
	s_movk_i32 s6, 0x80
	buffer_load_dwordx4 v[18:21], v38, s[0:3], 0 offen
	buffer_load_dwordx4 v[26:29], v38, s[0:3], s6 offen
	;; [unrolled: 1-line block ×4, first 2 shown]
.LBB510_48:
	v_lshrrev_b32_e32 v48, 2, v58
	s_cbranch_execnz .LBB510_61
.LBB510_49:
	s_and_b64 vcc, exec, s[14:15]
	s_cbranch_vccz .LBB510_59
; %bb.50:
	s_waitcnt vmcnt(0)
	v_lshlrev_b32_e32 v23, 1, v35
	v_cmp_gt_i32_e32 vcc, s52, v23
	v_mov_b32_e32 v22, 0
	v_lshlrev_b32_e32 v30, 9, v35
	v_mov_b32_e32 v18, 0
	v_mov_b32_e32 v19, 0
	;; [unrolled: 1-line block ×4, first 2 shown]
	s_and_saveexec_b64 s[0:1], vcc
	s_cbranch_execz .LBB510_52
; %bb.51:
	v_mov_b32_e32 v31, 0
	v_lshl_add_u64 v[18:19], s[4:5], 0, v[30:31]
	v_lshlrev_b32_e32 v20, 1, v36
	v_mov_b32_e32 v21, v31
	v_lshl_add_u64 v[18:19], v[18:19], 0, v[20:21]
	global_load_dwordx4 v[18:21], v[18:19], off
.LBB510_52:
	s_or_b64 exec, exec, s[0:1]
	v_or_b32_e32 v23, 1, v23
	v_cmp_gt_i32_e64 s[0:1], s52, v23
	v_lshlrev_b32_e32 v38, 8, v23
	v_mov_b32_e32 v23, 0
	v_mov_b32_e32 v24, 0
	;; [unrolled: 1-line block ×3, first 2 shown]
	s_and_saveexec_b64 s[2:3], s[0:1]
	s_cbranch_execz .LBB510_54
; %bb.53:
	v_mov_b32_e32 v39, 0
	v_lshl_add_u64 v[22:23], s[4:5], 0, v[38:39]
	v_lshlrev_b32_e32 v24, 1, v36
	v_mov_b32_e32 v25, v39
	v_lshl_add_u64 v[22:23], v[22:23], 0, v[24:25]
	global_load_dwordx4 v[22:25], v[22:23], off
.LBB510_54:
	s_or_b64 exec, exec, s[2:3]
	v_mov_b32_e32 v33, 0
	v_mov_b32_e32 v26, 0
	;; [unrolled: 1-line block ×5, first 2 shown]
	s_and_saveexec_b64 s[2:3], vcc
	s_cbranch_execz .LBB510_56
; %bb.55:
	v_mov_b32_e32 v31, 0
	v_lshl_add_u64 v[26:27], s[4:5], 0, v[30:31]
	v_lshlrev_b32_e32 v30, 1, v36
	v_lshl_add_u64 v[26:27], v[26:27], 0, v[30:31]
	global_load_dwordx4 v[26:29], v[26:27], off offset:128
.LBB510_56:
	s_or_b64 exec, exec, s[2:3]
	v_mov_b32_e32 v32, 0
	v_mov_b32_e32 v31, 0
	;; [unrolled: 1-line block ×3, first 2 shown]
	s_and_saveexec_b64 s[2:3], s[0:1]
	s_cbranch_execz .LBB510_58
; %bb.57:
	v_mov_b32_e32 v39, 0
	v_lshl_add_u64 v[30:31], s[4:5], 0, v[38:39]
	v_lshlrev_b32_e32 v38, 1, v36
	v_lshl_add_u64 v[30:31], v[30:31], 0, v[38:39]
	global_load_dwordx4 v[30:33], v[30:31], off offset:128
.LBB510_58:
	s_or_b64 exec, exec, s[2:3]
	s_branch .LBB510_61
.LBB510_59:
                                        ; implicit-def: $vgpr21
                                        ; implicit-def: $vgpr25
                                        ; implicit-def: $vgpr29
                                        ; implicit-def: $vgpr33
	s_cbranch_execz .LBB510_61
; %bb.60:
	s_waitcnt vmcnt(0)
	v_lshlrev_b32_e32 v18, 1, v36
	v_lshl_or_b32 v36, v35, 9, v18
	s_and_b32 s5, s5, 0xffff
	s_mov_b32 s7, 0x20000
	s_movk_i32 s6, 0x4000
	s_movk_i32 s0, 0x80
	buffer_load_dwordx4 v[18:21], v36, s[4:7], 0 offen
	buffer_load_dwordx4 v[22:25], v36, s[4:7], 0 offen offset:256
	buffer_load_dwordx4 v[26:29], v36, s[4:7], s0 offen
	buffer_load_dwordx4 v[30:33], v36, s[4:7], s0 offen offset:256
.LBB510_61:
	ds_read_b64 v[38:39], v44 offset:32768
	v_add_u32_e32 v36, 0xb000, v42
	ds_read2_b64 v[50:53], v36 offset1:16
	ds_read_b64 v[54:55], v45 offset:32768
	ds_read_b64 v[58:59], v46 offset:32768
	;; [unrolled: 1-line block ×3, first 2 shown]
	v_and_b32_e32 v36, 6, v0
	v_xor_b32_e32 v35, v35, v36
	v_lshlrev_b32_e32 v35, 2, v35
	v_and_b32_e32 v49, 1, v0
	v_cmp_eq_u32_e32 vcc, 0, v49
	s_mov_b32 s0, 0x1000504
	s_waitcnt lgkmcnt(3)
	v_mfma_f32_16x16x16_bf16 a[0:3], v[38:39], v[50:51], a[0:3]
	s_mov_b32 s1, 0x3020706
	v_mfma_f32_16x16x16_bf16 a[4:7], v[38:39], v[52:53], a[4:7]
	ds_read2st64_b64 v[44:47], v42 offset0:90 offset1:92
	ds_read2st64_b64 v[50:53], v43 offset0:90 offset1:92
	s_waitcnt lgkmcnt(1)
	v_mfma_f32_16x16x16_bf16 a[0:3], v[54:55], v[44:45], a[0:3]
	ds_read_b64 v[38:39], v42 offset:48128
	ds_read_b64 v[44:45], v43 offset:48128
	s_waitcnt lgkmcnt(2)
	v_mfma_f32_16x16x16_bf16 a[4:7], v[54:55], v[50:51], a[4:7]
	v_mfma_f32_16x16x16_bf16 a[0:3], v[58:59], v[46:47], a[0:3]
	v_xor_b32_e32 v46, 0x440, v35
	v_cndmask_b32_e32 v35, v46, v35, vcc
	v_lshl_or_b32 v35, v36, 10, v35
	v_mfma_f32_16x16x16_bf16 a[8:11], v[58:59], v[52:53], a[4:7]
	s_waitcnt vmcnt(0)
	v_perm_b32 v36, v18, v22, s0
	v_perm_b32 v18, v18, v22, s1
	;; [unrolled: 1-line block ×3, first 2 shown]
	s_waitcnt lgkmcnt(1)
	v_mfma_f32_16x16x16_bf16 a[4:7], v[60:61], v[38:39], a[0:3]
	v_perm_b32 v38, v26, v30, s0
	ds_write2st64_b32 v35, v36, v38 offset0:32 offset1:64
	v_xor_b32_e32 v36, 8, v35
	v_add_u32_e32 v26, 0x80, v36
	ds_write2st64_b32 v26, v18, v22 offset0:32 offset1:64
	v_xor_b32_e32 v18, 16, v35
	v_perm_b32 v22, v19, v23, s0
	v_perm_b32 v26, v27, v31, s0
	ds_write2st64_b32 v18, v22, v26 offset0:33 offset1:65
	v_xor_b32_e32 v18, 24, v35
	v_perm_b32 v19, v19, v23, s1
	v_perm_b32 v22, v27, v31, s1
	v_add_u32_e32 v18, 0x80, v18
	ds_write2st64_b32 v18, v19, v22 offset0:33 offset1:65
	v_xor_b32_e32 v18, 32, v35
	v_perm_b32 v19, v20, v24, s0
	v_perm_b32 v22, v28, v32, s0
	ds_write2st64_b32 v18, v19, v22 offset0:34 offset1:66
	v_xor_b32_e32 v18, 40, v35
	s_waitcnt lgkmcnt(5)
	v_mfma_f32_16x16x16_bf16 a[0:3], v[60:61], v[44:45], a[8:11]
	v_perm_b32 v19, v20, v24, s1
	v_perm_b32 v20, v28, v32, s1
	v_add_u32_e32 v18, 0x80, v18
	ds_write2st64_b32 v18, v19, v20 offset0:34 offset1:66
	v_xor_b32_e32 v18, 48, v35
	v_perm_b32 v19, v21, v25, s0
	v_perm_b32 v20, v29, v33, s0
	ds_write2st64_b32 v18, v19, v20 offset0:35 offset1:67
	v_xor_b32_e32 v18, 56, v35
	v_and_or_b32 v38, v48, 12, v57
	v_perm_b32 v19, v21, v25, s1
	v_perm_b32 v20, v29, v33, s1
	v_add_u32_e32 v18, 0x80, v18
	v_cmp_gt_i32_e32 vcc, s52, v38
	v_mov_b32_e32 v32, 0
	v_mov_b32_e32 v36, 0
	ds_write2st64_b32 v18, v19, v20 offset0:35 offset1:67
	s_and_saveexec_b64 s[0:1], vcc
	s_cbranch_execz .LBB510_63
; %bb.62:
	v_add_u32_e32 v18, s51, v38
	v_ashrrev_i32_e32 v19, 31, v18
	v_mul_lo_u32 v20, v19, s36
	v_mul_lo_u32 v21, v18, s37
	v_mad_u64_u32 v[18:19], s[2:3], v18, s36, 0
	v_add3_u32 v19, v19, v21, v20
	v_lshl_add_u64 v[18:19], v[18:19], 2, s[12:13]
	global_load_dword v18, v[18:19], off
	s_waitcnt vmcnt(0)
	v_sub_f32_e32 v18, s16, v18
	v_mul_f32_e32 v18, 0x3fb8aa3b, v18
	v_exp_f32_e32 v36, v18
.LBB510_63:
	s_or_b64 exec, exec, s[0:1]
	v_or_b32_e32 v26, 1, v38
	v_cmp_gt_i32_e64 s[0:1], s52, v26
	s_and_saveexec_b64 s[2:3], s[0:1]
	s_cbranch_execz .LBB510_65
; %bb.64:
	v_add_u32_e32 v18, s51, v26
	v_ashrrev_i32_e32 v19, 31, v18
	v_mul_lo_u32 v20, v19, s36
	v_mul_lo_u32 v21, v18, s37
	v_mad_u64_u32 v[18:19], s[4:5], v18, s36, 0
	v_add3_u32 v19, v19, v21, v20
	v_lshl_add_u64 v[18:19], v[18:19], 2, s[12:13]
	global_load_dword v18, v[18:19], off
	s_waitcnt vmcnt(0)
	v_sub_f32_e32 v18, s16, v18
	v_mul_f32_e32 v18, 0x3fb8aa3b, v18
	v_exp_f32_e32 v32, v18
.LBB510_65:
	s_or_b64 exec, exec, s[2:3]
	v_or_b32_e32 v27, 2, v38
	v_cmp_gt_i32_e64 s[2:3], s52, v27
	v_mov_b32_e32 v33, 0
	v_mov_b32_e32 v39, 0
	s_and_saveexec_b64 s[4:5], s[2:3]
	s_cbranch_execz .LBB510_67
; %bb.66:
	v_add_u32_e32 v18, s51, v27
	v_ashrrev_i32_e32 v19, 31, v18
	v_mul_lo_u32 v20, v19, s36
	v_mul_lo_u32 v21, v18, s37
	v_mad_u64_u32 v[18:19], s[6:7], v18, s36, 0
	v_add3_u32 v19, v19, v21, v20
	v_lshl_add_u64 v[18:19], v[18:19], 2, s[12:13]
	global_load_dword v18, v[18:19], off
	s_waitcnt vmcnt(0)
	v_sub_f32_e32 v18, s16, v18
	v_mul_f32_e32 v18, 0x3fb8aa3b, v18
	v_exp_f32_e32 v39, v18
.LBB510_67:
	s_or_b64 exec, exec, s[4:5]
	v_or_b32_e32 v44, 3, v38
	v_cmp_gt_i32_e64 s[4:5], s52, v44
	s_and_saveexec_b64 s[6:7], s[4:5]
	s_cbranch_execz .LBB510_69
; %bb.68:
	v_add_u32_e32 v18, s51, v44
	v_ashrrev_i32_e32 v19, 31, v18
	v_mul_lo_u32 v20, v19, s36
	v_mul_lo_u32 v21, v18, s37
	v_mad_u64_u32 v[18:19], s[14:15], v18, s36, 0
	v_add3_u32 v19, v19, v21, v20
	v_lshl_add_u64 v[18:19], v[18:19], 2, s[12:13]
	global_load_dword v18, v[18:19], off
	s_waitcnt vmcnt(0)
	v_sub_f32_e32 v18, s16, v18
	v_mul_f32_e32 v18, 0x3fb8aa3b, v18
	v_exp_f32_e32 v33, v18
.LBB510_69:
	s_or_b64 exec, exec, s[6:7]
	s_add_u32 s6, s20, s10
	v_accvgpr_read_b32 v21, a7
	s_addc_u32 s7, s21, s11
	v_ashrrev_i32_e32 v35, 31, v34
	v_accvgpr_read_b32 v20, a6
	v_accvgpr_read_b32 v19, a5
	;; [unrolled: 1-line block ×3, first 2 shown]
	v_lshl_add_u64 v[22:23], v[34:35], 1, s[6:7]
	v_mov_b32_e32 v29, 0
	v_lshlrev_b32_e32 v24, 8, v38
	v_mov_b32_e32 v25, 0
	s_and_saveexec_b64 s[6:7], vcc
	s_cbranch_execz .LBB510_71
; %bb.70:
	v_mov_b32_e32 v25, 0
	v_lshl_add_u64 v[30:31], v[22:23], 0, v[24:25]
	global_load_ushort v25, v[30:31], off
	s_waitcnt vmcnt(0)
	v_lshlrev_b32_e32 v25, 16, v25
	v_sub_f32_e32 v18, v25, v18
	v_mul_f32_e32 v18, v36, v18
	v_lshrrev_b32_e32 v25, 16, v18
.LBB510_71:
	s_or_b64 exec, exec, s[6:7]
	v_lshlrev_b32_e32 v28, 8, v26
	s_and_saveexec_b64 s[6:7], s[0:1]
	s_cbranch_execz .LBB510_73
; %bb.72:
	v_mov_b32_e32 v29, 0
	v_lshl_add_u64 v[30:31], v[22:23], 0, v[28:29]
	global_load_ushort v18, v[30:31], off
	s_waitcnt vmcnt(0)
	v_lshlrev_b32_e32 v18, 16, v18
	v_sub_f32_e32 v18, v18, v19
	v_mul_f32_e32 v18, v32, v18
	v_lshrrev_b32_e32 v29, 16, v18
.LBB510_73:
	s_or_b64 exec, exec, s[6:7]
	v_mov_b32_e32 v45, 0
	v_lshlrev_b32_e32 v30, 8, v27
	v_mov_b32_e32 v31, 0
	s_and_saveexec_b64 s[6:7], s[2:3]
	s_cbranch_execz .LBB510_75
; %bb.74:
	v_mov_b32_e32 v31, 0
	v_lshl_add_u64 v[18:19], v[22:23], 0, v[30:31]
	global_load_ushort v18, v[18:19], off
	s_waitcnt vmcnt(0)
	v_lshlrev_b32_e32 v18, 16, v18
	v_sub_f32_e32 v18, v18, v20
	v_mul_f32_e32 v18, v39, v18
	v_lshrrev_b32_e32 v31, 16, v18
.LBB510_75:
	s_or_b64 exec, exec, s[6:7]
	v_lshlrev_b32_e32 v26, 8, v44
	s_and_saveexec_b64 s[6:7], s[4:5]
	s_cbranch_execz .LBB510_77
; %bb.76:
	v_mov_b32_e32 v27, 0
	v_lshl_add_u64 v[18:19], v[22:23], 0, v[26:27]
	global_load_ushort v18, v[18:19], off
	s_waitcnt vmcnt(0)
	v_lshlrev_b32_e32 v18, 16, v18
	v_sub_f32_e32 v18, v18, v21
	v_mul_f32_e32 v18, v33, v18
	v_lshrrev_b32_e32 v45, 16, v18
.LBB510_77:
	s_or_b64 exec, exec, s[6:7]
	v_lshlrev_b32_e32 v35, 5, v38
	s_mov_b32 s6, 0x5040100
	v_perm_b32 v44, v29, v25, s6
	v_or_b32_e32 v25, v35, v40
	v_accvgpr_read_b32 v21, a3
	v_perm_b32 v45, v45, v31, s6
	v_lshlrev_b32_e32 v25, 1, v25
	v_accvgpr_read_b32 v20, a2
	v_accvgpr_read_b32 v19, a1
	;; [unrolled: 1-line block ×3, first 2 shown]
	ds_write_b64 v25, v[44:45] offset:45056
	v_mov_b32_e32 v29, 0
	v_mov_b32_e32 v25, 0
	s_and_saveexec_b64 s[6:7], vcc
	s_cbranch_execz .LBB510_79
; %bb.78:
	v_mov_b32_e32 v25, 0
	v_lshl_add_u64 v[24:25], v[22:23], 0, v[24:25]
	global_load_ushort v24, v[24:25], off offset:32
	s_waitcnt vmcnt(0)
	v_lshlrev_b32_e32 v24, 16, v24
	v_sub_f32_e32 v18, v24, v18
	v_mul_f32_e32 v18, v36, v18
	v_lshrrev_b32_e32 v25, 16, v18
.LBB510_79:
	s_or_b64 exec, exec, s[6:7]
	s_and_saveexec_b64 s[6:7], s[0:1]
	s_cbranch_execz .LBB510_81
; %bb.80:
	v_mov_b32_e32 v29, 0
	v_lshl_add_u64 v[28:29], v[22:23], 0, v[28:29]
	global_load_ushort v18, v[28:29], off offset:32
	s_waitcnt vmcnt(0)
	v_lshlrev_b32_e32 v18, 16, v18
	v_sub_f32_e32 v18, v18, v19
	v_mul_f32_e32 v18, v32, v18
	v_lshrrev_b32_e32 v29, 16, v18
.LBB510_81:
	s_or_b64 exec, exec, s[6:7]
	v_mov_b32_e32 v24, 0
	v_mov_b32_e32 v28, 0
	s_and_saveexec_b64 s[0:1], s[2:3]
	s_cbranch_execz .LBB510_83
; %bb.82:
	v_mov_b32_e32 v31, 0
	v_lshl_add_u64 v[18:19], v[22:23], 0, v[30:31]
	global_load_ushort v18, v[18:19], off offset:32
	s_waitcnt vmcnt(0)
	v_lshlrev_b32_e32 v18, 16, v18
	v_sub_f32_e32 v18, v18, v20
	v_mul_f32_e32 v18, v39, v18
	v_lshrrev_b32_e32 v28, 16, v18
.LBB510_83:
	s_or_b64 exec, exec, s[0:1]
	v_or_b32_e32 v19, 0xb000, v42
	v_or_b32_e32 v18, 0xb000, v43
	s_and_saveexec_b64 s[0:1], s[4:5]
	s_cbranch_execz .LBB510_85
; %bb.84:
	v_mov_b32_e32 v27, 0
	v_lshl_add_u64 v[22:23], v[22:23], 0, v[26:27]
	global_load_ushort v20, v[22:23], off offset:32
	s_waitcnt vmcnt(0)
	v_lshlrev_b32_e32 v20, 16, v20
	v_sub_f32_e32 v20, v20, v21
	v_mul_f32_e32 v20, v33, v20
	v_lshrrev_b32_e32 v24, 16, v20
.LBB510_85:
	s_or_b64 exec, exec, s[0:1]
	s_mov_b32 s0, 0x5040100
	v_or_b32_e32 v22, v35, v37
	v_perm_b32 v21, v24, v28, s0
	v_perm_b32 v20, v29, v25, s0
	v_lshlrev_b32_e32 v22, 1, v22
	s_movk_i32 s0, 0x100
	ds_write_b64 v22, v[20:21] offset:45056
	v_and_b32_e32 v20, 7, v0
	v_and_b32_e32 v21, 8, v0
	v_cmp_gt_u32_e32 vcc, s0, v0
	v_lshrrev_b32_e32 v0, 1, v0
	v_lshlrev_b32_e32 v35, 3, v20
	v_lshlrev_b32_e32 v36, 7, v20
	v_mov_b32_e32 v20, 0x4000
	v_mov_b32_e32 v22, 0x2000
	v_lshlrev_b32_e32 v38, 3, v56
	v_and_b32_e32 v0, 24, v0
	v_cndmask_b32_e32 v37, v20, v22, vcc
	v_xor_b32_e32 v20, v38, v0
	v_or_b32_e32 v26, 32, v0
	v_or_b32_e32 v22, 0x440, v20
	v_cmp_eq_u32_e32 vcc, 0, v21
	v_xor_b32_e32 v26, v38, v26
	v_or_b32_e32 v27, 0x440, v26
	v_cndmask_b32_e32 v20, v22, v20, vcc
	v_or_b32_e32 v20, v20, v41
	v_cndmask_b32_e32 v26, v27, v26, vcc
	v_xad_u32 v40, v20, v35, v36
	v_or_b32_e32 v26, v26, v41
	v_add_u32_e32 v20, v37, v40
	v_xad_u32 v42, v26, v35, v36
	s_waitcnt lgkmcnt(0)
	s_barrier
	ds_read_b64 v[24:25], v20
	ds_read2_b64 v[20:23], v19 offset1:16
	v_add_u32_e32 v26, v37, v42
	ds_read_b64 v[32:33], v26
	s_waitcnt lgkmcnt(1)
	v_mfma_f32_16x16x16_bf16 a[0:3], v[24:25], v[20:21], 0
	ds_read2st64_b64 v[28:31], v18 offset0:2 offset1:4
	v_mfma_f32_16x16x16_bf16 a[4:7], v[24:25], v[22:23], 0
	ds_read2st64_b64 v[24:27], v19 offset0:2 offset1:4
	s_waitcnt lgkmcnt(0)
	v_mfma_f32_16x16x16_bf16 a[0:3], v[32:33], v[24:25], a[0:3]
	v_mfma_f32_16x16x16_bf16 a[4:7], v[32:33], v[28:29], a[4:7]
	v_or_b32_e32 v32, 64, v0
	v_xor_b32_e32 v32, v38, v32
	v_xor_b32_e32 v33, 0x440, v32
	v_cndmask_b32_e32 v32, v33, v32, vcc
	v_or_b32_e32 v32, v32, v41
	v_or_b32_e32 v0, 0x60, v0
	v_xad_u32 v43, v32, v35, v36
	v_xor_b32_e32 v0, v38, v0
	v_add_u32_e32 v32, v37, v43
	v_xor_b32_e32 v38, 0x440, v0
	ds_read_b64 v[32:33], v32
	v_cndmask_b32_e32 v0, v38, v0, vcc
	v_or_b32_e32 v0, v0, v41
	v_xad_u32 v0, v0, v35, v36
	v_add_u32_e32 v35, v37, v0
	ds_read_b64 v[36:37], v35
	s_waitcnt lgkmcnt(1)
	v_mfma_f32_16x16x16_bf16 a[0:3], v[32:33], v[26:27], a[0:3]
	v_mov_b32_e32 v35, 0x3fb8aa3b
	v_mfma_f32_16x16x16_bf16 a[4:7], v[32:33], v[30:31], a[4:7]
	ds_read_b64 v[32:33], v19 offset:3072
	ds_read_b64 v[38:39], v18 offset:3072
	;; [unrolled: 1-line block ×3, first 2 shown]
	s_waitcnt lgkmcnt(2)
	v_mfma_f32_16x16x16_bf16 a[0:3], v[36:37], v[32:33], a[0:3]
	s_waitcnt lgkmcnt(1)
	v_mfma_f32_16x16x16_bf16 a[4:7], v[36:37], v[38:39], a[4:7]
	ds_read_b64 v[36:37], v42 offset:16384
	s_waitcnt lgkmcnt(1)
	v_mfma_f32_16x16x16_bf16 a[8:11], v[18:19], v[20:21], 0
	v_mul_f32_e32 v20, s16, v35
	v_exp_f32_e32 v35, v20
	v_accvgpr_read_b32 v21, a3
	v_mfma_f32_16x16x16_bf16 a[12:15], v[18:19], v[22:23], 0
	ds_read_b64 v[22:23], v43 offset:16384
	v_accvgpr_read_b32 v18, a0
	v_fma_f32 v18, v2, v35, v18
	v_accvgpr_read_b32 v2, a1
	v_fma_f32 v19, v3, v35, v2
	;; [unrolled: 2-line block ×3, first 2 shown]
	ds_read_b64 v[2:3], v0 offset:16384
	s_waitcnt lgkmcnt(2)
	v_mfma_f32_16x16x16_bf16 a[8:11], v[36:37], v[24:25], a[8:11]
	v_accvgpr_read_b32 v0, a4
	v_fmac_f32_e32 v21, v5, v35
	v_mfma_f32_16x16x16_bf16 a[12:15], v[36:37], v[28:29], a[12:15]
	v_accvgpr_read_b32 v29, a7
	v_fmac_f32_e32 v29, v13, v35
	s_waitcnt lgkmcnt(1)
	v_mfma_f32_16x16x16_bf16 a[0:3], v[22:23], v[26:27], a[8:11]
	v_fma_f32 v26, v10, v35, v0
	v_accvgpr_read_b32 v0, a5
	v_fma_f32 v27, v11, v35, v0
	v_mfma_f32_16x16x16_bf16 a[8:11], v[22:23], v[30:31], a[12:15]
	v_accvgpr_read_b32 v0, a6
	v_fma_f32 v28, v12, v35, v0
	s_waitcnt lgkmcnt(0)
	v_mfma_f32_16x16x16_bf16 a[0:3], v[2:3], v[32:33], a[0:3]
	v_mfma_f32_16x16x16_bf16 a[4:7], v[2:3], v[38:39], a[8:11]
	s_nop 5
	v_accvgpr_read_b32 v0, a0
	v_fma_f32 v22, v6, v35, v0
	v_accvgpr_read_b32 v0, a1
	v_fma_f32 v23, v7, v35, v0
	;; [unrolled: 2-line block ×4, first 2 shown]
	v_accvgpr_read_b32 v0, a5
	v_accvgpr_read_b32 v25, a3
	v_fma_f32 v31, v15, v35, v0
	v_accvgpr_read_b32 v0, a6
	v_accvgpr_read_b32 v33, a7
	v_fmac_f32_e32 v25, v9, v35
	v_fma_f32 v32, v16, v35, v0
	v_fmac_f32_e32 v33, v17, v35
	v_mov_b64_e32 v[2:3], v[18:19]
	v_mov_b64_e32 v[4:5], v[20:21]
	;; [unrolled: 1-line block ×8, first 2 shown]
	v_mov_b32_e32 v18, v34
.LBB510_86:
	s_lshl_b64 s[0:1], s[8:9], 16
	s_waitcnt lgkmcnt(0)
	s_add_u32 s0, s34, s0
	v_lshlrev_b32_e32 v18, 7, v18
	s_addc_u32 s1, s35, s1
	v_ashrrev_i32_e32 v19, 31, v18
	v_lshl_add_u64 v[20:21], v[18:19], 2, s[0:1]
	v_lshlrev_b32_e32 v0, 2, v1
	v_mov_b32_e32 v1, 0
	v_lshl_add_u64 v[20:21], v[20:21], 0, v[0:1]
	global_store_dwordx4 v[20:21], v[2:5], off
	global_store_dwordx4 v[20:21], v[6:9], off offset:256
	s_nop 0
	v_or_b32_e32 v2, 0x800, v18
	v_ashrrev_i32_e32 v3, 31, v2
	v_lshl_add_u64 v[2:3], v[2:3], 2, s[0:1]
	v_lshl_add_u64 v[0:1], v[2:3], 0, v[0:1]
	global_store_dwordx4 v[0:1], v[10:13], off
	global_store_dwordx4 v[0:1], v[14:17], off offset:256
	s_endpgm
	.section	.rodata,"a",@progbits
	.p2align	6, 0x0
	.amdhsa_kernel _ZN12_GLOBAL__N_139chunk_gated_delta_rule_fwd_h_hip_kernelILi32ELb0ELb1ELb0ELb0ELb0ELb0ELb0ELb0EEEvPK12hip_bfloat16S3_S3_PKfS5_PKvPS1_S8_PvPKiSB_iiiiilll
		.amdhsa_group_segment_fixed_size 49152
		.amdhsa_private_segment_fixed_size 0
		.amdhsa_kernarg_size 136
		.amdhsa_user_sgpr_count 2
		.amdhsa_user_sgpr_dispatch_ptr 0
		.amdhsa_user_sgpr_queue_ptr 0
		.amdhsa_user_sgpr_kernarg_segment_ptr 1
		.amdhsa_user_sgpr_dispatch_id 0
		.amdhsa_user_sgpr_kernarg_preload_length 0
		.amdhsa_user_sgpr_kernarg_preload_offset 0
		.amdhsa_user_sgpr_private_segment_size 0
		.amdhsa_uses_dynamic_stack 0
		.amdhsa_enable_private_segment 0
		.amdhsa_system_sgpr_workgroup_id_x 1
		.amdhsa_system_sgpr_workgroup_id_y 1
		.amdhsa_system_sgpr_workgroup_id_z 0
		.amdhsa_system_sgpr_workgroup_info 0
		.amdhsa_system_vgpr_workitem_id 0
		.amdhsa_next_free_vgpr 148
		.amdhsa_next_free_sgpr 64
		.amdhsa_accum_offset 132
		.amdhsa_reserve_vcc 1
		.amdhsa_float_round_mode_32 0
		.amdhsa_float_round_mode_16_64 0
		.amdhsa_float_denorm_mode_32 3
		.amdhsa_float_denorm_mode_16_64 3
		.amdhsa_dx10_clamp 1
		.amdhsa_ieee_mode 1
		.amdhsa_fp16_overflow 0
		.amdhsa_tg_split 0
		.amdhsa_exception_fp_ieee_invalid_op 0
		.amdhsa_exception_fp_denorm_src 0
		.amdhsa_exception_fp_ieee_div_zero 0
		.amdhsa_exception_fp_ieee_overflow 0
		.amdhsa_exception_fp_ieee_underflow 0
		.amdhsa_exception_fp_ieee_inexact 0
		.amdhsa_exception_int_div_zero 0
	.end_amdhsa_kernel
	.section	.text._ZN12_GLOBAL__N_139chunk_gated_delta_rule_fwd_h_hip_kernelILi32ELb0ELb1ELb0ELb0ELb0ELb0ELb0ELb0EEEvPK12hip_bfloat16S3_S3_PKfS5_PKvPS1_S8_PvPKiSB_iiiiilll,"axG",@progbits,_ZN12_GLOBAL__N_139chunk_gated_delta_rule_fwd_h_hip_kernelILi32ELb0ELb1ELb0ELb0ELb0ELb0ELb0ELb0EEEvPK12hip_bfloat16S3_S3_PKfS5_PKvPS1_S8_PvPKiSB_iiiiilll,comdat
.Lfunc_end510:
	.size	_ZN12_GLOBAL__N_139chunk_gated_delta_rule_fwd_h_hip_kernelILi32ELb0ELb1ELb0ELb0ELb0ELb0ELb0ELb0EEEvPK12hip_bfloat16S3_S3_PKfS5_PKvPS1_S8_PvPKiSB_iiiiilll, .Lfunc_end510-_ZN12_GLOBAL__N_139chunk_gated_delta_rule_fwd_h_hip_kernelILi32ELb0ELb1ELb0ELb0ELb0ELb0ELb0ELb0EEEvPK12hip_bfloat16S3_S3_PKfS5_PKvPS1_S8_PvPKiSB_iiiiilll
                                        ; -- End function
	.section	.AMDGPU.csdata,"",@progbits
; Kernel info:
; codeLenInByte = 9456
; NumSgprs: 70
; NumVgprs: 132
; NumAgprs: 16
; TotalNumVgprs: 148
; ScratchSize: 0
; MemoryBound: 0
; FloatMode: 240
; IeeeMode: 1
; LDSByteSize: 49152 bytes/workgroup (compile time only)
; SGPRBlocks: 8
; VGPRBlocks: 18
; NumSGPRsForWavesPerEU: 70
; NumVGPRsForWavesPerEU: 148
; AccumOffset: 132
; Occupancy: 1
; WaveLimiterHint : 1
; COMPUTE_PGM_RSRC2:SCRATCH_EN: 0
; COMPUTE_PGM_RSRC2:USER_SGPR: 2
; COMPUTE_PGM_RSRC2:TRAP_HANDLER: 0
; COMPUTE_PGM_RSRC2:TGID_X_EN: 1
; COMPUTE_PGM_RSRC2:TGID_Y_EN: 1
; COMPUTE_PGM_RSRC2:TGID_Z_EN: 0
; COMPUTE_PGM_RSRC2:TIDIG_COMP_CNT: 0
; COMPUTE_PGM_RSRC3_GFX90A:ACCUM_OFFSET: 32
; COMPUTE_PGM_RSRC3_GFX90A:TG_SPLIT: 0
	.section	.text._ZN12_GLOBAL__N_139chunk_gated_delta_rule_fwd_h_hip_kernelILi32ELb0ELb0ELb1ELb0ELb0ELb0ELb0ELb0EEEvPK12hip_bfloat16S3_S3_PKfS5_PKvPS1_S8_PvPKiSB_iiiiilll,"axG",@progbits,_ZN12_GLOBAL__N_139chunk_gated_delta_rule_fwd_h_hip_kernelILi32ELb0ELb0ELb1ELb0ELb0ELb0ELb0ELb0EEEvPK12hip_bfloat16S3_S3_PKfS5_PKvPS1_S8_PvPKiSB_iiiiilll,comdat
	.globl	_ZN12_GLOBAL__N_139chunk_gated_delta_rule_fwd_h_hip_kernelILi32ELb0ELb0ELb1ELb0ELb0ELb0ELb0ELb0EEEvPK12hip_bfloat16S3_S3_PKfS5_PKvPS1_S8_PvPKiSB_iiiiilll ; -- Begin function _ZN12_GLOBAL__N_139chunk_gated_delta_rule_fwd_h_hip_kernelILi32ELb0ELb0ELb1ELb0ELb0ELb0ELb0ELb0EEEvPK12hip_bfloat16S3_S3_PKfS5_PKvPS1_S8_PvPKiSB_iiiiilll
	.p2align	8
	.type	_ZN12_GLOBAL__N_139chunk_gated_delta_rule_fwd_h_hip_kernelILi32ELb0ELb0ELb1ELb0ELb0ELb0ELb0ELb0EEEvPK12hip_bfloat16S3_S3_PKfS5_PKvPS1_S8_PvPKiSB_iiiiilll,@function
_ZN12_GLOBAL__N_139chunk_gated_delta_rule_fwd_h_hip_kernelILi32ELb0ELb0ELb1ELb0ELb0ELb0ELb0ELb0EEEvPK12hip_bfloat16S3_S3_PKfS5_PKvPS1_S8_PvPKiSB_iiiiilll: ; @_ZN12_GLOBAL__N_139chunk_gated_delta_rule_fwd_h_hip_kernelILi32ELb0ELb0ELb1ELb0ELb0ELb0ELb0ELb0EEEvPK12hip_bfloat16S3_S3_PKfS5_PKvPS1_S8_PvPKiSB_iiiiilll
; %bb.0:
	s_load_dwordx4 s[16:19], s[0:1], 0x5c
	s_load_dwordx4 s[12:15], s[0:1], 0x30
	s_abs_i32 s22, s3
	s_ashr_i32 s21, s3, 31
	s_load_dwordx8 s[4:11], s[0:1], 0x0
	s_waitcnt lgkmcnt(0)
	s_abs_i32 s20, s17
	v_cvt_f32_u32_e32 v1, s20
	s_sub_i32 s24, 0, s20
	s_ashr_i32 s23, s17, 31
	s_xor_b32 s21, s21, s23
	v_rcp_iflag_f32_e32 v1, v1
	v_lshrrev_b32_e32 v44, 6, v0
	v_bfe_u32 v45, v0, 4, 2
	v_lshlrev_b32_e32 v2, 2, v45
	v_mul_f32_e32 v1, 0x4f7ffffe, v1
	v_cvt_u32_f32_e32 v1, v1
	v_and_b32_e32 v43, 63, v0
	v_and_b32_e32 v42, 15, v0
	v_mov_b32_e32 v3, 0
	v_readfirstlane_b32 s25, v1
	s_mul_i32 s24, s24, s25
	s_mul_hi_u32 s24, s25, s24
	s_add_i32 s25, s25, s24
	s_mul_hi_u32 s24, s22, s25
	s_mul_i32 s25, s24, s20
	s_sub_i32 s22, s22, s25
	s_add_i32 s26, s24, 1
	s_sub_i32 s25, s22, s20
	s_cmp_ge_u32 s22, s20
	s_cselect_b32 s24, s26, s24
	s_cselect_b32 s22, s25, s22
	s_add_i32 s25, s24, 1
	s_cmp_ge_u32 s22, s20
	s_cselect_b32 s22, s25, s24
	s_xor_b32 s22, s22, s21
	s_sub_i32 s47, s22, s21
	s_abs_i32 s21, s18
	v_cvt_f32_u32_e32 v1, s21
	s_add_i32 s24, s16, 63
	s_mul_i32 s45, s47, s17
	s_sub_i32 s33, s3, s45
	v_rcp_iflag_f32_e32 v1, v1
	s_ashr_i32 s3, s24, 31
	s_ashr_i32 s46, s16, 31
	s_lshr_b32 s3, s3, 26
	v_mul_f32_e32 v1, 0x4f7ffffe, v1
	v_cvt_u32_f32_e32 v1, v1
	s_lshr_b32 s22, s46, 26
	s_add_i32 s24, s24, s3
	s_add_i32 s22, s16, s22
	s_ashr_i32 s49, s18, 31
	s_ashr_i32 s3, s24, 6
	;; [unrolled: 1-line block ×3, first 2 shown]
	s_xor_b32 s22, s23, s49
	s_sub_i32 s23, 0, s21
	v_readfirstlane_b32 s24, v1
	s_mul_i32 s23, s23, s24
	s_mul_hi_u32 s23, s24, s23
	s_add_i32 s24, s24, s23
	s_mul_hi_u32 s23, s20, s24
	s_mul_i32 s24, s23, s21
	s_sub_i32 s20, s20, s24
	s_add_i32 s24, s23, 1
	s_sub_i32 s25, s20, s21
	s_cmp_ge_u32 s20, s21
	s_cselect_b32 s23, s24, s23
	s_cselect_b32 s20, s25, s20
	s_add_i32 s24, s23, 1
	s_cmp_ge_u32 s20, s21
	s_cselect_b32 s20, s24, s23
	s_xor_b32 s20, s20, s22
	s_sub_i32 s24, s20, s22
	s_abs_i32 s25, s24
	v_cvt_f32_u32_e32 v1, s25
	s_load_dwordx2 s[34:35], s[0:1], 0x80
	s_load_dwordx4 s[20:23], s[0:1], 0x70
	s_xor_b32 s0, s33, s24
	s_sub_i32 s24, 0, s25
	v_rcp_iflag_f32_e32 v1, v1
	s_abs_i32 s1, s33
	s_ashr_i32 s0, s0, 31
	s_mul_i32 s50, s47, s3
	v_mul_f32_e32 v1, 0x4f7ffffe, v1
	v_cvt_u32_f32_e32 v1, v1
	s_mul_hi_i32 s51, s47, s17
	v_lshrrev_b32_e32 v47, 3, v43
	v_lshlrev_b32_e32 v46, 3, v0
	v_readfirstlane_b32 s26, v1
	s_mul_i32 s24, s24, s26
	s_mul_hi_u32 s24, s26, s24
	s_add_i32 s26, s26, s24
	s_mul_hi_u32 s24, s1, s26
	s_mul_i32 s26, s24, s25
	s_sub_i32 s1, s1, s26
	s_add_i32 s26, s24, 1
	s_sub_i32 s27, s1, s25
	s_cmp_ge_u32 s1, s25
	s_cselect_b32 s24, s26, s24
	s_cselect_b32 s1, s27, s1
	s_add_i32 s26, s24, 1
	s_cmp_ge_u32 s1, s25
	s_cselect_b32 s1, s26, s24
	s_xor_b32 s1, s1, s0
	v_lshlrev_b32_e32 v1, 4, v44
	s_sub_i32 s52, s1, s0
	v_or_b32_e32 v48, v2, v1
	s_lshl_b32 s36, s2, 5
	v_or_b32_e32 v49, 64, v48
	s_cmp_lt_i32 s16, 64
	s_waitcnt lgkmcnt(0)
	s_mul_i32 s21, s47, s21
	s_mul_hi_u32 s44, s47, s20
	s_mul_i32 s38, s47, s20
	v_mov_b32_e32 v64, 0
	v_mov_b32_e32 v62, 0
	;; [unrolled: 1-line block ×15, first 2 shown]
	s_cbranch_scc1 .LBB511_18
; %bb.1:
	s_ashr_i32 s28, s47, 31
	s_ashr_i32 s54, s33, 31
	s_add_u32 s0, s45, s33
	s_addc_u32 s1, s51, s54
	s_mul_i32 s1, s16, s1
	s_mul_hi_u32 s2, s16, s0
	s_add_i32 s3, s2, s1
	s_mul_i32 s2, s16, s0
	s_lshl_b64 s[0:1], s[2:3], 8
	v_and_b32_e32 v51, 56, v46
	s_add_u32 s24, s6, s0
	v_lshl_or_b32 v50, v44, 3, v47
	v_lshlrev_b32_e32 v3, 1, v51
	s_addc_u32 s0, s7, s1
	v_lshl_or_b32 v52, v50, 8, v3
	s_and_b32 s25, s0, 0xffff
	s_mov_b32 s27, 0x20000
	s_movk_i32 s26, 0x4000
	s_movk_i32 s0, 0x80
	v_or_b32_e32 v53, 0x2000, v52
	buffer_load_dwordx4 v[4:7], v52, s[24:27], 0 offen
	buffer_load_dwordx4 v[8:11], v52, s[24:27], s0 offen
	buffer_load_dwordx4 v[12:15], v53, s[24:27], 0 offen
	buffer_load_dwordx4 v[16:19], v53, s[24:27], s0 offen
	v_lshlrev_b32_e32 v20, 3, v50
	v_and_or_b32 v22, v0, 7, v20
	v_and_b32_e32 v20, 0x78, v20
	v_lshlrev_b32_e32 v22, 4, v22
	v_xor_b32_e32 v54, v22, v20
	v_mul_lo_u32 v21, v50, s19
	v_or_b32_e32 v55, 0x1000, v54
	s_cmpk_eq_i32 s19, 0x80
	s_mov_b32 s53, s18
	v_xor_b32_e32 v20, 8, v54
	v_xor_b32_e32 v22, 8, v55
	s_cselect_b64 s[0:1], -1, 0
	s_cmpk_lg_i32 s19, 0x80
	s_waitcnt vmcnt(3)
	ds_write_b64 v54, v[4:5] offset:24576
	ds_write_b64 v20, v[6:7] offset:24576
	s_waitcnt vmcnt(2)
	ds_write_b64 v54, v[8:9] offset:32768
	ds_write_b64 v20, v[10:11] offset:32768
	s_waitcnt vmcnt(1)
	ds_write_b64 v54, v[12:13] offset:28672
	ds_write_b64 v22, v[14:15] offset:24576
	s_waitcnt vmcnt(0)
	ds_write_b64 v54, v[16:17] offset:36864
	ds_write_b64 v22, v[18:19] offset:32768
	v_lshl_add_u32 v4, v21, 1, v51
	s_cbranch_scc0 .LBB511_3
; %bb.2:
	v_lshlrev_b32_e32 v6, 1, v4
	v_add_lshl_u32 v5, v4, s19, 1
	s_lshl_b32 s26, s19, 7
	v_lshl_or_b32 v3, v50, 9, v3
	s_cbranch_execz .LBB511_4
	s_branch .LBB511_5
.LBB511_3:
                                        ; implicit-def: $vgpr5
                                        ; implicit-def: $vgpr6
                                        ; implicit-def: $sgpr26
	v_lshl_or_b32 v3, v50, 9, v3
.LBB511_4:
	v_or_b32_e32 v5, 0x100, v3
	s_movk_i32 s26, 0x4000
	v_mov_b32_e32 v6, v3
.LBB511_5:
	s_mul_hi_u32 s24, s18, s16
	s_mul_i32 s25, s49, s16
	s_add_i32 s24, s24, s25
	s_mul_i32 s25, s18, s16
	s_mul_i32 s27, s25, s28
	s_mul_hi_u32 s29, s25, s47
	s_add_i32 s27, s29, s27
	s_mul_i32 s24, s24, s47
	s_add_i32 s27, s27, s24
	s_mul_i32 s25, s25, s47
	s_ashr_i32 s55, s52, 31
	s_add_u32 s24, s25, s52
	s_addc_u32 s25, s27, s55
	s_lshl_b64 s[24:25], s[24:25], 8
	s_add_u32 s24, s4, s24
	s_addc_u32 s25, s5, s25
	s_and_b32 s25, s25, 0xffff
	s_mov_b32 s27, 0x20000
	s_movk_i32 s56, 0x80
	buffer_load_dwordx4 v[8:11], v6, s[24:27], 0 offen
	buffer_load_dwordx4 v[12:15], v6, s[24:27], s56 offen
	;; [unrolled: 1-line block ×4, first 2 shown]
	v_and_b32_e32 v5, 6, v0
	v_lshlrev_b32_e32 v24, 6, v48
	v_or_b32_e32 v26, 16, v42
	v_xor_b32_e32 v27, v50, v5
	v_and_b32_e32 v6, 1, v0
	s_mul_i32 s24, s28, s16
	s_mul_hi_u32 s25, s47, s16
	v_lshl_or_b32 v30, v42, 3, v24
	v_lshl_or_b32 v24, v26, 3, v24
	v_lshlrev_b32_e32 v27, 2, v27
	v_lshlrev_b32_e32 v7, 2, v42
	v_or_b32_e32 v58, 0xa000, v24
	v_or_b32_e32 v59, 0xb000, v24
	v_xor_b32_e32 v24, 0x440, v27
	v_cmp_eq_u32_e32 vcc, 0, v6
	s_add_i32 s61, s25, s24
	s_add_i32 s24, s44, s21
	s_mul_i32 s28, s28, s20
	v_xor_b32_e32 v28, v48, v7
	v_xor_b32_e32 v29, v49, v7
	v_cndmask_b32_e32 v6, v24, v27, vcc
	s_add_i32 s39, s24, s28
	s_mul_i32 s24, s33, s23
	s_mul_hi_u32 s25, s33, s22
	s_mov_b32 s58, 0x1000504
	v_lshlrev_b32_e32 v25, 8, v42
	v_lshlrev_b32_e32 v28, 1, v28
	;; [unrolled: 1-line block ×3, first 2 shown]
	v_lshl_or_b32 v5, v5, 10, v6
	s_add_i32 s24, s25, s24
	s_mul_i32 s25, s54, s22
	s_mov_b32 s59, 0x3020706
	v_or_b32_e32 v56, 0xa000, v30
	v_or_b32_e32 v57, 0xb000, v30
	;; [unrolled: 1-line block ×4, first 2 shown]
	v_xor_b32_e32 v6, 8, v5
	v_xor_b32_e32 v25, 24, v5
	;; [unrolled: 1-line block ×4, first 2 shown]
	s_add_i32 s25, s24, s25
	s_lshl_b64 s[28:29], s[38:39], 2
	v_xor_b32_e32 v24, 16, v5
	v_xor_b32_e32 v27, 32, v5
	;; [unrolled: 1-line block ×3, first 2 shown]
	v_add_u32_e32 v6, 0x80, v6
	v_add_u32_e32 v25, 0x80, v25
	v_add_u32_e32 v30, 0x80, v30
	v_add_u32_e32 v32, 0x80, v32
	s_mul_i32 s24, s33, s22
	s_add_u32 s26, s10, s28
	s_addc_u32 s28, s11, s29
	s_lshl_b64 s[24:25], s[24:25], 2
	s_add_u32 s40, s26, s24
	s_movk_i32 s24, 0xf8
	s_addc_u32 s41, s28, s25
	s_ashr_i32 s37, s36, 31
	s_lshl_b32 s30, s19, 7
	s_movk_i32 s28, 0x100
	v_mov_b32_e32 v35, 0
	v_cmp_gt_u32_e32 vcc, s28, v0
	s_mov_b32 s57, 0
	s_mul_i32 s60, s47, s16
	s_movk_i32 s39, 0x1000
	s_movk_i32 s26, 0x4000
	v_add_u32_e32 v93, v1, v2
	v_mov_b32_e32 v94, 0x3fb8aa3b
	s_mov_b32 s63, 0
	v_mov_b32_e32 v74, v35
	v_mov_b32_e32 v73, v35
	;; [unrolled: 1-line block ×10, first 2 shown]
	s_waitcnt vmcnt(1)
	v_perm_b32 v33, v8, v16, s58
	s_waitcnt vmcnt(0)
	v_perm_b32 v34, v12, v20, s58
	v_perm_b32 v8, v8, v16, s59
	v_perm_b32 v12, v12, v20, s59
	v_perm_b32 v16, v9, v17, s58
	v_perm_b32 v20, v13, v21, s58
	v_perm_b32 v9, v9, v17, s59
	v_perm_b32 v13, v13, v21, s59
	v_perm_b32 v17, v10, v18, s58
	v_perm_b32 v21, v14, v22, s58
	v_perm_b32 v10, v10, v18, s59
	v_perm_b32 v14, v14, v22, s59
	v_perm_b32 v18, v11, v19, s58
	v_perm_b32 v22, v15, v23, s58
	v_perm_b32 v11, v11, v19, s59
	v_perm_b32 v15, v15, v23, s59
	ds_write2st64_b32 v5, v33, v34 offset0:32 offset1:64
	ds_write2st64_b32 v6, v8, v12 offset0:32 offset1:64
	;; [unrolled: 1-line block ×8, first 2 shown]
	v_lshlrev_b32_e32 v5, 8, v26
	v_or_b32_e32 v68, v5, v28
	v_or_b32_e32 v69, v5, v29
	;; [unrolled: 1-line block ×3, first 2 shown]
	v_lshlrev_b32_e32 v5, 3, v5
	v_lshrrev_b32_e32 v8, 5, v43
	v_and_or_b32 v8, v5, s24, v8
	v_lshlrev_b32_e32 v8, 4, v8
	v_lshlrev_b32_e32 v9, 11, v44
	v_and_b32_e32 v5, 0x78, v5
	v_or_b32_e32 v13, 32, v8
	v_and_b32_e32 v6, 0x1000, v9
	v_lshrrev_b32_e32 v11, 1, v0
	v_xor_b32_e32 v13, v13, v5
	v_and_b32_e32 v12, 8, v11
	v_or_b32_e32 v13, v13, v6
	v_xor_b32_e32 v10, v8, v5
	v_xor_b32_e32 v78, v13, v12
	v_or_b32_e32 v13, 64, v8
	v_or_b32_e32 v8, 0x60, v8
	v_xor_b32_e32 v13, v13, v5
	v_xor_b32_e32 v5, v8, v5
	v_or_b32_e32 v10, v10, v6
	v_or_b32_e32 v13, v13, v6
	;; [unrolled: 1-line block ×3, first 2 shown]
	s_lshl_b64 s[24:25], s[36:37], 8
	v_xor_b32_e32 v76, v10, v12
	v_xor_b32_e32 v80, v13, v12
	v_xor_b32_e32 v81, v5, v12
	v_lshlrev_b32_e32 v12, 1, v4
	v_add_lshl_u32 v13, v4, s19, 1
	s_add_u32 s24, s12, s24
	v_lshlrev_b32_e32 v4, 1, v42
	v_lshrrev_b32_e32 v15, 4, v0
	s_addc_u32 s25, s13, s25
	v_or_b32_e32 v5, 1, v4
	v_lshlrev_b32_e32 v34, 4, v42
	v_mov_b32_e32 v19, 0x4000
	v_mov_b32_e32 v20, 0x2000
	v_xor_b32_e32 v16, v15, v4
	v_xor_b32_e32 v17, v5, v15
	v_lshl_add_u64 v[4:5], s[24:25], 0, v[34:35]
	v_lshlrev_b32_e32 v34, 8, v15
	v_cndmask_b32_e32 v19, v19, v20, vcc
	v_lshlrev_b32_e32 v20, 3, v44
	v_and_b32_e32 v11, 24, v11
	v_lshl_or_b32 v84, v16, 3, v34
	v_and_b32_e32 v16, 8, v0
	v_xor_b32_e32 v21, v20, v11
	v_or_b32_e32 v22, 0x440, v21
	v_cmp_eq_u32_e32 vcc, 0, v16
	v_and_b32_e32 v15, 7, v0
	v_lshlrev_b32_e32 v10, 7, v45
	v_cndmask_b32_e32 v16, v22, v21, vcc
	v_lshl_or_b32 v85, v17, 3, v34
	v_lshlrev_b32_e32 v17, 3, v15
	v_lshlrev_b32_e32 v15, 7, v15
	;; [unrolled: 1-line block ×3, first 2 shown]
	v_or_b32_e32 v16, v16, v9
	v_or_b32_e32 v7, v10, v7
	v_xad_u32 v86, v16, v17, v15
	v_and_or_b32 v10, v18, 60, v10
	v_mov_b32_e32 v16, 0xb000
	v_lshl_or_b32 v87, v10, 1, v16
	v_or_b32_e32 v10, 32, v11
	v_xor_b32_e32 v10, v20, v10
	v_or_b32_e32 v16, 0x440, v10
	v_cndmask_b32_e32 v10, v16, v10, vcc
	v_or_b32_e32 v10, v10, v9
	v_xad_u32 v88, v10, v17, v15
	v_or_b32_e32 v10, 64, v11
	v_xor_b32_e32 v10, v20, v10
	v_xor_b32_e32 v16, 0x440, v10
	v_cndmask_b32_e32 v10, v16, v10, vcc
	v_or_b32_e32 v10, v10, v9
	v_xad_u32 v89, v10, v17, v15
	v_or_b32_e32 v10, 0x60, v11
	v_xor_b32_e32 v10, v20, v10
	v_xor_b32_e32 v11, 0x440, v10
	v_lshlrev_b32_e32 v7, 1, v7
	v_or_b32_e32 v6, s36, v42
	v_cndmask_b32_e32 v10, v11, v10, vcc
	v_or_b32_e32 v77, 0xa000, v7
	v_or_b32_e32 v79, 0xa080, v7
	;; [unrolled: 1-line block ×4, first 2 shown]
	v_ashrrev_i32_e32 v7, 31, v6
	v_or_b32_e32 v9, v10, v9
	v_lshlrev_b32_e32 v8, 7, v48
	v_or_b32_e32 v14, 0x100, v3
	v_xad_u32 v90, v9, v17, v15
	v_lshlrev_b64 v[6:7], 1, v[6:7]
	v_cndmask_b32_e64 v91, v12, v3, s[0:1]
	v_cndmask_b32_e64 v92, v13, v14, s[0:1]
	v_lshl_add_u64 v[36:37], s[8:9], 0, v[6:7]
	v_lshl_add_u64 v[38:39], s[14:15], 0, v[6:7]
	;; [unrolled: 1-line block ×3, first 2 shown]
	s_mov_b32 s37, 0x7060302
	v_lshlrev_b32_e32 v34, 1, v8
	v_add_u32_e32 v95, v19, v86
	v_add_u32_e32 v96, v19, v88
	;; [unrolled: 1-line block ×4, first 2 shown]
	v_mov_b32_e32 v67, v35
	v_mov_b32_e32 v102, v35
	;; [unrolled: 1-line block ×6, first 2 shown]
	s_waitcnt lgkmcnt(0)
	s_barrier
.LBB511_6:                              ; =>This Inner Loop Header: Depth=1
	s_add_i32 s62, s63, 1
	s_cmp_lt_i32 s62, s48
	s_mov_b64 s[28:29], 0
	s_cselect_b64 s[42:43], -1, 0
	s_cmp_ge_i32 s62, s48
	s_mov_b64 s[24:25], 0
	s_cbranch_scc1 .LBB511_8
; %bb.7:                                ;   in Loop: Header=BB511_6 Depth=1
	s_add_i32 s0, s57, 64
	s_add_u32 s0, s2, s0
	s_addc_u32 s1, s3, 0
	s_lshl_b64 s[0:1], s[0:1], 8
	s_add_u32 s24, s6, s0
	s_addc_u32 s25, s7, s1
.LBB511_8:                              ;   in Loop: Header=BB511_6 Depth=1
	v_cndmask_b32_e64 v2, 0, 1, s[42:43]
	v_cmp_ne_u32_e64 s[0:1], 1, v2
	s_andn2_b64 vcc, exec, s[42:43]
	s_cbranch_vccnz .LBB511_10
; %bb.9:                                ;   in Loop: Header=BB511_6 Depth=1
	s_add_i32 s28, s57, 64
	s_add_u32 s28, s60, s28
	s_addc_u32 s29, s61, 0
	s_mul_i32 s31, s28, s49
	s_mul_hi_u32 s42, s28, s53
	s_add_i32 s31, s42, s31
	s_mul_i32 s29, s29, s53
	s_add_i32 s31, s31, s29
	s_mul_i32 s28, s28, s53
	s_add_u32 s28, s28, s52
	s_addc_u32 s29, s31, s55
	s_lshl_b64 s[28:29], s[28:29], 8
	s_add_u32 s28, s4, s28
	s_addc_u32 s29, s5, s29
.LBB511_10:                             ;   in Loop: Header=BB511_6 Depth=1
	v_perm_b32 v3, v101, v75, s37
	v_perm_b32 v2, v73, v74, s37
	;; [unrolled: 1-line block ×4, first 2 shown]
	ds_write_b64 v56, v[2:3]
	ds_write_b64 v57, v[4:5]
	;; [unrolled: 1-line block ×4, first 2 shown]
	v_perm_b32 v3, v102, v67, s37
	v_perm_b32 v2, v65, v66, s37
	;; [unrolled: 1-line block ×4, first 2 shown]
	ds_write_b64 v58, v[2:3]
	ds_write_b64 v59, v[4:5]
	;; [unrolled: 1-line block ×4, first 2 shown]
	s_waitcnt lgkmcnt(0)
	s_barrier
	ds_read_b64 v[6:7], v76 offset:24576
	ds_read2_b64 v[2:5], v77 offset1:16
	ds_read_b64 v[10:11], v79 offset:3072
	ds_read_b64 v[12:13], v77 offset:3072
	ds_read_b64 v[14:15], v78 offset:24576
	s_waitcnt lgkmcnt(3)
	v_mfma_f32_16x16x16_bf16 a[0:3], v[6:7], v[2:3], 0
	s_add_i32 s31, s57, 63
	s_mul_i32 s42, s31, s35
	s_mul_hi_u32 s43, s31, s34
	v_mfma_f32_16x16x16_bf16 a[4:7], v[6:7], v[4:5], 0
	ds_read2st64_b64 v[2:5], v77 offset0:2 offset1:4
	ds_read2st64_b64 v[6:9], v79 offset0:2 offset1:4
	s_add_i32 s43, s43, s42
	s_waitcnt lgkmcnt(1)
	v_mfma_f32_16x16x16_bf16 a[0:3], v[14:15], v[2:3], a[0:3]
	s_mul_i32 s42, s31, s34
	s_lshl_b64 s[42:43], s[42:43], 2
	s_add_u32 s42, s40, s42
	s_waitcnt lgkmcnt(0)
	v_mfma_f32_16x16x16_bf16 a[4:7], v[14:15], v[6:7], a[4:7]
	ds_read_b64 v[2:3], v80 offset:24576
	ds_read_b64 v[6:7], v81 offset:24576
	s_addc_u32 s43, s41, s43
	s_and_b64 vcc, exec, s[0:1]
	s_waitcnt lgkmcnt(1)
	v_mfma_f32_16x16x16_bf16 a[0:3], v[2:3], v[4:5], a[0:3]
	v_mov_b32_e32 v105, 0
	v_mov_b32_e32 v104, 0
	;; [unrolled: 1-line block ×3, first 2 shown]
	v_mfma_f32_16x16x16_bf16 a[8:11], v[2:3], v[8:9], a[4:7]
	v_mov_b32_e32 v2, 0
	v_mov_b32_e32 v3, 0
	;; [unrolled: 1-line block ×3, first 2 shown]
	s_waitcnt lgkmcnt(0)
	v_mfma_f32_16x16x16_bf16 a[4:7], v[6:7], v[12:13], a[0:3]
	v_mov_b32_e32 v5, 0
	v_mov_b32_e32 v8, 0
	;; [unrolled: 1-line block ×3, first 2 shown]
	v_mfma_f32_16x16x16_bf16 a[0:3], v[6:7], v[10:11], a[8:11]
	v_mov_b32_e32 v6, 0
	v_mov_b32_e32 v7, 0
	;; [unrolled: 1-line block ×10, first 2 shown]
	s_cbranch_vccnz .LBB511_12
; %bb.11:                               ;   in Loop: Header=BB511_6 Depth=1
	s_and_b32 s25, s25, 0xffff
	buffer_load_dwordx4 v[14:17], v52, s[24:27], 0 offen
	buffer_load_dwordx4 v[10:13], v52, s[24:27], s56 offen
	;; [unrolled: 1-line block ×4, first 2 shown]
	v_mov_b32_e32 v104, v54
	v_mov_b32_e32 v103, v55
.LBB511_12:                             ;   in Loop: Header=BB511_6 Depth=1
	s_waitcnt vmcnt(3)
	ds_read_b64 v[26:27], v76 offset:32768
	s_waitcnt vmcnt(2)
	ds_read2_b64 v[18:21], v82 offset1:16
	ds_read_b64 v[28:29], v78 offset:32768
	ds_read_b64 v[30:31], v80 offset:32768
	;; [unrolled: 1-line block ×3, first 2 shown]
	v_add_u32_e32 v106, s57, v93
	s_waitcnt lgkmcnt(3)
	v_mfma_f32_16x16x16_bf16 a[4:7], v[26:27], v[18:19], a[4:7]
	v_ashrrev_i32_e32 v18, 31, v106
	ds_read2st64_b64 v[22:25], v82 offset0:2 offset1:4
	v_mfma_f32_16x16x16_bf16 a[0:3], v[26:27], v[20:21], a[0:3]
	v_mul_lo_u32 v20, v18, s34
	v_mul_lo_u32 v21, v106, s35
	v_mad_u64_u32 v[18:19], s[24:25], v106, s34, 0
	v_add3_u32 v19, v19, v21, v20
	v_add_u32_e32 v20, 1, v106
	v_ashrrev_i32_e32 v21, 31, v20
	v_mul_lo_u32 v26, v21, s34
	v_mul_lo_u32 v27, v20, s35
	v_mad_u64_u32 v[20:21], s[24:25], v20, s34, 0
	v_add3_u32 v21, v21, v27, v26
	v_add_u32_e32 v26, 2, v106
	v_ashrrev_i32_e32 v27, 31, v26
	v_mul_lo_u32 v107, v27, s34
	v_mul_lo_u32 v108, v26, s35
	v_mad_u64_u32 v[26:27], s[24:25], v26, s34, 0
	v_add_u32_e32 v106, 3, v106
	v_add3_u32 v27, v27, v108, v107
	v_ashrrev_i32_e32 v107, 31, v106
	v_mul_lo_u32 v108, v107, s34
	v_mul_lo_u32 v109, v106, s35
	v_mad_u64_u32 v[106:107], s[24:25], v106, s34, 0
	s_add_u32 s24, s2, s57
	s_addc_u32 s25, s3, 0
	s_lshl_b64 s[64:65], s[24:25], 8
	v_lshl_add_u64 v[18:19], v[18:19], 2, s[40:41]
	v_lshl_add_u64 v[20:21], v[20:21], 2, s[40:41]
	v_add3_u32 v107, v107, v109, v108
	v_lshl_add_u64 v[108:109], v[36:37], 0, s[64:65]
	v_lshl_add_u64 v[26:27], v[26:27], 2, s[40:41]
	;; [unrolled: 1-line block ×3, first 2 shown]
	global_load_dword v110, v[18:19], off
	global_load_ushort v111, v[108:109], off offset:256
	global_load_ushort v112, v[108:109], off
	v_lshl_add_u64 v[18:19], v[106:107], 2, s[40:41]
	global_load_dword v106, v[20:21], off
	global_load_dword v107, v[26:27], off
	;; [unrolled: 1-line block ×3, first 2 shown]
	ds_read2st64_b64 v[18:21], v83 offset0:2 offset1:4
	global_load_ushort v114, v[108:109], off offset:768
	global_load_ushort v115, v[108:109], off offset:512
	;; [unrolled: 1-line block ×5, first 2 shown]
	s_nop 0
	global_load_ushort v108, v[108:109], off offset:32
	s_waitcnt lgkmcnt(1)
	v_mfma_f32_16x16x16_bf16 a[4:7], v[28:29], v[22:23], a[4:7]
	s_and_b64 vcc, exec, s[0:1]
	s_waitcnt vmcnt(10)
	v_lshlrev_b32_e32 v27, 16, v111
	s_waitcnt lgkmcnt(0)
	v_mfma_f32_16x16x16_bf16 a[0:3], v[28:29], v[18:19], a[0:3]
	s_waitcnt vmcnt(9)
	v_lshlrev_b32_e32 v26, 16, v112
	v_mfma_f32_16x16x16_bf16 a[4:7], v[30:31], v[24:25], a[4:7]
	v_mfma_f32_16x16x16_bf16 a[0:3], v[30:31], v[20:21], a[0:3]
	ds_read_b64 v[18:19], v82 offset:3072
	ds_read_b64 v[20:21], v83 offset:3072
	s_load_dword s24, s[42:43], 0x0
	s_waitcnt lgkmcnt(0)
	v_sub_f32_e32 v28, s24, v110
	v_mfma_f32_16x16x16_bf16 a[4:7], v[32:33], v[18:19], a[4:7]
	v_mul_f32_e32 v28, 0x3fb8aa3b, v28
	s_waitcnt vmcnt(8)
	v_sub_f32_e32 v29, s24, v106
	s_waitcnt vmcnt(7)
	v_sub_f32_e32 v30, s24, v107
	;; [unrolled: 2-line block ×3, first 2 shown]
	v_mfma_f32_16x16x16_bf16 a[0:3], v[32:33], v[20:21], a[0:3]
	v_lshl_add_u64 v[18:19], v[38:39], 0, s[64:65]
	v_lshl_add_u64 v[18:19], v[18:19], 0, v[34:35]
	v_accvgpr_read_b32 v25, a5
	v_accvgpr_read_b32 v24, a4
	v_pk_add_f32 v[24:25], v[26:27], v[24:25] neg_lo:[0,1] neg_hi:[0,1]
	v_exp_f32_e32 v26, v28
	v_mul_f32_e32 v27, 0x3fb8aa3b, v29
	v_mul_f32_e32 v28, 0x3fb8aa3b, v30
	;; [unrolled: 1-line block ×3, first 2 shown]
	v_exp_f32_e32 v27, v27
	v_exp_f32_e32 v28, v28
	;; [unrolled: 1-line block ×3, first 2 shown]
	v_accvgpr_read_b32 v21, a7
	v_accvgpr_read_b32 v20, a6
	s_waitcnt vmcnt(5)
	v_lshlrev_b32_e32 v31, 16, v114
	s_waitcnt vmcnt(4)
	v_lshlrev_b32_e32 v30, 16, v115
	v_pk_add_f32 v[20:21], v[30:31], v[20:21] neg_lo:[0,1] neg_hi:[0,1]
	global_store_short_d16_hi v[18:19], v24, off
	global_store_short_d16_hi v[18:19], v25, off offset:256
	global_store_short_d16_hi v[18:19], v20, off offset:512
	global_store_short_d16_hi v[18:19], v21, off offset:768
	v_pk_mul_f32 v[24:25], v[26:27], v[24:25]
	v_pk_mul_f32 v[20:21], v[28:29], v[20:21]
	v_accvgpr_read_b32 v31, a1
	v_perm_b32 v21, v21, v20, s37
	v_perm_b32 v20, v25, v24, s37
	s_waitcnt vmcnt(5)
	v_lshlrev_b32_e32 v25, 16, v118
	s_waitcnt vmcnt(4)
	v_lshlrev_b32_e32 v24, 16, v108
	v_accvgpr_read_b32 v30, a0
	v_accvgpr_read_b32 v23, a3
	;; [unrolled: 1-line block ×3, first 2 shown]
	v_pk_add_f32 v[24:25], v[24:25], v[30:31] neg_lo:[0,1] neg_hi:[0,1]
	v_lshlrev_b32_e32 v31, 16, v116
	v_lshlrev_b32_e32 v30, 16, v117
	v_pk_add_f32 v[22:23], v[30:31], v[22:23] neg_lo:[0,1] neg_hi:[0,1]
	global_store_short_d16_hi v[18:19], v24, off offset:32
	global_store_short_d16_hi v[18:19], v25, off offset:288
	;; [unrolled: 1-line block ×4, first 2 shown]
	v_pk_mul_f32 v[18:19], v[26:27], v[24:25]
	v_pk_mul_f32 v[22:23], v[28:29], v[22:23]
	v_mov_b32_e32 v106, 0
	v_perm_b32 v23, v23, v22, s37
	v_perm_b32 v22, v19, v18, s37
	ds_write2_b64 v57, v[20:21], v[22:23] offset1:16
	v_mov_b32_e32 v18, 0
	v_mov_b32_e32 v19, 0
	;; [unrolled: 1-line block ×16, first 2 shown]
	s_cbranch_vccnz .LBB511_14
; %bb.13:                               ;   in Loop: Header=BB511_6 Depth=1
	s_and_b32 s29, s29, 0xffff
	s_mov_b32 s31, s27
	buffer_load_dwordx4 v[30:33], v91, s[28:31], 0 offen
	buffer_load_dwordx4 v[22:25], v91, s[28:31], s56 offen
	buffer_load_dwordx4 v[26:29], v92, s[28:31], 0 offen
	buffer_load_dwordx4 v[18:21], v92, s[28:31], s56 offen
	v_mov_b32_e32 v105, v51
	v_mov_b32_e32 v106, v50
.LBB511_14:                             ;   in Loop: Header=BB511_6 Depth=1
	s_waitcnt lgkmcnt(0)
	s_barrier
	ds_read_b64 v[112:113], v95
	ds_read_b64 v[120:121], v87
	;; [unrolled: 1-line block ×5, first 2 shown]
	ds_read_b64 v[126:127], v88 offset:16384
	ds_read_b64 v[128:129], v86 offset:16384
	ds_read2_b64 v[108:111], v82 offset0:16 offset1:128
	s_waitcnt lgkmcnt(6)
	v_mfma_f32_16x16x16_bf16 a[0:3], v[112:113], v[120:121], 0
	ds_read_b64 v[130:131], v83 offset:3072
	ds_read_b64 v[132:133], v90 offset:16384
	s_add_i32 s25, s50, s63
	s_waitcnt lgkmcnt(2)
	v_mfma_f32_16x16x16_bf16 a[4:7], v[112:113], v[108:109], 0
	ds_read2st64_b64 v[112:115], v83 offset0:2 offset1:4
	s_mul_hi_i32 s29, s25, s17
	s_mul_i32 s25, s25, s17
	v_mfma_f32_16x16x16_bf16 a[0:3], v[116:117], v[110:111], a[0:3]
	s_add_u32 s28, s25, s33
	s_addc_u32 s29, s29, s54
	s_lshl_b64 s[28:29], s[28:29], 15
	s_waitcnt lgkmcnt(0)
	v_mfma_f32_16x16x16_bf16 a[4:7], v[116:117], v[112:113], a[4:7]
	ds_read2st64_b64 v[116:119], v82 offset0:4 offset1:6
	s_waitcnt lgkmcnt(0)
	v_mfma_f32_16x16x16_bf16 a[0:3], v[122:123], v[116:117], a[0:3]
	v_mfma_f32_16x16x16_bf16 a[8:11], v[122:123], v[114:115], a[4:7]
	;; [unrolled: 1-line block ×5, first 2 shown]
	ds_read2st64_b64 v[120:123], v85 offset1:8
	v_mfma_f32_16x16x16_bf16 a[12:15], v[128:129], v[108:109], 0
	ds_read_b64 v[128:129], v89 offset:16384
	v_mfma_f32_16x16x16_bf16 a[8:11], v[126:127], v[110:111], a[8:11]
	ds_read2st64_b64 v[108:111], v84 offset1:8
	s_waitcnt lgkmcnt(0)
	v_mov_b32_e32 v124, v108
	v_mfma_f32_16x16x16_bf16 a[12:15], v[126:127], v[112:113], a[12:15]
	v_lshl_add_u64 v[112:113], v[40:41], 0, s[28:29]
	v_add_co_u32_e32 v108, vcc, s39, v112
	v_mfma_f32_16x16x16_bf16 a[8:11], v[128:129], v[116:117], a[8:11]
	v_mov_b32_e32 v125, v109
	v_addc_co_u32_e32 v109, vcc, 0, v113, vcc
	v_mfma_f32_16x16x16_bf16 a[16:19], v[128:129], v[114:115], a[12:15]
	v_mov_b32_e32 v126, v120
	v_mov_b32_e32 v127, v121
	;; [unrolled: 1-line block ×3, first 2 shown]
	v_mfma_f32_16x16x16_bf16 a[12:15], v[132:133], v[118:119], a[8:11]
	v_mov_b32_e32 v121, v111
	s_and_b64 vcc, exec, s[0:1]
	global_store_dwordx4 v[112:113], v[124:127], off
	v_mfma_f32_16x16x16_bf16 a[8:11], v[132:133], v[130:131], a[16:19]
	global_store_dwordx4 v[108:109], v[120:123], off
	s_cbranch_vccnz .LBB511_16
; %bb.15:                               ;   in Loop: Header=BB511_6 Depth=1
	v_lshrrev_b32_e32 v107, 3, v105
	v_and_b32_e32 v107, 6, v107
	v_xor_b32_e32 v106, v107, v106
	v_lshlrev_b32_e32 v106, 2, v106
	v_and_b32_e32 v105, 8, v105
	v_xor_b32_e32 v108, 0x440, v106
	v_cmp_eq_u32_e32 vcc, 0, v105
	s_barrier
	s_nop 0
	v_cndmask_b32_e32 v105, v108, v106, vcc
	v_lshl_or_b32 v105, v107, 10, v105
	s_waitcnt vmcnt(3)
	v_perm_b32 v106, v30, v26, s58
	s_waitcnt vmcnt(2)
	v_perm_b32 v107, v22, v18, s58
	ds_write2st64_b32 v105, v106, v107 offset0:32 offset1:64
	v_xor_b32_e32 v106, 8, v105
	v_perm_b32 v26, v30, v26, s59
	v_perm_b32 v18, v22, v18, s59
	v_add_u32_e32 v22, 0x80, v106
	ds_write2st64_b32 v22, v26, v18 offset0:32 offset1:64
	v_xor_b32_e32 v18, 16, v105
	v_perm_b32 v22, v31, v27, s58
	v_perm_b32 v26, v23, v19, s58
	ds_write2st64_b32 v18, v22, v26 offset0:33 offset1:65
	v_xor_b32_e32 v18, 24, v105
	v_perm_b32 v22, v31, v27, s59
	v_perm_b32 v19, v23, v19, s59
	v_add_u32_e32 v18, 0x80, v18
	ds_write2st64_b32 v18, v22, v19 offset0:33 offset1:65
	v_xor_b32_e32 v18, 32, v105
	v_perm_b32 v19, v32, v28, s58
	;; [unrolled: 9-line block ×3, first 2 shown]
	v_perm_b32 v20, v25, v21, s58
	ds_write2st64_b32 v18, v19, v20 offset0:35 offset1:67
	v_xor_b32_e32 v18, 56, v105
	v_perm_b32 v19, v33, v29, s59
	v_perm_b32 v20, v25, v21, s59
	v_add_u32_e32 v18, 0x80, v18
	ds_write2st64_b32 v18, v19, v20 offset0:35 offset1:67
	ds_write_b64 v104, v[14:15] offset:24576
	v_xor_b32_e32 v14, 8, v104
	ds_write_b64 v14, v[16:17] offset:24576
	ds_write_b64 v104, v[10:11] offset:32768
	;; [unrolled: 1-line block ×4, first 2 shown]
	v_xor_b32_e32 v6, 8, v103
	ds_write_b64 v6, v[8:9] offset:24576
	ds_write_b64 v103, v[2:3] offset:32768
	;; [unrolled: 1-line block ×3, first 2 shown]
.LBB511_16:                             ;   in Loop: Header=BB511_6 Depth=1
	v_mul_f32_e32 v2, s24, v94
	v_exp_f32_e32 v2, v2
	v_accvgpr_read_b32 v3, a4
	v_accvgpr_read_b32 v4, a5
	;; [unrolled: 1-line block ×3, first 2 shown]
	v_fma_f32 v74, v74, v2, v3
	v_accvgpr_read_b32 v3, a6
	v_fma_f32 v75, v75, v2, v3
	v_accvgpr_read_b32 v3, a0
	v_fma_f32 v66, v66, v2, v3
	v_accvgpr_read_b32 v3, a1
	v_fma_f32 v65, v65, v2, v3
	v_accvgpr_read_b32 v3, a2
	v_fma_f32 v67, v67, v2, v3
	v_accvgpr_read_b32 v3, a12
	v_fma_f32 v71, v71, v2, v3
	v_accvgpr_read_b32 v3, a13
	v_fma_f32 v70, v70, v2, v3
	v_accvgpr_read_b32 v3, a14
	v_fma_f32 v72, v72, v2, v3
	v_accvgpr_read_b32 v3, a8
	v_fma_f32 v63, v63, v2, v3
	v_accvgpr_read_b32 v3, a9
	v_fma_f32 v62, v62, v2, v3
	v_accvgpr_read_b32 v3, a10
	v_fma_f32 v73, v73, v2, v4
	v_accvgpr_read_b32 v4, a3
	v_accvgpr_read_b32 v6, a15
	v_fma_f32 v64, v64, v2, v3
	v_accvgpr_read_b32 v3, a11
	s_add_i32 s57, s57, 64
	v_fmac_f32_e32 v5, v101, v2
	v_fmac_f32_e32 v4, v102, v2
	;; [unrolled: 1-line block ×3, first 2 shown]
	s_cmp_eq_u32 s48, s62
	v_fmac_f32_e32 v3, v100, v2
	s_cbranch_scc1 .LBB511_18
; %bb.17:                               ;   in Loop: Header=BB511_6 Depth=1
	s_mov_b32 s63, s62
	v_mov_b32_e32 v101, v5
	v_mov_b32_e32 v99, v6
	;; [unrolled: 1-line block ×4, first 2 shown]
	s_branch .LBB511_6
.LBB511_18:
	s_lshl_b32 s42, s48, 6
	s_sub_i32 s43, s16, s42
	s_cmp_gt_i32 s43, 0
	s_cbranch_scc0 .LBB511_83
; %bb.19:
	s_ashr_i32 s39, s47, 31
	s_ashr_i32 s2, s42, 31
	s_cmpk_lg_i32 s19, 0x80
	s_cselect_b64 s[30:31], -1, 0
	s_and_b64 vcc, exec, s[30:31]
	s_cbranch_vccz .LBB511_21
; %bb.20:
	s_mul_i32 s1, s47, s16
	s_mul_hi_i32 s0, s47, s16
	s_add_u32 s1, s1, s42
	s_addc_u32 s0, s0, s2
	s_mul_i32 s3, s1, s49
	s_mul_hi_u32 s24, s1, s18
	s_add_i32 s3, s24, s3
	s_mul_i32 s0, s0, s18
	s_add_i32 s3, s3, s0
	s_mul_i32 s1, s1, s18
	s_ashr_i32 s0, s52, 31
	s_add_u32 s40, s1, s52
	s_addc_u32 s41, s3, s0
	s_cbranch_execz .LBB511_22
	s_branch .LBB511_23
.LBB511_21:
                                        ; implicit-def: $sgpr40_sgpr41
.LBB511_22:
	s_mul_hi_i32 s0, s47, s18
	s_mul_i32 s47, s47, s18
	s_ashr_i32 s1, s52, 31
	s_add_u32 s3, s47, s52
	s_addc_u32 s0, s0, s1
	s_mul_i32 s1, s3, s46
	s_mul_hi_u32 s18, s3, s16
	s_add_i32 s1, s18, s1
	s_mul_i32 s0, s0, s16
	s_add_i32 s1, s1, s0
	s_mul_i32 s3, s3, s16
	s_add_u32 s40, s3, s42
	s_addc_u32 s41, s1, s2
.LBB511_23:
	s_add_i32 s3, s50, s48
	s_ashr_i32 s18, s33, 31
	s_add_u32 s0, s45, s33
	s_addc_u32 s1, s51, s18
	s_mul_i32 s24, s0, s46
	s_mul_hi_u32 s25, s0, s16
	s_add_i32 s24, s25, s24
	s_mul_i32 s1, s1, s16
	s_add_i32 s24, s24, s1
	s_mul_i32 s0, s0, s16
	s_add_u32 s0, s0, s42
	s_addc_u32 s1, s24, s2
	v_lshlrev_b32_e32 v10, 5, v48
	s_waitcnt vmcnt(4)
	v_lshlrev_b32_e32 v22, 2, v42
	s_mov_b32 s2, 0x7060302
	v_xor_b32_e32 v2, v48, v22
	v_perm_b32 v9, v5, v75, s2
	v_or_b32_e32 v5, v10, v22
	v_perm_b32 v8, v73, v74, s2
	v_perm_b32 v7, v6, v72, s2
	;; [unrolled: 1-line block ×3, first 2 shown]
	v_lshlrev_b32_e32 v5, 1, v5
	v_lshlrev_b32_e32 v12, 1, v2
	;; [unrolled: 1-line block ×3, first 2 shown]
	s_lshl_b64 s[28:29], s[0:1], 8
	v_xor_b32_e32 v11, v49, v22
	ds_write2st64_b64 v5, v[8:9], v[6:7] offset0:80 offset1:88
	v_or_b32_e32 v5, v12, v2
	s_add_u32 s0, s6, s28
	ds_write_b64 v5, v[8:9]
	v_lshlrev_b32_e32 v8, 1, v11
	s_addc_u32 s1, s7, s29
	v_or_b32_e32 v2, v8, v2
	s_mul_hi_i32 s6, s3, s17
	s_mul_i32 s3, s3, s17
	ds_write_b64 v2, v[6:7]
	v_perm_b32 v5, v4, v67, s2
	v_perm_b32 v4, v65, v66, s2
	;; [unrolled: 1-line block ×4, first 2 shown]
	v_or_b32_e32 v6, 16, v42
	s_add_u32 s2, s3, s33
	s_waitcnt vmcnt(2)
	v_lshlrev_b32_e32 v19, 2, v6
	s_addc_u32 s3, s6, s18
	v_or_b32_e32 v7, v10, v19
	s_ashr_i32 s37, s36, 31
	s_lshl_b64 s[2:3], s[2:3], 15
	v_lshlrev_b32_e32 v7, 1, v7
	v_lshlrev_b32_e32 v6, 8, v6
	s_add_u32 s6, s12, s2
	ds_write2st64_b64 v7, v[4:5], v[2:3] offset0:80 offset1:88
	v_or_b32_e32 v7, v12, v6
	s_addc_u32 s7, s13, s3
	s_lshl_b64 s[2:3], s[36:37], 8
	ds_write_b64 v7, v[4:5]
	v_or_b32_e32 v4, v8, v6
	s_add_u32 s2, s6, s2
	ds_write_b64 v4, v[2:3]
	v_lshrrev_b32_e32 v2, 4, v0
	s_addc_u32 s3, s7, s3
	v_lshlrev_b32_e32 v3, 1, v42
	v_lshlrev_b32_e32 v10, 4, v42
	v_mov_b32_e32 v11, 0
	v_or_b32_e32 v4, 1, v3
	v_xor_b32_e32 v3, v2, v3
	v_lshl_add_u64 v[12:13], s[2:3], 0, v[10:11]
	v_lshlrev_b32_e32 v10, 8, v2
	v_xor_b32_e32 v6, v4, v2
	v_lshl_or_b32 v2, v3, 3, v10
	s_waitcnt lgkmcnt(0)
	s_barrier
	ds_read2st64_b64 v[2:5], v2 offset1:8
	v_lshl_or_b32 v6, v6, 3, v10
	ds_read2st64_b64 v[6:9], v6 offset1:8
	v_lshl_add_u64 v[14:15], v[12:13], 0, v[10:11]
	s_movk_i32 s2, 0x1000
	s_waitcnt lgkmcnt(1)
	v_mov_b32_e32 v10, v2
	v_add_co_u32_e32 v2, vcc, s2, v14
	s_cmp_lg_u32 s43, 64
	v_mov_b32_e32 v11, v3
	v_addc_co_u32_e32 v3, vcc, 0, v15, vcc
	s_cselect_b64 s[6:7], -1, 0
	v_lshl_or_b32 v23, v44, 3, v47
	s_waitcnt lgkmcnt(0)
	v_mov_b32_e32 v12, v6
	v_mov_b32_e32 v13, v7
	;; [unrolled: 1-line block ×4, first 2 shown]
	s_mov_b32 s24, 0
	v_or_b32_e32 v20, 32, v23
	v_and_b32_e32 v18, 56, v46
	s_and_b64 vcc, exec, s[6:7]
	global_store_dwordx4 v[14:15], v[10:13], off
	global_store_dwordx4 v[2:3], v[6:9], off
	s_cbranch_vccz .LBB511_29
; %bb.24:
	s_mov_b32 s25, s24
	s_mov_b32 s26, s24
	;; [unrolled: 1-line block ×3, first 2 shown]
	v_mov_b64_e32 v[6:7], s[24:25]
	v_mov_b64_e32 v[8:9], s[26:27]
	v_mov_b64_e32 v[2:3], v[6:7]
	v_cmp_gt_i32_e32 vcc, s43, v23
	v_mov_b64_e32 v[4:5], v[8:9]
	s_and_saveexec_b64 s[2:3], vcc
	s_cbranch_execz .LBB511_26
; %bb.25:
	v_lshlrev_b32_e32 v2, 8, v23
	v_mov_b32_e32 v3, 0
	v_lshl_add_u64 v[4:5], s[0:1], 0, v[2:3]
	v_lshlrev_b32_e32 v2, 1, v18
	v_lshl_add_u64 v[10:11], v[4:5], 0, v[2:3]
	global_load_dwordx4 v[6:9], v[10:11], off
	global_load_dwordx4 v[2:5], v[10:11], off offset:128
.LBB511_26:
	s_or_b64 exec, exec, s[2:3]
	s_mov_b32 s25, s24
	s_mov_b32 s26, s24
	;; [unrolled: 1-line block ×3, first 2 shown]
	v_mov_b64_e32 v[14:15], s[24:25]
	v_mov_b64_e32 v[16:17], s[26:27]
	;; [unrolled: 1-line block ×3, first 2 shown]
	v_cmp_gt_i32_e32 vcc, s43, v20
	v_lshlrev_b32_e32 v21, 7, v20
	v_mov_b64_e32 v[12:13], v[16:17]
	s_and_saveexec_b64 s[2:3], vcc
	s_cbranch_execz .LBB511_28
; %bb.27:
	v_lshlrev_b32_e32 v10, 1, v21
	v_mov_b32_e32 v11, 0
	v_lshl_add_u64 v[12:13], s[0:1], 0, v[10:11]
	v_lshlrev_b32_e32 v10, 1, v18
	v_lshl_add_u64 v[24:25], v[12:13], 0, v[10:11]
	global_load_dwordx4 v[14:17], v[24:25], off
	global_load_dwordx4 v[10:13], v[24:25], off offset:128
.LBB511_28:
	s_or_b64 exec, exec, s[2:3]
	v_lshrrev_b32_e32 v24, 3, v18
	v_lshlrev_b32_e32 v25, 3, v23
	v_or_b32_e32 v24, v25, v24
	v_lshlrev_b32_e32 v24, 4, v24
	v_and_b32_e32 v25, 0x78, v25
	v_xor_b32_e32 v24, v24, v25
	s_branch .LBB511_31
.LBB511_29:
                                        ; implicit-def: $vgpr24
                                        ; implicit-def: $vgpr21
                                        ; implicit-def: $vgpr6_vgpr7_vgpr8_vgpr9
                                        ; implicit-def: $vgpr2_vgpr3_vgpr4_vgpr5
                                        ; implicit-def: $vgpr14_vgpr15_vgpr16_vgpr17
                                        ; implicit-def: $vgpr10_vgpr11_vgpr12_vgpr13
	s_cbranch_execz .LBB511_31
; %bb.30:
	s_waitcnt vmcnt(0)
	v_lshlrev_b32_e32 v2, 1, v18
	v_lshl_or_b32 v21, v23, 8, v2
	s_and_b32 s1, s1, 0xffff
	s_mov_b32 s3, 0x20000
	s_movk_i32 s2, 0x4000
	v_lshl_or_b32 v24, v20, 8, v2
	s_movk_i32 s12, 0x80
	buffer_load_dwordx4 v[6:9], v21, s[0:3], 0 offen
	buffer_load_dwordx4 v[2:5], v21, s[0:3], s12 offen
	;; [unrolled: 1-line block ×4, first 2 shown]
	v_lshrrev_b32_e32 v21, 3, v18
	v_lshlrev_b32_e32 v24, 3, v23
	v_or_b32_e32 v21, v24, v21
	v_lshlrev_b32_e32 v21, 4, v21
	v_and_b32_e32 v24, 0x78, v24
	v_xor_b32_e32 v24, v21, v24
	v_lshlrev_b32_e32 v21, 7, v20
.LBB511_31:
	s_lshl_b64 s[0:1], s[40:41], 8
	s_add_u32 s4, s4, s0
	s_movk_i32 s0, 0x1000
	v_and_or_b32 v20, v21, s0, v24
	s_waitcnt vmcnt(1)
	ds_write_b64 v24, v[6:7] offset:24576
	v_xor_b32_e32 v6, 8, v24
	ds_write_b64 v6, v[8:9] offset:24576
	s_waitcnt vmcnt(0)
	ds_write_b64 v24, v[2:3] offset:32768
	ds_write_b64 v6, v[4:5] offset:32768
	;; [unrolled: 1-line block ×3, first 2 shown]
	v_xor_b32_e32 v2, 8, v20
	ds_write_b64 v2, v[16:17] offset:24576
	ds_write_b64 v20, v[10:11] offset:32768
	ds_write_b64 v2, v[12:13] offset:32768
	v_or_b32_e32 v2, v1, v42
	v_lshlrev_b32_e32 v3, 11, v44
	v_lshlrev_b32_e32 v2, 3, v2
	v_and_b32_e32 v6, 0x1000, v3
	v_lshrrev_b32_e32 v3, 5, v43
	s_movk_i32 s13, 0xf8
	v_and_or_b32 v3, v2, s13, v3
	v_lshlrev_b32_e32 v7, 4, v3
	v_and_b32_e32 v8, 0x78, v2
	v_or_b32_e32 v10, 32, v7
	v_lshrrev_b32_e32 v3, 1, v43
	v_xor_b32_e32 v10, v10, v8
	v_xor_b32_e32 v2, v7, v8
	v_and_b32_e32 v9, 8, v3
	v_or_b32_e32 v10, v10, v6
	v_or_b32_e32 v2, v2, v6
	v_xor_b32_e32 v26, v10, v9
	v_or_b32_e32 v10, 64, v7
	v_xor_b32_e32 v25, v2, v9
	v_xor_b32_e32 v10, v10, v8
	s_waitcnt lgkmcnt(0)
	s_barrier
	v_or_b32_e32 v12, v10, v6
	ds_read_b64 v[10:11], v25 offset:24576
	v_lshl_or_b32 v20, v45, 7, v22
	v_lshlrev_b32_e32 v24, 1, v20
	v_add_u32_e32 v2, 0xa000, v24
	ds_read2_b64 v[2:5], v2 offset1:16
	v_or_b32_e32 v7, 0x60, v7
	v_xor_b32_e32 v7, v7, v8
	s_waitcnt lgkmcnt(0)
	v_mfma_f32_16x16x16_bf16 a[0:3], v[10:11], v[2:3], 0
	v_or_b32_e32 v2, 64, v20
	v_or_b32_e32 v6, v7, v6
	v_lshlrev_b32_e32 v29, 1, v2
	v_xor_b32_e32 v27, v12, v9
	v_xor_b32_e32 v28, v6, v9
	ds_read_b64 v[12:13], v26 offset:24576
	ds_read_b64 v[14:15], v27 offset:24576
	ds_read_b64 v[16:17], v28 offset:24576
	v_mfma_f32_16x16x16_bf16 a[4:7], v[10:11], v[4:5], 0
	ds_read2st64_b64 v[2:5], v29 offset0:82 offset1:84
	ds_read2st64_b64 v[6:9], v24 offset0:82 offset1:84
	s_addc_u32 s5, s5, s1
	s_add_i32 s2, s16, -1
	s_add_i32 s0, s44, s21
	s_mul_i32 s39, s39, s20
	s_add_i32 s39, s0, s39
	s_mul_i32 s0, s33, s23
	s_mul_hi_u32 s1, s33, s22
	s_ashr_i32 s3, s2, 31
	s_mul_i32 s12, s2, s35
	s_mul_hi_u32 s13, s2, s34
	s_add_i32 s0, s1, s0
	s_mul_i32 s1, s18, s22
	s_add_i32 s12, s13, s12
	s_mul_i32 s3, s3, s34
	s_waitcnt lgkmcnt(1)
	v_mfma_f32_16x16x16_bf16 a[4:7], v[12:13], v[2:3], a[4:7]
	s_add_i32 s1, s0, s1
	s_add_i32 s3, s12, s3
	s_lshl_b64 s[12:13], s[38:39], 2
	s_waitcnt lgkmcnt(0)
	v_mfma_f32_16x16x16_bf16 a[0:3], v[12:13], v[6:7], a[0:3]
	s_mul_i32 s0, s33, s22
	s_add_u32 s10, s10, s12
	s_addc_u32 s11, s11, s13
	s_lshl_b64 s[0:1], s[0:1], 2
	s_mul_i32 s2, s2, s34
	s_add_u32 s10, s10, s0
	ds_read_b64 v[2:3], v24 offset:44032
	v_mfma_f32_16x16x16_bf16 a[4:7], v[14:15], v[4:5], a[4:7]
	ds_read_b64 v[4:5], v29 offset:44032
	s_addc_u32 s11, s11, s1
	s_lshl_b64 s[0:1], s[2:3], 2
	v_mfma_f32_16x16x16_bf16 a[0:3], v[14:15], v[8:9], a[0:3]
	s_add_u32 s0, s10, s0
	s_addc_u32 s1, s11, s1
	s_load_dword s12, s[0:1], 0x0
	s_waitcnt lgkmcnt(0)
	v_mfma_f32_16x16x16_bf16 a[0:3], v[16:17], v[2:3], a[0:3]
	s_and_b64 vcc, exec, s[30:31]
	v_mfma_f32_16x16x16_bf16 a[4:7], v[16:17], v[4:5], a[4:7]
	s_cbranch_vccz .LBB511_42
; %bb.32:
	v_lshlrev_b32_e32 v20, 1, v23
	s_and_b64 vcc, exec, s[6:7]
	s_cbranch_vccz .LBB511_43
; %bb.33:
	v_cmp_gt_i32_e32 vcc, s43, v20
	v_mov_b32_e32 v6, 0
	v_mov_b32_e32 v2, 0
	;; [unrolled: 1-line block ×5, first 2 shown]
	s_and_saveexec_b64 s[0:1], vcc
	s_cbranch_execz .LBB511_35
; %bb.34:
	v_mad_i64_i32 v[2:3], s[2:3], s19, v20, 0
	v_lshl_add_u64 v[2:3], v[2:3], 1, s[4:5]
	v_lshlrev_b32_e32 v4, 1, v18
	v_mov_b32_e32 v5, 0
	v_lshl_add_u64 v[2:3], v[2:3], 0, v[4:5]
	global_load_dwordx4 v[2:5], v[2:3], off
.LBB511_35:
	s_or_b64 exec, exec, s[0:1]
	v_or_b32_e32 v21, 1, v20
	v_cmp_gt_i32_e64 s[0:1], s43, v21
	v_mov_b32_e32 v7, 0
	v_mov_b32_e32 v8, 0
	;; [unrolled: 1-line block ×3, first 2 shown]
	s_and_saveexec_b64 s[2:3], s[0:1]
	s_cbranch_execz .LBB511_37
; %bb.36:
	v_mad_i64_i32 v[6:7], s[16:17], s19, v21, 0
	v_lshl_add_u64 v[6:7], v[6:7], 1, s[4:5]
	v_lshlrev_b32_e32 v8, 1, v18
	v_mov_b32_e32 v9, 0
	v_lshl_add_u64 v[6:7], v[6:7], 0, v[8:9]
	global_load_dwordx4 v[6:9], v[6:7], off
.LBB511_37:
	s_or_b64 exec, exec, s[2:3]
	v_mov_b32_e32 v17, 0
	v_mov_b32_e32 v10, 0
	;; [unrolled: 1-line block ×5, first 2 shown]
	s_and_saveexec_b64 s[2:3], vcc
	s_cbranch_execz .LBB511_39
; %bb.38:
	v_mad_i64_i32 v[10:11], s[16:17], s19, v20, 0
	v_lshl_add_u64 v[10:11], v[10:11], 1, s[4:5]
	v_lshlrev_b32_e32 v12, 1, v18
	v_mov_b32_e32 v13, 0
	v_lshl_add_u64 v[10:11], v[10:11], 0, v[12:13]
	global_load_dwordx4 v[10:13], v[10:11], off offset:128
.LBB511_39:
	s_or_b64 exec, exec, s[2:3]
	v_mov_b32_e32 v16, 0
	v_mov_b32_e32 v15, 0
	;; [unrolled: 1-line block ×3, first 2 shown]
	s_and_saveexec_b64 s[2:3], s[0:1]
	s_cbranch_execz .LBB511_41
; %bb.40:
	v_mad_i64_i32 v[14:15], s[0:1], s19, v21, 0
	v_lshl_add_u64 v[14:15], v[14:15], 1, s[4:5]
	v_lshlrev_b32_e32 v16, 1, v18
	v_mov_b32_e32 v17, 0
	v_lshl_add_u64 v[14:15], v[14:15], 0, v[16:17]
	global_load_dwordx4 v[14:17], v[14:15], off offset:128
.LBB511_41:
	s_or_b64 exec, exec, s[2:3]
	s_branch .LBB511_45
.LBB511_42:
                                        ; implicit-def: $vgpr5
                                        ; implicit-def: $vgpr9
                                        ; implicit-def: $vgpr13
                                        ; implicit-def: $vgpr17
	v_lshrrev_b32_e32 v30, 2, v43
	s_branch .LBB511_46
.LBB511_43:
                                        ; implicit-def: $vgpr5
                                        ; implicit-def: $vgpr9
                                        ; implicit-def: $vgpr13
                                        ; implicit-def: $vgpr17
	s_cbranch_execz .LBB511_45
; %bb.44:
	s_waitcnt vmcnt(0)
	v_mad_u64_u32 v[2:3], s[0:1], v20, s19, v[18:19]
	v_lshlrev_b32_e32 v20, 1, v2
	s_lshl_b32 s2, s19, 7
	s_and_b32 s1, s5, 0xffff
	s_mov_b32 s3, 0x20000
	s_mov_b32 s0, s4
	v_add_lshl_u32 v21, v2, s19, 1
	s_movk_i32 s13, 0x80
	buffer_load_dwordx4 v[2:5], v20, s[0:3], 0 offen
	buffer_load_dwordx4 v[10:13], v20, s[0:3], s13 offen
	;; [unrolled: 1-line block ×4, first 2 shown]
.LBB511_45:
	v_lshrrev_b32_e32 v30, 2, v43
	s_cbranch_execnz .LBB511_58
.LBB511_46:
	s_and_b64 vcc, exec, s[6:7]
	s_cbranch_vccz .LBB511_56
; %bb.47:
	s_waitcnt vmcnt(0)
	v_lshlrev_b32_e32 v7, 1, v23
	v_cmp_gt_i32_e32 vcc, s43, v7
	v_mov_b32_e32 v6, 0
	v_lshlrev_b32_e32 v14, 9, v23
	v_mov_b32_e32 v2, 0
	v_mov_b32_e32 v3, 0
	;; [unrolled: 1-line block ×4, first 2 shown]
	s_and_saveexec_b64 s[0:1], vcc
	s_cbranch_execz .LBB511_49
; %bb.48:
	v_mov_b32_e32 v15, 0
	v_lshl_add_u64 v[2:3], s[4:5], 0, v[14:15]
	v_lshlrev_b32_e32 v4, 1, v18
	v_mov_b32_e32 v5, v15
	v_lshl_add_u64 v[2:3], v[2:3], 0, v[4:5]
	global_load_dwordx4 v[2:5], v[2:3], off
.LBB511_49:
	s_or_b64 exec, exec, s[0:1]
	v_or_b32_e32 v7, 1, v7
	v_cmp_gt_i32_e64 s[0:1], s43, v7
	v_lshlrev_b32_e32 v20, 8, v7
	v_mov_b32_e32 v7, 0
	v_mov_b32_e32 v8, 0
	;; [unrolled: 1-line block ×3, first 2 shown]
	s_and_saveexec_b64 s[2:3], s[0:1]
	s_cbranch_execz .LBB511_51
; %bb.50:
	v_mov_b32_e32 v21, 0
	v_lshl_add_u64 v[6:7], s[4:5], 0, v[20:21]
	v_lshlrev_b32_e32 v8, 1, v18
	v_mov_b32_e32 v9, v21
	v_lshl_add_u64 v[6:7], v[6:7], 0, v[8:9]
	global_load_dwordx4 v[6:9], v[6:7], off
.LBB511_51:
	s_or_b64 exec, exec, s[2:3]
	v_mov_b32_e32 v17, 0
	v_mov_b32_e32 v10, 0
	;; [unrolled: 1-line block ×5, first 2 shown]
	s_and_saveexec_b64 s[2:3], vcc
	s_cbranch_execz .LBB511_53
; %bb.52:
	v_mov_b32_e32 v15, 0
	v_lshl_add_u64 v[10:11], s[4:5], 0, v[14:15]
	v_lshlrev_b32_e32 v14, 1, v18
	v_lshl_add_u64 v[10:11], v[10:11], 0, v[14:15]
	global_load_dwordx4 v[10:13], v[10:11], off offset:128
.LBB511_53:
	s_or_b64 exec, exec, s[2:3]
	v_mov_b32_e32 v16, 0
	v_mov_b32_e32 v15, 0
	;; [unrolled: 1-line block ×3, first 2 shown]
	s_and_saveexec_b64 s[2:3], s[0:1]
	s_cbranch_execz .LBB511_55
; %bb.54:
	v_mov_b32_e32 v21, 0
	v_lshl_add_u64 v[14:15], s[4:5], 0, v[20:21]
	v_lshlrev_b32_e32 v20, 1, v18
	v_lshl_add_u64 v[14:15], v[14:15], 0, v[20:21]
	global_load_dwordx4 v[14:17], v[14:15], off offset:128
.LBB511_55:
	s_or_b64 exec, exec, s[2:3]
	s_branch .LBB511_58
.LBB511_56:
                                        ; implicit-def: $vgpr5
                                        ; implicit-def: $vgpr9
                                        ; implicit-def: $vgpr13
                                        ; implicit-def: $vgpr17
	s_cbranch_execz .LBB511_58
; %bb.57:
	s_waitcnt vmcnt(0)
	v_lshlrev_b32_e32 v2, 1, v18
	v_lshl_or_b32 v18, v23, 9, v2
	s_and_b32 s5, s5, 0xffff
	s_mov_b32 s7, 0x20000
	s_movk_i32 s6, 0x4000
	s_movk_i32 s0, 0x80
	buffer_load_dwordx4 v[2:5], v18, s[4:7], 0 offen
	buffer_load_dwordx4 v[6:9], v18, s[4:7], 0 offen offset:256
	buffer_load_dwordx4 v[10:13], v18, s[4:7], s0 offen
	buffer_load_dwordx4 v[14:17], v18, s[4:7], s0 offen offset:256
.LBB511_58:
	ds_read_b64 v[20:21], v25 offset:32768
	v_add_u32_e32 v18, 0xb000, v24
	ds_read2_b64 v[32:35], v18 offset1:16
	ds_read_b64 v[40:41], v26 offset:32768
	ds_read_b64 v[26:27], v27 offset:32768
	ds_read_b64 v[44:45], v28 offset:32768
	v_and_b32_e32 v18, 6, v0
	v_xor_b32_e32 v23, v23, v18
	v_lshlrev_b32_e32 v23, 2, v23
	v_and_b32_e32 v0, 1, v0
	v_xor_b32_e32 v28, 0x440, v23
	v_cmp_eq_u32_e32 vcc, 0, v0
	s_waitcnt lgkmcnt(3)
	v_mfma_f32_16x16x16_bf16 a[0:3], v[20:21], v[32:33], a[0:3]
	s_mov_b32 s0, 0x1000504
	v_cndmask_b32_e32 v0, v28, v23, vcc
	v_lshl_or_b32 v0, v18, 10, v0
	v_mfma_f32_16x16x16_bf16 a[4:7], v[20:21], v[34:35], a[4:7]
	ds_read2st64_b64 v[32:35], v24 offset0:90 offset1:92
	ds_read2st64_b64 v[36:39], v29 offset0:90 offset1:92
	ds_read_b64 v[20:21], v24 offset:48128
	ds_read_b64 v[24:25], v29 offset:48128
	s_waitcnt vmcnt(0)
	v_perm_b32 v18, v2, v6, s0
	s_waitcnt lgkmcnt(3)
	v_mfma_f32_16x16x16_bf16 a[0:3], v[40:41], v[32:33], a[0:3]
	s_mov_b32 s1, 0x3020706
	v_perm_b32 v2, v2, v6, s1
	v_perm_b32 v6, v10, v14, s1
	s_waitcnt lgkmcnt(2)
	v_mfma_f32_16x16x16_bf16 a[4:7], v[40:41], v[36:37], a[4:7]
	v_mfma_f32_16x16x16_bf16 a[0:3], v[26:27], v[34:35], a[0:3]
	;; [unrolled: 1-line block ×3, first 2 shown]
	s_waitcnt lgkmcnt(1)
	v_mfma_f32_16x16x16_bf16 a[4:7], v[44:45], v[20:21], a[0:3]
	v_perm_b32 v20, v10, v14, s0
	ds_write2st64_b32 v0, v18, v20 offset0:32 offset1:64
	v_xor_b32_e32 v18, 8, v0
	v_add_u32_e32 v10, 0x80, v18
	ds_write2st64_b32 v10, v2, v6 offset0:32 offset1:64
	v_xor_b32_e32 v2, 16, v0
	v_perm_b32 v6, v3, v7, s0
	v_perm_b32 v10, v11, v15, s0
	ds_write2st64_b32 v2, v6, v10 offset0:33 offset1:65
	v_xor_b32_e32 v2, 24, v0
	v_perm_b32 v3, v3, v7, s1
	v_perm_b32 v6, v11, v15, s1
	v_add_u32_e32 v2, 0x80, v2
	ds_write2st64_b32 v2, v3, v6 offset0:33 offset1:65
	v_xor_b32_e32 v2, 32, v0
	v_perm_b32 v3, v4, v8, s0
	v_perm_b32 v6, v12, v16, s0
	s_waitcnt lgkmcnt(4)
	v_mfma_f32_16x16x16_bf16 a[0:3], v[44:45], v[24:25], a[8:11]
	ds_write2st64_b32 v2, v3, v6 offset0:34 offset1:66
	v_xor_b32_e32 v2, 40, v0
	v_perm_b32 v3, v4, v8, s1
	v_perm_b32 v4, v12, v16, s1
	v_add_u32_e32 v2, 0x80, v2
	ds_write2st64_b32 v2, v3, v4 offset0:34 offset1:66
	v_xor_b32_e32 v2, 48, v0
	v_perm_b32 v3, v5, v9, s0
	v_perm_b32 v4, v13, v17, s0
	v_xor_b32_e32 v0, 56, v0
	v_and_or_b32 v21, v30, 12, v1
	ds_write2st64_b32 v2, v3, v4 offset0:35 offset1:67
	v_perm_b32 v2, v5, v9, s1
	v_perm_b32 v3, v13, v17, s1
	v_add_u32_e32 v0, 0x80, v0
	v_cmp_gt_i32_e32 vcc, s43, v21
	v_mov_b32_e32 v16, 0
	v_mov_b32_e32 v18, 0
	ds_write2st64_b32 v0, v2, v3 offset0:35 offset1:67
	s_and_saveexec_b64 s[0:1], vcc
	s_cbranch_execz .LBB511_60
; %bb.59:
	v_add_u32_e32 v0, s42, v21
	v_ashrrev_i32_e32 v1, 31, v0
	v_mul_lo_u32 v2, v1, s34
	v_mul_lo_u32 v3, v0, s35
	v_mad_u64_u32 v[0:1], s[2:3], v0, s34, 0
	v_add3_u32 v1, v1, v3, v2
	v_lshl_add_u64 v[0:1], v[0:1], 2, s[10:11]
	global_load_dword v0, v[0:1], off
	s_waitcnt vmcnt(0)
	v_sub_f32_e32 v0, s12, v0
	v_mul_f32_e32 v0, 0x3fb8aa3b, v0
	v_exp_f32_e32 v18, v0
.LBB511_60:
	s_or_b64 exec, exec, s[0:1]
	v_or_b32_e32 v10, 1, v21
	v_cmp_gt_i32_e64 s[0:1], s43, v10
	s_and_saveexec_b64 s[2:3], s[0:1]
	s_cbranch_execz .LBB511_62
; %bb.61:
	v_add_u32_e32 v0, s42, v10
	v_ashrrev_i32_e32 v1, 31, v0
	v_mul_lo_u32 v2, v1, s34
	v_mul_lo_u32 v3, v0, s35
	v_mad_u64_u32 v[0:1], s[4:5], v0, s34, 0
	v_add3_u32 v1, v1, v3, v2
	v_lshl_add_u64 v[0:1], v[0:1], 2, s[10:11]
	global_load_dword v0, v[0:1], off
	s_waitcnt vmcnt(0)
	v_sub_f32_e32 v0, s12, v0
	v_mul_f32_e32 v0, 0x3fb8aa3b, v0
	v_exp_f32_e32 v16, v0
.LBB511_62:
	s_or_b64 exec, exec, s[2:3]
	v_or_b32_e32 v12, 2, v21
	v_cmp_gt_i32_e64 s[2:3], s43, v12
	v_mov_b32_e32 v17, 0
	v_mov_b32_e32 v20, 0
	s_and_saveexec_b64 s[4:5], s[2:3]
	s_cbranch_execz .LBB511_64
; %bb.63:
	v_add_u32_e32 v0, s42, v12
	v_ashrrev_i32_e32 v1, 31, v0
	v_mul_lo_u32 v2, v1, s34
	v_mul_lo_u32 v3, v0, s35
	v_mad_u64_u32 v[0:1], s[6:7], v0, s34, 0
	v_add3_u32 v1, v1, v3, v2
	v_lshl_add_u64 v[0:1], v[0:1], 2, s[10:11]
	global_load_dword v0, v[0:1], off
	s_waitcnt vmcnt(0)
	v_sub_f32_e32 v0, s12, v0
	v_mul_f32_e32 v0, 0x3fb8aa3b, v0
	v_exp_f32_e32 v20, v0
.LBB511_64:
	s_or_b64 exec, exec, s[4:5]
	v_or_b32_e32 v14, 3, v21
	v_cmp_gt_i32_e64 s[4:5], s43, v14
	s_and_saveexec_b64 s[6:7], s[4:5]
	s_cbranch_execz .LBB511_66
; %bb.65:
	v_add_u32_e32 v0, s42, v14
	v_ashrrev_i32_e32 v1, 31, v0
	v_mul_lo_u32 v2, v1, s34
	v_mul_lo_u32 v3, v0, s35
	v_mad_u64_u32 v[0:1], s[16:17], v0, s34, 0
	v_add3_u32 v1, v1, v3, v2
	v_lshl_add_u64 v[0:1], v[0:1], 2, s[10:11]
	global_load_dword v0, v[0:1], off
	s_waitcnt vmcnt(0)
	v_sub_f32_e32 v0, s12, v0
	v_mul_f32_e32 v0, 0x3fb8aa3b, v0
	v_exp_f32_e32 v17, v0
.LBB511_66:
	s_or_b64 exec, exec, s[6:7]
	s_add_u32 s6, s8, s28
	v_or_b32_e32 v4, s36, v42
	s_addc_u32 s7, s9, s29
	s_add_u32 s8, s14, s28
	v_ashrrev_i32_e32 v5, 31, v4
	v_accvgpr_read_b32 v0, a4
	s_addc_u32 s9, s15, s29
	v_lshlrev_b64 v[4:5], 1, v[4:5]
	v_accvgpr_read_b32 v1, a5
	v_accvgpr_read_b32 v2, a6
	v_accvgpr_read_b32 v3, a7
	v_lshl_add_u64 v[6:7], s[6:7], 0, v[4:5]
	v_lshl_add_u64 v[4:5], s[8:9], 0, v[4:5]
	v_mov_b32_e32 v11, 0
	v_lshlrev_b32_e32 v8, 8, v21
	v_mov_b32_e32 v9, 0
	s_and_saveexec_b64 s[6:7], vcc
	s_cbranch_execz .LBB511_68
; %bb.67:
	v_mov_b32_e32 v9, 0
	v_lshl_add_u64 v[24:25], v[6:7], 0, v[8:9]
	global_load_ushort v13, v[24:25], off
	v_lshl_add_u64 v[24:25], v[4:5], 0, v[8:9]
	s_waitcnt vmcnt(0)
	v_lshlrev_b32_e32 v9, 16, v13
	v_sub_f32_e32 v0, v9, v0
	global_store_short_d16_hi v[24:25], v0, off
	v_mul_f32_e32 v0, v18, v0
	v_lshrrev_b32_e32 v9, 16, v0
.LBB511_68:
	s_or_b64 exec, exec, s[6:7]
	v_lshlrev_b32_e32 v10, 8, v10
	s_and_saveexec_b64 s[6:7], s[0:1]
	s_cbranch_execz .LBB511_70
; %bb.69:
	v_mov_b32_e32 v11, 0
	v_lshl_add_u64 v[24:25], v[6:7], 0, v[10:11]
	global_load_ushort v0, v[24:25], off
	v_lshl_add_u64 v[24:25], v[4:5], 0, v[10:11]
	s_waitcnt vmcnt(0)
	v_lshlrev_b32_e32 v0, 16, v0
	v_sub_f32_e32 v0, v0, v1
	global_store_short_d16_hi v[24:25], v0, off
	v_mul_f32_e32 v0, v16, v0
	v_lshrrev_b32_e32 v11, 16, v0
.LBB511_70:
	s_or_b64 exec, exec, s[6:7]
	v_mov_b32_e32 v15, 0
	v_lshlrev_b32_e32 v12, 8, v12
	v_mov_b32_e32 v13, 0
	s_and_saveexec_b64 s[6:7], s[2:3]
	s_cbranch_execz .LBB511_72
; %bb.71:
	v_mov_b32_e32 v13, 0
	v_lshl_add_u64 v[0:1], v[6:7], 0, v[12:13]
	global_load_ushort v23, v[0:1], off
	v_lshl_add_u64 v[0:1], v[4:5], 0, v[12:13]
	s_waitcnt vmcnt(0)
	v_lshlrev_b32_e32 v13, 16, v23
	v_sub_f32_e32 v2, v13, v2
	global_store_short_d16_hi v[0:1], v2, off
	v_mul_f32_e32 v0, v20, v2
	v_lshrrev_b32_e32 v13, 16, v0
.LBB511_72:
	s_or_b64 exec, exec, s[6:7]
	v_lshlrev_b32_e32 v14, 8, v14
	s_and_saveexec_b64 s[6:7], s[4:5]
	s_cbranch_execz .LBB511_74
; %bb.73:
	v_mov_b32_e32 v15, 0
	v_lshl_add_u64 v[0:1], v[6:7], 0, v[14:15]
	global_load_ushort v2, v[0:1], off
	v_lshl_add_u64 v[0:1], v[4:5], 0, v[14:15]
	s_waitcnt vmcnt(0)
	v_lshlrev_b32_e32 v2, 16, v2
	v_sub_f32_e32 v2, v2, v3
	global_store_short_d16_hi v[0:1], v2, off
	v_mul_f32_e32 v0, v17, v2
	v_lshrrev_b32_e32 v15, 16, v0
.LBB511_74:
	s_or_b64 exec, exec, s[6:7]
	v_lshlrev_b32_e32 v21, 5, v21
	s_mov_b32 s6, 0x5040100
	v_perm_b32 v24, v11, v9, s6
	v_or_b32_e32 v9, v21, v22
	v_accvgpr_read_b32 v0, a0
	v_perm_b32 v25, v15, v13, s6
	v_lshlrev_b32_e32 v9, 1, v9
	v_accvgpr_read_b32 v1, a1
	v_accvgpr_read_b32 v2, a2
	;; [unrolled: 1-line block ×3, first 2 shown]
	ds_write_b64 v9, v[24:25] offset:45056
	v_mov_b32_e32 v11, 0
	v_mov_b32_e32 v9, 0
	s_and_saveexec_b64 s[6:7], vcc
	s_cbranch_execz .LBB511_76
; %bb.75:
	v_mov_b32_e32 v9, 0
	v_lshl_add_u64 v[22:23], v[6:7], 0, v[8:9]
	global_load_ushort v13, v[22:23], off offset:32
	v_lshl_add_u64 v[8:9], v[4:5], 0, v[8:9]
	s_waitcnt vmcnt(0)
	v_lshlrev_b32_e32 v13, 16, v13
	v_sub_f32_e32 v0, v13, v0
	global_store_short_d16_hi v[8:9], v0, off offset:32
	v_mul_f32_e32 v0, v18, v0
	v_lshrrev_b32_e32 v9, 16, v0
.LBB511_76:
	s_or_b64 exec, exec, s[6:7]
	s_and_saveexec_b64 s[6:7], s[0:1]
	s_cbranch_execz .LBB511_78
; %bb.77:
	v_mov_b32_e32 v11, 0
	v_lshl_add_u64 v[22:23], v[6:7], 0, v[10:11]
	global_load_ushort v0, v[22:23], off offset:32
	v_lshl_add_u64 v[10:11], v[4:5], 0, v[10:11]
	s_waitcnt vmcnt(0)
	v_lshlrev_b32_e32 v0, 16, v0
	v_sub_f32_e32 v0, v0, v1
	global_store_short_d16_hi v[10:11], v0, off offset:32
	v_mul_f32_e32 v0, v16, v0
	v_lshrrev_b32_e32 v11, 16, v0
.LBB511_78:
	s_or_b64 exec, exec, s[6:7]
	v_mov_b32_e32 v0, 0
	v_mov_b32_e32 v1, 0
	s_and_saveexec_b64 s[0:1], s[2:3]
	s_cbranch_execz .LBB511_80
; %bb.79:
	v_mov_b32_e32 v13, 0
	v_lshl_add_u64 v[22:23], v[6:7], 0, v[12:13]
	global_load_ushort v1, v[22:23], off offset:32
	v_lshl_add_u64 v[12:13], v[4:5], 0, v[12:13]
	s_waitcnt vmcnt(0)
	v_lshlrev_b32_e32 v1, 16, v1
	v_sub_f32_e32 v1, v1, v2
	global_store_short_d16_hi v[12:13], v1, off offset:32
	v_mul_f32_e32 v1, v20, v1
	v_lshrrev_b32_e32 v1, 16, v1
.LBB511_80:
	s_or_b64 exec, exec, s[0:1]
	s_and_saveexec_b64 s[0:1], s[4:5]
	s_cbranch_execz .LBB511_82
; %bb.81:
	v_mov_b32_e32 v15, 0
	v_lshl_add_u64 v[6:7], v[6:7], 0, v[14:15]
	global_load_ushort v0, v[6:7], off offset:32
	v_lshl_add_u64 v[4:5], v[4:5], 0, v[14:15]
	s_waitcnt vmcnt(0)
	v_lshlrev_b32_e32 v0, 16, v0
	v_sub_f32_e32 v0, v0, v3
	global_store_short_d16_hi v[4:5], v0, off offset:32
	v_mul_f32_e32 v0, v17, v0
	v_lshrrev_b32_e32 v0, 16, v0
.LBB511_82:
	s_or_b64 exec, exec, s[0:1]
	s_mov_b32 s0, 0x5040100
	v_or_b32_e32 v2, v21, v19
	v_perm_b32 v1, v0, v1, s0
	v_perm_b32 v0, v11, v9, s0
	v_lshlrev_b32_e32 v2, 1, v2
	ds_write_b64 v2, v[0:1] offset:45056
	s_waitcnt lgkmcnt(0)
	s_barrier
.LBB511_83:
	s_endpgm
	.section	.rodata,"a",@progbits
	.p2align	6, 0x0
	.amdhsa_kernel _ZN12_GLOBAL__N_139chunk_gated_delta_rule_fwd_h_hip_kernelILi32ELb0ELb0ELb1ELb0ELb0ELb0ELb0ELb0EEEvPK12hip_bfloat16S3_S3_PKfS5_PKvPS1_S8_PvPKiSB_iiiiilll
		.amdhsa_group_segment_fixed_size 49152
		.amdhsa_private_segment_fixed_size 0
		.amdhsa_kernarg_size 136
		.amdhsa_user_sgpr_count 2
		.amdhsa_user_sgpr_dispatch_ptr 0
		.amdhsa_user_sgpr_queue_ptr 0
		.amdhsa_user_sgpr_kernarg_segment_ptr 1
		.amdhsa_user_sgpr_dispatch_id 0
		.amdhsa_user_sgpr_kernarg_preload_length 0
		.amdhsa_user_sgpr_kernarg_preload_offset 0
		.amdhsa_user_sgpr_private_segment_size 0
		.amdhsa_uses_dynamic_stack 0
		.amdhsa_enable_private_segment 0
		.amdhsa_system_sgpr_workgroup_id_x 1
		.amdhsa_system_sgpr_workgroup_id_y 1
		.amdhsa_system_sgpr_workgroup_id_z 0
		.amdhsa_system_sgpr_workgroup_info 0
		.amdhsa_system_vgpr_workitem_id 0
		.amdhsa_next_free_vgpr 156
		.amdhsa_next_free_sgpr 66
		.amdhsa_accum_offset 136
		.amdhsa_reserve_vcc 1
		.amdhsa_float_round_mode_32 0
		.amdhsa_float_round_mode_16_64 0
		.amdhsa_float_denorm_mode_32 3
		.amdhsa_float_denorm_mode_16_64 3
		.amdhsa_dx10_clamp 1
		.amdhsa_ieee_mode 1
		.amdhsa_fp16_overflow 0
		.amdhsa_tg_split 0
		.amdhsa_exception_fp_ieee_invalid_op 0
		.amdhsa_exception_fp_denorm_src 0
		.amdhsa_exception_fp_ieee_div_zero 0
		.amdhsa_exception_fp_ieee_overflow 0
		.amdhsa_exception_fp_ieee_underflow 0
		.amdhsa_exception_fp_ieee_inexact 0
		.amdhsa_exception_int_div_zero 0
	.end_amdhsa_kernel
	.section	.text._ZN12_GLOBAL__N_139chunk_gated_delta_rule_fwd_h_hip_kernelILi32ELb0ELb0ELb1ELb0ELb0ELb0ELb0ELb0EEEvPK12hip_bfloat16S3_S3_PKfS5_PKvPS1_S8_PvPKiSB_iiiiilll,"axG",@progbits,_ZN12_GLOBAL__N_139chunk_gated_delta_rule_fwd_h_hip_kernelILi32ELb0ELb0ELb1ELb0ELb0ELb0ELb0ELb0EEEvPK12hip_bfloat16S3_S3_PKfS5_PKvPS1_S8_PvPKiSB_iiiiilll,comdat
.Lfunc_end511:
	.size	_ZN12_GLOBAL__N_139chunk_gated_delta_rule_fwd_h_hip_kernelILi32ELb0ELb0ELb1ELb0ELb0ELb0ELb0ELb0EEEvPK12hip_bfloat16S3_S3_PKfS5_PKvPS1_S8_PvPKiSB_iiiiilll, .Lfunc_end511-_ZN12_GLOBAL__N_139chunk_gated_delta_rule_fwd_h_hip_kernelILi32ELb0ELb0ELb1ELb0ELb0ELb0ELb0ELb0EEEvPK12hip_bfloat16S3_S3_PKfS5_PKvPS1_S8_PvPKiSB_iiiiilll
                                        ; -- End function
	.section	.AMDGPU.csdata,"",@progbits
; Kernel info:
; codeLenInByte = 8756
; NumSgprs: 72
; NumVgprs: 134
; NumAgprs: 20
; TotalNumVgprs: 156
; ScratchSize: 0
; MemoryBound: 0
; FloatMode: 240
; IeeeMode: 1
; LDSByteSize: 49152 bytes/workgroup (compile time only)
; SGPRBlocks: 8
; VGPRBlocks: 19
; NumSGPRsForWavesPerEU: 72
; NumVGPRsForWavesPerEU: 156
; AccumOffset: 136
; Occupancy: 1
; WaveLimiterHint : 1
; COMPUTE_PGM_RSRC2:SCRATCH_EN: 0
; COMPUTE_PGM_RSRC2:USER_SGPR: 2
; COMPUTE_PGM_RSRC2:TRAP_HANDLER: 0
; COMPUTE_PGM_RSRC2:TGID_X_EN: 1
; COMPUTE_PGM_RSRC2:TGID_Y_EN: 1
; COMPUTE_PGM_RSRC2:TGID_Z_EN: 0
; COMPUTE_PGM_RSRC2:TIDIG_COMP_CNT: 0
; COMPUTE_PGM_RSRC3_GFX90A:ACCUM_OFFSET: 33
; COMPUTE_PGM_RSRC3_GFX90A:TG_SPLIT: 0
	.section	.text._ZN12_GLOBAL__N_139chunk_gated_delta_rule_fwd_h_hip_kernelILi32ELb0ELb0ELb0ELb0ELb0ELb0ELb0ELb0EEEvPK12hip_bfloat16S3_S3_PKfS5_PKvPS1_S8_PvPKiSB_iiiiilll,"axG",@progbits,_ZN12_GLOBAL__N_139chunk_gated_delta_rule_fwd_h_hip_kernelILi32ELb0ELb0ELb0ELb0ELb0ELb0ELb0ELb0EEEvPK12hip_bfloat16S3_S3_PKfS5_PKvPS1_S8_PvPKiSB_iiiiilll,comdat
	.globl	_ZN12_GLOBAL__N_139chunk_gated_delta_rule_fwd_h_hip_kernelILi32ELb0ELb0ELb0ELb0ELb0ELb0ELb0ELb0EEEvPK12hip_bfloat16S3_S3_PKfS5_PKvPS1_S8_PvPKiSB_iiiiilll ; -- Begin function _ZN12_GLOBAL__N_139chunk_gated_delta_rule_fwd_h_hip_kernelILi32ELb0ELb0ELb0ELb0ELb0ELb0ELb0ELb0EEEvPK12hip_bfloat16S3_S3_PKfS5_PKvPS1_S8_PvPKiSB_iiiiilll
	.p2align	8
	.type	_ZN12_GLOBAL__N_139chunk_gated_delta_rule_fwd_h_hip_kernelILi32ELb0ELb0ELb0ELb0ELb0ELb0ELb0ELb0EEEvPK12hip_bfloat16S3_S3_PKfS5_PKvPS1_S8_PvPKiSB_iiiiilll,@function
_ZN12_GLOBAL__N_139chunk_gated_delta_rule_fwd_h_hip_kernelILi32ELb0ELb0ELb0ELb0ELb0ELb0ELb0ELb0EEEvPK12hip_bfloat16S3_S3_PKfS5_PKvPS1_S8_PvPKiSB_iiiiilll: ; @_ZN12_GLOBAL__N_139chunk_gated_delta_rule_fwd_h_hip_kernelILi32ELb0ELb0ELb0ELb0ELb0ELb0ELb0ELb0EEEvPK12hip_bfloat16S3_S3_PKfS5_PKvPS1_S8_PvPKiSB_iiiiilll
; %bb.0:
	s_load_dwordx4 s[12:15], s[0:1], 0x5c
	s_load_dwordx2 s[36:37], s[0:1], 0x30
	s_abs_i32 s18, s3
	s_ashr_i32 s17, s3, 31
	s_load_dwordx8 s[4:11], s[0:1], 0x0
	s_waitcnt lgkmcnt(0)
	s_abs_i32 s16, s13
	v_cvt_f32_u32_e32 v1, s16
	s_sub_i32 s20, 0, s16
	s_ashr_i32 s19, s13, 31
	s_xor_b32 s17, s17, s19
	v_rcp_iflag_f32_e32 v1, v1
	v_lshrrev_b32_e32 v42, 6, v0
	v_bfe_u32 v43, v0, 4, 2
	v_lshlrev_b32_e32 v2, 2, v43
	v_mul_f32_e32 v1, 0x4f7ffffe, v1
	v_cvt_u32_f32_e32 v1, v1
	v_and_b32_e32 v41, 63, v0
	v_and_b32_e32 v40, 15, v0
	v_mov_b32_e32 v3, 0
	v_readfirstlane_b32 s21, v1
	s_mul_i32 s20, s20, s21
	s_mul_hi_u32 s20, s21, s20
	s_add_i32 s21, s21, s20
	s_mul_hi_u32 s20, s18, s21
	s_mul_i32 s21, s20, s16
	s_sub_i32 s18, s18, s21
	s_add_i32 s22, s20, 1
	s_sub_i32 s21, s18, s16
	s_cmp_ge_u32 s18, s16
	s_cselect_b32 s20, s22, s20
	s_cselect_b32 s18, s21, s18
	s_add_i32 s21, s20, 1
	s_cmp_ge_u32 s18, s16
	s_cselect_b32 s18, s21, s20
	s_xor_b32 s18, s18, s17
	s_sub_i32 s45, s18, s17
	s_abs_i32 s17, s14
	v_cvt_f32_u32_e32 v1, s17
	s_add_i32 s20, s12, 63
	s_mul_i32 s43, s45, s13
	s_sub_i32 s33, s3, s43
	v_rcp_iflag_f32_e32 v1, v1
	s_ashr_i32 s3, s20, 31
	s_ashr_i32 s44, s12, 31
	s_lshr_b32 s3, s3, 26
	v_mul_f32_e32 v1, 0x4f7ffffe, v1
	v_cvt_u32_f32_e32 v1, v1
	s_lshr_b32 s18, s44, 26
	s_add_i32 s20, s20, s3
	s_add_i32 s18, s12, s18
	s_ashr_i32 s47, s14, 31
	s_ashr_i32 s3, s20, 6
	s_ashr_i32 s46, s18, 6
	s_xor_b32 s18, s19, s47
	s_sub_i32 s19, 0, s17
	v_readfirstlane_b32 s20, v1
	s_mul_i32 s19, s19, s20
	s_mul_hi_u32 s19, s20, s19
	s_add_i32 s20, s20, s19
	s_mul_hi_u32 s19, s16, s20
	s_mul_i32 s20, s19, s17
	s_sub_i32 s16, s16, s20
	s_add_i32 s20, s19, 1
	s_sub_i32 s21, s16, s17
	s_cmp_ge_u32 s16, s17
	s_cselect_b32 s19, s20, s19
	s_cselect_b32 s16, s21, s16
	s_add_i32 s20, s19, 1
	s_cmp_ge_u32 s16, s17
	s_cselect_b32 s16, s20, s19
	s_xor_b32 s16, s16, s18
	s_sub_i32 s20, s16, s18
	s_abs_i32 s21, s20
	v_cvt_f32_u32_e32 v1, s21
	s_load_dwordx2 s[28:29], s[0:1], 0x80
	s_load_dwordx4 s[16:19], s[0:1], 0x70
	s_xor_b32 s0, s33, s20
	s_sub_i32 s20, 0, s21
	v_rcp_iflag_f32_e32 v1, v1
	s_abs_i32 s1, s33
	s_ashr_i32 s0, s0, 31
	s_mul_i32 s48, s45, s3
	v_mul_f32_e32 v1, 0x4f7ffffe, v1
	v_cvt_u32_f32_e32 v1, v1
	s_mul_hi_i32 s49, s45, s13
	v_lshrrev_b32_e32 v45, 3, v41
	v_lshlrev_b32_e32 v44, 3, v0
	v_readfirstlane_b32 s22, v1
	s_mul_i32 s20, s20, s22
	s_mul_hi_u32 s20, s22, s20
	s_add_i32 s22, s22, s20
	s_mul_hi_u32 s20, s1, s22
	s_mul_i32 s22, s20, s21
	s_sub_i32 s1, s1, s22
	s_add_i32 s22, s20, 1
	s_sub_i32 s23, s1, s21
	s_cmp_ge_u32 s1, s21
	s_cselect_b32 s20, s22, s20
	s_cselect_b32 s1, s23, s1
	s_add_i32 s22, s20, 1
	s_cmp_ge_u32 s1, s21
	s_cselect_b32 s1, s22, s20
	s_xor_b32 s1, s1, s0
	v_lshlrev_b32_e32 v1, 4, v42
	s_sub_i32 s50, s1, s0
	v_or_b32_e32 v46, v2, v1
	s_lshl_b32 s30, s2, 5
	v_or_b32_e32 v47, 64, v46
	s_cmp_lt_i32 s12, 64
	s_waitcnt lgkmcnt(0)
	s_mul_i32 s17, s45, s17
	s_mul_hi_u32 s42, s45, s16
	s_mul_i32 s34, s45, s16
	v_mov_b32_e32 v62, 0
	v_mov_b32_e32 v60, 0
	;; [unrolled: 1-line block ×15, first 2 shown]
	s_cbranch_scc1 .LBB512_18
; %bb.1:
	s_ashr_i32 s24, s45, 31
	s_ashr_i32 s52, s33, 31
	s_add_u32 s0, s43, s33
	s_addc_u32 s1, s49, s52
	s_mul_i32 s1, s12, s1
	s_mul_hi_u32 s2, s12, s0
	s_add_i32 s3, s2, s1
	s_mul_i32 s2, s12, s0
	s_lshl_b64 s[0:1], s[2:3], 8
	v_and_b32_e32 v49, 56, v44
	s_add_u32 s20, s6, s0
	v_lshl_or_b32 v48, v42, 3, v45
	v_lshlrev_b32_e32 v3, 1, v49
	s_addc_u32 s0, s7, s1
	v_lshl_or_b32 v50, v48, 8, v3
	s_and_b32 s21, s0, 0xffff
	s_mov_b32 s23, 0x20000
	s_movk_i32 s22, 0x4000
	s_movk_i32 s0, 0x80
	v_or_b32_e32 v51, 0x2000, v50
	buffer_load_dwordx4 v[4:7], v50, s[20:23], 0 offen
	buffer_load_dwordx4 v[8:11], v50, s[20:23], s0 offen
	buffer_load_dwordx4 v[12:15], v51, s[20:23], 0 offen
	buffer_load_dwordx4 v[16:19], v51, s[20:23], s0 offen
	v_lshlrev_b32_e32 v20, 3, v48
	v_and_or_b32 v22, v0, 7, v20
	v_and_b32_e32 v20, 0x78, v20
	v_lshlrev_b32_e32 v22, 4, v22
	v_xor_b32_e32 v52, v22, v20
	v_mul_lo_u32 v21, v48, s15
	v_or_b32_e32 v53, 0x1000, v52
	s_cmpk_eq_i32 s15, 0x80
	s_mov_b32 s51, s14
	v_xor_b32_e32 v20, 8, v52
	v_xor_b32_e32 v22, 8, v53
	s_cselect_b64 s[0:1], -1, 0
	s_cmpk_lg_i32 s15, 0x80
	s_waitcnt vmcnt(3)
	ds_write_b64 v52, v[4:5] offset:24576
	ds_write_b64 v20, v[6:7] offset:24576
	s_waitcnt vmcnt(2)
	ds_write_b64 v52, v[8:9] offset:32768
	ds_write_b64 v20, v[10:11] offset:32768
	;; [unrolled: 3-line block ×4, first 2 shown]
	v_lshl_add_u32 v4, v21, 1, v49
	s_cbranch_scc0 .LBB512_3
; %bb.2:
	v_lshlrev_b32_e32 v6, 1, v4
	v_add_lshl_u32 v5, v4, s15, 1
	s_lshl_b32 s22, s15, 7
	v_lshl_or_b32 v3, v48, 9, v3
	s_cbranch_execz .LBB512_4
	s_branch .LBB512_5
.LBB512_3:
                                        ; implicit-def: $vgpr5
                                        ; implicit-def: $vgpr6
                                        ; implicit-def: $sgpr22
	v_lshl_or_b32 v3, v48, 9, v3
.LBB512_4:
	v_or_b32_e32 v5, 0x100, v3
	s_movk_i32 s22, 0x4000
	v_mov_b32_e32 v6, v3
.LBB512_5:
	s_mul_hi_u32 s20, s14, s12
	s_mul_i32 s21, s47, s12
	s_add_i32 s20, s20, s21
	s_mul_i32 s21, s14, s12
	s_mul_i32 s23, s21, s24
	s_mul_hi_u32 s25, s21, s45
	s_add_i32 s23, s25, s23
	s_mul_i32 s20, s20, s45
	s_add_i32 s23, s23, s20
	s_mul_i32 s21, s21, s45
	s_ashr_i32 s53, s50, 31
	s_add_u32 s20, s21, s50
	s_addc_u32 s21, s23, s53
	s_lshl_b64 s[20:21], s[20:21], 8
	s_add_u32 s20, s4, s20
	s_addc_u32 s21, s5, s21
	s_and_b32 s21, s21, 0xffff
	s_mov_b32 s23, 0x20000
	s_movk_i32 s54, 0x80
	buffer_load_dwordx4 v[8:11], v6, s[20:23], 0 offen
	buffer_load_dwordx4 v[12:15], v6, s[20:23], s54 offen
	;; [unrolled: 1-line block ×4, first 2 shown]
	v_and_b32_e32 v5, 6, v0
	v_lshlrev_b32_e32 v24, 6, v46
	v_or_b32_e32 v26, 16, v40
	v_xor_b32_e32 v27, v48, v5
	v_and_b32_e32 v6, 1, v0
	s_mul_i32 s20, s24, s12
	s_mul_hi_u32 s21, s45, s12
	v_lshl_or_b32 v30, v40, 3, v24
	v_lshl_or_b32 v24, v26, 3, v24
	v_lshlrev_b32_e32 v27, 2, v27
	v_lshlrev_b32_e32 v7, 2, v40
	v_or_b32_e32 v56, 0xa000, v24
	v_or_b32_e32 v57, 0xb000, v24
	v_xor_b32_e32 v24, 0x440, v27
	v_cmp_eq_u32_e32 vcc, 0, v6
	s_add_i32 s59, s21, s20
	s_add_i32 s20, s42, s17
	s_mul_i32 s24, s24, s16
	v_xor_b32_e32 v28, v46, v7
	v_xor_b32_e32 v29, v47, v7
	v_cndmask_b32_e32 v6, v24, v27, vcc
	s_add_i32 s35, s20, s24
	s_mul_i32 s20, s33, s19
	s_mul_hi_u32 s21, s33, s18
	s_mov_b32 s56, 0x1000504
	v_lshlrev_b32_e32 v25, 8, v40
	v_lshlrev_b32_e32 v28, 1, v28
	;; [unrolled: 1-line block ×3, first 2 shown]
	v_lshl_or_b32 v5, v5, 10, v6
	s_add_i32 s20, s21, s20
	s_mul_i32 s21, s52, s18
	s_mov_b32 s57, 0x3020706
	v_or_b32_e32 v54, 0xa000, v30
	v_or_b32_e32 v55, 0xb000, v30
	;; [unrolled: 1-line block ×4, first 2 shown]
	v_xor_b32_e32 v6, 8, v5
	v_xor_b32_e32 v25, 24, v5
	;; [unrolled: 1-line block ×4, first 2 shown]
	s_add_i32 s21, s20, s21
	s_lshl_b64 s[24:25], s[34:35], 2
	v_xor_b32_e32 v24, 16, v5
	v_xor_b32_e32 v27, 32, v5
	;; [unrolled: 1-line block ×3, first 2 shown]
	v_add_u32_e32 v6, 0x80, v6
	v_add_u32_e32 v25, 0x80, v25
	;; [unrolled: 1-line block ×4, first 2 shown]
	s_mul_i32 s20, s33, s18
	s_add_u32 s22, s10, s24
	s_addc_u32 s24, s11, s25
	s_lshl_b64 s[20:21], s[20:21], 2
	s_add_u32 s38, s22, s20
	s_movk_i32 s20, 0xf8
	s_addc_u32 s39, s24, s21
	s_ashr_i32 s31, s30, 31
	s_lshl_b32 s26, s15, 7
	s_movk_i32 s24, 0x100
	v_mov_b32_e32 v35, 0
	v_cmp_gt_u32_e32 vcc, s24, v0
	s_mov_b32 s55, 0
	s_mul_i32 s58, s45, s12
	s_movk_i32 s35, 0x1000
	s_movk_i32 s22, 0x4000
	v_add_u32_e32 v91, v1, v2
	v_mov_b32_e32 v92, 0x3fb8aa3b
	s_mov_b32 s61, 0
	v_mov_b32_e32 v72, v35
	v_mov_b32_e32 v71, v35
	;; [unrolled: 1-line block ×10, first 2 shown]
	s_waitcnt vmcnt(1)
	v_perm_b32 v33, v8, v16, s56
	s_waitcnt vmcnt(0)
	v_perm_b32 v34, v12, v20, s56
	v_perm_b32 v8, v8, v16, s57
	;; [unrolled: 1-line block ×15, first 2 shown]
	ds_write2st64_b32 v5, v33, v34 offset0:32 offset1:64
	ds_write2st64_b32 v6, v8, v12 offset0:32 offset1:64
	;; [unrolled: 1-line block ×8, first 2 shown]
	v_lshlrev_b32_e32 v5, 8, v26
	v_or_b32_e32 v66, v5, v28
	v_or_b32_e32 v67, v5, v29
	;; [unrolled: 1-line block ×3, first 2 shown]
	v_lshlrev_b32_e32 v5, 3, v5
	v_lshrrev_b32_e32 v8, 5, v41
	v_and_or_b32 v8, v5, s20, v8
	v_lshlrev_b32_e32 v8, 4, v8
	v_lshlrev_b32_e32 v9, 11, v42
	v_and_b32_e32 v5, 0x78, v5
	v_or_b32_e32 v13, 32, v8
	v_and_b32_e32 v6, 0x1000, v9
	v_lshrrev_b32_e32 v11, 1, v0
	v_xor_b32_e32 v13, v13, v5
	v_and_b32_e32 v12, 8, v11
	v_or_b32_e32 v13, v13, v6
	v_xor_b32_e32 v10, v8, v5
	v_xor_b32_e32 v76, v13, v12
	v_or_b32_e32 v13, 64, v8
	v_or_b32_e32 v8, 0x60, v8
	v_xor_b32_e32 v13, v13, v5
	v_xor_b32_e32 v5, v8, v5
	v_or_b32_e32 v10, v10, v6
	v_or_b32_e32 v13, v13, v6
	;; [unrolled: 1-line block ×3, first 2 shown]
	s_lshl_b64 s[20:21], s[30:31], 8
	v_xor_b32_e32 v74, v10, v12
	v_xor_b32_e32 v78, v13, v12
	;; [unrolled: 1-line block ×3, first 2 shown]
	v_lshlrev_b32_e32 v12, 1, v4
	v_add_lshl_u32 v13, v4, s15, 1
	s_add_u32 s20, s36, s20
	v_lshlrev_b32_e32 v4, 1, v40
	v_lshrrev_b32_e32 v15, 4, v0
	s_addc_u32 s21, s37, s21
	v_or_b32_e32 v5, 1, v4
	v_lshlrev_b32_e32 v34, 4, v40
	v_mov_b32_e32 v19, 0x4000
	v_mov_b32_e32 v20, 0x2000
	v_xor_b32_e32 v16, v15, v4
	v_xor_b32_e32 v17, v5, v15
	v_lshl_add_u64 v[4:5], s[20:21], 0, v[34:35]
	v_lshlrev_b32_e32 v34, 8, v15
	v_cndmask_b32_e32 v19, v19, v20, vcc
	v_lshlrev_b32_e32 v20, 3, v42
	v_and_b32_e32 v11, 24, v11
	v_lshl_or_b32 v82, v16, 3, v34
	v_and_b32_e32 v16, 8, v0
	v_xor_b32_e32 v21, v20, v11
	v_or_b32_e32 v22, 0x440, v21
	v_cmp_eq_u32_e32 vcc, 0, v16
	v_and_b32_e32 v15, 7, v0
	v_lshlrev_b32_e32 v10, 7, v43
	v_cndmask_b32_e32 v16, v22, v21, vcc
	v_lshl_or_b32 v83, v17, 3, v34
	v_lshlrev_b32_e32 v17, 3, v15
	v_lshlrev_b32_e32 v15, 7, v15
	;; [unrolled: 1-line block ×3, first 2 shown]
	v_or_b32_e32 v16, v16, v9
	v_or_b32_e32 v7, v10, v7
	v_xad_u32 v84, v16, v17, v15
	v_and_or_b32 v10, v18, 60, v10
	v_mov_b32_e32 v16, 0xb000
	v_lshl_or_b32 v85, v10, 1, v16
	v_or_b32_e32 v10, 32, v11
	v_xor_b32_e32 v10, v20, v10
	v_or_b32_e32 v16, 0x440, v10
	v_cndmask_b32_e32 v10, v16, v10, vcc
	v_or_b32_e32 v10, v10, v9
	v_xad_u32 v86, v10, v17, v15
	v_or_b32_e32 v10, 64, v11
	v_xor_b32_e32 v10, v20, v10
	v_xor_b32_e32 v16, 0x440, v10
	v_cndmask_b32_e32 v10, v16, v10, vcc
	v_or_b32_e32 v10, v10, v9
	v_xad_u32 v87, v10, v17, v15
	v_or_b32_e32 v10, 0x60, v11
	v_xor_b32_e32 v10, v20, v10
	v_xor_b32_e32 v11, 0x440, v10
	v_cndmask_b32_e32 v10, v11, v10, vcc
	v_lshlrev_b32_e32 v7, 1, v7
	v_or_b32_e32 v6, s30, v40
	v_or_b32_e32 v9, v10, v9
	;; [unrolled: 1-line block ×6, first 2 shown]
	v_lshlrev_b32_e32 v8, 7, v46
	v_ashrrev_i32_e32 v7, 31, v6
	v_or_b32_e32 v14, 0x100, v3
	v_xad_u32 v88, v9, v17, v15
	v_cndmask_b32_e64 v89, v12, v3, s[0:1]
	v_cndmask_b32_e64 v90, v13, v14, s[0:1]
	v_lshl_add_u64 v[36:37], v[6:7], 1, s[8:9]
	v_lshl_add_u64 v[38:39], v[4:5], 0, v[34:35]
	s_mov_b32 s31, 0x7060302
	v_lshlrev_b32_e32 v34, 1, v8
	v_add_u32_e32 v93, v19, v84
	v_add_u32_e32 v94, v19, v86
	;; [unrolled: 1-line block ×4, first 2 shown]
	v_mov_b32_e32 v65, v35
	v_mov_b32_e32 v100, v35
	v_mov_b32_e32 v61, v35
	v_mov_b32_e32 v60, v35
	v_mov_b32_e32 v62, v35
	v_mov_b32_e32 v98, v35
	s_waitcnt lgkmcnt(0)
	s_barrier
.LBB512_6:                              ; =>This Inner Loop Header: Depth=1
	s_add_i32 s60, s61, 1
	s_cmp_lt_i32 s60, s46
	s_mov_b64 s[24:25], 0
	s_cselect_b64 s[40:41], -1, 0
	s_cmp_ge_i32 s60, s46
	s_mov_b64 s[20:21], 0
	s_cbranch_scc1 .LBB512_8
; %bb.7:                                ;   in Loop: Header=BB512_6 Depth=1
	s_add_i32 s0, s55, 64
	s_add_u32 s0, s2, s0
	s_addc_u32 s1, s3, 0
	s_lshl_b64 s[0:1], s[0:1], 8
	s_add_u32 s20, s6, s0
	s_addc_u32 s21, s7, s1
.LBB512_8:                              ;   in Loop: Header=BB512_6 Depth=1
	v_cndmask_b32_e64 v2, 0, 1, s[40:41]
	v_cmp_ne_u32_e64 s[0:1], 1, v2
	s_andn2_b64 vcc, exec, s[40:41]
	s_cbranch_vccnz .LBB512_10
; %bb.9:                                ;   in Loop: Header=BB512_6 Depth=1
	s_add_i32 s24, s55, 64
	s_add_u32 s24, s58, s24
	s_addc_u32 s25, s59, 0
	s_mul_i32 s27, s24, s47
	s_mul_hi_u32 s40, s24, s51
	s_add_i32 s27, s40, s27
	s_mul_i32 s25, s25, s51
	s_add_i32 s27, s27, s25
	s_mul_i32 s24, s24, s51
	s_add_u32 s24, s24, s50
	s_addc_u32 s25, s27, s53
	s_lshl_b64 s[24:25], s[24:25], 8
	s_add_u32 s24, s4, s24
	s_addc_u32 s25, s5, s25
.LBB512_10:                             ;   in Loop: Header=BB512_6 Depth=1
	v_perm_b32 v3, v99, v73, s31
	v_perm_b32 v2, v71, v72, s31
	v_perm_b32 v5, v97, v70, s31
	v_perm_b32 v4, v68, v69, s31
	ds_write_b64 v54, v[2:3]
	ds_write_b64 v55, v[4:5]
	;; [unrolled: 1-line block ×4, first 2 shown]
	v_perm_b32 v3, v100, v65, s31
	v_perm_b32 v2, v63, v64, s31
	;; [unrolled: 1-line block ×4, first 2 shown]
	ds_write_b64 v56, v[2:3]
	ds_write_b64 v57, v[4:5]
	;; [unrolled: 1-line block ×4, first 2 shown]
	s_waitcnt lgkmcnt(0)
	s_barrier
	ds_read_b64 v[6:7], v74 offset:24576
	ds_read2_b64 v[2:5], v75 offset1:16
	ds_read_b64 v[10:11], v77 offset:3072
	ds_read_b64 v[12:13], v75 offset:3072
	;; [unrolled: 1-line block ×3, first 2 shown]
	s_waitcnt lgkmcnt(3)
	v_mfma_f32_16x16x16_bf16 a[0:3], v[6:7], v[2:3], 0
	s_add_i32 s27, s55, 63
	s_mul_i32 s40, s27, s29
	s_mul_hi_u32 s41, s27, s28
	v_mfma_f32_16x16x16_bf16 a[4:7], v[6:7], v[4:5], 0
	ds_read2st64_b64 v[2:5], v75 offset0:2 offset1:4
	ds_read2st64_b64 v[6:9], v77 offset0:2 offset1:4
	s_add_i32 s41, s41, s40
	s_waitcnt lgkmcnt(1)
	v_mfma_f32_16x16x16_bf16 a[0:3], v[14:15], v[2:3], a[0:3]
	s_mul_i32 s40, s27, s28
	s_lshl_b64 s[40:41], s[40:41], 2
	s_add_u32 s40, s38, s40
	s_waitcnt lgkmcnt(0)
	v_mfma_f32_16x16x16_bf16 a[4:7], v[14:15], v[6:7], a[4:7]
	ds_read_b64 v[2:3], v78 offset:24576
	ds_read_b64 v[6:7], v79 offset:24576
	s_addc_u32 s41, s39, s41
	s_and_b64 vcc, exec, s[0:1]
	s_waitcnt lgkmcnt(1)
	v_mfma_f32_16x16x16_bf16 a[0:3], v[2:3], v[4:5], a[0:3]
	v_mov_b32_e32 v103, 0
	v_mov_b32_e32 v102, 0
	;; [unrolled: 1-line block ×3, first 2 shown]
	v_mfma_f32_16x16x16_bf16 a[4:7], v[2:3], v[8:9], a[4:7]
	v_mov_b32_e32 v2, 0
	v_mov_b32_e32 v3, 0
	;; [unrolled: 1-line block ×3, first 2 shown]
	s_waitcnt lgkmcnt(0)
	v_mfma_f32_16x16x16_bf16 a[0:3], v[6:7], v[12:13], a[0:3]
	v_mov_b32_e32 v5, 0
	v_mov_b32_e32 v8, 0
	;; [unrolled: 1-line block ×3, first 2 shown]
	v_mfma_f32_16x16x16_bf16 a[4:7], v[6:7], v[10:11], a[4:7]
	v_mov_b32_e32 v6, 0
	v_mov_b32_e32 v7, 0
	;; [unrolled: 1-line block ×10, first 2 shown]
	s_cbranch_vccnz .LBB512_12
; %bb.11:                               ;   in Loop: Header=BB512_6 Depth=1
	s_and_b32 s21, s21, 0xffff
	buffer_load_dwordx4 v[14:17], v50, s[20:23], 0 offen
	buffer_load_dwordx4 v[10:13], v50, s[20:23], s54 offen
	buffer_load_dwordx4 v[6:9], v51, s[20:23], 0 offen
	buffer_load_dwordx4 v[2:5], v51, s[20:23], s54 offen
	v_mov_b32_e32 v102, v52
	v_mov_b32_e32 v101, v53
.LBB512_12:                             ;   in Loop: Header=BB512_6 Depth=1
	s_waitcnt vmcnt(4)
	ds_read_b64 v[22:23], v74 offset:32768
	s_waitcnt vmcnt(2)
	ds_read2_b64 v[18:21], v80 offset1:16
	ds_read_b64 v[26:27], v76 offset:32768
	ds_read_b64 v[28:29], v78 offset:32768
	;; [unrolled: 1-line block ×3, first 2 shown]
	v_add_u32_e32 v32, s55, v91
	s_waitcnt lgkmcnt(3)
	v_mfma_f32_16x16x16_bf16 a[0:3], v[22:23], v[18:19], a[0:3]
	v_mul_lo_u32 v33, v32, s29
	v_mfma_f32_16x16x16_bf16 a[4:7], v[22:23], v[20:21], a[4:7]
	ds_read2st64_b64 v[18:21], v80 offset0:2 offset1:4
	ds_read2st64_b64 v[22:25], v81 offset0:2 offset1:4
	s_waitcnt lgkmcnt(1)
	v_mfma_f32_16x16x16_bf16 a[0:3], v[26:27], v[18:19], a[0:3]
	v_ashrrev_i32_e32 v18, 31, v32
	v_mul_lo_u32 v104, v18, s28
	v_mad_u64_u32 v[18:19], s[20:21], v32, s28, 0
	v_mfma_f32_16x16x16_bf16 a[0:3], v[28:29], v[20:21], a[0:3]
	v_add_u32_e32 v20, 1, v32
	v_ashrrev_i32_e32 v21, 31, v20
	v_add3_u32 v19, v19, v33, v104
	s_waitcnt lgkmcnt(0)
	v_mfma_f32_16x16x16_bf16 a[4:7], v[26:27], v[22:23], a[4:7]
	v_mul_lo_u32 v22, v21, s28
	v_mul_lo_u32 v23, v20, s29
	v_mad_u64_u32 v[20:21], s[20:21], v20, s28, 0
	v_add3_u32 v21, v21, v23, v22
	v_add_u32_e32 v22, 2, v32
	v_ashrrev_i32_e32 v23, 31, v22
	v_mul_lo_u32 v26, v23, s28
	v_mul_lo_u32 v27, v22, s29
	v_mad_u64_u32 v[22:23], s[20:21], v22, s28, 0
	v_add3_u32 v23, v23, v27, v26
	v_add_u32_e32 v26, 3, v32
	v_ashrrev_i32_e32 v27, 31, v26
	v_mul_lo_u32 v32, v27, s28
	v_mul_lo_u32 v33, v26, s29
	v_mad_u64_u32 v[26:27], s[20:21], v26, s28, 0
	s_add_u32 s20, s2, s55
	s_addc_u32 s21, s3, 0
	s_lshl_b64 s[20:21], s[20:21], 8
	v_lshl_add_u64 v[18:19], v[18:19], 2, s[38:39]
	v_lshl_add_u64 v[20:21], v[20:21], 2, s[38:39]
	v_add3_u32 v27, v27, v33, v32
	v_lshl_add_u64 v[32:33], v[36:37], 0, s[20:21]
	v_lshl_add_u64 v[22:23], v[22:23], 2, s[38:39]
	;; [unrolled: 1-line block ×3, first 2 shown]
	global_load_dword v104, v[18:19], off
	global_load_ushort v105, v[32:33], off offset:256
	global_load_ushort v106, v[32:33], off
	global_load_ushort v107, v[32:33], off offset:768
	global_load_ushort v108, v[32:33], off offset:512
	v_lshl_add_u64 v[18:19], v[26:27], 2, s[38:39]
	global_load_dword v109, v[20:21], off
	global_load_dword v110, v[22:23], off
	;; [unrolled: 1-line block ×3, first 2 shown]
	ds_read_b64 v[18:19], v80 offset:3072
	ds_read_b64 v[20:21], v81 offset:3072
	global_load_ushort v112, v[32:33], off offset:800
	global_load_ushort v113, v[32:33], off offset:544
	;; [unrolled: 1-line block ×3, first 2 shown]
	s_nop 0
	global_load_ushort v32, v[32:33], off offset:32
	s_load_dword s20, s[40:41], 0x0
	v_mfma_f32_16x16x16_bf16 a[4:7], v[28:29], v[24:25], a[4:7]
	s_and_b64 vcc, exec, s[0:1]
	v_mov_b32_e32 v33, 0
	s_waitcnt vmcnt(11) lgkmcnt(0)
	v_sub_f32_e32 v28, s20, v104
	v_mfma_f32_16x16x16_bf16 a[0:3], v[30:31], v[18:19], a[0:3]
	v_mul_f32_e32 v28, 0x3fb8aa3b, v28
	v_exp_f32_e32 v28, v28
	s_waitcnt vmcnt(6)
	v_sub_f32_e32 v29, s20, v109
	v_mfma_f32_16x16x16_bf16 a[4:7], v[30:31], v[20:21], a[4:7]
	s_waitcnt vmcnt(5)
	v_sub_f32_e32 v30, s20, v110
	s_waitcnt vmcnt(4)
	v_sub_f32_e32 v31, s20, v111
	v_mul_f32_e32 v29, 0x3fb8aa3b, v29
	v_mul_f32_e32 v30, 0x3fb8aa3b, v30
	;; [unrolled: 1-line block ×3, first 2 shown]
	v_exp_f32_e32 v29, v29
	v_exp_f32_e32 v30, v30
	;; [unrolled: 1-line block ×3, first 2 shown]
	v_accvgpr_read_b32 v23, a1
	v_accvgpr_read_b32 v19, a3
	;; [unrolled: 1-line block ×4, first 2 shown]
	v_lshlrev_b32_e32 v25, 16, v105
	v_lshlrev_b32_e32 v24, 16, v106
	;; [unrolled: 1-line block ×4, first 2 shown]
	v_pk_add_f32 v[22:23], v[24:25], v[22:23] neg_lo:[0,1] neg_hi:[0,1]
	v_pk_add_f32 v[18:19], v[26:27], v[18:19] neg_lo:[0,1] neg_hi:[0,1]
	v_pk_mul_f32 v[22:23], v[28:29], v[22:23]
	v_pk_mul_f32 v[18:19], v[30:31], v[18:19]
	v_accvgpr_read_b32 v25, a5
	v_perm_b32 v19, v19, v18, s31
	v_perm_b32 v18, v23, v22, s31
	s_waitcnt vmcnt(1)
	v_lshlrev_b32_e32 v23, 16, v114
	s_waitcnt vmcnt(0)
	v_lshlrev_b32_e32 v22, 16, v32
	v_accvgpr_read_b32 v24, a4
	v_accvgpr_read_b32 v21, a7
	;; [unrolled: 1-line block ×3, first 2 shown]
	v_pk_add_f32 v[22:23], v[22:23], v[24:25] neg_lo:[0,1] neg_hi:[0,1]
	v_lshlrev_b32_e32 v25, 16, v112
	v_lshlrev_b32_e32 v24, 16, v113
	v_pk_add_f32 v[20:21], v[24:25], v[20:21] neg_lo:[0,1] neg_hi:[0,1]
	v_pk_mul_f32 v[22:23], v[28:29], v[22:23]
	v_pk_mul_f32 v[20:21], v[30:31], v[20:21]
	v_mov_b32_e32 v104, 0
	v_perm_b32 v21, v21, v20, s31
	v_perm_b32 v20, v23, v22, s31
	ds_write2_b64 v55, v[18:19], v[20:21] offset1:16
	v_mov_b32_e32 v18, 0
	v_mov_b32_e32 v19, 0
	;; [unrolled: 1-line block ×15, first 2 shown]
	s_cbranch_vccnz .LBB512_14
; %bb.13:                               ;   in Loop: Header=BB512_6 Depth=1
	s_and_b32 s25, s25, 0xffff
	s_mov_b32 s27, s23
	buffer_load_dwordx4 v[30:33], v89, s[24:27], 0 offen
	buffer_load_dwordx4 v[22:25], v89, s[24:27], s54 offen
	;; [unrolled: 1-line block ×4, first 2 shown]
	v_mov_b32_e32 v103, v49
	v_mov_b32_e32 v104, v48
.LBB512_14:                             ;   in Loop: Header=BB512_6 Depth=1
	s_waitcnt lgkmcnt(0)
	s_barrier
	ds_read_b64 v[110:111], v93
	ds_read_b64 v[118:119], v85
	;; [unrolled: 1-line block ×5, first 2 shown]
	ds_read_b64 v[124:125], v86 offset:16384
	ds_read_b64 v[126:127], v84 offset:16384
	ds_read2_b64 v[106:109], v80 offset0:16 offset1:128
	s_waitcnt lgkmcnt(6)
	v_mfma_f32_16x16x16_bf16 a[0:3], v[110:111], v[118:119], 0
	ds_read_b64 v[128:129], v81 offset:3072
	ds_read_b64 v[130:131], v88 offset:16384
	s_add_i32 s21, s48, s61
	s_waitcnt lgkmcnt(2)
	v_mfma_f32_16x16x16_bf16 a[4:7], v[110:111], v[106:107], 0
	ds_read2st64_b64 v[110:113], v81 offset0:2 offset1:4
	s_mul_hi_i32 s25, s21, s13
	s_mul_i32 s21, s21, s13
	v_mfma_f32_16x16x16_bf16 a[0:3], v[114:115], v[108:109], a[0:3]
	s_add_u32 s24, s21, s33
	s_addc_u32 s25, s25, s52
	s_lshl_b64 s[24:25], s[24:25], 15
	s_waitcnt lgkmcnt(0)
	v_mfma_f32_16x16x16_bf16 a[4:7], v[114:115], v[110:111], a[4:7]
	ds_read2st64_b64 v[114:117], v80 offset0:4 offset1:6
	s_waitcnt lgkmcnt(0)
	v_mfma_f32_16x16x16_bf16 a[0:3], v[120:121], v[114:115], a[0:3]
	v_mfma_f32_16x16x16_bf16 a[8:11], v[120:121], v[112:113], a[4:7]
	;; [unrolled: 1-line block ×5, first 2 shown]
	ds_read2st64_b64 v[118:121], v83 offset1:8
	v_mfma_f32_16x16x16_bf16 a[12:15], v[126:127], v[106:107], 0
	ds_read_b64 v[126:127], v87 offset:16384
	v_mfma_f32_16x16x16_bf16 a[8:11], v[124:125], v[108:109], a[8:11]
	ds_read2st64_b64 v[106:109], v82 offset1:8
	s_waitcnt lgkmcnt(0)
	v_mov_b32_e32 v122, v106
	v_mfma_f32_16x16x16_bf16 a[12:15], v[124:125], v[110:111], a[12:15]
	v_lshl_add_u64 v[110:111], v[38:39], 0, s[24:25]
	v_add_co_u32_e32 v106, vcc, s35, v110
	v_mfma_f32_16x16x16_bf16 a[8:11], v[126:127], v[114:115], a[8:11]
	v_mov_b32_e32 v123, v107
	v_addc_co_u32_e32 v107, vcc, 0, v111, vcc
	v_mfma_f32_16x16x16_bf16 a[16:19], v[126:127], v[112:113], a[12:15]
	v_mov_b32_e32 v124, v118
	v_mov_b32_e32 v125, v119
	;; [unrolled: 1-line block ×3, first 2 shown]
	v_mfma_f32_16x16x16_bf16 a[12:15], v[130:131], v[116:117], a[8:11]
	v_mov_b32_e32 v119, v109
	s_and_b64 vcc, exec, s[0:1]
	global_store_dwordx4 v[110:111], v[122:125], off
	v_mfma_f32_16x16x16_bf16 a[8:11], v[130:131], v[128:129], a[16:19]
	global_store_dwordx4 v[106:107], v[118:121], off
	s_cbranch_vccnz .LBB512_16
; %bb.15:                               ;   in Loop: Header=BB512_6 Depth=1
	v_lshrrev_b32_e32 v105, 3, v103
	v_and_b32_e32 v105, 6, v105
	v_xor_b32_e32 v104, v105, v104
	v_lshlrev_b32_e32 v104, 2, v104
	v_and_b32_e32 v103, 8, v103
	v_xor_b32_e32 v106, 0x440, v104
	v_cmp_eq_u32_e32 vcc, 0, v103
	s_barrier
	s_nop 0
	v_cndmask_b32_e32 v103, v106, v104, vcc
	v_lshl_or_b32 v103, v105, 10, v103
	s_waitcnt vmcnt(3)
	v_perm_b32 v104, v30, v26, s56
	s_waitcnt vmcnt(2)
	v_perm_b32 v105, v22, v18, s56
	ds_write2st64_b32 v103, v104, v105 offset0:32 offset1:64
	v_xor_b32_e32 v104, 8, v103
	v_perm_b32 v26, v30, v26, s57
	v_perm_b32 v18, v22, v18, s57
	v_add_u32_e32 v22, 0x80, v104
	ds_write2st64_b32 v22, v26, v18 offset0:32 offset1:64
	v_xor_b32_e32 v18, 16, v103
	v_perm_b32 v22, v31, v27, s56
	v_perm_b32 v26, v23, v19, s56
	ds_write2st64_b32 v18, v22, v26 offset0:33 offset1:65
	v_xor_b32_e32 v18, 24, v103
	v_perm_b32 v22, v31, v27, s57
	v_perm_b32 v19, v23, v19, s57
	v_add_u32_e32 v18, 0x80, v18
	ds_write2st64_b32 v18, v22, v19 offset0:33 offset1:65
	v_xor_b32_e32 v18, 32, v103
	v_perm_b32 v19, v32, v28, s56
	;; [unrolled: 9-line block ×3, first 2 shown]
	v_perm_b32 v20, v25, v21, s56
	ds_write2st64_b32 v18, v19, v20 offset0:35 offset1:67
	v_xor_b32_e32 v18, 56, v103
	v_perm_b32 v19, v33, v29, s57
	v_perm_b32 v20, v25, v21, s57
	v_add_u32_e32 v18, 0x80, v18
	ds_write2st64_b32 v18, v19, v20 offset0:35 offset1:67
	ds_write_b64 v102, v[14:15] offset:24576
	v_xor_b32_e32 v14, 8, v102
	ds_write_b64 v14, v[16:17] offset:24576
	ds_write_b64 v102, v[10:11] offset:32768
	;; [unrolled: 1-line block ×4, first 2 shown]
	v_xor_b32_e32 v6, 8, v101
	ds_write_b64 v6, v[8:9] offset:24576
	ds_write_b64 v101, v[2:3] offset:32768
	;; [unrolled: 1-line block ×3, first 2 shown]
.LBB512_16:                             ;   in Loop: Header=BB512_6 Depth=1
	v_mul_f32_e32 v2, s20, v92
	v_exp_f32_e32 v2, v2
	v_accvgpr_read_b32 v3, a4
	v_accvgpr_read_b32 v4, a5
	;; [unrolled: 1-line block ×3, first 2 shown]
	v_fma_f32 v72, v72, v2, v3
	v_accvgpr_read_b32 v3, a6
	v_fma_f32 v73, v73, v2, v3
	v_accvgpr_read_b32 v3, a0
	;; [unrolled: 2-line block ×11, first 2 shown]
	v_accvgpr_read_b32 v6, a15
	v_fma_f32 v62, v62, v2, v3
	v_accvgpr_read_b32 v3, a11
	s_add_i32 s55, s55, 64
	v_fmac_f32_e32 v5, v99, v2
	v_fmac_f32_e32 v4, v100, v2
	;; [unrolled: 1-line block ×3, first 2 shown]
	s_cmp_eq_u32 s46, s60
	v_fmac_f32_e32 v3, v98, v2
	s_cbranch_scc1 .LBB512_18
; %bb.17:                               ;   in Loop: Header=BB512_6 Depth=1
	s_mov_b32 s61, s60
	v_mov_b32_e32 v99, v5
	v_mov_b32_e32 v97, v6
	;; [unrolled: 1-line block ×4, first 2 shown]
	s_branch .LBB512_6
.LBB512_18:
	s_lshl_b32 s40, s46, 6
	s_sub_i32 s41, s12, s40
	s_cmp_gt_i32 s41, 0
	s_cbranch_scc0 .LBB512_83
; %bb.19:
	s_ashr_i32 s35, s45, 31
	s_ashr_i32 s2, s40, 31
	s_cmpk_lg_i32 s15, 0x80
	s_cselect_b64 s[26:27], -1, 0
	s_and_b64 vcc, exec, s[26:27]
	s_cbranch_vccz .LBB512_21
; %bb.20:
	s_mul_i32 s1, s45, s12
	s_mul_hi_i32 s0, s45, s12
	s_add_u32 s1, s1, s40
	s_addc_u32 s0, s0, s2
	s_mul_i32 s3, s1, s47
	s_mul_hi_u32 s20, s1, s14
	s_add_i32 s3, s20, s3
	s_mul_i32 s0, s0, s14
	s_add_i32 s3, s3, s0
	s_mul_i32 s1, s1, s14
	s_ashr_i32 s0, s50, 31
	s_add_u32 s38, s1, s50
	s_addc_u32 s39, s3, s0
	s_cbranch_execz .LBB512_22
	s_branch .LBB512_23
.LBB512_21:
                                        ; implicit-def: $sgpr38_sgpr39
.LBB512_22:
	s_mul_hi_i32 s0, s45, s14
	s_mul_i32 s45, s45, s14
	s_ashr_i32 s1, s50, 31
	s_add_u32 s3, s45, s50
	s_addc_u32 s0, s0, s1
	s_mul_i32 s1, s3, s44
	s_mul_hi_u32 s14, s3, s12
	s_add_i32 s1, s14, s1
	s_mul_i32 s0, s0, s12
	s_add_i32 s1, s1, s0
	s_mul_i32 s3, s3, s12
	s_add_u32 s38, s3, s40
	s_addc_u32 s39, s1, s2
.LBB512_23:
	s_add_i32 s3, s48, s46
	s_ashr_i32 s14, s33, 31
	s_add_u32 s0, s43, s33
	s_addc_u32 s1, s49, s14
	s_mul_i32 s20, s0, s44
	s_mul_hi_u32 s21, s0, s12
	s_add_i32 s20, s21, s20
	s_mul_i32 s1, s1, s12
	s_add_i32 s20, s20, s1
	s_mul_i32 s0, s0, s12
	s_add_u32 s0, s0, s40
	s_addc_u32 s1, s20, s2
	v_lshlrev_b32_e32 v10, 5, v46
	s_waitcnt vmcnt(4)
	v_lshlrev_b32_e32 v22, 2, v40
	s_mov_b32 s2, 0x7060302
	v_xor_b32_e32 v2, v46, v22
	v_perm_b32 v9, v5, v73, s2
	v_or_b32_e32 v5, v10, v22
	v_perm_b32 v8, v71, v72, s2
	v_perm_b32 v7, v6, v70, s2
	;; [unrolled: 1-line block ×3, first 2 shown]
	v_lshlrev_b32_e32 v5, 1, v5
	v_lshlrev_b32_e32 v12, 1, v2
	;; [unrolled: 1-line block ×3, first 2 shown]
	s_lshl_b64 s[24:25], s[0:1], 8
	v_xor_b32_e32 v11, v47, v22
	ds_write2st64_b64 v5, v[8:9], v[6:7] offset0:80 offset1:88
	v_or_b32_e32 v5, v12, v2
	s_add_u32 s0, s6, s24
	ds_write_b64 v5, v[8:9]
	v_lshlrev_b32_e32 v8, 1, v11
	s_addc_u32 s1, s7, s25
	v_or_b32_e32 v2, v8, v2
	s_mul_hi_i32 s6, s3, s13
	s_mul_i32 s3, s3, s13
	ds_write_b64 v2, v[6:7]
	v_perm_b32 v5, v4, v65, s2
	v_perm_b32 v4, v63, v64, s2
	;; [unrolled: 1-line block ×4, first 2 shown]
	v_or_b32_e32 v6, 16, v40
	s_add_u32 s2, s3, s33
	s_waitcnt vmcnt(2)
	v_lshlrev_b32_e32 v19, 2, v6
	s_addc_u32 s3, s6, s14
	v_or_b32_e32 v7, v10, v19
	s_ashr_i32 s31, s30, 31
	s_lshl_b64 s[2:3], s[2:3], 15
	v_lshlrev_b32_e32 v7, 1, v7
	v_lshlrev_b32_e32 v6, 8, v6
	s_add_u32 s6, s36, s2
	ds_write2st64_b64 v7, v[4:5], v[2:3] offset0:80 offset1:88
	v_or_b32_e32 v7, v12, v6
	s_addc_u32 s7, s37, s3
	s_lshl_b64 s[2:3], s[30:31], 8
	ds_write_b64 v7, v[4:5]
	v_or_b32_e32 v4, v8, v6
	s_add_u32 s2, s6, s2
	ds_write_b64 v4, v[2:3]
	v_lshrrev_b32_e32 v2, 4, v0
	s_addc_u32 s3, s7, s3
	v_lshlrev_b32_e32 v3, 1, v40
	v_lshlrev_b32_e32 v10, 4, v40
	v_mov_b32_e32 v11, 0
	v_or_b32_e32 v4, 1, v3
	v_xor_b32_e32 v3, v2, v3
	v_lshl_add_u64 v[12:13], s[2:3], 0, v[10:11]
	v_lshlrev_b32_e32 v10, 8, v2
	v_xor_b32_e32 v6, v4, v2
	v_lshl_or_b32 v2, v3, 3, v10
	s_waitcnt lgkmcnt(0)
	s_barrier
	ds_read2st64_b64 v[2:5], v2 offset1:8
	v_lshl_or_b32 v6, v6, 3, v10
	ds_read2st64_b64 v[6:9], v6 offset1:8
	v_lshl_add_u64 v[14:15], v[12:13], 0, v[10:11]
	s_movk_i32 s2, 0x1000
	s_waitcnt lgkmcnt(1)
	v_mov_b32_e32 v10, v2
	v_add_co_u32_e32 v2, vcc, s2, v14
	s_cmp_lg_u32 s41, 64
	v_mov_b32_e32 v11, v3
	v_addc_co_u32_e32 v3, vcc, 0, v15, vcc
	s_cselect_b64 s[6:7], -1, 0
	v_lshl_or_b32 v23, v42, 3, v45
	s_waitcnt lgkmcnt(0)
	v_mov_b32_e32 v12, v6
	v_mov_b32_e32 v13, v7
	;; [unrolled: 1-line block ×4, first 2 shown]
	s_mov_b32 s20, 0
	v_or_b32_e32 v20, 32, v23
	v_and_b32_e32 v18, 56, v44
	s_and_b64 vcc, exec, s[6:7]
	global_store_dwordx4 v[14:15], v[10:13], off
	global_store_dwordx4 v[2:3], v[6:9], off
	s_cbranch_vccz .LBB512_29
; %bb.24:
	s_mov_b32 s21, s20
	s_mov_b32 s22, s20
	s_mov_b32 s23, s20
	v_mov_b64_e32 v[6:7], s[20:21]
	v_mov_b64_e32 v[8:9], s[22:23]
	v_mov_b64_e32 v[2:3], v[6:7]
	v_cmp_gt_i32_e32 vcc, s41, v23
	v_mov_b64_e32 v[4:5], v[8:9]
	s_and_saveexec_b64 s[2:3], vcc
	s_cbranch_execz .LBB512_26
; %bb.25:
	v_lshlrev_b32_e32 v2, 8, v23
	v_mov_b32_e32 v3, 0
	v_lshl_add_u64 v[4:5], s[0:1], 0, v[2:3]
	v_lshlrev_b32_e32 v2, 1, v18
	v_lshl_add_u64 v[10:11], v[4:5], 0, v[2:3]
	global_load_dwordx4 v[6:9], v[10:11], off
	global_load_dwordx4 v[2:5], v[10:11], off offset:128
.LBB512_26:
	s_or_b64 exec, exec, s[2:3]
	s_mov_b32 s21, s20
	s_mov_b32 s22, s20
	;; [unrolled: 1-line block ×3, first 2 shown]
	v_mov_b64_e32 v[14:15], s[20:21]
	v_mov_b64_e32 v[16:17], s[22:23]
	;; [unrolled: 1-line block ×3, first 2 shown]
	v_cmp_gt_i32_e32 vcc, s41, v20
	v_lshlrev_b32_e32 v21, 7, v20
	v_mov_b64_e32 v[12:13], v[16:17]
	s_and_saveexec_b64 s[2:3], vcc
	s_cbranch_execz .LBB512_28
; %bb.27:
	v_lshlrev_b32_e32 v10, 1, v21
	v_mov_b32_e32 v11, 0
	v_lshl_add_u64 v[12:13], s[0:1], 0, v[10:11]
	v_lshlrev_b32_e32 v10, 1, v18
	v_lshl_add_u64 v[24:25], v[12:13], 0, v[10:11]
	global_load_dwordx4 v[14:17], v[24:25], off
	global_load_dwordx4 v[10:13], v[24:25], off offset:128
.LBB512_28:
	s_or_b64 exec, exec, s[2:3]
	v_lshrrev_b32_e32 v24, 3, v18
	v_lshlrev_b32_e32 v25, 3, v23
	v_or_b32_e32 v24, v25, v24
	v_lshlrev_b32_e32 v24, 4, v24
	v_and_b32_e32 v25, 0x78, v25
	v_xor_b32_e32 v24, v24, v25
	s_branch .LBB512_31
.LBB512_29:
                                        ; implicit-def: $vgpr24
                                        ; implicit-def: $vgpr21
                                        ; implicit-def: $vgpr6_vgpr7_vgpr8_vgpr9
                                        ; implicit-def: $vgpr2_vgpr3_vgpr4_vgpr5
                                        ; implicit-def: $vgpr14_vgpr15_vgpr16_vgpr17
                                        ; implicit-def: $vgpr10_vgpr11_vgpr12_vgpr13
	s_cbranch_execz .LBB512_31
; %bb.30:
	s_waitcnt vmcnt(0)
	v_lshlrev_b32_e32 v2, 1, v18
	v_lshl_or_b32 v21, v23, 8, v2
	s_and_b32 s1, s1, 0xffff
	s_mov_b32 s3, 0x20000
	s_movk_i32 s2, 0x4000
	v_lshl_or_b32 v24, v20, 8, v2
	s_movk_i32 s13, 0x80
	buffer_load_dwordx4 v[6:9], v21, s[0:3], 0 offen
	buffer_load_dwordx4 v[2:5], v21, s[0:3], s13 offen
	;; [unrolled: 1-line block ×4, first 2 shown]
	v_lshrrev_b32_e32 v21, 3, v18
	v_lshlrev_b32_e32 v24, 3, v23
	v_or_b32_e32 v21, v24, v21
	v_lshlrev_b32_e32 v21, 4, v21
	v_and_b32_e32 v24, 0x78, v24
	v_xor_b32_e32 v24, v21, v24
	v_lshlrev_b32_e32 v21, 7, v20
.LBB512_31:
	s_lshl_b64 s[0:1], s[38:39], 8
	s_add_u32 s4, s4, s0
	s_movk_i32 s0, 0x1000
	v_and_or_b32 v20, v21, s0, v24
	s_waitcnt vmcnt(1)
	ds_write_b64 v24, v[6:7] offset:24576
	v_xor_b32_e32 v6, 8, v24
	ds_write_b64 v6, v[8:9] offset:24576
	s_waitcnt vmcnt(0)
	ds_write_b64 v24, v[2:3] offset:32768
	ds_write_b64 v6, v[4:5] offset:32768
	;; [unrolled: 1-line block ×3, first 2 shown]
	v_xor_b32_e32 v2, 8, v20
	ds_write_b64 v2, v[16:17] offset:24576
	ds_write_b64 v20, v[10:11] offset:32768
	;; [unrolled: 1-line block ×3, first 2 shown]
	v_or_b32_e32 v2, v1, v40
	v_lshlrev_b32_e32 v3, 11, v42
	v_lshlrev_b32_e32 v2, 3, v2
	v_and_b32_e32 v6, 0x1000, v3
	v_lshrrev_b32_e32 v3, 5, v41
	s_movk_i32 s13, 0xf8
	v_and_or_b32 v3, v2, s13, v3
	v_lshlrev_b32_e32 v7, 4, v3
	v_and_b32_e32 v8, 0x78, v2
	v_or_b32_e32 v10, 32, v7
	v_lshrrev_b32_e32 v3, 1, v41
	v_xor_b32_e32 v10, v10, v8
	v_xor_b32_e32 v2, v7, v8
	v_and_b32_e32 v9, 8, v3
	v_or_b32_e32 v10, v10, v6
	v_or_b32_e32 v2, v2, v6
	v_xor_b32_e32 v26, v10, v9
	v_or_b32_e32 v10, 64, v7
	v_xor_b32_e32 v25, v2, v9
	v_xor_b32_e32 v10, v10, v8
	s_waitcnt lgkmcnt(0)
	s_barrier
	v_or_b32_e32 v12, v10, v6
	ds_read_b64 v[10:11], v25 offset:24576
	v_lshl_or_b32 v20, v43, 7, v22
	v_lshlrev_b32_e32 v24, 1, v20
	v_add_u32_e32 v2, 0xa000, v24
	ds_read2_b64 v[2:5], v2 offset1:16
	v_or_b32_e32 v7, 0x60, v7
	v_xor_b32_e32 v7, v7, v8
	s_waitcnt lgkmcnt(0)
	v_mfma_f32_16x16x16_bf16 a[0:3], v[10:11], v[2:3], 0
	v_or_b32_e32 v2, 64, v20
	v_or_b32_e32 v6, v7, v6
	v_lshlrev_b32_e32 v29, 1, v2
	v_xor_b32_e32 v27, v12, v9
	v_xor_b32_e32 v28, v6, v9
	ds_read_b64 v[12:13], v26 offset:24576
	ds_read_b64 v[14:15], v27 offset:24576
	;; [unrolled: 1-line block ×3, first 2 shown]
	v_mfma_f32_16x16x16_bf16 a[4:7], v[10:11], v[4:5], 0
	ds_read2st64_b64 v[2:5], v29 offset0:82 offset1:84
	ds_read2st64_b64 v[6:9], v24 offset0:82 offset1:84
	s_addc_u32 s5, s5, s1
	s_add_i32 s2, s12, -1
	s_add_i32 s0, s42, s17
	s_mul_i32 s35, s35, s16
	s_add_i32 s35, s0, s35
	s_mul_i32 s0, s33, s19
	s_mul_hi_u32 s1, s33, s18
	s_ashr_i32 s3, s2, 31
	s_mul_i32 s12, s2, s29
	s_mul_hi_u32 s13, s2, s28
	s_add_i32 s0, s1, s0
	s_mul_i32 s1, s14, s18
	s_add_i32 s12, s13, s12
	s_mul_i32 s3, s3, s28
	s_waitcnt lgkmcnt(1)
	v_mfma_f32_16x16x16_bf16 a[4:7], v[12:13], v[2:3], a[4:7]
	s_add_i32 s1, s0, s1
	s_add_i32 s3, s12, s3
	s_lshl_b64 s[12:13], s[34:35], 2
	s_waitcnt lgkmcnt(0)
	v_mfma_f32_16x16x16_bf16 a[0:3], v[12:13], v[6:7], a[0:3]
	s_mul_i32 s0, s33, s18
	s_add_u32 s10, s10, s12
	s_addc_u32 s11, s11, s13
	s_lshl_b64 s[0:1], s[0:1], 2
	s_mul_i32 s2, s2, s28
	s_add_u32 s10, s10, s0
	ds_read_b64 v[2:3], v24 offset:44032
	v_mfma_f32_16x16x16_bf16 a[4:7], v[14:15], v[4:5], a[4:7]
	ds_read_b64 v[4:5], v29 offset:44032
	s_addc_u32 s11, s11, s1
	s_lshl_b64 s[0:1], s[2:3], 2
	v_mfma_f32_16x16x16_bf16 a[0:3], v[14:15], v[8:9], a[0:3]
	s_add_u32 s0, s10, s0
	s_addc_u32 s1, s11, s1
	s_load_dword s12, s[0:1], 0x0
	s_waitcnt lgkmcnt(0)
	v_mfma_f32_16x16x16_bf16 a[0:3], v[16:17], v[2:3], a[0:3]
	s_and_b64 vcc, exec, s[26:27]
	v_mfma_f32_16x16x16_bf16 a[4:7], v[16:17], v[4:5], a[4:7]
	s_cbranch_vccz .LBB512_42
; %bb.32:
	v_lshlrev_b32_e32 v20, 1, v23
	s_and_b64 vcc, exec, s[6:7]
	s_cbranch_vccz .LBB512_43
; %bb.33:
	v_cmp_gt_i32_e32 vcc, s41, v20
	v_mov_b32_e32 v6, 0
	v_mov_b32_e32 v2, 0
	;; [unrolled: 1-line block ×5, first 2 shown]
	s_and_saveexec_b64 s[0:1], vcc
	s_cbranch_execz .LBB512_35
; %bb.34:
	v_mad_i64_i32 v[2:3], s[2:3], s15, v20, 0
	v_lshl_add_u64 v[2:3], v[2:3], 1, s[4:5]
	v_lshlrev_b32_e32 v4, 1, v18
	v_mov_b32_e32 v5, 0
	v_lshl_add_u64 v[2:3], v[2:3], 0, v[4:5]
	global_load_dwordx4 v[2:5], v[2:3], off
.LBB512_35:
	s_or_b64 exec, exec, s[0:1]
	v_or_b32_e32 v21, 1, v20
	v_cmp_gt_i32_e64 s[0:1], s41, v21
	v_mov_b32_e32 v7, 0
	v_mov_b32_e32 v8, 0
	;; [unrolled: 1-line block ×3, first 2 shown]
	s_and_saveexec_b64 s[2:3], s[0:1]
	s_cbranch_execz .LBB512_37
; %bb.36:
	v_mad_i64_i32 v[6:7], s[16:17], s15, v21, 0
	v_lshl_add_u64 v[6:7], v[6:7], 1, s[4:5]
	v_lshlrev_b32_e32 v8, 1, v18
	v_mov_b32_e32 v9, 0
	v_lshl_add_u64 v[6:7], v[6:7], 0, v[8:9]
	global_load_dwordx4 v[6:9], v[6:7], off
.LBB512_37:
	s_or_b64 exec, exec, s[2:3]
	v_mov_b32_e32 v17, 0
	v_mov_b32_e32 v10, 0
	;; [unrolled: 1-line block ×5, first 2 shown]
	s_and_saveexec_b64 s[2:3], vcc
	s_cbranch_execz .LBB512_39
; %bb.38:
	v_mad_i64_i32 v[10:11], s[16:17], s15, v20, 0
	v_lshl_add_u64 v[10:11], v[10:11], 1, s[4:5]
	v_lshlrev_b32_e32 v12, 1, v18
	v_mov_b32_e32 v13, 0
	v_lshl_add_u64 v[10:11], v[10:11], 0, v[12:13]
	global_load_dwordx4 v[10:13], v[10:11], off offset:128
.LBB512_39:
	s_or_b64 exec, exec, s[2:3]
	v_mov_b32_e32 v16, 0
	v_mov_b32_e32 v15, 0
	v_mov_b32_e32 v14, 0
	s_and_saveexec_b64 s[2:3], s[0:1]
	s_cbranch_execz .LBB512_41
; %bb.40:
	v_mad_i64_i32 v[14:15], s[0:1], s15, v21, 0
	v_lshl_add_u64 v[14:15], v[14:15], 1, s[4:5]
	v_lshlrev_b32_e32 v16, 1, v18
	v_mov_b32_e32 v17, 0
	v_lshl_add_u64 v[14:15], v[14:15], 0, v[16:17]
	global_load_dwordx4 v[14:17], v[14:15], off offset:128
.LBB512_41:
	s_or_b64 exec, exec, s[2:3]
	s_branch .LBB512_45
.LBB512_42:
                                        ; implicit-def: $vgpr5
                                        ; implicit-def: $vgpr9
                                        ; implicit-def: $vgpr13
                                        ; implicit-def: $vgpr17
	v_lshrrev_b32_e32 v30, 2, v41
	s_branch .LBB512_46
.LBB512_43:
                                        ; implicit-def: $vgpr5
                                        ; implicit-def: $vgpr9
                                        ; implicit-def: $vgpr13
                                        ; implicit-def: $vgpr17
	s_cbranch_execz .LBB512_45
; %bb.44:
	s_waitcnt vmcnt(0)
	v_mad_u64_u32 v[2:3], s[0:1], v20, s15, v[18:19]
	v_lshlrev_b32_e32 v20, 1, v2
	s_lshl_b32 s2, s15, 7
	s_and_b32 s1, s5, 0xffff
	s_mov_b32 s3, 0x20000
	s_mov_b32 s0, s4
	v_add_lshl_u32 v21, v2, s15, 1
	s_movk_i32 s13, 0x80
	buffer_load_dwordx4 v[2:5], v20, s[0:3], 0 offen
	buffer_load_dwordx4 v[10:13], v20, s[0:3], s13 offen
	;; [unrolled: 1-line block ×4, first 2 shown]
.LBB512_45:
	v_lshrrev_b32_e32 v30, 2, v41
	s_cbranch_execnz .LBB512_58
.LBB512_46:
	s_and_b64 vcc, exec, s[6:7]
	s_cbranch_vccz .LBB512_56
; %bb.47:
	s_waitcnt vmcnt(0)
	v_lshlrev_b32_e32 v7, 1, v23
	v_cmp_gt_i32_e32 vcc, s41, v7
	v_mov_b32_e32 v6, 0
	v_lshlrev_b32_e32 v14, 9, v23
	v_mov_b32_e32 v2, 0
	v_mov_b32_e32 v3, 0
	;; [unrolled: 1-line block ×4, first 2 shown]
	s_and_saveexec_b64 s[0:1], vcc
	s_cbranch_execz .LBB512_49
; %bb.48:
	v_mov_b32_e32 v15, 0
	v_lshl_add_u64 v[2:3], s[4:5], 0, v[14:15]
	v_lshlrev_b32_e32 v4, 1, v18
	v_mov_b32_e32 v5, v15
	v_lshl_add_u64 v[2:3], v[2:3], 0, v[4:5]
	global_load_dwordx4 v[2:5], v[2:3], off
.LBB512_49:
	s_or_b64 exec, exec, s[0:1]
	v_or_b32_e32 v7, 1, v7
	v_cmp_gt_i32_e64 s[0:1], s41, v7
	v_lshlrev_b32_e32 v20, 8, v7
	v_mov_b32_e32 v7, 0
	v_mov_b32_e32 v8, 0
	;; [unrolled: 1-line block ×3, first 2 shown]
	s_and_saveexec_b64 s[2:3], s[0:1]
	s_cbranch_execz .LBB512_51
; %bb.50:
	v_mov_b32_e32 v21, 0
	v_lshl_add_u64 v[6:7], s[4:5], 0, v[20:21]
	v_lshlrev_b32_e32 v8, 1, v18
	v_mov_b32_e32 v9, v21
	v_lshl_add_u64 v[6:7], v[6:7], 0, v[8:9]
	global_load_dwordx4 v[6:9], v[6:7], off
.LBB512_51:
	s_or_b64 exec, exec, s[2:3]
	v_mov_b32_e32 v17, 0
	v_mov_b32_e32 v10, 0
	;; [unrolled: 1-line block ×5, first 2 shown]
	s_and_saveexec_b64 s[2:3], vcc
	s_cbranch_execz .LBB512_53
; %bb.52:
	v_mov_b32_e32 v15, 0
	v_lshl_add_u64 v[10:11], s[4:5], 0, v[14:15]
	v_lshlrev_b32_e32 v14, 1, v18
	v_lshl_add_u64 v[10:11], v[10:11], 0, v[14:15]
	global_load_dwordx4 v[10:13], v[10:11], off offset:128
.LBB512_53:
	s_or_b64 exec, exec, s[2:3]
	v_mov_b32_e32 v16, 0
	v_mov_b32_e32 v15, 0
	;; [unrolled: 1-line block ×3, first 2 shown]
	s_and_saveexec_b64 s[2:3], s[0:1]
	s_cbranch_execz .LBB512_55
; %bb.54:
	v_mov_b32_e32 v21, 0
	v_lshl_add_u64 v[14:15], s[4:5], 0, v[20:21]
	v_lshlrev_b32_e32 v20, 1, v18
	v_lshl_add_u64 v[14:15], v[14:15], 0, v[20:21]
	global_load_dwordx4 v[14:17], v[14:15], off offset:128
.LBB512_55:
	s_or_b64 exec, exec, s[2:3]
	s_branch .LBB512_58
.LBB512_56:
                                        ; implicit-def: $vgpr5
                                        ; implicit-def: $vgpr9
                                        ; implicit-def: $vgpr13
                                        ; implicit-def: $vgpr17
	s_cbranch_execz .LBB512_58
; %bb.57:
	s_waitcnt vmcnt(0)
	v_lshlrev_b32_e32 v2, 1, v18
	v_lshl_or_b32 v18, v23, 9, v2
	s_and_b32 s5, s5, 0xffff
	s_mov_b32 s7, 0x20000
	s_movk_i32 s6, 0x4000
	s_movk_i32 s0, 0x80
	buffer_load_dwordx4 v[2:5], v18, s[4:7], 0 offen
	buffer_load_dwordx4 v[6:9], v18, s[4:7], 0 offen offset:256
	buffer_load_dwordx4 v[10:13], v18, s[4:7], s0 offen
	buffer_load_dwordx4 v[14:17], v18, s[4:7], s0 offen offset:256
.LBB512_58:
	ds_read_b64 v[20:21], v25 offset:32768
	v_add_u32_e32 v18, 0xb000, v24
	ds_read2_b64 v[32:35], v18 offset1:16
	ds_read_b64 v[42:43], v26 offset:32768
	ds_read_b64 v[26:27], v27 offset:32768
	;; [unrolled: 1-line block ×3, first 2 shown]
	v_and_b32_e32 v18, 6, v0
	v_xor_b32_e32 v23, v23, v18
	v_lshlrev_b32_e32 v23, 2, v23
	v_and_b32_e32 v0, 1, v0
	v_xor_b32_e32 v28, 0x440, v23
	v_cmp_eq_u32_e32 vcc, 0, v0
	s_waitcnt lgkmcnt(3)
	v_mfma_f32_16x16x16_bf16 a[0:3], v[20:21], v[32:33], a[0:3]
	s_mov_b32 s0, 0x1000504
	v_cndmask_b32_e32 v0, v28, v23, vcc
	v_lshl_or_b32 v0, v18, 10, v0
	v_mfma_f32_16x16x16_bf16 a[4:7], v[20:21], v[34:35], a[4:7]
	ds_read2st64_b64 v[32:35], v24 offset0:90 offset1:92
	ds_read2st64_b64 v[36:39], v29 offset0:90 offset1:92
	ds_read_b64 v[20:21], v24 offset:48128
	ds_read_b64 v[24:25], v29 offset:48128
	s_waitcnt vmcnt(0)
	v_perm_b32 v18, v2, v6, s0
	s_waitcnt lgkmcnt(3)
	v_mfma_f32_16x16x16_bf16 a[0:3], v[42:43], v[32:33], a[0:3]
	s_mov_b32 s1, 0x3020706
	v_perm_b32 v2, v2, v6, s1
	v_perm_b32 v6, v10, v14, s1
	s_waitcnt lgkmcnt(2)
	v_mfma_f32_16x16x16_bf16 a[4:7], v[42:43], v[36:37], a[4:7]
	v_mfma_f32_16x16x16_bf16 a[0:3], v[26:27], v[34:35], a[0:3]
	;; [unrolled: 1-line block ×3, first 2 shown]
	s_waitcnt lgkmcnt(1)
	v_mfma_f32_16x16x16_bf16 a[4:7], v[44:45], v[20:21], a[0:3]
	v_perm_b32 v20, v10, v14, s0
	ds_write2st64_b32 v0, v18, v20 offset0:32 offset1:64
	v_xor_b32_e32 v18, 8, v0
	v_add_u32_e32 v10, 0x80, v18
	ds_write2st64_b32 v10, v2, v6 offset0:32 offset1:64
	v_xor_b32_e32 v2, 16, v0
	v_perm_b32 v6, v3, v7, s0
	v_perm_b32 v10, v11, v15, s0
	ds_write2st64_b32 v2, v6, v10 offset0:33 offset1:65
	v_xor_b32_e32 v2, 24, v0
	v_perm_b32 v3, v3, v7, s1
	v_perm_b32 v6, v11, v15, s1
	v_add_u32_e32 v2, 0x80, v2
	ds_write2st64_b32 v2, v3, v6 offset0:33 offset1:65
	v_xor_b32_e32 v2, 32, v0
	v_perm_b32 v3, v4, v8, s0
	v_perm_b32 v6, v12, v16, s0
	ds_write2st64_b32 v2, v3, v6 offset0:34 offset1:66
	v_xor_b32_e32 v2, 40, v0
	s_waitcnt lgkmcnt(5)
	v_mfma_f32_16x16x16_bf16 a[0:3], v[44:45], v[24:25], a[8:11]
	v_perm_b32 v3, v4, v8, s1
	v_perm_b32 v4, v12, v16, s1
	v_add_u32_e32 v2, 0x80, v2
	ds_write2st64_b32 v2, v3, v4 offset0:34 offset1:66
	v_xor_b32_e32 v2, 48, v0
	v_perm_b32 v3, v5, v9, s0
	v_perm_b32 v4, v13, v17, s0
	ds_write2st64_b32 v2, v3, v4 offset0:35 offset1:67
	v_xor_b32_e32 v0, 56, v0
	v_perm_b32 v3, v13, v17, s1
	v_and_or_b32 v17, v30, 12, v1
	v_perm_b32 v2, v5, v9, s1
	v_add_u32_e32 v0, 0x80, v0
	v_cmp_gt_i32_e32 vcc, s41, v17
	v_mov_b32_e32 v14, 0
	v_mov_b32_e32 v16, 0
	ds_write2st64_b32 v0, v2, v3 offset0:35 offset1:67
	s_and_saveexec_b64 s[0:1], vcc
	s_cbranch_execz .LBB512_60
; %bb.59:
	v_add_u32_e32 v0, s40, v17
	v_ashrrev_i32_e32 v1, 31, v0
	v_mul_lo_u32 v2, v1, s28
	v_mul_lo_u32 v3, v0, s29
	v_mad_u64_u32 v[0:1], s[2:3], v0, s28, 0
	v_add3_u32 v1, v1, v3, v2
	v_lshl_add_u64 v[0:1], v[0:1], 2, s[10:11]
	global_load_dword v0, v[0:1], off
	s_waitcnt vmcnt(0)
	v_sub_f32_e32 v0, s12, v0
	v_mul_f32_e32 v0, 0x3fb8aa3b, v0
	v_exp_f32_e32 v16, v0
.LBB512_60:
	s_or_b64 exec, exec, s[0:1]
	v_or_b32_e32 v8, 1, v17
	v_cmp_gt_i32_e64 s[0:1], s41, v8
	s_and_saveexec_b64 s[2:3], s[0:1]
	s_cbranch_execz .LBB512_62
; %bb.61:
	v_add_u32_e32 v0, s40, v8
	v_ashrrev_i32_e32 v1, 31, v0
	v_mul_lo_u32 v2, v1, s28
	v_mul_lo_u32 v3, v0, s29
	v_mad_u64_u32 v[0:1], s[4:5], v0, s28, 0
	v_add3_u32 v1, v1, v3, v2
	v_lshl_add_u64 v[0:1], v[0:1], 2, s[10:11]
	global_load_dword v0, v[0:1], off
	s_waitcnt vmcnt(0)
	v_sub_f32_e32 v0, s12, v0
	v_mul_f32_e32 v0, 0x3fb8aa3b, v0
	v_exp_f32_e32 v14, v0
.LBB512_62:
	s_or_b64 exec, exec, s[2:3]
	v_or_b32_e32 v10, 2, v17
	v_cmp_gt_i32_e64 s[2:3], s41, v10
	v_mov_b32_e32 v15, 0
	v_mov_b32_e32 v18, 0
	s_and_saveexec_b64 s[4:5], s[2:3]
	s_cbranch_execz .LBB512_64
; %bb.63:
	v_add_u32_e32 v0, s40, v10
	v_ashrrev_i32_e32 v1, 31, v0
	v_mul_lo_u32 v2, v1, s28
	v_mul_lo_u32 v3, v0, s29
	v_mad_u64_u32 v[0:1], s[6:7], v0, s28, 0
	v_add3_u32 v1, v1, v3, v2
	v_lshl_add_u64 v[0:1], v[0:1], 2, s[10:11]
	global_load_dword v0, v[0:1], off
	s_waitcnt vmcnt(0)
	v_sub_f32_e32 v0, s12, v0
	v_mul_f32_e32 v0, 0x3fb8aa3b, v0
	v_exp_f32_e32 v18, v0
.LBB512_64:
	s_or_b64 exec, exec, s[4:5]
	v_or_b32_e32 v12, 3, v17
	v_cmp_gt_i32_e64 s[4:5], s41, v12
	s_and_saveexec_b64 s[6:7], s[4:5]
	s_cbranch_execz .LBB512_66
; %bb.65:
	v_add_u32_e32 v0, s40, v12
	v_ashrrev_i32_e32 v1, 31, v0
	v_mul_lo_u32 v2, v1, s28
	v_mul_lo_u32 v3, v0, s29
	v_mad_u64_u32 v[0:1], s[14:15], v0, s28, 0
	v_add3_u32 v1, v1, v3, v2
	v_lshl_add_u64 v[0:1], v[0:1], 2, s[10:11]
	global_load_dword v0, v[0:1], off
	s_waitcnt vmcnt(0)
	v_sub_f32_e32 v0, s12, v0
	v_mul_f32_e32 v0, 0x3fb8aa3b, v0
	v_exp_f32_e32 v15, v0
.LBB512_66:
	s_or_b64 exec, exec, s[6:7]
	v_or_b32_e32 v4, s30, v40
	s_add_u32 s6, s8, s24
	v_accvgpr_read_b32 v0, a4
	s_addc_u32 s7, s9, s25
	v_ashrrev_i32_e32 v5, 31, v4
	v_accvgpr_read_b32 v1, a5
	v_accvgpr_read_b32 v2, a6
	;; [unrolled: 1-line block ×3, first 2 shown]
	v_lshl_add_u64 v[4:5], v[4:5], 1, s[6:7]
	v_mov_b32_e32 v9, 0
	v_lshlrev_b32_e32 v6, 8, v17
	v_mov_b32_e32 v7, 0
	s_and_saveexec_b64 s[6:7], vcc
	s_cbranch_execz .LBB512_68
; %bb.67:
	v_mov_b32_e32 v7, 0
	v_lshl_add_u64 v[20:21], v[4:5], 0, v[6:7]
	global_load_ushort v7, v[20:21], off
	s_waitcnt vmcnt(0)
	v_lshlrev_b32_e32 v7, 16, v7
	v_sub_f32_e32 v0, v7, v0
	v_mul_f32_e32 v0, v16, v0
	v_lshrrev_b32_e32 v7, 16, v0
.LBB512_68:
	s_or_b64 exec, exec, s[6:7]
	v_lshlrev_b32_e32 v8, 8, v8
	s_and_saveexec_b64 s[6:7], s[0:1]
	s_cbranch_execz .LBB512_70
; %bb.69:
	v_mov_b32_e32 v9, 0
	v_lshl_add_u64 v[20:21], v[4:5], 0, v[8:9]
	global_load_ushort v0, v[20:21], off
	s_waitcnt vmcnt(0)
	v_lshlrev_b32_e32 v0, 16, v0
	v_sub_f32_e32 v0, v0, v1
	v_mul_f32_e32 v0, v14, v0
	v_lshrrev_b32_e32 v9, 16, v0
.LBB512_70:
	s_or_b64 exec, exec, s[6:7]
	v_mov_b32_e32 v13, 0
	v_lshlrev_b32_e32 v10, 8, v10
	v_mov_b32_e32 v11, 0
	s_and_saveexec_b64 s[6:7], s[2:3]
	s_cbranch_execz .LBB512_72
; %bb.71:
	v_mov_b32_e32 v11, 0
	v_lshl_add_u64 v[0:1], v[4:5], 0, v[10:11]
	global_load_ushort v0, v[0:1], off
	s_waitcnt vmcnt(0)
	v_lshlrev_b32_e32 v0, 16, v0
	v_sub_f32_e32 v0, v0, v2
	v_mul_f32_e32 v0, v18, v0
	v_lshrrev_b32_e32 v11, 16, v0
.LBB512_72:
	s_or_b64 exec, exec, s[6:7]
	v_lshlrev_b32_e32 v12, 8, v12
	s_and_saveexec_b64 s[6:7], s[4:5]
	s_cbranch_execz .LBB512_74
; %bb.73:
	v_mov_b32_e32 v13, 0
	v_lshl_add_u64 v[0:1], v[4:5], 0, v[12:13]
	global_load_ushort v0, v[0:1], off
	s_waitcnt vmcnt(0)
	v_lshlrev_b32_e32 v0, 16, v0
	v_sub_f32_e32 v0, v0, v3
	v_mul_f32_e32 v0, v15, v0
	v_lshrrev_b32_e32 v13, 16, v0
.LBB512_74:
	s_or_b64 exec, exec, s[6:7]
	v_lshlrev_b32_e32 v17, 5, v17
	s_mov_b32 s6, 0x5040100
	v_perm_b32 v20, v9, v7, s6
	v_or_b32_e32 v7, v17, v22
	v_accvgpr_read_b32 v0, a0
	v_perm_b32 v21, v13, v11, s6
	v_lshlrev_b32_e32 v7, 1, v7
	v_accvgpr_read_b32 v1, a1
	v_accvgpr_read_b32 v2, a2
	;; [unrolled: 1-line block ×3, first 2 shown]
	ds_write_b64 v7, v[20:21] offset:45056
	v_mov_b32_e32 v9, 0
	v_mov_b32_e32 v7, 0
	s_and_saveexec_b64 s[6:7], vcc
	s_cbranch_execz .LBB512_76
; %bb.75:
	v_mov_b32_e32 v7, 0
	v_lshl_add_u64 v[6:7], v[4:5], 0, v[6:7]
	global_load_ushort v6, v[6:7], off offset:32
	s_waitcnt vmcnt(0)
	v_lshlrev_b32_e32 v6, 16, v6
	v_sub_f32_e32 v0, v6, v0
	v_mul_f32_e32 v0, v16, v0
	v_lshrrev_b32_e32 v7, 16, v0
.LBB512_76:
	s_or_b64 exec, exec, s[6:7]
	s_and_saveexec_b64 s[6:7], s[0:1]
	s_cbranch_execz .LBB512_78
; %bb.77:
	v_mov_b32_e32 v9, 0
	v_lshl_add_u64 v[8:9], v[4:5], 0, v[8:9]
	global_load_ushort v0, v[8:9], off offset:32
	s_waitcnt vmcnt(0)
	v_lshlrev_b32_e32 v0, 16, v0
	v_sub_f32_e32 v0, v0, v1
	v_mul_f32_e32 v0, v14, v0
	v_lshrrev_b32_e32 v9, 16, v0
.LBB512_78:
	s_or_b64 exec, exec, s[6:7]
	v_mov_b32_e32 v0, 0
	v_mov_b32_e32 v1, 0
	s_and_saveexec_b64 s[0:1], s[2:3]
	s_cbranch_execz .LBB512_80
; %bb.79:
	v_mov_b32_e32 v11, 0
	v_lshl_add_u64 v[10:11], v[4:5], 0, v[10:11]
	global_load_ushort v1, v[10:11], off offset:32
	s_waitcnt vmcnt(0)
	v_lshlrev_b32_e32 v1, 16, v1
	v_sub_f32_e32 v1, v1, v2
	v_mul_f32_e32 v1, v18, v1
	v_lshrrev_b32_e32 v1, 16, v1
.LBB512_80:
	s_or_b64 exec, exec, s[0:1]
	s_and_saveexec_b64 s[0:1], s[4:5]
	s_cbranch_execz .LBB512_82
; %bb.81:
	v_mov_b32_e32 v13, 0
	v_lshl_add_u64 v[4:5], v[4:5], 0, v[12:13]
	global_load_ushort v0, v[4:5], off offset:32
	s_waitcnt vmcnt(0)
	v_lshlrev_b32_e32 v0, 16, v0
	v_sub_f32_e32 v0, v0, v3
	v_mul_f32_e32 v0, v15, v0
	v_lshrrev_b32_e32 v0, 16, v0
.LBB512_82:
	s_or_b64 exec, exec, s[0:1]
	s_mov_b32 s0, 0x5040100
	v_or_b32_e32 v2, v17, v19
	v_perm_b32 v1, v0, v1, s0
	v_perm_b32 v0, v9, v7, s0
	v_lshlrev_b32_e32 v2, 1, v2
	ds_write_b64 v2, v[0:1] offset:45056
	s_waitcnt lgkmcnt(0)
	s_barrier
.LBB512_83:
	s_endpgm
	.section	.rodata,"a",@progbits
	.p2align	6, 0x0
	.amdhsa_kernel _ZN12_GLOBAL__N_139chunk_gated_delta_rule_fwd_h_hip_kernelILi32ELb0ELb0ELb0ELb0ELb0ELb0ELb0ELb0EEEvPK12hip_bfloat16S3_S3_PKfS5_PKvPS1_S8_PvPKiSB_iiiiilll
		.amdhsa_group_segment_fixed_size 49152
		.amdhsa_private_segment_fixed_size 0
		.amdhsa_kernarg_size 136
		.amdhsa_user_sgpr_count 2
		.amdhsa_user_sgpr_dispatch_ptr 0
		.amdhsa_user_sgpr_queue_ptr 0
		.amdhsa_user_sgpr_kernarg_segment_ptr 1
		.amdhsa_user_sgpr_dispatch_id 0
		.amdhsa_user_sgpr_kernarg_preload_length 0
		.amdhsa_user_sgpr_kernarg_preload_offset 0
		.amdhsa_user_sgpr_private_segment_size 0
		.amdhsa_uses_dynamic_stack 0
		.amdhsa_enable_private_segment 0
		.amdhsa_system_sgpr_workgroup_id_x 1
		.amdhsa_system_sgpr_workgroup_id_y 1
		.amdhsa_system_sgpr_workgroup_id_z 0
		.amdhsa_system_sgpr_workgroup_info 0
		.amdhsa_system_vgpr_workitem_id 0
		.amdhsa_next_free_vgpr 152
		.amdhsa_next_free_sgpr 62
		.amdhsa_accum_offset 132
		.amdhsa_reserve_vcc 1
		.amdhsa_float_round_mode_32 0
		.amdhsa_float_round_mode_16_64 0
		.amdhsa_float_denorm_mode_32 3
		.amdhsa_float_denorm_mode_16_64 3
		.amdhsa_dx10_clamp 1
		.amdhsa_ieee_mode 1
		.amdhsa_fp16_overflow 0
		.amdhsa_tg_split 0
		.amdhsa_exception_fp_ieee_invalid_op 0
		.amdhsa_exception_fp_denorm_src 0
		.amdhsa_exception_fp_ieee_div_zero 0
		.amdhsa_exception_fp_ieee_overflow 0
		.amdhsa_exception_fp_ieee_underflow 0
		.amdhsa_exception_fp_ieee_inexact 0
		.amdhsa_exception_int_div_zero 0
	.end_amdhsa_kernel
	.section	.text._ZN12_GLOBAL__N_139chunk_gated_delta_rule_fwd_h_hip_kernelILi32ELb0ELb0ELb0ELb0ELb0ELb0ELb0ELb0EEEvPK12hip_bfloat16S3_S3_PKfS5_PKvPS1_S8_PvPKiSB_iiiiilll,"axG",@progbits,_ZN12_GLOBAL__N_139chunk_gated_delta_rule_fwd_h_hip_kernelILi32ELb0ELb0ELb0ELb0ELb0ELb0ELb0ELb0EEEvPK12hip_bfloat16S3_S3_PKfS5_PKvPS1_S8_PvPKiSB_iiiiilll,comdat
.Lfunc_end512:
	.size	_ZN12_GLOBAL__N_139chunk_gated_delta_rule_fwd_h_hip_kernelILi32ELb0ELb0ELb0ELb0ELb0ELb0ELb0ELb0EEEvPK12hip_bfloat16S3_S3_PKfS5_PKvPS1_S8_PvPKiSB_iiiiilll, .Lfunc_end512-_ZN12_GLOBAL__N_139chunk_gated_delta_rule_fwd_h_hip_kernelILi32ELb0ELb0ELb0ELb0ELb0ELb0ELb0ELb0EEEvPK12hip_bfloat16S3_S3_PKfS5_PKvPS1_S8_PvPKiSB_iiiiilll
                                        ; -- End function
	.section	.AMDGPU.csdata,"",@progbits
; Kernel info:
; codeLenInByte = 8492
; NumSgprs: 68
; NumVgprs: 132
; NumAgprs: 20
; TotalNumVgprs: 152
; ScratchSize: 0
; MemoryBound: 0
; FloatMode: 240
; IeeeMode: 1
; LDSByteSize: 49152 bytes/workgroup (compile time only)
; SGPRBlocks: 8
; VGPRBlocks: 18
; NumSGPRsForWavesPerEU: 68
; NumVGPRsForWavesPerEU: 152
; AccumOffset: 132
; Occupancy: 1
; WaveLimiterHint : 1
; COMPUTE_PGM_RSRC2:SCRATCH_EN: 0
; COMPUTE_PGM_RSRC2:USER_SGPR: 2
; COMPUTE_PGM_RSRC2:TRAP_HANDLER: 0
; COMPUTE_PGM_RSRC2:TGID_X_EN: 1
; COMPUTE_PGM_RSRC2:TGID_Y_EN: 1
; COMPUTE_PGM_RSRC2:TGID_Z_EN: 0
; COMPUTE_PGM_RSRC2:TIDIG_COMP_CNT: 0
; COMPUTE_PGM_RSRC3_GFX90A:ACCUM_OFFSET: 32
; COMPUTE_PGM_RSRC3_GFX90A:TG_SPLIT: 0
	.section	.text._ZN12_GLOBAL__N_139chunk_gated_delta_rule_fwd_h_hip_kernelILi16ELb1ELb1ELb1ELb1ELb1ELb1ELb1ELb1EEEvPK12hip_bfloat16S3_S3_PKfS5_PKvPS1_S8_PvPKiSB_iiiiilll,"axG",@progbits,_ZN12_GLOBAL__N_139chunk_gated_delta_rule_fwd_h_hip_kernelILi16ELb1ELb1ELb1ELb1ELb1ELb1ELb1ELb1EEEvPK12hip_bfloat16S3_S3_PKfS5_PKvPS1_S8_PvPKiSB_iiiiilll,comdat
	.globl	_ZN12_GLOBAL__N_139chunk_gated_delta_rule_fwd_h_hip_kernelILi16ELb1ELb1ELb1ELb1ELb1ELb1ELb1ELb1EEEvPK12hip_bfloat16S3_S3_PKfS5_PKvPS1_S8_PvPKiSB_iiiiilll ; -- Begin function _ZN12_GLOBAL__N_139chunk_gated_delta_rule_fwd_h_hip_kernelILi16ELb1ELb1ELb1ELb1ELb1ELb1ELb1ELb1EEEvPK12hip_bfloat16S3_S3_PKfS5_PKvPS1_S8_PvPKiSB_iiiiilll
	.p2align	8
	.type	_ZN12_GLOBAL__N_139chunk_gated_delta_rule_fwd_h_hip_kernelILi16ELb1ELb1ELb1ELb1ELb1ELb1ELb1ELb1EEEvPK12hip_bfloat16S3_S3_PKfS5_PKvPS1_S8_PvPKiSB_iiiiilll,@function
_ZN12_GLOBAL__N_139chunk_gated_delta_rule_fwd_h_hip_kernelILi16ELb1ELb1ELb1ELb1ELb1ELb1ELb1ELb1EEEvPK12hip_bfloat16S3_S3_PKfS5_PKvPS1_S8_PvPKiSB_iiiiilll: ; @_ZN12_GLOBAL__N_139chunk_gated_delta_rule_fwd_h_hip_kernelILi16ELb1ELb1ELb1ELb1ELb1ELb1ELb1ELb1EEEvPK12hip_bfloat16S3_S3_PKfS5_PKvPS1_S8_PvPKiSB_iiiiilll
; %bb.0:
	s_load_dwordx4 s[28:31], s[0:1], 0x5c
	s_load_dwordx4 s[4:7], s[0:1], 0x70
	s_abs_i32 s11, s3
	s_ashr_i32 s10, s3, 31
	s_load_dwordx4 s[24:27], s[0:1], 0x40
	s_load_dwordx2 s[8:9], s[0:1], 0x50
	s_waitcnt lgkmcnt(0)
	s_abs_i32 s14, s29
	v_cvt_f32_u32_e32 v1, s14
	s_sub_i32 s12, 0, s14
	s_ashr_i32 s15, s29, 31
	s_xor_b32 s10, s10, s15
	v_rcp_iflag_f32_e32 v1, v1
	v_and_b32_e32 v67, 15, v0
	v_bfe_u32 v66, v0, 4, 2
	v_mov_b32_e32 v49, 0
	v_mul_f32_e32 v1, 0x4f7ffffe, v1
	v_cvt_u32_f32_e32 v1, v1
	v_lshlrev_b32_e32 v68, 3, v0
	v_readfirstlane_b32 s13, v1
	s_mul_i32 s12, s12, s13
	s_mul_hi_u32 s12, s13, s12
	s_add_i32 s13, s13, s12
	s_mul_hi_u32 s12, s11, s13
	s_mul_i32 s13, s12, s14
	s_sub_i32 s11, s11, s13
	s_add_i32 s16, s12, 1
	s_sub_i32 s13, s11, s14
	s_cmp_ge_u32 s11, s14
	s_cselect_b32 s12, s16, s12
	s_cselect_b32 s11, s13, s11
	s_add_i32 s13, s12, 1
	s_cmp_ge_u32 s11, s14
	s_cselect_b32 s11, s13, s12
	s_xor_b32 s11, s11, s10
	s_sub_i32 s36, s11, s10
	s_mul_i32 s16, s36, s29
	s_ashr_i32 s37, s36, 31
	s_sub_i32 s33, s3, s16
	s_lshl_b64 s[10:11], s[36:37], 2
	s_add_u32 s12, s26, s10
	s_addc_u32 s13, s27, s11
	s_add_u32 s38, s8, s10
	s_addc_u32 s39, s9, s11
	s_abs_i32 s3, s30
	v_cvt_f32_u32_e32 v1, s3
	s_load_dwordx2 s[34:35], s[12:13], 0x0
	s_sub_i32 s9, 0, s3
	s_lshl_b32 s2, s2, 4
	v_rcp_iflag_f32_e32 v1, v1
	v_or_b32_e32 v58, s2, v67
	s_waitcnt lgkmcnt(0)
	s_sub_i32 s56, s35, s34
	s_ashr_i32 s8, s56, 31
	v_mul_f32_e32 v1, 0x4f7ffffe, v1
	v_cvt_u32_f32_e32 v1, v1
	s_lshr_b32 s8, s8, 26
	s_add_i32 s8, s56, s8
	s_ashr_i32 s55, s8, 6
	v_readfirstlane_b32 s10, v1
	s_mul_i32 s9, s9, s10
	s_mul_hi_u32 s9, s10, s9
	s_add_i32 s10, s10, s9
	s_mul_hi_u32 s9, s14, s10
	s_mul_i32 s10, s9, s3
	s_ashr_i32 s8, s30, 31
	s_sub_i32 s10, s14, s10
	s_xor_b32 s8, s15, s8
	s_add_i32 s11, s9, 1
	s_sub_i32 s12, s10, s3
	s_cmp_ge_u32 s10, s3
	s_cselect_b32 s9, s11, s9
	s_cselect_b32 s10, s12, s10
	s_add_i32 s11, s9, 1
	s_cmp_ge_u32 s10, s3
	s_cselect_b32 s3, s11, s9
	s_xor_b32 s3, s3, s8
	s_sub_i32 s3, s3, s8
	s_abs_i32 s17, s3
	v_cvt_f32_u32_e32 v1, s17
	s_sub_i32 s19, 0, s17
	s_abs_i32 s18, s33
	s_xor_b32 s3, s33, s3
	v_rcp_iflag_f32_e32 v2, v1
	s_ashr_i32 s3, s3, 31
	s_load_dwordx8 s[8:15], s[0:1], 0x20
	v_lshrrev_b32_e32 v1, 6, v0
	v_mul_f32_e32 v2, 0x4f7ffffe, v2
	v_cvt_u32_f32_e32 v2, v2
	v_lshlrev_b32_e32 v45, 4, v1
	v_lshlrev_b32_e32 v46, 7, v58
	v_lshl_or_b32 v70, v66, 2, v45
	v_readfirstlane_b32 s20, v2
	s_mul_i32 s19, s19, s20
	s_mul_hi_u32 s19, s20, s19
	s_add_i32 s20, s20, s19
	s_mul_hi_u32 s19, s18, s20
	s_mul_i32 s20, s19, s17
	s_sub_i32 s18, s18, s20
	s_add_i32 s20, s19, 1
	s_sub_i32 s21, s18, s17
	s_cmp_ge_u32 s18, s17
	s_cselect_b32 s19, s20, s19
	s_cselect_b32 s18, s21, s18
	s_add_i32 s20, s19, 1
	s_cmp_ge_u32 s18, s17
	s_cselect_b32 s17, s20, s19
	s_xor_b32 s17, s17, s3
	s_sub_i32 s57, s17, s3
	s_ashr_i32 s48, s33, 31
	s_mul_hi_i32 s3, s36, s29
	s_add_u32 s16, s16, s33
	s_addc_u32 s17, s3, s48
	s_lshl_b64 s[26:27], s[16:17], 15
	s_waitcnt lgkmcnt(0)
	s_add_u32 s10, s10, s26
	s_addc_u32 s11, s11, s27
	v_ashrrev_i32_e32 v47, 31, v46
	v_lshl_add_u64 v[2:3], v[46:47], 1, s[10:11]
	v_lshlrev_b32_e32 v48, 1, v70
	v_lshl_add_u64 v[2:3], v[2:3], 0, v[48:49]
	global_load_dwordx2 v[4:5], v[2:3], off
	global_load_dwordx2 v[6:7], v[2:3], off offset:128
	s_load_dwordx8 s[16:23], s[0:1], 0x0
	s_load_dwordx2 s[10:11], s[0:1], 0x80
	s_load_dword s60, s[38:39], 0x0
	v_and_b32_e32 v49, 63, v0
	v_lshrrev_b32_e32 v69, 3, v49
	v_or_b32_e32 v71, 64, v70
	s_mul_i32 s49, s36, s5
	s_mul_hi_u32 s50, s36, s4
	s_mul_i32 s42, s36, s4
	s_mul_i32 s51, s37, s4
	s_mul_hi_i32 s58, s33, s28
	s_mul_i32 s59, s33, s28
	s_mul_i32 s52, s33, s7
	s_mul_hi_u32 s53, s33, s6
	s_mul_i32 s54, s48, s6
	s_cmp_lt_i32 s56, 64
	s_mul_i32 s40, s33, s6
	s_waitcnt vmcnt(1)
	v_and_b32_e32 v53, 0xffff0000, v4
	v_lshlrev_b32_e32 v52, 16, v4
	v_and_b32_e32 v57, 0xffff0000, v5
	v_lshlrev_b32_e32 v56, 16, v5
	s_waitcnt vmcnt(0)
	v_and_b32_e32 v51, 0xffff0000, v6
	v_lshlrev_b32_e32 v50, 16, v6
	v_and_b32_e32 v55, 0xffff0000, v7
	v_lshlrev_b32_e32 v54, 16, v7
	s_cbranch_scc1 .LBB513_18
; %bb.1:
	s_ashr_i32 s1, s34, 31
	s_add_u32 s0, s59, s34
	s_addc_u32 s1, s58, s1
	s_lshl_b64 s[0:1], s[0:1], 8
	v_and_b32_e32 v73, 56, v68
	s_waitcnt lgkmcnt(0)
	s_add_u32 s4, s18, s0
	v_lshl_or_b32 v72, v1, 3, v69
	v_lshlrev_b32_e32 v2, 1, v73
	s_addc_u32 s0, s19, s1
	v_lshl_or_b32 v74, v72, 8, v2
	s_and_b32 s5, s0, 0xffff
	s_mov_b32 s7, 0x20000
	s_movk_i32 s6, 0x4000
	s_movk_i32 s0, 0x80
	v_or_b32_e32 v75, 0x2000, v74
	buffer_load_dwordx4 v[4:7], v74, s[4:7], 0 offen
	buffer_load_dwordx4 v[8:11], v74, s[4:7], s0 offen
	;; [unrolled: 1-line block ×4, first 2 shown]
	v_lshlrev_b32_e32 v3, 3, v72
	v_and_or_b32 v21, v0, 7, v3
	v_and_b32_e32 v3, 0x78, v3
	v_lshlrev_b32_e32 v21, 4, v21
	v_xor_b32_e32 v76, v21, v3
	v_mul_lo_u32 v20, v72, s31
	v_or_b32_e32 v77, 0x1000, v76
	v_xor_b32_e32 v3, 8, v76
	s_cmpk_eq_i32 s31, 0x80
	s_mov_b32 s61, s34
	v_xor_b32_e32 v21, 8, v77
	s_cselect_b64 s[0:1], -1, 0
	s_cmpk_lg_i32 s31, 0x80
	s_waitcnt vmcnt(3)
	ds_write_b64 v76, v[4:5] offset:16384
	ds_write_b64 v3, v[6:7] offset:16384
	s_waitcnt vmcnt(2)
	ds_write_b64 v76, v[8:9] offset:24576
	ds_write_b64 v3, v[10:11] offset:24576
	;; [unrolled: 3-line block ×4, first 2 shown]
	v_lshl_add_u32 v3, v20, 1, v73
	s_cbranch_scc0 .LBB513_3
; %bb.2:
	v_lshlrev_b32_e32 v5, 1, v3
	v_add_lshl_u32 v4, v3, s31, 1
	s_lshl_b32 s6, s31, 7
	v_lshl_or_b32 v2, v72, 9, v2
	s_cbranch_execz .LBB513_4
	s_branch .LBB513_5
.LBB513_3:
                                        ; implicit-def: $vgpr4
                                        ; implicit-def: $vgpr5
                                        ; implicit-def: $sgpr6
	v_lshl_or_b32 v2, v72, 9, v2
.LBB513_4:
	v_or_b32_e32 v4, 0x100, v2
	s_movk_i32 s6, 0x4000
	v_mov_b32_e32 v5, v2
.LBB513_5:
	s_mul_i32 s4, s34, s30
	s_ashr_i32 s62, s57, 31
	s_mul_hi_i32 s3, s34, s30
	s_add_u32 s4, s4, s57
	s_addc_u32 s5, s3, s62
	s_lshl_b64 s[4:5], s[4:5], 8
	s_add_u32 s4, s16, s4
	s_addc_u32 s3, s17, s5
	s_and_b32 s5, s3, 0xffff
	s_movk_i32 s63, 0x80
	buffer_load_dwordx4 v[6:9], v5, s[4:7], 0 offen
	buffer_load_dwordx4 v[10:13], v5, s[4:7], s63 offen
	;; [unrolled: 1-line block ×4, first 2 shown]
	v_and_b32_e32 v4, 6, v0
	v_lshlrev_b32_e32 v22, 2, v67
	v_lshlrev_b32_e32 v23, 3, v67
	v_xor_b32_e32 v27, v72, v4
	v_and_b32_e32 v5, 1, v0
	v_lshl_or_b32 v23, v70, 5, v23
	v_xor_b32_e32 v28, v70, v22
	v_lshlrev_b32_e32 v27, 2, v27
	s_add_i32 s3, s50, s49
	v_or_b32_e32 v78, 0x9000, v23
	v_or_b32_e32 v79, 0x9800, v23
	v_lshlrev_b32_e32 v23, 1, v28
	v_xor_b32_e32 v28, 0x440, v27
	v_cmp_eq_u32_e32 vcc, 0, v5
	s_add_i32 s4, s53, s52
	s_add_i32 s43, s3, s51
	v_cndmask_b32_e32 v5, v28, v27, vcc
	s_add_i32 s41, s4, s54
	s_lshl_b64 s[4:5], s[42:43], 2
	s_mov_b32 s64, 0x1000504
	s_mov_b32 s65, 0x3020706
	v_lshlrev_b32_e32 v24, 8, v67
	s_mov_b32 s6, 0x8000
	v_xor_b32_e32 v22, v71, v22
	v_lshl_or_b32 v4, v4, 10, v5
	s_add_u32 s3, s22, s4
	v_or_b32_e32 v25, v45, v67
	v_lshlrev_b32_e32 v22, 1, v22
	v_or3_b32 v80, v23, v24, s6
	v_xor_b32_e32 v5, 8, v4
	v_xor_b32_e32 v23, 24, v4
	;; [unrolled: 1-line block ×4, first 2 shown]
	s_addc_u32 s36, s23, s5
	s_lshl_b64 s[4:5], s[40:41], 2
	v_or3_b32 v81, v22, v24, s6
	v_xor_b32_e32 v22, 16, v4
	v_xor_b32_e32 v24, 32, v4
	v_xor_b32_e32 v28, 48, v4
	v_add_u32_e32 v5, 0x80, v5
	v_add_u32_e32 v23, 0x80, v23
	;; [unrolled: 1-line block ×4, first 2 shown]
	s_add_u32 s44, s3, s4
	s_movk_i32 s3, 0xf8
	s_addc_u32 s45, s36, s5
	v_ashrrev_i32_e32 v59, 31, v58
	s_lshl_b32 s38, s31, 7
	v_lshrrev_b32_e32 v26, 2, v49
	s_mov_b32 s66, 0
	s_waitcnt vmcnt(1)
	v_perm_b32 v30, v6, v14, s64
	s_waitcnt vmcnt(0)
	v_perm_b32 v31, v10, v18, s64
	v_perm_b32 v6, v6, v14, s65
	;; [unrolled: 1-line block ×15, first 2 shown]
	ds_write2st64_b32 v4, v30, v31 offset1:32
	ds_write2st64_b32 v5, v6, v10 offset1:32
	ds_write2st64_b32 v22, v14, v18 offset0:1 offset1:33
	ds_write2st64_b32 v23, v7, v11 offset0:1 offset1:33
	;; [unrolled: 1-line block ×6, first 2 shown]
	v_lshlrev_b32_e32 v4, 3, v25
	v_lshrrev_b32_e32 v6, 5, v49
	v_and_or_b32 v6, v4, s3, v6
	v_lshlrev_b32_e32 v6, 4, v6
	v_lshlrev_b32_e32 v13, 11, v1
	v_and_b32_e32 v4, 0x78, v4
	v_or_b32_e32 v9, 32, v6
	v_and_b32_e32 v5, 0x1000, v13
	v_lshrrev_b32_e32 v8, 1, v49
	v_xor_b32_e32 v9, v9, v4
	v_and_b32_e32 v8, 8, v8
	v_or_b32_e32 v9, v9, v5
	v_xor_b32_e32 v7, v6, v4
	v_xor_b32_e32 v84, v9, v8
	v_or_b32_e32 v9, 64, v6
	v_or_b32_e32 v6, 0x60, v6
	v_xor_b32_e32 v9, v9, v4
	v_xor_b32_e32 v4, v6, v4
	v_or_b32_e32 v7, v7, v5
	v_or_b32_e32 v9, v9, v5
	v_or_b32_e32 v4, v4, v5
	v_xor_b32_e32 v82, v7, v8
	v_xor_b32_e32 v85, v9, v8
	;; [unrolled: 1-line block ×3, first 2 shown]
	v_lshrrev_b32_e32 v8, 4, v0
	v_lshlrev_b32_e32 v9, 1, v67
	s_ashr_i32 s3, s2, 31
	v_or_b32_e32 v10, 1, v9
	v_xor_b32_e32 v9, v8, v9
	s_lshl_b64 s[4:5], s[2:3], 8
	v_xor_b32_e32 v10, v10, v8
	v_lshlrev_b32_e32 v9, 3, v9
	v_lshlrev_b32_e32 v8, 8, v8
	v_lshlrev_b64 v[4:5], 1, v[58:59]
	s_add_u32 s4, s12, s4
	v_or3_b32 v59, v9, v8, s6
	v_lshlrev_b32_e32 v9, 3, v10
	s_addc_u32 s5, s13, s5
	v_or3_b32 v88, v9, v8, s6
	v_mov_b32_e32 v9, 0
	v_lshrrev_b32_e32 v19, 1, v0
	v_lshl_add_u64 v[10:11], s[4:5], 0, v[8:9]
	v_lshlrev_b32_e32 v8, 4, v67
	s_movk_i32 s3, 0xff
	v_lshlrev_b32_e32 v18, 3, v1
	v_and_b32_e32 v19, 24, v19
	v_lshl_add_u64 v[60:61], v[10:11], 0, v[8:9]
	v_and_b32_e32 v8, 7, v0
	v_and_b32_e32 v11, 8, v0
	v_cmp_lt_u32_e32 vcc, s3, v0
	v_xor_b32_e32 v20, v18, v19
	v_lshlrev_b32_e32 v16, 3, v8
	v_lshlrev_b32_e32 v17, 7, v8
	v_cndmask_b32_e64 v8, 0, 1, vcc
	v_or_b32_e32 v21, 0x440, v20
	v_cmp_eq_u32_e32 vcc, 0, v11
	v_or_b32_e32 v23, 64, v19
	v_xor_b32_e32 v23, v18, v23
	v_cndmask_b32_e32 v11, v21, v20, vcc
	v_or_b32_e32 v21, 32, v19
	v_or_b32_e32 v19, 0x60, v19
	v_xor_b32_e32 v21, v18, v21
	v_xor_b32_e32 v18, v18, v19
	v_or_b32_e32 v22, 0x440, v21
	v_xor_b32_e32 v24, 0x440, v23
	v_xor_b32_e32 v19, 0x440, v18
	v_cndmask_b32_e32 v21, v22, v21, vcc
	v_cndmask_b32_e32 v23, v24, v23, vcc
	;; [unrolled: 1-line block ×3, first 2 shown]
	v_and_b32_e32 v7, 0x78, v68
	v_or_b32_e32 v11, v11, v13
	v_or_b32_e32 v21, v21, v13
	v_or_b32_e32 v23, v23, v13
	v_or_b32_e32 v13, v18, v13
	v_and_b32_e32 v12, 12, v26
	v_lshl_or_b32 v7, v66, 7, v7
	v_lshlrev_b32_e32 v8, 13, v8
	v_xor_b32_e32 v11, v11, v16
	v_xor_b32_e32 v21, v21, v16
	;; [unrolled: 1-line block ×4, first 2 shown]
	v_or_b32_e32 v83, 0x9000, v7
	v_or_b32_e32 v87, 0x9800, v7
	v_lshl_add_u64 v[6:7], s[20:21], 0, v[4:5]
	v_lshl_add_u64 v[4:5], s[14:15], 0, v[4:5]
	v_lshlrev_b32_e32 v14, 1, v3
	v_add_lshl_u32 v3, v3, s31, 1
	v_or_b32_e32 v15, 0x100, v2
	v_or_b32_e32 v10, v12, v45
	v_add_u32_e32 v20, v8, v11
	v_add_u32_e32 v22, v8, v21
	;; [unrolled: 1-line block ×4, first 2 shown]
	v_or3_b32 v12, v45, v12, 64
	v_add_u32_e32 v11, 0x2000, v11
	v_add_u32_e32 v18, 0x2000, v21
	v_add_u32_e32 v19, 0x2000, v23
	v_add_u32_e32 v13, 0x2000, v13
	v_lshlrev_b32_e32 v8, 8, v70
	v_cndmask_b32_e64 v89, v14, v2, s[0:1]
	v_cndmask_b32_e64 v90, v3, v15, s[0:1]
	v_lshl_add_u64 v[62:63], v[6:7], 0, v[8:9]
	v_lshl_add_u64 v[64:65], v[4:5], 0, v[8:9]
	s_mov_b32 s3, 0x7060302
	s_movk_i32 s6, 0x4000
	v_lshlrev_b32_e32 v91, 2, v10
	v_add_u32_e32 v92, v20, v17
	v_add_u32_e32 v93, v22, v17
	;; [unrolled: 1-line block ×4, first 2 shown]
	v_lshlrev_b32_e32 v96, 2, v12
	v_add_u32_e32 v97, v11, v17
	v_add_u32_e32 v98, v18, v17
	;; [unrolled: 1-line block ×4, first 2 shown]
	s_waitcnt lgkmcnt(0)
	s_barrier
.LBB513_6:                              ; =>This Inner Loop Header: Depth=1
	s_add_i32 s41, s66, 1
	s_cmp_lt_i32 s41, s55
	s_mov_b64 s[36:37], 0
	s_cselect_b64 s[46:47], -1, 0
	s_cmp_ge_i32 s41, s55
	s_mov_b64 s[4:5], 0
	s_cbranch_scc1 .LBB513_8
; %bb.7:                                ;   in Loop: Header=BB513_6 Depth=1
	s_add_i32 s0, s61, 64
	s_ashr_i32 s1, s0, 31
	s_add_u32 s0, s59, s0
	s_addc_u32 s1, s58, s1
	s_lshl_b64 s[0:1], s[0:1], 8
	s_add_u32 s4, s18, s0
	s_addc_u32 s5, s19, s1
.LBB513_8:                              ;   in Loop: Header=BB513_6 Depth=1
	v_cndmask_b32_e64 v2, 0, 1, s[46:47]
	v_cmp_ne_u32_e64 s[0:1], 1, v2
	s_andn2_b64 vcc, exec, s[46:47]
	s_cbranch_vccnz .LBB513_10
; %bb.9:                                ;   in Loop: Header=BB513_6 Depth=1
	s_add_i32 s36, s61, 64
	s_mul_hi_i32 s37, s36, s30
	s_mul_i32 s36, s36, s30
	s_add_u32 s36, s36, s57
	s_addc_u32 s37, s37, s62
	s_lshl_b64 s[36:37], s[36:37], 8
	s_add_u32 s36, s16, s36
	s_addc_u32 s37, s17, s37
.LBB513_10:                             ;   in Loop: Header=BB513_6 Depth=1
	v_perm_b32 v3, v57, v56, s3
	v_perm_b32 v2, v53, v52, s3
	;; [unrolled: 1-line block ×4, first 2 shown]
	ds_write_b64 v78, v[2:3]
	ds_write_b64 v79, v[4:5]
	;; [unrolled: 1-line block ×4, first 2 shown]
	s_waitcnt lgkmcnt(0)
	s_barrier
	ds_read_b64 v[10:11], v82 offset:16384
	ds_read_b64 v[12:13], v84 offset:16384
	ds_read2st64_b64 v[2:5], v83 offset1:1
	s_waitcnt lgkmcnt(0)
	v_mfma_f32_16x16x16_bf16 a[0:3], v[10:11], v[2:3], 0
	ds_read2st64_b64 v[6:9], v83 offset0:2 offset1:3
	ds_read_b64 v[14:15], v85 offset:16384
	ds_read_b64 v[2:3], v86 offset:16384
	s_add_i32 s43, s61, 63
	v_mfma_f32_16x16x16_bf16 a[0:3], v[12:13], v[4:5], a[0:3]
	s_ashr_i32 s39, s43, 31
	s_mul_i32 s46, s43, s11
	s_mul_hi_u32 s47, s43, s10
	s_waitcnt lgkmcnt(1)
	v_mfma_f32_16x16x16_bf16 a[0:3], v[14:15], v[6:7], a[0:3]
	s_add_i32 s46, s47, s46
	s_mul_i32 s39, s39, s10
	s_add_i32 s47, s46, s39
	s_mul_i32 s46, s43, s10
	s_waitcnt lgkmcnt(0)
	v_mfma_f32_16x16x16_bf16 a[0:3], v[2:3], v[8:9], a[0:3]
	s_lshl_b64 s[46:47], s[46:47], 2
	s_add_u32 s46, s44, s46
	s_addc_u32 s47, s45, s47
	s_and_b64 vcc, exec, s[0:1]
	v_mov_b32_e32 v103, 0
	v_mov_b32_e32 v102, 0
	;; [unrolled: 1-line block ×19, first 2 shown]
	s_cbranch_vccnz .LBB513_12
; %bb.11:                               ;   in Loop: Header=BB513_6 Depth=1
	s_and_b32 s5, s5, 0xffff
	buffer_load_dwordx4 v[14:17], v74, s[4:7], 0 offen
	buffer_load_dwordx4 v[10:13], v74, s[4:7], s63 offen
	;; [unrolled: 1-line block ×4, first 2 shown]
	v_mov_b32_e32 v102, v76
	v_mov_b32_e32 v101, v77
.LBB513_12:                             ;   in Loop: Header=BB513_6 Depth=1
	v_add_u32_e32 v22, s61, v70
	v_ashrrev_i32_e32 v18, 31, v22
	v_mul_lo_u32 v20, v18, s10
	v_mul_lo_u32 v21, v22, s11
	v_mad_u64_u32 v[18:19], s[4:5], v22, s10, 0
	v_add3_u32 v19, v19, v21, v20
	v_lshl_add_u64 v[18:19], v[18:19], 2, s[44:45]
	global_load_dword v36, v[18:19], off
	v_add_u32_e32 v18, 1, v22
	v_ashrrev_i32_e32 v19, 31, v18
	v_mul_lo_u32 v20, v19, s10
	v_mul_lo_u32 v21, v18, s11
	v_mad_u64_u32 v[18:19], s[4:5], v18, s10, 0
	v_add3_u32 v19, v19, v21, v20
	v_add_u32_e32 v20, 2, v22
	v_ashrrev_i32_e32 v21, 31, v20
	v_mul_lo_u32 v23, v21, s10
	v_mul_lo_u32 v24, v20, s11
	v_mad_u64_u32 v[20:21], s[4:5], v20, s10, 0
	v_add_u32_e32 v22, 3, v22
	v_add3_u32 v21, v21, v24, v23
	v_ashrrev_i32_e32 v23, 31, v22
	v_mul_lo_u32 v26, v23, s10
	v_mul_lo_u32 v27, v22, s11
	v_mad_u64_u32 v[22:23], s[4:5], v22, s10, 0
	s_ashr_i32 s5, s61, 31
	s_add_u32 s4, s59, s61
	s_addc_u32 s5, s58, s5
	s_lshl_b64 s[68:69], s[4:5], 8
	v_lshl_add_u64 v[18:19], v[18:19], 2, s[44:45]
	v_lshl_add_u64 v[24:25], v[62:63], 0, s[68:69]
	v_add3_u32 v23, v23, v27, v26
	v_lshl_add_u64 v[20:21], v[20:21], 2, s[44:45]
	global_load_ushort v37, v[24:25], off
	global_load_ushort v38, v[24:25], off offset:256
	global_load_ushort v39, v[24:25], off offset:512
	;; [unrolled: 1-line block ×3, first 2 shown]
	v_lshl_add_u64 v[22:23], v[22:23], 2, s[44:45]
	global_load_dword v41, v[18:19], off
	global_load_dword v42, v[20:21], off
	;; [unrolled: 1-line block ×3, first 2 shown]
	s_load_dword s4, s[46:47], 0x0
	ds_read_b64 v[20:21], v82 offset:24576
	ds_read2st64_b64 v[22:25], v87 offset1:1
	ds_read2st64_b64 v[26:29], v87 offset0:2 offset1:3
	ds_read_b64 v[30:31], v84 offset:24576
	ds_read_b64 v[32:33], v85 offset:24576
	;; [unrolled: 1-line block ×3, first 2 shown]
	s_waitcnt lgkmcnt(0)
	v_mfma_f32_16x16x16_bf16 a[0:3], v[20:21], v[22:23], a[0:3]
	v_mov_b32_e32 v104, 0
	v_mov_b32_e32 v18, 0
	v_mov_b32_e32 v19, 0
	v_mfma_f32_16x16x16_bf16 a[0:3], v[30:31], v[24:25], a[0:3]
	v_lshl_add_u64 v[30:31], v[64:65], 0, s[68:69]
	v_mov_b32_e32 v20, 0
	v_mov_b32_e32 v21, 0
	v_mfma_f32_16x16x16_bf16 a[0:3], v[32:33], v[26:27], a[0:3]
	v_mov_b32_e32 v22, 0
	v_mov_b32_e32 v23, 0
	;; [unrolled: 1-line block ×3, first 2 shown]
	v_mfma_f32_16x16x16_bf16 a[0:3], v[34:35], v[28:29], a[0:3]
	v_mov_b32_e32 v25, 0
	v_mov_b32_e32 v26, 0
	s_and_b64 vcc, exec, s[0:1]
	s_waitcnt vmcnt(7)
	v_sub_f32_e32 v27, s4, v36
	s_nop 1
	v_accvgpr_read_b32 v33, a1
	v_accvgpr_read_b32 v32, a0
	;; [unrolled: 1-line block ×4, first 2 shown]
	s_waitcnt vmcnt(6)
	v_lshlrev_b32_e32 v34, 16, v37
	s_waitcnt vmcnt(5)
	v_lshlrev_b32_e32 v35, 16, v38
	v_exp_f32_e32 v38, v27
	s_waitcnt vmcnt(3)
	v_lshlrev_b32_e32 v37, 16, v40
	s_waitcnt vmcnt(2)
	v_sub_f32_e32 v27, s4, v41
	s_waitcnt vmcnt(1)
	v_sub_f32_e32 v40, s4, v42
	;; [unrolled: 2-line block ×3, first 2 shown]
	v_lshlrev_b32_e32 v36, 16, v39
	v_pk_add_f32 v[32:33], v[34:35], v[32:33] neg_lo:[0,1] neg_hi:[0,1]
	v_exp_f32_e32 v39, v27
	v_exp_f32_e32 v34, v40
	;; [unrolled: 1-line block ×3, first 2 shown]
	v_pk_add_f32 v[28:29], v[36:37], v[28:29] neg_lo:[0,1] neg_hi:[0,1]
	global_store_short_d16_hi v[30:31], v32, off
	global_store_short_d16_hi v[30:31], v33, off offset:256
	global_store_short_d16_hi v[30:31], v28, off offset:512
	;; [unrolled: 1-line block ×3, first 2 shown]
	v_pk_mul_f32 v[30:31], v[38:39], v[32:33]
	v_pk_mul_f32 v[28:29], v[34:35], v[28:29]
	v_perm_b32 v30, v31, v30, s3
	v_perm_b32 v31, v29, v28, s3
	ds_write_b64 v79, v[30:31]
	v_mov_b32_e32 v27, 0
	v_mov_b32_e32 v28, 0
	;; [unrolled: 1-line block ×7, first 2 shown]
	s_cbranch_vccnz .LBB513_14
; %bb.13:                               ;   in Loop: Header=BB513_6 Depth=1
	s_and_b32 s37, s37, 0xffff
	s_mov_b32 s39, s7
	buffer_load_dwordx4 v[30:33], v89, s[36:39], 0 offen
	buffer_load_dwordx4 v[22:25], v89, s[36:39], s63 offen
	;; [unrolled: 1-line block ×4, first 2 shown]
	v_mov_b32_e32 v103, v73
	v_mov_b32_e32 v104, v72
.LBB513_14:                             ;   in Loop: Header=BB513_6 Depth=1
	s_waitcnt lgkmcnt(0)
	s_barrier
	ds_read_b64 v[34:35], v92
	ds_read_b64 v[40:41], v93
	ds_read2st64_b64 v[36:39], v87 offset1:1
	ds_read2st64_b64 v[106:109], v87 offset0:2 offset1:3
	ds_read_b64 v[42:43], v94
	ds_read_b64 v[114:115], v95
	s_add_i32 s5, s60, s66
	s_mul_hi_i32 s37, s5, s29
	s_mul_i32 s5, s5, s29
	s_waitcnt lgkmcnt(3)
	v_mfma_f32_16x16x16_bf16 a[0:3], v[34:35], v[36:37], 0
	ds_read_b64 v[34:35], v97
	s_add_u32 s36, s5, s33
	s_addc_u32 s37, s37, s48
	v_mfma_f32_16x16x16_bf16 a[0:3], v[40:41], v[38:39], a[0:3]
	ds_read_b64 v[40:41], v98
	s_lshl_b64 s[36:37], s[36:37], 15
	s_mul_i32 s39, s43, s29
	s_mul_hi_i32 s5, s43, s29
	s_add_u32 s46, s39, s33
	s_addc_u32 s47, s5, s48
	s_lshl_b64 s[46:47], s[46:47], 9
	s_add_u32 s46, s8, s46
	s_waitcnt lgkmcnt(1)
	v_mfma_f32_16x16x16_bf16 a[4:7], v[34:35], v[36:37], 0
	s_addc_u32 s47, s9, s47
	s_and_b64 vcc, exec, s[0:1]
	v_mfma_f32_16x16x16_bf16 a[0:3], v[42:43], v[106:107], a[0:3]
	ds_read_b64 v[42:43], v99
	ds_read_b64 v[116:117], v100
	global_load_dwordx4 v[34:37], v96, s[46:47]
	s_waitcnt lgkmcnt(2)
	v_mfma_f32_16x16x16_bf16 a[4:7], v[40:41], v[38:39], a[4:7]
	global_load_dwordx4 v[38:41], v91, s[46:47]
	ds_read_b64 v[110:111], v59
	ds_read_b64 v[112:113], v88
	s_waitcnt lgkmcnt(3)
	v_mfma_f32_16x16x16_bf16 a[8:11], v[42:43], v[106:107], a[4:7]
	v_lshl_add_u64 v[42:43], v[60:61], 0, s[36:37]
	s_waitcnt lgkmcnt(0)
	global_store_dwordx4 v[42:43], v[110:113], off
	v_mfma_f32_16x16x16_bf16 a[4:7], v[114:115], v[108:109], a[0:3]
	s_waitcnt vmcnt(2)
	v_mov_b32_e32 v44, v37
	v_mfma_f32_16x16x16_bf16 a[0:3], v[116:117], v[108:109], a[8:11]
	v_mov_b32_e32 v43, v36
	v_mov_b32_e32 v42, v35
	s_cbranch_vccnz .LBB513_16
; %bb.15:                               ;   in Loop: Header=BB513_6 Depth=1
	v_lshrrev_b32_e32 v35, 3, v103
	v_and_b32_e32 v35, 6, v35
	v_xor_b32_e32 v36, v35, v104
	v_lshlrev_b32_e32 v36, 2, v36
	v_and_b32_e32 v37, 8, v103
	v_xor_b32_e32 v103, 0x440, v36
	v_cmp_eq_u32_e32 vcc, 0, v37
	v_perm_b32 v37, v22, v18, s64
	s_nop 0
	v_cndmask_b32_e32 v36, v103, v36, vcc
	v_lshl_or_b32 v35, v35, 10, v36
	v_perm_b32 v36, v30, v26, s64
	s_barrier
	ds_write2st64_b32 v35, v36, v37 offset1:32
	v_xor_b32_e32 v36, 8, v35
	v_perm_b32 v26, v30, v26, s65
	v_perm_b32 v18, v22, v18, s65
	v_add_u32_e32 v22, 0x80, v36
	ds_write2st64_b32 v22, v26, v18 offset1:32
	v_xor_b32_e32 v18, 16, v35
	v_perm_b32 v22, v31, v27, s64
	v_perm_b32 v26, v23, v19, s64
	ds_write2st64_b32 v18, v22, v26 offset0:1 offset1:33
	v_xor_b32_e32 v18, 24, v35
	v_perm_b32 v22, v31, v27, s65
	v_perm_b32 v19, v23, v19, s65
	v_add_u32_e32 v18, 0x80, v18
	ds_write2st64_b32 v18, v22, v19 offset0:1 offset1:33
	v_xor_b32_e32 v18, 32, v35
	v_perm_b32 v19, v32, v28, s64
	v_perm_b32 v22, v24, v20, s64
	ds_write2st64_b32 v18, v19, v22 offset0:2 offset1:34
	v_xor_b32_e32 v18, 40, v35
	v_perm_b32 v19, v32, v28, s65
	v_perm_b32 v20, v24, v20, s65
	v_add_u32_e32 v18, 0x80, v18
	ds_write2st64_b32 v18, v19, v20 offset0:2 offset1:34
	v_xor_b32_e32 v18, 48, v35
	v_perm_b32 v19, v33, v29, s64
	v_perm_b32 v20, v25, v21, s64
	ds_write2st64_b32 v18, v19, v20 offset0:3 offset1:35
	v_xor_b32_e32 v18, 56, v35
	v_perm_b32 v19, v33, v29, s65
	v_perm_b32 v20, v25, v21, s65
	v_add_u32_e32 v18, 0x80, v18
	ds_write2st64_b32 v18, v19, v20 offset0:3 offset1:35
	ds_write_b64 v102, v[14:15] offset:16384
	v_xor_b32_e32 v14, 8, v102
	ds_write_b64 v14, v[16:17] offset:16384
	ds_write_b64 v102, v[10:11] offset:24576
	;; [unrolled: 1-line block ×4, first 2 shown]
	v_xor_b32_e32 v6, 8, v101
	ds_write_b64 v6, v[8:9] offset:16384
	ds_write_b64 v101, v[2:3] offset:24576
	ds_write_b64 v6, v[4:5] offset:24576
.LBB513_16:                             ;   in Loop: Header=BB513_6 Depth=1
	v_exp_f32_e32 v10, s4
	s_waitcnt vmcnt(1)
	v_exp_f32_e32 v12, v38
	v_exp_f32_e32 v13, v39
	;; [unrolled: 1-line block ×4, first 2 shown]
	v_accvgpr_read_b32 v2, a4
	v_accvgpr_read_b32 v3, a5
	v_pk_mul_f32 v[12:13], v[10:11], v[12:13] op_sel_hi:[0,1]
	v_pk_fma_f32 v[52:53], v[52:53], v[12:13], v[2:3]
	v_exp_f32_e32 v12, v34
	v_exp_f32_e32 v13, v42
	v_pk_mul_f32 v[2:3], v[10:11], v[14:15] op_sel_hi:[0,1]
	v_exp_f32_e32 v14, v43
	v_exp_f32_e32 v15, v44
	v_accvgpr_read_b32 v4, a6
	v_accvgpr_read_b32 v5, a7
	;; [unrolled: 1-line block ×5, first 2 shown]
	v_pk_fma_f32 v[56:57], v[56:57], v[2:3], v[4:5]
	v_pk_mul_f32 v[2:3], v[10:11], v[12:13] op_sel_hi:[0,1]
	v_accvgpr_read_b32 v8, a2
	v_pk_fma_f32 v[50:51], v[50:51], v[2:3], v[6:7]
	v_pk_mul_f32 v[2:3], v[10:11], v[14:15] op_sel_hi:[0,1]
	s_add_i32 s61, s61, 64
	s_cmp_eq_u32 s55, s41
	v_pk_fma_f32 v[54:55], v[54:55], v[2:3], v[8:9]
	s_cbranch_scc1 .LBB513_18
; %bb.17:                               ;   in Loop: Header=BB513_6 Depth=1
	s_mov_b32 s66, s41
	s_branch .LBB513_6
.LBB513_18:
	s_lshl_b32 s0, s55, 6
	s_sub_i32 s46, s56, s0
	s_cmp_gt_i32 s46, 0
	s_cbranch_scc0 .LBB513_75
; %bb.19:
	s_add_i32 s34, s0, s34
	s_ashr_i32 s3, s34, 31
	s_cmpk_lg_i32 s31, 0x80
	s_cselect_b64 s[38:39], -1, 0
	s_and_b64 vcc, exec, s[38:39]
	s_cbranch_vccz .LBB513_21
; %bb.20:
	s_mul_i32 s1, s34, s30
	s_ashr_i32 s4, s57, 31
	s_mul_hi_i32 s0, s34, s30
	s_add_u32 s44, s1, s57
	s_addc_u32 s45, s0, s4
	s_cbranch_execz .LBB513_22
	s_branch .LBB513_23
.LBB513_21:
                                        ; implicit-def: $sgpr44_sgpr45
.LBB513_22:
	s_mul_i32 s1, s57, s28
	s_mul_hi_i32 s0, s57, s28
	s_add_u32 s44, s1, s34
	s_addc_u32 s45, s0, s3
.LBB513_23:
	s_waitcnt lgkmcnt(0)
	s_add_i32 s4, s55, s60
	s_add_u32 s0, s59, s34
	s_addc_u32 s1, s58, s3
	s_mov_b32 s3, 0x7060302
	v_lshlrev_b32_e32 v6, 3, v67
	s_lshl_b64 s[36:37], s[0:1], 8
	v_perm_b32 v3, v57, v56, s3
	v_perm_b32 v2, v53, v52, s3
	v_perm_b32 v5, v55, v54, s3
	v_perm_b32 v4, v51, v50, s3
	v_lshlrev_b32_e32 v34, 2, v67
	v_lshl_or_b32 v6, v70, 5, v6
	s_add_u32 s0, s18, s36
	ds_write2st64_b64 v6, v[2:3], v[4:5] offset0:72 offset1:76
	v_xor_b32_e32 v6, v70, v34
	v_lshlrev_b32_e32 v7, 8, v67
	s_addc_u32 s1, s19, s37
	v_lshl_or_b32 v6, v6, 1, v7
	s_mul_hi_i32 s3, s4, s29
	s_mul_i32 s4, s4, s29
	ds_write_b64 v6, v[2:3] offset:32768
	v_xor_b32_e32 v2, v71, v34
	s_add_u32 s4, s4, s33
	v_lshl_or_b32 v2, v2, 1, v7
	s_addc_u32 s5, s3, s48
	v_lshlrev_b32_e32 v3, 1, v67
	ds_write_b64 v2, v[4:5] offset:32768
	v_lshrrev_b32_e32 v2, 4, v0
	s_ashr_i32 s3, s2, 31
	s_lshl_b64 s[4:5], s[4:5], 15
	v_or_b32_e32 v4, 1, v3
	s_add_u32 s4, s12, s4
	v_xor_b32_e32 v3, v2, v3
	v_xor_b32_e32 v4, v4, v2
	v_lshlrev_b32_e32 v6, 8, v2
	s_addc_u32 s5, s13, s5
	s_lshl_b64 s[2:3], s[2:3], 8
	v_lshl_or_b32 v2, v3, 3, v6
	v_lshl_or_b32 v4, v4, 3, v6
	s_waitcnt lgkmcnt(0)
	s_barrier
	s_add_u32 s2, s4, s2
	ds_read_b64 v[2:3], v2 offset:32768
	ds_read_b64 v[4:5], v4 offset:32768
	s_addc_u32 s3, s5, s3
	v_mov_b32_e32 v7, 0
	s_cmp_lg_u32 s46, 64
	v_lshl_add_u64 v[8:9], s[2:3], 0, v[6:7]
	v_lshlrev_b32_e32 v6, 4, v67
	s_cselect_b64 s[18:19], -1, 0
	v_lshl_or_b32 v36, v1, 3, v69
	s_mov_b32 s4, 0
	v_lshl_add_u64 v[6:7], v[8:9], 0, v[6:7]
	v_or_b32_e32 v19, 32, v36
	v_and_b32_e32 v18, 56, v68
	s_and_b64 vcc, exec, s[18:19]
	s_waitcnt lgkmcnt(0)
	global_store_dwordx4 v[6:7], v[2:5], off
	s_cbranch_vccz .LBB513_29
; %bb.24:
	s_mov_b32 s6, s4
	s_mov_b32 s7, s4
	;; [unrolled: 1-line block ×3, first 2 shown]
	v_mov_b64_e32 v[8:9], s[6:7]
	v_mov_b64_e32 v[6:7], s[4:5]
	;; [unrolled: 1-line block ×3, first 2 shown]
	v_cmp_gt_i32_e32 vcc, s46, v36
	v_mov_b64_e32 v[4:5], v[8:9]
	s_and_saveexec_b64 s[2:3], vcc
	s_cbranch_execz .LBB513_26
; %bb.25:
	v_lshlrev_b32_e32 v2, 8, v36
	v_mov_b32_e32 v3, 0
	v_lshl_add_u64 v[4:5], s[0:1], 0, v[2:3]
	v_lshlrev_b32_e32 v2, 1, v18
	v_lshl_add_u64 v[10:11], v[4:5], 0, v[2:3]
	global_load_dwordx4 v[6:9], v[10:11], off
	global_load_dwordx4 v[2:5], v[10:11], off offset:128
.LBB513_26:
	s_or_b64 exec, exec, s[2:3]
	s_mov_b32 s6, s4
	s_mov_b32 s7, s4
	;; [unrolled: 1-line block ×3, first 2 shown]
	v_mov_b64_e32 v[16:17], s[6:7]
	v_mov_b64_e32 v[14:15], s[4:5]
	v_mov_b64_e32 v[10:11], v[14:15]
	v_cmp_gt_i32_e32 vcc, s46, v19
	v_lshlrev_b32_e32 v20, 7, v19
	v_mov_b64_e32 v[12:13], v[16:17]
	s_and_saveexec_b64 s[2:3], vcc
	s_cbranch_execz .LBB513_28
; %bb.27:
	v_lshlrev_b32_e32 v10, 1, v20
	v_mov_b32_e32 v11, 0
	v_lshl_add_u64 v[12:13], s[0:1], 0, v[10:11]
	v_lshlrev_b32_e32 v10, 1, v18
	v_lshl_add_u64 v[22:23], v[12:13], 0, v[10:11]
	global_load_dwordx4 v[14:17], v[22:23], off
	global_load_dwordx4 v[10:13], v[22:23], off offset:128
.LBB513_28:
	s_or_b64 exec, exec, s[2:3]
	v_lshrrev_b32_e32 v21, 3, v18
	v_lshlrev_b32_e32 v22, 3, v36
	v_or_b32_e32 v21, v22, v21
	v_lshlrev_b32_e32 v21, 4, v21
	v_and_b32_e32 v22, 0x78, v22
	v_xor_b32_e32 v21, v21, v22
	s_branch .LBB513_31
.LBB513_29:
                                        ; implicit-def: $vgpr21
                                        ; implicit-def: $vgpr20
                                        ; implicit-def: $vgpr6_vgpr7_vgpr8_vgpr9
                                        ; implicit-def: $vgpr2_vgpr3_vgpr4_vgpr5
                                        ; implicit-def: $vgpr14_vgpr15_vgpr16_vgpr17
                                        ; implicit-def: $vgpr10_vgpr11_vgpr12_vgpr13
	s_cbranch_execz .LBB513_31
; %bb.30:
	s_waitcnt vmcnt(0)
	v_lshlrev_b32_e32 v2, 1, v18
	v_lshl_or_b32 v20, v36, 8, v2
	s_and_b32 s1, s1, 0xffff
	s_mov_b32 s3, 0x20000
	s_movk_i32 s2, 0x4000
	v_lshl_or_b32 v21, v19, 8, v2
	s_movk_i32 s4, 0x80
	buffer_load_dwordx4 v[6:9], v20, s[0:3], 0 offen
	buffer_load_dwordx4 v[2:5], v20, s[0:3], s4 offen
	;; [unrolled: 1-line block ×4, first 2 shown]
	v_lshrrev_b32_e32 v20, 3, v18
	v_lshlrev_b32_e32 v21, 3, v36
	v_or_b32_e32 v20, v21, v20
	v_lshlrev_b32_e32 v20, 4, v20
	v_and_b32_e32 v21, 0x78, v21
	v_xor_b32_e32 v21, v20, v21
	v_lshlrev_b32_e32 v20, 7, v19
.LBB513_31:
	s_lshl_b64 s[0:1], s[44:45], 8
	s_add_u32 s4, s16, s0
	s_movk_i32 s0, 0x1000
	v_and_or_b32 v19, v20, s0, v21
	s_waitcnt vmcnt(1)
	ds_write_b64 v21, v[6:7] offset:16384
	v_xor_b32_e32 v6, 8, v21
	ds_write_b64 v6, v[8:9] offset:16384
	s_waitcnt vmcnt(0)
	ds_write_b64 v21, v[2:3] offset:24576
	ds_write_b64 v6, v[4:5] offset:24576
	;; [unrolled: 1-line block ×3, first 2 shown]
	v_xor_b32_e32 v2, 8, v19
	ds_write_b64 v2, v[16:17] offset:16384
	ds_write_b64 v19, v[10:11] offset:24576
	;; [unrolled: 1-line block ×3, first 2 shown]
	v_or_b32_e32 v2, v45, v67
	v_lshlrev_b32_e32 v2, 3, v2
	v_lshrrev_b32_e32 v4, 5, v49
	s_movk_i32 s6, 0xf8
	v_and_or_b32 v4, v2, s6, v4
	v_lshlrev_b32_e32 v35, 11, v1
	v_lshlrev_b32_e32 v12, 4, v4
	v_and_b32_e32 v13, 0x78, v2
	v_and_b32_e32 v14, 0x1000, v35
	v_lshlrev_b32_e32 v3, 2, v0
	v_xor_b32_e32 v2, v12, v13
	v_lshrrev_b32_e32 v4, 1, v49
	v_and_b32_e32 v3, 60, v3
	v_or_b32_e32 v2, v2, v14
	v_and_b32_e32 v15, 8, v4
	v_xor_b32_e32 v26, v2, v15
	v_lshl_or_b32 v2, v66, 6, v3
	v_lshlrev_b32_e32 v37, 1, v2
	v_or_b32_e32 v2, 32, v12
	v_xor_b32_e32 v2, v2, v13
	s_waitcnt lgkmcnt(0)
	s_barrier
	ds_read_b64 v[10:11], v26 offset:16384
	v_or_b32_e32 v2, v2, v14
	v_xor_b32_e32 v27, v2, v15
	v_or_b32_e32 v2, 64, v12
	v_xor_b32_e32 v2, v2, v13
	v_or_b32_e32 v2, v2, v14
	v_or_b32_e32 v12, 0x60, v12
	v_xor_b32_e32 v28, v2, v15
	ds_read2st64_b64 v[2:5], v37 offset0:72 offset1:73
	ds_read2st64_b64 v[6:9], v37 offset0:74 offset1:75
	v_xor_b32_e32 v16, v12, v13
	ds_read_b64 v[12:13], v27 offset:16384
	s_addc_u32 s5, s17, s1
	s_add_i32 s0, s50, s49
	s_waitcnt lgkmcnt(2)
	v_mfma_f32_16x16x16_bf16 a[0:3], v[10:11], v[2:3], 0
	s_add_i32 s17, s35, -1
	s_add_i32 s43, s0, s51
	s_add_i32 s0, s53, s52
	;; [unrolled: 1-line block ×3, first 2 shown]
	s_ashr_i32 s0, s17, 31
	s_mul_i32 s1, s17, s11
	s_mul_hi_u32 s2, s17, s10
	s_add_i32 s1, s2, s1
	s_mul_i32 s0, s0, s10
	v_or_b32_e32 v14, v16, v14
	s_add_i32 s1, s1, s0
	s_lshl_b64 s[2:3], s[42:43], 2
	v_xor_b32_e32 v38, v14, v15
	ds_read_b64 v[14:15], v28 offset:16384
	ds_read_b64 v[16:17], v38 offset:16384
	s_waitcnt lgkmcnt(2)
	v_mfma_f32_16x16x16_bf16 a[0:3], v[12:13], v[4:5], a[0:3]
	s_add_u32 s6, s22, s2
	s_addc_u32 s7, s23, s3
	s_lshl_b64 s[2:3], s[40:41], 2
	s_mul_i32 s0, s17, s10
	s_add_u32 s12, s6, s2
	s_addc_u32 s13, s7, s3
	s_lshl_b64 s[0:1], s[0:1], 2
	s_waitcnt lgkmcnt(1)
	v_mfma_f32_16x16x16_bf16 a[0:3], v[14:15], v[6:7], a[0:3]
	s_add_u32 s0, s12, s0
	s_addc_u32 s1, s13, s1
	s_load_dword s16, s[0:1], 0x0
	s_waitcnt lgkmcnt(0)
	v_mfma_f32_16x16x16_bf16 a[0:3], v[16:17], v[8:9], a[0:3]
	s_and_b64 vcc, exec, s[38:39]
	s_cbranch_vccz .LBB513_42
; %bb.32:
	v_lshlrev_b32_e32 v19, 1, v36
	s_and_b64 vcc, exec, s[18:19]
	s_cbranch_vccz .LBB513_43
; %bb.33:
	v_cmp_gt_i32_e32 vcc, s46, v19
	v_mov_b32_e32 v6, 0
	v_mov_b32_e32 v2, 0
	;; [unrolled: 1-line block ×5, first 2 shown]
	s_and_saveexec_b64 s[0:1], vcc
	s_cbranch_execz .LBB513_35
; %bb.34:
	v_mad_i64_i32 v[2:3], s[2:3], s31, v19, 0
	v_lshl_add_u64 v[2:3], v[2:3], 1, s[4:5]
	v_lshlrev_b32_e32 v4, 1, v18
	v_mov_b32_e32 v5, 0
	v_lshl_add_u64 v[2:3], v[2:3], 0, v[4:5]
	global_load_dwordx4 v[2:5], v[2:3], off
.LBB513_35:
	s_or_b64 exec, exec, s[0:1]
	v_or_b32_e32 v20, 1, v19
	v_cmp_gt_i32_e64 s[0:1], s46, v20
	v_mov_b32_e32 v7, 0
	v_mov_b32_e32 v8, 0
	;; [unrolled: 1-line block ×3, first 2 shown]
	s_and_saveexec_b64 s[2:3], s[0:1]
	s_cbranch_execz .LBB513_37
; %bb.36:
	v_mad_i64_i32 v[6:7], s[6:7], s31, v20, 0
	v_lshl_add_u64 v[6:7], v[6:7], 1, s[4:5]
	v_lshlrev_b32_e32 v8, 1, v18
	v_mov_b32_e32 v9, 0
	v_lshl_add_u64 v[6:7], v[6:7], 0, v[8:9]
	global_load_dwordx4 v[6:9], v[6:7], off
.LBB513_37:
	s_or_b64 exec, exec, s[2:3]
	v_mov_b32_e32 v17, 0
	v_mov_b32_e32 v10, 0
	;; [unrolled: 1-line block ×5, first 2 shown]
	s_and_saveexec_b64 s[2:3], vcc
	s_cbranch_execz .LBB513_39
; %bb.38:
	v_mad_i64_i32 v[10:11], s[6:7], s31, v19, 0
	v_lshl_add_u64 v[10:11], v[10:11], 1, s[4:5]
	v_lshlrev_b32_e32 v12, 1, v18
	v_mov_b32_e32 v13, 0
	v_lshl_add_u64 v[10:11], v[10:11], 0, v[12:13]
	global_load_dwordx4 v[10:13], v[10:11], off offset:128
.LBB513_39:
	s_or_b64 exec, exec, s[2:3]
	v_mov_b32_e32 v16, 0
	v_mov_b32_e32 v15, 0
	;; [unrolled: 1-line block ×3, first 2 shown]
	s_and_saveexec_b64 s[2:3], s[0:1]
	s_cbranch_execz .LBB513_41
; %bb.40:
	v_mad_i64_i32 v[14:15], s[0:1], s31, v20, 0
	v_lshl_add_u64 v[14:15], v[14:15], 1, s[4:5]
	v_lshlrev_b32_e32 v16, 1, v18
	v_mov_b32_e32 v17, 0
	v_lshl_add_u64 v[14:15], v[14:15], 0, v[16:17]
	global_load_dwordx4 v[14:17], v[14:15], off offset:128
.LBB513_41:
	s_or_b64 exec, exec, s[2:3]
	s_branch .LBB513_45
.LBB513_42:
                                        ; implicit-def: $vgpr5
                                        ; implicit-def: $vgpr9
                                        ; implicit-def: $vgpr13
                                        ; implicit-def: $vgpr17
	v_lshrrev_b32_e32 v19, 2, v49
	s_branch .LBB513_46
.LBB513_43:
                                        ; implicit-def: $vgpr5
                                        ; implicit-def: $vgpr9
                                        ; implicit-def: $vgpr13
                                        ; implicit-def: $vgpr17
	s_cbranch_execz .LBB513_45
; %bb.44:
	s_waitcnt vmcnt(0)
	v_mad_u64_u32 v[2:3], s[0:1], v19, s31, v[18:19]
	v_lshlrev_b32_e32 v19, 1, v2
	s_lshl_b32 s2, s31, 7
	s_and_b32 s1, s5, 0xffff
	s_mov_b32 s3, 0x20000
	s_mov_b32 s0, s4
	v_add_lshl_u32 v20, v2, s31, 1
	s_movk_i32 s6, 0x80
	buffer_load_dwordx4 v[2:5], v19, s[0:3], 0 offen
	buffer_load_dwordx4 v[10:13], v19, s[0:3], s6 offen
	;; [unrolled: 1-line block ×4, first 2 shown]
.LBB513_45:
	v_lshrrev_b32_e32 v19, 2, v49
	s_cbranch_execnz .LBB513_58
.LBB513_46:
	s_and_b64 vcc, exec, s[18:19]
	s_cbranch_vccz .LBB513_56
; %bb.47:
	s_waitcnt vmcnt(0)
	v_lshlrev_b32_e32 v7, 1, v36
	v_cmp_gt_i32_e32 vcc, s46, v7
	v_mov_b32_e32 v6, 0
	v_lshlrev_b32_e32 v14, 9, v36
	v_mov_b32_e32 v2, 0
	v_mov_b32_e32 v3, 0
	;; [unrolled: 1-line block ×4, first 2 shown]
	s_and_saveexec_b64 s[0:1], vcc
	s_cbranch_execz .LBB513_49
; %bb.48:
	v_mov_b32_e32 v15, 0
	v_lshl_add_u64 v[2:3], s[4:5], 0, v[14:15]
	v_lshlrev_b32_e32 v4, 1, v18
	v_mov_b32_e32 v5, v15
	v_lshl_add_u64 v[2:3], v[2:3], 0, v[4:5]
	global_load_dwordx4 v[2:5], v[2:3], off
.LBB513_49:
	s_or_b64 exec, exec, s[0:1]
	v_or_b32_e32 v7, 1, v7
	v_cmp_gt_i32_e64 s[0:1], s46, v7
	v_lshlrev_b32_e32 v20, 8, v7
	v_mov_b32_e32 v7, 0
	v_mov_b32_e32 v8, 0
	;; [unrolled: 1-line block ×3, first 2 shown]
	s_and_saveexec_b64 s[2:3], s[0:1]
	s_cbranch_execz .LBB513_51
; %bb.50:
	v_mov_b32_e32 v21, 0
	v_lshl_add_u64 v[6:7], s[4:5], 0, v[20:21]
	v_lshlrev_b32_e32 v8, 1, v18
	v_mov_b32_e32 v9, v21
	v_lshl_add_u64 v[6:7], v[6:7], 0, v[8:9]
	global_load_dwordx4 v[6:9], v[6:7], off
.LBB513_51:
	s_or_b64 exec, exec, s[2:3]
	v_mov_b32_e32 v17, 0
	v_mov_b32_e32 v10, 0
	;; [unrolled: 1-line block ×5, first 2 shown]
	s_and_saveexec_b64 s[2:3], vcc
	s_cbranch_execz .LBB513_53
; %bb.52:
	v_mov_b32_e32 v15, 0
	v_lshl_add_u64 v[10:11], s[4:5], 0, v[14:15]
	v_lshlrev_b32_e32 v14, 1, v18
	v_lshl_add_u64 v[10:11], v[10:11], 0, v[14:15]
	global_load_dwordx4 v[10:13], v[10:11], off offset:128
.LBB513_53:
	s_or_b64 exec, exec, s[2:3]
	v_mov_b32_e32 v16, 0
	v_mov_b32_e32 v15, 0
	v_mov_b32_e32 v14, 0
	s_and_saveexec_b64 s[2:3], s[0:1]
	s_cbranch_execz .LBB513_55
; %bb.54:
	v_mov_b32_e32 v21, 0
	v_lshl_add_u64 v[14:15], s[4:5], 0, v[20:21]
	v_lshlrev_b32_e32 v20, 1, v18
	v_lshl_add_u64 v[14:15], v[14:15], 0, v[20:21]
	global_load_dwordx4 v[14:17], v[14:15], off offset:128
.LBB513_55:
	s_or_b64 exec, exec, s[2:3]
	s_branch .LBB513_58
.LBB513_56:
                                        ; implicit-def: $vgpr5
                                        ; implicit-def: $vgpr9
                                        ; implicit-def: $vgpr13
                                        ; implicit-def: $vgpr17
	s_cbranch_execz .LBB513_58
; %bb.57:
	s_waitcnt vmcnt(0)
	v_lshlrev_b32_e32 v2, 1, v18
	v_lshl_or_b32 v18, v36, 9, v2
	s_and_b32 s5, s5, 0xffff
	s_mov_b32 s7, 0x20000
	s_movk_i32 s6, 0x4000
	s_movk_i32 s0, 0x80
	buffer_load_dwordx4 v[2:5], v18, s[4:7], 0 offen
	buffer_load_dwordx4 v[6:9], v18, s[4:7], 0 offen offset:256
	buffer_load_dwordx4 v[10:13], v18, s[4:7], s0 offen
	buffer_load_dwordx4 v[14:17], v18, s[4:7], s0 offen offset:256
.LBB513_58:
	v_and_b32_e32 v39, 12, v19
	ds_read2st64_b64 v[22:25], v37 offset0:76 offset1:77
	ds_read2st64_b64 v[18:21], v37 offset0:78 offset1:79
	ds_read_b64 v[32:33], v26 offset:24576
	ds_read_b64 v[30:31], v27 offset:24576
	;; [unrolled: 1-line block ×4, first 2 shown]
	v_and_b32_e32 v38, 6, v0
	v_xor_b32_e32 v36, v36, v38
	v_lshlrev_b32_e32 v36, 2, v36
	v_and_b32_e32 v40, 1, v0
	v_xor_b32_e32 v41, 0x440, v36
	v_cmp_eq_u32_e32 vcc, 0, v40
	s_mov_b32 s0, 0x1000504
	s_waitcnt vmcnt(0)
	v_perm_b32 v40, v10, v14, s0
	v_cndmask_b32_e32 v36, v41, v36, vcc
	v_lshl_or_b32 v36, v38, 10, v36
	v_perm_b32 v38, v2, v6, s0
	ds_write2st64_b32 v36, v38, v40 offset1:32
	v_xor_b32_e32 v38, 8, v36
	s_mov_b32 s1, 0x3020706
	v_perm_b32 v2, v2, v6, s1
	v_perm_b32 v6, v10, v14, s1
	v_add_u32_e32 v10, 0x80, v38
	ds_write2st64_b32 v10, v2, v6 offset1:32
	v_xor_b32_e32 v2, 16, v36
	v_perm_b32 v6, v3, v7, s0
	v_perm_b32 v10, v11, v15, s0
	ds_write2st64_b32 v2, v6, v10 offset0:1 offset1:33
	v_xor_b32_e32 v2, 24, v36
	v_perm_b32 v3, v3, v7, s1
	v_perm_b32 v6, v11, v15, s1
	v_add_u32_e32 v2, 0x80, v2
	ds_write2st64_b32 v2, v3, v6 offset0:1 offset1:33
	v_xor_b32_e32 v2, 32, v36
	v_perm_b32 v3, v4, v8, s0
	v_perm_b32 v6, v12, v16, s0
	ds_write2st64_b32 v2, v3, v6 offset0:2 offset1:34
	v_xor_b32_e32 v2, 40, v36
	v_perm_b32 v3, v4, v8, s1
	v_perm_b32 v4, v12, v16, s1
	v_add_u32_e32 v2, 0x80, v2
	ds_write2st64_b32 v2, v3, v4 offset0:2 offset1:34
	v_xor_b32_e32 v2, 48, v36
	v_perm_b32 v3, v5, v9, s0
	v_perm_b32 v4, v13, v17, s0
	ds_write2st64_b32 v2, v3, v4 offset0:3 offset1:35
	v_xor_b32_e32 v2, 56, v36
	v_or_b32_e32 v10, v39, v45
	v_perm_b32 v3, v5, v9, s1
	v_perm_b32 v4, v13, v17, s1
	v_add_u32_e32 v2, 0x80, v2
	v_cmp_gt_i32_e64 s[2:3], s46, v10
	v_mov_b32_e32 v12, 0
	v_mov_b32_e32 v17, 0
	ds_write2st64_b32 v2, v3, v4 offset0:3 offset1:35
	s_and_saveexec_b64 s[0:1], s[2:3]
	s_cbranch_execz .LBB513_60
; %bb.59:
	v_add_u32_e32 v2, s34, v10
	v_ashrrev_i32_e32 v3, 31, v2
	v_mul_lo_u32 v4, v3, s10
	v_mul_lo_u32 v5, v2, s11
	v_mad_u64_u32 v[2:3], s[4:5], v2, s10, 0
	v_add3_u32 v3, v3, v5, v4
	v_lshl_add_u64 v[2:3], v[2:3], 2, s[12:13]
	global_load_dword v2, v[2:3], off
	s_waitcnt vmcnt(0)
	v_sub_f32_e32 v2, s16, v2
	v_exp_f32_e32 v17, v2
.LBB513_60:
	s_or_b64 exec, exec, s[0:1]
	v_or_b32_e32 v15, 1, v10
	v_cmp_gt_i32_e64 s[4:5], s46, v15
	s_and_saveexec_b64 s[0:1], s[4:5]
	s_cbranch_execz .LBB513_62
; %bb.61:
	v_add_u32_e32 v2, s34, v15
	v_ashrrev_i32_e32 v3, 31, v2
	v_mul_lo_u32 v4, v3, s10
	v_mul_lo_u32 v5, v2, s11
	v_mad_u64_u32 v[2:3], s[6:7], v2, s10, 0
	v_add3_u32 v3, v3, v5, v4
	v_lshl_add_u64 v[2:3], v[2:3], 2, s[12:13]
	global_load_dword v2, v[2:3], off
	s_waitcnt vmcnt(0)
	v_sub_f32_e32 v2, s16, v2
	v_exp_f32_e32 v12, v2
.LBB513_62:
	s_or_b64 exec, exec, s[0:1]
	v_or_b32_e32 v14, 2, v10
	v_cmp_gt_i32_e64 s[0:1], s46, v14
	v_mov_b32_e32 v11, 0
	v_mov_b32_e32 v16, 0
	s_and_saveexec_b64 s[6:7], s[0:1]
	s_cbranch_execz .LBB513_64
; %bb.63:
	v_add_u32_e32 v2, s34, v14
	v_ashrrev_i32_e32 v3, 31, v2
	v_mul_lo_u32 v4, v3, s10
	v_mul_lo_u32 v5, v2, s11
	v_mad_u64_u32 v[2:3], s[18:19], v2, s10, 0
	v_add3_u32 v3, v3, v5, v4
	v_lshl_add_u64 v[2:3], v[2:3], 2, s[12:13]
	global_load_dword v2, v[2:3], off
	s_waitcnt vmcnt(0)
	v_sub_f32_e32 v2, s16, v2
	v_exp_f32_e32 v16, v2
.LBB513_64:
	s_or_b64 exec, exec, s[6:7]
	v_or_b32_e32 v13, 3, v10
	v_cmp_gt_i32_e32 vcc, s46, v13
	s_and_saveexec_b64 s[6:7], vcc
	s_cbranch_execz .LBB513_66
; %bb.65:
	v_add_u32_e32 v2, s34, v13
	v_ashrrev_i32_e32 v3, 31, v2
	v_mul_lo_u32 v4, v3, s10
	v_mul_lo_u32 v5, v2, s11
	v_mad_u64_u32 v[2:3], s[10:11], v2, s10, 0
	v_add3_u32 v3, v3, v5, v4
	v_lshl_add_u64 v[2:3], v[2:3], 2, s[12:13]
	global_load_dword v2, v[2:3], off
	s_waitcnt vmcnt(0)
	v_sub_f32_e32 v2, s16, v2
	v_exp_f32_e32 v11, v2
.LBB513_66:
	s_or_b64 exec, exec, s[6:7]
	s_waitcnt lgkmcnt(11)
	v_mfma_f32_16x16x16_bf16 a[0:3], v[32:33], v[22:23], a[0:3]
	s_add_u32 s6, s20, s36
	v_ashrrev_i32_e32 v59, 31, v58
	s_addc_u32 s7, s21, s37
	s_waitcnt lgkmcnt(10)
	v_mfma_f32_16x16x16_bf16 a[0:3], v[30:31], v[24:25], a[0:3]
	v_lshlrev_b64 v[2:3], 1, v[58:59]
	v_lshl_add_u64 v[6:7], s[6:7], 0, v[2:3]
	s_add_u32 s6, s14, s36
	s_waitcnt lgkmcnt(9)
	v_mfma_f32_16x16x16_bf16 a[0:3], v[28:29], v[18:19], a[0:3]
	s_addc_u32 s7, s15, s37
	v_lshl_add_u64 v[8:9], s[6:7], 0, v[2:3]
	v_mov_b32_e32 v18, 0
	s_waitcnt lgkmcnt(8)
	v_mfma_f32_16x16x16_bf16 a[0:3], v[26:27], v[20:21], a[0:3]
	v_mov_b32_e32 v19, 0
	s_nop 5
	v_accvgpr_read_b32 v5, a3
	v_accvgpr_read_b32 v4, a2
	;; [unrolled: 1-line block ×4, first 2 shown]
	s_and_saveexec_b64 s[6:7], s[2:3]
	s_cbranch_execz .LBB513_68
; %bb.67:
	v_lshlrev_b32_e32 v20, 8, v10
	v_mov_b32_e32 v21, 0
	v_lshl_add_u64 v[22:23], v[6:7], 0, v[20:21]
	global_load_ushort v19, v[22:23], off
	v_lshl_add_u64 v[20:21], v[8:9], 0, v[20:21]
	s_waitcnt vmcnt(0)
	v_lshlrev_b32_e32 v19, 16, v19
	v_sub_f32_e32 v2, v19, v2
	global_store_short_d16_hi v[20:21], v2, off
	v_mul_f32_e32 v2, v17, v2
	v_lshrrev_b32_e32 v19, 16, v2
.LBB513_68:
	s_or_b64 exec, exec, s[6:7]
	s_and_saveexec_b64 s[2:3], s[4:5]
	s_cbranch_execz .LBB513_70
; %bb.69:
	v_lshlrev_b32_e32 v20, 8, v15
	v_mov_b32_e32 v21, 0
	v_lshl_add_u64 v[22:23], v[6:7], 0, v[20:21]
	global_load_ushort v2, v[22:23], off
	v_lshl_add_u64 v[20:21], v[8:9], 0, v[20:21]
	s_waitcnt vmcnt(0)
	v_lshlrev_b32_e32 v2, 16, v2
	v_sub_f32_e32 v2, v2, v3
	global_store_short_d16_hi v[20:21], v2, off
	v_mul_f32_e32 v2, v12, v2
	v_lshrrev_b32_e32 v18, 16, v2
.LBB513_70:
	s_or_b64 exec, exec, s[2:3]
	v_mov_b32_e32 v3, 0
	v_mov_b32_e32 v12, 0
	s_and_saveexec_b64 s[2:3], s[0:1]
	s_cbranch_execz .LBB513_72
; %bb.71:
	v_lshlrev_b32_e32 v14, 8, v14
	v_mov_b32_e32 v15, 0
	v_lshl_add_u64 v[20:21], v[6:7], 0, v[14:15]
	global_load_ushort v2, v[20:21], off
	v_lshl_add_u64 v[14:15], v[8:9], 0, v[14:15]
	s_waitcnt vmcnt(0)
	v_lshlrev_b32_e32 v2, 16, v2
	v_sub_f32_e32 v2, v2, v4
	global_store_short_d16_hi v[14:15], v2, off
	v_mul_f32_e32 v2, v16, v2
	v_lshrrev_b32_e32 v12, 16, v2
.LBB513_72:
	s_or_b64 exec, exec, s[2:3]
	v_or_b32_e32 v2, 0x9800, v37
	s_and_saveexec_b64 s[0:1], vcc
	s_cbranch_execz .LBB513_74
; %bb.73:
	v_lshlrev_b32_e32 v14, 8, v13
	v_mov_b32_e32 v15, 0
	v_lshl_add_u64 v[6:7], v[6:7], 0, v[14:15]
	global_load_ushort v3, v[6:7], off
	v_lshl_add_u64 v[6:7], v[8:9], 0, v[14:15]
	s_waitcnt vmcnt(0)
	v_lshlrev_b32_e32 v3, 16, v3
	v_sub_f32_e32 v3, v3, v5
	global_store_short_d16_hi v[6:7], v3, off
	v_mul_f32_e32 v3, v11, v3
	v_lshrrev_b32_e32 v3, 16, v3
.LBB513_74:
	s_or_b64 exec, exec, s[0:1]
	s_mov_b32 s0, 0x5040100
	v_perm_b32 v5, v3, v12, s0
	v_lshlrev_b32_e32 v3, 1, v34
	v_perm_b32 v4, v18, v19, s0
	v_lshl_or_b32 v3, v10, 5, v3
	s_movk_i32 s2, 0xff
	ds_write_b64 v3, v[4:5] offset:38912
	v_and_b32_e32 v3, 7, v0
	v_cmp_lt_u32_e32 vcc, s2, v0
	v_and_b32_e32 v4, 8, v0
	v_lshlrev_b32_e32 v11, 3, v3
	v_lshlrev_b32_e32 v20, 7, v3
	v_cndmask_b32_e64 v3, 0, 1, vcc
	v_lshrrev_b32_e32 v0, 1, v0
	v_lshlrev_b32_e32 v16, 13, v3
	v_lshlrev_b32_e32 v3, 3, v1
	v_and_b32_e32 v0, 24, v0
	v_xor_b32_e32 v5, v3, v0
	v_or_b32_e32 v6, 0x440, v5
	v_cmp_eq_u32_e32 vcc, 0, v4
	s_waitcnt lgkmcnt(0)
	s_barrier
	v_cndmask_b32_e32 v4, v6, v5, vcc
	v_or_b32_e32 v4, v4, v35
	v_xor_b32_e32 v21, v4, v11
	v_or_b32_e32 v4, 32, v0
	v_xor_b32_e32 v4, v3, v4
	v_or_b32_e32 v5, 0x440, v4
	v_cndmask_b32_e32 v4, v5, v4, vcc
	v_or_b32_e32 v4, v4, v35
	v_xor_b32_e32 v22, v4, v11
	v_or_b32_e32 v4, 64, v0
	v_xor_b32_e32 v4, v3, v4
	v_xor_b32_e32 v5, 0x440, v4
	v_cndmask_b32_e32 v4, v5, v4, vcc
	v_add3_u32 v8, v16, v21, v20
	v_or_b32_e32 v4, v4, v35
	v_or_b32_e32 v0, 0x60, v0
	v_xor_b32_e32 v23, v4, v11
	ds_read2st64_b64 v[4:7], v2 offset1:1
	ds_read2st64_b64 v[12:15], v2 offset0:2 offset1:3
	v_xor_b32_e32 v0, v3, v0
	ds_read_b64 v[2:3], v8
	v_add3_u32 v9, v16, v22, v20
	v_xor_b32_e32 v8, 0x440, v0
	v_cndmask_b32_e32 v0, v8, v0, vcc
	ds_read_b64 v[8:9], v9
	s_mul_i32 s0, s17, s29
	s_mul_hi_i32 s1, s17, s29
	s_add_u32 s0, s0, s33
	v_or_b32_e32 v0, v0, v35
	s_waitcnt lgkmcnt(1)
	v_mfma_f32_16x16x16_bf16 a[0:3], v[2:3], v[4:5], 0
	s_addc_u32 s1, s1, s48
	v_xor_b32_e32 v24, v0, v11
	s_lshl_b64 s[0:1], s[0:1], 9
	v_add3_u32 v17, v16, v23, v20
	v_add3_u32 v0, v16, v24, v20
	s_add_u32 s0, s8, s0
	ds_read_b64 v[16:17], v17
	ds_read_b64 v[18:19], v0
	s_addc_u32 s1, s9, s1
	v_lshlrev_b32_e32 v0, 2, v10
	s_waitcnt lgkmcnt(2)
	v_mfma_f32_16x16x16_bf16 a[0:3], v[8:9], v[6:7], a[0:3]
	global_load_dwordx4 v[8:11], v0, s[0:1]
	v_add_u32_e32 v0, v21, v20
	v_lshlrev_b32_e32 v2, 6, v1
	ds_read_b64 v[0:1], v0 offset:8192
	v_lshlrev_b32_e32 v3, 2, v39
	s_movk_i32 s2, 0x100
	v_or3_b32 v2, v2, v3, s2
	v_add_u32_e32 v3, v22, v20
	v_add_u32_e32 v21, v23, v20
	;; [unrolled: 1-line block ×3, first 2 shown]
	s_waitcnt lgkmcnt(2)
	v_mfma_f32_16x16x16_bf16 a[0:3], v[16:17], v[12:13], a[0:3]
	ds_read_b64 v[16:17], v3 offset:8192
	ds_read_b64 v[20:21], v21 offset:8192
	;; [unrolled: 1-line block ×3, first 2 shown]
	v_exp_f32_e32 v24, s16
	s_waitcnt vmcnt(0)
	v_exp_f32_e32 v10, v10
	s_waitcnt lgkmcnt(3)
	v_mfma_f32_16x16x16_bf16 a[4:7], v[0:1], v[4:5], 0
	global_load_dwordx4 v[0:3], v2, s[0:1]
	v_exp_f32_e32 v11, v11
	v_exp_f32_e32 v8, v8
	v_mfma_f32_16x16x16_bf16 a[0:3], v[18:19], v[14:15], a[0:3]
	v_exp_f32_e32 v9, v9
	v_pk_mul_f32 v[10:11], v[24:25], v[10:11] op_sel_hi:[0,1]
	v_pk_mul_f32 v[8:9], v[24:25], v[8:9] op_sel_hi:[0,1]
	s_waitcnt vmcnt(0)
	v_exp_f32_e32 v0, v0
	s_nop 1
	v_accvgpr_read_b32 v19, a1
	v_accvgpr_read_b32 v5, a3
	;; [unrolled: 1-line block ×4, first 2 shown]
	s_waitcnt lgkmcnt(2)
	v_mfma_f32_16x16x16_bf16 a[0:3], v[16:17], v[6:7], a[4:7]
	v_pk_fma_f32 v[56:57], v[56:57], v[10:11], v[4:5]
	v_mov_b32_e32 v4, v3
	v_mov_b32_e32 v3, v2
	s_waitcnt lgkmcnt(1)
	v_mfma_f32_16x16x16_bf16 a[0:3], v[20:21], v[12:13], a[0:3]
	v_mov_b32_e32 v2, v1
	v_exp_f32_e32 v1, v2
	v_exp_f32_e32 v2, v3
	s_waitcnt lgkmcnt(0)
	v_mfma_f32_16x16x16_bf16 a[0:3], v[22:23], v[14:15], a[0:3]
	v_exp_f32_e32 v3, v4
	v_pk_mul_f32 v[0:1], v[24:25], v[0:1] op_sel_hi:[0,1]
	v_pk_fma_f32 v[52:53], v[52:53], v[8:9], v[18:19]
	s_nop 3
	v_accvgpr_read_b32 v7, a1
	v_accvgpr_read_b32 v6, a0
	;; [unrolled: 1-line block ×4, first 2 shown]
	v_pk_fma_f32 v[50:51], v[50:51], v[0:1], v[6:7]
	v_pk_mul_f32 v[0:1], v[24:25], v[2:3] op_sel_hi:[0,1]
	v_pk_fma_f32 v[54:55], v[54:55], v[0:1], v[4:5]
.LBB513_75:
	s_add_u32 s0, s24, s26
	s_addc_u32 s1, s25, s27
	v_lshl_add_u64 v[0:1], v[46:47], 1, s[0:1]
	v_mov_b32_e32 v49, 0
	s_mov_b32 s0, 0x7060302
	v_lshl_add_u64 v[0:1], v[0:1], 0, v[48:49]
	v_perm_b32 v3, v57, v56, s0
	v_perm_b32 v2, v53, v52, s0
	global_store_dwordx2 v[0:1], v[2:3], off
	v_perm_b32 v3, v55, v54, s0
	v_perm_b32 v2, v51, v50, s0
	global_store_dwordx2 v[0:1], v[2:3], off offset:128
	s_endpgm
	.section	.rodata,"a",@progbits
	.p2align	6, 0x0
	.amdhsa_kernel _ZN12_GLOBAL__N_139chunk_gated_delta_rule_fwd_h_hip_kernelILi16ELb1ELb1ELb1ELb1ELb1ELb1ELb1ELb1EEEvPK12hip_bfloat16S3_S3_PKfS5_PKvPS1_S8_PvPKiSB_iiiiilll
		.amdhsa_group_segment_fixed_size 40960
		.amdhsa_private_segment_fixed_size 0
		.amdhsa_kernarg_size 136
		.amdhsa_user_sgpr_count 2
		.amdhsa_user_sgpr_dispatch_ptr 0
		.amdhsa_user_sgpr_queue_ptr 0
		.amdhsa_user_sgpr_kernarg_segment_ptr 1
		.amdhsa_user_sgpr_dispatch_id 0
		.amdhsa_user_sgpr_kernarg_preload_length 0
		.amdhsa_user_sgpr_kernarg_preload_offset 0
		.amdhsa_user_sgpr_private_segment_size 0
		.amdhsa_uses_dynamic_stack 0
		.amdhsa_enable_private_segment 0
		.amdhsa_system_sgpr_workgroup_id_x 1
		.amdhsa_system_sgpr_workgroup_id_y 1
		.amdhsa_system_sgpr_workgroup_id_z 0
		.amdhsa_system_sgpr_workgroup_info 0
		.amdhsa_system_vgpr_workitem_id 0
		.amdhsa_next_free_vgpr 132
		.amdhsa_next_free_sgpr 70
		.amdhsa_accum_offset 120
		.amdhsa_reserve_vcc 1
		.amdhsa_float_round_mode_32 0
		.amdhsa_float_round_mode_16_64 0
		.amdhsa_float_denorm_mode_32 3
		.amdhsa_float_denorm_mode_16_64 3
		.amdhsa_dx10_clamp 1
		.amdhsa_ieee_mode 1
		.amdhsa_fp16_overflow 0
		.amdhsa_tg_split 0
		.amdhsa_exception_fp_ieee_invalid_op 0
		.amdhsa_exception_fp_denorm_src 0
		.amdhsa_exception_fp_ieee_div_zero 0
		.amdhsa_exception_fp_ieee_overflow 0
		.amdhsa_exception_fp_ieee_underflow 0
		.amdhsa_exception_fp_ieee_inexact 0
		.amdhsa_exception_int_div_zero 0
	.end_amdhsa_kernel
	.section	.text._ZN12_GLOBAL__N_139chunk_gated_delta_rule_fwd_h_hip_kernelILi16ELb1ELb1ELb1ELb1ELb1ELb1ELb1ELb1EEEvPK12hip_bfloat16S3_S3_PKfS5_PKvPS1_S8_PvPKiSB_iiiiilll,"axG",@progbits,_ZN12_GLOBAL__N_139chunk_gated_delta_rule_fwd_h_hip_kernelILi16ELb1ELb1ELb1ELb1ELb1ELb1ELb1ELb1EEEvPK12hip_bfloat16S3_S3_PKfS5_PKvPS1_S8_PvPKiSB_iiiiilll,comdat
.Lfunc_end513:
	.size	_ZN12_GLOBAL__N_139chunk_gated_delta_rule_fwd_h_hip_kernelILi16ELb1ELb1ELb1ELb1ELb1ELb1ELb1ELb1EEEvPK12hip_bfloat16S3_S3_PKfS5_PKvPS1_S8_PvPKiSB_iiiiilll, .Lfunc_end513-_ZN12_GLOBAL__N_139chunk_gated_delta_rule_fwd_h_hip_kernelILi16ELb1ELb1ELb1ELb1ELb1ELb1ELb1ELb1EEEvPK12hip_bfloat16S3_S3_PKfS5_PKvPS1_S8_PvPKiSB_iiiiilll
                                        ; -- End function
	.section	.AMDGPU.csdata,"",@progbits
; Kernel info:
; codeLenInByte = 8096
; NumSgprs: 76
; NumVgprs: 118
; NumAgprs: 12
; TotalNumVgprs: 132
; ScratchSize: 0
; MemoryBound: 0
; FloatMode: 240
; IeeeMode: 1
; LDSByteSize: 40960 bytes/workgroup (compile time only)
; SGPRBlocks: 9
; VGPRBlocks: 16
; NumSGPRsForWavesPerEU: 76
; NumVGPRsForWavesPerEU: 132
; AccumOffset: 120
; Occupancy: 1
; WaveLimiterHint : 1
; COMPUTE_PGM_RSRC2:SCRATCH_EN: 0
; COMPUTE_PGM_RSRC2:USER_SGPR: 2
; COMPUTE_PGM_RSRC2:TRAP_HANDLER: 0
; COMPUTE_PGM_RSRC2:TGID_X_EN: 1
; COMPUTE_PGM_RSRC2:TGID_Y_EN: 1
; COMPUTE_PGM_RSRC2:TGID_Z_EN: 0
; COMPUTE_PGM_RSRC2:TIDIG_COMP_CNT: 0
; COMPUTE_PGM_RSRC3_GFX90A:ACCUM_OFFSET: 29
; COMPUTE_PGM_RSRC3_GFX90A:TG_SPLIT: 0
	.section	.text._ZN12_GLOBAL__N_139chunk_gated_delta_rule_fwd_h_hip_kernelILi16ELb1ELb1ELb0ELb1ELb1ELb1ELb1ELb1EEEvPK12hip_bfloat16S3_S3_PKfS5_PKvPS1_S8_PvPKiSB_iiiiilll,"axG",@progbits,_ZN12_GLOBAL__N_139chunk_gated_delta_rule_fwd_h_hip_kernelILi16ELb1ELb1ELb0ELb1ELb1ELb1ELb1ELb1EEEvPK12hip_bfloat16S3_S3_PKfS5_PKvPS1_S8_PvPKiSB_iiiiilll,comdat
	.globl	_ZN12_GLOBAL__N_139chunk_gated_delta_rule_fwd_h_hip_kernelILi16ELb1ELb1ELb0ELb1ELb1ELb1ELb1ELb1EEEvPK12hip_bfloat16S3_S3_PKfS5_PKvPS1_S8_PvPKiSB_iiiiilll ; -- Begin function _ZN12_GLOBAL__N_139chunk_gated_delta_rule_fwd_h_hip_kernelILi16ELb1ELb1ELb0ELb1ELb1ELb1ELb1ELb1EEEvPK12hip_bfloat16S3_S3_PKfS5_PKvPS1_S8_PvPKiSB_iiiiilll
	.p2align	8
	.type	_ZN12_GLOBAL__N_139chunk_gated_delta_rule_fwd_h_hip_kernelILi16ELb1ELb1ELb0ELb1ELb1ELb1ELb1ELb1EEEvPK12hip_bfloat16S3_S3_PKfS5_PKvPS1_S8_PvPKiSB_iiiiilll,@function
_ZN12_GLOBAL__N_139chunk_gated_delta_rule_fwd_h_hip_kernelILi16ELb1ELb1ELb0ELb1ELb1ELb1ELb1ELb1EEEvPK12hip_bfloat16S3_S3_PKfS5_PKvPS1_S8_PvPKiSB_iiiiilll: ; @_ZN12_GLOBAL__N_139chunk_gated_delta_rule_fwd_h_hip_kernelILi16ELb1ELb1ELb0ELb1ELb1ELb1ELb1ELb1EEEvPK12hip_bfloat16S3_S3_PKfS5_PKvPS1_S8_PvPKiSB_iiiiilll
; %bb.0:
	s_load_dwordx4 s[16:19], s[0:1], 0x5c
	s_load_dwordx4 s[24:27], s[0:1], 0x70
	s_abs_i32 s7, s3
	s_ashr_i32 s6, s3, 31
	s_load_dwordx4 s[12:15], s[0:1], 0x40
	s_load_dwordx2 s[4:5], s[0:1], 0x50
	s_waitcnt lgkmcnt(0)
	s_abs_i32 s10, s17
	v_cvt_f32_u32_e32 v1, s10
	s_sub_i32 s8, 0, s10
	s_ashr_i32 s11, s17, 31
	s_xor_b32 s6, s6, s11
	v_rcp_iflag_f32_e32 v1, v1
	v_and_b32_e32 v65, 15, v0
	v_bfe_u32 v64, v0, 4, 2
	v_mov_b32_e32 v49, 0
	v_mul_f32_e32 v1, 0x4f7ffffe, v1
	v_cvt_u32_f32_e32 v1, v1
	v_lshlrev_b32_e32 v66, 3, v0
	v_readfirstlane_b32 s9, v1
	s_mul_i32 s8, s8, s9
	s_mul_hi_u32 s8, s9, s8
	s_add_i32 s9, s9, s8
	s_mul_hi_u32 s8, s7, s9
	s_mul_i32 s9, s8, s10
	s_sub_i32 s7, s7, s9
	s_add_i32 s20, s8, 1
	s_sub_i32 s9, s7, s10
	s_cmp_ge_u32 s7, s10
	s_cselect_b32 s8, s20, s8
	s_cselect_b32 s7, s9, s7
	s_add_i32 s9, s8, 1
	s_cmp_ge_u32 s7, s10
	s_cselect_b32 s7, s9, s8
	s_xor_b32 s7, s7, s6
	s_sub_i32 s28, s7, s6
	s_mul_i32 s36, s28, s17
	s_ashr_i32 s29, s28, 31
	s_sub_i32 s33, s3, s36
	s_lshl_b64 s[6:7], s[28:29], 2
	s_add_u32 s8, s14, s6
	s_addc_u32 s9, s15, s7
	s_add_u32 s30, s4, s6
	s_addc_u32 s31, s5, s7
	s_abs_i32 s3, s18
	v_cvt_f32_u32_e32 v1, s3
	s_load_dwordx2 s[34:35], s[8:9], 0x0
	s_sub_i32 s5, 0, s3
	s_lshl_b32 s2, s2, 4
	v_rcp_iflag_f32_e32 v1, v1
	s_load_dwordx4 s[20:23], s[0:1], 0x20
	s_load_dwordx2 s[40:41], s[0:1], 0x30
	s_waitcnt lgkmcnt(0)
	s_sub_i32 s54, s35, s34
	s_ashr_i32 s4, s54, 31
	v_mul_f32_e32 v1, 0x4f7ffffe, v1
	v_cvt_u32_f32_e32 v1, v1
	s_lshr_b32 s4, s4, 26
	s_add_i32 s4, s54, s4
	s_ashr_i32 s53, s4, 6
	v_readfirstlane_b32 s6, v1
	s_mul_i32 s5, s5, s6
	s_mul_hi_u32 s5, s6, s5
	s_add_i32 s6, s6, s5
	s_mul_hi_u32 s5, s10, s6
	s_mul_i32 s6, s5, s3
	s_ashr_i32 s4, s18, 31
	s_sub_i32 s6, s10, s6
	s_xor_b32 s4, s11, s4
	s_add_i32 s7, s5, 1
	s_sub_i32 s8, s6, s3
	s_cmp_ge_u32 s6, s3
	s_cselect_b32 s5, s7, s5
	s_cselect_b32 s6, s8, s6
	s_add_i32 s7, s5, 1
	s_cmp_ge_u32 s6, s3
	s_cselect_b32 s3, s7, s5
	s_xor_b32 s3, s3, s4
	s_sub_i32 s3, s3, s4
	s_abs_i32 s4, s3
	v_cvt_f32_u32_e32 v1, s4
	s_sub_i32 s6, 0, s4
	s_abs_i32 s5, s33
	s_xor_b32 s3, s33, s3
	v_rcp_iflag_f32_e32 v2, v1
	s_ashr_i32 s3, s3, 31
	v_lshrrev_b32_e32 v1, 6, v0
	v_or_b32_e32 v58, s2, v65
	v_mul_f32_e32 v2, 0x4f7ffffe, v2
	v_cvt_u32_f32_e32 v2, v2
	v_lshlrev_b32_e32 v45, 4, v1
	v_lshlrev_b32_e32 v46, 7, v58
	v_lshl_or_b32 v68, v64, 2, v45
	v_readfirstlane_b32 s7, v2
	s_mul_i32 s6, s6, s7
	s_mul_hi_u32 s6, s7, s6
	s_add_i32 s7, s7, s6
	s_mul_hi_u32 s6, s5, s7
	s_mul_i32 s7, s6, s4
	s_sub_i32 s5, s5, s7
	s_add_i32 s7, s6, 1
	s_sub_i32 s8, s5, s4
	s_cmp_ge_u32 s5, s4
	s_cselect_b32 s6, s7, s6
	s_cselect_b32 s5, s8, s5
	s_add_i32 s7, s6, 1
	s_cmp_ge_u32 s5, s4
	s_cselect_b32 s4, s7, s6
	s_xor_b32 s4, s4, s3
	s_sub_i32 s55, s4, s3
	s_ashr_i32 s46, s33, 31
	s_mul_hi_i32 s3, s28, s17
	s_add_u32 s4, s36, s33
	s_addc_u32 s5, s3, s46
	s_lshl_b64 s[14:15], s[4:5], 15
	s_add_u32 s4, s22, s14
	s_addc_u32 s5, s23, s15
	v_ashrrev_i32_e32 v47, 31, v46
	v_lshl_add_u64 v[2:3], v[46:47], 1, s[4:5]
	v_lshlrev_b32_e32 v48, 1, v68
	v_lshl_add_u64 v[2:3], v[2:3], 0, v[48:49]
	global_load_dwordx2 v[4:5], v[2:3], off
	global_load_dwordx2 v[6:7], v[2:3], off offset:128
	s_load_dwordx8 s[4:11], s[0:1], 0x0
	s_load_dwordx2 s[22:23], s[0:1], 0x80
	s_load_dword s58, s[30:31], 0x0
	v_and_b32_e32 v49, 63, v0
	v_lshrrev_b32_e32 v67, 3, v49
	v_or_b32_e32 v69, 64, v68
	s_mul_i32 s47, s28, s25
	s_mul_hi_u32 s48, s28, s24
	s_mul_i32 s38, s28, s24
	s_mul_i32 s49, s29, s24
	s_mul_hi_i32 s56, s33, s16
	s_mul_i32 s57, s33, s16
	s_mul_i32 s50, s33, s27
	s_mul_hi_u32 s51, s33, s26
	s_mul_i32 s52, s46, s26
	s_cmp_lt_i32 s54, 64
	s_mul_i32 s36, s33, s26
	s_waitcnt vmcnt(1)
	v_and_b32_e32 v53, 0xffff0000, v4
	v_lshlrev_b32_e32 v52, 16, v4
	v_and_b32_e32 v57, 0xffff0000, v5
	v_lshlrev_b32_e32 v56, 16, v5
	s_waitcnt vmcnt(0)
	v_and_b32_e32 v51, 0xffff0000, v6
	v_lshlrev_b32_e32 v50, 16, v6
	v_and_b32_e32 v55, 0xffff0000, v7
	v_lshlrev_b32_e32 v54, 16, v7
	s_cbranch_scc1 .LBB514_18
; %bb.1:
	s_ashr_i32 s1, s34, 31
	s_add_u32 s0, s57, s34
	s_addc_u32 s1, s56, s1
	s_lshl_b64 s[0:1], s[0:1], 8
	v_and_b32_e32 v71, 56, v66
	s_waitcnt lgkmcnt(0)
	s_add_u32 s24, s6, s0
	v_lshl_or_b32 v70, v1, 3, v67
	v_lshlrev_b32_e32 v2, 1, v71
	s_addc_u32 s0, s7, s1
	v_lshl_or_b32 v72, v70, 8, v2
	s_and_b32 s25, s0, 0xffff
	s_mov_b32 s27, 0x20000
	s_movk_i32 s26, 0x4000
	s_movk_i32 s0, 0x80
	v_or_b32_e32 v73, 0x2000, v72
	buffer_load_dwordx4 v[4:7], v72, s[24:27], 0 offen
	buffer_load_dwordx4 v[8:11], v72, s[24:27], s0 offen
	;; [unrolled: 1-line block ×4, first 2 shown]
	v_lshlrev_b32_e32 v3, 3, v70
	v_and_or_b32 v21, v0, 7, v3
	v_and_b32_e32 v3, 0x78, v3
	v_lshlrev_b32_e32 v21, 4, v21
	v_xor_b32_e32 v74, v21, v3
	v_mul_lo_u32 v20, v70, s19
	v_or_b32_e32 v75, 0x1000, v74
	v_xor_b32_e32 v3, 8, v74
	s_cmpk_eq_i32 s19, 0x80
	s_mov_b32 s59, s34
	v_xor_b32_e32 v21, 8, v75
	s_cselect_b64 s[0:1], -1, 0
	s_cmpk_lg_i32 s19, 0x80
	s_waitcnt vmcnt(3)
	ds_write_b64 v74, v[4:5] offset:16384
	ds_write_b64 v3, v[6:7] offset:16384
	s_waitcnt vmcnt(2)
	ds_write_b64 v74, v[8:9] offset:24576
	ds_write_b64 v3, v[10:11] offset:24576
	;; [unrolled: 3-line block ×4, first 2 shown]
	v_lshl_add_u32 v3, v20, 1, v71
	s_cbranch_scc0 .LBB514_3
; %bb.2:
	v_lshlrev_b32_e32 v5, 1, v3
	v_add_lshl_u32 v4, v3, s19, 1
	s_lshl_b32 s26, s19, 7
	v_lshl_or_b32 v2, v70, 9, v2
	s_cbranch_execz .LBB514_4
	s_branch .LBB514_5
.LBB514_3:
                                        ; implicit-def: $vgpr4
                                        ; implicit-def: $vgpr5
                                        ; implicit-def: $sgpr26
	v_lshl_or_b32 v2, v70, 9, v2
.LBB514_4:
	v_or_b32_e32 v4, 0x100, v2
	s_movk_i32 s26, 0x4000
	v_mov_b32_e32 v5, v2
.LBB514_5:
	s_mul_i32 s24, s34, s18
	s_ashr_i32 s60, s55, 31
	s_mul_hi_i32 s3, s34, s18
	s_add_u32 s24, s24, s55
	s_addc_u32 s25, s3, s60
	s_lshl_b64 s[24:25], s[24:25], 8
	s_add_u32 s24, s4, s24
	s_addc_u32 s3, s5, s25
	s_and_b32 s25, s3, 0xffff
	s_movk_i32 s61, 0x80
	buffer_load_dwordx4 v[6:9], v5, s[24:27], 0 offen
	buffer_load_dwordx4 v[10:13], v5, s[24:27], s61 offen
	;; [unrolled: 1-line block ×4, first 2 shown]
	v_and_b32_e32 v4, 6, v0
	v_lshlrev_b32_e32 v22, 2, v65
	v_lshlrev_b32_e32 v23, 3, v65
	v_xor_b32_e32 v27, v70, v4
	v_and_b32_e32 v5, 1, v0
	v_lshl_or_b32 v23, v68, 5, v23
	v_xor_b32_e32 v28, v68, v22
	v_lshlrev_b32_e32 v27, 2, v27
	s_add_i32 s3, s48, s47
	v_or_b32_e32 v76, 0x9000, v23
	v_or_b32_e32 v77, 0x9800, v23
	v_lshlrev_b32_e32 v23, 1, v28
	v_xor_b32_e32 v28, 0x440, v27
	v_cmp_eq_u32_e32 vcc, 0, v5
	s_add_i32 s24, s51, s50
	s_add_i32 s39, s3, s49
	v_cndmask_b32_e32 v5, v28, v27, vcc
	s_add_i32 s37, s24, s52
	s_lshl_b64 s[24:25], s[38:39], 2
	s_mov_b32 s62, 0x1000504
	s_mov_b32 s63, 0x3020706
	v_lshlrev_b32_e32 v24, 8, v65
	s_mov_b32 s26, 0x8000
	v_xor_b32_e32 v22, v69, v22
	v_lshl_or_b32 v4, v4, 10, v5
	s_add_u32 s3, s10, s24
	v_or_b32_e32 v25, v45, v65
	v_lshlrev_b32_e32 v22, 1, v22
	v_or3_b32 v78, v23, v24, s26
	v_xor_b32_e32 v5, 8, v4
	v_xor_b32_e32 v23, 24, v4
	;; [unrolled: 1-line block ×4, first 2 shown]
	s_addc_u32 s28, s11, s25
	s_lshl_b64 s[24:25], s[36:37], 2
	v_or3_b32 v79, v22, v24, s26
	v_xor_b32_e32 v22, 16, v4
	v_xor_b32_e32 v24, 32, v4
	;; [unrolled: 1-line block ×3, first 2 shown]
	v_add_u32_e32 v5, 0x80, v5
	v_add_u32_e32 v23, 0x80, v23
	;; [unrolled: 1-line block ×4, first 2 shown]
	s_add_u32 s42, s3, s24
	s_movk_i32 s3, 0xf8
	s_addc_u32 s43, s28, s25
	v_ashrrev_i32_e32 v59, 31, v58
	s_lshl_b32 s30, s19, 7
	v_lshrrev_b32_e32 v26, 2, v49
	s_mov_b32 s64, 0
	s_waitcnt vmcnt(1)
	v_perm_b32 v30, v6, v14, s62
	s_waitcnt vmcnt(0)
	v_perm_b32 v31, v10, v18, s62
	v_perm_b32 v6, v6, v14, s63
	;; [unrolled: 1-line block ×15, first 2 shown]
	ds_write2st64_b32 v4, v30, v31 offset1:32
	ds_write2st64_b32 v5, v6, v10 offset1:32
	ds_write2st64_b32 v22, v14, v18 offset0:1 offset1:33
	ds_write2st64_b32 v23, v7, v11 offset0:1 offset1:33
	;; [unrolled: 1-line block ×6, first 2 shown]
	v_lshlrev_b32_e32 v4, 3, v25
	v_lshrrev_b32_e32 v6, 5, v49
	v_and_or_b32 v6, v4, s3, v6
	v_lshlrev_b32_e32 v6, 4, v6
	v_lshlrev_b32_e32 v11, 11, v1
	v_and_b32_e32 v4, 0x78, v4
	v_or_b32_e32 v9, 32, v6
	v_and_b32_e32 v5, 0x1000, v11
	v_xor_b32_e32 v7, v6, v4
	v_lshrrev_b32_e32 v8, 1, v49
	v_xor_b32_e32 v9, v9, v4
	v_or_b32_e32 v7, v7, v5
	v_and_b32_e32 v8, 8, v8
	v_or_b32_e32 v9, v9, v5
	v_xor_b32_e32 v80, v7, v8
	v_and_b32_e32 v7, 0x78, v66
	v_xor_b32_e32 v82, v9, v8
	v_or_b32_e32 v9, 64, v6
	v_or_b32_e32 v6, 0x60, v6
	v_lshl_or_b32 v7, v64, 7, v7
	v_xor_b32_e32 v9, v9, v4
	v_xor_b32_e32 v4, v6, v4
	v_or_b32_e32 v81, 0x9000, v7
	v_or_b32_e32 v9, v9, v5
	;; [unrolled: 1-line block ×4, first 2 shown]
	v_lshrrev_b32_e32 v6, 4, v0
	v_lshlrev_b32_e32 v7, 1, v65
	v_xor_b32_e32 v83, v9, v8
	v_xor_b32_e32 v84, v4, v8
	s_ashr_i32 s3, s2, 31
	v_or_b32_e32 v8, 1, v7
	v_xor_b32_e32 v7, v6, v7
	s_lshl_b64 s[24:25], s[2:3], 8
	v_xor_b32_e32 v8, v8, v6
	v_lshlrev_b32_e32 v7, 3, v7
	v_lshlrev_b32_e32 v6, 8, v6
	v_lshl_add_u64 v[4:5], v[58:59], 1, s[8:9]
	s_add_u32 s24, s40, s24
	v_or3_b32 v59, v7, v6, s26
	v_lshlrev_b32_e32 v7, 3, v8
	s_addc_u32 s25, s41, s25
	v_or3_b32 v86, v7, v6, s26
	v_mov_b32_e32 v7, 0
	v_lshrrev_b32_e32 v17, 1, v0
	v_lshl_add_u64 v[8:9], s[24:25], 0, v[6:7]
	v_lshlrev_b32_e32 v6, 4, v65
	s_movk_i32 s3, 0xff
	v_lshlrev_b32_e32 v16, 3, v1
	v_and_b32_e32 v17, 24, v17
	v_lshl_add_u64 v[60:61], v[8:9], 0, v[6:7]
	v_and_b32_e32 v6, 7, v0
	v_and_b32_e32 v9, 8, v0
	v_cmp_lt_u32_e32 vcc, s3, v0
	v_xor_b32_e32 v18, v16, v17
	v_lshlrev_b32_e32 v14, 3, v6
	v_lshlrev_b32_e32 v15, 7, v6
	v_cndmask_b32_e64 v6, 0, 1, vcc
	v_or_b32_e32 v19, 0x440, v18
	v_cmp_eq_u32_e32 vcc, 0, v9
	v_or_b32_e32 v21, 64, v17
	v_xor_b32_e32 v21, v16, v21
	v_cndmask_b32_e32 v9, v19, v18, vcc
	v_or_b32_e32 v19, 32, v17
	v_or_b32_e32 v17, 0x60, v17
	v_xor_b32_e32 v19, v16, v19
	v_xor_b32_e32 v16, v16, v17
	v_or_b32_e32 v20, 0x440, v19
	v_xor_b32_e32 v22, 0x440, v21
	v_xor_b32_e32 v17, 0x440, v16
	v_cndmask_b32_e32 v19, v20, v19, vcc
	v_cndmask_b32_e32 v21, v22, v21, vcc
	v_cndmask_b32_e32 v16, v17, v16, vcc
	v_or_b32_e32 v9, v9, v11
	v_or_b32_e32 v19, v19, v11
	;; [unrolled: 1-line block ×4, first 2 shown]
	v_and_b32_e32 v10, 12, v26
	v_lshlrev_b32_e32 v6, 13, v6
	v_xor_b32_e32 v9, v9, v14
	v_xor_b32_e32 v19, v19, v14
	;; [unrolled: 1-line block ×4, first 2 shown]
	v_lshlrev_b32_e32 v12, 1, v3
	v_add_lshl_u32 v3, v3, s19, 1
	v_or_b32_e32 v13, 0x100, v2
	v_or_b32_e32 v8, v10, v45
	v_add_u32_e32 v18, v6, v9
	v_add_u32_e32 v20, v6, v19
	;; [unrolled: 1-line block ×4, first 2 shown]
	v_or3_b32 v10, v45, v10, 64
	v_add_u32_e32 v9, 0x2000, v9
	v_add_u32_e32 v16, 0x2000, v19
	;; [unrolled: 1-line block ×4, first 2 shown]
	v_lshlrev_b32_e32 v6, 8, v68
	v_cndmask_b32_e64 v87, v12, v2, s[0:1]
	v_cndmask_b32_e64 v88, v3, v13, s[0:1]
	v_lshl_add_u64 v[62:63], v[4:5], 0, v[6:7]
	s_mov_b32 s3, 0x7060302
	s_movk_i32 s26, 0x4000
	v_lshlrev_b32_e32 v89, 2, v8
	v_add_u32_e32 v90, v18, v15
	v_add_u32_e32 v91, v20, v15
	;; [unrolled: 1-line block ×4, first 2 shown]
	v_lshlrev_b32_e32 v94, 2, v10
	v_add_u32_e32 v95, v9, v15
	v_add_u32_e32 v96, v16, v15
	;; [unrolled: 1-line block ×4, first 2 shown]
	s_waitcnt lgkmcnt(0)
	s_barrier
.LBB514_6:                              ; =>This Inner Loop Header: Depth=1
	s_add_i32 s37, s64, 1
	s_cmp_lt_i32 s37, s53
	s_mov_b64 s[28:29], 0
	s_cselect_b64 s[44:45], -1, 0
	s_cmp_ge_i32 s37, s53
	s_mov_b64 s[24:25], 0
	s_cbranch_scc1 .LBB514_8
; %bb.7:                                ;   in Loop: Header=BB514_6 Depth=1
	s_add_i32 s0, s59, 64
	s_ashr_i32 s1, s0, 31
	s_add_u32 s0, s57, s0
	s_addc_u32 s1, s56, s1
	s_lshl_b64 s[0:1], s[0:1], 8
	s_add_u32 s24, s6, s0
	s_addc_u32 s25, s7, s1
.LBB514_8:                              ;   in Loop: Header=BB514_6 Depth=1
	v_cndmask_b32_e64 v2, 0, 1, s[44:45]
	v_cmp_ne_u32_e64 s[0:1], 1, v2
	s_andn2_b64 vcc, exec, s[44:45]
	s_cbranch_vccnz .LBB514_10
; %bb.9:                                ;   in Loop: Header=BB514_6 Depth=1
	s_add_i32 s28, s59, 64
	s_mul_hi_i32 s29, s28, s18
	s_mul_i32 s28, s28, s18
	s_add_u32 s28, s28, s55
	s_addc_u32 s29, s29, s60
	s_lshl_b64 s[28:29], s[28:29], 8
	s_add_u32 s28, s4, s28
	s_addc_u32 s29, s5, s29
.LBB514_10:                             ;   in Loop: Header=BB514_6 Depth=1
	v_perm_b32 v3, v57, v56, s3
	v_perm_b32 v2, v53, v52, s3
	;; [unrolled: 1-line block ×4, first 2 shown]
	ds_write_b64 v76, v[2:3]
	ds_write_b64 v77, v[4:5]
	;; [unrolled: 1-line block ×4, first 2 shown]
	s_waitcnt lgkmcnt(0)
	s_barrier
	ds_read_b64 v[10:11], v80 offset:16384
	ds_read_b64 v[12:13], v82 offset:16384
	ds_read2st64_b64 v[2:5], v81 offset1:1
	s_waitcnt lgkmcnt(0)
	v_mfma_f32_16x16x16_bf16 a[0:3], v[10:11], v[2:3], 0
	ds_read2st64_b64 v[6:9], v81 offset0:2 offset1:3
	ds_read_b64 v[14:15], v83 offset:16384
	ds_read_b64 v[2:3], v84 offset:16384
	s_add_i32 s39, s59, 63
	v_mfma_f32_16x16x16_bf16 a[0:3], v[12:13], v[4:5], a[0:3]
	s_ashr_i32 s31, s39, 31
	s_mul_i32 s44, s39, s23
	s_mul_hi_u32 s45, s39, s22
	s_waitcnt lgkmcnt(1)
	v_mfma_f32_16x16x16_bf16 a[0:3], v[14:15], v[6:7], a[0:3]
	s_add_i32 s44, s45, s44
	s_mul_i32 s31, s31, s22
	s_add_i32 s45, s44, s31
	s_mul_i32 s44, s39, s22
	s_waitcnt lgkmcnt(0)
	v_mfma_f32_16x16x16_bf16 a[0:3], v[2:3], v[8:9], a[0:3]
	s_lshl_b64 s[44:45], s[44:45], 2
	s_add_u32 s44, s42, s44
	s_addc_u32 s45, s43, s45
	s_and_b64 vcc, exec, s[0:1]
	v_mov_b32_e32 v101, 0
	v_mov_b32_e32 v100, 0
	v_mov_b32_e32 v99, 0
	v_mov_b32_e32 v2, 0
	v_mov_b32_e32 v3, 0
	v_mov_b32_e32 v4, 0
	v_mov_b32_e32 v5, 0
	v_mov_b32_e32 v6, 0
	v_mov_b32_e32 v7, 0
	v_mov_b32_e32 v8, 0
	v_mov_b32_e32 v9, 0
	v_mov_b32_e32 v10, 0
	v_mov_b32_e32 v11, 0
	v_mov_b32_e32 v12, 0
	v_mov_b32_e32 v13, 0
	v_mov_b32_e32 v14, 0
	v_mov_b32_e32 v15, 0
	v_mov_b32_e32 v16, 0
	v_mov_b32_e32 v17, 0
	s_cbranch_vccnz .LBB514_12
; %bb.11:                               ;   in Loop: Header=BB514_6 Depth=1
	s_and_b32 s25, s25, 0xffff
	buffer_load_dwordx4 v[14:17], v72, s[24:27], 0 offen
	buffer_load_dwordx4 v[10:13], v72, s[24:27], s61 offen
	;; [unrolled: 1-line block ×4, first 2 shown]
	v_mov_b32_e32 v100, v74
	v_mov_b32_e32 v99, v75
.LBB514_12:                             ;   in Loop: Header=BB514_6 Depth=1
	v_add_u32_e32 v22, s59, v68
	v_ashrrev_i32_e32 v18, 31, v22
	v_mul_lo_u32 v20, v18, s22
	v_mul_lo_u32 v21, v22, s23
	v_mad_u64_u32 v[18:19], s[24:25], v22, s22, 0
	v_add3_u32 v19, v19, v21, v20
	v_lshl_add_u64 v[18:19], v[18:19], 2, s[42:43]
	global_load_dword v40, v[18:19], off
	v_add_u32_e32 v18, 1, v22
	v_ashrrev_i32_e32 v19, 31, v18
	v_mul_lo_u32 v20, v19, s22
	v_mul_lo_u32 v21, v18, s23
	v_mad_u64_u32 v[18:19], s[24:25], v18, s22, 0
	v_add3_u32 v19, v19, v21, v20
	v_add_u32_e32 v20, 2, v22
	v_ashrrev_i32_e32 v21, 31, v20
	v_mul_lo_u32 v23, v21, s22
	v_mul_lo_u32 v24, v20, s23
	v_mad_u64_u32 v[20:21], s[24:25], v20, s22, 0
	v_add_u32_e32 v22, 3, v22
	v_add3_u32 v21, v21, v24, v23
	v_ashrrev_i32_e32 v23, 31, v22
	v_mul_lo_u32 v26, v23, s22
	v_mul_lo_u32 v27, v22, s23
	v_mad_u64_u32 v[22:23], s[24:25], v22, s22, 0
	s_ashr_i32 s25, s59, 31
	s_add_u32 s24, s57, s59
	s_addc_u32 s25, s56, s25
	s_lshl_b64 s[24:25], s[24:25], 8
	v_lshl_add_u64 v[18:19], v[18:19], 2, s[42:43]
	v_lshl_add_u64 v[24:25], v[62:63], 0, s[24:25]
	v_add3_u32 v23, v23, v27, v26
	v_lshl_add_u64 v[20:21], v[20:21], 2, s[42:43]
	global_load_ushort v41, v[24:25], off
	global_load_ushort v42, v[24:25], off offset:256
	global_load_ushort v43, v[24:25], off offset:512
	;; [unrolled: 1-line block ×3, first 2 shown]
	v_lshl_add_u64 v[22:23], v[22:23], 2, s[42:43]
	global_load_dword v103, v[18:19], off
	global_load_dword v104, v[20:21], off
	;; [unrolled: 1-line block ×3, first 2 shown]
	s_load_dword s24, s[44:45], 0x0
	ds_read2st64_b64 v[26:29], v85 offset1:1
	ds_read2st64_b64 v[30:33], v85 offset0:2 offset1:3
	ds_read_b64 v[24:25], v80 offset:24576
	ds_read_b64 v[34:35], v82 offset:24576
	ds_read_b64 v[36:37], v83 offset:24576
	ds_read_b64 v[38:39], v84 offset:24576
	s_waitcnt lgkmcnt(0)
	v_mfma_f32_16x16x16_bf16 a[0:3], v[24:25], v[26:27], a[0:3]
	v_mov_b32_e32 v102, 0
	v_mov_b32_e32 v18, 0
	v_mov_b32_e32 v19, 0
	v_mfma_f32_16x16x16_bf16 a[0:3], v[34:35], v[28:29], a[0:3]
	v_mov_b32_e32 v20, 0
	v_mov_b32_e32 v21, 0
	v_mov_b32_e32 v22, 0
	;; [unrolled: 4-line block ×4, first 2 shown]
	v_mov_b32_e32 v29, 0
	v_mov_b32_e32 v30, 0
	;; [unrolled: 1-line block ×3, first 2 shown]
	s_and_b64 vcc, exec, s[0:1]
	v_accvgpr_read_b32 v35, a1
	v_accvgpr_read_b32 v33, a3
	;; [unrolled: 1-line block ×4, first 2 shown]
	s_waitcnt vmcnt(7)
	v_sub_f32_e32 v40, s24, v40
	v_exp_f32_e32 v40, v40
	s_waitcnt vmcnt(6)
	v_lshlrev_b32_e32 v36, 16, v41
	s_waitcnt vmcnt(5)
	v_lshlrev_b32_e32 v37, 16, v42
	;; [unrolled: 2-line block ×3, first 2 shown]
	s_waitcnt vmcnt(2)
	v_sub_f32_e32 v41, s24, v103
	s_waitcnt vmcnt(1)
	v_sub_f32_e32 v42, s24, v104
	;; [unrolled: 2-line block ×3, first 2 shown]
	v_exp_f32_e32 v41, v41
	v_exp_f32_e32 v42, v42
	;; [unrolled: 1-line block ×3, first 2 shown]
	v_lshlrev_b32_e32 v39, 16, v44
	v_pk_add_f32 v[34:35], v[36:37], v[34:35] neg_lo:[0,1] neg_hi:[0,1]
	v_pk_add_f32 v[32:33], v[38:39], v[32:33] neg_lo:[0,1] neg_hi:[0,1]
	v_pk_mul_f32 v[34:35], v[40:41], v[34:35]
	v_pk_mul_f32 v[32:33], v[42:43], v[32:33]
	s_nop 0
	v_perm_b32 v33, v33, v32, s3
	v_perm_b32 v32, v35, v34, s3
	ds_write_b64 v77, v[32:33]
	v_mov_b32_e32 v32, 0
	v_mov_b32_e32 v33, 0
	s_cbranch_vccnz .LBB514_14
; %bb.13:                               ;   in Loop: Header=BB514_6 Depth=1
	s_and_b32 s29, s29, 0xffff
	s_mov_b32 s31, s27
	buffer_load_dwordx4 v[30:33], v87, s[28:31], 0 offen
	buffer_load_dwordx4 v[22:25], v87, s[28:31], s61 offen
	;; [unrolled: 1-line block ×4, first 2 shown]
	v_mov_b32_e32 v101, v71
	v_mov_b32_e32 v102, v70
.LBB514_14:                             ;   in Loop: Header=BB514_6 Depth=1
	s_waitcnt lgkmcnt(0)
	s_barrier
	ds_read_b64 v[34:35], v90
	ds_read_b64 v[40:41], v91
	ds_read2st64_b64 v[36:39], v85 offset1:1
	ds_read2st64_b64 v[104:107], v85 offset0:2 offset1:3
	ds_read_b64 v[42:43], v92
	ds_read_b64 v[112:113], v93
	s_add_i32 s25, s58, s64
	s_mul_hi_i32 s29, s25, s17
	s_mul_i32 s25, s25, s17
	s_waitcnt lgkmcnt(3)
	v_mfma_f32_16x16x16_bf16 a[0:3], v[34:35], v[36:37], 0
	ds_read_b64 v[34:35], v95
	s_add_u32 s28, s25, s33
	s_addc_u32 s29, s29, s46
	v_mfma_f32_16x16x16_bf16 a[0:3], v[40:41], v[38:39], a[0:3]
	ds_read_b64 v[40:41], v96
	s_lshl_b64 s[28:29], s[28:29], 15
	s_mul_i32 s31, s39, s17
	s_mul_hi_i32 s25, s39, s17
	s_add_u32 s44, s31, s33
	s_addc_u32 s45, s25, s46
	s_lshl_b64 s[44:45], s[44:45], 9
	s_add_u32 s44, s20, s44
	s_waitcnt lgkmcnt(1)
	v_mfma_f32_16x16x16_bf16 a[4:7], v[34:35], v[36:37], 0
	s_addc_u32 s45, s21, s45
	s_and_b64 vcc, exec, s[0:1]
	v_mfma_f32_16x16x16_bf16 a[0:3], v[42:43], v[104:105], a[0:3]
	ds_read_b64 v[42:43], v97
	ds_read_b64 v[114:115], v98
	global_load_dwordx4 v[34:37], v94, s[44:45]
	s_waitcnt lgkmcnt(2)
	v_mfma_f32_16x16x16_bf16 a[4:7], v[40:41], v[38:39], a[4:7]
	global_load_dwordx4 v[38:41], v89, s[44:45]
	ds_read_b64 v[108:109], v59
	ds_read_b64 v[110:111], v86
	s_waitcnt lgkmcnt(3)
	v_mfma_f32_16x16x16_bf16 a[8:11], v[42:43], v[104:105], a[4:7]
	v_lshl_add_u64 v[42:43], v[60:61], 0, s[28:29]
	s_waitcnt lgkmcnt(0)
	global_store_dwordx4 v[42:43], v[108:111], off
	v_mfma_f32_16x16x16_bf16 a[4:7], v[112:113], v[106:107], a[0:3]
	s_waitcnt vmcnt(2)
	v_mov_b32_e32 v44, v37
	v_mfma_f32_16x16x16_bf16 a[0:3], v[114:115], v[106:107], a[8:11]
	v_mov_b32_e32 v43, v36
	v_mov_b32_e32 v42, v35
	s_cbranch_vccnz .LBB514_16
; %bb.15:                               ;   in Loop: Header=BB514_6 Depth=1
	v_lshrrev_b32_e32 v35, 3, v101
	v_and_b32_e32 v35, 6, v35
	v_xor_b32_e32 v36, v35, v102
	v_lshlrev_b32_e32 v36, 2, v36
	v_and_b32_e32 v37, 8, v101
	v_xor_b32_e32 v101, 0x440, v36
	v_cmp_eq_u32_e32 vcc, 0, v37
	v_perm_b32 v37, v22, v18, s62
	s_nop 0
	v_cndmask_b32_e32 v36, v101, v36, vcc
	v_lshl_or_b32 v35, v35, 10, v36
	v_perm_b32 v36, v30, v26, s62
	s_barrier
	ds_write2st64_b32 v35, v36, v37 offset1:32
	v_xor_b32_e32 v36, 8, v35
	v_perm_b32 v26, v30, v26, s63
	v_perm_b32 v18, v22, v18, s63
	v_add_u32_e32 v22, 0x80, v36
	ds_write2st64_b32 v22, v26, v18 offset1:32
	v_xor_b32_e32 v18, 16, v35
	v_perm_b32 v22, v31, v27, s62
	v_perm_b32 v26, v23, v19, s62
	ds_write2st64_b32 v18, v22, v26 offset0:1 offset1:33
	v_xor_b32_e32 v18, 24, v35
	v_perm_b32 v22, v31, v27, s63
	v_perm_b32 v19, v23, v19, s63
	v_add_u32_e32 v18, 0x80, v18
	ds_write2st64_b32 v18, v22, v19 offset0:1 offset1:33
	v_xor_b32_e32 v18, 32, v35
	v_perm_b32 v19, v32, v28, s62
	v_perm_b32 v22, v24, v20, s62
	ds_write2st64_b32 v18, v19, v22 offset0:2 offset1:34
	v_xor_b32_e32 v18, 40, v35
	v_perm_b32 v19, v32, v28, s63
	v_perm_b32 v20, v24, v20, s63
	v_add_u32_e32 v18, 0x80, v18
	ds_write2st64_b32 v18, v19, v20 offset0:2 offset1:34
	;; [unrolled: 9-line block ×3, first 2 shown]
	ds_write_b64 v100, v[14:15] offset:16384
	v_xor_b32_e32 v14, 8, v100
	ds_write_b64 v14, v[16:17] offset:16384
	ds_write_b64 v100, v[10:11] offset:24576
	;; [unrolled: 1-line block ×4, first 2 shown]
	v_xor_b32_e32 v6, 8, v99
	ds_write_b64 v6, v[8:9] offset:16384
	ds_write_b64 v99, v[2:3] offset:24576
	;; [unrolled: 1-line block ×3, first 2 shown]
.LBB514_16:                             ;   in Loop: Header=BB514_6 Depth=1
	v_exp_f32_e32 v10, s24
	s_waitcnt vmcnt(1)
	v_exp_f32_e32 v12, v38
	v_exp_f32_e32 v13, v39
	;; [unrolled: 1-line block ×4, first 2 shown]
	v_accvgpr_read_b32 v2, a4
	v_accvgpr_read_b32 v3, a5
	v_pk_mul_f32 v[12:13], v[10:11], v[12:13] op_sel_hi:[0,1]
	v_pk_fma_f32 v[52:53], v[52:53], v[12:13], v[2:3]
	v_exp_f32_e32 v12, v34
	v_exp_f32_e32 v13, v42
	v_pk_mul_f32 v[2:3], v[10:11], v[14:15] op_sel_hi:[0,1]
	v_exp_f32_e32 v14, v43
	v_exp_f32_e32 v15, v44
	v_accvgpr_read_b32 v4, a6
	v_accvgpr_read_b32 v5, a7
	;; [unrolled: 1-line block ×5, first 2 shown]
	v_pk_fma_f32 v[56:57], v[56:57], v[2:3], v[4:5]
	v_pk_mul_f32 v[2:3], v[10:11], v[12:13] op_sel_hi:[0,1]
	v_accvgpr_read_b32 v8, a2
	v_pk_fma_f32 v[50:51], v[50:51], v[2:3], v[6:7]
	v_pk_mul_f32 v[2:3], v[10:11], v[14:15] op_sel_hi:[0,1]
	s_add_i32 s59, s59, 64
	s_cmp_eq_u32 s53, s37
	v_pk_fma_f32 v[54:55], v[54:55], v[2:3], v[8:9]
	s_cbranch_scc1 .LBB514_18
; %bb.17:                               ;   in Loop: Header=BB514_6 Depth=1
	s_mov_b32 s64, s37
	s_branch .LBB514_6
.LBB514_18:
	s_lshl_b32 s0, s53, 6
	s_sub_i32 s44, s54, s0
	s_cmp_gt_i32 s44, 0
	s_cbranch_scc0 .LBB514_75
; %bb.19:
	s_add_i32 s34, s0, s34
	s_ashr_i32 s3, s34, 31
	s_cmpk_lg_i32 s19, 0x80
	s_cselect_b64 s[30:31], -1, 0
	s_and_b64 vcc, exec, s[30:31]
	s_cbranch_vccz .LBB514_21
; %bb.20:
	s_mul_hi_i32 s0, s34, s18
	s_mul_i32 s1, s34, s18
	s_ashr_i32 s18, s55, 31
	s_add_u32 s42, s1, s55
	s_addc_u32 s43, s0, s18
	s_cbranch_execz .LBB514_22
	s_branch .LBB514_23
.LBB514_21:
                                        ; implicit-def: $sgpr42_sgpr43
.LBB514_22:
	s_mul_i32 s1, s55, s16
	s_mul_hi_i32 s0, s55, s16
	s_add_u32 s42, s1, s34
	s_addc_u32 s43, s0, s3
.LBB514_23:
	s_waitcnt lgkmcnt(0)
	s_add_i32 s16, s53, s58
	s_add_u32 s0, s57, s34
	s_addc_u32 s1, s56, s3
	s_mov_b32 s3, 0x7060302
	v_lshlrev_b32_e32 v6, 3, v65
	s_lshl_b64 s[28:29], s[0:1], 8
	v_perm_b32 v3, v57, v56, s3
	v_perm_b32 v2, v53, v52, s3
	;; [unrolled: 1-line block ×4, first 2 shown]
	v_lshlrev_b32_e32 v34, 2, v65
	v_lshl_or_b32 v6, v68, 5, v6
	s_add_u32 s0, s6, s28
	ds_write2st64_b64 v6, v[2:3], v[4:5] offset0:72 offset1:76
	v_xor_b32_e32 v6, v68, v34
	v_lshlrev_b32_e32 v7, 8, v65
	s_addc_u32 s1, s7, s29
	v_lshl_or_b32 v6, v6, 1, v7
	s_mul_hi_i32 s3, s16, s17
	s_mul_i32 s16, s16, s17
	ds_write_b64 v6, v[2:3] offset:32768
	v_xor_b32_e32 v2, v69, v34
	s_add_u32 s6, s16, s33
	v_lshl_or_b32 v2, v2, 1, v7
	s_addc_u32 s7, s3, s46
	v_lshlrev_b32_e32 v3, 1, v65
	ds_write_b64 v2, v[4:5] offset:32768
	v_lshrrev_b32_e32 v2, 4, v0
	s_ashr_i32 s3, s2, 31
	s_lshl_b64 s[6:7], s[6:7], 15
	v_or_b32_e32 v4, 1, v3
	s_add_u32 s6, s40, s6
	v_xor_b32_e32 v3, v2, v3
	v_xor_b32_e32 v4, v4, v2
	v_lshlrev_b32_e32 v6, 8, v2
	s_addc_u32 s7, s41, s7
	s_lshl_b64 s[2:3], s[2:3], 8
	v_lshl_or_b32 v2, v3, 3, v6
	v_lshl_or_b32 v4, v4, 3, v6
	s_waitcnt lgkmcnt(0)
	s_barrier
	s_add_u32 s2, s6, s2
	ds_read_b64 v[2:3], v2 offset:32768
	ds_read_b64 v[4:5], v4 offset:32768
	s_addc_u32 s3, s7, s3
	v_mov_b32_e32 v7, 0
	s_cmp_lg_u32 s44, 64
	v_lshl_add_u64 v[8:9], s[2:3], 0, v[6:7]
	v_lshlrev_b32_e32 v6, 4, v65
	s_cselect_b64 s[6:7], -1, 0
	v_lshl_or_b32 v36, v1, 3, v67
	s_mov_b32 s24, 0
	v_lshl_add_u64 v[6:7], v[8:9], 0, v[6:7]
	v_or_b32_e32 v19, 32, v36
	v_and_b32_e32 v18, 56, v66
	s_and_b64 vcc, exec, s[6:7]
	s_waitcnt lgkmcnt(0)
	global_store_dwordx4 v[6:7], v[2:5], off
	s_cbranch_vccz .LBB514_29
; %bb.24:
	s_mov_b32 s25, s24
	s_mov_b32 s26, s24
	;; [unrolled: 1-line block ×3, first 2 shown]
	v_mov_b64_e32 v[6:7], s[24:25]
	v_mov_b64_e32 v[8:9], s[26:27]
	;; [unrolled: 1-line block ×3, first 2 shown]
	v_cmp_gt_i32_e32 vcc, s44, v36
	v_mov_b64_e32 v[4:5], v[8:9]
	s_and_saveexec_b64 s[2:3], vcc
	s_cbranch_execz .LBB514_26
; %bb.25:
	v_lshlrev_b32_e32 v2, 8, v36
	v_mov_b32_e32 v3, 0
	v_lshl_add_u64 v[4:5], s[0:1], 0, v[2:3]
	v_lshlrev_b32_e32 v2, 1, v18
	v_lshl_add_u64 v[10:11], v[4:5], 0, v[2:3]
	global_load_dwordx4 v[6:9], v[10:11], off
	global_load_dwordx4 v[2:5], v[10:11], off offset:128
.LBB514_26:
	s_or_b64 exec, exec, s[2:3]
	s_mov_b32 s25, s24
	s_mov_b32 s26, s24
	;; [unrolled: 1-line block ×3, first 2 shown]
	v_mov_b64_e32 v[14:15], s[24:25]
	v_mov_b64_e32 v[16:17], s[26:27]
	;; [unrolled: 1-line block ×3, first 2 shown]
	v_cmp_gt_i32_e32 vcc, s44, v19
	v_lshlrev_b32_e32 v20, 7, v19
	v_mov_b64_e32 v[12:13], v[16:17]
	s_and_saveexec_b64 s[2:3], vcc
	s_cbranch_execz .LBB514_28
; %bb.27:
	v_lshlrev_b32_e32 v10, 1, v20
	v_mov_b32_e32 v11, 0
	v_lshl_add_u64 v[12:13], s[0:1], 0, v[10:11]
	v_lshlrev_b32_e32 v10, 1, v18
	v_lshl_add_u64 v[22:23], v[12:13], 0, v[10:11]
	global_load_dwordx4 v[14:17], v[22:23], off
	global_load_dwordx4 v[10:13], v[22:23], off offset:128
.LBB514_28:
	s_or_b64 exec, exec, s[2:3]
	v_lshrrev_b32_e32 v21, 3, v18
	v_lshlrev_b32_e32 v22, 3, v36
	v_or_b32_e32 v21, v22, v21
	v_lshlrev_b32_e32 v21, 4, v21
	v_and_b32_e32 v22, 0x78, v22
	v_xor_b32_e32 v21, v21, v22
	s_branch .LBB514_31
.LBB514_29:
                                        ; implicit-def: $vgpr21
                                        ; implicit-def: $vgpr20
                                        ; implicit-def: $vgpr6_vgpr7_vgpr8_vgpr9
                                        ; implicit-def: $vgpr2_vgpr3_vgpr4_vgpr5
                                        ; implicit-def: $vgpr14_vgpr15_vgpr16_vgpr17
                                        ; implicit-def: $vgpr10_vgpr11_vgpr12_vgpr13
	s_cbranch_execz .LBB514_31
; %bb.30:
	s_waitcnt vmcnt(0)
	v_lshlrev_b32_e32 v2, 1, v18
	v_lshl_or_b32 v20, v36, 8, v2
	s_and_b32 s1, s1, 0xffff
	s_mov_b32 s3, 0x20000
	s_movk_i32 s2, 0x4000
	v_lshl_or_b32 v21, v19, 8, v2
	s_movk_i32 s16, 0x80
	buffer_load_dwordx4 v[6:9], v20, s[0:3], 0 offen
	buffer_load_dwordx4 v[2:5], v20, s[0:3], s16 offen
	;; [unrolled: 1-line block ×4, first 2 shown]
	v_lshrrev_b32_e32 v20, 3, v18
	v_lshlrev_b32_e32 v21, 3, v36
	v_or_b32_e32 v20, v21, v20
	v_lshlrev_b32_e32 v20, 4, v20
	v_and_b32_e32 v21, 0x78, v21
	v_xor_b32_e32 v21, v20, v21
	v_lshlrev_b32_e32 v20, 7, v19
.LBB514_31:
	s_lshl_b64 s[0:1], s[42:43], 8
	s_add_u32 s4, s4, s0
	s_movk_i32 s0, 0x1000
	v_and_or_b32 v19, v20, s0, v21
	s_waitcnt vmcnt(1)
	ds_write_b64 v21, v[6:7] offset:16384
	v_xor_b32_e32 v6, 8, v21
	ds_write_b64 v6, v[8:9] offset:16384
	s_waitcnt vmcnt(0)
	ds_write_b64 v21, v[2:3] offset:24576
	ds_write_b64 v6, v[4:5] offset:24576
	;; [unrolled: 1-line block ×3, first 2 shown]
	v_xor_b32_e32 v2, 8, v19
	ds_write_b64 v2, v[16:17] offset:16384
	ds_write_b64 v19, v[10:11] offset:24576
	;; [unrolled: 1-line block ×3, first 2 shown]
	v_or_b32_e32 v2, v45, v65
	v_lshlrev_b32_e32 v2, 3, v2
	v_lshrrev_b32_e32 v4, 5, v49
	s_movk_i32 s16, 0xf8
	v_and_or_b32 v4, v2, s16, v4
	v_lshlrev_b32_e32 v35, 11, v1
	v_lshlrev_b32_e32 v12, 4, v4
	v_and_b32_e32 v13, 0x78, v2
	v_and_b32_e32 v14, 0x1000, v35
	v_lshlrev_b32_e32 v3, 2, v0
	v_xor_b32_e32 v2, v12, v13
	v_lshrrev_b32_e32 v4, 1, v49
	v_and_b32_e32 v3, 60, v3
	v_or_b32_e32 v2, v2, v14
	v_and_b32_e32 v15, 8, v4
	v_xor_b32_e32 v26, v2, v15
	v_lshl_or_b32 v2, v64, 6, v3
	v_lshlrev_b32_e32 v37, 1, v2
	v_or_b32_e32 v2, 32, v12
	v_xor_b32_e32 v2, v2, v13
	s_waitcnt lgkmcnt(0)
	s_barrier
	ds_read_b64 v[10:11], v26 offset:16384
	v_or_b32_e32 v2, v2, v14
	v_xor_b32_e32 v27, v2, v15
	v_or_b32_e32 v2, 64, v12
	v_xor_b32_e32 v2, v2, v13
	v_or_b32_e32 v2, v2, v14
	v_or_b32_e32 v12, 0x60, v12
	v_xor_b32_e32 v28, v2, v15
	ds_read2st64_b64 v[2:5], v37 offset0:72 offset1:73
	ds_read2st64_b64 v[6:9], v37 offset0:74 offset1:75
	v_xor_b32_e32 v16, v12, v13
	ds_read_b64 v[12:13], v27 offset:16384
	s_addc_u32 s5, s5, s1
	s_add_i32 s0, s48, s47
	s_waitcnt lgkmcnt(2)
	v_mfma_f32_16x16x16_bf16 a[0:3], v[10:11], v[2:3], 0
	s_add_i32 s18, s35, -1
	s_add_i32 s39, s0, s49
	s_add_i32 s0, s51, s50
	;; [unrolled: 1-line block ×3, first 2 shown]
	s_ashr_i32 s0, s18, 31
	s_mul_i32 s1, s18, s23
	s_mul_hi_u32 s2, s18, s22
	s_add_i32 s1, s2, s1
	s_mul_i32 s0, s0, s22
	v_or_b32_e32 v14, v16, v14
	s_add_i32 s1, s1, s0
	s_lshl_b64 s[2:3], s[38:39], 2
	v_xor_b32_e32 v38, v14, v15
	ds_read_b64 v[14:15], v28 offset:16384
	ds_read_b64 v[16:17], v38 offset:16384
	s_waitcnt lgkmcnt(2)
	v_mfma_f32_16x16x16_bf16 a[0:3], v[12:13], v[4:5], a[0:3]
	s_add_u32 s10, s10, s2
	s_addc_u32 s11, s11, s3
	s_lshl_b64 s[2:3], s[36:37], 2
	s_mul_i32 s0, s18, s22
	s_add_u32 s10, s10, s2
	s_addc_u32 s11, s11, s3
	s_lshl_b64 s[0:1], s[0:1], 2
	s_waitcnt lgkmcnt(1)
	v_mfma_f32_16x16x16_bf16 a[0:3], v[14:15], v[6:7], a[0:3]
	s_add_u32 s0, s10, s0
	s_addc_u32 s1, s11, s1
	s_load_dword s16, s[0:1], 0x0
	s_waitcnt lgkmcnt(0)
	v_mfma_f32_16x16x16_bf16 a[0:3], v[16:17], v[8:9], a[0:3]
	s_and_b64 vcc, exec, s[30:31]
	s_cbranch_vccz .LBB514_42
; %bb.32:
	v_lshlrev_b32_e32 v19, 1, v36
	s_and_b64 vcc, exec, s[6:7]
	s_cbranch_vccz .LBB514_43
; %bb.33:
	v_cmp_gt_i32_e32 vcc, s44, v19
	v_mov_b32_e32 v6, 0
	v_mov_b32_e32 v2, 0
	;; [unrolled: 1-line block ×5, first 2 shown]
	s_and_saveexec_b64 s[0:1], vcc
	s_cbranch_execz .LBB514_35
; %bb.34:
	v_mad_i64_i32 v[2:3], s[2:3], s19, v19, 0
	v_lshl_add_u64 v[2:3], v[2:3], 1, s[4:5]
	v_lshlrev_b32_e32 v4, 1, v18
	v_mov_b32_e32 v5, 0
	v_lshl_add_u64 v[2:3], v[2:3], 0, v[4:5]
	global_load_dwordx4 v[2:5], v[2:3], off
.LBB514_35:
	s_or_b64 exec, exec, s[0:1]
	v_or_b32_e32 v20, 1, v19
	v_cmp_gt_i32_e64 s[0:1], s44, v20
	v_mov_b32_e32 v7, 0
	v_mov_b32_e32 v8, 0
	;; [unrolled: 1-line block ×3, first 2 shown]
	s_and_saveexec_b64 s[2:3], s[0:1]
	s_cbranch_execz .LBB514_37
; %bb.36:
	v_mad_i64_i32 v[6:7], s[24:25], s19, v20, 0
	v_lshl_add_u64 v[6:7], v[6:7], 1, s[4:5]
	v_lshlrev_b32_e32 v8, 1, v18
	v_mov_b32_e32 v9, 0
	v_lshl_add_u64 v[6:7], v[6:7], 0, v[8:9]
	global_load_dwordx4 v[6:9], v[6:7], off
.LBB514_37:
	s_or_b64 exec, exec, s[2:3]
	v_mov_b32_e32 v17, 0
	v_mov_b32_e32 v10, 0
	;; [unrolled: 1-line block ×5, first 2 shown]
	s_and_saveexec_b64 s[2:3], vcc
	s_cbranch_execz .LBB514_39
; %bb.38:
	v_mad_i64_i32 v[10:11], s[24:25], s19, v19, 0
	v_lshl_add_u64 v[10:11], v[10:11], 1, s[4:5]
	v_lshlrev_b32_e32 v12, 1, v18
	v_mov_b32_e32 v13, 0
	v_lshl_add_u64 v[10:11], v[10:11], 0, v[12:13]
	global_load_dwordx4 v[10:13], v[10:11], off offset:128
.LBB514_39:
	s_or_b64 exec, exec, s[2:3]
	v_mov_b32_e32 v16, 0
	v_mov_b32_e32 v15, 0
	;; [unrolled: 1-line block ×3, first 2 shown]
	s_and_saveexec_b64 s[2:3], s[0:1]
	s_cbranch_execz .LBB514_41
; %bb.40:
	v_mad_i64_i32 v[14:15], s[0:1], s19, v20, 0
	v_lshl_add_u64 v[14:15], v[14:15], 1, s[4:5]
	v_lshlrev_b32_e32 v16, 1, v18
	v_mov_b32_e32 v17, 0
	v_lshl_add_u64 v[14:15], v[14:15], 0, v[16:17]
	global_load_dwordx4 v[14:17], v[14:15], off offset:128
.LBB514_41:
	s_or_b64 exec, exec, s[2:3]
	s_branch .LBB514_45
.LBB514_42:
                                        ; implicit-def: $vgpr5
                                        ; implicit-def: $vgpr9
                                        ; implicit-def: $vgpr13
                                        ; implicit-def: $vgpr17
	v_lshrrev_b32_e32 v19, 2, v49
	s_branch .LBB514_46
.LBB514_43:
                                        ; implicit-def: $vgpr5
                                        ; implicit-def: $vgpr9
                                        ; implicit-def: $vgpr13
                                        ; implicit-def: $vgpr17
	s_cbranch_execz .LBB514_45
; %bb.44:
	s_waitcnt vmcnt(0)
	v_mad_u64_u32 v[2:3], s[0:1], v19, s19, v[18:19]
	v_lshlrev_b32_e32 v19, 1, v2
	s_lshl_b32 s2, s19, 7
	s_and_b32 s1, s5, 0xffff
	s_mov_b32 s3, 0x20000
	s_mov_b32 s0, s4
	v_add_lshl_u32 v20, v2, s19, 1
	s_movk_i32 s19, 0x80
	buffer_load_dwordx4 v[2:5], v19, s[0:3], 0 offen
	buffer_load_dwordx4 v[10:13], v19, s[0:3], s19 offen
	;; [unrolled: 1-line block ×4, first 2 shown]
.LBB514_45:
	v_lshrrev_b32_e32 v19, 2, v49
	s_cbranch_execnz .LBB514_58
.LBB514_46:
	s_and_b64 vcc, exec, s[6:7]
	s_cbranch_vccz .LBB514_56
; %bb.47:
	s_waitcnt vmcnt(0)
	v_lshlrev_b32_e32 v7, 1, v36
	v_cmp_gt_i32_e32 vcc, s44, v7
	v_mov_b32_e32 v6, 0
	v_lshlrev_b32_e32 v14, 9, v36
	v_mov_b32_e32 v2, 0
	v_mov_b32_e32 v3, 0
	v_mov_b32_e32 v4, 0
	v_mov_b32_e32 v5, 0
	s_and_saveexec_b64 s[0:1], vcc
	s_cbranch_execz .LBB514_49
; %bb.48:
	v_mov_b32_e32 v15, 0
	v_lshl_add_u64 v[2:3], s[4:5], 0, v[14:15]
	v_lshlrev_b32_e32 v4, 1, v18
	v_mov_b32_e32 v5, v15
	v_lshl_add_u64 v[2:3], v[2:3], 0, v[4:5]
	global_load_dwordx4 v[2:5], v[2:3], off
.LBB514_49:
	s_or_b64 exec, exec, s[0:1]
	v_or_b32_e32 v7, 1, v7
	v_cmp_gt_i32_e64 s[0:1], s44, v7
	v_lshlrev_b32_e32 v20, 8, v7
	v_mov_b32_e32 v7, 0
	v_mov_b32_e32 v8, 0
	;; [unrolled: 1-line block ×3, first 2 shown]
	s_and_saveexec_b64 s[2:3], s[0:1]
	s_cbranch_execz .LBB514_51
; %bb.50:
	v_mov_b32_e32 v21, 0
	v_lshl_add_u64 v[6:7], s[4:5], 0, v[20:21]
	v_lshlrev_b32_e32 v8, 1, v18
	v_mov_b32_e32 v9, v21
	v_lshl_add_u64 v[6:7], v[6:7], 0, v[8:9]
	global_load_dwordx4 v[6:9], v[6:7], off
.LBB514_51:
	s_or_b64 exec, exec, s[2:3]
	v_mov_b32_e32 v17, 0
	v_mov_b32_e32 v10, 0
	;; [unrolled: 1-line block ×5, first 2 shown]
	s_and_saveexec_b64 s[2:3], vcc
	s_cbranch_execz .LBB514_53
; %bb.52:
	v_mov_b32_e32 v15, 0
	v_lshl_add_u64 v[10:11], s[4:5], 0, v[14:15]
	v_lshlrev_b32_e32 v14, 1, v18
	v_lshl_add_u64 v[10:11], v[10:11], 0, v[14:15]
	global_load_dwordx4 v[10:13], v[10:11], off offset:128
.LBB514_53:
	s_or_b64 exec, exec, s[2:3]
	v_mov_b32_e32 v16, 0
	v_mov_b32_e32 v15, 0
	;; [unrolled: 1-line block ×3, first 2 shown]
	s_and_saveexec_b64 s[2:3], s[0:1]
	s_cbranch_execz .LBB514_55
; %bb.54:
	v_mov_b32_e32 v21, 0
	v_lshl_add_u64 v[14:15], s[4:5], 0, v[20:21]
	v_lshlrev_b32_e32 v20, 1, v18
	v_lshl_add_u64 v[14:15], v[14:15], 0, v[20:21]
	global_load_dwordx4 v[14:17], v[14:15], off offset:128
.LBB514_55:
	s_or_b64 exec, exec, s[2:3]
	s_branch .LBB514_58
.LBB514_56:
                                        ; implicit-def: $vgpr5
                                        ; implicit-def: $vgpr9
                                        ; implicit-def: $vgpr13
                                        ; implicit-def: $vgpr17
	s_cbranch_execz .LBB514_58
; %bb.57:
	s_waitcnt vmcnt(0)
	v_lshlrev_b32_e32 v2, 1, v18
	v_lshl_or_b32 v18, v36, 9, v2
	s_and_b32 s5, s5, 0xffff
	s_mov_b32 s7, 0x20000
	s_movk_i32 s6, 0x4000
	s_movk_i32 s0, 0x80
	buffer_load_dwordx4 v[2:5], v18, s[4:7], 0 offen
	buffer_load_dwordx4 v[6:9], v18, s[4:7], 0 offen offset:256
	buffer_load_dwordx4 v[10:13], v18, s[4:7], s0 offen
	buffer_load_dwordx4 v[14:17], v18, s[4:7], s0 offen offset:256
.LBB514_58:
	v_and_b32_e32 v39, 12, v19
	ds_read2st64_b64 v[22:25], v37 offset0:76 offset1:77
	ds_read2st64_b64 v[18:21], v37 offset0:78 offset1:79
	ds_read_b64 v[30:31], v26 offset:24576
	ds_read_b64 v[32:33], v27 offset:24576
	;; [unrolled: 1-line block ×4, first 2 shown]
	v_and_b32_e32 v38, 6, v0
	v_xor_b32_e32 v36, v36, v38
	v_lshlrev_b32_e32 v36, 2, v36
	v_and_b32_e32 v40, 1, v0
	v_xor_b32_e32 v41, 0x440, v36
	v_cmp_eq_u32_e32 vcc, 0, v40
	s_mov_b32 s0, 0x1000504
	s_waitcnt vmcnt(0)
	v_perm_b32 v40, v10, v14, s0
	v_cndmask_b32_e32 v36, v41, v36, vcc
	v_lshl_or_b32 v36, v38, 10, v36
	v_perm_b32 v38, v2, v6, s0
	ds_write2st64_b32 v36, v38, v40 offset1:32
	v_xor_b32_e32 v38, 8, v36
	s_mov_b32 s1, 0x3020706
	v_perm_b32 v2, v2, v6, s1
	v_perm_b32 v6, v10, v14, s1
	v_add_u32_e32 v10, 0x80, v38
	ds_write2st64_b32 v10, v2, v6 offset1:32
	v_xor_b32_e32 v2, 16, v36
	v_perm_b32 v6, v3, v7, s0
	v_perm_b32 v10, v11, v15, s0
	ds_write2st64_b32 v2, v6, v10 offset0:1 offset1:33
	v_xor_b32_e32 v2, 24, v36
	v_perm_b32 v3, v3, v7, s1
	v_perm_b32 v6, v11, v15, s1
	v_add_u32_e32 v2, 0x80, v2
	ds_write2st64_b32 v2, v3, v6 offset0:1 offset1:33
	v_xor_b32_e32 v2, 32, v36
	v_perm_b32 v3, v4, v8, s0
	v_perm_b32 v6, v12, v16, s0
	ds_write2st64_b32 v2, v3, v6 offset0:2 offset1:34
	v_xor_b32_e32 v2, 40, v36
	v_perm_b32 v3, v4, v8, s1
	v_perm_b32 v4, v12, v16, s1
	v_add_u32_e32 v2, 0x80, v2
	ds_write2st64_b32 v2, v3, v4 offset0:2 offset1:34
	v_xor_b32_e32 v2, 48, v36
	v_perm_b32 v3, v5, v9, s0
	v_perm_b32 v4, v13, v17, s0
	ds_write2st64_b32 v2, v3, v4 offset0:3 offset1:35
	v_xor_b32_e32 v2, 56, v36
	v_or_b32_e32 v8, v39, v45
	v_perm_b32 v3, v5, v9, s1
	v_perm_b32 v4, v13, v17, s1
	v_add_u32_e32 v2, 0x80, v2
	v_cmp_gt_i32_e32 vcc, s44, v8
	v_mov_b32_e32 v9, 0
	v_mov_b32_e32 v13, 0
	ds_write2st64_b32 v2, v3, v4 offset0:3 offset1:35
	s_and_saveexec_b64 s[0:1], vcc
	s_cbranch_execz .LBB514_60
; %bb.59:
	v_add_u32_e32 v2, s34, v8
	v_ashrrev_i32_e32 v3, 31, v2
	v_mul_lo_u32 v4, v3, s22
	v_mul_lo_u32 v5, v2, s23
	v_mad_u64_u32 v[2:3], s[2:3], v2, s22, 0
	v_add3_u32 v3, v3, v5, v4
	v_lshl_add_u64 v[2:3], v[2:3], 2, s[10:11]
	global_load_dword v2, v[2:3], off
	s_waitcnt vmcnt(0)
	v_sub_f32_e32 v2, s16, v2
	v_exp_f32_e32 v13, v2
.LBB514_60:
	s_or_b64 exec, exec, s[0:1]
	v_or_b32_e32 v11, 1, v8
	v_cmp_gt_i32_e64 s[0:1], s44, v11
	s_and_saveexec_b64 s[2:3], s[0:1]
	s_cbranch_execz .LBB514_62
; %bb.61:
	v_add_u32_e32 v2, s34, v11
	v_ashrrev_i32_e32 v3, 31, v2
	v_mul_lo_u32 v4, v3, s22
	v_mul_lo_u32 v5, v2, s23
	v_mad_u64_u32 v[2:3], s[4:5], v2, s22, 0
	v_add3_u32 v3, v3, v5, v4
	v_lshl_add_u64 v[2:3], v[2:3], 2, s[10:11]
	global_load_dword v2, v[2:3], off
	s_waitcnt vmcnt(0)
	v_sub_f32_e32 v2, s16, v2
	v_exp_f32_e32 v9, v2
.LBB514_62:
	s_or_b64 exec, exec, s[2:3]
	v_or_b32_e32 v12, 2, v8
	v_cmp_gt_i32_e64 s[2:3], s44, v12
	v_mov_b32_e32 v10, 0
	v_mov_b32_e32 v15, 0
	s_and_saveexec_b64 s[4:5], s[2:3]
	s_cbranch_execz .LBB514_64
; %bb.63:
	v_add_u32_e32 v2, s34, v12
	v_ashrrev_i32_e32 v3, 31, v2
	v_mul_lo_u32 v4, v3, s22
	v_mul_lo_u32 v5, v2, s23
	v_mad_u64_u32 v[2:3], s[6:7], v2, s22, 0
	v_add3_u32 v3, v3, v5, v4
	v_lshl_add_u64 v[2:3], v[2:3], 2, s[10:11]
	global_load_dword v2, v[2:3], off
	s_waitcnt vmcnt(0)
	v_sub_f32_e32 v2, s16, v2
	v_exp_f32_e32 v15, v2
.LBB514_64:
	s_or_b64 exec, exec, s[4:5]
	v_or_b32_e32 v14, 3, v8
	v_cmp_gt_i32_e64 s[4:5], s44, v14
	s_and_saveexec_b64 s[6:7], s[4:5]
	s_cbranch_execz .LBB514_66
; %bb.65:
	v_add_u32_e32 v2, s34, v14
	v_ashrrev_i32_e32 v3, 31, v2
	v_mul_lo_u32 v4, v3, s22
	v_mul_lo_u32 v5, v2, s23
	v_mad_u64_u32 v[2:3], s[22:23], v2, s22, 0
	v_add3_u32 v3, v3, v5, v4
	v_lshl_add_u64 v[2:3], v[2:3], 2, s[10:11]
	global_load_dword v2, v[2:3], off
	s_waitcnt vmcnt(0)
	v_sub_f32_e32 v2, s16, v2
	v_exp_f32_e32 v10, v2
.LBB514_66:
	s_or_b64 exec, exec, s[6:7]
	s_waitcnt lgkmcnt(11)
	v_mfma_f32_16x16x16_bf16 a[0:3], v[30:31], v[22:23], a[0:3]
	s_add_u32 s6, s8, s28
	v_ashrrev_i32_e32 v59, 31, v58
	s_addc_u32 s7, s9, s29
	s_waitcnt lgkmcnt(10)
	v_mfma_f32_16x16x16_bf16 a[0:3], v[32:33], v[24:25], a[0:3]
	v_mov_b32_e32 v16, 0
	v_lshl_add_u64 v[6:7], v[58:59], 1, s[6:7]
	v_mov_b32_e32 v17, 0
	s_waitcnt lgkmcnt(9)
	v_mfma_f32_16x16x16_bf16 a[0:3], v[28:29], v[18:19], a[0:3]
	s_waitcnt lgkmcnt(8)
	v_mfma_f32_16x16x16_bf16 a[0:3], v[26:27], v[20:21], a[0:3]
	s_nop 6
	v_accvgpr_read_b32 v5, a3
	v_accvgpr_read_b32 v4, a2
	;; [unrolled: 1-line block ×4, first 2 shown]
	s_and_saveexec_b64 s[6:7], vcc
	s_cbranch_execz .LBB514_68
; %bb.67:
	v_lshlrev_b32_e32 v18, 8, v8
	v_mov_b32_e32 v19, 0
	v_lshl_add_u64 v[18:19], v[6:7], 0, v[18:19]
	global_load_ushort v17, v[18:19], off
	s_waitcnt vmcnt(0)
	v_lshlrev_b32_e32 v17, 16, v17
	v_sub_f32_e32 v2, v17, v2
	v_mul_f32_e32 v2, v13, v2
	v_lshrrev_b32_e32 v17, 16, v2
.LBB514_68:
	s_or_b64 exec, exec, s[6:7]
	s_and_saveexec_b64 s[6:7], s[0:1]
	s_cbranch_execz .LBB514_70
; %bb.69:
	v_lshlrev_b32_e32 v18, 8, v11
	v_mov_b32_e32 v19, 0
	v_lshl_add_u64 v[18:19], v[6:7], 0, v[18:19]
	global_load_ushort v2, v[18:19], off
	s_waitcnt vmcnt(0)
	v_lshlrev_b32_e32 v2, 16, v2
	v_sub_f32_e32 v2, v2, v3
	v_mul_f32_e32 v2, v9, v2
	v_lshrrev_b32_e32 v16, 16, v2
.LBB514_70:
	s_or_b64 exec, exec, s[6:7]
	v_mov_b32_e32 v3, 0
	v_mov_b32_e32 v9, 0
	s_and_saveexec_b64 s[0:1], s[2:3]
	s_cbranch_execz .LBB514_72
; %bb.71:
	v_lshlrev_b32_e32 v12, 8, v12
	v_mov_b32_e32 v13, 0
	v_lshl_add_u64 v[12:13], v[6:7], 0, v[12:13]
	global_load_ushort v2, v[12:13], off
	s_waitcnt vmcnt(0)
	v_lshlrev_b32_e32 v2, 16, v2
	v_sub_f32_e32 v2, v2, v4
	v_mul_f32_e32 v2, v15, v2
	v_lshrrev_b32_e32 v9, 16, v2
.LBB514_72:
	s_or_b64 exec, exec, s[0:1]
	v_or_b32_e32 v2, 0x9800, v37
	s_and_saveexec_b64 s[0:1], s[4:5]
	s_cbranch_execz .LBB514_74
; %bb.73:
	v_lshlrev_b32_e32 v12, 8, v14
	v_mov_b32_e32 v13, 0
	v_lshl_add_u64 v[6:7], v[6:7], 0, v[12:13]
	global_load_ushort v3, v[6:7], off
	s_waitcnt vmcnt(0)
	v_lshlrev_b32_e32 v3, 16, v3
	v_sub_f32_e32 v3, v3, v5
	v_mul_f32_e32 v3, v10, v3
	v_lshrrev_b32_e32 v3, 16, v3
.LBB514_74:
	s_or_b64 exec, exec, s[0:1]
	s_mov_b32 s0, 0x5040100
	v_perm_b32 v5, v3, v9, s0
	v_lshlrev_b32_e32 v3, 1, v34
	v_perm_b32 v4, v16, v17, s0
	v_lshl_or_b32 v3, v8, 5, v3
	s_movk_i32 s2, 0xff
	ds_write_b64 v3, v[4:5] offset:38912
	v_and_b32_e32 v3, 7, v0
	v_cmp_lt_u32_e32 vcc, s2, v0
	v_and_b32_e32 v4, 8, v0
	v_lshlrev_b32_e32 v9, 3, v3
	v_lshlrev_b32_e32 v22, 7, v3
	v_cndmask_b32_e64 v3, 0, 1, vcc
	v_lshrrev_b32_e32 v0, 1, v0
	v_lshlrev_b32_e32 v16, 13, v3
	v_lshlrev_b32_e32 v3, 3, v1
	v_and_b32_e32 v0, 24, v0
	v_xor_b32_e32 v5, v3, v0
	v_or_b32_e32 v6, 0x440, v5
	v_cmp_eq_u32_e32 vcc, 0, v4
	s_waitcnt lgkmcnt(0)
	s_barrier
	v_cndmask_b32_e32 v4, v6, v5, vcc
	v_or_b32_e32 v4, v4, v35
	v_xor_b32_e32 v23, v4, v9
	v_or_b32_e32 v4, 32, v0
	v_xor_b32_e32 v4, v3, v4
	v_or_b32_e32 v5, 0x440, v4
	v_cndmask_b32_e32 v4, v5, v4, vcc
	v_or_b32_e32 v4, v4, v35
	v_xor_b32_e32 v24, v4, v9
	v_or_b32_e32 v4, 64, v0
	v_xor_b32_e32 v4, v3, v4
	v_xor_b32_e32 v5, 0x440, v4
	v_cndmask_b32_e32 v4, v5, v4, vcc
	v_add3_u32 v14, v16, v23, v22
	v_or_b32_e32 v4, v4, v35
	v_or_b32_e32 v0, 0x60, v0
	v_xor_b32_e32 v25, v4, v9
	ds_read2st64_b64 v[4:7], v2 offset1:1
	ds_read2st64_b64 v[10:13], v2 offset0:2 offset1:3
	v_xor_b32_e32 v0, v3, v0
	ds_read_b64 v[2:3], v14
	v_add3_u32 v15, v16, v24, v22
	v_xor_b32_e32 v14, 0x440, v0
	v_cndmask_b32_e32 v0, v14, v0, vcc
	ds_read_b64 v[14:15], v15
	s_mul_i32 s0, s18, s17
	s_mul_hi_i32 s1, s18, s17
	s_add_u32 s0, s0, s33
	v_or_b32_e32 v0, v0, v35
	s_waitcnt lgkmcnt(1)
	v_mfma_f32_16x16x16_bf16 a[0:3], v[2:3], v[4:5], 0
	s_addc_u32 s1, s1, s46
	v_xor_b32_e32 v9, v0, v9
	s_lshl_b64 s[0:1], s[0:1], 9
	v_add3_u32 v17, v16, v25, v22
	v_add3_u32 v0, v16, v9, v22
	s_add_u32 s0, s20, s0
	ds_read_b64 v[18:19], v17
	ds_read_b64 v[20:21], v0
	s_addc_u32 s1, s21, s1
	v_lshlrev_b32_e32 v0, 2, v8
	s_waitcnt lgkmcnt(2)
	v_mfma_f32_16x16x16_bf16 a[0:3], v[14:15], v[6:7], a[0:3]
	global_load_dwordx4 v[14:17], v0, s[0:1]
	v_add_u32_e32 v0, v23, v22
	v_lshlrev_b32_e32 v2, 6, v1
	ds_read_b64 v[0:1], v0 offset:8192
	v_lshlrev_b32_e32 v3, 2, v39
	s_movk_i32 s2, 0x100
	s_waitcnt lgkmcnt(2)
	v_mfma_f32_16x16x16_bf16 a[0:3], v[18:19], v[10:11], a[0:3]
	v_or3_b32 v2, v2, v3, s2
	v_add_u32_e32 v3, v24, v22
	v_add_u32_e32 v18, v25, v22
	v_add_u32_e32 v22, v9, v22
	ds_read_b64 v[8:9], v3 offset:8192
	ds_read_b64 v[18:19], v18 offset:8192
	;; [unrolled: 1-line block ×3, first 2 shown]
	s_waitcnt lgkmcnt(3)
	v_mfma_f32_16x16x16_bf16 a[4:7], v[0:1], v[4:5], 0
	global_load_dwordx4 v[0:3], v2, s[0:1]
	v_exp_f32_e32 v24, s16
	s_waitcnt vmcnt(1)
	v_exp_f32_e32 v16, v16
	v_mfma_f32_16x16x16_bf16 a[0:3], v[20:21], v[12:13], a[0:3]
	v_exp_f32_e32 v17, v17
	v_exp_f32_e32 v14, v14
	;; [unrolled: 1-line block ×3, first 2 shown]
	v_pk_mul_f32 v[16:17], v[24:25], v[16:17] op_sel_hi:[0,1]
	v_pk_mul_f32 v[14:15], v[24:25], v[14:15] op_sel_hi:[0,1]
	s_nop 1
	v_accvgpr_read_b32 v21, a1
	v_accvgpr_read_b32 v5, a3
	;; [unrolled: 1-line block ×4, first 2 shown]
	s_waitcnt lgkmcnt(2)
	v_mfma_f32_16x16x16_bf16 a[0:3], v[8:9], v[6:7], a[4:7]
	v_pk_fma_f32 v[56:57], v[56:57], v[16:17], v[4:5]
	s_waitcnt vmcnt(0)
	v_mov_b32_e32 v4, v3
	v_mov_b32_e32 v3, v2
	s_waitcnt lgkmcnt(1)
	v_mfma_f32_16x16x16_bf16 a[0:3], v[18:19], v[10:11], a[0:3]
	v_mov_b32_e32 v2, v1
	v_exp_f32_e32 v0, v0
	v_exp_f32_e32 v1, v2
	s_waitcnt lgkmcnt(0)
	v_mfma_f32_16x16x16_bf16 a[0:3], v[22:23], v[12:13], a[0:3]
	v_exp_f32_e32 v2, v3
	v_exp_f32_e32 v3, v4
	v_pk_mul_f32 v[0:1], v[24:25], v[0:1] op_sel_hi:[0,1]
	v_pk_fma_f32 v[52:53], v[52:53], v[14:15], v[20:21]
	s_nop 2
	v_accvgpr_read_b32 v7, a1
	v_accvgpr_read_b32 v6, a0
	;; [unrolled: 1-line block ×4, first 2 shown]
	v_pk_fma_f32 v[50:51], v[50:51], v[0:1], v[6:7]
	v_pk_mul_f32 v[0:1], v[24:25], v[2:3] op_sel_hi:[0,1]
	v_pk_fma_f32 v[54:55], v[54:55], v[0:1], v[4:5]
.LBB514_75:
	s_add_u32 s0, s12, s14
	s_addc_u32 s1, s13, s15
	v_lshl_add_u64 v[0:1], v[46:47], 1, s[0:1]
	v_mov_b32_e32 v49, 0
	s_mov_b32 s0, 0x7060302
	v_lshl_add_u64 v[0:1], v[0:1], 0, v[48:49]
	v_perm_b32 v3, v57, v56, s0
	v_perm_b32 v2, v53, v52, s0
	global_store_dwordx2 v[0:1], v[2:3], off
	v_perm_b32 v3, v55, v54, s0
	v_perm_b32 v2, v51, v50, s0
	global_store_dwordx2 v[0:1], v[2:3], off offset:128
	s_endpgm
	.section	.rodata,"a",@progbits
	.p2align	6, 0x0
	.amdhsa_kernel _ZN12_GLOBAL__N_139chunk_gated_delta_rule_fwd_h_hip_kernelILi16ELb1ELb1ELb0ELb1ELb1ELb1ELb1ELb1EEEvPK12hip_bfloat16S3_S3_PKfS5_PKvPS1_S8_PvPKiSB_iiiiilll
		.amdhsa_group_segment_fixed_size 40960
		.amdhsa_private_segment_fixed_size 0
		.amdhsa_kernarg_size 136
		.amdhsa_user_sgpr_count 2
		.amdhsa_user_sgpr_dispatch_ptr 0
		.amdhsa_user_sgpr_queue_ptr 0
		.amdhsa_user_sgpr_kernarg_segment_ptr 1
		.amdhsa_user_sgpr_dispatch_id 0
		.amdhsa_user_sgpr_kernarg_preload_length 0
		.amdhsa_user_sgpr_kernarg_preload_offset 0
		.amdhsa_user_sgpr_private_segment_size 0
		.amdhsa_uses_dynamic_stack 0
		.amdhsa_enable_private_segment 0
		.amdhsa_system_sgpr_workgroup_id_x 1
		.amdhsa_system_sgpr_workgroup_id_y 1
		.amdhsa_system_sgpr_workgroup_id_z 0
		.amdhsa_system_sgpr_workgroup_info 0
		.amdhsa_system_vgpr_workitem_id 0
		.amdhsa_next_free_vgpr 128
		.amdhsa_next_free_sgpr 65
		.amdhsa_accum_offset 116
		.amdhsa_reserve_vcc 1
		.amdhsa_float_round_mode_32 0
		.amdhsa_float_round_mode_16_64 0
		.amdhsa_float_denorm_mode_32 3
		.amdhsa_float_denorm_mode_16_64 3
		.amdhsa_dx10_clamp 1
		.amdhsa_ieee_mode 1
		.amdhsa_fp16_overflow 0
		.amdhsa_tg_split 0
		.amdhsa_exception_fp_ieee_invalid_op 0
		.amdhsa_exception_fp_denorm_src 0
		.amdhsa_exception_fp_ieee_div_zero 0
		.amdhsa_exception_fp_ieee_overflow 0
		.amdhsa_exception_fp_ieee_underflow 0
		.amdhsa_exception_fp_ieee_inexact 0
		.amdhsa_exception_int_div_zero 0
	.end_amdhsa_kernel
	.section	.text._ZN12_GLOBAL__N_139chunk_gated_delta_rule_fwd_h_hip_kernelILi16ELb1ELb1ELb0ELb1ELb1ELb1ELb1ELb1EEEvPK12hip_bfloat16S3_S3_PKfS5_PKvPS1_S8_PvPKiSB_iiiiilll,"axG",@progbits,_ZN12_GLOBAL__N_139chunk_gated_delta_rule_fwd_h_hip_kernelILi16ELb1ELb1ELb0ELb1ELb1ELb1ELb1ELb1EEEvPK12hip_bfloat16S3_S3_PKfS5_PKvPS1_S8_PvPKiSB_iiiiilll,comdat
.Lfunc_end514:
	.size	_ZN12_GLOBAL__N_139chunk_gated_delta_rule_fwd_h_hip_kernelILi16ELb1ELb1ELb0ELb1ELb1ELb1ELb1ELb1EEEvPK12hip_bfloat16S3_S3_PKfS5_PKvPS1_S8_PvPKiSB_iiiiilll, .Lfunc_end514-_ZN12_GLOBAL__N_139chunk_gated_delta_rule_fwd_h_hip_kernelILi16ELb1ELb1ELb0ELb1ELb1ELb1ELb1ELb1EEEvPK12hip_bfloat16S3_S3_PKfS5_PKvPS1_S8_PvPKiSB_iiiiilll
                                        ; -- End function
	.section	.AMDGPU.csdata,"",@progbits
; Kernel info:
; codeLenInByte = 7948
; NumSgprs: 71
; NumVgprs: 116
; NumAgprs: 12
; TotalNumVgprs: 128
; ScratchSize: 0
; MemoryBound: 0
; FloatMode: 240
; IeeeMode: 1
; LDSByteSize: 40960 bytes/workgroup (compile time only)
; SGPRBlocks: 8
; VGPRBlocks: 15
; NumSGPRsForWavesPerEU: 71
; NumVGPRsForWavesPerEU: 128
; AccumOffset: 116
; Occupancy: 1
; WaveLimiterHint : 1
; COMPUTE_PGM_RSRC2:SCRATCH_EN: 0
; COMPUTE_PGM_RSRC2:USER_SGPR: 2
; COMPUTE_PGM_RSRC2:TRAP_HANDLER: 0
; COMPUTE_PGM_RSRC2:TGID_X_EN: 1
; COMPUTE_PGM_RSRC2:TGID_Y_EN: 1
; COMPUTE_PGM_RSRC2:TGID_Z_EN: 0
; COMPUTE_PGM_RSRC2:TIDIG_COMP_CNT: 0
; COMPUTE_PGM_RSRC3_GFX90A:ACCUM_OFFSET: 28
; COMPUTE_PGM_RSRC3_GFX90A:TG_SPLIT: 0
	.section	.text._ZN12_GLOBAL__N_139chunk_gated_delta_rule_fwd_h_hip_kernelILi16ELb1ELb0ELb1ELb1ELb1ELb1ELb1ELb1EEEvPK12hip_bfloat16S3_S3_PKfS5_PKvPS1_S8_PvPKiSB_iiiiilll,"axG",@progbits,_ZN12_GLOBAL__N_139chunk_gated_delta_rule_fwd_h_hip_kernelILi16ELb1ELb0ELb1ELb1ELb1ELb1ELb1ELb1EEEvPK12hip_bfloat16S3_S3_PKfS5_PKvPS1_S8_PvPKiSB_iiiiilll,comdat
	.globl	_ZN12_GLOBAL__N_139chunk_gated_delta_rule_fwd_h_hip_kernelILi16ELb1ELb0ELb1ELb1ELb1ELb1ELb1ELb1EEEvPK12hip_bfloat16S3_S3_PKfS5_PKvPS1_S8_PvPKiSB_iiiiilll ; -- Begin function _ZN12_GLOBAL__N_139chunk_gated_delta_rule_fwd_h_hip_kernelILi16ELb1ELb0ELb1ELb1ELb1ELb1ELb1ELb1EEEvPK12hip_bfloat16S3_S3_PKfS5_PKvPS1_S8_PvPKiSB_iiiiilll
	.p2align	8
	.type	_ZN12_GLOBAL__N_139chunk_gated_delta_rule_fwd_h_hip_kernelILi16ELb1ELb0ELb1ELb1ELb1ELb1ELb1ELb1EEEvPK12hip_bfloat16S3_S3_PKfS5_PKvPS1_S8_PvPKiSB_iiiiilll,@function
_ZN12_GLOBAL__N_139chunk_gated_delta_rule_fwd_h_hip_kernelILi16ELb1ELb0ELb1ELb1ELb1ELb1ELb1ELb1EEEvPK12hip_bfloat16S3_S3_PKfS5_PKvPS1_S8_PvPKiSB_iiiiilll: ; @_ZN12_GLOBAL__N_139chunk_gated_delta_rule_fwd_h_hip_kernelILi16ELb1ELb0ELb1ELb1ELb1ELb1ELb1ELb1EEEvPK12hip_bfloat16S3_S3_PKfS5_PKvPS1_S8_PvPKiSB_iiiiilll
; %bb.0:
	s_load_dwordx4 s[12:15], s[0:1], 0x5c
	s_load_dwordx4 s[4:7], s[0:1], 0x48
	s_abs_i32 s9, s3
	s_ashr_i32 s8, s3, 31
	v_and_b32_e32 v64, 15, v0
	s_waitcnt lgkmcnt(0)
	s_abs_i32 s10, s13
	v_cvt_f32_u32_e32 v1, s10
	s_sub_i32 s16, 0, s10
	s_ashr_i32 s11, s13, 31
	s_xor_b32 s8, s8, s11
	v_rcp_iflag_f32_e32 v1, v1
	v_lshrrev_b32_e32 v62, 6, v0
	v_bfe_u32 v63, v0, 4, 2
	v_mov_b32_e32 v5, 0
	v_mul_f32_e32 v1, 0x4f7ffffe, v1
	v_cvt_u32_f32_e32 v1, v1
	v_and_b32_e32 v45, 63, v0
	v_lshlrev_b32_e32 v65, 3, v0
	v_lshrrev_b32_e32 v66, 3, v45
	v_readfirstlane_b32 s17, v1
	s_mul_i32 s16, s16, s17
	s_mul_hi_u32 s16, s17, s16
	s_add_i32 s17, s17, s16
	s_mul_hi_u32 s16, s9, s17
	s_mul_i32 s17, s16, s10
	s_sub_i32 s9, s9, s17
	s_add_i32 s18, s16, 1
	s_sub_i32 s17, s9, s10
	s_cmp_ge_u32 s9, s10
	s_cselect_b32 s16, s18, s16
	s_cselect_b32 s9, s17, s9
	s_add_i32 s17, s16, 1
	s_cmp_ge_u32 s9, s10
	s_cselect_b32 s9, s17, s16
	s_xor_b32 s9, s9, s8
	s_sub_i32 s20, s9, s8
	s_mul_i32 s24, s20, s13
	s_ashr_i32 s21, s20, 31
	s_sub_i32 s49, s3, s24
	s_lshl_b64 s[8:9], s[20:21], 2
	s_add_u32 s4, s4, s8
	s_addc_u32 s5, s5, s9
	s_add_u32 s22, s6, s8
	s_addc_u32 s23, s7, s9
	s_abs_i32 s3, s14
	v_cvt_f32_u32_e32 v1, s3
	s_load_dwordx2 s[34:35], s[4:5], 0x0
	s_lshl_b32 s40, s2, 4
	s_ashr_i32 s2, s14, 31
	v_rcp_iflag_f32_e32 v1, v1
	s_xor_b32 s2, s11, s2
	s_waitcnt lgkmcnt(0)
	s_sub_i32 s52, s35, s34
	s_ashr_i32 s4, s52, 31
	v_mul_f32_e32 v1, 0x4f7ffffe, v1
	v_cvt_u32_f32_e32 v1, v1
	s_lshr_b32 s4, s4, 26
	s_add_i32 s4, s52, s4
	s_ashr_i32 s50, s4, 6
	s_sub_i32 s4, 0, s3
	v_readfirstlane_b32 s5, v1
	s_mul_i32 s4, s4, s5
	s_mul_hi_u32 s4, s5, s4
	s_add_i32 s5, s5, s4
	s_mul_hi_u32 s4, s10, s5
	s_mul_i32 s5, s4, s3
	s_sub_i32 s5, s10, s5
	s_add_i32 s6, s4, 1
	s_sub_i32 s7, s5, s3
	s_cmp_ge_u32 s5, s3
	s_cselect_b32 s4, s6, s4
	s_cselect_b32 s5, s7, s5
	s_add_i32 s6, s4, 1
	s_cmp_ge_u32 s5, s3
	s_cselect_b32 s3, s6, s4
	s_xor_b32 s3, s3, s2
	s_sub_i32 s2, s3, s2
	s_abs_i32 s3, s2
	v_cvt_f32_u32_e32 v1, s3
	s_sub_i32 s5, 0, s3
	s_abs_i32 s4, s49
	s_xor_b32 s2, s49, s2
	v_rcp_iflag_f32_e32 v1, v1
	s_ashr_i32 s2, s2, 31
	s_load_dwordx4 s[16:19], s[0:1], 0x28
	s_load_dwordx2 s[28:29], s[0:1], 0x38
	v_or_b32_e32 v46, s40, v64
	v_mul_f32_e32 v1, 0x4f7ffffe, v1
	v_cvt_u32_f32_e32 v1, v1
	v_lshlrev_b32_e32 v2, 7, v46
	v_ashrrev_i32_e32 v3, 31, v2
	s_mul_hi_i32 s54, s49, s12
	v_readfirstlane_b32 s6, v1
	s_mul_i32 s5, s5, s6
	s_mul_hi_u32 s5, s6, s5
	s_add_i32 s6, s6, s5
	s_mul_hi_u32 s5, s4, s6
	s_mul_i32 s6, s5, s3
	s_sub_i32 s4, s4, s6
	s_add_i32 s6, s5, 1
	s_sub_i32 s7, s4, s3
	s_cmp_ge_u32 s4, s3
	s_cselect_b32 s5, s6, s5
	s_cselect_b32 s4, s7, s4
	s_add_i32 s6, s5, 1
	s_cmp_ge_u32 s4, s3
	s_cselect_b32 s3, s6, s5
	s_xor_b32 s3, s3, s2
	s_sub_i32 s53, s3, s2
	s_ashr_i32 s51, s49, 31
	s_mul_hi_i32 s3, s20, s13
	s_add_u32 s2, s24, s49
	s_addc_u32 s3, s3, s51
	s_lshl_b64 s[2:3], s[2:3], 15
	v_lshlrev_b32_e32 v1, 4, v62
	s_waitcnt lgkmcnt(0)
	s_add_u32 s2, s16, s2
	v_lshl_or_b32 v67, v63, 2, v1
	s_addc_u32 s3, s17, s3
	v_lshl_add_u64 v[2:3], v[2:3], 1, s[2:3]
	v_lshlrev_b32_e32 v4, 1, v67
	v_lshl_add_u64 v[2:3], v[2:3], 0, v[4:5]
	global_load_dwordx2 v[4:5], v[2:3], off
	global_load_dwordx2 v[6:7], v[2:3], off offset:128
	s_load_dwordx8 s[4:11], s[0:1], 0x0
	s_load_dwordx2 s[30:31], s[0:1], 0x80
	s_load_dwordx4 s[24:27], s[0:1], 0x70
	s_load_dword s56, s[22:23], 0x0
	v_or_b32_e32 v68, 64, v67
	s_mul_i32 s55, s49, s12
	s_cmp_lt_i32 s52, 64
	s_waitcnt lgkmcnt(0)
	s_mul_i32 s33, s20, s25
	s_mul_hi_u32 s44, s20, s24
	s_mul_i32 s38, s20, s24
	s_mul_i32 s45, s21, s24
	s_mul_i32 s46, s49, s27
	s_mul_hi_u32 s47, s49, s26
	s_mul_i32 s48, s51, s26
	s_mul_i32 s36, s49, s26
	s_waitcnt vmcnt(1)
	v_and_b32_e32 v51, 0xffff0000, v4
	v_lshlrev_b32_e32 v50, 16, v4
	v_and_b32_e32 v55, 0xffff0000, v5
	v_lshlrev_b32_e32 v54, 16, v5
	s_waitcnt vmcnt(0)
	v_and_b32_e32 v49, 0xffff0000, v6
	v_lshlrev_b32_e32 v48, 16, v6
	v_and_b32_e32 v53, 0xffff0000, v7
	v_lshlrev_b32_e32 v52, 16, v7
	s_cbranch_scc1 .LBB515_18
; %bb.1:
	s_ashr_i32 s3, s34, 31
	s_add_u32 s2, s55, s34
	s_addc_u32 s3, s54, s3
	s_lshl_b64 s[2:3], s[2:3], 8
	v_and_b32_e32 v70, 56, v65
	s_add_u32 s20, s6, s2
	v_lshl_or_b32 v69, v62, 3, v66
	v_lshlrev_b32_e32 v2, 1, v70
	s_addc_u32 s2, s7, s3
	v_lshl_or_b32 v71, v69, 8, v2
	s_and_b32 s21, s2, 0xffff
	s_mov_b32 s23, 0x20000
	s_movk_i32 s22, 0x4000
	s_movk_i32 s2, 0x80
	v_or_b32_e32 v72, 0x2000, v71
	buffer_load_dwordx4 v[4:7], v71, s[20:23], 0 offen
	buffer_load_dwordx4 v[8:11], v71, s[20:23], s2 offen
	;; [unrolled: 1-line block ×4, first 2 shown]
	v_lshlrev_b32_e32 v3, 3, v69
	v_and_or_b32 v21, v0, 7, v3
	v_and_b32_e32 v3, 0x78, v3
	v_lshlrev_b32_e32 v21, 4, v21
	v_xor_b32_e32 v73, v21, v3
	v_mul_lo_u32 v20, v69, s15
	v_or_b32_e32 v74, 0x1000, v73
	v_xor_b32_e32 v3, 8, v73
	s_cmpk_eq_i32 s15, 0x80
	s_mov_b32 s57, s34
	v_xor_b32_e32 v21, 8, v74
	s_cselect_b64 s[2:3], -1, 0
	s_cmpk_lg_i32 s15, 0x80
	s_waitcnt vmcnt(3)
	ds_write_b64 v73, v[4:5] offset:16384
	ds_write_b64 v3, v[6:7] offset:16384
	s_waitcnt vmcnt(2)
	ds_write_b64 v73, v[8:9] offset:24576
	ds_write_b64 v3, v[10:11] offset:24576
	;; [unrolled: 3-line block ×4, first 2 shown]
	v_lshl_add_u32 v3, v20, 1, v70
	s_cbranch_scc0 .LBB515_3
; %bb.2:
	v_lshlrev_b32_e32 v5, 1, v3
	v_add_lshl_u32 v4, v3, s15, 1
	s_lshl_b32 s22, s15, 7
	s_load_dwordx2 s[16:17], s[0:1], 0x20
	v_lshl_or_b32 v2, v69, 9, v2
	s_cbranch_execz .LBB515_4
	s_branch .LBB515_5
.LBB515_3:
                                        ; implicit-def: $vgpr4
                                        ; implicit-def: $vgpr5
                                        ; implicit-def: $sgpr22
	s_load_dwordx2 s[16:17], s[0:1], 0x20
	v_lshl_or_b32 v2, v69, 9, v2
.LBB515_4:
	v_or_b32_e32 v4, 0x100, v2
	s_movk_i32 s22, 0x4000
	v_mov_b32_e32 v5, v2
.LBB515_5:
	s_mul_i32 s0, s34, s14
	s_ashr_i32 s58, s53, 31
	s_mul_hi_i32 s1, s34, s14
	s_add_u32 s0, s0, s53
	s_addc_u32 s1, s1, s58
	s_lshl_b64 s[0:1], s[0:1], 8
	s_add_u32 s20, s4, s0
	s_addc_u32 s0, s5, s1
	s_and_b32 s21, s0, 0xffff
	s_movk_i32 s59, 0x80
	buffer_load_dwordx4 v[6:9], v5, s[20:23], 0 offen
	buffer_load_dwordx4 v[10:13], v5, s[20:23], s59 offen
	;; [unrolled: 1-line block ×4, first 2 shown]
	v_and_b32_e32 v4, 6, v0
	v_lshlrev_b32_e32 v22, 2, v64
	v_lshlrev_b32_e32 v23, 3, v64
	v_xor_b32_e32 v27, v69, v4
	v_and_b32_e32 v5, 1, v0
	v_lshl_or_b32 v23, v67, 5, v23
	v_xor_b32_e32 v28, v67, v22
	v_lshlrev_b32_e32 v27, 2, v27
	s_add_i32 s0, s44, s33
	v_or_b32_e32 v75, 0x9000, v23
	v_or_b32_e32 v76, 0x9800, v23
	v_lshlrev_b32_e32 v23, 1, v28
	v_xor_b32_e32 v28, 0x440, v27
	v_cmp_eq_u32_e32 vcc, 0, v5
	s_add_i32 s1, s47, s46
	s_add_i32 s39, s0, s45
	v_cndmask_b32_e32 v5, v28, v27, vcc
	s_add_i32 s37, s1, s48
	s_lshl_b64 s[0:1], s[38:39], 2
	s_mov_b32 s60, 0x1000504
	s_mov_b32 s61, 0x3020706
	v_lshlrev_b32_e32 v24, 8, v64
	s_mov_b32 s20, 0x8000
	v_xor_b32_e32 v22, v68, v22
	v_lshl_or_b32 v4, v4, 10, v5
	s_add_u32 s21, s10, s0
	v_or_b32_e32 v25, v1, v64
	v_lshlrev_b32_e32 v22, 1, v22
	v_or3_b32 v77, v23, v24, s20
	v_xor_b32_e32 v5, 8, v4
	v_xor_b32_e32 v23, 24, v4
	;; [unrolled: 1-line block ×4, first 2 shown]
	s_addc_u32 s22, s11, s1
	s_lshl_b64 s[0:1], s[36:37], 2
	v_or3_b32 v78, v22, v24, s20
	v_xor_b32_e32 v22, 16, v4
	v_xor_b32_e32 v24, 32, v4
	;; [unrolled: 1-line block ×3, first 2 shown]
	v_add_u32_e32 v5, 0x80, v5
	v_add_u32_e32 v23, 0x80, v23
	;; [unrolled: 1-line block ×4, first 2 shown]
	s_add_u32 s42, s21, s0
	s_movk_i32 s0, 0xf8
	s_addc_u32 s43, s22, s1
	s_ashr_i32 s41, s40, 31
	v_ashrrev_i32_e32 v47, 31, v46
	s_lshl_b32 s26, s15, 7
	v_lshrrev_b32_e32 v26, 2, v45
	s_mov_b32 s62, 0
	s_mov_b32 s37, 0x7060302
	s_movk_i32 s22, 0x4000
	s_waitcnt vmcnt(1)
	v_perm_b32 v30, v6, v14, s60
	s_waitcnt vmcnt(0)
	v_perm_b32 v31, v10, v18, s60
	v_perm_b32 v6, v6, v14, s61
	;; [unrolled: 1-line block ×15, first 2 shown]
	ds_write2st64_b32 v4, v30, v31 offset1:32
	ds_write2st64_b32 v5, v6, v10 offset1:32
	ds_write2st64_b32 v22, v14, v18 offset0:1 offset1:33
	ds_write2st64_b32 v23, v7, v11 offset0:1 offset1:33
	;; [unrolled: 1-line block ×6, first 2 shown]
	v_lshlrev_b32_e32 v4, 3, v25
	v_lshrrev_b32_e32 v6, 5, v45
	v_and_or_b32 v6, v4, s0, v6
	v_lshlrev_b32_e32 v6, 4, v6
	v_lshlrev_b32_e32 v13, 11, v62
	v_and_b32_e32 v4, 0x78, v4
	v_or_b32_e32 v9, 32, v6
	v_and_b32_e32 v5, 0x1000, v13
	v_lshrrev_b32_e32 v8, 1, v45
	v_xor_b32_e32 v9, v9, v4
	v_and_b32_e32 v8, 8, v8
	v_or_b32_e32 v9, v9, v5
	v_xor_b32_e32 v7, v6, v4
	v_xor_b32_e32 v81, v9, v8
	v_or_b32_e32 v9, 64, v6
	v_or_b32_e32 v6, 0x60, v6
	v_xor_b32_e32 v9, v9, v4
	v_xor_b32_e32 v4, v6, v4
	v_or_b32_e32 v7, v7, v5
	v_or_b32_e32 v9, v9, v5
	;; [unrolled: 1-line block ×3, first 2 shown]
	v_xor_b32_e32 v79, v7, v8
	v_xor_b32_e32 v82, v9, v8
	;; [unrolled: 1-line block ×3, first 2 shown]
	v_lshrrev_b32_e32 v8, 4, v0
	v_lshlrev_b32_e32 v9, 1, v64
	v_or_b32_e32 v10, 1, v9
	v_xor_b32_e32 v9, v8, v9
	s_lshl_b64 s[0:1], s[40:41], 8
	v_xor_b32_e32 v10, v10, v8
	v_lshlrev_b32_e32 v9, 3, v9
	v_lshlrev_b32_e32 v8, 8, v8
	v_lshlrev_b64 v[4:5], 1, v[46:47]
	s_add_u32 s0, s18, s0
	v_or3_b32 v47, v9, v8, s20
	v_lshlrev_b32_e32 v9, 3, v10
	s_addc_u32 s1, s19, s1
	v_or3_b32 v85, v9, v8, s20
	v_mov_b32_e32 v9, 0
	v_lshrrev_b32_e32 v19, 1, v0
	v_lshl_add_u64 v[10:11], s[0:1], 0, v[8:9]
	v_lshlrev_b32_e32 v8, 4, v64
	s_movk_i32 s0, 0xff
	v_lshlrev_b32_e32 v18, 3, v62
	v_and_b32_e32 v19, 24, v19
	v_lshl_add_u64 v[56:57], v[10:11], 0, v[8:9]
	v_and_b32_e32 v8, 7, v0
	v_and_b32_e32 v11, 8, v0
	v_cmp_lt_u32_e32 vcc, s0, v0
	v_xor_b32_e32 v20, v18, v19
	v_lshlrev_b32_e32 v16, 3, v8
	v_lshlrev_b32_e32 v17, 7, v8
	v_cndmask_b32_e64 v8, 0, 1, vcc
	v_or_b32_e32 v21, 0x440, v20
	v_cmp_eq_u32_e32 vcc, 0, v11
	v_or_b32_e32 v23, 64, v19
	v_xor_b32_e32 v23, v18, v23
	v_cndmask_b32_e32 v11, v21, v20, vcc
	v_or_b32_e32 v21, 32, v19
	v_or_b32_e32 v19, 0x60, v19
	v_xor_b32_e32 v21, v18, v21
	v_xor_b32_e32 v18, v18, v19
	v_or_b32_e32 v22, 0x440, v21
	v_xor_b32_e32 v24, 0x440, v23
	v_xor_b32_e32 v19, 0x440, v18
	v_cndmask_b32_e32 v21, v22, v21, vcc
	v_cndmask_b32_e32 v23, v24, v23, vcc
	;; [unrolled: 1-line block ×3, first 2 shown]
	v_and_b32_e32 v7, 0x78, v65
	v_or_b32_e32 v11, v11, v13
	v_or_b32_e32 v21, v21, v13
	;; [unrolled: 1-line block ×4, first 2 shown]
	v_and_b32_e32 v12, 12, v26
	v_lshl_or_b32 v7, v63, 7, v7
	v_lshlrev_b32_e32 v8, 13, v8
	v_xor_b32_e32 v11, v11, v16
	v_xor_b32_e32 v21, v21, v16
	;; [unrolled: 1-line block ×4, first 2 shown]
	v_or_b32_e32 v80, 0x9000, v7
	v_or_b32_e32 v84, 0x9800, v7
	v_lshl_add_u64 v[6:7], s[8:9], 0, v[4:5]
	v_lshl_add_u64 v[4:5], s[28:29], 0, v[4:5]
	v_lshlrev_b32_e32 v14, 1, v3
	v_add_lshl_u32 v3, v3, s15, 1
	v_or_b32_e32 v15, 0x100, v2
	v_or_b32_e32 v10, v12, v1
	v_add_u32_e32 v20, v8, v11
	v_add_u32_e32 v22, v8, v21
	;; [unrolled: 1-line block ×4, first 2 shown]
	v_or3_b32 v12, v1, v12, 64
	v_add_u32_e32 v11, 0x2000, v11
	v_add_u32_e32 v18, 0x2000, v21
	;; [unrolled: 1-line block ×4, first 2 shown]
	v_lshlrev_b32_e32 v8, 8, v67
	v_cndmask_b32_e64 v86, v14, v2, s[2:3]
	v_cndmask_b32_e64 v87, v3, v15, s[2:3]
	v_lshl_add_u64 v[58:59], v[6:7], 0, v[8:9]
	v_lshl_add_u64 v[60:61], v[4:5], 0, v[8:9]
	v_lshlrev_b32_e32 v88, 2, v10
	v_add_u32_e32 v89, v20, v17
	v_add_u32_e32 v90, v22, v17
	v_add_u32_e32 v91, v24, v17
	v_add_u32_e32 v92, v16, v17
	v_lshlrev_b32_e32 v93, 2, v12
	v_add_u32_e32 v94, v11, v17
	v_add_u32_e32 v95, v18, v17
	;; [unrolled: 1-line block ×4, first 2 shown]
	s_waitcnt lgkmcnt(0)
	s_barrier
.LBB515_6:                              ; =>This Inner Loop Header: Depth=1
	s_add_i32 s39, s62, 1
	s_cmp_lt_i32 s39, s50
	s_mov_b64 s[24:25], 0
	s_cselect_b64 s[2:3], -1, 0
	s_cmp_ge_i32 s39, s50
	s_mov_b64 s[20:21], 0
	s_cbranch_scc1 .LBB515_8
; %bb.7:                                ;   in Loop: Header=BB515_6 Depth=1
	s_add_i32 s0, s57, 64
	s_ashr_i32 s1, s0, 31
	s_add_u32 s0, s55, s0
	s_addc_u32 s1, s54, s1
	s_lshl_b64 s[0:1], s[0:1], 8
	s_add_u32 s20, s6, s0
	s_addc_u32 s21, s7, s1
.LBB515_8:                              ;   in Loop: Header=BB515_6 Depth=1
	v_cndmask_b32_e64 v2, 0, 1, s[2:3]
	v_cmp_ne_u32_e64 s[0:1], 1, v2
	s_andn2_b64 vcc, exec, s[2:3]
	s_cbranch_vccnz .LBB515_10
; %bb.9:                                ;   in Loop: Header=BB515_6 Depth=1
	s_add_i32 s2, s57, 64
	s_mul_hi_i32 s3, s2, s14
	s_mul_i32 s2, s2, s14
	s_add_u32 s2, s2, s53
	s_addc_u32 s3, s3, s58
	s_lshl_b64 s[2:3], s[2:3], 8
	s_add_u32 s24, s4, s2
	s_addc_u32 s25, s5, s3
.LBB515_10:                             ;   in Loop: Header=BB515_6 Depth=1
	v_perm_b32 v3, v55, v54, s37
	v_perm_b32 v2, v51, v50, s37
	v_perm_b32 v5, v53, v52, s37
	v_perm_b32 v4, v49, v48, s37
	ds_write_b64 v75, v[2:3]
	ds_write_b64 v76, v[4:5]
	;; [unrolled: 1-line block ×4, first 2 shown]
	s_waitcnt lgkmcnt(0)
	s_barrier
	ds_read_b64 v[10:11], v79 offset:16384
	ds_read_b64 v[12:13], v81 offset:16384
	ds_read2st64_b64 v[2:5], v80 offset1:1
	s_waitcnt lgkmcnt(0)
	v_mfma_f32_16x16x16_bf16 a[0:3], v[10:11], v[2:3], 0
	ds_read2st64_b64 v[6:9], v80 offset0:2 offset1:3
	ds_read_b64 v[14:15], v82 offset:16384
	ds_read_b64 v[2:3], v83 offset:16384
	s_add_i32 s41, s57, 63
	v_mfma_f32_16x16x16_bf16 a[0:3], v[12:13], v[4:5], a[0:3]
	s_ashr_i32 s2, s41, 31
	s_mul_i32 s3, s41, s31
	s_mul_hi_u32 s27, s41, s30
	s_waitcnt lgkmcnt(1)
	v_mfma_f32_16x16x16_bf16 a[0:3], v[14:15], v[6:7], a[0:3]
	s_add_i32 s3, s27, s3
	s_mul_i32 s2, s2, s30
	s_add_i32 s3, s3, s2
	s_mul_i32 s2, s41, s30
	s_waitcnt lgkmcnt(0)
	v_mfma_f32_16x16x16_bf16 a[0:3], v[2:3], v[8:9], a[0:3]
	s_lshl_b64 s[2:3], s[2:3], 2
	s_add_u32 s2, s42, s2
	s_addc_u32 s3, s43, s3
	s_and_b64 vcc, exec, s[0:1]
	v_mov_b32_e32 v100, 0
	v_mov_b32_e32 v99, 0
	;; [unrolled: 1-line block ×19, first 2 shown]
	s_cbranch_vccnz .LBB515_12
; %bb.11:                               ;   in Loop: Header=BB515_6 Depth=1
	s_and_b32 s21, s21, 0xffff
	buffer_load_dwordx4 v[14:17], v71, s[20:23], 0 offen
	buffer_load_dwordx4 v[10:13], v71, s[20:23], s59 offen
	;; [unrolled: 1-line block ×4, first 2 shown]
	v_mov_b32_e32 v99, v73
	v_mov_b32_e32 v98, v74
.LBB515_12:                             ;   in Loop: Header=BB515_6 Depth=1
	v_add_u32_e32 v22, s57, v67
	v_ashrrev_i32_e32 v18, 31, v22
	v_mul_lo_u32 v20, v18, s30
	v_mul_lo_u32 v21, v22, s31
	v_mad_u64_u32 v[18:19], s[20:21], v22, s30, 0
	v_add3_u32 v19, v19, v21, v20
	v_lshl_add_u64 v[18:19], v[18:19], 2, s[42:43]
	global_load_dword v36, v[18:19], off
	v_add_u32_e32 v18, 1, v22
	v_ashrrev_i32_e32 v19, 31, v18
	v_mul_lo_u32 v20, v19, s30
	v_mul_lo_u32 v21, v18, s31
	v_mad_u64_u32 v[18:19], s[20:21], v18, s30, 0
	v_add3_u32 v19, v19, v21, v20
	v_add_u32_e32 v20, 2, v22
	v_ashrrev_i32_e32 v21, 31, v20
	v_mul_lo_u32 v23, v21, s30
	v_mul_lo_u32 v24, v20, s31
	v_mad_u64_u32 v[20:21], s[20:21], v20, s30, 0
	v_add_u32_e32 v22, 3, v22
	v_add3_u32 v21, v21, v24, v23
	v_ashrrev_i32_e32 v23, 31, v22
	v_mul_lo_u32 v26, v23, s30
	v_mul_lo_u32 v27, v22, s31
	v_mad_u64_u32 v[22:23], s[20:21], v22, s30, 0
	s_ashr_i32 s21, s57, 31
	s_add_u32 s20, s55, s57
	s_addc_u32 s21, s54, s21
	s_lshl_b64 s[20:21], s[20:21], 8
	v_lshl_add_u64 v[18:19], v[18:19], 2, s[42:43]
	v_lshl_add_u64 v[24:25], v[58:59], 0, s[20:21]
	v_add3_u32 v23, v23, v27, v26
	v_lshl_add_u64 v[20:21], v[20:21], 2, s[42:43]
	global_load_ushort v37, v[24:25], off
	global_load_ushort v38, v[24:25], off offset:256
	global_load_ushort v39, v[24:25], off offset:512
	;; [unrolled: 1-line block ×3, first 2 shown]
	v_lshl_add_u64 v[22:23], v[22:23], 2, s[42:43]
	global_load_dword v41, v[18:19], off
	global_load_dword v42, v[20:21], off
	;; [unrolled: 1-line block ×3, first 2 shown]
	s_load_dword s2, s[2:3], 0x0
	ds_read_b64 v[20:21], v79 offset:24576
	ds_read2st64_b64 v[22:25], v84 offset1:1
	ds_read2st64_b64 v[26:29], v84 offset0:2 offset1:3
	ds_read_b64 v[30:31], v81 offset:24576
	ds_read_b64 v[32:33], v82 offset:24576
	;; [unrolled: 1-line block ×3, first 2 shown]
	s_waitcnt lgkmcnt(0)
	v_mfma_f32_16x16x16_bf16 a[0:3], v[20:21], v[22:23], a[0:3]
	v_mov_b32_e32 v101, 0
	v_mov_b32_e32 v18, 0
	;; [unrolled: 1-line block ×3, first 2 shown]
	v_mfma_f32_16x16x16_bf16 a[0:3], v[30:31], v[24:25], a[0:3]
	v_lshl_add_u64 v[30:31], v[60:61], 0, s[20:21]
	v_mov_b32_e32 v20, 0
	v_mov_b32_e32 v21, 0
	v_mfma_f32_16x16x16_bf16 a[0:3], v[32:33], v[26:27], a[0:3]
	v_mov_b32_e32 v22, 0
	v_mov_b32_e32 v23, 0
	;; [unrolled: 1-line block ×3, first 2 shown]
	v_mfma_f32_16x16x16_bf16 a[0:3], v[34:35], v[28:29], a[0:3]
	v_mov_b32_e32 v25, 0
	v_mov_b32_e32 v26, 0
	s_and_b64 vcc, exec, s[0:1]
	s_waitcnt vmcnt(7)
	v_sub_f32_e32 v27, s2, v36
	s_nop 1
	v_accvgpr_read_b32 v33, a1
	v_accvgpr_read_b32 v32, a0
	;; [unrolled: 1-line block ×4, first 2 shown]
	s_waitcnt vmcnt(6)
	v_lshlrev_b32_e32 v34, 16, v37
	s_waitcnt vmcnt(5)
	v_lshlrev_b32_e32 v35, 16, v38
	v_exp_f32_e32 v38, v27
	s_waitcnt vmcnt(3)
	v_lshlrev_b32_e32 v37, 16, v40
	s_waitcnt vmcnt(2)
	v_sub_f32_e32 v27, s2, v41
	s_waitcnt vmcnt(1)
	v_sub_f32_e32 v40, s2, v42
	;; [unrolled: 2-line block ×3, first 2 shown]
	v_lshlrev_b32_e32 v36, 16, v39
	v_pk_add_f32 v[32:33], v[34:35], v[32:33] neg_lo:[0,1] neg_hi:[0,1]
	v_exp_f32_e32 v39, v27
	v_exp_f32_e32 v34, v40
	;; [unrolled: 1-line block ×3, first 2 shown]
	v_pk_add_f32 v[28:29], v[36:37], v[28:29] neg_lo:[0,1] neg_hi:[0,1]
	global_store_short_d16_hi v[30:31], v32, off
	global_store_short_d16_hi v[30:31], v33, off offset:256
	global_store_short_d16_hi v[30:31], v28, off offset:512
	;; [unrolled: 1-line block ×3, first 2 shown]
	v_pk_mul_f32 v[30:31], v[38:39], v[32:33]
	v_pk_mul_f32 v[28:29], v[34:35], v[28:29]
	v_perm_b32 v30, v31, v30, s37
	v_perm_b32 v31, v29, v28, s37
	ds_write_b64 v76, v[30:31]
	v_mov_b32_e32 v27, 0
	v_mov_b32_e32 v28, 0
	;; [unrolled: 1-line block ×7, first 2 shown]
	s_cbranch_vccnz .LBB515_14
; %bb.13:                               ;   in Loop: Header=BB515_6 Depth=1
	s_and_b32 s25, s25, 0xffff
	s_mov_b32 s27, s23
	buffer_load_dwordx4 v[30:33], v86, s[24:27], 0 offen
	buffer_load_dwordx4 v[22:25], v86, s[24:27], s59 offen
	;; [unrolled: 1-line block ×4, first 2 shown]
	v_mov_b32_e32 v100, v70
	v_mov_b32_e32 v101, v69
.LBB515_14:                             ;   in Loop: Header=BB515_6 Depth=1
	s_waitcnt lgkmcnt(0)
	s_barrier
	ds_read_b64 v[34:35], v89
	ds_read_b64 v[40:41], v90
	ds_read2st64_b64 v[36:39], v84 offset1:1
	ds_read2st64_b64 v[102:105], v84 offset0:2 offset1:3
	ds_read_b64 v[42:43], v91
	ds_read_b64 v[110:111], v92
	s_add_i32 s3, s56, s62
	s_mul_hi_i32 s21, s3, s13
	s_mul_i32 s3, s3, s13
	s_waitcnt lgkmcnt(3)
	v_mfma_f32_16x16x16_bf16 a[0:3], v[34:35], v[36:37], 0
	ds_read_b64 v[34:35], v94
	s_add_u32 s20, s3, s49
	s_addc_u32 s21, s21, s51
	v_mfma_f32_16x16x16_bf16 a[0:3], v[40:41], v[38:39], a[0:3]
	ds_read_b64 v[40:41], v95
	s_lshl_b64 s[20:21], s[20:21], 15
	s_mul_i32 s24, s41, s13
	s_mul_hi_i32 s3, s41, s13
	s_add_u32 s24, s24, s49
	s_addc_u32 s25, s3, s51
	s_lshl_b64 s[24:25], s[24:25], 9
	s_add_u32 s24, s16, s24
	s_waitcnt lgkmcnt(1)
	v_mfma_f32_16x16x16_bf16 a[4:7], v[34:35], v[36:37], 0
	s_addc_u32 s25, s17, s25
	s_and_b64 vcc, exec, s[0:1]
	v_mfma_f32_16x16x16_bf16 a[0:3], v[42:43], v[102:103], a[0:3]
	ds_read_b64 v[42:43], v96
	ds_read_b64 v[112:113], v97
	global_load_dwordx4 v[34:37], v93, s[24:25]
	s_waitcnt lgkmcnt(2)
	v_mfma_f32_16x16x16_bf16 a[4:7], v[40:41], v[38:39], a[4:7]
	global_load_dwordx4 v[38:41], v88, s[24:25]
	ds_read_b64 v[106:107], v47
	ds_read_b64 v[108:109], v85
	s_waitcnt lgkmcnt(3)
	v_mfma_f32_16x16x16_bf16 a[8:11], v[42:43], v[102:103], a[4:7]
	v_lshl_add_u64 v[42:43], v[56:57], 0, s[20:21]
	s_waitcnt lgkmcnt(0)
	global_store_dwordx4 v[42:43], v[106:109], off
	v_mfma_f32_16x16x16_bf16 a[4:7], v[110:111], v[104:105], a[0:3]
	s_waitcnt vmcnt(2)
	v_mov_b32_e32 v44, v37
	v_mfma_f32_16x16x16_bf16 a[0:3], v[112:113], v[104:105], a[8:11]
	v_mov_b32_e32 v43, v36
	v_mov_b32_e32 v42, v35
	s_cbranch_vccnz .LBB515_16
; %bb.15:                               ;   in Loop: Header=BB515_6 Depth=1
	v_lshrrev_b32_e32 v35, 3, v100
	v_and_b32_e32 v35, 6, v35
	v_xor_b32_e32 v36, v35, v101
	v_lshlrev_b32_e32 v36, 2, v36
	v_and_b32_e32 v37, 8, v100
	v_xor_b32_e32 v100, 0x440, v36
	v_cmp_eq_u32_e32 vcc, 0, v37
	v_perm_b32 v37, v22, v18, s60
	s_nop 0
	v_cndmask_b32_e32 v36, v100, v36, vcc
	v_lshl_or_b32 v35, v35, 10, v36
	v_perm_b32 v36, v30, v26, s60
	s_barrier
	ds_write2st64_b32 v35, v36, v37 offset1:32
	v_xor_b32_e32 v36, 8, v35
	v_perm_b32 v26, v30, v26, s61
	v_perm_b32 v18, v22, v18, s61
	v_add_u32_e32 v22, 0x80, v36
	ds_write2st64_b32 v22, v26, v18 offset1:32
	v_xor_b32_e32 v18, 16, v35
	v_perm_b32 v22, v31, v27, s60
	v_perm_b32 v26, v23, v19, s60
	ds_write2st64_b32 v18, v22, v26 offset0:1 offset1:33
	v_xor_b32_e32 v18, 24, v35
	v_perm_b32 v22, v31, v27, s61
	v_perm_b32 v19, v23, v19, s61
	v_add_u32_e32 v18, 0x80, v18
	ds_write2st64_b32 v18, v22, v19 offset0:1 offset1:33
	v_xor_b32_e32 v18, 32, v35
	v_perm_b32 v19, v32, v28, s60
	v_perm_b32 v22, v24, v20, s60
	ds_write2st64_b32 v18, v19, v22 offset0:2 offset1:34
	v_xor_b32_e32 v18, 40, v35
	v_perm_b32 v19, v32, v28, s61
	v_perm_b32 v20, v24, v20, s61
	v_add_u32_e32 v18, 0x80, v18
	ds_write2st64_b32 v18, v19, v20 offset0:2 offset1:34
	;; [unrolled: 9-line block ×3, first 2 shown]
	ds_write_b64 v99, v[14:15] offset:16384
	v_xor_b32_e32 v14, 8, v99
	ds_write_b64 v14, v[16:17] offset:16384
	ds_write_b64 v99, v[10:11] offset:24576
	;; [unrolled: 1-line block ×4, first 2 shown]
	v_xor_b32_e32 v6, 8, v98
	ds_write_b64 v6, v[8:9] offset:16384
	ds_write_b64 v98, v[2:3] offset:24576
	;; [unrolled: 1-line block ×3, first 2 shown]
.LBB515_16:                             ;   in Loop: Header=BB515_6 Depth=1
	v_exp_f32_e32 v10, s2
	s_waitcnt vmcnt(1)
	v_exp_f32_e32 v12, v38
	v_exp_f32_e32 v13, v39
	;; [unrolled: 1-line block ×4, first 2 shown]
	v_accvgpr_read_b32 v2, a4
	v_accvgpr_read_b32 v3, a5
	v_pk_mul_f32 v[12:13], v[10:11], v[12:13] op_sel_hi:[0,1]
	v_pk_fma_f32 v[50:51], v[50:51], v[12:13], v[2:3]
	v_exp_f32_e32 v12, v34
	v_exp_f32_e32 v13, v42
	v_pk_mul_f32 v[2:3], v[10:11], v[14:15] op_sel_hi:[0,1]
	v_exp_f32_e32 v14, v43
	v_exp_f32_e32 v15, v44
	v_accvgpr_read_b32 v4, a6
	v_accvgpr_read_b32 v5, a7
	;; [unrolled: 1-line block ×5, first 2 shown]
	v_pk_fma_f32 v[54:55], v[54:55], v[2:3], v[4:5]
	v_pk_mul_f32 v[2:3], v[10:11], v[12:13] op_sel_hi:[0,1]
	v_accvgpr_read_b32 v8, a2
	v_pk_fma_f32 v[48:49], v[48:49], v[2:3], v[6:7]
	v_pk_mul_f32 v[2:3], v[10:11], v[14:15] op_sel_hi:[0,1]
	s_add_i32 s57, s57, 64
	s_cmp_eq_u32 s50, s39
	v_pk_fma_f32 v[52:53], v[52:53], v[2:3], v[8:9]
	s_cbranch_scc1 .LBB515_18
; %bb.17:                               ;   in Loop: Header=BB515_6 Depth=1
	s_mov_b32 s62, s39
	s_branch .LBB515_6
.LBB515_18:
	s_lshl_b32 s26, s50, 6
	s_sub_i32 s27, s52, s26
	s_cmp_gt_i32 s27, 0
	s_cbranch_scc0 .LBB515_75
; %bb.19:
	s_add_i32 s26, s26, s34
	s_ashr_i32 s2, s26, 31
	s_cmpk_lg_i32 s15, 0x80
	s_cselect_b64 s[22:23], -1, 0
	s_and_b64 vcc, exec, s[22:23]
	s_cbranch_vccz .LBB515_21
; %bb.20:
	s_mul_i32 s1, s26, s14
	s_ashr_i32 s3, s53, 31
	s_mul_hi_i32 s0, s26, s14
	s_add_u32 s24, s1, s53
	s_addc_u32 s25, s0, s3
	s_cbranch_execz .LBB515_22
	s_branch .LBB515_23
.LBB515_21:
                                        ; implicit-def: $sgpr24_sgpr25
.LBB515_22:
	s_mul_i32 s1, s53, s12
	s_mul_hi_i32 s0, s53, s12
	s_add_u32 s24, s1, s26
	s_addc_u32 s25, s0, s2
.LBB515_23:
	s_add_i32 s3, s50, s56
	s_add_u32 s0, s55, s26
	s_addc_u32 s1, s54, s2
	s_mov_b32 s2, 0x7060302
	v_lshlrev_b32_e32 v6, 3, v64
	s_lshl_b64 s[20:21], s[0:1], 8
	v_perm_b32 v3, v55, v54, s2
	v_perm_b32 v2, v51, v50, s2
	;; [unrolled: 1-line block ×4, first 2 shown]
	v_lshlrev_b32_e32 v34, 2, v64
	v_lshl_or_b32 v6, v67, 5, v6
	s_add_u32 s0, s6, s20
	ds_write2st64_b64 v6, v[2:3], v[4:5] offset0:72 offset1:76
	v_xor_b32_e32 v6, v67, v34
	v_lshlrev_b32_e32 v7, 8, v64
	s_addc_u32 s1, s7, s21
	v_lshl_or_b32 v6, v6, 1, v7
	s_mul_hi_i32 s6, s3, s13
	s_mul_i32 s3, s3, s13
	ds_write_b64 v6, v[2:3] offset:32768
	v_xor_b32_e32 v2, v68, v34
	s_add_u32 s2, s3, s49
	v_lshl_or_b32 v2, v2, 1, v7
	s_addc_u32 s3, s6, s51
	v_lshlrev_b32_e32 v3, 1, v64
	ds_write_b64 v2, v[4:5] offset:32768
	v_lshrrev_b32_e32 v2, 4, v0
	s_ashr_i32 s41, s40, 31
	s_lshl_b64 s[2:3], s[2:3], 15
	v_or_b32_e32 v4, 1, v3
	s_add_u32 s6, s18, s2
	v_xor_b32_e32 v3, v2, v3
	v_xor_b32_e32 v4, v4, v2
	v_lshlrev_b32_e32 v6, 8, v2
	s_addc_u32 s7, s19, s3
	s_lshl_b64 s[2:3], s[40:41], 8
	v_lshl_or_b32 v2, v3, 3, v6
	v_lshl_or_b32 v4, v4, 3, v6
	s_waitcnt lgkmcnt(0)
	s_barrier
	s_add_u32 s2, s6, s2
	ds_read_b64 v[2:3], v2 offset:32768
	ds_read_b64 v[4:5], v4 offset:32768
	s_addc_u32 s3, s7, s3
	v_mov_b32_e32 v7, 0
	s_cmp_lg_u32 s27, 64
	v_lshl_add_u64 v[8:9], s[2:3], 0, v[6:7]
	v_lshlrev_b32_e32 v6, 4, v64
	s_cselect_b64 s[6:7], -1, 0
	v_lshl_or_b32 v35, v62, 3, v66
	s_mov_b32 s16, 0
	v_lshl_add_u64 v[6:7], v[8:9], 0, v[6:7]
	v_or_b32_e32 v19, 32, v35
	v_and_b32_e32 v18, 56, v65
	s_and_b64 vcc, exec, s[6:7]
	s_waitcnt lgkmcnt(0)
	global_store_dwordx4 v[6:7], v[2:5], off
	s_cbranch_vccz .LBB515_29
; %bb.24:
	s_mov_b32 s17, s16
	s_mov_b32 s18, s16
	s_mov_b32 s19, s16
	v_mov_b64_e32 v[6:7], s[16:17]
	v_mov_b64_e32 v[8:9], s[18:19]
	;; [unrolled: 1-line block ×3, first 2 shown]
	v_cmp_gt_i32_e32 vcc, s27, v35
	v_mov_b64_e32 v[4:5], v[8:9]
	s_and_saveexec_b64 s[2:3], vcc
	s_cbranch_execz .LBB515_26
; %bb.25:
	v_lshlrev_b32_e32 v2, 8, v35
	v_mov_b32_e32 v3, 0
	v_lshl_add_u64 v[4:5], s[0:1], 0, v[2:3]
	v_lshlrev_b32_e32 v2, 1, v18
	v_lshl_add_u64 v[10:11], v[4:5], 0, v[2:3]
	global_load_dwordx4 v[6:9], v[10:11], off
	global_load_dwordx4 v[2:5], v[10:11], off offset:128
.LBB515_26:
	s_or_b64 exec, exec, s[2:3]
	s_mov_b32 s17, s16
	s_mov_b32 s18, s16
	;; [unrolled: 1-line block ×3, first 2 shown]
	v_mov_b64_e32 v[14:15], s[16:17]
	v_mov_b64_e32 v[16:17], s[18:19]
	;; [unrolled: 1-line block ×3, first 2 shown]
	v_cmp_gt_i32_e32 vcc, s27, v19
	v_lshlrev_b32_e32 v20, 7, v19
	v_mov_b64_e32 v[12:13], v[16:17]
	s_and_saveexec_b64 s[2:3], vcc
	s_cbranch_execz .LBB515_28
; %bb.27:
	v_lshlrev_b32_e32 v10, 1, v20
	v_mov_b32_e32 v11, 0
	v_lshl_add_u64 v[12:13], s[0:1], 0, v[10:11]
	v_lshlrev_b32_e32 v10, 1, v18
	v_lshl_add_u64 v[22:23], v[12:13], 0, v[10:11]
	global_load_dwordx4 v[14:17], v[22:23], off
	global_load_dwordx4 v[10:13], v[22:23], off offset:128
.LBB515_28:
	s_or_b64 exec, exec, s[2:3]
	v_lshrrev_b32_e32 v21, 3, v18
	v_lshlrev_b32_e32 v22, 3, v35
	v_or_b32_e32 v21, v22, v21
	v_lshlrev_b32_e32 v21, 4, v21
	v_and_b32_e32 v22, 0x78, v22
	v_xor_b32_e32 v21, v21, v22
	s_branch .LBB515_31
.LBB515_29:
                                        ; implicit-def: $vgpr21
                                        ; implicit-def: $vgpr20
                                        ; implicit-def: $vgpr6_vgpr7_vgpr8_vgpr9
                                        ; implicit-def: $vgpr2_vgpr3_vgpr4_vgpr5
                                        ; implicit-def: $vgpr14_vgpr15_vgpr16_vgpr17
                                        ; implicit-def: $vgpr10_vgpr11_vgpr12_vgpr13
	s_cbranch_execz .LBB515_31
; %bb.30:
	s_waitcnt vmcnt(0)
	v_lshlrev_b32_e32 v2, 1, v18
	v_lshl_or_b32 v20, v35, 8, v2
	s_and_b32 s1, s1, 0xffff
	s_mov_b32 s3, 0x20000
	s_movk_i32 s2, 0x4000
	v_lshl_or_b32 v21, v19, 8, v2
	s_movk_i32 s12, 0x80
	buffer_load_dwordx4 v[6:9], v20, s[0:3], 0 offen
	buffer_load_dwordx4 v[2:5], v20, s[0:3], s12 offen
	;; [unrolled: 1-line block ×4, first 2 shown]
	v_lshrrev_b32_e32 v20, 3, v18
	v_lshlrev_b32_e32 v21, 3, v35
	v_or_b32_e32 v20, v21, v20
	v_lshlrev_b32_e32 v20, 4, v20
	v_and_b32_e32 v21, 0x78, v21
	v_xor_b32_e32 v21, v20, v21
	v_lshlrev_b32_e32 v20, 7, v19
.LBB515_31:
	s_lshl_b64 s[0:1], s[24:25], 8
	s_add_u32 s4, s4, s0
	s_movk_i32 s0, 0x1000
	v_and_or_b32 v19, v20, s0, v21
	s_waitcnt vmcnt(1)
	ds_write_b64 v21, v[6:7] offset:16384
	v_xor_b32_e32 v6, 8, v21
	ds_write_b64 v6, v[8:9] offset:16384
	s_waitcnt vmcnt(0)
	ds_write_b64 v21, v[2:3] offset:24576
	ds_write_b64 v6, v[4:5] offset:24576
	;; [unrolled: 1-line block ×3, first 2 shown]
	v_xor_b32_e32 v2, 8, v19
	ds_write_b64 v2, v[16:17] offset:16384
	ds_write_b64 v19, v[10:11] offset:24576
	;; [unrolled: 1-line block ×3, first 2 shown]
	v_or_b32_e32 v2, v1, v64
	v_lshlrev_b32_e32 v2, 3, v2
	v_lshrrev_b32_e32 v4, 5, v45
	s_movk_i32 s12, 0xf8
	v_and_or_b32 v4, v2, s12, v4
	v_lshlrev_b32_e32 v3, 11, v62
	v_lshlrev_b32_e32 v12, 4, v4
	v_and_b32_e32 v13, 0x78, v2
	v_and_b32_e32 v14, 0x1000, v3
	v_lshlrev_b32_e32 v3, 2, v0
	v_xor_b32_e32 v2, v12, v13
	v_lshrrev_b32_e32 v4, 1, v45
	v_and_b32_e32 v3, 60, v3
	v_or_b32_e32 v2, v2, v14
	v_and_b32_e32 v15, 8, v4
	v_xor_b32_e32 v26, v2, v15
	v_lshl_or_b32 v2, v63, 6, v3
	v_lshlrev_b32_e32 v19, 1, v2
	v_or_b32_e32 v2, 32, v12
	v_xor_b32_e32 v2, v2, v13
	s_waitcnt lgkmcnt(0)
	s_barrier
	ds_read_b64 v[10:11], v26 offset:16384
	v_or_b32_e32 v2, v2, v14
	v_xor_b32_e32 v27, v2, v15
	v_or_b32_e32 v2, 64, v12
	v_xor_b32_e32 v2, v2, v13
	v_or_b32_e32 v2, v2, v14
	v_or_b32_e32 v12, 0x60, v12
	v_xor_b32_e32 v28, v2, v15
	ds_read2st64_b64 v[2:5], v19 offset0:72 offset1:73
	ds_read2st64_b64 v[6:9], v19 offset0:74 offset1:75
	v_xor_b32_e32 v16, v12, v13
	ds_read_b64 v[12:13], v27 offset:16384
	s_addc_u32 s5, s5, s1
	s_add_i32 s1, s44, s33
	s_waitcnt lgkmcnt(2)
	v_mfma_f32_16x16x16_bf16 a[0:3], v[10:11], v[2:3], 0
	s_add_i32 s0, s35, -1
	s_add_i32 s39, s1, s45
	s_add_i32 s1, s47, s46
	;; [unrolled: 1-line block ×3, first 2 shown]
	s_ashr_i32 s1, s0, 31
	s_mul_i32 s2, s0, s31
	s_mul_hi_u32 s3, s0, s30
	s_add_i32 s2, s3, s2
	s_mul_i32 s1, s1, s30
	v_or_b32_e32 v14, v16, v14
	s_add_i32 s1, s2, s1
	s_lshl_b64 s[2:3], s[38:39], 2
	v_xor_b32_e32 v36, v14, v15
	ds_read_b64 v[14:15], v28 offset:16384
	ds_read_b64 v[16:17], v36 offset:16384
	s_waitcnt lgkmcnt(2)
	v_mfma_f32_16x16x16_bf16 a[0:3], v[12:13], v[4:5], a[0:3]
	s_add_u32 s10, s10, s2
	s_addc_u32 s11, s11, s3
	s_lshl_b64 s[2:3], s[36:37], 2
	s_mul_i32 s0, s0, s30
	s_add_u32 s10, s10, s2
	s_addc_u32 s11, s11, s3
	s_lshl_b64 s[0:1], s[0:1], 2
	s_waitcnt lgkmcnt(1)
	v_mfma_f32_16x16x16_bf16 a[0:3], v[14:15], v[6:7], a[0:3]
	s_add_u32 s0, s10, s0
	s_addc_u32 s1, s11, s1
	s_load_dword s12, s[0:1], 0x0
	s_waitcnt lgkmcnt(0)
	v_mfma_f32_16x16x16_bf16 a[0:3], v[16:17], v[8:9], a[0:3]
	s_and_b64 vcc, exec, s[22:23]
	s_cbranch_vccz .LBB515_42
; %bb.32:
	v_lshlrev_b32_e32 v20, 1, v35
	s_and_b64 vcc, exec, s[6:7]
	s_cbranch_vccz .LBB515_43
; %bb.33:
	v_cmp_gt_i32_e32 vcc, s27, v20
	v_mov_b32_e32 v6, 0
	v_mov_b32_e32 v2, 0
	;; [unrolled: 1-line block ×5, first 2 shown]
	s_and_saveexec_b64 s[0:1], vcc
	s_cbranch_execz .LBB515_35
; %bb.34:
	v_mad_i64_i32 v[2:3], s[2:3], s15, v20, 0
	v_lshl_add_u64 v[2:3], v[2:3], 1, s[4:5]
	v_lshlrev_b32_e32 v4, 1, v18
	v_mov_b32_e32 v5, 0
	v_lshl_add_u64 v[2:3], v[2:3], 0, v[4:5]
	global_load_dwordx4 v[2:5], v[2:3], off
.LBB515_35:
	s_or_b64 exec, exec, s[0:1]
	v_or_b32_e32 v21, 1, v20
	v_cmp_gt_i32_e64 s[0:1], s27, v21
	v_mov_b32_e32 v7, 0
	v_mov_b32_e32 v8, 0
	v_mov_b32_e32 v9, 0
	s_and_saveexec_b64 s[2:3], s[0:1]
	s_cbranch_execz .LBB515_37
; %bb.36:
	v_mad_i64_i32 v[6:7], s[16:17], s15, v21, 0
	v_lshl_add_u64 v[6:7], v[6:7], 1, s[4:5]
	v_lshlrev_b32_e32 v8, 1, v18
	v_mov_b32_e32 v9, 0
	v_lshl_add_u64 v[6:7], v[6:7], 0, v[8:9]
	global_load_dwordx4 v[6:9], v[6:7], off
.LBB515_37:
	s_or_b64 exec, exec, s[2:3]
	v_mov_b32_e32 v17, 0
	v_mov_b32_e32 v10, 0
	;; [unrolled: 1-line block ×5, first 2 shown]
	s_and_saveexec_b64 s[2:3], vcc
	s_cbranch_execz .LBB515_39
; %bb.38:
	v_mad_i64_i32 v[10:11], s[16:17], s15, v20, 0
	v_lshl_add_u64 v[10:11], v[10:11], 1, s[4:5]
	v_lshlrev_b32_e32 v12, 1, v18
	v_mov_b32_e32 v13, 0
	v_lshl_add_u64 v[10:11], v[10:11], 0, v[12:13]
	global_load_dwordx4 v[10:13], v[10:11], off offset:128
.LBB515_39:
	s_or_b64 exec, exec, s[2:3]
	v_mov_b32_e32 v16, 0
	v_mov_b32_e32 v15, 0
	;; [unrolled: 1-line block ×3, first 2 shown]
	s_and_saveexec_b64 s[2:3], s[0:1]
	s_cbranch_execz .LBB515_41
; %bb.40:
	v_mad_i64_i32 v[14:15], s[0:1], s15, v21, 0
	v_lshl_add_u64 v[14:15], v[14:15], 1, s[4:5]
	v_lshlrev_b32_e32 v16, 1, v18
	v_mov_b32_e32 v17, 0
	v_lshl_add_u64 v[14:15], v[14:15], 0, v[16:17]
	global_load_dwordx4 v[14:17], v[14:15], off offset:128
.LBB515_41:
	s_or_b64 exec, exec, s[2:3]
	s_branch .LBB515_45
.LBB515_42:
                                        ; implicit-def: $vgpr5
                                        ; implicit-def: $vgpr9
                                        ; implicit-def: $vgpr13
                                        ; implicit-def: $vgpr17
	v_lshrrev_b32_e32 v37, 2, v45
	s_branch .LBB515_46
.LBB515_43:
                                        ; implicit-def: $vgpr5
                                        ; implicit-def: $vgpr9
                                        ; implicit-def: $vgpr13
                                        ; implicit-def: $vgpr17
	s_cbranch_execz .LBB515_45
; %bb.44:
	s_waitcnt vmcnt(0)
	v_mad_u64_u32 v[2:3], s[0:1], v20, s15, v[18:19]
	v_lshlrev_b32_e32 v20, 1, v2
	s_lshl_b32 s2, s15, 7
	s_and_b32 s1, s5, 0xffff
	s_mov_b32 s3, 0x20000
	s_mov_b32 s0, s4
	v_add_lshl_u32 v21, v2, s15, 1
	s_movk_i32 s13, 0x80
	buffer_load_dwordx4 v[2:5], v20, s[0:3], 0 offen
	buffer_load_dwordx4 v[10:13], v20, s[0:3], s13 offen
	;; [unrolled: 1-line block ×4, first 2 shown]
.LBB515_45:
	v_lshrrev_b32_e32 v37, 2, v45
	s_cbranch_execnz .LBB515_58
.LBB515_46:
	s_and_b64 vcc, exec, s[6:7]
	s_cbranch_vccz .LBB515_56
; %bb.47:
	s_waitcnt vmcnt(0)
	v_lshlrev_b32_e32 v7, 1, v35
	v_cmp_gt_i32_e32 vcc, s27, v7
	v_mov_b32_e32 v6, 0
	v_lshlrev_b32_e32 v14, 9, v35
	v_mov_b32_e32 v2, 0
	v_mov_b32_e32 v3, 0
	;; [unrolled: 1-line block ×4, first 2 shown]
	s_and_saveexec_b64 s[0:1], vcc
	s_cbranch_execz .LBB515_49
; %bb.48:
	v_mov_b32_e32 v15, 0
	v_lshl_add_u64 v[2:3], s[4:5], 0, v[14:15]
	v_lshlrev_b32_e32 v4, 1, v18
	v_mov_b32_e32 v5, v15
	v_lshl_add_u64 v[2:3], v[2:3], 0, v[4:5]
	global_load_dwordx4 v[2:5], v[2:3], off
.LBB515_49:
	s_or_b64 exec, exec, s[0:1]
	v_or_b32_e32 v7, 1, v7
	v_cmp_gt_i32_e64 s[0:1], s27, v7
	v_lshlrev_b32_e32 v20, 8, v7
	v_mov_b32_e32 v7, 0
	v_mov_b32_e32 v8, 0
	;; [unrolled: 1-line block ×3, first 2 shown]
	s_and_saveexec_b64 s[2:3], s[0:1]
	s_cbranch_execz .LBB515_51
; %bb.50:
	v_mov_b32_e32 v21, 0
	v_lshl_add_u64 v[6:7], s[4:5], 0, v[20:21]
	v_lshlrev_b32_e32 v8, 1, v18
	v_mov_b32_e32 v9, v21
	v_lshl_add_u64 v[6:7], v[6:7], 0, v[8:9]
	global_load_dwordx4 v[6:9], v[6:7], off
.LBB515_51:
	s_or_b64 exec, exec, s[2:3]
	v_mov_b32_e32 v17, 0
	v_mov_b32_e32 v10, 0
	;; [unrolled: 1-line block ×5, first 2 shown]
	s_and_saveexec_b64 s[2:3], vcc
	s_cbranch_execz .LBB515_53
; %bb.52:
	v_mov_b32_e32 v15, 0
	v_lshl_add_u64 v[10:11], s[4:5], 0, v[14:15]
	v_lshlrev_b32_e32 v14, 1, v18
	v_lshl_add_u64 v[10:11], v[10:11], 0, v[14:15]
	global_load_dwordx4 v[10:13], v[10:11], off offset:128
.LBB515_53:
	s_or_b64 exec, exec, s[2:3]
	v_mov_b32_e32 v16, 0
	v_mov_b32_e32 v15, 0
	;; [unrolled: 1-line block ×3, first 2 shown]
	s_and_saveexec_b64 s[2:3], s[0:1]
	s_cbranch_execz .LBB515_55
; %bb.54:
	v_mov_b32_e32 v21, 0
	v_lshl_add_u64 v[14:15], s[4:5], 0, v[20:21]
	v_lshlrev_b32_e32 v20, 1, v18
	v_lshl_add_u64 v[14:15], v[14:15], 0, v[20:21]
	global_load_dwordx4 v[14:17], v[14:15], off offset:128
.LBB515_55:
	s_or_b64 exec, exec, s[2:3]
	s_branch .LBB515_58
.LBB515_56:
                                        ; implicit-def: $vgpr5
                                        ; implicit-def: $vgpr9
                                        ; implicit-def: $vgpr13
                                        ; implicit-def: $vgpr17
	s_cbranch_execz .LBB515_58
; %bb.57:
	s_waitcnt vmcnt(0)
	v_lshlrev_b32_e32 v2, 1, v18
	v_lshl_or_b32 v18, v35, 9, v2
	s_and_b32 s5, s5, 0xffff
	s_mov_b32 s7, 0x20000
	s_movk_i32 s6, 0x4000
	s_movk_i32 s0, 0x80
	buffer_load_dwordx4 v[2:5], v18, s[4:7], 0 offen
	buffer_load_dwordx4 v[6:9], v18, s[4:7], 0 offen offset:256
	buffer_load_dwordx4 v[10:13], v18, s[4:7], s0 offen
	buffer_load_dwordx4 v[14:17], v18, s[4:7], s0 offen offset:256
.LBB515_58:
	ds_read2st64_b64 v[22:25], v19 offset0:76 offset1:77
	ds_read2st64_b64 v[18:21], v19 offset0:78 offset1:79
	ds_read_b64 v[32:33], v26 offset:24576
	ds_read_b64 v[30:31], v27 offset:24576
	;; [unrolled: 1-line block ×4, first 2 shown]
	v_and_b32_e32 v36, 6, v0
	v_xor_b32_e32 v35, v35, v36
	v_lshlrev_b32_e32 v35, 2, v35
	v_and_b32_e32 v0, 1, v0
	v_xor_b32_e32 v38, 0x440, v35
	v_cmp_eq_u32_e32 vcc, 0, v0
	s_mov_b32 s0, 0x1000504
	s_mov_b32 s1, 0x3020706
	v_cndmask_b32_e32 v0, v38, v35, vcc
	v_lshl_or_b32 v0, v36, 10, v0
	s_waitcnt vmcnt(0)
	v_perm_b32 v35, v2, v6, s0
	v_perm_b32 v36, v10, v14, s0
	ds_write2st64_b32 v0, v35, v36 offset1:32
	v_xor_b32_e32 v35, 8, v0
	v_perm_b32 v2, v2, v6, s1
	v_perm_b32 v6, v10, v14, s1
	v_add_u32_e32 v10, 0x80, v35
	ds_write2st64_b32 v10, v2, v6 offset1:32
	v_xor_b32_e32 v2, 16, v0
	v_perm_b32 v6, v3, v7, s0
	v_perm_b32 v10, v11, v15, s0
	ds_write2st64_b32 v2, v6, v10 offset0:1 offset1:33
	v_xor_b32_e32 v2, 24, v0
	v_perm_b32 v3, v3, v7, s1
	v_perm_b32 v6, v11, v15, s1
	v_add_u32_e32 v2, 0x80, v2
	ds_write2st64_b32 v2, v3, v6 offset0:1 offset1:33
	v_xor_b32_e32 v2, 32, v0
	v_perm_b32 v3, v4, v8, s0
	v_perm_b32 v6, v12, v16, s0
	ds_write2st64_b32 v2, v3, v6 offset0:2 offset1:34
	v_xor_b32_e32 v2, 40, v0
	v_perm_b32 v3, v4, v8, s1
	v_perm_b32 v4, v12, v16, s1
	v_add_u32_e32 v2, 0x80, v2
	ds_write2st64_b32 v2, v3, v4 offset0:2 offset1:34
	v_xor_b32_e32 v2, 48, v0
	v_perm_b32 v3, v5, v9, s0
	v_perm_b32 v4, v13, v17, s0
	v_xor_b32_e32 v0, 56, v0
	v_and_or_b32 v8, v37, 12, v1
	ds_write2st64_b32 v2, v3, v4 offset0:3 offset1:35
	v_perm_b32 v2, v5, v9, s1
	v_perm_b32 v3, v13, v17, s1
	v_add_u32_e32 v0, 0x80, v0
	v_cmp_gt_i32_e64 s[2:3], s27, v8
	v_mov_b32_e32 v10, 0
	v_mov_b32_e32 v15, 0
	ds_write2st64_b32 v0, v2, v3 offset0:3 offset1:35
	s_and_saveexec_b64 s[0:1], s[2:3]
	s_cbranch_execz .LBB515_60
; %bb.59:
	v_add_u32_e32 v0, s26, v8
	v_ashrrev_i32_e32 v1, 31, v0
	v_mul_lo_u32 v2, v1, s30
	v_mul_lo_u32 v3, v0, s31
	v_mad_u64_u32 v[0:1], s[4:5], v0, s30, 0
	v_add3_u32 v1, v1, v3, v2
	v_lshl_add_u64 v[0:1], v[0:1], 2, s[10:11]
	global_load_dword v0, v[0:1], off
	s_waitcnt vmcnt(0)
	v_sub_f32_e32 v0, s12, v0
	v_exp_f32_e32 v15, v0
.LBB515_60:
	s_or_b64 exec, exec, s[0:1]
	v_or_b32_e32 v13, 1, v8
	v_cmp_gt_i32_e64 s[4:5], s27, v13
	s_and_saveexec_b64 s[0:1], s[4:5]
	s_cbranch_execz .LBB515_62
; %bb.61:
	v_add_u32_e32 v0, s26, v13
	v_ashrrev_i32_e32 v1, 31, v0
	v_mul_lo_u32 v2, v1, s30
	v_mul_lo_u32 v3, v0, s31
	v_mad_u64_u32 v[0:1], s[6:7], v0, s30, 0
	v_add3_u32 v1, v1, v3, v2
	v_lshl_add_u64 v[0:1], v[0:1], 2, s[10:11]
	global_load_dword v0, v[0:1], off
	s_waitcnt vmcnt(0)
	v_sub_f32_e32 v0, s12, v0
	v_exp_f32_e32 v10, v0
.LBB515_62:
	s_or_b64 exec, exec, s[0:1]
	v_or_b32_e32 v11, 2, v8
	v_cmp_gt_i32_e32 vcc, s27, v11
	v_mov_b32_e32 v9, 0
	v_mov_b32_e32 v14, 0
	s_and_saveexec_b64 s[0:1], vcc
	s_cbranch_execz .LBB515_64
; %bb.63:
	v_add_u32_e32 v0, s26, v11
	v_ashrrev_i32_e32 v1, 31, v0
	v_mul_lo_u32 v2, v1, s30
	v_mul_lo_u32 v3, v0, s31
	v_mad_u64_u32 v[0:1], s[6:7], v0, s30, 0
	v_add3_u32 v1, v1, v3, v2
	v_lshl_add_u64 v[0:1], v[0:1], 2, s[10:11]
	global_load_dword v0, v[0:1], off
	s_waitcnt vmcnt(0)
	v_sub_f32_e32 v0, s12, v0
	v_exp_f32_e32 v14, v0
.LBB515_64:
	s_or_b64 exec, exec, s[0:1]
	v_or_b32_e32 v12, 3, v8
	v_cmp_gt_i32_e64 s[0:1], s27, v12
	s_and_saveexec_b64 s[6:7], s[0:1]
	s_cbranch_execz .LBB515_66
; %bb.65:
	v_add_u32_e32 v0, s26, v12
	v_ashrrev_i32_e32 v1, 31, v0
	v_mul_lo_u32 v2, v1, s30
	v_mul_lo_u32 v3, v0, s31
	v_mad_u64_u32 v[0:1], s[14:15], v0, s30, 0
	v_add3_u32 v1, v1, v3, v2
	v_lshl_add_u64 v[0:1], v[0:1], 2, s[10:11]
	global_load_dword v0, v[0:1], off
	s_waitcnt vmcnt(0)
	v_sub_f32_e32 v0, s12, v0
	v_exp_f32_e32 v9, v0
.LBB515_66:
	s_or_b64 exec, exec, s[6:7]
	s_waitcnt lgkmcnt(11)
	v_mfma_f32_16x16x16_bf16 a[0:3], v[32:33], v[22:23], a[0:3]
	s_add_u32 s6, s8, s20
	v_ashrrev_i32_e32 v47, 31, v46
	s_addc_u32 s7, s9, s21
	s_waitcnt lgkmcnt(10)
	v_mfma_f32_16x16x16_bf16 a[0:3], v[30:31], v[24:25], a[0:3]
	v_lshlrev_b64 v[0:1], 1, v[46:47]
	v_lshl_add_u64 v[4:5], s[6:7], 0, v[0:1]
	s_add_u32 s6, s28, s20
	s_waitcnt lgkmcnt(9)
	v_mfma_f32_16x16x16_bf16 a[0:3], v[28:29], v[18:19], a[0:3]
	s_addc_u32 s7, s29, s21
	v_lshl_add_u64 v[6:7], s[6:7], 0, v[0:1]
	v_mov_b32_e32 v16, 0
	s_waitcnt lgkmcnt(8)
	v_mfma_f32_16x16x16_bf16 a[0:3], v[26:27], v[20:21], a[0:3]
	v_mov_b32_e32 v17, 0
	s_nop 5
	v_accvgpr_read_b32 v0, a0
	v_accvgpr_read_b32 v1, a1
	v_accvgpr_read_b32 v2, a2
	v_accvgpr_read_b32 v3, a3
	s_and_saveexec_b64 s[6:7], s[2:3]
	s_cbranch_execz .LBB515_68
; %bb.67:
	v_lshlrev_b32_e32 v18, 8, v8
	v_mov_b32_e32 v19, 0
	v_lshl_add_u64 v[20:21], v[4:5], 0, v[18:19]
	global_load_ushort v17, v[20:21], off
	v_lshl_add_u64 v[18:19], v[6:7], 0, v[18:19]
	s_waitcnt vmcnt(0)
	v_lshlrev_b32_e32 v17, 16, v17
	v_sub_f32_e32 v0, v17, v0
	global_store_short_d16_hi v[18:19], v0, off
	v_mul_f32_e32 v0, v15, v0
	v_lshrrev_b32_e32 v17, 16, v0
.LBB515_68:
	s_or_b64 exec, exec, s[6:7]
	s_and_saveexec_b64 s[2:3], s[4:5]
	s_cbranch_execz .LBB515_70
; %bb.69:
	v_lshlrev_b32_e32 v18, 8, v13
	v_mov_b32_e32 v19, 0
	v_lshl_add_u64 v[20:21], v[4:5], 0, v[18:19]
	global_load_ushort v0, v[20:21], off
	v_lshl_add_u64 v[18:19], v[6:7], 0, v[18:19]
	s_waitcnt vmcnt(0)
	v_lshlrev_b32_e32 v0, 16, v0
	v_sub_f32_e32 v0, v0, v1
	global_store_short_d16_hi v[18:19], v0, off
	v_mul_f32_e32 v0, v10, v0
	v_lshrrev_b32_e32 v16, 16, v0
.LBB515_70:
	s_or_b64 exec, exec, s[2:3]
	v_mov_b32_e32 v0, 0
	v_mov_b32_e32 v1, 0
	s_and_saveexec_b64 s[2:3], vcc
	s_cbranch_execz .LBB515_72
; %bb.71:
	v_lshlrev_b32_e32 v10, 8, v11
	v_mov_b32_e32 v11, 0
	v_lshl_add_u64 v[18:19], v[4:5], 0, v[10:11]
	global_load_ushort v1, v[18:19], off
	v_lshl_add_u64 v[10:11], v[6:7], 0, v[10:11]
	s_waitcnt vmcnt(0)
	v_lshlrev_b32_e32 v1, 16, v1
	v_sub_f32_e32 v1, v1, v2
	global_store_short_d16_hi v[10:11], v1, off
	v_mul_f32_e32 v1, v14, v1
	v_lshrrev_b32_e32 v1, 16, v1
.LBB515_72:
	s_or_b64 exec, exec, s[2:3]
	s_and_saveexec_b64 s[2:3], s[0:1]
	s_cbranch_execz .LBB515_74
; %bb.73:
	v_lshlrev_b32_e32 v10, 8, v12
	v_mov_b32_e32 v11, 0
	v_lshl_add_u64 v[4:5], v[4:5], 0, v[10:11]
	global_load_ushort v0, v[4:5], off
	v_lshl_add_u64 v[4:5], v[6:7], 0, v[10:11]
	s_waitcnt vmcnt(0)
	v_lshlrev_b32_e32 v0, 16, v0
	v_sub_f32_e32 v0, v0, v3
	global_store_short_d16_hi v[4:5], v0, off
	v_mul_f32_e32 v0, v9, v0
	v_lshrrev_b32_e32 v0, 16, v0
.LBB515_74:
	s_or_b64 exec, exec, s[2:3]
	s_mov_b32 s0, 0x5040100
	v_lshlrev_b32_e32 v2, 1, v34
	v_perm_b32 v1, v0, v1, s0
	v_perm_b32 v0, v16, v17, s0
	v_lshl_or_b32 v2, v8, 5, v2
	ds_write_b64 v2, v[0:1] offset:38912
	s_waitcnt lgkmcnt(0)
	s_barrier
.LBB515_75:
	s_endpgm
	.section	.rodata,"a",@progbits
	.p2align	6, 0x0
	.amdhsa_kernel _ZN12_GLOBAL__N_139chunk_gated_delta_rule_fwd_h_hip_kernelILi16ELb1ELb0ELb1ELb1ELb1ELb1ELb1ELb1EEEvPK12hip_bfloat16S3_S3_PKfS5_PKvPS1_S8_PvPKiSB_iiiiilll
		.amdhsa_group_segment_fixed_size 40960
		.amdhsa_private_segment_fixed_size 0
		.amdhsa_kernarg_size 136
		.amdhsa_user_sgpr_count 2
		.amdhsa_user_sgpr_dispatch_ptr 0
		.amdhsa_user_sgpr_queue_ptr 0
		.amdhsa_user_sgpr_kernarg_segment_ptr 1
		.amdhsa_user_sgpr_dispatch_id 0
		.amdhsa_user_sgpr_kernarg_preload_length 0
		.amdhsa_user_sgpr_kernarg_preload_offset 0
		.amdhsa_user_sgpr_private_segment_size 0
		.amdhsa_uses_dynamic_stack 0
		.amdhsa_enable_private_segment 0
		.amdhsa_system_sgpr_workgroup_id_x 1
		.amdhsa_system_sgpr_workgroup_id_y 1
		.amdhsa_system_sgpr_workgroup_id_z 0
		.amdhsa_system_sgpr_workgroup_info 0
		.amdhsa_system_vgpr_workitem_id 0
		.amdhsa_next_free_vgpr 128
		.amdhsa_next_free_sgpr 63
		.amdhsa_accum_offset 116
		.amdhsa_reserve_vcc 1
		.amdhsa_float_round_mode_32 0
		.amdhsa_float_round_mode_16_64 0
		.amdhsa_float_denorm_mode_32 3
		.amdhsa_float_denorm_mode_16_64 3
		.amdhsa_dx10_clamp 1
		.amdhsa_ieee_mode 1
		.amdhsa_fp16_overflow 0
		.amdhsa_tg_split 0
		.amdhsa_exception_fp_ieee_invalid_op 0
		.amdhsa_exception_fp_denorm_src 0
		.amdhsa_exception_fp_ieee_div_zero 0
		.amdhsa_exception_fp_ieee_overflow 0
		.amdhsa_exception_fp_ieee_underflow 0
		.amdhsa_exception_fp_ieee_inexact 0
		.amdhsa_exception_int_div_zero 0
	.end_amdhsa_kernel
	.section	.text._ZN12_GLOBAL__N_139chunk_gated_delta_rule_fwd_h_hip_kernelILi16ELb1ELb0ELb1ELb1ELb1ELb1ELb1ELb1EEEvPK12hip_bfloat16S3_S3_PKfS5_PKvPS1_S8_PvPKiSB_iiiiilll,"axG",@progbits,_ZN12_GLOBAL__N_139chunk_gated_delta_rule_fwd_h_hip_kernelILi16ELb1ELb0ELb1ELb1ELb1ELb1ELb1ELb1EEEvPK12hip_bfloat16S3_S3_PKfS5_PKvPS1_S8_PvPKiSB_iiiiilll,comdat
.Lfunc_end515:
	.size	_ZN12_GLOBAL__N_139chunk_gated_delta_rule_fwd_h_hip_kernelILi16ELb1ELb0ELb1ELb1ELb1ELb1ELb1ELb1EEEvPK12hip_bfloat16S3_S3_PKfS5_PKvPS1_S8_PvPKiSB_iiiiilll, .Lfunc_end515-_ZN12_GLOBAL__N_139chunk_gated_delta_rule_fwd_h_hip_kernelILi16ELb1ELb0ELb1ELb1ELb1ELb1ELb1ELb1EEEvPK12hip_bfloat16S3_S3_PKfS5_PKvPS1_S8_PvPKiSB_iiiiilll
                                        ; -- End function
	.section	.AMDGPU.csdata,"",@progbits
; Kernel info:
; codeLenInByte = 7372
; NumSgprs: 69
; NumVgprs: 114
; NumAgprs: 12
; TotalNumVgprs: 128
; ScratchSize: 0
; MemoryBound: 0
; FloatMode: 240
; IeeeMode: 1
; LDSByteSize: 40960 bytes/workgroup (compile time only)
; SGPRBlocks: 8
; VGPRBlocks: 15
; NumSGPRsForWavesPerEU: 69
; NumVGPRsForWavesPerEU: 128
; AccumOffset: 116
; Occupancy: 1
; WaveLimiterHint : 1
; COMPUTE_PGM_RSRC2:SCRATCH_EN: 0
; COMPUTE_PGM_RSRC2:USER_SGPR: 2
; COMPUTE_PGM_RSRC2:TRAP_HANDLER: 0
; COMPUTE_PGM_RSRC2:TGID_X_EN: 1
; COMPUTE_PGM_RSRC2:TGID_Y_EN: 1
; COMPUTE_PGM_RSRC2:TGID_Z_EN: 0
; COMPUTE_PGM_RSRC2:TIDIG_COMP_CNT: 0
; COMPUTE_PGM_RSRC3_GFX90A:ACCUM_OFFSET: 28
; COMPUTE_PGM_RSRC3_GFX90A:TG_SPLIT: 0
	.section	.text._ZN12_GLOBAL__N_139chunk_gated_delta_rule_fwd_h_hip_kernelILi16ELb1ELb0ELb0ELb1ELb1ELb1ELb1ELb1EEEvPK12hip_bfloat16S3_S3_PKfS5_PKvPS1_S8_PvPKiSB_iiiiilll,"axG",@progbits,_ZN12_GLOBAL__N_139chunk_gated_delta_rule_fwd_h_hip_kernelILi16ELb1ELb0ELb0ELb1ELb1ELb1ELb1ELb1EEEvPK12hip_bfloat16S3_S3_PKfS5_PKvPS1_S8_PvPKiSB_iiiiilll,comdat
	.globl	_ZN12_GLOBAL__N_139chunk_gated_delta_rule_fwd_h_hip_kernelILi16ELb1ELb0ELb0ELb1ELb1ELb1ELb1ELb1EEEvPK12hip_bfloat16S3_S3_PKfS5_PKvPS1_S8_PvPKiSB_iiiiilll ; -- Begin function _ZN12_GLOBAL__N_139chunk_gated_delta_rule_fwd_h_hip_kernelILi16ELb1ELb0ELb0ELb1ELb1ELb1ELb1ELb1EEEvPK12hip_bfloat16S3_S3_PKfS5_PKvPS1_S8_PvPKiSB_iiiiilll
	.p2align	8
	.type	_ZN12_GLOBAL__N_139chunk_gated_delta_rule_fwd_h_hip_kernelILi16ELb1ELb0ELb0ELb1ELb1ELb1ELb1ELb1EEEvPK12hip_bfloat16S3_S3_PKfS5_PKvPS1_S8_PvPKiSB_iiiiilll,@function
_ZN12_GLOBAL__N_139chunk_gated_delta_rule_fwd_h_hip_kernelILi16ELb1ELb0ELb0ELb1ELb1ELb1ELb1ELb1EEEvPK12hip_bfloat16S3_S3_PKfS5_PKvPS1_S8_PvPKiSB_iiiiilll: ; @_ZN12_GLOBAL__N_139chunk_gated_delta_rule_fwd_h_hip_kernelILi16ELb1ELb0ELb0ELb1ELb1ELb1ELb1ELb1EEEvPK12hip_bfloat16S3_S3_PKfS5_PKvPS1_S8_PvPKiSB_iiiiilll
; %bb.0:
	s_load_dwordx4 s[12:15], s[0:1], 0x5c
	s_load_dwordx4 s[20:23], s[0:1], 0x70
	s_abs_i32 s9, s3
	s_ashr_i32 s8, s3, 31
	s_load_dwordx4 s[4:7], s[0:1], 0x48
	s_waitcnt lgkmcnt(0)
	s_abs_i32 s10, s13
	v_cvt_f32_u32_e32 v1, s10
	s_sub_i32 s16, 0, s10
	s_ashr_i32 s11, s13, 31
	s_xor_b32 s8, s8, s11
	v_rcp_iflag_f32_e32 v1, v1
	v_and_b32_e32 v62, 15, v0
	v_lshrrev_b32_e32 v60, 6, v0
	v_bfe_u32 v61, v0, 4, 2
	v_mul_f32_e32 v1, 0x4f7ffffe, v1
	v_cvt_u32_f32_e32 v1, v1
	v_mov_b32_e32 v5, 0
	v_and_b32_e32 v45, 63, v0
	v_lshlrev_b32_e32 v63, 3, v0
	v_readfirstlane_b32 s17, v1
	s_mul_i32 s16, s16, s17
	s_mul_hi_u32 s16, s17, s16
	s_add_i32 s17, s17, s16
	s_mul_hi_u32 s16, s9, s17
	s_mul_i32 s17, s16, s10
	s_sub_i32 s9, s9, s17
	s_add_i32 s18, s16, 1
	s_sub_i32 s17, s9, s10
	s_cmp_ge_u32 s9, s10
	s_cselect_b32 s16, s18, s16
	s_cselect_b32 s9, s17, s9
	s_add_i32 s17, s16, 1
	s_cmp_ge_u32 s9, s10
	s_cselect_b32 s9, s17, s16
	s_load_dwordx4 s[16:19], s[0:1], 0x28
	s_xor_b32 s9, s9, s8
	s_sub_i32 s24, s9, s8
	s_mul_i32 s28, s24, s13
	s_ashr_i32 s25, s24, 31
	s_sub_i32 s47, s3, s28
	s_lshl_b64 s[8:9], s[24:25], 2
	s_add_u32 s4, s4, s8
	s_addc_u32 s5, s5, s9
	s_add_u32 s26, s6, s8
	s_addc_u32 s27, s7, s9
	s_abs_i32 s3, s14
	v_cvt_f32_u32_e32 v1, s3
	s_load_dwordx2 s[30:31], s[4:5], 0x0
	s_lshl_b32 s38, s2, 4
	s_ashr_i32 s2, s14, 31
	v_rcp_iflag_f32_e32 v1, v1
	s_xor_b32 s2, s11, s2
	s_waitcnt lgkmcnt(0)
	s_sub_i32 s50, s31, s30
	s_ashr_i32 s4, s50, 31
	v_mul_f32_e32 v1, 0x4f7ffffe, v1
	v_cvt_u32_f32_e32 v1, v1
	s_lshr_b32 s4, s4, 26
	s_add_i32 s4, s50, s4
	s_ashr_i32 s48, s4, 6
	s_sub_i32 s4, 0, s3
	v_readfirstlane_b32 s5, v1
	s_mul_i32 s4, s4, s5
	s_mul_hi_u32 s4, s5, s4
	s_add_i32 s5, s5, s4
	s_mul_hi_u32 s4, s10, s5
	s_mul_i32 s5, s4, s3
	s_sub_i32 s5, s10, s5
	s_add_i32 s6, s4, 1
	s_sub_i32 s7, s5, s3
	s_cmp_ge_u32 s5, s3
	s_cselect_b32 s4, s6, s4
	s_cselect_b32 s5, s7, s5
	s_add_i32 s6, s4, 1
	s_cmp_ge_u32 s5, s3
	s_cselect_b32 s3, s6, s4
	s_xor_b32 s3, s3, s2
	s_sub_i32 s2, s3, s2
	s_abs_i32 s3, s2
	v_cvt_f32_u32_e32 v1, s3
	s_sub_i32 s5, 0, s3
	s_abs_i32 s4, s47
	s_xor_b32 s2, s47, s2
	v_rcp_iflag_f32_e32 v1, v1
	s_ashr_i32 s2, s2, 31
	v_or_b32_e32 v46, s38, v62
	v_lshlrev_b32_e32 v2, 7, v46
	v_mul_f32_e32 v1, 0x4f7ffffe, v1
	v_cvt_u32_f32_e32 v1, v1
	v_ashrrev_i32_e32 v3, 31, v2
	v_lshrrev_b32_e32 v64, 3, v45
	s_mul_i32 s33, s24, s21
	v_readfirstlane_b32 s6, v1
	s_mul_i32 s5, s5, s6
	s_mul_hi_u32 s5, s6, s5
	s_add_i32 s6, s6, s5
	s_mul_hi_u32 s5, s4, s6
	s_mul_i32 s6, s5, s3
	s_sub_i32 s4, s4, s6
	s_add_i32 s6, s5, 1
	s_sub_i32 s7, s4, s3
	s_cmp_ge_u32 s4, s3
	s_cselect_b32 s5, s6, s5
	s_cselect_b32 s4, s7, s4
	s_add_i32 s6, s5, 1
	s_cmp_ge_u32 s4, s3
	s_cselect_b32 s3, s6, s5
	s_xor_b32 s3, s3, s2
	s_sub_i32 s51, s3, s2
	s_ashr_i32 s49, s47, 31
	s_mul_hi_i32 s3, s24, s13
	s_add_u32 s2, s28, s47
	s_addc_u32 s3, s3, s49
	s_lshl_b64 s[2:3], s[2:3], 15
	v_lshlrev_b32_e32 v1, 4, v60
	s_add_u32 s2, s16, s2
	v_lshl_or_b32 v65, v61, 2, v1
	s_addc_u32 s3, s17, s3
	v_lshl_add_u64 v[2:3], v[2:3], 1, s[2:3]
	v_lshlrev_b32_e32 v4, 1, v65
	v_lshl_add_u64 v[2:3], v[2:3], 0, v[4:5]
	global_load_dwordx2 v[4:5], v[2:3], off
	global_load_dwordx2 v[6:7], v[2:3], off offset:128
	s_load_dwordx8 s[4:11], s[0:1], 0x0
	s_load_dwordx2 s[28:29], s[0:1], 0x80
	s_load_dword s54, s[26:27], 0x0
	v_or_b32_e32 v66, 64, v65
	s_mul_hi_u32 s42, s24, s20
	s_mul_i32 s36, s24, s20
	s_mul_i32 s43, s25, s20
	s_mul_hi_i32 s52, s47, s12
	s_mul_i32 s53, s47, s12
	s_mul_i32 s44, s47, s23
	s_mul_hi_u32 s45, s47, s22
	s_mul_i32 s46, s49, s22
	s_cmp_lt_i32 s50, 64
	s_mul_i32 s34, s47, s22
	s_waitcnt vmcnt(1)
	v_and_b32_e32 v51, 0xffff0000, v4
	v_lshlrev_b32_e32 v50, 16, v4
	v_and_b32_e32 v55, 0xffff0000, v5
	v_lshlrev_b32_e32 v54, 16, v5
	s_waitcnt vmcnt(0)
	v_and_b32_e32 v49, 0xffff0000, v6
	v_lshlrev_b32_e32 v48, 16, v6
	v_and_b32_e32 v53, 0xffff0000, v7
	v_lshlrev_b32_e32 v52, 16, v7
	s_cbranch_scc1 .LBB516_18
; %bb.1:
	s_ashr_i32 s3, s30, 31
	s_add_u32 s2, s53, s30
	s_addc_u32 s3, s52, s3
	s_lshl_b64 s[2:3], s[2:3], 8
	v_and_b32_e32 v68, 56, v63
	s_waitcnt lgkmcnt(0)
	s_add_u32 s20, s6, s2
	v_lshl_or_b32 v67, v60, 3, v64
	v_lshlrev_b32_e32 v2, 1, v68
	s_addc_u32 s2, s7, s3
	v_lshl_or_b32 v69, v67, 8, v2
	s_and_b32 s21, s2, 0xffff
	s_mov_b32 s23, 0x20000
	s_movk_i32 s22, 0x4000
	s_movk_i32 s2, 0x80
	v_or_b32_e32 v70, 0x2000, v69
	buffer_load_dwordx4 v[4:7], v69, s[20:23], 0 offen
	buffer_load_dwordx4 v[8:11], v69, s[20:23], s2 offen
	buffer_load_dwordx4 v[12:15], v70, s[20:23], 0 offen
	buffer_load_dwordx4 v[16:19], v70, s[20:23], s2 offen
	v_lshlrev_b32_e32 v3, 3, v67
	v_and_or_b32 v21, v0, 7, v3
	v_and_b32_e32 v3, 0x78, v3
	v_lshlrev_b32_e32 v21, 4, v21
	v_xor_b32_e32 v71, v21, v3
	v_mul_lo_u32 v20, v67, s15
	v_or_b32_e32 v72, 0x1000, v71
	v_xor_b32_e32 v3, 8, v71
	s_cmpk_eq_i32 s15, 0x80
	s_mov_b32 s55, s30
	v_xor_b32_e32 v21, 8, v72
	s_cselect_b64 s[2:3], -1, 0
	s_cmpk_lg_i32 s15, 0x80
	s_waitcnt vmcnt(3)
	ds_write_b64 v71, v[4:5] offset:16384
	ds_write_b64 v3, v[6:7] offset:16384
	s_waitcnt vmcnt(2)
	ds_write_b64 v71, v[8:9] offset:24576
	ds_write_b64 v3, v[10:11] offset:24576
	;; [unrolled: 3-line block ×4, first 2 shown]
	v_lshl_add_u32 v3, v20, 1, v68
	s_cbranch_scc0 .LBB516_3
; %bb.2:
	v_lshlrev_b32_e32 v5, 1, v3
	v_add_lshl_u32 v4, v3, s15, 1
	s_lshl_b32 s22, s15, 7
	s_load_dwordx2 s[16:17], s[0:1], 0x20
	v_lshl_or_b32 v2, v67, 9, v2
	s_cbranch_execz .LBB516_4
	s_branch .LBB516_5
.LBB516_3:
                                        ; implicit-def: $vgpr4
                                        ; implicit-def: $vgpr5
                                        ; implicit-def: $sgpr22
	s_load_dwordx2 s[16:17], s[0:1], 0x20
	v_lshl_or_b32 v2, v67, 9, v2
.LBB516_4:
	v_or_b32_e32 v4, 0x100, v2
	s_movk_i32 s22, 0x4000
	v_mov_b32_e32 v5, v2
.LBB516_5:
	s_mul_i32 s0, s30, s14
	s_ashr_i32 s56, s51, 31
	s_mul_hi_i32 s1, s30, s14
	s_add_u32 s0, s0, s51
	s_addc_u32 s1, s1, s56
	s_lshl_b64 s[0:1], s[0:1], 8
	s_add_u32 s20, s4, s0
	s_addc_u32 s0, s5, s1
	s_and_b32 s21, s0, 0xffff
	s_movk_i32 s57, 0x80
	buffer_load_dwordx4 v[6:9], v5, s[20:23], 0 offen
	buffer_load_dwordx4 v[10:13], v5, s[20:23], s57 offen
	;; [unrolled: 1-line block ×4, first 2 shown]
	v_and_b32_e32 v4, 6, v0
	v_lshlrev_b32_e32 v22, 2, v62
	v_lshlrev_b32_e32 v23, 3, v62
	v_xor_b32_e32 v27, v67, v4
	v_and_b32_e32 v5, 1, v0
	v_lshl_or_b32 v23, v65, 5, v23
	v_xor_b32_e32 v28, v65, v22
	v_lshlrev_b32_e32 v27, 2, v27
	s_add_i32 s0, s42, s33
	v_or_b32_e32 v73, 0x9000, v23
	v_or_b32_e32 v74, 0x9800, v23
	v_lshlrev_b32_e32 v23, 1, v28
	v_xor_b32_e32 v28, 0x440, v27
	v_cmp_eq_u32_e32 vcc, 0, v5
	s_add_i32 s1, s45, s44
	s_add_i32 s37, s0, s43
	v_cndmask_b32_e32 v5, v28, v27, vcc
	s_add_i32 s35, s1, s46
	s_lshl_b64 s[0:1], s[36:37], 2
	s_mov_b32 s58, 0x1000504
	s_mov_b32 s59, 0x3020706
	v_lshlrev_b32_e32 v24, 8, v62
	s_mov_b32 s20, 0x8000
	v_xor_b32_e32 v22, v66, v22
	v_lshl_or_b32 v4, v4, 10, v5
	s_add_u32 s21, s10, s0
	v_or_b32_e32 v25, v1, v62
	v_lshlrev_b32_e32 v22, 1, v22
	v_or3_b32 v75, v23, v24, s20
	v_xor_b32_e32 v5, 8, v4
	v_xor_b32_e32 v23, 24, v4
	;; [unrolled: 1-line block ×4, first 2 shown]
	s_addc_u32 s22, s11, s1
	s_lshl_b64 s[0:1], s[34:35], 2
	v_or3_b32 v76, v22, v24, s20
	v_xor_b32_e32 v22, 16, v4
	v_xor_b32_e32 v24, 32, v4
	;; [unrolled: 1-line block ×3, first 2 shown]
	v_add_u32_e32 v5, 0x80, v5
	v_add_u32_e32 v23, 0x80, v23
	;; [unrolled: 1-line block ×4, first 2 shown]
	s_add_u32 s40, s21, s0
	s_movk_i32 s0, 0xf8
	s_addc_u32 s41, s22, s1
	s_ashr_i32 s39, s38, 31
	v_ashrrev_i32_e32 v47, 31, v46
	s_lshl_b32 s26, s15, 7
	v_lshrrev_b32_e32 v26, 2, v45
	s_mov_b32 s60, 0
	s_mov_b32 s35, 0x7060302
	s_movk_i32 s22, 0x4000
	s_waitcnt vmcnt(1)
	v_perm_b32 v30, v6, v14, s58
	s_waitcnt vmcnt(0)
	v_perm_b32 v31, v10, v18, s58
	v_perm_b32 v6, v6, v14, s59
	;; [unrolled: 1-line block ×15, first 2 shown]
	ds_write2st64_b32 v4, v30, v31 offset1:32
	ds_write2st64_b32 v5, v6, v10 offset1:32
	ds_write2st64_b32 v22, v14, v18 offset0:1 offset1:33
	ds_write2st64_b32 v23, v7, v11 offset0:1 offset1:33
	;; [unrolled: 1-line block ×6, first 2 shown]
	v_lshlrev_b32_e32 v4, 3, v25
	v_lshrrev_b32_e32 v6, 5, v45
	v_and_or_b32 v6, v4, s0, v6
	v_lshlrev_b32_e32 v6, 4, v6
	v_lshlrev_b32_e32 v11, 11, v60
	v_and_b32_e32 v4, 0x78, v4
	v_or_b32_e32 v9, 32, v6
	v_and_b32_e32 v5, 0x1000, v11
	v_xor_b32_e32 v7, v6, v4
	v_lshrrev_b32_e32 v8, 1, v45
	v_xor_b32_e32 v9, v9, v4
	v_or_b32_e32 v7, v7, v5
	v_and_b32_e32 v8, 8, v8
	v_or_b32_e32 v9, v9, v5
	v_xor_b32_e32 v77, v7, v8
	v_and_b32_e32 v7, 0x78, v63
	v_xor_b32_e32 v79, v9, v8
	v_or_b32_e32 v9, 64, v6
	v_or_b32_e32 v6, 0x60, v6
	v_lshl_or_b32 v7, v61, 7, v7
	v_xor_b32_e32 v9, v9, v4
	v_xor_b32_e32 v4, v6, v4
	v_or_b32_e32 v78, 0x9000, v7
	v_or_b32_e32 v9, v9, v5
	;; [unrolled: 1-line block ×4, first 2 shown]
	v_lshrrev_b32_e32 v6, 4, v0
	v_lshlrev_b32_e32 v7, 1, v62
	v_xor_b32_e32 v80, v9, v8
	v_xor_b32_e32 v81, v4, v8
	v_or_b32_e32 v8, 1, v7
	v_xor_b32_e32 v7, v6, v7
	s_lshl_b64 s[0:1], s[38:39], 8
	v_xor_b32_e32 v8, v8, v6
	v_lshlrev_b32_e32 v7, 3, v7
	v_lshlrev_b32_e32 v6, 8, v6
	v_lshl_add_u64 v[4:5], v[46:47], 1, s[8:9]
	s_add_u32 s0, s18, s0
	v_or3_b32 v47, v7, v6, s20
	v_lshlrev_b32_e32 v7, 3, v8
	s_addc_u32 s1, s19, s1
	v_or3_b32 v83, v7, v6, s20
	v_mov_b32_e32 v7, 0
	v_lshrrev_b32_e32 v17, 1, v0
	v_lshl_add_u64 v[8:9], s[0:1], 0, v[6:7]
	v_lshlrev_b32_e32 v6, 4, v62
	s_movk_i32 s0, 0xff
	v_lshlrev_b32_e32 v16, 3, v60
	v_and_b32_e32 v17, 24, v17
	v_lshl_add_u64 v[56:57], v[8:9], 0, v[6:7]
	v_and_b32_e32 v6, 7, v0
	v_and_b32_e32 v9, 8, v0
	v_cmp_lt_u32_e32 vcc, s0, v0
	v_xor_b32_e32 v18, v16, v17
	v_lshlrev_b32_e32 v14, 3, v6
	v_lshlrev_b32_e32 v15, 7, v6
	v_cndmask_b32_e64 v6, 0, 1, vcc
	v_or_b32_e32 v19, 0x440, v18
	v_cmp_eq_u32_e32 vcc, 0, v9
	v_or_b32_e32 v21, 64, v17
	v_xor_b32_e32 v21, v16, v21
	v_cndmask_b32_e32 v9, v19, v18, vcc
	v_or_b32_e32 v19, 32, v17
	v_or_b32_e32 v17, 0x60, v17
	v_xor_b32_e32 v19, v16, v19
	v_xor_b32_e32 v16, v16, v17
	v_or_b32_e32 v20, 0x440, v19
	v_xor_b32_e32 v22, 0x440, v21
	v_xor_b32_e32 v17, 0x440, v16
	v_cndmask_b32_e32 v19, v20, v19, vcc
	v_cndmask_b32_e32 v21, v22, v21, vcc
	;; [unrolled: 1-line block ×3, first 2 shown]
	v_or_b32_e32 v9, v9, v11
	v_or_b32_e32 v19, v19, v11
	;; [unrolled: 1-line block ×4, first 2 shown]
	v_and_b32_e32 v10, 12, v26
	v_lshlrev_b32_e32 v6, 13, v6
	v_xor_b32_e32 v9, v9, v14
	v_xor_b32_e32 v19, v19, v14
	;; [unrolled: 1-line block ×4, first 2 shown]
	v_lshlrev_b32_e32 v12, 1, v3
	v_add_lshl_u32 v3, v3, s15, 1
	v_or_b32_e32 v13, 0x100, v2
	v_or_b32_e32 v8, v10, v1
	v_add_u32_e32 v18, v6, v9
	v_add_u32_e32 v20, v6, v19
	;; [unrolled: 1-line block ×4, first 2 shown]
	v_or3_b32 v10, v1, v10, 64
	v_add_u32_e32 v9, 0x2000, v9
	v_add_u32_e32 v16, 0x2000, v19
	;; [unrolled: 1-line block ×4, first 2 shown]
	v_lshlrev_b32_e32 v6, 8, v65
	v_cndmask_b32_e64 v84, v12, v2, s[2:3]
	v_cndmask_b32_e64 v85, v3, v13, s[2:3]
	v_lshl_add_u64 v[58:59], v[4:5], 0, v[6:7]
	v_lshlrev_b32_e32 v86, 2, v8
	v_add_u32_e32 v87, v18, v15
	v_add_u32_e32 v88, v20, v15
	;; [unrolled: 1-line block ×4, first 2 shown]
	v_lshlrev_b32_e32 v91, 2, v10
	v_add_u32_e32 v92, v9, v15
	v_add_u32_e32 v93, v16, v15
	;; [unrolled: 1-line block ×4, first 2 shown]
	s_waitcnt lgkmcnt(0)
	s_barrier
.LBB516_6:                              ; =>This Inner Loop Header: Depth=1
	s_add_i32 s37, s60, 1
	s_cmp_lt_i32 s37, s48
	s_mov_b64 s[24:25], 0
	s_cselect_b64 s[2:3], -1, 0
	s_cmp_ge_i32 s37, s48
	s_mov_b64 s[20:21], 0
	s_cbranch_scc1 .LBB516_8
; %bb.7:                                ;   in Loop: Header=BB516_6 Depth=1
	s_add_i32 s0, s55, 64
	s_ashr_i32 s1, s0, 31
	s_add_u32 s0, s53, s0
	s_addc_u32 s1, s52, s1
	s_lshl_b64 s[0:1], s[0:1], 8
	s_add_u32 s20, s6, s0
	s_addc_u32 s21, s7, s1
.LBB516_8:                              ;   in Loop: Header=BB516_6 Depth=1
	v_cndmask_b32_e64 v2, 0, 1, s[2:3]
	v_cmp_ne_u32_e64 s[0:1], 1, v2
	s_andn2_b64 vcc, exec, s[2:3]
	s_cbranch_vccnz .LBB516_10
; %bb.9:                                ;   in Loop: Header=BB516_6 Depth=1
	s_add_i32 s2, s55, 64
	s_mul_hi_i32 s3, s2, s14
	s_mul_i32 s2, s2, s14
	s_add_u32 s2, s2, s51
	s_addc_u32 s3, s3, s56
	s_lshl_b64 s[2:3], s[2:3], 8
	s_add_u32 s24, s4, s2
	s_addc_u32 s25, s5, s3
.LBB516_10:                             ;   in Loop: Header=BB516_6 Depth=1
	v_perm_b32 v3, v55, v54, s35
	v_perm_b32 v2, v51, v50, s35
	;; [unrolled: 1-line block ×4, first 2 shown]
	ds_write_b64 v73, v[2:3]
	ds_write_b64 v74, v[4:5]
	;; [unrolled: 1-line block ×4, first 2 shown]
	s_waitcnt lgkmcnt(0)
	s_barrier
	ds_read_b64 v[10:11], v77 offset:16384
	ds_read_b64 v[12:13], v79 offset:16384
	ds_read2st64_b64 v[2:5], v78 offset1:1
	s_waitcnt lgkmcnt(0)
	v_mfma_f32_16x16x16_bf16 a[0:3], v[10:11], v[2:3], 0
	ds_read2st64_b64 v[6:9], v78 offset0:2 offset1:3
	ds_read_b64 v[14:15], v80 offset:16384
	ds_read_b64 v[2:3], v81 offset:16384
	s_add_i32 s39, s55, 63
	v_mfma_f32_16x16x16_bf16 a[0:3], v[12:13], v[4:5], a[0:3]
	s_ashr_i32 s2, s39, 31
	s_mul_i32 s3, s39, s29
	s_mul_hi_u32 s27, s39, s28
	s_waitcnt lgkmcnt(1)
	v_mfma_f32_16x16x16_bf16 a[0:3], v[14:15], v[6:7], a[0:3]
	s_add_i32 s3, s27, s3
	s_mul_i32 s2, s2, s28
	s_add_i32 s3, s3, s2
	s_mul_i32 s2, s39, s28
	s_waitcnt lgkmcnt(0)
	v_mfma_f32_16x16x16_bf16 a[0:3], v[2:3], v[8:9], a[0:3]
	s_lshl_b64 s[2:3], s[2:3], 2
	s_add_u32 s2, s40, s2
	s_addc_u32 s3, s41, s3
	s_and_b64 vcc, exec, s[0:1]
	v_mov_b32_e32 v98, 0
	v_mov_b32_e32 v97, 0
	;; [unrolled: 1-line block ×19, first 2 shown]
	s_cbranch_vccnz .LBB516_12
; %bb.11:                               ;   in Loop: Header=BB516_6 Depth=1
	s_and_b32 s21, s21, 0xffff
	buffer_load_dwordx4 v[14:17], v69, s[20:23], 0 offen
	buffer_load_dwordx4 v[10:13], v69, s[20:23], s57 offen
	;; [unrolled: 1-line block ×4, first 2 shown]
	v_mov_b32_e32 v97, v71
	v_mov_b32_e32 v96, v72
.LBB516_12:                             ;   in Loop: Header=BB516_6 Depth=1
	v_add_u32_e32 v22, s55, v65
	v_ashrrev_i32_e32 v18, 31, v22
	v_mul_lo_u32 v20, v18, s28
	v_mul_lo_u32 v21, v22, s29
	v_mad_u64_u32 v[18:19], s[20:21], v22, s28, 0
	v_add3_u32 v19, v19, v21, v20
	v_lshl_add_u64 v[18:19], v[18:19], 2, s[40:41]
	global_load_dword v40, v[18:19], off
	v_add_u32_e32 v18, 1, v22
	v_ashrrev_i32_e32 v19, 31, v18
	v_mul_lo_u32 v20, v19, s28
	v_mul_lo_u32 v21, v18, s29
	v_mad_u64_u32 v[18:19], s[20:21], v18, s28, 0
	v_add3_u32 v19, v19, v21, v20
	v_add_u32_e32 v20, 2, v22
	v_ashrrev_i32_e32 v21, 31, v20
	v_mul_lo_u32 v23, v21, s28
	v_mul_lo_u32 v24, v20, s29
	v_mad_u64_u32 v[20:21], s[20:21], v20, s28, 0
	v_add_u32_e32 v22, 3, v22
	v_add3_u32 v21, v21, v24, v23
	v_ashrrev_i32_e32 v23, 31, v22
	v_mul_lo_u32 v26, v23, s28
	v_mul_lo_u32 v27, v22, s29
	v_mad_u64_u32 v[22:23], s[20:21], v22, s28, 0
	s_ashr_i32 s21, s55, 31
	s_add_u32 s20, s53, s55
	s_addc_u32 s21, s52, s21
	s_lshl_b64 s[20:21], s[20:21], 8
	v_lshl_add_u64 v[18:19], v[18:19], 2, s[40:41]
	v_lshl_add_u64 v[24:25], v[58:59], 0, s[20:21]
	v_add3_u32 v23, v23, v27, v26
	v_lshl_add_u64 v[20:21], v[20:21], 2, s[40:41]
	global_load_ushort v41, v[24:25], off
	global_load_ushort v42, v[24:25], off offset:256
	global_load_ushort v43, v[24:25], off offset:512
	;; [unrolled: 1-line block ×3, first 2 shown]
	v_lshl_add_u64 v[22:23], v[22:23], 2, s[40:41]
	global_load_dword v100, v[18:19], off
	global_load_dword v101, v[20:21], off
	;; [unrolled: 1-line block ×3, first 2 shown]
	s_load_dword s2, s[2:3], 0x0
	ds_read2st64_b64 v[26:29], v82 offset1:1
	ds_read2st64_b64 v[30:33], v82 offset0:2 offset1:3
	ds_read_b64 v[24:25], v77 offset:24576
	ds_read_b64 v[34:35], v79 offset:24576
	;; [unrolled: 1-line block ×4, first 2 shown]
	s_waitcnt lgkmcnt(0)
	v_mfma_f32_16x16x16_bf16 a[0:3], v[24:25], v[26:27], a[0:3]
	v_mov_b32_e32 v99, 0
	v_mov_b32_e32 v18, 0
	v_mov_b32_e32 v19, 0
	v_mfma_f32_16x16x16_bf16 a[0:3], v[34:35], v[28:29], a[0:3]
	v_mov_b32_e32 v20, 0
	v_mov_b32_e32 v21, 0
	v_mov_b32_e32 v22, 0
	;; [unrolled: 4-line block ×4, first 2 shown]
	v_mov_b32_e32 v29, 0
	v_mov_b32_e32 v30, 0
	;; [unrolled: 1-line block ×3, first 2 shown]
	s_and_b64 vcc, exec, s[0:1]
	v_accvgpr_read_b32 v35, a1
	v_accvgpr_read_b32 v33, a3
	;; [unrolled: 1-line block ×4, first 2 shown]
	s_waitcnt vmcnt(7)
	v_sub_f32_e32 v40, s2, v40
	v_exp_f32_e32 v40, v40
	s_waitcnt vmcnt(6)
	v_lshlrev_b32_e32 v36, 16, v41
	s_waitcnt vmcnt(5)
	v_lshlrev_b32_e32 v37, 16, v42
	;; [unrolled: 2-line block ×3, first 2 shown]
	s_waitcnt vmcnt(2)
	v_sub_f32_e32 v41, s2, v100
	s_waitcnt vmcnt(1)
	v_sub_f32_e32 v42, s2, v101
	;; [unrolled: 2-line block ×3, first 2 shown]
	v_exp_f32_e32 v41, v41
	v_exp_f32_e32 v42, v42
	v_exp_f32_e32 v43, v43
	v_lshlrev_b32_e32 v39, 16, v44
	v_pk_add_f32 v[34:35], v[36:37], v[34:35] neg_lo:[0,1] neg_hi:[0,1]
	v_pk_add_f32 v[32:33], v[38:39], v[32:33] neg_lo:[0,1] neg_hi:[0,1]
	v_pk_mul_f32 v[34:35], v[40:41], v[34:35]
	v_pk_mul_f32 v[32:33], v[42:43], v[32:33]
	s_nop 0
	v_perm_b32 v33, v33, v32, s35
	v_perm_b32 v32, v35, v34, s35
	ds_write_b64 v74, v[32:33]
	v_mov_b32_e32 v32, 0
	v_mov_b32_e32 v33, 0
	s_cbranch_vccnz .LBB516_14
; %bb.13:                               ;   in Loop: Header=BB516_6 Depth=1
	s_and_b32 s25, s25, 0xffff
	s_mov_b32 s27, s23
	buffer_load_dwordx4 v[30:33], v84, s[24:27], 0 offen
	buffer_load_dwordx4 v[22:25], v84, s[24:27], s57 offen
	;; [unrolled: 1-line block ×4, first 2 shown]
	v_mov_b32_e32 v98, v68
	v_mov_b32_e32 v99, v67
.LBB516_14:                             ;   in Loop: Header=BB516_6 Depth=1
	s_waitcnt lgkmcnt(0)
	s_barrier
	ds_read_b64 v[34:35], v87
	ds_read_b64 v[40:41], v88
	ds_read2st64_b64 v[36:39], v82 offset1:1
	ds_read2st64_b64 v[100:103], v82 offset0:2 offset1:3
	ds_read_b64 v[42:43], v89
	ds_read_b64 v[108:109], v90
	s_add_i32 s3, s54, s60
	s_mul_hi_i32 s21, s3, s13
	s_mul_i32 s3, s3, s13
	s_waitcnt lgkmcnt(3)
	v_mfma_f32_16x16x16_bf16 a[0:3], v[34:35], v[36:37], 0
	ds_read_b64 v[34:35], v92
	s_add_u32 s20, s3, s47
	s_addc_u32 s21, s21, s49
	v_mfma_f32_16x16x16_bf16 a[0:3], v[40:41], v[38:39], a[0:3]
	ds_read_b64 v[40:41], v93
	s_lshl_b64 s[20:21], s[20:21], 15
	s_mul_i32 s24, s39, s13
	s_mul_hi_i32 s3, s39, s13
	s_add_u32 s24, s24, s47
	s_addc_u32 s25, s3, s49
	s_lshl_b64 s[24:25], s[24:25], 9
	s_add_u32 s24, s16, s24
	s_waitcnt lgkmcnt(1)
	v_mfma_f32_16x16x16_bf16 a[4:7], v[34:35], v[36:37], 0
	s_addc_u32 s25, s17, s25
	s_and_b64 vcc, exec, s[0:1]
	v_mfma_f32_16x16x16_bf16 a[0:3], v[42:43], v[100:101], a[0:3]
	ds_read_b64 v[42:43], v94
	ds_read_b64 v[110:111], v95
	global_load_dwordx4 v[34:37], v91, s[24:25]
	s_waitcnt lgkmcnt(2)
	v_mfma_f32_16x16x16_bf16 a[4:7], v[40:41], v[38:39], a[4:7]
	global_load_dwordx4 v[38:41], v86, s[24:25]
	ds_read_b64 v[104:105], v47
	ds_read_b64 v[106:107], v83
	s_waitcnt lgkmcnt(3)
	v_mfma_f32_16x16x16_bf16 a[8:11], v[42:43], v[100:101], a[4:7]
	v_lshl_add_u64 v[42:43], v[56:57], 0, s[20:21]
	s_waitcnt lgkmcnt(0)
	global_store_dwordx4 v[42:43], v[104:107], off
	v_mfma_f32_16x16x16_bf16 a[4:7], v[108:109], v[102:103], a[0:3]
	s_waitcnt vmcnt(2)
	v_mov_b32_e32 v44, v37
	v_mfma_f32_16x16x16_bf16 a[0:3], v[110:111], v[102:103], a[8:11]
	v_mov_b32_e32 v43, v36
	v_mov_b32_e32 v42, v35
	s_cbranch_vccnz .LBB516_16
; %bb.15:                               ;   in Loop: Header=BB516_6 Depth=1
	v_lshrrev_b32_e32 v35, 3, v98
	v_and_b32_e32 v35, 6, v35
	v_xor_b32_e32 v36, v35, v99
	v_lshlrev_b32_e32 v36, 2, v36
	v_and_b32_e32 v37, 8, v98
	v_xor_b32_e32 v98, 0x440, v36
	v_cmp_eq_u32_e32 vcc, 0, v37
	v_perm_b32 v37, v22, v18, s58
	s_nop 0
	v_cndmask_b32_e32 v36, v98, v36, vcc
	v_lshl_or_b32 v35, v35, 10, v36
	v_perm_b32 v36, v30, v26, s58
	s_barrier
	ds_write2st64_b32 v35, v36, v37 offset1:32
	v_xor_b32_e32 v36, 8, v35
	v_perm_b32 v26, v30, v26, s59
	v_perm_b32 v18, v22, v18, s59
	v_add_u32_e32 v22, 0x80, v36
	ds_write2st64_b32 v22, v26, v18 offset1:32
	v_xor_b32_e32 v18, 16, v35
	v_perm_b32 v22, v31, v27, s58
	v_perm_b32 v26, v23, v19, s58
	ds_write2st64_b32 v18, v22, v26 offset0:1 offset1:33
	v_xor_b32_e32 v18, 24, v35
	v_perm_b32 v22, v31, v27, s59
	v_perm_b32 v19, v23, v19, s59
	v_add_u32_e32 v18, 0x80, v18
	ds_write2st64_b32 v18, v22, v19 offset0:1 offset1:33
	v_xor_b32_e32 v18, 32, v35
	v_perm_b32 v19, v32, v28, s58
	v_perm_b32 v22, v24, v20, s58
	ds_write2st64_b32 v18, v19, v22 offset0:2 offset1:34
	v_xor_b32_e32 v18, 40, v35
	v_perm_b32 v19, v32, v28, s59
	v_perm_b32 v20, v24, v20, s59
	v_add_u32_e32 v18, 0x80, v18
	ds_write2st64_b32 v18, v19, v20 offset0:2 offset1:34
	;; [unrolled: 9-line block ×3, first 2 shown]
	ds_write_b64 v97, v[14:15] offset:16384
	v_xor_b32_e32 v14, 8, v97
	ds_write_b64 v14, v[16:17] offset:16384
	ds_write_b64 v97, v[10:11] offset:24576
	ds_write_b64 v14, v[12:13] offset:24576
	ds_write_b64 v96, v[6:7] offset:16384
	v_xor_b32_e32 v6, 8, v96
	ds_write_b64 v6, v[8:9] offset:16384
	ds_write_b64 v96, v[2:3] offset:24576
	ds_write_b64 v6, v[4:5] offset:24576
.LBB516_16:                             ;   in Loop: Header=BB516_6 Depth=1
	v_exp_f32_e32 v10, s2
	s_waitcnt vmcnt(1)
	v_exp_f32_e32 v12, v38
	v_exp_f32_e32 v13, v39
	;; [unrolled: 1-line block ×4, first 2 shown]
	v_accvgpr_read_b32 v2, a4
	v_accvgpr_read_b32 v3, a5
	v_pk_mul_f32 v[12:13], v[10:11], v[12:13] op_sel_hi:[0,1]
	v_pk_fma_f32 v[50:51], v[50:51], v[12:13], v[2:3]
	v_exp_f32_e32 v12, v34
	v_exp_f32_e32 v13, v42
	v_pk_mul_f32 v[2:3], v[10:11], v[14:15] op_sel_hi:[0,1]
	v_exp_f32_e32 v14, v43
	v_exp_f32_e32 v15, v44
	v_accvgpr_read_b32 v4, a6
	v_accvgpr_read_b32 v5, a7
	;; [unrolled: 1-line block ×5, first 2 shown]
	v_pk_fma_f32 v[54:55], v[54:55], v[2:3], v[4:5]
	v_pk_mul_f32 v[2:3], v[10:11], v[12:13] op_sel_hi:[0,1]
	v_accvgpr_read_b32 v8, a2
	v_pk_fma_f32 v[48:49], v[48:49], v[2:3], v[6:7]
	v_pk_mul_f32 v[2:3], v[10:11], v[14:15] op_sel_hi:[0,1]
	s_add_i32 s55, s55, 64
	s_cmp_eq_u32 s48, s37
	v_pk_fma_f32 v[52:53], v[52:53], v[2:3], v[8:9]
	s_cbranch_scc1 .LBB516_18
; %bb.17:                               ;   in Loop: Header=BB516_6 Depth=1
	s_mov_b32 s60, s37
	s_branch .LBB516_6
.LBB516_18:
	s_lshl_b32 s26, s48, 6
	s_sub_i32 s27, s50, s26
	s_cmp_gt_i32 s27, 0
	s_cbranch_scc0 .LBB516_75
; %bb.19:
	s_add_i32 s26, s26, s30
	s_ashr_i32 s2, s26, 31
	s_cmpk_lg_i32 s15, 0x80
	s_cselect_b64 s[22:23], -1, 0
	s_and_b64 vcc, exec, s[22:23]
	s_cbranch_vccz .LBB516_21
; %bb.20:
	s_mul_i32 s1, s26, s14
	s_ashr_i32 s3, s51, 31
	s_mul_hi_i32 s0, s26, s14
	s_add_u32 s24, s1, s51
	s_addc_u32 s25, s0, s3
	s_cbranch_execz .LBB516_22
	s_branch .LBB516_23
.LBB516_21:
                                        ; implicit-def: $sgpr24_sgpr25
.LBB516_22:
	s_mul_i32 s1, s51, s12
	s_mul_hi_i32 s0, s51, s12
	s_add_u32 s24, s1, s26
	s_addc_u32 s25, s0, s2
.LBB516_23:
	s_waitcnt lgkmcnt(0)
	s_add_i32 s3, s48, s54
	s_add_u32 s0, s53, s26
	s_addc_u32 s1, s52, s2
	s_mov_b32 s2, 0x7060302
	v_lshlrev_b32_e32 v6, 3, v62
	s_lshl_b64 s[20:21], s[0:1], 8
	v_perm_b32 v3, v55, v54, s2
	v_perm_b32 v2, v51, v50, s2
	;; [unrolled: 1-line block ×4, first 2 shown]
	v_lshlrev_b32_e32 v34, 2, v62
	v_lshl_or_b32 v6, v65, 5, v6
	s_add_u32 s0, s6, s20
	ds_write2st64_b64 v6, v[2:3], v[4:5] offset0:72 offset1:76
	v_xor_b32_e32 v6, v65, v34
	v_lshlrev_b32_e32 v7, 8, v62
	s_addc_u32 s1, s7, s21
	v_lshl_or_b32 v6, v6, 1, v7
	s_mul_hi_i32 s6, s3, s13
	s_mul_i32 s3, s3, s13
	ds_write_b64 v6, v[2:3] offset:32768
	v_xor_b32_e32 v2, v66, v34
	s_add_u32 s2, s3, s47
	v_lshl_or_b32 v2, v2, 1, v7
	s_addc_u32 s3, s6, s49
	v_lshlrev_b32_e32 v3, 1, v62
	ds_write_b64 v2, v[4:5] offset:32768
	v_lshrrev_b32_e32 v2, 4, v0
	s_ashr_i32 s39, s38, 31
	s_lshl_b64 s[2:3], s[2:3], 15
	v_or_b32_e32 v4, 1, v3
	s_add_u32 s6, s18, s2
	v_xor_b32_e32 v3, v2, v3
	v_xor_b32_e32 v4, v4, v2
	v_lshlrev_b32_e32 v6, 8, v2
	s_addc_u32 s7, s19, s3
	s_lshl_b64 s[2:3], s[38:39], 8
	v_lshl_or_b32 v2, v3, 3, v6
	v_lshl_or_b32 v4, v4, 3, v6
	s_waitcnt lgkmcnt(0)
	s_barrier
	s_add_u32 s2, s6, s2
	ds_read_b64 v[2:3], v2 offset:32768
	ds_read_b64 v[4:5], v4 offset:32768
	s_addc_u32 s3, s7, s3
	v_mov_b32_e32 v7, 0
	s_cmp_lg_u32 s27, 64
	v_lshl_add_u64 v[8:9], s[2:3], 0, v[6:7]
	v_lshlrev_b32_e32 v6, 4, v62
	s_cselect_b64 s[6:7], -1, 0
	v_lshl_or_b32 v35, v60, 3, v64
	s_mov_b32 s16, 0
	v_lshl_add_u64 v[6:7], v[8:9], 0, v[6:7]
	v_or_b32_e32 v19, 32, v35
	v_and_b32_e32 v18, 56, v63
	s_and_b64 vcc, exec, s[6:7]
	s_waitcnt lgkmcnt(0)
	global_store_dwordx4 v[6:7], v[2:5], off
	s_cbranch_vccz .LBB516_29
; %bb.24:
	s_mov_b32 s17, s16
	s_mov_b32 s18, s16
	;; [unrolled: 1-line block ×3, first 2 shown]
	v_mov_b64_e32 v[6:7], s[16:17]
	v_mov_b64_e32 v[8:9], s[18:19]
	;; [unrolled: 1-line block ×3, first 2 shown]
	v_cmp_gt_i32_e32 vcc, s27, v35
	v_mov_b64_e32 v[4:5], v[8:9]
	s_and_saveexec_b64 s[2:3], vcc
	s_cbranch_execz .LBB516_26
; %bb.25:
	v_lshlrev_b32_e32 v2, 8, v35
	v_mov_b32_e32 v3, 0
	v_lshl_add_u64 v[4:5], s[0:1], 0, v[2:3]
	v_lshlrev_b32_e32 v2, 1, v18
	v_lshl_add_u64 v[10:11], v[4:5], 0, v[2:3]
	global_load_dwordx4 v[6:9], v[10:11], off
	global_load_dwordx4 v[2:5], v[10:11], off offset:128
.LBB516_26:
	s_or_b64 exec, exec, s[2:3]
	s_mov_b32 s17, s16
	s_mov_b32 s18, s16
	;; [unrolled: 1-line block ×3, first 2 shown]
	v_mov_b64_e32 v[14:15], s[16:17]
	v_mov_b64_e32 v[16:17], s[18:19]
	;; [unrolled: 1-line block ×3, first 2 shown]
	v_cmp_gt_i32_e32 vcc, s27, v19
	v_lshlrev_b32_e32 v20, 7, v19
	v_mov_b64_e32 v[12:13], v[16:17]
	s_and_saveexec_b64 s[2:3], vcc
	s_cbranch_execz .LBB516_28
; %bb.27:
	v_lshlrev_b32_e32 v10, 1, v20
	v_mov_b32_e32 v11, 0
	v_lshl_add_u64 v[12:13], s[0:1], 0, v[10:11]
	v_lshlrev_b32_e32 v10, 1, v18
	v_lshl_add_u64 v[22:23], v[12:13], 0, v[10:11]
	global_load_dwordx4 v[14:17], v[22:23], off
	global_load_dwordx4 v[10:13], v[22:23], off offset:128
.LBB516_28:
	s_or_b64 exec, exec, s[2:3]
	v_lshrrev_b32_e32 v21, 3, v18
	v_lshlrev_b32_e32 v22, 3, v35
	v_or_b32_e32 v21, v22, v21
	v_lshlrev_b32_e32 v21, 4, v21
	v_and_b32_e32 v22, 0x78, v22
	v_xor_b32_e32 v21, v21, v22
	s_branch .LBB516_31
.LBB516_29:
                                        ; implicit-def: $vgpr21
                                        ; implicit-def: $vgpr20
                                        ; implicit-def: $vgpr6_vgpr7_vgpr8_vgpr9
                                        ; implicit-def: $vgpr2_vgpr3_vgpr4_vgpr5
                                        ; implicit-def: $vgpr14_vgpr15_vgpr16_vgpr17
                                        ; implicit-def: $vgpr10_vgpr11_vgpr12_vgpr13
	s_cbranch_execz .LBB516_31
; %bb.30:
	s_waitcnt vmcnt(0)
	v_lshlrev_b32_e32 v2, 1, v18
	v_lshl_or_b32 v20, v35, 8, v2
	s_and_b32 s1, s1, 0xffff
	s_mov_b32 s3, 0x20000
	s_movk_i32 s2, 0x4000
	v_lshl_or_b32 v21, v19, 8, v2
	s_movk_i32 s12, 0x80
	buffer_load_dwordx4 v[6:9], v20, s[0:3], 0 offen
	buffer_load_dwordx4 v[2:5], v20, s[0:3], s12 offen
	;; [unrolled: 1-line block ×4, first 2 shown]
	v_lshrrev_b32_e32 v20, 3, v18
	v_lshlrev_b32_e32 v21, 3, v35
	v_or_b32_e32 v20, v21, v20
	v_lshlrev_b32_e32 v20, 4, v20
	v_and_b32_e32 v21, 0x78, v21
	v_xor_b32_e32 v21, v20, v21
	v_lshlrev_b32_e32 v20, 7, v19
.LBB516_31:
	s_lshl_b64 s[0:1], s[24:25], 8
	s_add_u32 s4, s4, s0
	s_movk_i32 s0, 0x1000
	v_and_or_b32 v19, v20, s0, v21
	s_waitcnt vmcnt(1)
	ds_write_b64 v21, v[6:7] offset:16384
	v_xor_b32_e32 v6, 8, v21
	ds_write_b64 v6, v[8:9] offset:16384
	s_waitcnt vmcnt(0)
	ds_write_b64 v21, v[2:3] offset:24576
	ds_write_b64 v6, v[4:5] offset:24576
	;; [unrolled: 1-line block ×3, first 2 shown]
	v_xor_b32_e32 v2, 8, v19
	ds_write_b64 v2, v[16:17] offset:16384
	ds_write_b64 v19, v[10:11] offset:24576
	;; [unrolled: 1-line block ×3, first 2 shown]
	v_or_b32_e32 v2, v1, v62
	v_lshlrev_b32_e32 v2, 3, v2
	v_lshrrev_b32_e32 v4, 5, v45
	s_movk_i32 s12, 0xf8
	v_and_or_b32 v4, v2, s12, v4
	v_lshlrev_b32_e32 v3, 11, v60
	v_lshlrev_b32_e32 v12, 4, v4
	v_and_b32_e32 v13, 0x78, v2
	v_and_b32_e32 v14, 0x1000, v3
	v_lshlrev_b32_e32 v3, 2, v0
	v_xor_b32_e32 v2, v12, v13
	v_lshrrev_b32_e32 v4, 1, v45
	v_and_b32_e32 v3, 60, v3
	v_or_b32_e32 v2, v2, v14
	v_and_b32_e32 v15, 8, v4
	v_xor_b32_e32 v26, v2, v15
	v_lshl_or_b32 v2, v61, 6, v3
	v_lshlrev_b32_e32 v19, 1, v2
	v_or_b32_e32 v2, 32, v12
	v_xor_b32_e32 v2, v2, v13
	s_waitcnt lgkmcnt(0)
	s_barrier
	ds_read_b64 v[10:11], v26 offset:16384
	v_or_b32_e32 v2, v2, v14
	v_xor_b32_e32 v27, v2, v15
	v_or_b32_e32 v2, 64, v12
	v_xor_b32_e32 v2, v2, v13
	v_or_b32_e32 v2, v2, v14
	v_or_b32_e32 v12, 0x60, v12
	v_xor_b32_e32 v28, v2, v15
	ds_read2st64_b64 v[2:5], v19 offset0:72 offset1:73
	ds_read2st64_b64 v[6:9], v19 offset0:74 offset1:75
	v_xor_b32_e32 v16, v12, v13
	ds_read_b64 v[12:13], v27 offset:16384
	s_addc_u32 s5, s5, s1
	s_add_i32 s1, s42, s33
	s_waitcnt lgkmcnt(2)
	v_mfma_f32_16x16x16_bf16 a[0:3], v[10:11], v[2:3], 0
	s_add_i32 s0, s31, -1
	s_add_i32 s37, s1, s43
	s_add_i32 s1, s45, s44
	;; [unrolled: 1-line block ×3, first 2 shown]
	s_ashr_i32 s1, s0, 31
	s_mul_i32 s2, s0, s29
	s_mul_hi_u32 s3, s0, s28
	s_add_i32 s2, s3, s2
	s_mul_i32 s1, s1, s28
	v_or_b32_e32 v14, v16, v14
	s_add_i32 s1, s2, s1
	s_lshl_b64 s[2:3], s[36:37], 2
	v_xor_b32_e32 v36, v14, v15
	ds_read_b64 v[14:15], v28 offset:16384
	ds_read_b64 v[16:17], v36 offset:16384
	s_waitcnt lgkmcnt(2)
	v_mfma_f32_16x16x16_bf16 a[0:3], v[12:13], v[4:5], a[0:3]
	s_add_u32 s10, s10, s2
	s_addc_u32 s11, s11, s3
	s_lshl_b64 s[2:3], s[34:35], 2
	s_mul_i32 s0, s0, s28
	s_add_u32 s10, s10, s2
	s_addc_u32 s11, s11, s3
	s_lshl_b64 s[0:1], s[0:1], 2
	s_waitcnt lgkmcnt(1)
	v_mfma_f32_16x16x16_bf16 a[0:3], v[14:15], v[6:7], a[0:3]
	s_add_u32 s0, s10, s0
	s_addc_u32 s1, s11, s1
	s_load_dword s12, s[0:1], 0x0
	s_waitcnt lgkmcnt(0)
	v_mfma_f32_16x16x16_bf16 a[0:3], v[16:17], v[8:9], a[0:3]
	s_and_b64 vcc, exec, s[22:23]
	s_cbranch_vccz .LBB516_42
; %bb.32:
	v_lshlrev_b32_e32 v20, 1, v35
	s_and_b64 vcc, exec, s[6:7]
	s_cbranch_vccz .LBB516_43
; %bb.33:
	v_cmp_gt_i32_e32 vcc, s27, v20
	v_mov_b32_e32 v6, 0
	v_mov_b32_e32 v2, 0
	;; [unrolled: 1-line block ×5, first 2 shown]
	s_and_saveexec_b64 s[0:1], vcc
	s_cbranch_execz .LBB516_35
; %bb.34:
	v_mad_i64_i32 v[2:3], s[2:3], s15, v20, 0
	v_lshl_add_u64 v[2:3], v[2:3], 1, s[4:5]
	v_lshlrev_b32_e32 v4, 1, v18
	v_mov_b32_e32 v5, 0
	v_lshl_add_u64 v[2:3], v[2:3], 0, v[4:5]
	global_load_dwordx4 v[2:5], v[2:3], off
.LBB516_35:
	s_or_b64 exec, exec, s[0:1]
	v_or_b32_e32 v21, 1, v20
	v_cmp_gt_i32_e64 s[0:1], s27, v21
	v_mov_b32_e32 v7, 0
	v_mov_b32_e32 v8, 0
	;; [unrolled: 1-line block ×3, first 2 shown]
	s_and_saveexec_b64 s[2:3], s[0:1]
	s_cbranch_execz .LBB516_37
; %bb.36:
	v_mad_i64_i32 v[6:7], s[16:17], s15, v21, 0
	v_lshl_add_u64 v[6:7], v[6:7], 1, s[4:5]
	v_lshlrev_b32_e32 v8, 1, v18
	v_mov_b32_e32 v9, 0
	v_lshl_add_u64 v[6:7], v[6:7], 0, v[8:9]
	global_load_dwordx4 v[6:9], v[6:7], off
.LBB516_37:
	s_or_b64 exec, exec, s[2:3]
	v_mov_b32_e32 v17, 0
	v_mov_b32_e32 v10, 0
	;; [unrolled: 1-line block ×5, first 2 shown]
	s_and_saveexec_b64 s[2:3], vcc
	s_cbranch_execz .LBB516_39
; %bb.38:
	v_mad_i64_i32 v[10:11], s[16:17], s15, v20, 0
	v_lshl_add_u64 v[10:11], v[10:11], 1, s[4:5]
	v_lshlrev_b32_e32 v12, 1, v18
	v_mov_b32_e32 v13, 0
	v_lshl_add_u64 v[10:11], v[10:11], 0, v[12:13]
	global_load_dwordx4 v[10:13], v[10:11], off offset:128
.LBB516_39:
	s_or_b64 exec, exec, s[2:3]
	v_mov_b32_e32 v16, 0
	v_mov_b32_e32 v15, 0
	;; [unrolled: 1-line block ×3, first 2 shown]
	s_and_saveexec_b64 s[2:3], s[0:1]
	s_cbranch_execz .LBB516_41
; %bb.40:
	v_mad_i64_i32 v[14:15], s[0:1], s15, v21, 0
	v_lshl_add_u64 v[14:15], v[14:15], 1, s[4:5]
	v_lshlrev_b32_e32 v16, 1, v18
	v_mov_b32_e32 v17, 0
	v_lshl_add_u64 v[14:15], v[14:15], 0, v[16:17]
	global_load_dwordx4 v[14:17], v[14:15], off offset:128
.LBB516_41:
	s_or_b64 exec, exec, s[2:3]
	s_branch .LBB516_45
.LBB516_42:
                                        ; implicit-def: $vgpr5
                                        ; implicit-def: $vgpr9
                                        ; implicit-def: $vgpr13
                                        ; implicit-def: $vgpr17
	v_lshrrev_b32_e32 v37, 2, v45
	s_branch .LBB516_46
.LBB516_43:
                                        ; implicit-def: $vgpr5
                                        ; implicit-def: $vgpr9
                                        ; implicit-def: $vgpr13
                                        ; implicit-def: $vgpr17
	s_cbranch_execz .LBB516_45
; %bb.44:
	s_waitcnt vmcnt(0)
	v_mad_u64_u32 v[2:3], s[0:1], v20, s15, v[18:19]
	v_lshlrev_b32_e32 v20, 1, v2
	s_lshl_b32 s2, s15, 7
	s_and_b32 s1, s5, 0xffff
	s_mov_b32 s3, 0x20000
	s_mov_b32 s0, s4
	v_add_lshl_u32 v21, v2, s15, 1
	s_movk_i32 s13, 0x80
	buffer_load_dwordx4 v[2:5], v20, s[0:3], 0 offen
	buffer_load_dwordx4 v[10:13], v20, s[0:3], s13 offen
	;; [unrolled: 1-line block ×4, first 2 shown]
.LBB516_45:
	v_lshrrev_b32_e32 v37, 2, v45
	s_cbranch_execnz .LBB516_58
.LBB516_46:
	s_and_b64 vcc, exec, s[6:7]
	s_cbranch_vccz .LBB516_56
; %bb.47:
	s_waitcnt vmcnt(0)
	v_lshlrev_b32_e32 v7, 1, v35
	v_cmp_gt_i32_e32 vcc, s27, v7
	v_mov_b32_e32 v6, 0
	v_lshlrev_b32_e32 v14, 9, v35
	v_mov_b32_e32 v2, 0
	v_mov_b32_e32 v3, 0
	;; [unrolled: 1-line block ×4, first 2 shown]
	s_and_saveexec_b64 s[0:1], vcc
	s_cbranch_execz .LBB516_49
; %bb.48:
	v_mov_b32_e32 v15, 0
	v_lshl_add_u64 v[2:3], s[4:5], 0, v[14:15]
	v_lshlrev_b32_e32 v4, 1, v18
	v_mov_b32_e32 v5, v15
	v_lshl_add_u64 v[2:3], v[2:3], 0, v[4:5]
	global_load_dwordx4 v[2:5], v[2:3], off
.LBB516_49:
	s_or_b64 exec, exec, s[0:1]
	v_or_b32_e32 v7, 1, v7
	v_cmp_gt_i32_e64 s[0:1], s27, v7
	v_lshlrev_b32_e32 v20, 8, v7
	v_mov_b32_e32 v7, 0
	v_mov_b32_e32 v8, 0
	;; [unrolled: 1-line block ×3, first 2 shown]
	s_and_saveexec_b64 s[2:3], s[0:1]
	s_cbranch_execz .LBB516_51
; %bb.50:
	v_mov_b32_e32 v21, 0
	v_lshl_add_u64 v[6:7], s[4:5], 0, v[20:21]
	v_lshlrev_b32_e32 v8, 1, v18
	v_mov_b32_e32 v9, v21
	v_lshl_add_u64 v[6:7], v[6:7], 0, v[8:9]
	global_load_dwordx4 v[6:9], v[6:7], off
.LBB516_51:
	s_or_b64 exec, exec, s[2:3]
	v_mov_b32_e32 v17, 0
	v_mov_b32_e32 v10, 0
	;; [unrolled: 1-line block ×5, first 2 shown]
	s_and_saveexec_b64 s[2:3], vcc
	s_cbranch_execz .LBB516_53
; %bb.52:
	v_mov_b32_e32 v15, 0
	v_lshl_add_u64 v[10:11], s[4:5], 0, v[14:15]
	v_lshlrev_b32_e32 v14, 1, v18
	v_lshl_add_u64 v[10:11], v[10:11], 0, v[14:15]
	global_load_dwordx4 v[10:13], v[10:11], off offset:128
.LBB516_53:
	s_or_b64 exec, exec, s[2:3]
	v_mov_b32_e32 v16, 0
	v_mov_b32_e32 v15, 0
	;; [unrolled: 1-line block ×3, first 2 shown]
	s_and_saveexec_b64 s[2:3], s[0:1]
	s_cbranch_execz .LBB516_55
; %bb.54:
	v_mov_b32_e32 v21, 0
	v_lshl_add_u64 v[14:15], s[4:5], 0, v[20:21]
	v_lshlrev_b32_e32 v20, 1, v18
	v_lshl_add_u64 v[14:15], v[14:15], 0, v[20:21]
	global_load_dwordx4 v[14:17], v[14:15], off offset:128
.LBB516_55:
	s_or_b64 exec, exec, s[2:3]
	s_branch .LBB516_58
.LBB516_56:
                                        ; implicit-def: $vgpr5
                                        ; implicit-def: $vgpr9
                                        ; implicit-def: $vgpr13
                                        ; implicit-def: $vgpr17
	s_cbranch_execz .LBB516_58
; %bb.57:
	s_waitcnt vmcnt(0)
	v_lshlrev_b32_e32 v2, 1, v18
	v_lshl_or_b32 v18, v35, 9, v2
	s_and_b32 s5, s5, 0xffff
	s_mov_b32 s7, 0x20000
	s_movk_i32 s6, 0x4000
	s_movk_i32 s0, 0x80
	buffer_load_dwordx4 v[2:5], v18, s[4:7], 0 offen
	buffer_load_dwordx4 v[6:9], v18, s[4:7], 0 offen offset:256
	buffer_load_dwordx4 v[10:13], v18, s[4:7], s0 offen
	buffer_load_dwordx4 v[14:17], v18, s[4:7], s0 offen offset:256
.LBB516_58:
	ds_read2st64_b64 v[22:25], v19 offset0:76 offset1:77
	ds_read2st64_b64 v[18:21], v19 offset0:78 offset1:79
	ds_read_b64 v[30:31], v26 offset:24576
	ds_read_b64 v[32:33], v27 offset:24576
	ds_read_b64 v[28:29], v28 offset:24576
	ds_read_b64 v[26:27], v36 offset:24576
	v_and_b32_e32 v36, 6, v0
	v_xor_b32_e32 v35, v35, v36
	v_lshlrev_b32_e32 v35, 2, v35
	v_and_b32_e32 v0, 1, v0
	v_xor_b32_e32 v38, 0x440, v35
	v_cmp_eq_u32_e32 vcc, 0, v0
	s_mov_b32 s0, 0x1000504
	s_mov_b32 s1, 0x3020706
	v_cndmask_b32_e32 v0, v38, v35, vcc
	v_lshl_or_b32 v0, v36, 10, v0
	s_waitcnt vmcnt(0)
	v_perm_b32 v35, v2, v6, s0
	v_perm_b32 v36, v10, v14, s0
	ds_write2st64_b32 v0, v35, v36 offset1:32
	v_xor_b32_e32 v35, 8, v0
	v_perm_b32 v2, v2, v6, s1
	v_perm_b32 v6, v10, v14, s1
	v_add_u32_e32 v10, 0x80, v35
	ds_write2st64_b32 v10, v2, v6 offset1:32
	v_xor_b32_e32 v2, 16, v0
	v_perm_b32 v6, v3, v7, s0
	v_perm_b32 v10, v11, v15, s0
	ds_write2st64_b32 v2, v6, v10 offset0:1 offset1:33
	v_xor_b32_e32 v2, 24, v0
	v_perm_b32 v3, v3, v7, s1
	v_perm_b32 v6, v11, v15, s1
	v_add_u32_e32 v2, 0x80, v2
	ds_write2st64_b32 v2, v3, v6 offset0:1 offset1:33
	v_xor_b32_e32 v2, 32, v0
	v_perm_b32 v3, v4, v8, s0
	v_perm_b32 v6, v12, v16, s0
	ds_write2st64_b32 v2, v3, v6 offset0:2 offset1:34
	v_xor_b32_e32 v2, 40, v0
	v_perm_b32 v3, v4, v8, s1
	v_perm_b32 v4, v12, v16, s1
	v_add_u32_e32 v2, 0x80, v2
	ds_write2st64_b32 v2, v3, v4 offset0:2 offset1:34
	v_xor_b32_e32 v2, 48, v0
	v_perm_b32 v3, v5, v9, s0
	v_perm_b32 v4, v13, v17, s0
	v_xor_b32_e32 v0, 56, v0
	v_and_or_b32 v6, v37, 12, v1
	ds_write2st64_b32 v2, v3, v4 offset0:3 offset1:35
	v_perm_b32 v2, v5, v9, s1
	v_perm_b32 v3, v13, v17, s1
	v_add_u32_e32 v0, 0x80, v0
	v_cmp_gt_i32_e32 vcc, s27, v6
	v_mov_b32_e32 v7, 0
	v_mov_b32_e32 v11, 0
	ds_write2st64_b32 v0, v2, v3 offset0:3 offset1:35
	s_and_saveexec_b64 s[0:1], vcc
	s_cbranch_execz .LBB516_60
; %bb.59:
	v_add_u32_e32 v0, s26, v6
	v_ashrrev_i32_e32 v1, 31, v0
	v_mul_lo_u32 v2, v1, s28
	v_mul_lo_u32 v3, v0, s29
	v_mad_u64_u32 v[0:1], s[2:3], v0, s28, 0
	v_add3_u32 v1, v1, v3, v2
	v_lshl_add_u64 v[0:1], v[0:1], 2, s[10:11]
	global_load_dword v0, v[0:1], off
	s_waitcnt vmcnt(0)
	v_sub_f32_e32 v0, s12, v0
	v_exp_f32_e32 v11, v0
.LBB516_60:
	s_or_b64 exec, exec, s[0:1]
	v_or_b32_e32 v9, 1, v6
	v_cmp_gt_i32_e64 s[0:1], s27, v9
	s_and_saveexec_b64 s[2:3], s[0:1]
	s_cbranch_execz .LBB516_62
; %bb.61:
	v_add_u32_e32 v0, s26, v9
	v_ashrrev_i32_e32 v1, 31, v0
	v_mul_lo_u32 v2, v1, s28
	v_mul_lo_u32 v3, v0, s29
	v_mad_u64_u32 v[0:1], s[4:5], v0, s28, 0
	v_add3_u32 v1, v1, v3, v2
	v_lshl_add_u64 v[0:1], v[0:1], 2, s[10:11]
	global_load_dword v0, v[0:1], off
	s_waitcnt vmcnt(0)
	v_sub_f32_e32 v0, s12, v0
	v_exp_f32_e32 v7, v0
.LBB516_62:
	s_or_b64 exec, exec, s[2:3]
	v_or_b32_e32 v10, 2, v6
	v_cmp_gt_i32_e64 s[2:3], s27, v10
	v_mov_b32_e32 v8, 0
	v_mov_b32_e32 v13, 0
	s_and_saveexec_b64 s[4:5], s[2:3]
	s_cbranch_execz .LBB516_64
; %bb.63:
	v_add_u32_e32 v0, s26, v10
	v_ashrrev_i32_e32 v1, 31, v0
	v_mul_lo_u32 v2, v1, s28
	v_mul_lo_u32 v3, v0, s29
	v_mad_u64_u32 v[0:1], s[6:7], v0, s28, 0
	v_add3_u32 v1, v1, v3, v2
	v_lshl_add_u64 v[0:1], v[0:1], 2, s[10:11]
	global_load_dword v0, v[0:1], off
	s_waitcnt vmcnt(0)
	v_sub_f32_e32 v0, s12, v0
	v_exp_f32_e32 v13, v0
.LBB516_64:
	s_or_b64 exec, exec, s[4:5]
	v_or_b32_e32 v12, 3, v6
	v_cmp_gt_i32_e64 s[4:5], s27, v12
	s_and_saveexec_b64 s[6:7], s[4:5]
	s_cbranch_execz .LBB516_66
; %bb.65:
	v_add_u32_e32 v0, s26, v12
	v_ashrrev_i32_e32 v1, 31, v0
	v_mul_lo_u32 v2, v1, s28
	v_mul_lo_u32 v3, v0, s29
	v_mad_u64_u32 v[0:1], s[14:15], v0, s28, 0
	v_add3_u32 v1, v1, v3, v2
	v_lshl_add_u64 v[0:1], v[0:1], 2, s[10:11]
	global_load_dword v0, v[0:1], off
	s_waitcnt vmcnt(0)
	v_sub_f32_e32 v0, s12, v0
	v_exp_f32_e32 v8, v0
.LBB516_66:
	s_or_b64 exec, exec, s[6:7]
	s_waitcnt lgkmcnt(11)
	v_mfma_f32_16x16x16_bf16 a[0:3], v[30:31], v[22:23], a[0:3]
	s_add_u32 s6, s8, s20
	v_ashrrev_i32_e32 v47, 31, v46
	s_addc_u32 s7, s9, s21
	s_waitcnt lgkmcnt(10)
	v_mfma_f32_16x16x16_bf16 a[0:3], v[32:33], v[24:25], a[0:3]
	v_mov_b32_e32 v14, 0
	v_lshl_add_u64 v[4:5], v[46:47], 1, s[6:7]
	v_mov_b32_e32 v15, 0
	s_waitcnt lgkmcnt(9)
	v_mfma_f32_16x16x16_bf16 a[0:3], v[28:29], v[18:19], a[0:3]
	s_waitcnt lgkmcnt(8)
	v_mfma_f32_16x16x16_bf16 a[0:3], v[26:27], v[20:21], a[0:3]
	s_nop 6
	v_accvgpr_read_b32 v0, a0
	v_accvgpr_read_b32 v1, a1
	;; [unrolled: 1-line block ×4, first 2 shown]
	s_and_saveexec_b64 s[6:7], vcc
	s_cbranch_execz .LBB516_68
; %bb.67:
	v_lshlrev_b32_e32 v16, 8, v6
	v_mov_b32_e32 v17, 0
	v_lshl_add_u64 v[16:17], v[4:5], 0, v[16:17]
	global_load_ushort v15, v[16:17], off
	s_waitcnt vmcnt(0)
	v_lshlrev_b32_e32 v15, 16, v15
	v_sub_f32_e32 v0, v15, v0
	v_mul_f32_e32 v0, v11, v0
	v_lshrrev_b32_e32 v15, 16, v0
.LBB516_68:
	s_or_b64 exec, exec, s[6:7]
	s_and_saveexec_b64 s[6:7], s[0:1]
	s_cbranch_execz .LBB516_70
; %bb.69:
	v_lshlrev_b32_e32 v16, 8, v9
	v_mov_b32_e32 v17, 0
	v_lshl_add_u64 v[16:17], v[4:5], 0, v[16:17]
	global_load_ushort v0, v[16:17], off
	s_waitcnt vmcnt(0)
	v_lshlrev_b32_e32 v0, 16, v0
	v_sub_f32_e32 v0, v0, v1
	v_mul_f32_e32 v0, v7, v0
	v_lshrrev_b32_e32 v14, 16, v0
.LBB516_70:
	s_or_b64 exec, exec, s[6:7]
	v_mov_b32_e32 v0, 0
	v_mov_b32_e32 v1, 0
	s_and_saveexec_b64 s[0:1], s[2:3]
	s_cbranch_execz .LBB516_72
; %bb.71:
	v_lshlrev_b32_e32 v10, 8, v10
	v_mov_b32_e32 v11, 0
	v_lshl_add_u64 v[10:11], v[4:5], 0, v[10:11]
	global_load_ushort v1, v[10:11], off
	s_waitcnt vmcnt(0)
	v_lshlrev_b32_e32 v1, 16, v1
	v_sub_f32_e32 v1, v1, v2
	v_mul_f32_e32 v1, v13, v1
	v_lshrrev_b32_e32 v1, 16, v1
.LBB516_72:
	s_or_b64 exec, exec, s[0:1]
	s_and_saveexec_b64 s[0:1], s[4:5]
	s_cbranch_execz .LBB516_74
; %bb.73:
	v_lshlrev_b32_e32 v10, 8, v12
	v_mov_b32_e32 v11, 0
	v_lshl_add_u64 v[4:5], v[4:5], 0, v[10:11]
	global_load_ushort v0, v[4:5], off
	s_waitcnt vmcnt(0)
	v_lshlrev_b32_e32 v0, 16, v0
	v_sub_f32_e32 v0, v0, v3
	v_mul_f32_e32 v0, v8, v0
	v_lshrrev_b32_e32 v0, 16, v0
.LBB516_74:
	s_or_b64 exec, exec, s[0:1]
	s_mov_b32 s0, 0x5040100
	v_lshlrev_b32_e32 v2, 1, v34
	v_perm_b32 v1, v0, v1, s0
	v_perm_b32 v0, v14, v15, s0
	v_lshl_or_b32 v2, v6, 5, v2
	ds_write_b64 v2, v[0:1] offset:38912
	s_waitcnt lgkmcnt(0)
	s_barrier
.LBB516_75:
	s_endpgm
	.section	.rodata,"a",@progbits
	.p2align	6, 0x0
	.amdhsa_kernel _ZN12_GLOBAL__N_139chunk_gated_delta_rule_fwd_h_hip_kernelILi16ELb1ELb0ELb0ELb1ELb1ELb1ELb1ELb1EEEvPK12hip_bfloat16S3_S3_PKfS5_PKvPS1_S8_PvPKiSB_iiiiilll
		.amdhsa_group_segment_fixed_size 40960
		.amdhsa_private_segment_fixed_size 0
		.amdhsa_kernarg_size 136
		.amdhsa_user_sgpr_count 2
		.amdhsa_user_sgpr_dispatch_ptr 0
		.amdhsa_user_sgpr_queue_ptr 0
		.amdhsa_user_sgpr_kernarg_segment_ptr 1
		.amdhsa_user_sgpr_dispatch_id 0
		.amdhsa_user_sgpr_kernarg_preload_length 0
		.amdhsa_user_sgpr_kernarg_preload_offset 0
		.amdhsa_user_sgpr_private_segment_size 0
		.amdhsa_uses_dynamic_stack 0
		.amdhsa_enable_private_segment 0
		.amdhsa_system_sgpr_workgroup_id_x 1
		.amdhsa_system_sgpr_workgroup_id_y 1
		.amdhsa_system_sgpr_workgroup_id_z 0
		.amdhsa_system_sgpr_workgroup_info 0
		.amdhsa_system_vgpr_workitem_id 0
		.amdhsa_next_free_vgpr 124
		.amdhsa_next_free_sgpr 61
		.amdhsa_accum_offset 112
		.amdhsa_reserve_vcc 1
		.amdhsa_float_round_mode_32 0
		.amdhsa_float_round_mode_16_64 0
		.amdhsa_float_denorm_mode_32 3
		.amdhsa_float_denorm_mode_16_64 3
		.amdhsa_dx10_clamp 1
		.amdhsa_ieee_mode 1
		.amdhsa_fp16_overflow 0
		.amdhsa_tg_split 0
		.amdhsa_exception_fp_ieee_invalid_op 0
		.amdhsa_exception_fp_denorm_src 0
		.amdhsa_exception_fp_ieee_div_zero 0
		.amdhsa_exception_fp_ieee_overflow 0
		.amdhsa_exception_fp_ieee_underflow 0
		.amdhsa_exception_fp_ieee_inexact 0
		.amdhsa_exception_int_div_zero 0
	.end_amdhsa_kernel
	.section	.text._ZN12_GLOBAL__N_139chunk_gated_delta_rule_fwd_h_hip_kernelILi16ELb1ELb0ELb0ELb1ELb1ELb1ELb1ELb1EEEvPK12hip_bfloat16S3_S3_PKfS5_PKvPS1_S8_PvPKiSB_iiiiilll,"axG",@progbits,_ZN12_GLOBAL__N_139chunk_gated_delta_rule_fwd_h_hip_kernelILi16ELb1ELb0ELb0ELb1ELb1ELb1ELb1ELb1EEEvPK12hip_bfloat16S3_S3_PKfS5_PKvPS1_S8_PvPKiSB_iiiiilll,comdat
.Lfunc_end516:
	.size	_ZN12_GLOBAL__N_139chunk_gated_delta_rule_fwd_h_hip_kernelILi16ELb1ELb0ELb0ELb1ELb1ELb1ELb1ELb1EEEvPK12hip_bfloat16S3_S3_PKfS5_PKvPS1_S8_PvPKiSB_iiiiilll, .Lfunc_end516-_ZN12_GLOBAL__N_139chunk_gated_delta_rule_fwd_h_hip_kernelILi16ELb1ELb0ELb0ELb1ELb1ELb1ELb1ELb1EEEvPK12hip_bfloat16S3_S3_PKfS5_PKvPS1_S8_PvPKiSB_iiiiilll
                                        ; -- End function
	.section	.AMDGPU.csdata,"",@progbits
; Kernel info:
; codeLenInByte = 7212
; NumSgprs: 67
; NumVgprs: 112
; NumAgprs: 12
; TotalNumVgprs: 124
; ScratchSize: 0
; MemoryBound: 0
; FloatMode: 240
; IeeeMode: 1
; LDSByteSize: 40960 bytes/workgroup (compile time only)
; SGPRBlocks: 8
; VGPRBlocks: 15
; NumSGPRsForWavesPerEU: 67
; NumVGPRsForWavesPerEU: 124
; AccumOffset: 112
; Occupancy: 1
; WaveLimiterHint : 1
; COMPUTE_PGM_RSRC2:SCRATCH_EN: 0
; COMPUTE_PGM_RSRC2:USER_SGPR: 2
; COMPUTE_PGM_RSRC2:TRAP_HANDLER: 0
; COMPUTE_PGM_RSRC2:TGID_X_EN: 1
; COMPUTE_PGM_RSRC2:TGID_Y_EN: 1
; COMPUTE_PGM_RSRC2:TGID_Z_EN: 0
; COMPUTE_PGM_RSRC2:TIDIG_COMP_CNT: 0
; COMPUTE_PGM_RSRC3_GFX90A:ACCUM_OFFSET: 27
; COMPUTE_PGM_RSRC3_GFX90A:TG_SPLIT: 0
	.section	.text._ZN12_GLOBAL__N_139chunk_gated_delta_rule_fwd_h_hip_kernelILi16ELb0ELb1ELb1ELb1ELb1ELb1ELb1ELb1EEEvPK12hip_bfloat16S3_S3_PKfS5_PKvPS1_S8_PvPKiSB_iiiiilll,"axG",@progbits,_ZN12_GLOBAL__N_139chunk_gated_delta_rule_fwd_h_hip_kernelILi16ELb0ELb1ELb1ELb1ELb1ELb1ELb1ELb1EEEvPK12hip_bfloat16S3_S3_PKfS5_PKvPS1_S8_PvPKiSB_iiiiilll,comdat
	.globl	_ZN12_GLOBAL__N_139chunk_gated_delta_rule_fwd_h_hip_kernelILi16ELb0ELb1ELb1ELb1ELb1ELb1ELb1ELb1EEEvPK12hip_bfloat16S3_S3_PKfS5_PKvPS1_S8_PvPKiSB_iiiiilll ; -- Begin function _ZN12_GLOBAL__N_139chunk_gated_delta_rule_fwd_h_hip_kernelILi16ELb0ELb1ELb1ELb1ELb1ELb1ELb1ELb1EEEvPK12hip_bfloat16S3_S3_PKfS5_PKvPS1_S8_PvPKiSB_iiiiilll
	.p2align	8
	.type	_ZN12_GLOBAL__N_139chunk_gated_delta_rule_fwd_h_hip_kernelILi16ELb0ELb1ELb1ELb1ELb1ELb1ELb1ELb1EEEvPK12hip_bfloat16S3_S3_PKfS5_PKvPS1_S8_PvPKiSB_iiiiilll,@function
_ZN12_GLOBAL__N_139chunk_gated_delta_rule_fwd_h_hip_kernelILi16ELb0ELb1ELb1ELb1ELb1ELb1ELb1ELb1EEEvPK12hip_bfloat16S3_S3_PKfS5_PKvPS1_S8_PvPKiSB_iiiiilll: ; @_ZN12_GLOBAL__N_139chunk_gated_delta_rule_fwd_h_hip_kernelILi16ELb0ELb1ELb1ELb1ELb1ELb1ELb1ELb1EEEvPK12hip_bfloat16S3_S3_PKfS5_PKvPS1_S8_PvPKiSB_iiiiilll
; %bb.0:
	s_load_dwordx4 s[20:23], s[0:1], 0x5c
	s_load_dwordx2 s[40:41], s[0:1], 0x20
	s_abs_i32 s27, s3
	s_ashr_i32 s26, s3, 31
	s_load_dwordx2 s[24:25], s[0:1], 0x50
	s_load_dwordx8 s[4:11], s[0:1], 0x30
	s_load_dwordx8 s[12:19], s[0:1], 0x0
	s_waitcnt lgkmcnt(0)
	s_abs_i32 s30, s21
	v_cvt_f32_u32_e32 v1, s30
	s_sub_i32 s28, 0, s30
	s_ashr_i32 s33, s21, 31
	s_xor_b32 s26, s26, s33
	v_rcp_iflag_f32_e32 v1, v1
	v_lshrrev_b32_e32 v45, 6, v0
	v_bfe_u32 v62, v0, 4, 2
	v_lshlrev_b32_e32 v60, 4, v45
	v_mul_f32_e32 v1, 0x4f7ffffe, v1
	v_cvt_u32_f32_e32 v1, v1
	v_lshlrev_b32_e32 v2, 2, v62
	v_and_b32_e32 v61, 63, v0
	v_mov_b32_e32 v49, 0
	v_readfirstlane_b32 s29, v1
	s_mul_i32 s28, s28, s29
	s_mul_hi_u32 s28, s29, s28
	s_add_i32 s29, s29, s28
	s_mul_hi_u32 s28, s27, s29
	s_mul_i32 s29, s28, s30
	s_sub_i32 s27, s27, s29
	s_add_i32 s31, s28, 1
	s_sub_i32 s29, s27, s30
	s_cmp_ge_u32 s27, s30
	s_cselect_b32 s28, s31, s28
	s_cselect_b32 s27, s29, s27
	s_add_i32 s29, s28, 1
	s_cmp_ge_u32 s27, s30
	s_cselect_b32 s27, s29, s28
	s_xor_b32 s27, s27, s26
	s_sub_i32 s34, s27, s26
	s_mul_i32 s26, s34, s21
	s_ashr_i32 s35, s34, 31
	s_sub_i32 s48, s3, s26
	s_lshl_b64 s[26:27], s[34:35], 2
	s_add_u32 s10, s10, s26
	s_addc_u32 s11, s11, s27
	s_add_u32 s28, s24, s26
	s_addc_u32 s29, s25, s27
	s_abs_i32 s3, s22
	v_cvt_f32_u32_e32 v1, s3
	s_load_dwordx2 s[42:43], s[10:11], 0x0
	s_sub_i32 s11, 0, s3
	s_mov_b32 s49, s21
	v_rcp_iflag_f32_e32 v1, v1
	v_and_b32_e32 v63, 15, v0
	s_waitcnt lgkmcnt(0)
	s_sub_i32 s53, s43, s42
	s_ashr_i32 s10, s53, 31
	v_mul_f32_e32 v1, 0x4f7ffffe, v1
	v_cvt_u32_f32_e32 v1, v1
	s_lshr_b32 s10, s10, 26
	s_add_i32 s10, s53, s10
	s_ashr_i32 s54, s10, 6
	v_readfirstlane_b32 s24, v1
	s_mul_i32 s11, s11, s24
	s_mul_hi_u32 s11, s24, s11
	s_add_i32 s24, s24, s11
	s_mul_hi_u32 s11, s30, s24
	s_mul_i32 s24, s11, s3
	s_ashr_i32 s10, s22, 31
	s_sub_i32 s24, s30, s24
	s_xor_b32 s10, s33, s10
	s_add_i32 s25, s11, 1
	s_sub_i32 s26, s24, s3
	s_cmp_ge_u32 s24, s3
	s_cselect_b32 s11, s25, s11
	s_cselect_b32 s24, s26, s24
	s_add_i32 s25, s11, 1
	s_cmp_ge_u32 s24, s3
	s_cselect_b32 s3, s25, s11
	s_xor_b32 s3, s3, s10
	s_sub_i32 s3, s3, s10
	s_abs_i32 s30, s3
	v_cvt_f32_u32_e32 v1, s30
	s_load_dwordx2 s[10:11], s[0:1], 0x80
	s_load_dwordx4 s[24:27], s[0:1], 0x70
	s_load_dword s55, s[28:29], 0x0
	s_xor_b32 s0, s48, s3
	v_rcp_iflag_f32_e32 v1, v1
	s_sub_i32 s3, 0, s30
	s_abs_i32 s1, s48
	s_ashr_i32 s0, s0, 31
	v_mul_f32_e32 v1, 0x4f7ffffe, v1
	v_cvt_u32_f32_e32 v1, v1
	s_mul_hi_i32 s56, s48, s20
	s_mul_i32 s57, s48, s20
	v_lshrrev_b32_e32 v65, 3, v61
	v_readfirstlane_b32 s28, v1
	s_mul_i32 s3, s3, s28
	s_mul_hi_u32 s3, s28, s3
	s_add_i32 s28, s28, s3
	s_mul_hi_u32 s3, s1, s28
	s_mul_i32 s28, s3, s30
	s_sub_i32 s1, s1, s28
	s_add_i32 s28, s3, 1
	s_sub_i32 s29, s1, s30
	s_cmp_ge_u32 s1, s30
	s_cselect_b32 s3, s28, s3
	s_cselect_b32 s1, s29, s1
	s_add_i32 s28, s3, 1
	s_cmp_ge_u32 s1, s30
	s_cselect_b32 s1, s28, s3
	s_xor_b32 s1, s1, s0
	s_sub_i32 s58, s1, s0
	v_or_b32_e32 v1, v2, v60
	s_lshl_b32 s2, s2, 4
	v_or_b32_e32 v66, 64, v1
	s_cmp_lt_i32 s53, 64
	v_lshlrev_b32_e32 v64, 3, v0
	s_waitcnt lgkmcnt(0)
	s_mul_i32 s50, s34, s25
	s_mul_hi_u32 s51, s34, s24
	s_mul_i32 s52, s35, s24
	s_mul_i32 s44, s34, s24
	v_mov_b32_e32 v48, v49
	v_mov_b32_e32 v51, v49
	;; [unrolled: 1-line block ×7, first 2 shown]
	s_cbranch_scc1 .LBB517_18
; %bb.1:
	s_ashr_i32 s60, s48, 31
	s_ashr_i32 s1, s42, 31
	s_add_u32 s0, s57, s42
	s_addc_u32 s1, s56, s1
	s_lshl_b64 s[0:1], s[0:1], 8
	v_and_b32_e32 v68, 56, v64
	s_add_u32 s28, s14, s0
	v_lshl_or_b32 v67, v45, 3, v65
	v_lshlrev_b32_e32 v3, 1, v68
	s_addc_u32 s0, s15, s1
	v_lshl_or_b32 v69, v67, 8, v3
	s_and_b32 s29, s0, 0xffff
	s_mov_b32 s31, 0x20000
	s_movk_i32 s30, 0x4000
	s_movk_i32 s0, 0x80
	v_or_b32_e32 v70, 0x2000, v69
	buffer_load_dwordx4 v[4:7], v69, s[28:31], 0 offen
	buffer_load_dwordx4 v[8:11], v69, s[28:31], s0 offen
	;; [unrolled: 1-line block ×4, first 2 shown]
	v_lshlrev_b32_e32 v20, 3, v67
	v_and_or_b32 v22, v0, 7, v20
	v_and_b32_e32 v20, 0x78, v20
	v_lshlrev_b32_e32 v22, 4, v22
	v_xor_b32_e32 v71, v22, v20
	v_mul_lo_u32 v21, v67, s23
	v_or_b32_e32 v72, 0x1000, v71
	s_cmpk_eq_i32 s23, 0x80
	s_mov_b32 s59, s42
	v_xor_b32_e32 v20, 8, v71
	v_xor_b32_e32 v22, 8, v72
	s_cselect_b64 s[0:1], -1, 0
	s_cmpk_lg_i32 s23, 0x80
	s_waitcnt vmcnt(3)
	ds_write_b64 v71, v[4:5] offset:16384
	ds_write_b64 v20, v[6:7] offset:16384
	s_waitcnt vmcnt(2)
	ds_write_b64 v71, v[8:9] offset:24576
	ds_write_b64 v20, v[10:11] offset:24576
	;; [unrolled: 3-line block ×4, first 2 shown]
	v_lshl_add_u32 v4, v21, 1, v68
	s_cbranch_scc0 .LBB517_3
; %bb.2:
	v_lshlrev_b32_e32 v6, 1, v4
	v_add_lshl_u32 v5, v4, s23, 1
	s_lshl_b32 s30, s23, 7
	v_lshl_or_b32 v3, v67, 9, v3
	s_cbranch_execz .LBB517_4
	s_branch .LBB517_5
.LBB517_3:
                                        ; implicit-def: $vgpr5
                                        ; implicit-def: $vgpr6
                                        ; implicit-def: $sgpr30
	v_lshl_or_b32 v3, v67, 9, v3
.LBB517_4:
	v_or_b32_e32 v5, 0x100, v3
	s_movk_i32 s30, 0x4000
	v_mov_b32_e32 v6, v3
.LBB517_5:
	s_mul_i32 s24, s42, s22
	s_ashr_i32 s61, s58, 31
	s_mul_hi_i32 s3, s42, s22
	s_add_u32 s24, s24, s58
	s_addc_u32 s25, s3, s61
	s_lshl_b64 s[24:25], s[24:25], 8
	s_add_u32 s28, s12, s24
	s_addc_u32 s3, s13, s25
	s_and_b32 s29, s3, 0xffff
	s_movk_i32 s62, 0x80
	buffer_load_dwordx4 v[8:11], v6, s[28:31], 0 offen
	buffer_load_dwordx4 v[12:15], v6, s[28:31], s62 offen
	;; [unrolled: 1-line block ×4, first 2 shown]
	v_and_b32_e32 v5, 6, v0
	v_lshlrev_b32_e32 v7, 2, v63
	v_lshlrev_b32_e32 v24, 3, v63
	v_xor_b32_e32 v26, v67, v5
	v_and_b32_e32 v6, 1, v0
	v_lshl_or_b32 v24, v1, 5, v24
	v_xor_b32_e32 v27, v1, v7
	v_lshlrev_b32_e32 v26, 2, v26
	s_mul_i32 s3, s48, s27
	s_mul_hi_u32 s25, s48, s26
	v_or_b32_e32 v73, 0x9000, v24
	v_or_b32_e32 v74, 0x9800, v24
	v_lshlrev_b32_e32 v24, 1, v27
	v_xor_b32_e32 v27, 0x440, v26
	v_cmp_eq_u32_e32 vcc, 0, v6
	s_add_i32 s29, s51, s50
	s_mul_i32 s28, s60, s26
	v_cndmask_b32_e32 v6, v27, v26, vcc
	s_add_i32 s3, s25, s3
	s_add_i32 s45, s29, s52
	s_mov_b32 s63, 0x1000504
	v_lshlrev_b32_e32 v25, 8, v63
	s_mov_b32 s30, 0x8000
	v_xor_b32_e32 v7, v66, v7
	v_lshl_or_b32 v5, v5, 10, v6
	s_add_i32 s25, s3, s28
	s_lshl_b64 s[28:29], s[44:45], 2
	s_mov_b32 s64, 0x3020706
	s_mul_i32 s24, s48, s26
	v_lshlrev_b32_e32 v7, 1, v7
	v_or3_b32 v75, v24, v25, s30
	v_xor_b32_e32 v6, 8, v5
	v_xor_b32_e32 v24, 24, v5
	;; [unrolled: 1-line block ×4, first 2 shown]
	s_add_u32 s3, s18, s28
	v_or3_b32 v76, v7, v25, s30
	v_xor_b32_e32 v7, 16, v5
	v_xor_b32_e32 v25, 32, v5
	;; [unrolled: 1-line block ×3, first 2 shown]
	v_add_u32_e32 v6, 0x80, v6
	v_add_u32_e32 v24, 0x80, v24
	;; [unrolled: 1-line block ×4, first 2 shown]
	s_addc_u32 s28, s19, s29
	s_lshl_b64 s[24:25], s[24:25], 2
	s_add_u32 s24, s3, s24
	s_movk_i32 s3, 0xf8
	s_addc_u32 s25, s28, s25
	s_lshl_b32 s38, s23, 7
	v_mov_b32_e32 v47, 0
	s_mov_b32 s65, 0
	v_add_u32_e32 v87, v60, v2
	v_mov_b32_e32 v52, v47
	v_mov_b32_e32 v53, v47
	;; [unrolled: 1-line block ×6, first 2 shown]
	s_waitcnt vmcnt(1)
	v_perm_b32 v29, v8, v16, s63
	s_waitcnt vmcnt(0)
	v_perm_b32 v30, v12, v20, s63
	v_perm_b32 v8, v8, v16, s64
	v_perm_b32 v12, v12, v20, s64
	v_perm_b32 v16, v9, v17, s63
	v_perm_b32 v20, v13, v21, s63
	v_perm_b32 v9, v9, v17, s64
	v_perm_b32 v13, v13, v21, s64
	v_perm_b32 v17, v10, v18, s63
	v_perm_b32 v21, v14, v22, s63
	v_perm_b32 v10, v10, v18, s64
	v_perm_b32 v14, v14, v22, s64
	v_perm_b32 v18, v11, v19, s63
	v_perm_b32 v22, v15, v23, s63
	v_perm_b32 v11, v11, v19, s64
	v_perm_b32 v15, v15, v23, s64
	ds_write2st64_b32 v5, v29, v30 offset1:32
	ds_write2st64_b32 v6, v8, v12 offset1:32
	ds_write2st64_b32 v7, v16, v20 offset0:1 offset1:33
	ds_write2st64_b32 v24, v9, v13 offset0:1 offset1:33
	;; [unrolled: 1-line block ×6, first 2 shown]
	v_or_b32_e32 v5, v60, v63
	v_lshlrev_b32_e32 v5, 3, v5
	v_lshrrev_b32_e32 v7, 5, v61
	v_and_or_b32 v7, v5, s3, v7
	v_lshlrev_b32_e32 v7, 4, v7
	v_lshrrev_b32_e32 v6, 2, v61
	v_lshlrev_b32_e32 v11, 11, v45
	v_and_b32_e32 v5, 0x78, v5
	v_or_b32_e32 v12, 32, v7
	v_and_b32_e32 v10, 12, v6
	v_and_b32_e32 v6, 0x1000, v11
	v_lshrrev_b32_e32 v9, 1, v61
	v_xor_b32_e32 v12, v12, v5
	v_and_b32_e32 v9, 8, v9
	v_or_b32_e32 v12, v12, v6
	v_xor_b32_e32 v8, v7, v5
	v_xor_b32_e32 v79, v12, v9
	v_or_b32_e32 v12, 64, v7
	v_or_b32_e32 v7, 0x60, v7
	v_xor_b32_e32 v12, v12, v5
	v_xor_b32_e32 v5, v7, v5
	v_or_b32_e32 v5, v5, v6
	v_or_b32_e32 v12, v12, v6
	v_xor_b32_e32 v81, v5, v9
	s_ashr_i32 s3, s2, 31
	v_lshlrev_b32_e32 v5, 1, v63
	v_xor_b32_e32 v80, v12, v9
	v_lshlrev_b32_e32 v12, 1, v4
	v_add_lshl_u32 v13, v4, s23, 1
	v_lshrrev_b32_e32 v4, 4, v0
	s_lshl_b64 s[28:29], s[2:3], 8
	v_or_b32_e32 v15, 1, v5
	s_add_u32 s28, s4, s28
	v_xor_b32_e32 v5, v4, v5
	v_xor_b32_e32 v15, v15, v4
	s_addc_u32 s29, s5, s29
	v_lshlrev_b32_e32 v5, 3, v5
	v_lshlrev_b32_e32 v46, 8, v4
	;; [unrolled: 1-line block ×3, first 2 shown]
	v_lshrrev_b32_e32 v19, 1, v0
	v_or3_b32 v83, v5, v46, s30
	v_or3_b32 v84, v4, v46, s30
	v_lshl_add_u64 v[4:5], s[28:29], 0, v[46:47]
	v_lshlrev_b32_e32 v46, 4, v63
	s_movk_i32 s3, 0xff
	v_lshlrev_b32_e32 v18, 3, v45
	v_and_b32_e32 v19, 24, v19
	v_lshl_add_u64 v[54:55], v[4:5], 0, v[46:47]
	v_and_b32_e32 v5, 8, v0
	v_cmp_lt_u32_e32 vcc, s3, v0
	v_xor_b32_e32 v20, v18, v19
	v_or_b32_e32 v21, 0x440, v20
	v_cndmask_b32_e64 v17, 0, 1, vcc
	v_cmp_eq_u32_e32 vcc, 0, v5
	v_or_b32_e32 v23, 64, v19
	v_xor_b32_e32 v23, v18, v23
	v_cndmask_b32_e32 v5, v21, v20, vcc
	v_or_b32_e32 v21, 32, v19
	v_or_b32_e32 v19, 0x60, v19
	v_xor_b32_e32 v21, v18, v21
	v_xor_b32_e32 v18, v18, v19
	v_or_b32_e32 v22, 0x440, v21
	v_xor_b32_e32 v24, 0x440, v23
	v_xor_b32_e32 v19, 0x440, v18
	v_or_b32_e32 v8, v8, v6
	v_or_b32_e32 v6, s2, v63
	v_and_b32_e32 v4, 7, v0
	v_cndmask_b32_e32 v21, v22, v21, vcc
	v_cndmask_b32_e32 v23, v24, v23, vcc
	;; [unrolled: 1-line block ×3, first 2 shown]
	v_xor_b32_e32 v77, v8, v9
	v_and_b32_e32 v8, 0x78, v64
	v_ashrrev_i32_e32 v7, 31, v6
	v_lshlrev_b32_e32 v15, 3, v4
	v_or_b32_e32 v5, v5, v11
	v_or_b32_e32 v21, v21, v11
	;; [unrolled: 1-line block ×4, first 2 shown]
	v_lshl_or_b32 v8, v62, 7, v8
	v_lshlrev_b64 v[6:7], 1, v[6:7]
	v_lshlrev_b32_e32 v17, 13, v17
	v_xor_b32_e32 v5, v5, v15
	v_xor_b32_e32 v21, v21, v15
	;; [unrolled: 1-line block ×4, first 2 shown]
	v_or_b32_e32 v78, 0x9000, v8
	v_or_b32_e32 v82, 0x9800, v8
	v_lshl_add_u64 v[8:9], s[16:17], 0, v[6:7]
	v_lshl_add_u64 v[6:7], s[6:7], 0, v[6:7]
	v_or_b32_e32 v14, 0x100, v3
	v_lshlrev_b32_e32 v16, 7, v4
	v_or_b32_e32 v4, v10, v60
	v_add_u32_e32 v20, v17, v5
	v_add_u32_e32 v22, v17, v21
	;; [unrolled: 1-line block ×4, first 2 shown]
	v_or3_b32 v10, v60, v10, 64
	v_add_u32_e32 v5, 0x2000, v5
	v_add_u32_e32 v17, 0x2000, v21
	;; [unrolled: 1-line block ×4, first 2 shown]
	v_lshlrev_b32_e32 v46, 8, v1
	v_cndmask_b32_e64 v85, v12, v3, s[0:1]
	v_cndmask_b32_e64 v86, v13, v14, s[0:1]
	v_lshl_add_u64 v[56:57], v[8:9], 0, v[46:47]
	v_lshl_add_u64 v[58:59], v[6:7], 0, v[46:47]
	s_mov_b32 s3, 0x7060302
	s_movk_i32 s30, 0x4000
	v_lshlrev_b32_e32 v88, 2, v4
	v_add_u32_e32 v89, v20, v16
	v_add_u32_e32 v90, v22, v16
	;; [unrolled: 1-line block ×4, first 2 shown]
	v_lshlrev_b32_e32 v93, 2, v10
	v_add_u32_e32 v94, v5, v16
	v_add_u32_e32 v95, v17, v16
	;; [unrolled: 1-line block ×4, first 2 shown]
	v_mov_b32_e32 v46, v47
	s_waitcnt lgkmcnt(0)
	s_barrier
.LBB517_6:                              ; =>This Inner Loop Header: Depth=1
	s_add_i32 s45, s65, 1
	s_cmp_lt_i32 s45, s54
	s_mov_b64 s[36:37], 0
	s_cselect_b64 s[46:47], -1, 0
	s_cmp_ge_i32 s45, s54
	s_mov_b64 s[28:29], 0
	s_cbranch_scc1 .LBB517_8
; %bb.7:                                ;   in Loop: Header=BB517_6 Depth=1
	s_add_i32 s0, s59, 64
	s_ashr_i32 s1, s0, 31
	s_add_u32 s0, s57, s0
	s_addc_u32 s1, s56, s1
	s_lshl_b64 s[0:1], s[0:1], 8
	s_add_u32 s28, s14, s0
	s_addc_u32 s29, s15, s1
.LBB517_8:                              ;   in Loop: Header=BB517_6 Depth=1
	v_cndmask_b32_e64 v2, 0, 1, s[46:47]
	v_cmp_ne_u32_e64 s[0:1], 1, v2
	s_andn2_b64 vcc, exec, s[46:47]
	s_cbranch_vccnz .LBB517_10
; %bb.9:                                ;   in Loop: Header=BB517_6 Depth=1
	s_add_i32 s36, s59, 64
	s_mul_hi_i32 s37, s36, s22
	s_mul_i32 s36, s36, s22
	s_add_u32 s36, s36, s58
	s_addc_u32 s37, s37, s61
	s_lshl_b64 s[36:37], s[36:37], 8
	s_add_u32 s36, s12, s36
	s_addc_u32 s37, s13, s37
.LBB517_10:                             ;   in Loop: Header=BB517_6 Depth=1
	v_perm_b32 v3, v53, v52, s3
	v_perm_b32 v2, v47, v46, s3
	;; [unrolled: 1-line block ×4, first 2 shown]
	ds_write_b64 v73, v[2:3]
	ds_write_b64 v74, v[4:5]
	;; [unrolled: 1-line block ×4, first 2 shown]
	s_waitcnt lgkmcnt(0)
	s_barrier
	ds_read_b64 v[10:11], v77 offset:16384
	ds_read_b64 v[12:13], v79 offset:16384
	ds_read2st64_b64 v[2:5], v78 offset1:1
	s_waitcnt lgkmcnt(0)
	v_mfma_f32_16x16x16_bf16 a[0:3], v[10:11], v[2:3], 0
	ds_read2st64_b64 v[6:9], v78 offset0:2 offset1:3
	ds_read_b64 v[14:15], v80 offset:16384
	ds_read_b64 v[2:3], v81 offset:16384
	s_add_i32 s66, s59, 63
	v_mfma_f32_16x16x16_bf16 a[0:3], v[12:13], v[4:5], a[0:3]
	s_ashr_i32 s39, s66, 31
	s_mul_i32 s46, s66, s11
	s_mul_hi_u32 s47, s66, s10
	s_waitcnt lgkmcnt(1)
	v_mfma_f32_16x16x16_bf16 a[0:3], v[14:15], v[6:7], a[0:3]
	s_add_i32 s46, s47, s46
	s_mul_i32 s39, s39, s10
	s_add_i32 s47, s46, s39
	s_mul_i32 s46, s66, s10
	s_waitcnt lgkmcnt(0)
	v_mfma_f32_16x16x16_bf16 a[0:3], v[2:3], v[8:9], a[0:3]
	s_lshl_b64 s[46:47], s[46:47], 2
	s_add_u32 s46, s24, s46
	s_addc_u32 s47, s25, s47
	s_and_b64 vcc, exec, s[0:1]
	v_mov_b32_e32 v100, 0
	v_mov_b32_e32 v99, 0
	v_mov_b32_e32 v98, 0
	v_mov_b32_e32 v2, 0
	v_mov_b32_e32 v3, 0
	v_mov_b32_e32 v4, 0
	v_mov_b32_e32 v5, 0
	v_mov_b32_e32 v6, 0
	v_mov_b32_e32 v7, 0
	v_mov_b32_e32 v8, 0
	v_mov_b32_e32 v9, 0
	v_mov_b32_e32 v10, 0
	v_mov_b32_e32 v11, 0
	v_mov_b32_e32 v12, 0
	v_mov_b32_e32 v13, 0
	v_mov_b32_e32 v14, 0
	v_mov_b32_e32 v15, 0
	v_mov_b32_e32 v16, 0
	v_mov_b32_e32 v17, 0
	s_cbranch_vccnz .LBB517_12
; %bb.11:                               ;   in Loop: Header=BB517_6 Depth=1
	s_and_b32 s29, s29, 0xffff
	buffer_load_dwordx4 v[14:17], v69, s[28:31], 0 offen
	buffer_load_dwordx4 v[10:13], v69, s[28:31], s62 offen
	;; [unrolled: 1-line block ×4, first 2 shown]
	v_mov_b32_e32 v99, v71
	v_mov_b32_e32 v98, v72
.LBB517_12:                             ;   in Loop: Header=BB517_6 Depth=1
	v_add_u32_e32 v22, s59, v87
	v_ashrrev_i32_e32 v18, 31, v22
	v_mul_lo_u32 v20, v18, s10
	v_mul_lo_u32 v21, v22, s11
	v_mad_u64_u32 v[18:19], s[28:29], v22, s10, 0
	v_add3_u32 v19, v19, v21, v20
	v_lshl_add_u64 v[18:19], v[18:19], 2, s[24:25]
	global_load_dword v36, v[18:19], off
	v_add_u32_e32 v18, 1, v22
	v_ashrrev_i32_e32 v19, 31, v18
	v_mul_lo_u32 v20, v19, s10
	v_mul_lo_u32 v21, v18, s11
	v_mad_u64_u32 v[18:19], s[28:29], v18, s10, 0
	v_add3_u32 v19, v19, v21, v20
	v_add_u32_e32 v20, 2, v22
	v_ashrrev_i32_e32 v21, 31, v20
	v_mul_lo_u32 v23, v21, s10
	v_mul_lo_u32 v24, v20, s11
	v_mad_u64_u32 v[20:21], s[28:29], v20, s10, 0
	v_add_u32_e32 v22, 3, v22
	v_add3_u32 v21, v21, v24, v23
	v_ashrrev_i32_e32 v23, 31, v22
	v_mul_lo_u32 v26, v23, s10
	v_mul_lo_u32 v27, v22, s11
	v_mad_u64_u32 v[22:23], s[28:29], v22, s10, 0
	s_ashr_i32 s29, s59, 31
	s_add_u32 s28, s57, s59
	s_addc_u32 s29, s56, s29
	s_lshl_b64 s[68:69], s[28:29], 8
	v_lshl_add_u64 v[18:19], v[18:19], 2, s[24:25]
	v_lshl_add_u64 v[24:25], v[56:57], 0, s[68:69]
	v_add3_u32 v23, v23, v27, v26
	v_lshl_add_u64 v[20:21], v[20:21], 2, s[24:25]
	global_load_ushort v37, v[24:25], off
	global_load_ushort v38, v[24:25], off offset:256
	global_load_ushort v39, v[24:25], off offset:512
	;; [unrolled: 1-line block ×3, first 2 shown]
	v_lshl_add_u64 v[22:23], v[22:23], 2, s[24:25]
	global_load_dword v41, v[18:19], off
	global_load_dword v42, v[20:21], off
	global_load_dword v43, v[22:23], off
	s_load_dword s28, s[46:47], 0x0
	ds_read_b64 v[20:21], v77 offset:24576
	ds_read2st64_b64 v[22:25], v82 offset1:1
	ds_read2st64_b64 v[26:29], v82 offset0:2 offset1:3
	ds_read_b64 v[30:31], v79 offset:24576
	ds_read_b64 v[32:33], v80 offset:24576
	;; [unrolled: 1-line block ×3, first 2 shown]
	s_waitcnt lgkmcnt(0)
	v_mfma_f32_16x16x16_bf16 a[0:3], v[20:21], v[22:23], a[0:3]
	v_mov_b32_e32 v101, 0
	v_mov_b32_e32 v18, 0
	;; [unrolled: 1-line block ×3, first 2 shown]
	v_mfma_f32_16x16x16_bf16 a[0:3], v[30:31], v[24:25], a[0:3]
	v_lshl_add_u64 v[30:31], v[58:59], 0, s[68:69]
	v_mov_b32_e32 v20, 0
	v_mov_b32_e32 v21, 0
	v_mfma_f32_16x16x16_bf16 a[0:3], v[32:33], v[26:27], a[0:3]
	v_mov_b32_e32 v22, 0
	v_mov_b32_e32 v23, 0
	;; [unrolled: 1-line block ×3, first 2 shown]
	v_mfma_f32_16x16x16_bf16 a[0:3], v[34:35], v[28:29], a[0:3]
	v_mov_b32_e32 v25, 0
	v_mov_b32_e32 v26, 0
	s_and_b64 vcc, exec, s[0:1]
	s_waitcnt vmcnt(7)
	v_sub_f32_e32 v27, s28, v36
	s_nop 1
	v_accvgpr_read_b32 v33, a1
	v_accvgpr_read_b32 v32, a0
	v_accvgpr_read_b32 v29, a3
	v_accvgpr_read_b32 v28, a2
	s_waitcnt vmcnt(6)
	v_lshlrev_b32_e32 v34, 16, v37
	s_waitcnt vmcnt(5)
	v_lshlrev_b32_e32 v35, 16, v38
	v_exp_f32_e32 v38, v27
	s_waitcnt vmcnt(3)
	v_lshlrev_b32_e32 v37, 16, v40
	s_waitcnt vmcnt(2)
	v_sub_f32_e32 v27, s28, v41
	s_waitcnt vmcnt(1)
	v_sub_f32_e32 v40, s28, v42
	;; [unrolled: 2-line block ×3, first 2 shown]
	v_lshlrev_b32_e32 v36, 16, v39
	v_pk_add_f32 v[32:33], v[34:35], v[32:33] neg_lo:[0,1] neg_hi:[0,1]
	v_exp_f32_e32 v39, v27
	v_exp_f32_e32 v34, v40
	;; [unrolled: 1-line block ×3, first 2 shown]
	v_pk_add_f32 v[28:29], v[36:37], v[28:29] neg_lo:[0,1] neg_hi:[0,1]
	global_store_short_d16_hi v[30:31], v32, off
	global_store_short_d16_hi v[30:31], v33, off offset:256
	global_store_short_d16_hi v[30:31], v28, off offset:512
	;; [unrolled: 1-line block ×3, first 2 shown]
	v_pk_mul_f32 v[30:31], v[38:39], v[32:33]
	v_pk_mul_f32 v[28:29], v[34:35], v[28:29]
	v_perm_b32 v30, v31, v30, s3
	v_perm_b32 v31, v29, v28, s3
	ds_write_b64 v74, v[30:31]
	v_mov_b32_e32 v27, 0
	v_mov_b32_e32 v28, 0
	;; [unrolled: 1-line block ×7, first 2 shown]
	s_cbranch_vccnz .LBB517_14
; %bb.13:                               ;   in Loop: Header=BB517_6 Depth=1
	s_and_b32 s37, s37, 0xffff
	s_mov_b32 s39, s31
	buffer_load_dwordx4 v[30:33], v85, s[36:39], 0 offen
	buffer_load_dwordx4 v[22:25], v85, s[36:39], s62 offen
	;; [unrolled: 1-line block ×4, first 2 shown]
	v_mov_b32_e32 v100, v68
	v_mov_b32_e32 v101, v67
.LBB517_14:                             ;   in Loop: Header=BB517_6 Depth=1
	s_waitcnt lgkmcnt(0)
	s_barrier
	ds_read_b64 v[34:35], v89
	ds_read_b64 v[40:41], v90
	ds_read2st64_b64 v[36:39], v82 offset1:1
	ds_read2st64_b64 v[102:105], v82 offset0:2 offset1:3
	ds_read_b64 v[42:43], v91
	ds_read_b64 v[110:111], v92
	s_add_i32 s29, s55, s65
	s_mul_hi_i32 s37, s29, s49
	s_mul_i32 s29, s29, s49
	s_waitcnt lgkmcnt(3)
	v_mfma_f32_16x16x16_bf16 a[0:3], v[34:35], v[36:37], 0
	ds_read_b64 v[34:35], v94
	s_add_u32 s36, s29, s48
	s_addc_u32 s37, s37, s60
	v_mfma_f32_16x16x16_bf16 a[0:3], v[40:41], v[38:39], a[0:3]
	ds_read_b64 v[40:41], v95
	s_lshl_b64 s[36:37], s[36:37], 15
	s_mul_i32 s39, s66, s49
	s_mul_hi_i32 s29, s66, s49
	s_add_u32 s46, s39, s48
	s_addc_u32 s47, s29, s60
	s_lshl_b64 s[46:47], s[46:47], 9
	s_add_u32 s46, s40, s46
	s_waitcnt lgkmcnt(1)
	v_mfma_f32_16x16x16_bf16 a[4:7], v[34:35], v[36:37], 0
	s_addc_u32 s47, s41, s47
	s_and_b64 vcc, exec, s[0:1]
	v_mfma_f32_16x16x16_bf16 a[0:3], v[42:43], v[102:103], a[0:3]
	ds_read_b64 v[42:43], v96
	ds_read_b64 v[112:113], v97
	global_load_dwordx4 v[34:37], v93, s[46:47]
	s_waitcnt lgkmcnt(2)
	v_mfma_f32_16x16x16_bf16 a[4:7], v[40:41], v[38:39], a[4:7]
	global_load_dwordx4 v[38:41], v88, s[46:47]
	ds_read_b64 v[106:107], v83
	ds_read_b64 v[108:109], v84
	s_waitcnt lgkmcnt(3)
	v_mfma_f32_16x16x16_bf16 a[8:11], v[42:43], v[102:103], a[4:7]
	v_lshl_add_u64 v[42:43], v[54:55], 0, s[36:37]
	s_waitcnt lgkmcnt(0)
	global_store_dwordx4 v[42:43], v[106:109], off
	v_mfma_f32_16x16x16_bf16 a[4:7], v[110:111], v[104:105], a[0:3]
	s_waitcnt vmcnt(2)
	v_mov_b32_e32 v44, v37
	v_mfma_f32_16x16x16_bf16 a[0:3], v[112:113], v[104:105], a[8:11]
	v_mov_b32_e32 v43, v36
	v_mov_b32_e32 v42, v35
	s_cbranch_vccnz .LBB517_16
; %bb.15:                               ;   in Loop: Header=BB517_6 Depth=1
	v_lshrrev_b32_e32 v35, 3, v100
	v_and_b32_e32 v35, 6, v35
	v_xor_b32_e32 v36, v35, v101
	v_lshlrev_b32_e32 v36, 2, v36
	v_and_b32_e32 v37, 8, v100
	v_xor_b32_e32 v100, 0x440, v36
	v_cmp_eq_u32_e32 vcc, 0, v37
	v_perm_b32 v37, v22, v18, s63
	s_nop 0
	v_cndmask_b32_e32 v36, v100, v36, vcc
	v_lshl_or_b32 v35, v35, 10, v36
	v_perm_b32 v36, v30, v26, s63
	s_barrier
	ds_write2st64_b32 v35, v36, v37 offset1:32
	v_xor_b32_e32 v36, 8, v35
	v_perm_b32 v26, v30, v26, s64
	v_perm_b32 v18, v22, v18, s64
	v_add_u32_e32 v22, 0x80, v36
	ds_write2st64_b32 v22, v26, v18 offset1:32
	v_xor_b32_e32 v18, 16, v35
	v_perm_b32 v22, v31, v27, s63
	v_perm_b32 v26, v23, v19, s63
	ds_write2st64_b32 v18, v22, v26 offset0:1 offset1:33
	v_xor_b32_e32 v18, 24, v35
	v_perm_b32 v22, v31, v27, s64
	v_perm_b32 v19, v23, v19, s64
	v_add_u32_e32 v18, 0x80, v18
	ds_write2st64_b32 v18, v22, v19 offset0:1 offset1:33
	v_xor_b32_e32 v18, 32, v35
	v_perm_b32 v19, v32, v28, s63
	v_perm_b32 v22, v24, v20, s63
	ds_write2st64_b32 v18, v19, v22 offset0:2 offset1:34
	v_xor_b32_e32 v18, 40, v35
	v_perm_b32 v19, v32, v28, s64
	v_perm_b32 v20, v24, v20, s64
	v_add_u32_e32 v18, 0x80, v18
	ds_write2st64_b32 v18, v19, v20 offset0:2 offset1:34
	;; [unrolled: 9-line block ×3, first 2 shown]
	ds_write_b64 v99, v[14:15] offset:16384
	v_xor_b32_e32 v14, 8, v99
	ds_write_b64 v14, v[16:17] offset:16384
	ds_write_b64 v99, v[10:11] offset:24576
	;; [unrolled: 1-line block ×4, first 2 shown]
	v_xor_b32_e32 v6, 8, v98
	ds_write_b64 v6, v[8:9] offset:16384
	ds_write_b64 v98, v[2:3] offset:24576
	;; [unrolled: 1-line block ×3, first 2 shown]
.LBB517_16:                             ;   in Loop: Header=BB517_6 Depth=1
	v_exp_f32_e32 v10, s28
	s_waitcnt vmcnt(1)
	v_exp_f32_e32 v12, v38
	v_exp_f32_e32 v13, v39
	;; [unrolled: 1-line block ×4, first 2 shown]
	v_accvgpr_read_b32 v2, a4
	v_accvgpr_read_b32 v3, a5
	v_pk_mul_f32 v[12:13], v[10:11], v[12:13] op_sel_hi:[0,1]
	v_pk_fma_f32 v[46:47], v[46:47], v[12:13], v[2:3]
	v_exp_f32_e32 v12, v34
	v_exp_f32_e32 v13, v42
	v_pk_mul_f32 v[2:3], v[10:11], v[14:15] op_sel_hi:[0,1]
	v_exp_f32_e32 v14, v43
	v_exp_f32_e32 v15, v44
	v_accvgpr_read_b32 v4, a6
	v_accvgpr_read_b32 v5, a7
	;; [unrolled: 1-line block ×5, first 2 shown]
	v_pk_fma_f32 v[52:53], v[52:53], v[2:3], v[4:5]
	v_pk_mul_f32 v[2:3], v[10:11], v[12:13] op_sel_hi:[0,1]
	v_accvgpr_read_b32 v8, a2
	v_pk_fma_f32 v[50:51], v[50:51], v[2:3], v[6:7]
	v_pk_mul_f32 v[2:3], v[10:11], v[14:15] op_sel_hi:[0,1]
	s_add_i32 s59, s59, 64
	s_cmp_eq_u32 s54, s45
	v_pk_fma_f32 v[48:49], v[48:49], v[2:3], v[8:9]
	s_cbranch_scc1 .LBB517_18
; %bb.17:                               ;   in Loop: Header=BB517_6 Depth=1
	s_mov_b32 s65, s45
	s_branch .LBB517_6
.LBB517_18:
	s_lshl_b32 s3, s54, 6
	s_sub_i32 s53, s53, s3
	s_cmp_gt_i32 s53, 0
	v_or_b32_e32 v26, s2, v63
	s_cbranch_scc1 .LBB517_20
; %bb.19:
	s_ashr_i32 s25, s48, 31
	v_or_b32_e32 v2, s2, v63
	s_cbranch_execz .LBB517_21
	s_branch .LBB517_77
.LBB517_20:
                                        ; implicit-def: $vgpr2
                                        ; implicit-def: $sgpr24_sgpr25
.LBB517_21:
	s_add_i32 s24, s3, s42
	s_ashr_i32 s3, s24, 31
	s_cmpk_lg_i32 s23, 0x80
	s_cselect_b64 s[38:39], -1, 0
	s_and_b64 vcc, exec, s[38:39]
	s_cbranch_vccz .LBB517_23
; %bb.22:
	s_mul_hi_i32 s0, s24, s22
	s_mul_i32 s1, s24, s22
	s_ashr_i32 s22, s58, 31
	s_add_u32 s46, s1, s58
	s_addc_u32 s47, s0, s22
	s_cbranch_execz .LBB517_24
	s_branch .LBB517_25
.LBB517_23:
                                        ; implicit-def: $sgpr46_sgpr47
.LBB517_24:
	s_mul_i32 s1, s58, s20
	s_mul_hi_i32 s0, s58, s20
	s_add_u32 s46, s1, s24
	s_addc_u32 s47, s0, s3
.LBB517_25:
	s_add_i32 s20, s54, s55
	s_ashr_i32 s25, s48, 31
	s_add_u32 s0, s57, s24
	s_addc_u32 s1, s56, s3
	s_mov_b32 s3, 0x7060302
	v_lshlrev_b32_e32 v6, 3, v63
	s_lshl_b64 s[36:37], s[0:1], 8
	v_perm_b32 v3, v53, v52, s3
	v_perm_b32 v2, v47, v46, s3
	;; [unrolled: 1-line block ×4, first 2 shown]
	v_lshlrev_b32_e32 v36, 2, v63
	v_lshl_or_b32 v6, v1, 5, v6
	s_add_u32 s0, s14, s36
	ds_write2st64_b64 v6, v[2:3], v[4:5] offset0:72 offset1:76
	v_xor_b32_e32 v6, v1, v36
	v_lshlrev_b32_e32 v7, 8, v63
	s_addc_u32 s1, s15, s37
	v_lshl_or_b32 v6, v6, 1, v7
	s_mul_hi_i32 s3, s20, s21
	s_mul_i32 s20, s20, s21
	ds_write_b64 v6, v[2:3] offset:32768
	v_xor_b32_e32 v2, v66, v36
	s_add_u32 s14, s20, s48
	v_lshl_or_b32 v2, v2, 1, v7
	s_addc_u32 s15, s3, s25
	v_lshlrev_b32_e32 v3, 1, v63
	ds_write_b64 v2, v[4:5] offset:32768
	v_lshrrev_b32_e32 v2, 4, v0
	s_ashr_i32 s3, s2, 31
	s_lshl_b64 s[14:15], s[14:15], 15
	v_or_b32_e32 v4, 1, v3
	s_add_u32 s4, s4, s14
	v_xor_b32_e32 v3, v2, v3
	v_xor_b32_e32 v4, v4, v2
	v_lshlrev_b32_e32 v6, 8, v2
	s_addc_u32 s5, s5, s15
	s_lshl_b64 s[2:3], s[2:3], 8
	v_lshl_or_b32 v2, v3, 3, v6
	v_lshl_or_b32 v4, v4, 3, v6
	s_waitcnt lgkmcnt(0)
	s_barrier
	s_add_u32 s2, s4, s2
	ds_read_b64 v[2:3], v2 offset:32768
	ds_read_b64 v[4:5], v4 offset:32768
	s_addc_u32 s3, s5, s3
	v_mov_b32_e32 v7, 0
	s_cmp_lg_u32 s53, 64
	v_lshl_add_u64 v[8:9], s[2:3], 0, v[6:7]
	v_lshlrev_b32_e32 v6, 4, v63
	s_cselect_b64 s[4:5], -1, 0
	v_lshl_or_b32 v27, v45, 3, v65
	s_mov_b32 s28, 0
	v_lshl_add_u64 v[6:7], v[8:9], 0, v[6:7]
	v_or_b32_e32 v19, 32, v27
	v_and_b32_e32 v18, 56, v64
	s_and_b64 vcc, exec, s[4:5]
	s_waitcnt lgkmcnt(0)
	global_store_dwordx4 v[6:7], v[2:5], off
	s_cbranch_vccz .LBB517_31
; %bb.26:
	s_mov_b32 s29, s28
	s_mov_b32 s30, s28
	;; [unrolled: 1-line block ×3, first 2 shown]
	v_mov_b64_e32 v[6:7], s[28:29]
	v_mov_b64_e32 v[8:9], s[30:31]
	;; [unrolled: 1-line block ×3, first 2 shown]
	v_cmp_gt_i32_e32 vcc, s53, v27
	v_mov_b64_e32 v[4:5], v[8:9]
	s_and_saveexec_b64 s[2:3], vcc
	s_cbranch_execz .LBB517_28
; %bb.27:
	v_lshlrev_b32_e32 v2, 8, v27
	v_mov_b32_e32 v3, 0
	v_lshl_add_u64 v[4:5], s[0:1], 0, v[2:3]
	v_lshlrev_b32_e32 v2, 1, v18
	v_lshl_add_u64 v[10:11], v[4:5], 0, v[2:3]
	global_load_dwordx4 v[6:9], v[10:11], off
	global_load_dwordx4 v[2:5], v[10:11], off offset:128
.LBB517_28:
	s_or_b64 exec, exec, s[2:3]
	s_mov_b32 s29, s28
	s_mov_b32 s30, s28
	;; [unrolled: 1-line block ×3, first 2 shown]
	v_mov_b64_e32 v[14:15], s[28:29]
	v_mov_b64_e32 v[16:17], s[30:31]
	;; [unrolled: 1-line block ×3, first 2 shown]
	v_cmp_gt_i32_e32 vcc, s53, v19
	v_lshlrev_b32_e32 v20, 7, v19
	v_mov_b64_e32 v[12:13], v[16:17]
	s_and_saveexec_b64 s[2:3], vcc
	s_cbranch_execz .LBB517_30
; %bb.29:
	v_lshlrev_b32_e32 v10, 1, v20
	v_mov_b32_e32 v11, 0
	v_lshl_add_u64 v[12:13], s[0:1], 0, v[10:11]
	v_lshlrev_b32_e32 v10, 1, v18
	v_lshl_add_u64 v[22:23], v[12:13], 0, v[10:11]
	global_load_dwordx4 v[14:17], v[22:23], off
	global_load_dwordx4 v[10:13], v[22:23], off offset:128
.LBB517_30:
	s_or_b64 exec, exec, s[2:3]
	v_lshrrev_b32_e32 v21, 3, v18
	v_lshlrev_b32_e32 v22, 3, v27
	v_or_b32_e32 v21, v22, v21
	v_lshlrev_b32_e32 v21, 4, v21
	v_and_b32_e32 v22, 0x78, v22
	v_xor_b32_e32 v21, v21, v22
	s_branch .LBB517_33
.LBB517_31:
                                        ; implicit-def: $vgpr21
                                        ; implicit-def: $vgpr20
                                        ; implicit-def: $vgpr6_vgpr7_vgpr8_vgpr9
                                        ; implicit-def: $vgpr2_vgpr3_vgpr4_vgpr5
                                        ; implicit-def: $vgpr14_vgpr15_vgpr16_vgpr17
                                        ; implicit-def: $vgpr10_vgpr11_vgpr12_vgpr13
	s_cbranch_execz .LBB517_33
; %bb.32:
	s_waitcnt vmcnt(0)
	v_lshlrev_b32_e32 v2, 1, v18
	v_lshl_or_b32 v20, v27, 8, v2
	s_and_b32 s1, s1, 0xffff
	s_mov_b32 s3, 0x20000
	s_movk_i32 s2, 0x4000
	v_lshl_or_b32 v21, v19, 8, v2
	s_movk_i32 s14, 0x80
	buffer_load_dwordx4 v[6:9], v20, s[0:3], 0 offen
	buffer_load_dwordx4 v[2:5], v20, s[0:3], s14 offen
	;; [unrolled: 1-line block ×4, first 2 shown]
	v_lshrrev_b32_e32 v20, 3, v18
	v_lshlrev_b32_e32 v21, 3, v27
	v_or_b32_e32 v20, v21, v20
	v_lshlrev_b32_e32 v20, 4, v20
	v_and_b32_e32 v21, 0x78, v21
	v_xor_b32_e32 v21, v20, v21
	v_lshlrev_b32_e32 v20, 7, v19
.LBB517_33:
	s_lshl_b64 s[0:1], s[46:47], 8
	s_add_u32 s12, s12, s0
	s_movk_i32 s0, 0x1000
	v_and_or_b32 v19, v20, s0, v21
	s_waitcnt vmcnt(1)
	ds_write_b64 v21, v[6:7] offset:16384
	v_xor_b32_e32 v6, 8, v21
	ds_write_b64 v6, v[8:9] offset:16384
	s_waitcnt vmcnt(0)
	ds_write_b64 v21, v[2:3] offset:24576
	ds_write_b64 v6, v[4:5] offset:24576
	;; [unrolled: 1-line block ×3, first 2 shown]
	v_xor_b32_e32 v2, 8, v19
	ds_write_b64 v2, v[16:17] offset:16384
	ds_write_b64 v19, v[10:11] offset:24576
	;; [unrolled: 1-line block ×3, first 2 shown]
	v_or_b32_e32 v2, v60, v63
	v_lshlrev_b32_e32 v2, 3, v2
	v_lshrrev_b32_e32 v4, 5, v61
	s_movk_i32 s20, 0xf8
	v_and_or_b32 v4, v2, s20, v4
	v_lshlrev_b32_e32 v37, 11, v45
	v_lshlrev_b32_e32 v12, 4, v4
	v_and_b32_e32 v13, 0x78, v2
	v_and_b32_e32 v14, 0x1000, v37
	v_lshlrev_b32_e32 v3, 2, v0
	v_xor_b32_e32 v2, v12, v13
	v_lshrrev_b32_e32 v4, 1, v61
	v_and_b32_e32 v3, 60, v3
	v_or_b32_e32 v2, v2, v14
	v_and_b32_e32 v15, 8, v4
	v_xor_b32_e32 v28, v2, v15
	v_lshl_or_b32 v2, v62, 6, v3
	v_lshlrev_b32_e32 v38, 1, v2
	v_or_b32_e32 v2, 32, v12
	v_xor_b32_e32 v2, v2, v13
	s_waitcnt lgkmcnt(0)
	s_barrier
	ds_read_b64 v[10:11], v28 offset:16384
	v_or_b32_e32 v2, v2, v14
	v_xor_b32_e32 v29, v2, v15
	v_or_b32_e32 v2, 64, v12
	v_xor_b32_e32 v2, v2, v13
	v_or_b32_e32 v2, v2, v14
	v_or_b32_e32 v12, 0x60, v12
	v_xor_b32_e32 v30, v2, v15
	ds_read2st64_b64 v[2:5], v38 offset0:72 offset1:73
	ds_read2st64_b64 v[6:9], v38 offset0:74 offset1:75
	v_xor_b32_e32 v16, v12, v13
	ds_read_b64 v[12:13], v29 offset:16384
	s_waitcnt lgkmcnt(2)
	v_mfma_f32_16x16x16_bf16 a[0:3], v[10:11], v[2:3], 0
	s_addc_u32 s13, s13, s1
	s_add_i32 s22, s43, -1
	s_add_i32 s0, s51, s50
	s_add_i32 s45, s0, s52
	s_mul_i32 s0, s48, s27
	s_mul_hi_u32 s1, s48, s26
	s_ashr_i32 s2, s22, 31
	s_mul_i32 s3, s22, s11
	s_mul_hi_u32 s14, s22, s10
	s_add_i32 s0, s1, s0
	s_mul_i32 s1, s25, s26
	s_add_i32 s3, s14, s3
	s_mul_i32 s2, s2, s10
	v_or_b32_e32 v14, v16, v14
	s_add_i32 s1, s0, s1
	s_add_i32 s3, s3, s2
	s_lshl_b64 s[14:15], s[44:45], 2
	v_xor_b32_e32 v39, v14, v15
	ds_read_b64 v[14:15], v30 offset:16384
	ds_read_b64 v[16:17], v39 offset:16384
	s_waitcnt lgkmcnt(2)
	v_mfma_f32_16x16x16_bf16 a[0:3], v[12:13], v[4:5], a[0:3]
	s_mul_i32 s0, s48, s26
	s_add_u32 s14, s18, s14
	s_addc_u32 s15, s19, s15
	s_lshl_b64 s[0:1], s[0:1], 2
	s_mul_i32 s2, s22, s10
	s_add_u32 s18, s14, s0
	s_addc_u32 s19, s15, s1
	s_lshl_b64 s[0:1], s[2:3], 2
	s_waitcnt lgkmcnt(1)
	v_mfma_f32_16x16x16_bf16 a[0:3], v[14:15], v[6:7], a[0:3]
	s_add_u32 s0, s18, s0
	s_addc_u32 s1, s19, s1
	s_load_dword s20, s[0:1], 0x0
	s_waitcnt lgkmcnt(0)
	v_mfma_f32_16x16x16_bf16 a[0:3], v[16:17], v[8:9], a[0:3]
	s_and_b64 vcc, exec, s[38:39]
	s_cbranch_vccz .LBB517_44
; %bb.34:
	v_lshlrev_b32_e32 v19, 1, v27
	s_and_b64 vcc, exec, s[4:5]
	s_cbranch_vccz .LBB517_45
; %bb.35:
	v_cmp_gt_i32_e32 vcc, s53, v19
	v_mov_b32_e32 v6, 0
	v_mov_b32_e32 v2, 0
	;; [unrolled: 1-line block ×5, first 2 shown]
	s_and_saveexec_b64 s[0:1], vcc
	s_cbranch_execz .LBB517_37
; %bb.36:
	v_mad_i64_i32 v[2:3], s[2:3], s23, v19, 0
	v_lshl_add_u64 v[2:3], v[2:3], 1, s[12:13]
	v_lshlrev_b32_e32 v4, 1, v18
	v_mov_b32_e32 v5, 0
	v_lshl_add_u64 v[2:3], v[2:3], 0, v[4:5]
	global_load_dwordx4 v[2:5], v[2:3], off
.LBB517_37:
	s_or_b64 exec, exec, s[0:1]
	v_or_b32_e32 v20, 1, v19
	v_cmp_gt_i32_e64 s[0:1], s53, v20
	v_mov_b32_e32 v7, 0
	v_mov_b32_e32 v8, 0
	;; [unrolled: 1-line block ×3, first 2 shown]
	s_and_saveexec_b64 s[2:3], s[0:1]
	s_cbranch_execz .LBB517_39
; %bb.38:
	v_mad_i64_i32 v[6:7], s[14:15], s23, v20, 0
	v_lshl_add_u64 v[6:7], v[6:7], 1, s[12:13]
	v_lshlrev_b32_e32 v8, 1, v18
	v_mov_b32_e32 v9, 0
	v_lshl_add_u64 v[6:7], v[6:7], 0, v[8:9]
	global_load_dwordx4 v[6:9], v[6:7], off
.LBB517_39:
	s_or_b64 exec, exec, s[2:3]
	v_mov_b32_e32 v17, 0
	v_mov_b32_e32 v10, 0
	;; [unrolled: 1-line block ×5, first 2 shown]
	s_and_saveexec_b64 s[2:3], vcc
	s_cbranch_execz .LBB517_41
; %bb.40:
	v_mad_i64_i32 v[10:11], s[14:15], s23, v19, 0
	v_lshl_add_u64 v[10:11], v[10:11], 1, s[12:13]
	v_lshlrev_b32_e32 v12, 1, v18
	v_mov_b32_e32 v13, 0
	v_lshl_add_u64 v[10:11], v[10:11], 0, v[12:13]
	global_load_dwordx4 v[10:13], v[10:11], off offset:128
.LBB517_41:
	s_or_b64 exec, exec, s[2:3]
	v_mov_b32_e32 v16, 0
	v_mov_b32_e32 v15, 0
	;; [unrolled: 1-line block ×3, first 2 shown]
	s_and_saveexec_b64 s[2:3], s[0:1]
	s_cbranch_execz .LBB517_43
; %bb.42:
	v_mad_i64_i32 v[14:15], s[0:1], s23, v20, 0
	v_lshl_add_u64 v[14:15], v[14:15], 1, s[12:13]
	v_lshlrev_b32_e32 v16, 1, v18
	v_mov_b32_e32 v17, 0
	v_lshl_add_u64 v[14:15], v[14:15], 0, v[16:17]
	global_load_dwordx4 v[14:17], v[14:15], off offset:128
.LBB517_43:
	s_or_b64 exec, exec, s[2:3]
	s_branch .LBB517_47
.LBB517_44:
                                        ; implicit-def: $vgpr5
                                        ; implicit-def: $vgpr9
                                        ; implicit-def: $vgpr13
                                        ; implicit-def: $vgpr17
	v_lshrrev_b32_e32 v19, 2, v61
	s_branch .LBB517_48
.LBB517_45:
                                        ; implicit-def: $vgpr5
                                        ; implicit-def: $vgpr9
                                        ; implicit-def: $vgpr13
                                        ; implicit-def: $vgpr17
	s_cbranch_execz .LBB517_47
; %bb.46:
	s_waitcnt vmcnt(0)
	v_mad_u64_u32 v[2:3], s[0:1], v19, s23, v[18:19]
	v_lshlrev_b32_e32 v19, 1, v2
	s_lshl_b32 s2, s23, 7
	s_and_b32 s1, s13, 0xffff
	s_mov_b32 s3, 0x20000
	s_mov_b32 s0, s12
	v_add_lshl_u32 v20, v2, s23, 1
	s_movk_i32 s14, 0x80
	buffer_load_dwordx4 v[2:5], v19, s[0:3], 0 offen
	buffer_load_dwordx4 v[10:13], v19, s[0:3], s14 offen
	;; [unrolled: 1-line block ×4, first 2 shown]
.LBB517_47:
	v_lshrrev_b32_e32 v19, 2, v61
	s_cbranch_execnz .LBB517_60
.LBB517_48:
	s_and_b64 vcc, exec, s[4:5]
	s_cbranch_vccz .LBB517_58
; %bb.49:
	s_waitcnt vmcnt(0)
	v_lshlrev_b32_e32 v7, 1, v27
	v_cmp_gt_i32_e32 vcc, s53, v7
	v_mov_b32_e32 v6, 0
	v_lshlrev_b32_e32 v14, 9, v27
	v_mov_b32_e32 v2, 0
	v_mov_b32_e32 v3, 0
	;; [unrolled: 1-line block ×4, first 2 shown]
	s_and_saveexec_b64 s[0:1], vcc
	s_cbranch_execz .LBB517_51
; %bb.50:
	v_mov_b32_e32 v15, 0
	v_lshl_add_u64 v[2:3], s[12:13], 0, v[14:15]
	v_lshlrev_b32_e32 v4, 1, v18
	v_mov_b32_e32 v5, v15
	v_lshl_add_u64 v[2:3], v[2:3], 0, v[4:5]
	global_load_dwordx4 v[2:5], v[2:3], off
.LBB517_51:
	s_or_b64 exec, exec, s[0:1]
	v_or_b32_e32 v7, 1, v7
	v_cmp_gt_i32_e64 s[0:1], s53, v7
	v_lshlrev_b32_e32 v20, 8, v7
	v_mov_b32_e32 v7, 0
	v_mov_b32_e32 v8, 0
	;; [unrolled: 1-line block ×3, first 2 shown]
	s_and_saveexec_b64 s[2:3], s[0:1]
	s_cbranch_execz .LBB517_53
; %bb.52:
	v_mov_b32_e32 v21, 0
	v_lshl_add_u64 v[6:7], s[12:13], 0, v[20:21]
	v_lshlrev_b32_e32 v8, 1, v18
	v_mov_b32_e32 v9, v21
	v_lshl_add_u64 v[6:7], v[6:7], 0, v[8:9]
	global_load_dwordx4 v[6:9], v[6:7], off
.LBB517_53:
	s_or_b64 exec, exec, s[2:3]
	v_mov_b32_e32 v17, 0
	v_mov_b32_e32 v10, 0
	;; [unrolled: 1-line block ×5, first 2 shown]
	s_and_saveexec_b64 s[2:3], vcc
	s_cbranch_execz .LBB517_55
; %bb.54:
	v_mov_b32_e32 v15, 0
	v_lshl_add_u64 v[10:11], s[12:13], 0, v[14:15]
	v_lshlrev_b32_e32 v14, 1, v18
	v_lshl_add_u64 v[10:11], v[10:11], 0, v[14:15]
	global_load_dwordx4 v[10:13], v[10:11], off offset:128
.LBB517_55:
	s_or_b64 exec, exec, s[2:3]
	v_mov_b32_e32 v16, 0
	v_mov_b32_e32 v15, 0
	;; [unrolled: 1-line block ×3, first 2 shown]
	s_and_saveexec_b64 s[2:3], s[0:1]
	s_cbranch_execz .LBB517_57
; %bb.56:
	v_mov_b32_e32 v21, 0
	v_lshl_add_u64 v[14:15], s[12:13], 0, v[20:21]
	v_lshlrev_b32_e32 v20, 1, v18
	v_lshl_add_u64 v[14:15], v[14:15], 0, v[20:21]
	global_load_dwordx4 v[14:17], v[14:15], off offset:128
.LBB517_57:
	s_or_b64 exec, exec, s[2:3]
	s_branch .LBB517_60
.LBB517_58:
                                        ; implicit-def: $vgpr5
                                        ; implicit-def: $vgpr9
                                        ; implicit-def: $vgpr13
                                        ; implicit-def: $vgpr17
	s_cbranch_execz .LBB517_60
; %bb.59:
	s_waitcnt vmcnt(0)
	v_lshlrev_b32_e32 v2, 1, v18
	v_lshl_or_b32 v18, v27, 9, v2
	s_and_b32 s13, s13, 0xffff
	s_mov_b32 s15, 0x20000
	s_movk_i32 s14, 0x4000
	s_movk_i32 s0, 0x80
	buffer_load_dwordx4 v[2:5], v18, s[12:15], 0 offen
	buffer_load_dwordx4 v[6:9], v18, s[12:15], 0 offen offset:256
	buffer_load_dwordx4 v[10:13], v18, s[12:15], s0 offen
	buffer_load_dwordx4 v[14:17], v18, s[12:15], s0 offen offset:256
.LBB517_60:
	v_and_b32_e32 v40, 12, v19
	ds_read2st64_b64 v[22:25], v38 offset0:76 offset1:77
	ds_read2st64_b64 v[18:21], v38 offset0:78 offset1:79
	ds_read_b64 v[34:35], v28 offset:24576
	ds_read_b64 v[32:33], v29 offset:24576
	;; [unrolled: 1-line block ×4, first 2 shown]
	v_and_b32_e32 v39, 6, v0
	v_xor_b32_e32 v27, v27, v39
	v_lshlrev_b32_e32 v27, 2, v27
	v_and_b32_e32 v41, 1, v0
	v_xor_b32_e32 v42, 0x440, v27
	v_cmp_eq_u32_e32 vcc, 0, v41
	s_mov_b32 s0, 0x1000504
	s_waitcnt vmcnt(0)
	v_perm_b32 v41, v10, v14, s0
	v_cndmask_b32_e32 v27, v42, v27, vcc
	v_lshl_or_b32 v27, v39, 10, v27
	v_perm_b32 v39, v2, v6, s0
	ds_write2st64_b32 v27, v39, v41 offset1:32
	v_xor_b32_e32 v39, 8, v27
	s_mov_b32 s1, 0x3020706
	v_perm_b32 v2, v2, v6, s1
	v_perm_b32 v6, v10, v14, s1
	v_add_u32_e32 v10, 0x80, v39
	ds_write2st64_b32 v10, v2, v6 offset1:32
	v_xor_b32_e32 v2, 16, v27
	v_perm_b32 v6, v3, v7, s0
	v_perm_b32 v10, v11, v15, s0
	ds_write2st64_b32 v2, v6, v10 offset0:1 offset1:33
	v_xor_b32_e32 v2, 24, v27
	v_perm_b32 v3, v3, v7, s1
	v_perm_b32 v6, v11, v15, s1
	v_add_u32_e32 v2, 0x80, v2
	ds_write2st64_b32 v2, v3, v6 offset0:1 offset1:33
	v_xor_b32_e32 v2, 32, v27
	v_perm_b32 v3, v4, v8, s0
	v_perm_b32 v6, v12, v16, s0
	ds_write2st64_b32 v2, v3, v6 offset0:2 offset1:34
	v_xor_b32_e32 v2, 40, v27
	v_perm_b32 v3, v4, v8, s1
	v_perm_b32 v4, v12, v16, s1
	v_add_u32_e32 v2, 0x80, v2
	ds_write2st64_b32 v2, v3, v4 offset0:2 offset1:34
	v_xor_b32_e32 v2, 48, v27
	v_perm_b32 v3, v5, v9, s0
	v_perm_b32 v4, v13, v17, s0
	ds_write2st64_b32 v2, v3, v4 offset0:3 offset1:35
	v_xor_b32_e32 v2, 56, v27
	v_or_b32_e32 v10, v40, v60
	v_perm_b32 v3, v5, v9, s1
	v_perm_b32 v4, v13, v17, s1
	v_add_u32_e32 v2, 0x80, v2
	v_cmp_gt_i32_e64 s[2:3], s53, v10
	v_mov_b32_e32 v12, 0
	v_mov_b32_e32 v17, 0
	ds_write2st64_b32 v2, v3, v4 offset0:3 offset1:35
	s_and_saveexec_b64 s[0:1], s[2:3]
	s_cbranch_execz .LBB517_62
; %bb.61:
	v_add_u32_e32 v2, s24, v10
	v_ashrrev_i32_e32 v3, 31, v2
	v_mul_lo_u32 v4, v3, s10
	v_mul_lo_u32 v5, v2, s11
	v_mad_u64_u32 v[2:3], s[4:5], v2, s10, 0
	v_add3_u32 v3, v3, v5, v4
	v_lshl_add_u64 v[2:3], v[2:3], 2, s[18:19]
	global_load_dword v2, v[2:3], off
	s_waitcnt vmcnt(0)
	v_sub_f32_e32 v2, s20, v2
	v_exp_f32_e32 v17, v2
.LBB517_62:
	s_or_b64 exec, exec, s[0:1]
	v_or_b32_e32 v15, 1, v10
	v_cmp_gt_i32_e64 s[4:5], s53, v15
	s_and_saveexec_b64 s[0:1], s[4:5]
	s_cbranch_execz .LBB517_64
; %bb.63:
	v_add_u32_e32 v2, s24, v15
	v_ashrrev_i32_e32 v3, 31, v2
	v_mul_lo_u32 v4, v3, s10
	v_mul_lo_u32 v5, v2, s11
	v_mad_u64_u32 v[2:3], s[12:13], v2, s10, 0
	v_add3_u32 v3, v3, v5, v4
	v_lshl_add_u64 v[2:3], v[2:3], 2, s[18:19]
	global_load_dword v2, v[2:3], off
	s_waitcnt vmcnt(0)
	v_sub_f32_e32 v2, s20, v2
	v_exp_f32_e32 v12, v2
.LBB517_64:
	s_or_b64 exec, exec, s[0:1]
	v_or_b32_e32 v14, 2, v10
	v_cmp_gt_i32_e64 s[0:1], s53, v14
	v_mov_b32_e32 v11, 0
	v_mov_b32_e32 v16, 0
	s_and_saveexec_b64 s[12:13], s[0:1]
	s_cbranch_execz .LBB517_66
; %bb.65:
	v_add_u32_e32 v2, s24, v14
	v_ashrrev_i32_e32 v3, 31, v2
	v_mul_lo_u32 v4, v3, s10
	v_mul_lo_u32 v5, v2, s11
	v_mad_u64_u32 v[2:3], s[14:15], v2, s10, 0
	v_add3_u32 v3, v3, v5, v4
	v_lshl_add_u64 v[2:3], v[2:3], 2, s[18:19]
	global_load_dword v2, v[2:3], off
	s_waitcnt vmcnt(0)
	v_sub_f32_e32 v2, s20, v2
	v_exp_f32_e32 v16, v2
.LBB517_66:
	s_or_b64 exec, exec, s[12:13]
	v_or_b32_e32 v13, 3, v10
	v_cmp_gt_i32_e32 vcc, s53, v13
	s_and_saveexec_b64 s[12:13], vcc
	s_cbranch_execz .LBB517_68
; %bb.67:
	v_add_u32_e32 v2, s24, v13
	v_ashrrev_i32_e32 v3, 31, v2
	v_mul_lo_u32 v4, v3, s10
	v_mul_lo_u32 v5, v2, s11
	v_mad_u64_u32 v[2:3], s[10:11], v2, s10, 0
	v_add3_u32 v3, v3, v5, v4
	v_lshl_add_u64 v[2:3], v[2:3], 2, s[18:19]
	global_load_dword v2, v[2:3], off
	s_waitcnt vmcnt(0)
	v_sub_f32_e32 v2, s20, v2
	v_exp_f32_e32 v11, v2
.LBB517_68:
	s_or_b64 exec, exec, s[12:13]
	s_waitcnt lgkmcnt(11)
	v_mfma_f32_16x16x16_bf16 a[0:3], v[34:35], v[22:23], a[0:3]
	s_add_u32 s10, s16, s36
	s_addc_u32 s11, s17, s37
	v_ashrrev_i32_e32 v27, 31, v26
	s_waitcnt lgkmcnt(10)
	v_mfma_f32_16x16x16_bf16 a[0:3], v[32:33], v[24:25], a[0:3]
	s_add_u32 s6, s6, s36
	v_lshlrev_b64 v[2:3], 1, v[26:27]
	s_addc_u32 s7, s7, s37
	s_waitcnt lgkmcnt(9)
	v_mfma_f32_16x16x16_bf16 a[0:3], v[30:31], v[18:19], a[0:3]
	v_lshl_add_u64 v[6:7], s[10:11], 0, v[2:3]
	v_lshl_add_u64 v[8:9], s[6:7], 0, v[2:3]
	v_mov_b32_e32 v18, 0
	s_waitcnt lgkmcnt(8)
	v_mfma_f32_16x16x16_bf16 a[0:3], v[28:29], v[20:21], a[0:3]
	v_mov_b32_e32 v19, 0
	s_nop 5
	v_accvgpr_read_b32 v5, a3
	v_accvgpr_read_b32 v4, a2
	;; [unrolled: 1-line block ×4, first 2 shown]
	s_and_saveexec_b64 s[6:7], s[2:3]
	s_cbranch_execz .LBB517_70
; %bb.69:
	v_lshlrev_b32_e32 v20, 8, v10
	v_mov_b32_e32 v21, 0
	v_lshl_add_u64 v[22:23], v[6:7], 0, v[20:21]
	global_load_ushort v19, v[22:23], off
	v_lshl_add_u64 v[20:21], v[8:9], 0, v[20:21]
	s_waitcnt vmcnt(0)
	v_lshlrev_b32_e32 v19, 16, v19
	v_sub_f32_e32 v2, v19, v2
	global_store_short_d16_hi v[20:21], v2, off
	v_mul_f32_e32 v2, v17, v2
	v_lshrrev_b32_e32 v19, 16, v2
.LBB517_70:
	s_or_b64 exec, exec, s[6:7]
	s_and_saveexec_b64 s[2:3], s[4:5]
	s_cbranch_execz .LBB517_72
; %bb.71:
	v_lshlrev_b32_e32 v20, 8, v15
	v_mov_b32_e32 v21, 0
	v_lshl_add_u64 v[22:23], v[6:7], 0, v[20:21]
	global_load_ushort v2, v[22:23], off
	v_lshl_add_u64 v[20:21], v[8:9], 0, v[20:21]
	s_waitcnt vmcnt(0)
	v_lshlrev_b32_e32 v2, 16, v2
	v_sub_f32_e32 v2, v2, v3
	global_store_short_d16_hi v[20:21], v2, off
	v_mul_f32_e32 v2, v12, v2
	v_lshrrev_b32_e32 v18, 16, v2
.LBB517_72:
	s_or_b64 exec, exec, s[2:3]
	v_mov_b32_e32 v3, 0
	v_mov_b32_e32 v12, 0
	s_and_saveexec_b64 s[2:3], s[0:1]
	s_cbranch_execz .LBB517_74
; %bb.73:
	v_lshlrev_b32_e32 v14, 8, v14
	v_mov_b32_e32 v15, 0
	v_lshl_add_u64 v[20:21], v[6:7], 0, v[14:15]
	global_load_ushort v2, v[20:21], off
	v_lshl_add_u64 v[14:15], v[8:9], 0, v[14:15]
	s_waitcnt vmcnt(0)
	v_lshlrev_b32_e32 v2, 16, v2
	v_sub_f32_e32 v2, v2, v4
	global_store_short_d16_hi v[14:15], v2, off
	v_mul_f32_e32 v2, v16, v2
	v_lshrrev_b32_e32 v12, 16, v2
.LBB517_74:
	s_or_b64 exec, exec, s[2:3]
	v_or_b32_e32 v2, 0x9800, v38
	s_and_saveexec_b64 s[0:1], vcc
	s_cbranch_execz .LBB517_76
; %bb.75:
	v_lshlrev_b32_e32 v14, 8, v13
	v_mov_b32_e32 v15, 0
	v_lshl_add_u64 v[6:7], v[6:7], 0, v[14:15]
	global_load_ushort v3, v[6:7], off
	v_lshl_add_u64 v[6:7], v[8:9], 0, v[14:15]
	s_waitcnt vmcnt(0)
	v_lshlrev_b32_e32 v3, 16, v3
	v_sub_f32_e32 v3, v3, v5
	global_store_short_d16_hi v[6:7], v3, off
	v_mul_f32_e32 v3, v11, v3
	v_lshrrev_b32_e32 v3, 16, v3
.LBB517_76:
	s_or_b64 exec, exec, s[0:1]
	s_mov_b32 s0, 0x5040100
	v_perm_b32 v5, v3, v12, s0
	v_lshlrev_b32_e32 v3, 1, v36
	v_perm_b32 v4, v18, v19, s0
	v_lshl_or_b32 v3, v10, 5, v3
	s_movk_i32 s2, 0xff
	ds_write_b64 v3, v[4:5] offset:38912
	v_and_b32_e32 v3, 7, v0
	v_cmp_lt_u32_e32 vcc, s2, v0
	v_and_b32_e32 v4, 8, v0
	v_lshlrev_b32_e32 v11, 3, v3
	v_lshlrev_b32_e32 v20, 7, v3
	v_cndmask_b32_e64 v3, 0, 1, vcc
	v_lshrrev_b32_e32 v0, 1, v0
	v_lshlrev_b32_e32 v16, 13, v3
	v_lshlrev_b32_e32 v3, 3, v45
	v_and_b32_e32 v0, 24, v0
	v_xor_b32_e32 v5, v3, v0
	v_or_b32_e32 v6, 0x440, v5
	v_cmp_eq_u32_e32 vcc, 0, v4
	s_waitcnt lgkmcnt(0)
	s_barrier
	v_cndmask_b32_e32 v4, v6, v5, vcc
	v_or_b32_e32 v4, v4, v37
	v_xor_b32_e32 v21, v4, v11
	v_or_b32_e32 v4, 32, v0
	v_xor_b32_e32 v4, v3, v4
	v_or_b32_e32 v5, 0x440, v4
	v_cndmask_b32_e32 v4, v5, v4, vcc
	v_or_b32_e32 v4, v4, v37
	v_xor_b32_e32 v22, v4, v11
	v_or_b32_e32 v4, 64, v0
	v_xor_b32_e32 v4, v3, v4
	v_xor_b32_e32 v5, 0x440, v4
	v_cndmask_b32_e32 v4, v5, v4, vcc
	v_add3_u32 v8, v16, v21, v20
	v_or_b32_e32 v4, v4, v37
	v_or_b32_e32 v0, 0x60, v0
	v_xor_b32_e32 v23, v4, v11
	ds_read2st64_b64 v[4:7], v2 offset1:1
	ds_read2st64_b64 v[12:15], v2 offset0:2 offset1:3
	v_xor_b32_e32 v0, v3, v0
	ds_read_b64 v[2:3], v8
	v_add3_u32 v9, v16, v22, v20
	v_xor_b32_e32 v8, 0x440, v0
	v_cndmask_b32_e32 v0, v8, v0, vcc
	ds_read_b64 v[8:9], v9
	s_mul_i32 s0, s22, s21
	s_mul_hi_i32 s1, s22, s21
	s_add_u32 s0, s0, s48
	s_waitcnt lgkmcnt(1)
	v_mfma_f32_16x16x16_bf16 a[0:3], v[2:3], v[4:5], 0
	s_addc_u32 s1, s1, s25
	v_or_b32_e32 v0, v0, v37
	s_lshl_b64 s[0:1], s[0:1], 9
	v_xor_b32_e32 v0, v0, v11
	s_add_u32 s0, s40, s0
	v_add3_u32 v17, v16, v23, v20
	v_add3_u32 v11, v16, v0, v20
	s_addc_u32 s1, s41, s1
	v_lshlrev_b32_e32 v2, 2, v10
	ds_read_b64 v[16:17], v17
	ds_read_b64 v[18:19], v11
	s_waitcnt lgkmcnt(2)
	v_mfma_f32_16x16x16_bf16 a[0:3], v[8:9], v[6:7], a[0:3]
	global_load_dwordx4 v[8:11], v2, s[0:1]
	v_add_u32_e32 v2, v21, v20
	ds_read_b64 v[2:3], v2 offset:8192
	s_waitcnt lgkmcnt(2)
	v_mfma_f32_16x16x16_bf16 a[0:3], v[16:17], v[12:13], a[0:3]
	v_lshlrev_b32_e32 v16, 6, v45
	v_lshlrev_b32_e32 v17, 2, v40
	s_movk_i32 s2, 0x100
	v_or3_b32 v24, v16, v17, s2
	v_add_u32_e32 v16, v22, v20
	v_add_u32_e32 v21, v23, v20
	;; [unrolled: 1-line block ×3, first 2 shown]
	ds_read_b64 v[16:17], v16 offset:8192
	ds_read_b64 v[20:21], v21 offset:8192
	;; [unrolled: 1-line block ×3, first 2 shown]
	s_waitcnt lgkmcnt(3)
	v_mfma_f32_16x16x16_bf16 a[4:7], v[2:3], v[4:5], 0
	global_load_dwordx4 v[2:5], v24, s[0:1]
	v_exp_f32_e32 v0, s20
	s_waitcnt vmcnt(1)
	v_exp_f32_e32 v8, v8
	v_mfma_f32_16x16x16_bf16 a[0:3], v[18:19], v[14:15], a[0:3]
	v_exp_f32_e32 v9, v9
	v_exp_f32_e32 v10, v10
	;; [unrolled: 1-line block ×3, first 2 shown]
	v_pk_mul_f32 v[8:9], v[0:1], v[8:9] op_sel_hi:[0,1]
	v_pk_mul_f32 v[10:11], v[0:1], v[10:11] op_sel_hi:[0,1]
	s_nop 1
	v_accvgpr_read_b32 v25, a1
	v_accvgpr_read_b32 v19, a3
	v_accvgpr_read_b32 v18, a2
	v_accvgpr_read_b32 v24, a0
	s_waitcnt lgkmcnt(2)
	v_mfma_f32_16x16x16_bf16 a[0:3], v[16:17], v[6:7], a[4:7]
	s_waitcnt vmcnt(0)
	v_mov_b32_e32 v6, v5
	v_mov_b32_e32 v5, v4
	;; [unrolled: 1-line block ×3, first 2 shown]
	s_waitcnt lgkmcnt(1)
	v_mfma_f32_16x16x16_bf16 a[0:3], v[20:21], v[12:13], a[0:3]
	v_exp_f32_e32 v2, v2
	v_exp_f32_e32 v3, v4
	;; [unrolled: 1-line block ×3, first 2 shown]
	s_waitcnt lgkmcnt(0)
	v_mfma_f32_16x16x16_bf16 a[0:3], v[22:23], v[14:15], a[0:3]
	v_exp_f32_e32 v5, v6
	v_pk_fma_f32 v[46:47], v[46:47], v[8:9], v[24:25]
	v_pk_mul_f32 v[2:3], v[0:1], v[2:3] op_sel_hi:[0,1]
	v_pk_fma_f32 v[52:53], v[52:53], v[10:11], v[18:19]
	s_nop 2
	v_accvgpr_read_b32 v9, a1
	v_accvgpr_read_b32 v8, a0
	;; [unrolled: 1-line block ×4, first 2 shown]
	v_pk_fma_f32 v[50:51], v[50:51], v[2:3], v[8:9]
	v_pk_mul_f32 v[2:3], v[0:1], v[4:5] op_sel_hi:[0,1]
	v_pk_fma_f32 v[48:49], v[48:49], v[2:3], v[6:7]
	v_mov_b32_e32 v2, v26
.LBB517_77:
	s_mul_i32 s0, s49, s35
	s_mul_hi_u32 s1, s49, s34
	s_add_i32 s0, s1, s0
	s_mul_i32 s1, s33, s34
	s_add_i32 s1, s0, s1
	s_mul_i32 s0, s49, s34
	s_add_u32 s0, s0, s48
	s_addc_u32 s1, s1, s25
	s_lshl_b64 s[0:1], s[0:1], 15
	s_add_u32 s0, s8, s0
	v_lshlrev_b32_e32 v2, 7, v2
	s_addc_u32 s1, s9, s1
	v_ashrrev_i32_e32 v3, 31, v2
	v_lshl_add_u64 v[2:3], v[2:3], 1, s[0:1]
	v_lshlrev_b32_e32 v0, 1, v1
	v_mov_b32_e32 v1, 0
	s_mov_b32 s0, 0x7060302
	v_lshl_add_u64 v[0:1], v[2:3], 0, v[0:1]
	v_perm_b32 v3, v53, v52, s0
	v_perm_b32 v2, v47, v46, s0
	global_store_dwordx2 v[0:1], v[2:3], off
	v_perm_b32 v3, v49, v48, s0
	v_perm_b32 v2, v51, v50, s0
	global_store_dwordx2 v[0:1], v[2:3], off offset:128
	s_endpgm
	.section	.rodata,"a",@progbits
	.p2align	6, 0x0
	.amdhsa_kernel _ZN12_GLOBAL__N_139chunk_gated_delta_rule_fwd_h_hip_kernelILi16ELb0ELb1ELb1ELb1ELb1ELb1ELb1ELb1EEEvPK12hip_bfloat16S3_S3_PKfS5_PKvPS1_S8_PvPKiSB_iiiiilll
		.amdhsa_group_segment_fixed_size 40960
		.amdhsa_private_segment_fixed_size 0
		.amdhsa_kernarg_size 136
		.amdhsa_user_sgpr_count 2
		.amdhsa_user_sgpr_dispatch_ptr 0
		.amdhsa_user_sgpr_queue_ptr 0
		.amdhsa_user_sgpr_kernarg_segment_ptr 1
		.amdhsa_user_sgpr_dispatch_id 0
		.amdhsa_user_sgpr_kernarg_preload_length 0
		.amdhsa_user_sgpr_kernarg_preload_offset 0
		.amdhsa_user_sgpr_private_segment_size 0
		.amdhsa_uses_dynamic_stack 0
		.amdhsa_enable_private_segment 0
		.amdhsa_system_sgpr_workgroup_id_x 1
		.amdhsa_system_sgpr_workgroup_id_y 1
		.amdhsa_system_sgpr_workgroup_id_z 0
		.amdhsa_system_sgpr_workgroup_info 0
		.amdhsa_system_vgpr_workitem_id 0
		.amdhsa_next_free_vgpr 128
		.amdhsa_next_free_sgpr 70
		.amdhsa_accum_offset 116
		.amdhsa_reserve_vcc 1
		.amdhsa_float_round_mode_32 0
		.amdhsa_float_round_mode_16_64 0
		.amdhsa_float_denorm_mode_32 3
		.amdhsa_float_denorm_mode_16_64 3
		.amdhsa_dx10_clamp 1
		.amdhsa_ieee_mode 1
		.amdhsa_fp16_overflow 0
		.amdhsa_tg_split 0
		.amdhsa_exception_fp_ieee_invalid_op 0
		.amdhsa_exception_fp_denorm_src 0
		.amdhsa_exception_fp_ieee_div_zero 0
		.amdhsa_exception_fp_ieee_overflow 0
		.amdhsa_exception_fp_ieee_underflow 0
		.amdhsa_exception_fp_ieee_inexact 0
		.amdhsa_exception_int_div_zero 0
	.end_amdhsa_kernel
	.section	.text._ZN12_GLOBAL__N_139chunk_gated_delta_rule_fwd_h_hip_kernelILi16ELb0ELb1ELb1ELb1ELb1ELb1ELb1ELb1EEEvPK12hip_bfloat16S3_S3_PKfS5_PKvPS1_S8_PvPKiSB_iiiiilll,"axG",@progbits,_ZN12_GLOBAL__N_139chunk_gated_delta_rule_fwd_h_hip_kernelILi16ELb0ELb1ELb1ELb1ELb1ELb1ELb1ELb1EEEvPK12hip_bfloat16S3_S3_PKfS5_PKvPS1_S8_PvPKiSB_iiiiilll,comdat
.Lfunc_end517:
	.size	_ZN12_GLOBAL__N_139chunk_gated_delta_rule_fwd_h_hip_kernelILi16ELb0ELb1ELb1ELb1ELb1ELb1ELb1ELb1EEEvPK12hip_bfloat16S3_S3_PKfS5_PKvPS1_S8_PvPKiSB_iiiiilll, .Lfunc_end517-_ZN12_GLOBAL__N_139chunk_gated_delta_rule_fwd_h_hip_kernelILi16ELb0ELb1ELb1ELb1ELb1ELb1ELb1ELb1EEEvPK12hip_bfloat16S3_S3_PKfS5_PKvPS1_S8_PvPKiSB_iiiiilll
                                        ; -- End function
	.section	.AMDGPU.csdata,"",@progbits
; Kernel info:
; codeLenInByte = 8120
; NumSgprs: 76
; NumVgprs: 114
; NumAgprs: 12
; TotalNumVgprs: 128
; ScratchSize: 0
; MemoryBound: 0
; FloatMode: 240
; IeeeMode: 1
; LDSByteSize: 40960 bytes/workgroup (compile time only)
; SGPRBlocks: 9
; VGPRBlocks: 15
; NumSGPRsForWavesPerEU: 76
; NumVGPRsForWavesPerEU: 128
; AccumOffset: 116
; Occupancy: 1
; WaveLimiterHint : 1
; COMPUTE_PGM_RSRC2:SCRATCH_EN: 0
; COMPUTE_PGM_RSRC2:USER_SGPR: 2
; COMPUTE_PGM_RSRC2:TRAP_HANDLER: 0
; COMPUTE_PGM_RSRC2:TGID_X_EN: 1
; COMPUTE_PGM_RSRC2:TGID_Y_EN: 1
; COMPUTE_PGM_RSRC2:TGID_Z_EN: 0
; COMPUTE_PGM_RSRC2:TIDIG_COMP_CNT: 0
; COMPUTE_PGM_RSRC3_GFX90A:ACCUM_OFFSET: 28
; COMPUTE_PGM_RSRC3_GFX90A:TG_SPLIT: 0
	.section	.text._ZN12_GLOBAL__N_139chunk_gated_delta_rule_fwd_h_hip_kernelILi16ELb0ELb1ELb0ELb1ELb1ELb1ELb1ELb1EEEvPK12hip_bfloat16S3_S3_PKfS5_PKvPS1_S8_PvPKiSB_iiiiilll,"axG",@progbits,_ZN12_GLOBAL__N_139chunk_gated_delta_rule_fwd_h_hip_kernelILi16ELb0ELb1ELb0ELb1ELb1ELb1ELb1ELb1EEEvPK12hip_bfloat16S3_S3_PKfS5_PKvPS1_S8_PvPKiSB_iiiiilll,comdat
	.globl	_ZN12_GLOBAL__N_139chunk_gated_delta_rule_fwd_h_hip_kernelILi16ELb0ELb1ELb0ELb1ELb1ELb1ELb1ELb1EEEvPK12hip_bfloat16S3_S3_PKfS5_PKvPS1_S8_PvPKiSB_iiiiilll ; -- Begin function _ZN12_GLOBAL__N_139chunk_gated_delta_rule_fwd_h_hip_kernelILi16ELb0ELb1ELb0ELb1ELb1ELb1ELb1ELb1EEEvPK12hip_bfloat16S3_S3_PKfS5_PKvPS1_S8_PvPKiSB_iiiiilll
	.p2align	8
	.type	_ZN12_GLOBAL__N_139chunk_gated_delta_rule_fwd_h_hip_kernelILi16ELb0ELb1ELb0ELb1ELb1ELb1ELb1ELb1EEEvPK12hip_bfloat16S3_S3_PKfS5_PKvPS1_S8_PvPKiSB_iiiiilll,@function
_ZN12_GLOBAL__N_139chunk_gated_delta_rule_fwd_h_hip_kernelILi16ELb0ELb1ELb0ELb1ELb1ELb1ELb1ELb1EEEvPK12hip_bfloat16S3_S3_PKfS5_PKvPS1_S8_PvPKiSB_iiiiilll: ; @_ZN12_GLOBAL__N_139chunk_gated_delta_rule_fwd_h_hip_kernelILi16ELb0ELb1ELb0ELb1ELb1ELb1ELb1ELb1EEEvPK12hip_bfloat16S3_S3_PKfS5_PKvPS1_S8_PvPKiSB_iiiiilll
; %bb.0:
	s_load_dwordx4 s[16:19], s[0:1], 0x5c
	s_load_dwordx4 s[20:23], s[0:1], 0x70
	s_abs_i32 s27, s3
	s_ashr_i32 s26, s3, 31
	s_load_dwordx8 s[4:11], s[0:1], 0x0
	s_load_dwordx2 s[36:37], s[0:1], 0x20
	s_load_dwordx2 s[42:43], s[0:1], 0x30
	s_waitcnt lgkmcnt(0)
	s_abs_i32 s28, s17
	v_cvt_f32_u32_e32 v1, s28
	s_sub_i32 s29, 0, s28
	s_ashr_i32 s33, s17, 31
	s_xor_b32 s26, s26, s33
	v_rcp_iflag_f32_e32 v1, v1
	s_load_dwordx4 s[12:15], s[0:1], 0x40
	s_load_dwordx2 s[24:25], s[0:1], 0x50
	v_lshrrev_b32_e32 v45, 6, v0
	v_bfe_u32 v60, v0, 4, 2
	v_mul_f32_e32 v1, 0x4f7ffffe, v1
	v_cvt_u32_f32_e32 v1, v1
	v_lshlrev_b32_e32 v58, 4, v45
	v_lshlrev_b32_e32 v2, 2, v60
	v_and_b32_e32 v59, 63, v0
	v_readfirstlane_b32 s30, v1
	s_mul_i32 s29, s29, s30
	s_mul_hi_u32 s29, s30, s29
	s_add_i32 s30, s30, s29
	s_mul_hi_u32 s29, s27, s30
	s_mul_i32 s30, s29, s28
	s_sub_i32 s27, s27, s30
	s_add_i32 s30, s29, 1
	s_sub_i32 s31, s27, s28
	s_cmp_ge_u32 s27, s28
	s_cselect_b32 s29, s30, s29
	s_cselect_b32 s27, s31, s27
	s_add_i32 s30, s29, 1
	s_cmp_ge_u32 s27, s28
	s_cselect_b32 s27, s30, s29
	s_xor_b32 s27, s27, s26
	s_sub_i32 s34, s27, s26
	s_mul_i32 s26, s34, s17
	s_ashr_i32 s35, s34, 31
	s_sub_i32 s46, s3, s26
	s_lshl_b64 s[26:27], s[34:35], 2
	s_waitcnt lgkmcnt(0)
	s_add_u32 s14, s14, s26
	s_addc_u32 s15, s15, s27
	s_add_u32 s24, s24, s26
	s_addc_u32 s25, s25, s27
	s_abs_i32 s3, s18
	v_cvt_f32_u32_e32 v1, s3
	s_load_dwordx2 s[38:39], s[14:15], 0x0
	s_sub_i32 s15, 0, s3
	s_load_dword s53, s[24:25], 0x0
	v_rcp_iflag_f32_e32 v1, v1
	v_mov_b32_e32 v49, 0
	s_waitcnt lgkmcnt(0)
	s_sub_i32 s51, s39, s38
	s_ashr_i32 s14, s51, 31
	v_mul_f32_e32 v1, 0x4f7ffffe, v1
	v_cvt_u32_f32_e32 v1, v1
	s_lshr_b32 s14, s14, 26
	s_add_i32 s14, s51, s14
	s_ashr_i32 s52, s14, 6
	v_readfirstlane_b32 s26, v1
	s_mul_i32 s15, s15, s26
	s_mul_hi_u32 s15, s26, s15
	s_add_i32 s26, s26, s15
	s_mul_hi_u32 s15, s28, s26
	s_mul_i32 s26, s15, s3
	s_ashr_i32 s14, s18, 31
	s_sub_i32 s26, s28, s26
	s_xor_b32 s14, s33, s14
	s_add_i32 s27, s15, 1
	s_sub_i32 s28, s26, s3
	s_cmp_ge_u32 s26, s3
	s_cselect_b32 s15, s27, s15
	s_cselect_b32 s26, s28, s26
	s_add_i32 s27, s15, 1
	s_cmp_ge_u32 s26, s3
	s_cselect_b32 s3, s27, s15
	s_xor_b32 s3, s3, s14
	s_sub_i32 s3, s3, s14
	s_abs_i32 s26, s3
	v_cvt_f32_u32_e32 v1, s26
	s_load_dwordx2 s[14:15], s[0:1], 0x80
	s_xor_b32 s0, s46, s3
	s_sub_i32 s3, 0, s26
	v_rcp_iflag_f32_e32 v1, v1
	s_abs_i32 s1, s46
	s_ashr_i32 s0, s0, 31
	s_mov_b32 s47, s17
	v_mul_f32_e32 v1, 0x4f7ffffe, v1
	v_cvt_u32_f32_e32 v1, v1
	v_and_b32_e32 v61, 15, v0
	s_mul_hi_i32 s54, s46, s16
	s_mul_i32 s55, s46, s16
	v_readfirstlane_b32 s24, v1
	s_mul_i32 s3, s3, s24
	s_mul_hi_u32 s3, s24, s3
	s_add_i32 s24, s24, s3
	s_mul_hi_u32 s3, s1, s24
	s_mul_i32 s24, s3, s26
	s_sub_i32 s1, s1, s24
	s_add_i32 s24, s3, 1
	s_sub_i32 s25, s1, s26
	s_cmp_ge_u32 s1, s26
	s_cselect_b32 s3, s24, s3
	s_cselect_b32 s1, s25, s1
	s_add_i32 s24, s3, 1
	s_cmp_ge_u32 s1, s26
	s_cselect_b32 s1, s24, s3
	s_xor_b32 s1, s1, s0
	s_sub_i32 s56, s1, s0
	v_or_b32_e32 v1, v2, v58
	s_lshl_b32 s2, s2, 4
	v_or_b32_e32 v64, 64, v1
	s_cmp_lt_i32 s51, 64
	v_lshrrev_b32_e32 v63, 3, v59
	v_lshlrev_b32_e32 v62, 3, v0
	s_mul_i32 s48, s34, s21
	s_mul_hi_u32 s49, s34, s20
	s_mul_i32 s50, s35, s20
	s_mul_i32 s40, s34, s20
	v_mov_b32_e32 v48, v49
	v_mov_b32_e32 v51, v49
	;; [unrolled: 1-line block ×7, first 2 shown]
	s_cbranch_scc1 .LBB518_18
; %bb.1:
	s_ashr_i32 s58, s46, 31
	s_ashr_i32 s1, s38, 31
	s_add_u32 s0, s55, s38
	s_addc_u32 s1, s54, s1
	s_lshl_b64 s[0:1], s[0:1], 8
	v_and_b32_e32 v66, 56, v62
	s_add_u32 s24, s6, s0
	v_lshl_or_b32 v65, v45, 3, v63
	v_lshlrev_b32_e32 v3, 1, v66
	s_addc_u32 s0, s7, s1
	v_lshl_or_b32 v67, v65, 8, v3
	s_and_b32 s25, s0, 0xffff
	s_mov_b32 s27, 0x20000
	s_movk_i32 s26, 0x4000
	s_movk_i32 s0, 0x80
	v_or_b32_e32 v68, 0x2000, v67
	buffer_load_dwordx4 v[4:7], v67, s[24:27], 0 offen
	buffer_load_dwordx4 v[8:11], v67, s[24:27], s0 offen
	;; [unrolled: 1-line block ×4, first 2 shown]
	v_lshlrev_b32_e32 v20, 3, v65
	v_and_or_b32 v22, v0, 7, v20
	v_and_b32_e32 v20, 0x78, v20
	v_lshlrev_b32_e32 v22, 4, v22
	v_xor_b32_e32 v69, v22, v20
	v_mul_lo_u32 v21, v65, s19
	v_or_b32_e32 v70, 0x1000, v69
	s_cmpk_eq_i32 s19, 0x80
	s_mov_b32 s57, s38
	v_xor_b32_e32 v20, 8, v69
	v_xor_b32_e32 v22, 8, v70
	s_cselect_b64 s[0:1], -1, 0
	s_cmpk_lg_i32 s19, 0x80
	s_waitcnt vmcnt(3)
	ds_write_b64 v69, v[4:5] offset:16384
	ds_write_b64 v20, v[6:7] offset:16384
	s_waitcnt vmcnt(2)
	ds_write_b64 v69, v[8:9] offset:24576
	ds_write_b64 v20, v[10:11] offset:24576
	;; [unrolled: 3-line block ×4, first 2 shown]
	v_lshl_add_u32 v4, v21, 1, v66
	s_cbranch_scc0 .LBB518_3
; %bb.2:
	v_lshlrev_b32_e32 v6, 1, v4
	v_add_lshl_u32 v5, v4, s19, 1
	s_lshl_b32 s26, s19, 7
	v_lshl_or_b32 v3, v65, 9, v3
	s_cbranch_execz .LBB518_4
	s_branch .LBB518_5
.LBB518_3:
                                        ; implicit-def: $vgpr5
                                        ; implicit-def: $vgpr6
                                        ; implicit-def: $sgpr26
	v_lshl_or_b32 v3, v65, 9, v3
.LBB518_4:
	v_or_b32_e32 v5, 0x100, v3
	s_movk_i32 s26, 0x4000
	v_mov_b32_e32 v6, v3
.LBB518_5:
	s_mul_i32 s20, s38, s18
	s_ashr_i32 s59, s56, 31
	s_mul_hi_i32 s3, s38, s18
	s_add_u32 s20, s20, s56
	s_addc_u32 s21, s3, s59
	s_lshl_b64 s[20:21], s[20:21], 8
	s_add_u32 s24, s4, s20
	s_addc_u32 s3, s5, s21
	s_and_b32 s25, s3, 0xffff
	s_movk_i32 s60, 0x80
	buffer_load_dwordx4 v[8:11], v6, s[24:27], 0 offen
	buffer_load_dwordx4 v[12:15], v6, s[24:27], s60 offen
	;; [unrolled: 1-line block ×4, first 2 shown]
	v_and_b32_e32 v5, 6, v0
	v_lshlrev_b32_e32 v7, 2, v61
	v_lshlrev_b32_e32 v24, 3, v61
	v_xor_b32_e32 v26, v65, v5
	v_and_b32_e32 v6, 1, v0
	v_lshl_or_b32 v24, v1, 5, v24
	v_xor_b32_e32 v27, v1, v7
	v_lshlrev_b32_e32 v26, 2, v26
	s_mul_i32 s3, s46, s23
	s_mul_hi_u32 s21, s46, s22
	v_or_b32_e32 v71, 0x9000, v24
	v_or_b32_e32 v72, 0x9800, v24
	v_lshlrev_b32_e32 v24, 1, v27
	v_xor_b32_e32 v27, 0x440, v26
	v_cmp_eq_u32_e32 vcc, 0, v6
	s_add_i32 s25, s49, s48
	s_mul_i32 s24, s58, s22
	v_cndmask_b32_e32 v6, v27, v26, vcc
	s_add_i32 s3, s21, s3
	s_add_i32 s41, s25, s50
	s_mov_b32 s61, 0x1000504
	v_lshlrev_b32_e32 v25, 8, v61
	s_mov_b32 s26, 0x8000
	v_xor_b32_e32 v7, v64, v7
	v_lshl_or_b32 v5, v5, 10, v6
	s_add_i32 s21, s3, s24
	s_lshl_b64 s[24:25], s[40:41], 2
	s_mov_b32 s62, 0x3020706
	s_mul_i32 s20, s46, s22
	v_lshlrev_b32_e32 v7, 1, v7
	v_or3_b32 v73, v24, v25, s26
	v_xor_b32_e32 v6, 8, v5
	v_xor_b32_e32 v24, 24, v5
	;; [unrolled: 1-line block ×4, first 2 shown]
	s_add_u32 s3, s10, s24
	v_or3_b32 v74, v7, v25, s26
	v_xor_b32_e32 v7, 16, v5
	v_xor_b32_e32 v25, 32, v5
	;; [unrolled: 1-line block ×3, first 2 shown]
	v_add_u32_e32 v6, 0x80, v6
	v_add_u32_e32 v24, 0x80, v24
	;; [unrolled: 1-line block ×4, first 2 shown]
	s_addc_u32 s24, s11, s25
	s_lshl_b64 s[20:21], s[20:21], 2
	s_add_u32 s20, s3, s20
	s_movk_i32 s3, 0xf8
	s_addc_u32 s21, s24, s21
	s_lshl_b32 s30, s19, 7
	v_mov_b32_e32 v47, 0
	s_mov_b32 s63, 0
	v_add_u32_e32 v85, v58, v2
	v_mov_b32_e32 v52, v47
	v_mov_b32_e32 v53, v47
	;; [unrolled: 1-line block ×6, first 2 shown]
	s_waitcnt vmcnt(1)
	v_perm_b32 v29, v8, v16, s61
	s_waitcnt vmcnt(0)
	v_perm_b32 v30, v12, v20, s61
	v_perm_b32 v8, v8, v16, s62
	;; [unrolled: 1-line block ×15, first 2 shown]
	ds_write2st64_b32 v5, v29, v30 offset1:32
	ds_write2st64_b32 v6, v8, v12 offset1:32
	ds_write2st64_b32 v7, v16, v20 offset0:1 offset1:33
	ds_write2st64_b32 v24, v9, v13 offset0:1 offset1:33
	;; [unrolled: 1-line block ×6, first 2 shown]
	v_or_b32_e32 v5, v58, v61
	v_lshlrev_b32_e32 v5, 3, v5
	v_lshrrev_b32_e32 v7, 5, v59
	v_and_or_b32 v7, v5, s3, v7
	v_lshlrev_b32_e32 v7, 4, v7
	v_lshrrev_b32_e32 v6, 2, v59
	v_lshlrev_b32_e32 v9, 11, v45
	v_and_b32_e32 v5, 0x78, v5
	v_or_b32_e32 v12, 32, v7
	v_and_b32_e32 v8, 12, v6
	v_and_b32_e32 v6, 0x1000, v9
	v_lshrrev_b32_e32 v11, 1, v59
	v_xor_b32_e32 v12, v12, v5
	v_and_b32_e32 v11, 8, v11
	v_or_b32_e32 v12, v12, v6
	v_xor_b32_e32 v10, v7, v5
	v_xor_b32_e32 v77, v12, v11
	v_or_b32_e32 v12, 64, v7
	v_or_b32_e32 v7, 0x60, v7
	;; [unrolled: 1-line block ×3, first 2 shown]
	v_xor_b32_e32 v12, v12, v5
	v_xor_b32_e32 v5, v7, v5
	;; [unrolled: 1-line block ×3, first 2 shown]
	v_and_b32_e32 v10, 0x78, v62
	v_or_b32_e32 v5, v5, v6
	v_lshl_or_b32 v10, v60, 7, v10
	v_or_b32_e32 v12, v12, v6
	v_xor_b32_e32 v79, v5, v11
	s_ashr_i32 s3, s2, 31
	v_lshlrev_b32_e32 v5, 1, v61
	v_or_b32_e32 v76, 0x9000, v10
	v_xor_b32_e32 v78, v12, v11
	v_or_b32_e32 v80, 0x9800, v10
	v_lshlrev_b32_e32 v10, 1, v4
	v_add_lshl_u32 v11, v4, s19, 1
	v_lshrrev_b32_e32 v4, 4, v0
	s_lshl_b64 s[24:25], s[2:3], 8
	v_or_b32_e32 v13, 1, v5
	s_add_u32 s24, s42, s24
	v_xor_b32_e32 v5, v4, v5
	v_xor_b32_e32 v13, v13, v4
	s_addc_u32 s25, s43, s25
	v_lshlrev_b32_e32 v5, 3, v5
	v_lshlrev_b32_e32 v46, 8, v4
	;; [unrolled: 1-line block ×3, first 2 shown]
	v_lshrrev_b32_e32 v17, 1, v0
	v_or3_b32 v81, v5, v46, s26
	v_or3_b32 v82, v4, v46, s26
	v_lshl_add_u64 v[4:5], s[24:25], 0, v[46:47]
	v_lshlrev_b32_e32 v46, 4, v61
	s_movk_i32 s3, 0xff
	v_lshlrev_b32_e32 v16, 3, v45
	v_and_b32_e32 v17, 24, v17
	v_lshl_add_u64 v[54:55], v[4:5], 0, v[46:47]
	v_and_b32_e32 v5, 8, v0
	v_cmp_lt_u32_e32 vcc, s3, v0
	v_xor_b32_e32 v18, v16, v17
	v_or_b32_e32 v19, 0x440, v18
	v_cndmask_b32_e64 v15, 0, 1, vcc
	v_cmp_eq_u32_e32 vcc, 0, v5
	v_or_b32_e32 v21, 64, v17
	v_xor_b32_e32 v21, v16, v21
	v_cndmask_b32_e32 v5, v19, v18, vcc
	v_or_b32_e32 v19, 32, v17
	v_or_b32_e32 v17, 0x60, v17
	v_xor_b32_e32 v19, v16, v19
	v_xor_b32_e32 v16, v16, v17
	v_or_b32_e32 v20, 0x440, v19
	v_xor_b32_e32 v22, 0x440, v21
	v_xor_b32_e32 v17, 0x440, v16
	v_and_b32_e32 v4, 7, v0
	v_cndmask_b32_e32 v19, v20, v19, vcc
	v_cndmask_b32_e32 v21, v22, v21, vcc
	;; [unrolled: 1-line block ×3, first 2 shown]
	v_or_b32_e32 v6, s2, v61
	v_lshlrev_b32_e32 v13, 3, v4
	v_or_b32_e32 v5, v5, v9
	v_or_b32_e32 v19, v19, v9
	;; [unrolled: 1-line block ×4, first 2 shown]
	v_ashrrev_i32_e32 v7, 31, v6
	v_lshlrev_b32_e32 v15, 13, v15
	v_xor_b32_e32 v5, v5, v13
	v_xor_b32_e32 v19, v19, v13
	v_xor_b32_e32 v21, v21, v13
	v_xor_b32_e32 v9, v9, v13
	v_lshl_add_u64 v[6:7], v[6:7], 1, s[8:9]
	v_or_b32_e32 v12, 0x100, v3
	v_lshlrev_b32_e32 v14, 7, v4
	v_or_b32_e32 v4, v8, v58
	v_add_u32_e32 v18, v15, v5
	v_add_u32_e32 v20, v15, v19
	;; [unrolled: 1-line block ×4, first 2 shown]
	v_or3_b32 v8, v58, v8, 64
	v_add_u32_e32 v5, 0x2000, v5
	v_add_u32_e32 v15, 0x2000, v19
	;; [unrolled: 1-line block ×4, first 2 shown]
	v_lshlrev_b32_e32 v46, 8, v1
	v_cndmask_b32_e64 v83, v10, v3, s[0:1]
	v_cndmask_b32_e64 v84, v11, v12, s[0:1]
	v_lshl_add_u64 v[56:57], v[6:7], 0, v[46:47]
	s_mov_b32 s3, 0x7060302
	s_movk_i32 s26, 0x4000
	v_lshlrev_b32_e32 v86, 2, v4
	v_add_u32_e32 v87, v18, v14
	v_add_u32_e32 v88, v20, v14
	v_add_u32_e32 v89, v22, v14
	v_add_u32_e32 v90, v13, v14
	v_lshlrev_b32_e32 v91, 2, v8
	v_add_u32_e32 v92, v5, v14
	v_add_u32_e32 v93, v15, v14
	;; [unrolled: 1-line block ×4, first 2 shown]
	v_mov_b32_e32 v46, v47
	s_waitcnt lgkmcnt(0)
	s_barrier
.LBB518_6:                              ; =>This Inner Loop Header: Depth=1
	s_add_i32 s41, s63, 1
	s_cmp_lt_i32 s41, s52
	s_mov_b64 s[28:29], 0
	s_cselect_b64 s[44:45], -1, 0
	s_cmp_ge_i32 s41, s52
	s_mov_b64 s[24:25], 0
	s_cbranch_scc1 .LBB518_8
; %bb.7:                                ;   in Loop: Header=BB518_6 Depth=1
	s_add_i32 s0, s57, 64
	s_ashr_i32 s1, s0, 31
	s_add_u32 s0, s55, s0
	s_addc_u32 s1, s54, s1
	s_lshl_b64 s[0:1], s[0:1], 8
	s_add_u32 s24, s6, s0
	s_addc_u32 s25, s7, s1
.LBB518_8:                              ;   in Loop: Header=BB518_6 Depth=1
	v_cndmask_b32_e64 v2, 0, 1, s[44:45]
	v_cmp_ne_u32_e64 s[0:1], 1, v2
	s_andn2_b64 vcc, exec, s[44:45]
	s_cbranch_vccnz .LBB518_10
; %bb.9:                                ;   in Loop: Header=BB518_6 Depth=1
	s_add_i32 s28, s57, 64
	s_mul_hi_i32 s29, s28, s18
	s_mul_i32 s28, s28, s18
	s_add_u32 s28, s28, s56
	s_addc_u32 s29, s29, s59
	s_lshl_b64 s[28:29], s[28:29], 8
	s_add_u32 s28, s4, s28
	s_addc_u32 s29, s5, s29
.LBB518_10:                             ;   in Loop: Header=BB518_6 Depth=1
	v_perm_b32 v3, v53, v52, s3
	v_perm_b32 v2, v47, v46, s3
	;; [unrolled: 1-line block ×4, first 2 shown]
	ds_write_b64 v71, v[2:3]
	ds_write_b64 v72, v[4:5]
	;; [unrolled: 1-line block ×4, first 2 shown]
	s_waitcnt lgkmcnt(0)
	s_barrier
	ds_read_b64 v[10:11], v75 offset:16384
	ds_read_b64 v[12:13], v77 offset:16384
	ds_read2st64_b64 v[2:5], v76 offset1:1
	s_waitcnt lgkmcnt(0)
	v_mfma_f32_16x16x16_bf16 a[0:3], v[10:11], v[2:3], 0
	ds_read2st64_b64 v[6:9], v76 offset0:2 offset1:3
	ds_read_b64 v[14:15], v78 offset:16384
	ds_read_b64 v[2:3], v79 offset:16384
	s_add_i32 s64, s57, 63
	v_mfma_f32_16x16x16_bf16 a[0:3], v[12:13], v[4:5], a[0:3]
	s_ashr_i32 s31, s64, 31
	s_mul_i32 s44, s64, s15
	s_mul_hi_u32 s45, s64, s14
	s_waitcnt lgkmcnt(1)
	v_mfma_f32_16x16x16_bf16 a[0:3], v[14:15], v[6:7], a[0:3]
	s_add_i32 s44, s45, s44
	s_mul_i32 s31, s31, s14
	s_add_i32 s45, s44, s31
	s_mul_i32 s44, s64, s14
	s_waitcnt lgkmcnt(0)
	v_mfma_f32_16x16x16_bf16 a[0:3], v[2:3], v[8:9], a[0:3]
	s_lshl_b64 s[44:45], s[44:45], 2
	s_add_u32 s44, s20, s44
	s_addc_u32 s45, s21, s45
	s_and_b64 vcc, exec, s[0:1]
	v_mov_b32_e32 v98, 0
	v_mov_b32_e32 v97, 0
	;; [unrolled: 1-line block ×19, first 2 shown]
	s_cbranch_vccnz .LBB518_12
; %bb.11:                               ;   in Loop: Header=BB518_6 Depth=1
	s_and_b32 s25, s25, 0xffff
	buffer_load_dwordx4 v[14:17], v67, s[24:27], 0 offen
	buffer_load_dwordx4 v[10:13], v67, s[24:27], s60 offen
	;; [unrolled: 1-line block ×4, first 2 shown]
	v_mov_b32_e32 v97, v69
	v_mov_b32_e32 v96, v70
.LBB518_12:                             ;   in Loop: Header=BB518_6 Depth=1
	v_add_u32_e32 v22, s57, v85
	v_ashrrev_i32_e32 v18, 31, v22
	v_mul_lo_u32 v20, v18, s14
	v_mul_lo_u32 v21, v22, s15
	v_mad_u64_u32 v[18:19], s[24:25], v22, s14, 0
	v_add3_u32 v19, v19, v21, v20
	v_lshl_add_u64 v[18:19], v[18:19], 2, s[20:21]
	global_load_dword v40, v[18:19], off
	v_add_u32_e32 v18, 1, v22
	v_ashrrev_i32_e32 v19, 31, v18
	v_mul_lo_u32 v20, v19, s14
	v_mul_lo_u32 v21, v18, s15
	v_mad_u64_u32 v[18:19], s[24:25], v18, s14, 0
	v_add3_u32 v19, v19, v21, v20
	v_add_u32_e32 v20, 2, v22
	v_ashrrev_i32_e32 v21, 31, v20
	v_mul_lo_u32 v23, v21, s14
	v_mul_lo_u32 v24, v20, s15
	v_mad_u64_u32 v[20:21], s[24:25], v20, s14, 0
	v_add_u32_e32 v22, 3, v22
	v_add3_u32 v21, v21, v24, v23
	v_ashrrev_i32_e32 v23, 31, v22
	v_mul_lo_u32 v26, v23, s14
	v_mul_lo_u32 v27, v22, s15
	v_mad_u64_u32 v[22:23], s[24:25], v22, s14, 0
	s_ashr_i32 s25, s57, 31
	s_add_u32 s24, s55, s57
	s_addc_u32 s25, s54, s25
	s_lshl_b64 s[24:25], s[24:25], 8
	v_lshl_add_u64 v[18:19], v[18:19], 2, s[20:21]
	v_lshl_add_u64 v[24:25], v[56:57], 0, s[24:25]
	v_add3_u32 v23, v23, v27, v26
	v_lshl_add_u64 v[20:21], v[20:21], 2, s[20:21]
	global_load_ushort v41, v[24:25], off
	global_load_ushort v42, v[24:25], off offset:256
	global_load_ushort v43, v[24:25], off offset:512
	;; [unrolled: 1-line block ×3, first 2 shown]
	v_lshl_add_u64 v[22:23], v[22:23], 2, s[20:21]
	global_load_dword v100, v[18:19], off
	global_load_dword v101, v[20:21], off
	;; [unrolled: 1-line block ×3, first 2 shown]
	s_load_dword s24, s[44:45], 0x0
	ds_read2st64_b64 v[26:29], v80 offset1:1
	ds_read2st64_b64 v[30:33], v80 offset0:2 offset1:3
	ds_read_b64 v[24:25], v75 offset:24576
	ds_read_b64 v[34:35], v77 offset:24576
	;; [unrolled: 1-line block ×4, first 2 shown]
	s_waitcnt lgkmcnt(0)
	v_mfma_f32_16x16x16_bf16 a[0:3], v[24:25], v[26:27], a[0:3]
	v_mov_b32_e32 v99, 0
	v_mov_b32_e32 v18, 0
	v_mov_b32_e32 v19, 0
	v_mfma_f32_16x16x16_bf16 a[0:3], v[34:35], v[28:29], a[0:3]
	v_mov_b32_e32 v20, 0
	v_mov_b32_e32 v21, 0
	v_mov_b32_e32 v22, 0
	;; [unrolled: 4-line block ×4, first 2 shown]
	v_mov_b32_e32 v29, 0
	v_mov_b32_e32 v30, 0
	;; [unrolled: 1-line block ×3, first 2 shown]
	s_and_b64 vcc, exec, s[0:1]
	v_accvgpr_read_b32 v35, a1
	v_accvgpr_read_b32 v33, a3
	;; [unrolled: 1-line block ×4, first 2 shown]
	s_waitcnt vmcnt(7)
	v_sub_f32_e32 v40, s24, v40
	v_exp_f32_e32 v40, v40
	s_waitcnt vmcnt(6)
	v_lshlrev_b32_e32 v36, 16, v41
	s_waitcnt vmcnt(5)
	v_lshlrev_b32_e32 v37, 16, v42
	;; [unrolled: 2-line block ×3, first 2 shown]
	s_waitcnt vmcnt(2)
	v_sub_f32_e32 v41, s24, v100
	s_waitcnt vmcnt(1)
	v_sub_f32_e32 v42, s24, v101
	;; [unrolled: 2-line block ×3, first 2 shown]
	v_exp_f32_e32 v41, v41
	v_exp_f32_e32 v42, v42
	;; [unrolled: 1-line block ×3, first 2 shown]
	v_lshlrev_b32_e32 v39, 16, v44
	v_pk_add_f32 v[34:35], v[36:37], v[34:35] neg_lo:[0,1] neg_hi:[0,1]
	v_pk_add_f32 v[32:33], v[38:39], v[32:33] neg_lo:[0,1] neg_hi:[0,1]
	v_pk_mul_f32 v[34:35], v[40:41], v[34:35]
	v_pk_mul_f32 v[32:33], v[42:43], v[32:33]
	s_nop 0
	v_perm_b32 v33, v33, v32, s3
	v_perm_b32 v32, v35, v34, s3
	ds_write_b64 v72, v[32:33]
	v_mov_b32_e32 v32, 0
	v_mov_b32_e32 v33, 0
	s_cbranch_vccnz .LBB518_14
; %bb.13:                               ;   in Loop: Header=BB518_6 Depth=1
	s_and_b32 s29, s29, 0xffff
	s_mov_b32 s31, s27
	buffer_load_dwordx4 v[30:33], v83, s[28:31], 0 offen
	buffer_load_dwordx4 v[22:25], v83, s[28:31], s60 offen
	;; [unrolled: 1-line block ×4, first 2 shown]
	v_mov_b32_e32 v98, v66
	v_mov_b32_e32 v99, v65
.LBB518_14:                             ;   in Loop: Header=BB518_6 Depth=1
	s_waitcnt lgkmcnt(0)
	s_barrier
	ds_read_b64 v[34:35], v87
	ds_read_b64 v[40:41], v88
	ds_read2st64_b64 v[36:39], v80 offset1:1
	ds_read2st64_b64 v[100:103], v80 offset0:2 offset1:3
	ds_read_b64 v[42:43], v89
	ds_read_b64 v[108:109], v90
	s_add_i32 s25, s53, s63
	s_mul_hi_i32 s29, s25, s47
	s_mul_i32 s25, s25, s47
	s_waitcnt lgkmcnt(3)
	v_mfma_f32_16x16x16_bf16 a[0:3], v[34:35], v[36:37], 0
	ds_read_b64 v[34:35], v92
	s_add_u32 s28, s25, s46
	s_addc_u32 s29, s29, s58
	v_mfma_f32_16x16x16_bf16 a[0:3], v[40:41], v[38:39], a[0:3]
	ds_read_b64 v[40:41], v93
	s_lshl_b64 s[28:29], s[28:29], 15
	s_mul_i32 s31, s64, s47
	s_mul_hi_i32 s25, s64, s47
	s_add_u32 s44, s31, s46
	s_addc_u32 s45, s25, s58
	s_lshl_b64 s[44:45], s[44:45], 9
	s_add_u32 s44, s36, s44
	s_waitcnt lgkmcnt(1)
	v_mfma_f32_16x16x16_bf16 a[4:7], v[34:35], v[36:37], 0
	s_addc_u32 s45, s37, s45
	s_and_b64 vcc, exec, s[0:1]
	v_mfma_f32_16x16x16_bf16 a[0:3], v[42:43], v[100:101], a[0:3]
	ds_read_b64 v[42:43], v94
	ds_read_b64 v[110:111], v95
	global_load_dwordx4 v[34:37], v91, s[44:45]
	s_waitcnt lgkmcnt(2)
	v_mfma_f32_16x16x16_bf16 a[4:7], v[40:41], v[38:39], a[4:7]
	global_load_dwordx4 v[38:41], v86, s[44:45]
	ds_read_b64 v[104:105], v81
	ds_read_b64 v[106:107], v82
	s_waitcnt lgkmcnt(3)
	v_mfma_f32_16x16x16_bf16 a[8:11], v[42:43], v[100:101], a[4:7]
	v_lshl_add_u64 v[42:43], v[54:55], 0, s[28:29]
	s_waitcnt lgkmcnt(0)
	global_store_dwordx4 v[42:43], v[104:107], off
	v_mfma_f32_16x16x16_bf16 a[4:7], v[108:109], v[102:103], a[0:3]
	s_waitcnt vmcnt(2)
	v_mov_b32_e32 v44, v37
	v_mfma_f32_16x16x16_bf16 a[0:3], v[110:111], v[102:103], a[8:11]
	v_mov_b32_e32 v43, v36
	v_mov_b32_e32 v42, v35
	s_cbranch_vccnz .LBB518_16
; %bb.15:                               ;   in Loop: Header=BB518_6 Depth=1
	v_lshrrev_b32_e32 v35, 3, v98
	v_and_b32_e32 v35, 6, v35
	v_xor_b32_e32 v36, v35, v99
	v_lshlrev_b32_e32 v36, 2, v36
	v_and_b32_e32 v37, 8, v98
	v_xor_b32_e32 v98, 0x440, v36
	v_cmp_eq_u32_e32 vcc, 0, v37
	v_perm_b32 v37, v22, v18, s61
	s_nop 0
	v_cndmask_b32_e32 v36, v98, v36, vcc
	v_lshl_or_b32 v35, v35, 10, v36
	v_perm_b32 v36, v30, v26, s61
	s_barrier
	ds_write2st64_b32 v35, v36, v37 offset1:32
	v_xor_b32_e32 v36, 8, v35
	v_perm_b32 v26, v30, v26, s62
	v_perm_b32 v18, v22, v18, s62
	v_add_u32_e32 v22, 0x80, v36
	ds_write2st64_b32 v22, v26, v18 offset1:32
	v_xor_b32_e32 v18, 16, v35
	v_perm_b32 v22, v31, v27, s61
	v_perm_b32 v26, v23, v19, s61
	ds_write2st64_b32 v18, v22, v26 offset0:1 offset1:33
	v_xor_b32_e32 v18, 24, v35
	v_perm_b32 v22, v31, v27, s62
	v_perm_b32 v19, v23, v19, s62
	v_add_u32_e32 v18, 0x80, v18
	ds_write2st64_b32 v18, v22, v19 offset0:1 offset1:33
	v_xor_b32_e32 v18, 32, v35
	v_perm_b32 v19, v32, v28, s61
	v_perm_b32 v22, v24, v20, s61
	ds_write2st64_b32 v18, v19, v22 offset0:2 offset1:34
	v_xor_b32_e32 v18, 40, v35
	v_perm_b32 v19, v32, v28, s62
	v_perm_b32 v20, v24, v20, s62
	v_add_u32_e32 v18, 0x80, v18
	ds_write2st64_b32 v18, v19, v20 offset0:2 offset1:34
	;; [unrolled: 9-line block ×3, first 2 shown]
	ds_write_b64 v97, v[14:15] offset:16384
	v_xor_b32_e32 v14, 8, v97
	ds_write_b64 v14, v[16:17] offset:16384
	ds_write_b64 v97, v[10:11] offset:24576
	;; [unrolled: 1-line block ×4, first 2 shown]
	v_xor_b32_e32 v6, 8, v96
	ds_write_b64 v6, v[8:9] offset:16384
	ds_write_b64 v96, v[2:3] offset:24576
	;; [unrolled: 1-line block ×3, first 2 shown]
.LBB518_16:                             ;   in Loop: Header=BB518_6 Depth=1
	v_exp_f32_e32 v10, s24
	s_waitcnt vmcnt(1)
	v_exp_f32_e32 v12, v38
	v_exp_f32_e32 v13, v39
	;; [unrolled: 1-line block ×4, first 2 shown]
	v_accvgpr_read_b32 v2, a4
	v_accvgpr_read_b32 v3, a5
	v_pk_mul_f32 v[12:13], v[10:11], v[12:13] op_sel_hi:[0,1]
	v_pk_fma_f32 v[46:47], v[46:47], v[12:13], v[2:3]
	v_exp_f32_e32 v12, v34
	v_exp_f32_e32 v13, v42
	v_pk_mul_f32 v[2:3], v[10:11], v[14:15] op_sel_hi:[0,1]
	v_exp_f32_e32 v14, v43
	v_exp_f32_e32 v15, v44
	v_accvgpr_read_b32 v4, a6
	v_accvgpr_read_b32 v5, a7
	;; [unrolled: 1-line block ×5, first 2 shown]
	v_pk_fma_f32 v[52:53], v[52:53], v[2:3], v[4:5]
	v_pk_mul_f32 v[2:3], v[10:11], v[12:13] op_sel_hi:[0,1]
	v_accvgpr_read_b32 v8, a2
	v_pk_fma_f32 v[50:51], v[50:51], v[2:3], v[6:7]
	v_pk_mul_f32 v[2:3], v[10:11], v[14:15] op_sel_hi:[0,1]
	s_add_i32 s57, s57, 64
	s_cmp_eq_u32 s52, s41
	v_pk_fma_f32 v[48:49], v[48:49], v[2:3], v[8:9]
	s_cbranch_scc1 .LBB518_18
; %bb.17:                               ;   in Loop: Header=BB518_6 Depth=1
	s_mov_b32 s63, s41
	s_branch .LBB518_6
.LBB518_18:
	s_lshl_b32 s3, s52, 6
	s_sub_i32 s51, s51, s3
	s_cmp_gt_i32 s51, 0
	v_or_b32_e32 v26, s2, v61
	s_cbranch_scc1 .LBB518_20
; %bb.19:
	s_ashr_i32 s21, s46, 31
	v_or_b32_e32 v2, s2, v61
	s_cbranch_execz .LBB518_21
	s_branch .LBB518_77
.LBB518_20:
                                        ; implicit-def: $vgpr2
                                        ; implicit-def: $sgpr20_sgpr21
.LBB518_21:
	s_add_i32 s20, s3, s38
	s_ashr_i32 s3, s20, 31
	s_cmpk_lg_i32 s19, 0x80
	s_cselect_b64 s[30:31], -1, 0
	s_and_b64 vcc, exec, s[30:31]
	s_cbranch_vccz .LBB518_23
; %bb.22:
	s_mul_hi_i32 s0, s20, s18
	s_mul_i32 s1, s20, s18
	s_ashr_i32 s18, s56, 31
	s_add_u32 s44, s1, s56
	s_addc_u32 s45, s0, s18
	s_cbranch_execz .LBB518_24
	s_branch .LBB518_25
.LBB518_23:
                                        ; implicit-def: $sgpr44_sgpr45
.LBB518_24:
	s_mul_i32 s1, s56, s16
	s_mul_hi_i32 s0, s56, s16
	s_add_u32 s44, s1, s20
	s_addc_u32 s45, s0, s3
.LBB518_25:
	s_add_i32 s16, s52, s53
	s_ashr_i32 s21, s46, 31
	s_add_u32 s0, s55, s20
	s_addc_u32 s1, s54, s3
	s_mov_b32 s3, 0x7060302
	v_lshlrev_b32_e32 v6, 3, v61
	s_lshl_b64 s[28:29], s[0:1], 8
	v_perm_b32 v3, v53, v52, s3
	v_perm_b32 v2, v47, v46, s3
	;; [unrolled: 1-line block ×4, first 2 shown]
	v_lshlrev_b32_e32 v36, 2, v61
	v_lshl_or_b32 v6, v1, 5, v6
	s_add_u32 s0, s6, s28
	ds_write2st64_b64 v6, v[2:3], v[4:5] offset0:72 offset1:76
	v_xor_b32_e32 v6, v1, v36
	v_lshlrev_b32_e32 v7, 8, v61
	s_addc_u32 s1, s7, s29
	v_lshl_or_b32 v6, v6, 1, v7
	s_mul_hi_i32 s3, s16, s17
	s_mul_i32 s16, s16, s17
	ds_write_b64 v6, v[2:3] offset:32768
	v_xor_b32_e32 v2, v64, v36
	s_add_u32 s6, s16, s46
	v_lshl_or_b32 v2, v2, 1, v7
	s_addc_u32 s7, s3, s21
	v_lshlrev_b32_e32 v3, 1, v61
	ds_write_b64 v2, v[4:5] offset:32768
	v_lshrrev_b32_e32 v2, 4, v0
	s_ashr_i32 s3, s2, 31
	s_lshl_b64 s[6:7], s[6:7], 15
	v_or_b32_e32 v4, 1, v3
	s_add_u32 s6, s42, s6
	v_xor_b32_e32 v3, v2, v3
	v_xor_b32_e32 v4, v4, v2
	v_lshlrev_b32_e32 v6, 8, v2
	s_addc_u32 s7, s43, s7
	s_lshl_b64 s[2:3], s[2:3], 8
	v_lshl_or_b32 v2, v3, 3, v6
	v_lshl_or_b32 v4, v4, 3, v6
	s_waitcnt lgkmcnt(0)
	s_barrier
	s_add_u32 s2, s6, s2
	ds_read_b64 v[2:3], v2 offset:32768
	ds_read_b64 v[4:5], v4 offset:32768
	s_addc_u32 s3, s7, s3
	v_mov_b32_e32 v7, 0
	s_cmp_lg_u32 s51, 64
	v_lshl_add_u64 v[8:9], s[2:3], 0, v[6:7]
	v_lshlrev_b32_e32 v6, 4, v61
	s_cselect_b64 s[6:7], -1, 0
	v_lshl_or_b32 v27, v45, 3, v63
	s_mov_b32 s24, 0
	v_lshl_add_u64 v[6:7], v[8:9], 0, v[6:7]
	v_or_b32_e32 v19, 32, v27
	v_and_b32_e32 v18, 56, v62
	s_and_b64 vcc, exec, s[6:7]
	s_waitcnt lgkmcnt(0)
	global_store_dwordx4 v[6:7], v[2:5], off
	s_cbranch_vccz .LBB518_31
; %bb.26:
	s_mov_b32 s25, s24
	s_mov_b32 s26, s24
	s_mov_b32 s27, s24
	v_mov_b64_e32 v[6:7], s[24:25]
	v_mov_b64_e32 v[8:9], s[26:27]
	;; [unrolled: 1-line block ×3, first 2 shown]
	v_cmp_gt_i32_e32 vcc, s51, v27
	v_mov_b64_e32 v[4:5], v[8:9]
	s_and_saveexec_b64 s[2:3], vcc
	s_cbranch_execz .LBB518_28
; %bb.27:
	v_lshlrev_b32_e32 v2, 8, v27
	v_mov_b32_e32 v3, 0
	v_lshl_add_u64 v[4:5], s[0:1], 0, v[2:3]
	v_lshlrev_b32_e32 v2, 1, v18
	v_lshl_add_u64 v[10:11], v[4:5], 0, v[2:3]
	global_load_dwordx4 v[6:9], v[10:11], off
	global_load_dwordx4 v[2:5], v[10:11], off offset:128
.LBB518_28:
	s_or_b64 exec, exec, s[2:3]
	s_mov_b32 s25, s24
	s_mov_b32 s26, s24
	;; [unrolled: 1-line block ×3, first 2 shown]
	v_mov_b64_e32 v[14:15], s[24:25]
	v_mov_b64_e32 v[16:17], s[26:27]
	;; [unrolled: 1-line block ×3, first 2 shown]
	v_cmp_gt_i32_e32 vcc, s51, v19
	v_lshlrev_b32_e32 v20, 7, v19
	v_mov_b64_e32 v[12:13], v[16:17]
	s_and_saveexec_b64 s[2:3], vcc
	s_cbranch_execz .LBB518_30
; %bb.29:
	v_lshlrev_b32_e32 v10, 1, v20
	v_mov_b32_e32 v11, 0
	v_lshl_add_u64 v[12:13], s[0:1], 0, v[10:11]
	v_lshlrev_b32_e32 v10, 1, v18
	v_lshl_add_u64 v[22:23], v[12:13], 0, v[10:11]
	global_load_dwordx4 v[14:17], v[22:23], off
	global_load_dwordx4 v[10:13], v[22:23], off offset:128
.LBB518_30:
	s_or_b64 exec, exec, s[2:3]
	v_lshrrev_b32_e32 v21, 3, v18
	v_lshlrev_b32_e32 v22, 3, v27
	v_or_b32_e32 v21, v22, v21
	v_lshlrev_b32_e32 v21, 4, v21
	v_and_b32_e32 v22, 0x78, v22
	v_xor_b32_e32 v21, v21, v22
	s_branch .LBB518_33
.LBB518_31:
                                        ; implicit-def: $vgpr21
                                        ; implicit-def: $vgpr20
                                        ; implicit-def: $vgpr6_vgpr7_vgpr8_vgpr9
                                        ; implicit-def: $vgpr2_vgpr3_vgpr4_vgpr5
                                        ; implicit-def: $vgpr14_vgpr15_vgpr16_vgpr17
                                        ; implicit-def: $vgpr10_vgpr11_vgpr12_vgpr13
	s_cbranch_execz .LBB518_33
; %bb.32:
	s_waitcnt vmcnt(0)
	v_lshlrev_b32_e32 v2, 1, v18
	v_lshl_or_b32 v20, v27, 8, v2
	s_and_b32 s1, s1, 0xffff
	s_mov_b32 s3, 0x20000
	s_movk_i32 s2, 0x4000
	v_lshl_or_b32 v21, v19, 8, v2
	s_movk_i32 s16, 0x80
	buffer_load_dwordx4 v[6:9], v20, s[0:3], 0 offen
	buffer_load_dwordx4 v[2:5], v20, s[0:3], s16 offen
	buffer_load_dwordx4 v[14:17], v21, s[0:3], 0 offen
	buffer_load_dwordx4 v[10:13], v21, s[0:3], s16 offen
	v_lshrrev_b32_e32 v20, 3, v18
	v_lshlrev_b32_e32 v21, 3, v27
	v_or_b32_e32 v20, v21, v20
	v_lshlrev_b32_e32 v20, 4, v20
	v_and_b32_e32 v21, 0x78, v21
	v_xor_b32_e32 v21, v20, v21
	v_lshlrev_b32_e32 v20, 7, v19
.LBB518_33:
	s_lshl_b64 s[0:1], s[44:45], 8
	s_add_u32 s4, s4, s0
	s_movk_i32 s0, 0x1000
	v_and_or_b32 v19, v20, s0, v21
	s_waitcnt vmcnt(1)
	ds_write_b64 v21, v[6:7] offset:16384
	v_xor_b32_e32 v6, 8, v21
	s_addc_u32 s5, s5, s1
	ds_write_b64 v6, v[8:9] offset:16384
	s_waitcnt vmcnt(0)
	ds_write_b64 v21, v[2:3] offset:24576
	ds_write_b64 v6, v[4:5] offset:24576
	;; [unrolled: 1-line block ×3, first 2 shown]
	v_xor_b32_e32 v2, 8, v19
	s_add_i32 s18, s39, -1
	ds_write_b64 v2, v[16:17] offset:16384
	ds_write_b64 v19, v[10:11] offset:24576
	;; [unrolled: 1-line block ×3, first 2 shown]
	s_mul_i32 s3, s18, s15
	s_mul_hi_u32 s16, s18, s14
	v_or_b32_e32 v2, v58, v61
	s_add_i32 s3, s16, s3
	v_lshlrev_b32_e32 v2, 3, v2
	v_lshrrev_b32_e32 v4, 5, v59
	s_movk_i32 s16, 0xf8
	v_and_or_b32 v4, v2, s16, v4
	v_lshlrev_b32_e32 v37, 11, v45
	v_lshlrev_b32_e32 v12, 4, v4
	v_and_b32_e32 v13, 0x78, v2
	v_and_b32_e32 v14, 0x1000, v37
	v_lshlrev_b32_e32 v3, 2, v0
	v_xor_b32_e32 v2, v12, v13
	v_lshrrev_b32_e32 v4, 1, v59
	v_and_b32_e32 v3, 60, v3
	v_or_b32_e32 v2, v2, v14
	v_and_b32_e32 v15, 8, v4
	v_xor_b32_e32 v28, v2, v15
	v_lshl_or_b32 v2, v60, 6, v3
	v_lshlrev_b32_e32 v38, 1, v2
	v_or_b32_e32 v2, 32, v12
	v_xor_b32_e32 v2, v2, v13
	s_waitcnt lgkmcnt(0)
	s_barrier
	ds_read_b64 v[10:11], v28 offset:16384
	v_or_b32_e32 v2, v2, v14
	v_xor_b32_e32 v29, v2, v15
	v_or_b32_e32 v2, 64, v12
	v_xor_b32_e32 v2, v2, v13
	v_or_b32_e32 v2, v2, v14
	v_or_b32_e32 v12, 0x60, v12
	v_xor_b32_e32 v30, v2, v15
	ds_read2st64_b64 v[2:5], v38 offset0:72 offset1:73
	ds_read2st64_b64 v[6:9], v38 offset0:74 offset1:75
	v_xor_b32_e32 v16, v12, v13
	ds_read_b64 v[12:13], v29 offset:16384
	s_waitcnt lgkmcnt(2)
	v_mfma_f32_16x16x16_bf16 a[0:3], v[10:11], v[2:3], 0
	s_add_i32 s0, s49, s48
	s_add_i32 s41, s0, s50
	s_mul_i32 s0, s46, s23
	s_mul_hi_u32 s1, s46, s22
	s_ashr_i32 s2, s18, 31
	s_add_i32 s0, s1, s0
	s_mul_i32 s1, s21, s22
	s_mul_i32 s2, s2, s14
	v_or_b32_e32 v14, v16, v14
	s_add_i32 s1, s0, s1
	s_mul_i32 s0, s46, s22
	s_add_i32 s3, s3, s2
	s_lshl_b64 s[22:23], s[40:41], 2
	v_xor_b32_e32 v39, v14, v15
	ds_read_b64 v[14:15], v30 offset:16384
	ds_read_b64 v[16:17], v39 offset:16384
	s_waitcnt lgkmcnt(2)
	v_mfma_f32_16x16x16_bf16 a[0:3], v[12:13], v[4:5], a[0:3]
	s_add_u32 s10, s10, s22
	s_addc_u32 s11, s11, s23
	s_lshl_b64 s[0:1], s[0:1], 2
	s_mul_i32 s2, s18, s14
	s_add_u32 s10, s10, s0
	s_addc_u32 s11, s11, s1
	s_lshl_b64 s[0:1], s[2:3], 2
	s_waitcnt lgkmcnt(1)
	v_mfma_f32_16x16x16_bf16 a[0:3], v[14:15], v[6:7], a[0:3]
	s_add_u32 s0, s10, s0
	s_addc_u32 s1, s11, s1
	s_load_dword s16, s[0:1], 0x0
	s_waitcnt lgkmcnt(0)
	v_mfma_f32_16x16x16_bf16 a[0:3], v[16:17], v[8:9], a[0:3]
	s_and_b64 vcc, exec, s[30:31]
	s_cbranch_vccz .LBB518_44
; %bb.34:
	v_lshlrev_b32_e32 v19, 1, v27
	s_and_b64 vcc, exec, s[6:7]
	s_cbranch_vccz .LBB518_45
; %bb.35:
	v_cmp_gt_i32_e32 vcc, s51, v19
	v_mov_b32_e32 v6, 0
	v_mov_b32_e32 v2, 0
	;; [unrolled: 1-line block ×5, first 2 shown]
	s_and_saveexec_b64 s[0:1], vcc
	s_cbranch_execz .LBB518_37
; %bb.36:
	v_mad_i64_i32 v[2:3], s[2:3], s19, v19, 0
	v_lshl_add_u64 v[2:3], v[2:3], 1, s[4:5]
	v_lshlrev_b32_e32 v4, 1, v18
	v_mov_b32_e32 v5, 0
	v_lshl_add_u64 v[2:3], v[2:3], 0, v[4:5]
	global_load_dwordx4 v[2:5], v[2:3], off
.LBB518_37:
	s_or_b64 exec, exec, s[0:1]
	v_or_b32_e32 v20, 1, v19
	v_cmp_gt_i32_e64 s[0:1], s51, v20
	v_mov_b32_e32 v7, 0
	v_mov_b32_e32 v8, 0
	;; [unrolled: 1-line block ×3, first 2 shown]
	s_and_saveexec_b64 s[2:3], s[0:1]
	s_cbranch_execz .LBB518_39
; %bb.38:
	v_mad_i64_i32 v[6:7], s[22:23], s19, v20, 0
	v_lshl_add_u64 v[6:7], v[6:7], 1, s[4:5]
	v_lshlrev_b32_e32 v8, 1, v18
	v_mov_b32_e32 v9, 0
	v_lshl_add_u64 v[6:7], v[6:7], 0, v[8:9]
	global_load_dwordx4 v[6:9], v[6:7], off
.LBB518_39:
	s_or_b64 exec, exec, s[2:3]
	v_mov_b32_e32 v17, 0
	v_mov_b32_e32 v10, 0
	;; [unrolled: 1-line block ×5, first 2 shown]
	s_and_saveexec_b64 s[2:3], vcc
	s_cbranch_execz .LBB518_41
; %bb.40:
	v_mad_i64_i32 v[10:11], s[22:23], s19, v19, 0
	v_lshl_add_u64 v[10:11], v[10:11], 1, s[4:5]
	v_lshlrev_b32_e32 v12, 1, v18
	v_mov_b32_e32 v13, 0
	v_lshl_add_u64 v[10:11], v[10:11], 0, v[12:13]
	global_load_dwordx4 v[10:13], v[10:11], off offset:128
.LBB518_41:
	s_or_b64 exec, exec, s[2:3]
	v_mov_b32_e32 v16, 0
	v_mov_b32_e32 v15, 0
	;; [unrolled: 1-line block ×3, first 2 shown]
	s_and_saveexec_b64 s[2:3], s[0:1]
	s_cbranch_execz .LBB518_43
; %bb.42:
	v_mad_i64_i32 v[14:15], s[0:1], s19, v20, 0
	v_lshl_add_u64 v[14:15], v[14:15], 1, s[4:5]
	v_lshlrev_b32_e32 v16, 1, v18
	v_mov_b32_e32 v17, 0
	v_lshl_add_u64 v[14:15], v[14:15], 0, v[16:17]
	global_load_dwordx4 v[14:17], v[14:15], off offset:128
.LBB518_43:
	s_or_b64 exec, exec, s[2:3]
	s_branch .LBB518_47
.LBB518_44:
                                        ; implicit-def: $vgpr5
                                        ; implicit-def: $vgpr9
                                        ; implicit-def: $vgpr13
                                        ; implicit-def: $vgpr17
	v_lshrrev_b32_e32 v19, 2, v59
	s_branch .LBB518_48
.LBB518_45:
                                        ; implicit-def: $vgpr5
                                        ; implicit-def: $vgpr9
                                        ; implicit-def: $vgpr13
                                        ; implicit-def: $vgpr17
	s_cbranch_execz .LBB518_47
; %bb.46:
	s_waitcnt vmcnt(0)
	v_mad_u64_u32 v[2:3], s[0:1], v19, s19, v[18:19]
	v_lshlrev_b32_e32 v19, 1, v2
	s_lshl_b32 s2, s19, 7
	s_and_b32 s1, s5, 0xffff
	s_mov_b32 s3, 0x20000
	s_mov_b32 s0, s4
	v_add_lshl_u32 v20, v2, s19, 1
	s_movk_i32 s19, 0x80
	buffer_load_dwordx4 v[2:5], v19, s[0:3], 0 offen
	buffer_load_dwordx4 v[10:13], v19, s[0:3], s19 offen
	;; [unrolled: 1-line block ×4, first 2 shown]
.LBB518_47:
	v_lshrrev_b32_e32 v19, 2, v59
	s_cbranch_execnz .LBB518_60
.LBB518_48:
	s_and_b64 vcc, exec, s[6:7]
	s_cbranch_vccz .LBB518_58
; %bb.49:
	s_waitcnt vmcnt(0)
	v_lshlrev_b32_e32 v7, 1, v27
	v_cmp_gt_i32_e32 vcc, s51, v7
	v_mov_b32_e32 v6, 0
	v_lshlrev_b32_e32 v14, 9, v27
	v_mov_b32_e32 v2, 0
	v_mov_b32_e32 v3, 0
	v_mov_b32_e32 v4, 0
	v_mov_b32_e32 v5, 0
	s_and_saveexec_b64 s[0:1], vcc
	s_cbranch_execz .LBB518_51
; %bb.50:
	v_mov_b32_e32 v15, 0
	v_lshl_add_u64 v[2:3], s[4:5], 0, v[14:15]
	v_lshlrev_b32_e32 v4, 1, v18
	v_mov_b32_e32 v5, v15
	v_lshl_add_u64 v[2:3], v[2:3], 0, v[4:5]
	global_load_dwordx4 v[2:5], v[2:3], off
.LBB518_51:
	s_or_b64 exec, exec, s[0:1]
	v_or_b32_e32 v7, 1, v7
	v_cmp_gt_i32_e64 s[0:1], s51, v7
	v_lshlrev_b32_e32 v20, 8, v7
	v_mov_b32_e32 v7, 0
	v_mov_b32_e32 v8, 0
	;; [unrolled: 1-line block ×3, first 2 shown]
	s_and_saveexec_b64 s[2:3], s[0:1]
	s_cbranch_execz .LBB518_53
; %bb.52:
	v_mov_b32_e32 v21, 0
	v_lshl_add_u64 v[6:7], s[4:5], 0, v[20:21]
	v_lshlrev_b32_e32 v8, 1, v18
	v_mov_b32_e32 v9, v21
	v_lshl_add_u64 v[6:7], v[6:7], 0, v[8:9]
	global_load_dwordx4 v[6:9], v[6:7], off
.LBB518_53:
	s_or_b64 exec, exec, s[2:3]
	v_mov_b32_e32 v17, 0
	v_mov_b32_e32 v10, 0
	;; [unrolled: 1-line block ×5, first 2 shown]
	s_and_saveexec_b64 s[2:3], vcc
	s_cbranch_execz .LBB518_55
; %bb.54:
	v_mov_b32_e32 v15, 0
	v_lshl_add_u64 v[10:11], s[4:5], 0, v[14:15]
	v_lshlrev_b32_e32 v14, 1, v18
	v_lshl_add_u64 v[10:11], v[10:11], 0, v[14:15]
	global_load_dwordx4 v[10:13], v[10:11], off offset:128
.LBB518_55:
	s_or_b64 exec, exec, s[2:3]
	v_mov_b32_e32 v16, 0
	v_mov_b32_e32 v15, 0
	;; [unrolled: 1-line block ×3, first 2 shown]
	s_and_saveexec_b64 s[2:3], s[0:1]
	s_cbranch_execz .LBB518_57
; %bb.56:
	v_mov_b32_e32 v21, 0
	v_lshl_add_u64 v[14:15], s[4:5], 0, v[20:21]
	v_lshlrev_b32_e32 v20, 1, v18
	v_lshl_add_u64 v[14:15], v[14:15], 0, v[20:21]
	global_load_dwordx4 v[14:17], v[14:15], off offset:128
.LBB518_57:
	s_or_b64 exec, exec, s[2:3]
	s_branch .LBB518_60
.LBB518_58:
                                        ; implicit-def: $vgpr5
                                        ; implicit-def: $vgpr9
                                        ; implicit-def: $vgpr13
                                        ; implicit-def: $vgpr17
	s_cbranch_execz .LBB518_60
; %bb.59:
	s_waitcnt vmcnt(0)
	v_lshlrev_b32_e32 v2, 1, v18
	v_lshl_or_b32 v18, v27, 9, v2
	s_and_b32 s5, s5, 0xffff
	s_mov_b32 s7, 0x20000
	s_movk_i32 s6, 0x4000
	s_movk_i32 s0, 0x80
	buffer_load_dwordx4 v[2:5], v18, s[4:7], 0 offen
	buffer_load_dwordx4 v[6:9], v18, s[4:7], 0 offen offset:256
	buffer_load_dwordx4 v[10:13], v18, s[4:7], s0 offen
	buffer_load_dwordx4 v[14:17], v18, s[4:7], s0 offen offset:256
.LBB518_60:
	v_and_b32_e32 v40, 12, v19
	ds_read2st64_b64 v[22:25], v38 offset0:76 offset1:77
	ds_read2st64_b64 v[18:21], v38 offset0:78 offset1:79
	ds_read_b64 v[32:33], v28 offset:24576
	ds_read_b64 v[34:35], v29 offset:24576
	;; [unrolled: 1-line block ×4, first 2 shown]
	v_and_b32_e32 v39, 6, v0
	v_xor_b32_e32 v27, v27, v39
	v_lshlrev_b32_e32 v27, 2, v27
	v_and_b32_e32 v41, 1, v0
	v_xor_b32_e32 v42, 0x440, v27
	v_cmp_eq_u32_e32 vcc, 0, v41
	s_mov_b32 s0, 0x1000504
	s_waitcnt vmcnt(0)
	v_perm_b32 v41, v10, v14, s0
	v_cndmask_b32_e32 v27, v42, v27, vcc
	v_lshl_or_b32 v27, v39, 10, v27
	v_perm_b32 v39, v2, v6, s0
	ds_write2st64_b32 v27, v39, v41 offset1:32
	v_xor_b32_e32 v39, 8, v27
	s_mov_b32 s1, 0x3020706
	v_perm_b32 v2, v2, v6, s1
	v_perm_b32 v6, v10, v14, s1
	v_add_u32_e32 v10, 0x80, v39
	ds_write2st64_b32 v10, v2, v6 offset1:32
	v_xor_b32_e32 v2, 16, v27
	v_perm_b32 v6, v3, v7, s0
	v_perm_b32 v10, v11, v15, s0
	ds_write2st64_b32 v2, v6, v10 offset0:1 offset1:33
	v_xor_b32_e32 v2, 24, v27
	v_perm_b32 v3, v3, v7, s1
	v_perm_b32 v6, v11, v15, s1
	v_add_u32_e32 v2, 0x80, v2
	ds_write2st64_b32 v2, v3, v6 offset0:1 offset1:33
	v_xor_b32_e32 v2, 32, v27
	v_perm_b32 v3, v4, v8, s0
	v_perm_b32 v6, v12, v16, s0
	ds_write2st64_b32 v2, v3, v6 offset0:2 offset1:34
	v_xor_b32_e32 v2, 40, v27
	v_perm_b32 v3, v4, v8, s1
	v_perm_b32 v4, v12, v16, s1
	v_add_u32_e32 v2, 0x80, v2
	ds_write2st64_b32 v2, v3, v4 offset0:2 offset1:34
	v_xor_b32_e32 v2, 48, v27
	v_perm_b32 v3, v5, v9, s0
	v_perm_b32 v4, v13, v17, s0
	ds_write2st64_b32 v2, v3, v4 offset0:3 offset1:35
	v_xor_b32_e32 v2, 56, v27
	v_or_b32_e32 v8, v40, v58
	v_perm_b32 v3, v5, v9, s1
	v_perm_b32 v4, v13, v17, s1
	v_add_u32_e32 v2, 0x80, v2
	v_cmp_gt_i32_e32 vcc, s51, v8
	v_mov_b32_e32 v9, 0
	v_mov_b32_e32 v14, 0
	ds_write2st64_b32 v2, v3, v4 offset0:3 offset1:35
	s_and_saveexec_b64 s[0:1], vcc
	s_cbranch_execz .LBB518_62
; %bb.61:
	v_add_u32_e32 v2, s20, v8
	v_ashrrev_i32_e32 v3, 31, v2
	v_mul_lo_u32 v4, v3, s14
	v_mul_lo_u32 v5, v2, s15
	v_mad_u64_u32 v[2:3], s[2:3], v2, s14, 0
	v_add3_u32 v3, v3, v5, v4
	v_lshl_add_u64 v[2:3], v[2:3], 2, s[10:11]
	global_load_dword v2, v[2:3], off
	s_waitcnt vmcnt(0)
	v_sub_f32_e32 v2, s16, v2
	v_exp_f32_e32 v14, v2
.LBB518_62:
	s_or_b64 exec, exec, s[0:1]
	v_or_b32_e32 v11, 1, v8
	v_cmp_gt_i32_e64 s[0:1], s51, v11
	s_and_saveexec_b64 s[2:3], s[0:1]
	s_cbranch_execz .LBB518_64
; %bb.63:
	v_add_u32_e32 v2, s20, v11
	v_ashrrev_i32_e32 v3, 31, v2
	v_mul_lo_u32 v4, v3, s14
	v_mul_lo_u32 v5, v2, s15
	v_mad_u64_u32 v[2:3], s[4:5], v2, s14, 0
	v_add3_u32 v3, v3, v5, v4
	v_lshl_add_u64 v[2:3], v[2:3], 2, s[10:11]
	global_load_dword v2, v[2:3], off
	s_waitcnt vmcnt(0)
	v_sub_f32_e32 v2, s16, v2
	v_exp_f32_e32 v9, v2
.LBB518_64:
	s_or_b64 exec, exec, s[2:3]
	v_or_b32_e32 v12, 2, v8
	v_cmp_gt_i32_e64 s[2:3], s51, v12
	v_mov_b32_e32 v10, 0
	v_mov_b32_e32 v15, 0
	s_and_saveexec_b64 s[4:5], s[2:3]
	s_cbranch_execz .LBB518_66
; %bb.65:
	v_add_u32_e32 v2, s20, v12
	v_ashrrev_i32_e32 v3, 31, v2
	v_mul_lo_u32 v4, v3, s14
	v_mul_lo_u32 v5, v2, s15
	v_mad_u64_u32 v[2:3], s[6:7], v2, s14, 0
	v_add3_u32 v3, v3, v5, v4
	v_lshl_add_u64 v[2:3], v[2:3], 2, s[10:11]
	global_load_dword v2, v[2:3], off
	s_waitcnt vmcnt(0)
	v_sub_f32_e32 v2, s16, v2
	v_exp_f32_e32 v15, v2
.LBB518_66:
	s_or_b64 exec, exec, s[4:5]
	v_or_b32_e32 v13, 3, v8
	v_cmp_gt_i32_e64 s[4:5], s51, v13
	s_and_saveexec_b64 s[6:7], s[4:5]
	s_cbranch_execz .LBB518_68
; %bb.67:
	v_add_u32_e32 v2, s20, v13
	v_ashrrev_i32_e32 v3, 31, v2
	v_mul_lo_u32 v4, v3, s14
	v_mul_lo_u32 v5, v2, s15
	v_mad_u64_u32 v[2:3], s[14:15], v2, s14, 0
	v_add3_u32 v3, v3, v5, v4
	v_lshl_add_u64 v[2:3], v[2:3], 2, s[10:11]
	global_load_dword v2, v[2:3], off
	s_waitcnt vmcnt(0)
	v_sub_f32_e32 v2, s16, v2
	v_exp_f32_e32 v10, v2
.LBB518_68:
	s_or_b64 exec, exec, s[6:7]
	s_waitcnt lgkmcnt(11)
	v_mfma_f32_16x16x16_bf16 a[0:3], v[32:33], v[22:23], a[0:3]
	s_add_u32 s6, s8, s28
	v_ashrrev_i32_e32 v27, 31, v26
	s_addc_u32 s7, s9, s29
	s_waitcnt lgkmcnt(10)
	v_mfma_f32_16x16x16_bf16 a[0:3], v[34:35], v[24:25], a[0:3]
	v_mov_b32_e32 v16, 0
	v_lshl_add_u64 v[6:7], v[26:27], 1, s[6:7]
	v_mov_b32_e32 v17, 0
	s_waitcnt lgkmcnt(9)
	v_mfma_f32_16x16x16_bf16 a[0:3], v[30:31], v[18:19], a[0:3]
	s_waitcnt lgkmcnt(8)
	v_mfma_f32_16x16x16_bf16 a[0:3], v[28:29], v[20:21], a[0:3]
	s_nop 6
	v_accvgpr_read_b32 v5, a3
	v_accvgpr_read_b32 v4, a2
	;; [unrolled: 1-line block ×4, first 2 shown]
	s_and_saveexec_b64 s[6:7], vcc
	s_cbranch_execz .LBB518_70
; %bb.69:
	v_lshlrev_b32_e32 v18, 8, v8
	v_mov_b32_e32 v19, 0
	v_lshl_add_u64 v[18:19], v[6:7], 0, v[18:19]
	global_load_ushort v17, v[18:19], off
	s_waitcnt vmcnt(0)
	v_lshlrev_b32_e32 v17, 16, v17
	v_sub_f32_e32 v2, v17, v2
	v_mul_f32_e32 v2, v14, v2
	v_lshrrev_b32_e32 v17, 16, v2
.LBB518_70:
	s_or_b64 exec, exec, s[6:7]
	s_and_saveexec_b64 s[6:7], s[0:1]
	s_cbranch_execz .LBB518_72
; %bb.71:
	v_lshlrev_b32_e32 v18, 8, v11
	v_mov_b32_e32 v19, 0
	v_lshl_add_u64 v[18:19], v[6:7], 0, v[18:19]
	global_load_ushort v2, v[18:19], off
	s_waitcnt vmcnt(0)
	v_lshlrev_b32_e32 v2, 16, v2
	v_sub_f32_e32 v2, v2, v3
	v_mul_f32_e32 v2, v9, v2
	v_lshrrev_b32_e32 v16, 16, v2
.LBB518_72:
	s_or_b64 exec, exec, s[6:7]
	v_mov_b32_e32 v3, 0
	v_mov_b32_e32 v9, 0
	s_and_saveexec_b64 s[0:1], s[2:3]
	s_cbranch_execz .LBB518_74
; %bb.73:
	v_lshlrev_b32_e32 v18, 8, v12
	v_mov_b32_e32 v19, 0
	v_lshl_add_u64 v[18:19], v[6:7], 0, v[18:19]
	global_load_ushort v2, v[18:19], off
	s_waitcnt vmcnt(0)
	v_lshlrev_b32_e32 v2, 16, v2
	v_sub_f32_e32 v2, v2, v4
	v_mul_f32_e32 v2, v15, v2
	v_lshrrev_b32_e32 v9, 16, v2
.LBB518_74:
	s_or_b64 exec, exec, s[0:1]
	v_or_b32_e32 v2, 0x9800, v38
	s_and_saveexec_b64 s[0:1], s[4:5]
	s_cbranch_execz .LBB518_76
; %bb.75:
	v_lshlrev_b32_e32 v12, 8, v13
	v_mov_b32_e32 v13, 0
	v_lshl_add_u64 v[6:7], v[6:7], 0, v[12:13]
	global_load_ushort v3, v[6:7], off
	s_waitcnt vmcnt(0)
	v_lshlrev_b32_e32 v3, 16, v3
	v_sub_f32_e32 v3, v3, v5
	v_mul_f32_e32 v3, v10, v3
	v_lshrrev_b32_e32 v3, 16, v3
.LBB518_76:
	s_or_b64 exec, exec, s[0:1]
	s_mov_b32 s0, 0x5040100
	v_perm_b32 v5, v3, v9, s0
	v_lshlrev_b32_e32 v3, 1, v36
	v_perm_b32 v4, v16, v17, s0
	v_lshl_or_b32 v3, v8, 5, v3
	s_movk_i32 s2, 0xff
	ds_write_b64 v3, v[4:5] offset:38912
	v_and_b32_e32 v3, 7, v0
	v_cmp_lt_u32_e32 vcc, s2, v0
	v_and_b32_e32 v4, 8, v0
	v_lshlrev_b32_e32 v9, 3, v3
	v_lshlrev_b32_e32 v22, 7, v3
	v_cndmask_b32_e64 v3, 0, 1, vcc
	v_lshrrev_b32_e32 v0, 1, v0
	v_lshlrev_b32_e32 v16, 13, v3
	v_lshlrev_b32_e32 v3, 3, v45
	v_and_b32_e32 v0, 24, v0
	v_xor_b32_e32 v5, v3, v0
	v_or_b32_e32 v6, 0x440, v5
	v_cmp_eq_u32_e32 vcc, 0, v4
	s_waitcnt lgkmcnt(0)
	s_barrier
	v_cndmask_b32_e32 v4, v6, v5, vcc
	v_or_b32_e32 v4, v4, v37
	v_xor_b32_e32 v23, v4, v9
	v_or_b32_e32 v4, 32, v0
	v_xor_b32_e32 v4, v3, v4
	v_or_b32_e32 v5, 0x440, v4
	v_cndmask_b32_e32 v4, v5, v4, vcc
	v_or_b32_e32 v4, v4, v37
	v_xor_b32_e32 v24, v4, v9
	v_or_b32_e32 v4, 64, v0
	v_xor_b32_e32 v4, v3, v4
	v_xor_b32_e32 v5, 0x440, v4
	v_cndmask_b32_e32 v4, v5, v4, vcc
	v_add3_u32 v14, v16, v23, v22
	v_or_b32_e32 v4, v4, v37
	v_or_b32_e32 v0, 0x60, v0
	v_xor_b32_e32 v25, v4, v9
	ds_read2st64_b64 v[4:7], v2 offset1:1
	ds_read2st64_b64 v[10:13], v2 offset0:2 offset1:3
	v_xor_b32_e32 v0, v3, v0
	ds_read_b64 v[2:3], v14
	v_add3_u32 v15, v16, v24, v22
	v_xor_b32_e32 v14, 0x440, v0
	v_cndmask_b32_e32 v0, v14, v0, vcc
	ds_read_b64 v[14:15], v15
	s_mul_i32 s0, s18, s17
	s_mul_hi_i32 s1, s18, s17
	s_add_u32 s0, s0, s46
	s_waitcnt lgkmcnt(1)
	v_mfma_f32_16x16x16_bf16 a[0:3], v[2:3], v[4:5], 0
	s_addc_u32 s1, s1, s21
	s_lshl_b64 s[0:1], s[0:1], 9
	v_or_b32_e32 v0, v0, v37
	s_add_u32 s0, s36, s0
	v_add3_u32 v17, v16, v25, v22
	v_xor_b32_e32 v0, v0, v9
	s_addc_u32 s1, s37, s1
	v_lshlrev_b32_e32 v2, 2, v8
	v_add3_u32 v9, v16, v0, v22
	ds_read_b64 v[18:19], v17
	ds_read_b64 v[20:21], v9
	s_waitcnt lgkmcnt(2)
	v_mfma_f32_16x16x16_bf16 a[0:3], v[14:15], v[6:7], a[0:3]
	global_load_dwordx4 v[14:17], v2, s[0:1]
	v_add_u32_e32 v2, v23, v22
	ds_read_b64 v[2:3], v2 offset:8192
	v_lshlrev_b32_e32 v8, 6, v45
	v_lshlrev_b32_e32 v9, 2, v40
	s_movk_i32 s2, 0x100
	s_waitcnt lgkmcnt(2)
	v_mfma_f32_16x16x16_bf16 a[0:3], v[18:19], v[10:11], a[0:3]
	v_or3_b32 v27, v8, v9, s2
	v_add_u32_e32 v8, v24, v22
	v_add_u32_e32 v18, v25, v22
	;; [unrolled: 1-line block ×3, first 2 shown]
	ds_read_b64 v[8:9], v8 offset:8192
	ds_read_b64 v[18:19], v18 offset:8192
	;; [unrolled: 1-line block ×3, first 2 shown]
	s_waitcnt lgkmcnt(3)
	v_mfma_f32_16x16x16_bf16 a[4:7], v[2:3], v[4:5], 0
	global_load_dwordx4 v[2:5], v27, s[0:1]
	v_exp_f32_e32 v0, s16
	s_waitcnt vmcnt(1)
	v_exp_f32_e32 v14, v14
	v_mfma_f32_16x16x16_bf16 a[0:3], v[20:21], v[12:13], a[0:3]
	v_exp_f32_e32 v15, v15
	v_exp_f32_e32 v16, v16
	;; [unrolled: 1-line block ×3, first 2 shown]
	v_pk_mul_f32 v[14:15], v[0:1], v[14:15] op_sel_hi:[0,1]
	v_pk_mul_f32 v[16:17], v[0:1], v[16:17] op_sel_hi:[0,1]
	s_nop 1
	v_accvgpr_read_b32 v25, a1
	v_accvgpr_read_b32 v21, a3
	;; [unrolled: 1-line block ×4, first 2 shown]
	s_waitcnt lgkmcnt(2)
	v_mfma_f32_16x16x16_bf16 a[0:3], v[8:9], v[6:7], a[4:7]
	s_waitcnt vmcnt(0)
	v_mov_b32_e32 v6, v5
	v_mov_b32_e32 v5, v4
	;; [unrolled: 1-line block ×3, first 2 shown]
	s_waitcnt lgkmcnt(1)
	v_mfma_f32_16x16x16_bf16 a[0:3], v[18:19], v[10:11], a[0:3]
	v_exp_f32_e32 v2, v2
	v_exp_f32_e32 v3, v4
	;; [unrolled: 1-line block ×3, first 2 shown]
	s_waitcnt lgkmcnt(0)
	v_mfma_f32_16x16x16_bf16 a[0:3], v[22:23], v[12:13], a[0:3]
	v_exp_f32_e32 v5, v6
	v_pk_mul_f32 v[2:3], v[0:1], v[2:3] op_sel_hi:[0,1]
	v_pk_fma_f32 v[46:47], v[46:47], v[14:15], v[24:25]
	v_pk_fma_f32 v[52:53], v[52:53], v[16:17], v[20:21]
	s_nop 2
	v_accvgpr_read_b32 v9, a1
	v_accvgpr_read_b32 v8, a0
	;; [unrolled: 1-line block ×4, first 2 shown]
	v_pk_fma_f32 v[50:51], v[50:51], v[2:3], v[8:9]
	v_pk_mul_f32 v[2:3], v[0:1], v[4:5] op_sel_hi:[0,1]
	v_pk_fma_f32 v[48:49], v[48:49], v[2:3], v[6:7]
	v_mov_b32_e32 v2, v26
.LBB518_77:
	s_mul_i32 s0, s47, s35
	s_mul_hi_u32 s1, s47, s34
	s_add_i32 s0, s1, s0
	s_mul_i32 s1, s33, s34
	s_add_i32 s1, s0, s1
	s_mul_i32 s0, s47, s34
	s_add_u32 s0, s0, s46
	s_addc_u32 s1, s1, s21
	s_lshl_b64 s[0:1], s[0:1], 15
	s_add_u32 s0, s12, s0
	v_lshlrev_b32_e32 v2, 7, v2
	s_addc_u32 s1, s13, s1
	v_ashrrev_i32_e32 v3, 31, v2
	v_lshl_add_u64 v[2:3], v[2:3], 1, s[0:1]
	v_lshlrev_b32_e32 v0, 1, v1
	v_mov_b32_e32 v1, 0
	s_mov_b32 s0, 0x7060302
	v_lshl_add_u64 v[0:1], v[2:3], 0, v[0:1]
	v_perm_b32 v3, v53, v52, s0
	v_perm_b32 v2, v47, v46, s0
	global_store_dwordx2 v[0:1], v[2:3], off
	v_perm_b32 v3, v49, v48, s0
	v_perm_b32 v2, v51, v50, s0
	global_store_dwordx2 v[0:1], v[2:3], off offset:128
	s_endpgm
	.section	.rodata,"a",@progbits
	.p2align	6, 0x0
	.amdhsa_kernel _ZN12_GLOBAL__N_139chunk_gated_delta_rule_fwd_h_hip_kernelILi16ELb0ELb1ELb0ELb1ELb1ELb1ELb1ELb1EEEvPK12hip_bfloat16S3_S3_PKfS5_PKvPS1_S8_PvPKiSB_iiiiilll
		.amdhsa_group_segment_fixed_size 40960
		.amdhsa_private_segment_fixed_size 0
		.amdhsa_kernarg_size 136
		.amdhsa_user_sgpr_count 2
		.amdhsa_user_sgpr_dispatch_ptr 0
		.amdhsa_user_sgpr_queue_ptr 0
		.amdhsa_user_sgpr_kernarg_segment_ptr 1
		.amdhsa_user_sgpr_dispatch_id 0
		.amdhsa_user_sgpr_kernarg_preload_length 0
		.amdhsa_user_sgpr_kernarg_preload_offset 0
		.amdhsa_user_sgpr_private_segment_size 0
		.amdhsa_uses_dynamic_stack 0
		.amdhsa_enable_private_segment 0
		.amdhsa_system_sgpr_workgroup_id_x 1
		.amdhsa_system_sgpr_workgroup_id_y 1
		.amdhsa_system_sgpr_workgroup_id_z 0
		.amdhsa_system_sgpr_workgroup_info 0
		.amdhsa_system_vgpr_workitem_id 0
		.amdhsa_next_free_vgpr 124
		.amdhsa_next_free_sgpr 65
		.amdhsa_accum_offset 112
		.amdhsa_reserve_vcc 1
		.amdhsa_float_round_mode_32 0
		.amdhsa_float_round_mode_16_64 0
		.amdhsa_float_denorm_mode_32 3
		.amdhsa_float_denorm_mode_16_64 3
		.amdhsa_dx10_clamp 1
		.amdhsa_ieee_mode 1
		.amdhsa_fp16_overflow 0
		.amdhsa_tg_split 0
		.amdhsa_exception_fp_ieee_invalid_op 0
		.amdhsa_exception_fp_denorm_src 0
		.amdhsa_exception_fp_ieee_div_zero 0
		.amdhsa_exception_fp_ieee_overflow 0
		.amdhsa_exception_fp_ieee_underflow 0
		.amdhsa_exception_fp_ieee_inexact 0
		.amdhsa_exception_int_div_zero 0
	.end_amdhsa_kernel
	.section	.text._ZN12_GLOBAL__N_139chunk_gated_delta_rule_fwd_h_hip_kernelILi16ELb0ELb1ELb0ELb1ELb1ELb1ELb1ELb1EEEvPK12hip_bfloat16S3_S3_PKfS5_PKvPS1_S8_PvPKiSB_iiiiilll,"axG",@progbits,_ZN12_GLOBAL__N_139chunk_gated_delta_rule_fwd_h_hip_kernelILi16ELb0ELb1ELb0ELb1ELb1ELb1ELb1ELb1EEEvPK12hip_bfloat16S3_S3_PKfS5_PKvPS1_S8_PvPKiSB_iiiiilll,comdat
.Lfunc_end518:
	.size	_ZN12_GLOBAL__N_139chunk_gated_delta_rule_fwd_h_hip_kernelILi16ELb0ELb1ELb0ELb1ELb1ELb1ELb1ELb1EEEvPK12hip_bfloat16S3_S3_PKfS5_PKvPS1_S8_PvPKiSB_iiiiilll, .Lfunc_end518-_ZN12_GLOBAL__N_139chunk_gated_delta_rule_fwd_h_hip_kernelILi16ELb0ELb1ELb0ELb1ELb1ELb1ELb1ELb1EEEvPK12hip_bfloat16S3_S3_PKfS5_PKvPS1_S8_PvPKiSB_iiiiilll
                                        ; -- End function
	.section	.AMDGPU.csdata,"",@progbits
; Kernel info:
; codeLenInByte = 7976
; NumSgprs: 71
; NumVgprs: 112
; NumAgprs: 12
; TotalNumVgprs: 124
; ScratchSize: 0
; MemoryBound: 0
; FloatMode: 240
; IeeeMode: 1
; LDSByteSize: 40960 bytes/workgroup (compile time only)
; SGPRBlocks: 8
; VGPRBlocks: 15
; NumSGPRsForWavesPerEU: 71
; NumVGPRsForWavesPerEU: 124
; AccumOffset: 112
; Occupancy: 1
; WaveLimiterHint : 1
; COMPUTE_PGM_RSRC2:SCRATCH_EN: 0
; COMPUTE_PGM_RSRC2:USER_SGPR: 2
; COMPUTE_PGM_RSRC2:TRAP_HANDLER: 0
; COMPUTE_PGM_RSRC2:TGID_X_EN: 1
; COMPUTE_PGM_RSRC2:TGID_Y_EN: 1
; COMPUTE_PGM_RSRC2:TGID_Z_EN: 0
; COMPUTE_PGM_RSRC2:TIDIG_COMP_CNT: 0
; COMPUTE_PGM_RSRC3_GFX90A:ACCUM_OFFSET: 27
; COMPUTE_PGM_RSRC3_GFX90A:TG_SPLIT: 0
	.section	.text._ZN12_GLOBAL__N_139chunk_gated_delta_rule_fwd_h_hip_kernelILi16ELb0ELb0ELb1ELb1ELb1ELb1ELb1ELb1EEEvPK12hip_bfloat16S3_S3_PKfS5_PKvPS1_S8_PvPKiSB_iiiiilll,"axG",@progbits,_ZN12_GLOBAL__N_139chunk_gated_delta_rule_fwd_h_hip_kernelILi16ELb0ELb0ELb1ELb1ELb1ELb1ELb1ELb1EEEvPK12hip_bfloat16S3_S3_PKfS5_PKvPS1_S8_PvPKiSB_iiiiilll,comdat
	.globl	_ZN12_GLOBAL__N_139chunk_gated_delta_rule_fwd_h_hip_kernelILi16ELb0ELb0ELb1ELb1ELb1ELb1ELb1ELb1EEEvPK12hip_bfloat16S3_S3_PKfS5_PKvPS1_S8_PvPKiSB_iiiiilll ; -- Begin function _ZN12_GLOBAL__N_139chunk_gated_delta_rule_fwd_h_hip_kernelILi16ELb0ELb0ELb1ELb1ELb1ELb1ELb1ELb1EEEvPK12hip_bfloat16S3_S3_PKfS5_PKvPS1_S8_PvPKiSB_iiiiilll
	.p2align	8
	.type	_ZN12_GLOBAL__N_139chunk_gated_delta_rule_fwd_h_hip_kernelILi16ELb0ELb0ELb1ELb1ELb1ELb1ELb1ELb1EEEvPK12hip_bfloat16S3_S3_PKfS5_PKvPS1_S8_PvPKiSB_iiiiilll,@function
_ZN12_GLOBAL__N_139chunk_gated_delta_rule_fwd_h_hip_kernelILi16ELb0ELb0ELb1ELb1ELb1ELb1ELb1ELb1EEEvPK12hip_bfloat16S3_S3_PKfS5_PKvPS1_S8_PvPKiSB_iiiiilll: ; @_ZN12_GLOBAL__N_139chunk_gated_delta_rule_fwd_h_hip_kernelILi16ELb0ELb0ELb1ELb1ELb1ELb1ELb1ELb1EEEvPK12hip_bfloat16S3_S3_PKfS5_PKvPS1_S8_PvPKiSB_iiiiilll
; %bb.0:
	s_load_dwordx4 s[16:19], s[0:1], 0x5c
	s_load_dwordx4 s[20:23], s[0:1], 0x70
	s_abs_i32 s25, s3
	s_ashr_i32 s24, s3, 31
	s_load_dwordx4 s[12:15], s[0:1], 0x30
	s_load_dwordx4 s[28:31], s[0:1], 0x48
	s_waitcnt lgkmcnt(0)
	s_abs_i32 s34, s17
	v_cvt_f32_u32_e32 v1, s34
	s_sub_i32 s26, 0, s34
	s_ashr_i32 s35, s17, 31
	s_xor_b32 s24, s24, s35
	v_rcp_iflag_f32_e32 v1, v1
	s_load_dwordx8 s[4:11], s[0:1], 0x0
	v_lshrrev_b32_e32 v61, 6, v0
	v_bfe_u32 v62, v0, 4, 2
	v_mul_f32_e32 v1, 0x4f7ffffe, v1
	v_cvt_u32_f32_e32 v1, v1
	v_lshlrev_b32_e32 v45, 4, v61
	v_lshlrev_b32_e32 v2, 2, v62
	v_and_b32_e32 v60, 63, v0
	v_readfirstlane_b32 s27, v1
	s_mul_i32 s26, s26, s27
	s_mul_hi_u32 s26, s27, s26
	s_add_i32 s27, s27, s26
	s_mul_hi_u32 s26, s25, s27
	s_mul_i32 s27, s26, s34
	s_sub_i32 s25, s25, s27
	s_add_i32 s33, s26, 1
	s_sub_i32 s27, s25, s34
	s_cmp_ge_u32 s25, s34
	s_cselect_b32 s26, s33, s26
	s_cselect_b32 s25, s27, s25
	s_add_i32 s27, s26, 1
	s_cmp_ge_u32 s25, s34
	s_cselect_b32 s25, s27, s26
	s_xor_b32 s25, s25, s24
	s_sub_i32 s24, s25, s24
	s_mul_i32 s25, s24, s17
	s_sub_i32 s33, s3, s25
	s_ashr_i32 s25, s24, 31
	s_lshl_b64 s[26:27], s[24:25], 2
	s_add_u32 s28, s28, s26
	s_addc_u32 s29, s29, s27
	s_add_u32 s26, s30, s26
	s_addc_u32 s27, s31, s27
	s_abs_i32 s3, s18
	v_cvt_f32_u32_e32 v1, s3
	s_load_dwordx2 s[38:39], s[28:29], 0x0
	s_sub_i32 s29, 0, s3
	s_load_dword s48, s[26:27], 0x0
	v_rcp_iflag_f32_e32 v1, v1
	v_or_b32_e32 v66, v2, v45
	s_waitcnt lgkmcnt(0)
	s_sub_i32 s49, s39, s38
	s_ashr_i32 s28, s49, 31
	v_mul_f32_e32 v1, 0x4f7ffffe, v1
	v_cvt_u32_f32_e32 v1, v1
	s_lshr_b32 s28, s28, 26
	s_add_i32 s28, s49, s28
	s_ashr_i32 s47, s28, 6
	v_readfirstlane_b32 s30, v1
	s_mul_i32 s29, s29, s30
	s_mul_hi_u32 s29, s30, s29
	s_add_i32 s30, s30, s29
	s_mul_hi_u32 s29, s34, s30
	s_mul_i32 s30, s29, s3
	s_ashr_i32 s28, s18, 31
	s_sub_i32 s30, s34, s30
	s_xor_b32 s28, s35, s28
	s_add_i32 s31, s29, 1
	s_sub_i32 s34, s30, s3
	s_cmp_ge_u32 s30, s3
	s_cselect_b32 s29, s31, s29
	s_cselect_b32 s30, s34, s30
	s_add_i32 s31, s29, 1
	s_cmp_ge_u32 s30, s3
	s_cselect_b32 s3, s31, s29
	s_xor_b32 s3, s3, s28
	s_sub_i32 s3, s3, s28
	s_abs_i32 s28, s3
	v_cvt_f32_u32_e32 v1, s28
	s_sub_i32 s27, 0, s28
	s_abs_i32 s26, s33
	s_xor_b32 s3, s33, s3
	v_rcp_iflag_f32_e32 v1, v1
	s_ashr_i32 s3, s3, 31
	s_load_dwordx2 s[34:35], s[0:1], 0x80
	v_mov_b32_e32 v49, 0
	v_mul_f32_e32 v1, 0x4f7ffffe, v1
	v_cvt_u32_f32_e32 v1, v1
	v_or_b32_e32 v65, 64, v66
	s_mul_hi_i32 s50, s33, s16
	s_mul_i32 s51, s33, s16
	v_readfirstlane_b32 s29, v1
	s_mul_i32 s27, s27, s29
	s_mul_hi_u32 s27, s29, s27
	s_add_i32 s29, s29, s27
	s_mul_hi_u32 s27, s26, s29
	s_mul_i32 s29, s27, s28
	s_sub_i32 s26, s26, s29
	s_add_i32 s29, s27, 1
	s_sub_i32 s30, s26, s28
	s_cmp_ge_u32 s26, s28
	s_cselect_b32 s27, s29, s27
	s_cselect_b32 s26, s30, s26
	s_add_i32 s29, s27, 1
	s_cmp_ge_u32 s26, s28
	s_cselect_b32 s26, s29, s27
	s_xor_b32 s26, s26, s3
	s_sub_i32 s53, s26, s3
	s_lshl_b32 s36, s2, 4
	v_and_b32_e32 v1, 15, v0
	s_cmp_lt_i32 s49, 64
	v_lshrrev_b32_e32 v64, 3, v60
	v_lshlrev_b32_e32 v63, 3, v0
	s_mul_i32 s44, s24, s21
	s_mul_hi_u32 s45, s24, s20
	s_mul_i32 s46, s25, s20
	s_mul_i32 s20, s24, s20
	v_mov_b32_e32 v48, v49
	v_mov_b32_e32 v51, v49
	;; [unrolled: 1-line block ×7, first 2 shown]
	s_cbranch_scc1 .LBB519_18
; %bb.1:
	s_ashr_i32 s55, s33, 31
	s_ashr_i32 s3, s38, 31
	s_add_u32 s2, s51, s38
	s_addc_u32 s3, s50, s3
	s_lshl_b64 s[2:3], s[2:3], 8
	v_and_b32_e32 v68, 56, v63
	s_add_u32 s24, s6, s2
	v_lshl_or_b32 v67, v61, 3, v64
	v_lshlrev_b32_e32 v3, 1, v68
	s_addc_u32 s2, s7, s3
	v_lshl_or_b32 v69, v67, 8, v3
	s_and_b32 s25, s2, 0xffff
	s_mov_b32 s27, 0x20000
	s_movk_i32 s26, 0x4000
	s_movk_i32 s2, 0x80
	v_or_b32_e32 v70, 0x2000, v69
	buffer_load_dwordx4 v[4:7], v69, s[24:27], 0 offen
	buffer_load_dwordx4 v[8:11], v69, s[24:27], s2 offen
	;; [unrolled: 1-line block ×4, first 2 shown]
	v_lshlrev_b32_e32 v20, 3, v67
	v_and_or_b32 v22, v0, 7, v20
	v_and_b32_e32 v20, 0x78, v20
	v_lshlrev_b32_e32 v22, 4, v22
	v_xor_b32_e32 v71, v22, v20
	v_mul_lo_u32 v21, v67, s19
	v_or_b32_e32 v72, 0x1000, v71
	s_cmpk_eq_i32 s19, 0x80
	s_mov_b32 s52, s17
	s_mov_b32 s54, s38
	v_xor_b32_e32 v20, 8, v71
	v_xor_b32_e32 v22, 8, v72
	s_cselect_b64 s[2:3], -1, 0
	s_cmpk_lg_i32 s19, 0x80
	s_waitcnt vmcnt(3)
	ds_write_b64 v71, v[4:5] offset:16384
	ds_write_b64 v20, v[6:7] offset:16384
	s_waitcnt vmcnt(2)
	ds_write_b64 v71, v[8:9] offset:24576
	ds_write_b64 v20, v[10:11] offset:24576
	;; [unrolled: 3-line block ×4, first 2 shown]
	v_lshl_add_u32 v4, v21, 1, v68
	s_cbranch_scc0 .LBB519_3
; %bb.2:
	v_lshlrev_b32_e32 v6, 1, v4
	v_add_lshl_u32 v5, v4, s19, 1
	s_lshl_b32 s26, s19, 7
	s_load_dwordx2 s[40:41], s[0:1], 0x20
	v_lshl_or_b32 v3, v67, 9, v3
	s_cbranch_execz .LBB519_4
	s_branch .LBB519_5
.LBB519_3:
                                        ; implicit-def: $vgpr5
                                        ; implicit-def: $vgpr6
                                        ; implicit-def: $sgpr26
	s_load_dwordx2 s[40:41], s[0:1], 0x20
	v_lshl_or_b32 v3, v67, 9, v3
.LBB519_4:
	v_or_b32_e32 v5, 0x100, v3
	s_movk_i32 s26, 0x4000
	v_mov_b32_e32 v6, v3
.LBB519_5:
	s_mul_i32 s0, s38, s18
	s_ashr_i32 s56, s53, 31
	s_mul_hi_i32 s1, s38, s18
	s_add_u32 s0, s0, s53
	s_addc_u32 s1, s1, s56
	s_lshl_b64 s[0:1], s[0:1], 8
	s_add_u32 s24, s4, s0
	s_addc_u32 s0, s5, s1
	s_and_b32 s25, s0, 0xffff
	s_movk_i32 s57, 0x80
	buffer_load_dwordx4 v[8:11], v6, s[24:27], 0 offen
	buffer_load_dwordx4 v[12:15], v6, s[24:27], s57 offen
	;; [unrolled: 1-line block ×4, first 2 shown]
	v_and_b32_e32 v5, 6, v0
	v_lshlrev_b32_e32 v7, 2, v1
	v_lshlrev_b32_e32 v24, 3, v1
	v_xor_b32_e32 v26, v67, v5
	v_and_b32_e32 v6, 1, v0
	v_lshl_or_b32 v24, v66, 5, v24
	v_xor_b32_e32 v27, v66, v7
	v_lshlrev_b32_e32 v26, 2, v26
	s_mul_i32 s1, s33, s23
	s_mul_hi_u32 s21, s33, s22
	v_or_b32_e32 v73, 0x9000, v24
	v_or_b32_e32 v74, 0x9800, v24
	v_lshlrev_b32_e32 v24, 1, v27
	v_xor_b32_e32 v27, 0x440, v26
	v_cmp_eq_u32_e32 vcc, 0, v6
	s_add_i32 s25, s45, s44
	s_mul_i32 s24, s55, s22
	v_cndmask_b32_e32 v6, v27, v26, vcc
	s_add_i32 s1, s21, s1
	s_add_i32 s21, s25, s46
	s_mov_b32 s58, 0x1000504
	v_lshlrev_b32_e32 v25, 8, v1
	s_mov_b32 s26, 0x8000
	v_xor_b32_e32 v7, v65, v7
	v_lshl_or_b32 v5, v5, 10, v6
	s_add_i32 s1, s1, s24
	s_lshl_b64 s[24:25], s[20:21], 2
	s_mov_b32 s59, 0x3020706
	s_mul_i32 s0, s33, s22
	v_lshlrev_b32_e32 v7, 1, v7
	v_or3_b32 v75, v24, v25, s26
	v_xor_b32_e32 v6, 8, v5
	v_xor_b32_e32 v24, 24, v5
	;; [unrolled: 1-line block ×4, first 2 shown]
	s_add_u32 s21, s10, s24
	v_or3_b32 v76, v7, v25, s26
	v_xor_b32_e32 v7, 16, v5
	v_xor_b32_e32 v25, 32, v5
	;; [unrolled: 1-line block ×3, first 2 shown]
	v_add_u32_e32 v6, 0x80, v6
	v_add_u32_e32 v24, 0x80, v24
	v_add_u32_e32 v26, 0x80, v26
	v_add_u32_e32 v28, 0x80, v28
	s_addc_u32 s24, s11, s25
	s_lshl_b64 s[0:1], s[0:1], 2
	s_add_u32 s42, s21, s0
	s_movk_i32 s0, 0xf8
	s_addc_u32 s43, s24, s1
	s_ashr_i32 s37, s36, 31
	s_lshl_b32 s30, s19, 7
	v_mov_b32_e32 v47, 0
	s_mov_b32 s60, 0
	v_add_u32_e32 v87, v45, v2
	s_mov_b32 s21, 0x7060302
	v_mov_b32_e32 v52, v47
	v_mov_b32_e32 v53, v47
	;; [unrolled: 1-line block ×6, first 2 shown]
	s_waitcnt vmcnt(1)
	v_perm_b32 v29, v8, v16, s58
	s_waitcnt vmcnt(0)
	v_perm_b32 v30, v12, v20, s58
	v_perm_b32 v8, v8, v16, s59
	;; [unrolled: 1-line block ×15, first 2 shown]
	ds_write2st64_b32 v5, v29, v30 offset1:32
	ds_write2st64_b32 v6, v8, v12 offset1:32
	ds_write2st64_b32 v7, v16, v20 offset0:1 offset1:33
	ds_write2st64_b32 v24, v9, v13 offset0:1 offset1:33
	;; [unrolled: 1-line block ×6, first 2 shown]
	v_or_b32_e32 v5, v45, v1
	v_lshlrev_b32_e32 v5, 3, v5
	v_lshrrev_b32_e32 v7, 5, v60
	v_and_or_b32 v7, v5, s0, v7
	v_lshlrev_b32_e32 v7, 4, v7
	v_lshrrev_b32_e32 v6, 2, v60
	v_lshlrev_b32_e32 v11, 11, v61
	v_and_b32_e32 v5, 0x78, v5
	v_or_b32_e32 v12, 32, v7
	v_and_b32_e32 v10, 12, v6
	v_and_b32_e32 v6, 0x1000, v11
	v_lshrrev_b32_e32 v9, 1, v60
	v_xor_b32_e32 v12, v12, v5
	v_and_b32_e32 v9, 8, v9
	v_or_b32_e32 v12, v12, v6
	v_xor_b32_e32 v8, v7, v5
	v_xor_b32_e32 v79, v12, v9
	v_or_b32_e32 v12, 64, v7
	v_or_b32_e32 v7, 0x60, v7
	v_xor_b32_e32 v12, v12, v5
	v_xor_b32_e32 v5, v7, v5
	v_or_b32_e32 v5, v5, v6
	v_or_b32_e32 v12, v12, v6
	v_xor_b32_e32 v81, v5, v9
	v_lshlrev_b32_e32 v5, 1, v1
	v_xor_b32_e32 v80, v12, v9
	v_lshlrev_b32_e32 v12, 1, v4
	v_add_lshl_u32 v13, v4, s19, 1
	v_lshrrev_b32_e32 v4, 4, v0
	s_lshl_b64 s[0:1], s[36:37], 8
	v_or_b32_e32 v15, 1, v5
	s_add_u32 s0, s12, s0
	v_xor_b32_e32 v5, v4, v5
	v_xor_b32_e32 v15, v15, v4
	s_addc_u32 s1, s13, s1
	v_lshlrev_b32_e32 v5, 3, v5
	v_lshlrev_b32_e32 v46, 8, v4
	;; [unrolled: 1-line block ×3, first 2 shown]
	v_lshrrev_b32_e32 v19, 1, v0
	v_or3_b32 v83, v5, v46, s26
	v_or3_b32 v84, v4, v46, s26
	v_lshl_add_u64 v[4:5], s[0:1], 0, v[46:47]
	v_lshlrev_b32_e32 v46, 4, v1
	s_movk_i32 s0, 0xff
	v_lshlrev_b32_e32 v18, 3, v61
	v_and_b32_e32 v19, 24, v19
	v_lshl_add_u64 v[54:55], v[4:5], 0, v[46:47]
	v_and_b32_e32 v5, 8, v0
	v_cmp_lt_u32_e32 vcc, s0, v0
	v_xor_b32_e32 v20, v18, v19
	v_or_b32_e32 v21, 0x440, v20
	v_cndmask_b32_e64 v17, 0, 1, vcc
	v_cmp_eq_u32_e32 vcc, 0, v5
	v_or_b32_e32 v23, 64, v19
	v_xor_b32_e32 v23, v18, v23
	v_cndmask_b32_e32 v5, v21, v20, vcc
	v_or_b32_e32 v21, 32, v19
	v_or_b32_e32 v19, 0x60, v19
	v_xor_b32_e32 v21, v18, v21
	v_xor_b32_e32 v18, v18, v19
	v_or_b32_e32 v22, 0x440, v21
	v_xor_b32_e32 v24, 0x440, v23
	v_xor_b32_e32 v19, 0x440, v18
	v_or_b32_e32 v8, v8, v6
	v_or_b32_e32 v6, s36, v1
	v_and_b32_e32 v4, 7, v0
	v_cndmask_b32_e32 v21, v22, v21, vcc
	v_cndmask_b32_e32 v23, v24, v23, vcc
	;; [unrolled: 1-line block ×3, first 2 shown]
	v_xor_b32_e32 v77, v8, v9
	v_and_b32_e32 v8, 0x78, v63
	v_ashrrev_i32_e32 v7, 31, v6
	v_lshlrev_b32_e32 v15, 3, v4
	v_or_b32_e32 v5, v5, v11
	v_or_b32_e32 v21, v21, v11
	;; [unrolled: 1-line block ×4, first 2 shown]
	v_lshl_or_b32 v8, v62, 7, v8
	v_lshlrev_b64 v[6:7], 1, v[6:7]
	v_lshlrev_b32_e32 v17, 13, v17
	v_xor_b32_e32 v5, v5, v15
	v_xor_b32_e32 v21, v21, v15
	v_xor_b32_e32 v23, v23, v15
	v_xor_b32_e32 v11, v11, v15
	v_or_b32_e32 v78, 0x9000, v8
	v_or_b32_e32 v82, 0x9800, v8
	v_lshl_add_u64 v[8:9], s[8:9], 0, v[6:7]
	v_lshl_add_u64 v[6:7], s[14:15], 0, v[6:7]
	v_or_b32_e32 v14, 0x100, v3
	v_lshlrev_b32_e32 v16, 7, v4
	v_or_b32_e32 v4, v10, v45
	v_add_u32_e32 v20, v17, v5
	v_add_u32_e32 v22, v17, v21
	;; [unrolled: 1-line block ×4, first 2 shown]
	v_or3_b32 v10, v45, v10, 64
	v_add_u32_e32 v5, 0x2000, v5
	v_add_u32_e32 v17, 0x2000, v21
	;; [unrolled: 1-line block ×4, first 2 shown]
	v_lshlrev_b32_e32 v46, 8, v66
	v_cndmask_b32_e64 v85, v12, v3, s[2:3]
	v_cndmask_b32_e64 v86, v13, v14, s[2:3]
	v_lshl_add_u64 v[56:57], v[8:9], 0, v[46:47]
	v_lshl_add_u64 v[58:59], v[6:7], 0, v[46:47]
	s_movk_i32 s26, 0x4000
	v_lshlrev_b32_e32 v88, 2, v4
	v_add_u32_e32 v89, v20, v16
	v_add_u32_e32 v90, v22, v16
	;; [unrolled: 1-line block ×4, first 2 shown]
	v_lshlrev_b32_e32 v93, 2, v10
	v_add_u32_e32 v94, v5, v16
	v_add_u32_e32 v95, v17, v16
	;; [unrolled: 1-line block ×4, first 2 shown]
	v_mov_b32_e32 v46, v47
	s_waitcnt lgkmcnt(0)
	s_barrier
.LBB519_6:                              ; =>This Inner Loop Header: Depth=1
	s_add_i32 s37, s60, 1
	s_cmp_lt_i32 s37, s47
	s_mov_b64 s[28:29], 0
	s_cselect_b64 s[2:3], -1, 0
	s_cmp_ge_i32 s37, s47
	s_mov_b64 s[24:25], 0
	s_cbranch_scc1 .LBB519_8
; %bb.7:                                ;   in Loop: Header=BB519_6 Depth=1
	s_add_i32 s0, s54, 64
	s_ashr_i32 s1, s0, 31
	s_add_u32 s0, s51, s0
	s_addc_u32 s1, s50, s1
	s_lshl_b64 s[0:1], s[0:1], 8
	s_add_u32 s24, s6, s0
	s_addc_u32 s25, s7, s1
.LBB519_8:                              ;   in Loop: Header=BB519_6 Depth=1
	v_cndmask_b32_e64 v2, 0, 1, s[2:3]
	v_cmp_ne_u32_e64 s[0:1], 1, v2
	s_andn2_b64 vcc, exec, s[2:3]
	s_cbranch_vccnz .LBB519_10
; %bb.9:                                ;   in Loop: Header=BB519_6 Depth=1
	s_add_i32 s2, s54, 64
	s_mul_hi_i32 s3, s2, s18
	s_mul_i32 s2, s2, s18
	s_add_u32 s2, s2, s53
	s_addc_u32 s3, s3, s56
	s_lshl_b64 s[2:3], s[2:3], 8
	s_add_u32 s28, s4, s2
	s_addc_u32 s29, s5, s3
.LBB519_10:                             ;   in Loop: Header=BB519_6 Depth=1
	v_perm_b32 v3, v53, v52, s21
	v_perm_b32 v2, v47, v46, s21
	;; [unrolled: 1-line block ×4, first 2 shown]
	ds_write_b64 v73, v[2:3]
	ds_write_b64 v74, v[4:5]
	;; [unrolled: 1-line block ×4, first 2 shown]
	s_waitcnt lgkmcnt(0)
	s_barrier
	ds_read_b64 v[10:11], v77 offset:16384
	ds_read_b64 v[12:13], v79 offset:16384
	ds_read2st64_b64 v[2:5], v78 offset1:1
	s_waitcnt lgkmcnt(0)
	v_mfma_f32_16x16x16_bf16 a[0:3], v[10:11], v[2:3], 0
	ds_read2st64_b64 v[6:9], v78 offset0:2 offset1:3
	ds_read_b64 v[14:15], v80 offset:16384
	ds_read_b64 v[2:3], v81 offset:16384
	s_add_i32 s61, s54, 63
	v_mfma_f32_16x16x16_bf16 a[0:3], v[12:13], v[4:5], a[0:3]
	s_ashr_i32 s2, s61, 31
	s_mul_i32 s3, s61, s35
	s_mul_hi_u32 s31, s61, s34
	s_waitcnt lgkmcnt(1)
	v_mfma_f32_16x16x16_bf16 a[0:3], v[14:15], v[6:7], a[0:3]
	s_add_i32 s3, s31, s3
	s_mul_i32 s2, s2, s34
	s_add_i32 s3, s3, s2
	s_mul_i32 s2, s61, s34
	s_waitcnt lgkmcnt(0)
	v_mfma_f32_16x16x16_bf16 a[0:3], v[2:3], v[8:9], a[0:3]
	s_lshl_b64 s[2:3], s[2:3], 2
	s_add_u32 s2, s42, s2
	s_addc_u32 s3, s43, s3
	s_and_b64 vcc, exec, s[0:1]
	v_mov_b32_e32 v100, 0
	v_mov_b32_e32 v99, 0
	;; [unrolled: 1-line block ×19, first 2 shown]
	s_cbranch_vccnz .LBB519_12
; %bb.11:                               ;   in Loop: Header=BB519_6 Depth=1
	s_and_b32 s25, s25, 0xffff
	buffer_load_dwordx4 v[14:17], v69, s[24:27], 0 offen
	buffer_load_dwordx4 v[10:13], v69, s[24:27], s57 offen
	;; [unrolled: 1-line block ×4, first 2 shown]
	v_mov_b32_e32 v99, v71
	v_mov_b32_e32 v98, v72
.LBB519_12:                             ;   in Loop: Header=BB519_6 Depth=1
	v_add_u32_e32 v22, s54, v87
	v_ashrrev_i32_e32 v18, 31, v22
	v_mul_lo_u32 v20, v18, s34
	v_mul_lo_u32 v21, v22, s35
	v_mad_u64_u32 v[18:19], s[24:25], v22, s34, 0
	v_add3_u32 v19, v19, v21, v20
	v_lshl_add_u64 v[18:19], v[18:19], 2, s[42:43]
	global_load_dword v36, v[18:19], off
	v_add_u32_e32 v18, 1, v22
	v_ashrrev_i32_e32 v19, 31, v18
	v_mul_lo_u32 v20, v19, s34
	v_mul_lo_u32 v21, v18, s35
	v_mad_u64_u32 v[18:19], s[24:25], v18, s34, 0
	v_add3_u32 v19, v19, v21, v20
	v_add_u32_e32 v20, 2, v22
	v_ashrrev_i32_e32 v21, 31, v20
	v_mul_lo_u32 v23, v21, s34
	v_mul_lo_u32 v24, v20, s35
	v_mad_u64_u32 v[20:21], s[24:25], v20, s34, 0
	v_add_u32_e32 v22, 3, v22
	v_add3_u32 v21, v21, v24, v23
	v_ashrrev_i32_e32 v23, 31, v22
	v_mul_lo_u32 v26, v23, s34
	v_mul_lo_u32 v27, v22, s35
	v_mad_u64_u32 v[22:23], s[24:25], v22, s34, 0
	s_ashr_i32 s25, s54, 31
	s_add_u32 s24, s51, s54
	s_addc_u32 s25, s50, s25
	s_lshl_b64 s[24:25], s[24:25], 8
	v_lshl_add_u64 v[18:19], v[18:19], 2, s[42:43]
	v_lshl_add_u64 v[24:25], v[56:57], 0, s[24:25]
	v_add3_u32 v23, v23, v27, v26
	v_lshl_add_u64 v[20:21], v[20:21], 2, s[42:43]
	global_load_ushort v37, v[24:25], off
	global_load_ushort v38, v[24:25], off offset:256
	global_load_ushort v39, v[24:25], off offset:512
	;; [unrolled: 1-line block ×3, first 2 shown]
	v_lshl_add_u64 v[22:23], v[22:23], 2, s[42:43]
	global_load_dword v41, v[18:19], off
	global_load_dword v42, v[20:21], off
	;; [unrolled: 1-line block ×3, first 2 shown]
	s_load_dword s2, s[2:3], 0x0
	ds_read_b64 v[20:21], v77 offset:24576
	ds_read2st64_b64 v[22:25], v82 offset1:1
	ds_read2st64_b64 v[26:29], v82 offset0:2 offset1:3
	ds_read_b64 v[30:31], v79 offset:24576
	ds_read_b64 v[32:33], v80 offset:24576
	;; [unrolled: 1-line block ×3, first 2 shown]
	s_waitcnt lgkmcnt(0)
	v_mfma_f32_16x16x16_bf16 a[0:3], v[20:21], v[22:23], a[0:3]
	v_mov_b32_e32 v101, 0
	v_mov_b32_e32 v18, 0
	;; [unrolled: 1-line block ×3, first 2 shown]
	v_mfma_f32_16x16x16_bf16 a[0:3], v[30:31], v[24:25], a[0:3]
	v_lshl_add_u64 v[30:31], v[58:59], 0, s[24:25]
	v_mov_b32_e32 v20, 0
	v_mov_b32_e32 v21, 0
	v_mfma_f32_16x16x16_bf16 a[0:3], v[32:33], v[26:27], a[0:3]
	v_mov_b32_e32 v22, 0
	v_mov_b32_e32 v23, 0
	;; [unrolled: 1-line block ×3, first 2 shown]
	v_mfma_f32_16x16x16_bf16 a[0:3], v[34:35], v[28:29], a[0:3]
	v_mov_b32_e32 v25, 0
	v_mov_b32_e32 v26, 0
	s_and_b64 vcc, exec, s[0:1]
	s_waitcnt vmcnt(7)
	v_sub_f32_e32 v27, s2, v36
	s_nop 1
	v_accvgpr_read_b32 v33, a1
	v_accvgpr_read_b32 v32, a0
	;; [unrolled: 1-line block ×4, first 2 shown]
	s_waitcnt vmcnt(6)
	v_lshlrev_b32_e32 v34, 16, v37
	s_waitcnt vmcnt(5)
	v_lshlrev_b32_e32 v35, 16, v38
	v_exp_f32_e32 v38, v27
	s_waitcnt vmcnt(3)
	v_lshlrev_b32_e32 v37, 16, v40
	s_waitcnt vmcnt(2)
	v_sub_f32_e32 v27, s2, v41
	s_waitcnt vmcnt(1)
	v_sub_f32_e32 v40, s2, v42
	;; [unrolled: 2-line block ×3, first 2 shown]
	v_lshlrev_b32_e32 v36, 16, v39
	v_pk_add_f32 v[32:33], v[34:35], v[32:33] neg_lo:[0,1] neg_hi:[0,1]
	v_exp_f32_e32 v39, v27
	v_exp_f32_e32 v34, v40
	;; [unrolled: 1-line block ×3, first 2 shown]
	v_pk_add_f32 v[28:29], v[36:37], v[28:29] neg_lo:[0,1] neg_hi:[0,1]
	global_store_short_d16_hi v[30:31], v32, off
	global_store_short_d16_hi v[30:31], v33, off offset:256
	global_store_short_d16_hi v[30:31], v28, off offset:512
	;; [unrolled: 1-line block ×3, first 2 shown]
	v_pk_mul_f32 v[30:31], v[38:39], v[32:33]
	v_pk_mul_f32 v[28:29], v[34:35], v[28:29]
	v_perm_b32 v30, v31, v30, s21
	v_perm_b32 v31, v29, v28, s21
	ds_write_b64 v74, v[30:31]
	v_mov_b32_e32 v27, 0
	v_mov_b32_e32 v28, 0
	;; [unrolled: 1-line block ×7, first 2 shown]
	s_cbranch_vccnz .LBB519_14
; %bb.13:                               ;   in Loop: Header=BB519_6 Depth=1
	s_and_b32 s29, s29, 0xffff
	s_mov_b32 s31, s27
	buffer_load_dwordx4 v[30:33], v85, s[28:31], 0 offen
	buffer_load_dwordx4 v[22:25], v85, s[28:31], s57 offen
	buffer_load_dwordx4 v[26:29], v86, s[28:31], 0 offen
	buffer_load_dwordx4 v[18:21], v86, s[28:31], s57 offen
	v_mov_b32_e32 v100, v68
	v_mov_b32_e32 v101, v67
.LBB519_14:                             ;   in Loop: Header=BB519_6 Depth=1
	s_waitcnt lgkmcnt(0)
	s_barrier
	ds_read_b64 v[34:35], v89
	ds_read_b64 v[40:41], v90
	ds_read2st64_b64 v[36:39], v82 offset1:1
	ds_read2st64_b64 v[102:105], v82 offset0:2 offset1:3
	ds_read_b64 v[42:43], v91
	ds_read_b64 v[110:111], v92
	s_add_i32 s3, s48, s60
	s_mul_hi_i32 s25, s3, s52
	s_mul_i32 s3, s3, s52
	s_waitcnt lgkmcnt(3)
	v_mfma_f32_16x16x16_bf16 a[0:3], v[34:35], v[36:37], 0
	ds_read_b64 v[34:35], v94
	s_add_u32 s24, s3, s33
	s_addc_u32 s25, s25, s55
	v_mfma_f32_16x16x16_bf16 a[0:3], v[40:41], v[38:39], a[0:3]
	ds_read_b64 v[40:41], v95
	s_lshl_b64 s[24:25], s[24:25], 15
	s_mul_i32 s28, s61, s52
	s_mul_hi_i32 s3, s61, s52
	s_add_u32 s28, s28, s33
	s_addc_u32 s29, s3, s55
	s_lshl_b64 s[28:29], s[28:29], 9
	s_add_u32 s28, s40, s28
	s_waitcnt lgkmcnt(1)
	v_mfma_f32_16x16x16_bf16 a[4:7], v[34:35], v[36:37], 0
	s_addc_u32 s29, s41, s29
	s_and_b64 vcc, exec, s[0:1]
	v_mfma_f32_16x16x16_bf16 a[0:3], v[42:43], v[102:103], a[0:3]
	ds_read_b64 v[42:43], v96
	ds_read_b64 v[112:113], v97
	global_load_dwordx4 v[34:37], v93, s[28:29]
	s_waitcnt lgkmcnt(2)
	v_mfma_f32_16x16x16_bf16 a[4:7], v[40:41], v[38:39], a[4:7]
	global_load_dwordx4 v[38:41], v88, s[28:29]
	ds_read_b64 v[106:107], v83
	ds_read_b64 v[108:109], v84
	s_waitcnt lgkmcnt(3)
	v_mfma_f32_16x16x16_bf16 a[8:11], v[42:43], v[102:103], a[4:7]
	v_lshl_add_u64 v[42:43], v[54:55], 0, s[24:25]
	s_waitcnt lgkmcnt(0)
	global_store_dwordx4 v[42:43], v[106:109], off
	v_mfma_f32_16x16x16_bf16 a[4:7], v[110:111], v[104:105], a[0:3]
	s_waitcnt vmcnt(2)
	v_mov_b32_e32 v44, v37
	v_mfma_f32_16x16x16_bf16 a[0:3], v[112:113], v[104:105], a[8:11]
	v_mov_b32_e32 v43, v36
	v_mov_b32_e32 v42, v35
	s_cbranch_vccnz .LBB519_16
; %bb.15:                               ;   in Loop: Header=BB519_6 Depth=1
	v_lshrrev_b32_e32 v35, 3, v100
	v_and_b32_e32 v35, 6, v35
	v_xor_b32_e32 v36, v35, v101
	v_lshlrev_b32_e32 v36, 2, v36
	v_and_b32_e32 v37, 8, v100
	v_xor_b32_e32 v100, 0x440, v36
	v_cmp_eq_u32_e32 vcc, 0, v37
	v_perm_b32 v37, v22, v18, s58
	s_nop 0
	v_cndmask_b32_e32 v36, v100, v36, vcc
	v_lshl_or_b32 v35, v35, 10, v36
	v_perm_b32 v36, v30, v26, s58
	s_barrier
	ds_write2st64_b32 v35, v36, v37 offset1:32
	v_xor_b32_e32 v36, 8, v35
	v_perm_b32 v26, v30, v26, s59
	v_perm_b32 v18, v22, v18, s59
	v_add_u32_e32 v22, 0x80, v36
	ds_write2st64_b32 v22, v26, v18 offset1:32
	v_xor_b32_e32 v18, 16, v35
	v_perm_b32 v22, v31, v27, s58
	v_perm_b32 v26, v23, v19, s58
	ds_write2st64_b32 v18, v22, v26 offset0:1 offset1:33
	v_xor_b32_e32 v18, 24, v35
	v_perm_b32 v22, v31, v27, s59
	v_perm_b32 v19, v23, v19, s59
	v_add_u32_e32 v18, 0x80, v18
	ds_write2st64_b32 v18, v22, v19 offset0:1 offset1:33
	v_xor_b32_e32 v18, 32, v35
	v_perm_b32 v19, v32, v28, s58
	v_perm_b32 v22, v24, v20, s58
	ds_write2st64_b32 v18, v19, v22 offset0:2 offset1:34
	v_xor_b32_e32 v18, 40, v35
	v_perm_b32 v19, v32, v28, s59
	v_perm_b32 v20, v24, v20, s59
	v_add_u32_e32 v18, 0x80, v18
	ds_write2st64_b32 v18, v19, v20 offset0:2 offset1:34
	;; [unrolled: 9-line block ×3, first 2 shown]
	ds_write_b64 v99, v[14:15] offset:16384
	v_xor_b32_e32 v14, 8, v99
	ds_write_b64 v14, v[16:17] offset:16384
	ds_write_b64 v99, v[10:11] offset:24576
	;; [unrolled: 1-line block ×4, first 2 shown]
	v_xor_b32_e32 v6, 8, v98
	ds_write_b64 v6, v[8:9] offset:16384
	ds_write_b64 v98, v[2:3] offset:24576
	;; [unrolled: 1-line block ×3, first 2 shown]
.LBB519_16:                             ;   in Loop: Header=BB519_6 Depth=1
	v_exp_f32_e32 v10, s2
	s_waitcnt vmcnt(1)
	v_exp_f32_e32 v12, v38
	v_exp_f32_e32 v13, v39
	;; [unrolled: 1-line block ×4, first 2 shown]
	v_accvgpr_read_b32 v2, a4
	v_accvgpr_read_b32 v3, a5
	v_pk_mul_f32 v[12:13], v[10:11], v[12:13] op_sel_hi:[0,1]
	v_pk_fma_f32 v[46:47], v[46:47], v[12:13], v[2:3]
	v_exp_f32_e32 v12, v34
	v_exp_f32_e32 v13, v42
	v_pk_mul_f32 v[2:3], v[10:11], v[14:15] op_sel_hi:[0,1]
	v_exp_f32_e32 v14, v43
	v_exp_f32_e32 v15, v44
	v_accvgpr_read_b32 v4, a6
	v_accvgpr_read_b32 v5, a7
	;; [unrolled: 1-line block ×5, first 2 shown]
	v_pk_fma_f32 v[52:53], v[52:53], v[2:3], v[4:5]
	v_pk_mul_f32 v[2:3], v[10:11], v[12:13] op_sel_hi:[0,1]
	v_accvgpr_read_b32 v8, a2
	v_pk_fma_f32 v[50:51], v[50:51], v[2:3], v[6:7]
	v_pk_mul_f32 v[2:3], v[10:11], v[14:15] op_sel_hi:[0,1]
	s_add_i32 s54, s54, 64
	s_cmp_eq_u32 s47, s37
	v_pk_fma_f32 v[48:49], v[48:49], v[2:3], v[8:9]
	s_cbranch_scc1 .LBB519_18
; %bb.17:                               ;   in Loop: Header=BB519_6 Depth=1
	s_mov_b32 s60, s37
	s_branch .LBB519_6
.LBB519_18:
	s_lshl_b32 s0, s47, 6
	s_sub_i32 s42, s49, s0
	s_cmp_gt_i32 s42, 0
	s_cbranch_scc0 .LBB519_75
; %bb.19:
	s_add_i32 s38, s0, s38
	s_ashr_i32 s2, s38, 31
	s_cmpk_lg_i32 s19, 0x80
	s_cselect_b64 s[30:31], -1, 0
	s_and_b64 vcc, exec, s[30:31]
	s_cbranch_vccz .LBB519_21
; %bb.20:
	s_mul_i32 s1, s38, s18
	s_ashr_i32 s3, s53, 31
	s_mul_hi_i32 s0, s38, s18
	s_add_u32 s40, s1, s53
	s_addc_u32 s41, s0, s3
	s_cbranch_execz .LBB519_22
	s_branch .LBB519_23
.LBB519_21:
                                        ; implicit-def: $sgpr40_sgpr41
.LBB519_22:
	s_mul_i32 s1, s53, s16
	s_mul_hi_i32 s0, s53, s16
	s_add_u32 s40, s1, s38
	s_addc_u32 s41, s0, s2
.LBB519_23:
	s_add_i32 s3, s47, s48
	s_ashr_i32 s16, s33, 31
	s_add_u32 s0, s51, s38
	s_addc_u32 s1, s50, s2
	s_mov_b32 s2, 0x7060302
	v_lshlrev_b32_e32 v6, 3, v1
	s_lshl_b64 s[28:29], s[0:1], 8
	v_perm_b32 v3, v53, v52, s2
	v_perm_b32 v2, v47, v46, s2
	;; [unrolled: 1-line block ×4, first 2 shown]
	v_lshlrev_b32_e32 v34, 2, v1
	v_lshl_or_b32 v6, v66, 5, v6
	s_add_u32 s0, s6, s28
	ds_write2st64_b64 v6, v[2:3], v[4:5] offset0:72 offset1:76
	v_xor_b32_e32 v6, v66, v34
	v_lshlrev_b32_e32 v7, 8, v1
	s_addc_u32 s1, s7, s29
	v_lshl_or_b32 v6, v6, 1, v7
	s_mul_hi_i32 s6, s3, s17
	s_mul_i32 s3, s3, s17
	ds_write_b64 v6, v[2:3] offset:32768
	v_xor_b32_e32 v2, v65, v34
	s_add_u32 s2, s3, s33
	v_lshl_or_b32 v2, v2, 1, v7
	s_addc_u32 s3, s6, s16
	v_lshlrev_b32_e32 v3, 1, v1
	ds_write_b64 v2, v[4:5] offset:32768
	v_lshrrev_b32_e32 v2, 4, v0
	s_ashr_i32 s37, s36, 31
	s_lshl_b64 s[2:3], s[2:3], 15
	v_or_b32_e32 v4, 1, v3
	s_add_u32 s6, s12, s2
	v_xor_b32_e32 v3, v2, v3
	v_xor_b32_e32 v4, v4, v2
	v_lshlrev_b32_e32 v6, 8, v2
	s_addc_u32 s7, s13, s3
	s_lshl_b64 s[2:3], s[36:37], 8
	v_lshl_or_b32 v2, v3, 3, v6
	v_lshl_or_b32 v4, v4, 3, v6
	s_waitcnt lgkmcnt(0)
	s_barrier
	s_add_u32 s2, s6, s2
	ds_read_b64 v[2:3], v2 offset:32768
	ds_read_b64 v[4:5], v4 offset:32768
	s_addc_u32 s3, s7, s3
	v_mov_b32_e32 v7, 0
	s_cmp_lg_u32 s42, 64
	v_lshl_add_u64 v[8:9], s[2:3], 0, v[6:7]
	v_lshlrev_b32_e32 v6, 4, v1
	s_cselect_b64 s[6:7], -1, 0
	v_lshl_or_b32 v35, v61, 3, v64
	s_mov_b32 s24, 0
	v_lshl_add_u64 v[6:7], v[8:9], 0, v[6:7]
	v_or_b32_e32 v19, 32, v35
	v_and_b32_e32 v18, 56, v63
	s_and_b64 vcc, exec, s[6:7]
	s_waitcnt lgkmcnt(0)
	global_store_dwordx4 v[6:7], v[2:5], off
	s_cbranch_vccz .LBB519_29
; %bb.24:
	s_mov_b32 s25, s24
	s_mov_b32 s26, s24
	;; [unrolled: 1-line block ×3, first 2 shown]
	v_mov_b64_e32 v[6:7], s[24:25]
	v_mov_b64_e32 v[8:9], s[26:27]
	;; [unrolled: 1-line block ×3, first 2 shown]
	v_cmp_gt_i32_e32 vcc, s42, v35
	v_mov_b64_e32 v[4:5], v[8:9]
	s_and_saveexec_b64 s[2:3], vcc
	s_cbranch_execz .LBB519_26
; %bb.25:
	v_lshlrev_b32_e32 v2, 8, v35
	v_mov_b32_e32 v3, 0
	v_lshl_add_u64 v[4:5], s[0:1], 0, v[2:3]
	v_lshlrev_b32_e32 v2, 1, v18
	v_lshl_add_u64 v[10:11], v[4:5], 0, v[2:3]
	global_load_dwordx4 v[6:9], v[10:11], off
	global_load_dwordx4 v[2:5], v[10:11], off offset:128
.LBB519_26:
	s_or_b64 exec, exec, s[2:3]
	s_mov_b32 s25, s24
	s_mov_b32 s26, s24
	;; [unrolled: 1-line block ×3, first 2 shown]
	v_mov_b64_e32 v[14:15], s[24:25]
	v_mov_b64_e32 v[16:17], s[26:27]
	;; [unrolled: 1-line block ×3, first 2 shown]
	v_cmp_gt_i32_e32 vcc, s42, v19
	v_lshlrev_b32_e32 v20, 7, v19
	v_mov_b64_e32 v[12:13], v[16:17]
	s_and_saveexec_b64 s[2:3], vcc
	s_cbranch_execz .LBB519_28
; %bb.27:
	v_lshlrev_b32_e32 v10, 1, v20
	v_mov_b32_e32 v11, 0
	v_lshl_add_u64 v[12:13], s[0:1], 0, v[10:11]
	v_lshlrev_b32_e32 v10, 1, v18
	v_lshl_add_u64 v[22:23], v[12:13], 0, v[10:11]
	global_load_dwordx4 v[14:17], v[22:23], off
	global_load_dwordx4 v[10:13], v[22:23], off offset:128
.LBB519_28:
	s_or_b64 exec, exec, s[2:3]
	v_lshrrev_b32_e32 v21, 3, v18
	v_lshlrev_b32_e32 v22, 3, v35
	v_or_b32_e32 v21, v22, v21
	v_lshlrev_b32_e32 v21, 4, v21
	v_and_b32_e32 v22, 0x78, v22
	v_xor_b32_e32 v21, v21, v22
	s_branch .LBB519_31
.LBB519_29:
                                        ; implicit-def: $vgpr21
                                        ; implicit-def: $vgpr20
                                        ; implicit-def: $vgpr6_vgpr7_vgpr8_vgpr9
                                        ; implicit-def: $vgpr2_vgpr3_vgpr4_vgpr5
                                        ; implicit-def: $vgpr14_vgpr15_vgpr16_vgpr17
                                        ; implicit-def: $vgpr10_vgpr11_vgpr12_vgpr13
	s_cbranch_execz .LBB519_31
; %bb.30:
	s_waitcnt vmcnt(0)
	v_lshlrev_b32_e32 v2, 1, v18
	v_lshl_or_b32 v20, v35, 8, v2
	s_and_b32 s1, s1, 0xffff
	s_mov_b32 s3, 0x20000
	s_movk_i32 s2, 0x4000
	v_lshl_or_b32 v21, v19, 8, v2
	s_movk_i32 s12, 0x80
	buffer_load_dwordx4 v[6:9], v20, s[0:3], 0 offen
	buffer_load_dwordx4 v[2:5], v20, s[0:3], s12 offen
	;; [unrolled: 1-line block ×4, first 2 shown]
	v_lshrrev_b32_e32 v20, 3, v18
	v_lshlrev_b32_e32 v21, 3, v35
	v_or_b32_e32 v20, v21, v20
	v_lshlrev_b32_e32 v20, 4, v20
	v_and_b32_e32 v21, 0x78, v21
	v_xor_b32_e32 v21, v20, v21
	v_lshlrev_b32_e32 v20, 7, v19
.LBB519_31:
	s_lshl_b64 s[0:1], s[40:41], 8
	s_add_u32 s4, s4, s0
	s_movk_i32 s0, 0x1000
	v_and_or_b32 v19, v20, s0, v21
	s_waitcnt vmcnt(1)
	ds_write_b64 v21, v[6:7] offset:16384
	v_xor_b32_e32 v6, 8, v21
	s_addc_u32 s5, s5, s1
	ds_write_b64 v6, v[8:9] offset:16384
	s_waitcnt vmcnt(0)
	ds_write_b64 v21, v[2:3] offset:24576
	ds_write_b64 v6, v[4:5] offset:24576
	;; [unrolled: 1-line block ×3, first 2 shown]
	v_xor_b32_e32 v2, 8, v19
	s_add_i32 s0, s45, s44
	ds_write_b64 v2, v[16:17] offset:16384
	ds_write_b64 v19, v[10:11] offset:24576
	;; [unrolled: 1-line block ×3, first 2 shown]
	s_add_i32 s21, s0, s46
	s_mul_i32 s0, s33, s23
	s_mul_hi_u32 s1, s33, s22
	v_or_b32_e32 v2, v45, v1
	s_add_i32 s0, s1, s0
	s_mul_i32 s1, s16, s22
	v_lshlrev_b32_e32 v2, 3, v2
	v_lshrrev_b32_e32 v4, 5, v60
	s_movk_i32 s16, 0xf8
	v_and_or_b32 v4, v2, s16, v4
	v_lshlrev_b32_e32 v3, 11, v61
	v_lshlrev_b32_e32 v12, 4, v4
	v_and_b32_e32 v13, 0x78, v2
	v_and_b32_e32 v14, 0x1000, v3
	v_lshlrev_b32_e32 v3, 2, v0
	v_xor_b32_e32 v2, v12, v13
	v_lshrrev_b32_e32 v4, 1, v60
	v_and_b32_e32 v3, 60, v3
	v_or_b32_e32 v2, v2, v14
	v_and_b32_e32 v15, 8, v4
	v_xor_b32_e32 v26, v2, v15
	v_lshl_or_b32 v2, v62, 6, v3
	v_lshlrev_b32_e32 v19, 1, v2
	v_or_b32_e32 v2, 32, v12
	v_xor_b32_e32 v2, v2, v13
	s_waitcnt lgkmcnt(0)
	s_barrier
	ds_read_b64 v[10:11], v26 offset:16384
	v_or_b32_e32 v2, v2, v14
	v_xor_b32_e32 v27, v2, v15
	v_or_b32_e32 v2, 64, v12
	v_xor_b32_e32 v2, v2, v13
	v_or_b32_e32 v2, v2, v14
	v_or_b32_e32 v12, 0x60, v12
	v_xor_b32_e32 v28, v2, v15
	ds_read2st64_b64 v[2:5], v19 offset0:72 offset1:73
	ds_read2st64_b64 v[6:9], v19 offset0:74 offset1:75
	v_xor_b32_e32 v16, v12, v13
	ds_read_b64 v[12:13], v27 offset:16384
	s_waitcnt lgkmcnt(2)
	v_mfma_f32_16x16x16_bf16 a[0:3], v[10:11], v[2:3], 0
	s_add_i32 s2, s39, -1
	s_ashr_i32 s3, s2, 31
	s_mul_i32 s12, s2, s35
	s_mul_hi_u32 s13, s2, s34
	s_add_i32 s12, s13, s12
	s_mul_i32 s3, s3, s34
	v_or_b32_e32 v14, v16, v14
	s_add_i32 s1, s0, s1
	s_add_i32 s3, s12, s3
	s_lshl_b64 s[12:13], s[20:21], 2
	v_xor_b32_e32 v36, v14, v15
	ds_read_b64 v[14:15], v28 offset:16384
	ds_read_b64 v[16:17], v36 offset:16384
	s_waitcnt lgkmcnt(2)
	v_mfma_f32_16x16x16_bf16 a[0:3], v[12:13], v[4:5], a[0:3]
	s_mul_i32 s0, s33, s22
	s_add_u32 s10, s10, s12
	s_addc_u32 s11, s11, s13
	s_lshl_b64 s[0:1], s[0:1], 2
	s_mul_i32 s2, s2, s34
	s_add_u32 s10, s10, s0
	s_addc_u32 s11, s11, s1
	s_lshl_b64 s[0:1], s[2:3], 2
	s_waitcnt lgkmcnt(1)
	v_mfma_f32_16x16x16_bf16 a[0:3], v[14:15], v[6:7], a[0:3]
	s_add_u32 s0, s10, s0
	s_addc_u32 s1, s11, s1
	s_load_dword s12, s[0:1], 0x0
	s_waitcnt lgkmcnt(0)
	v_mfma_f32_16x16x16_bf16 a[0:3], v[16:17], v[8:9], a[0:3]
	s_and_b64 vcc, exec, s[30:31]
	s_cbranch_vccz .LBB519_42
; %bb.32:
	v_lshlrev_b32_e32 v20, 1, v35
	s_and_b64 vcc, exec, s[6:7]
	s_cbranch_vccz .LBB519_43
; %bb.33:
	v_cmp_gt_i32_e32 vcc, s42, v20
	v_mov_b32_e32 v6, 0
	v_mov_b32_e32 v2, 0
	;; [unrolled: 1-line block ×5, first 2 shown]
	s_and_saveexec_b64 s[0:1], vcc
	s_cbranch_execz .LBB519_35
; %bb.34:
	v_mad_i64_i32 v[2:3], s[2:3], s19, v20, 0
	v_lshl_add_u64 v[2:3], v[2:3], 1, s[4:5]
	v_lshlrev_b32_e32 v4, 1, v18
	v_mov_b32_e32 v5, 0
	v_lshl_add_u64 v[2:3], v[2:3], 0, v[4:5]
	global_load_dwordx4 v[2:5], v[2:3], off
.LBB519_35:
	s_or_b64 exec, exec, s[0:1]
	v_or_b32_e32 v21, 1, v20
	v_cmp_gt_i32_e64 s[0:1], s42, v21
	v_mov_b32_e32 v7, 0
	v_mov_b32_e32 v8, 0
	;; [unrolled: 1-line block ×3, first 2 shown]
	s_and_saveexec_b64 s[2:3], s[0:1]
	s_cbranch_execz .LBB519_37
; %bb.36:
	v_mad_i64_i32 v[6:7], s[16:17], s19, v21, 0
	v_lshl_add_u64 v[6:7], v[6:7], 1, s[4:5]
	v_lshlrev_b32_e32 v8, 1, v18
	v_mov_b32_e32 v9, 0
	v_lshl_add_u64 v[6:7], v[6:7], 0, v[8:9]
	global_load_dwordx4 v[6:9], v[6:7], off
.LBB519_37:
	s_or_b64 exec, exec, s[2:3]
	v_mov_b32_e32 v17, 0
	v_mov_b32_e32 v10, 0
	;; [unrolled: 1-line block ×5, first 2 shown]
	s_and_saveexec_b64 s[2:3], vcc
	s_cbranch_execz .LBB519_39
; %bb.38:
	v_mad_i64_i32 v[10:11], s[16:17], s19, v20, 0
	v_lshl_add_u64 v[10:11], v[10:11], 1, s[4:5]
	v_lshlrev_b32_e32 v12, 1, v18
	v_mov_b32_e32 v13, 0
	v_lshl_add_u64 v[10:11], v[10:11], 0, v[12:13]
	global_load_dwordx4 v[10:13], v[10:11], off offset:128
.LBB519_39:
	s_or_b64 exec, exec, s[2:3]
	v_mov_b32_e32 v16, 0
	v_mov_b32_e32 v15, 0
	;; [unrolled: 1-line block ×3, first 2 shown]
	s_and_saveexec_b64 s[2:3], s[0:1]
	s_cbranch_execz .LBB519_41
; %bb.40:
	v_mad_i64_i32 v[14:15], s[0:1], s19, v21, 0
	v_lshl_add_u64 v[14:15], v[14:15], 1, s[4:5]
	v_lshlrev_b32_e32 v16, 1, v18
	v_mov_b32_e32 v17, 0
	v_lshl_add_u64 v[14:15], v[14:15], 0, v[16:17]
	global_load_dwordx4 v[14:17], v[14:15], off offset:128
.LBB519_41:
	s_or_b64 exec, exec, s[2:3]
	s_branch .LBB519_45
.LBB519_42:
                                        ; implicit-def: $vgpr5
                                        ; implicit-def: $vgpr9
                                        ; implicit-def: $vgpr13
                                        ; implicit-def: $vgpr17
	v_lshrrev_b32_e32 v37, 2, v60
	s_branch .LBB519_46
.LBB519_43:
                                        ; implicit-def: $vgpr5
                                        ; implicit-def: $vgpr9
                                        ; implicit-def: $vgpr13
                                        ; implicit-def: $vgpr17
	s_cbranch_execz .LBB519_45
; %bb.44:
	s_waitcnt vmcnt(0)
	v_mad_u64_u32 v[2:3], s[0:1], v20, s19, v[18:19]
	v_lshlrev_b32_e32 v20, 1, v2
	s_lshl_b32 s2, s19, 7
	s_and_b32 s1, s5, 0xffff
	s_mov_b32 s3, 0x20000
	s_mov_b32 s0, s4
	v_add_lshl_u32 v21, v2, s19, 1
	s_movk_i32 s13, 0x80
	buffer_load_dwordx4 v[2:5], v20, s[0:3], 0 offen
	buffer_load_dwordx4 v[10:13], v20, s[0:3], s13 offen
	;; [unrolled: 1-line block ×4, first 2 shown]
.LBB519_45:
	v_lshrrev_b32_e32 v37, 2, v60
	s_cbranch_execnz .LBB519_58
.LBB519_46:
	s_and_b64 vcc, exec, s[6:7]
	s_cbranch_vccz .LBB519_56
; %bb.47:
	s_waitcnt vmcnt(0)
	v_lshlrev_b32_e32 v7, 1, v35
	v_cmp_gt_i32_e32 vcc, s42, v7
	v_mov_b32_e32 v6, 0
	v_lshlrev_b32_e32 v14, 9, v35
	v_mov_b32_e32 v2, 0
	v_mov_b32_e32 v3, 0
	;; [unrolled: 1-line block ×4, first 2 shown]
	s_and_saveexec_b64 s[0:1], vcc
	s_cbranch_execz .LBB519_49
; %bb.48:
	v_mov_b32_e32 v15, 0
	v_lshl_add_u64 v[2:3], s[4:5], 0, v[14:15]
	v_lshlrev_b32_e32 v4, 1, v18
	v_mov_b32_e32 v5, v15
	v_lshl_add_u64 v[2:3], v[2:3], 0, v[4:5]
	global_load_dwordx4 v[2:5], v[2:3], off
.LBB519_49:
	s_or_b64 exec, exec, s[0:1]
	v_or_b32_e32 v7, 1, v7
	v_cmp_gt_i32_e64 s[0:1], s42, v7
	v_lshlrev_b32_e32 v20, 8, v7
	v_mov_b32_e32 v7, 0
	v_mov_b32_e32 v8, 0
	;; [unrolled: 1-line block ×3, first 2 shown]
	s_and_saveexec_b64 s[2:3], s[0:1]
	s_cbranch_execz .LBB519_51
; %bb.50:
	v_mov_b32_e32 v21, 0
	v_lshl_add_u64 v[6:7], s[4:5], 0, v[20:21]
	v_lshlrev_b32_e32 v8, 1, v18
	v_mov_b32_e32 v9, v21
	v_lshl_add_u64 v[6:7], v[6:7], 0, v[8:9]
	global_load_dwordx4 v[6:9], v[6:7], off
.LBB519_51:
	s_or_b64 exec, exec, s[2:3]
	v_mov_b32_e32 v17, 0
	v_mov_b32_e32 v10, 0
	;; [unrolled: 1-line block ×5, first 2 shown]
	s_and_saveexec_b64 s[2:3], vcc
	s_cbranch_execz .LBB519_53
; %bb.52:
	v_mov_b32_e32 v15, 0
	v_lshl_add_u64 v[10:11], s[4:5], 0, v[14:15]
	v_lshlrev_b32_e32 v14, 1, v18
	v_lshl_add_u64 v[10:11], v[10:11], 0, v[14:15]
	global_load_dwordx4 v[10:13], v[10:11], off offset:128
.LBB519_53:
	s_or_b64 exec, exec, s[2:3]
	v_mov_b32_e32 v16, 0
	v_mov_b32_e32 v15, 0
	;; [unrolled: 1-line block ×3, first 2 shown]
	s_and_saveexec_b64 s[2:3], s[0:1]
	s_cbranch_execz .LBB519_55
; %bb.54:
	v_mov_b32_e32 v21, 0
	v_lshl_add_u64 v[14:15], s[4:5], 0, v[20:21]
	v_lshlrev_b32_e32 v20, 1, v18
	v_lshl_add_u64 v[14:15], v[14:15], 0, v[20:21]
	global_load_dwordx4 v[14:17], v[14:15], off offset:128
.LBB519_55:
	s_or_b64 exec, exec, s[2:3]
	s_branch .LBB519_58
.LBB519_56:
                                        ; implicit-def: $vgpr5
                                        ; implicit-def: $vgpr9
                                        ; implicit-def: $vgpr13
                                        ; implicit-def: $vgpr17
	s_cbranch_execz .LBB519_58
; %bb.57:
	s_waitcnt vmcnt(0)
	v_lshlrev_b32_e32 v2, 1, v18
	v_lshl_or_b32 v18, v35, 9, v2
	s_and_b32 s5, s5, 0xffff
	s_mov_b32 s7, 0x20000
	s_movk_i32 s6, 0x4000
	s_movk_i32 s0, 0x80
	buffer_load_dwordx4 v[2:5], v18, s[4:7], 0 offen
	buffer_load_dwordx4 v[6:9], v18, s[4:7], 0 offen offset:256
	buffer_load_dwordx4 v[10:13], v18, s[4:7], s0 offen
	buffer_load_dwordx4 v[14:17], v18, s[4:7], s0 offen offset:256
.LBB519_58:
	ds_read2st64_b64 v[22:25], v19 offset0:76 offset1:77
	ds_read2st64_b64 v[18:21], v19 offset0:78 offset1:79
	ds_read_b64 v[32:33], v26 offset:24576
	ds_read_b64 v[30:31], v27 offset:24576
	;; [unrolled: 1-line block ×4, first 2 shown]
	v_and_b32_e32 v36, 6, v0
	v_xor_b32_e32 v35, v35, v36
	v_lshlrev_b32_e32 v35, 2, v35
	v_and_b32_e32 v0, 1, v0
	v_xor_b32_e32 v38, 0x440, v35
	v_cmp_eq_u32_e32 vcc, 0, v0
	s_mov_b32 s0, 0x1000504
	s_mov_b32 s1, 0x3020706
	v_cndmask_b32_e32 v0, v38, v35, vcc
	v_lshl_or_b32 v0, v36, 10, v0
	s_waitcnt vmcnt(0)
	v_perm_b32 v35, v2, v6, s0
	v_perm_b32 v36, v10, v14, s0
	ds_write2st64_b32 v0, v35, v36 offset1:32
	v_xor_b32_e32 v35, 8, v0
	v_perm_b32 v2, v2, v6, s1
	v_perm_b32 v6, v10, v14, s1
	v_add_u32_e32 v10, 0x80, v35
	ds_write2st64_b32 v10, v2, v6 offset1:32
	v_xor_b32_e32 v2, 16, v0
	v_perm_b32 v6, v3, v7, s0
	v_perm_b32 v10, v11, v15, s0
	ds_write2st64_b32 v2, v6, v10 offset0:1 offset1:33
	v_xor_b32_e32 v2, 24, v0
	v_perm_b32 v3, v3, v7, s1
	v_perm_b32 v6, v11, v15, s1
	v_add_u32_e32 v2, 0x80, v2
	ds_write2st64_b32 v2, v3, v6 offset0:1 offset1:33
	v_xor_b32_e32 v2, 32, v0
	v_perm_b32 v3, v4, v8, s0
	v_perm_b32 v6, v12, v16, s0
	ds_write2st64_b32 v2, v3, v6 offset0:2 offset1:34
	v_xor_b32_e32 v2, 40, v0
	v_perm_b32 v3, v4, v8, s1
	v_perm_b32 v4, v12, v16, s1
	v_add_u32_e32 v2, 0x80, v2
	ds_write2st64_b32 v2, v3, v4 offset0:2 offset1:34
	v_xor_b32_e32 v2, 48, v0
	v_perm_b32 v3, v5, v9, s0
	v_perm_b32 v4, v13, v17, s0
	v_xor_b32_e32 v0, 56, v0
	v_and_or_b32 v8, v37, 12, v45
	ds_write2st64_b32 v2, v3, v4 offset0:3 offset1:35
	v_perm_b32 v2, v5, v9, s1
	v_perm_b32 v3, v13, v17, s1
	v_add_u32_e32 v0, 0x80, v0
	v_cmp_gt_i32_e64 s[2:3], s42, v8
	v_mov_b32_e32 v10, 0
	v_mov_b32_e32 v15, 0
	ds_write2st64_b32 v0, v2, v3 offset0:3 offset1:35
	s_and_saveexec_b64 s[0:1], s[2:3]
	s_cbranch_execz .LBB519_60
; %bb.59:
	v_add_u32_e32 v0, s38, v8
	v_ashrrev_i32_e32 v2, 31, v0
	v_mul_lo_u32 v4, v2, s34
	v_mul_lo_u32 v5, v0, s35
	v_mad_u64_u32 v[2:3], s[4:5], v0, s34, 0
	v_add3_u32 v3, v3, v5, v4
	v_lshl_add_u64 v[2:3], v[2:3], 2, s[10:11]
	global_load_dword v0, v[2:3], off
	s_waitcnt vmcnt(0)
	v_sub_f32_e32 v0, s12, v0
	v_exp_f32_e32 v15, v0
.LBB519_60:
	s_or_b64 exec, exec, s[0:1]
	v_or_b32_e32 v13, 1, v8
	v_cmp_gt_i32_e64 s[4:5], s42, v13
	s_and_saveexec_b64 s[0:1], s[4:5]
	s_cbranch_execz .LBB519_62
; %bb.61:
	v_add_u32_e32 v0, s38, v13
	v_ashrrev_i32_e32 v2, 31, v0
	v_mul_lo_u32 v4, v2, s34
	v_mul_lo_u32 v5, v0, s35
	v_mad_u64_u32 v[2:3], s[6:7], v0, s34, 0
	v_add3_u32 v3, v3, v5, v4
	v_lshl_add_u64 v[2:3], v[2:3], 2, s[10:11]
	global_load_dword v0, v[2:3], off
	s_waitcnt vmcnt(0)
	v_sub_f32_e32 v0, s12, v0
	v_exp_f32_e32 v10, v0
.LBB519_62:
	s_or_b64 exec, exec, s[0:1]
	v_or_b32_e32 v11, 2, v8
	v_cmp_gt_i32_e32 vcc, s42, v11
	v_mov_b32_e32 v9, 0
	v_mov_b32_e32 v14, 0
	s_and_saveexec_b64 s[0:1], vcc
	s_cbranch_execz .LBB519_64
; %bb.63:
	v_add_u32_e32 v0, s38, v11
	v_ashrrev_i32_e32 v2, 31, v0
	v_mul_lo_u32 v4, v2, s34
	v_mul_lo_u32 v5, v0, s35
	v_mad_u64_u32 v[2:3], s[6:7], v0, s34, 0
	v_add3_u32 v3, v3, v5, v4
	v_lshl_add_u64 v[2:3], v[2:3], 2, s[10:11]
	global_load_dword v0, v[2:3], off
	s_waitcnt vmcnt(0)
	v_sub_f32_e32 v0, s12, v0
	v_exp_f32_e32 v14, v0
.LBB519_64:
	s_or_b64 exec, exec, s[0:1]
	v_or_b32_e32 v12, 3, v8
	v_cmp_gt_i32_e64 s[0:1], s42, v12
	s_and_saveexec_b64 s[6:7], s[0:1]
	s_cbranch_execz .LBB519_66
; %bb.65:
	v_add_u32_e32 v0, s38, v12
	v_ashrrev_i32_e32 v2, 31, v0
	v_mul_lo_u32 v4, v2, s34
	v_mul_lo_u32 v5, v0, s35
	v_mad_u64_u32 v[2:3], s[16:17], v0, s34, 0
	v_add3_u32 v3, v3, v5, v4
	v_lshl_add_u64 v[2:3], v[2:3], 2, s[10:11]
	global_load_dword v0, v[2:3], off
	s_waitcnt vmcnt(0)
	v_sub_f32_e32 v0, s12, v0
	v_exp_f32_e32 v9, v0
.LBB519_66:
	s_or_b64 exec, exec, s[6:7]
	s_waitcnt lgkmcnt(11)
	v_mfma_f32_16x16x16_bf16 a[0:3], v[32:33], v[22:23], a[0:3]
	v_or_b32_e32 v0, s36, v1
	s_add_u32 s6, s8, s28
	v_ashrrev_i32_e32 v1, 31, v0
	s_waitcnt lgkmcnt(10)
	v_mfma_f32_16x16x16_bf16 a[0:3], v[30:31], v[24:25], a[0:3]
	s_addc_u32 s7, s9, s29
	v_lshlrev_b64 v[0:1], 1, v[0:1]
	v_lshl_add_u64 v[4:5], s[6:7], 0, v[0:1]
	s_waitcnt lgkmcnt(9)
	v_mfma_f32_16x16x16_bf16 a[0:3], v[28:29], v[18:19], a[0:3]
	s_add_u32 s6, s14, s28
	s_addc_u32 s7, s15, s29
	v_lshl_add_u64 v[6:7], s[6:7], 0, v[0:1]
	s_waitcnt lgkmcnt(8)
	v_mfma_f32_16x16x16_bf16 a[0:3], v[26:27], v[20:21], a[0:3]
	v_mov_b32_e32 v16, 0
	v_mov_b32_e32 v17, 0
	s_nop 4
	v_accvgpr_read_b32 v0, a0
	v_accvgpr_read_b32 v1, a1
	;; [unrolled: 1-line block ×4, first 2 shown]
	s_and_saveexec_b64 s[6:7], s[2:3]
	s_cbranch_execz .LBB519_68
; %bb.67:
	v_lshlrev_b32_e32 v18, 8, v8
	v_mov_b32_e32 v19, 0
	v_lshl_add_u64 v[20:21], v[4:5], 0, v[18:19]
	global_load_ushort v17, v[20:21], off
	v_lshl_add_u64 v[18:19], v[6:7], 0, v[18:19]
	s_waitcnt vmcnt(0)
	v_lshlrev_b32_e32 v17, 16, v17
	v_sub_f32_e32 v0, v17, v0
	global_store_short_d16_hi v[18:19], v0, off
	v_mul_f32_e32 v0, v15, v0
	v_lshrrev_b32_e32 v17, 16, v0
.LBB519_68:
	s_or_b64 exec, exec, s[6:7]
	s_and_saveexec_b64 s[2:3], s[4:5]
	s_cbranch_execz .LBB519_70
; %bb.69:
	v_lshlrev_b32_e32 v18, 8, v13
	v_mov_b32_e32 v19, 0
	v_lshl_add_u64 v[20:21], v[4:5], 0, v[18:19]
	global_load_ushort v0, v[20:21], off
	v_lshl_add_u64 v[18:19], v[6:7], 0, v[18:19]
	s_waitcnt vmcnt(0)
	v_lshlrev_b32_e32 v0, 16, v0
	v_sub_f32_e32 v0, v0, v1
	global_store_short_d16_hi v[18:19], v0, off
	v_mul_f32_e32 v0, v10, v0
	v_lshrrev_b32_e32 v16, 16, v0
.LBB519_70:
	s_or_b64 exec, exec, s[2:3]
	v_mov_b32_e32 v0, 0
	v_mov_b32_e32 v1, 0
	s_and_saveexec_b64 s[2:3], vcc
	s_cbranch_execz .LBB519_72
; %bb.71:
	v_lshlrev_b32_e32 v10, 8, v11
	v_mov_b32_e32 v11, 0
	v_lshl_add_u64 v[18:19], v[4:5], 0, v[10:11]
	global_load_ushort v1, v[18:19], off
	v_lshl_add_u64 v[10:11], v[6:7], 0, v[10:11]
	s_waitcnt vmcnt(0)
	v_lshlrev_b32_e32 v1, 16, v1
	v_sub_f32_e32 v1, v1, v2
	global_store_short_d16_hi v[10:11], v1, off
	v_mul_f32_e32 v1, v14, v1
	v_lshrrev_b32_e32 v1, 16, v1
.LBB519_72:
	s_or_b64 exec, exec, s[2:3]
	s_and_saveexec_b64 s[2:3], s[0:1]
	s_cbranch_execz .LBB519_74
; %bb.73:
	v_lshlrev_b32_e32 v10, 8, v12
	v_mov_b32_e32 v11, 0
	v_lshl_add_u64 v[4:5], v[4:5], 0, v[10:11]
	global_load_ushort v0, v[4:5], off
	v_lshl_add_u64 v[4:5], v[6:7], 0, v[10:11]
	s_waitcnt vmcnt(0)
	v_lshlrev_b32_e32 v0, 16, v0
	v_sub_f32_e32 v0, v0, v3
	global_store_short_d16_hi v[4:5], v0, off
	v_mul_f32_e32 v0, v9, v0
	v_lshrrev_b32_e32 v0, 16, v0
.LBB519_74:
	s_or_b64 exec, exec, s[2:3]
	s_mov_b32 s0, 0x5040100
	v_lshlrev_b32_e32 v2, 1, v34
	v_perm_b32 v1, v0, v1, s0
	v_perm_b32 v0, v16, v17, s0
	v_lshl_or_b32 v2, v8, 5, v2
	ds_write_b64 v2, v[0:1] offset:38912
	s_waitcnt lgkmcnt(0)
	s_barrier
.LBB519_75:
	s_endpgm
	.section	.rodata,"a",@progbits
	.p2align	6, 0x0
	.amdhsa_kernel _ZN12_GLOBAL__N_139chunk_gated_delta_rule_fwd_h_hip_kernelILi16ELb0ELb0ELb1ELb1ELb1ELb1ELb1ELb1EEEvPK12hip_bfloat16S3_S3_PKfS5_PKvPS1_S8_PvPKiSB_iiiiilll
		.amdhsa_group_segment_fixed_size 40960
		.amdhsa_private_segment_fixed_size 0
		.amdhsa_kernarg_size 136
		.amdhsa_user_sgpr_count 2
		.amdhsa_user_sgpr_dispatch_ptr 0
		.amdhsa_user_sgpr_queue_ptr 0
		.amdhsa_user_sgpr_kernarg_segment_ptr 1
		.amdhsa_user_sgpr_dispatch_id 0
		.amdhsa_user_sgpr_kernarg_preload_length 0
		.amdhsa_user_sgpr_kernarg_preload_offset 0
		.amdhsa_user_sgpr_private_segment_size 0
		.amdhsa_uses_dynamic_stack 0
		.amdhsa_enable_private_segment 0
		.amdhsa_system_sgpr_workgroup_id_x 1
		.amdhsa_system_sgpr_workgroup_id_y 1
		.amdhsa_system_sgpr_workgroup_id_z 0
		.amdhsa_system_sgpr_workgroup_info 0
		.amdhsa_system_vgpr_workitem_id 0
		.amdhsa_next_free_vgpr 128
		.amdhsa_next_free_sgpr 62
		.amdhsa_accum_offset 116
		.amdhsa_reserve_vcc 1
		.amdhsa_float_round_mode_32 0
		.amdhsa_float_round_mode_16_64 0
		.amdhsa_float_denorm_mode_32 3
		.amdhsa_float_denorm_mode_16_64 3
		.amdhsa_dx10_clamp 1
		.amdhsa_ieee_mode 1
		.amdhsa_fp16_overflow 0
		.amdhsa_tg_split 0
		.amdhsa_exception_fp_ieee_invalid_op 0
		.amdhsa_exception_fp_denorm_src 0
		.amdhsa_exception_fp_ieee_div_zero 0
		.amdhsa_exception_fp_ieee_overflow 0
		.amdhsa_exception_fp_ieee_underflow 0
		.amdhsa_exception_fp_ieee_inexact 0
		.amdhsa_exception_int_div_zero 0
	.end_amdhsa_kernel
	.section	.text._ZN12_GLOBAL__N_139chunk_gated_delta_rule_fwd_h_hip_kernelILi16ELb0ELb0ELb1ELb1ELb1ELb1ELb1ELb1EEEvPK12hip_bfloat16S3_S3_PKfS5_PKvPS1_S8_PvPKiSB_iiiiilll,"axG",@progbits,_ZN12_GLOBAL__N_139chunk_gated_delta_rule_fwd_h_hip_kernelILi16ELb0ELb0ELb1ELb1ELb1ELb1ELb1ELb1EEEvPK12hip_bfloat16S3_S3_PKfS5_PKvPS1_S8_PvPKiSB_iiiiilll,comdat
.Lfunc_end519:
	.size	_ZN12_GLOBAL__N_139chunk_gated_delta_rule_fwd_h_hip_kernelILi16ELb0ELb0ELb1ELb1ELb1ELb1ELb1ELb1EEEvPK12hip_bfloat16S3_S3_PKfS5_PKvPS1_S8_PvPKiSB_iiiiilll, .Lfunc_end519-_ZN12_GLOBAL__N_139chunk_gated_delta_rule_fwd_h_hip_kernelILi16ELb0ELb0ELb1ELb1ELb1ELb1ELb1ELb1EEEvPK12hip_bfloat16S3_S3_PKfS5_PKvPS1_S8_PvPKiSB_iiiiilll
                                        ; -- End function
	.section	.AMDGPU.csdata,"",@progbits
; Kernel info:
; codeLenInByte = 7320
; NumSgprs: 68
; NumVgprs: 114
; NumAgprs: 12
; TotalNumVgprs: 128
; ScratchSize: 0
; MemoryBound: 0
; FloatMode: 240
; IeeeMode: 1
; LDSByteSize: 40960 bytes/workgroup (compile time only)
; SGPRBlocks: 8
; VGPRBlocks: 15
; NumSGPRsForWavesPerEU: 68
; NumVGPRsForWavesPerEU: 128
; AccumOffset: 116
; Occupancy: 1
; WaveLimiterHint : 1
; COMPUTE_PGM_RSRC2:SCRATCH_EN: 0
; COMPUTE_PGM_RSRC2:USER_SGPR: 2
; COMPUTE_PGM_RSRC2:TRAP_HANDLER: 0
; COMPUTE_PGM_RSRC2:TGID_X_EN: 1
; COMPUTE_PGM_RSRC2:TGID_Y_EN: 1
; COMPUTE_PGM_RSRC2:TGID_Z_EN: 0
; COMPUTE_PGM_RSRC2:TIDIG_COMP_CNT: 0
; COMPUTE_PGM_RSRC3_GFX90A:ACCUM_OFFSET: 28
; COMPUTE_PGM_RSRC3_GFX90A:TG_SPLIT: 0
	.section	.text._ZN12_GLOBAL__N_139chunk_gated_delta_rule_fwd_h_hip_kernelILi16ELb0ELb0ELb0ELb1ELb1ELb1ELb1ELb1EEEvPK12hip_bfloat16S3_S3_PKfS5_PKvPS1_S8_PvPKiSB_iiiiilll,"axG",@progbits,_ZN12_GLOBAL__N_139chunk_gated_delta_rule_fwd_h_hip_kernelILi16ELb0ELb0ELb0ELb1ELb1ELb1ELb1ELb1EEEvPK12hip_bfloat16S3_S3_PKfS5_PKvPS1_S8_PvPKiSB_iiiiilll,comdat
	.globl	_ZN12_GLOBAL__N_139chunk_gated_delta_rule_fwd_h_hip_kernelILi16ELb0ELb0ELb0ELb1ELb1ELb1ELb1ELb1EEEvPK12hip_bfloat16S3_S3_PKfS5_PKvPS1_S8_PvPKiSB_iiiiilll ; -- Begin function _ZN12_GLOBAL__N_139chunk_gated_delta_rule_fwd_h_hip_kernelILi16ELb0ELb0ELb0ELb1ELb1ELb1ELb1ELb1EEEvPK12hip_bfloat16S3_S3_PKfS5_PKvPS1_S8_PvPKiSB_iiiiilll
	.p2align	8
	.type	_ZN12_GLOBAL__N_139chunk_gated_delta_rule_fwd_h_hip_kernelILi16ELb0ELb0ELb0ELb1ELb1ELb1ELb1ELb1EEEvPK12hip_bfloat16S3_S3_PKfS5_PKvPS1_S8_PvPKiSB_iiiiilll,@function
_ZN12_GLOBAL__N_139chunk_gated_delta_rule_fwd_h_hip_kernelILi16ELb0ELb0ELb0ELb1ELb1ELb1ELb1ELb1EEEvPK12hip_bfloat16S3_S3_PKfS5_PKvPS1_S8_PvPKiSB_iiiiilll: ; @_ZN12_GLOBAL__N_139chunk_gated_delta_rule_fwd_h_hip_kernelILi16ELb0ELb0ELb0ELb1ELb1ELb1ELb1ELb1EEEvPK12hip_bfloat16S3_S3_PKfS5_PKvPS1_S8_PvPKiSB_iiiiilll
; %bb.0:
	s_load_dwordx4 s[12:15], s[0:1], 0x5c
	s_load_dwordx4 s[16:19], s[0:1], 0x70
	s_abs_i32 s21, s3
	s_ashr_i32 s20, s3, 31
	s_load_dwordx2 s[36:37], s[0:1], 0x30
	s_load_dwordx4 s[24:27], s[0:1], 0x48
	s_waitcnt lgkmcnt(0)
	s_abs_i32 s28, s13
	v_cvt_f32_u32_e32 v1, s28
	s_sub_i32 s22, 0, s28
	s_ashr_i32 s29, s13, 31
	s_xor_b32 s20, s20, s29
	v_rcp_iflag_f32_e32 v1, v1
	s_load_dwordx8 s[4:11], s[0:1], 0x0
	v_lshrrev_b32_e32 v59, 6, v0
	v_bfe_u32 v60, v0, 4, 2
	v_mul_f32_e32 v1, 0x4f7ffffe, v1
	v_cvt_u32_f32_e32 v1, v1
	v_lshlrev_b32_e32 v45, 4, v59
	v_lshlrev_b32_e32 v2, 2, v60
	v_and_b32_e32 v58, 63, v0
	v_readfirstlane_b32 s23, v1
	s_mul_i32 s22, s22, s23
	s_mul_hi_u32 s22, s23, s22
	s_add_i32 s23, s23, s22
	s_mul_hi_u32 s22, s21, s23
	s_mul_i32 s23, s22, s28
	s_sub_i32 s21, s21, s23
	s_add_i32 s30, s22, 1
	s_sub_i32 s23, s21, s28
	s_cmp_ge_u32 s21, s28
	s_cselect_b32 s22, s30, s22
	s_cselect_b32 s21, s23, s21
	s_add_i32 s23, s22, 1
	s_cmp_ge_u32 s21, s28
	s_cselect_b32 s21, s23, s22
	s_xor_b32 s21, s21, s20
	s_sub_i32 s20, s21, s20
	s_mul_i32 s21, s20, s13
	s_sub_i32 s33, s3, s21
	s_ashr_i32 s21, s20, 31
	s_lshl_b64 s[22:23], s[20:21], 2
	s_add_u32 s24, s24, s22
	s_addc_u32 s25, s25, s23
	s_add_u32 s22, s26, s22
	s_addc_u32 s23, s27, s23
	s_abs_i32 s3, s14
	v_cvt_f32_u32_e32 v1, s3
	s_load_dwordx2 s[34:35], s[24:25], 0x0
	s_sub_i32 s25, 0, s3
	s_load_dword s46, s[22:23], 0x0
	v_rcp_iflag_f32_e32 v1, v1
	v_or_b32_e32 v64, v2, v45
	s_waitcnt lgkmcnt(0)
	s_sub_i32 s47, s35, s34
	s_ashr_i32 s24, s47, 31
	v_mul_f32_e32 v1, 0x4f7ffffe, v1
	v_cvt_u32_f32_e32 v1, v1
	s_lshr_b32 s24, s24, 26
	s_add_i32 s24, s47, s24
	s_ashr_i32 s45, s24, 6
	v_readfirstlane_b32 s26, v1
	s_mul_i32 s25, s25, s26
	s_mul_hi_u32 s25, s26, s25
	s_add_i32 s26, s26, s25
	s_mul_hi_u32 s25, s28, s26
	s_mul_i32 s26, s25, s3
	s_ashr_i32 s24, s14, 31
	s_sub_i32 s26, s28, s26
	s_xor_b32 s24, s29, s24
	s_add_i32 s27, s25, 1
	s_sub_i32 s28, s26, s3
	s_cmp_ge_u32 s26, s3
	s_cselect_b32 s25, s27, s25
	s_cselect_b32 s26, s28, s26
	s_add_i32 s27, s25, 1
	s_cmp_ge_u32 s26, s3
	s_cselect_b32 s3, s27, s25
	s_xor_b32 s3, s3, s24
	s_sub_i32 s3, s3, s24
	s_abs_i32 s24, s3
	v_cvt_f32_u32_e32 v1, s24
	s_sub_i32 s23, 0, s24
	s_abs_i32 s22, s33
	s_xor_b32 s3, s33, s3
	v_rcp_iflag_f32_e32 v1, v1
	s_ashr_i32 s3, s3, 31
	s_load_dwordx2 s[28:29], s[0:1], 0x80
	v_mov_b32_e32 v49, 0
	v_mul_f32_e32 v1, 0x4f7ffffe, v1
	v_cvt_u32_f32_e32 v1, v1
	v_or_b32_e32 v63, 64, v64
	s_mul_hi_i32 s48, s33, s12
	s_mul_i32 s49, s33, s12
	v_readfirstlane_b32 s25, v1
	s_mul_i32 s23, s23, s25
	s_mul_hi_u32 s23, s25, s23
	s_add_i32 s25, s25, s23
	s_mul_hi_u32 s23, s22, s25
	s_mul_i32 s25, s23, s24
	s_sub_i32 s22, s22, s25
	s_add_i32 s25, s23, 1
	s_sub_i32 s26, s22, s24
	s_cmp_ge_u32 s22, s24
	s_cselect_b32 s23, s25, s23
	s_cselect_b32 s22, s26, s22
	s_add_i32 s25, s23, 1
	s_cmp_ge_u32 s22, s24
	s_cselect_b32 s22, s25, s23
	s_xor_b32 s22, s22, s3
	s_sub_i32 s51, s22, s3
	s_lshl_b32 s30, s2, 4
	v_and_b32_e32 v1, 15, v0
	s_cmp_lt_i32 s47, 64
	v_lshrrev_b32_e32 v62, 3, v58
	v_lshlrev_b32_e32 v61, 3, v0
	s_mul_i32 s42, s20, s17
	s_mul_hi_u32 s43, s20, s16
	s_mul_i32 s44, s21, s16
	s_mul_i32 s16, s20, s16
	v_mov_b32_e32 v48, v49
	v_mov_b32_e32 v51, v49
	;; [unrolled: 1-line block ×7, first 2 shown]
	s_cbranch_scc1 .LBB520_18
; %bb.1:
	s_ashr_i32 s53, s33, 31
	s_ashr_i32 s3, s34, 31
	s_add_u32 s2, s49, s34
	s_addc_u32 s3, s48, s3
	s_lshl_b64 s[2:3], s[2:3], 8
	v_and_b32_e32 v66, 56, v61
	s_add_u32 s20, s6, s2
	v_lshl_or_b32 v65, v59, 3, v62
	v_lshlrev_b32_e32 v3, 1, v66
	s_addc_u32 s2, s7, s3
	v_lshl_or_b32 v67, v65, 8, v3
	s_and_b32 s21, s2, 0xffff
	s_mov_b32 s23, 0x20000
	s_movk_i32 s22, 0x4000
	s_movk_i32 s2, 0x80
	v_or_b32_e32 v68, 0x2000, v67
	buffer_load_dwordx4 v[4:7], v67, s[20:23], 0 offen
	buffer_load_dwordx4 v[8:11], v67, s[20:23], s2 offen
	;; [unrolled: 1-line block ×4, first 2 shown]
	v_lshlrev_b32_e32 v20, 3, v65
	v_and_or_b32 v22, v0, 7, v20
	v_and_b32_e32 v20, 0x78, v20
	v_lshlrev_b32_e32 v22, 4, v22
	v_xor_b32_e32 v69, v22, v20
	v_mul_lo_u32 v21, v65, s15
	v_or_b32_e32 v70, 0x1000, v69
	s_cmpk_eq_i32 s15, 0x80
	s_mov_b32 s50, s13
	s_mov_b32 s52, s34
	v_xor_b32_e32 v20, 8, v69
	v_xor_b32_e32 v22, 8, v70
	s_cselect_b64 s[2:3], -1, 0
	s_cmpk_lg_i32 s15, 0x80
	s_waitcnt vmcnt(3)
	ds_write_b64 v69, v[4:5] offset:16384
	ds_write_b64 v20, v[6:7] offset:16384
	s_waitcnt vmcnt(2)
	ds_write_b64 v69, v[8:9] offset:24576
	ds_write_b64 v20, v[10:11] offset:24576
	;; [unrolled: 3-line block ×4, first 2 shown]
	v_lshl_add_u32 v4, v21, 1, v66
	s_cbranch_scc0 .LBB520_3
; %bb.2:
	v_lshlrev_b32_e32 v6, 1, v4
	v_add_lshl_u32 v5, v4, s15, 1
	s_lshl_b32 s22, s15, 7
	s_load_dwordx2 s[38:39], s[0:1], 0x20
	v_lshl_or_b32 v3, v65, 9, v3
	s_cbranch_execz .LBB520_4
	s_branch .LBB520_5
.LBB520_3:
                                        ; implicit-def: $vgpr5
                                        ; implicit-def: $vgpr6
                                        ; implicit-def: $sgpr22
	s_load_dwordx2 s[38:39], s[0:1], 0x20
	v_lshl_or_b32 v3, v65, 9, v3
.LBB520_4:
	v_or_b32_e32 v5, 0x100, v3
	s_movk_i32 s22, 0x4000
	v_mov_b32_e32 v6, v3
.LBB520_5:
	s_mul_i32 s0, s34, s14
	s_ashr_i32 s54, s51, 31
	s_mul_hi_i32 s1, s34, s14
	s_add_u32 s0, s0, s51
	s_addc_u32 s1, s1, s54
	s_lshl_b64 s[0:1], s[0:1], 8
	s_add_u32 s20, s4, s0
	s_addc_u32 s0, s5, s1
	s_and_b32 s21, s0, 0xffff
	s_movk_i32 s55, 0x80
	buffer_load_dwordx4 v[8:11], v6, s[20:23], 0 offen
	buffer_load_dwordx4 v[12:15], v6, s[20:23], s55 offen
	;; [unrolled: 1-line block ×4, first 2 shown]
	v_and_b32_e32 v5, 6, v0
	v_lshlrev_b32_e32 v7, 2, v1
	v_lshlrev_b32_e32 v24, 3, v1
	v_xor_b32_e32 v26, v65, v5
	v_and_b32_e32 v6, 1, v0
	v_lshl_or_b32 v24, v64, 5, v24
	v_xor_b32_e32 v27, v64, v7
	v_lshlrev_b32_e32 v26, 2, v26
	s_mul_i32 s1, s33, s19
	s_mul_hi_u32 s17, s33, s18
	v_or_b32_e32 v71, 0x9000, v24
	v_or_b32_e32 v72, 0x9800, v24
	v_lshlrev_b32_e32 v24, 1, v27
	v_xor_b32_e32 v27, 0x440, v26
	v_cmp_eq_u32_e32 vcc, 0, v6
	s_add_i32 s21, s43, s42
	s_mul_i32 s20, s53, s18
	v_cndmask_b32_e32 v6, v27, v26, vcc
	s_add_i32 s1, s17, s1
	s_add_i32 s17, s21, s44
	s_mov_b32 s56, 0x1000504
	v_lshlrev_b32_e32 v25, 8, v1
	s_mov_b32 s22, 0x8000
	v_xor_b32_e32 v7, v63, v7
	v_lshl_or_b32 v5, v5, 10, v6
	s_add_i32 s1, s1, s20
	s_lshl_b64 s[20:21], s[16:17], 2
	s_mov_b32 s57, 0x3020706
	s_mul_i32 s0, s33, s18
	v_lshlrev_b32_e32 v7, 1, v7
	v_or3_b32 v73, v24, v25, s22
	v_xor_b32_e32 v6, 8, v5
	v_xor_b32_e32 v24, 24, v5
	;; [unrolled: 1-line block ×4, first 2 shown]
	s_add_u32 s17, s10, s20
	v_or3_b32 v74, v7, v25, s22
	v_xor_b32_e32 v7, 16, v5
	v_xor_b32_e32 v25, 32, v5
	;; [unrolled: 1-line block ×3, first 2 shown]
	v_add_u32_e32 v6, 0x80, v6
	v_add_u32_e32 v24, 0x80, v24
	;; [unrolled: 1-line block ×4, first 2 shown]
	s_addc_u32 s20, s11, s21
	s_lshl_b64 s[0:1], s[0:1], 2
	s_add_u32 s40, s17, s0
	s_movk_i32 s0, 0xf8
	s_addc_u32 s41, s20, s1
	s_ashr_i32 s31, s30, 31
	s_lshl_b32 s26, s15, 7
	v_mov_b32_e32 v47, 0
	s_mov_b32 s58, 0
	v_add_u32_e32 v85, v45, v2
	s_mov_b32 s17, 0x7060302
	v_mov_b32_e32 v52, v47
	v_mov_b32_e32 v53, v47
	;; [unrolled: 1-line block ×6, first 2 shown]
	s_waitcnt vmcnt(1)
	v_perm_b32 v29, v8, v16, s56
	s_waitcnt vmcnt(0)
	v_perm_b32 v30, v12, v20, s56
	v_perm_b32 v8, v8, v16, s57
	;; [unrolled: 1-line block ×15, first 2 shown]
	ds_write2st64_b32 v5, v29, v30 offset1:32
	ds_write2st64_b32 v6, v8, v12 offset1:32
	ds_write2st64_b32 v7, v16, v20 offset0:1 offset1:33
	ds_write2st64_b32 v24, v9, v13 offset0:1 offset1:33
	;; [unrolled: 1-line block ×6, first 2 shown]
	v_or_b32_e32 v5, v45, v1
	v_lshlrev_b32_e32 v5, 3, v5
	v_lshrrev_b32_e32 v7, 5, v58
	v_and_or_b32 v7, v5, s0, v7
	v_lshlrev_b32_e32 v7, 4, v7
	v_lshrrev_b32_e32 v6, 2, v58
	v_lshlrev_b32_e32 v9, 11, v59
	v_and_b32_e32 v5, 0x78, v5
	v_or_b32_e32 v12, 32, v7
	v_and_b32_e32 v8, 12, v6
	v_and_b32_e32 v6, 0x1000, v9
	v_lshrrev_b32_e32 v11, 1, v58
	v_xor_b32_e32 v12, v12, v5
	v_and_b32_e32 v11, 8, v11
	v_or_b32_e32 v12, v12, v6
	v_xor_b32_e32 v10, v7, v5
	v_xor_b32_e32 v77, v12, v11
	v_or_b32_e32 v12, 64, v7
	v_or_b32_e32 v7, 0x60, v7
	;; [unrolled: 1-line block ×3, first 2 shown]
	v_xor_b32_e32 v12, v12, v5
	v_xor_b32_e32 v5, v7, v5
	;; [unrolled: 1-line block ×3, first 2 shown]
	v_and_b32_e32 v10, 0x78, v61
	v_or_b32_e32 v5, v5, v6
	v_lshl_or_b32 v10, v60, 7, v10
	v_or_b32_e32 v12, v12, v6
	v_xor_b32_e32 v79, v5, v11
	v_lshlrev_b32_e32 v5, 1, v1
	v_or_b32_e32 v76, 0x9000, v10
	v_xor_b32_e32 v78, v12, v11
	v_or_b32_e32 v80, 0x9800, v10
	v_lshlrev_b32_e32 v10, 1, v4
	v_add_lshl_u32 v11, v4, s15, 1
	v_lshrrev_b32_e32 v4, 4, v0
	s_lshl_b64 s[0:1], s[30:31], 8
	v_or_b32_e32 v13, 1, v5
	s_add_u32 s0, s36, s0
	v_xor_b32_e32 v5, v4, v5
	v_xor_b32_e32 v13, v13, v4
	s_addc_u32 s1, s37, s1
	v_lshlrev_b32_e32 v5, 3, v5
	v_lshlrev_b32_e32 v46, 8, v4
	;; [unrolled: 1-line block ×3, first 2 shown]
	v_lshrrev_b32_e32 v17, 1, v0
	v_or3_b32 v81, v5, v46, s22
	v_or3_b32 v82, v4, v46, s22
	v_lshl_add_u64 v[4:5], s[0:1], 0, v[46:47]
	v_lshlrev_b32_e32 v46, 4, v1
	s_movk_i32 s0, 0xff
	v_lshlrev_b32_e32 v16, 3, v59
	v_and_b32_e32 v17, 24, v17
	v_lshl_add_u64 v[54:55], v[4:5], 0, v[46:47]
	v_and_b32_e32 v5, 8, v0
	v_cmp_lt_u32_e32 vcc, s0, v0
	v_xor_b32_e32 v18, v16, v17
	v_or_b32_e32 v19, 0x440, v18
	v_cndmask_b32_e64 v15, 0, 1, vcc
	v_cmp_eq_u32_e32 vcc, 0, v5
	v_or_b32_e32 v21, 64, v17
	v_xor_b32_e32 v21, v16, v21
	v_cndmask_b32_e32 v5, v19, v18, vcc
	v_or_b32_e32 v19, 32, v17
	v_or_b32_e32 v17, 0x60, v17
	v_xor_b32_e32 v19, v16, v19
	v_xor_b32_e32 v16, v16, v17
	v_or_b32_e32 v20, 0x440, v19
	v_xor_b32_e32 v22, 0x440, v21
	v_xor_b32_e32 v17, 0x440, v16
	v_and_b32_e32 v4, 7, v0
	v_cndmask_b32_e32 v19, v20, v19, vcc
	v_cndmask_b32_e32 v21, v22, v21, vcc
	;; [unrolled: 1-line block ×3, first 2 shown]
	v_or_b32_e32 v6, s30, v1
	v_lshlrev_b32_e32 v13, 3, v4
	v_or_b32_e32 v5, v5, v9
	v_or_b32_e32 v19, v19, v9
	;; [unrolled: 1-line block ×4, first 2 shown]
	v_ashrrev_i32_e32 v7, 31, v6
	v_lshlrev_b32_e32 v15, 13, v15
	v_xor_b32_e32 v5, v5, v13
	v_xor_b32_e32 v19, v19, v13
	;; [unrolled: 1-line block ×4, first 2 shown]
	v_lshl_add_u64 v[6:7], v[6:7], 1, s[8:9]
	v_or_b32_e32 v12, 0x100, v3
	v_lshlrev_b32_e32 v14, 7, v4
	v_or_b32_e32 v4, v8, v45
	v_add_u32_e32 v18, v15, v5
	v_add_u32_e32 v20, v15, v19
	;; [unrolled: 1-line block ×4, first 2 shown]
	v_or3_b32 v8, v45, v8, 64
	v_add_u32_e32 v5, 0x2000, v5
	v_add_u32_e32 v15, 0x2000, v19
	;; [unrolled: 1-line block ×4, first 2 shown]
	v_lshlrev_b32_e32 v46, 8, v64
	v_cndmask_b32_e64 v83, v10, v3, s[2:3]
	v_cndmask_b32_e64 v84, v11, v12, s[2:3]
	v_lshl_add_u64 v[56:57], v[6:7], 0, v[46:47]
	s_movk_i32 s22, 0x4000
	v_lshlrev_b32_e32 v86, 2, v4
	v_add_u32_e32 v87, v18, v14
	v_add_u32_e32 v88, v20, v14
	;; [unrolled: 1-line block ×4, first 2 shown]
	v_lshlrev_b32_e32 v91, 2, v8
	v_add_u32_e32 v92, v5, v14
	v_add_u32_e32 v93, v15, v14
	;; [unrolled: 1-line block ×4, first 2 shown]
	v_mov_b32_e32 v46, v47
	s_waitcnt lgkmcnt(0)
	s_barrier
.LBB520_6:                              ; =>This Inner Loop Header: Depth=1
	s_add_i32 s31, s58, 1
	s_cmp_lt_i32 s31, s45
	s_mov_b64 s[24:25], 0
	s_cselect_b64 s[2:3], -1, 0
	s_cmp_ge_i32 s31, s45
	s_mov_b64 s[20:21], 0
	s_cbranch_scc1 .LBB520_8
; %bb.7:                                ;   in Loop: Header=BB520_6 Depth=1
	s_add_i32 s0, s52, 64
	s_ashr_i32 s1, s0, 31
	s_add_u32 s0, s49, s0
	s_addc_u32 s1, s48, s1
	s_lshl_b64 s[0:1], s[0:1], 8
	s_add_u32 s20, s6, s0
	s_addc_u32 s21, s7, s1
.LBB520_8:                              ;   in Loop: Header=BB520_6 Depth=1
	v_cndmask_b32_e64 v2, 0, 1, s[2:3]
	v_cmp_ne_u32_e64 s[0:1], 1, v2
	s_andn2_b64 vcc, exec, s[2:3]
	s_cbranch_vccnz .LBB520_10
; %bb.9:                                ;   in Loop: Header=BB520_6 Depth=1
	s_add_i32 s2, s52, 64
	s_mul_hi_i32 s3, s2, s14
	s_mul_i32 s2, s2, s14
	s_add_u32 s2, s2, s51
	s_addc_u32 s3, s3, s54
	s_lshl_b64 s[2:3], s[2:3], 8
	s_add_u32 s24, s4, s2
	s_addc_u32 s25, s5, s3
.LBB520_10:                             ;   in Loop: Header=BB520_6 Depth=1
	v_perm_b32 v3, v53, v52, s17
	v_perm_b32 v2, v47, v46, s17
	;; [unrolled: 1-line block ×4, first 2 shown]
	ds_write_b64 v71, v[2:3]
	ds_write_b64 v72, v[4:5]
	;; [unrolled: 1-line block ×4, first 2 shown]
	s_waitcnt lgkmcnt(0)
	s_barrier
	ds_read_b64 v[10:11], v75 offset:16384
	ds_read_b64 v[12:13], v77 offset:16384
	ds_read2st64_b64 v[2:5], v76 offset1:1
	s_waitcnt lgkmcnt(0)
	v_mfma_f32_16x16x16_bf16 a[0:3], v[10:11], v[2:3], 0
	ds_read2st64_b64 v[6:9], v76 offset0:2 offset1:3
	ds_read_b64 v[14:15], v78 offset:16384
	ds_read_b64 v[2:3], v79 offset:16384
	s_add_i32 s59, s52, 63
	v_mfma_f32_16x16x16_bf16 a[0:3], v[12:13], v[4:5], a[0:3]
	s_ashr_i32 s2, s59, 31
	s_mul_i32 s3, s59, s29
	s_mul_hi_u32 s27, s59, s28
	s_waitcnt lgkmcnt(1)
	v_mfma_f32_16x16x16_bf16 a[0:3], v[14:15], v[6:7], a[0:3]
	s_add_i32 s3, s27, s3
	s_mul_i32 s2, s2, s28
	s_add_i32 s3, s3, s2
	s_mul_i32 s2, s59, s28
	s_waitcnt lgkmcnt(0)
	v_mfma_f32_16x16x16_bf16 a[0:3], v[2:3], v[8:9], a[0:3]
	s_lshl_b64 s[2:3], s[2:3], 2
	s_add_u32 s2, s40, s2
	s_addc_u32 s3, s41, s3
	s_and_b64 vcc, exec, s[0:1]
	v_mov_b32_e32 v98, 0
	v_mov_b32_e32 v97, 0
	v_mov_b32_e32 v96, 0
	v_mov_b32_e32 v2, 0
	v_mov_b32_e32 v3, 0
	v_mov_b32_e32 v4, 0
	v_mov_b32_e32 v5, 0
	v_mov_b32_e32 v6, 0
	v_mov_b32_e32 v7, 0
	v_mov_b32_e32 v8, 0
	v_mov_b32_e32 v9, 0
	v_mov_b32_e32 v10, 0
	v_mov_b32_e32 v11, 0
	v_mov_b32_e32 v12, 0
	v_mov_b32_e32 v13, 0
	v_mov_b32_e32 v14, 0
	v_mov_b32_e32 v15, 0
	v_mov_b32_e32 v16, 0
	v_mov_b32_e32 v17, 0
	s_cbranch_vccnz .LBB520_12
; %bb.11:                               ;   in Loop: Header=BB520_6 Depth=1
	s_and_b32 s21, s21, 0xffff
	buffer_load_dwordx4 v[14:17], v67, s[20:23], 0 offen
	buffer_load_dwordx4 v[10:13], v67, s[20:23], s55 offen
	buffer_load_dwordx4 v[6:9], v68, s[20:23], 0 offen
	buffer_load_dwordx4 v[2:5], v68, s[20:23], s55 offen
	v_mov_b32_e32 v97, v69
	v_mov_b32_e32 v96, v70
.LBB520_12:                             ;   in Loop: Header=BB520_6 Depth=1
	v_add_u32_e32 v22, s52, v85
	v_ashrrev_i32_e32 v18, 31, v22
	v_mul_lo_u32 v20, v18, s28
	v_mul_lo_u32 v21, v22, s29
	v_mad_u64_u32 v[18:19], s[20:21], v22, s28, 0
	v_add3_u32 v19, v19, v21, v20
	v_lshl_add_u64 v[18:19], v[18:19], 2, s[40:41]
	global_load_dword v40, v[18:19], off
	v_add_u32_e32 v18, 1, v22
	v_ashrrev_i32_e32 v19, 31, v18
	v_mul_lo_u32 v20, v19, s28
	v_mul_lo_u32 v21, v18, s29
	v_mad_u64_u32 v[18:19], s[20:21], v18, s28, 0
	v_add3_u32 v19, v19, v21, v20
	v_add_u32_e32 v20, 2, v22
	v_ashrrev_i32_e32 v21, 31, v20
	v_mul_lo_u32 v23, v21, s28
	v_mul_lo_u32 v24, v20, s29
	v_mad_u64_u32 v[20:21], s[20:21], v20, s28, 0
	v_add_u32_e32 v22, 3, v22
	v_add3_u32 v21, v21, v24, v23
	v_ashrrev_i32_e32 v23, 31, v22
	v_mul_lo_u32 v26, v23, s28
	v_mul_lo_u32 v27, v22, s29
	v_mad_u64_u32 v[22:23], s[20:21], v22, s28, 0
	s_ashr_i32 s21, s52, 31
	s_add_u32 s20, s49, s52
	s_addc_u32 s21, s48, s21
	s_lshl_b64 s[20:21], s[20:21], 8
	v_lshl_add_u64 v[18:19], v[18:19], 2, s[40:41]
	v_lshl_add_u64 v[24:25], v[56:57], 0, s[20:21]
	v_add3_u32 v23, v23, v27, v26
	v_lshl_add_u64 v[20:21], v[20:21], 2, s[40:41]
	global_load_ushort v41, v[24:25], off
	global_load_ushort v42, v[24:25], off offset:256
	global_load_ushort v43, v[24:25], off offset:512
	;; [unrolled: 1-line block ×3, first 2 shown]
	v_lshl_add_u64 v[22:23], v[22:23], 2, s[40:41]
	global_load_dword v100, v[18:19], off
	global_load_dword v101, v[20:21], off
	;; [unrolled: 1-line block ×3, first 2 shown]
	s_load_dword s2, s[2:3], 0x0
	ds_read2st64_b64 v[26:29], v80 offset1:1
	ds_read2st64_b64 v[30:33], v80 offset0:2 offset1:3
	ds_read_b64 v[24:25], v75 offset:24576
	ds_read_b64 v[34:35], v77 offset:24576
	;; [unrolled: 1-line block ×4, first 2 shown]
	s_waitcnt lgkmcnt(0)
	v_mfma_f32_16x16x16_bf16 a[0:3], v[24:25], v[26:27], a[0:3]
	v_mov_b32_e32 v99, 0
	v_mov_b32_e32 v18, 0
	v_mov_b32_e32 v19, 0
	v_mfma_f32_16x16x16_bf16 a[0:3], v[34:35], v[28:29], a[0:3]
	v_mov_b32_e32 v20, 0
	v_mov_b32_e32 v21, 0
	v_mov_b32_e32 v22, 0
	;; [unrolled: 4-line block ×4, first 2 shown]
	v_mov_b32_e32 v29, 0
	v_mov_b32_e32 v30, 0
	;; [unrolled: 1-line block ×3, first 2 shown]
	s_and_b64 vcc, exec, s[0:1]
	v_accvgpr_read_b32 v35, a1
	v_accvgpr_read_b32 v33, a3
	;; [unrolled: 1-line block ×4, first 2 shown]
	s_waitcnt vmcnt(7)
	v_sub_f32_e32 v40, s2, v40
	v_exp_f32_e32 v40, v40
	s_waitcnt vmcnt(6)
	v_lshlrev_b32_e32 v36, 16, v41
	s_waitcnt vmcnt(5)
	v_lshlrev_b32_e32 v37, 16, v42
	;; [unrolled: 2-line block ×3, first 2 shown]
	s_waitcnt vmcnt(2)
	v_sub_f32_e32 v41, s2, v100
	s_waitcnt vmcnt(1)
	v_sub_f32_e32 v42, s2, v101
	;; [unrolled: 2-line block ×3, first 2 shown]
	v_exp_f32_e32 v41, v41
	v_exp_f32_e32 v42, v42
	;; [unrolled: 1-line block ×3, first 2 shown]
	v_lshlrev_b32_e32 v39, 16, v44
	v_pk_add_f32 v[34:35], v[36:37], v[34:35] neg_lo:[0,1] neg_hi:[0,1]
	v_pk_add_f32 v[32:33], v[38:39], v[32:33] neg_lo:[0,1] neg_hi:[0,1]
	v_pk_mul_f32 v[34:35], v[40:41], v[34:35]
	v_pk_mul_f32 v[32:33], v[42:43], v[32:33]
	s_nop 0
	v_perm_b32 v33, v33, v32, s17
	v_perm_b32 v32, v35, v34, s17
	ds_write_b64 v72, v[32:33]
	v_mov_b32_e32 v32, 0
	v_mov_b32_e32 v33, 0
	s_cbranch_vccnz .LBB520_14
; %bb.13:                               ;   in Loop: Header=BB520_6 Depth=1
	s_and_b32 s25, s25, 0xffff
	s_mov_b32 s27, s23
	buffer_load_dwordx4 v[30:33], v83, s[24:27], 0 offen
	buffer_load_dwordx4 v[22:25], v83, s[24:27], s55 offen
	;; [unrolled: 1-line block ×4, first 2 shown]
	v_mov_b32_e32 v98, v66
	v_mov_b32_e32 v99, v65
.LBB520_14:                             ;   in Loop: Header=BB520_6 Depth=1
	s_waitcnt lgkmcnt(0)
	s_barrier
	ds_read_b64 v[34:35], v87
	ds_read_b64 v[40:41], v88
	ds_read2st64_b64 v[36:39], v80 offset1:1
	ds_read2st64_b64 v[100:103], v80 offset0:2 offset1:3
	ds_read_b64 v[42:43], v89
	ds_read_b64 v[108:109], v90
	s_add_i32 s3, s46, s58
	s_mul_hi_i32 s21, s3, s50
	s_mul_i32 s3, s3, s50
	s_waitcnt lgkmcnt(3)
	v_mfma_f32_16x16x16_bf16 a[0:3], v[34:35], v[36:37], 0
	ds_read_b64 v[34:35], v92
	s_add_u32 s20, s3, s33
	s_addc_u32 s21, s21, s53
	v_mfma_f32_16x16x16_bf16 a[0:3], v[40:41], v[38:39], a[0:3]
	ds_read_b64 v[40:41], v93
	s_lshl_b64 s[20:21], s[20:21], 15
	s_mul_i32 s24, s59, s50
	s_mul_hi_i32 s3, s59, s50
	s_add_u32 s24, s24, s33
	s_addc_u32 s25, s3, s53
	s_lshl_b64 s[24:25], s[24:25], 9
	s_add_u32 s24, s38, s24
	s_waitcnt lgkmcnt(1)
	v_mfma_f32_16x16x16_bf16 a[4:7], v[34:35], v[36:37], 0
	s_addc_u32 s25, s39, s25
	s_and_b64 vcc, exec, s[0:1]
	v_mfma_f32_16x16x16_bf16 a[0:3], v[42:43], v[100:101], a[0:3]
	ds_read_b64 v[42:43], v94
	ds_read_b64 v[110:111], v95
	global_load_dwordx4 v[34:37], v91, s[24:25]
	s_waitcnt lgkmcnt(2)
	v_mfma_f32_16x16x16_bf16 a[4:7], v[40:41], v[38:39], a[4:7]
	global_load_dwordx4 v[38:41], v86, s[24:25]
	ds_read_b64 v[104:105], v81
	ds_read_b64 v[106:107], v82
	s_waitcnt lgkmcnt(3)
	v_mfma_f32_16x16x16_bf16 a[8:11], v[42:43], v[100:101], a[4:7]
	v_lshl_add_u64 v[42:43], v[54:55], 0, s[20:21]
	s_waitcnt lgkmcnt(0)
	global_store_dwordx4 v[42:43], v[104:107], off
	v_mfma_f32_16x16x16_bf16 a[4:7], v[108:109], v[102:103], a[0:3]
	s_waitcnt vmcnt(2)
	v_mov_b32_e32 v44, v37
	v_mfma_f32_16x16x16_bf16 a[0:3], v[110:111], v[102:103], a[8:11]
	v_mov_b32_e32 v43, v36
	v_mov_b32_e32 v42, v35
	s_cbranch_vccnz .LBB520_16
; %bb.15:                               ;   in Loop: Header=BB520_6 Depth=1
	v_lshrrev_b32_e32 v35, 3, v98
	v_and_b32_e32 v35, 6, v35
	v_xor_b32_e32 v36, v35, v99
	v_lshlrev_b32_e32 v36, 2, v36
	v_and_b32_e32 v37, 8, v98
	v_xor_b32_e32 v98, 0x440, v36
	v_cmp_eq_u32_e32 vcc, 0, v37
	v_perm_b32 v37, v22, v18, s56
	s_nop 0
	v_cndmask_b32_e32 v36, v98, v36, vcc
	v_lshl_or_b32 v35, v35, 10, v36
	v_perm_b32 v36, v30, v26, s56
	s_barrier
	ds_write2st64_b32 v35, v36, v37 offset1:32
	v_xor_b32_e32 v36, 8, v35
	v_perm_b32 v26, v30, v26, s57
	v_perm_b32 v18, v22, v18, s57
	v_add_u32_e32 v22, 0x80, v36
	ds_write2st64_b32 v22, v26, v18 offset1:32
	v_xor_b32_e32 v18, 16, v35
	v_perm_b32 v22, v31, v27, s56
	v_perm_b32 v26, v23, v19, s56
	ds_write2st64_b32 v18, v22, v26 offset0:1 offset1:33
	v_xor_b32_e32 v18, 24, v35
	v_perm_b32 v22, v31, v27, s57
	v_perm_b32 v19, v23, v19, s57
	v_add_u32_e32 v18, 0x80, v18
	ds_write2st64_b32 v18, v22, v19 offset0:1 offset1:33
	v_xor_b32_e32 v18, 32, v35
	v_perm_b32 v19, v32, v28, s56
	v_perm_b32 v22, v24, v20, s56
	ds_write2st64_b32 v18, v19, v22 offset0:2 offset1:34
	v_xor_b32_e32 v18, 40, v35
	v_perm_b32 v19, v32, v28, s57
	v_perm_b32 v20, v24, v20, s57
	v_add_u32_e32 v18, 0x80, v18
	ds_write2st64_b32 v18, v19, v20 offset0:2 offset1:34
	;; [unrolled: 9-line block ×3, first 2 shown]
	ds_write_b64 v97, v[14:15] offset:16384
	v_xor_b32_e32 v14, 8, v97
	ds_write_b64 v14, v[16:17] offset:16384
	ds_write_b64 v97, v[10:11] offset:24576
	;; [unrolled: 1-line block ×4, first 2 shown]
	v_xor_b32_e32 v6, 8, v96
	ds_write_b64 v6, v[8:9] offset:16384
	ds_write_b64 v96, v[2:3] offset:24576
	;; [unrolled: 1-line block ×3, first 2 shown]
.LBB520_16:                             ;   in Loop: Header=BB520_6 Depth=1
	v_exp_f32_e32 v10, s2
	s_waitcnt vmcnt(1)
	v_exp_f32_e32 v12, v38
	v_exp_f32_e32 v13, v39
	;; [unrolled: 1-line block ×4, first 2 shown]
	v_accvgpr_read_b32 v2, a4
	v_accvgpr_read_b32 v3, a5
	v_pk_mul_f32 v[12:13], v[10:11], v[12:13] op_sel_hi:[0,1]
	v_pk_fma_f32 v[46:47], v[46:47], v[12:13], v[2:3]
	v_exp_f32_e32 v12, v34
	v_exp_f32_e32 v13, v42
	v_pk_mul_f32 v[2:3], v[10:11], v[14:15] op_sel_hi:[0,1]
	v_exp_f32_e32 v14, v43
	v_exp_f32_e32 v15, v44
	v_accvgpr_read_b32 v4, a6
	v_accvgpr_read_b32 v5, a7
	;; [unrolled: 1-line block ×5, first 2 shown]
	v_pk_fma_f32 v[52:53], v[52:53], v[2:3], v[4:5]
	v_pk_mul_f32 v[2:3], v[10:11], v[12:13] op_sel_hi:[0,1]
	v_accvgpr_read_b32 v8, a2
	v_pk_fma_f32 v[50:51], v[50:51], v[2:3], v[6:7]
	v_pk_mul_f32 v[2:3], v[10:11], v[14:15] op_sel_hi:[0,1]
	s_add_i32 s52, s52, 64
	s_cmp_eq_u32 s45, s31
	v_pk_fma_f32 v[48:49], v[48:49], v[2:3], v[8:9]
	s_cbranch_scc1 .LBB520_18
; %bb.17:                               ;   in Loop: Header=BB520_6 Depth=1
	s_mov_b32 s58, s31
	s_branch .LBB520_6
.LBB520_18:
	s_lshl_b32 s0, s45, 6
	s_sub_i32 s40, s47, s0
	s_cmp_gt_i32 s40, 0
	s_cbranch_scc0 .LBB520_75
; %bb.19:
	s_add_i32 s34, s0, s34
	s_ashr_i32 s2, s34, 31
	s_cmpk_lg_i32 s15, 0x80
	s_cselect_b64 s[26:27], -1, 0
	s_and_b64 vcc, exec, s[26:27]
	s_cbranch_vccz .LBB520_21
; %bb.20:
	s_mul_i32 s1, s34, s14
	s_ashr_i32 s3, s51, 31
	s_mul_hi_i32 s0, s34, s14
	s_add_u32 s38, s1, s51
	s_addc_u32 s39, s0, s3
	s_cbranch_execz .LBB520_22
	s_branch .LBB520_23
.LBB520_21:
                                        ; implicit-def: $sgpr38_sgpr39
.LBB520_22:
	s_mul_i32 s1, s51, s12
	s_mul_hi_i32 s0, s51, s12
	s_add_u32 s38, s1, s34
	s_addc_u32 s39, s0, s2
.LBB520_23:
	s_add_i32 s3, s45, s46
	s_ashr_i32 s12, s33, 31
	s_add_u32 s0, s49, s34
	s_addc_u32 s1, s48, s2
	s_mov_b32 s2, 0x7060302
	v_lshlrev_b32_e32 v6, 3, v1
	s_lshl_b64 s[24:25], s[0:1], 8
	v_perm_b32 v3, v53, v52, s2
	v_perm_b32 v2, v47, v46, s2
	;; [unrolled: 1-line block ×4, first 2 shown]
	v_lshlrev_b32_e32 v34, 2, v1
	v_lshl_or_b32 v6, v64, 5, v6
	s_add_u32 s0, s6, s24
	ds_write2st64_b64 v6, v[2:3], v[4:5] offset0:72 offset1:76
	v_xor_b32_e32 v6, v64, v34
	v_lshlrev_b32_e32 v7, 8, v1
	s_addc_u32 s1, s7, s25
	v_lshl_or_b32 v6, v6, 1, v7
	s_mul_hi_i32 s6, s3, s13
	s_mul_i32 s3, s3, s13
	ds_write_b64 v6, v[2:3] offset:32768
	v_xor_b32_e32 v2, v63, v34
	s_add_u32 s2, s3, s33
	v_lshl_or_b32 v2, v2, 1, v7
	s_addc_u32 s3, s6, s12
	v_lshlrev_b32_e32 v3, 1, v1
	ds_write_b64 v2, v[4:5] offset:32768
	v_lshrrev_b32_e32 v2, 4, v0
	s_ashr_i32 s31, s30, 31
	s_lshl_b64 s[2:3], s[2:3], 15
	v_or_b32_e32 v4, 1, v3
	s_add_u32 s6, s36, s2
	v_xor_b32_e32 v3, v2, v3
	v_xor_b32_e32 v4, v4, v2
	v_lshlrev_b32_e32 v6, 8, v2
	s_addc_u32 s7, s37, s3
	s_lshl_b64 s[2:3], s[30:31], 8
	v_lshl_or_b32 v2, v3, 3, v6
	v_lshl_or_b32 v4, v4, 3, v6
	s_waitcnt lgkmcnt(0)
	s_barrier
	s_add_u32 s2, s6, s2
	ds_read_b64 v[2:3], v2 offset:32768
	ds_read_b64 v[4:5], v4 offset:32768
	s_addc_u32 s3, s7, s3
	v_mov_b32_e32 v7, 0
	s_cmp_lg_u32 s40, 64
	v_lshl_add_u64 v[8:9], s[2:3], 0, v[6:7]
	v_lshlrev_b32_e32 v6, 4, v1
	s_cselect_b64 s[6:7], -1, 0
	v_lshl_or_b32 v35, v59, 3, v62
	s_mov_b32 s20, 0
	v_lshl_add_u64 v[6:7], v[8:9], 0, v[6:7]
	v_or_b32_e32 v19, 32, v35
	v_and_b32_e32 v18, 56, v61
	s_and_b64 vcc, exec, s[6:7]
	s_waitcnt lgkmcnt(0)
	global_store_dwordx4 v[6:7], v[2:5], off
	s_cbranch_vccz .LBB520_29
; %bb.24:
	s_mov_b32 s21, s20
	s_mov_b32 s22, s20
	;; [unrolled: 1-line block ×3, first 2 shown]
	v_mov_b64_e32 v[6:7], s[20:21]
	v_mov_b64_e32 v[8:9], s[22:23]
	;; [unrolled: 1-line block ×3, first 2 shown]
	v_cmp_gt_i32_e32 vcc, s40, v35
	v_mov_b64_e32 v[4:5], v[8:9]
	s_and_saveexec_b64 s[2:3], vcc
	s_cbranch_execz .LBB520_26
; %bb.25:
	v_lshlrev_b32_e32 v2, 8, v35
	v_mov_b32_e32 v3, 0
	v_lshl_add_u64 v[4:5], s[0:1], 0, v[2:3]
	v_lshlrev_b32_e32 v2, 1, v18
	v_lshl_add_u64 v[10:11], v[4:5], 0, v[2:3]
	global_load_dwordx4 v[6:9], v[10:11], off
	global_load_dwordx4 v[2:5], v[10:11], off offset:128
.LBB520_26:
	s_or_b64 exec, exec, s[2:3]
	s_mov_b32 s21, s20
	s_mov_b32 s22, s20
	s_mov_b32 s23, s20
	v_mov_b64_e32 v[14:15], s[20:21]
	v_mov_b64_e32 v[16:17], s[22:23]
	;; [unrolled: 1-line block ×3, first 2 shown]
	v_cmp_gt_i32_e32 vcc, s40, v19
	v_lshlrev_b32_e32 v20, 7, v19
	v_mov_b64_e32 v[12:13], v[16:17]
	s_and_saveexec_b64 s[2:3], vcc
	s_cbranch_execz .LBB520_28
; %bb.27:
	v_lshlrev_b32_e32 v10, 1, v20
	v_mov_b32_e32 v11, 0
	v_lshl_add_u64 v[12:13], s[0:1], 0, v[10:11]
	v_lshlrev_b32_e32 v10, 1, v18
	v_lshl_add_u64 v[22:23], v[12:13], 0, v[10:11]
	global_load_dwordx4 v[14:17], v[22:23], off
	global_load_dwordx4 v[10:13], v[22:23], off offset:128
.LBB520_28:
	s_or_b64 exec, exec, s[2:3]
	v_lshrrev_b32_e32 v21, 3, v18
	v_lshlrev_b32_e32 v22, 3, v35
	v_or_b32_e32 v21, v22, v21
	v_lshlrev_b32_e32 v21, 4, v21
	v_and_b32_e32 v22, 0x78, v22
	v_xor_b32_e32 v21, v21, v22
	s_branch .LBB520_31
.LBB520_29:
                                        ; implicit-def: $vgpr21
                                        ; implicit-def: $vgpr20
                                        ; implicit-def: $vgpr6_vgpr7_vgpr8_vgpr9
                                        ; implicit-def: $vgpr2_vgpr3_vgpr4_vgpr5
                                        ; implicit-def: $vgpr14_vgpr15_vgpr16_vgpr17
                                        ; implicit-def: $vgpr10_vgpr11_vgpr12_vgpr13
	s_cbranch_execz .LBB520_31
; %bb.30:
	s_waitcnt vmcnt(0)
	v_lshlrev_b32_e32 v2, 1, v18
	v_lshl_or_b32 v20, v35, 8, v2
	s_and_b32 s1, s1, 0xffff
	s_mov_b32 s3, 0x20000
	s_movk_i32 s2, 0x4000
	v_lshl_or_b32 v21, v19, 8, v2
	s_movk_i32 s13, 0x80
	buffer_load_dwordx4 v[6:9], v20, s[0:3], 0 offen
	buffer_load_dwordx4 v[2:5], v20, s[0:3], s13 offen
	;; [unrolled: 1-line block ×4, first 2 shown]
	v_lshrrev_b32_e32 v20, 3, v18
	v_lshlrev_b32_e32 v21, 3, v35
	v_or_b32_e32 v20, v21, v20
	v_lshlrev_b32_e32 v20, 4, v20
	v_and_b32_e32 v21, 0x78, v21
	v_xor_b32_e32 v21, v20, v21
	v_lshlrev_b32_e32 v20, 7, v19
.LBB520_31:
	s_lshl_b64 s[0:1], s[38:39], 8
	s_add_u32 s4, s4, s0
	s_movk_i32 s0, 0x1000
	v_and_or_b32 v19, v20, s0, v21
	s_waitcnt vmcnt(1)
	ds_write_b64 v21, v[6:7] offset:16384
	v_xor_b32_e32 v6, 8, v21
	ds_write_b64 v6, v[8:9] offset:16384
	s_waitcnt vmcnt(0)
	ds_write_b64 v21, v[2:3] offset:24576
	ds_write_b64 v6, v[4:5] offset:24576
	;; [unrolled: 1-line block ×3, first 2 shown]
	v_xor_b32_e32 v2, 8, v19
	ds_write_b64 v2, v[16:17] offset:16384
	ds_write_b64 v19, v[10:11] offset:24576
	;; [unrolled: 1-line block ×3, first 2 shown]
	v_or_b32_e32 v2, v45, v1
	v_lshlrev_b32_e32 v2, 3, v2
	v_lshrrev_b32_e32 v4, 5, v58
	s_movk_i32 s14, 0xf8
	v_and_or_b32 v4, v2, s14, v4
	v_lshlrev_b32_e32 v3, 11, v59
	v_lshlrev_b32_e32 v12, 4, v4
	v_and_b32_e32 v13, 0x78, v2
	v_and_b32_e32 v14, 0x1000, v3
	v_lshlrev_b32_e32 v3, 2, v0
	v_xor_b32_e32 v2, v12, v13
	v_lshrrev_b32_e32 v4, 1, v58
	v_and_b32_e32 v3, 60, v3
	v_or_b32_e32 v2, v2, v14
	v_and_b32_e32 v15, 8, v4
	v_xor_b32_e32 v26, v2, v15
	v_lshl_or_b32 v2, v60, 6, v3
	v_lshlrev_b32_e32 v19, 1, v2
	v_or_b32_e32 v2, 32, v12
	v_xor_b32_e32 v2, v2, v13
	s_waitcnt lgkmcnt(0)
	s_barrier
	ds_read_b64 v[10:11], v26 offset:16384
	v_or_b32_e32 v2, v2, v14
	v_xor_b32_e32 v27, v2, v15
	v_or_b32_e32 v2, 64, v12
	v_xor_b32_e32 v2, v2, v13
	v_or_b32_e32 v2, v2, v14
	v_or_b32_e32 v12, 0x60, v12
	v_xor_b32_e32 v28, v2, v15
	ds_read2st64_b64 v[2:5], v19 offset0:72 offset1:73
	ds_read2st64_b64 v[6:9], v19 offset0:74 offset1:75
	v_xor_b32_e32 v16, v12, v13
	ds_read_b64 v[12:13], v27 offset:16384
	s_addc_u32 s5, s5, s1
	s_add_i32 s0, s43, s42
	s_waitcnt lgkmcnt(2)
	v_mfma_f32_16x16x16_bf16 a[0:3], v[10:11], v[2:3], 0
	s_add_i32 s2, s35, -1
	s_add_i32 s17, s0, s44
	s_mul_i32 s0, s33, s19
	s_mul_hi_u32 s1, s33, s18
	s_add_i32 s0, s1, s0
	s_mul_i32 s1, s12, s18
	s_ashr_i32 s3, s2, 31
	s_mul_i32 s12, s2, s29
	s_mul_hi_u32 s13, s2, s28
	s_add_i32 s12, s13, s12
	s_mul_i32 s3, s3, s28
	v_or_b32_e32 v14, v16, v14
	s_add_i32 s1, s0, s1
	s_add_i32 s3, s12, s3
	s_lshl_b64 s[12:13], s[16:17], 2
	v_xor_b32_e32 v36, v14, v15
	ds_read_b64 v[14:15], v28 offset:16384
	ds_read_b64 v[16:17], v36 offset:16384
	s_waitcnt lgkmcnt(2)
	v_mfma_f32_16x16x16_bf16 a[0:3], v[12:13], v[4:5], a[0:3]
	s_mul_i32 s0, s33, s18
	s_add_u32 s10, s10, s12
	s_addc_u32 s11, s11, s13
	s_lshl_b64 s[0:1], s[0:1], 2
	s_mul_i32 s2, s2, s28
	s_add_u32 s10, s10, s0
	s_addc_u32 s11, s11, s1
	s_lshl_b64 s[0:1], s[2:3], 2
	s_waitcnt lgkmcnt(1)
	v_mfma_f32_16x16x16_bf16 a[0:3], v[14:15], v[6:7], a[0:3]
	s_add_u32 s0, s10, s0
	s_addc_u32 s1, s11, s1
	s_load_dword s12, s[0:1], 0x0
	s_waitcnt lgkmcnt(0)
	v_mfma_f32_16x16x16_bf16 a[0:3], v[16:17], v[8:9], a[0:3]
	s_and_b64 vcc, exec, s[26:27]
	s_cbranch_vccz .LBB520_42
; %bb.32:
	v_lshlrev_b32_e32 v20, 1, v35
	s_and_b64 vcc, exec, s[6:7]
	s_cbranch_vccz .LBB520_43
; %bb.33:
	v_cmp_gt_i32_e32 vcc, s40, v20
	v_mov_b32_e32 v6, 0
	v_mov_b32_e32 v2, 0
	;; [unrolled: 1-line block ×5, first 2 shown]
	s_and_saveexec_b64 s[0:1], vcc
	s_cbranch_execz .LBB520_35
; %bb.34:
	v_mad_i64_i32 v[2:3], s[2:3], s15, v20, 0
	v_lshl_add_u64 v[2:3], v[2:3], 1, s[4:5]
	v_lshlrev_b32_e32 v4, 1, v18
	v_mov_b32_e32 v5, 0
	v_lshl_add_u64 v[2:3], v[2:3], 0, v[4:5]
	global_load_dwordx4 v[2:5], v[2:3], off
.LBB520_35:
	s_or_b64 exec, exec, s[0:1]
	v_or_b32_e32 v21, 1, v20
	v_cmp_gt_i32_e64 s[0:1], s40, v21
	v_mov_b32_e32 v7, 0
	v_mov_b32_e32 v8, 0
	;; [unrolled: 1-line block ×3, first 2 shown]
	s_and_saveexec_b64 s[2:3], s[0:1]
	s_cbranch_execz .LBB520_37
; %bb.36:
	v_mad_i64_i32 v[6:7], s[16:17], s15, v21, 0
	v_lshl_add_u64 v[6:7], v[6:7], 1, s[4:5]
	v_lshlrev_b32_e32 v8, 1, v18
	v_mov_b32_e32 v9, 0
	v_lshl_add_u64 v[6:7], v[6:7], 0, v[8:9]
	global_load_dwordx4 v[6:9], v[6:7], off
.LBB520_37:
	s_or_b64 exec, exec, s[2:3]
	v_mov_b32_e32 v17, 0
	v_mov_b32_e32 v10, 0
	;; [unrolled: 1-line block ×5, first 2 shown]
	s_and_saveexec_b64 s[2:3], vcc
	s_cbranch_execz .LBB520_39
; %bb.38:
	v_mad_i64_i32 v[10:11], s[16:17], s15, v20, 0
	v_lshl_add_u64 v[10:11], v[10:11], 1, s[4:5]
	v_lshlrev_b32_e32 v12, 1, v18
	v_mov_b32_e32 v13, 0
	v_lshl_add_u64 v[10:11], v[10:11], 0, v[12:13]
	global_load_dwordx4 v[10:13], v[10:11], off offset:128
.LBB520_39:
	s_or_b64 exec, exec, s[2:3]
	v_mov_b32_e32 v16, 0
	v_mov_b32_e32 v15, 0
	;; [unrolled: 1-line block ×3, first 2 shown]
	s_and_saveexec_b64 s[2:3], s[0:1]
	s_cbranch_execz .LBB520_41
; %bb.40:
	v_mad_i64_i32 v[14:15], s[0:1], s15, v21, 0
	v_lshl_add_u64 v[14:15], v[14:15], 1, s[4:5]
	v_lshlrev_b32_e32 v16, 1, v18
	v_mov_b32_e32 v17, 0
	v_lshl_add_u64 v[14:15], v[14:15], 0, v[16:17]
	global_load_dwordx4 v[14:17], v[14:15], off offset:128
.LBB520_41:
	s_or_b64 exec, exec, s[2:3]
	s_branch .LBB520_45
.LBB520_42:
                                        ; implicit-def: $vgpr5
                                        ; implicit-def: $vgpr9
                                        ; implicit-def: $vgpr13
                                        ; implicit-def: $vgpr17
	v_lshrrev_b32_e32 v37, 2, v58
	s_branch .LBB520_46
.LBB520_43:
                                        ; implicit-def: $vgpr5
                                        ; implicit-def: $vgpr9
                                        ; implicit-def: $vgpr13
                                        ; implicit-def: $vgpr17
	s_cbranch_execz .LBB520_45
; %bb.44:
	s_waitcnt vmcnt(0)
	v_mad_u64_u32 v[2:3], s[0:1], v20, s15, v[18:19]
	v_lshlrev_b32_e32 v20, 1, v2
	s_lshl_b32 s2, s15, 7
	s_and_b32 s1, s5, 0xffff
	s_mov_b32 s3, 0x20000
	s_mov_b32 s0, s4
	v_add_lshl_u32 v21, v2, s15, 1
	s_movk_i32 s13, 0x80
	buffer_load_dwordx4 v[2:5], v20, s[0:3], 0 offen
	buffer_load_dwordx4 v[10:13], v20, s[0:3], s13 offen
	;; [unrolled: 1-line block ×4, first 2 shown]
.LBB520_45:
	v_lshrrev_b32_e32 v37, 2, v58
	s_cbranch_execnz .LBB520_58
.LBB520_46:
	s_and_b64 vcc, exec, s[6:7]
	s_cbranch_vccz .LBB520_56
; %bb.47:
	s_waitcnt vmcnt(0)
	v_lshlrev_b32_e32 v7, 1, v35
	v_cmp_gt_i32_e32 vcc, s40, v7
	v_mov_b32_e32 v6, 0
	v_lshlrev_b32_e32 v14, 9, v35
	v_mov_b32_e32 v2, 0
	v_mov_b32_e32 v3, 0
	;; [unrolled: 1-line block ×4, first 2 shown]
	s_and_saveexec_b64 s[0:1], vcc
	s_cbranch_execz .LBB520_49
; %bb.48:
	v_mov_b32_e32 v15, 0
	v_lshl_add_u64 v[2:3], s[4:5], 0, v[14:15]
	v_lshlrev_b32_e32 v4, 1, v18
	v_mov_b32_e32 v5, v15
	v_lshl_add_u64 v[2:3], v[2:3], 0, v[4:5]
	global_load_dwordx4 v[2:5], v[2:3], off
.LBB520_49:
	s_or_b64 exec, exec, s[0:1]
	v_or_b32_e32 v7, 1, v7
	v_cmp_gt_i32_e64 s[0:1], s40, v7
	v_lshlrev_b32_e32 v20, 8, v7
	v_mov_b32_e32 v7, 0
	v_mov_b32_e32 v8, 0
	;; [unrolled: 1-line block ×3, first 2 shown]
	s_and_saveexec_b64 s[2:3], s[0:1]
	s_cbranch_execz .LBB520_51
; %bb.50:
	v_mov_b32_e32 v21, 0
	v_lshl_add_u64 v[6:7], s[4:5], 0, v[20:21]
	v_lshlrev_b32_e32 v8, 1, v18
	v_mov_b32_e32 v9, v21
	v_lshl_add_u64 v[6:7], v[6:7], 0, v[8:9]
	global_load_dwordx4 v[6:9], v[6:7], off
.LBB520_51:
	s_or_b64 exec, exec, s[2:3]
	v_mov_b32_e32 v17, 0
	v_mov_b32_e32 v10, 0
	;; [unrolled: 1-line block ×5, first 2 shown]
	s_and_saveexec_b64 s[2:3], vcc
	s_cbranch_execz .LBB520_53
; %bb.52:
	v_mov_b32_e32 v15, 0
	v_lshl_add_u64 v[10:11], s[4:5], 0, v[14:15]
	v_lshlrev_b32_e32 v14, 1, v18
	v_lshl_add_u64 v[10:11], v[10:11], 0, v[14:15]
	global_load_dwordx4 v[10:13], v[10:11], off offset:128
.LBB520_53:
	s_or_b64 exec, exec, s[2:3]
	v_mov_b32_e32 v16, 0
	v_mov_b32_e32 v15, 0
	;; [unrolled: 1-line block ×3, first 2 shown]
	s_and_saveexec_b64 s[2:3], s[0:1]
	s_cbranch_execz .LBB520_55
; %bb.54:
	v_mov_b32_e32 v21, 0
	v_lshl_add_u64 v[14:15], s[4:5], 0, v[20:21]
	v_lshlrev_b32_e32 v20, 1, v18
	v_lshl_add_u64 v[14:15], v[14:15], 0, v[20:21]
	global_load_dwordx4 v[14:17], v[14:15], off offset:128
.LBB520_55:
	s_or_b64 exec, exec, s[2:3]
	s_branch .LBB520_58
.LBB520_56:
                                        ; implicit-def: $vgpr5
                                        ; implicit-def: $vgpr9
                                        ; implicit-def: $vgpr13
                                        ; implicit-def: $vgpr17
	s_cbranch_execz .LBB520_58
; %bb.57:
	s_waitcnt vmcnt(0)
	v_lshlrev_b32_e32 v2, 1, v18
	v_lshl_or_b32 v18, v35, 9, v2
	s_and_b32 s5, s5, 0xffff
	s_mov_b32 s7, 0x20000
	s_movk_i32 s6, 0x4000
	s_movk_i32 s0, 0x80
	buffer_load_dwordx4 v[2:5], v18, s[4:7], 0 offen
	buffer_load_dwordx4 v[6:9], v18, s[4:7], 0 offen offset:256
	buffer_load_dwordx4 v[10:13], v18, s[4:7], s0 offen
	buffer_load_dwordx4 v[14:17], v18, s[4:7], s0 offen offset:256
.LBB520_58:
	ds_read2st64_b64 v[22:25], v19 offset0:76 offset1:77
	ds_read2st64_b64 v[18:21], v19 offset0:78 offset1:79
	ds_read_b64 v[30:31], v26 offset:24576
	ds_read_b64 v[32:33], v27 offset:24576
	;; [unrolled: 1-line block ×4, first 2 shown]
	v_and_b32_e32 v36, 6, v0
	v_xor_b32_e32 v35, v35, v36
	v_lshlrev_b32_e32 v35, 2, v35
	v_and_b32_e32 v0, 1, v0
	v_xor_b32_e32 v38, 0x440, v35
	v_cmp_eq_u32_e32 vcc, 0, v0
	s_mov_b32 s0, 0x1000504
	s_mov_b32 s1, 0x3020706
	v_cndmask_b32_e32 v0, v38, v35, vcc
	v_lshl_or_b32 v0, v36, 10, v0
	s_waitcnt vmcnt(0)
	v_perm_b32 v35, v2, v6, s0
	v_perm_b32 v36, v10, v14, s0
	ds_write2st64_b32 v0, v35, v36 offset1:32
	v_xor_b32_e32 v35, 8, v0
	v_perm_b32 v2, v2, v6, s1
	v_perm_b32 v6, v10, v14, s1
	v_add_u32_e32 v10, 0x80, v35
	ds_write2st64_b32 v10, v2, v6 offset1:32
	v_xor_b32_e32 v2, 16, v0
	v_perm_b32 v6, v3, v7, s0
	v_perm_b32 v10, v11, v15, s0
	ds_write2st64_b32 v2, v6, v10 offset0:1 offset1:33
	v_xor_b32_e32 v2, 24, v0
	v_perm_b32 v3, v3, v7, s1
	v_perm_b32 v6, v11, v15, s1
	v_add_u32_e32 v2, 0x80, v2
	ds_write2st64_b32 v2, v3, v6 offset0:1 offset1:33
	v_xor_b32_e32 v2, 32, v0
	v_perm_b32 v3, v4, v8, s0
	v_perm_b32 v6, v12, v16, s0
	ds_write2st64_b32 v2, v3, v6 offset0:2 offset1:34
	v_xor_b32_e32 v2, 40, v0
	v_perm_b32 v3, v4, v8, s1
	v_perm_b32 v4, v12, v16, s1
	v_add_u32_e32 v2, 0x80, v2
	ds_write2st64_b32 v2, v3, v4 offset0:2 offset1:34
	v_xor_b32_e32 v2, 48, v0
	v_perm_b32 v3, v5, v9, s0
	v_perm_b32 v4, v13, v17, s0
	v_xor_b32_e32 v0, 56, v0
	v_and_or_b32 v6, v37, 12, v45
	ds_write2st64_b32 v2, v3, v4 offset0:3 offset1:35
	v_perm_b32 v2, v5, v9, s1
	v_perm_b32 v3, v13, v17, s1
	v_add_u32_e32 v0, 0x80, v0
	v_cmp_gt_i32_e32 vcc, s40, v6
	v_mov_b32_e32 v7, 0
	v_mov_b32_e32 v11, 0
	ds_write2st64_b32 v0, v2, v3 offset0:3 offset1:35
	s_and_saveexec_b64 s[0:1], vcc
	s_cbranch_execz .LBB520_60
; %bb.59:
	v_add_u32_e32 v0, s34, v6
	v_ashrrev_i32_e32 v2, 31, v0
	v_mul_lo_u32 v4, v2, s28
	v_mul_lo_u32 v5, v0, s29
	v_mad_u64_u32 v[2:3], s[2:3], v0, s28, 0
	v_add3_u32 v3, v3, v5, v4
	v_lshl_add_u64 v[2:3], v[2:3], 2, s[10:11]
	global_load_dword v0, v[2:3], off
	s_waitcnt vmcnt(0)
	v_sub_f32_e32 v0, s12, v0
	v_exp_f32_e32 v11, v0
.LBB520_60:
	s_or_b64 exec, exec, s[0:1]
	v_or_b32_e32 v9, 1, v6
	v_cmp_gt_i32_e64 s[0:1], s40, v9
	s_and_saveexec_b64 s[2:3], s[0:1]
	s_cbranch_execz .LBB520_62
; %bb.61:
	v_add_u32_e32 v0, s34, v9
	v_ashrrev_i32_e32 v2, 31, v0
	v_mul_lo_u32 v4, v2, s28
	v_mul_lo_u32 v5, v0, s29
	v_mad_u64_u32 v[2:3], s[4:5], v0, s28, 0
	v_add3_u32 v3, v3, v5, v4
	v_lshl_add_u64 v[2:3], v[2:3], 2, s[10:11]
	global_load_dword v0, v[2:3], off
	s_waitcnt vmcnt(0)
	v_sub_f32_e32 v0, s12, v0
	v_exp_f32_e32 v7, v0
.LBB520_62:
	s_or_b64 exec, exec, s[2:3]
	v_or_b32_e32 v10, 2, v6
	v_cmp_gt_i32_e64 s[2:3], s40, v10
	v_mov_b32_e32 v8, 0
	v_mov_b32_e32 v13, 0
	s_and_saveexec_b64 s[4:5], s[2:3]
	s_cbranch_execz .LBB520_64
; %bb.63:
	v_add_u32_e32 v0, s34, v10
	v_ashrrev_i32_e32 v2, 31, v0
	v_mul_lo_u32 v4, v2, s28
	v_mul_lo_u32 v5, v0, s29
	v_mad_u64_u32 v[2:3], s[6:7], v0, s28, 0
	v_add3_u32 v3, v3, v5, v4
	v_lshl_add_u64 v[2:3], v[2:3], 2, s[10:11]
	global_load_dword v0, v[2:3], off
	s_waitcnt vmcnt(0)
	v_sub_f32_e32 v0, s12, v0
	v_exp_f32_e32 v13, v0
.LBB520_64:
	s_or_b64 exec, exec, s[4:5]
	v_or_b32_e32 v12, 3, v6
	v_cmp_gt_i32_e64 s[4:5], s40, v12
	s_and_saveexec_b64 s[6:7], s[4:5]
	s_cbranch_execz .LBB520_66
; %bb.65:
	v_add_u32_e32 v0, s34, v12
	v_ashrrev_i32_e32 v2, 31, v0
	v_mul_lo_u32 v4, v2, s28
	v_mul_lo_u32 v5, v0, s29
	v_mad_u64_u32 v[2:3], s[14:15], v0, s28, 0
	v_add3_u32 v3, v3, v5, v4
	v_lshl_add_u64 v[2:3], v[2:3], 2, s[10:11]
	global_load_dword v0, v[2:3], off
	s_waitcnt vmcnt(0)
	v_sub_f32_e32 v0, s12, v0
	v_exp_f32_e32 v8, v0
.LBB520_66:
	s_or_b64 exec, exec, s[6:7]
	s_waitcnt lgkmcnt(11)
	v_mfma_f32_16x16x16_bf16 a[0:3], v[30:31], v[22:23], a[0:3]
	v_or_b32_e32 v0, s30, v1
	s_add_u32 s6, s8, s24
	s_addc_u32 s7, s9, s25
	s_waitcnt lgkmcnt(10)
	v_mfma_f32_16x16x16_bf16 a[0:3], v[32:33], v[24:25], a[0:3]
	v_ashrrev_i32_e32 v1, 31, v0
	v_lshl_add_u64 v[4:5], v[0:1], 1, s[6:7]
	v_mov_b32_e32 v14, 0
	s_waitcnt lgkmcnt(9)
	v_mfma_f32_16x16x16_bf16 a[0:3], v[28:29], v[18:19], a[0:3]
	v_mov_b32_e32 v15, 0
	s_waitcnt lgkmcnt(8)
	v_mfma_f32_16x16x16_bf16 a[0:3], v[26:27], v[20:21], a[0:3]
	s_nop 6
	v_accvgpr_read_b32 v0, a0
	v_accvgpr_read_b32 v1, a1
	;; [unrolled: 1-line block ×4, first 2 shown]
	s_and_saveexec_b64 s[6:7], vcc
	s_cbranch_execz .LBB520_68
; %bb.67:
	v_lshlrev_b32_e32 v16, 8, v6
	v_mov_b32_e32 v17, 0
	v_lshl_add_u64 v[16:17], v[4:5], 0, v[16:17]
	global_load_ushort v15, v[16:17], off
	s_waitcnt vmcnt(0)
	v_lshlrev_b32_e32 v15, 16, v15
	v_sub_f32_e32 v0, v15, v0
	v_mul_f32_e32 v0, v11, v0
	v_lshrrev_b32_e32 v15, 16, v0
.LBB520_68:
	s_or_b64 exec, exec, s[6:7]
	s_and_saveexec_b64 s[6:7], s[0:1]
	s_cbranch_execz .LBB520_70
; %bb.69:
	v_lshlrev_b32_e32 v16, 8, v9
	v_mov_b32_e32 v17, 0
	v_lshl_add_u64 v[16:17], v[4:5], 0, v[16:17]
	global_load_ushort v0, v[16:17], off
	s_waitcnt vmcnt(0)
	v_lshlrev_b32_e32 v0, 16, v0
	v_sub_f32_e32 v0, v0, v1
	v_mul_f32_e32 v0, v7, v0
	v_lshrrev_b32_e32 v14, 16, v0
.LBB520_70:
	s_or_b64 exec, exec, s[6:7]
	v_mov_b32_e32 v0, 0
	v_mov_b32_e32 v1, 0
	s_and_saveexec_b64 s[0:1], s[2:3]
	s_cbranch_execz .LBB520_72
; %bb.71:
	v_lshlrev_b32_e32 v10, 8, v10
	v_mov_b32_e32 v11, 0
	v_lshl_add_u64 v[10:11], v[4:5], 0, v[10:11]
	global_load_ushort v1, v[10:11], off
	s_waitcnt vmcnt(0)
	v_lshlrev_b32_e32 v1, 16, v1
	v_sub_f32_e32 v1, v1, v2
	v_mul_f32_e32 v1, v13, v1
	v_lshrrev_b32_e32 v1, 16, v1
.LBB520_72:
	s_or_b64 exec, exec, s[0:1]
	s_and_saveexec_b64 s[0:1], s[4:5]
	s_cbranch_execz .LBB520_74
; %bb.73:
	v_lshlrev_b32_e32 v10, 8, v12
	v_mov_b32_e32 v11, 0
	v_lshl_add_u64 v[4:5], v[4:5], 0, v[10:11]
	global_load_ushort v0, v[4:5], off
	s_waitcnt vmcnt(0)
	v_lshlrev_b32_e32 v0, 16, v0
	v_sub_f32_e32 v0, v0, v3
	v_mul_f32_e32 v0, v8, v0
	v_lshrrev_b32_e32 v0, 16, v0
.LBB520_74:
	s_or_b64 exec, exec, s[0:1]
	s_mov_b32 s0, 0x5040100
	v_lshlrev_b32_e32 v2, 1, v34
	v_perm_b32 v1, v0, v1, s0
	v_perm_b32 v0, v14, v15, s0
	v_lshl_or_b32 v2, v6, 5, v2
	ds_write_b64 v2, v[0:1] offset:38912
	s_waitcnt lgkmcnt(0)
	s_barrier
.LBB520_75:
	s_endpgm
	.section	.rodata,"a",@progbits
	.p2align	6, 0x0
	.amdhsa_kernel _ZN12_GLOBAL__N_139chunk_gated_delta_rule_fwd_h_hip_kernelILi16ELb0ELb0ELb0ELb1ELb1ELb1ELb1ELb1EEEvPK12hip_bfloat16S3_S3_PKfS5_PKvPS1_S8_PvPKiSB_iiiiilll
		.amdhsa_group_segment_fixed_size 40960
		.amdhsa_private_segment_fixed_size 0
		.amdhsa_kernarg_size 136
		.amdhsa_user_sgpr_count 2
		.amdhsa_user_sgpr_dispatch_ptr 0
		.amdhsa_user_sgpr_queue_ptr 0
		.amdhsa_user_sgpr_kernarg_segment_ptr 1
		.amdhsa_user_sgpr_dispatch_id 0
		.amdhsa_user_sgpr_kernarg_preload_length 0
		.amdhsa_user_sgpr_kernarg_preload_offset 0
		.amdhsa_user_sgpr_private_segment_size 0
		.amdhsa_uses_dynamic_stack 0
		.amdhsa_enable_private_segment 0
		.amdhsa_system_sgpr_workgroup_id_x 1
		.amdhsa_system_sgpr_workgroup_id_y 1
		.amdhsa_system_sgpr_workgroup_id_z 0
		.amdhsa_system_sgpr_workgroup_info 0
		.amdhsa_system_vgpr_workitem_id 0
		.amdhsa_next_free_vgpr 124
		.amdhsa_next_free_sgpr 60
		.amdhsa_accum_offset 112
		.amdhsa_reserve_vcc 1
		.amdhsa_float_round_mode_32 0
		.amdhsa_float_round_mode_16_64 0
		.amdhsa_float_denorm_mode_32 3
		.amdhsa_float_denorm_mode_16_64 3
		.amdhsa_dx10_clamp 1
		.amdhsa_ieee_mode 1
		.amdhsa_fp16_overflow 0
		.amdhsa_tg_split 0
		.amdhsa_exception_fp_ieee_invalid_op 0
		.amdhsa_exception_fp_denorm_src 0
		.amdhsa_exception_fp_ieee_div_zero 0
		.amdhsa_exception_fp_ieee_overflow 0
		.amdhsa_exception_fp_ieee_underflow 0
		.amdhsa_exception_fp_ieee_inexact 0
		.amdhsa_exception_int_div_zero 0
	.end_amdhsa_kernel
	.section	.text._ZN12_GLOBAL__N_139chunk_gated_delta_rule_fwd_h_hip_kernelILi16ELb0ELb0ELb0ELb1ELb1ELb1ELb1ELb1EEEvPK12hip_bfloat16S3_S3_PKfS5_PKvPS1_S8_PvPKiSB_iiiiilll,"axG",@progbits,_ZN12_GLOBAL__N_139chunk_gated_delta_rule_fwd_h_hip_kernelILi16ELb0ELb0ELb0ELb1ELb1ELb1ELb1ELb1EEEvPK12hip_bfloat16S3_S3_PKfS5_PKvPS1_S8_PvPKiSB_iiiiilll,comdat
.Lfunc_end520:
	.size	_ZN12_GLOBAL__N_139chunk_gated_delta_rule_fwd_h_hip_kernelILi16ELb0ELb0ELb0ELb1ELb1ELb1ELb1ELb1EEEvPK12hip_bfloat16S3_S3_PKfS5_PKvPS1_S8_PvPKiSB_iiiiilll, .Lfunc_end520-_ZN12_GLOBAL__N_139chunk_gated_delta_rule_fwd_h_hip_kernelILi16ELb0ELb0ELb0ELb1ELb1ELb1ELb1ELb1EEEvPK12hip_bfloat16S3_S3_PKfS5_PKvPS1_S8_PvPKiSB_iiiiilll
                                        ; -- End function
	.section	.AMDGPU.csdata,"",@progbits
; Kernel info:
; codeLenInByte = 7168
; NumSgprs: 66
; NumVgprs: 112
; NumAgprs: 12
; TotalNumVgprs: 124
; ScratchSize: 0
; MemoryBound: 0
; FloatMode: 240
; IeeeMode: 1
; LDSByteSize: 40960 bytes/workgroup (compile time only)
; SGPRBlocks: 8
; VGPRBlocks: 15
; NumSGPRsForWavesPerEU: 66
; NumVGPRsForWavesPerEU: 124
; AccumOffset: 112
; Occupancy: 1
; WaveLimiterHint : 1
; COMPUTE_PGM_RSRC2:SCRATCH_EN: 0
; COMPUTE_PGM_RSRC2:USER_SGPR: 2
; COMPUTE_PGM_RSRC2:TRAP_HANDLER: 0
; COMPUTE_PGM_RSRC2:TGID_X_EN: 1
; COMPUTE_PGM_RSRC2:TGID_Y_EN: 1
; COMPUTE_PGM_RSRC2:TGID_Z_EN: 0
; COMPUTE_PGM_RSRC2:TIDIG_COMP_CNT: 0
; COMPUTE_PGM_RSRC3_GFX90A:ACCUM_OFFSET: 27
; COMPUTE_PGM_RSRC3_GFX90A:TG_SPLIT: 0
	.section	.text._ZN12_GLOBAL__N_139chunk_gated_delta_rule_fwd_h_hip_kernelILi16ELb1ELb1ELb1ELb0ELb1ELb1ELb1ELb1EEEvPK12hip_bfloat16S3_S3_PKfS5_PKvPS1_S8_PvPKiSB_iiiiilll,"axG",@progbits,_ZN12_GLOBAL__N_139chunk_gated_delta_rule_fwd_h_hip_kernelILi16ELb1ELb1ELb1ELb0ELb1ELb1ELb1ELb1EEEvPK12hip_bfloat16S3_S3_PKfS5_PKvPS1_S8_PvPKiSB_iiiiilll,comdat
	.globl	_ZN12_GLOBAL__N_139chunk_gated_delta_rule_fwd_h_hip_kernelILi16ELb1ELb1ELb1ELb0ELb1ELb1ELb1ELb1EEEvPK12hip_bfloat16S3_S3_PKfS5_PKvPS1_S8_PvPKiSB_iiiiilll ; -- Begin function _ZN12_GLOBAL__N_139chunk_gated_delta_rule_fwd_h_hip_kernelILi16ELb1ELb1ELb1ELb0ELb1ELb1ELb1ELb1EEEvPK12hip_bfloat16S3_S3_PKfS5_PKvPS1_S8_PvPKiSB_iiiiilll
	.p2align	8
	.type	_ZN12_GLOBAL__N_139chunk_gated_delta_rule_fwd_h_hip_kernelILi16ELb1ELb1ELb1ELb0ELb1ELb1ELb1ELb1EEEvPK12hip_bfloat16S3_S3_PKfS5_PKvPS1_S8_PvPKiSB_iiiiilll,@function
_ZN12_GLOBAL__N_139chunk_gated_delta_rule_fwd_h_hip_kernelILi16ELb1ELb1ELb1ELb0ELb1ELb1ELb1ELb1EEEvPK12hip_bfloat16S3_S3_PKfS5_PKvPS1_S8_PvPKiSB_iiiiilll: ; @_ZN12_GLOBAL__N_139chunk_gated_delta_rule_fwd_h_hip_kernelILi16ELb1ELb1ELb1ELb0ELb1ELb1ELb1ELb1EEEvPK12hip_bfloat16S3_S3_PKfS5_PKvPS1_S8_PvPKiSB_iiiiilll
; %bb.0:
	s_load_dwordx4 s[24:27], s[0:1], 0x5c
	s_abs_i32 s6, s3
	s_ashr_i32 s5, s3, 31
	v_and_b32_e32 v67, 15, v0
	v_bfe_u32 v66, v0, 4, 2
	s_waitcnt lgkmcnt(0)
	s_abs_i32 s4, s25
	v_cvt_f32_u32_e32 v1, s4
	s_sub_i32 s8, 0, s4
	s_ashr_i32 s7, s25, 31
	s_xor_b32 s5, s5, s7
	v_rcp_iflag_f32_e32 v1, v1
	v_mov_b32_e32 v49, 0
	v_lshlrev_b32_e32 v68, 3, v0
	v_mul_f32_e32 v1, 0x4f7ffffe, v1
	v_cvt_u32_f32_e32 v1, v1
	s_nop 0
	v_readfirstlane_b32 s9, v1
	s_mul_i32 s8, s8, s9
	s_mul_hi_u32 s8, s9, s8
	s_add_i32 s9, s9, s8
	s_mul_hi_u32 s8, s6, s9
	s_mul_i32 s9, s8, s4
	s_sub_i32 s6, s6, s9
	s_add_i32 s10, s8, 1
	s_sub_i32 s9, s6, s4
	s_cmp_ge_u32 s6, s4
	s_cselect_b32 s8, s10, s8
	s_cselect_b32 s6, s9, s6
	s_add_i32 s9, s8, 1
	s_cmp_ge_u32 s6, s4
	s_cselect_b32 s6, s9, s8
	s_xor_b32 s6, s6, s5
	s_sub_i32 s59, s6, s5
	s_mul_i32 s6, s59, s25
	s_sub_i32 s33, s3, s6
	s_abs_i32 s3, s26
	v_cvt_f32_u32_e32 v1, s3
	s_add_i32 s8, s24, 63
	s_ashr_i32 s9, s8, 31
	s_lshr_b32 s5, s9, 26
	v_rcp_iflag_f32_e32 v1, v1
	s_ashr_i32 s58, s24, 31
	s_add_i32 s8, s8, s5
	s_lshr_b32 s5, s58, 26
	v_mul_f32_e32 v1, 0x4f7ffffe, v1
	v_cvt_u32_f32_e32 v1, v1
	s_add_i32 s5, s24, s5
	s_ashr_i32 s61, s26, 31
	s_ashr_i32 s28, s8, 6
	;; [unrolled: 1-line block ×3, first 2 shown]
	s_xor_b32 s5, s7, s61
	s_sub_i32 s7, 0, s3
	v_readfirstlane_b32 s8, v1
	s_mul_i32 s7, s7, s8
	s_mul_hi_u32 s7, s8, s7
	s_add_i32 s8, s8, s7
	s_mul_hi_u32 s7, s4, s8
	s_mul_i32 s8, s7, s3
	s_sub_i32 s4, s4, s8
	s_lshl_b32 s2, s2, 4
	s_add_i32 s8, s7, 1
	s_sub_i32 s9, s4, s3
	s_cmp_ge_u32 s4, s3
	s_cselect_b32 s7, s8, s7
	s_cselect_b32 s4, s9, s4
	s_add_i32 s8, s7, 1
	s_cmp_ge_u32 s4, s3
	s_cselect_b32 s3, s8, s7
	s_xor_b32 s3, s3, s5
	s_sub_i32 s3, s3, s5
	s_abs_i32 s4, s3
	v_cvt_f32_u32_e32 v1, s4
	s_sub_i32 s7, 0, s4
	s_abs_i32 s5, s33
	s_xor_b32 s3, s33, s3
	v_rcp_iflag_f32_e32 v2, v1
	s_ashr_i32 s3, s3, 31
	s_load_dwordx8 s[8:15], s[0:1], 0x20
	v_lshrrev_b32_e32 v1, 6, v0
	v_mul_f32_e32 v2, 0x4f7ffffe, v2
	v_cvt_u32_f32_e32 v2, v2
	v_or_b32_e32 v58, s2, v67
	v_lshlrev_b32_e32 v45, 4, v1
	v_lshlrev_b32_e32 v46, 7, v58
	v_readfirstlane_b32 s16, v2
	s_mul_i32 s7, s7, s16
	s_mul_hi_u32 s7, s16, s7
	s_add_i32 s16, s16, s7
	s_mul_hi_u32 s7, s5, s16
	s_mul_i32 s16, s7, s4
	s_sub_i32 s5, s5, s16
	s_add_i32 s16, s7, 1
	s_sub_i32 s17, s5, s4
	s_cmp_ge_u32 s5, s4
	s_cselect_b32 s7, s16, s7
	s_cselect_b32 s5, s17, s5
	s_add_i32 s16, s7, 1
	s_cmp_ge_u32 s5, s4
	s_cselect_b32 s4, s16, s7
	s_xor_b32 s4, s4, s3
	s_sub_i32 s62, s4, s3
	s_ashr_i32 s3, s59, 31
	s_ashr_i32 s50, s33, 31
	s_mul_hi_i32 s4, s59, s25
	s_add_u32 s42, s6, s33
	s_addc_u32 s43, s4, s50
	s_lshl_b64 s[34:35], s[42:43], 15
	s_waitcnt lgkmcnt(0)
	s_add_u32 s4, s10, s34
	v_lshl_or_b32 v70, v66, 2, v45
	s_addc_u32 s5, s11, s35
	v_ashrrev_i32_e32 v47, 31, v46
	v_lshl_add_u64 v[2:3], v[46:47], 1, s[4:5]
	v_lshlrev_b32_e32 v48, 1, v70
	v_lshl_add_u64 v[2:3], v[2:3], 0, v[48:49]
	global_load_dwordx2 v[4:5], v[2:3], off
	global_load_dwordx2 v[6:7], v[2:3], off offset:128
	s_load_dwordx2 s[10:11], s[0:1], 0x40
	s_load_dwordx8 s[16:23], s[0:1], 0x0
	s_load_dwordx2 s[36:37], s[0:1], 0x80
	s_load_dwordx4 s[4:7], s[0:1], 0x70
	v_and_b32_e32 v49, 63, v0
	v_lshrrev_b32_e32 v69, 3, v49
	v_or_b32_e32 v71, 64, v70
	s_mul_i32 s51, s59, s24
	s_waitcnt lgkmcnt(0)
	s_mul_i32 s52, s59, s5
	s_mul_hi_u32 s53, s59, s4
	s_mul_i32 s40, s59, s4
	s_mul_i32 s63, s59, s28
	s_mul_i32 s54, s33, s7
	s_mul_hi_u32 s55, s33, s6
	s_mul_i32 s57, s3, s4
	s_mul_i32 s56, s50, s6
	s_mul_hi_u32 s64, s42, s24
	s_mul_i32 s44, s42, s24
	s_mul_i32 s65, s43, s24
	s_cmp_lt_i32 s24, 64
	s_mul_i32 s38, s33, s6
	s_waitcnt vmcnt(1)
	v_and_b32_e32 v53, 0xffff0000, v4
	v_lshlrev_b32_e32 v52, 16, v4
	v_and_b32_e32 v57, 0xffff0000, v5
	v_lshlrev_b32_e32 v56, 16, v5
	s_waitcnt vmcnt(0)
	v_and_b32_e32 v51, 0xffff0000, v6
	v_lshlrev_b32_e32 v50, 16, v6
	v_and_b32_e32 v55, 0xffff0000, v7
	v_lshlrev_b32_e32 v54, 16, v7
	s_cbranch_scc1 .LBB521_18
; %bb.1:
	s_add_i32 s45, s64, s65
	s_lshl_b64 s[0:1], s[44:45], 8
	v_and_b32_e32 v73, 56, v68
	s_add_u32 s4, s18, s0
	v_lshl_or_b32 v72, v1, 3, v69
	v_lshlrev_b32_e32 v2, 1, v73
	s_addc_u32 s0, s19, s1
	v_lshl_or_b32 v74, v72, 8, v2
	s_and_b32 s5, s0, 0xffff
	s_mov_b32 s7, 0x20000
	s_movk_i32 s6, 0x4000
	s_movk_i32 s0, 0x80
	v_or_b32_e32 v75, 0x2000, v74
	buffer_load_dwordx4 v[4:7], v74, s[4:7], 0 offen
	buffer_load_dwordx4 v[8:11], v74, s[4:7], s0 offen
	;; [unrolled: 1-line block ×4, first 2 shown]
	v_lshlrev_b32_e32 v3, 3, v72
	v_and_or_b32 v21, v0, 7, v3
	v_and_b32_e32 v3, 0x78, v3
	v_lshlrev_b32_e32 v21, 4, v21
	v_xor_b32_e32 v76, v21, v3
	v_mul_lo_u32 v20, v72, s27
	v_or_b32_e32 v77, 0x1000, v76
	v_xor_b32_e32 v3, 8, v76
	s_cmpk_eq_i32 s27, 0x80
	s_mov_b32 s66, s26
	v_xor_b32_e32 v21, 8, v77
	s_cselect_b64 s[0:1], -1, 0
	s_cmpk_lg_i32 s27, 0x80
	s_waitcnt vmcnt(3)
	ds_write_b64 v76, v[4:5] offset:16384
	ds_write_b64 v3, v[6:7] offset:16384
	s_waitcnt vmcnt(2)
	ds_write_b64 v76, v[8:9] offset:24576
	ds_write_b64 v3, v[10:11] offset:24576
	;; [unrolled: 3-line block ×4, first 2 shown]
	v_lshl_add_u32 v3, v20, 1, v73
	s_cbranch_scc0 .LBB521_3
; %bb.2:
	v_lshlrev_b32_e32 v5, 1, v3
	v_add_lshl_u32 v4, v3, s27, 1
	s_lshl_b32 s6, s27, 7
	v_lshl_or_b32 v2, v72, 9, v2
	s_cbranch_execz .LBB521_4
	s_branch .LBB521_5
.LBB521_3:
                                        ; implicit-def: $vgpr4
                                        ; implicit-def: $vgpr5
                                        ; implicit-def: $sgpr6
	v_lshl_or_b32 v2, v72, 9, v2
.LBB521_4:
	v_or_b32_e32 v4, 0x100, v2
	s_movk_i32 s6, 0x4000
	v_mov_b32_e32 v5, v2
.LBB521_5:
	s_mul_hi_u32 s4, s26, s24
	s_mul_i32 s5, s61, s24
	s_add_i32 s4, s4, s5
	s_mul_i32 s5, s26, s24
	s_mul_i32 s7, s5, s3
	s_mul_hi_u32 s28, s5, s59
	s_add_i32 s7, s28, s7
	s_mul_i32 s4, s4, s59
	s_add_i32 s7, s7, s4
	s_mul_i32 s5, s5, s59
	s_ashr_i32 s43, s62, 31
	s_add_u32 s4, s5, s62
	s_addc_u32 s5, s7, s43
	s_lshl_b64 s[4:5], s[4:5], 8
	s_add_u32 s4, s16, s4
	s_addc_u32 s5, s17, s5
	s_and_b32 s5, s5, 0xffff
	s_mov_b32 s7, 0x20000
	s_movk_i32 s67, 0x80
	buffer_load_dwordx4 v[6:9], v5, s[4:7], 0 offen
	buffer_load_dwordx4 v[10:13], v5, s[4:7], s67 offen
	;; [unrolled: 1-line block ×4, first 2 shown]
	v_and_b32_e32 v4, 6, v0
	v_lshlrev_b32_e32 v22, 2, v67
	v_lshlrev_b32_e32 v23, 3, v67
	v_xor_b32_e32 v25, v72, v4
	v_and_b32_e32 v5, 1, v0
	s_mul_i32 s3, s3, s24
	s_mul_hi_u32 s4, s59, s24
	v_lshl_or_b32 v23, v70, 5, v23
	v_xor_b32_e32 v26, v70, v22
	v_lshlrev_b32_e32 v25, 2, v25
	v_or_b32_e32 v78, 0x9000, v23
	v_or_b32_e32 v79, 0x9800, v23
	v_lshlrev_b32_e32 v23, 1, v26
	v_xor_b32_e32 v26, 0x440, v25
	v_cmp_eq_u32_e32 vcc, 0, v5
	s_add_i32 s71, s4, s3
	s_add_i32 s3, s53, s52
	v_cndmask_b32_e32 v5, v26, v25, vcc
	s_add_i32 s4, s55, s54
	s_add_i32 s41, s3, s57
	s_mov_b32 s69, 0x1000504
	v_lshlrev_b32_e32 v24, 8, v67
	s_mov_b32 s6, 0x8000
	v_xor_b32_e32 v22, v71, v22
	v_lshl_or_b32 v4, v4, 10, v5
	s_add_i32 s39, s4, s56
	s_lshl_b64 s[4:5], s[40:41], 2
	s_mov_b32 s70, 0x3020706
	v_lshlrev_b32_e32 v22, 1, v22
	v_or3_b32 v80, v23, v24, s6
	v_xor_b32_e32 v5, 8, v4
	v_xor_b32_e32 v23, 24, v4
	;; [unrolled: 1-line block ×4, first 2 shown]
	s_add_u32 s3, s22, s4
	v_or3_b32 v81, v22, v24, s6
	v_xor_b32_e32 v22, 16, v4
	v_xor_b32_e32 v24, 32, v4
	v_xor_b32_e32 v26, 48, v4
	v_add_u32_e32 v5, 0x80, v5
	v_add_u32_e32 v23, 0x80, v23
	;; [unrolled: 1-line block ×4, first 2 shown]
	s_addc_u32 s28, s23, s5
	s_lshl_b64 s[4:5], s[38:39], 2
	s_add_u32 s46, s3, s4
	s_movk_i32 s3, 0xf8
	s_addc_u32 s47, s28, s5
	v_ashrrev_i32_e32 v59, 31, v58
	s_lshl_b32 s30, s27, 7
	s_mov_b32 s68, 0
	s_mov_b32 s39, 0x7060302
	;; [unrolled: 1-line block ×3, first 2 shown]
	s_waitcnt vmcnt(1)
	v_perm_b32 v28, v6, v14, s69
	s_waitcnt vmcnt(0)
	v_perm_b32 v29, v10, v18, s69
	v_perm_b32 v6, v6, v14, s70
	;; [unrolled: 1-line block ×15, first 2 shown]
	ds_write2st64_b32 v4, v28, v29 offset1:32
	ds_write2st64_b32 v5, v6, v10 offset1:32
	ds_write2st64_b32 v22, v14, v18 offset0:1 offset1:33
	ds_write2st64_b32 v23, v7, v11 offset0:1 offset1:33
	;; [unrolled: 1-line block ×6, first 2 shown]
	v_or_b32_e32 v4, v45, v67
	v_lshlrev_b32_e32 v4, 3, v4
	v_lshrrev_b32_e32 v6, 5, v49
	v_and_or_b32 v6, v4, s3, v6
	v_lshlrev_b32_e32 v6, 4, v6
	v_lshrrev_b32_e32 v5, 2, v49
	v_lshlrev_b32_e32 v13, 11, v1
	v_and_b32_e32 v4, 0x78, v4
	v_or_b32_e32 v9, 32, v6
	v_and_b32_e32 v12, 12, v5
	v_and_b32_e32 v5, 0x1000, v13
	v_lshrrev_b32_e32 v8, 1, v49
	v_xor_b32_e32 v9, v9, v4
	v_and_b32_e32 v8, 8, v8
	v_or_b32_e32 v9, v9, v5
	v_xor_b32_e32 v7, v6, v4
	v_xor_b32_e32 v84, v9, v8
	v_or_b32_e32 v9, 64, v6
	v_or_b32_e32 v6, 0x60, v6
	v_xor_b32_e32 v9, v9, v4
	v_xor_b32_e32 v4, v6, v4
	v_or_b32_e32 v7, v7, v5
	v_or_b32_e32 v9, v9, v5
	;; [unrolled: 1-line block ×3, first 2 shown]
	v_xor_b32_e32 v82, v7, v8
	v_xor_b32_e32 v85, v9, v8
	;; [unrolled: 1-line block ×3, first 2 shown]
	v_lshrrev_b32_e32 v8, 4, v0
	v_lshlrev_b32_e32 v9, 1, v67
	s_ashr_i32 s3, s2, 31
	v_or_b32_e32 v10, 1, v9
	v_xor_b32_e32 v9, v8, v9
	s_lshl_b64 s[4:5], s[2:3], 8
	v_xor_b32_e32 v10, v10, v8
	v_lshlrev_b32_e32 v9, 3, v9
	v_lshlrev_b32_e32 v8, 8, v8
	v_lshlrev_b64 v[4:5], 1, v[58:59]
	s_add_u32 s4, s12, s4
	v_or3_b32 v59, v9, v8, s6
	v_lshlrev_b32_e32 v9, 3, v10
	s_addc_u32 s5, s13, s5
	v_or3_b32 v88, v9, v8, s6
	v_mov_b32_e32 v9, 0
	v_lshrrev_b32_e32 v19, 1, v0
	v_lshl_add_u64 v[10:11], s[4:5], 0, v[8:9]
	v_lshlrev_b32_e32 v8, 4, v67
	s_movk_i32 s3, 0xff
	v_lshlrev_b32_e32 v18, 3, v1
	v_and_b32_e32 v19, 24, v19
	v_lshl_add_u64 v[60:61], v[10:11], 0, v[8:9]
	v_and_b32_e32 v8, 7, v0
	v_and_b32_e32 v11, 8, v0
	v_cmp_lt_u32_e32 vcc, s3, v0
	v_xor_b32_e32 v20, v18, v19
	v_lshlrev_b32_e32 v16, 3, v8
	v_lshlrev_b32_e32 v17, 7, v8
	v_cndmask_b32_e64 v8, 0, 1, vcc
	v_or_b32_e32 v21, 0x440, v20
	v_cmp_eq_u32_e32 vcc, 0, v11
	v_or_b32_e32 v23, 64, v19
	v_xor_b32_e32 v23, v18, v23
	v_cndmask_b32_e32 v11, v21, v20, vcc
	v_or_b32_e32 v21, 32, v19
	v_or_b32_e32 v19, 0x60, v19
	v_xor_b32_e32 v21, v18, v21
	v_xor_b32_e32 v18, v18, v19
	v_or_b32_e32 v22, 0x440, v21
	v_xor_b32_e32 v24, 0x440, v23
	v_xor_b32_e32 v19, 0x440, v18
	v_cndmask_b32_e32 v21, v22, v21, vcc
	v_cndmask_b32_e32 v23, v24, v23, vcc
	;; [unrolled: 1-line block ×3, first 2 shown]
	v_and_b32_e32 v7, 0x78, v68
	v_or_b32_e32 v11, v11, v13
	v_or_b32_e32 v21, v21, v13
	;; [unrolled: 1-line block ×4, first 2 shown]
	v_lshl_or_b32 v7, v66, 7, v7
	v_lshlrev_b32_e32 v8, 13, v8
	v_xor_b32_e32 v11, v11, v16
	v_xor_b32_e32 v21, v21, v16
	;; [unrolled: 1-line block ×4, first 2 shown]
	v_or_b32_e32 v83, 0x9000, v7
	v_or_b32_e32 v87, 0x9800, v7
	v_lshl_add_u64 v[6:7], s[20:21], 0, v[4:5]
	v_lshl_add_u64 v[4:5], s[14:15], 0, v[4:5]
	v_lshlrev_b32_e32 v14, 1, v3
	v_add_lshl_u32 v3, v3, s27, 1
	v_or_b32_e32 v15, 0x100, v2
	v_or_b32_e32 v10, v12, v45
	v_add_u32_e32 v20, v8, v11
	v_add_u32_e32 v22, v8, v21
	;; [unrolled: 1-line block ×4, first 2 shown]
	v_or3_b32 v12, v45, v12, 64
	v_add_u32_e32 v11, 0x2000, v11
	v_add_u32_e32 v18, 0x2000, v21
	;; [unrolled: 1-line block ×4, first 2 shown]
	v_lshlrev_b32_e32 v8, 8, v70
	v_cndmask_b32_e64 v89, v14, v2, s[0:1]
	v_cndmask_b32_e64 v90, v3, v15, s[0:1]
	v_lshl_add_u64 v[62:63], v[6:7], 0, v[8:9]
	v_lshl_add_u64 v[64:65], v[4:5], 0, v[8:9]
	s_add_i32 s3, s51, 63
	s_movk_i32 s6, 0x4000
	v_lshlrev_b32_e32 v91, 2, v10
	v_add_u32_e32 v92, v20, v17
	v_add_u32_e32 v93, v22, v17
	;; [unrolled: 1-line block ×4, first 2 shown]
	v_lshlrev_b32_e32 v96, 2, v12
	v_add_u32_e32 v97, v11, v17
	v_add_u32_e32 v98, v18, v17
	;; [unrolled: 1-line block ×4, first 2 shown]
	s_waitcnt lgkmcnt(0)
	s_barrier
.LBB521_6:                              ; =>This Inner Loop Header: Depth=1
	s_add_i32 s41, s72, 1
	s_cmp_lt_i32 s41, s60
	s_mov_b64 s[28:29], 0
	s_cselect_b64 s[48:49], -1, 0
	s_cmp_ge_i32 s41, s60
	s_mov_b64 s[4:5], 0
	s_cbranch_scc1 .LBB521_8
; %bb.7:                                ;   in Loop: Header=BB521_6 Depth=1
	s_add_i32 s0, s68, 64
	s_add_u32 s0, s44, s0
	s_addc_u32 s1, s45, 0
	s_lshl_b64 s[0:1], s[0:1], 8
	s_add_u32 s4, s18, s0
	s_addc_u32 s5, s19, s1
.LBB521_8:                              ;   in Loop: Header=BB521_6 Depth=1
	v_cndmask_b32_e64 v2, 0, 1, s[48:49]
	v_cmp_ne_u32_e64 s[0:1], 1, v2
	s_andn2_b64 vcc, exec, s[48:49]
	s_cbranch_vccnz .LBB521_10
; %bb.9:                                ;   in Loop: Header=BB521_6 Depth=1
	s_add_i32 s28, s68, 64
	s_add_u32 s28, s51, s28
	s_addc_u32 s29, s71, 0
	s_mul_i32 s31, s28, s61
	s_mul_hi_u32 s48, s28, s66
	s_add_i32 s31, s48, s31
	s_mul_i32 s29, s29, s66
	s_add_i32 s31, s31, s29
	s_mul_i32 s28, s28, s66
	s_add_u32 s28, s28, s62
	s_addc_u32 s29, s31, s43
	s_lshl_b64 s[28:29], s[28:29], 8
	s_add_u32 s28, s16, s28
	s_addc_u32 s29, s17, s29
.LBB521_10:                             ;   in Loop: Header=BB521_6 Depth=1
	v_perm_b32 v3, v57, v56, s39
	v_perm_b32 v2, v53, v52, s39
	;; [unrolled: 1-line block ×4, first 2 shown]
	ds_write_b64 v78, v[2:3]
	ds_write_b64 v79, v[4:5]
	;; [unrolled: 1-line block ×4, first 2 shown]
	s_waitcnt lgkmcnt(0)
	s_barrier
	ds_read_b64 v[10:11], v82 offset:16384
	ds_read_b64 v[12:13], v84 offset:16384
	ds_read2st64_b64 v[2:5], v83 offset1:1
	ds_read2st64_b64 v[6:9], v83 offset0:2 offset1:3
	ds_read_b64 v[14:15], v85 offset:16384
	s_waitcnt lgkmcnt(2)
	v_mfma_f32_16x16x16_bf16 a[0:3], v[10:11], v[2:3], 0
	ds_read_b64 v[2:3], v86 offset:16384
	s_add_i32 s31, s68, 63
	s_mul_i32 s48, s31, s37
	v_mfma_f32_16x16x16_bf16 a[0:3], v[12:13], v[4:5], a[0:3]
	s_mul_hi_u32 s49, s31, s36
	s_add_i32 s49, s49, s48
	s_mul_i32 s48, s31, s36
	s_waitcnt lgkmcnt(1)
	v_mfma_f32_16x16x16_bf16 a[0:3], v[14:15], v[6:7], a[0:3]
	s_lshl_b64 s[48:49], s[48:49], 2
	s_add_u32 s48, s46, s48
	s_addc_u32 s49, s47, s49
	s_waitcnt lgkmcnt(0)
	v_mfma_f32_16x16x16_bf16 a[0:3], v[2:3], v[8:9], a[0:3]
	s_and_b64 vcc, exec, s[0:1]
	v_mov_b32_e32 v103, 0
	v_mov_b32_e32 v102, 0
	;; [unrolled: 1-line block ×19, first 2 shown]
	s_cbranch_vccnz .LBB521_12
; %bb.11:                               ;   in Loop: Header=BB521_6 Depth=1
	s_and_b32 s5, s5, 0xffff
	buffer_load_dwordx4 v[14:17], v74, s[4:7], 0 offen
	buffer_load_dwordx4 v[10:13], v74, s[4:7], s67 offen
	;; [unrolled: 1-line block ×4, first 2 shown]
	v_mov_b32_e32 v102, v76
	v_mov_b32_e32 v101, v77
.LBB521_12:                             ;   in Loop: Header=BB521_6 Depth=1
	v_add_u32_e32 v24, s68, v70
	v_ashrrev_i32_e32 v18, 31, v24
	v_mul_lo_u32 v20, v18, s36
	v_mul_lo_u32 v21, v24, s37
	v_mad_u64_u32 v[18:19], s[4:5], v24, s36, 0
	v_add3_u32 v19, v19, v21, v20
	v_add_u32_e32 v20, 1, v24
	v_ashrrev_i32_e32 v21, 31, v20
	v_mul_lo_u32 v22, v21, s36
	v_mul_lo_u32 v23, v20, s37
	v_mad_u64_u32 v[20:21], s[4:5], v20, s36, 0
	v_add3_u32 v21, v21, v23, v22
	v_add_u32_e32 v22, 2, v24
	v_ashrrev_i32_e32 v23, 31, v22
	v_mul_lo_u32 v25, v23, s36
	v_mul_lo_u32 v26, v22, s37
	v_mad_u64_u32 v[22:23], s[4:5], v22, s36, 0
	s_add_u32 s4, s44, s68
	v_add3_u32 v23, v23, v26, v25
	v_add_u32_e32 v26, 3, v24
	s_addc_u32 s5, s45, 0
	v_ashrrev_i32_e32 v24, 31, v26
	s_lshl_b64 s[74:75], s[4:5], 8
	v_lshl_add_u64 v[18:19], v[18:19], 2, s[46:47]
	v_mul_lo_u32 v27, v24, s36
	v_lshl_add_u64 v[24:25], v[62:63], 0, s[74:75]
	v_mul_lo_u32 v28, v26, s37
	global_load_ushort v38, v[24:25], off
	global_load_ushort v39, v[24:25], off offset:256
	global_load_ushort v40, v[24:25], off offset:512
	;; [unrolled: 1-line block ×3, first 2 shown]
	global_load_dword v42, v[18:19], off
	v_mad_u64_u32 v[18:19], s[4:5], v26, s36, 0
	v_lshl_add_u64 v[20:21], v[20:21], 2, s[46:47]
	v_add3_u32 v19, v19, v28, v27
	v_lshl_add_u64 v[22:23], v[22:23], 2, s[46:47]
	v_lshl_add_u64 v[18:19], v[18:19], 2, s[46:47]
	global_load_dword v43, v[20:21], off
	global_load_dword v44, v[22:23], off
	;; [unrolled: 1-line block ×3, first 2 shown]
	s_load_dword s4, s[48:49], 0x0
	ds_read_b64 v[26:27], v82 offset:24576
	ds_read2st64_b64 v[22:25], v87 offset1:1
	ds_read2st64_b64 v[28:31], v87 offset0:2 offset1:3
	ds_read_b64 v[32:33], v84 offset:24576
	ds_read_b64 v[34:35], v85 offset:24576
	;; [unrolled: 1-line block ×3, first 2 shown]
	s_waitcnt lgkmcnt(0)
	v_mfma_f32_16x16x16_bf16 a[0:3], v[26:27], v[22:23], a[0:3]
	v_mov_b32_e32 v104, 0
	v_mov_b32_e32 v18, 0
	;; [unrolled: 1-line block ×3, first 2 shown]
	v_mfma_f32_16x16x16_bf16 a[0:3], v[32:33], v[24:25], a[0:3]
	v_mov_b32_e32 v20, 0
	v_mov_b32_e32 v21, 0
	;; [unrolled: 1-line block ×3, first 2 shown]
	v_mfma_f32_16x16x16_bf16 a[0:3], v[34:35], v[28:29], a[0:3]
	v_lshl_add_u64 v[28:29], v[64:65], 0, s[74:75]
	v_mov_b32_e32 v23, 0
	v_mov_b32_e32 v24, 0
	v_mfma_f32_16x16x16_bf16 a[0:3], v[36:37], v[30:31], a[0:3]
	v_mov_b32_e32 v25, 0
	v_mov_b32_e32 v26, 0
	;; [unrolled: 1-line block ×3, first 2 shown]
	s_and_b64 vcc, exec, s[0:1]
	s_waitcnt vmcnt(7)
	v_lshlrev_b32_e32 v34, 16, v38
	s_nop 0
	v_accvgpr_read_b32 v33, a1
	v_accvgpr_read_b32 v31, a3
	;; [unrolled: 1-line block ×4, first 2 shown]
	s_waitcnt vmcnt(6)
	v_lshlrev_b32_e32 v35, 16, v39
	s_waitcnt vmcnt(4)
	v_lshlrev_b32_e32 v37, 16, v41
	v_lshlrev_b32_e32 v36, 16, v40
	s_waitcnt vmcnt(3)
	v_sub_f32_e32 v38, s4, v42
	v_pk_add_f32 v[32:33], v[34:35], v[32:33] neg_lo:[0,1] neg_hi:[0,1]
	v_pk_add_f32 v[30:31], v[36:37], v[30:31] neg_lo:[0,1] neg_hi:[0,1]
	s_waitcnt vmcnt(2)
	v_sub_f32_e32 v35, s4, v43
	s_waitcnt vmcnt(1)
	v_sub_f32_e32 v36, s4, v44
	;; [unrolled: 2-line block ×3, first 2 shown]
	v_exp_f32_e32 v34, v38
	v_exp_f32_e32 v35, v35
	;; [unrolled: 1-line block ×4, first 2 shown]
	global_store_short_d16_hi v[28:29], v32, off
	global_store_short_d16_hi v[28:29], v33, off offset:256
	global_store_short_d16_hi v[28:29], v30, off offset:512
	;; [unrolled: 1-line block ×3, first 2 shown]
	v_pk_mul_f32 v[28:29], v[34:35], v[32:33]
	v_pk_mul_f32 v[30:31], v[36:37], v[30:31]
	v_perm_b32 v28, v29, v28, s39
	v_perm_b32 v29, v31, v30, s39
	ds_write_b64 v79, v[28:29]
	v_mov_b32_e32 v28, 0
	v_mov_b32_e32 v29, 0
	;; [unrolled: 1-line block ×6, first 2 shown]
	s_cbranch_vccnz .LBB521_14
; %bb.13:                               ;   in Loop: Header=BB521_6 Depth=1
	s_and_b32 s29, s29, 0xffff
	s_mov_b32 s31, s7
	buffer_load_dwordx4 v[30:33], v89, s[28:31], 0 offen
	buffer_load_dwordx4 v[22:25], v89, s[28:31], s67 offen
	;; [unrolled: 1-line block ×4, first 2 shown]
	v_mov_b32_e32 v103, v73
	v_mov_b32_e32 v104, v72
.LBB521_14:                             ;   in Loop: Header=BB521_6 Depth=1
	s_waitcnt lgkmcnt(0)
	s_barrier
	ds_read_b64 v[34:35], v92
	ds_read_b64 v[40:41], v93
	ds_read2st64_b64 v[36:39], v87 offset1:1
	ds_read2st64_b64 v[106:109], v87 offset0:2 offset1:3
	ds_read_b64 v[42:43], v94
	ds_read_b64 v[114:115], v95
	s_add_i32 s5, s63, s72
	s_mul_hi_i32 s29, s5, s25
	s_mul_i32 s5, s5, s25
	s_waitcnt lgkmcnt(3)
	v_mfma_f32_16x16x16_bf16 a[0:3], v[34:35], v[36:37], 0
	ds_read_b64 v[34:35], v97
	s_add_u32 s28, s5, s33
	s_addc_u32 s29, s29, s50
	s_add_i32 s5, s3, s68
	v_mfma_f32_16x16x16_bf16 a[0:3], v[40:41], v[38:39], a[0:3]
	ds_read_b64 v[40:41], v98
	s_lshl_b64 s[28:29], s[28:29], 15
	s_mul_hi_i32 s31, s5, s25
	s_mul_i32 s5, s5, s25
	s_add_u32 s48, s5, s33
	s_addc_u32 s49, s31, s50
	s_lshl_b64 s[48:49], s[48:49], 9
	s_add_u32 s48, s8, s48
	s_waitcnt lgkmcnt(1)
	v_mfma_f32_16x16x16_bf16 a[4:7], v[34:35], v[36:37], 0
	s_addc_u32 s49, s9, s49
	s_and_b64 vcc, exec, s[0:1]
	v_mfma_f32_16x16x16_bf16 a[0:3], v[42:43], v[106:107], a[0:3]
	ds_read_b64 v[42:43], v99
	ds_read_b64 v[116:117], v100
	global_load_dwordx4 v[34:37], v96, s[48:49]
	s_waitcnt lgkmcnt(2)
	v_mfma_f32_16x16x16_bf16 a[4:7], v[40:41], v[38:39], a[4:7]
	global_load_dwordx4 v[38:41], v91, s[48:49]
	ds_read_b64 v[110:111], v59
	ds_read_b64 v[112:113], v88
	s_waitcnt lgkmcnt(3)
	v_mfma_f32_16x16x16_bf16 a[8:11], v[42:43], v[106:107], a[4:7]
	v_lshl_add_u64 v[42:43], v[60:61], 0, s[28:29]
	s_waitcnt lgkmcnt(0)
	global_store_dwordx4 v[42:43], v[110:113], off
	v_mfma_f32_16x16x16_bf16 a[4:7], v[114:115], v[108:109], a[0:3]
	s_waitcnt vmcnt(2)
	v_mov_b32_e32 v44, v37
	v_mfma_f32_16x16x16_bf16 a[0:3], v[116:117], v[108:109], a[8:11]
	v_mov_b32_e32 v43, v36
	v_mov_b32_e32 v42, v35
	s_cbranch_vccnz .LBB521_16
; %bb.15:                               ;   in Loop: Header=BB521_6 Depth=1
	v_lshrrev_b32_e32 v35, 3, v103
	v_and_b32_e32 v35, 6, v35
	v_xor_b32_e32 v36, v35, v104
	v_lshlrev_b32_e32 v36, 2, v36
	v_and_b32_e32 v37, 8, v103
	v_xor_b32_e32 v103, 0x440, v36
	v_cmp_eq_u32_e32 vcc, 0, v37
	v_perm_b32 v37, v22, v18, s69
	s_nop 0
	v_cndmask_b32_e32 v36, v103, v36, vcc
	v_lshl_or_b32 v35, v35, 10, v36
	v_perm_b32 v36, v30, v26, s69
	s_barrier
	ds_write2st64_b32 v35, v36, v37 offset1:32
	v_xor_b32_e32 v36, 8, v35
	v_perm_b32 v26, v30, v26, s70
	v_perm_b32 v18, v22, v18, s70
	v_add_u32_e32 v22, 0x80, v36
	ds_write2st64_b32 v22, v26, v18 offset1:32
	v_xor_b32_e32 v18, 16, v35
	v_perm_b32 v22, v31, v27, s69
	v_perm_b32 v26, v23, v19, s69
	ds_write2st64_b32 v18, v22, v26 offset0:1 offset1:33
	v_xor_b32_e32 v18, 24, v35
	v_perm_b32 v22, v31, v27, s70
	v_perm_b32 v19, v23, v19, s70
	v_add_u32_e32 v18, 0x80, v18
	ds_write2st64_b32 v18, v22, v19 offset0:1 offset1:33
	v_xor_b32_e32 v18, 32, v35
	v_perm_b32 v19, v32, v28, s69
	v_perm_b32 v22, v24, v20, s69
	ds_write2st64_b32 v18, v19, v22 offset0:2 offset1:34
	v_xor_b32_e32 v18, 40, v35
	v_perm_b32 v19, v32, v28, s70
	v_perm_b32 v20, v24, v20, s70
	v_add_u32_e32 v18, 0x80, v18
	ds_write2st64_b32 v18, v19, v20 offset0:2 offset1:34
	;; [unrolled: 9-line block ×3, first 2 shown]
	ds_write_b64 v102, v[14:15] offset:16384
	v_xor_b32_e32 v14, 8, v102
	ds_write_b64 v14, v[16:17] offset:16384
	ds_write_b64 v102, v[10:11] offset:24576
	;; [unrolled: 1-line block ×4, first 2 shown]
	v_xor_b32_e32 v6, 8, v101
	ds_write_b64 v6, v[8:9] offset:16384
	ds_write_b64 v101, v[2:3] offset:24576
	;; [unrolled: 1-line block ×3, first 2 shown]
.LBB521_16:                             ;   in Loop: Header=BB521_6 Depth=1
	v_exp_f32_e32 v10, s4
	s_waitcnt vmcnt(1)
	v_exp_f32_e32 v12, v38
	v_exp_f32_e32 v13, v39
	;; [unrolled: 1-line block ×4, first 2 shown]
	v_accvgpr_read_b32 v2, a4
	v_accvgpr_read_b32 v3, a5
	v_pk_mul_f32 v[12:13], v[10:11], v[12:13] op_sel_hi:[0,1]
	v_pk_fma_f32 v[52:53], v[52:53], v[12:13], v[2:3]
	v_exp_f32_e32 v12, v34
	v_exp_f32_e32 v13, v42
	v_pk_mul_f32 v[2:3], v[10:11], v[14:15] op_sel_hi:[0,1]
	v_exp_f32_e32 v14, v43
	v_exp_f32_e32 v15, v44
	v_accvgpr_read_b32 v4, a6
	v_accvgpr_read_b32 v5, a7
	;; [unrolled: 1-line block ×5, first 2 shown]
	v_pk_fma_f32 v[56:57], v[56:57], v[2:3], v[4:5]
	v_pk_mul_f32 v[2:3], v[10:11], v[12:13] op_sel_hi:[0,1]
	v_accvgpr_read_b32 v8, a2
	v_pk_fma_f32 v[50:51], v[50:51], v[2:3], v[6:7]
	v_pk_mul_f32 v[2:3], v[10:11], v[14:15] op_sel_hi:[0,1]
	s_add_i32 s68, s68, 64
	s_cmp_eq_u32 s60, s41
	v_pk_fma_f32 v[54:55], v[54:55], v[2:3], v[8:9]
	s_cbranch_scc1 .LBB521_18
; %bb.17:                               ;   in Loop: Header=BB521_6 Depth=1
	s_mov_b32 s72, s41
	s_branch .LBB521_6
.LBB521_18:
	s_lshl_b32 s43, s60, 6
	s_sub_i32 s45, s24, s43
	s_cmp_gt_i32 s45, 0
	s_cbranch_scc0 .LBB521_75
; %bb.19:
	s_ashr_i32 s3, s43, 31
	s_cmpk_lg_i32 s27, 0x80
	s_cselect_b64 s[30:31], -1, 0
	s_and_b64 vcc, exec, s[30:31]
	s_cbranch_vccz .LBB521_21
; %bb.20:
	s_mul_hi_i32 s0, s59, s24
	s_add_u32 s1, s51, s43
	s_addc_u32 s0, s0, s3
	s_mul_i32 s4, s1, s61
	s_mul_hi_u32 s5, s1, s26
	s_add_i32 s4, s5, s4
	s_mul_i32 s0, s0, s26
	s_add_i32 s4, s4, s0
	s_mul_i32 s1, s1, s26
	s_ashr_i32 s0, s62, 31
	s_add_u32 s46, s1, s62
	s_addc_u32 s47, s4, s0
	s_cbranch_execz .LBB521_22
	s_branch .LBB521_23
.LBB521_21:
                                        ; implicit-def: $sgpr46_sgpr47
.LBB521_22:
	s_mul_hi_i32 s0, s59, s26
	s_mul_i32 s59, s59, s26
	s_ashr_i32 s1, s62, 31
	s_add_u32 s4, s59, s62
	s_addc_u32 s0, s0, s1
	s_mul_i32 s1, s4, s58
	s_mul_hi_u32 s5, s4, s24
	s_add_i32 s1, s5, s1
	s_mul_i32 s0, s0, s24
	s_add_i32 s1, s1, s0
	s_mul_i32 s4, s4, s24
	s_add_u32 s46, s4, s43
	s_addc_u32 s47, s1, s3
.LBB521_23:
	s_mul_i32 s0, s42, s58
	s_add_i32 s0, s64, s0
	s_add_i32 s4, s63, s60
	;; [unrolled: 1-line block ×3, first 2 shown]
	s_add_u32 s0, s44, s43
	s_addc_u32 s1, s1, s3
	s_mov_b32 s3, 0x7060302
	v_lshlrev_b32_e32 v6, 3, v67
	s_lshl_b64 s[28:29], s[0:1], 8
	v_perm_b32 v3, v57, v56, s3
	v_perm_b32 v2, v53, v52, s3
	;; [unrolled: 1-line block ×4, first 2 shown]
	v_lshlrev_b32_e32 v34, 2, v67
	v_lshl_or_b32 v6, v70, 5, v6
	s_add_u32 s0, s18, s28
	ds_write2st64_b64 v6, v[2:3], v[4:5] offset0:72 offset1:76
	v_xor_b32_e32 v6, v70, v34
	v_lshlrev_b32_e32 v7, 8, v67
	s_addc_u32 s1, s19, s29
	v_lshl_or_b32 v6, v6, 1, v7
	s_mul_hi_i32 s3, s4, s25
	s_mul_i32 s4, s4, s25
	ds_write_b64 v6, v[2:3] offset:32768
	v_xor_b32_e32 v2, v71, v34
	s_add_u32 s4, s4, s33
	v_lshl_or_b32 v2, v2, 1, v7
	s_addc_u32 s5, s3, s50
	v_lshlrev_b32_e32 v3, 1, v67
	ds_write_b64 v2, v[4:5] offset:32768
	v_lshrrev_b32_e32 v2, 4, v0
	s_ashr_i32 s3, s2, 31
	s_lshl_b64 s[4:5], s[4:5], 15
	v_or_b32_e32 v4, 1, v3
	s_add_u32 s4, s12, s4
	v_xor_b32_e32 v3, v2, v3
	v_xor_b32_e32 v4, v4, v2
	v_lshlrev_b32_e32 v6, 8, v2
	s_addc_u32 s5, s13, s5
	s_lshl_b64 s[2:3], s[2:3], 8
	v_lshl_or_b32 v2, v3, 3, v6
	v_lshl_or_b32 v4, v4, 3, v6
	s_waitcnt lgkmcnt(0)
	s_barrier
	s_add_u32 s2, s4, s2
	ds_read_b64 v[2:3], v2 offset:32768
	ds_read_b64 v[4:5], v4 offset:32768
	s_addc_u32 s3, s5, s3
	v_mov_b32_e32 v7, 0
	s_cmp_lg_u32 s45, 64
	v_lshl_add_u64 v[8:9], s[2:3], 0, v[6:7]
	v_lshlrev_b32_e32 v6, 4, v67
	s_cselect_b64 s[18:19], -1, 0
	v_lshl_or_b32 v36, v1, 3, v69
	s_mov_b32 s4, 0
	v_lshl_add_u64 v[6:7], v[8:9], 0, v[6:7]
	v_or_b32_e32 v19, 32, v36
	v_and_b32_e32 v18, 56, v68
	s_and_b64 vcc, exec, s[18:19]
	s_waitcnt lgkmcnt(0)
	global_store_dwordx4 v[6:7], v[2:5], off
	s_cbranch_vccz .LBB521_29
; %bb.24:
	s_mov_b32 s6, s4
	s_mov_b32 s7, s4
	;; [unrolled: 1-line block ×3, first 2 shown]
	v_mov_b64_e32 v[8:9], s[6:7]
	v_mov_b64_e32 v[6:7], s[4:5]
	;; [unrolled: 1-line block ×3, first 2 shown]
	v_cmp_gt_i32_e32 vcc, s45, v36
	v_mov_b64_e32 v[4:5], v[8:9]
	s_and_saveexec_b64 s[2:3], vcc
	s_cbranch_execz .LBB521_26
; %bb.25:
	v_lshlrev_b32_e32 v2, 8, v36
	v_mov_b32_e32 v3, 0
	v_lshl_add_u64 v[4:5], s[0:1], 0, v[2:3]
	v_lshlrev_b32_e32 v2, 1, v18
	v_lshl_add_u64 v[10:11], v[4:5], 0, v[2:3]
	global_load_dwordx4 v[6:9], v[10:11], off
	global_load_dwordx4 v[2:5], v[10:11], off offset:128
.LBB521_26:
	s_or_b64 exec, exec, s[2:3]
	s_mov_b32 s6, s4
	s_mov_b32 s7, s4
	;; [unrolled: 1-line block ×3, first 2 shown]
	v_mov_b64_e32 v[16:17], s[6:7]
	v_mov_b64_e32 v[14:15], s[4:5]
	;; [unrolled: 1-line block ×3, first 2 shown]
	v_cmp_gt_i32_e32 vcc, s45, v19
	v_lshlrev_b32_e32 v20, 7, v19
	v_mov_b64_e32 v[12:13], v[16:17]
	s_and_saveexec_b64 s[2:3], vcc
	s_cbranch_execz .LBB521_28
; %bb.27:
	v_lshlrev_b32_e32 v10, 1, v20
	v_mov_b32_e32 v11, 0
	v_lshl_add_u64 v[12:13], s[0:1], 0, v[10:11]
	v_lshlrev_b32_e32 v10, 1, v18
	v_lshl_add_u64 v[22:23], v[12:13], 0, v[10:11]
	global_load_dwordx4 v[14:17], v[22:23], off
	global_load_dwordx4 v[10:13], v[22:23], off offset:128
.LBB521_28:
	s_or_b64 exec, exec, s[2:3]
	v_lshrrev_b32_e32 v21, 3, v18
	v_lshlrev_b32_e32 v22, 3, v36
	v_or_b32_e32 v21, v22, v21
	v_lshlrev_b32_e32 v21, 4, v21
	v_and_b32_e32 v22, 0x78, v22
	v_xor_b32_e32 v21, v21, v22
	s_branch .LBB521_31
.LBB521_29:
                                        ; implicit-def: $vgpr21
                                        ; implicit-def: $vgpr20
                                        ; implicit-def: $vgpr6_vgpr7_vgpr8_vgpr9
                                        ; implicit-def: $vgpr2_vgpr3_vgpr4_vgpr5
                                        ; implicit-def: $vgpr14_vgpr15_vgpr16_vgpr17
                                        ; implicit-def: $vgpr10_vgpr11_vgpr12_vgpr13
	s_cbranch_execz .LBB521_31
; %bb.30:
	s_waitcnt vmcnt(0)
	v_lshlrev_b32_e32 v2, 1, v18
	v_lshl_or_b32 v20, v36, 8, v2
	s_and_b32 s1, s1, 0xffff
	s_mov_b32 s3, 0x20000
	s_movk_i32 s2, 0x4000
	v_lshl_or_b32 v21, v19, 8, v2
	s_movk_i32 s4, 0x80
	buffer_load_dwordx4 v[6:9], v20, s[0:3], 0 offen
	buffer_load_dwordx4 v[2:5], v20, s[0:3], s4 offen
	;; [unrolled: 1-line block ×4, first 2 shown]
	v_lshrrev_b32_e32 v20, 3, v18
	v_lshlrev_b32_e32 v21, 3, v36
	v_or_b32_e32 v20, v21, v20
	v_lshlrev_b32_e32 v20, 4, v20
	v_and_b32_e32 v21, 0x78, v21
	v_xor_b32_e32 v21, v20, v21
	v_lshlrev_b32_e32 v20, 7, v19
.LBB521_31:
	s_lshl_b64 s[0:1], s[46:47], 8
	s_add_u32 s4, s16, s0
	s_movk_i32 s0, 0x1000
	v_and_or_b32 v19, v20, s0, v21
	s_waitcnt vmcnt(1)
	ds_write_b64 v21, v[6:7] offset:16384
	v_xor_b32_e32 v6, 8, v21
	ds_write_b64 v6, v[8:9] offset:16384
	s_waitcnt vmcnt(0)
	ds_write_b64 v21, v[2:3] offset:24576
	ds_write_b64 v6, v[4:5] offset:24576
	;; [unrolled: 1-line block ×3, first 2 shown]
	v_xor_b32_e32 v2, 8, v19
	ds_write_b64 v2, v[16:17] offset:16384
	ds_write_b64 v19, v[10:11] offset:24576
	;; [unrolled: 1-line block ×3, first 2 shown]
	v_or_b32_e32 v2, v45, v67
	v_lshlrev_b32_e32 v2, 3, v2
	v_lshrrev_b32_e32 v4, 5, v49
	s_movk_i32 s6, 0xf8
	v_and_or_b32 v4, v2, s6, v4
	v_lshlrev_b32_e32 v35, 11, v1
	v_lshlrev_b32_e32 v12, 4, v4
	v_and_b32_e32 v13, 0x78, v2
	v_and_b32_e32 v14, 0x1000, v35
	v_lshlrev_b32_e32 v3, 2, v0
	v_xor_b32_e32 v2, v12, v13
	v_lshrrev_b32_e32 v4, 1, v49
	v_and_b32_e32 v3, 60, v3
	v_or_b32_e32 v2, v2, v14
	v_and_b32_e32 v15, 8, v4
	v_xor_b32_e32 v26, v2, v15
	v_lshl_or_b32 v2, v66, 6, v3
	v_lshlrev_b32_e32 v37, 1, v2
	v_or_b32_e32 v2, 32, v12
	v_xor_b32_e32 v2, v2, v13
	s_waitcnt lgkmcnt(0)
	s_barrier
	ds_read_b64 v[10:11], v26 offset:16384
	v_or_b32_e32 v2, v2, v14
	v_xor_b32_e32 v27, v2, v15
	v_or_b32_e32 v2, 64, v12
	v_xor_b32_e32 v2, v2, v13
	v_or_b32_e32 v2, v2, v14
	v_or_b32_e32 v12, 0x60, v12
	v_xor_b32_e32 v28, v2, v15
	ds_read2st64_b64 v[2:5], v37 offset0:72 offset1:73
	ds_read2st64_b64 v[6:9], v37 offset0:74 offset1:75
	v_xor_b32_e32 v16, v12, v13
	ds_read_b64 v[12:13], v27 offset:16384
	s_addc_u32 s5, s17, s1
	s_add_i32 s0, s53, s52
	s_waitcnt lgkmcnt(2)
	v_mfma_f32_16x16x16_bf16 a[0:3], v[10:11], v[2:3], 0
	s_add_i32 s17, s24, -1
	s_add_i32 s41, s0, s57
	s_add_i32 s0, s55, s54
	;; [unrolled: 1-line block ×3, first 2 shown]
	s_ashr_i32 s0, s17, 31
	s_mul_i32 s1, s17, s37
	s_mul_hi_u32 s2, s17, s36
	s_add_i32 s1, s2, s1
	s_mul_i32 s0, s0, s36
	v_or_b32_e32 v14, v16, v14
	s_add_i32 s1, s1, s0
	s_lshl_b64 s[2:3], s[40:41], 2
	v_xor_b32_e32 v38, v14, v15
	ds_read_b64 v[14:15], v28 offset:16384
	ds_read_b64 v[16:17], v38 offset:16384
	s_waitcnt lgkmcnt(2)
	v_mfma_f32_16x16x16_bf16 a[0:3], v[12:13], v[4:5], a[0:3]
	s_add_u32 s6, s22, s2
	s_addc_u32 s7, s23, s3
	s_lshl_b64 s[2:3], s[38:39], 2
	s_mul_i32 s0, s17, s36
	s_add_u32 s12, s6, s2
	s_addc_u32 s13, s7, s3
	s_lshl_b64 s[0:1], s[0:1], 2
	s_waitcnt lgkmcnt(1)
	v_mfma_f32_16x16x16_bf16 a[0:3], v[14:15], v[6:7], a[0:3]
	s_add_u32 s0, s12, s0
	s_addc_u32 s1, s13, s1
	s_load_dword s16, s[0:1], 0x0
	s_waitcnt lgkmcnt(0)
	v_mfma_f32_16x16x16_bf16 a[0:3], v[16:17], v[8:9], a[0:3]
	s_and_b64 vcc, exec, s[30:31]
	s_cbranch_vccz .LBB521_42
; %bb.32:
	v_lshlrev_b32_e32 v19, 1, v36
	s_and_b64 vcc, exec, s[18:19]
	s_cbranch_vccz .LBB521_43
; %bb.33:
	v_cmp_gt_i32_e32 vcc, s45, v19
	v_mov_b32_e32 v6, 0
	v_mov_b32_e32 v2, 0
	;; [unrolled: 1-line block ×5, first 2 shown]
	s_and_saveexec_b64 s[0:1], vcc
	s_cbranch_execz .LBB521_35
; %bb.34:
	v_mad_i64_i32 v[2:3], s[2:3], s27, v19, 0
	v_lshl_add_u64 v[2:3], v[2:3], 1, s[4:5]
	v_lshlrev_b32_e32 v4, 1, v18
	v_mov_b32_e32 v5, 0
	v_lshl_add_u64 v[2:3], v[2:3], 0, v[4:5]
	global_load_dwordx4 v[2:5], v[2:3], off
.LBB521_35:
	s_or_b64 exec, exec, s[0:1]
	v_or_b32_e32 v20, 1, v19
	v_cmp_gt_i32_e64 s[0:1], s45, v20
	v_mov_b32_e32 v7, 0
	v_mov_b32_e32 v8, 0
	;; [unrolled: 1-line block ×3, first 2 shown]
	s_and_saveexec_b64 s[2:3], s[0:1]
	s_cbranch_execz .LBB521_37
; %bb.36:
	v_mad_i64_i32 v[6:7], s[6:7], s27, v20, 0
	v_lshl_add_u64 v[6:7], v[6:7], 1, s[4:5]
	v_lshlrev_b32_e32 v8, 1, v18
	v_mov_b32_e32 v9, 0
	v_lshl_add_u64 v[6:7], v[6:7], 0, v[8:9]
	global_load_dwordx4 v[6:9], v[6:7], off
.LBB521_37:
	s_or_b64 exec, exec, s[2:3]
	v_mov_b32_e32 v17, 0
	v_mov_b32_e32 v10, 0
	;; [unrolled: 1-line block ×5, first 2 shown]
	s_and_saveexec_b64 s[2:3], vcc
	s_cbranch_execz .LBB521_39
; %bb.38:
	v_mad_i64_i32 v[10:11], s[6:7], s27, v19, 0
	v_lshl_add_u64 v[10:11], v[10:11], 1, s[4:5]
	v_lshlrev_b32_e32 v12, 1, v18
	v_mov_b32_e32 v13, 0
	v_lshl_add_u64 v[10:11], v[10:11], 0, v[12:13]
	global_load_dwordx4 v[10:13], v[10:11], off offset:128
.LBB521_39:
	s_or_b64 exec, exec, s[2:3]
	v_mov_b32_e32 v16, 0
	v_mov_b32_e32 v15, 0
	;; [unrolled: 1-line block ×3, first 2 shown]
	s_and_saveexec_b64 s[2:3], s[0:1]
	s_cbranch_execz .LBB521_41
; %bb.40:
	v_mad_i64_i32 v[14:15], s[0:1], s27, v20, 0
	v_lshl_add_u64 v[14:15], v[14:15], 1, s[4:5]
	v_lshlrev_b32_e32 v16, 1, v18
	v_mov_b32_e32 v17, 0
	v_lshl_add_u64 v[14:15], v[14:15], 0, v[16:17]
	global_load_dwordx4 v[14:17], v[14:15], off offset:128
.LBB521_41:
	s_or_b64 exec, exec, s[2:3]
	s_branch .LBB521_45
.LBB521_42:
                                        ; implicit-def: $vgpr5
                                        ; implicit-def: $vgpr9
                                        ; implicit-def: $vgpr13
                                        ; implicit-def: $vgpr17
	v_lshrrev_b32_e32 v19, 2, v49
	s_branch .LBB521_46
.LBB521_43:
                                        ; implicit-def: $vgpr5
                                        ; implicit-def: $vgpr9
                                        ; implicit-def: $vgpr13
                                        ; implicit-def: $vgpr17
	s_cbranch_execz .LBB521_45
; %bb.44:
	s_waitcnt vmcnt(0)
	v_mad_u64_u32 v[2:3], s[0:1], v19, s27, v[18:19]
	v_lshlrev_b32_e32 v19, 1, v2
	s_lshl_b32 s2, s27, 7
	s_and_b32 s1, s5, 0xffff
	s_mov_b32 s3, 0x20000
	s_mov_b32 s0, s4
	v_add_lshl_u32 v20, v2, s27, 1
	s_movk_i32 s6, 0x80
	buffer_load_dwordx4 v[2:5], v19, s[0:3], 0 offen
	buffer_load_dwordx4 v[10:13], v19, s[0:3], s6 offen
	;; [unrolled: 1-line block ×4, first 2 shown]
.LBB521_45:
	v_lshrrev_b32_e32 v19, 2, v49
	s_cbranch_execnz .LBB521_58
.LBB521_46:
	s_and_b64 vcc, exec, s[18:19]
	s_cbranch_vccz .LBB521_56
; %bb.47:
	s_waitcnt vmcnt(0)
	v_lshlrev_b32_e32 v7, 1, v36
	v_cmp_gt_i32_e32 vcc, s45, v7
	v_mov_b32_e32 v6, 0
	v_lshlrev_b32_e32 v14, 9, v36
	v_mov_b32_e32 v2, 0
	v_mov_b32_e32 v3, 0
	v_mov_b32_e32 v4, 0
	v_mov_b32_e32 v5, 0
	s_and_saveexec_b64 s[0:1], vcc
	s_cbranch_execz .LBB521_49
; %bb.48:
	v_mov_b32_e32 v15, 0
	v_lshl_add_u64 v[2:3], s[4:5], 0, v[14:15]
	v_lshlrev_b32_e32 v4, 1, v18
	v_mov_b32_e32 v5, v15
	v_lshl_add_u64 v[2:3], v[2:3], 0, v[4:5]
	global_load_dwordx4 v[2:5], v[2:3], off
.LBB521_49:
	s_or_b64 exec, exec, s[0:1]
	v_or_b32_e32 v7, 1, v7
	v_cmp_gt_i32_e64 s[0:1], s45, v7
	v_lshlrev_b32_e32 v20, 8, v7
	v_mov_b32_e32 v7, 0
	v_mov_b32_e32 v8, 0
	;; [unrolled: 1-line block ×3, first 2 shown]
	s_and_saveexec_b64 s[2:3], s[0:1]
	s_cbranch_execz .LBB521_51
; %bb.50:
	v_mov_b32_e32 v21, 0
	v_lshl_add_u64 v[6:7], s[4:5], 0, v[20:21]
	v_lshlrev_b32_e32 v8, 1, v18
	v_mov_b32_e32 v9, v21
	v_lshl_add_u64 v[6:7], v[6:7], 0, v[8:9]
	global_load_dwordx4 v[6:9], v[6:7], off
.LBB521_51:
	s_or_b64 exec, exec, s[2:3]
	v_mov_b32_e32 v17, 0
	v_mov_b32_e32 v10, 0
	;; [unrolled: 1-line block ×5, first 2 shown]
	s_and_saveexec_b64 s[2:3], vcc
	s_cbranch_execz .LBB521_53
; %bb.52:
	v_mov_b32_e32 v15, 0
	v_lshl_add_u64 v[10:11], s[4:5], 0, v[14:15]
	v_lshlrev_b32_e32 v14, 1, v18
	v_lshl_add_u64 v[10:11], v[10:11], 0, v[14:15]
	global_load_dwordx4 v[10:13], v[10:11], off offset:128
.LBB521_53:
	s_or_b64 exec, exec, s[2:3]
	v_mov_b32_e32 v16, 0
	v_mov_b32_e32 v15, 0
	v_mov_b32_e32 v14, 0
	s_and_saveexec_b64 s[2:3], s[0:1]
	s_cbranch_execz .LBB521_55
; %bb.54:
	v_mov_b32_e32 v21, 0
	v_lshl_add_u64 v[14:15], s[4:5], 0, v[20:21]
	v_lshlrev_b32_e32 v20, 1, v18
	v_lshl_add_u64 v[14:15], v[14:15], 0, v[20:21]
	global_load_dwordx4 v[14:17], v[14:15], off offset:128
.LBB521_55:
	s_or_b64 exec, exec, s[2:3]
	s_branch .LBB521_58
.LBB521_56:
                                        ; implicit-def: $vgpr5
                                        ; implicit-def: $vgpr9
                                        ; implicit-def: $vgpr13
                                        ; implicit-def: $vgpr17
	s_cbranch_execz .LBB521_58
; %bb.57:
	s_waitcnt vmcnt(0)
	v_lshlrev_b32_e32 v2, 1, v18
	v_lshl_or_b32 v18, v36, 9, v2
	s_and_b32 s5, s5, 0xffff
	s_mov_b32 s7, 0x20000
	s_movk_i32 s6, 0x4000
	s_movk_i32 s0, 0x80
	buffer_load_dwordx4 v[2:5], v18, s[4:7], 0 offen
	buffer_load_dwordx4 v[6:9], v18, s[4:7], 0 offen offset:256
	buffer_load_dwordx4 v[10:13], v18, s[4:7], s0 offen
	buffer_load_dwordx4 v[14:17], v18, s[4:7], s0 offen offset:256
.LBB521_58:
	v_and_b32_e32 v39, 12, v19
	ds_read2st64_b64 v[22:25], v37 offset0:76 offset1:77
	ds_read2st64_b64 v[18:21], v37 offset0:78 offset1:79
	ds_read_b64 v[32:33], v26 offset:24576
	ds_read_b64 v[30:31], v27 offset:24576
	ds_read_b64 v[28:29], v28 offset:24576
	ds_read_b64 v[26:27], v38 offset:24576
	v_and_b32_e32 v38, 6, v0
	v_xor_b32_e32 v36, v36, v38
	v_lshlrev_b32_e32 v36, 2, v36
	v_and_b32_e32 v40, 1, v0
	v_xor_b32_e32 v41, 0x440, v36
	v_cmp_eq_u32_e32 vcc, 0, v40
	s_mov_b32 s0, 0x1000504
	s_waitcnt vmcnt(0)
	v_perm_b32 v40, v10, v14, s0
	v_cndmask_b32_e32 v36, v41, v36, vcc
	v_lshl_or_b32 v36, v38, 10, v36
	v_perm_b32 v38, v2, v6, s0
	ds_write2st64_b32 v36, v38, v40 offset1:32
	v_xor_b32_e32 v38, 8, v36
	s_mov_b32 s1, 0x3020706
	v_perm_b32 v2, v2, v6, s1
	v_perm_b32 v6, v10, v14, s1
	v_add_u32_e32 v10, 0x80, v38
	ds_write2st64_b32 v10, v2, v6 offset1:32
	v_xor_b32_e32 v2, 16, v36
	v_perm_b32 v6, v3, v7, s0
	v_perm_b32 v10, v11, v15, s0
	ds_write2st64_b32 v2, v6, v10 offset0:1 offset1:33
	v_xor_b32_e32 v2, 24, v36
	v_perm_b32 v3, v3, v7, s1
	v_perm_b32 v6, v11, v15, s1
	v_add_u32_e32 v2, 0x80, v2
	ds_write2st64_b32 v2, v3, v6 offset0:1 offset1:33
	v_xor_b32_e32 v2, 32, v36
	v_perm_b32 v3, v4, v8, s0
	v_perm_b32 v6, v12, v16, s0
	ds_write2st64_b32 v2, v3, v6 offset0:2 offset1:34
	v_xor_b32_e32 v2, 40, v36
	v_perm_b32 v3, v4, v8, s1
	v_perm_b32 v4, v12, v16, s1
	v_add_u32_e32 v2, 0x80, v2
	ds_write2st64_b32 v2, v3, v4 offset0:2 offset1:34
	v_xor_b32_e32 v2, 48, v36
	v_perm_b32 v3, v5, v9, s0
	v_perm_b32 v4, v13, v17, s0
	ds_write2st64_b32 v2, v3, v4 offset0:3 offset1:35
	v_xor_b32_e32 v2, 56, v36
	v_or_b32_e32 v10, v39, v45
	v_perm_b32 v3, v5, v9, s1
	v_perm_b32 v4, v13, v17, s1
	v_add_u32_e32 v2, 0x80, v2
	v_cmp_gt_i32_e64 s[2:3], s45, v10
	v_mov_b32_e32 v12, 0
	v_mov_b32_e32 v17, 0
	ds_write2st64_b32 v2, v3, v4 offset0:3 offset1:35
	s_and_saveexec_b64 s[0:1], s[2:3]
	s_cbranch_execz .LBB521_60
; %bb.59:
	v_add_u32_e32 v2, s43, v10
	v_ashrrev_i32_e32 v3, 31, v2
	v_mul_lo_u32 v4, v3, s36
	v_mul_lo_u32 v5, v2, s37
	v_mad_u64_u32 v[2:3], s[4:5], v2, s36, 0
	v_add3_u32 v3, v3, v5, v4
	v_lshl_add_u64 v[2:3], v[2:3], 2, s[12:13]
	global_load_dword v2, v[2:3], off
	s_waitcnt vmcnt(0)
	v_sub_f32_e32 v2, s16, v2
	v_exp_f32_e32 v17, v2
.LBB521_60:
	s_or_b64 exec, exec, s[0:1]
	v_or_b32_e32 v15, 1, v10
	v_cmp_gt_i32_e64 s[4:5], s45, v15
	s_and_saveexec_b64 s[0:1], s[4:5]
	s_cbranch_execz .LBB521_62
; %bb.61:
	v_add_u32_e32 v2, s43, v15
	v_ashrrev_i32_e32 v3, 31, v2
	v_mul_lo_u32 v4, v3, s36
	v_mul_lo_u32 v5, v2, s37
	v_mad_u64_u32 v[2:3], s[6:7], v2, s36, 0
	v_add3_u32 v3, v3, v5, v4
	v_lshl_add_u64 v[2:3], v[2:3], 2, s[12:13]
	global_load_dword v2, v[2:3], off
	s_waitcnt vmcnt(0)
	v_sub_f32_e32 v2, s16, v2
	v_exp_f32_e32 v12, v2
.LBB521_62:
	s_or_b64 exec, exec, s[0:1]
	v_or_b32_e32 v14, 2, v10
	v_cmp_gt_i32_e64 s[0:1], s45, v14
	v_mov_b32_e32 v11, 0
	v_mov_b32_e32 v16, 0
	s_and_saveexec_b64 s[6:7], s[0:1]
	s_cbranch_execz .LBB521_64
; %bb.63:
	v_add_u32_e32 v2, s43, v14
	v_ashrrev_i32_e32 v3, 31, v2
	v_mul_lo_u32 v4, v3, s36
	v_mul_lo_u32 v5, v2, s37
	v_mad_u64_u32 v[2:3], s[18:19], v2, s36, 0
	v_add3_u32 v3, v3, v5, v4
	v_lshl_add_u64 v[2:3], v[2:3], 2, s[12:13]
	global_load_dword v2, v[2:3], off
	s_waitcnt vmcnt(0)
	v_sub_f32_e32 v2, s16, v2
	v_exp_f32_e32 v16, v2
.LBB521_64:
	s_or_b64 exec, exec, s[6:7]
	v_or_b32_e32 v13, 3, v10
	v_cmp_gt_i32_e32 vcc, s45, v13
	s_and_saveexec_b64 s[6:7], vcc
	s_cbranch_execz .LBB521_66
; %bb.65:
	v_add_u32_e32 v2, s43, v13
	v_ashrrev_i32_e32 v3, 31, v2
	v_mul_lo_u32 v4, v3, s36
	v_mul_lo_u32 v5, v2, s37
	v_mad_u64_u32 v[2:3], s[18:19], v2, s36, 0
	v_add3_u32 v3, v3, v5, v4
	v_lshl_add_u64 v[2:3], v[2:3], 2, s[12:13]
	global_load_dword v2, v[2:3], off
	s_waitcnt vmcnt(0)
	v_sub_f32_e32 v2, s16, v2
	v_exp_f32_e32 v11, v2
.LBB521_66:
	s_or_b64 exec, exec, s[6:7]
	s_waitcnt lgkmcnt(11)
	v_mfma_f32_16x16x16_bf16 a[0:3], v[32:33], v[22:23], a[0:3]
	s_add_u32 s6, s20, s28
	v_ashrrev_i32_e32 v59, 31, v58
	s_addc_u32 s7, s21, s29
	s_waitcnt lgkmcnt(10)
	v_mfma_f32_16x16x16_bf16 a[0:3], v[30:31], v[24:25], a[0:3]
	v_lshlrev_b64 v[2:3], 1, v[58:59]
	v_lshl_add_u64 v[6:7], s[6:7], 0, v[2:3]
	s_add_u32 s6, s14, s28
	s_waitcnt lgkmcnt(9)
	v_mfma_f32_16x16x16_bf16 a[0:3], v[28:29], v[18:19], a[0:3]
	s_addc_u32 s7, s15, s29
	v_lshl_add_u64 v[8:9], s[6:7], 0, v[2:3]
	v_mov_b32_e32 v18, 0
	s_waitcnt lgkmcnt(8)
	v_mfma_f32_16x16x16_bf16 a[0:3], v[26:27], v[20:21], a[0:3]
	v_mov_b32_e32 v19, 0
	s_nop 5
	v_accvgpr_read_b32 v5, a3
	v_accvgpr_read_b32 v4, a2
	;; [unrolled: 1-line block ×4, first 2 shown]
	s_and_saveexec_b64 s[6:7], s[2:3]
	s_cbranch_execz .LBB521_68
; %bb.67:
	v_lshlrev_b32_e32 v20, 8, v10
	v_mov_b32_e32 v21, 0
	v_lshl_add_u64 v[22:23], v[6:7], 0, v[20:21]
	global_load_ushort v19, v[22:23], off
	v_lshl_add_u64 v[20:21], v[8:9], 0, v[20:21]
	s_waitcnt vmcnt(0)
	v_lshlrev_b32_e32 v19, 16, v19
	v_sub_f32_e32 v2, v19, v2
	global_store_short_d16_hi v[20:21], v2, off
	v_mul_f32_e32 v2, v17, v2
	v_lshrrev_b32_e32 v19, 16, v2
.LBB521_68:
	s_or_b64 exec, exec, s[6:7]
	s_and_saveexec_b64 s[2:3], s[4:5]
	s_cbranch_execz .LBB521_70
; %bb.69:
	v_lshlrev_b32_e32 v20, 8, v15
	v_mov_b32_e32 v21, 0
	v_lshl_add_u64 v[22:23], v[6:7], 0, v[20:21]
	global_load_ushort v2, v[22:23], off
	v_lshl_add_u64 v[20:21], v[8:9], 0, v[20:21]
	s_waitcnt vmcnt(0)
	v_lshlrev_b32_e32 v2, 16, v2
	v_sub_f32_e32 v2, v2, v3
	global_store_short_d16_hi v[20:21], v2, off
	v_mul_f32_e32 v2, v12, v2
	v_lshrrev_b32_e32 v18, 16, v2
.LBB521_70:
	s_or_b64 exec, exec, s[2:3]
	v_mov_b32_e32 v3, 0
	v_mov_b32_e32 v12, 0
	s_and_saveexec_b64 s[2:3], s[0:1]
	s_cbranch_execz .LBB521_72
; %bb.71:
	v_lshlrev_b32_e32 v14, 8, v14
	v_mov_b32_e32 v15, 0
	v_lshl_add_u64 v[20:21], v[6:7], 0, v[14:15]
	global_load_ushort v2, v[20:21], off
	v_lshl_add_u64 v[14:15], v[8:9], 0, v[14:15]
	s_waitcnt vmcnt(0)
	v_lshlrev_b32_e32 v2, 16, v2
	v_sub_f32_e32 v2, v2, v4
	global_store_short_d16_hi v[14:15], v2, off
	v_mul_f32_e32 v2, v16, v2
	v_lshrrev_b32_e32 v12, 16, v2
.LBB521_72:
	s_or_b64 exec, exec, s[2:3]
	v_or_b32_e32 v2, 0x9800, v37
	s_and_saveexec_b64 s[0:1], vcc
	s_cbranch_execz .LBB521_74
; %bb.73:
	v_lshlrev_b32_e32 v14, 8, v13
	v_mov_b32_e32 v15, 0
	v_lshl_add_u64 v[6:7], v[6:7], 0, v[14:15]
	global_load_ushort v3, v[6:7], off
	v_lshl_add_u64 v[6:7], v[8:9], 0, v[14:15]
	s_waitcnt vmcnt(0)
	v_lshlrev_b32_e32 v3, 16, v3
	v_sub_f32_e32 v3, v3, v5
	global_store_short_d16_hi v[6:7], v3, off
	v_mul_f32_e32 v3, v11, v3
	v_lshrrev_b32_e32 v3, 16, v3
.LBB521_74:
	s_or_b64 exec, exec, s[0:1]
	s_mov_b32 s0, 0x5040100
	v_perm_b32 v5, v3, v12, s0
	v_lshlrev_b32_e32 v3, 1, v34
	v_perm_b32 v4, v18, v19, s0
	v_lshl_or_b32 v3, v10, 5, v3
	s_movk_i32 s2, 0xff
	ds_write_b64 v3, v[4:5] offset:38912
	v_and_b32_e32 v3, 7, v0
	v_cmp_lt_u32_e32 vcc, s2, v0
	v_and_b32_e32 v4, 8, v0
	v_lshlrev_b32_e32 v11, 3, v3
	v_lshlrev_b32_e32 v20, 7, v3
	v_cndmask_b32_e64 v3, 0, 1, vcc
	v_lshrrev_b32_e32 v0, 1, v0
	v_lshlrev_b32_e32 v16, 13, v3
	v_lshlrev_b32_e32 v3, 3, v1
	v_and_b32_e32 v0, 24, v0
	v_xor_b32_e32 v5, v3, v0
	v_or_b32_e32 v6, 0x440, v5
	v_cmp_eq_u32_e32 vcc, 0, v4
	s_waitcnt lgkmcnt(0)
	s_barrier
	v_cndmask_b32_e32 v4, v6, v5, vcc
	v_or_b32_e32 v4, v4, v35
	v_xor_b32_e32 v21, v4, v11
	v_or_b32_e32 v4, 32, v0
	v_xor_b32_e32 v4, v3, v4
	v_or_b32_e32 v5, 0x440, v4
	v_cndmask_b32_e32 v4, v5, v4, vcc
	v_or_b32_e32 v4, v4, v35
	v_xor_b32_e32 v22, v4, v11
	v_or_b32_e32 v4, 64, v0
	v_xor_b32_e32 v4, v3, v4
	v_xor_b32_e32 v5, 0x440, v4
	v_cndmask_b32_e32 v4, v5, v4, vcc
	v_add3_u32 v8, v16, v21, v20
	v_or_b32_e32 v4, v4, v35
	v_or_b32_e32 v0, 0x60, v0
	v_xor_b32_e32 v23, v4, v11
	ds_read2st64_b64 v[4:7], v2 offset1:1
	ds_read2st64_b64 v[12:15], v2 offset0:2 offset1:3
	v_xor_b32_e32 v0, v3, v0
	ds_read_b64 v[2:3], v8
	v_add3_u32 v9, v16, v22, v20
	v_xor_b32_e32 v8, 0x440, v0
	v_cndmask_b32_e32 v0, v8, v0, vcc
	ds_read_b64 v[8:9], v9
	s_add_i32 s0, s17, s51
	s_mul_hi_i32 s1, s0, s25
	s_mul_i32 s0, s0, s25
	s_add_u32 s0, s0, s33
	v_or_b32_e32 v0, v0, v35
	s_waitcnt lgkmcnt(1)
	v_mfma_f32_16x16x16_bf16 a[0:3], v[2:3], v[4:5], 0
	s_addc_u32 s1, s1, s50
	v_xor_b32_e32 v24, v0, v11
	s_lshl_b64 s[0:1], s[0:1], 9
	v_add3_u32 v17, v16, v23, v20
	v_add3_u32 v0, v16, v24, v20
	s_add_u32 s0, s8, s0
	ds_read_b64 v[16:17], v17
	ds_read_b64 v[18:19], v0
	s_addc_u32 s1, s9, s1
	v_lshlrev_b32_e32 v0, 2, v10
	s_waitcnt lgkmcnt(2)
	v_mfma_f32_16x16x16_bf16 a[0:3], v[8:9], v[6:7], a[0:3]
	global_load_dwordx4 v[8:11], v0, s[0:1]
	v_add_u32_e32 v0, v21, v20
	v_lshlrev_b32_e32 v2, 6, v1
	ds_read_b64 v[0:1], v0 offset:8192
	v_lshlrev_b32_e32 v3, 2, v39
	s_movk_i32 s2, 0x100
	v_or3_b32 v2, v2, v3, s2
	v_add_u32_e32 v3, v22, v20
	v_add_u32_e32 v21, v23, v20
	;; [unrolled: 1-line block ×3, first 2 shown]
	s_waitcnt lgkmcnt(2)
	v_mfma_f32_16x16x16_bf16 a[0:3], v[16:17], v[12:13], a[0:3]
	ds_read_b64 v[16:17], v3 offset:8192
	ds_read_b64 v[20:21], v21 offset:8192
	;; [unrolled: 1-line block ×3, first 2 shown]
	v_exp_f32_e32 v24, s16
	s_waitcnt vmcnt(0)
	v_exp_f32_e32 v10, v10
	s_waitcnt lgkmcnt(3)
	v_mfma_f32_16x16x16_bf16 a[4:7], v[0:1], v[4:5], 0
	global_load_dwordx4 v[0:3], v2, s[0:1]
	v_exp_f32_e32 v11, v11
	v_exp_f32_e32 v8, v8
	v_mfma_f32_16x16x16_bf16 a[0:3], v[18:19], v[14:15], a[0:3]
	v_exp_f32_e32 v9, v9
	v_pk_mul_f32 v[10:11], v[24:25], v[10:11] op_sel_hi:[0,1]
	v_pk_mul_f32 v[8:9], v[24:25], v[8:9] op_sel_hi:[0,1]
	s_waitcnt vmcnt(0)
	v_exp_f32_e32 v0, v0
	s_nop 1
	v_accvgpr_read_b32 v19, a1
	v_accvgpr_read_b32 v5, a3
	;; [unrolled: 1-line block ×4, first 2 shown]
	s_waitcnt lgkmcnt(2)
	v_mfma_f32_16x16x16_bf16 a[0:3], v[16:17], v[6:7], a[4:7]
	v_pk_fma_f32 v[56:57], v[56:57], v[10:11], v[4:5]
	v_mov_b32_e32 v4, v3
	v_mov_b32_e32 v3, v2
	s_waitcnt lgkmcnt(1)
	v_mfma_f32_16x16x16_bf16 a[0:3], v[20:21], v[12:13], a[0:3]
	v_mov_b32_e32 v2, v1
	v_exp_f32_e32 v1, v2
	v_exp_f32_e32 v2, v3
	s_waitcnt lgkmcnt(0)
	v_mfma_f32_16x16x16_bf16 a[0:3], v[22:23], v[14:15], a[0:3]
	v_exp_f32_e32 v3, v4
	v_pk_mul_f32 v[0:1], v[24:25], v[0:1] op_sel_hi:[0,1]
	v_pk_fma_f32 v[52:53], v[52:53], v[8:9], v[18:19]
	s_nop 3
	v_accvgpr_read_b32 v7, a1
	v_accvgpr_read_b32 v6, a0
	;; [unrolled: 1-line block ×4, first 2 shown]
	v_pk_fma_f32 v[50:51], v[50:51], v[0:1], v[6:7]
	v_pk_mul_f32 v[0:1], v[24:25], v[2:3] op_sel_hi:[0,1]
	v_pk_fma_f32 v[54:55], v[54:55], v[0:1], v[4:5]
.LBB521_75:
	s_add_u32 s0, s10, s34
	s_addc_u32 s1, s11, s35
	v_lshl_add_u64 v[0:1], v[46:47], 1, s[0:1]
	v_mov_b32_e32 v49, 0
	s_mov_b32 s0, 0x7060302
	v_lshl_add_u64 v[0:1], v[0:1], 0, v[48:49]
	v_perm_b32 v3, v57, v56, s0
	v_perm_b32 v2, v53, v52, s0
	global_store_dwordx2 v[0:1], v[2:3], off
	v_perm_b32 v3, v55, v54, s0
	v_perm_b32 v2, v51, v50, s0
	global_store_dwordx2 v[0:1], v[2:3], off offset:128
	s_endpgm
	.section	.rodata,"a",@progbits
	.p2align	6, 0x0
	.amdhsa_kernel _ZN12_GLOBAL__N_139chunk_gated_delta_rule_fwd_h_hip_kernelILi16ELb1ELb1ELb1ELb0ELb1ELb1ELb1ELb1EEEvPK12hip_bfloat16S3_S3_PKfS5_PKvPS1_S8_PvPKiSB_iiiiilll
		.amdhsa_group_segment_fixed_size 40960
		.amdhsa_private_segment_fixed_size 0
		.amdhsa_kernarg_size 136
		.amdhsa_user_sgpr_count 2
		.amdhsa_user_sgpr_dispatch_ptr 0
		.amdhsa_user_sgpr_queue_ptr 0
		.amdhsa_user_sgpr_kernarg_segment_ptr 1
		.amdhsa_user_sgpr_dispatch_id 0
		.amdhsa_user_sgpr_kernarg_preload_length 0
		.amdhsa_user_sgpr_kernarg_preload_offset 0
		.amdhsa_user_sgpr_private_segment_size 0
		.amdhsa_uses_dynamic_stack 0
		.amdhsa_enable_private_segment 0
		.amdhsa_system_sgpr_workgroup_id_x 1
		.amdhsa_system_sgpr_workgroup_id_y 1
		.amdhsa_system_sgpr_workgroup_id_z 0
		.amdhsa_system_sgpr_workgroup_info 0
		.amdhsa_system_vgpr_workitem_id 0
		.amdhsa_next_free_vgpr 132
		.amdhsa_next_free_sgpr 76
		.amdhsa_accum_offset 120
		.amdhsa_reserve_vcc 1
		.amdhsa_float_round_mode_32 0
		.amdhsa_float_round_mode_16_64 0
		.amdhsa_float_denorm_mode_32 3
		.amdhsa_float_denorm_mode_16_64 3
		.amdhsa_dx10_clamp 1
		.amdhsa_ieee_mode 1
		.amdhsa_fp16_overflow 0
		.amdhsa_tg_split 0
		.amdhsa_exception_fp_ieee_invalid_op 0
		.amdhsa_exception_fp_denorm_src 0
		.amdhsa_exception_fp_ieee_div_zero 0
		.amdhsa_exception_fp_ieee_overflow 0
		.amdhsa_exception_fp_ieee_underflow 0
		.amdhsa_exception_fp_ieee_inexact 0
		.amdhsa_exception_int_div_zero 0
	.end_amdhsa_kernel
	.section	.text._ZN12_GLOBAL__N_139chunk_gated_delta_rule_fwd_h_hip_kernelILi16ELb1ELb1ELb1ELb0ELb1ELb1ELb1ELb1EEEvPK12hip_bfloat16S3_S3_PKfS5_PKvPS1_S8_PvPKiSB_iiiiilll,"axG",@progbits,_ZN12_GLOBAL__N_139chunk_gated_delta_rule_fwd_h_hip_kernelILi16ELb1ELb1ELb1ELb0ELb1ELb1ELb1ELb1EEEvPK12hip_bfloat16S3_S3_PKfS5_PKvPS1_S8_PvPKiSB_iiiiilll,comdat
.Lfunc_end521:
	.size	_ZN12_GLOBAL__N_139chunk_gated_delta_rule_fwd_h_hip_kernelILi16ELb1ELb1ELb1ELb0ELb1ELb1ELb1ELb1EEEvPK12hip_bfloat16S3_S3_PKfS5_PKvPS1_S8_PvPKiSB_iiiiilll, .Lfunc_end521-_ZN12_GLOBAL__N_139chunk_gated_delta_rule_fwd_h_hip_kernelILi16ELb1ELb1ELb1ELb0ELb1ELb1ELb1ELb1EEEvPK12hip_bfloat16S3_S3_PKfS5_PKvPS1_S8_PvPKiSB_iiiiilll
                                        ; -- End function
	.section	.AMDGPU.csdata,"",@progbits
; Kernel info:
; codeLenInByte = 8212
; NumSgprs: 82
; NumVgprs: 118
; NumAgprs: 12
; TotalNumVgprs: 132
; ScratchSize: 0
; MemoryBound: 0
; FloatMode: 240
; IeeeMode: 1
; LDSByteSize: 40960 bytes/workgroup (compile time only)
; SGPRBlocks: 10
; VGPRBlocks: 16
; NumSGPRsForWavesPerEU: 82
; NumVGPRsForWavesPerEU: 132
; AccumOffset: 120
; Occupancy: 1
; WaveLimiterHint : 1
; COMPUTE_PGM_RSRC2:SCRATCH_EN: 0
; COMPUTE_PGM_RSRC2:USER_SGPR: 2
; COMPUTE_PGM_RSRC2:TRAP_HANDLER: 0
; COMPUTE_PGM_RSRC2:TGID_X_EN: 1
; COMPUTE_PGM_RSRC2:TGID_Y_EN: 1
; COMPUTE_PGM_RSRC2:TGID_Z_EN: 0
; COMPUTE_PGM_RSRC2:TIDIG_COMP_CNT: 0
; COMPUTE_PGM_RSRC3_GFX90A:ACCUM_OFFSET: 29
; COMPUTE_PGM_RSRC3_GFX90A:TG_SPLIT: 0
	.section	.text._ZN12_GLOBAL__N_139chunk_gated_delta_rule_fwd_h_hip_kernelILi16ELb1ELb1ELb0ELb0ELb1ELb1ELb1ELb1EEEvPK12hip_bfloat16S3_S3_PKfS5_PKvPS1_S8_PvPKiSB_iiiiilll,"axG",@progbits,_ZN12_GLOBAL__N_139chunk_gated_delta_rule_fwd_h_hip_kernelILi16ELb1ELb1ELb0ELb0ELb1ELb1ELb1ELb1EEEvPK12hip_bfloat16S3_S3_PKfS5_PKvPS1_S8_PvPKiSB_iiiiilll,comdat
	.globl	_ZN12_GLOBAL__N_139chunk_gated_delta_rule_fwd_h_hip_kernelILi16ELb1ELb1ELb0ELb0ELb1ELb1ELb1ELb1EEEvPK12hip_bfloat16S3_S3_PKfS5_PKvPS1_S8_PvPKiSB_iiiiilll ; -- Begin function _ZN12_GLOBAL__N_139chunk_gated_delta_rule_fwd_h_hip_kernelILi16ELb1ELb1ELb0ELb0ELb1ELb1ELb1ELb1EEEvPK12hip_bfloat16S3_S3_PKfS5_PKvPS1_S8_PvPKiSB_iiiiilll
	.p2align	8
	.type	_ZN12_GLOBAL__N_139chunk_gated_delta_rule_fwd_h_hip_kernelILi16ELb1ELb1ELb0ELb0ELb1ELb1ELb1ELb1EEEvPK12hip_bfloat16S3_S3_PKfS5_PKvPS1_S8_PvPKiSB_iiiiilll,@function
_ZN12_GLOBAL__N_139chunk_gated_delta_rule_fwd_h_hip_kernelILi16ELb1ELb1ELb0ELb0ELb1ELb1ELb1ELb1EEEvPK12hip_bfloat16S3_S3_PKfS5_PKvPS1_S8_PvPKiSB_iiiiilll: ; @_ZN12_GLOBAL__N_139chunk_gated_delta_rule_fwd_h_hip_kernelILi16ELb1ELb1ELb0ELb0ELb1ELb1ELb1ELb1EEEvPK12hip_bfloat16S3_S3_PKfS5_PKvPS1_S8_PvPKiSB_iiiiilll
; %bb.0:
	s_load_dwordx4 s[12:15], s[0:1], 0x5c
	s_abs_i32 s6, s3
	s_ashr_i32 s5, s3, 31
	s_load_dwordx4 s[16:19], s[0:1], 0x20
	s_load_dwordx2 s[38:39], s[0:1], 0x30
	v_and_b32_e32 v65, 15, v0
	s_waitcnt lgkmcnt(0)
	s_abs_i32 s4, s13
	v_cvt_f32_u32_e32 v1, s4
	s_sub_i32 s8, 0, s4
	s_ashr_i32 s7, s13, 31
	s_xor_b32 s5, s5, s7
	v_rcp_iflag_f32_e32 v1, v1
	v_bfe_u32 v64, v0, 4, 2
	v_mov_b32_e32 v49, 0
	v_lshlrev_b32_e32 v66, 3, v0
	v_mul_f32_e32 v1, 0x4f7ffffe, v1
	v_cvt_u32_f32_e32 v1, v1
	s_nop 0
	v_readfirstlane_b32 s9, v1
	s_mul_i32 s8, s8, s9
	s_mul_hi_u32 s8, s9, s8
	s_add_i32 s9, s9, s8
	s_mul_hi_u32 s8, s6, s9
	s_mul_i32 s9, s8, s4
	s_sub_i32 s6, s6, s9
	s_add_i32 s10, s8, 1
	s_sub_i32 s9, s6, s4
	s_cmp_ge_u32 s6, s4
	s_cselect_b32 s8, s10, s8
	s_cselect_b32 s6, s9, s6
	s_add_i32 s9, s8, 1
	s_cmp_ge_u32 s6, s4
	s_cselect_b32 s6, s9, s8
	s_xor_b32 s6, s6, s5
	s_sub_i32 s57, s6, s5
	s_mul_i32 s6, s57, s13
	s_sub_i32 s33, s3, s6
	s_abs_i32 s3, s14
	v_cvt_f32_u32_e32 v1, s3
	s_add_i32 s8, s12, 63
	s_ashr_i32 s9, s8, 31
	s_lshr_b32 s5, s9, 26
	v_rcp_iflag_f32_e32 v1, v1
	s_ashr_i32 s56, s12, 31
	s_add_i32 s8, s8, s5
	s_lshr_b32 s5, s56, 26
	v_mul_f32_e32 v1, 0x4f7ffffe, v1
	v_cvt_u32_f32_e32 v1, v1
	s_add_i32 s5, s12, s5
	s_ashr_i32 s59, s14, 31
	s_ashr_i32 s24, s8, 6
	;; [unrolled: 1-line block ×3, first 2 shown]
	s_xor_b32 s5, s7, s59
	s_sub_i32 s7, 0, s3
	v_readfirstlane_b32 s8, v1
	s_mul_i32 s7, s7, s8
	s_mul_hi_u32 s7, s8, s7
	s_add_i32 s8, s8, s7
	s_mul_hi_u32 s7, s4, s8
	s_mul_i32 s8, s7, s3
	s_sub_i32 s4, s4, s8
	s_lshl_b32 s2, s2, 4
	s_add_i32 s8, s7, 1
	s_sub_i32 s9, s4, s3
	s_cmp_ge_u32 s4, s3
	s_cselect_b32 s7, s8, s7
	s_cselect_b32 s4, s9, s4
	s_add_i32 s8, s7, 1
	s_cmp_ge_u32 s4, s3
	s_cselect_b32 s3, s8, s7
	s_xor_b32 s3, s3, s5
	s_sub_i32 s3, s3, s5
	s_abs_i32 s4, s3
	v_cvt_f32_u32_e32 v1, s4
	s_sub_i32 s7, 0, s4
	s_abs_i32 s5, s33
	s_xor_b32 s3, s33, s3
	v_rcp_iflag_f32_e32 v2, v1
	s_ashr_i32 s3, s3, 31
	v_lshrrev_b32_e32 v1, 6, v0
	v_or_b32_e32 v58, s2, v65
	v_mul_f32_e32 v2, 0x4f7ffffe, v2
	v_cvt_u32_f32_e32 v2, v2
	v_lshlrev_b32_e32 v45, 4, v1
	v_lshlrev_b32_e32 v46, 7, v58
	v_lshl_or_b32 v68, v64, 2, v45
	v_readfirstlane_b32 s8, v2
	s_mul_i32 s7, s7, s8
	s_mul_hi_u32 s7, s8, s7
	s_add_i32 s8, s8, s7
	s_mul_hi_u32 s7, s5, s8
	s_mul_i32 s8, s7, s4
	s_sub_i32 s5, s5, s8
	s_add_i32 s8, s7, 1
	s_sub_i32 s9, s5, s4
	s_cmp_ge_u32 s5, s4
	s_cselect_b32 s7, s8, s7
	s_cselect_b32 s5, s9, s5
	s_add_i32 s8, s7, 1
	s_cmp_ge_u32 s5, s4
	s_cselect_b32 s4, s8, s7
	s_xor_b32 s4, s4, s3
	s_sub_i32 s60, s4, s3
	s_ashr_i32 s3, s57, 31
	s_ashr_i32 s48, s33, 31
	s_mul_hi_i32 s4, s57, s13
	s_add_u32 s40, s6, s33
	s_addc_u32 s41, s4, s48
	s_lshl_b64 s[28:29], s[40:41], 15
	s_add_u32 s4, s18, s28
	s_addc_u32 s5, s19, s29
	v_ashrrev_i32_e32 v47, 31, v46
	v_lshl_add_u64 v[2:3], v[46:47], 1, s[4:5]
	v_lshlrev_b32_e32 v48, 1, v68
	v_lshl_add_u64 v[2:3], v[2:3], 0, v[48:49]
	global_load_dwordx2 v[4:5], v[2:3], off
	global_load_dwordx2 v[6:7], v[2:3], off offset:128
	s_load_dwordx2 s[18:19], s[0:1], 0x40
	s_load_dwordx8 s[4:11], s[0:1], 0x0
	s_load_dwordx2 s[30:31], s[0:1], 0x80
	s_load_dwordx4 s[20:23], s[0:1], 0x70
	v_and_b32_e32 v49, 63, v0
	v_lshrrev_b32_e32 v67, 3, v49
	v_or_b32_e32 v69, 64, v68
	s_mul_i32 s49, s57, s12
	s_waitcnt lgkmcnt(0)
	s_mul_i32 s50, s57, s21
	s_mul_hi_u32 s51, s57, s20
	s_mul_i32 s36, s57, s20
	s_mul_i32 s61, s57, s24
	;; [unrolled: 1-line block ×3, first 2 shown]
	s_mul_hi_u32 s53, s33, s22
	s_mul_i32 s55, s3, s20
	s_mul_i32 s54, s48, s22
	s_mul_hi_u32 s62, s40, s12
	s_mul_i32 s42, s40, s12
	s_mul_i32 s63, s41, s12
	s_cmp_lt_i32 s12, 64
	s_mul_i32 s34, s33, s22
	s_waitcnt vmcnt(1)
	v_and_b32_e32 v53, 0xffff0000, v4
	v_lshlrev_b32_e32 v52, 16, v4
	v_and_b32_e32 v57, 0xffff0000, v5
	v_lshlrev_b32_e32 v56, 16, v5
	s_waitcnt vmcnt(0)
	v_and_b32_e32 v51, 0xffff0000, v6
	v_lshlrev_b32_e32 v50, 16, v6
	v_and_b32_e32 v55, 0xffff0000, v7
	v_lshlrev_b32_e32 v54, 16, v7
	s_cbranch_scc1 .LBB522_18
; %bb.1:
	s_add_i32 s43, s62, s63
	s_lshl_b64 s[0:1], s[42:43], 8
	v_and_b32_e32 v71, 56, v66
	s_add_u32 s20, s6, s0
	v_lshl_or_b32 v70, v1, 3, v67
	v_lshlrev_b32_e32 v2, 1, v71
	s_addc_u32 s0, s7, s1
	v_lshl_or_b32 v72, v70, 8, v2
	s_and_b32 s21, s0, 0xffff
	s_mov_b32 s23, 0x20000
	s_movk_i32 s22, 0x4000
	s_movk_i32 s0, 0x80
	v_or_b32_e32 v73, 0x2000, v72
	buffer_load_dwordx4 v[4:7], v72, s[20:23], 0 offen
	buffer_load_dwordx4 v[8:11], v72, s[20:23], s0 offen
	;; [unrolled: 1-line block ×4, first 2 shown]
	v_lshlrev_b32_e32 v3, 3, v70
	v_and_or_b32 v21, v0, 7, v3
	v_and_b32_e32 v3, 0x78, v3
	v_lshlrev_b32_e32 v21, 4, v21
	v_xor_b32_e32 v74, v21, v3
	v_mul_lo_u32 v20, v70, s15
	v_or_b32_e32 v75, 0x1000, v74
	v_xor_b32_e32 v3, 8, v74
	s_cmpk_eq_i32 s15, 0x80
	s_mov_b32 s64, s14
	v_xor_b32_e32 v21, 8, v75
	s_cselect_b64 s[0:1], -1, 0
	s_cmpk_lg_i32 s15, 0x80
	s_waitcnt vmcnt(3)
	ds_write_b64 v74, v[4:5] offset:16384
	ds_write_b64 v3, v[6:7] offset:16384
	s_waitcnt vmcnt(2)
	ds_write_b64 v74, v[8:9] offset:24576
	ds_write_b64 v3, v[10:11] offset:24576
	;; [unrolled: 3-line block ×4, first 2 shown]
	v_lshl_add_u32 v3, v20, 1, v71
	s_cbranch_scc0 .LBB522_3
; %bb.2:
	v_lshlrev_b32_e32 v5, 1, v3
	v_add_lshl_u32 v4, v3, s15, 1
	s_lshl_b32 s22, s15, 7
	v_lshl_or_b32 v2, v70, 9, v2
	s_cbranch_execz .LBB522_4
	s_branch .LBB522_5
.LBB522_3:
                                        ; implicit-def: $vgpr4
                                        ; implicit-def: $vgpr5
                                        ; implicit-def: $sgpr22
	v_lshl_or_b32 v2, v70, 9, v2
.LBB522_4:
	v_or_b32_e32 v4, 0x100, v2
	s_movk_i32 s22, 0x4000
	v_mov_b32_e32 v5, v2
.LBB522_5:
	s_mul_hi_u32 s20, s14, s12
	s_mul_i32 s21, s59, s12
	s_add_i32 s20, s20, s21
	s_mul_i32 s21, s14, s12
	s_mul_i32 s23, s21, s3
	s_mul_hi_u32 s24, s21, s57
	s_add_i32 s23, s24, s23
	s_mul_i32 s20, s20, s57
	s_add_i32 s23, s23, s20
	s_mul_i32 s21, s21, s57
	s_ashr_i32 s41, s60, 31
	s_add_u32 s20, s21, s60
	s_addc_u32 s21, s23, s41
	s_lshl_b64 s[20:21], s[20:21], 8
	s_add_u32 s20, s4, s20
	s_addc_u32 s21, s5, s21
	s_and_b32 s21, s21, 0xffff
	s_mov_b32 s23, 0x20000
	s_movk_i32 s65, 0x80
	buffer_load_dwordx4 v[6:9], v5, s[20:23], 0 offen
	buffer_load_dwordx4 v[10:13], v5, s[20:23], s65 offen
	buffer_load_dwordx4 v[14:17], v4, s[20:23], 0 offen
	buffer_load_dwordx4 v[18:21], v4, s[20:23], s65 offen
	v_and_b32_e32 v4, 6, v0
	v_lshlrev_b32_e32 v22, 2, v65
	v_lshlrev_b32_e32 v23, 3, v65
	v_xor_b32_e32 v25, v70, v4
	v_and_b32_e32 v5, 1, v0
	s_mul_i32 s3, s3, s12
	s_mul_hi_u32 s20, s57, s12
	v_lshl_or_b32 v23, v68, 5, v23
	v_xor_b32_e32 v26, v68, v22
	v_lshlrev_b32_e32 v25, 2, v25
	v_or_b32_e32 v76, 0x9000, v23
	v_or_b32_e32 v77, 0x9800, v23
	v_lshlrev_b32_e32 v23, 1, v26
	v_xor_b32_e32 v26, 0x440, v25
	v_cmp_eq_u32_e32 vcc, 0, v5
	s_add_i32 s69, s20, s3
	s_add_i32 s3, s51, s50
	v_cndmask_b32_e32 v5, v26, v25, vcc
	s_add_i32 s20, s53, s52
	s_add_i32 s37, s3, s55
	s_mov_b32 s67, 0x1000504
	v_lshlrev_b32_e32 v24, 8, v65
	s_mov_b32 s22, 0x8000
	v_xor_b32_e32 v22, v69, v22
	v_lshl_or_b32 v4, v4, 10, v5
	s_add_i32 s35, s20, s54
	s_lshl_b64 s[20:21], s[36:37], 2
	s_mov_b32 s68, 0x3020706
	v_lshlrev_b32_e32 v22, 1, v22
	v_or3_b32 v78, v23, v24, s22
	v_xor_b32_e32 v5, 8, v4
	v_xor_b32_e32 v23, 24, v4
	;; [unrolled: 1-line block ×4, first 2 shown]
	s_add_u32 s3, s10, s20
	v_or3_b32 v79, v22, v24, s22
	v_xor_b32_e32 v22, 16, v4
	v_xor_b32_e32 v24, 32, v4
	;; [unrolled: 1-line block ×3, first 2 shown]
	v_add_u32_e32 v5, 0x80, v5
	v_add_u32_e32 v23, 0x80, v23
	;; [unrolled: 1-line block ×4, first 2 shown]
	s_addc_u32 s24, s11, s21
	s_lshl_b64 s[20:21], s[34:35], 2
	s_add_u32 s44, s3, s20
	s_movk_i32 s3, 0xf8
	s_addc_u32 s45, s24, s21
	v_ashrrev_i32_e32 v59, 31, v58
	s_lshl_b32 s26, s15, 7
	s_mov_b32 s66, 0
	s_mov_b32 s35, 0x7060302
	;; [unrolled: 1-line block ×3, first 2 shown]
	s_waitcnt vmcnt(1)
	v_perm_b32 v28, v6, v14, s67
	s_waitcnt vmcnt(0)
	v_perm_b32 v29, v10, v18, s67
	v_perm_b32 v6, v6, v14, s68
	;; [unrolled: 1-line block ×15, first 2 shown]
	ds_write2st64_b32 v4, v28, v29 offset1:32
	ds_write2st64_b32 v5, v6, v10 offset1:32
	ds_write2st64_b32 v22, v14, v18 offset0:1 offset1:33
	ds_write2st64_b32 v23, v7, v11 offset0:1 offset1:33
	;; [unrolled: 1-line block ×6, first 2 shown]
	v_or_b32_e32 v4, v45, v65
	v_lshlrev_b32_e32 v4, 3, v4
	v_lshrrev_b32_e32 v6, 5, v49
	v_and_or_b32 v6, v4, s3, v6
	v_lshlrev_b32_e32 v6, 4, v6
	v_lshrrev_b32_e32 v5, 2, v49
	v_lshlrev_b32_e32 v11, 11, v1
	v_and_b32_e32 v4, 0x78, v4
	v_or_b32_e32 v9, 32, v6
	v_and_b32_e32 v10, 12, v5
	v_and_b32_e32 v5, 0x1000, v11
	v_xor_b32_e32 v7, v6, v4
	v_lshrrev_b32_e32 v8, 1, v49
	v_xor_b32_e32 v9, v9, v4
	v_or_b32_e32 v7, v7, v5
	v_and_b32_e32 v8, 8, v8
	v_or_b32_e32 v9, v9, v5
	v_xor_b32_e32 v80, v7, v8
	v_and_b32_e32 v7, 0x78, v66
	v_xor_b32_e32 v82, v9, v8
	v_or_b32_e32 v9, 64, v6
	v_or_b32_e32 v6, 0x60, v6
	v_lshl_or_b32 v7, v64, 7, v7
	v_xor_b32_e32 v9, v9, v4
	v_xor_b32_e32 v4, v6, v4
	v_or_b32_e32 v81, 0x9000, v7
	v_or_b32_e32 v9, v9, v5
	;; [unrolled: 1-line block ×4, first 2 shown]
	v_lshrrev_b32_e32 v6, 4, v0
	v_lshlrev_b32_e32 v7, 1, v65
	v_xor_b32_e32 v83, v9, v8
	v_xor_b32_e32 v84, v4, v8
	s_ashr_i32 s3, s2, 31
	v_or_b32_e32 v8, 1, v7
	v_xor_b32_e32 v7, v6, v7
	s_lshl_b64 s[20:21], s[2:3], 8
	v_xor_b32_e32 v8, v8, v6
	v_lshlrev_b32_e32 v7, 3, v7
	v_lshlrev_b32_e32 v6, 8, v6
	v_lshl_add_u64 v[4:5], v[58:59], 1, s[8:9]
	s_add_u32 s20, s38, s20
	v_or3_b32 v59, v7, v6, s22
	v_lshlrev_b32_e32 v7, 3, v8
	s_addc_u32 s21, s39, s21
	v_or3_b32 v86, v7, v6, s22
	v_mov_b32_e32 v7, 0
	v_lshrrev_b32_e32 v17, 1, v0
	v_lshl_add_u64 v[8:9], s[20:21], 0, v[6:7]
	v_lshlrev_b32_e32 v6, 4, v65
	s_movk_i32 s3, 0xff
	v_lshlrev_b32_e32 v16, 3, v1
	v_and_b32_e32 v17, 24, v17
	v_lshl_add_u64 v[60:61], v[8:9], 0, v[6:7]
	v_and_b32_e32 v6, 7, v0
	v_and_b32_e32 v9, 8, v0
	v_cmp_lt_u32_e32 vcc, s3, v0
	v_xor_b32_e32 v18, v16, v17
	v_lshlrev_b32_e32 v14, 3, v6
	v_lshlrev_b32_e32 v15, 7, v6
	v_cndmask_b32_e64 v6, 0, 1, vcc
	v_or_b32_e32 v19, 0x440, v18
	v_cmp_eq_u32_e32 vcc, 0, v9
	v_or_b32_e32 v21, 64, v17
	v_xor_b32_e32 v21, v16, v21
	v_cndmask_b32_e32 v9, v19, v18, vcc
	v_or_b32_e32 v19, 32, v17
	v_or_b32_e32 v17, 0x60, v17
	v_xor_b32_e32 v19, v16, v19
	v_xor_b32_e32 v16, v16, v17
	v_or_b32_e32 v20, 0x440, v19
	v_xor_b32_e32 v22, 0x440, v21
	v_xor_b32_e32 v17, 0x440, v16
	v_cndmask_b32_e32 v19, v20, v19, vcc
	v_cndmask_b32_e32 v21, v22, v21, vcc
	;; [unrolled: 1-line block ×3, first 2 shown]
	v_or_b32_e32 v9, v9, v11
	v_or_b32_e32 v19, v19, v11
	;; [unrolled: 1-line block ×4, first 2 shown]
	v_lshlrev_b32_e32 v6, 13, v6
	v_xor_b32_e32 v9, v9, v14
	v_xor_b32_e32 v19, v19, v14
	;; [unrolled: 1-line block ×4, first 2 shown]
	v_lshlrev_b32_e32 v12, 1, v3
	v_add_lshl_u32 v3, v3, s15, 1
	v_or_b32_e32 v13, 0x100, v2
	v_or_b32_e32 v8, v10, v45
	v_add_u32_e32 v18, v6, v9
	v_add_u32_e32 v20, v6, v19
	;; [unrolled: 1-line block ×4, first 2 shown]
	v_or3_b32 v10, v45, v10, 64
	v_add_u32_e32 v9, 0x2000, v9
	v_add_u32_e32 v16, 0x2000, v19
	;; [unrolled: 1-line block ×4, first 2 shown]
	v_lshlrev_b32_e32 v6, 8, v68
	v_cndmask_b32_e64 v87, v12, v2, s[0:1]
	v_cndmask_b32_e64 v88, v3, v13, s[0:1]
	v_lshl_add_u64 v[62:63], v[4:5], 0, v[6:7]
	s_add_i32 s3, s49, 63
	s_movk_i32 s22, 0x4000
	v_lshlrev_b32_e32 v89, 2, v8
	v_add_u32_e32 v90, v18, v15
	v_add_u32_e32 v91, v20, v15
	;; [unrolled: 1-line block ×4, first 2 shown]
	v_lshlrev_b32_e32 v94, 2, v10
	v_add_u32_e32 v95, v9, v15
	v_add_u32_e32 v96, v16, v15
	;; [unrolled: 1-line block ×4, first 2 shown]
	s_waitcnt lgkmcnt(0)
	s_barrier
.LBB522_6:                              ; =>This Inner Loop Header: Depth=1
	s_add_i32 s37, s70, 1
	s_cmp_lt_i32 s37, s58
	s_mov_b64 s[24:25], 0
	s_cselect_b64 s[46:47], -1, 0
	s_cmp_ge_i32 s37, s58
	s_mov_b64 s[20:21], 0
	s_cbranch_scc1 .LBB522_8
; %bb.7:                                ;   in Loop: Header=BB522_6 Depth=1
	s_add_i32 s0, s66, 64
	s_add_u32 s0, s42, s0
	s_addc_u32 s1, s43, 0
	s_lshl_b64 s[0:1], s[0:1], 8
	s_add_u32 s20, s6, s0
	s_addc_u32 s21, s7, s1
.LBB522_8:                              ;   in Loop: Header=BB522_6 Depth=1
	v_cndmask_b32_e64 v2, 0, 1, s[46:47]
	v_cmp_ne_u32_e64 s[0:1], 1, v2
	s_andn2_b64 vcc, exec, s[46:47]
	s_cbranch_vccnz .LBB522_10
; %bb.9:                                ;   in Loop: Header=BB522_6 Depth=1
	s_add_i32 s24, s66, 64
	s_add_u32 s24, s49, s24
	s_addc_u32 s25, s69, 0
	s_mul_i32 s27, s24, s59
	s_mul_hi_u32 s46, s24, s64
	s_add_i32 s27, s46, s27
	s_mul_i32 s25, s25, s64
	s_add_i32 s27, s27, s25
	s_mul_i32 s24, s24, s64
	s_add_u32 s24, s24, s60
	s_addc_u32 s25, s27, s41
	s_lshl_b64 s[24:25], s[24:25], 8
	s_add_u32 s24, s4, s24
	s_addc_u32 s25, s5, s25
.LBB522_10:                             ;   in Loop: Header=BB522_6 Depth=1
	v_perm_b32 v3, v57, v56, s35
	v_perm_b32 v2, v53, v52, s35
	;; [unrolled: 1-line block ×4, first 2 shown]
	ds_write_b64 v76, v[2:3]
	ds_write_b64 v77, v[4:5]
	;; [unrolled: 1-line block ×4, first 2 shown]
	s_waitcnt lgkmcnt(0)
	s_barrier
	ds_read_b64 v[10:11], v80 offset:16384
	ds_read_b64 v[12:13], v82 offset:16384
	ds_read2st64_b64 v[2:5], v81 offset1:1
	ds_read2st64_b64 v[6:9], v81 offset0:2 offset1:3
	ds_read_b64 v[14:15], v83 offset:16384
	s_waitcnt lgkmcnt(2)
	v_mfma_f32_16x16x16_bf16 a[0:3], v[10:11], v[2:3], 0
	ds_read_b64 v[2:3], v84 offset:16384
	s_add_i32 s27, s66, 63
	s_mul_i32 s46, s27, s31
	v_mfma_f32_16x16x16_bf16 a[0:3], v[12:13], v[4:5], a[0:3]
	s_mul_hi_u32 s47, s27, s30
	s_add_i32 s47, s47, s46
	s_mul_i32 s46, s27, s30
	s_waitcnt lgkmcnt(1)
	v_mfma_f32_16x16x16_bf16 a[0:3], v[14:15], v[6:7], a[0:3]
	s_lshl_b64 s[46:47], s[46:47], 2
	s_add_u32 s46, s44, s46
	s_addc_u32 s47, s45, s47
	s_waitcnt lgkmcnt(0)
	v_mfma_f32_16x16x16_bf16 a[0:3], v[2:3], v[8:9], a[0:3]
	s_and_b64 vcc, exec, s[0:1]
	v_mov_b32_e32 v101, 0
	v_mov_b32_e32 v100, 0
	;; [unrolled: 1-line block ×19, first 2 shown]
	s_cbranch_vccnz .LBB522_12
; %bb.11:                               ;   in Loop: Header=BB522_6 Depth=1
	s_and_b32 s21, s21, 0xffff
	buffer_load_dwordx4 v[14:17], v72, s[20:23], 0 offen
	buffer_load_dwordx4 v[10:13], v72, s[20:23], s65 offen
	;; [unrolled: 1-line block ×4, first 2 shown]
	v_mov_b32_e32 v100, v74
	v_mov_b32_e32 v99, v75
.LBB522_12:                             ;   in Loop: Header=BB522_6 Depth=1
	v_add_u32_e32 v24, s66, v68
	v_ashrrev_i32_e32 v18, 31, v24
	v_mul_lo_u32 v20, v18, s30
	v_mul_lo_u32 v21, v24, s31
	v_mad_u64_u32 v[18:19], s[20:21], v24, s30, 0
	v_add3_u32 v19, v19, v21, v20
	v_add_u32_e32 v20, 1, v24
	v_ashrrev_i32_e32 v21, 31, v20
	v_mul_lo_u32 v22, v21, s30
	v_mul_lo_u32 v23, v20, s31
	v_mad_u64_u32 v[20:21], s[20:21], v20, s30, 0
	v_add3_u32 v21, v21, v23, v22
	v_add_u32_e32 v22, 2, v24
	v_ashrrev_i32_e32 v23, 31, v22
	v_mul_lo_u32 v25, v23, s30
	v_mul_lo_u32 v26, v22, s31
	v_mad_u64_u32 v[22:23], s[20:21], v22, s30, 0
	v_add_u32_e32 v24, 3, v24
	v_add3_u32 v23, v23, v26, v25
	v_ashrrev_i32_e32 v25, 31, v24
	v_mul_lo_u32 v28, v25, s30
	v_mul_lo_u32 v29, v24, s31
	v_mad_u64_u32 v[24:25], s[20:21], v24, s30, 0
	s_add_u32 s20, s42, s66
	s_addc_u32 s21, s43, 0
	s_lshl_b64 s[20:21], s[20:21], 8
	v_lshl_add_u64 v[18:19], v[18:19], 2, s[44:45]
	v_lshl_add_u64 v[26:27], v[62:63], 0, s[20:21]
	;; [unrolled: 1-line block ×3, first 2 shown]
	global_load_ushort v42, v[26:27], off
	global_load_ushort v43, v[26:27], off offset:256
	global_load_ushort v44, v[26:27], off offset:512
	;; [unrolled: 1-line block ×3, first 2 shown]
	v_add3_u32 v25, v25, v29, v28
	global_load_dword v104, v[18:19], off
	v_lshl_add_u64 v[22:23], v[22:23], 2, s[44:45]
	v_lshl_add_u64 v[18:19], v[24:25], 2, s[44:45]
	global_load_dword v105, v[20:21], off
	global_load_dword v106, v[22:23], off
	;; [unrolled: 1-line block ×3, first 2 shown]
	s_load_dword s20, s[46:47], 0x0
	ds_read2st64_b64 v[26:29], v85 offset1:1
	ds_read2st64_b64 v[32:35], v85 offset0:2 offset1:3
	ds_read_b64 v[30:31], v80 offset:24576
	ds_read_b64 v[36:37], v82 offset:24576
	;; [unrolled: 1-line block ×4, first 2 shown]
	s_waitcnt lgkmcnt(0)
	v_mfma_f32_16x16x16_bf16 a[0:3], v[30:31], v[26:27], a[0:3]
	v_mov_b32_e32 v102, 0
	v_mov_b32_e32 v18, 0
	v_mov_b32_e32 v19, 0
	v_mfma_f32_16x16x16_bf16 a[0:3], v[36:37], v[28:29], a[0:3]
	v_mov_b32_e32 v20, 0
	v_mov_b32_e32 v21, 0
	v_mov_b32_e32 v22, 0
	;; [unrolled: 4-line block ×4, first 2 shown]
	v_mov_b32_e32 v29, 0
	v_mov_b32_e32 v30, 0
	;; [unrolled: 1-line block ×4, first 2 shown]
	v_accvgpr_read_b32 v37, a1
	v_accvgpr_read_b32 v35, a3
	;; [unrolled: 1-line block ×4, first 2 shown]
	s_and_b64 vcc, exec, s[0:1]
	s_waitcnt vmcnt(7)
	v_lshlrev_b32_e32 v38, 16, v42
	s_waitcnt vmcnt(6)
	v_lshlrev_b32_e32 v39, 16, v43
	;; [unrolled: 2-line block ×4, first 2 shown]
	v_pk_add_f32 v[36:37], v[38:39], v[36:37] neg_lo:[0,1] neg_hi:[0,1]
	s_waitcnt vmcnt(3)
	v_sub_f32_e32 v33, s20, v104
	v_exp_f32_e32 v42, v33
	s_waitcnt vmcnt(2)
	v_sub_f32_e32 v33, s20, v105
	s_waitcnt vmcnt(1)
	v_sub_f32_e32 v44, s20, v106
	;; [unrolled: 2-line block ×3, first 2 shown]
	v_exp_f32_e32 v43, v33
	v_exp_f32_e32 v104, v44
	;; [unrolled: 1-line block ×3, first 2 shown]
	v_pk_add_f32 v[34:35], v[40:41], v[34:35] neg_lo:[0,1] neg_hi:[0,1]
	v_pk_mul_f32 v[36:37], v[42:43], v[36:37]
	v_mov_b32_e32 v33, 0
	v_pk_mul_f32 v[34:35], v[104:105], v[34:35]
	s_nop 0
	v_perm_b32 v35, v35, v34, s35
	v_perm_b32 v34, v37, v36, s35
	ds_write_b64 v77, v[34:35]
	s_cbranch_vccnz .LBB522_14
; %bb.13:                               ;   in Loop: Header=BB522_6 Depth=1
	s_and_b32 s25, s25, 0xffff
	s_mov_b32 s27, s23
	buffer_load_dwordx4 v[30:33], v87, s[24:27], 0 offen
	buffer_load_dwordx4 v[22:25], v87, s[24:27], s65 offen
	;; [unrolled: 1-line block ×4, first 2 shown]
	v_mov_b32_e32 v101, v71
	v_mov_b32_e32 v102, v70
.LBB522_14:                             ;   in Loop: Header=BB522_6 Depth=1
	s_waitcnt lgkmcnt(0)
	s_barrier
	ds_read_b64 v[34:35], v90
	ds_read_b64 v[40:41], v91
	ds_read2st64_b64 v[36:39], v85 offset1:1
	ds_read2st64_b64 v[104:107], v85 offset0:2 offset1:3
	ds_read_b64 v[42:43], v92
	ds_read_b64 v[112:113], v93
	s_add_i32 s21, s61, s70
	s_mul_hi_i32 s25, s21, s13
	s_mul_i32 s21, s21, s13
	s_waitcnt lgkmcnt(3)
	v_mfma_f32_16x16x16_bf16 a[0:3], v[34:35], v[36:37], 0
	ds_read_b64 v[34:35], v95
	s_add_u32 s24, s21, s33
	s_addc_u32 s25, s25, s48
	s_add_i32 s21, s3, s66
	v_mfma_f32_16x16x16_bf16 a[0:3], v[40:41], v[38:39], a[0:3]
	ds_read_b64 v[40:41], v96
	s_lshl_b64 s[24:25], s[24:25], 15
	s_mul_hi_i32 s27, s21, s13
	s_mul_i32 s21, s21, s13
	s_add_u32 s46, s21, s33
	s_addc_u32 s47, s27, s48
	s_lshl_b64 s[46:47], s[46:47], 9
	s_add_u32 s46, s16, s46
	s_waitcnt lgkmcnt(1)
	v_mfma_f32_16x16x16_bf16 a[4:7], v[34:35], v[36:37], 0
	s_addc_u32 s47, s17, s47
	s_and_b64 vcc, exec, s[0:1]
	v_mfma_f32_16x16x16_bf16 a[0:3], v[42:43], v[104:105], a[0:3]
	ds_read_b64 v[42:43], v97
	ds_read_b64 v[114:115], v98
	global_load_dwordx4 v[34:37], v94, s[46:47]
	s_waitcnt lgkmcnt(2)
	v_mfma_f32_16x16x16_bf16 a[4:7], v[40:41], v[38:39], a[4:7]
	global_load_dwordx4 v[38:41], v89, s[46:47]
	ds_read_b64 v[108:109], v59
	ds_read_b64 v[110:111], v86
	s_waitcnt lgkmcnt(3)
	v_mfma_f32_16x16x16_bf16 a[8:11], v[42:43], v[104:105], a[4:7]
	v_lshl_add_u64 v[42:43], v[60:61], 0, s[24:25]
	s_waitcnt lgkmcnt(0)
	global_store_dwordx4 v[42:43], v[108:111], off
	v_mfma_f32_16x16x16_bf16 a[4:7], v[112:113], v[106:107], a[0:3]
	s_waitcnt vmcnt(2)
	v_mov_b32_e32 v44, v37
	v_mfma_f32_16x16x16_bf16 a[0:3], v[114:115], v[106:107], a[8:11]
	v_mov_b32_e32 v43, v36
	v_mov_b32_e32 v42, v35
	s_cbranch_vccnz .LBB522_16
; %bb.15:                               ;   in Loop: Header=BB522_6 Depth=1
	v_lshrrev_b32_e32 v35, 3, v101
	v_and_b32_e32 v35, 6, v35
	v_xor_b32_e32 v36, v35, v102
	v_lshlrev_b32_e32 v36, 2, v36
	v_and_b32_e32 v37, 8, v101
	v_xor_b32_e32 v101, 0x440, v36
	v_cmp_eq_u32_e32 vcc, 0, v37
	v_perm_b32 v37, v22, v18, s67
	s_nop 0
	v_cndmask_b32_e32 v36, v101, v36, vcc
	v_lshl_or_b32 v35, v35, 10, v36
	v_perm_b32 v36, v30, v26, s67
	s_barrier
	ds_write2st64_b32 v35, v36, v37 offset1:32
	v_xor_b32_e32 v36, 8, v35
	v_perm_b32 v26, v30, v26, s68
	v_perm_b32 v18, v22, v18, s68
	v_add_u32_e32 v22, 0x80, v36
	ds_write2st64_b32 v22, v26, v18 offset1:32
	v_xor_b32_e32 v18, 16, v35
	v_perm_b32 v22, v31, v27, s67
	v_perm_b32 v26, v23, v19, s67
	ds_write2st64_b32 v18, v22, v26 offset0:1 offset1:33
	v_xor_b32_e32 v18, 24, v35
	v_perm_b32 v22, v31, v27, s68
	v_perm_b32 v19, v23, v19, s68
	v_add_u32_e32 v18, 0x80, v18
	ds_write2st64_b32 v18, v22, v19 offset0:1 offset1:33
	v_xor_b32_e32 v18, 32, v35
	v_perm_b32 v19, v32, v28, s67
	v_perm_b32 v22, v24, v20, s67
	ds_write2st64_b32 v18, v19, v22 offset0:2 offset1:34
	v_xor_b32_e32 v18, 40, v35
	v_perm_b32 v19, v32, v28, s68
	v_perm_b32 v20, v24, v20, s68
	v_add_u32_e32 v18, 0x80, v18
	ds_write2st64_b32 v18, v19, v20 offset0:2 offset1:34
	v_xor_b32_e32 v18, 48, v35
	v_perm_b32 v19, v33, v29, s67
	v_perm_b32 v20, v25, v21, s67
	ds_write2st64_b32 v18, v19, v20 offset0:3 offset1:35
	v_xor_b32_e32 v18, 56, v35
	v_perm_b32 v19, v33, v29, s68
	v_perm_b32 v20, v25, v21, s68
	v_add_u32_e32 v18, 0x80, v18
	ds_write2st64_b32 v18, v19, v20 offset0:3 offset1:35
	ds_write_b64 v100, v[14:15] offset:16384
	v_xor_b32_e32 v14, 8, v100
	ds_write_b64 v14, v[16:17] offset:16384
	ds_write_b64 v100, v[10:11] offset:24576
	;; [unrolled: 1-line block ×4, first 2 shown]
	v_xor_b32_e32 v6, 8, v99
	ds_write_b64 v6, v[8:9] offset:16384
	ds_write_b64 v99, v[2:3] offset:24576
	;; [unrolled: 1-line block ×3, first 2 shown]
.LBB522_16:                             ;   in Loop: Header=BB522_6 Depth=1
	v_exp_f32_e32 v10, s20
	s_waitcnt vmcnt(1)
	v_exp_f32_e32 v12, v38
	v_exp_f32_e32 v13, v39
	;; [unrolled: 1-line block ×4, first 2 shown]
	v_accvgpr_read_b32 v2, a4
	v_accvgpr_read_b32 v3, a5
	v_pk_mul_f32 v[12:13], v[10:11], v[12:13] op_sel_hi:[0,1]
	v_pk_fma_f32 v[52:53], v[52:53], v[12:13], v[2:3]
	v_exp_f32_e32 v12, v34
	v_exp_f32_e32 v13, v42
	v_pk_mul_f32 v[2:3], v[10:11], v[14:15] op_sel_hi:[0,1]
	v_exp_f32_e32 v14, v43
	v_exp_f32_e32 v15, v44
	v_accvgpr_read_b32 v4, a6
	v_accvgpr_read_b32 v5, a7
	;; [unrolled: 1-line block ×5, first 2 shown]
	v_pk_fma_f32 v[56:57], v[56:57], v[2:3], v[4:5]
	v_pk_mul_f32 v[2:3], v[10:11], v[12:13] op_sel_hi:[0,1]
	v_accvgpr_read_b32 v8, a2
	v_pk_fma_f32 v[50:51], v[50:51], v[2:3], v[6:7]
	v_pk_mul_f32 v[2:3], v[10:11], v[14:15] op_sel_hi:[0,1]
	s_add_i32 s66, s66, 64
	s_cmp_eq_u32 s58, s37
	v_pk_fma_f32 v[54:55], v[54:55], v[2:3], v[8:9]
	s_cbranch_scc1 .LBB522_18
; %bb.17:                               ;   in Loop: Header=BB522_6 Depth=1
	s_mov_b32 s70, s37
	s_branch .LBB522_6
.LBB522_18:
	s_lshl_b32 s41, s58, 6
	s_sub_i32 s43, s12, s41
	s_cmp_gt_i32 s43, 0
	s_cbranch_scc0 .LBB522_75
; %bb.19:
	s_ashr_i32 s3, s41, 31
	s_cmpk_lg_i32 s15, 0x80
	s_cselect_b64 s[26:27], -1, 0
	s_and_b64 vcc, exec, s[26:27]
	s_cbranch_vccz .LBB522_21
; %bb.20:
	s_mul_hi_i32 s0, s57, s12
	s_add_u32 s1, s49, s41
	s_addc_u32 s0, s0, s3
	s_mul_i32 s20, s1, s59
	s_mul_hi_u32 s21, s1, s14
	s_add_i32 s20, s21, s20
	s_mul_i32 s0, s0, s14
	s_add_i32 s20, s20, s0
	s_mul_i32 s1, s1, s14
	s_ashr_i32 s0, s60, 31
	s_add_u32 s44, s1, s60
	s_addc_u32 s45, s20, s0
	s_cbranch_execz .LBB522_22
	s_branch .LBB522_23
.LBB522_21:
                                        ; implicit-def: $sgpr44_sgpr45
.LBB522_22:
	s_mul_hi_i32 s0, s57, s14
	s_mul_i32 s57, s57, s14
	s_ashr_i32 s1, s60, 31
	s_add_u32 s14, s57, s60
	s_addc_u32 s0, s0, s1
	s_mul_i32 s1, s14, s56
	s_mul_hi_u32 s20, s14, s12
	s_add_i32 s1, s20, s1
	s_mul_i32 s0, s0, s12
	s_add_i32 s1, s1, s0
	s_mul_i32 s14, s14, s12
	s_add_u32 s44, s14, s41
	s_addc_u32 s45, s1, s3
.LBB522_23:
	s_mul_i32 s0, s40, s56
	s_add_i32 s0, s62, s0
	s_add_i32 s14, s61, s58
	;; [unrolled: 1-line block ×3, first 2 shown]
	s_add_u32 s0, s42, s41
	s_addc_u32 s1, s1, s3
	s_mov_b32 s3, 0x7060302
	v_lshlrev_b32_e32 v6, 3, v65
	s_lshl_b64 s[24:25], s[0:1], 8
	v_perm_b32 v3, v57, v56, s3
	v_perm_b32 v2, v53, v52, s3
	;; [unrolled: 1-line block ×4, first 2 shown]
	v_lshlrev_b32_e32 v34, 2, v65
	v_lshl_or_b32 v6, v68, 5, v6
	s_add_u32 s0, s6, s24
	ds_write2st64_b64 v6, v[2:3], v[4:5] offset0:72 offset1:76
	v_xor_b32_e32 v6, v68, v34
	v_lshlrev_b32_e32 v7, 8, v65
	s_addc_u32 s1, s7, s25
	v_lshl_or_b32 v6, v6, 1, v7
	s_mul_hi_i32 s3, s14, s13
	s_mul_i32 s14, s14, s13
	ds_write_b64 v6, v[2:3] offset:32768
	v_xor_b32_e32 v2, v69, v34
	s_add_u32 s6, s14, s33
	v_lshl_or_b32 v2, v2, 1, v7
	s_addc_u32 s7, s3, s48
	v_lshlrev_b32_e32 v3, 1, v65
	ds_write_b64 v2, v[4:5] offset:32768
	v_lshrrev_b32_e32 v2, 4, v0
	s_ashr_i32 s3, s2, 31
	s_lshl_b64 s[6:7], s[6:7], 15
	v_or_b32_e32 v4, 1, v3
	s_add_u32 s6, s38, s6
	v_xor_b32_e32 v3, v2, v3
	v_xor_b32_e32 v4, v4, v2
	v_lshlrev_b32_e32 v6, 8, v2
	s_addc_u32 s7, s39, s7
	s_lshl_b64 s[2:3], s[2:3], 8
	v_lshl_or_b32 v2, v3, 3, v6
	v_lshl_or_b32 v4, v4, 3, v6
	s_waitcnt lgkmcnt(0)
	s_barrier
	s_add_u32 s2, s6, s2
	ds_read_b64 v[2:3], v2 offset:32768
	ds_read_b64 v[4:5], v4 offset:32768
	s_addc_u32 s3, s7, s3
	v_mov_b32_e32 v7, 0
	s_cmp_lg_u32 s43, 64
	v_lshl_add_u64 v[8:9], s[2:3], 0, v[6:7]
	v_lshlrev_b32_e32 v6, 4, v65
	s_cselect_b64 s[6:7], -1, 0
	v_lshl_or_b32 v36, v1, 3, v67
	s_mov_b32 s20, 0
	v_lshl_add_u64 v[6:7], v[8:9], 0, v[6:7]
	v_or_b32_e32 v19, 32, v36
	v_and_b32_e32 v18, 56, v66
	s_and_b64 vcc, exec, s[6:7]
	s_waitcnt lgkmcnt(0)
	global_store_dwordx4 v[6:7], v[2:5], off
	s_cbranch_vccz .LBB522_29
; %bb.24:
	s_mov_b32 s21, s20
	s_mov_b32 s22, s20
	;; [unrolled: 1-line block ×3, first 2 shown]
	v_mov_b64_e32 v[6:7], s[20:21]
	v_mov_b64_e32 v[8:9], s[22:23]
	;; [unrolled: 1-line block ×3, first 2 shown]
	v_cmp_gt_i32_e32 vcc, s43, v36
	v_mov_b64_e32 v[4:5], v[8:9]
	s_and_saveexec_b64 s[2:3], vcc
	s_cbranch_execz .LBB522_26
; %bb.25:
	v_lshlrev_b32_e32 v2, 8, v36
	v_mov_b32_e32 v3, 0
	v_lshl_add_u64 v[4:5], s[0:1], 0, v[2:3]
	v_lshlrev_b32_e32 v2, 1, v18
	v_lshl_add_u64 v[10:11], v[4:5], 0, v[2:3]
	global_load_dwordx4 v[6:9], v[10:11], off
	global_load_dwordx4 v[2:5], v[10:11], off offset:128
.LBB522_26:
	s_or_b64 exec, exec, s[2:3]
	s_mov_b32 s21, s20
	s_mov_b32 s22, s20
	;; [unrolled: 1-line block ×3, first 2 shown]
	v_mov_b64_e32 v[14:15], s[20:21]
	v_mov_b64_e32 v[16:17], s[22:23]
	;; [unrolled: 1-line block ×3, first 2 shown]
	v_cmp_gt_i32_e32 vcc, s43, v19
	v_lshlrev_b32_e32 v20, 7, v19
	v_mov_b64_e32 v[12:13], v[16:17]
	s_and_saveexec_b64 s[2:3], vcc
	s_cbranch_execz .LBB522_28
; %bb.27:
	v_lshlrev_b32_e32 v10, 1, v20
	v_mov_b32_e32 v11, 0
	v_lshl_add_u64 v[12:13], s[0:1], 0, v[10:11]
	v_lshlrev_b32_e32 v10, 1, v18
	v_lshl_add_u64 v[22:23], v[12:13], 0, v[10:11]
	global_load_dwordx4 v[14:17], v[22:23], off
	global_load_dwordx4 v[10:13], v[22:23], off offset:128
.LBB522_28:
	s_or_b64 exec, exec, s[2:3]
	v_lshrrev_b32_e32 v21, 3, v18
	v_lshlrev_b32_e32 v22, 3, v36
	v_or_b32_e32 v21, v22, v21
	v_lshlrev_b32_e32 v21, 4, v21
	v_and_b32_e32 v22, 0x78, v22
	v_xor_b32_e32 v21, v21, v22
	s_branch .LBB522_31
.LBB522_29:
                                        ; implicit-def: $vgpr21
                                        ; implicit-def: $vgpr20
                                        ; implicit-def: $vgpr6_vgpr7_vgpr8_vgpr9
                                        ; implicit-def: $vgpr2_vgpr3_vgpr4_vgpr5
                                        ; implicit-def: $vgpr14_vgpr15_vgpr16_vgpr17
                                        ; implicit-def: $vgpr10_vgpr11_vgpr12_vgpr13
	s_cbranch_execz .LBB522_31
; %bb.30:
	s_waitcnt vmcnt(0)
	v_lshlrev_b32_e32 v2, 1, v18
	v_lshl_or_b32 v20, v36, 8, v2
	s_and_b32 s1, s1, 0xffff
	s_mov_b32 s3, 0x20000
	s_movk_i32 s2, 0x4000
	v_lshl_or_b32 v21, v19, 8, v2
	s_movk_i32 s14, 0x80
	buffer_load_dwordx4 v[6:9], v20, s[0:3], 0 offen
	buffer_load_dwordx4 v[2:5], v20, s[0:3], s14 offen
	;; [unrolled: 1-line block ×4, first 2 shown]
	v_lshrrev_b32_e32 v20, 3, v18
	v_lshlrev_b32_e32 v21, 3, v36
	v_or_b32_e32 v20, v21, v20
	v_lshlrev_b32_e32 v20, 4, v20
	v_and_b32_e32 v21, 0x78, v21
	v_xor_b32_e32 v21, v20, v21
	v_lshlrev_b32_e32 v20, 7, v19
.LBB522_31:
	s_lshl_b64 s[0:1], s[44:45], 8
	s_add_u32 s4, s4, s0
	s_movk_i32 s0, 0x1000
	v_and_or_b32 v19, v20, s0, v21
	s_waitcnt vmcnt(1)
	ds_write_b64 v21, v[6:7] offset:16384
	v_xor_b32_e32 v6, 8, v21
	ds_write_b64 v6, v[8:9] offset:16384
	s_waitcnt vmcnt(0)
	ds_write_b64 v21, v[2:3] offset:24576
	ds_write_b64 v6, v[4:5] offset:24576
	;; [unrolled: 1-line block ×3, first 2 shown]
	v_xor_b32_e32 v2, 8, v19
	ds_write_b64 v2, v[16:17] offset:16384
	ds_write_b64 v19, v[10:11] offset:24576
	;; [unrolled: 1-line block ×3, first 2 shown]
	v_or_b32_e32 v2, v45, v65
	s_addc_u32 s5, s5, s1
	s_add_i32 s14, s12, -1
	v_lshlrev_b32_e32 v2, 3, v2
	v_lshrrev_b32_e32 v4, 5, v49
	s_movk_i32 s12, 0xf8
	v_and_or_b32 v4, v2, s12, v4
	v_lshlrev_b32_e32 v35, 11, v1
	v_lshlrev_b32_e32 v12, 4, v4
	v_and_b32_e32 v13, 0x78, v2
	v_and_b32_e32 v14, 0x1000, v35
	v_lshlrev_b32_e32 v3, 2, v0
	v_xor_b32_e32 v2, v12, v13
	v_lshrrev_b32_e32 v4, 1, v49
	v_and_b32_e32 v3, 60, v3
	v_or_b32_e32 v2, v2, v14
	v_and_b32_e32 v15, 8, v4
	v_xor_b32_e32 v26, v2, v15
	v_lshl_or_b32 v2, v64, 6, v3
	v_lshlrev_b32_e32 v37, 1, v2
	v_or_b32_e32 v2, 32, v12
	v_xor_b32_e32 v2, v2, v13
	s_waitcnt lgkmcnt(0)
	s_barrier
	ds_read_b64 v[10:11], v26 offset:16384
	v_or_b32_e32 v2, v2, v14
	v_xor_b32_e32 v27, v2, v15
	v_or_b32_e32 v2, 64, v12
	v_xor_b32_e32 v2, v2, v13
	v_or_b32_e32 v2, v2, v14
	v_or_b32_e32 v12, 0x60, v12
	v_xor_b32_e32 v28, v2, v15
	ds_read2st64_b64 v[2:5], v37 offset0:72 offset1:73
	ds_read2st64_b64 v[6:9], v37 offset0:74 offset1:75
	v_xor_b32_e32 v16, v12, v13
	ds_read_b64 v[12:13], v27 offset:16384
	s_add_i32 s0, s51, s50
	s_waitcnt lgkmcnt(2)
	v_mfma_f32_16x16x16_bf16 a[0:3], v[10:11], v[2:3], 0
	s_add_i32 s37, s0, s55
	s_add_i32 s0, s53, s52
	;; [unrolled: 1-line block ×3, first 2 shown]
	s_ashr_i32 s0, s14, 31
	s_mul_i32 s1, s14, s31
	s_mul_hi_u32 s2, s14, s30
	s_add_i32 s1, s2, s1
	s_mul_i32 s0, s0, s30
	v_or_b32_e32 v14, v16, v14
	s_add_i32 s1, s1, s0
	s_lshl_b64 s[2:3], s[36:37], 2
	v_xor_b32_e32 v38, v14, v15
	ds_read_b64 v[14:15], v28 offset:16384
	ds_read_b64 v[16:17], v38 offset:16384
	s_waitcnt lgkmcnt(2)
	v_mfma_f32_16x16x16_bf16 a[0:3], v[12:13], v[4:5], a[0:3]
	s_add_u32 s10, s10, s2
	s_addc_u32 s11, s11, s3
	s_lshl_b64 s[2:3], s[34:35], 2
	s_mul_i32 s0, s14, s30
	s_add_u32 s10, s10, s2
	s_addc_u32 s11, s11, s3
	s_lshl_b64 s[0:1], s[0:1], 2
	s_waitcnt lgkmcnt(1)
	v_mfma_f32_16x16x16_bf16 a[0:3], v[14:15], v[6:7], a[0:3]
	s_add_u32 s0, s10, s0
	s_addc_u32 s1, s11, s1
	s_load_dword s12, s[0:1], 0x0
	s_waitcnt lgkmcnt(0)
	v_mfma_f32_16x16x16_bf16 a[0:3], v[16:17], v[8:9], a[0:3]
	s_and_b64 vcc, exec, s[26:27]
	s_cbranch_vccz .LBB522_42
; %bb.32:
	v_lshlrev_b32_e32 v19, 1, v36
	s_and_b64 vcc, exec, s[6:7]
	s_cbranch_vccz .LBB522_43
; %bb.33:
	v_cmp_gt_i32_e32 vcc, s43, v19
	v_mov_b32_e32 v6, 0
	v_mov_b32_e32 v2, 0
	;; [unrolled: 1-line block ×5, first 2 shown]
	s_and_saveexec_b64 s[0:1], vcc
	s_cbranch_execz .LBB522_35
; %bb.34:
	v_mad_i64_i32 v[2:3], s[2:3], s15, v19, 0
	v_lshl_add_u64 v[2:3], v[2:3], 1, s[4:5]
	v_lshlrev_b32_e32 v4, 1, v18
	v_mov_b32_e32 v5, 0
	v_lshl_add_u64 v[2:3], v[2:3], 0, v[4:5]
	global_load_dwordx4 v[2:5], v[2:3], off
.LBB522_35:
	s_or_b64 exec, exec, s[0:1]
	v_or_b32_e32 v20, 1, v19
	v_cmp_gt_i32_e64 s[0:1], s43, v20
	v_mov_b32_e32 v7, 0
	v_mov_b32_e32 v8, 0
	;; [unrolled: 1-line block ×3, first 2 shown]
	s_and_saveexec_b64 s[2:3], s[0:1]
	s_cbranch_execz .LBB522_37
; %bb.36:
	v_mad_i64_i32 v[6:7], s[20:21], s15, v20, 0
	v_lshl_add_u64 v[6:7], v[6:7], 1, s[4:5]
	v_lshlrev_b32_e32 v8, 1, v18
	v_mov_b32_e32 v9, 0
	v_lshl_add_u64 v[6:7], v[6:7], 0, v[8:9]
	global_load_dwordx4 v[6:9], v[6:7], off
.LBB522_37:
	s_or_b64 exec, exec, s[2:3]
	v_mov_b32_e32 v17, 0
	v_mov_b32_e32 v10, 0
	;; [unrolled: 1-line block ×5, first 2 shown]
	s_and_saveexec_b64 s[2:3], vcc
	s_cbranch_execz .LBB522_39
; %bb.38:
	v_mad_i64_i32 v[10:11], s[20:21], s15, v19, 0
	v_lshl_add_u64 v[10:11], v[10:11], 1, s[4:5]
	v_lshlrev_b32_e32 v12, 1, v18
	v_mov_b32_e32 v13, 0
	v_lshl_add_u64 v[10:11], v[10:11], 0, v[12:13]
	global_load_dwordx4 v[10:13], v[10:11], off offset:128
.LBB522_39:
	s_or_b64 exec, exec, s[2:3]
	v_mov_b32_e32 v16, 0
	v_mov_b32_e32 v15, 0
	;; [unrolled: 1-line block ×3, first 2 shown]
	s_and_saveexec_b64 s[2:3], s[0:1]
	s_cbranch_execz .LBB522_41
; %bb.40:
	v_mad_i64_i32 v[14:15], s[0:1], s15, v20, 0
	v_lshl_add_u64 v[14:15], v[14:15], 1, s[4:5]
	v_lshlrev_b32_e32 v16, 1, v18
	v_mov_b32_e32 v17, 0
	v_lshl_add_u64 v[14:15], v[14:15], 0, v[16:17]
	global_load_dwordx4 v[14:17], v[14:15], off offset:128
.LBB522_41:
	s_or_b64 exec, exec, s[2:3]
	s_branch .LBB522_45
.LBB522_42:
                                        ; implicit-def: $vgpr5
                                        ; implicit-def: $vgpr9
                                        ; implicit-def: $vgpr13
                                        ; implicit-def: $vgpr17
	v_lshrrev_b32_e32 v19, 2, v49
	s_branch .LBB522_46
.LBB522_43:
                                        ; implicit-def: $vgpr5
                                        ; implicit-def: $vgpr9
                                        ; implicit-def: $vgpr13
                                        ; implicit-def: $vgpr17
	s_cbranch_execz .LBB522_45
; %bb.44:
	s_waitcnt vmcnt(0)
	v_mad_u64_u32 v[2:3], s[0:1], v19, s15, v[18:19]
	v_lshlrev_b32_e32 v19, 1, v2
	s_lshl_b32 s2, s15, 7
	s_and_b32 s1, s5, 0xffff
	s_mov_b32 s3, 0x20000
	s_mov_b32 s0, s4
	v_add_lshl_u32 v20, v2, s15, 1
	s_movk_i32 s15, 0x80
	buffer_load_dwordx4 v[2:5], v19, s[0:3], 0 offen
	buffer_load_dwordx4 v[10:13], v19, s[0:3], s15 offen
	;; [unrolled: 1-line block ×4, first 2 shown]
.LBB522_45:
	v_lshrrev_b32_e32 v19, 2, v49
	s_cbranch_execnz .LBB522_58
.LBB522_46:
	s_and_b64 vcc, exec, s[6:7]
	s_cbranch_vccz .LBB522_56
; %bb.47:
	s_waitcnt vmcnt(0)
	v_lshlrev_b32_e32 v7, 1, v36
	v_cmp_gt_i32_e32 vcc, s43, v7
	v_mov_b32_e32 v6, 0
	v_lshlrev_b32_e32 v14, 9, v36
	v_mov_b32_e32 v2, 0
	v_mov_b32_e32 v3, 0
	v_mov_b32_e32 v4, 0
	v_mov_b32_e32 v5, 0
	s_and_saveexec_b64 s[0:1], vcc
	s_cbranch_execz .LBB522_49
; %bb.48:
	v_mov_b32_e32 v15, 0
	v_lshl_add_u64 v[2:3], s[4:5], 0, v[14:15]
	v_lshlrev_b32_e32 v4, 1, v18
	v_mov_b32_e32 v5, v15
	v_lshl_add_u64 v[2:3], v[2:3], 0, v[4:5]
	global_load_dwordx4 v[2:5], v[2:3], off
.LBB522_49:
	s_or_b64 exec, exec, s[0:1]
	v_or_b32_e32 v7, 1, v7
	v_cmp_gt_i32_e64 s[0:1], s43, v7
	v_lshlrev_b32_e32 v20, 8, v7
	v_mov_b32_e32 v7, 0
	v_mov_b32_e32 v8, 0
	;; [unrolled: 1-line block ×3, first 2 shown]
	s_and_saveexec_b64 s[2:3], s[0:1]
	s_cbranch_execz .LBB522_51
; %bb.50:
	v_mov_b32_e32 v21, 0
	v_lshl_add_u64 v[6:7], s[4:5], 0, v[20:21]
	v_lshlrev_b32_e32 v8, 1, v18
	v_mov_b32_e32 v9, v21
	v_lshl_add_u64 v[6:7], v[6:7], 0, v[8:9]
	global_load_dwordx4 v[6:9], v[6:7], off
.LBB522_51:
	s_or_b64 exec, exec, s[2:3]
	v_mov_b32_e32 v17, 0
	v_mov_b32_e32 v10, 0
	v_mov_b32_e32 v11, 0
	v_mov_b32_e32 v12, 0
	v_mov_b32_e32 v13, 0
	s_and_saveexec_b64 s[2:3], vcc
	s_cbranch_execz .LBB522_53
; %bb.52:
	v_mov_b32_e32 v15, 0
	v_lshl_add_u64 v[10:11], s[4:5], 0, v[14:15]
	v_lshlrev_b32_e32 v14, 1, v18
	v_lshl_add_u64 v[10:11], v[10:11], 0, v[14:15]
	global_load_dwordx4 v[10:13], v[10:11], off offset:128
.LBB522_53:
	s_or_b64 exec, exec, s[2:3]
	v_mov_b32_e32 v16, 0
	v_mov_b32_e32 v15, 0
	;; [unrolled: 1-line block ×3, first 2 shown]
	s_and_saveexec_b64 s[2:3], s[0:1]
	s_cbranch_execz .LBB522_55
; %bb.54:
	v_mov_b32_e32 v21, 0
	v_lshl_add_u64 v[14:15], s[4:5], 0, v[20:21]
	v_lshlrev_b32_e32 v20, 1, v18
	v_lshl_add_u64 v[14:15], v[14:15], 0, v[20:21]
	global_load_dwordx4 v[14:17], v[14:15], off offset:128
.LBB522_55:
	s_or_b64 exec, exec, s[2:3]
	s_branch .LBB522_58
.LBB522_56:
                                        ; implicit-def: $vgpr5
                                        ; implicit-def: $vgpr9
                                        ; implicit-def: $vgpr13
                                        ; implicit-def: $vgpr17
	s_cbranch_execz .LBB522_58
; %bb.57:
	s_waitcnt vmcnt(0)
	v_lshlrev_b32_e32 v2, 1, v18
	v_lshl_or_b32 v18, v36, 9, v2
	s_and_b32 s5, s5, 0xffff
	s_mov_b32 s7, 0x20000
	s_movk_i32 s6, 0x4000
	s_movk_i32 s0, 0x80
	buffer_load_dwordx4 v[2:5], v18, s[4:7], 0 offen
	buffer_load_dwordx4 v[6:9], v18, s[4:7], 0 offen offset:256
	buffer_load_dwordx4 v[10:13], v18, s[4:7], s0 offen
	buffer_load_dwordx4 v[14:17], v18, s[4:7], s0 offen offset:256
.LBB522_58:
	v_and_b32_e32 v39, 12, v19
	ds_read2st64_b64 v[22:25], v37 offset0:76 offset1:77
	ds_read2st64_b64 v[18:21], v37 offset0:78 offset1:79
	ds_read_b64 v[30:31], v26 offset:24576
	ds_read_b64 v[32:33], v27 offset:24576
	;; [unrolled: 1-line block ×4, first 2 shown]
	v_and_b32_e32 v38, 6, v0
	v_xor_b32_e32 v36, v36, v38
	v_lshlrev_b32_e32 v36, 2, v36
	v_and_b32_e32 v40, 1, v0
	v_xor_b32_e32 v41, 0x440, v36
	v_cmp_eq_u32_e32 vcc, 0, v40
	s_mov_b32 s0, 0x1000504
	s_waitcnt vmcnt(0)
	v_perm_b32 v40, v10, v14, s0
	v_cndmask_b32_e32 v36, v41, v36, vcc
	v_lshl_or_b32 v36, v38, 10, v36
	v_perm_b32 v38, v2, v6, s0
	ds_write2st64_b32 v36, v38, v40 offset1:32
	v_xor_b32_e32 v38, 8, v36
	s_mov_b32 s1, 0x3020706
	v_perm_b32 v2, v2, v6, s1
	v_perm_b32 v6, v10, v14, s1
	v_add_u32_e32 v10, 0x80, v38
	ds_write2st64_b32 v10, v2, v6 offset1:32
	v_xor_b32_e32 v2, 16, v36
	v_perm_b32 v6, v3, v7, s0
	v_perm_b32 v10, v11, v15, s0
	ds_write2st64_b32 v2, v6, v10 offset0:1 offset1:33
	v_xor_b32_e32 v2, 24, v36
	v_perm_b32 v3, v3, v7, s1
	v_perm_b32 v6, v11, v15, s1
	v_add_u32_e32 v2, 0x80, v2
	ds_write2st64_b32 v2, v3, v6 offset0:1 offset1:33
	v_xor_b32_e32 v2, 32, v36
	v_perm_b32 v3, v4, v8, s0
	v_perm_b32 v6, v12, v16, s0
	ds_write2st64_b32 v2, v3, v6 offset0:2 offset1:34
	v_xor_b32_e32 v2, 40, v36
	v_perm_b32 v3, v4, v8, s1
	v_perm_b32 v4, v12, v16, s1
	v_add_u32_e32 v2, 0x80, v2
	ds_write2st64_b32 v2, v3, v4 offset0:2 offset1:34
	v_xor_b32_e32 v2, 48, v36
	v_perm_b32 v3, v5, v9, s0
	v_perm_b32 v4, v13, v17, s0
	ds_write2st64_b32 v2, v3, v4 offset0:3 offset1:35
	v_xor_b32_e32 v2, 56, v36
	v_or_b32_e32 v8, v39, v45
	v_perm_b32 v3, v5, v9, s1
	v_perm_b32 v4, v13, v17, s1
	v_add_u32_e32 v2, 0x80, v2
	v_cmp_gt_i32_e32 vcc, s43, v8
	v_mov_b32_e32 v9, 0
	v_mov_b32_e32 v13, 0
	ds_write2st64_b32 v2, v3, v4 offset0:3 offset1:35
	s_and_saveexec_b64 s[0:1], vcc
	s_cbranch_execz .LBB522_60
; %bb.59:
	v_add_u32_e32 v2, s41, v8
	v_ashrrev_i32_e32 v3, 31, v2
	v_mul_lo_u32 v4, v3, s30
	v_mul_lo_u32 v5, v2, s31
	v_mad_u64_u32 v[2:3], s[2:3], v2, s30, 0
	v_add3_u32 v3, v3, v5, v4
	v_lshl_add_u64 v[2:3], v[2:3], 2, s[10:11]
	global_load_dword v2, v[2:3], off
	s_waitcnt vmcnt(0)
	v_sub_f32_e32 v2, s12, v2
	v_exp_f32_e32 v13, v2
.LBB522_60:
	s_or_b64 exec, exec, s[0:1]
	v_or_b32_e32 v11, 1, v8
	v_cmp_gt_i32_e64 s[0:1], s43, v11
	s_and_saveexec_b64 s[2:3], s[0:1]
	s_cbranch_execz .LBB522_62
; %bb.61:
	v_add_u32_e32 v2, s41, v11
	v_ashrrev_i32_e32 v3, 31, v2
	v_mul_lo_u32 v4, v3, s30
	v_mul_lo_u32 v5, v2, s31
	v_mad_u64_u32 v[2:3], s[4:5], v2, s30, 0
	v_add3_u32 v3, v3, v5, v4
	v_lshl_add_u64 v[2:3], v[2:3], 2, s[10:11]
	global_load_dword v2, v[2:3], off
	s_waitcnt vmcnt(0)
	v_sub_f32_e32 v2, s12, v2
	v_exp_f32_e32 v9, v2
.LBB522_62:
	s_or_b64 exec, exec, s[2:3]
	v_or_b32_e32 v12, 2, v8
	v_cmp_gt_i32_e64 s[2:3], s43, v12
	v_mov_b32_e32 v10, 0
	v_mov_b32_e32 v15, 0
	s_and_saveexec_b64 s[4:5], s[2:3]
	s_cbranch_execz .LBB522_64
; %bb.63:
	v_add_u32_e32 v2, s41, v12
	v_ashrrev_i32_e32 v3, 31, v2
	v_mul_lo_u32 v4, v3, s30
	v_mul_lo_u32 v5, v2, s31
	v_mad_u64_u32 v[2:3], s[6:7], v2, s30, 0
	v_add3_u32 v3, v3, v5, v4
	v_lshl_add_u64 v[2:3], v[2:3], 2, s[10:11]
	global_load_dword v2, v[2:3], off
	s_waitcnt vmcnt(0)
	v_sub_f32_e32 v2, s12, v2
	v_exp_f32_e32 v15, v2
.LBB522_64:
	s_or_b64 exec, exec, s[4:5]
	v_or_b32_e32 v14, 3, v8
	v_cmp_gt_i32_e64 s[4:5], s43, v14
	s_and_saveexec_b64 s[6:7], s[4:5]
	s_cbranch_execz .LBB522_66
; %bb.65:
	v_add_u32_e32 v2, s41, v14
	v_ashrrev_i32_e32 v3, 31, v2
	v_mul_lo_u32 v4, v3, s30
	v_mul_lo_u32 v5, v2, s31
	v_mad_u64_u32 v[2:3], s[20:21], v2, s30, 0
	v_add3_u32 v3, v3, v5, v4
	v_lshl_add_u64 v[2:3], v[2:3], 2, s[10:11]
	global_load_dword v2, v[2:3], off
	s_waitcnt vmcnt(0)
	v_sub_f32_e32 v2, s12, v2
	v_exp_f32_e32 v10, v2
.LBB522_66:
	s_or_b64 exec, exec, s[6:7]
	s_waitcnt lgkmcnt(11)
	v_mfma_f32_16x16x16_bf16 a[0:3], v[30:31], v[22:23], a[0:3]
	s_add_u32 s6, s8, s24
	v_ashrrev_i32_e32 v59, 31, v58
	s_addc_u32 s7, s9, s25
	s_waitcnt lgkmcnt(10)
	v_mfma_f32_16x16x16_bf16 a[0:3], v[32:33], v[24:25], a[0:3]
	v_mov_b32_e32 v16, 0
	v_lshl_add_u64 v[6:7], v[58:59], 1, s[6:7]
	v_mov_b32_e32 v17, 0
	s_waitcnt lgkmcnt(9)
	v_mfma_f32_16x16x16_bf16 a[0:3], v[28:29], v[18:19], a[0:3]
	s_waitcnt lgkmcnt(8)
	v_mfma_f32_16x16x16_bf16 a[0:3], v[26:27], v[20:21], a[0:3]
	s_nop 6
	v_accvgpr_read_b32 v5, a3
	v_accvgpr_read_b32 v4, a2
	;; [unrolled: 1-line block ×4, first 2 shown]
	s_and_saveexec_b64 s[6:7], vcc
	s_cbranch_execz .LBB522_68
; %bb.67:
	v_lshlrev_b32_e32 v18, 8, v8
	v_mov_b32_e32 v19, 0
	v_lshl_add_u64 v[18:19], v[6:7], 0, v[18:19]
	global_load_ushort v17, v[18:19], off
	s_waitcnt vmcnt(0)
	v_lshlrev_b32_e32 v17, 16, v17
	v_sub_f32_e32 v2, v17, v2
	v_mul_f32_e32 v2, v13, v2
	v_lshrrev_b32_e32 v17, 16, v2
.LBB522_68:
	s_or_b64 exec, exec, s[6:7]
	s_and_saveexec_b64 s[6:7], s[0:1]
	s_cbranch_execz .LBB522_70
; %bb.69:
	v_lshlrev_b32_e32 v18, 8, v11
	v_mov_b32_e32 v19, 0
	v_lshl_add_u64 v[18:19], v[6:7], 0, v[18:19]
	global_load_ushort v2, v[18:19], off
	s_waitcnt vmcnt(0)
	v_lshlrev_b32_e32 v2, 16, v2
	v_sub_f32_e32 v2, v2, v3
	v_mul_f32_e32 v2, v9, v2
	v_lshrrev_b32_e32 v16, 16, v2
.LBB522_70:
	s_or_b64 exec, exec, s[6:7]
	v_mov_b32_e32 v3, 0
	v_mov_b32_e32 v9, 0
	s_and_saveexec_b64 s[0:1], s[2:3]
	s_cbranch_execz .LBB522_72
; %bb.71:
	v_lshlrev_b32_e32 v12, 8, v12
	v_mov_b32_e32 v13, 0
	v_lshl_add_u64 v[12:13], v[6:7], 0, v[12:13]
	global_load_ushort v2, v[12:13], off
	s_waitcnt vmcnt(0)
	v_lshlrev_b32_e32 v2, 16, v2
	v_sub_f32_e32 v2, v2, v4
	v_mul_f32_e32 v2, v15, v2
	v_lshrrev_b32_e32 v9, 16, v2
.LBB522_72:
	s_or_b64 exec, exec, s[0:1]
	v_or_b32_e32 v2, 0x9800, v37
	s_and_saveexec_b64 s[0:1], s[4:5]
	s_cbranch_execz .LBB522_74
; %bb.73:
	v_lshlrev_b32_e32 v12, 8, v14
	v_mov_b32_e32 v13, 0
	v_lshl_add_u64 v[6:7], v[6:7], 0, v[12:13]
	global_load_ushort v3, v[6:7], off
	s_waitcnt vmcnt(0)
	v_lshlrev_b32_e32 v3, 16, v3
	v_sub_f32_e32 v3, v3, v5
	v_mul_f32_e32 v3, v10, v3
	v_lshrrev_b32_e32 v3, 16, v3
.LBB522_74:
	s_or_b64 exec, exec, s[0:1]
	s_mov_b32 s0, 0x5040100
	v_perm_b32 v5, v3, v9, s0
	v_lshlrev_b32_e32 v3, 1, v34
	v_perm_b32 v4, v16, v17, s0
	v_lshl_or_b32 v3, v8, 5, v3
	s_movk_i32 s2, 0xff
	ds_write_b64 v3, v[4:5] offset:38912
	v_and_b32_e32 v3, 7, v0
	v_cmp_lt_u32_e32 vcc, s2, v0
	v_and_b32_e32 v4, 8, v0
	v_lshlrev_b32_e32 v9, 3, v3
	v_lshlrev_b32_e32 v22, 7, v3
	v_cndmask_b32_e64 v3, 0, 1, vcc
	v_lshrrev_b32_e32 v0, 1, v0
	v_lshlrev_b32_e32 v16, 13, v3
	v_lshlrev_b32_e32 v3, 3, v1
	v_and_b32_e32 v0, 24, v0
	v_xor_b32_e32 v5, v3, v0
	v_or_b32_e32 v6, 0x440, v5
	v_cmp_eq_u32_e32 vcc, 0, v4
	s_waitcnt lgkmcnt(0)
	s_barrier
	v_cndmask_b32_e32 v4, v6, v5, vcc
	v_or_b32_e32 v4, v4, v35
	v_xor_b32_e32 v23, v4, v9
	v_or_b32_e32 v4, 32, v0
	v_xor_b32_e32 v4, v3, v4
	v_or_b32_e32 v5, 0x440, v4
	v_cndmask_b32_e32 v4, v5, v4, vcc
	v_or_b32_e32 v4, v4, v35
	v_xor_b32_e32 v24, v4, v9
	v_or_b32_e32 v4, 64, v0
	v_xor_b32_e32 v4, v3, v4
	v_xor_b32_e32 v5, 0x440, v4
	v_cndmask_b32_e32 v4, v5, v4, vcc
	v_add3_u32 v14, v16, v23, v22
	v_or_b32_e32 v4, v4, v35
	v_or_b32_e32 v0, 0x60, v0
	v_xor_b32_e32 v25, v4, v9
	ds_read2st64_b64 v[4:7], v2 offset1:1
	ds_read2st64_b64 v[10:13], v2 offset0:2 offset1:3
	v_xor_b32_e32 v0, v3, v0
	ds_read_b64 v[2:3], v14
	v_add3_u32 v15, v16, v24, v22
	v_xor_b32_e32 v14, 0x440, v0
	v_cndmask_b32_e32 v0, v14, v0, vcc
	ds_read_b64 v[14:15], v15
	s_add_i32 s0, s14, s49
	s_mul_hi_i32 s1, s0, s13
	s_mul_i32 s0, s0, s13
	s_add_u32 s0, s0, s33
	v_or_b32_e32 v0, v0, v35
	s_waitcnt lgkmcnt(1)
	v_mfma_f32_16x16x16_bf16 a[0:3], v[2:3], v[4:5], 0
	s_addc_u32 s1, s1, s48
	v_xor_b32_e32 v9, v0, v9
	s_lshl_b64 s[0:1], s[0:1], 9
	v_add3_u32 v17, v16, v25, v22
	v_add3_u32 v0, v16, v9, v22
	s_add_u32 s0, s16, s0
	ds_read_b64 v[18:19], v17
	ds_read_b64 v[20:21], v0
	s_addc_u32 s1, s17, s1
	v_lshlrev_b32_e32 v0, 2, v8
	s_waitcnt lgkmcnt(2)
	v_mfma_f32_16x16x16_bf16 a[0:3], v[14:15], v[6:7], a[0:3]
	global_load_dwordx4 v[14:17], v0, s[0:1]
	v_add_u32_e32 v0, v23, v22
	v_lshlrev_b32_e32 v2, 6, v1
	ds_read_b64 v[0:1], v0 offset:8192
	v_lshlrev_b32_e32 v3, 2, v39
	s_movk_i32 s2, 0x100
	s_waitcnt lgkmcnt(2)
	v_mfma_f32_16x16x16_bf16 a[0:3], v[18:19], v[10:11], a[0:3]
	v_or3_b32 v2, v2, v3, s2
	v_add_u32_e32 v3, v24, v22
	v_add_u32_e32 v18, v25, v22
	;; [unrolled: 1-line block ×3, first 2 shown]
	ds_read_b64 v[8:9], v3 offset:8192
	ds_read_b64 v[18:19], v18 offset:8192
	ds_read_b64 v[22:23], v22 offset:8192
	s_waitcnt lgkmcnt(3)
	v_mfma_f32_16x16x16_bf16 a[4:7], v[0:1], v[4:5], 0
	global_load_dwordx4 v[0:3], v2, s[0:1]
	v_exp_f32_e32 v24, s12
	s_waitcnt vmcnt(1)
	v_exp_f32_e32 v16, v16
	v_mfma_f32_16x16x16_bf16 a[0:3], v[20:21], v[12:13], a[0:3]
	v_exp_f32_e32 v17, v17
	v_exp_f32_e32 v14, v14
	;; [unrolled: 1-line block ×3, first 2 shown]
	v_pk_mul_f32 v[16:17], v[24:25], v[16:17] op_sel_hi:[0,1]
	v_pk_mul_f32 v[14:15], v[24:25], v[14:15] op_sel_hi:[0,1]
	s_nop 1
	v_accvgpr_read_b32 v21, a1
	v_accvgpr_read_b32 v5, a3
	;; [unrolled: 1-line block ×4, first 2 shown]
	s_waitcnt lgkmcnt(2)
	v_mfma_f32_16x16x16_bf16 a[0:3], v[8:9], v[6:7], a[4:7]
	v_pk_fma_f32 v[56:57], v[56:57], v[16:17], v[4:5]
	s_waitcnt vmcnt(0)
	v_mov_b32_e32 v4, v3
	v_mov_b32_e32 v3, v2
	s_waitcnt lgkmcnt(1)
	v_mfma_f32_16x16x16_bf16 a[0:3], v[18:19], v[10:11], a[0:3]
	v_mov_b32_e32 v2, v1
	v_exp_f32_e32 v0, v0
	v_exp_f32_e32 v1, v2
	s_waitcnt lgkmcnt(0)
	v_mfma_f32_16x16x16_bf16 a[0:3], v[22:23], v[12:13], a[0:3]
	v_exp_f32_e32 v2, v3
	v_exp_f32_e32 v3, v4
	v_pk_mul_f32 v[0:1], v[24:25], v[0:1] op_sel_hi:[0,1]
	v_pk_fma_f32 v[52:53], v[52:53], v[14:15], v[20:21]
	s_nop 2
	v_accvgpr_read_b32 v7, a1
	v_accvgpr_read_b32 v6, a0
	;; [unrolled: 1-line block ×4, first 2 shown]
	v_pk_fma_f32 v[50:51], v[50:51], v[0:1], v[6:7]
	v_pk_mul_f32 v[0:1], v[24:25], v[2:3] op_sel_hi:[0,1]
	v_pk_fma_f32 v[54:55], v[54:55], v[0:1], v[4:5]
.LBB522_75:
	s_add_u32 s0, s18, s28
	s_addc_u32 s1, s19, s29
	v_lshl_add_u64 v[0:1], v[46:47], 1, s[0:1]
	v_mov_b32_e32 v49, 0
	s_mov_b32 s0, 0x7060302
	v_lshl_add_u64 v[0:1], v[0:1], 0, v[48:49]
	v_perm_b32 v3, v57, v56, s0
	v_perm_b32 v2, v53, v52, s0
	global_store_dwordx2 v[0:1], v[2:3], off
	v_perm_b32 v3, v55, v54, s0
	v_perm_b32 v2, v51, v50, s0
	global_store_dwordx2 v[0:1], v[2:3], off offset:128
	s_endpgm
	.section	.rodata,"a",@progbits
	.p2align	6, 0x0
	.amdhsa_kernel _ZN12_GLOBAL__N_139chunk_gated_delta_rule_fwd_h_hip_kernelILi16ELb1ELb1ELb0ELb0ELb1ELb1ELb1ELb1EEEvPK12hip_bfloat16S3_S3_PKfS5_PKvPS1_S8_PvPKiSB_iiiiilll
		.amdhsa_group_segment_fixed_size 40960
		.amdhsa_private_segment_fixed_size 0
		.amdhsa_kernarg_size 136
		.amdhsa_user_sgpr_count 2
		.amdhsa_user_sgpr_dispatch_ptr 0
		.amdhsa_user_sgpr_queue_ptr 0
		.amdhsa_user_sgpr_kernarg_segment_ptr 1
		.amdhsa_user_sgpr_dispatch_id 0
		.amdhsa_user_sgpr_kernarg_preload_length 0
		.amdhsa_user_sgpr_kernarg_preload_offset 0
		.amdhsa_user_sgpr_private_segment_size 0
		.amdhsa_uses_dynamic_stack 0
		.amdhsa_enable_private_segment 0
		.amdhsa_system_sgpr_workgroup_id_x 1
		.amdhsa_system_sgpr_workgroup_id_y 1
		.amdhsa_system_sgpr_workgroup_id_z 0
		.amdhsa_system_sgpr_workgroup_info 0
		.amdhsa_system_vgpr_workitem_id 0
		.amdhsa_next_free_vgpr 128
		.amdhsa_next_free_sgpr 71
		.amdhsa_accum_offset 116
		.amdhsa_reserve_vcc 1
		.amdhsa_float_round_mode_32 0
		.amdhsa_float_round_mode_16_64 0
		.amdhsa_float_denorm_mode_32 3
		.amdhsa_float_denorm_mode_16_64 3
		.amdhsa_dx10_clamp 1
		.amdhsa_ieee_mode 1
		.amdhsa_fp16_overflow 0
		.amdhsa_tg_split 0
		.amdhsa_exception_fp_ieee_invalid_op 0
		.amdhsa_exception_fp_denorm_src 0
		.amdhsa_exception_fp_ieee_div_zero 0
		.amdhsa_exception_fp_ieee_overflow 0
		.amdhsa_exception_fp_ieee_underflow 0
		.amdhsa_exception_fp_ieee_inexact 0
		.amdhsa_exception_int_div_zero 0
	.end_amdhsa_kernel
	.section	.text._ZN12_GLOBAL__N_139chunk_gated_delta_rule_fwd_h_hip_kernelILi16ELb1ELb1ELb0ELb0ELb1ELb1ELb1ELb1EEEvPK12hip_bfloat16S3_S3_PKfS5_PKvPS1_S8_PvPKiSB_iiiiilll,"axG",@progbits,_ZN12_GLOBAL__N_139chunk_gated_delta_rule_fwd_h_hip_kernelILi16ELb1ELb1ELb0ELb0ELb1ELb1ELb1ELb1EEEvPK12hip_bfloat16S3_S3_PKfS5_PKvPS1_S8_PvPKiSB_iiiiilll,comdat
.Lfunc_end522:
	.size	_ZN12_GLOBAL__N_139chunk_gated_delta_rule_fwd_h_hip_kernelILi16ELb1ELb1ELb0ELb0ELb1ELb1ELb1ELb1EEEvPK12hip_bfloat16S3_S3_PKfS5_PKvPS1_S8_PvPKiSB_iiiiilll, .Lfunc_end522-_ZN12_GLOBAL__N_139chunk_gated_delta_rule_fwd_h_hip_kernelILi16ELb1ELb1ELb0ELb0ELb1ELb1ELb1ELb1EEEvPK12hip_bfloat16S3_S3_PKfS5_PKvPS1_S8_PvPKiSB_iiiiilll
                                        ; -- End function
	.section	.AMDGPU.csdata,"",@progbits
; Kernel info:
; codeLenInByte = 8068
; NumSgprs: 77
; NumVgprs: 116
; NumAgprs: 12
; TotalNumVgprs: 128
; ScratchSize: 0
; MemoryBound: 0
; FloatMode: 240
; IeeeMode: 1
; LDSByteSize: 40960 bytes/workgroup (compile time only)
; SGPRBlocks: 9
; VGPRBlocks: 15
; NumSGPRsForWavesPerEU: 77
; NumVGPRsForWavesPerEU: 128
; AccumOffset: 116
; Occupancy: 1
; WaveLimiterHint : 1
; COMPUTE_PGM_RSRC2:SCRATCH_EN: 0
; COMPUTE_PGM_RSRC2:USER_SGPR: 2
; COMPUTE_PGM_RSRC2:TRAP_HANDLER: 0
; COMPUTE_PGM_RSRC2:TGID_X_EN: 1
; COMPUTE_PGM_RSRC2:TGID_Y_EN: 1
; COMPUTE_PGM_RSRC2:TGID_Z_EN: 0
; COMPUTE_PGM_RSRC2:TIDIG_COMP_CNT: 0
; COMPUTE_PGM_RSRC3_GFX90A:ACCUM_OFFSET: 28
; COMPUTE_PGM_RSRC3_GFX90A:TG_SPLIT: 0
	.section	.text._ZN12_GLOBAL__N_139chunk_gated_delta_rule_fwd_h_hip_kernelILi16ELb1ELb0ELb1ELb0ELb1ELb1ELb1ELb1EEEvPK12hip_bfloat16S3_S3_PKfS5_PKvPS1_S8_PvPKiSB_iiiiilll,"axG",@progbits,_ZN12_GLOBAL__N_139chunk_gated_delta_rule_fwd_h_hip_kernelILi16ELb1ELb0ELb1ELb0ELb1ELb1ELb1ELb1EEEvPK12hip_bfloat16S3_S3_PKfS5_PKvPS1_S8_PvPKiSB_iiiiilll,comdat
	.globl	_ZN12_GLOBAL__N_139chunk_gated_delta_rule_fwd_h_hip_kernelILi16ELb1ELb0ELb1ELb0ELb1ELb1ELb1ELb1EEEvPK12hip_bfloat16S3_S3_PKfS5_PKvPS1_S8_PvPKiSB_iiiiilll ; -- Begin function _ZN12_GLOBAL__N_139chunk_gated_delta_rule_fwd_h_hip_kernelILi16ELb1ELb0ELb1ELb0ELb1ELb1ELb1ELb1EEEvPK12hip_bfloat16S3_S3_PKfS5_PKvPS1_S8_PvPKiSB_iiiiilll
	.p2align	8
	.type	_ZN12_GLOBAL__N_139chunk_gated_delta_rule_fwd_h_hip_kernelILi16ELb1ELb0ELb1ELb0ELb1ELb1ELb1ELb1EEEvPK12hip_bfloat16S3_S3_PKfS5_PKvPS1_S8_PvPKiSB_iiiiilll,@function
_ZN12_GLOBAL__N_139chunk_gated_delta_rule_fwd_h_hip_kernelILi16ELb1ELb0ELb1ELb0ELb1ELb1ELb1ELb1EEEvPK12hip_bfloat16S3_S3_PKfS5_PKvPS1_S8_PvPKiSB_iiiiilll: ; @_ZN12_GLOBAL__N_139chunk_gated_delta_rule_fwd_h_hip_kernelILi16ELb1ELb0ELb1ELb0ELb1ELb1ELb1ELb1EEEvPK12hip_bfloat16S3_S3_PKfS5_PKvPS1_S8_PvPKiSB_iiiiilll
; %bb.0:
	s_load_dwordx4 s[12:15], s[0:1], 0x5c
	s_load_dwordx4 s[20:23], s[0:1], 0x70
	s_abs_i32 s6, s3
	s_ashr_i32 s5, s3, 31
	s_load_dwordx4 s[16:19], s[0:1], 0x28
	s_load_dwordx2 s[28:29], s[0:1], 0x38
	s_waitcnt lgkmcnt(0)
	s_abs_i32 s4, s13
	v_cvt_f32_u32_e32 v1, s4
	s_sub_i32 s8, 0, s4
	s_ashr_i32 s7, s13, 31
	s_xor_b32 s5, s5, s7
	v_rcp_iflag_f32_e32 v1, v1
	v_and_b32_e32 v64, 15, v0
	v_lshrrev_b32_e32 v62, 6, v0
	v_bfe_u32 v63, v0, 4, 2
	v_mul_f32_e32 v1, 0x4f7ffffe, v1
	v_cvt_u32_f32_e32 v1, v1
	v_mov_b32_e32 v5, 0
	v_and_b32_e32 v45, 63, v0
	v_lshlrev_b32_e32 v65, 3, v0
	v_readfirstlane_b32 s9, v1
	s_mul_i32 s8, s8, s9
	s_mul_hi_u32 s8, s9, s8
	s_add_i32 s9, s9, s8
	s_mul_hi_u32 s8, s6, s9
	s_mul_i32 s9, s8, s4
	s_sub_i32 s6, s6, s9
	s_add_i32 s10, s8, 1
	s_sub_i32 s9, s6, s4
	s_cmp_ge_u32 s6, s4
	s_cselect_b32 s8, s10, s8
	s_cselect_b32 s6, s9, s6
	s_add_i32 s9, s8, 1
	s_cmp_ge_u32 s6, s4
	s_cselect_b32 s6, s9, s8
	s_xor_b32 s6, s6, s5
	s_add_i32 s8, s12, 63
	s_sub_i32 s53, s6, s5
	s_ashr_i32 s9, s8, 31
	s_mul_i32 s5, s53, s13
	s_sub_i32 s51, s3, s5
	s_lshr_b32 s3, s9, 26
	s_add_i32 s8, s8, s3
	s_abs_i32 s3, s14
	v_cvt_f32_u32_e32 v1, s3
	s_ashr_i32 s52, s12, 31
	s_lshr_b32 s6, s52, 26
	s_add_i32 s6, s12, s6
	v_rcp_iflag_f32_e32 v1, v1
	s_ashr_i32 s56, s14, 31
	s_ashr_i32 s54, s6, 6
	s_lshl_b32 s38, s2, 4
	v_mul_f32_e32 v1, 0x4f7ffffe, v1
	v_cvt_u32_f32_e32 v1, v1
	s_xor_b32 s2, s7, s56
	s_sub_i32 s6, 0, s3
	s_ashr_i32 s25, s8, 6
	v_readfirstlane_b32 s7, v1
	s_mul_i32 s6, s6, s7
	s_mul_hi_u32 s6, s7, s6
	s_add_i32 s7, s7, s6
	s_mul_hi_u32 s6, s4, s7
	s_mul_i32 s7, s6, s3
	s_sub_i32 s4, s4, s7
	s_add_i32 s7, s6, 1
	s_sub_i32 s8, s4, s3
	s_cmp_ge_u32 s4, s3
	s_cselect_b32 s6, s7, s6
	s_cselect_b32 s4, s8, s4
	s_add_i32 s7, s6, 1
	s_cmp_ge_u32 s4, s3
	s_cselect_b32 s3, s7, s6
	s_xor_b32 s3, s3, s2
	s_sub_i32 s2, s3, s2
	s_abs_i32 s3, s2
	v_cvt_f32_u32_e32 v1, s3
	s_sub_i32 s6, 0, s3
	s_abs_i32 s4, s51
	s_xor_b32 s2, s51, s2
	v_rcp_iflag_f32_e32 v1, v1
	s_ashr_i32 s2, s2, 31
	v_or_b32_e32 v46, s38, v64
	v_lshlrev_b32_e32 v2, 7, v46
	v_mul_f32_e32 v1, 0x4f7ffffe, v1
	v_cvt_u32_f32_e32 v1, v1
	v_ashrrev_i32_e32 v3, 31, v2
	v_lshrrev_b32_e32 v66, 3, v45
	s_mul_i32 s33, s53, s21
	v_readfirstlane_b32 s7, v1
	s_mul_i32 s6, s6, s7
	s_mul_hi_u32 s6, s7, s6
	s_add_i32 s7, s7, s6
	s_mul_hi_u32 s6, s4, s7
	s_mul_i32 s7, s6, s3
	s_sub_i32 s4, s4, s7
	s_add_i32 s7, s6, 1
	s_sub_i32 s8, s4, s3
	s_cmp_ge_u32 s4, s3
	s_cselect_b32 s6, s7, s6
	s_cselect_b32 s4, s8, s4
	s_add_i32 s7, s6, 1
	s_cmp_ge_u32 s4, s3
	s_cselect_b32 s3, s7, s6
	s_xor_b32 s3, s3, s2
	s_sub_i32 s57, s3, s2
	s_ashr_i32 s24, s53, 31
	s_ashr_i32 s55, s51, 31
	s_mul_hi_i32 s2, s53, s13
	s_add_u32 s40, s5, s51
	s_addc_u32 s41, s2, s55
	s_lshl_b64 s[2:3], s[40:41], 15
	v_lshlrev_b32_e32 v1, 4, v62
	s_add_u32 s2, s16, s2
	v_lshl_or_b32 v67, v63, 2, v1
	s_addc_u32 s3, s17, s3
	v_lshl_add_u64 v[2:3], v[2:3], 1, s[2:3]
	v_lshlrev_b32_e32 v4, 1, v67
	v_lshl_add_u64 v[2:3], v[2:3], 0, v[4:5]
	global_load_dwordx2 v[4:5], v[2:3], off
	global_load_dwordx2 v[6:7], v[2:3], off offset:128
	s_load_dwordx8 s[4:11], s[0:1], 0x0
	s_load_dwordx2 s[30:31], s[0:1], 0x80
	v_or_b32_e32 v68, 64, v67
	s_mul_hi_u32 s46, s53, s20
	s_mul_i32 s36, s53, s20
	s_mul_i32 s58, s53, s25
	;; [unrolled: 1-line block ×3, first 2 shown]
	s_mul_hi_u32 s48, s51, s22
	s_mul_i32 s50, s24, s20
	s_mul_i32 s49, s55, s22
	s_mul_hi_u32 s59, s40, s12
	s_mul_i32 s16, s40, s12
	s_mul_i32 s41, s41, s12
	s_cmp_lt_i32 s12, 64
	s_mul_i32 s34, s51, s22
	s_waitcnt vmcnt(1)
	v_and_b32_e32 v51, 0xffff0000, v4
	v_lshlrev_b32_e32 v50, 16, v4
	v_and_b32_e32 v55, 0xffff0000, v5
	v_lshlrev_b32_e32 v54, 16, v5
	s_waitcnt vmcnt(0)
	v_and_b32_e32 v49, 0xffff0000, v6
	v_lshlrev_b32_e32 v48, 16, v6
	v_and_b32_e32 v53, 0xffff0000, v7
	v_lshlrev_b32_e32 v52, 16, v7
	s_cbranch_scc1 .LBB523_18
; %bb.1:
	s_add_i32 s17, s59, s41
	s_lshl_b64 s[2:3], s[16:17], 8
	v_and_b32_e32 v70, 56, v65
	s_waitcnt lgkmcnt(0)
	s_add_u32 s20, s6, s2
	v_lshl_or_b32 v69, v62, 3, v66
	v_lshlrev_b32_e32 v2, 1, v70
	s_addc_u32 s2, s7, s3
	v_lshl_or_b32 v71, v69, 8, v2
	s_and_b32 s21, s2, 0xffff
	s_mov_b32 s23, 0x20000
	s_movk_i32 s22, 0x4000
	s_movk_i32 s2, 0x80
	v_or_b32_e32 v72, 0x2000, v71
	buffer_load_dwordx4 v[4:7], v71, s[20:23], 0 offen
	buffer_load_dwordx4 v[8:11], v71, s[20:23], s2 offen
	;; [unrolled: 1-line block ×4, first 2 shown]
	v_lshlrev_b32_e32 v3, 3, v69
	v_and_or_b32 v21, v0, 7, v3
	v_and_b32_e32 v3, 0x78, v3
	v_lshlrev_b32_e32 v21, 4, v21
	v_xor_b32_e32 v73, v21, v3
	v_mul_lo_u32 v20, v69, s15
	v_or_b32_e32 v74, 0x1000, v73
	v_xor_b32_e32 v3, 8, v73
	s_cmpk_eq_i32 s15, 0x80
	s_mov_b32 s60, s14
	v_xor_b32_e32 v21, 8, v74
	s_cselect_b64 s[2:3], -1, 0
	s_cmpk_lg_i32 s15, 0x80
	s_waitcnt vmcnt(3)
	ds_write_b64 v73, v[4:5] offset:16384
	ds_write_b64 v3, v[6:7] offset:16384
	s_waitcnt vmcnt(2)
	ds_write_b64 v73, v[8:9] offset:24576
	ds_write_b64 v3, v[10:11] offset:24576
	;; [unrolled: 3-line block ×4, first 2 shown]
	v_lshl_add_u32 v3, v20, 1, v70
	s_cbranch_scc0 .LBB523_3
; %bb.2:
	v_lshlrev_b32_e32 v5, 1, v3
	v_add_lshl_u32 v4, v3, s15, 1
	s_lshl_b32 s22, s15, 7
	s_load_dwordx2 s[42:43], s[0:1], 0x20
	v_lshl_or_b32 v2, v69, 9, v2
	s_cbranch_execz .LBB523_4
	s_branch .LBB523_5
.LBB523_3:
                                        ; implicit-def: $vgpr4
                                        ; implicit-def: $vgpr5
                                        ; implicit-def: $sgpr22
	s_load_dwordx2 s[42:43], s[0:1], 0x20
	v_lshl_or_b32 v2, v69, 9, v2
.LBB523_4:
	v_or_b32_e32 v4, 0x100, v2
	s_movk_i32 s22, 0x4000
	v_mov_b32_e32 v5, v2
.LBB523_5:
	s_mul_hi_u32 s0, s14, s12
	s_mul_i32 s1, s56, s12
	s_add_i32 s0, s0, s1
	s_mul_i32 s1, s14, s12
	s_mul_i32 s20, s1, s24
	s_mul_hi_u32 s21, s1, s53
	s_add_i32 s20, s21, s20
	s_mul_i32 s0, s0, s53
	s_add_i32 s20, s20, s0
	s_mul_i32 s1, s1, s53
	s_ashr_i32 s61, s57, 31
	s_add_u32 s0, s1, s57
	s_addc_u32 s1, s20, s61
	s_lshl_b64 s[0:1], s[0:1], 8
	s_add_u32 s20, s4, s0
	s_addc_u32 s0, s5, s1
	s_and_b32 s21, s0, 0xffff
	s_movk_i32 s62, 0x80
	buffer_load_dwordx4 v[6:9], v5, s[20:23], 0 offen
	buffer_load_dwordx4 v[10:13], v5, s[20:23], s62 offen
	;; [unrolled: 1-line block ×4, first 2 shown]
	v_and_b32_e32 v4, 6, v0
	v_lshlrev_b32_e32 v22, 2, v64
	v_lshlrev_b32_e32 v23, 3, v64
	v_xor_b32_e32 v25, v69, v4
	v_and_b32_e32 v5, 1, v0
	s_mul_i32 s24, s24, s12
	s_mul_hi_u32 s0, s53, s12
	v_lshl_or_b32 v23, v67, 5, v23
	v_xor_b32_e32 v26, v67, v22
	v_lshlrev_b32_e32 v25, 2, v25
	v_or_b32_e32 v75, 0x9000, v23
	v_or_b32_e32 v76, 0x9800, v23
	v_lshlrev_b32_e32 v23, 1, v26
	v_xor_b32_e32 v26, 0x440, v25
	v_cmp_eq_u32_e32 vcc, 0, v5
	s_add_i32 s67, s0, s24
	s_add_i32 s0, s46, s33
	v_cndmask_b32_e32 v5, v26, v25, vcc
	s_add_i32 s1, s48, s47
	s_add_i32 s37, s0, s50
	s_mov_b32 s65, 0x1000504
	v_lshlrev_b32_e32 v24, 8, v64
	s_mov_b32 s20, 0x8000
	v_xor_b32_e32 v22, v68, v22
	v_lshl_or_b32 v4, v4, 10, v5
	s_add_i32 s35, s1, s49
	s_lshl_b64 s[0:1], s[36:37], 2
	s_mov_b32 s66, 0x3020706
	v_lshlrev_b32_e32 v22, 1, v22
	v_or3_b32 v77, v23, v24, s20
	v_xor_b32_e32 v5, 8, v4
	v_xor_b32_e32 v23, 24, v4
	;; [unrolled: 1-line block ×4, first 2 shown]
	s_add_u32 s21, s10, s0
	v_or3_b32 v78, v22, v24, s20
	v_xor_b32_e32 v22, 16, v4
	v_xor_b32_e32 v24, 32, v4
	;; [unrolled: 1-line block ×3, first 2 shown]
	v_add_u32_e32 v5, 0x80, v5
	v_add_u32_e32 v23, 0x80, v23
	;; [unrolled: 1-line block ×4, first 2 shown]
	s_addc_u32 s22, s11, s1
	s_lshl_b64 s[0:1], s[34:35], 2
	s_add_u32 s44, s21, s0
	s_movk_i32 s0, 0xf8
	s_addc_u32 s45, s22, s1
	s_ashr_i32 s39, s38, 31
	v_ashrrev_i32_e32 v47, 31, v46
	s_lshl_b32 s26, s15, 7
	s_mul_i32 s63, s53, s12
	s_mov_b32 s64, 0
	s_mov_b32 s37, 0x7060302
	s_movk_i32 s22, 0x4000
	s_mov_b32 s68, 0
	s_waitcnt vmcnt(1)
	v_perm_b32 v28, v6, v14, s65
	s_waitcnt vmcnt(0)
	v_perm_b32 v29, v10, v18, s65
	v_perm_b32 v6, v6, v14, s66
	;; [unrolled: 1-line block ×15, first 2 shown]
	ds_write2st64_b32 v4, v28, v29 offset1:32
	ds_write2st64_b32 v5, v6, v10 offset1:32
	ds_write2st64_b32 v22, v14, v18 offset0:1 offset1:33
	ds_write2st64_b32 v23, v7, v11 offset0:1 offset1:33
	;; [unrolled: 1-line block ×6, first 2 shown]
	v_or_b32_e32 v4, v1, v64
	v_lshlrev_b32_e32 v4, 3, v4
	v_lshrrev_b32_e32 v6, 5, v45
	v_and_or_b32 v6, v4, s0, v6
	v_lshlrev_b32_e32 v6, 4, v6
	v_lshrrev_b32_e32 v5, 2, v45
	v_lshlrev_b32_e32 v13, 11, v62
	v_and_b32_e32 v4, 0x78, v4
	v_or_b32_e32 v9, 32, v6
	v_and_b32_e32 v12, 12, v5
	v_and_b32_e32 v5, 0x1000, v13
	v_lshrrev_b32_e32 v8, 1, v45
	v_xor_b32_e32 v9, v9, v4
	v_and_b32_e32 v8, 8, v8
	v_or_b32_e32 v9, v9, v5
	v_xor_b32_e32 v7, v6, v4
	v_xor_b32_e32 v81, v9, v8
	v_or_b32_e32 v9, 64, v6
	v_or_b32_e32 v6, 0x60, v6
	v_xor_b32_e32 v9, v9, v4
	v_xor_b32_e32 v4, v6, v4
	v_or_b32_e32 v7, v7, v5
	v_or_b32_e32 v9, v9, v5
	;; [unrolled: 1-line block ×3, first 2 shown]
	v_xor_b32_e32 v79, v7, v8
	v_xor_b32_e32 v82, v9, v8
	;; [unrolled: 1-line block ×3, first 2 shown]
	v_lshrrev_b32_e32 v8, 4, v0
	v_lshlrev_b32_e32 v9, 1, v64
	v_or_b32_e32 v10, 1, v9
	v_xor_b32_e32 v9, v8, v9
	s_lshl_b64 s[0:1], s[38:39], 8
	v_xor_b32_e32 v10, v10, v8
	v_lshlrev_b32_e32 v9, 3, v9
	v_lshlrev_b32_e32 v8, 8, v8
	v_lshlrev_b64 v[4:5], 1, v[46:47]
	s_add_u32 s0, s18, s0
	v_or3_b32 v47, v9, v8, s20
	v_lshlrev_b32_e32 v9, 3, v10
	s_addc_u32 s1, s19, s1
	v_or3_b32 v85, v9, v8, s20
	v_mov_b32_e32 v9, 0
	v_lshrrev_b32_e32 v19, 1, v0
	v_lshl_add_u64 v[10:11], s[0:1], 0, v[8:9]
	v_lshlrev_b32_e32 v8, 4, v64
	s_movk_i32 s0, 0xff
	v_lshlrev_b32_e32 v18, 3, v62
	v_and_b32_e32 v19, 24, v19
	v_lshl_add_u64 v[56:57], v[10:11], 0, v[8:9]
	v_and_b32_e32 v8, 7, v0
	v_and_b32_e32 v11, 8, v0
	v_cmp_lt_u32_e32 vcc, s0, v0
	v_xor_b32_e32 v20, v18, v19
	v_lshlrev_b32_e32 v16, 3, v8
	v_lshlrev_b32_e32 v17, 7, v8
	v_cndmask_b32_e64 v8, 0, 1, vcc
	v_or_b32_e32 v21, 0x440, v20
	v_cmp_eq_u32_e32 vcc, 0, v11
	v_or_b32_e32 v23, 64, v19
	v_xor_b32_e32 v23, v18, v23
	v_cndmask_b32_e32 v11, v21, v20, vcc
	v_or_b32_e32 v21, 32, v19
	v_or_b32_e32 v19, 0x60, v19
	v_xor_b32_e32 v21, v18, v21
	v_xor_b32_e32 v18, v18, v19
	v_or_b32_e32 v22, 0x440, v21
	v_xor_b32_e32 v24, 0x440, v23
	v_xor_b32_e32 v19, 0x440, v18
	v_cndmask_b32_e32 v21, v22, v21, vcc
	v_cndmask_b32_e32 v23, v24, v23, vcc
	;; [unrolled: 1-line block ×3, first 2 shown]
	v_and_b32_e32 v7, 0x78, v65
	v_or_b32_e32 v11, v11, v13
	v_or_b32_e32 v21, v21, v13
	;; [unrolled: 1-line block ×4, first 2 shown]
	v_lshl_or_b32 v7, v63, 7, v7
	v_lshlrev_b32_e32 v8, 13, v8
	v_xor_b32_e32 v11, v11, v16
	v_xor_b32_e32 v21, v21, v16
	;; [unrolled: 1-line block ×4, first 2 shown]
	v_or_b32_e32 v80, 0x9000, v7
	v_or_b32_e32 v84, 0x9800, v7
	v_lshl_add_u64 v[6:7], s[8:9], 0, v[4:5]
	v_lshl_add_u64 v[4:5], s[28:29], 0, v[4:5]
	v_lshlrev_b32_e32 v14, 1, v3
	v_add_lshl_u32 v3, v3, s15, 1
	v_or_b32_e32 v15, 0x100, v2
	v_or_b32_e32 v10, v12, v1
	v_add_u32_e32 v20, v8, v11
	v_add_u32_e32 v22, v8, v21
	;; [unrolled: 1-line block ×4, first 2 shown]
	v_or3_b32 v12, v1, v12, 64
	v_add_u32_e32 v11, 0x2000, v11
	v_add_u32_e32 v18, 0x2000, v21
	;; [unrolled: 1-line block ×4, first 2 shown]
	v_lshlrev_b32_e32 v8, 8, v67
	v_cndmask_b32_e64 v86, v14, v2, s[2:3]
	v_cndmask_b32_e64 v87, v3, v15, s[2:3]
	v_lshl_add_u64 v[58:59], v[6:7], 0, v[8:9]
	v_lshl_add_u64 v[60:61], v[4:5], 0, v[8:9]
	s_add_i32 s35, s63, 63
	v_lshlrev_b32_e32 v88, 2, v10
	v_add_u32_e32 v89, v20, v17
	v_add_u32_e32 v90, v22, v17
	v_add_u32_e32 v91, v24, v17
	v_add_u32_e32 v92, v16, v17
	v_lshlrev_b32_e32 v93, 2, v12
	v_add_u32_e32 v94, v11, v17
	v_add_u32_e32 v95, v18, v17
	;; [unrolled: 1-line block ×4, first 2 shown]
	s_waitcnt lgkmcnt(0)
	s_barrier
.LBB523_6:                              ; =>This Inner Loop Header: Depth=1
	s_add_i32 s39, s68, 1
	s_cmp_lt_i32 s39, s54
	s_mov_b64 s[24:25], 0
	s_cselect_b64 s[2:3], -1, 0
	s_cmp_ge_i32 s39, s54
	s_mov_b64 s[20:21], 0
	s_cbranch_scc1 .LBB523_8
; %bb.7:                                ;   in Loop: Header=BB523_6 Depth=1
	s_add_i32 s0, s64, 64
	s_add_u32 s0, s16, s0
	s_addc_u32 s1, s17, 0
	s_lshl_b64 s[0:1], s[0:1], 8
	s_add_u32 s20, s6, s0
	s_addc_u32 s21, s7, s1
.LBB523_8:                              ;   in Loop: Header=BB523_6 Depth=1
	v_cndmask_b32_e64 v2, 0, 1, s[2:3]
	v_cmp_ne_u32_e64 s[0:1], 1, v2
	s_andn2_b64 vcc, exec, s[2:3]
	s_cbranch_vccnz .LBB523_10
; %bb.9:                                ;   in Loop: Header=BB523_6 Depth=1
	s_add_i32 s2, s64, 64
	s_add_u32 s2, s63, s2
	s_addc_u32 s3, s67, 0
	s_mul_i32 s24, s2, s56
	s_mul_hi_u32 s25, s2, s60
	s_add_i32 s24, s25, s24
	s_mul_i32 s3, s3, s60
	s_add_i32 s24, s24, s3
	s_mul_i32 s2, s2, s60
	s_add_u32 s2, s2, s57
	s_addc_u32 s3, s24, s61
	s_lshl_b64 s[2:3], s[2:3], 8
	s_add_u32 s24, s4, s2
	s_addc_u32 s25, s5, s3
.LBB523_10:                             ;   in Loop: Header=BB523_6 Depth=1
	v_perm_b32 v3, v55, v54, s37
	v_perm_b32 v2, v51, v50, s37
	;; [unrolled: 1-line block ×4, first 2 shown]
	ds_write_b64 v75, v[2:3]
	ds_write_b64 v76, v[4:5]
	;; [unrolled: 1-line block ×4, first 2 shown]
	s_waitcnt lgkmcnt(0)
	s_barrier
	ds_read_b64 v[10:11], v79 offset:16384
	ds_read_b64 v[12:13], v81 offset:16384
	ds_read2st64_b64 v[2:5], v80 offset1:1
	ds_read2st64_b64 v[6:9], v80 offset0:2 offset1:3
	ds_read_b64 v[14:15], v82 offset:16384
	s_waitcnt lgkmcnt(2)
	v_mfma_f32_16x16x16_bf16 a[0:3], v[10:11], v[2:3], 0
	ds_read_b64 v[2:3], v83 offset:16384
	s_add_i32 s2, s64, 63
	s_mul_i32 s3, s2, s31
	v_mfma_f32_16x16x16_bf16 a[0:3], v[12:13], v[4:5], a[0:3]
	s_mul_hi_u32 s27, s2, s30
	s_add_i32 s3, s27, s3
	s_mul_i32 s2, s2, s30
	s_waitcnt lgkmcnt(1)
	v_mfma_f32_16x16x16_bf16 a[0:3], v[14:15], v[6:7], a[0:3]
	s_lshl_b64 s[2:3], s[2:3], 2
	s_add_u32 s2, s44, s2
	s_addc_u32 s3, s45, s3
	s_waitcnt lgkmcnt(0)
	v_mfma_f32_16x16x16_bf16 a[0:3], v[2:3], v[8:9], a[0:3]
	s_and_b64 vcc, exec, s[0:1]
	v_mov_b32_e32 v100, 0
	v_mov_b32_e32 v99, 0
	;; [unrolled: 1-line block ×19, first 2 shown]
	s_cbranch_vccnz .LBB523_12
; %bb.11:                               ;   in Loop: Header=BB523_6 Depth=1
	s_and_b32 s21, s21, 0xffff
	buffer_load_dwordx4 v[14:17], v71, s[20:23], 0 offen
	buffer_load_dwordx4 v[10:13], v71, s[20:23], s62 offen
	;; [unrolled: 1-line block ×4, first 2 shown]
	v_mov_b32_e32 v99, v73
	v_mov_b32_e32 v98, v74
.LBB523_12:                             ;   in Loop: Header=BB523_6 Depth=1
	v_add_u32_e32 v24, s64, v67
	v_ashrrev_i32_e32 v18, 31, v24
	v_mul_lo_u32 v20, v18, s30
	v_mul_lo_u32 v21, v24, s31
	v_mad_u64_u32 v[18:19], s[20:21], v24, s30, 0
	v_add3_u32 v19, v19, v21, v20
	v_add_u32_e32 v20, 1, v24
	v_ashrrev_i32_e32 v21, 31, v20
	v_mul_lo_u32 v22, v21, s30
	v_mul_lo_u32 v23, v20, s31
	v_mad_u64_u32 v[20:21], s[20:21], v20, s30, 0
	v_add3_u32 v21, v21, v23, v22
	v_add_u32_e32 v22, 2, v24
	v_ashrrev_i32_e32 v23, 31, v22
	v_mul_lo_u32 v25, v23, s30
	v_mul_lo_u32 v26, v22, s31
	v_mad_u64_u32 v[22:23], s[20:21], v22, s30, 0
	s_add_u32 s20, s16, s64
	v_add3_u32 v23, v23, v26, v25
	v_add_u32_e32 v26, 3, v24
	s_addc_u32 s21, s17, 0
	v_ashrrev_i32_e32 v24, 31, v26
	s_lshl_b64 s[20:21], s[20:21], 8
	v_lshl_add_u64 v[18:19], v[18:19], 2, s[44:45]
	v_mul_lo_u32 v27, v24, s30
	v_lshl_add_u64 v[24:25], v[58:59], 0, s[20:21]
	v_mul_lo_u32 v28, v26, s31
	global_load_ushort v38, v[24:25], off
	global_load_ushort v39, v[24:25], off offset:256
	global_load_ushort v40, v[24:25], off offset:512
	;; [unrolled: 1-line block ×3, first 2 shown]
	global_load_dword v42, v[18:19], off
	v_mad_u64_u32 v[18:19], s[70:71], v26, s30, 0
	v_lshl_add_u64 v[20:21], v[20:21], 2, s[44:45]
	v_add3_u32 v19, v19, v28, v27
	v_lshl_add_u64 v[22:23], v[22:23], 2, s[44:45]
	v_lshl_add_u64 v[18:19], v[18:19], 2, s[44:45]
	global_load_dword v43, v[20:21], off
	global_load_dword v44, v[22:23], off
	;; [unrolled: 1-line block ×3, first 2 shown]
	s_load_dword s2, s[2:3], 0x0
	ds_read_b64 v[26:27], v79 offset:24576
	ds_read2st64_b64 v[22:25], v84 offset1:1
	ds_read2st64_b64 v[28:31], v84 offset0:2 offset1:3
	ds_read_b64 v[32:33], v81 offset:24576
	ds_read_b64 v[34:35], v82 offset:24576
	;; [unrolled: 1-line block ×3, first 2 shown]
	s_waitcnt lgkmcnt(0)
	v_mfma_f32_16x16x16_bf16 a[0:3], v[26:27], v[22:23], a[0:3]
	v_mov_b32_e32 v101, 0
	v_mov_b32_e32 v18, 0
	;; [unrolled: 1-line block ×3, first 2 shown]
	v_mfma_f32_16x16x16_bf16 a[0:3], v[32:33], v[24:25], a[0:3]
	v_mov_b32_e32 v20, 0
	v_mov_b32_e32 v21, 0
	;; [unrolled: 1-line block ×3, first 2 shown]
	v_mfma_f32_16x16x16_bf16 a[0:3], v[34:35], v[28:29], a[0:3]
	v_lshl_add_u64 v[28:29], v[60:61], 0, s[20:21]
	v_mov_b32_e32 v23, 0
	v_mov_b32_e32 v24, 0
	v_mfma_f32_16x16x16_bf16 a[0:3], v[36:37], v[30:31], a[0:3]
	v_mov_b32_e32 v25, 0
	v_mov_b32_e32 v26, 0
	;; [unrolled: 1-line block ×3, first 2 shown]
	s_and_b64 vcc, exec, s[0:1]
	s_waitcnt vmcnt(7)
	v_lshlrev_b32_e32 v34, 16, v38
	s_nop 0
	v_accvgpr_read_b32 v33, a1
	v_accvgpr_read_b32 v31, a3
	;; [unrolled: 1-line block ×4, first 2 shown]
	s_waitcnt vmcnt(6)
	v_lshlrev_b32_e32 v35, 16, v39
	s_waitcnt vmcnt(4)
	v_lshlrev_b32_e32 v37, 16, v41
	v_lshlrev_b32_e32 v36, 16, v40
	s_waitcnt vmcnt(3)
	v_sub_f32_e32 v38, s2, v42
	v_pk_add_f32 v[32:33], v[34:35], v[32:33] neg_lo:[0,1] neg_hi:[0,1]
	v_pk_add_f32 v[30:31], v[36:37], v[30:31] neg_lo:[0,1] neg_hi:[0,1]
	s_waitcnt vmcnt(2)
	v_sub_f32_e32 v35, s2, v43
	s_waitcnt vmcnt(1)
	v_sub_f32_e32 v36, s2, v44
	;; [unrolled: 2-line block ×3, first 2 shown]
	v_exp_f32_e32 v34, v38
	v_exp_f32_e32 v35, v35
	;; [unrolled: 1-line block ×4, first 2 shown]
	global_store_short_d16_hi v[28:29], v32, off
	global_store_short_d16_hi v[28:29], v33, off offset:256
	global_store_short_d16_hi v[28:29], v30, off offset:512
	;; [unrolled: 1-line block ×3, first 2 shown]
	v_pk_mul_f32 v[28:29], v[34:35], v[32:33]
	v_pk_mul_f32 v[30:31], v[36:37], v[30:31]
	v_perm_b32 v28, v29, v28, s37
	v_perm_b32 v29, v31, v30, s37
	ds_write_b64 v76, v[28:29]
	v_mov_b32_e32 v28, 0
	v_mov_b32_e32 v29, 0
	;; [unrolled: 1-line block ×6, first 2 shown]
	s_cbranch_vccnz .LBB523_14
; %bb.13:                               ;   in Loop: Header=BB523_6 Depth=1
	s_and_b32 s25, s25, 0xffff
	s_mov_b32 s27, s23
	buffer_load_dwordx4 v[30:33], v86, s[24:27], 0 offen
	buffer_load_dwordx4 v[22:25], v86, s[24:27], s62 offen
	;; [unrolled: 1-line block ×4, first 2 shown]
	v_mov_b32_e32 v100, v70
	v_mov_b32_e32 v101, v69
.LBB523_14:                             ;   in Loop: Header=BB523_6 Depth=1
	s_waitcnt lgkmcnt(0)
	s_barrier
	ds_read_b64 v[34:35], v89
	ds_read_b64 v[40:41], v90
	ds_read2st64_b64 v[36:39], v84 offset1:1
	ds_read2st64_b64 v[102:105], v84 offset0:2 offset1:3
	ds_read_b64 v[42:43], v91
	ds_read_b64 v[110:111], v92
	s_add_i32 s3, s58, s68
	s_mul_hi_i32 s21, s3, s13
	s_mul_i32 s3, s3, s13
	s_waitcnt lgkmcnt(3)
	v_mfma_f32_16x16x16_bf16 a[0:3], v[34:35], v[36:37], 0
	ds_read_b64 v[34:35], v94
	s_add_u32 s20, s3, s51
	s_addc_u32 s21, s21, s55
	s_add_i32 s3, s35, s64
	v_mfma_f32_16x16x16_bf16 a[0:3], v[40:41], v[38:39], a[0:3]
	ds_read_b64 v[40:41], v95
	s_lshl_b64 s[20:21], s[20:21], 15
	s_mul_hi_i32 s25, s3, s13
	s_mul_i32 s3, s3, s13
	s_add_u32 s24, s3, s51
	s_addc_u32 s25, s25, s55
	s_lshl_b64 s[24:25], s[24:25], 9
	s_add_u32 s24, s42, s24
	s_waitcnt lgkmcnt(1)
	v_mfma_f32_16x16x16_bf16 a[4:7], v[34:35], v[36:37], 0
	s_addc_u32 s25, s43, s25
	s_and_b64 vcc, exec, s[0:1]
	v_mfma_f32_16x16x16_bf16 a[0:3], v[42:43], v[102:103], a[0:3]
	ds_read_b64 v[42:43], v96
	ds_read_b64 v[112:113], v97
	global_load_dwordx4 v[34:37], v93, s[24:25]
	s_waitcnt lgkmcnt(2)
	v_mfma_f32_16x16x16_bf16 a[4:7], v[40:41], v[38:39], a[4:7]
	global_load_dwordx4 v[38:41], v88, s[24:25]
	ds_read_b64 v[106:107], v47
	ds_read_b64 v[108:109], v85
	s_waitcnt lgkmcnt(3)
	v_mfma_f32_16x16x16_bf16 a[8:11], v[42:43], v[102:103], a[4:7]
	v_lshl_add_u64 v[42:43], v[56:57], 0, s[20:21]
	s_waitcnt lgkmcnt(0)
	global_store_dwordx4 v[42:43], v[106:109], off
	v_mfma_f32_16x16x16_bf16 a[4:7], v[110:111], v[104:105], a[0:3]
	s_waitcnt vmcnt(2)
	v_mov_b32_e32 v44, v37
	v_mfma_f32_16x16x16_bf16 a[0:3], v[112:113], v[104:105], a[8:11]
	v_mov_b32_e32 v43, v36
	v_mov_b32_e32 v42, v35
	s_cbranch_vccnz .LBB523_16
; %bb.15:                               ;   in Loop: Header=BB523_6 Depth=1
	v_lshrrev_b32_e32 v35, 3, v100
	v_and_b32_e32 v35, 6, v35
	v_xor_b32_e32 v36, v35, v101
	v_lshlrev_b32_e32 v36, 2, v36
	v_and_b32_e32 v37, 8, v100
	v_xor_b32_e32 v100, 0x440, v36
	v_cmp_eq_u32_e32 vcc, 0, v37
	v_perm_b32 v37, v22, v18, s65
	s_nop 0
	v_cndmask_b32_e32 v36, v100, v36, vcc
	v_lshl_or_b32 v35, v35, 10, v36
	v_perm_b32 v36, v30, v26, s65
	s_barrier
	ds_write2st64_b32 v35, v36, v37 offset1:32
	v_xor_b32_e32 v36, 8, v35
	v_perm_b32 v26, v30, v26, s66
	v_perm_b32 v18, v22, v18, s66
	v_add_u32_e32 v22, 0x80, v36
	ds_write2st64_b32 v22, v26, v18 offset1:32
	v_xor_b32_e32 v18, 16, v35
	v_perm_b32 v22, v31, v27, s65
	v_perm_b32 v26, v23, v19, s65
	ds_write2st64_b32 v18, v22, v26 offset0:1 offset1:33
	v_xor_b32_e32 v18, 24, v35
	v_perm_b32 v22, v31, v27, s66
	v_perm_b32 v19, v23, v19, s66
	v_add_u32_e32 v18, 0x80, v18
	ds_write2st64_b32 v18, v22, v19 offset0:1 offset1:33
	v_xor_b32_e32 v18, 32, v35
	v_perm_b32 v19, v32, v28, s65
	v_perm_b32 v22, v24, v20, s65
	ds_write2st64_b32 v18, v19, v22 offset0:2 offset1:34
	v_xor_b32_e32 v18, 40, v35
	v_perm_b32 v19, v32, v28, s66
	v_perm_b32 v20, v24, v20, s66
	v_add_u32_e32 v18, 0x80, v18
	ds_write2st64_b32 v18, v19, v20 offset0:2 offset1:34
	;; [unrolled: 9-line block ×3, first 2 shown]
	ds_write_b64 v99, v[14:15] offset:16384
	v_xor_b32_e32 v14, 8, v99
	ds_write_b64 v14, v[16:17] offset:16384
	ds_write_b64 v99, v[10:11] offset:24576
	;; [unrolled: 1-line block ×4, first 2 shown]
	v_xor_b32_e32 v6, 8, v98
	ds_write_b64 v6, v[8:9] offset:16384
	ds_write_b64 v98, v[2:3] offset:24576
	;; [unrolled: 1-line block ×3, first 2 shown]
.LBB523_16:                             ;   in Loop: Header=BB523_6 Depth=1
	v_exp_f32_e32 v10, s2
	s_waitcnt vmcnt(1)
	v_exp_f32_e32 v12, v38
	v_exp_f32_e32 v13, v39
	;; [unrolled: 1-line block ×4, first 2 shown]
	v_accvgpr_read_b32 v2, a4
	v_accvgpr_read_b32 v3, a5
	v_pk_mul_f32 v[12:13], v[10:11], v[12:13] op_sel_hi:[0,1]
	v_pk_fma_f32 v[50:51], v[50:51], v[12:13], v[2:3]
	v_exp_f32_e32 v12, v34
	v_exp_f32_e32 v13, v42
	v_pk_mul_f32 v[2:3], v[10:11], v[14:15] op_sel_hi:[0,1]
	v_exp_f32_e32 v14, v43
	v_exp_f32_e32 v15, v44
	v_accvgpr_read_b32 v4, a6
	v_accvgpr_read_b32 v5, a7
	;; [unrolled: 1-line block ×5, first 2 shown]
	v_pk_fma_f32 v[54:55], v[54:55], v[2:3], v[4:5]
	v_pk_mul_f32 v[2:3], v[10:11], v[12:13] op_sel_hi:[0,1]
	v_accvgpr_read_b32 v8, a2
	v_pk_fma_f32 v[48:49], v[48:49], v[2:3], v[6:7]
	v_pk_mul_f32 v[2:3], v[10:11], v[14:15] op_sel_hi:[0,1]
	s_add_i32 s64, s64, 64
	s_cmp_eq_u32 s54, s39
	v_pk_fma_f32 v[52:53], v[52:53], v[2:3], v[8:9]
	s_cbranch_scc1 .LBB523_18
; %bb.17:                               ;   in Loop: Header=BB523_6 Depth=1
	s_mov_b32 s68, s39
	s_branch .LBB523_6
.LBB523_18:
	s_lshl_b32 s26, s54, 6
	s_sub_i32 s27, s12, s26
	s_cmp_gt_i32 s27, 0
	s_cbranch_scc0 .LBB523_75
; %bb.19:
	s_ashr_i32 s2, s26, 31
	s_cmpk_lg_i32 s15, 0x80
	s_cselect_b64 s[22:23], -1, 0
	s_and_b64 vcc, exec, s[22:23]
	s_cbranch_vccz .LBB523_21
; %bb.20:
	s_mul_i32 s1, s53, s12
	s_mul_hi_i32 s0, s53, s12
	s_add_u32 s1, s1, s26
	s_addc_u32 s0, s0, s2
	s_mul_i32 s3, s1, s56
	s_mul_hi_u32 s17, s1, s14
	s_add_i32 s3, s17, s3
	s_mul_i32 s0, s0, s14
	s_add_i32 s3, s3, s0
	s_mul_i32 s1, s1, s14
	s_ashr_i32 s0, s57, 31
	s_add_u32 s24, s1, s57
	s_addc_u32 s25, s3, s0
	s_cbranch_execz .LBB523_22
	s_branch .LBB523_23
.LBB523_21:
                                        ; implicit-def: $sgpr24_sgpr25
.LBB523_22:
	s_mul_hi_i32 s0, s53, s14
	s_mul_i32 s53, s53, s14
	s_ashr_i32 s1, s57, 31
	s_add_u32 s3, s53, s57
	s_addc_u32 s0, s0, s1
	s_mul_i32 s1, s3, s52
	s_mul_hi_u32 s14, s3, s12
	s_add_i32 s1, s14, s1
	s_mul_i32 s0, s0, s12
	s_add_i32 s1, s1, s0
	s_mul_i32 s3, s3, s12
	s_add_u32 s24, s3, s26
	s_addc_u32 s25, s1, s2
.LBB523_23:
	s_mul_i32 s0, s40, s52
	s_add_i32 s0, s59, s0
	s_add_i32 s3, s58, s54
	;; [unrolled: 1-line block ×3, first 2 shown]
	s_add_u32 s0, s16, s26
	s_addc_u32 s1, s1, s2
	s_mov_b32 s2, 0x7060302
	v_lshlrev_b32_e32 v6, 3, v64
	s_lshl_b64 s[20:21], s[0:1], 8
	v_perm_b32 v3, v55, v54, s2
	v_perm_b32 v2, v51, v50, s2
	;; [unrolled: 1-line block ×4, first 2 shown]
	v_lshlrev_b32_e32 v34, 2, v64
	v_lshl_or_b32 v6, v67, 5, v6
	s_waitcnt lgkmcnt(0)
	s_add_u32 s0, s6, s20
	ds_write2st64_b64 v6, v[2:3], v[4:5] offset0:72 offset1:76
	v_xor_b32_e32 v6, v67, v34
	v_lshlrev_b32_e32 v7, 8, v64
	s_addc_u32 s1, s7, s21
	v_lshl_or_b32 v6, v6, 1, v7
	s_mul_hi_i32 s6, s3, s13
	s_mul_i32 s3, s3, s13
	ds_write_b64 v6, v[2:3] offset:32768
	v_xor_b32_e32 v2, v68, v34
	s_add_u32 s2, s3, s51
	v_lshl_or_b32 v2, v2, 1, v7
	s_addc_u32 s3, s6, s55
	v_lshlrev_b32_e32 v3, 1, v64
	ds_write_b64 v2, v[4:5] offset:32768
	v_lshrrev_b32_e32 v2, 4, v0
	s_ashr_i32 s39, s38, 31
	s_lshl_b64 s[2:3], s[2:3], 15
	v_or_b32_e32 v4, 1, v3
	s_add_u32 s6, s18, s2
	v_xor_b32_e32 v3, v2, v3
	v_xor_b32_e32 v4, v4, v2
	v_lshlrev_b32_e32 v6, 8, v2
	s_addc_u32 s7, s19, s3
	s_lshl_b64 s[2:3], s[38:39], 8
	v_lshl_or_b32 v2, v3, 3, v6
	v_lshl_or_b32 v4, v4, 3, v6
	s_waitcnt lgkmcnt(0)
	s_barrier
	s_add_u32 s2, s6, s2
	ds_read_b64 v[2:3], v2 offset:32768
	ds_read_b64 v[4:5], v4 offset:32768
	s_addc_u32 s3, s7, s3
	v_mov_b32_e32 v7, 0
	s_cmp_lg_u32 s27, 64
	v_lshl_add_u64 v[8:9], s[2:3], 0, v[6:7]
	v_lshlrev_b32_e32 v6, 4, v64
	s_cselect_b64 s[6:7], -1, 0
	v_lshl_or_b32 v35, v62, 3, v66
	s_mov_b32 s16, 0
	v_lshl_add_u64 v[6:7], v[8:9], 0, v[6:7]
	v_or_b32_e32 v19, 32, v35
	v_and_b32_e32 v18, 56, v65
	s_and_b64 vcc, exec, s[6:7]
	s_waitcnt lgkmcnt(0)
	global_store_dwordx4 v[6:7], v[2:5], off
	s_cbranch_vccz .LBB523_29
; %bb.24:
	s_mov_b32 s17, s16
	s_mov_b32 s18, s16
	;; [unrolled: 1-line block ×3, first 2 shown]
	v_mov_b64_e32 v[6:7], s[16:17]
	v_mov_b64_e32 v[8:9], s[18:19]
	v_mov_b64_e32 v[2:3], v[6:7]
	v_cmp_gt_i32_e32 vcc, s27, v35
	v_mov_b64_e32 v[4:5], v[8:9]
	s_and_saveexec_b64 s[2:3], vcc
	s_cbranch_execz .LBB523_26
; %bb.25:
	v_lshlrev_b32_e32 v2, 8, v35
	v_mov_b32_e32 v3, 0
	v_lshl_add_u64 v[4:5], s[0:1], 0, v[2:3]
	v_lshlrev_b32_e32 v2, 1, v18
	v_lshl_add_u64 v[10:11], v[4:5], 0, v[2:3]
	global_load_dwordx4 v[6:9], v[10:11], off
	global_load_dwordx4 v[2:5], v[10:11], off offset:128
.LBB523_26:
	s_or_b64 exec, exec, s[2:3]
	s_mov_b32 s17, s16
	s_mov_b32 s18, s16
	;; [unrolled: 1-line block ×3, first 2 shown]
	v_mov_b64_e32 v[14:15], s[16:17]
	v_mov_b64_e32 v[16:17], s[18:19]
	;; [unrolled: 1-line block ×3, first 2 shown]
	v_cmp_gt_i32_e32 vcc, s27, v19
	v_lshlrev_b32_e32 v20, 7, v19
	v_mov_b64_e32 v[12:13], v[16:17]
	s_and_saveexec_b64 s[2:3], vcc
	s_cbranch_execz .LBB523_28
; %bb.27:
	v_lshlrev_b32_e32 v10, 1, v20
	v_mov_b32_e32 v11, 0
	v_lshl_add_u64 v[12:13], s[0:1], 0, v[10:11]
	v_lshlrev_b32_e32 v10, 1, v18
	v_lshl_add_u64 v[22:23], v[12:13], 0, v[10:11]
	global_load_dwordx4 v[14:17], v[22:23], off
	global_load_dwordx4 v[10:13], v[22:23], off offset:128
.LBB523_28:
	s_or_b64 exec, exec, s[2:3]
	v_lshrrev_b32_e32 v21, 3, v18
	v_lshlrev_b32_e32 v22, 3, v35
	v_or_b32_e32 v21, v22, v21
	v_lshlrev_b32_e32 v21, 4, v21
	v_and_b32_e32 v22, 0x78, v22
	v_xor_b32_e32 v21, v21, v22
	s_branch .LBB523_31
.LBB523_29:
                                        ; implicit-def: $vgpr21
                                        ; implicit-def: $vgpr20
                                        ; implicit-def: $vgpr6_vgpr7_vgpr8_vgpr9
                                        ; implicit-def: $vgpr2_vgpr3_vgpr4_vgpr5
                                        ; implicit-def: $vgpr14_vgpr15_vgpr16_vgpr17
                                        ; implicit-def: $vgpr10_vgpr11_vgpr12_vgpr13
	s_cbranch_execz .LBB523_31
; %bb.30:
	s_waitcnt vmcnt(0)
	v_lshlrev_b32_e32 v2, 1, v18
	v_lshl_or_b32 v20, v35, 8, v2
	s_and_b32 s1, s1, 0xffff
	s_mov_b32 s3, 0x20000
	s_movk_i32 s2, 0x4000
	v_lshl_or_b32 v21, v19, 8, v2
	s_movk_i32 s13, 0x80
	buffer_load_dwordx4 v[6:9], v20, s[0:3], 0 offen
	buffer_load_dwordx4 v[2:5], v20, s[0:3], s13 offen
	buffer_load_dwordx4 v[14:17], v21, s[0:3], 0 offen
	buffer_load_dwordx4 v[10:13], v21, s[0:3], s13 offen
	v_lshrrev_b32_e32 v20, 3, v18
	v_lshlrev_b32_e32 v21, 3, v35
	v_or_b32_e32 v20, v21, v20
	v_lshlrev_b32_e32 v20, 4, v20
	v_and_b32_e32 v21, 0x78, v21
	v_xor_b32_e32 v21, v20, v21
	v_lshlrev_b32_e32 v20, 7, v19
.LBB523_31:
	s_lshl_b64 s[0:1], s[24:25], 8
	s_add_u32 s4, s4, s0
	s_movk_i32 s0, 0x1000
	v_and_or_b32 v19, v20, s0, v21
	s_waitcnt vmcnt(1)
	ds_write_b64 v21, v[6:7] offset:16384
	v_xor_b32_e32 v6, 8, v21
	ds_write_b64 v6, v[8:9] offset:16384
	s_waitcnt vmcnt(0)
	ds_write_b64 v21, v[2:3] offset:24576
	ds_write_b64 v6, v[4:5] offset:24576
	;; [unrolled: 1-line block ×3, first 2 shown]
	v_xor_b32_e32 v2, 8, v19
	ds_write_b64 v2, v[16:17] offset:16384
	ds_write_b64 v19, v[10:11] offset:24576
	ds_write_b64 v2, v[12:13] offset:24576
	v_or_b32_e32 v2, v1, v64
	s_addc_u32 s5, s5, s1
	s_add_i32 s0, s12, -1
	v_lshlrev_b32_e32 v2, 3, v2
	v_lshrrev_b32_e32 v4, 5, v45
	s_movk_i32 s12, 0xf8
	v_and_or_b32 v4, v2, s12, v4
	v_lshlrev_b32_e32 v3, 11, v62
	v_lshlrev_b32_e32 v12, 4, v4
	v_and_b32_e32 v13, 0x78, v2
	v_and_b32_e32 v14, 0x1000, v3
	v_lshlrev_b32_e32 v3, 2, v0
	v_xor_b32_e32 v2, v12, v13
	v_lshrrev_b32_e32 v4, 1, v45
	v_and_b32_e32 v3, 60, v3
	v_or_b32_e32 v2, v2, v14
	v_and_b32_e32 v15, 8, v4
	v_xor_b32_e32 v26, v2, v15
	v_lshl_or_b32 v2, v63, 6, v3
	v_lshlrev_b32_e32 v19, 1, v2
	v_or_b32_e32 v2, 32, v12
	v_xor_b32_e32 v2, v2, v13
	s_waitcnt lgkmcnt(0)
	s_barrier
	ds_read_b64 v[10:11], v26 offset:16384
	v_or_b32_e32 v2, v2, v14
	v_xor_b32_e32 v27, v2, v15
	v_or_b32_e32 v2, 64, v12
	v_xor_b32_e32 v2, v2, v13
	v_or_b32_e32 v2, v2, v14
	v_or_b32_e32 v12, 0x60, v12
	v_xor_b32_e32 v28, v2, v15
	ds_read2st64_b64 v[2:5], v19 offset0:72 offset1:73
	ds_read2st64_b64 v[6:9], v19 offset0:74 offset1:75
	v_xor_b32_e32 v16, v12, v13
	ds_read_b64 v[12:13], v27 offset:16384
	s_add_i32 s1, s46, s33
	s_waitcnt lgkmcnt(2)
	v_mfma_f32_16x16x16_bf16 a[0:3], v[10:11], v[2:3], 0
	s_add_i32 s37, s1, s50
	s_add_i32 s1, s48, s47
	;; [unrolled: 1-line block ×3, first 2 shown]
	s_ashr_i32 s1, s0, 31
	s_mul_i32 s2, s0, s31
	s_mul_hi_u32 s3, s0, s30
	s_add_i32 s2, s3, s2
	s_mul_i32 s1, s1, s30
	v_or_b32_e32 v14, v16, v14
	s_add_i32 s1, s2, s1
	s_lshl_b64 s[2:3], s[36:37], 2
	v_xor_b32_e32 v36, v14, v15
	ds_read_b64 v[14:15], v28 offset:16384
	ds_read_b64 v[16:17], v36 offset:16384
	s_waitcnt lgkmcnt(2)
	v_mfma_f32_16x16x16_bf16 a[0:3], v[12:13], v[4:5], a[0:3]
	s_add_u32 s10, s10, s2
	s_addc_u32 s11, s11, s3
	s_lshl_b64 s[2:3], s[34:35], 2
	s_mul_i32 s0, s0, s30
	s_add_u32 s10, s10, s2
	s_addc_u32 s11, s11, s3
	s_lshl_b64 s[0:1], s[0:1], 2
	s_waitcnt lgkmcnt(1)
	v_mfma_f32_16x16x16_bf16 a[0:3], v[14:15], v[6:7], a[0:3]
	s_add_u32 s0, s10, s0
	s_addc_u32 s1, s11, s1
	s_load_dword s12, s[0:1], 0x0
	s_waitcnt lgkmcnt(0)
	v_mfma_f32_16x16x16_bf16 a[0:3], v[16:17], v[8:9], a[0:3]
	s_and_b64 vcc, exec, s[22:23]
	s_cbranch_vccz .LBB523_42
; %bb.32:
	v_lshlrev_b32_e32 v20, 1, v35
	s_and_b64 vcc, exec, s[6:7]
	s_cbranch_vccz .LBB523_43
; %bb.33:
	v_cmp_gt_i32_e32 vcc, s27, v20
	v_mov_b32_e32 v6, 0
	v_mov_b32_e32 v2, 0
	;; [unrolled: 1-line block ×5, first 2 shown]
	s_and_saveexec_b64 s[0:1], vcc
	s_cbranch_execz .LBB523_35
; %bb.34:
	v_mad_i64_i32 v[2:3], s[2:3], s15, v20, 0
	v_lshl_add_u64 v[2:3], v[2:3], 1, s[4:5]
	v_lshlrev_b32_e32 v4, 1, v18
	v_mov_b32_e32 v5, 0
	v_lshl_add_u64 v[2:3], v[2:3], 0, v[4:5]
	global_load_dwordx4 v[2:5], v[2:3], off
.LBB523_35:
	s_or_b64 exec, exec, s[0:1]
	v_or_b32_e32 v21, 1, v20
	v_cmp_gt_i32_e64 s[0:1], s27, v21
	v_mov_b32_e32 v7, 0
	v_mov_b32_e32 v8, 0
	;; [unrolled: 1-line block ×3, first 2 shown]
	s_and_saveexec_b64 s[2:3], s[0:1]
	s_cbranch_execz .LBB523_37
; %bb.36:
	v_mad_i64_i32 v[6:7], s[16:17], s15, v21, 0
	v_lshl_add_u64 v[6:7], v[6:7], 1, s[4:5]
	v_lshlrev_b32_e32 v8, 1, v18
	v_mov_b32_e32 v9, 0
	v_lshl_add_u64 v[6:7], v[6:7], 0, v[8:9]
	global_load_dwordx4 v[6:9], v[6:7], off
.LBB523_37:
	s_or_b64 exec, exec, s[2:3]
	v_mov_b32_e32 v17, 0
	v_mov_b32_e32 v10, 0
	;; [unrolled: 1-line block ×5, first 2 shown]
	s_and_saveexec_b64 s[2:3], vcc
	s_cbranch_execz .LBB523_39
; %bb.38:
	v_mad_i64_i32 v[10:11], s[16:17], s15, v20, 0
	v_lshl_add_u64 v[10:11], v[10:11], 1, s[4:5]
	v_lshlrev_b32_e32 v12, 1, v18
	v_mov_b32_e32 v13, 0
	v_lshl_add_u64 v[10:11], v[10:11], 0, v[12:13]
	global_load_dwordx4 v[10:13], v[10:11], off offset:128
.LBB523_39:
	s_or_b64 exec, exec, s[2:3]
	v_mov_b32_e32 v16, 0
	v_mov_b32_e32 v15, 0
	;; [unrolled: 1-line block ×3, first 2 shown]
	s_and_saveexec_b64 s[2:3], s[0:1]
	s_cbranch_execz .LBB523_41
; %bb.40:
	v_mad_i64_i32 v[14:15], s[0:1], s15, v21, 0
	v_lshl_add_u64 v[14:15], v[14:15], 1, s[4:5]
	v_lshlrev_b32_e32 v16, 1, v18
	v_mov_b32_e32 v17, 0
	v_lshl_add_u64 v[14:15], v[14:15], 0, v[16:17]
	global_load_dwordx4 v[14:17], v[14:15], off offset:128
.LBB523_41:
	s_or_b64 exec, exec, s[2:3]
	s_branch .LBB523_45
.LBB523_42:
                                        ; implicit-def: $vgpr5
                                        ; implicit-def: $vgpr9
                                        ; implicit-def: $vgpr13
                                        ; implicit-def: $vgpr17
	v_lshrrev_b32_e32 v37, 2, v45
	s_branch .LBB523_46
.LBB523_43:
                                        ; implicit-def: $vgpr5
                                        ; implicit-def: $vgpr9
                                        ; implicit-def: $vgpr13
                                        ; implicit-def: $vgpr17
	s_cbranch_execz .LBB523_45
; %bb.44:
	s_waitcnt vmcnt(0)
	v_mad_u64_u32 v[2:3], s[0:1], v20, s15, v[18:19]
	v_lshlrev_b32_e32 v20, 1, v2
	s_lshl_b32 s2, s15, 7
	s_and_b32 s1, s5, 0xffff
	s_mov_b32 s3, 0x20000
	s_mov_b32 s0, s4
	v_add_lshl_u32 v21, v2, s15, 1
	s_movk_i32 s13, 0x80
	buffer_load_dwordx4 v[2:5], v20, s[0:3], 0 offen
	buffer_load_dwordx4 v[10:13], v20, s[0:3], s13 offen
	;; [unrolled: 1-line block ×4, first 2 shown]
.LBB523_45:
	v_lshrrev_b32_e32 v37, 2, v45
	s_cbranch_execnz .LBB523_58
.LBB523_46:
	s_and_b64 vcc, exec, s[6:7]
	s_cbranch_vccz .LBB523_56
; %bb.47:
	s_waitcnt vmcnt(0)
	v_lshlrev_b32_e32 v7, 1, v35
	v_cmp_gt_i32_e32 vcc, s27, v7
	v_mov_b32_e32 v6, 0
	v_lshlrev_b32_e32 v14, 9, v35
	v_mov_b32_e32 v2, 0
	v_mov_b32_e32 v3, 0
	v_mov_b32_e32 v4, 0
	v_mov_b32_e32 v5, 0
	s_and_saveexec_b64 s[0:1], vcc
	s_cbranch_execz .LBB523_49
; %bb.48:
	v_mov_b32_e32 v15, 0
	v_lshl_add_u64 v[2:3], s[4:5], 0, v[14:15]
	v_lshlrev_b32_e32 v4, 1, v18
	v_mov_b32_e32 v5, v15
	v_lshl_add_u64 v[2:3], v[2:3], 0, v[4:5]
	global_load_dwordx4 v[2:5], v[2:3], off
.LBB523_49:
	s_or_b64 exec, exec, s[0:1]
	v_or_b32_e32 v7, 1, v7
	v_cmp_gt_i32_e64 s[0:1], s27, v7
	v_lshlrev_b32_e32 v20, 8, v7
	v_mov_b32_e32 v7, 0
	v_mov_b32_e32 v8, 0
	v_mov_b32_e32 v9, 0
	s_and_saveexec_b64 s[2:3], s[0:1]
	s_cbranch_execz .LBB523_51
; %bb.50:
	v_mov_b32_e32 v21, 0
	v_lshl_add_u64 v[6:7], s[4:5], 0, v[20:21]
	v_lshlrev_b32_e32 v8, 1, v18
	v_mov_b32_e32 v9, v21
	v_lshl_add_u64 v[6:7], v[6:7], 0, v[8:9]
	global_load_dwordx4 v[6:9], v[6:7], off
.LBB523_51:
	s_or_b64 exec, exec, s[2:3]
	v_mov_b32_e32 v17, 0
	v_mov_b32_e32 v10, 0
	;; [unrolled: 1-line block ×5, first 2 shown]
	s_and_saveexec_b64 s[2:3], vcc
	s_cbranch_execz .LBB523_53
; %bb.52:
	v_mov_b32_e32 v15, 0
	v_lshl_add_u64 v[10:11], s[4:5], 0, v[14:15]
	v_lshlrev_b32_e32 v14, 1, v18
	v_lshl_add_u64 v[10:11], v[10:11], 0, v[14:15]
	global_load_dwordx4 v[10:13], v[10:11], off offset:128
.LBB523_53:
	s_or_b64 exec, exec, s[2:3]
	v_mov_b32_e32 v16, 0
	v_mov_b32_e32 v15, 0
	;; [unrolled: 1-line block ×3, first 2 shown]
	s_and_saveexec_b64 s[2:3], s[0:1]
	s_cbranch_execz .LBB523_55
; %bb.54:
	v_mov_b32_e32 v21, 0
	v_lshl_add_u64 v[14:15], s[4:5], 0, v[20:21]
	v_lshlrev_b32_e32 v20, 1, v18
	v_lshl_add_u64 v[14:15], v[14:15], 0, v[20:21]
	global_load_dwordx4 v[14:17], v[14:15], off offset:128
.LBB523_55:
	s_or_b64 exec, exec, s[2:3]
	s_branch .LBB523_58
.LBB523_56:
                                        ; implicit-def: $vgpr5
                                        ; implicit-def: $vgpr9
                                        ; implicit-def: $vgpr13
                                        ; implicit-def: $vgpr17
	s_cbranch_execz .LBB523_58
; %bb.57:
	s_waitcnt vmcnt(0)
	v_lshlrev_b32_e32 v2, 1, v18
	v_lshl_or_b32 v18, v35, 9, v2
	s_and_b32 s5, s5, 0xffff
	s_mov_b32 s7, 0x20000
	s_movk_i32 s6, 0x4000
	s_movk_i32 s0, 0x80
	buffer_load_dwordx4 v[2:5], v18, s[4:7], 0 offen
	buffer_load_dwordx4 v[6:9], v18, s[4:7], 0 offen offset:256
	buffer_load_dwordx4 v[10:13], v18, s[4:7], s0 offen
	buffer_load_dwordx4 v[14:17], v18, s[4:7], s0 offen offset:256
.LBB523_58:
	ds_read2st64_b64 v[22:25], v19 offset0:76 offset1:77
	ds_read2st64_b64 v[18:21], v19 offset0:78 offset1:79
	ds_read_b64 v[32:33], v26 offset:24576
	ds_read_b64 v[30:31], v27 offset:24576
	;; [unrolled: 1-line block ×4, first 2 shown]
	v_and_b32_e32 v36, 6, v0
	v_xor_b32_e32 v35, v35, v36
	v_lshlrev_b32_e32 v35, 2, v35
	v_and_b32_e32 v0, 1, v0
	v_xor_b32_e32 v38, 0x440, v35
	v_cmp_eq_u32_e32 vcc, 0, v0
	s_mov_b32 s0, 0x1000504
	s_mov_b32 s1, 0x3020706
	v_cndmask_b32_e32 v0, v38, v35, vcc
	v_lshl_or_b32 v0, v36, 10, v0
	s_waitcnt vmcnt(0)
	v_perm_b32 v35, v2, v6, s0
	v_perm_b32 v36, v10, v14, s0
	ds_write2st64_b32 v0, v35, v36 offset1:32
	v_xor_b32_e32 v35, 8, v0
	v_perm_b32 v2, v2, v6, s1
	v_perm_b32 v6, v10, v14, s1
	v_add_u32_e32 v10, 0x80, v35
	ds_write2st64_b32 v10, v2, v6 offset1:32
	v_xor_b32_e32 v2, 16, v0
	v_perm_b32 v6, v3, v7, s0
	v_perm_b32 v10, v11, v15, s0
	ds_write2st64_b32 v2, v6, v10 offset0:1 offset1:33
	v_xor_b32_e32 v2, 24, v0
	v_perm_b32 v3, v3, v7, s1
	v_perm_b32 v6, v11, v15, s1
	v_add_u32_e32 v2, 0x80, v2
	ds_write2st64_b32 v2, v3, v6 offset0:1 offset1:33
	v_xor_b32_e32 v2, 32, v0
	v_perm_b32 v3, v4, v8, s0
	v_perm_b32 v6, v12, v16, s0
	ds_write2st64_b32 v2, v3, v6 offset0:2 offset1:34
	v_xor_b32_e32 v2, 40, v0
	v_perm_b32 v3, v4, v8, s1
	v_perm_b32 v4, v12, v16, s1
	v_add_u32_e32 v2, 0x80, v2
	ds_write2st64_b32 v2, v3, v4 offset0:2 offset1:34
	v_xor_b32_e32 v2, 48, v0
	v_perm_b32 v3, v5, v9, s0
	v_perm_b32 v4, v13, v17, s0
	v_xor_b32_e32 v0, 56, v0
	v_and_or_b32 v8, v37, 12, v1
	ds_write2st64_b32 v2, v3, v4 offset0:3 offset1:35
	v_perm_b32 v2, v5, v9, s1
	v_perm_b32 v3, v13, v17, s1
	v_add_u32_e32 v0, 0x80, v0
	v_cmp_gt_i32_e64 s[2:3], s27, v8
	v_mov_b32_e32 v10, 0
	v_mov_b32_e32 v15, 0
	ds_write2st64_b32 v0, v2, v3 offset0:3 offset1:35
	s_and_saveexec_b64 s[0:1], s[2:3]
	s_cbranch_execz .LBB523_60
; %bb.59:
	v_add_u32_e32 v0, s26, v8
	v_ashrrev_i32_e32 v1, 31, v0
	v_mul_lo_u32 v2, v1, s30
	v_mul_lo_u32 v3, v0, s31
	v_mad_u64_u32 v[0:1], s[4:5], v0, s30, 0
	v_add3_u32 v1, v1, v3, v2
	v_lshl_add_u64 v[0:1], v[0:1], 2, s[10:11]
	global_load_dword v0, v[0:1], off
	s_waitcnt vmcnt(0)
	v_sub_f32_e32 v0, s12, v0
	v_exp_f32_e32 v15, v0
.LBB523_60:
	s_or_b64 exec, exec, s[0:1]
	v_or_b32_e32 v13, 1, v8
	v_cmp_gt_i32_e64 s[4:5], s27, v13
	s_and_saveexec_b64 s[0:1], s[4:5]
	s_cbranch_execz .LBB523_62
; %bb.61:
	v_add_u32_e32 v0, s26, v13
	v_ashrrev_i32_e32 v1, 31, v0
	v_mul_lo_u32 v2, v1, s30
	v_mul_lo_u32 v3, v0, s31
	v_mad_u64_u32 v[0:1], s[6:7], v0, s30, 0
	v_add3_u32 v1, v1, v3, v2
	v_lshl_add_u64 v[0:1], v[0:1], 2, s[10:11]
	global_load_dword v0, v[0:1], off
	s_waitcnt vmcnt(0)
	v_sub_f32_e32 v0, s12, v0
	v_exp_f32_e32 v10, v0
.LBB523_62:
	s_or_b64 exec, exec, s[0:1]
	v_or_b32_e32 v11, 2, v8
	v_cmp_gt_i32_e32 vcc, s27, v11
	v_mov_b32_e32 v9, 0
	v_mov_b32_e32 v14, 0
	s_and_saveexec_b64 s[0:1], vcc
	s_cbranch_execz .LBB523_64
; %bb.63:
	v_add_u32_e32 v0, s26, v11
	v_ashrrev_i32_e32 v1, 31, v0
	v_mul_lo_u32 v2, v1, s30
	v_mul_lo_u32 v3, v0, s31
	v_mad_u64_u32 v[0:1], s[6:7], v0, s30, 0
	v_add3_u32 v1, v1, v3, v2
	v_lshl_add_u64 v[0:1], v[0:1], 2, s[10:11]
	global_load_dword v0, v[0:1], off
	s_waitcnt vmcnt(0)
	v_sub_f32_e32 v0, s12, v0
	v_exp_f32_e32 v14, v0
.LBB523_64:
	s_or_b64 exec, exec, s[0:1]
	v_or_b32_e32 v12, 3, v8
	v_cmp_gt_i32_e64 s[0:1], s27, v12
	s_and_saveexec_b64 s[6:7], s[0:1]
	s_cbranch_execz .LBB523_66
; %bb.65:
	v_add_u32_e32 v0, s26, v12
	v_ashrrev_i32_e32 v1, 31, v0
	v_mul_lo_u32 v2, v1, s30
	v_mul_lo_u32 v3, v0, s31
	v_mad_u64_u32 v[0:1], s[14:15], v0, s30, 0
	v_add3_u32 v1, v1, v3, v2
	v_lshl_add_u64 v[0:1], v[0:1], 2, s[10:11]
	global_load_dword v0, v[0:1], off
	s_waitcnt vmcnt(0)
	v_sub_f32_e32 v0, s12, v0
	v_exp_f32_e32 v9, v0
.LBB523_66:
	s_or_b64 exec, exec, s[6:7]
	s_waitcnt lgkmcnt(11)
	v_mfma_f32_16x16x16_bf16 a[0:3], v[32:33], v[22:23], a[0:3]
	s_add_u32 s6, s8, s20
	v_ashrrev_i32_e32 v47, 31, v46
	s_addc_u32 s7, s9, s21
	s_waitcnt lgkmcnt(10)
	v_mfma_f32_16x16x16_bf16 a[0:3], v[30:31], v[24:25], a[0:3]
	v_lshlrev_b64 v[0:1], 1, v[46:47]
	v_lshl_add_u64 v[4:5], s[6:7], 0, v[0:1]
	s_add_u32 s6, s28, s20
	s_waitcnt lgkmcnt(9)
	v_mfma_f32_16x16x16_bf16 a[0:3], v[28:29], v[18:19], a[0:3]
	s_addc_u32 s7, s29, s21
	v_lshl_add_u64 v[6:7], s[6:7], 0, v[0:1]
	v_mov_b32_e32 v16, 0
	s_waitcnt lgkmcnt(8)
	v_mfma_f32_16x16x16_bf16 a[0:3], v[26:27], v[20:21], a[0:3]
	v_mov_b32_e32 v17, 0
	s_nop 5
	v_accvgpr_read_b32 v0, a0
	v_accvgpr_read_b32 v1, a1
	v_accvgpr_read_b32 v2, a2
	v_accvgpr_read_b32 v3, a3
	s_and_saveexec_b64 s[6:7], s[2:3]
	s_cbranch_execz .LBB523_68
; %bb.67:
	v_lshlrev_b32_e32 v18, 8, v8
	v_mov_b32_e32 v19, 0
	v_lshl_add_u64 v[20:21], v[4:5], 0, v[18:19]
	global_load_ushort v17, v[20:21], off
	v_lshl_add_u64 v[18:19], v[6:7], 0, v[18:19]
	s_waitcnt vmcnt(0)
	v_lshlrev_b32_e32 v17, 16, v17
	v_sub_f32_e32 v0, v17, v0
	global_store_short_d16_hi v[18:19], v0, off
	v_mul_f32_e32 v0, v15, v0
	v_lshrrev_b32_e32 v17, 16, v0
.LBB523_68:
	s_or_b64 exec, exec, s[6:7]
	s_and_saveexec_b64 s[2:3], s[4:5]
	s_cbranch_execz .LBB523_70
; %bb.69:
	v_lshlrev_b32_e32 v18, 8, v13
	v_mov_b32_e32 v19, 0
	v_lshl_add_u64 v[20:21], v[4:5], 0, v[18:19]
	global_load_ushort v0, v[20:21], off
	v_lshl_add_u64 v[18:19], v[6:7], 0, v[18:19]
	s_waitcnt vmcnt(0)
	v_lshlrev_b32_e32 v0, 16, v0
	v_sub_f32_e32 v0, v0, v1
	global_store_short_d16_hi v[18:19], v0, off
	v_mul_f32_e32 v0, v10, v0
	v_lshrrev_b32_e32 v16, 16, v0
.LBB523_70:
	s_or_b64 exec, exec, s[2:3]
	v_mov_b32_e32 v0, 0
	v_mov_b32_e32 v1, 0
	s_and_saveexec_b64 s[2:3], vcc
	s_cbranch_execz .LBB523_72
; %bb.71:
	v_lshlrev_b32_e32 v10, 8, v11
	v_mov_b32_e32 v11, 0
	v_lshl_add_u64 v[18:19], v[4:5], 0, v[10:11]
	global_load_ushort v1, v[18:19], off
	v_lshl_add_u64 v[10:11], v[6:7], 0, v[10:11]
	s_waitcnt vmcnt(0)
	v_lshlrev_b32_e32 v1, 16, v1
	v_sub_f32_e32 v1, v1, v2
	global_store_short_d16_hi v[10:11], v1, off
	v_mul_f32_e32 v1, v14, v1
	v_lshrrev_b32_e32 v1, 16, v1
.LBB523_72:
	s_or_b64 exec, exec, s[2:3]
	s_and_saveexec_b64 s[2:3], s[0:1]
	s_cbranch_execz .LBB523_74
; %bb.73:
	v_lshlrev_b32_e32 v10, 8, v12
	v_mov_b32_e32 v11, 0
	v_lshl_add_u64 v[4:5], v[4:5], 0, v[10:11]
	global_load_ushort v0, v[4:5], off
	v_lshl_add_u64 v[4:5], v[6:7], 0, v[10:11]
	s_waitcnt vmcnt(0)
	v_lshlrev_b32_e32 v0, 16, v0
	v_sub_f32_e32 v0, v0, v3
	global_store_short_d16_hi v[4:5], v0, off
	v_mul_f32_e32 v0, v9, v0
	v_lshrrev_b32_e32 v0, 16, v0
.LBB523_74:
	s_or_b64 exec, exec, s[2:3]
	s_mov_b32 s0, 0x5040100
	v_lshlrev_b32_e32 v2, 1, v34
	v_perm_b32 v1, v0, v1, s0
	v_perm_b32 v0, v16, v17, s0
	v_lshl_or_b32 v2, v8, 5, v2
	ds_write_b64 v2, v[0:1] offset:38912
	s_waitcnt lgkmcnt(0)
	s_barrier
.LBB523_75:
	s_endpgm
	.section	.rodata,"a",@progbits
	.p2align	6, 0x0
	.amdhsa_kernel _ZN12_GLOBAL__N_139chunk_gated_delta_rule_fwd_h_hip_kernelILi16ELb1ELb0ELb1ELb0ELb1ELb1ELb1ELb1EEEvPK12hip_bfloat16S3_S3_PKfS5_PKvPS1_S8_PvPKiSB_iiiiilll
		.amdhsa_group_segment_fixed_size 40960
		.amdhsa_private_segment_fixed_size 0
		.amdhsa_kernarg_size 136
		.amdhsa_user_sgpr_count 2
		.amdhsa_user_sgpr_dispatch_ptr 0
		.amdhsa_user_sgpr_queue_ptr 0
		.amdhsa_user_sgpr_kernarg_segment_ptr 1
		.amdhsa_user_sgpr_dispatch_id 0
		.amdhsa_user_sgpr_kernarg_preload_length 0
		.amdhsa_user_sgpr_kernarg_preload_offset 0
		.amdhsa_user_sgpr_private_segment_size 0
		.amdhsa_uses_dynamic_stack 0
		.amdhsa_enable_private_segment 0
		.amdhsa_system_sgpr_workgroup_id_x 1
		.amdhsa_system_sgpr_workgroup_id_y 1
		.amdhsa_system_sgpr_workgroup_id_z 0
		.amdhsa_system_sgpr_workgroup_info 0
		.amdhsa_system_vgpr_workitem_id 0
		.amdhsa_next_free_vgpr 128
		.amdhsa_next_free_sgpr 72
		.amdhsa_accum_offset 116
		.amdhsa_reserve_vcc 1
		.amdhsa_float_round_mode_32 0
		.amdhsa_float_round_mode_16_64 0
		.amdhsa_float_denorm_mode_32 3
		.amdhsa_float_denorm_mode_16_64 3
		.amdhsa_dx10_clamp 1
		.amdhsa_ieee_mode 1
		.amdhsa_fp16_overflow 0
		.amdhsa_tg_split 0
		.amdhsa_exception_fp_ieee_invalid_op 0
		.amdhsa_exception_fp_denorm_src 0
		.amdhsa_exception_fp_ieee_div_zero 0
		.amdhsa_exception_fp_ieee_overflow 0
		.amdhsa_exception_fp_ieee_underflow 0
		.amdhsa_exception_fp_ieee_inexact 0
		.amdhsa_exception_int_div_zero 0
	.end_amdhsa_kernel
	.section	.text._ZN12_GLOBAL__N_139chunk_gated_delta_rule_fwd_h_hip_kernelILi16ELb1ELb0ELb1ELb0ELb1ELb1ELb1ELb1EEEvPK12hip_bfloat16S3_S3_PKfS5_PKvPS1_S8_PvPKiSB_iiiiilll,"axG",@progbits,_ZN12_GLOBAL__N_139chunk_gated_delta_rule_fwd_h_hip_kernelILi16ELb1ELb0ELb1ELb0ELb1ELb1ELb1ELb1EEEvPK12hip_bfloat16S3_S3_PKfS5_PKvPS1_S8_PvPKiSB_iiiiilll,comdat
.Lfunc_end523:
	.size	_ZN12_GLOBAL__N_139chunk_gated_delta_rule_fwd_h_hip_kernelILi16ELb1ELb0ELb1ELb0ELb1ELb1ELb1ELb1EEEvPK12hip_bfloat16S3_S3_PKfS5_PKvPS1_S8_PvPKiSB_iiiiilll, .Lfunc_end523-_ZN12_GLOBAL__N_139chunk_gated_delta_rule_fwd_h_hip_kernelILi16ELb1ELb0ELb1ELb0ELb1ELb1ELb1ELb1EEEvPK12hip_bfloat16S3_S3_PKfS5_PKvPS1_S8_PvPKiSB_iiiiilll
                                        ; -- End function
	.section	.AMDGPU.csdata,"",@progbits
; Kernel info:
; codeLenInByte = 7480
; NumSgprs: 78
; NumVgprs: 114
; NumAgprs: 12
; TotalNumVgprs: 128
; ScratchSize: 0
; MemoryBound: 0
; FloatMode: 240
; IeeeMode: 1
; LDSByteSize: 40960 bytes/workgroup (compile time only)
; SGPRBlocks: 9
; VGPRBlocks: 15
; NumSGPRsForWavesPerEU: 78
; NumVGPRsForWavesPerEU: 128
; AccumOffset: 116
; Occupancy: 1
; WaveLimiterHint : 1
; COMPUTE_PGM_RSRC2:SCRATCH_EN: 0
; COMPUTE_PGM_RSRC2:USER_SGPR: 2
; COMPUTE_PGM_RSRC2:TRAP_HANDLER: 0
; COMPUTE_PGM_RSRC2:TGID_X_EN: 1
; COMPUTE_PGM_RSRC2:TGID_Y_EN: 1
; COMPUTE_PGM_RSRC2:TGID_Z_EN: 0
; COMPUTE_PGM_RSRC2:TIDIG_COMP_CNT: 0
; COMPUTE_PGM_RSRC3_GFX90A:ACCUM_OFFSET: 28
; COMPUTE_PGM_RSRC3_GFX90A:TG_SPLIT: 0
	.section	.text._ZN12_GLOBAL__N_139chunk_gated_delta_rule_fwd_h_hip_kernelILi16ELb1ELb0ELb0ELb0ELb1ELb1ELb1ELb1EEEvPK12hip_bfloat16S3_S3_PKfS5_PKvPS1_S8_PvPKiSB_iiiiilll,"axG",@progbits,_ZN12_GLOBAL__N_139chunk_gated_delta_rule_fwd_h_hip_kernelILi16ELb1ELb0ELb0ELb0ELb1ELb1ELb1ELb1EEEvPK12hip_bfloat16S3_S3_PKfS5_PKvPS1_S8_PvPKiSB_iiiiilll,comdat
	.globl	_ZN12_GLOBAL__N_139chunk_gated_delta_rule_fwd_h_hip_kernelILi16ELb1ELb0ELb0ELb0ELb1ELb1ELb1ELb1EEEvPK12hip_bfloat16S3_S3_PKfS5_PKvPS1_S8_PvPKiSB_iiiiilll ; -- Begin function _ZN12_GLOBAL__N_139chunk_gated_delta_rule_fwd_h_hip_kernelILi16ELb1ELb0ELb0ELb0ELb1ELb1ELb1ELb1EEEvPK12hip_bfloat16S3_S3_PKfS5_PKvPS1_S8_PvPKiSB_iiiiilll
	.p2align	8
	.type	_ZN12_GLOBAL__N_139chunk_gated_delta_rule_fwd_h_hip_kernelILi16ELb1ELb0ELb0ELb0ELb1ELb1ELb1ELb1EEEvPK12hip_bfloat16S3_S3_PKfS5_PKvPS1_S8_PvPKiSB_iiiiilll,@function
_ZN12_GLOBAL__N_139chunk_gated_delta_rule_fwd_h_hip_kernelILi16ELb1ELb0ELb0ELb0ELb1ELb1ELb1ELb1EEEvPK12hip_bfloat16S3_S3_PKfS5_PKvPS1_S8_PvPKiSB_iiiiilll: ; @_ZN12_GLOBAL__N_139chunk_gated_delta_rule_fwd_h_hip_kernelILi16ELb1ELb0ELb0ELb0ELb1ELb1ELb1ELb1EEEvPK12hip_bfloat16S3_S3_PKfS5_PKvPS1_S8_PvPKiSB_iiiiilll
; %bb.0:
	s_load_dwordx4 s[12:15], s[0:1], 0x5c
	s_load_dwordx4 s[16:19], s[0:1], 0x28
	s_abs_i32 s6, s3
	s_ashr_i32 s5, s3, 31
	v_and_b32_e32 v62, 15, v0
	s_waitcnt lgkmcnt(0)
	s_abs_i32 s4, s13
	v_cvt_f32_u32_e32 v1, s4
	s_sub_i32 s8, 0, s4
	s_ashr_i32 s7, s13, 31
	s_xor_b32 s5, s5, s7
	v_rcp_iflag_f32_e32 v1, v1
	v_lshrrev_b32_e32 v60, 6, v0
	v_bfe_u32 v61, v0, 4, 2
	v_mov_b32_e32 v5, 0
	v_mul_f32_e32 v1, 0x4f7ffffe, v1
	v_cvt_u32_f32_e32 v1, v1
	v_and_b32_e32 v45, 63, v0
	v_lshlrev_b32_e32 v63, 3, v0
	v_lshrrev_b32_e32 v64, 3, v45
	v_readfirstlane_b32 s9, v1
	s_mul_i32 s8, s8, s9
	s_mul_hi_u32 s8, s9, s8
	s_add_i32 s9, s9, s8
	s_mul_hi_u32 s8, s6, s9
	s_mul_i32 s9, s8, s4
	s_sub_i32 s6, s6, s9
	s_add_i32 s10, s8, 1
	s_sub_i32 s9, s6, s4
	s_cmp_ge_u32 s6, s4
	s_cselect_b32 s8, s10, s8
	s_cselect_b32 s6, s9, s6
	s_add_i32 s9, s8, 1
	s_cmp_ge_u32 s6, s4
	s_cselect_b32 s6, s9, s8
	s_xor_b32 s6, s6, s5
	s_sub_i32 s51, s6, s5
	s_mul_i32 s6, s51, s13
	s_sub_i32 s49, s3, s6
	s_abs_i32 s3, s14
	v_cvt_f32_u32_e32 v1, s3
	s_add_i32 s8, s12, 63
	s_ashr_i32 s9, s8, 31
	s_lshr_b32 s5, s9, 26
	v_rcp_iflag_f32_e32 v1, v1
	s_ashr_i32 s50, s12, 31
	s_add_i32 s8, s8, s5
	s_lshr_b32 s5, s50, 26
	v_mul_f32_e32 v1, 0x4f7ffffe, v1
	v_cvt_u32_f32_e32 v1, v1
	s_add_i32 s5, s12, s5
	s_ashr_i32 s54, s14, 31
	s_ashr_i32 s52, s5, 6
	s_lshl_b32 s36, s2, 4
	s_xor_b32 s2, s7, s54
	s_sub_i32 s5, 0, s3
	v_readfirstlane_b32 s7, v1
	s_mul_i32 s5, s5, s7
	s_mul_hi_u32 s5, s7, s5
	s_add_i32 s7, s7, s5
	s_mul_hi_u32 s5, s4, s7
	s_mul_i32 s7, s5, s3
	s_sub_i32 s4, s4, s7
	s_ashr_i32 s25, s8, 6
	s_add_i32 s7, s5, 1
	s_sub_i32 s8, s4, s3
	s_cmp_ge_u32 s4, s3
	s_cselect_b32 s5, s7, s5
	s_cselect_b32 s4, s8, s4
	s_add_i32 s7, s5, 1
	s_cmp_ge_u32 s4, s3
	s_cselect_b32 s3, s7, s5
	s_xor_b32 s3, s3, s2
	s_sub_i32 s2, s3, s2
	s_abs_i32 s3, s2
	v_cvt_f32_u32_e32 v1, s3
	s_sub_i32 s5, 0, s3
	s_abs_i32 s4, s49
	s_xor_b32 s2, s49, s2
	v_rcp_iflag_f32_e32 v1, v1
	s_ashr_i32 s2, s2, 31
	v_or_b32_e32 v46, s36, v62
	v_lshlrev_b32_e32 v2, 7, v46
	v_mul_f32_e32 v1, 0x4f7ffffe, v1
	v_cvt_u32_f32_e32 v1, v1
	v_ashrrev_i32_e32 v3, 31, v2
	s_mul_i32 s56, s51, s25
	v_readfirstlane_b32 s7, v1
	s_mul_i32 s5, s5, s7
	s_mul_hi_u32 s5, s7, s5
	s_add_i32 s7, s7, s5
	s_mul_hi_u32 s5, s4, s7
	s_mul_i32 s7, s5, s3
	s_sub_i32 s4, s4, s7
	s_add_i32 s7, s5, 1
	s_sub_i32 s8, s4, s3
	s_cmp_ge_u32 s4, s3
	s_cselect_b32 s5, s7, s5
	s_cselect_b32 s4, s8, s4
	s_add_i32 s7, s5, 1
	s_cmp_ge_u32 s4, s3
	s_cselect_b32 s3, s7, s5
	s_xor_b32 s3, s3, s2
	s_sub_i32 s55, s3, s2
	s_ashr_i32 s24, s51, 31
	s_ashr_i32 s53, s49, 31
	s_mul_hi_i32 s2, s51, s13
	s_add_u32 s38, s6, s49
	s_addc_u32 s39, s2, s53
	s_lshl_b64 s[2:3], s[38:39], 15
	v_lshlrev_b32_e32 v1, 4, v60
	s_add_u32 s2, s16, s2
	v_lshl_or_b32 v65, v61, 2, v1
	s_addc_u32 s3, s17, s3
	v_lshl_add_u64 v[2:3], v[2:3], 1, s[2:3]
	v_lshlrev_b32_e32 v4, 1, v65
	v_lshl_add_u64 v[2:3], v[2:3], 0, v[4:5]
	global_load_dwordx2 v[4:5], v[2:3], off
	global_load_dwordx2 v[6:7], v[2:3], off offset:128
	s_load_dwordx8 s[4:11], s[0:1], 0x0
	s_load_dwordx2 s[28:29], s[0:1], 0x80
	s_load_dwordx4 s[20:23], s[0:1], 0x70
	v_or_b32_e32 v66, 64, v65
	s_mul_hi_u32 s57, s38, s12
	s_mul_i32 s16, s38, s12
	s_mul_i32 s39, s39, s12
	s_waitcnt lgkmcnt(0)
	s_mul_i32 s33, s51, s21
	s_mul_hi_u32 s44, s51, s20
	s_mul_i32 s34, s51, s20
	s_mul_i32 s45, s49, s23
	s_mul_hi_u32 s46, s49, s22
	s_mul_i32 s48, s24, s20
	s_mul_i32 s47, s53, s22
	s_cmp_lt_i32 s12, 64
	s_mul_i32 s30, s49, s22
	s_waitcnt vmcnt(1)
	v_and_b32_e32 v51, 0xffff0000, v4
	v_lshlrev_b32_e32 v50, 16, v4
	v_and_b32_e32 v55, 0xffff0000, v5
	v_lshlrev_b32_e32 v54, 16, v5
	s_waitcnt vmcnt(0)
	v_and_b32_e32 v49, 0xffff0000, v6
	v_lshlrev_b32_e32 v48, 16, v6
	v_and_b32_e32 v53, 0xffff0000, v7
	v_lshlrev_b32_e32 v52, 16, v7
	s_cbranch_scc1 .LBB524_18
; %bb.1:
	s_add_i32 s17, s57, s39
	s_lshl_b64 s[2:3], s[16:17], 8
	v_and_b32_e32 v68, 56, v63
	s_add_u32 s20, s6, s2
	v_lshl_or_b32 v67, v60, 3, v64
	v_lshlrev_b32_e32 v2, 1, v68
	s_addc_u32 s2, s7, s3
	v_lshl_or_b32 v69, v67, 8, v2
	s_and_b32 s21, s2, 0xffff
	s_mov_b32 s23, 0x20000
	s_movk_i32 s22, 0x4000
	s_movk_i32 s2, 0x80
	v_or_b32_e32 v70, 0x2000, v69
	buffer_load_dwordx4 v[4:7], v69, s[20:23], 0 offen
	buffer_load_dwordx4 v[8:11], v69, s[20:23], s2 offen
	;; [unrolled: 1-line block ×4, first 2 shown]
	v_lshlrev_b32_e32 v3, 3, v67
	v_and_or_b32 v21, v0, 7, v3
	v_and_b32_e32 v3, 0x78, v3
	v_lshlrev_b32_e32 v21, 4, v21
	v_xor_b32_e32 v71, v21, v3
	v_mul_lo_u32 v20, v67, s15
	v_or_b32_e32 v72, 0x1000, v71
	v_xor_b32_e32 v3, 8, v71
	s_cmpk_eq_i32 s15, 0x80
	s_mov_b32 s58, s14
	v_xor_b32_e32 v21, 8, v72
	s_cselect_b64 s[2:3], -1, 0
	s_cmpk_lg_i32 s15, 0x80
	s_waitcnt vmcnt(3)
	ds_write_b64 v71, v[4:5] offset:16384
	ds_write_b64 v3, v[6:7] offset:16384
	s_waitcnt vmcnt(2)
	ds_write_b64 v71, v[8:9] offset:24576
	ds_write_b64 v3, v[10:11] offset:24576
	;; [unrolled: 3-line block ×4, first 2 shown]
	v_lshl_add_u32 v3, v20, 1, v68
	s_cbranch_scc0 .LBB524_3
; %bb.2:
	v_lshlrev_b32_e32 v5, 1, v3
	v_add_lshl_u32 v4, v3, s15, 1
	s_lshl_b32 s22, s15, 7
	s_load_dwordx2 s[40:41], s[0:1], 0x20
	v_lshl_or_b32 v2, v67, 9, v2
	s_cbranch_execz .LBB524_4
	s_branch .LBB524_5
.LBB524_3:
                                        ; implicit-def: $vgpr4
                                        ; implicit-def: $vgpr5
                                        ; implicit-def: $sgpr22
	s_load_dwordx2 s[40:41], s[0:1], 0x20
	v_lshl_or_b32 v2, v67, 9, v2
.LBB524_4:
	v_or_b32_e32 v4, 0x100, v2
	s_movk_i32 s22, 0x4000
	v_mov_b32_e32 v5, v2
.LBB524_5:
	s_mul_hi_u32 s0, s14, s12
	s_mul_i32 s1, s54, s12
	s_add_i32 s0, s0, s1
	s_mul_i32 s1, s14, s12
	s_mul_i32 s20, s1, s24
	s_mul_hi_u32 s21, s1, s51
	s_add_i32 s20, s21, s20
	s_mul_i32 s0, s0, s51
	s_add_i32 s20, s20, s0
	s_mul_i32 s1, s1, s51
	s_ashr_i32 s59, s55, 31
	s_add_u32 s0, s1, s55
	s_addc_u32 s1, s20, s59
	s_lshl_b64 s[0:1], s[0:1], 8
	s_add_u32 s20, s4, s0
	s_addc_u32 s0, s5, s1
	s_and_b32 s21, s0, 0xffff
	s_movk_i32 s60, 0x80
	buffer_load_dwordx4 v[6:9], v5, s[20:23], 0 offen
	buffer_load_dwordx4 v[10:13], v5, s[20:23], s60 offen
	buffer_load_dwordx4 v[14:17], v4, s[20:23], 0 offen
	buffer_load_dwordx4 v[18:21], v4, s[20:23], s60 offen
	v_and_b32_e32 v4, 6, v0
	v_lshlrev_b32_e32 v22, 2, v62
	v_lshlrev_b32_e32 v23, 3, v62
	v_xor_b32_e32 v25, v67, v4
	v_and_b32_e32 v5, 1, v0
	s_mul_i32 s24, s24, s12
	s_mul_hi_u32 s0, s51, s12
	v_lshl_or_b32 v23, v65, 5, v23
	v_xor_b32_e32 v26, v65, v22
	v_lshlrev_b32_e32 v25, 2, v25
	v_or_b32_e32 v73, 0x9000, v23
	v_or_b32_e32 v74, 0x9800, v23
	v_lshlrev_b32_e32 v23, 1, v26
	v_xor_b32_e32 v26, 0x440, v25
	v_cmp_eq_u32_e32 vcc, 0, v5
	s_add_i32 s65, s0, s24
	s_add_i32 s0, s44, s33
	v_cndmask_b32_e32 v5, v26, v25, vcc
	s_add_i32 s1, s46, s45
	s_add_i32 s35, s0, s48
	s_mov_b32 s63, 0x1000504
	v_lshlrev_b32_e32 v24, 8, v62
	s_mov_b32 s20, 0x8000
	v_xor_b32_e32 v22, v66, v22
	v_lshl_or_b32 v4, v4, 10, v5
	s_add_i32 s31, s1, s47
	s_lshl_b64 s[0:1], s[34:35], 2
	s_mov_b32 s64, 0x3020706
	v_lshlrev_b32_e32 v22, 1, v22
	v_or3_b32 v75, v23, v24, s20
	v_xor_b32_e32 v5, 8, v4
	v_xor_b32_e32 v23, 24, v4
	;; [unrolled: 1-line block ×4, first 2 shown]
	s_add_u32 s21, s10, s0
	v_or3_b32 v76, v22, v24, s20
	v_xor_b32_e32 v22, 16, v4
	v_xor_b32_e32 v24, 32, v4
	v_xor_b32_e32 v26, 48, v4
	v_add_u32_e32 v5, 0x80, v5
	v_add_u32_e32 v23, 0x80, v23
	;; [unrolled: 1-line block ×4, first 2 shown]
	s_addc_u32 s22, s11, s1
	s_lshl_b64 s[0:1], s[30:31], 2
	s_add_u32 s42, s21, s0
	s_movk_i32 s0, 0xf8
	s_addc_u32 s43, s22, s1
	s_ashr_i32 s37, s36, 31
	v_ashrrev_i32_e32 v47, 31, v46
	s_lshl_b32 s26, s15, 7
	s_mul_i32 s61, s51, s12
	s_mov_b32 s62, 0
	s_mov_b32 s35, 0x7060302
	s_movk_i32 s22, 0x4000
	s_mov_b32 s66, 0
	s_waitcnt vmcnt(1)
	v_perm_b32 v28, v6, v14, s63
	s_waitcnt vmcnt(0)
	v_perm_b32 v29, v10, v18, s63
	v_perm_b32 v6, v6, v14, s64
	;; [unrolled: 1-line block ×15, first 2 shown]
	ds_write2st64_b32 v4, v28, v29 offset1:32
	ds_write2st64_b32 v5, v6, v10 offset1:32
	ds_write2st64_b32 v22, v14, v18 offset0:1 offset1:33
	ds_write2st64_b32 v23, v7, v11 offset0:1 offset1:33
	;; [unrolled: 1-line block ×6, first 2 shown]
	v_or_b32_e32 v4, v1, v62
	v_lshlrev_b32_e32 v4, 3, v4
	v_lshrrev_b32_e32 v6, 5, v45
	v_and_or_b32 v6, v4, s0, v6
	v_lshlrev_b32_e32 v6, 4, v6
	v_lshrrev_b32_e32 v5, 2, v45
	v_lshlrev_b32_e32 v11, 11, v60
	v_and_b32_e32 v4, 0x78, v4
	v_or_b32_e32 v9, 32, v6
	v_and_b32_e32 v10, 12, v5
	v_and_b32_e32 v5, 0x1000, v11
	v_xor_b32_e32 v7, v6, v4
	v_lshrrev_b32_e32 v8, 1, v45
	v_xor_b32_e32 v9, v9, v4
	v_or_b32_e32 v7, v7, v5
	v_and_b32_e32 v8, 8, v8
	v_or_b32_e32 v9, v9, v5
	v_xor_b32_e32 v77, v7, v8
	v_and_b32_e32 v7, 0x78, v63
	v_xor_b32_e32 v79, v9, v8
	v_or_b32_e32 v9, 64, v6
	v_or_b32_e32 v6, 0x60, v6
	v_lshl_or_b32 v7, v61, 7, v7
	v_xor_b32_e32 v9, v9, v4
	v_xor_b32_e32 v4, v6, v4
	v_or_b32_e32 v78, 0x9000, v7
	v_or_b32_e32 v9, v9, v5
	;; [unrolled: 1-line block ×4, first 2 shown]
	v_lshrrev_b32_e32 v6, 4, v0
	v_lshlrev_b32_e32 v7, 1, v62
	v_xor_b32_e32 v80, v9, v8
	v_xor_b32_e32 v81, v4, v8
	v_or_b32_e32 v8, 1, v7
	v_xor_b32_e32 v7, v6, v7
	s_lshl_b64 s[0:1], s[36:37], 8
	v_xor_b32_e32 v8, v8, v6
	v_lshlrev_b32_e32 v7, 3, v7
	v_lshlrev_b32_e32 v6, 8, v6
	v_lshl_add_u64 v[4:5], v[46:47], 1, s[8:9]
	s_add_u32 s0, s18, s0
	v_or3_b32 v47, v7, v6, s20
	v_lshlrev_b32_e32 v7, 3, v8
	s_addc_u32 s1, s19, s1
	v_or3_b32 v83, v7, v6, s20
	v_mov_b32_e32 v7, 0
	v_lshrrev_b32_e32 v17, 1, v0
	v_lshl_add_u64 v[8:9], s[0:1], 0, v[6:7]
	v_lshlrev_b32_e32 v6, 4, v62
	s_movk_i32 s0, 0xff
	v_lshlrev_b32_e32 v16, 3, v60
	v_and_b32_e32 v17, 24, v17
	v_lshl_add_u64 v[56:57], v[8:9], 0, v[6:7]
	v_and_b32_e32 v6, 7, v0
	v_and_b32_e32 v9, 8, v0
	v_cmp_lt_u32_e32 vcc, s0, v0
	v_xor_b32_e32 v18, v16, v17
	v_lshlrev_b32_e32 v14, 3, v6
	v_lshlrev_b32_e32 v15, 7, v6
	v_cndmask_b32_e64 v6, 0, 1, vcc
	v_or_b32_e32 v19, 0x440, v18
	v_cmp_eq_u32_e32 vcc, 0, v9
	v_or_b32_e32 v21, 64, v17
	v_xor_b32_e32 v21, v16, v21
	v_cndmask_b32_e32 v9, v19, v18, vcc
	v_or_b32_e32 v19, 32, v17
	v_or_b32_e32 v17, 0x60, v17
	v_xor_b32_e32 v19, v16, v19
	v_xor_b32_e32 v16, v16, v17
	v_or_b32_e32 v20, 0x440, v19
	v_xor_b32_e32 v22, 0x440, v21
	v_xor_b32_e32 v17, 0x440, v16
	v_cndmask_b32_e32 v19, v20, v19, vcc
	v_cndmask_b32_e32 v21, v22, v21, vcc
	;; [unrolled: 1-line block ×3, first 2 shown]
	v_or_b32_e32 v9, v9, v11
	v_or_b32_e32 v19, v19, v11
	;; [unrolled: 1-line block ×4, first 2 shown]
	v_lshlrev_b32_e32 v6, 13, v6
	v_xor_b32_e32 v9, v9, v14
	v_xor_b32_e32 v19, v19, v14
	v_xor_b32_e32 v21, v21, v14
	v_xor_b32_e32 v11, v11, v14
	v_lshlrev_b32_e32 v12, 1, v3
	v_add_lshl_u32 v3, v3, s15, 1
	v_or_b32_e32 v13, 0x100, v2
	v_or_b32_e32 v8, v10, v1
	v_add_u32_e32 v18, v6, v9
	v_add_u32_e32 v20, v6, v19
	;; [unrolled: 1-line block ×4, first 2 shown]
	v_or3_b32 v10, v1, v10, 64
	v_add_u32_e32 v9, 0x2000, v9
	v_add_u32_e32 v16, 0x2000, v19
	;; [unrolled: 1-line block ×4, first 2 shown]
	v_lshlrev_b32_e32 v6, 8, v65
	v_cndmask_b32_e64 v84, v12, v2, s[2:3]
	v_cndmask_b32_e64 v85, v3, v13, s[2:3]
	v_lshl_add_u64 v[58:59], v[4:5], 0, v[6:7]
	s_add_i32 s31, s61, 63
	v_lshlrev_b32_e32 v86, 2, v8
	v_add_u32_e32 v87, v18, v15
	v_add_u32_e32 v88, v20, v15
	;; [unrolled: 1-line block ×4, first 2 shown]
	v_lshlrev_b32_e32 v91, 2, v10
	v_add_u32_e32 v92, v9, v15
	v_add_u32_e32 v93, v16, v15
	;; [unrolled: 1-line block ×4, first 2 shown]
	s_waitcnt lgkmcnt(0)
	s_barrier
.LBB524_6:                              ; =>This Inner Loop Header: Depth=1
	s_add_i32 s37, s66, 1
	s_cmp_lt_i32 s37, s52
	s_mov_b64 s[24:25], 0
	s_cselect_b64 s[2:3], -1, 0
	s_cmp_ge_i32 s37, s52
	s_mov_b64 s[20:21], 0
	s_cbranch_scc1 .LBB524_8
; %bb.7:                                ;   in Loop: Header=BB524_6 Depth=1
	s_add_i32 s0, s62, 64
	s_add_u32 s0, s16, s0
	s_addc_u32 s1, s17, 0
	s_lshl_b64 s[0:1], s[0:1], 8
	s_add_u32 s20, s6, s0
	s_addc_u32 s21, s7, s1
.LBB524_8:                              ;   in Loop: Header=BB524_6 Depth=1
	v_cndmask_b32_e64 v2, 0, 1, s[2:3]
	v_cmp_ne_u32_e64 s[0:1], 1, v2
	s_andn2_b64 vcc, exec, s[2:3]
	s_cbranch_vccnz .LBB524_10
; %bb.9:                                ;   in Loop: Header=BB524_6 Depth=1
	s_add_i32 s2, s62, 64
	s_add_u32 s2, s61, s2
	s_addc_u32 s3, s65, 0
	s_mul_i32 s24, s2, s54
	s_mul_hi_u32 s25, s2, s58
	s_add_i32 s24, s25, s24
	s_mul_i32 s3, s3, s58
	s_add_i32 s24, s24, s3
	s_mul_i32 s2, s2, s58
	s_add_u32 s2, s2, s55
	s_addc_u32 s3, s24, s59
	s_lshl_b64 s[2:3], s[2:3], 8
	s_add_u32 s24, s4, s2
	s_addc_u32 s25, s5, s3
.LBB524_10:                             ;   in Loop: Header=BB524_6 Depth=1
	v_perm_b32 v3, v55, v54, s35
	v_perm_b32 v2, v51, v50, s35
	;; [unrolled: 1-line block ×4, first 2 shown]
	ds_write_b64 v73, v[2:3]
	ds_write_b64 v74, v[4:5]
	;; [unrolled: 1-line block ×4, first 2 shown]
	s_waitcnt lgkmcnt(0)
	s_barrier
	ds_read_b64 v[10:11], v77 offset:16384
	ds_read_b64 v[12:13], v79 offset:16384
	ds_read2st64_b64 v[2:5], v78 offset1:1
	ds_read2st64_b64 v[6:9], v78 offset0:2 offset1:3
	ds_read_b64 v[14:15], v80 offset:16384
	s_waitcnt lgkmcnt(2)
	v_mfma_f32_16x16x16_bf16 a[0:3], v[10:11], v[2:3], 0
	ds_read_b64 v[2:3], v81 offset:16384
	s_add_i32 s2, s62, 63
	s_mul_i32 s3, s2, s29
	v_mfma_f32_16x16x16_bf16 a[0:3], v[12:13], v[4:5], a[0:3]
	s_mul_hi_u32 s27, s2, s28
	s_add_i32 s3, s27, s3
	s_mul_i32 s2, s2, s28
	s_waitcnt lgkmcnt(1)
	v_mfma_f32_16x16x16_bf16 a[0:3], v[14:15], v[6:7], a[0:3]
	s_lshl_b64 s[2:3], s[2:3], 2
	s_add_u32 s2, s42, s2
	s_addc_u32 s3, s43, s3
	s_waitcnt lgkmcnt(0)
	v_mfma_f32_16x16x16_bf16 a[0:3], v[2:3], v[8:9], a[0:3]
	s_and_b64 vcc, exec, s[0:1]
	v_mov_b32_e32 v98, 0
	v_mov_b32_e32 v97, 0
	;; [unrolled: 1-line block ×19, first 2 shown]
	s_cbranch_vccnz .LBB524_12
; %bb.11:                               ;   in Loop: Header=BB524_6 Depth=1
	s_and_b32 s21, s21, 0xffff
	buffer_load_dwordx4 v[14:17], v69, s[20:23], 0 offen
	buffer_load_dwordx4 v[10:13], v69, s[20:23], s60 offen
	;; [unrolled: 1-line block ×4, first 2 shown]
	v_mov_b32_e32 v97, v71
	v_mov_b32_e32 v96, v72
.LBB524_12:                             ;   in Loop: Header=BB524_6 Depth=1
	v_add_u32_e32 v24, s62, v65
	v_ashrrev_i32_e32 v18, 31, v24
	v_mul_lo_u32 v20, v18, s28
	v_mul_lo_u32 v21, v24, s29
	v_mad_u64_u32 v[18:19], s[20:21], v24, s28, 0
	v_add3_u32 v19, v19, v21, v20
	v_add_u32_e32 v20, 1, v24
	v_ashrrev_i32_e32 v21, 31, v20
	v_mul_lo_u32 v22, v21, s28
	v_mul_lo_u32 v23, v20, s29
	v_mad_u64_u32 v[20:21], s[20:21], v20, s28, 0
	v_add3_u32 v21, v21, v23, v22
	v_add_u32_e32 v22, 2, v24
	v_ashrrev_i32_e32 v23, 31, v22
	v_mul_lo_u32 v25, v23, s28
	v_mul_lo_u32 v26, v22, s29
	v_mad_u64_u32 v[22:23], s[20:21], v22, s28, 0
	v_add_u32_e32 v24, 3, v24
	v_add3_u32 v23, v23, v26, v25
	v_ashrrev_i32_e32 v25, 31, v24
	v_mul_lo_u32 v28, v25, s28
	v_mul_lo_u32 v29, v24, s29
	v_mad_u64_u32 v[24:25], s[20:21], v24, s28, 0
	s_add_u32 s20, s16, s62
	s_addc_u32 s21, s17, 0
	s_lshl_b64 s[20:21], s[20:21], 8
	v_lshl_add_u64 v[18:19], v[18:19], 2, s[42:43]
	v_lshl_add_u64 v[26:27], v[58:59], 0, s[20:21]
	;; [unrolled: 1-line block ×3, first 2 shown]
	global_load_ushort v42, v[26:27], off
	global_load_ushort v43, v[26:27], off offset:256
	global_load_ushort v44, v[26:27], off offset:512
	;; [unrolled: 1-line block ×3, first 2 shown]
	v_add3_u32 v25, v25, v29, v28
	global_load_dword v101, v[18:19], off
	v_lshl_add_u64 v[22:23], v[22:23], 2, s[42:43]
	v_lshl_add_u64 v[18:19], v[24:25], 2, s[42:43]
	global_load_dword v102, v[20:21], off
	global_load_dword v103, v[22:23], off
	;; [unrolled: 1-line block ×3, first 2 shown]
	s_load_dword s2, s[2:3], 0x0
	ds_read2st64_b64 v[26:29], v82 offset1:1
	ds_read2st64_b64 v[32:35], v82 offset0:2 offset1:3
	ds_read_b64 v[30:31], v77 offset:24576
	ds_read_b64 v[36:37], v79 offset:24576
	;; [unrolled: 1-line block ×4, first 2 shown]
	s_waitcnt lgkmcnt(0)
	v_mfma_f32_16x16x16_bf16 a[0:3], v[30:31], v[26:27], a[0:3]
	v_mov_b32_e32 v99, 0
	v_mov_b32_e32 v18, 0
	v_mov_b32_e32 v19, 0
	v_mfma_f32_16x16x16_bf16 a[0:3], v[36:37], v[28:29], a[0:3]
	v_mov_b32_e32 v20, 0
	v_mov_b32_e32 v21, 0
	v_mov_b32_e32 v22, 0
	v_mfma_f32_16x16x16_bf16 a[0:3], v[38:39], v[32:33], a[0:3]
	v_mov_b32_e32 v23, 0
	v_mov_b32_e32 v24, 0
	v_mov_b32_e32 v25, 0
	v_mfma_f32_16x16x16_bf16 a[0:3], v[40:41], v[34:35], a[0:3]
	v_mov_b32_e32 v26, 0
	v_mov_b32_e32 v27, 0
	v_mov_b32_e32 v28, 0
	v_mov_b32_e32 v29, 0
	v_mov_b32_e32 v30, 0
	;; [unrolled: 1-line block ×4, first 2 shown]
	v_accvgpr_read_b32 v37, a1
	v_accvgpr_read_b32 v35, a3
	;; [unrolled: 1-line block ×4, first 2 shown]
	s_and_b64 vcc, exec, s[0:1]
	s_waitcnt vmcnt(7)
	v_lshlrev_b32_e32 v38, 16, v42
	s_waitcnt vmcnt(6)
	v_lshlrev_b32_e32 v39, 16, v43
	;; [unrolled: 2-line block ×4, first 2 shown]
	v_pk_add_f32 v[36:37], v[38:39], v[36:37] neg_lo:[0,1] neg_hi:[0,1]
	s_waitcnt vmcnt(3)
	v_sub_f32_e32 v33, s2, v101
	v_exp_f32_e32 v42, v33
	s_waitcnt vmcnt(2)
	v_sub_f32_e32 v33, s2, v102
	s_waitcnt vmcnt(1)
	v_sub_f32_e32 v44, s2, v103
	;; [unrolled: 2-line block ×3, first 2 shown]
	v_exp_f32_e32 v43, v33
	v_exp_f32_e32 v100, v44
	v_exp_f32_e32 v101, v101
	v_pk_add_f32 v[34:35], v[40:41], v[34:35] neg_lo:[0,1] neg_hi:[0,1]
	v_pk_mul_f32 v[36:37], v[42:43], v[36:37]
	v_mov_b32_e32 v33, 0
	v_pk_mul_f32 v[34:35], v[100:101], v[34:35]
	s_nop 0
	v_perm_b32 v35, v35, v34, s35
	v_perm_b32 v34, v37, v36, s35
	ds_write_b64 v74, v[34:35]
	s_cbranch_vccnz .LBB524_14
; %bb.13:                               ;   in Loop: Header=BB524_6 Depth=1
	s_and_b32 s25, s25, 0xffff
	s_mov_b32 s27, s23
	buffer_load_dwordx4 v[30:33], v84, s[24:27], 0 offen
	buffer_load_dwordx4 v[22:25], v84, s[24:27], s60 offen
	;; [unrolled: 1-line block ×4, first 2 shown]
	v_mov_b32_e32 v98, v68
	v_mov_b32_e32 v99, v67
.LBB524_14:                             ;   in Loop: Header=BB524_6 Depth=1
	s_waitcnt lgkmcnt(0)
	s_barrier
	ds_read_b64 v[34:35], v87
	ds_read_b64 v[40:41], v88
	ds_read2st64_b64 v[36:39], v82 offset1:1
	ds_read2st64_b64 v[100:103], v82 offset0:2 offset1:3
	ds_read_b64 v[42:43], v89
	ds_read_b64 v[108:109], v90
	s_add_i32 s3, s56, s66
	s_mul_hi_i32 s21, s3, s13
	s_mul_i32 s3, s3, s13
	s_waitcnt lgkmcnt(3)
	v_mfma_f32_16x16x16_bf16 a[0:3], v[34:35], v[36:37], 0
	ds_read_b64 v[34:35], v92
	s_add_u32 s20, s3, s49
	s_addc_u32 s21, s21, s53
	s_add_i32 s3, s31, s62
	v_mfma_f32_16x16x16_bf16 a[0:3], v[40:41], v[38:39], a[0:3]
	ds_read_b64 v[40:41], v93
	s_lshl_b64 s[20:21], s[20:21], 15
	s_mul_hi_i32 s25, s3, s13
	s_mul_i32 s3, s3, s13
	s_add_u32 s24, s3, s49
	s_addc_u32 s25, s25, s53
	s_lshl_b64 s[24:25], s[24:25], 9
	s_add_u32 s24, s40, s24
	s_waitcnt lgkmcnt(1)
	v_mfma_f32_16x16x16_bf16 a[4:7], v[34:35], v[36:37], 0
	s_addc_u32 s25, s41, s25
	s_and_b64 vcc, exec, s[0:1]
	v_mfma_f32_16x16x16_bf16 a[0:3], v[42:43], v[100:101], a[0:3]
	ds_read_b64 v[42:43], v94
	ds_read_b64 v[110:111], v95
	global_load_dwordx4 v[34:37], v91, s[24:25]
	s_waitcnt lgkmcnt(2)
	v_mfma_f32_16x16x16_bf16 a[4:7], v[40:41], v[38:39], a[4:7]
	global_load_dwordx4 v[38:41], v86, s[24:25]
	ds_read_b64 v[104:105], v47
	ds_read_b64 v[106:107], v83
	s_waitcnt lgkmcnt(3)
	v_mfma_f32_16x16x16_bf16 a[8:11], v[42:43], v[100:101], a[4:7]
	v_lshl_add_u64 v[42:43], v[56:57], 0, s[20:21]
	s_waitcnt lgkmcnt(0)
	global_store_dwordx4 v[42:43], v[104:107], off
	v_mfma_f32_16x16x16_bf16 a[4:7], v[108:109], v[102:103], a[0:3]
	s_waitcnt vmcnt(2)
	v_mov_b32_e32 v44, v37
	v_mfma_f32_16x16x16_bf16 a[0:3], v[110:111], v[102:103], a[8:11]
	v_mov_b32_e32 v43, v36
	v_mov_b32_e32 v42, v35
	s_cbranch_vccnz .LBB524_16
; %bb.15:                               ;   in Loop: Header=BB524_6 Depth=1
	v_lshrrev_b32_e32 v35, 3, v98
	v_and_b32_e32 v35, 6, v35
	v_xor_b32_e32 v36, v35, v99
	v_lshlrev_b32_e32 v36, 2, v36
	v_and_b32_e32 v37, 8, v98
	v_xor_b32_e32 v98, 0x440, v36
	v_cmp_eq_u32_e32 vcc, 0, v37
	v_perm_b32 v37, v22, v18, s63
	s_nop 0
	v_cndmask_b32_e32 v36, v98, v36, vcc
	v_lshl_or_b32 v35, v35, 10, v36
	v_perm_b32 v36, v30, v26, s63
	s_barrier
	ds_write2st64_b32 v35, v36, v37 offset1:32
	v_xor_b32_e32 v36, 8, v35
	v_perm_b32 v26, v30, v26, s64
	v_perm_b32 v18, v22, v18, s64
	v_add_u32_e32 v22, 0x80, v36
	ds_write2st64_b32 v22, v26, v18 offset1:32
	v_xor_b32_e32 v18, 16, v35
	v_perm_b32 v22, v31, v27, s63
	v_perm_b32 v26, v23, v19, s63
	ds_write2st64_b32 v18, v22, v26 offset0:1 offset1:33
	v_xor_b32_e32 v18, 24, v35
	v_perm_b32 v22, v31, v27, s64
	v_perm_b32 v19, v23, v19, s64
	v_add_u32_e32 v18, 0x80, v18
	ds_write2st64_b32 v18, v22, v19 offset0:1 offset1:33
	v_xor_b32_e32 v18, 32, v35
	v_perm_b32 v19, v32, v28, s63
	v_perm_b32 v22, v24, v20, s63
	ds_write2st64_b32 v18, v19, v22 offset0:2 offset1:34
	v_xor_b32_e32 v18, 40, v35
	v_perm_b32 v19, v32, v28, s64
	v_perm_b32 v20, v24, v20, s64
	v_add_u32_e32 v18, 0x80, v18
	ds_write2st64_b32 v18, v19, v20 offset0:2 offset1:34
	;; [unrolled: 9-line block ×3, first 2 shown]
	ds_write_b64 v97, v[14:15] offset:16384
	v_xor_b32_e32 v14, 8, v97
	ds_write_b64 v14, v[16:17] offset:16384
	ds_write_b64 v97, v[10:11] offset:24576
	;; [unrolled: 1-line block ×4, first 2 shown]
	v_xor_b32_e32 v6, 8, v96
	ds_write_b64 v6, v[8:9] offset:16384
	ds_write_b64 v96, v[2:3] offset:24576
	;; [unrolled: 1-line block ×3, first 2 shown]
.LBB524_16:                             ;   in Loop: Header=BB524_6 Depth=1
	v_exp_f32_e32 v10, s2
	s_waitcnt vmcnt(1)
	v_exp_f32_e32 v12, v38
	v_exp_f32_e32 v13, v39
	;; [unrolled: 1-line block ×4, first 2 shown]
	v_accvgpr_read_b32 v2, a4
	v_accvgpr_read_b32 v3, a5
	v_pk_mul_f32 v[12:13], v[10:11], v[12:13] op_sel_hi:[0,1]
	v_pk_fma_f32 v[50:51], v[50:51], v[12:13], v[2:3]
	v_exp_f32_e32 v12, v34
	v_exp_f32_e32 v13, v42
	v_pk_mul_f32 v[2:3], v[10:11], v[14:15] op_sel_hi:[0,1]
	v_exp_f32_e32 v14, v43
	v_exp_f32_e32 v15, v44
	v_accvgpr_read_b32 v4, a6
	v_accvgpr_read_b32 v5, a7
	;; [unrolled: 1-line block ×5, first 2 shown]
	v_pk_fma_f32 v[54:55], v[54:55], v[2:3], v[4:5]
	v_pk_mul_f32 v[2:3], v[10:11], v[12:13] op_sel_hi:[0,1]
	v_accvgpr_read_b32 v8, a2
	v_pk_fma_f32 v[48:49], v[48:49], v[2:3], v[6:7]
	v_pk_mul_f32 v[2:3], v[10:11], v[14:15] op_sel_hi:[0,1]
	s_add_i32 s62, s62, 64
	s_cmp_eq_u32 s52, s37
	v_pk_fma_f32 v[52:53], v[52:53], v[2:3], v[8:9]
	s_cbranch_scc1 .LBB524_18
; %bb.17:                               ;   in Loop: Header=BB524_6 Depth=1
	s_mov_b32 s66, s37
	s_branch .LBB524_6
.LBB524_18:
	s_lshl_b32 s26, s52, 6
	s_sub_i32 s27, s12, s26
	s_cmp_gt_i32 s27, 0
	s_cbranch_scc0 .LBB524_75
; %bb.19:
	s_ashr_i32 s2, s26, 31
	s_cmpk_lg_i32 s15, 0x80
	s_cselect_b64 s[22:23], -1, 0
	s_and_b64 vcc, exec, s[22:23]
	s_cbranch_vccz .LBB524_21
; %bb.20:
	s_mul_i32 s1, s51, s12
	s_mul_hi_i32 s0, s51, s12
	s_add_u32 s1, s1, s26
	s_addc_u32 s0, s0, s2
	s_mul_i32 s3, s1, s54
	s_mul_hi_u32 s17, s1, s14
	s_add_i32 s3, s17, s3
	s_mul_i32 s0, s0, s14
	s_add_i32 s3, s3, s0
	s_mul_i32 s1, s1, s14
	s_ashr_i32 s0, s55, 31
	s_add_u32 s24, s1, s55
	s_addc_u32 s25, s3, s0
	s_cbranch_execz .LBB524_22
	s_branch .LBB524_23
.LBB524_21:
                                        ; implicit-def: $sgpr24_sgpr25
.LBB524_22:
	s_mul_hi_i32 s0, s51, s14
	s_mul_i32 s51, s51, s14
	s_ashr_i32 s1, s55, 31
	s_add_u32 s3, s51, s55
	s_addc_u32 s0, s0, s1
	s_mul_i32 s1, s3, s50
	s_mul_hi_u32 s14, s3, s12
	s_add_i32 s1, s14, s1
	s_mul_i32 s0, s0, s12
	s_add_i32 s1, s1, s0
	s_mul_i32 s3, s3, s12
	s_add_u32 s24, s3, s26
	s_addc_u32 s25, s1, s2
.LBB524_23:
	s_mul_i32 s0, s38, s50
	s_add_i32 s0, s57, s0
	s_add_i32 s3, s56, s52
	;; [unrolled: 1-line block ×3, first 2 shown]
	s_add_u32 s0, s16, s26
	s_addc_u32 s1, s1, s2
	s_mov_b32 s2, 0x7060302
	v_lshlrev_b32_e32 v6, 3, v62
	s_lshl_b64 s[20:21], s[0:1], 8
	v_perm_b32 v3, v55, v54, s2
	v_perm_b32 v2, v51, v50, s2
	;; [unrolled: 1-line block ×4, first 2 shown]
	v_lshlrev_b32_e32 v34, 2, v62
	v_lshl_or_b32 v6, v65, 5, v6
	s_add_u32 s0, s6, s20
	ds_write2st64_b64 v6, v[2:3], v[4:5] offset0:72 offset1:76
	v_xor_b32_e32 v6, v65, v34
	v_lshlrev_b32_e32 v7, 8, v62
	s_addc_u32 s1, s7, s21
	v_lshl_or_b32 v6, v6, 1, v7
	s_mul_hi_i32 s6, s3, s13
	s_mul_i32 s3, s3, s13
	ds_write_b64 v6, v[2:3] offset:32768
	v_xor_b32_e32 v2, v66, v34
	s_add_u32 s2, s3, s49
	v_lshl_or_b32 v2, v2, 1, v7
	s_addc_u32 s3, s6, s53
	v_lshlrev_b32_e32 v3, 1, v62
	ds_write_b64 v2, v[4:5] offset:32768
	v_lshrrev_b32_e32 v2, 4, v0
	s_ashr_i32 s37, s36, 31
	s_lshl_b64 s[2:3], s[2:3], 15
	v_or_b32_e32 v4, 1, v3
	s_add_u32 s6, s18, s2
	v_xor_b32_e32 v3, v2, v3
	v_xor_b32_e32 v4, v4, v2
	v_lshlrev_b32_e32 v6, 8, v2
	s_addc_u32 s7, s19, s3
	s_lshl_b64 s[2:3], s[36:37], 8
	v_lshl_or_b32 v2, v3, 3, v6
	v_lshl_or_b32 v4, v4, 3, v6
	s_waitcnt lgkmcnt(0)
	s_barrier
	s_add_u32 s2, s6, s2
	ds_read_b64 v[2:3], v2 offset:32768
	ds_read_b64 v[4:5], v4 offset:32768
	s_addc_u32 s3, s7, s3
	v_mov_b32_e32 v7, 0
	s_cmp_lg_u32 s27, 64
	v_lshl_add_u64 v[8:9], s[2:3], 0, v[6:7]
	v_lshlrev_b32_e32 v6, 4, v62
	s_cselect_b64 s[6:7], -1, 0
	v_lshl_or_b32 v35, v60, 3, v64
	s_mov_b32 s16, 0
	v_lshl_add_u64 v[6:7], v[8:9], 0, v[6:7]
	v_or_b32_e32 v19, 32, v35
	v_and_b32_e32 v18, 56, v63
	s_and_b64 vcc, exec, s[6:7]
	s_waitcnt lgkmcnt(0)
	global_store_dwordx4 v[6:7], v[2:5], off
	s_cbranch_vccz .LBB524_29
; %bb.24:
	s_mov_b32 s17, s16
	s_mov_b32 s18, s16
	;; [unrolled: 1-line block ×3, first 2 shown]
	v_mov_b64_e32 v[6:7], s[16:17]
	v_mov_b64_e32 v[8:9], s[18:19]
	;; [unrolled: 1-line block ×3, first 2 shown]
	v_cmp_gt_i32_e32 vcc, s27, v35
	v_mov_b64_e32 v[4:5], v[8:9]
	s_and_saveexec_b64 s[2:3], vcc
	s_cbranch_execz .LBB524_26
; %bb.25:
	v_lshlrev_b32_e32 v2, 8, v35
	v_mov_b32_e32 v3, 0
	v_lshl_add_u64 v[4:5], s[0:1], 0, v[2:3]
	v_lshlrev_b32_e32 v2, 1, v18
	v_lshl_add_u64 v[10:11], v[4:5], 0, v[2:3]
	global_load_dwordx4 v[6:9], v[10:11], off
	global_load_dwordx4 v[2:5], v[10:11], off offset:128
.LBB524_26:
	s_or_b64 exec, exec, s[2:3]
	s_mov_b32 s17, s16
	s_mov_b32 s18, s16
	;; [unrolled: 1-line block ×3, first 2 shown]
	v_mov_b64_e32 v[14:15], s[16:17]
	v_mov_b64_e32 v[16:17], s[18:19]
	;; [unrolled: 1-line block ×3, first 2 shown]
	v_cmp_gt_i32_e32 vcc, s27, v19
	v_lshlrev_b32_e32 v20, 7, v19
	v_mov_b64_e32 v[12:13], v[16:17]
	s_and_saveexec_b64 s[2:3], vcc
	s_cbranch_execz .LBB524_28
; %bb.27:
	v_lshlrev_b32_e32 v10, 1, v20
	v_mov_b32_e32 v11, 0
	v_lshl_add_u64 v[12:13], s[0:1], 0, v[10:11]
	v_lshlrev_b32_e32 v10, 1, v18
	v_lshl_add_u64 v[22:23], v[12:13], 0, v[10:11]
	global_load_dwordx4 v[14:17], v[22:23], off
	global_load_dwordx4 v[10:13], v[22:23], off offset:128
.LBB524_28:
	s_or_b64 exec, exec, s[2:3]
	v_lshrrev_b32_e32 v21, 3, v18
	v_lshlrev_b32_e32 v22, 3, v35
	v_or_b32_e32 v21, v22, v21
	v_lshlrev_b32_e32 v21, 4, v21
	v_and_b32_e32 v22, 0x78, v22
	v_xor_b32_e32 v21, v21, v22
	s_branch .LBB524_31
.LBB524_29:
                                        ; implicit-def: $vgpr21
                                        ; implicit-def: $vgpr20
                                        ; implicit-def: $vgpr6_vgpr7_vgpr8_vgpr9
                                        ; implicit-def: $vgpr2_vgpr3_vgpr4_vgpr5
                                        ; implicit-def: $vgpr14_vgpr15_vgpr16_vgpr17
                                        ; implicit-def: $vgpr10_vgpr11_vgpr12_vgpr13
	s_cbranch_execz .LBB524_31
; %bb.30:
	s_waitcnt vmcnt(0)
	v_lshlrev_b32_e32 v2, 1, v18
	v_lshl_or_b32 v20, v35, 8, v2
	s_and_b32 s1, s1, 0xffff
	s_mov_b32 s3, 0x20000
	s_movk_i32 s2, 0x4000
	v_lshl_or_b32 v21, v19, 8, v2
	s_movk_i32 s13, 0x80
	buffer_load_dwordx4 v[6:9], v20, s[0:3], 0 offen
	buffer_load_dwordx4 v[2:5], v20, s[0:3], s13 offen
	;; [unrolled: 1-line block ×4, first 2 shown]
	v_lshrrev_b32_e32 v20, 3, v18
	v_lshlrev_b32_e32 v21, 3, v35
	v_or_b32_e32 v20, v21, v20
	v_lshlrev_b32_e32 v20, 4, v20
	v_and_b32_e32 v21, 0x78, v21
	v_xor_b32_e32 v21, v20, v21
	v_lshlrev_b32_e32 v20, 7, v19
.LBB524_31:
	s_lshl_b64 s[0:1], s[24:25], 8
	s_add_u32 s4, s4, s0
	s_movk_i32 s0, 0x1000
	v_and_or_b32 v19, v20, s0, v21
	s_waitcnt vmcnt(1)
	ds_write_b64 v21, v[6:7] offset:16384
	v_xor_b32_e32 v6, 8, v21
	ds_write_b64 v6, v[8:9] offset:16384
	s_waitcnt vmcnt(0)
	ds_write_b64 v21, v[2:3] offset:24576
	ds_write_b64 v6, v[4:5] offset:24576
	;; [unrolled: 1-line block ×3, first 2 shown]
	v_xor_b32_e32 v2, 8, v19
	ds_write_b64 v2, v[16:17] offset:16384
	ds_write_b64 v19, v[10:11] offset:24576
	;; [unrolled: 1-line block ×3, first 2 shown]
	v_or_b32_e32 v2, v1, v62
	s_addc_u32 s5, s5, s1
	s_add_i32 s0, s12, -1
	v_lshlrev_b32_e32 v2, 3, v2
	v_lshrrev_b32_e32 v4, 5, v45
	s_movk_i32 s12, 0xf8
	v_and_or_b32 v4, v2, s12, v4
	v_lshlrev_b32_e32 v3, 11, v60
	v_lshlrev_b32_e32 v12, 4, v4
	v_and_b32_e32 v13, 0x78, v2
	v_and_b32_e32 v14, 0x1000, v3
	v_lshlrev_b32_e32 v3, 2, v0
	v_xor_b32_e32 v2, v12, v13
	v_lshrrev_b32_e32 v4, 1, v45
	v_and_b32_e32 v3, 60, v3
	v_or_b32_e32 v2, v2, v14
	v_and_b32_e32 v15, 8, v4
	v_xor_b32_e32 v26, v2, v15
	v_lshl_or_b32 v2, v61, 6, v3
	v_lshlrev_b32_e32 v19, 1, v2
	v_or_b32_e32 v2, 32, v12
	v_xor_b32_e32 v2, v2, v13
	s_waitcnt lgkmcnt(0)
	s_barrier
	ds_read_b64 v[10:11], v26 offset:16384
	v_or_b32_e32 v2, v2, v14
	v_xor_b32_e32 v27, v2, v15
	v_or_b32_e32 v2, 64, v12
	v_xor_b32_e32 v2, v2, v13
	v_or_b32_e32 v2, v2, v14
	v_or_b32_e32 v12, 0x60, v12
	v_xor_b32_e32 v28, v2, v15
	ds_read2st64_b64 v[2:5], v19 offset0:72 offset1:73
	ds_read2st64_b64 v[6:9], v19 offset0:74 offset1:75
	v_xor_b32_e32 v16, v12, v13
	ds_read_b64 v[12:13], v27 offset:16384
	s_add_i32 s1, s44, s33
	s_waitcnt lgkmcnt(2)
	v_mfma_f32_16x16x16_bf16 a[0:3], v[10:11], v[2:3], 0
	s_add_i32 s35, s1, s48
	s_add_i32 s1, s46, s45
	;; [unrolled: 1-line block ×3, first 2 shown]
	s_ashr_i32 s1, s0, 31
	s_mul_i32 s2, s0, s29
	s_mul_hi_u32 s3, s0, s28
	s_add_i32 s2, s3, s2
	s_mul_i32 s1, s1, s28
	v_or_b32_e32 v14, v16, v14
	s_add_i32 s1, s2, s1
	s_lshl_b64 s[2:3], s[34:35], 2
	v_xor_b32_e32 v36, v14, v15
	ds_read_b64 v[14:15], v28 offset:16384
	ds_read_b64 v[16:17], v36 offset:16384
	s_waitcnt lgkmcnt(2)
	v_mfma_f32_16x16x16_bf16 a[0:3], v[12:13], v[4:5], a[0:3]
	s_add_u32 s10, s10, s2
	s_addc_u32 s11, s11, s3
	s_lshl_b64 s[2:3], s[30:31], 2
	s_mul_i32 s0, s0, s28
	s_add_u32 s10, s10, s2
	s_addc_u32 s11, s11, s3
	s_lshl_b64 s[0:1], s[0:1], 2
	s_waitcnt lgkmcnt(1)
	v_mfma_f32_16x16x16_bf16 a[0:3], v[14:15], v[6:7], a[0:3]
	s_add_u32 s0, s10, s0
	s_addc_u32 s1, s11, s1
	s_load_dword s12, s[0:1], 0x0
	s_waitcnt lgkmcnt(0)
	v_mfma_f32_16x16x16_bf16 a[0:3], v[16:17], v[8:9], a[0:3]
	s_and_b64 vcc, exec, s[22:23]
	s_cbranch_vccz .LBB524_42
; %bb.32:
	v_lshlrev_b32_e32 v20, 1, v35
	s_and_b64 vcc, exec, s[6:7]
	s_cbranch_vccz .LBB524_43
; %bb.33:
	v_cmp_gt_i32_e32 vcc, s27, v20
	v_mov_b32_e32 v6, 0
	v_mov_b32_e32 v2, 0
	;; [unrolled: 1-line block ×5, first 2 shown]
	s_and_saveexec_b64 s[0:1], vcc
	s_cbranch_execz .LBB524_35
; %bb.34:
	v_mad_i64_i32 v[2:3], s[2:3], s15, v20, 0
	v_lshl_add_u64 v[2:3], v[2:3], 1, s[4:5]
	v_lshlrev_b32_e32 v4, 1, v18
	v_mov_b32_e32 v5, 0
	v_lshl_add_u64 v[2:3], v[2:3], 0, v[4:5]
	global_load_dwordx4 v[2:5], v[2:3], off
.LBB524_35:
	s_or_b64 exec, exec, s[0:1]
	v_or_b32_e32 v21, 1, v20
	v_cmp_gt_i32_e64 s[0:1], s27, v21
	v_mov_b32_e32 v7, 0
	v_mov_b32_e32 v8, 0
	;; [unrolled: 1-line block ×3, first 2 shown]
	s_and_saveexec_b64 s[2:3], s[0:1]
	s_cbranch_execz .LBB524_37
; %bb.36:
	v_mad_i64_i32 v[6:7], s[16:17], s15, v21, 0
	v_lshl_add_u64 v[6:7], v[6:7], 1, s[4:5]
	v_lshlrev_b32_e32 v8, 1, v18
	v_mov_b32_e32 v9, 0
	v_lshl_add_u64 v[6:7], v[6:7], 0, v[8:9]
	global_load_dwordx4 v[6:9], v[6:7], off
.LBB524_37:
	s_or_b64 exec, exec, s[2:3]
	v_mov_b32_e32 v17, 0
	v_mov_b32_e32 v10, 0
	;; [unrolled: 1-line block ×5, first 2 shown]
	s_and_saveexec_b64 s[2:3], vcc
	s_cbranch_execz .LBB524_39
; %bb.38:
	v_mad_i64_i32 v[10:11], s[16:17], s15, v20, 0
	v_lshl_add_u64 v[10:11], v[10:11], 1, s[4:5]
	v_lshlrev_b32_e32 v12, 1, v18
	v_mov_b32_e32 v13, 0
	v_lshl_add_u64 v[10:11], v[10:11], 0, v[12:13]
	global_load_dwordx4 v[10:13], v[10:11], off offset:128
.LBB524_39:
	s_or_b64 exec, exec, s[2:3]
	v_mov_b32_e32 v16, 0
	v_mov_b32_e32 v15, 0
	;; [unrolled: 1-line block ×3, first 2 shown]
	s_and_saveexec_b64 s[2:3], s[0:1]
	s_cbranch_execz .LBB524_41
; %bb.40:
	v_mad_i64_i32 v[14:15], s[0:1], s15, v21, 0
	v_lshl_add_u64 v[14:15], v[14:15], 1, s[4:5]
	v_lshlrev_b32_e32 v16, 1, v18
	v_mov_b32_e32 v17, 0
	v_lshl_add_u64 v[14:15], v[14:15], 0, v[16:17]
	global_load_dwordx4 v[14:17], v[14:15], off offset:128
.LBB524_41:
	s_or_b64 exec, exec, s[2:3]
	s_branch .LBB524_45
.LBB524_42:
                                        ; implicit-def: $vgpr5
                                        ; implicit-def: $vgpr9
                                        ; implicit-def: $vgpr13
                                        ; implicit-def: $vgpr17
	v_lshrrev_b32_e32 v37, 2, v45
	s_branch .LBB524_46
.LBB524_43:
                                        ; implicit-def: $vgpr5
                                        ; implicit-def: $vgpr9
                                        ; implicit-def: $vgpr13
                                        ; implicit-def: $vgpr17
	s_cbranch_execz .LBB524_45
; %bb.44:
	s_waitcnt vmcnt(0)
	v_mad_u64_u32 v[2:3], s[0:1], v20, s15, v[18:19]
	v_lshlrev_b32_e32 v20, 1, v2
	s_lshl_b32 s2, s15, 7
	s_and_b32 s1, s5, 0xffff
	s_mov_b32 s3, 0x20000
	s_mov_b32 s0, s4
	v_add_lshl_u32 v21, v2, s15, 1
	s_movk_i32 s13, 0x80
	buffer_load_dwordx4 v[2:5], v20, s[0:3], 0 offen
	buffer_load_dwordx4 v[10:13], v20, s[0:3], s13 offen
	;; [unrolled: 1-line block ×4, first 2 shown]
.LBB524_45:
	v_lshrrev_b32_e32 v37, 2, v45
	s_cbranch_execnz .LBB524_58
.LBB524_46:
	s_and_b64 vcc, exec, s[6:7]
	s_cbranch_vccz .LBB524_56
; %bb.47:
	s_waitcnt vmcnt(0)
	v_lshlrev_b32_e32 v7, 1, v35
	v_cmp_gt_i32_e32 vcc, s27, v7
	v_mov_b32_e32 v6, 0
	v_lshlrev_b32_e32 v14, 9, v35
	v_mov_b32_e32 v2, 0
	v_mov_b32_e32 v3, 0
	;; [unrolled: 1-line block ×4, first 2 shown]
	s_and_saveexec_b64 s[0:1], vcc
	s_cbranch_execz .LBB524_49
; %bb.48:
	v_mov_b32_e32 v15, 0
	v_lshl_add_u64 v[2:3], s[4:5], 0, v[14:15]
	v_lshlrev_b32_e32 v4, 1, v18
	v_mov_b32_e32 v5, v15
	v_lshl_add_u64 v[2:3], v[2:3], 0, v[4:5]
	global_load_dwordx4 v[2:5], v[2:3], off
.LBB524_49:
	s_or_b64 exec, exec, s[0:1]
	v_or_b32_e32 v7, 1, v7
	v_cmp_gt_i32_e64 s[0:1], s27, v7
	v_lshlrev_b32_e32 v20, 8, v7
	v_mov_b32_e32 v7, 0
	v_mov_b32_e32 v8, 0
	;; [unrolled: 1-line block ×3, first 2 shown]
	s_and_saveexec_b64 s[2:3], s[0:1]
	s_cbranch_execz .LBB524_51
; %bb.50:
	v_mov_b32_e32 v21, 0
	v_lshl_add_u64 v[6:7], s[4:5], 0, v[20:21]
	v_lshlrev_b32_e32 v8, 1, v18
	v_mov_b32_e32 v9, v21
	v_lshl_add_u64 v[6:7], v[6:7], 0, v[8:9]
	global_load_dwordx4 v[6:9], v[6:7], off
.LBB524_51:
	s_or_b64 exec, exec, s[2:3]
	v_mov_b32_e32 v17, 0
	v_mov_b32_e32 v10, 0
	v_mov_b32_e32 v11, 0
	v_mov_b32_e32 v12, 0
	v_mov_b32_e32 v13, 0
	s_and_saveexec_b64 s[2:3], vcc
	s_cbranch_execz .LBB524_53
; %bb.52:
	v_mov_b32_e32 v15, 0
	v_lshl_add_u64 v[10:11], s[4:5], 0, v[14:15]
	v_lshlrev_b32_e32 v14, 1, v18
	v_lshl_add_u64 v[10:11], v[10:11], 0, v[14:15]
	global_load_dwordx4 v[10:13], v[10:11], off offset:128
.LBB524_53:
	s_or_b64 exec, exec, s[2:3]
	v_mov_b32_e32 v16, 0
	v_mov_b32_e32 v15, 0
	;; [unrolled: 1-line block ×3, first 2 shown]
	s_and_saveexec_b64 s[2:3], s[0:1]
	s_cbranch_execz .LBB524_55
; %bb.54:
	v_mov_b32_e32 v21, 0
	v_lshl_add_u64 v[14:15], s[4:5], 0, v[20:21]
	v_lshlrev_b32_e32 v20, 1, v18
	v_lshl_add_u64 v[14:15], v[14:15], 0, v[20:21]
	global_load_dwordx4 v[14:17], v[14:15], off offset:128
.LBB524_55:
	s_or_b64 exec, exec, s[2:3]
	s_branch .LBB524_58
.LBB524_56:
                                        ; implicit-def: $vgpr5
                                        ; implicit-def: $vgpr9
                                        ; implicit-def: $vgpr13
                                        ; implicit-def: $vgpr17
	s_cbranch_execz .LBB524_58
; %bb.57:
	s_waitcnt vmcnt(0)
	v_lshlrev_b32_e32 v2, 1, v18
	v_lshl_or_b32 v18, v35, 9, v2
	s_and_b32 s5, s5, 0xffff
	s_mov_b32 s7, 0x20000
	s_movk_i32 s6, 0x4000
	s_movk_i32 s0, 0x80
	buffer_load_dwordx4 v[2:5], v18, s[4:7], 0 offen
	buffer_load_dwordx4 v[6:9], v18, s[4:7], 0 offen offset:256
	buffer_load_dwordx4 v[10:13], v18, s[4:7], s0 offen
	buffer_load_dwordx4 v[14:17], v18, s[4:7], s0 offen offset:256
.LBB524_58:
	ds_read2st64_b64 v[22:25], v19 offset0:76 offset1:77
	ds_read2st64_b64 v[18:21], v19 offset0:78 offset1:79
	ds_read_b64 v[30:31], v26 offset:24576
	ds_read_b64 v[32:33], v27 offset:24576
	;; [unrolled: 1-line block ×4, first 2 shown]
	v_and_b32_e32 v36, 6, v0
	v_xor_b32_e32 v35, v35, v36
	v_lshlrev_b32_e32 v35, 2, v35
	v_and_b32_e32 v0, 1, v0
	v_xor_b32_e32 v38, 0x440, v35
	v_cmp_eq_u32_e32 vcc, 0, v0
	s_mov_b32 s0, 0x1000504
	s_mov_b32 s1, 0x3020706
	v_cndmask_b32_e32 v0, v38, v35, vcc
	v_lshl_or_b32 v0, v36, 10, v0
	s_waitcnt vmcnt(0)
	v_perm_b32 v35, v2, v6, s0
	v_perm_b32 v36, v10, v14, s0
	ds_write2st64_b32 v0, v35, v36 offset1:32
	v_xor_b32_e32 v35, 8, v0
	v_perm_b32 v2, v2, v6, s1
	v_perm_b32 v6, v10, v14, s1
	v_add_u32_e32 v10, 0x80, v35
	ds_write2st64_b32 v10, v2, v6 offset1:32
	v_xor_b32_e32 v2, 16, v0
	v_perm_b32 v6, v3, v7, s0
	v_perm_b32 v10, v11, v15, s0
	ds_write2st64_b32 v2, v6, v10 offset0:1 offset1:33
	v_xor_b32_e32 v2, 24, v0
	v_perm_b32 v3, v3, v7, s1
	v_perm_b32 v6, v11, v15, s1
	v_add_u32_e32 v2, 0x80, v2
	ds_write2st64_b32 v2, v3, v6 offset0:1 offset1:33
	v_xor_b32_e32 v2, 32, v0
	v_perm_b32 v3, v4, v8, s0
	v_perm_b32 v6, v12, v16, s0
	ds_write2st64_b32 v2, v3, v6 offset0:2 offset1:34
	v_xor_b32_e32 v2, 40, v0
	v_perm_b32 v3, v4, v8, s1
	v_perm_b32 v4, v12, v16, s1
	v_add_u32_e32 v2, 0x80, v2
	ds_write2st64_b32 v2, v3, v4 offset0:2 offset1:34
	v_xor_b32_e32 v2, 48, v0
	v_perm_b32 v3, v5, v9, s0
	v_perm_b32 v4, v13, v17, s0
	v_xor_b32_e32 v0, 56, v0
	v_and_or_b32 v6, v37, 12, v1
	ds_write2st64_b32 v2, v3, v4 offset0:3 offset1:35
	v_perm_b32 v2, v5, v9, s1
	v_perm_b32 v3, v13, v17, s1
	v_add_u32_e32 v0, 0x80, v0
	v_cmp_gt_i32_e32 vcc, s27, v6
	v_mov_b32_e32 v7, 0
	v_mov_b32_e32 v11, 0
	ds_write2st64_b32 v0, v2, v3 offset0:3 offset1:35
	s_and_saveexec_b64 s[0:1], vcc
	s_cbranch_execz .LBB524_60
; %bb.59:
	v_add_u32_e32 v0, s26, v6
	v_ashrrev_i32_e32 v1, 31, v0
	v_mul_lo_u32 v2, v1, s28
	v_mul_lo_u32 v3, v0, s29
	v_mad_u64_u32 v[0:1], s[2:3], v0, s28, 0
	v_add3_u32 v1, v1, v3, v2
	v_lshl_add_u64 v[0:1], v[0:1], 2, s[10:11]
	global_load_dword v0, v[0:1], off
	s_waitcnt vmcnt(0)
	v_sub_f32_e32 v0, s12, v0
	v_exp_f32_e32 v11, v0
.LBB524_60:
	s_or_b64 exec, exec, s[0:1]
	v_or_b32_e32 v9, 1, v6
	v_cmp_gt_i32_e64 s[0:1], s27, v9
	s_and_saveexec_b64 s[2:3], s[0:1]
	s_cbranch_execz .LBB524_62
; %bb.61:
	v_add_u32_e32 v0, s26, v9
	v_ashrrev_i32_e32 v1, 31, v0
	v_mul_lo_u32 v2, v1, s28
	v_mul_lo_u32 v3, v0, s29
	v_mad_u64_u32 v[0:1], s[4:5], v0, s28, 0
	v_add3_u32 v1, v1, v3, v2
	v_lshl_add_u64 v[0:1], v[0:1], 2, s[10:11]
	global_load_dword v0, v[0:1], off
	s_waitcnt vmcnt(0)
	v_sub_f32_e32 v0, s12, v0
	v_exp_f32_e32 v7, v0
.LBB524_62:
	s_or_b64 exec, exec, s[2:3]
	v_or_b32_e32 v10, 2, v6
	v_cmp_gt_i32_e64 s[2:3], s27, v10
	v_mov_b32_e32 v8, 0
	v_mov_b32_e32 v13, 0
	s_and_saveexec_b64 s[4:5], s[2:3]
	s_cbranch_execz .LBB524_64
; %bb.63:
	v_add_u32_e32 v0, s26, v10
	v_ashrrev_i32_e32 v1, 31, v0
	v_mul_lo_u32 v2, v1, s28
	v_mul_lo_u32 v3, v0, s29
	v_mad_u64_u32 v[0:1], s[6:7], v0, s28, 0
	v_add3_u32 v1, v1, v3, v2
	v_lshl_add_u64 v[0:1], v[0:1], 2, s[10:11]
	global_load_dword v0, v[0:1], off
	s_waitcnt vmcnt(0)
	v_sub_f32_e32 v0, s12, v0
	v_exp_f32_e32 v13, v0
.LBB524_64:
	s_or_b64 exec, exec, s[4:5]
	v_or_b32_e32 v12, 3, v6
	v_cmp_gt_i32_e64 s[4:5], s27, v12
	s_and_saveexec_b64 s[6:7], s[4:5]
	s_cbranch_execz .LBB524_66
; %bb.65:
	v_add_u32_e32 v0, s26, v12
	v_ashrrev_i32_e32 v1, 31, v0
	v_mul_lo_u32 v2, v1, s28
	v_mul_lo_u32 v3, v0, s29
	v_mad_u64_u32 v[0:1], s[14:15], v0, s28, 0
	v_add3_u32 v1, v1, v3, v2
	v_lshl_add_u64 v[0:1], v[0:1], 2, s[10:11]
	global_load_dword v0, v[0:1], off
	s_waitcnt vmcnt(0)
	v_sub_f32_e32 v0, s12, v0
	v_exp_f32_e32 v8, v0
.LBB524_66:
	s_or_b64 exec, exec, s[6:7]
	s_waitcnt lgkmcnt(11)
	v_mfma_f32_16x16x16_bf16 a[0:3], v[30:31], v[22:23], a[0:3]
	s_add_u32 s6, s8, s20
	v_ashrrev_i32_e32 v47, 31, v46
	s_addc_u32 s7, s9, s21
	s_waitcnt lgkmcnt(10)
	v_mfma_f32_16x16x16_bf16 a[0:3], v[32:33], v[24:25], a[0:3]
	v_mov_b32_e32 v14, 0
	v_lshl_add_u64 v[4:5], v[46:47], 1, s[6:7]
	v_mov_b32_e32 v15, 0
	s_waitcnt lgkmcnt(9)
	v_mfma_f32_16x16x16_bf16 a[0:3], v[28:29], v[18:19], a[0:3]
	s_waitcnt lgkmcnt(8)
	v_mfma_f32_16x16x16_bf16 a[0:3], v[26:27], v[20:21], a[0:3]
	s_nop 6
	v_accvgpr_read_b32 v0, a0
	v_accvgpr_read_b32 v1, a1
	;; [unrolled: 1-line block ×4, first 2 shown]
	s_and_saveexec_b64 s[6:7], vcc
	s_cbranch_execz .LBB524_68
; %bb.67:
	v_lshlrev_b32_e32 v16, 8, v6
	v_mov_b32_e32 v17, 0
	v_lshl_add_u64 v[16:17], v[4:5], 0, v[16:17]
	global_load_ushort v15, v[16:17], off
	s_waitcnt vmcnt(0)
	v_lshlrev_b32_e32 v15, 16, v15
	v_sub_f32_e32 v0, v15, v0
	v_mul_f32_e32 v0, v11, v0
	v_lshrrev_b32_e32 v15, 16, v0
.LBB524_68:
	s_or_b64 exec, exec, s[6:7]
	s_and_saveexec_b64 s[6:7], s[0:1]
	s_cbranch_execz .LBB524_70
; %bb.69:
	v_lshlrev_b32_e32 v16, 8, v9
	v_mov_b32_e32 v17, 0
	v_lshl_add_u64 v[16:17], v[4:5], 0, v[16:17]
	global_load_ushort v0, v[16:17], off
	s_waitcnt vmcnt(0)
	v_lshlrev_b32_e32 v0, 16, v0
	v_sub_f32_e32 v0, v0, v1
	v_mul_f32_e32 v0, v7, v0
	v_lshrrev_b32_e32 v14, 16, v0
.LBB524_70:
	s_or_b64 exec, exec, s[6:7]
	v_mov_b32_e32 v0, 0
	v_mov_b32_e32 v1, 0
	s_and_saveexec_b64 s[0:1], s[2:3]
	s_cbranch_execz .LBB524_72
; %bb.71:
	v_lshlrev_b32_e32 v10, 8, v10
	v_mov_b32_e32 v11, 0
	v_lshl_add_u64 v[10:11], v[4:5], 0, v[10:11]
	global_load_ushort v1, v[10:11], off
	s_waitcnt vmcnt(0)
	v_lshlrev_b32_e32 v1, 16, v1
	v_sub_f32_e32 v1, v1, v2
	v_mul_f32_e32 v1, v13, v1
	v_lshrrev_b32_e32 v1, 16, v1
.LBB524_72:
	s_or_b64 exec, exec, s[0:1]
	s_and_saveexec_b64 s[0:1], s[4:5]
	s_cbranch_execz .LBB524_74
; %bb.73:
	v_lshlrev_b32_e32 v10, 8, v12
	v_mov_b32_e32 v11, 0
	v_lshl_add_u64 v[4:5], v[4:5], 0, v[10:11]
	global_load_ushort v0, v[4:5], off
	s_waitcnt vmcnt(0)
	v_lshlrev_b32_e32 v0, 16, v0
	v_sub_f32_e32 v0, v0, v3
	v_mul_f32_e32 v0, v8, v0
	v_lshrrev_b32_e32 v0, 16, v0
.LBB524_74:
	s_or_b64 exec, exec, s[0:1]
	s_mov_b32 s0, 0x5040100
	v_lshlrev_b32_e32 v2, 1, v34
	v_perm_b32 v1, v0, v1, s0
	v_perm_b32 v0, v14, v15, s0
	v_lshl_or_b32 v2, v6, 5, v2
	ds_write_b64 v2, v[0:1] offset:38912
	s_waitcnt lgkmcnt(0)
	s_barrier
.LBB524_75:
	s_endpgm
	.section	.rodata,"a",@progbits
	.p2align	6, 0x0
	.amdhsa_kernel _ZN12_GLOBAL__N_139chunk_gated_delta_rule_fwd_h_hip_kernelILi16ELb1ELb0ELb0ELb0ELb1ELb1ELb1ELb1EEEvPK12hip_bfloat16S3_S3_PKfS5_PKvPS1_S8_PvPKiSB_iiiiilll
		.amdhsa_group_segment_fixed_size 40960
		.amdhsa_private_segment_fixed_size 0
		.amdhsa_kernarg_size 136
		.amdhsa_user_sgpr_count 2
		.amdhsa_user_sgpr_dispatch_ptr 0
		.amdhsa_user_sgpr_queue_ptr 0
		.amdhsa_user_sgpr_kernarg_segment_ptr 1
		.amdhsa_user_sgpr_dispatch_id 0
		.amdhsa_user_sgpr_kernarg_preload_length 0
		.amdhsa_user_sgpr_kernarg_preload_offset 0
		.amdhsa_user_sgpr_private_segment_size 0
		.amdhsa_uses_dynamic_stack 0
		.amdhsa_enable_private_segment 0
		.amdhsa_system_sgpr_workgroup_id_x 1
		.amdhsa_system_sgpr_workgroup_id_y 1
		.amdhsa_system_sgpr_workgroup_id_z 0
		.amdhsa_system_sgpr_workgroup_info 0
		.amdhsa_system_vgpr_workitem_id 0
		.amdhsa_next_free_vgpr 124
		.amdhsa_next_free_sgpr 67
		.amdhsa_accum_offset 112
		.amdhsa_reserve_vcc 1
		.amdhsa_float_round_mode_32 0
		.amdhsa_float_round_mode_16_64 0
		.amdhsa_float_denorm_mode_32 3
		.amdhsa_float_denorm_mode_16_64 3
		.amdhsa_dx10_clamp 1
		.amdhsa_ieee_mode 1
		.amdhsa_fp16_overflow 0
		.amdhsa_tg_split 0
		.amdhsa_exception_fp_ieee_invalid_op 0
		.amdhsa_exception_fp_denorm_src 0
		.amdhsa_exception_fp_ieee_div_zero 0
		.amdhsa_exception_fp_ieee_overflow 0
		.amdhsa_exception_fp_ieee_underflow 0
		.amdhsa_exception_fp_ieee_inexact 0
		.amdhsa_exception_int_div_zero 0
	.end_amdhsa_kernel
	.section	.text._ZN12_GLOBAL__N_139chunk_gated_delta_rule_fwd_h_hip_kernelILi16ELb1ELb0ELb0ELb0ELb1ELb1ELb1ELb1EEEvPK12hip_bfloat16S3_S3_PKfS5_PKvPS1_S8_PvPKiSB_iiiiilll,"axG",@progbits,_ZN12_GLOBAL__N_139chunk_gated_delta_rule_fwd_h_hip_kernelILi16ELb1ELb0ELb0ELb0ELb1ELb1ELb1ELb1EEEvPK12hip_bfloat16S3_S3_PKfS5_PKvPS1_S8_PvPKiSB_iiiiilll,comdat
.Lfunc_end524:
	.size	_ZN12_GLOBAL__N_139chunk_gated_delta_rule_fwd_h_hip_kernelILi16ELb1ELb0ELb0ELb0ELb1ELb1ELb1ELb1EEEvPK12hip_bfloat16S3_S3_PKfS5_PKvPS1_S8_PvPKiSB_iiiiilll, .Lfunc_end524-_ZN12_GLOBAL__N_139chunk_gated_delta_rule_fwd_h_hip_kernelILi16ELb1ELb0ELb0ELb0ELb1ELb1ELb1ELb1EEEvPK12hip_bfloat16S3_S3_PKfS5_PKvPS1_S8_PvPKiSB_iiiiilll
                                        ; -- End function
	.section	.AMDGPU.csdata,"",@progbits
; Kernel info:
; codeLenInByte = 7320
; NumSgprs: 73
; NumVgprs: 112
; NumAgprs: 12
; TotalNumVgprs: 124
; ScratchSize: 0
; MemoryBound: 0
; FloatMode: 240
; IeeeMode: 1
; LDSByteSize: 40960 bytes/workgroup (compile time only)
; SGPRBlocks: 9
; VGPRBlocks: 15
; NumSGPRsForWavesPerEU: 73
; NumVGPRsForWavesPerEU: 124
; AccumOffset: 112
; Occupancy: 1
; WaveLimiterHint : 1
; COMPUTE_PGM_RSRC2:SCRATCH_EN: 0
; COMPUTE_PGM_RSRC2:USER_SGPR: 2
; COMPUTE_PGM_RSRC2:TRAP_HANDLER: 0
; COMPUTE_PGM_RSRC2:TGID_X_EN: 1
; COMPUTE_PGM_RSRC2:TGID_Y_EN: 1
; COMPUTE_PGM_RSRC2:TGID_Z_EN: 0
; COMPUTE_PGM_RSRC2:TIDIG_COMP_CNT: 0
; COMPUTE_PGM_RSRC3_GFX90A:ACCUM_OFFSET: 27
; COMPUTE_PGM_RSRC3_GFX90A:TG_SPLIT: 0
	.section	.text._ZN12_GLOBAL__N_139chunk_gated_delta_rule_fwd_h_hip_kernelILi16ELb0ELb1ELb1ELb0ELb1ELb1ELb1ELb1EEEvPK12hip_bfloat16S3_S3_PKfS5_PKvPS1_S8_PvPKiSB_iiiiilll,"axG",@progbits,_ZN12_GLOBAL__N_139chunk_gated_delta_rule_fwd_h_hip_kernelILi16ELb0ELb1ELb1ELb0ELb1ELb1ELb1ELb1EEEvPK12hip_bfloat16S3_S3_PKfS5_PKvPS1_S8_PvPKiSB_iiiiilll,comdat
	.globl	_ZN12_GLOBAL__N_139chunk_gated_delta_rule_fwd_h_hip_kernelILi16ELb0ELb1ELb1ELb0ELb1ELb1ELb1ELb1EEEvPK12hip_bfloat16S3_S3_PKfS5_PKvPS1_S8_PvPKiSB_iiiiilll ; -- Begin function _ZN12_GLOBAL__N_139chunk_gated_delta_rule_fwd_h_hip_kernelILi16ELb0ELb1ELb1ELb0ELb1ELb1ELb1ELb1EEEvPK12hip_bfloat16S3_S3_PKfS5_PKvPS1_S8_PvPKiSB_iiiiilll
	.p2align	8
	.type	_ZN12_GLOBAL__N_139chunk_gated_delta_rule_fwd_h_hip_kernelILi16ELb0ELb1ELb1ELb0ELb1ELb1ELb1ELb1EEEvPK12hip_bfloat16S3_S3_PKfS5_PKvPS1_S8_PvPKiSB_iiiiilll,@function
_ZN12_GLOBAL__N_139chunk_gated_delta_rule_fwd_h_hip_kernelILi16ELb0ELb1ELb1ELb0ELb1ELb1ELb1ELb1EEEvPK12hip_bfloat16S3_S3_PKfS5_PKvPS1_S8_PvPKiSB_iiiiilll: ; @_ZN12_GLOBAL__N_139chunk_gated_delta_rule_fwd_h_hip_kernelILi16ELb0ELb1ELb1ELb0ELb1ELb1ELb1ELb1EEEvPK12hip_bfloat16S3_S3_PKfS5_PKvPS1_S8_PvPKiSB_iiiiilll
; %bb.0:
	s_load_dwordx4 s[12:15], s[0:1], 0x5c
	s_load_dwordx2 s[34:35], s[0:1], 0x40
	s_abs_i32 s22, s3
	s_ashr_i32 s21, s3, 31
	s_load_dwordx8 s[4:11], s[0:1], 0x0
	s_load_dwordx2 s[36:37], s[0:1], 0x20
	s_load_dwordx4 s[16:19], s[0:1], 0x30
	s_waitcnt lgkmcnt(0)
	s_abs_i32 s20, s13
	v_cvt_f32_u32_e32 v1, s20
	s_sub_i32 s24, 0, s20
	s_ashr_i32 s23, s13, 31
	s_xor_b32 s21, s21, s23
	v_rcp_iflag_f32_e32 v1, v1
	v_lshrrev_b32_e32 v45, 6, v0
	v_bfe_u32 v62, v0, 4, 2
	v_lshlrev_b32_e32 v60, 4, v45
	v_mul_f32_e32 v1, 0x4f7ffffe, v1
	v_cvt_u32_f32_e32 v1, v1
	v_lshlrev_b32_e32 v2, 2, v62
	v_and_b32_e32 v61, 63, v0
	v_mov_b32_e32 v49, 0
	v_readfirstlane_b32 s25, v1
	s_mul_i32 s24, s24, s25
	s_mul_hi_u32 s24, s25, s24
	s_add_i32 s25, s25, s24
	s_mul_hi_u32 s24, s22, s25
	s_mul_i32 s25, s24, s20
	s_sub_i32 s22, s22, s25
	s_add_i32 s25, s24, 1
	s_sub_i32 s26, s22, s20
	s_cmp_ge_u32 s22, s20
	s_cselect_b32 s24, s25, s24
	s_cselect_b32 s22, s26, s22
	s_add_i32 s25, s24, 1
	s_cmp_ge_u32 s22, s20
	s_cselect_b32 s22, s25, s24
	s_xor_b32 s22, s22, s21
	s_sub_i32 s52, s22, s21
	s_abs_i32 s21, s14
	v_cvt_f32_u32_e32 v1, s21
	s_ashr_i32 s51, s12, 31
	s_lshr_b32 s22, s51, 26
	s_add_i32 s22, s12, s22
	v_rcp_iflag_f32_e32 v1, v1
	s_ashr_i32 s54, s14, 31
	s_ashr_i32 s53, s22, 6
	s_xor_b32 s22, s23, s54
	v_mul_f32_e32 v1, 0x4f7ffffe, v1
	v_cvt_u32_f32_e32 v1, v1
	s_sub_i32 s23, 0, s21
	s_mul_i32 s50, s52, s13
	s_sub_i32 s33, s3, s50
	v_readfirstlane_b32 s24, v1
	s_mul_i32 s23, s23, s24
	s_mul_hi_u32 s23, s24, s23
	s_add_i32 s24, s24, s23
	s_mul_hi_u32 s23, s20, s24
	s_mul_i32 s24, s23, s21
	s_sub_i32 s20, s20, s24
	s_add_i32 s3, s12, 63
	s_add_i32 s24, s23, 1
	s_sub_i32 s25, s20, s21
	s_cmp_ge_u32 s20, s21
	s_cselect_b32 s23, s24, s23
	s_cselect_b32 s20, s25, s20
	s_add_i32 s24, s23, 1
	s_cmp_ge_u32 s20, s21
	s_cselect_b32 s20, s24, s23
	s_xor_b32 s20, s20, s22
	s_sub_i32 s24, s20, s22
	s_abs_i32 s25, s24
	v_cvt_f32_u32_e32 v1, s25
	s_load_dwordx2 s[38:39], s[0:1], 0x80
	s_load_dwordx4 s[20:23], s[0:1], 0x70
	s_xor_b32 s0, s33, s24
	s_sub_i32 s24, 0, s25
	v_rcp_iflag_f32_e32 v1, v1
	s_abs_i32 s1, s33
	s_ashr_i32 s0, s0, 31
	s_mul_i32 s48, s52, s12
	v_mul_f32_e32 v1, 0x4f7ffffe, v1
	v_cvt_u32_f32_e32 v1, v1
	v_and_b32_e32 v63, 15, v0
	s_mul_hi_i32 s56, s52, s13
	v_lshrrev_b32_e32 v65, 3, v61
	v_readfirstlane_b32 s26, v1
	s_mul_i32 s24, s24, s26
	s_mul_hi_u32 s24, s26, s24
	s_add_i32 s26, s26, s24
	s_mul_hi_u32 s24, s1, s26
	s_mul_i32 s26, s24, s25
	s_sub_i32 s1, s1, s26
	s_add_i32 s26, s24, 1
	s_sub_i32 s27, s1, s25
	s_cmp_ge_u32 s1, s25
	s_cselect_b32 s24, s26, s24
	s_cselect_b32 s1, s27, s1
	s_add_i32 s26, s24, 1
	s_cmp_ge_u32 s1, s25
	s_cselect_b32 s1, s26, s24
	s_xor_b32 s1, s1, s0
	s_sub_i32 s57, s1, s0
	s_ashr_i32 s0, s3, 31
	s_lshr_b32 s0, s0, 26
	s_add_i32 s3, s3, s0
	v_or_b32_e32 v1, v2, v60
	s_ashr_i32 s0, s3, 6
	s_lshl_b32 s2, s2, 4
	s_mul_i32 s55, s52, s0
	v_or_b32_e32 v66, 64, v1
	s_cmp_lt_i32 s12, 64
	v_lshlrev_b32_e32 v64, 3, v0
	s_waitcnt lgkmcnt(0)
	s_mul_i32 s21, s52, s21
	s_mul_hi_u32 s49, s52, s20
	s_mul_i32 s40, s52, s20
	v_mov_b32_e32 v48, v49
	v_mov_b32_e32 v51, v49
	;; [unrolled: 1-line block ×7, first 2 shown]
	s_cbranch_scc1 .LBB525_18
; %bb.1:
	s_ashr_i32 s3, s52, 31
	s_ashr_i32 s59, s33, 31
	s_add_u32 s0, s50, s33
	s_addc_u32 s1, s56, s59
	s_mul_i32 s1, s12, s1
	s_mul_hi_u32 s24, s12, s0
	s_add_i32 s43, s24, s1
	s_mul_i32 s42, s12, s0
	s_lshl_b64 s[0:1], s[42:43], 8
	v_and_b32_e32 v68, 56, v64
	s_add_u32 s24, s6, s0
	v_lshl_or_b32 v67, v45, 3, v65
	v_lshlrev_b32_e32 v3, 1, v68
	s_addc_u32 s0, s7, s1
	v_lshl_or_b32 v69, v67, 8, v3
	s_and_b32 s25, s0, 0xffff
	s_mov_b32 s27, 0x20000
	s_movk_i32 s26, 0x4000
	s_movk_i32 s0, 0x80
	v_or_b32_e32 v70, 0x2000, v69
	buffer_load_dwordx4 v[4:7], v69, s[24:27], 0 offen
	buffer_load_dwordx4 v[8:11], v69, s[24:27], s0 offen
	;; [unrolled: 1-line block ×4, first 2 shown]
	v_lshlrev_b32_e32 v20, 3, v67
	v_and_or_b32 v22, v0, 7, v20
	v_and_b32_e32 v20, 0x78, v20
	v_lshlrev_b32_e32 v22, 4, v22
	v_xor_b32_e32 v71, v22, v20
	v_mul_lo_u32 v21, v67, s15
	v_or_b32_e32 v72, 0x1000, v71
	s_cmpk_eq_i32 s15, 0x80
	s_mov_b32 s58, s14
	v_xor_b32_e32 v20, 8, v71
	v_xor_b32_e32 v22, 8, v72
	s_cselect_b64 s[0:1], -1, 0
	s_cmpk_lg_i32 s15, 0x80
	s_waitcnt vmcnt(3)
	ds_write_b64 v71, v[4:5] offset:16384
	ds_write_b64 v20, v[6:7] offset:16384
	s_waitcnt vmcnt(2)
	ds_write_b64 v71, v[8:9] offset:24576
	ds_write_b64 v20, v[10:11] offset:24576
	;; [unrolled: 3-line block ×4, first 2 shown]
	v_lshl_add_u32 v4, v21, 1, v68
	s_cbranch_scc0 .LBB525_3
; %bb.2:
	v_lshlrev_b32_e32 v6, 1, v4
	v_add_lshl_u32 v5, v4, s15, 1
	s_lshl_b32 s26, s15, 7
	v_lshl_or_b32 v3, v67, 9, v3
	s_cbranch_execz .LBB525_4
	s_branch .LBB525_5
.LBB525_3:
                                        ; implicit-def: $vgpr5
                                        ; implicit-def: $vgpr6
                                        ; implicit-def: $sgpr26
	v_lshl_or_b32 v3, v67, 9, v3
.LBB525_4:
	v_or_b32_e32 v5, 0x100, v3
	s_movk_i32 s26, 0x4000
	v_mov_b32_e32 v6, v3
.LBB525_5:
	s_mul_hi_u32 s24, s14, s12
	s_mul_i32 s25, s54, s12
	s_add_i32 s24, s24, s25
	s_mul_i32 s25, s14, s12
	s_mul_i32 s27, s25, s3
	s_mul_hi_u32 s28, s25, s52
	s_add_i32 s27, s28, s27
	s_mul_i32 s24, s24, s52
	s_add_i32 s27, s27, s24
	s_mul_i32 s25, s25, s52
	s_ashr_i32 s60, s57, 31
	s_add_u32 s24, s25, s57
	s_addc_u32 s25, s27, s60
	s_lshl_b64 s[24:25], s[24:25], 8
	s_add_u32 s24, s4, s24
	s_addc_u32 s25, s5, s25
	s_and_b32 s25, s25, 0xffff
	s_mov_b32 s27, 0x20000
	s_movk_i32 s61, 0x80
	buffer_load_dwordx4 v[8:11], v6, s[24:27], 0 offen
	buffer_load_dwordx4 v[12:15], v6, s[24:27], s61 offen
	;; [unrolled: 1-line block ×4, first 2 shown]
	v_and_b32_e32 v5, 6, v0
	s_mul_i32 s24, s3, s12
	s_mul_hi_u32 s25, s52, s12
	v_lshlrev_b32_e32 v7, 2, v63
	v_lshlrev_b32_e32 v24, 3, v63
	v_xor_b32_e32 v26, v67, v5
	v_and_b32_e32 v6, 1, v0
	s_mul_i32 s3, s3, s20
	v_lshl_or_b32 v24, v1, 5, v24
	v_xor_b32_e32 v27, v1, v7
	v_lshlrev_b32_e32 v26, 2, v26
	s_add_i32 s65, s25, s24
	s_add_i32 s24, s49, s21
	s_mul_i32 s28, s33, s23
	v_or_b32_e32 v73, 0x9000, v24
	v_or_b32_e32 v74, 0x9800, v24
	v_lshlrev_b32_e32 v24, 1, v27
	v_xor_b32_e32 v27, 0x440, v26
	v_cmp_eq_u32_e32 vcc, 0, v6
	s_add_i32 s41, s24, s3
	s_mul_hi_u32 s3, s33, s22
	v_cndmask_b32_e32 v6, v27, v26, vcc
	s_add_i32 s3, s3, s28
	s_mul_i32 s24, s59, s22
	s_mov_b32 s63, 0x1000504
	v_lshlrev_b32_e32 v25, 8, v63
	s_mov_b32 s26, 0x8000
	v_xor_b32_e32 v7, v66, v7
	v_lshl_or_b32 v5, v5, 10, v6
	s_add_i32 s25, s3, s24
	s_lshl_b64 s[28:29], s[40:41], 2
	s_mov_b32 s64, 0x3020706
	v_lshlrev_b32_e32 v7, 1, v7
	v_or3_b32 v75, v24, v25, s26
	v_xor_b32_e32 v6, 8, v5
	v_xor_b32_e32 v24, 24, v5
	;; [unrolled: 1-line block ×4, first 2 shown]
	s_mul_i32 s24, s33, s22
	s_add_u32 s3, s10, s28
	v_or3_b32 v76, v7, v25, s26
	v_xor_b32_e32 v7, 16, v5
	v_xor_b32_e32 v25, 32, v5
	;; [unrolled: 1-line block ×3, first 2 shown]
	v_add_u32_e32 v6, 0x80, v6
	v_add_u32_e32 v24, 0x80, v24
	v_add_u32_e32 v26, 0x80, v26
	v_add_u32_e32 v28, 0x80, v28
	s_addc_u32 s28, s11, s29
	s_lshl_b64 s[24:25], s[24:25], 2
	s_add_u32 s44, s3, s24
	s_movk_i32 s3, 0xf8
	s_addc_u32 s45, s28, s25
	s_lshl_b32 s30, s15, 7
	v_mov_b32_e32 v47, 0
	s_mov_b32 s62, 0
	v_add_u32_e32 v87, v60, v2
	s_mov_b32 s41, 0x7060302
	s_mov_b32 s67, 0
	v_mov_b32_e32 v52, v47
	v_mov_b32_e32 v53, v47
	;; [unrolled: 1-line block ×6, first 2 shown]
	s_waitcnt vmcnt(1)
	v_perm_b32 v29, v8, v16, s63
	s_waitcnt vmcnt(0)
	v_perm_b32 v30, v12, v20, s63
	v_perm_b32 v8, v8, v16, s64
	;; [unrolled: 1-line block ×15, first 2 shown]
	ds_write2st64_b32 v5, v29, v30 offset1:32
	ds_write2st64_b32 v6, v8, v12 offset1:32
	ds_write2st64_b32 v7, v16, v20 offset0:1 offset1:33
	ds_write2st64_b32 v24, v9, v13 offset0:1 offset1:33
	;; [unrolled: 1-line block ×6, first 2 shown]
	v_or_b32_e32 v5, v60, v63
	v_lshlrev_b32_e32 v5, 3, v5
	v_lshrrev_b32_e32 v7, 5, v61
	v_and_or_b32 v7, v5, s3, v7
	v_lshlrev_b32_e32 v7, 4, v7
	v_lshrrev_b32_e32 v6, 2, v61
	v_lshlrev_b32_e32 v11, 11, v45
	v_and_b32_e32 v5, 0x78, v5
	v_or_b32_e32 v12, 32, v7
	v_and_b32_e32 v10, 12, v6
	v_and_b32_e32 v6, 0x1000, v11
	v_lshrrev_b32_e32 v9, 1, v61
	v_xor_b32_e32 v12, v12, v5
	v_and_b32_e32 v9, 8, v9
	v_or_b32_e32 v12, v12, v6
	v_xor_b32_e32 v8, v7, v5
	v_xor_b32_e32 v79, v12, v9
	v_or_b32_e32 v12, 64, v7
	v_or_b32_e32 v7, 0x60, v7
	v_xor_b32_e32 v12, v12, v5
	v_xor_b32_e32 v5, v7, v5
	v_or_b32_e32 v5, v5, v6
	v_or_b32_e32 v12, v12, v6
	v_xor_b32_e32 v81, v5, v9
	s_ashr_i32 s3, s2, 31
	v_lshlrev_b32_e32 v5, 1, v63
	v_xor_b32_e32 v80, v12, v9
	v_lshlrev_b32_e32 v12, 1, v4
	v_add_lshl_u32 v13, v4, s15, 1
	v_lshrrev_b32_e32 v4, 4, v0
	s_lshl_b64 s[24:25], s[2:3], 8
	v_or_b32_e32 v15, 1, v5
	s_add_u32 s24, s16, s24
	v_xor_b32_e32 v5, v4, v5
	v_xor_b32_e32 v15, v15, v4
	s_addc_u32 s25, s17, s25
	v_lshlrev_b32_e32 v5, 3, v5
	v_lshlrev_b32_e32 v46, 8, v4
	v_lshlrev_b32_e32 v4, 3, v15
	v_lshrrev_b32_e32 v19, 1, v0
	v_or3_b32 v83, v5, v46, s26
	v_or3_b32 v84, v4, v46, s26
	v_lshl_add_u64 v[4:5], s[24:25], 0, v[46:47]
	v_lshlrev_b32_e32 v46, 4, v63
	s_movk_i32 s3, 0xff
	v_lshlrev_b32_e32 v18, 3, v45
	v_and_b32_e32 v19, 24, v19
	v_lshl_add_u64 v[54:55], v[4:5], 0, v[46:47]
	v_and_b32_e32 v5, 8, v0
	v_cmp_lt_u32_e32 vcc, s3, v0
	v_xor_b32_e32 v20, v18, v19
	v_or_b32_e32 v21, 0x440, v20
	v_cndmask_b32_e64 v17, 0, 1, vcc
	v_cmp_eq_u32_e32 vcc, 0, v5
	v_or_b32_e32 v23, 64, v19
	v_xor_b32_e32 v23, v18, v23
	v_cndmask_b32_e32 v5, v21, v20, vcc
	v_or_b32_e32 v21, 32, v19
	v_or_b32_e32 v19, 0x60, v19
	v_xor_b32_e32 v21, v18, v21
	v_xor_b32_e32 v18, v18, v19
	v_or_b32_e32 v22, 0x440, v21
	v_xor_b32_e32 v24, 0x440, v23
	v_xor_b32_e32 v19, 0x440, v18
	v_or_b32_e32 v8, v8, v6
	v_or_b32_e32 v6, s2, v63
	v_and_b32_e32 v4, 7, v0
	v_cndmask_b32_e32 v21, v22, v21, vcc
	v_cndmask_b32_e32 v23, v24, v23, vcc
	;; [unrolled: 1-line block ×3, first 2 shown]
	v_xor_b32_e32 v77, v8, v9
	v_and_b32_e32 v8, 0x78, v64
	v_ashrrev_i32_e32 v7, 31, v6
	v_lshlrev_b32_e32 v15, 3, v4
	v_or_b32_e32 v5, v5, v11
	v_or_b32_e32 v21, v21, v11
	;; [unrolled: 1-line block ×4, first 2 shown]
	v_lshl_or_b32 v8, v62, 7, v8
	v_lshlrev_b64 v[6:7], 1, v[6:7]
	v_lshlrev_b32_e32 v17, 13, v17
	v_xor_b32_e32 v5, v5, v15
	v_xor_b32_e32 v21, v21, v15
	v_xor_b32_e32 v23, v23, v15
	v_xor_b32_e32 v11, v11, v15
	v_or_b32_e32 v78, 0x9000, v8
	v_or_b32_e32 v82, 0x9800, v8
	v_lshl_add_u64 v[8:9], s[8:9], 0, v[6:7]
	v_lshl_add_u64 v[6:7], s[18:19], 0, v[6:7]
	v_or_b32_e32 v14, 0x100, v3
	v_lshlrev_b32_e32 v16, 7, v4
	v_or_b32_e32 v4, v10, v60
	v_add_u32_e32 v20, v17, v5
	v_add_u32_e32 v22, v17, v21
	;; [unrolled: 1-line block ×4, first 2 shown]
	v_or3_b32 v10, v60, v10, 64
	v_add_u32_e32 v5, 0x2000, v5
	v_add_u32_e32 v17, 0x2000, v21
	;; [unrolled: 1-line block ×4, first 2 shown]
	v_lshlrev_b32_e32 v46, 8, v1
	v_cndmask_b32_e64 v85, v12, v3, s[0:1]
	v_cndmask_b32_e64 v86, v13, v14, s[0:1]
	v_lshl_add_u64 v[56:57], v[8:9], 0, v[46:47]
	v_lshl_add_u64 v[58:59], v[6:7], 0, v[46:47]
	s_add_i32 s3, s48, 63
	s_movk_i32 s26, 0x4000
	v_lshlrev_b32_e32 v88, 2, v4
	v_add_u32_e32 v89, v20, v16
	v_add_u32_e32 v90, v22, v16
	;; [unrolled: 1-line block ×4, first 2 shown]
	v_lshlrev_b32_e32 v93, 2, v10
	v_add_u32_e32 v94, v5, v16
	v_add_u32_e32 v95, v17, v16
	v_add_u32_e32 v96, v18, v16
	v_add_u32_e32 v97, v11, v16
	v_mov_b32_e32 v46, v47
	s_waitcnt lgkmcnt(0)
	s_barrier
.LBB525_6:                              ; =>This Inner Loop Header: Depth=1
	s_add_i32 s66, s67, 1
	s_cmp_lt_i32 s66, s53
	s_mov_b64 s[28:29], 0
	s_cselect_b64 s[46:47], -1, 0
	s_cmp_ge_i32 s66, s53
	s_mov_b64 s[24:25], 0
	s_cbranch_scc1 .LBB525_8
; %bb.7:                                ;   in Loop: Header=BB525_6 Depth=1
	s_add_i32 s0, s62, 64
	s_add_u32 s0, s42, s0
	s_addc_u32 s1, s43, 0
	s_lshl_b64 s[0:1], s[0:1], 8
	s_add_u32 s24, s6, s0
	s_addc_u32 s25, s7, s1
.LBB525_8:                              ;   in Loop: Header=BB525_6 Depth=1
	v_cndmask_b32_e64 v2, 0, 1, s[46:47]
	v_cmp_ne_u32_e64 s[0:1], 1, v2
	s_andn2_b64 vcc, exec, s[46:47]
	s_cbranch_vccnz .LBB525_10
; %bb.9:                                ;   in Loop: Header=BB525_6 Depth=1
	s_add_i32 s28, s62, 64
	s_add_u32 s28, s48, s28
	s_addc_u32 s29, s65, 0
	s_mul_i32 s31, s28, s54
	s_mul_hi_u32 s46, s28, s58
	s_add_i32 s31, s46, s31
	s_mul_i32 s29, s29, s58
	s_add_i32 s31, s31, s29
	s_mul_i32 s28, s28, s58
	s_add_u32 s28, s28, s57
	s_addc_u32 s29, s31, s60
	s_lshl_b64 s[28:29], s[28:29], 8
	s_add_u32 s28, s4, s28
	s_addc_u32 s29, s5, s29
.LBB525_10:                             ;   in Loop: Header=BB525_6 Depth=1
	v_perm_b32 v3, v53, v52, s41
	v_perm_b32 v2, v47, v46, s41
	;; [unrolled: 1-line block ×4, first 2 shown]
	ds_write_b64 v73, v[2:3]
	ds_write_b64 v74, v[4:5]
	;; [unrolled: 1-line block ×4, first 2 shown]
	s_waitcnt lgkmcnt(0)
	s_barrier
	ds_read_b64 v[10:11], v77 offset:16384
	ds_read_b64 v[12:13], v79 offset:16384
	ds_read2st64_b64 v[2:5], v78 offset1:1
	ds_read2st64_b64 v[6:9], v78 offset0:2 offset1:3
	ds_read_b64 v[14:15], v80 offset:16384
	s_waitcnt lgkmcnt(2)
	v_mfma_f32_16x16x16_bf16 a[0:3], v[10:11], v[2:3], 0
	ds_read_b64 v[2:3], v81 offset:16384
	s_add_i32 s31, s62, 63
	s_mul_i32 s46, s31, s39
	v_mfma_f32_16x16x16_bf16 a[0:3], v[12:13], v[4:5], a[0:3]
	s_mul_hi_u32 s47, s31, s38
	s_add_i32 s47, s47, s46
	s_mul_i32 s46, s31, s38
	s_waitcnt lgkmcnt(1)
	v_mfma_f32_16x16x16_bf16 a[0:3], v[14:15], v[6:7], a[0:3]
	s_lshl_b64 s[46:47], s[46:47], 2
	s_add_u32 s46, s44, s46
	s_addc_u32 s47, s45, s47
	s_waitcnt lgkmcnt(0)
	v_mfma_f32_16x16x16_bf16 a[0:3], v[2:3], v[8:9], a[0:3]
	s_and_b64 vcc, exec, s[0:1]
	v_mov_b32_e32 v100, 0
	v_mov_b32_e32 v99, 0
	;; [unrolled: 1-line block ×19, first 2 shown]
	s_cbranch_vccnz .LBB525_12
; %bb.11:                               ;   in Loop: Header=BB525_6 Depth=1
	s_and_b32 s25, s25, 0xffff
	buffer_load_dwordx4 v[14:17], v69, s[24:27], 0 offen
	buffer_load_dwordx4 v[10:13], v69, s[24:27], s61 offen
	;; [unrolled: 1-line block ×4, first 2 shown]
	v_mov_b32_e32 v99, v71
	v_mov_b32_e32 v98, v72
.LBB525_12:                             ;   in Loop: Header=BB525_6 Depth=1
	v_add_u32_e32 v24, s62, v87
	v_ashrrev_i32_e32 v18, 31, v24
	v_mul_lo_u32 v20, v18, s38
	v_mul_lo_u32 v21, v24, s39
	v_mad_u64_u32 v[18:19], s[24:25], v24, s38, 0
	v_add3_u32 v19, v19, v21, v20
	v_add_u32_e32 v20, 1, v24
	v_ashrrev_i32_e32 v21, 31, v20
	v_mul_lo_u32 v22, v21, s38
	v_mul_lo_u32 v23, v20, s39
	v_mad_u64_u32 v[20:21], s[24:25], v20, s38, 0
	v_add3_u32 v21, v21, v23, v22
	v_add_u32_e32 v22, 2, v24
	v_ashrrev_i32_e32 v23, 31, v22
	v_mul_lo_u32 v25, v23, s38
	v_mul_lo_u32 v26, v22, s39
	v_mad_u64_u32 v[22:23], s[24:25], v22, s38, 0
	s_add_u32 s24, s42, s62
	v_add3_u32 v23, v23, v26, v25
	v_add_u32_e32 v26, 3, v24
	s_addc_u32 s25, s43, 0
	v_ashrrev_i32_e32 v24, 31, v26
	s_lshl_b64 s[68:69], s[24:25], 8
	v_lshl_add_u64 v[18:19], v[18:19], 2, s[44:45]
	v_mul_lo_u32 v27, v24, s38
	v_lshl_add_u64 v[24:25], v[56:57], 0, s[68:69]
	v_mul_lo_u32 v28, v26, s39
	global_load_ushort v38, v[24:25], off
	global_load_ushort v39, v[24:25], off offset:256
	global_load_ushort v40, v[24:25], off offset:512
	;; [unrolled: 1-line block ×3, first 2 shown]
	global_load_dword v42, v[18:19], off
	v_mad_u64_u32 v[18:19], s[24:25], v26, s38, 0
	v_lshl_add_u64 v[20:21], v[20:21], 2, s[44:45]
	v_add3_u32 v19, v19, v28, v27
	v_lshl_add_u64 v[22:23], v[22:23], 2, s[44:45]
	v_lshl_add_u64 v[18:19], v[18:19], 2, s[44:45]
	global_load_dword v43, v[20:21], off
	global_load_dword v44, v[22:23], off
	global_load_dword v102, v[18:19], off
	s_load_dword s24, s[46:47], 0x0
	ds_read_b64 v[26:27], v77 offset:24576
	ds_read2st64_b64 v[22:25], v82 offset1:1
	ds_read2st64_b64 v[28:31], v82 offset0:2 offset1:3
	ds_read_b64 v[32:33], v79 offset:24576
	ds_read_b64 v[34:35], v80 offset:24576
	;; [unrolled: 1-line block ×3, first 2 shown]
	s_waitcnt lgkmcnt(0)
	v_mfma_f32_16x16x16_bf16 a[0:3], v[26:27], v[22:23], a[0:3]
	v_mov_b32_e32 v101, 0
	v_mov_b32_e32 v18, 0
	;; [unrolled: 1-line block ×3, first 2 shown]
	v_mfma_f32_16x16x16_bf16 a[0:3], v[32:33], v[24:25], a[0:3]
	v_mov_b32_e32 v20, 0
	v_mov_b32_e32 v21, 0
	;; [unrolled: 1-line block ×3, first 2 shown]
	v_mfma_f32_16x16x16_bf16 a[0:3], v[34:35], v[28:29], a[0:3]
	v_lshl_add_u64 v[28:29], v[58:59], 0, s[68:69]
	v_mov_b32_e32 v23, 0
	v_mov_b32_e32 v24, 0
	v_mfma_f32_16x16x16_bf16 a[0:3], v[36:37], v[30:31], a[0:3]
	v_mov_b32_e32 v25, 0
	v_mov_b32_e32 v26, 0
	;; [unrolled: 1-line block ×3, first 2 shown]
	s_and_b64 vcc, exec, s[0:1]
	s_waitcnt vmcnt(7)
	v_lshlrev_b32_e32 v34, 16, v38
	s_nop 0
	v_accvgpr_read_b32 v33, a1
	v_accvgpr_read_b32 v31, a3
	;; [unrolled: 1-line block ×4, first 2 shown]
	s_waitcnt vmcnt(6)
	v_lshlrev_b32_e32 v35, 16, v39
	s_waitcnt vmcnt(4)
	v_lshlrev_b32_e32 v37, 16, v41
	v_lshlrev_b32_e32 v36, 16, v40
	s_waitcnt vmcnt(3)
	v_sub_f32_e32 v38, s24, v42
	v_pk_add_f32 v[32:33], v[34:35], v[32:33] neg_lo:[0,1] neg_hi:[0,1]
	v_pk_add_f32 v[30:31], v[36:37], v[30:31] neg_lo:[0,1] neg_hi:[0,1]
	s_waitcnt vmcnt(2)
	v_sub_f32_e32 v35, s24, v43
	s_waitcnt vmcnt(1)
	v_sub_f32_e32 v36, s24, v44
	;; [unrolled: 2-line block ×3, first 2 shown]
	v_exp_f32_e32 v34, v38
	v_exp_f32_e32 v35, v35
	;; [unrolled: 1-line block ×4, first 2 shown]
	global_store_short_d16_hi v[28:29], v32, off
	global_store_short_d16_hi v[28:29], v33, off offset:256
	global_store_short_d16_hi v[28:29], v30, off offset:512
	;; [unrolled: 1-line block ×3, first 2 shown]
	v_pk_mul_f32 v[28:29], v[34:35], v[32:33]
	v_pk_mul_f32 v[30:31], v[36:37], v[30:31]
	v_perm_b32 v28, v29, v28, s41
	v_perm_b32 v29, v31, v30, s41
	ds_write_b64 v74, v[28:29]
	v_mov_b32_e32 v28, 0
	v_mov_b32_e32 v29, 0
	;; [unrolled: 1-line block ×6, first 2 shown]
	s_cbranch_vccnz .LBB525_14
; %bb.13:                               ;   in Loop: Header=BB525_6 Depth=1
	s_and_b32 s29, s29, 0xffff
	s_mov_b32 s31, s27
	buffer_load_dwordx4 v[30:33], v85, s[28:31], 0 offen
	buffer_load_dwordx4 v[22:25], v85, s[28:31], s61 offen
	buffer_load_dwordx4 v[26:29], v86, s[28:31], 0 offen
	buffer_load_dwordx4 v[18:21], v86, s[28:31], s61 offen
	v_mov_b32_e32 v100, v68
	v_mov_b32_e32 v101, v67
.LBB525_14:                             ;   in Loop: Header=BB525_6 Depth=1
	s_waitcnt lgkmcnt(0)
	s_barrier
	ds_read_b64 v[34:35], v89
	ds_read_b64 v[40:41], v90
	ds_read2st64_b64 v[36:39], v82 offset1:1
	ds_read2st64_b64 v[102:105], v82 offset0:2 offset1:3
	ds_read_b64 v[42:43], v91
	ds_read_b64 v[110:111], v92
	s_add_i32 s25, s55, s67
	s_mul_hi_i32 s29, s25, s13
	s_mul_i32 s25, s25, s13
	s_waitcnt lgkmcnt(3)
	v_mfma_f32_16x16x16_bf16 a[0:3], v[34:35], v[36:37], 0
	ds_read_b64 v[34:35], v94
	s_add_u32 s28, s25, s33
	s_addc_u32 s29, s29, s59
	s_add_i32 s25, s3, s62
	v_mfma_f32_16x16x16_bf16 a[0:3], v[40:41], v[38:39], a[0:3]
	ds_read_b64 v[40:41], v95
	s_lshl_b64 s[28:29], s[28:29], 15
	s_mul_hi_i32 s31, s25, s13
	s_mul_i32 s25, s25, s13
	s_add_u32 s46, s25, s33
	s_addc_u32 s47, s31, s59
	s_lshl_b64 s[46:47], s[46:47], 9
	s_add_u32 s46, s36, s46
	s_waitcnt lgkmcnt(1)
	v_mfma_f32_16x16x16_bf16 a[4:7], v[34:35], v[36:37], 0
	s_addc_u32 s47, s37, s47
	s_and_b64 vcc, exec, s[0:1]
	v_mfma_f32_16x16x16_bf16 a[0:3], v[42:43], v[102:103], a[0:3]
	ds_read_b64 v[42:43], v96
	ds_read_b64 v[112:113], v97
	global_load_dwordx4 v[34:37], v93, s[46:47]
	s_waitcnt lgkmcnt(2)
	v_mfma_f32_16x16x16_bf16 a[4:7], v[40:41], v[38:39], a[4:7]
	global_load_dwordx4 v[38:41], v88, s[46:47]
	ds_read_b64 v[106:107], v83
	ds_read_b64 v[108:109], v84
	s_waitcnt lgkmcnt(3)
	v_mfma_f32_16x16x16_bf16 a[8:11], v[42:43], v[102:103], a[4:7]
	v_lshl_add_u64 v[42:43], v[54:55], 0, s[28:29]
	s_waitcnt lgkmcnt(0)
	global_store_dwordx4 v[42:43], v[106:109], off
	v_mfma_f32_16x16x16_bf16 a[4:7], v[110:111], v[104:105], a[0:3]
	s_waitcnt vmcnt(2)
	v_mov_b32_e32 v44, v37
	v_mfma_f32_16x16x16_bf16 a[0:3], v[112:113], v[104:105], a[8:11]
	v_mov_b32_e32 v43, v36
	v_mov_b32_e32 v42, v35
	s_cbranch_vccnz .LBB525_16
; %bb.15:                               ;   in Loop: Header=BB525_6 Depth=1
	v_lshrrev_b32_e32 v35, 3, v100
	v_and_b32_e32 v35, 6, v35
	v_xor_b32_e32 v36, v35, v101
	v_lshlrev_b32_e32 v36, 2, v36
	v_and_b32_e32 v37, 8, v100
	v_xor_b32_e32 v100, 0x440, v36
	v_cmp_eq_u32_e32 vcc, 0, v37
	v_perm_b32 v37, v22, v18, s63
	s_nop 0
	v_cndmask_b32_e32 v36, v100, v36, vcc
	v_lshl_or_b32 v35, v35, 10, v36
	v_perm_b32 v36, v30, v26, s63
	s_barrier
	ds_write2st64_b32 v35, v36, v37 offset1:32
	v_xor_b32_e32 v36, 8, v35
	v_perm_b32 v26, v30, v26, s64
	v_perm_b32 v18, v22, v18, s64
	v_add_u32_e32 v22, 0x80, v36
	ds_write2st64_b32 v22, v26, v18 offset1:32
	v_xor_b32_e32 v18, 16, v35
	v_perm_b32 v22, v31, v27, s63
	v_perm_b32 v26, v23, v19, s63
	ds_write2st64_b32 v18, v22, v26 offset0:1 offset1:33
	v_xor_b32_e32 v18, 24, v35
	v_perm_b32 v22, v31, v27, s64
	v_perm_b32 v19, v23, v19, s64
	v_add_u32_e32 v18, 0x80, v18
	ds_write2st64_b32 v18, v22, v19 offset0:1 offset1:33
	v_xor_b32_e32 v18, 32, v35
	v_perm_b32 v19, v32, v28, s63
	v_perm_b32 v22, v24, v20, s63
	ds_write2st64_b32 v18, v19, v22 offset0:2 offset1:34
	v_xor_b32_e32 v18, 40, v35
	v_perm_b32 v19, v32, v28, s64
	v_perm_b32 v20, v24, v20, s64
	v_add_u32_e32 v18, 0x80, v18
	ds_write2st64_b32 v18, v19, v20 offset0:2 offset1:34
	;; [unrolled: 9-line block ×3, first 2 shown]
	ds_write_b64 v99, v[14:15] offset:16384
	v_xor_b32_e32 v14, 8, v99
	ds_write_b64 v14, v[16:17] offset:16384
	ds_write_b64 v99, v[10:11] offset:24576
	;; [unrolled: 1-line block ×4, first 2 shown]
	v_xor_b32_e32 v6, 8, v98
	ds_write_b64 v6, v[8:9] offset:16384
	ds_write_b64 v98, v[2:3] offset:24576
	;; [unrolled: 1-line block ×3, first 2 shown]
.LBB525_16:                             ;   in Loop: Header=BB525_6 Depth=1
	v_exp_f32_e32 v10, s24
	s_waitcnt vmcnt(1)
	v_exp_f32_e32 v12, v38
	v_exp_f32_e32 v13, v39
	;; [unrolled: 1-line block ×4, first 2 shown]
	v_accvgpr_read_b32 v2, a4
	v_accvgpr_read_b32 v3, a5
	v_pk_mul_f32 v[12:13], v[10:11], v[12:13] op_sel_hi:[0,1]
	v_pk_fma_f32 v[46:47], v[46:47], v[12:13], v[2:3]
	v_exp_f32_e32 v12, v34
	v_exp_f32_e32 v13, v42
	v_pk_mul_f32 v[2:3], v[10:11], v[14:15] op_sel_hi:[0,1]
	v_exp_f32_e32 v14, v43
	v_exp_f32_e32 v15, v44
	v_accvgpr_read_b32 v4, a6
	v_accvgpr_read_b32 v5, a7
	;; [unrolled: 1-line block ×5, first 2 shown]
	v_pk_fma_f32 v[52:53], v[52:53], v[2:3], v[4:5]
	v_pk_mul_f32 v[2:3], v[10:11], v[12:13] op_sel_hi:[0,1]
	v_accvgpr_read_b32 v8, a2
	v_pk_fma_f32 v[50:51], v[50:51], v[2:3], v[6:7]
	v_pk_mul_f32 v[2:3], v[10:11], v[14:15] op_sel_hi:[0,1]
	s_add_i32 s62, s62, 64
	s_cmp_eq_u32 s53, s66
	v_pk_fma_f32 v[48:49], v[48:49], v[2:3], v[8:9]
	s_cbranch_scc1 .LBB525_18
; %bb.17:                               ;   in Loop: Header=BB525_6 Depth=1
	s_mov_b32 s67, s66
	s_branch .LBB525_6
.LBB525_18:
	s_lshl_b32 s46, s53, 6
	s_sub_i32 s47, s12, s46
	s_cmp_gt_i32 s47, 0
	v_or_b32_e32 v26, s2, v63
	s_cbranch_scc1 .LBB525_20
; %bb.19:
	s_ashr_i32 s0, s33, 31
	s_add_u32 s28, s50, s33
	s_addc_u32 s29, s56, s0
	v_or_b32_e32 v2, s2, v63
	s_cbranch_execz .LBB525_21
	s_branch .LBB525_77
.LBB525_20:
                                        ; implicit-def: $sgpr28_sgpr29
                                        ; implicit-def: $vgpr2
.LBB525_21:
	s_ashr_i32 s41, s52, 31
	s_ashr_i32 s3, s46, 31
	s_cmpk_lg_i32 s15, 0x80
	s_cselect_b64 s[42:43], -1, 0
	s_and_b64 vcc, exec, s[42:43]
	s_cbranch_vccz .LBB525_23
; %bb.22:
	s_mul_hi_i32 s0, s52, s12
	s_add_u32 s1, s48, s46
	s_addc_u32 s0, s0, s3
	s_mul_i32 s24, s1, s54
	s_mul_hi_u32 s25, s1, s14
	s_add_i32 s24, s25, s24
	s_mul_i32 s0, s0, s14
	s_add_i32 s24, s24, s0
	s_mul_i32 s1, s1, s14
	s_ashr_i32 s0, s57, 31
	s_add_u32 s44, s1, s57
	s_addc_u32 s45, s24, s0
	s_cbranch_execz .LBB525_24
	s_branch .LBB525_25
.LBB525_23:
                                        ; implicit-def: $sgpr44_sgpr45
.LBB525_24:
	s_mul_hi_i32 s0, s52, s14
	s_mul_i32 s52, s52, s14
	s_ashr_i32 s1, s57, 31
	s_add_u32 s14, s52, s57
	s_addc_u32 s0, s0, s1
	s_mul_i32 s1, s14, s51
	s_mul_hi_u32 s24, s14, s12
	s_add_i32 s1, s24, s1
	s_mul_i32 s0, s0, s12
	s_add_i32 s1, s1, s0
	s_mul_i32 s14, s14, s12
	s_add_u32 s44, s14, s46
	s_addc_u32 s45, s1, s3
.LBB525_25:
	s_add_i32 s24, s55, s53
	s_ashr_i32 s14, s33, 31
	s_add_u32 s28, s50, s33
	s_addc_u32 s29, s56, s14
	s_mul_i32 s0, s28, s51
	s_mul_hi_u32 s1, s28, s12
	s_add_i32 s0, s1, s0
	s_mul_i32 s1, s29, s12
	s_add_i32 s1, s0, s1
	s_mul_i32 s0, s28, s12
	s_add_u32 s0, s0, s46
	s_addc_u32 s1, s1, s3
	s_mov_b32 s3, 0x7060302
	v_lshlrev_b32_e32 v6, 3, v63
	s_lshl_b64 s[30:31], s[0:1], 8
	v_perm_b32 v3, v53, v52, s3
	v_perm_b32 v2, v47, v46, s3
	v_perm_b32 v5, v49, v48, s3
	v_perm_b32 v4, v51, v50, s3
	v_lshlrev_b32_e32 v36, 2, v63
	v_lshl_or_b32 v6, v1, 5, v6
	s_add_u32 s0, s6, s30
	ds_write2st64_b64 v6, v[2:3], v[4:5] offset0:72 offset1:76
	v_xor_b32_e32 v6, v1, v36
	v_lshlrev_b32_e32 v7, 8, v63
	s_addc_u32 s1, s7, s31
	v_lshl_or_b32 v6, v6, 1, v7
	s_mul_hi_i32 s3, s24, s13
	s_mul_i32 s24, s24, s13
	ds_write_b64 v6, v[2:3] offset:32768
	v_xor_b32_e32 v2, v66, v36
	s_add_u32 s6, s24, s33
	v_lshl_or_b32 v2, v2, 1, v7
	s_addc_u32 s7, s3, s14
	v_lshlrev_b32_e32 v3, 1, v63
	ds_write_b64 v2, v[4:5] offset:32768
	v_lshrrev_b32_e32 v2, 4, v0
	s_ashr_i32 s3, s2, 31
	s_lshl_b64 s[6:7], s[6:7], 15
	v_or_b32_e32 v4, 1, v3
	s_add_u32 s6, s16, s6
	v_xor_b32_e32 v3, v2, v3
	v_xor_b32_e32 v4, v4, v2
	v_lshlrev_b32_e32 v6, 8, v2
	s_addc_u32 s7, s17, s7
	s_lshl_b64 s[2:3], s[2:3], 8
	v_lshl_or_b32 v2, v3, 3, v6
	v_lshl_or_b32 v4, v4, 3, v6
	s_waitcnt lgkmcnt(0)
	s_barrier
	s_add_u32 s2, s6, s2
	ds_read_b64 v[2:3], v2 offset:32768
	ds_read_b64 v[4:5], v4 offset:32768
	s_addc_u32 s3, s7, s3
	v_mov_b32_e32 v7, 0
	s_cmp_lg_u32 s47, 64
	v_lshl_add_u64 v[8:9], s[2:3], 0, v[6:7]
	v_lshlrev_b32_e32 v6, 4, v63
	s_cselect_b64 s[6:7], -1, 0
	v_lshl_or_b32 v27, v45, 3, v65
	s_mov_b32 s24, 0
	v_lshl_add_u64 v[6:7], v[8:9], 0, v[6:7]
	v_or_b32_e32 v19, 32, v27
	v_and_b32_e32 v18, 56, v64
	s_and_b64 vcc, exec, s[6:7]
	s_waitcnt lgkmcnt(0)
	global_store_dwordx4 v[6:7], v[2:5], off
	s_cbranch_vccz .LBB525_31
; %bb.26:
	s_mov_b32 s25, s24
	s_mov_b32 s26, s24
	;; [unrolled: 1-line block ×3, first 2 shown]
	v_mov_b64_e32 v[6:7], s[24:25]
	v_mov_b64_e32 v[8:9], s[26:27]
	v_mov_b64_e32 v[2:3], v[6:7]
	v_cmp_gt_i32_e32 vcc, s47, v27
	v_mov_b64_e32 v[4:5], v[8:9]
	s_and_saveexec_b64 s[2:3], vcc
	s_cbranch_execz .LBB525_28
; %bb.27:
	v_lshlrev_b32_e32 v2, 8, v27
	v_mov_b32_e32 v3, 0
	v_lshl_add_u64 v[4:5], s[0:1], 0, v[2:3]
	v_lshlrev_b32_e32 v2, 1, v18
	v_lshl_add_u64 v[10:11], v[4:5], 0, v[2:3]
	global_load_dwordx4 v[6:9], v[10:11], off
	global_load_dwordx4 v[2:5], v[10:11], off offset:128
.LBB525_28:
	s_or_b64 exec, exec, s[2:3]
	s_mov_b32 s25, s24
	s_mov_b32 s26, s24
	;; [unrolled: 1-line block ×3, first 2 shown]
	v_mov_b64_e32 v[14:15], s[24:25]
	v_mov_b64_e32 v[16:17], s[26:27]
	;; [unrolled: 1-line block ×3, first 2 shown]
	v_cmp_gt_i32_e32 vcc, s47, v19
	v_lshlrev_b32_e32 v20, 7, v19
	v_mov_b64_e32 v[12:13], v[16:17]
	s_and_saveexec_b64 s[2:3], vcc
	s_cbranch_execz .LBB525_30
; %bb.29:
	v_lshlrev_b32_e32 v10, 1, v20
	v_mov_b32_e32 v11, 0
	v_lshl_add_u64 v[12:13], s[0:1], 0, v[10:11]
	v_lshlrev_b32_e32 v10, 1, v18
	v_lshl_add_u64 v[22:23], v[12:13], 0, v[10:11]
	global_load_dwordx4 v[14:17], v[22:23], off
	global_load_dwordx4 v[10:13], v[22:23], off offset:128
.LBB525_30:
	s_or_b64 exec, exec, s[2:3]
	v_lshrrev_b32_e32 v21, 3, v18
	v_lshlrev_b32_e32 v22, 3, v27
	v_or_b32_e32 v21, v22, v21
	v_lshlrev_b32_e32 v21, 4, v21
	v_and_b32_e32 v22, 0x78, v22
	v_xor_b32_e32 v21, v21, v22
	s_branch .LBB525_33
.LBB525_31:
                                        ; implicit-def: $vgpr21
                                        ; implicit-def: $vgpr20
                                        ; implicit-def: $vgpr6_vgpr7_vgpr8_vgpr9
                                        ; implicit-def: $vgpr2_vgpr3_vgpr4_vgpr5
                                        ; implicit-def: $vgpr14_vgpr15_vgpr16_vgpr17
                                        ; implicit-def: $vgpr10_vgpr11_vgpr12_vgpr13
	s_cbranch_execz .LBB525_33
; %bb.32:
	s_waitcnt vmcnt(0)
	v_lshlrev_b32_e32 v2, 1, v18
	v_lshl_or_b32 v20, v27, 8, v2
	s_and_b32 s1, s1, 0xffff
	s_mov_b32 s3, 0x20000
	s_movk_i32 s2, 0x4000
	v_lshl_or_b32 v21, v19, 8, v2
	s_movk_i32 s16, 0x80
	buffer_load_dwordx4 v[6:9], v20, s[0:3], 0 offen
	buffer_load_dwordx4 v[2:5], v20, s[0:3], s16 offen
	;; [unrolled: 1-line block ×4, first 2 shown]
	v_lshrrev_b32_e32 v20, 3, v18
	v_lshlrev_b32_e32 v21, 3, v27
	v_or_b32_e32 v20, v21, v20
	v_lshlrev_b32_e32 v20, 4, v20
	v_and_b32_e32 v21, 0x78, v21
	v_xor_b32_e32 v21, v20, v21
	v_lshlrev_b32_e32 v20, 7, v19
.LBB525_33:
	s_lshl_b64 s[0:1], s[44:45], 8
	s_add_u32 s4, s4, s0
	s_movk_i32 s0, 0x1000
	v_and_or_b32 v19, v20, s0, v21
	s_waitcnt vmcnt(1)
	ds_write_b64 v21, v[6:7] offset:16384
	v_xor_b32_e32 v6, 8, v21
	s_addc_u32 s5, s5, s1
	ds_write_b64 v6, v[8:9] offset:16384
	s_waitcnt vmcnt(0)
	ds_write_b64 v21, v[2:3] offset:24576
	ds_write_b64 v6, v[4:5] offset:24576
	;; [unrolled: 1-line block ×3, first 2 shown]
	v_xor_b32_e32 v2, 8, v19
	s_add_i32 s16, s12, -1
	ds_write_b64 v2, v[16:17] offset:16384
	ds_write_b64 v19, v[10:11] offset:24576
	;; [unrolled: 1-line block ×3, first 2 shown]
	s_mul_i32 s3, s16, s39
	s_mul_hi_u32 s12, s16, s38
	v_or_b32_e32 v2, v60, v63
	s_add_i32 s3, s12, s3
	v_lshlrev_b32_e32 v2, 3, v2
	v_lshrrev_b32_e32 v4, 5, v61
	s_movk_i32 s12, 0xf8
	v_and_or_b32 v4, v2, s12, v4
	v_lshlrev_b32_e32 v37, 11, v45
	v_lshlrev_b32_e32 v12, 4, v4
	v_and_b32_e32 v13, 0x78, v2
	v_and_b32_e32 v14, 0x1000, v37
	v_lshlrev_b32_e32 v3, 2, v0
	v_xor_b32_e32 v2, v12, v13
	v_lshrrev_b32_e32 v4, 1, v61
	v_and_b32_e32 v3, 60, v3
	v_or_b32_e32 v2, v2, v14
	v_and_b32_e32 v15, 8, v4
	v_xor_b32_e32 v28, v2, v15
	v_lshl_or_b32 v2, v62, 6, v3
	v_lshlrev_b32_e32 v38, 1, v2
	v_or_b32_e32 v2, 32, v12
	v_xor_b32_e32 v2, v2, v13
	s_waitcnt lgkmcnt(0)
	s_barrier
	ds_read_b64 v[10:11], v28 offset:16384
	v_or_b32_e32 v2, v2, v14
	v_xor_b32_e32 v29, v2, v15
	v_or_b32_e32 v2, 64, v12
	v_xor_b32_e32 v2, v2, v13
	v_or_b32_e32 v2, v2, v14
	v_or_b32_e32 v12, 0x60, v12
	v_xor_b32_e32 v30, v2, v15
	ds_read2st64_b64 v[2:5], v38 offset0:72 offset1:73
	ds_read2st64_b64 v[6:9], v38 offset0:74 offset1:75
	v_xor_b32_e32 v16, v12, v13
	ds_read_b64 v[12:13], v29 offset:16384
	s_waitcnt lgkmcnt(2)
	v_mfma_f32_16x16x16_bf16 a[0:3], v[10:11], v[2:3], 0
	s_add_i32 s0, s49, s21
	s_mul_i32 s41, s41, s20
	s_add_i32 s41, s0, s41
	s_mul_i32 s0, s33, s23
	s_mul_hi_u32 s1, s33, s22
	s_ashr_i32 s2, s16, 31
	s_add_i32 s0, s1, s0
	s_mul_i32 s1, s14, s22
	s_mul_i32 s2, s2, s38
	v_or_b32_e32 v14, v16, v14
	s_add_i32 s1, s0, s1
	s_add_i32 s3, s3, s2
	s_lshl_b64 s[20:21], s[40:41], 2
	v_xor_b32_e32 v39, v14, v15
	ds_read_b64 v[14:15], v30 offset:16384
	ds_read_b64 v[16:17], v39 offset:16384
	s_waitcnt lgkmcnt(2)
	v_mfma_f32_16x16x16_bf16 a[0:3], v[12:13], v[4:5], a[0:3]
	s_mul_i32 s0, s33, s22
	s_add_u32 s10, s10, s20
	s_addc_u32 s11, s11, s21
	s_lshl_b64 s[0:1], s[0:1], 2
	s_mul_i32 s2, s16, s38
	s_add_u32 s10, s10, s0
	s_addc_u32 s11, s11, s1
	s_lshl_b64 s[0:1], s[2:3], 2
	s_waitcnt lgkmcnt(1)
	v_mfma_f32_16x16x16_bf16 a[0:3], v[14:15], v[6:7], a[0:3]
	s_add_u32 s0, s10, s0
	s_addc_u32 s1, s11, s1
	s_load_dword s12, s[0:1], 0x0
	s_waitcnt lgkmcnt(0)
	v_mfma_f32_16x16x16_bf16 a[0:3], v[16:17], v[8:9], a[0:3]
	s_and_b64 vcc, exec, s[42:43]
	s_cbranch_vccz .LBB525_44
; %bb.34:
	v_lshlrev_b32_e32 v19, 1, v27
	s_and_b64 vcc, exec, s[6:7]
	s_cbranch_vccz .LBB525_45
; %bb.35:
	v_cmp_gt_i32_e32 vcc, s47, v19
	v_mov_b32_e32 v6, 0
	v_mov_b32_e32 v2, 0
	v_mov_b32_e32 v3, 0
	v_mov_b32_e32 v4, 0
	v_mov_b32_e32 v5, 0
	s_and_saveexec_b64 s[0:1], vcc
	s_cbranch_execz .LBB525_37
; %bb.36:
	v_mad_i64_i32 v[2:3], s[2:3], s15, v19, 0
	v_lshl_add_u64 v[2:3], v[2:3], 1, s[4:5]
	v_lshlrev_b32_e32 v4, 1, v18
	v_mov_b32_e32 v5, 0
	v_lshl_add_u64 v[2:3], v[2:3], 0, v[4:5]
	global_load_dwordx4 v[2:5], v[2:3], off
.LBB525_37:
	s_or_b64 exec, exec, s[0:1]
	v_or_b32_e32 v20, 1, v19
	v_cmp_gt_i32_e64 s[0:1], s47, v20
	v_mov_b32_e32 v7, 0
	v_mov_b32_e32 v8, 0
	v_mov_b32_e32 v9, 0
	s_and_saveexec_b64 s[2:3], s[0:1]
	s_cbranch_execz .LBB525_39
; %bb.38:
	v_mad_i64_i32 v[6:7], s[20:21], s15, v20, 0
	v_lshl_add_u64 v[6:7], v[6:7], 1, s[4:5]
	v_lshlrev_b32_e32 v8, 1, v18
	v_mov_b32_e32 v9, 0
	v_lshl_add_u64 v[6:7], v[6:7], 0, v[8:9]
	global_load_dwordx4 v[6:9], v[6:7], off
.LBB525_39:
	s_or_b64 exec, exec, s[2:3]
	v_mov_b32_e32 v17, 0
	v_mov_b32_e32 v10, 0
	;; [unrolled: 1-line block ×5, first 2 shown]
	s_and_saveexec_b64 s[2:3], vcc
	s_cbranch_execz .LBB525_41
; %bb.40:
	v_mad_i64_i32 v[10:11], s[20:21], s15, v19, 0
	v_lshl_add_u64 v[10:11], v[10:11], 1, s[4:5]
	v_lshlrev_b32_e32 v12, 1, v18
	v_mov_b32_e32 v13, 0
	v_lshl_add_u64 v[10:11], v[10:11], 0, v[12:13]
	global_load_dwordx4 v[10:13], v[10:11], off offset:128
.LBB525_41:
	s_or_b64 exec, exec, s[2:3]
	v_mov_b32_e32 v16, 0
	v_mov_b32_e32 v15, 0
	;; [unrolled: 1-line block ×3, first 2 shown]
	s_and_saveexec_b64 s[2:3], s[0:1]
	s_cbranch_execz .LBB525_43
; %bb.42:
	v_mad_i64_i32 v[14:15], s[0:1], s15, v20, 0
	v_lshl_add_u64 v[14:15], v[14:15], 1, s[4:5]
	v_lshlrev_b32_e32 v16, 1, v18
	v_mov_b32_e32 v17, 0
	v_lshl_add_u64 v[14:15], v[14:15], 0, v[16:17]
	global_load_dwordx4 v[14:17], v[14:15], off offset:128
.LBB525_43:
	s_or_b64 exec, exec, s[2:3]
	s_branch .LBB525_47
.LBB525_44:
                                        ; implicit-def: $vgpr5
                                        ; implicit-def: $vgpr9
                                        ; implicit-def: $vgpr13
                                        ; implicit-def: $vgpr17
	v_lshrrev_b32_e32 v19, 2, v61
	s_branch .LBB525_48
.LBB525_45:
                                        ; implicit-def: $vgpr5
                                        ; implicit-def: $vgpr9
                                        ; implicit-def: $vgpr13
                                        ; implicit-def: $vgpr17
	s_cbranch_execz .LBB525_47
; %bb.46:
	s_waitcnt vmcnt(0)
	v_mad_u64_u32 v[2:3], s[0:1], v19, s15, v[18:19]
	v_lshlrev_b32_e32 v19, 1, v2
	s_lshl_b32 s2, s15, 7
	s_and_b32 s1, s5, 0xffff
	s_mov_b32 s3, 0x20000
	s_mov_b32 s0, s4
	v_add_lshl_u32 v20, v2, s15, 1
	s_movk_i32 s15, 0x80
	buffer_load_dwordx4 v[2:5], v19, s[0:3], 0 offen
	buffer_load_dwordx4 v[10:13], v19, s[0:3], s15 offen
	buffer_load_dwordx4 v[6:9], v20, s[0:3], 0 offen
	buffer_load_dwordx4 v[14:17], v20, s[0:3], s15 offen
.LBB525_47:
	v_lshrrev_b32_e32 v19, 2, v61
	s_cbranch_execnz .LBB525_60
.LBB525_48:
	s_and_b64 vcc, exec, s[6:7]
	s_cbranch_vccz .LBB525_58
; %bb.49:
	s_waitcnt vmcnt(0)
	v_lshlrev_b32_e32 v7, 1, v27
	v_cmp_gt_i32_e32 vcc, s47, v7
	v_mov_b32_e32 v6, 0
	v_lshlrev_b32_e32 v14, 9, v27
	v_mov_b32_e32 v2, 0
	v_mov_b32_e32 v3, 0
	;; [unrolled: 1-line block ×4, first 2 shown]
	s_and_saveexec_b64 s[0:1], vcc
	s_cbranch_execz .LBB525_51
; %bb.50:
	v_mov_b32_e32 v15, 0
	v_lshl_add_u64 v[2:3], s[4:5], 0, v[14:15]
	v_lshlrev_b32_e32 v4, 1, v18
	v_mov_b32_e32 v5, v15
	v_lshl_add_u64 v[2:3], v[2:3], 0, v[4:5]
	global_load_dwordx4 v[2:5], v[2:3], off
.LBB525_51:
	s_or_b64 exec, exec, s[0:1]
	v_or_b32_e32 v7, 1, v7
	v_cmp_gt_i32_e64 s[0:1], s47, v7
	v_lshlrev_b32_e32 v20, 8, v7
	v_mov_b32_e32 v7, 0
	v_mov_b32_e32 v8, 0
	;; [unrolled: 1-line block ×3, first 2 shown]
	s_and_saveexec_b64 s[2:3], s[0:1]
	s_cbranch_execz .LBB525_53
; %bb.52:
	v_mov_b32_e32 v21, 0
	v_lshl_add_u64 v[6:7], s[4:5], 0, v[20:21]
	v_lshlrev_b32_e32 v8, 1, v18
	v_mov_b32_e32 v9, v21
	v_lshl_add_u64 v[6:7], v[6:7], 0, v[8:9]
	global_load_dwordx4 v[6:9], v[6:7], off
.LBB525_53:
	s_or_b64 exec, exec, s[2:3]
	v_mov_b32_e32 v17, 0
	v_mov_b32_e32 v10, 0
	;; [unrolled: 1-line block ×5, first 2 shown]
	s_and_saveexec_b64 s[2:3], vcc
	s_cbranch_execz .LBB525_55
; %bb.54:
	v_mov_b32_e32 v15, 0
	v_lshl_add_u64 v[10:11], s[4:5], 0, v[14:15]
	v_lshlrev_b32_e32 v14, 1, v18
	v_lshl_add_u64 v[10:11], v[10:11], 0, v[14:15]
	global_load_dwordx4 v[10:13], v[10:11], off offset:128
.LBB525_55:
	s_or_b64 exec, exec, s[2:3]
	v_mov_b32_e32 v16, 0
	v_mov_b32_e32 v15, 0
	;; [unrolled: 1-line block ×3, first 2 shown]
	s_and_saveexec_b64 s[2:3], s[0:1]
	s_cbranch_execz .LBB525_57
; %bb.56:
	v_mov_b32_e32 v21, 0
	v_lshl_add_u64 v[14:15], s[4:5], 0, v[20:21]
	v_lshlrev_b32_e32 v20, 1, v18
	v_lshl_add_u64 v[14:15], v[14:15], 0, v[20:21]
	global_load_dwordx4 v[14:17], v[14:15], off offset:128
.LBB525_57:
	s_or_b64 exec, exec, s[2:3]
	s_branch .LBB525_60
.LBB525_58:
                                        ; implicit-def: $vgpr5
                                        ; implicit-def: $vgpr9
                                        ; implicit-def: $vgpr13
                                        ; implicit-def: $vgpr17
	s_cbranch_execz .LBB525_60
; %bb.59:
	s_waitcnt vmcnt(0)
	v_lshlrev_b32_e32 v2, 1, v18
	v_lshl_or_b32 v18, v27, 9, v2
	s_and_b32 s5, s5, 0xffff
	s_mov_b32 s7, 0x20000
	s_movk_i32 s6, 0x4000
	s_movk_i32 s0, 0x80
	buffer_load_dwordx4 v[2:5], v18, s[4:7], 0 offen
	buffer_load_dwordx4 v[6:9], v18, s[4:7], 0 offen offset:256
	buffer_load_dwordx4 v[10:13], v18, s[4:7], s0 offen
	buffer_load_dwordx4 v[14:17], v18, s[4:7], s0 offen offset:256
.LBB525_60:
	v_and_b32_e32 v40, 12, v19
	ds_read2st64_b64 v[22:25], v38 offset0:76 offset1:77
	ds_read2st64_b64 v[18:21], v38 offset0:78 offset1:79
	ds_read_b64 v[34:35], v28 offset:24576
	ds_read_b64 v[32:33], v29 offset:24576
	;; [unrolled: 1-line block ×4, first 2 shown]
	v_and_b32_e32 v39, 6, v0
	v_xor_b32_e32 v27, v27, v39
	v_lshlrev_b32_e32 v27, 2, v27
	v_and_b32_e32 v41, 1, v0
	v_xor_b32_e32 v42, 0x440, v27
	v_cmp_eq_u32_e32 vcc, 0, v41
	s_mov_b32 s0, 0x1000504
	s_waitcnt vmcnt(0)
	v_perm_b32 v41, v10, v14, s0
	v_cndmask_b32_e32 v27, v42, v27, vcc
	v_lshl_or_b32 v27, v39, 10, v27
	v_perm_b32 v39, v2, v6, s0
	ds_write2st64_b32 v27, v39, v41 offset1:32
	v_xor_b32_e32 v39, 8, v27
	s_mov_b32 s1, 0x3020706
	v_perm_b32 v2, v2, v6, s1
	v_perm_b32 v6, v10, v14, s1
	v_add_u32_e32 v10, 0x80, v39
	ds_write2st64_b32 v10, v2, v6 offset1:32
	v_xor_b32_e32 v2, 16, v27
	v_perm_b32 v6, v3, v7, s0
	v_perm_b32 v10, v11, v15, s0
	ds_write2st64_b32 v2, v6, v10 offset0:1 offset1:33
	v_xor_b32_e32 v2, 24, v27
	v_perm_b32 v3, v3, v7, s1
	v_perm_b32 v6, v11, v15, s1
	v_add_u32_e32 v2, 0x80, v2
	ds_write2st64_b32 v2, v3, v6 offset0:1 offset1:33
	v_xor_b32_e32 v2, 32, v27
	v_perm_b32 v3, v4, v8, s0
	v_perm_b32 v6, v12, v16, s0
	ds_write2st64_b32 v2, v3, v6 offset0:2 offset1:34
	v_xor_b32_e32 v2, 40, v27
	v_perm_b32 v3, v4, v8, s1
	v_perm_b32 v4, v12, v16, s1
	v_add_u32_e32 v2, 0x80, v2
	ds_write2st64_b32 v2, v3, v4 offset0:2 offset1:34
	v_xor_b32_e32 v2, 48, v27
	v_perm_b32 v3, v5, v9, s0
	v_perm_b32 v4, v13, v17, s0
	ds_write2st64_b32 v2, v3, v4 offset0:3 offset1:35
	v_xor_b32_e32 v2, 56, v27
	v_or_b32_e32 v10, v40, v60
	v_perm_b32 v3, v5, v9, s1
	v_perm_b32 v4, v13, v17, s1
	v_add_u32_e32 v2, 0x80, v2
	v_cmp_gt_i32_e64 s[2:3], s47, v10
	v_mov_b32_e32 v12, 0
	v_mov_b32_e32 v17, 0
	ds_write2st64_b32 v2, v3, v4 offset0:3 offset1:35
	s_and_saveexec_b64 s[0:1], s[2:3]
	s_cbranch_execz .LBB525_62
; %bb.61:
	v_add_u32_e32 v2, s46, v10
	v_ashrrev_i32_e32 v3, 31, v2
	v_mul_lo_u32 v4, v3, s38
	v_mul_lo_u32 v5, v2, s39
	v_mad_u64_u32 v[2:3], s[4:5], v2, s38, 0
	v_add3_u32 v3, v3, v5, v4
	v_lshl_add_u64 v[2:3], v[2:3], 2, s[10:11]
	global_load_dword v2, v[2:3], off
	s_waitcnt vmcnt(0)
	v_sub_f32_e32 v2, s12, v2
	v_exp_f32_e32 v17, v2
.LBB525_62:
	s_or_b64 exec, exec, s[0:1]
	v_or_b32_e32 v15, 1, v10
	v_cmp_gt_i32_e64 s[4:5], s47, v15
	s_and_saveexec_b64 s[0:1], s[4:5]
	s_cbranch_execz .LBB525_64
; %bb.63:
	v_add_u32_e32 v2, s46, v15
	v_ashrrev_i32_e32 v3, 31, v2
	v_mul_lo_u32 v4, v3, s38
	v_mul_lo_u32 v5, v2, s39
	v_mad_u64_u32 v[2:3], s[6:7], v2, s38, 0
	v_add3_u32 v3, v3, v5, v4
	v_lshl_add_u64 v[2:3], v[2:3], 2, s[10:11]
	global_load_dword v2, v[2:3], off
	s_waitcnt vmcnt(0)
	v_sub_f32_e32 v2, s12, v2
	v_exp_f32_e32 v12, v2
.LBB525_64:
	s_or_b64 exec, exec, s[0:1]
	v_or_b32_e32 v14, 2, v10
	v_cmp_gt_i32_e64 s[0:1], s47, v14
	v_mov_b32_e32 v11, 0
	v_mov_b32_e32 v16, 0
	s_and_saveexec_b64 s[6:7], s[0:1]
	s_cbranch_execz .LBB525_66
; %bb.65:
	v_add_u32_e32 v2, s46, v14
	v_ashrrev_i32_e32 v3, 31, v2
	v_mul_lo_u32 v4, v3, s38
	v_mul_lo_u32 v5, v2, s39
	v_mad_u64_u32 v[2:3], s[20:21], v2, s38, 0
	v_add3_u32 v3, v3, v5, v4
	v_lshl_add_u64 v[2:3], v[2:3], 2, s[10:11]
	global_load_dword v2, v[2:3], off
	s_waitcnt vmcnt(0)
	v_sub_f32_e32 v2, s12, v2
	v_exp_f32_e32 v16, v2
.LBB525_66:
	s_or_b64 exec, exec, s[6:7]
	v_or_b32_e32 v13, 3, v10
	v_cmp_gt_i32_e32 vcc, s47, v13
	s_and_saveexec_b64 s[6:7], vcc
	s_cbranch_execz .LBB525_68
; %bb.67:
	v_add_u32_e32 v2, s46, v13
	v_ashrrev_i32_e32 v3, 31, v2
	v_mul_lo_u32 v4, v3, s38
	v_mul_lo_u32 v5, v2, s39
	v_mad_u64_u32 v[2:3], s[20:21], v2, s38, 0
	v_add3_u32 v3, v3, v5, v4
	v_lshl_add_u64 v[2:3], v[2:3], 2, s[10:11]
	global_load_dword v2, v[2:3], off
	s_waitcnt vmcnt(0)
	v_sub_f32_e32 v2, s12, v2
	v_exp_f32_e32 v11, v2
.LBB525_68:
	s_or_b64 exec, exec, s[6:7]
	s_waitcnt lgkmcnt(11)
	v_mfma_f32_16x16x16_bf16 a[0:3], v[34:35], v[22:23], a[0:3]
	s_add_u32 s6, s8, s30
	v_ashrrev_i32_e32 v27, 31, v26
	s_addc_u32 s7, s9, s31
	s_waitcnt lgkmcnt(10)
	v_mfma_f32_16x16x16_bf16 a[0:3], v[32:33], v[24:25], a[0:3]
	v_lshlrev_b64 v[2:3], 1, v[26:27]
	v_lshl_add_u64 v[6:7], s[6:7], 0, v[2:3]
	s_add_u32 s6, s18, s30
	s_waitcnt lgkmcnt(9)
	v_mfma_f32_16x16x16_bf16 a[0:3], v[30:31], v[18:19], a[0:3]
	s_addc_u32 s7, s19, s31
	v_lshl_add_u64 v[8:9], s[6:7], 0, v[2:3]
	v_mov_b32_e32 v18, 0
	s_waitcnt lgkmcnt(8)
	v_mfma_f32_16x16x16_bf16 a[0:3], v[28:29], v[20:21], a[0:3]
	v_mov_b32_e32 v19, 0
	s_nop 5
	v_accvgpr_read_b32 v5, a3
	v_accvgpr_read_b32 v4, a2
	;; [unrolled: 1-line block ×4, first 2 shown]
	s_and_saveexec_b64 s[6:7], s[2:3]
	s_cbranch_execz .LBB525_70
; %bb.69:
	v_lshlrev_b32_e32 v20, 8, v10
	v_mov_b32_e32 v21, 0
	v_lshl_add_u64 v[22:23], v[6:7], 0, v[20:21]
	global_load_ushort v19, v[22:23], off
	v_lshl_add_u64 v[20:21], v[8:9], 0, v[20:21]
	s_waitcnt vmcnt(0)
	v_lshlrev_b32_e32 v19, 16, v19
	v_sub_f32_e32 v2, v19, v2
	global_store_short_d16_hi v[20:21], v2, off
	v_mul_f32_e32 v2, v17, v2
	v_lshrrev_b32_e32 v19, 16, v2
.LBB525_70:
	s_or_b64 exec, exec, s[6:7]
	s_and_saveexec_b64 s[2:3], s[4:5]
	s_cbranch_execz .LBB525_72
; %bb.71:
	v_lshlrev_b32_e32 v20, 8, v15
	v_mov_b32_e32 v21, 0
	v_lshl_add_u64 v[22:23], v[6:7], 0, v[20:21]
	global_load_ushort v2, v[22:23], off
	v_lshl_add_u64 v[20:21], v[8:9], 0, v[20:21]
	s_waitcnt vmcnt(0)
	v_lshlrev_b32_e32 v2, 16, v2
	v_sub_f32_e32 v2, v2, v3
	global_store_short_d16_hi v[20:21], v2, off
	v_mul_f32_e32 v2, v12, v2
	v_lshrrev_b32_e32 v18, 16, v2
.LBB525_72:
	s_or_b64 exec, exec, s[2:3]
	v_mov_b32_e32 v3, 0
	v_mov_b32_e32 v12, 0
	s_and_saveexec_b64 s[2:3], s[0:1]
	s_cbranch_execz .LBB525_74
; %bb.73:
	v_lshlrev_b32_e32 v14, 8, v14
	v_mov_b32_e32 v15, 0
	v_lshl_add_u64 v[20:21], v[6:7], 0, v[14:15]
	global_load_ushort v2, v[20:21], off
	v_lshl_add_u64 v[14:15], v[8:9], 0, v[14:15]
	s_waitcnt vmcnt(0)
	v_lshlrev_b32_e32 v2, 16, v2
	v_sub_f32_e32 v2, v2, v4
	global_store_short_d16_hi v[14:15], v2, off
	v_mul_f32_e32 v2, v16, v2
	v_lshrrev_b32_e32 v12, 16, v2
.LBB525_74:
	s_or_b64 exec, exec, s[2:3]
	v_or_b32_e32 v2, 0x9800, v38
	s_and_saveexec_b64 s[0:1], vcc
	s_cbranch_execz .LBB525_76
; %bb.75:
	v_lshlrev_b32_e32 v14, 8, v13
	v_mov_b32_e32 v15, 0
	v_lshl_add_u64 v[6:7], v[6:7], 0, v[14:15]
	global_load_ushort v3, v[6:7], off
	v_lshl_add_u64 v[6:7], v[8:9], 0, v[14:15]
	s_waitcnt vmcnt(0)
	v_lshlrev_b32_e32 v3, 16, v3
	v_sub_f32_e32 v3, v3, v5
	global_store_short_d16_hi v[6:7], v3, off
	v_mul_f32_e32 v3, v11, v3
	v_lshrrev_b32_e32 v3, 16, v3
.LBB525_76:
	s_or_b64 exec, exec, s[0:1]
	s_mov_b32 s0, 0x5040100
	v_perm_b32 v5, v3, v12, s0
	v_lshlrev_b32_e32 v3, 1, v36
	v_perm_b32 v4, v18, v19, s0
	v_lshl_or_b32 v3, v10, 5, v3
	s_movk_i32 s2, 0xff
	ds_write_b64 v3, v[4:5] offset:38912
	v_and_b32_e32 v3, 7, v0
	v_cmp_lt_u32_e32 vcc, s2, v0
	v_and_b32_e32 v4, 8, v0
	v_lshlrev_b32_e32 v11, 3, v3
	v_lshlrev_b32_e32 v20, 7, v3
	v_cndmask_b32_e64 v3, 0, 1, vcc
	v_lshrrev_b32_e32 v0, 1, v0
	v_lshlrev_b32_e32 v16, 13, v3
	v_lshlrev_b32_e32 v3, 3, v45
	v_and_b32_e32 v0, 24, v0
	v_xor_b32_e32 v5, v3, v0
	v_or_b32_e32 v6, 0x440, v5
	v_cmp_eq_u32_e32 vcc, 0, v4
	s_waitcnt lgkmcnt(0)
	s_barrier
	v_cndmask_b32_e32 v4, v6, v5, vcc
	v_or_b32_e32 v4, v4, v37
	v_xor_b32_e32 v21, v4, v11
	v_or_b32_e32 v4, 32, v0
	v_xor_b32_e32 v4, v3, v4
	v_or_b32_e32 v5, 0x440, v4
	v_cndmask_b32_e32 v4, v5, v4, vcc
	v_or_b32_e32 v4, v4, v37
	v_xor_b32_e32 v22, v4, v11
	v_or_b32_e32 v4, 64, v0
	v_xor_b32_e32 v4, v3, v4
	v_xor_b32_e32 v5, 0x440, v4
	v_cndmask_b32_e32 v4, v5, v4, vcc
	v_add3_u32 v8, v16, v21, v20
	v_or_b32_e32 v4, v4, v37
	v_or_b32_e32 v0, 0x60, v0
	v_xor_b32_e32 v23, v4, v11
	ds_read2st64_b64 v[4:7], v2 offset1:1
	ds_read2st64_b64 v[12:15], v2 offset0:2 offset1:3
	v_xor_b32_e32 v0, v3, v0
	ds_read_b64 v[2:3], v8
	v_add3_u32 v9, v16, v22, v20
	v_xor_b32_e32 v8, 0x440, v0
	v_cndmask_b32_e32 v0, v8, v0, vcc
	ds_read_b64 v[8:9], v9
	s_add_i32 s0, s16, s48
	s_mul_hi_i32 s1, s0, s13
	s_mul_i32 s0, s0, s13
	s_add_u32 s0, s0, s33
	s_waitcnt lgkmcnt(1)
	v_mfma_f32_16x16x16_bf16 a[0:3], v[2:3], v[4:5], 0
	s_addc_u32 s1, s1, s14
	v_or_b32_e32 v0, v0, v37
	s_lshl_b64 s[0:1], s[0:1], 9
	v_xor_b32_e32 v0, v0, v11
	s_add_u32 s0, s36, s0
	v_add3_u32 v17, v16, v23, v20
	v_add3_u32 v11, v16, v0, v20
	s_addc_u32 s1, s37, s1
	v_lshlrev_b32_e32 v2, 2, v10
	ds_read_b64 v[16:17], v17
	ds_read_b64 v[18:19], v11
	s_waitcnt lgkmcnt(2)
	v_mfma_f32_16x16x16_bf16 a[0:3], v[8:9], v[6:7], a[0:3]
	global_load_dwordx4 v[8:11], v2, s[0:1]
	v_add_u32_e32 v2, v21, v20
	ds_read_b64 v[2:3], v2 offset:8192
	s_waitcnt lgkmcnt(2)
	v_mfma_f32_16x16x16_bf16 a[0:3], v[16:17], v[12:13], a[0:3]
	v_lshlrev_b32_e32 v16, 6, v45
	v_lshlrev_b32_e32 v17, 2, v40
	s_movk_i32 s2, 0x100
	v_or3_b32 v24, v16, v17, s2
	v_add_u32_e32 v16, v22, v20
	v_add_u32_e32 v21, v23, v20
	;; [unrolled: 1-line block ×3, first 2 shown]
	ds_read_b64 v[16:17], v16 offset:8192
	ds_read_b64 v[20:21], v21 offset:8192
	;; [unrolled: 1-line block ×3, first 2 shown]
	s_waitcnt lgkmcnt(3)
	v_mfma_f32_16x16x16_bf16 a[4:7], v[2:3], v[4:5], 0
	global_load_dwordx4 v[2:5], v24, s[0:1]
	v_exp_f32_e32 v0, s12
	s_waitcnt vmcnt(1)
	v_exp_f32_e32 v8, v8
	v_mfma_f32_16x16x16_bf16 a[0:3], v[18:19], v[14:15], a[0:3]
	v_exp_f32_e32 v9, v9
	v_exp_f32_e32 v10, v10
	;; [unrolled: 1-line block ×3, first 2 shown]
	v_pk_mul_f32 v[8:9], v[0:1], v[8:9] op_sel_hi:[0,1]
	v_pk_mul_f32 v[10:11], v[0:1], v[10:11] op_sel_hi:[0,1]
	s_nop 1
	v_accvgpr_read_b32 v25, a1
	v_accvgpr_read_b32 v19, a3
	v_accvgpr_read_b32 v18, a2
	v_accvgpr_read_b32 v24, a0
	s_waitcnt lgkmcnt(2)
	v_mfma_f32_16x16x16_bf16 a[0:3], v[16:17], v[6:7], a[4:7]
	s_waitcnt vmcnt(0)
	v_mov_b32_e32 v6, v5
	v_mov_b32_e32 v5, v4
	;; [unrolled: 1-line block ×3, first 2 shown]
	s_waitcnt lgkmcnt(1)
	v_mfma_f32_16x16x16_bf16 a[0:3], v[20:21], v[12:13], a[0:3]
	v_exp_f32_e32 v2, v2
	v_exp_f32_e32 v3, v4
	;; [unrolled: 1-line block ×3, first 2 shown]
	s_waitcnt lgkmcnt(0)
	v_mfma_f32_16x16x16_bf16 a[0:3], v[22:23], v[14:15], a[0:3]
	v_exp_f32_e32 v5, v6
	v_pk_fma_f32 v[46:47], v[46:47], v[8:9], v[24:25]
	v_pk_mul_f32 v[2:3], v[0:1], v[2:3] op_sel_hi:[0,1]
	v_pk_fma_f32 v[52:53], v[52:53], v[10:11], v[18:19]
	s_nop 2
	v_accvgpr_read_b32 v9, a1
	v_accvgpr_read_b32 v8, a0
	;; [unrolled: 1-line block ×4, first 2 shown]
	v_pk_fma_f32 v[50:51], v[50:51], v[2:3], v[8:9]
	v_pk_mul_f32 v[2:3], v[0:1], v[4:5] op_sel_hi:[0,1]
	v_pk_fma_f32 v[48:49], v[48:49], v[2:3], v[6:7]
	v_mov_b32_e32 v2, v26
.LBB525_77:
	s_lshl_b64 s[0:1], s[28:29], 15
	s_add_u32 s0, s34, s0
	v_lshlrev_b32_e32 v2, 7, v2
	s_addc_u32 s1, s35, s1
	v_ashrrev_i32_e32 v3, 31, v2
	v_lshl_add_u64 v[2:3], v[2:3], 1, s[0:1]
	v_lshlrev_b32_e32 v0, 1, v1
	v_mov_b32_e32 v1, 0
	s_mov_b32 s0, 0x7060302
	v_lshl_add_u64 v[0:1], v[2:3], 0, v[0:1]
	v_perm_b32 v3, v53, v52, s0
	v_perm_b32 v2, v47, v46, s0
	global_store_dwordx2 v[0:1], v[2:3], off
	v_perm_b32 v3, v49, v48, s0
	v_perm_b32 v2, v51, v50, s0
	global_store_dwordx2 v[0:1], v[2:3], off offset:128
	s_endpgm
	.section	.rodata,"a",@progbits
	.p2align	6, 0x0
	.amdhsa_kernel _ZN12_GLOBAL__N_139chunk_gated_delta_rule_fwd_h_hip_kernelILi16ELb0ELb1ELb1ELb0ELb1ELb1ELb1ELb1EEEvPK12hip_bfloat16S3_S3_PKfS5_PKvPS1_S8_PvPKiSB_iiiiilll
		.amdhsa_group_segment_fixed_size 40960
		.amdhsa_private_segment_fixed_size 0
		.amdhsa_kernarg_size 136
		.amdhsa_user_sgpr_count 2
		.amdhsa_user_sgpr_dispatch_ptr 0
		.amdhsa_user_sgpr_queue_ptr 0
		.amdhsa_user_sgpr_kernarg_segment_ptr 1
		.amdhsa_user_sgpr_dispatch_id 0
		.amdhsa_user_sgpr_kernarg_preload_length 0
		.amdhsa_user_sgpr_kernarg_preload_offset 0
		.amdhsa_user_sgpr_private_segment_size 0
		.amdhsa_uses_dynamic_stack 0
		.amdhsa_enable_private_segment 0
		.amdhsa_system_sgpr_workgroup_id_x 1
		.amdhsa_system_sgpr_workgroup_id_y 1
		.amdhsa_system_sgpr_workgroup_id_z 0
		.amdhsa_system_sgpr_workgroup_info 0
		.amdhsa_system_vgpr_workitem_id 0
		.amdhsa_next_free_vgpr 128
		.amdhsa_next_free_sgpr 70
		.amdhsa_accum_offset 116
		.amdhsa_reserve_vcc 1
		.amdhsa_float_round_mode_32 0
		.amdhsa_float_round_mode_16_64 0
		.amdhsa_float_denorm_mode_32 3
		.amdhsa_float_denorm_mode_16_64 3
		.amdhsa_dx10_clamp 1
		.amdhsa_ieee_mode 1
		.amdhsa_fp16_overflow 0
		.amdhsa_tg_split 0
		.amdhsa_exception_fp_ieee_invalid_op 0
		.amdhsa_exception_fp_denorm_src 0
		.amdhsa_exception_fp_ieee_div_zero 0
		.amdhsa_exception_fp_ieee_overflow 0
		.amdhsa_exception_fp_ieee_underflow 0
		.amdhsa_exception_fp_ieee_inexact 0
		.amdhsa_exception_int_div_zero 0
	.end_amdhsa_kernel
	.section	.text._ZN12_GLOBAL__N_139chunk_gated_delta_rule_fwd_h_hip_kernelILi16ELb0ELb1ELb1ELb0ELb1ELb1ELb1ELb1EEEvPK12hip_bfloat16S3_S3_PKfS5_PKvPS1_S8_PvPKiSB_iiiiilll,"axG",@progbits,_ZN12_GLOBAL__N_139chunk_gated_delta_rule_fwd_h_hip_kernelILi16ELb0ELb1ELb1ELb0ELb1ELb1ELb1ELb1EEEvPK12hip_bfloat16S3_S3_PKfS5_PKvPS1_S8_PvPKiSB_iiiiilll,comdat
.Lfunc_end525:
	.size	_ZN12_GLOBAL__N_139chunk_gated_delta_rule_fwd_h_hip_kernelILi16ELb0ELb1ELb1ELb0ELb1ELb1ELb1ELb1EEEvPK12hip_bfloat16S3_S3_PKfS5_PKvPS1_S8_PvPKiSB_iiiiilll, .Lfunc_end525-_ZN12_GLOBAL__N_139chunk_gated_delta_rule_fwd_h_hip_kernelILi16ELb0ELb1ELb1ELb0ELb1ELb1ELb1ELb1EEEvPK12hip_bfloat16S3_S3_PKfS5_PKvPS1_S8_PvPKiSB_iiiiilll
                                        ; -- End function
	.section	.AMDGPU.csdata,"",@progbits
; Kernel info:
; codeLenInByte = 8256
; NumSgprs: 76
; NumVgprs: 114
; NumAgprs: 12
; TotalNumVgprs: 128
; ScratchSize: 0
; MemoryBound: 0
; FloatMode: 240
; IeeeMode: 1
; LDSByteSize: 40960 bytes/workgroup (compile time only)
; SGPRBlocks: 9
; VGPRBlocks: 15
; NumSGPRsForWavesPerEU: 76
; NumVGPRsForWavesPerEU: 128
; AccumOffset: 116
; Occupancy: 1
; WaveLimiterHint : 1
; COMPUTE_PGM_RSRC2:SCRATCH_EN: 0
; COMPUTE_PGM_RSRC2:USER_SGPR: 2
; COMPUTE_PGM_RSRC2:TRAP_HANDLER: 0
; COMPUTE_PGM_RSRC2:TGID_X_EN: 1
; COMPUTE_PGM_RSRC2:TGID_Y_EN: 1
; COMPUTE_PGM_RSRC2:TGID_Z_EN: 0
; COMPUTE_PGM_RSRC2:TIDIG_COMP_CNT: 0
; COMPUTE_PGM_RSRC3_GFX90A:ACCUM_OFFSET: 28
; COMPUTE_PGM_RSRC3_GFX90A:TG_SPLIT: 0
	.section	.text._ZN12_GLOBAL__N_139chunk_gated_delta_rule_fwd_h_hip_kernelILi16ELb0ELb1ELb0ELb0ELb1ELb1ELb1ELb1EEEvPK12hip_bfloat16S3_S3_PKfS5_PKvPS1_S8_PvPKiSB_iiiiilll,"axG",@progbits,_ZN12_GLOBAL__N_139chunk_gated_delta_rule_fwd_h_hip_kernelILi16ELb0ELb1ELb0ELb0ELb1ELb1ELb1ELb1EEEvPK12hip_bfloat16S3_S3_PKfS5_PKvPS1_S8_PvPKiSB_iiiiilll,comdat
	.globl	_ZN12_GLOBAL__N_139chunk_gated_delta_rule_fwd_h_hip_kernelILi16ELb0ELb1ELb0ELb0ELb1ELb1ELb1ELb1EEEvPK12hip_bfloat16S3_S3_PKfS5_PKvPS1_S8_PvPKiSB_iiiiilll ; -- Begin function _ZN12_GLOBAL__N_139chunk_gated_delta_rule_fwd_h_hip_kernelILi16ELb0ELb1ELb0ELb0ELb1ELb1ELb1ELb1EEEvPK12hip_bfloat16S3_S3_PKfS5_PKvPS1_S8_PvPKiSB_iiiiilll
	.p2align	8
	.type	_ZN12_GLOBAL__N_139chunk_gated_delta_rule_fwd_h_hip_kernelILi16ELb0ELb1ELb0ELb0ELb1ELb1ELb1ELb1EEEvPK12hip_bfloat16S3_S3_PKfS5_PKvPS1_S8_PvPKiSB_iiiiilll,@function
_ZN12_GLOBAL__N_139chunk_gated_delta_rule_fwd_h_hip_kernelILi16ELb0ELb1ELb0ELb0ELb1ELb1ELb1ELb1EEEvPK12hip_bfloat16S3_S3_PKfS5_PKvPS1_S8_PvPKiSB_iiiiilll: ; @_ZN12_GLOBAL__N_139chunk_gated_delta_rule_fwd_h_hip_kernelILi16ELb0ELb1ELb0ELb0ELb1ELb1ELb1ELb1EEEvPK12hip_bfloat16S3_S3_PKfS5_PKvPS1_S8_PvPKiSB_iiiiilll
; %bb.0:
	s_load_dwordx4 s[12:15], s[0:1], 0x5c
	s_load_dwordx4 s[16:19], s[0:1], 0x70
	s_abs_i32 s22, s3
	s_ashr_i32 s21, s3, 31
	s_load_dwordx8 s[4:11], s[0:1], 0x0
	s_load_dwordx2 s[30:31], s[0:1], 0x20
	s_waitcnt lgkmcnt(0)
	s_abs_i32 s20, s13
	v_cvt_f32_u32_e32 v1, s20
	s_sub_i32 s24, 0, s20
	s_ashr_i32 s23, s13, 31
	s_xor_b32 s21, s21, s23
	v_rcp_iflag_f32_e32 v1, v1
	s_load_dwordx2 s[28:29], s[0:1], 0x40
	s_load_dwordx2 s[38:39], s[0:1], 0x30
	;; [unrolled: 1-line block ×3, first 2 shown]
	v_lshrrev_b32_e32 v45, 6, v0
	v_mul_f32_e32 v1, 0x4f7ffffe, v1
	v_cvt_u32_f32_e32 v1, v1
	v_bfe_u32 v60, v0, 4, 2
	v_lshlrev_b32_e32 v58, 4, v45
	v_lshlrev_b32_e32 v2, 2, v60
	v_readfirstlane_b32 s25, v1
	s_mul_i32 s24, s24, s25
	s_mul_hi_u32 s24, s25, s24
	s_add_i32 s25, s25, s24
	s_mul_hi_u32 s24, s22, s25
	s_mul_i32 s25, s24, s20
	s_sub_i32 s22, s22, s25
	s_add_i32 s25, s24, 1
	s_sub_i32 s26, s22, s20
	s_cmp_ge_u32 s22, s20
	s_cselect_b32 s24, s25, s24
	s_cselect_b32 s22, s26, s22
	s_add_i32 s25, s24, 1
	s_cmp_ge_u32 s22, s20
	s_cselect_b32 s22, s25, s24
	s_xor_b32 s22, s22, s21
	s_sub_i32 s50, s22, s21
	s_abs_i32 s21, s14
	v_cvt_f32_u32_e32 v1, s21
	s_ashr_i32 s49, s12, 31
	s_lshr_b32 s22, s49, 26
	s_add_i32 s22, s12, s22
	v_rcp_iflag_f32_e32 v1, v1
	s_ashr_i32 s52, s14, 31
	s_ashr_i32 s51, s22, 6
	s_xor_b32 s22, s23, s52
	v_mul_f32_e32 v1, 0x4f7ffffe, v1
	v_cvt_u32_f32_e32 v1, v1
	s_sub_i32 s23, 0, s21
	s_mul_i32 s48, s50, s13
	s_sub_i32 s33, s3, s48
	v_readfirstlane_b32 s24, v1
	s_mul_i32 s23, s23, s24
	s_mul_hi_u32 s23, s24, s23
	s_add_i32 s24, s24, s23
	s_mul_hi_u32 s23, s20, s24
	s_mul_i32 s24, s23, s21
	s_sub_i32 s20, s20, s24
	s_add_i32 s3, s12, 63
	s_add_i32 s24, s23, 1
	s_sub_i32 s25, s20, s21
	s_cmp_ge_u32 s20, s21
	s_cselect_b32 s23, s24, s23
	s_cselect_b32 s20, s25, s20
	s_add_i32 s24, s23, 1
	s_cmp_ge_u32 s20, s21
	s_cselect_b32 s20, s24, s23
	s_xor_b32 s20, s20, s22
	s_sub_i32 s20, s20, s22
	s_abs_i32 s21, s20
	v_cvt_f32_u32_e32 v1, s21
	s_xor_b32 s0, s33, s20
	s_sub_i32 s20, 0, s21
	s_abs_i32 s1, s33
	v_rcp_iflag_f32_e32 v1, v1
	s_ashr_i32 s0, s0, 31
	v_and_b32_e32 v59, 63, v0
	v_mov_b32_e32 v49, 0
	v_mul_f32_e32 v1, 0x4f7ffffe, v1
	v_cvt_u32_f32_e32 v1, v1
	s_mul_i32 s46, s50, s12
	v_and_b32_e32 v61, 15, v0
	s_mul_hi_i32 s54, s50, s13
	v_readfirstlane_b32 s22, v1
	s_mul_i32 s20, s20, s22
	s_mul_hi_u32 s20, s22, s20
	s_add_i32 s22, s22, s20
	s_mul_hi_u32 s20, s1, s22
	s_mul_i32 s22, s20, s21
	s_sub_i32 s1, s1, s22
	s_add_i32 s22, s20, 1
	s_sub_i32 s23, s1, s21
	s_cmp_ge_u32 s1, s21
	s_cselect_b32 s20, s22, s20
	s_cselect_b32 s1, s23, s1
	s_add_i32 s22, s20, 1
	s_cmp_ge_u32 s1, s21
	s_cselect_b32 s1, s22, s20
	s_xor_b32 s1, s1, s0
	s_sub_i32 s55, s1, s0
	s_ashr_i32 s0, s3, 31
	s_lshr_b32 s0, s0, 26
	s_add_i32 s3, s3, s0
	v_or_b32_e32 v1, v2, v58
	s_ashr_i32 s0, s3, 6
	s_lshl_b32 s2, s2, 4
	s_mul_i32 s53, s50, s0
	v_or_b32_e32 v64, 64, v1
	s_cmp_lt_i32 s12, 64
	v_lshrrev_b32_e32 v63, 3, v59
	v_lshlrev_b32_e32 v62, 3, v0
	s_mul_i32 s17, s50, s17
	s_mul_hi_u32 s47, s50, s16
	s_mul_i32 s36, s50, s16
	v_mov_b32_e32 v48, v49
	v_mov_b32_e32 v51, v49
	;; [unrolled: 1-line block ×7, first 2 shown]
	s_cbranch_scc1 .LBB526_18
; %bb.1:
	s_ashr_i32 s3, s50, 31
	s_ashr_i32 s57, s33, 31
	s_add_u32 s0, s48, s33
	s_addc_u32 s1, s54, s57
	s_mul_i32 s1, s12, s1
	s_mul_hi_u32 s20, s12, s0
	s_add_i32 s41, s20, s1
	s_mul_i32 s40, s12, s0
	s_lshl_b64 s[0:1], s[40:41], 8
	v_and_b32_e32 v66, 56, v62
	s_add_u32 s20, s6, s0
	v_lshl_or_b32 v65, v45, 3, v63
	v_lshlrev_b32_e32 v3, 1, v66
	s_addc_u32 s0, s7, s1
	v_lshl_or_b32 v67, v65, 8, v3
	s_and_b32 s21, s0, 0xffff
	s_mov_b32 s23, 0x20000
	s_movk_i32 s22, 0x4000
	s_movk_i32 s0, 0x80
	v_or_b32_e32 v68, 0x2000, v67
	buffer_load_dwordx4 v[4:7], v67, s[20:23], 0 offen
	buffer_load_dwordx4 v[8:11], v67, s[20:23], s0 offen
	;; [unrolled: 1-line block ×4, first 2 shown]
	v_lshlrev_b32_e32 v20, 3, v65
	v_and_or_b32 v22, v0, 7, v20
	v_and_b32_e32 v20, 0x78, v20
	v_lshlrev_b32_e32 v22, 4, v22
	v_xor_b32_e32 v69, v22, v20
	v_mul_lo_u32 v21, v65, s15
	v_or_b32_e32 v70, 0x1000, v69
	s_cmpk_eq_i32 s15, 0x80
	s_mov_b32 s56, s14
	v_xor_b32_e32 v20, 8, v69
	v_xor_b32_e32 v22, 8, v70
	s_cselect_b64 s[0:1], -1, 0
	s_cmpk_lg_i32 s15, 0x80
	s_waitcnt vmcnt(3)
	ds_write_b64 v69, v[4:5] offset:16384
	ds_write_b64 v20, v[6:7] offset:16384
	s_waitcnt vmcnt(2)
	ds_write_b64 v69, v[8:9] offset:24576
	ds_write_b64 v20, v[10:11] offset:24576
	;; [unrolled: 3-line block ×4, first 2 shown]
	v_lshl_add_u32 v4, v21, 1, v66
	s_cbranch_scc0 .LBB526_3
; %bb.2:
	v_lshlrev_b32_e32 v6, 1, v4
	v_add_lshl_u32 v5, v4, s15, 1
	s_lshl_b32 s22, s15, 7
	v_lshl_or_b32 v3, v65, 9, v3
	s_cbranch_execz .LBB526_4
	s_branch .LBB526_5
.LBB526_3:
                                        ; implicit-def: $vgpr5
                                        ; implicit-def: $vgpr6
                                        ; implicit-def: $sgpr22
	v_lshl_or_b32 v3, v65, 9, v3
.LBB526_4:
	v_or_b32_e32 v5, 0x100, v3
	s_movk_i32 s22, 0x4000
	v_mov_b32_e32 v6, v3
.LBB526_5:
	s_mul_hi_u32 s20, s14, s12
	s_mul_i32 s21, s52, s12
	s_add_i32 s20, s20, s21
	s_mul_i32 s21, s14, s12
	s_mul_i32 s23, s21, s3
	s_mul_hi_u32 s24, s21, s50
	s_add_i32 s23, s24, s23
	s_mul_i32 s20, s20, s50
	s_add_i32 s23, s23, s20
	s_mul_i32 s21, s21, s50
	s_ashr_i32 s58, s55, 31
	s_add_u32 s20, s21, s55
	s_addc_u32 s21, s23, s58
	s_lshl_b64 s[20:21], s[20:21], 8
	s_add_u32 s20, s4, s20
	s_addc_u32 s21, s5, s21
	s_and_b32 s21, s21, 0xffff
	s_mov_b32 s23, 0x20000
	s_movk_i32 s59, 0x80
	buffer_load_dwordx4 v[8:11], v6, s[20:23], 0 offen
	buffer_load_dwordx4 v[12:15], v6, s[20:23], s59 offen
	;; [unrolled: 1-line block ×4, first 2 shown]
	v_and_b32_e32 v5, 6, v0
	s_mul_i32 s20, s3, s12
	s_mul_hi_u32 s21, s50, s12
	v_lshlrev_b32_e32 v7, 2, v61
	v_lshlrev_b32_e32 v24, 3, v61
	v_xor_b32_e32 v26, v65, v5
	v_and_b32_e32 v6, 1, v0
	s_mul_i32 s3, s3, s16
	v_lshl_or_b32 v24, v1, 5, v24
	v_xor_b32_e32 v27, v1, v7
	v_lshlrev_b32_e32 v26, 2, v26
	s_add_i32 s63, s21, s20
	s_add_i32 s20, s47, s17
	s_mul_i32 s24, s33, s19
	v_or_b32_e32 v71, 0x9000, v24
	v_or_b32_e32 v72, 0x9800, v24
	v_lshlrev_b32_e32 v24, 1, v27
	v_xor_b32_e32 v27, 0x440, v26
	v_cmp_eq_u32_e32 vcc, 0, v6
	s_add_i32 s37, s20, s3
	s_mul_hi_u32 s3, s33, s18
	v_cndmask_b32_e32 v6, v27, v26, vcc
	s_add_i32 s3, s3, s24
	s_mul_i32 s20, s57, s18
	s_mov_b32 s61, 0x1000504
	v_lshlrev_b32_e32 v25, 8, v61
	s_mov_b32 s22, 0x8000
	v_xor_b32_e32 v7, v64, v7
	v_lshl_or_b32 v5, v5, 10, v6
	s_add_i32 s21, s3, s20
	s_lshl_b64 s[24:25], s[36:37], 2
	s_mov_b32 s62, 0x3020706
	v_lshlrev_b32_e32 v7, 1, v7
	v_or3_b32 v73, v24, v25, s22
	v_xor_b32_e32 v6, 8, v5
	v_xor_b32_e32 v24, 24, v5
	;; [unrolled: 1-line block ×4, first 2 shown]
	s_mul_i32 s20, s33, s18
	s_add_u32 s3, s10, s24
	v_or3_b32 v74, v7, v25, s22
	v_xor_b32_e32 v7, 16, v5
	v_xor_b32_e32 v25, 32, v5
	v_xor_b32_e32 v27, 48, v5
	v_add_u32_e32 v6, 0x80, v6
	v_add_u32_e32 v24, 0x80, v24
	;; [unrolled: 1-line block ×4, first 2 shown]
	s_addc_u32 s24, s11, s25
	s_lshl_b64 s[20:21], s[20:21], 2
	s_add_u32 s42, s3, s20
	s_movk_i32 s3, 0xf8
	s_addc_u32 s43, s24, s21
	s_lshl_b32 s26, s15, 7
	v_mov_b32_e32 v47, 0
	s_mov_b32 s60, 0
	v_add_u32_e32 v85, v58, v2
	s_mov_b32 s37, 0x7060302
	s_mov_b32 s65, 0
	v_mov_b32_e32 v52, v47
	v_mov_b32_e32 v53, v47
	;; [unrolled: 1-line block ×6, first 2 shown]
	s_waitcnt vmcnt(1)
	v_perm_b32 v29, v8, v16, s61
	s_waitcnt vmcnt(0)
	v_perm_b32 v30, v12, v20, s61
	v_perm_b32 v8, v8, v16, s62
	;; [unrolled: 1-line block ×15, first 2 shown]
	ds_write2st64_b32 v5, v29, v30 offset1:32
	ds_write2st64_b32 v6, v8, v12 offset1:32
	ds_write2st64_b32 v7, v16, v20 offset0:1 offset1:33
	ds_write2st64_b32 v24, v9, v13 offset0:1 offset1:33
	;; [unrolled: 1-line block ×6, first 2 shown]
	v_or_b32_e32 v5, v58, v61
	v_lshlrev_b32_e32 v5, 3, v5
	v_lshrrev_b32_e32 v7, 5, v59
	v_and_or_b32 v7, v5, s3, v7
	v_lshlrev_b32_e32 v7, 4, v7
	v_lshrrev_b32_e32 v6, 2, v59
	v_lshlrev_b32_e32 v9, 11, v45
	v_and_b32_e32 v5, 0x78, v5
	v_or_b32_e32 v12, 32, v7
	v_and_b32_e32 v8, 12, v6
	v_and_b32_e32 v6, 0x1000, v9
	v_lshrrev_b32_e32 v11, 1, v59
	v_xor_b32_e32 v12, v12, v5
	v_and_b32_e32 v11, 8, v11
	v_or_b32_e32 v12, v12, v6
	v_xor_b32_e32 v10, v7, v5
	v_xor_b32_e32 v77, v12, v11
	v_or_b32_e32 v12, 64, v7
	v_or_b32_e32 v7, 0x60, v7
	;; [unrolled: 1-line block ×3, first 2 shown]
	v_xor_b32_e32 v12, v12, v5
	v_xor_b32_e32 v5, v7, v5
	;; [unrolled: 1-line block ×3, first 2 shown]
	v_and_b32_e32 v10, 0x78, v62
	v_or_b32_e32 v5, v5, v6
	v_lshl_or_b32 v10, v60, 7, v10
	v_or_b32_e32 v12, v12, v6
	v_xor_b32_e32 v79, v5, v11
	s_ashr_i32 s3, s2, 31
	v_lshlrev_b32_e32 v5, 1, v61
	v_or_b32_e32 v76, 0x9000, v10
	v_xor_b32_e32 v78, v12, v11
	v_or_b32_e32 v80, 0x9800, v10
	v_lshlrev_b32_e32 v10, 1, v4
	v_add_lshl_u32 v11, v4, s15, 1
	v_lshrrev_b32_e32 v4, 4, v0
	s_lshl_b64 s[20:21], s[2:3], 8
	v_or_b32_e32 v13, 1, v5
	s_waitcnt lgkmcnt(0)
	s_add_u32 s20, s38, s20
	v_xor_b32_e32 v5, v4, v5
	v_xor_b32_e32 v13, v13, v4
	s_addc_u32 s21, s39, s21
	v_lshlrev_b32_e32 v5, 3, v5
	v_lshlrev_b32_e32 v46, 8, v4
	v_lshlrev_b32_e32 v4, 3, v13
	v_lshrrev_b32_e32 v17, 1, v0
	v_or3_b32 v81, v5, v46, s22
	v_or3_b32 v82, v4, v46, s22
	v_lshl_add_u64 v[4:5], s[20:21], 0, v[46:47]
	v_lshlrev_b32_e32 v46, 4, v61
	s_movk_i32 s3, 0xff
	v_lshlrev_b32_e32 v16, 3, v45
	v_and_b32_e32 v17, 24, v17
	v_lshl_add_u64 v[54:55], v[4:5], 0, v[46:47]
	v_and_b32_e32 v5, 8, v0
	v_cmp_lt_u32_e32 vcc, s3, v0
	v_xor_b32_e32 v18, v16, v17
	v_or_b32_e32 v19, 0x440, v18
	v_cndmask_b32_e64 v15, 0, 1, vcc
	v_cmp_eq_u32_e32 vcc, 0, v5
	v_or_b32_e32 v21, 64, v17
	v_xor_b32_e32 v21, v16, v21
	v_cndmask_b32_e32 v5, v19, v18, vcc
	v_or_b32_e32 v19, 32, v17
	v_or_b32_e32 v17, 0x60, v17
	v_xor_b32_e32 v19, v16, v19
	v_xor_b32_e32 v16, v16, v17
	v_or_b32_e32 v20, 0x440, v19
	v_xor_b32_e32 v22, 0x440, v21
	v_xor_b32_e32 v17, 0x440, v16
	v_and_b32_e32 v4, 7, v0
	v_cndmask_b32_e32 v19, v20, v19, vcc
	v_cndmask_b32_e32 v21, v22, v21, vcc
	;; [unrolled: 1-line block ×3, first 2 shown]
	v_or_b32_e32 v6, s2, v61
	v_lshlrev_b32_e32 v13, 3, v4
	v_or_b32_e32 v5, v5, v9
	v_or_b32_e32 v19, v19, v9
	;; [unrolled: 1-line block ×4, first 2 shown]
	v_ashrrev_i32_e32 v7, 31, v6
	v_lshlrev_b32_e32 v15, 13, v15
	v_xor_b32_e32 v5, v5, v13
	v_xor_b32_e32 v19, v19, v13
	;; [unrolled: 1-line block ×4, first 2 shown]
	v_lshl_add_u64 v[6:7], v[6:7], 1, s[8:9]
	v_or_b32_e32 v12, 0x100, v3
	v_lshlrev_b32_e32 v14, 7, v4
	v_or_b32_e32 v4, v8, v58
	v_add_u32_e32 v18, v15, v5
	v_add_u32_e32 v20, v15, v19
	;; [unrolled: 1-line block ×4, first 2 shown]
	v_or3_b32 v8, v58, v8, 64
	v_add_u32_e32 v5, 0x2000, v5
	v_add_u32_e32 v15, 0x2000, v19
	;; [unrolled: 1-line block ×4, first 2 shown]
	v_lshlrev_b32_e32 v46, 8, v1
	v_cndmask_b32_e64 v83, v10, v3, s[0:1]
	v_cndmask_b32_e64 v84, v11, v12, s[0:1]
	v_lshl_add_u64 v[56:57], v[6:7], 0, v[46:47]
	s_add_i32 s3, s46, 63
	s_movk_i32 s22, 0x4000
	v_lshlrev_b32_e32 v86, 2, v4
	v_add_u32_e32 v87, v18, v14
	v_add_u32_e32 v88, v20, v14
	;; [unrolled: 1-line block ×4, first 2 shown]
	v_lshlrev_b32_e32 v91, 2, v8
	v_add_u32_e32 v92, v5, v14
	v_add_u32_e32 v93, v15, v14
	;; [unrolled: 1-line block ×4, first 2 shown]
	v_mov_b32_e32 v46, v47
	s_barrier
.LBB526_6:                              ; =>This Inner Loop Header: Depth=1
	s_add_i32 s64, s65, 1
	s_cmp_lt_i32 s64, s51
	s_mov_b64 s[24:25], 0
	s_cselect_b64 s[44:45], -1, 0
	s_cmp_ge_i32 s64, s51
	s_mov_b64 s[20:21], 0
	s_cbranch_scc1 .LBB526_8
; %bb.7:                                ;   in Loop: Header=BB526_6 Depth=1
	s_add_i32 s0, s60, 64
	s_add_u32 s0, s40, s0
	s_addc_u32 s1, s41, 0
	s_lshl_b64 s[0:1], s[0:1], 8
	s_add_u32 s20, s6, s0
	s_addc_u32 s21, s7, s1
.LBB526_8:                              ;   in Loop: Header=BB526_6 Depth=1
	v_cndmask_b32_e64 v2, 0, 1, s[44:45]
	v_cmp_ne_u32_e64 s[0:1], 1, v2
	s_andn2_b64 vcc, exec, s[44:45]
	s_cbranch_vccnz .LBB526_10
; %bb.9:                                ;   in Loop: Header=BB526_6 Depth=1
	s_add_i32 s24, s60, 64
	s_add_u32 s24, s46, s24
	s_addc_u32 s25, s63, 0
	s_mul_i32 s27, s24, s52
	s_mul_hi_u32 s44, s24, s56
	s_add_i32 s27, s44, s27
	s_mul_i32 s25, s25, s56
	s_add_i32 s27, s27, s25
	s_mul_i32 s24, s24, s56
	s_add_u32 s24, s24, s55
	s_addc_u32 s25, s27, s58
	s_lshl_b64 s[24:25], s[24:25], 8
	s_add_u32 s24, s4, s24
	s_addc_u32 s25, s5, s25
.LBB526_10:                             ;   in Loop: Header=BB526_6 Depth=1
	v_perm_b32 v3, v53, v52, s37
	v_perm_b32 v2, v47, v46, s37
	;; [unrolled: 1-line block ×4, first 2 shown]
	ds_write_b64 v71, v[2:3]
	ds_write_b64 v72, v[4:5]
	ds_write_b64 v73, v[2:3]
	ds_write_b64 v74, v[4:5]
	s_waitcnt lgkmcnt(0)
	s_barrier
	ds_read_b64 v[10:11], v75 offset:16384
	ds_read_b64 v[12:13], v77 offset:16384
	ds_read2st64_b64 v[2:5], v76 offset1:1
	ds_read2st64_b64 v[6:9], v76 offset0:2 offset1:3
	ds_read_b64 v[14:15], v78 offset:16384
	s_waitcnt lgkmcnt(2)
	v_mfma_f32_16x16x16_bf16 a[0:3], v[10:11], v[2:3], 0
	ds_read_b64 v[2:3], v79 offset:16384
	s_add_i32 s27, s60, 63
	s_mul_i32 s44, s27, s35
	v_mfma_f32_16x16x16_bf16 a[0:3], v[12:13], v[4:5], a[0:3]
	s_mul_hi_u32 s45, s27, s34
	s_add_i32 s45, s45, s44
	s_mul_i32 s44, s27, s34
	s_waitcnt lgkmcnt(1)
	v_mfma_f32_16x16x16_bf16 a[0:3], v[14:15], v[6:7], a[0:3]
	s_lshl_b64 s[44:45], s[44:45], 2
	s_add_u32 s44, s42, s44
	s_addc_u32 s45, s43, s45
	s_waitcnt lgkmcnt(0)
	v_mfma_f32_16x16x16_bf16 a[0:3], v[2:3], v[8:9], a[0:3]
	s_and_b64 vcc, exec, s[0:1]
	v_mov_b32_e32 v98, 0
	v_mov_b32_e32 v97, 0
	;; [unrolled: 1-line block ×19, first 2 shown]
	s_cbranch_vccnz .LBB526_12
; %bb.11:                               ;   in Loop: Header=BB526_6 Depth=1
	s_and_b32 s21, s21, 0xffff
	buffer_load_dwordx4 v[14:17], v67, s[20:23], 0 offen
	buffer_load_dwordx4 v[10:13], v67, s[20:23], s59 offen
	;; [unrolled: 1-line block ×4, first 2 shown]
	v_mov_b32_e32 v97, v69
	v_mov_b32_e32 v96, v70
.LBB526_12:                             ;   in Loop: Header=BB526_6 Depth=1
	v_add_u32_e32 v24, s60, v85
	v_ashrrev_i32_e32 v18, 31, v24
	v_mul_lo_u32 v20, v18, s34
	v_mul_lo_u32 v21, v24, s35
	v_mad_u64_u32 v[18:19], s[20:21], v24, s34, 0
	v_add3_u32 v19, v19, v21, v20
	v_add_u32_e32 v20, 1, v24
	v_ashrrev_i32_e32 v21, 31, v20
	v_mul_lo_u32 v22, v21, s34
	v_mul_lo_u32 v23, v20, s35
	v_mad_u64_u32 v[20:21], s[20:21], v20, s34, 0
	v_add3_u32 v21, v21, v23, v22
	v_add_u32_e32 v22, 2, v24
	v_ashrrev_i32_e32 v23, 31, v22
	v_mul_lo_u32 v25, v23, s34
	v_mul_lo_u32 v26, v22, s35
	v_mad_u64_u32 v[22:23], s[20:21], v22, s34, 0
	v_add_u32_e32 v24, 3, v24
	v_add3_u32 v23, v23, v26, v25
	v_ashrrev_i32_e32 v25, 31, v24
	v_mul_lo_u32 v28, v25, s34
	v_mul_lo_u32 v29, v24, s35
	v_mad_u64_u32 v[24:25], s[20:21], v24, s34, 0
	s_add_u32 s20, s40, s60
	s_addc_u32 s21, s41, 0
	s_lshl_b64 s[20:21], s[20:21], 8
	v_lshl_add_u64 v[18:19], v[18:19], 2, s[42:43]
	v_lshl_add_u64 v[26:27], v[56:57], 0, s[20:21]
	;; [unrolled: 1-line block ×3, first 2 shown]
	global_load_ushort v42, v[26:27], off
	global_load_ushort v43, v[26:27], off offset:256
	global_load_ushort v44, v[26:27], off offset:512
	;; [unrolled: 1-line block ×3, first 2 shown]
	v_add3_u32 v25, v25, v29, v28
	global_load_dword v101, v[18:19], off
	v_lshl_add_u64 v[22:23], v[22:23], 2, s[42:43]
	v_lshl_add_u64 v[18:19], v[24:25], 2, s[42:43]
	global_load_dword v102, v[20:21], off
	global_load_dword v103, v[22:23], off
	;; [unrolled: 1-line block ×3, first 2 shown]
	s_load_dword s20, s[44:45], 0x0
	ds_read2st64_b64 v[26:29], v80 offset1:1
	ds_read2st64_b64 v[32:35], v80 offset0:2 offset1:3
	ds_read_b64 v[30:31], v75 offset:24576
	ds_read_b64 v[36:37], v77 offset:24576
	;; [unrolled: 1-line block ×4, first 2 shown]
	s_waitcnt lgkmcnt(0)
	v_mfma_f32_16x16x16_bf16 a[0:3], v[30:31], v[26:27], a[0:3]
	v_mov_b32_e32 v99, 0
	v_mov_b32_e32 v18, 0
	v_mov_b32_e32 v19, 0
	v_mfma_f32_16x16x16_bf16 a[0:3], v[36:37], v[28:29], a[0:3]
	v_mov_b32_e32 v20, 0
	v_mov_b32_e32 v21, 0
	v_mov_b32_e32 v22, 0
	;; [unrolled: 4-line block ×4, first 2 shown]
	v_mov_b32_e32 v29, 0
	v_mov_b32_e32 v30, 0
	;; [unrolled: 1-line block ×4, first 2 shown]
	v_accvgpr_read_b32 v37, a1
	v_accvgpr_read_b32 v35, a3
	;; [unrolled: 1-line block ×4, first 2 shown]
	s_and_b64 vcc, exec, s[0:1]
	s_waitcnt vmcnt(7)
	v_lshlrev_b32_e32 v38, 16, v42
	s_waitcnt vmcnt(6)
	v_lshlrev_b32_e32 v39, 16, v43
	;; [unrolled: 2-line block ×4, first 2 shown]
	v_pk_add_f32 v[36:37], v[38:39], v[36:37] neg_lo:[0,1] neg_hi:[0,1]
	s_waitcnt vmcnt(3)
	v_sub_f32_e32 v33, s20, v101
	v_exp_f32_e32 v42, v33
	s_waitcnt vmcnt(2)
	v_sub_f32_e32 v33, s20, v102
	s_waitcnt vmcnt(1)
	v_sub_f32_e32 v44, s20, v103
	;; [unrolled: 2-line block ×3, first 2 shown]
	v_exp_f32_e32 v43, v33
	v_exp_f32_e32 v100, v44
	;; [unrolled: 1-line block ×3, first 2 shown]
	v_pk_add_f32 v[34:35], v[40:41], v[34:35] neg_lo:[0,1] neg_hi:[0,1]
	v_pk_mul_f32 v[36:37], v[42:43], v[36:37]
	v_mov_b32_e32 v33, 0
	v_pk_mul_f32 v[34:35], v[100:101], v[34:35]
	s_nop 0
	v_perm_b32 v35, v35, v34, s37
	v_perm_b32 v34, v37, v36, s37
	ds_write_b64 v72, v[34:35]
	s_cbranch_vccnz .LBB526_14
; %bb.13:                               ;   in Loop: Header=BB526_6 Depth=1
	s_and_b32 s25, s25, 0xffff
	s_mov_b32 s27, s23
	buffer_load_dwordx4 v[30:33], v83, s[24:27], 0 offen
	buffer_load_dwordx4 v[22:25], v83, s[24:27], s59 offen
	;; [unrolled: 1-line block ×4, first 2 shown]
	v_mov_b32_e32 v98, v66
	v_mov_b32_e32 v99, v65
.LBB526_14:                             ;   in Loop: Header=BB526_6 Depth=1
	s_waitcnt lgkmcnt(0)
	s_barrier
	ds_read_b64 v[34:35], v87
	ds_read_b64 v[40:41], v88
	ds_read2st64_b64 v[36:39], v80 offset1:1
	ds_read2st64_b64 v[100:103], v80 offset0:2 offset1:3
	ds_read_b64 v[42:43], v89
	ds_read_b64 v[108:109], v90
	s_add_i32 s21, s53, s65
	s_mul_hi_i32 s25, s21, s13
	s_mul_i32 s21, s21, s13
	s_waitcnt lgkmcnt(3)
	v_mfma_f32_16x16x16_bf16 a[0:3], v[34:35], v[36:37], 0
	ds_read_b64 v[34:35], v92
	s_add_u32 s24, s21, s33
	s_addc_u32 s25, s25, s57
	s_add_i32 s21, s3, s60
	v_mfma_f32_16x16x16_bf16 a[0:3], v[40:41], v[38:39], a[0:3]
	ds_read_b64 v[40:41], v93
	s_lshl_b64 s[24:25], s[24:25], 15
	s_mul_hi_i32 s27, s21, s13
	s_mul_i32 s21, s21, s13
	s_add_u32 s44, s21, s33
	s_addc_u32 s45, s27, s57
	s_lshl_b64 s[44:45], s[44:45], 9
	s_add_u32 s44, s30, s44
	s_waitcnt lgkmcnt(1)
	v_mfma_f32_16x16x16_bf16 a[4:7], v[34:35], v[36:37], 0
	s_addc_u32 s45, s31, s45
	s_and_b64 vcc, exec, s[0:1]
	v_mfma_f32_16x16x16_bf16 a[0:3], v[42:43], v[100:101], a[0:3]
	ds_read_b64 v[42:43], v94
	ds_read_b64 v[110:111], v95
	global_load_dwordx4 v[34:37], v91, s[44:45]
	s_waitcnt lgkmcnt(2)
	v_mfma_f32_16x16x16_bf16 a[4:7], v[40:41], v[38:39], a[4:7]
	global_load_dwordx4 v[38:41], v86, s[44:45]
	ds_read_b64 v[104:105], v81
	ds_read_b64 v[106:107], v82
	s_waitcnt lgkmcnt(3)
	v_mfma_f32_16x16x16_bf16 a[8:11], v[42:43], v[100:101], a[4:7]
	v_lshl_add_u64 v[42:43], v[54:55], 0, s[24:25]
	s_waitcnt lgkmcnt(0)
	global_store_dwordx4 v[42:43], v[104:107], off
	v_mfma_f32_16x16x16_bf16 a[4:7], v[108:109], v[102:103], a[0:3]
	s_waitcnt vmcnt(2)
	v_mov_b32_e32 v44, v37
	v_mfma_f32_16x16x16_bf16 a[0:3], v[110:111], v[102:103], a[8:11]
	v_mov_b32_e32 v43, v36
	v_mov_b32_e32 v42, v35
	s_cbranch_vccnz .LBB526_16
; %bb.15:                               ;   in Loop: Header=BB526_6 Depth=1
	v_lshrrev_b32_e32 v35, 3, v98
	v_and_b32_e32 v35, 6, v35
	v_xor_b32_e32 v36, v35, v99
	v_lshlrev_b32_e32 v36, 2, v36
	v_and_b32_e32 v37, 8, v98
	v_xor_b32_e32 v98, 0x440, v36
	v_cmp_eq_u32_e32 vcc, 0, v37
	v_perm_b32 v37, v22, v18, s61
	s_nop 0
	v_cndmask_b32_e32 v36, v98, v36, vcc
	v_lshl_or_b32 v35, v35, 10, v36
	v_perm_b32 v36, v30, v26, s61
	s_barrier
	ds_write2st64_b32 v35, v36, v37 offset1:32
	v_xor_b32_e32 v36, 8, v35
	v_perm_b32 v26, v30, v26, s62
	v_perm_b32 v18, v22, v18, s62
	v_add_u32_e32 v22, 0x80, v36
	ds_write2st64_b32 v22, v26, v18 offset1:32
	v_xor_b32_e32 v18, 16, v35
	v_perm_b32 v22, v31, v27, s61
	v_perm_b32 v26, v23, v19, s61
	ds_write2st64_b32 v18, v22, v26 offset0:1 offset1:33
	v_xor_b32_e32 v18, 24, v35
	v_perm_b32 v22, v31, v27, s62
	v_perm_b32 v19, v23, v19, s62
	v_add_u32_e32 v18, 0x80, v18
	ds_write2st64_b32 v18, v22, v19 offset0:1 offset1:33
	v_xor_b32_e32 v18, 32, v35
	v_perm_b32 v19, v32, v28, s61
	v_perm_b32 v22, v24, v20, s61
	ds_write2st64_b32 v18, v19, v22 offset0:2 offset1:34
	v_xor_b32_e32 v18, 40, v35
	v_perm_b32 v19, v32, v28, s62
	v_perm_b32 v20, v24, v20, s62
	v_add_u32_e32 v18, 0x80, v18
	ds_write2st64_b32 v18, v19, v20 offset0:2 offset1:34
	v_xor_b32_e32 v18, 48, v35
	v_perm_b32 v19, v33, v29, s61
	v_perm_b32 v20, v25, v21, s61
	ds_write2st64_b32 v18, v19, v20 offset0:3 offset1:35
	v_xor_b32_e32 v18, 56, v35
	v_perm_b32 v19, v33, v29, s62
	v_perm_b32 v20, v25, v21, s62
	v_add_u32_e32 v18, 0x80, v18
	ds_write2st64_b32 v18, v19, v20 offset0:3 offset1:35
	ds_write_b64 v97, v[14:15] offset:16384
	v_xor_b32_e32 v14, 8, v97
	ds_write_b64 v14, v[16:17] offset:16384
	ds_write_b64 v97, v[10:11] offset:24576
	;; [unrolled: 1-line block ×4, first 2 shown]
	v_xor_b32_e32 v6, 8, v96
	ds_write_b64 v6, v[8:9] offset:16384
	ds_write_b64 v96, v[2:3] offset:24576
	;; [unrolled: 1-line block ×3, first 2 shown]
.LBB526_16:                             ;   in Loop: Header=BB526_6 Depth=1
	v_exp_f32_e32 v10, s20
	s_waitcnt vmcnt(1)
	v_exp_f32_e32 v12, v38
	v_exp_f32_e32 v13, v39
	;; [unrolled: 1-line block ×4, first 2 shown]
	v_accvgpr_read_b32 v2, a4
	v_accvgpr_read_b32 v3, a5
	v_pk_mul_f32 v[12:13], v[10:11], v[12:13] op_sel_hi:[0,1]
	v_pk_fma_f32 v[46:47], v[46:47], v[12:13], v[2:3]
	v_exp_f32_e32 v12, v34
	v_exp_f32_e32 v13, v42
	v_pk_mul_f32 v[2:3], v[10:11], v[14:15] op_sel_hi:[0,1]
	v_exp_f32_e32 v14, v43
	v_exp_f32_e32 v15, v44
	v_accvgpr_read_b32 v4, a6
	v_accvgpr_read_b32 v5, a7
	;; [unrolled: 1-line block ×5, first 2 shown]
	v_pk_fma_f32 v[52:53], v[52:53], v[2:3], v[4:5]
	v_pk_mul_f32 v[2:3], v[10:11], v[12:13] op_sel_hi:[0,1]
	v_accvgpr_read_b32 v8, a2
	v_pk_fma_f32 v[50:51], v[50:51], v[2:3], v[6:7]
	v_pk_mul_f32 v[2:3], v[10:11], v[14:15] op_sel_hi:[0,1]
	s_add_i32 s60, s60, 64
	s_cmp_eq_u32 s51, s64
	v_pk_fma_f32 v[48:49], v[48:49], v[2:3], v[8:9]
	s_cbranch_scc1 .LBB526_18
; %bb.17:                               ;   in Loop: Header=BB526_6 Depth=1
	s_mov_b32 s65, s64
	s_branch .LBB526_6
.LBB526_18:
	s_lshl_b32 s44, s51, 6
	s_sub_i32 s45, s12, s44
	s_cmp_gt_i32 s45, 0
	v_or_b32_e32 v26, s2, v61
	s_cbranch_scc1 .LBB526_20
; %bb.19:
	s_ashr_i32 s0, s33, 31
	s_add_u32 s24, s48, s33
	s_addc_u32 s25, s54, s0
	v_or_b32_e32 v2, s2, v61
	s_cbranch_execz .LBB526_21
	s_branch .LBB526_77
.LBB526_20:
                                        ; implicit-def: $sgpr24_sgpr25
                                        ; implicit-def: $vgpr2
.LBB526_21:
	s_ashr_i32 s37, s50, 31
	s_ashr_i32 s3, s44, 31
	s_cmpk_lg_i32 s15, 0x80
	s_cselect_b64 s[40:41], -1, 0
	s_and_b64 vcc, exec, s[40:41]
	s_cbranch_vccz .LBB526_23
; %bb.22:
	s_mul_hi_i32 s0, s50, s12
	s_add_u32 s1, s46, s44
	s_addc_u32 s0, s0, s3
	s_mul_i32 s20, s1, s52
	s_mul_hi_u32 s21, s1, s14
	s_add_i32 s20, s21, s20
	s_mul_i32 s0, s0, s14
	s_add_i32 s20, s20, s0
	s_mul_i32 s1, s1, s14
	s_ashr_i32 s0, s55, 31
	s_add_u32 s42, s1, s55
	s_addc_u32 s43, s20, s0
	s_cbranch_execz .LBB526_24
	s_branch .LBB526_25
.LBB526_23:
                                        ; implicit-def: $sgpr42_sgpr43
.LBB526_24:
	s_mul_hi_i32 s0, s50, s14
	s_mul_i32 s50, s50, s14
	s_ashr_i32 s1, s55, 31
	s_add_u32 s14, s50, s55
	s_addc_u32 s0, s0, s1
	s_mul_i32 s1, s14, s49
	s_mul_hi_u32 s20, s14, s12
	s_add_i32 s1, s20, s1
	s_mul_i32 s0, s0, s12
	s_add_i32 s1, s1, s0
	s_mul_i32 s14, s14, s12
	s_add_u32 s42, s14, s44
	s_addc_u32 s43, s1, s3
.LBB526_25:
	s_add_i32 s20, s53, s51
	s_ashr_i32 s14, s33, 31
	s_add_u32 s24, s48, s33
	s_addc_u32 s25, s54, s14
	s_mul_i32 s0, s24, s49
	s_mul_hi_u32 s1, s24, s12
	s_add_i32 s0, s1, s0
	s_mul_i32 s1, s25, s12
	s_add_i32 s1, s0, s1
	s_mul_i32 s0, s24, s12
	s_add_u32 s0, s0, s44
	s_addc_u32 s1, s1, s3
	s_mov_b32 s3, 0x7060302
	v_lshlrev_b32_e32 v6, 3, v61
	s_lshl_b64 s[26:27], s[0:1], 8
	v_perm_b32 v3, v53, v52, s3
	v_perm_b32 v2, v47, v46, s3
	;; [unrolled: 1-line block ×4, first 2 shown]
	v_lshlrev_b32_e32 v36, 2, v61
	v_lshl_or_b32 v6, v1, 5, v6
	s_add_u32 s0, s6, s26
	ds_write2st64_b64 v6, v[2:3], v[4:5] offset0:72 offset1:76
	v_xor_b32_e32 v6, v1, v36
	v_lshlrev_b32_e32 v7, 8, v61
	s_addc_u32 s1, s7, s27
	v_lshl_or_b32 v6, v6, 1, v7
	s_mul_hi_i32 s3, s20, s13
	s_mul_i32 s20, s20, s13
	ds_write_b64 v6, v[2:3] offset:32768
	v_xor_b32_e32 v2, v64, v36
	s_add_u32 s6, s20, s33
	v_lshl_or_b32 v2, v2, 1, v7
	s_addc_u32 s7, s3, s14
	v_lshlrev_b32_e32 v3, 1, v61
	ds_write_b64 v2, v[4:5] offset:32768
	v_lshrrev_b32_e32 v2, 4, v0
	s_ashr_i32 s3, s2, 31
	s_lshl_b64 s[6:7], s[6:7], 15
	v_or_b32_e32 v4, 1, v3
	s_waitcnt lgkmcnt(0)
	s_add_u32 s6, s38, s6
	v_xor_b32_e32 v3, v2, v3
	v_xor_b32_e32 v4, v4, v2
	v_lshlrev_b32_e32 v6, 8, v2
	s_addc_u32 s7, s39, s7
	s_lshl_b64 s[2:3], s[2:3], 8
	v_lshl_or_b32 v2, v3, 3, v6
	v_lshl_or_b32 v4, v4, 3, v6
	s_barrier
	s_add_u32 s2, s6, s2
	ds_read_b64 v[2:3], v2 offset:32768
	ds_read_b64 v[4:5], v4 offset:32768
	s_addc_u32 s3, s7, s3
	v_mov_b32_e32 v7, 0
	s_cmp_lg_u32 s45, 64
	v_lshl_add_u64 v[8:9], s[2:3], 0, v[6:7]
	v_lshlrev_b32_e32 v6, 4, v61
	s_cselect_b64 s[6:7], -1, 0
	v_lshl_or_b32 v27, v45, 3, v63
	s_mov_b32 s20, 0
	v_lshl_add_u64 v[6:7], v[8:9], 0, v[6:7]
	v_or_b32_e32 v19, 32, v27
	v_and_b32_e32 v18, 56, v62
	s_and_b64 vcc, exec, s[6:7]
	s_waitcnt lgkmcnt(0)
	global_store_dwordx4 v[6:7], v[2:5], off
	s_cbranch_vccz .LBB526_31
; %bb.26:
	s_mov_b32 s21, s20
	s_mov_b32 s22, s20
	;; [unrolled: 1-line block ×3, first 2 shown]
	v_mov_b64_e32 v[6:7], s[20:21]
	v_mov_b64_e32 v[8:9], s[22:23]
	;; [unrolled: 1-line block ×3, first 2 shown]
	v_cmp_gt_i32_e32 vcc, s45, v27
	v_mov_b64_e32 v[4:5], v[8:9]
	s_and_saveexec_b64 s[2:3], vcc
	s_cbranch_execz .LBB526_28
; %bb.27:
	v_lshlrev_b32_e32 v2, 8, v27
	v_mov_b32_e32 v3, 0
	v_lshl_add_u64 v[4:5], s[0:1], 0, v[2:3]
	v_lshlrev_b32_e32 v2, 1, v18
	v_lshl_add_u64 v[10:11], v[4:5], 0, v[2:3]
	global_load_dwordx4 v[6:9], v[10:11], off
	global_load_dwordx4 v[2:5], v[10:11], off offset:128
.LBB526_28:
	s_or_b64 exec, exec, s[2:3]
	s_mov_b32 s21, s20
	s_mov_b32 s22, s20
	;; [unrolled: 1-line block ×3, first 2 shown]
	v_mov_b64_e32 v[14:15], s[20:21]
	v_mov_b64_e32 v[16:17], s[22:23]
	;; [unrolled: 1-line block ×3, first 2 shown]
	v_cmp_gt_i32_e32 vcc, s45, v19
	v_lshlrev_b32_e32 v20, 7, v19
	v_mov_b64_e32 v[12:13], v[16:17]
	s_and_saveexec_b64 s[2:3], vcc
	s_cbranch_execz .LBB526_30
; %bb.29:
	v_lshlrev_b32_e32 v10, 1, v20
	v_mov_b32_e32 v11, 0
	v_lshl_add_u64 v[12:13], s[0:1], 0, v[10:11]
	v_lshlrev_b32_e32 v10, 1, v18
	v_lshl_add_u64 v[22:23], v[12:13], 0, v[10:11]
	global_load_dwordx4 v[14:17], v[22:23], off
	global_load_dwordx4 v[10:13], v[22:23], off offset:128
.LBB526_30:
	s_or_b64 exec, exec, s[2:3]
	v_lshrrev_b32_e32 v21, 3, v18
	v_lshlrev_b32_e32 v22, 3, v27
	v_or_b32_e32 v21, v22, v21
	v_lshlrev_b32_e32 v21, 4, v21
	v_and_b32_e32 v22, 0x78, v22
	v_xor_b32_e32 v21, v21, v22
	s_branch .LBB526_33
.LBB526_31:
                                        ; implicit-def: $vgpr21
                                        ; implicit-def: $vgpr20
                                        ; implicit-def: $vgpr6_vgpr7_vgpr8_vgpr9
                                        ; implicit-def: $vgpr2_vgpr3_vgpr4_vgpr5
                                        ; implicit-def: $vgpr14_vgpr15_vgpr16_vgpr17
                                        ; implicit-def: $vgpr10_vgpr11_vgpr12_vgpr13
	s_cbranch_execz .LBB526_33
; %bb.32:
	s_waitcnt vmcnt(0)
	v_lshlrev_b32_e32 v2, 1, v18
	v_lshl_or_b32 v20, v27, 8, v2
	s_and_b32 s1, s1, 0xffff
	s_mov_b32 s3, 0x20000
	s_movk_i32 s2, 0x4000
	v_lshl_or_b32 v21, v19, 8, v2
	s_movk_i32 s20, 0x80
	buffer_load_dwordx4 v[6:9], v20, s[0:3], 0 offen
	buffer_load_dwordx4 v[2:5], v20, s[0:3], s20 offen
	;; [unrolled: 1-line block ×4, first 2 shown]
	v_lshrrev_b32_e32 v20, 3, v18
	v_lshlrev_b32_e32 v21, 3, v27
	v_or_b32_e32 v20, v21, v20
	v_lshlrev_b32_e32 v20, 4, v20
	v_and_b32_e32 v21, 0x78, v21
	v_xor_b32_e32 v21, v20, v21
	v_lshlrev_b32_e32 v20, 7, v19
.LBB526_33:
	s_lshl_b64 s[0:1], s[42:43], 8
	s_add_u32 s4, s4, s0
	s_movk_i32 s0, 0x1000
	v_and_or_b32 v19, v20, s0, v21
	s_waitcnt vmcnt(1)
	ds_write_b64 v21, v[6:7] offset:16384
	v_xor_b32_e32 v6, 8, v21
	s_addc_u32 s5, s5, s1
	ds_write_b64 v6, v[8:9] offset:16384
	s_waitcnt vmcnt(0)
	ds_write_b64 v21, v[2:3] offset:24576
	ds_write_b64 v6, v[4:5] offset:24576
	;; [unrolled: 1-line block ×3, first 2 shown]
	v_xor_b32_e32 v2, 8, v19
	s_add_i32 s20, s12, -1
	ds_write_b64 v2, v[16:17] offset:16384
	ds_write_b64 v19, v[10:11] offset:24576
	;; [unrolled: 1-line block ×3, first 2 shown]
	s_mul_i32 s3, s20, s35
	s_mul_hi_u32 s12, s20, s34
	v_or_b32_e32 v2, v58, v61
	s_add_i32 s3, s12, s3
	v_lshlrev_b32_e32 v2, 3, v2
	v_lshrrev_b32_e32 v4, 5, v59
	s_movk_i32 s12, 0xf8
	v_and_or_b32 v4, v2, s12, v4
	v_lshlrev_b32_e32 v37, 11, v45
	v_lshlrev_b32_e32 v12, 4, v4
	v_and_b32_e32 v13, 0x78, v2
	v_and_b32_e32 v14, 0x1000, v37
	v_lshlrev_b32_e32 v3, 2, v0
	v_xor_b32_e32 v2, v12, v13
	v_lshrrev_b32_e32 v4, 1, v59
	v_and_b32_e32 v3, 60, v3
	v_or_b32_e32 v2, v2, v14
	v_and_b32_e32 v15, 8, v4
	v_xor_b32_e32 v28, v2, v15
	v_lshl_or_b32 v2, v60, 6, v3
	v_lshlrev_b32_e32 v38, 1, v2
	v_or_b32_e32 v2, 32, v12
	v_xor_b32_e32 v2, v2, v13
	s_waitcnt lgkmcnt(0)
	s_barrier
	ds_read_b64 v[10:11], v28 offset:16384
	v_or_b32_e32 v2, v2, v14
	v_xor_b32_e32 v29, v2, v15
	v_or_b32_e32 v2, 64, v12
	v_xor_b32_e32 v2, v2, v13
	v_or_b32_e32 v2, v2, v14
	v_or_b32_e32 v12, 0x60, v12
	v_xor_b32_e32 v30, v2, v15
	ds_read2st64_b64 v[2:5], v38 offset0:72 offset1:73
	ds_read2st64_b64 v[6:9], v38 offset0:74 offset1:75
	v_xor_b32_e32 v16, v12, v13
	ds_read_b64 v[12:13], v29 offset:16384
	s_waitcnt lgkmcnt(2)
	v_mfma_f32_16x16x16_bf16 a[0:3], v[10:11], v[2:3], 0
	s_add_i32 s0, s47, s17
	s_mul_i32 s37, s37, s16
	s_add_i32 s37, s0, s37
	s_mul_i32 s0, s33, s19
	s_mul_hi_u32 s1, s33, s18
	s_ashr_i32 s2, s20, 31
	s_add_i32 s0, s1, s0
	s_mul_i32 s1, s14, s18
	s_mul_i32 s2, s2, s34
	v_or_b32_e32 v14, v16, v14
	s_add_i32 s1, s0, s1
	s_add_i32 s3, s3, s2
	s_lshl_b64 s[16:17], s[36:37], 2
	v_xor_b32_e32 v39, v14, v15
	ds_read_b64 v[14:15], v30 offset:16384
	ds_read_b64 v[16:17], v39 offset:16384
	s_waitcnt lgkmcnt(2)
	v_mfma_f32_16x16x16_bf16 a[0:3], v[12:13], v[4:5], a[0:3]
	s_mul_i32 s0, s33, s18
	s_add_u32 s10, s10, s16
	s_addc_u32 s11, s11, s17
	s_lshl_b64 s[0:1], s[0:1], 2
	s_mul_i32 s2, s20, s34
	s_add_u32 s10, s10, s0
	s_addc_u32 s11, s11, s1
	s_lshl_b64 s[0:1], s[2:3], 2
	s_waitcnt lgkmcnt(1)
	v_mfma_f32_16x16x16_bf16 a[0:3], v[14:15], v[6:7], a[0:3]
	s_add_u32 s0, s10, s0
	s_addc_u32 s1, s11, s1
	s_load_dword s12, s[0:1], 0x0
	s_waitcnt lgkmcnt(0)
	v_mfma_f32_16x16x16_bf16 a[0:3], v[16:17], v[8:9], a[0:3]
	s_and_b64 vcc, exec, s[40:41]
	s_cbranch_vccz .LBB526_44
; %bb.34:
	v_lshlrev_b32_e32 v19, 1, v27
	s_and_b64 vcc, exec, s[6:7]
	s_cbranch_vccz .LBB526_45
; %bb.35:
	v_cmp_gt_i32_e32 vcc, s45, v19
	v_mov_b32_e32 v6, 0
	v_mov_b32_e32 v2, 0
	;; [unrolled: 1-line block ×5, first 2 shown]
	s_and_saveexec_b64 s[0:1], vcc
	s_cbranch_execz .LBB526_37
; %bb.36:
	v_mad_i64_i32 v[2:3], s[2:3], s15, v19, 0
	v_lshl_add_u64 v[2:3], v[2:3], 1, s[4:5]
	v_lshlrev_b32_e32 v4, 1, v18
	v_mov_b32_e32 v5, 0
	v_lshl_add_u64 v[2:3], v[2:3], 0, v[4:5]
	global_load_dwordx4 v[2:5], v[2:3], off
.LBB526_37:
	s_or_b64 exec, exec, s[0:1]
	v_or_b32_e32 v20, 1, v19
	v_cmp_gt_i32_e64 s[0:1], s45, v20
	v_mov_b32_e32 v7, 0
	v_mov_b32_e32 v8, 0
	;; [unrolled: 1-line block ×3, first 2 shown]
	s_and_saveexec_b64 s[2:3], s[0:1]
	s_cbranch_execz .LBB526_39
; %bb.38:
	v_mad_i64_i32 v[6:7], s[16:17], s15, v20, 0
	v_lshl_add_u64 v[6:7], v[6:7], 1, s[4:5]
	v_lshlrev_b32_e32 v8, 1, v18
	v_mov_b32_e32 v9, 0
	v_lshl_add_u64 v[6:7], v[6:7], 0, v[8:9]
	global_load_dwordx4 v[6:9], v[6:7], off
.LBB526_39:
	s_or_b64 exec, exec, s[2:3]
	v_mov_b32_e32 v17, 0
	v_mov_b32_e32 v10, 0
	;; [unrolled: 1-line block ×5, first 2 shown]
	s_and_saveexec_b64 s[2:3], vcc
	s_cbranch_execz .LBB526_41
; %bb.40:
	v_mad_i64_i32 v[10:11], s[16:17], s15, v19, 0
	v_lshl_add_u64 v[10:11], v[10:11], 1, s[4:5]
	v_lshlrev_b32_e32 v12, 1, v18
	v_mov_b32_e32 v13, 0
	v_lshl_add_u64 v[10:11], v[10:11], 0, v[12:13]
	global_load_dwordx4 v[10:13], v[10:11], off offset:128
.LBB526_41:
	s_or_b64 exec, exec, s[2:3]
	v_mov_b32_e32 v16, 0
	v_mov_b32_e32 v15, 0
	;; [unrolled: 1-line block ×3, first 2 shown]
	s_and_saveexec_b64 s[2:3], s[0:1]
	s_cbranch_execz .LBB526_43
; %bb.42:
	v_mad_i64_i32 v[14:15], s[0:1], s15, v20, 0
	v_lshl_add_u64 v[14:15], v[14:15], 1, s[4:5]
	v_lshlrev_b32_e32 v16, 1, v18
	v_mov_b32_e32 v17, 0
	v_lshl_add_u64 v[14:15], v[14:15], 0, v[16:17]
	global_load_dwordx4 v[14:17], v[14:15], off offset:128
.LBB526_43:
	s_or_b64 exec, exec, s[2:3]
	s_branch .LBB526_47
.LBB526_44:
                                        ; implicit-def: $vgpr5
                                        ; implicit-def: $vgpr9
                                        ; implicit-def: $vgpr13
                                        ; implicit-def: $vgpr17
	v_lshrrev_b32_e32 v19, 2, v59
	s_branch .LBB526_48
.LBB526_45:
                                        ; implicit-def: $vgpr5
                                        ; implicit-def: $vgpr9
                                        ; implicit-def: $vgpr13
                                        ; implicit-def: $vgpr17
	s_cbranch_execz .LBB526_47
; %bb.46:
	s_waitcnt vmcnt(0)
	v_mad_u64_u32 v[2:3], s[0:1], v19, s15, v[18:19]
	v_lshlrev_b32_e32 v19, 1, v2
	s_lshl_b32 s2, s15, 7
	s_and_b32 s1, s5, 0xffff
	s_mov_b32 s3, 0x20000
	s_mov_b32 s0, s4
	v_add_lshl_u32 v20, v2, s15, 1
	s_movk_i32 s15, 0x80
	buffer_load_dwordx4 v[2:5], v19, s[0:3], 0 offen
	buffer_load_dwordx4 v[10:13], v19, s[0:3], s15 offen
	;; [unrolled: 1-line block ×4, first 2 shown]
.LBB526_47:
	v_lshrrev_b32_e32 v19, 2, v59
	s_cbranch_execnz .LBB526_60
.LBB526_48:
	s_and_b64 vcc, exec, s[6:7]
	s_cbranch_vccz .LBB526_58
; %bb.49:
	s_waitcnt vmcnt(0)
	v_lshlrev_b32_e32 v7, 1, v27
	v_cmp_gt_i32_e32 vcc, s45, v7
	v_mov_b32_e32 v6, 0
	v_lshlrev_b32_e32 v14, 9, v27
	v_mov_b32_e32 v2, 0
	v_mov_b32_e32 v3, 0
	;; [unrolled: 1-line block ×4, first 2 shown]
	s_and_saveexec_b64 s[0:1], vcc
	s_cbranch_execz .LBB526_51
; %bb.50:
	v_mov_b32_e32 v15, 0
	v_lshl_add_u64 v[2:3], s[4:5], 0, v[14:15]
	v_lshlrev_b32_e32 v4, 1, v18
	v_mov_b32_e32 v5, v15
	v_lshl_add_u64 v[2:3], v[2:3], 0, v[4:5]
	global_load_dwordx4 v[2:5], v[2:3], off
.LBB526_51:
	s_or_b64 exec, exec, s[0:1]
	v_or_b32_e32 v7, 1, v7
	v_cmp_gt_i32_e64 s[0:1], s45, v7
	v_lshlrev_b32_e32 v20, 8, v7
	v_mov_b32_e32 v7, 0
	v_mov_b32_e32 v8, 0
	;; [unrolled: 1-line block ×3, first 2 shown]
	s_and_saveexec_b64 s[2:3], s[0:1]
	s_cbranch_execz .LBB526_53
; %bb.52:
	v_mov_b32_e32 v21, 0
	v_lshl_add_u64 v[6:7], s[4:5], 0, v[20:21]
	v_lshlrev_b32_e32 v8, 1, v18
	v_mov_b32_e32 v9, v21
	v_lshl_add_u64 v[6:7], v[6:7], 0, v[8:9]
	global_load_dwordx4 v[6:9], v[6:7], off
.LBB526_53:
	s_or_b64 exec, exec, s[2:3]
	v_mov_b32_e32 v17, 0
	v_mov_b32_e32 v10, 0
	;; [unrolled: 1-line block ×5, first 2 shown]
	s_and_saveexec_b64 s[2:3], vcc
	s_cbranch_execz .LBB526_55
; %bb.54:
	v_mov_b32_e32 v15, 0
	v_lshl_add_u64 v[10:11], s[4:5], 0, v[14:15]
	v_lshlrev_b32_e32 v14, 1, v18
	v_lshl_add_u64 v[10:11], v[10:11], 0, v[14:15]
	global_load_dwordx4 v[10:13], v[10:11], off offset:128
.LBB526_55:
	s_or_b64 exec, exec, s[2:3]
	v_mov_b32_e32 v16, 0
	v_mov_b32_e32 v15, 0
	;; [unrolled: 1-line block ×3, first 2 shown]
	s_and_saveexec_b64 s[2:3], s[0:1]
	s_cbranch_execz .LBB526_57
; %bb.56:
	v_mov_b32_e32 v21, 0
	v_lshl_add_u64 v[14:15], s[4:5], 0, v[20:21]
	v_lshlrev_b32_e32 v20, 1, v18
	v_lshl_add_u64 v[14:15], v[14:15], 0, v[20:21]
	global_load_dwordx4 v[14:17], v[14:15], off offset:128
.LBB526_57:
	s_or_b64 exec, exec, s[2:3]
	s_branch .LBB526_60
.LBB526_58:
                                        ; implicit-def: $vgpr5
                                        ; implicit-def: $vgpr9
                                        ; implicit-def: $vgpr13
                                        ; implicit-def: $vgpr17
	s_cbranch_execz .LBB526_60
; %bb.59:
	s_waitcnt vmcnt(0)
	v_lshlrev_b32_e32 v2, 1, v18
	v_lshl_or_b32 v18, v27, 9, v2
	s_and_b32 s5, s5, 0xffff
	s_mov_b32 s7, 0x20000
	s_movk_i32 s6, 0x4000
	s_movk_i32 s0, 0x80
	buffer_load_dwordx4 v[2:5], v18, s[4:7], 0 offen
	buffer_load_dwordx4 v[6:9], v18, s[4:7], 0 offen offset:256
	buffer_load_dwordx4 v[10:13], v18, s[4:7], s0 offen
	buffer_load_dwordx4 v[14:17], v18, s[4:7], s0 offen offset:256
.LBB526_60:
	v_and_b32_e32 v40, 12, v19
	ds_read2st64_b64 v[22:25], v38 offset0:76 offset1:77
	ds_read2st64_b64 v[18:21], v38 offset0:78 offset1:79
	ds_read_b64 v[32:33], v28 offset:24576
	ds_read_b64 v[34:35], v29 offset:24576
	;; [unrolled: 1-line block ×4, first 2 shown]
	v_and_b32_e32 v39, 6, v0
	v_xor_b32_e32 v27, v27, v39
	v_lshlrev_b32_e32 v27, 2, v27
	v_and_b32_e32 v41, 1, v0
	v_xor_b32_e32 v42, 0x440, v27
	v_cmp_eq_u32_e32 vcc, 0, v41
	s_mov_b32 s0, 0x1000504
	s_waitcnt vmcnt(0)
	v_perm_b32 v41, v10, v14, s0
	v_cndmask_b32_e32 v27, v42, v27, vcc
	v_lshl_or_b32 v27, v39, 10, v27
	v_perm_b32 v39, v2, v6, s0
	ds_write2st64_b32 v27, v39, v41 offset1:32
	v_xor_b32_e32 v39, 8, v27
	s_mov_b32 s1, 0x3020706
	v_perm_b32 v2, v2, v6, s1
	v_perm_b32 v6, v10, v14, s1
	v_add_u32_e32 v10, 0x80, v39
	ds_write2st64_b32 v10, v2, v6 offset1:32
	v_xor_b32_e32 v2, 16, v27
	v_perm_b32 v6, v3, v7, s0
	v_perm_b32 v10, v11, v15, s0
	ds_write2st64_b32 v2, v6, v10 offset0:1 offset1:33
	v_xor_b32_e32 v2, 24, v27
	v_perm_b32 v3, v3, v7, s1
	v_perm_b32 v6, v11, v15, s1
	v_add_u32_e32 v2, 0x80, v2
	ds_write2st64_b32 v2, v3, v6 offset0:1 offset1:33
	v_xor_b32_e32 v2, 32, v27
	v_perm_b32 v3, v4, v8, s0
	v_perm_b32 v6, v12, v16, s0
	ds_write2st64_b32 v2, v3, v6 offset0:2 offset1:34
	v_xor_b32_e32 v2, 40, v27
	v_perm_b32 v3, v4, v8, s1
	v_perm_b32 v4, v12, v16, s1
	v_add_u32_e32 v2, 0x80, v2
	ds_write2st64_b32 v2, v3, v4 offset0:2 offset1:34
	v_xor_b32_e32 v2, 48, v27
	v_perm_b32 v3, v5, v9, s0
	v_perm_b32 v4, v13, v17, s0
	ds_write2st64_b32 v2, v3, v4 offset0:3 offset1:35
	v_xor_b32_e32 v2, 56, v27
	v_or_b32_e32 v8, v40, v58
	v_perm_b32 v3, v5, v9, s1
	v_perm_b32 v4, v13, v17, s1
	v_add_u32_e32 v2, 0x80, v2
	v_cmp_gt_i32_e32 vcc, s45, v8
	v_mov_b32_e32 v9, 0
	v_mov_b32_e32 v13, 0
	ds_write2st64_b32 v2, v3, v4 offset0:3 offset1:35
	s_and_saveexec_b64 s[0:1], vcc
	s_cbranch_execz .LBB526_62
; %bb.61:
	v_add_u32_e32 v2, s44, v8
	v_ashrrev_i32_e32 v3, 31, v2
	v_mul_lo_u32 v4, v3, s34
	v_mul_lo_u32 v5, v2, s35
	v_mad_u64_u32 v[2:3], s[2:3], v2, s34, 0
	v_add3_u32 v3, v3, v5, v4
	v_lshl_add_u64 v[2:3], v[2:3], 2, s[10:11]
	global_load_dword v2, v[2:3], off
	s_waitcnt vmcnt(0)
	v_sub_f32_e32 v2, s12, v2
	v_exp_f32_e32 v13, v2
.LBB526_62:
	s_or_b64 exec, exec, s[0:1]
	v_or_b32_e32 v11, 1, v8
	v_cmp_gt_i32_e64 s[0:1], s45, v11
	s_and_saveexec_b64 s[2:3], s[0:1]
	s_cbranch_execz .LBB526_64
; %bb.63:
	v_add_u32_e32 v2, s44, v11
	v_ashrrev_i32_e32 v3, 31, v2
	v_mul_lo_u32 v4, v3, s34
	v_mul_lo_u32 v5, v2, s35
	v_mad_u64_u32 v[2:3], s[4:5], v2, s34, 0
	v_add3_u32 v3, v3, v5, v4
	v_lshl_add_u64 v[2:3], v[2:3], 2, s[10:11]
	global_load_dword v2, v[2:3], off
	s_waitcnt vmcnt(0)
	v_sub_f32_e32 v2, s12, v2
	v_exp_f32_e32 v9, v2
.LBB526_64:
	s_or_b64 exec, exec, s[2:3]
	v_or_b32_e32 v12, 2, v8
	v_cmp_gt_i32_e64 s[2:3], s45, v12
	v_mov_b32_e32 v10, 0
	v_mov_b32_e32 v15, 0
	s_and_saveexec_b64 s[4:5], s[2:3]
	s_cbranch_execz .LBB526_66
; %bb.65:
	v_add_u32_e32 v2, s44, v12
	v_ashrrev_i32_e32 v3, 31, v2
	v_mul_lo_u32 v4, v3, s34
	v_mul_lo_u32 v5, v2, s35
	v_mad_u64_u32 v[2:3], s[6:7], v2, s34, 0
	v_add3_u32 v3, v3, v5, v4
	v_lshl_add_u64 v[2:3], v[2:3], 2, s[10:11]
	global_load_dword v2, v[2:3], off
	s_waitcnt vmcnt(0)
	v_sub_f32_e32 v2, s12, v2
	v_exp_f32_e32 v15, v2
.LBB526_66:
	s_or_b64 exec, exec, s[4:5]
	v_or_b32_e32 v14, 3, v8
	v_cmp_gt_i32_e64 s[4:5], s45, v14
	s_and_saveexec_b64 s[6:7], s[4:5]
	s_cbranch_execz .LBB526_68
; %bb.67:
	v_add_u32_e32 v2, s44, v14
	v_ashrrev_i32_e32 v3, 31, v2
	v_mul_lo_u32 v4, v3, s34
	v_mul_lo_u32 v5, v2, s35
	v_mad_u64_u32 v[2:3], s[16:17], v2, s34, 0
	v_add3_u32 v3, v3, v5, v4
	v_lshl_add_u64 v[2:3], v[2:3], 2, s[10:11]
	global_load_dword v2, v[2:3], off
	s_waitcnt vmcnt(0)
	v_sub_f32_e32 v2, s12, v2
	v_exp_f32_e32 v10, v2
.LBB526_68:
	s_or_b64 exec, exec, s[6:7]
	s_waitcnt lgkmcnt(11)
	v_mfma_f32_16x16x16_bf16 a[0:3], v[32:33], v[22:23], a[0:3]
	s_add_u32 s6, s8, s26
	v_ashrrev_i32_e32 v27, 31, v26
	s_addc_u32 s7, s9, s27
	s_waitcnt lgkmcnt(10)
	v_mfma_f32_16x16x16_bf16 a[0:3], v[34:35], v[24:25], a[0:3]
	v_mov_b32_e32 v16, 0
	v_lshl_add_u64 v[6:7], v[26:27], 1, s[6:7]
	v_mov_b32_e32 v17, 0
	s_waitcnt lgkmcnt(9)
	v_mfma_f32_16x16x16_bf16 a[0:3], v[30:31], v[18:19], a[0:3]
	s_waitcnt lgkmcnt(8)
	v_mfma_f32_16x16x16_bf16 a[0:3], v[28:29], v[20:21], a[0:3]
	s_nop 6
	v_accvgpr_read_b32 v5, a3
	v_accvgpr_read_b32 v4, a2
	;; [unrolled: 1-line block ×4, first 2 shown]
	s_and_saveexec_b64 s[6:7], vcc
	s_cbranch_execz .LBB526_70
; %bb.69:
	v_lshlrev_b32_e32 v18, 8, v8
	v_mov_b32_e32 v19, 0
	v_lshl_add_u64 v[18:19], v[6:7], 0, v[18:19]
	global_load_ushort v17, v[18:19], off
	s_waitcnt vmcnt(0)
	v_lshlrev_b32_e32 v17, 16, v17
	v_sub_f32_e32 v2, v17, v2
	v_mul_f32_e32 v2, v13, v2
	v_lshrrev_b32_e32 v17, 16, v2
.LBB526_70:
	s_or_b64 exec, exec, s[6:7]
	s_and_saveexec_b64 s[6:7], s[0:1]
	s_cbranch_execz .LBB526_72
; %bb.71:
	v_lshlrev_b32_e32 v18, 8, v11
	v_mov_b32_e32 v19, 0
	v_lshl_add_u64 v[18:19], v[6:7], 0, v[18:19]
	global_load_ushort v2, v[18:19], off
	s_waitcnt vmcnt(0)
	v_lshlrev_b32_e32 v2, 16, v2
	v_sub_f32_e32 v2, v2, v3
	v_mul_f32_e32 v2, v9, v2
	v_lshrrev_b32_e32 v16, 16, v2
.LBB526_72:
	s_or_b64 exec, exec, s[6:7]
	v_mov_b32_e32 v3, 0
	v_mov_b32_e32 v9, 0
	s_and_saveexec_b64 s[0:1], s[2:3]
	s_cbranch_execz .LBB526_74
; %bb.73:
	v_lshlrev_b32_e32 v12, 8, v12
	v_mov_b32_e32 v13, 0
	v_lshl_add_u64 v[12:13], v[6:7], 0, v[12:13]
	global_load_ushort v2, v[12:13], off
	s_waitcnt vmcnt(0)
	v_lshlrev_b32_e32 v2, 16, v2
	v_sub_f32_e32 v2, v2, v4
	v_mul_f32_e32 v2, v15, v2
	v_lshrrev_b32_e32 v9, 16, v2
.LBB526_74:
	s_or_b64 exec, exec, s[0:1]
	v_or_b32_e32 v2, 0x9800, v38
	s_and_saveexec_b64 s[0:1], s[4:5]
	s_cbranch_execz .LBB526_76
; %bb.75:
	v_lshlrev_b32_e32 v12, 8, v14
	v_mov_b32_e32 v13, 0
	v_lshl_add_u64 v[6:7], v[6:7], 0, v[12:13]
	global_load_ushort v3, v[6:7], off
	s_waitcnt vmcnt(0)
	v_lshlrev_b32_e32 v3, 16, v3
	v_sub_f32_e32 v3, v3, v5
	v_mul_f32_e32 v3, v10, v3
	v_lshrrev_b32_e32 v3, 16, v3
.LBB526_76:
	s_or_b64 exec, exec, s[0:1]
	s_mov_b32 s0, 0x5040100
	v_perm_b32 v5, v3, v9, s0
	v_lshlrev_b32_e32 v3, 1, v36
	v_perm_b32 v4, v16, v17, s0
	v_lshl_or_b32 v3, v8, 5, v3
	s_movk_i32 s2, 0xff
	ds_write_b64 v3, v[4:5] offset:38912
	v_and_b32_e32 v3, 7, v0
	v_cmp_lt_u32_e32 vcc, s2, v0
	v_and_b32_e32 v4, 8, v0
	v_lshlrev_b32_e32 v9, 3, v3
	v_lshlrev_b32_e32 v22, 7, v3
	v_cndmask_b32_e64 v3, 0, 1, vcc
	v_lshrrev_b32_e32 v0, 1, v0
	v_lshlrev_b32_e32 v16, 13, v3
	v_lshlrev_b32_e32 v3, 3, v45
	v_and_b32_e32 v0, 24, v0
	v_xor_b32_e32 v5, v3, v0
	v_or_b32_e32 v6, 0x440, v5
	v_cmp_eq_u32_e32 vcc, 0, v4
	s_waitcnt lgkmcnt(0)
	s_barrier
	v_cndmask_b32_e32 v4, v6, v5, vcc
	v_or_b32_e32 v4, v4, v37
	v_xor_b32_e32 v23, v4, v9
	v_or_b32_e32 v4, 32, v0
	v_xor_b32_e32 v4, v3, v4
	v_or_b32_e32 v5, 0x440, v4
	v_cndmask_b32_e32 v4, v5, v4, vcc
	v_or_b32_e32 v4, v4, v37
	v_xor_b32_e32 v24, v4, v9
	v_or_b32_e32 v4, 64, v0
	v_xor_b32_e32 v4, v3, v4
	v_xor_b32_e32 v5, 0x440, v4
	v_cndmask_b32_e32 v4, v5, v4, vcc
	v_add3_u32 v14, v16, v23, v22
	v_or_b32_e32 v4, v4, v37
	v_or_b32_e32 v0, 0x60, v0
	v_xor_b32_e32 v25, v4, v9
	ds_read2st64_b64 v[4:7], v2 offset1:1
	ds_read2st64_b64 v[10:13], v2 offset0:2 offset1:3
	v_xor_b32_e32 v0, v3, v0
	ds_read_b64 v[2:3], v14
	v_add3_u32 v15, v16, v24, v22
	v_xor_b32_e32 v14, 0x440, v0
	v_cndmask_b32_e32 v0, v14, v0, vcc
	ds_read_b64 v[14:15], v15
	s_add_i32 s0, s20, s46
	s_mul_hi_i32 s1, s0, s13
	s_mul_i32 s0, s0, s13
	s_add_u32 s0, s0, s33
	s_waitcnt lgkmcnt(1)
	v_mfma_f32_16x16x16_bf16 a[0:3], v[2:3], v[4:5], 0
	s_addc_u32 s1, s1, s14
	s_lshl_b64 s[0:1], s[0:1], 9
	v_or_b32_e32 v0, v0, v37
	s_add_u32 s0, s30, s0
	v_add3_u32 v17, v16, v25, v22
	v_xor_b32_e32 v0, v0, v9
	s_addc_u32 s1, s31, s1
	v_lshlrev_b32_e32 v2, 2, v8
	v_add3_u32 v9, v16, v0, v22
	ds_read_b64 v[18:19], v17
	ds_read_b64 v[20:21], v9
	s_waitcnt lgkmcnt(2)
	v_mfma_f32_16x16x16_bf16 a[0:3], v[14:15], v[6:7], a[0:3]
	global_load_dwordx4 v[14:17], v2, s[0:1]
	v_add_u32_e32 v2, v23, v22
	ds_read_b64 v[2:3], v2 offset:8192
	v_lshlrev_b32_e32 v8, 6, v45
	v_lshlrev_b32_e32 v9, 2, v40
	s_movk_i32 s2, 0x100
	s_waitcnt lgkmcnt(2)
	v_mfma_f32_16x16x16_bf16 a[0:3], v[18:19], v[10:11], a[0:3]
	v_or3_b32 v27, v8, v9, s2
	v_add_u32_e32 v8, v24, v22
	v_add_u32_e32 v18, v25, v22
	;; [unrolled: 1-line block ×3, first 2 shown]
	ds_read_b64 v[8:9], v8 offset:8192
	ds_read_b64 v[18:19], v18 offset:8192
	;; [unrolled: 1-line block ×3, first 2 shown]
	s_waitcnt lgkmcnt(3)
	v_mfma_f32_16x16x16_bf16 a[4:7], v[2:3], v[4:5], 0
	global_load_dwordx4 v[2:5], v27, s[0:1]
	v_exp_f32_e32 v0, s12
	s_waitcnt vmcnt(1)
	v_exp_f32_e32 v14, v14
	v_mfma_f32_16x16x16_bf16 a[0:3], v[20:21], v[12:13], a[0:3]
	v_exp_f32_e32 v15, v15
	v_exp_f32_e32 v16, v16
	;; [unrolled: 1-line block ×3, first 2 shown]
	v_pk_mul_f32 v[14:15], v[0:1], v[14:15] op_sel_hi:[0,1]
	v_pk_mul_f32 v[16:17], v[0:1], v[16:17] op_sel_hi:[0,1]
	s_nop 1
	v_accvgpr_read_b32 v25, a1
	v_accvgpr_read_b32 v21, a3
	v_accvgpr_read_b32 v20, a2
	v_accvgpr_read_b32 v24, a0
	s_waitcnt lgkmcnt(2)
	v_mfma_f32_16x16x16_bf16 a[0:3], v[8:9], v[6:7], a[4:7]
	s_waitcnt vmcnt(0)
	v_mov_b32_e32 v6, v5
	v_mov_b32_e32 v5, v4
	;; [unrolled: 1-line block ×3, first 2 shown]
	s_waitcnt lgkmcnt(1)
	v_mfma_f32_16x16x16_bf16 a[0:3], v[18:19], v[10:11], a[0:3]
	v_exp_f32_e32 v2, v2
	v_exp_f32_e32 v3, v4
	;; [unrolled: 1-line block ×3, first 2 shown]
	s_waitcnt lgkmcnt(0)
	v_mfma_f32_16x16x16_bf16 a[0:3], v[22:23], v[12:13], a[0:3]
	v_exp_f32_e32 v5, v6
	v_pk_mul_f32 v[2:3], v[0:1], v[2:3] op_sel_hi:[0,1]
	v_pk_fma_f32 v[46:47], v[46:47], v[14:15], v[24:25]
	v_pk_fma_f32 v[52:53], v[52:53], v[16:17], v[20:21]
	s_nop 2
	v_accvgpr_read_b32 v9, a1
	v_accvgpr_read_b32 v8, a0
	;; [unrolled: 1-line block ×4, first 2 shown]
	v_pk_fma_f32 v[50:51], v[50:51], v[2:3], v[8:9]
	v_pk_mul_f32 v[2:3], v[0:1], v[4:5] op_sel_hi:[0,1]
	v_pk_fma_f32 v[48:49], v[48:49], v[2:3], v[6:7]
	v_mov_b32_e32 v2, v26
.LBB526_77:
	s_lshl_b64 s[0:1], s[24:25], 15
	s_waitcnt lgkmcnt(0)
	s_add_u32 s0, s28, s0
	v_lshlrev_b32_e32 v2, 7, v2
	s_addc_u32 s1, s29, s1
	v_ashrrev_i32_e32 v3, 31, v2
	v_lshl_add_u64 v[2:3], v[2:3], 1, s[0:1]
	v_lshlrev_b32_e32 v0, 1, v1
	v_mov_b32_e32 v1, 0
	s_mov_b32 s0, 0x7060302
	v_lshl_add_u64 v[0:1], v[2:3], 0, v[0:1]
	v_perm_b32 v3, v53, v52, s0
	v_perm_b32 v2, v47, v46, s0
	global_store_dwordx2 v[0:1], v[2:3], off
	v_perm_b32 v3, v49, v48, s0
	v_perm_b32 v2, v51, v50, s0
	global_store_dwordx2 v[0:1], v[2:3], off offset:128
	s_endpgm
	.section	.rodata,"a",@progbits
	.p2align	6, 0x0
	.amdhsa_kernel _ZN12_GLOBAL__N_139chunk_gated_delta_rule_fwd_h_hip_kernelILi16ELb0ELb1ELb0ELb0ELb1ELb1ELb1ELb1EEEvPK12hip_bfloat16S3_S3_PKfS5_PKvPS1_S8_PvPKiSB_iiiiilll
		.amdhsa_group_segment_fixed_size 40960
		.amdhsa_private_segment_fixed_size 0
		.amdhsa_kernarg_size 136
		.amdhsa_user_sgpr_count 2
		.amdhsa_user_sgpr_dispatch_ptr 0
		.amdhsa_user_sgpr_queue_ptr 0
		.amdhsa_user_sgpr_kernarg_segment_ptr 1
		.amdhsa_user_sgpr_dispatch_id 0
		.amdhsa_user_sgpr_kernarg_preload_length 0
		.amdhsa_user_sgpr_kernarg_preload_offset 0
		.amdhsa_user_sgpr_private_segment_size 0
		.amdhsa_uses_dynamic_stack 0
		.amdhsa_enable_private_segment 0
		.amdhsa_system_sgpr_workgroup_id_x 1
		.amdhsa_system_sgpr_workgroup_id_y 1
		.amdhsa_system_sgpr_workgroup_id_z 0
		.amdhsa_system_sgpr_workgroup_info 0
		.amdhsa_system_vgpr_workitem_id 0
		.amdhsa_next_free_vgpr 124
		.amdhsa_next_free_sgpr 66
		.amdhsa_accum_offset 112
		.amdhsa_reserve_vcc 1
		.amdhsa_float_round_mode_32 0
		.amdhsa_float_round_mode_16_64 0
		.amdhsa_float_denorm_mode_32 3
		.amdhsa_float_denorm_mode_16_64 3
		.amdhsa_dx10_clamp 1
		.amdhsa_ieee_mode 1
		.amdhsa_fp16_overflow 0
		.amdhsa_tg_split 0
		.amdhsa_exception_fp_ieee_invalid_op 0
		.amdhsa_exception_fp_denorm_src 0
		.amdhsa_exception_fp_ieee_div_zero 0
		.amdhsa_exception_fp_ieee_overflow 0
		.amdhsa_exception_fp_ieee_underflow 0
		.amdhsa_exception_fp_ieee_inexact 0
		.amdhsa_exception_int_div_zero 0
	.end_amdhsa_kernel
	.section	.text._ZN12_GLOBAL__N_139chunk_gated_delta_rule_fwd_h_hip_kernelILi16ELb0ELb1ELb0ELb0ELb1ELb1ELb1ELb1EEEvPK12hip_bfloat16S3_S3_PKfS5_PKvPS1_S8_PvPKiSB_iiiiilll,"axG",@progbits,_ZN12_GLOBAL__N_139chunk_gated_delta_rule_fwd_h_hip_kernelILi16ELb0ELb1ELb0ELb0ELb1ELb1ELb1ELb1EEEvPK12hip_bfloat16S3_S3_PKfS5_PKvPS1_S8_PvPKiSB_iiiiilll,comdat
.Lfunc_end526:
	.size	_ZN12_GLOBAL__N_139chunk_gated_delta_rule_fwd_h_hip_kernelILi16ELb0ELb1ELb0ELb0ELb1ELb1ELb1ELb1EEEvPK12hip_bfloat16S3_S3_PKfS5_PKvPS1_S8_PvPKiSB_iiiiilll, .Lfunc_end526-_ZN12_GLOBAL__N_139chunk_gated_delta_rule_fwd_h_hip_kernelILi16ELb0ELb1ELb0ELb0ELb1ELb1ELb1ELb1EEEvPK12hip_bfloat16S3_S3_PKfS5_PKvPS1_S8_PvPKiSB_iiiiilll
                                        ; -- End function
	.section	.AMDGPU.csdata,"",@progbits
; Kernel info:
; codeLenInByte = 8108
; NumSgprs: 72
; NumVgprs: 112
; NumAgprs: 12
; TotalNumVgprs: 124
; ScratchSize: 0
; MemoryBound: 0
; FloatMode: 240
; IeeeMode: 1
; LDSByteSize: 40960 bytes/workgroup (compile time only)
; SGPRBlocks: 8
; VGPRBlocks: 15
; NumSGPRsForWavesPerEU: 72
; NumVGPRsForWavesPerEU: 124
; AccumOffset: 112
; Occupancy: 1
; WaveLimiterHint : 1
; COMPUTE_PGM_RSRC2:SCRATCH_EN: 0
; COMPUTE_PGM_RSRC2:USER_SGPR: 2
; COMPUTE_PGM_RSRC2:TRAP_HANDLER: 0
; COMPUTE_PGM_RSRC2:TGID_X_EN: 1
; COMPUTE_PGM_RSRC2:TGID_Y_EN: 1
; COMPUTE_PGM_RSRC2:TGID_Z_EN: 0
; COMPUTE_PGM_RSRC2:TIDIG_COMP_CNT: 0
; COMPUTE_PGM_RSRC3_GFX90A:ACCUM_OFFSET: 27
; COMPUTE_PGM_RSRC3_GFX90A:TG_SPLIT: 0
	.section	.text._ZN12_GLOBAL__N_139chunk_gated_delta_rule_fwd_h_hip_kernelILi16ELb0ELb0ELb1ELb0ELb1ELb1ELb1ELb1EEEvPK12hip_bfloat16S3_S3_PKfS5_PKvPS1_S8_PvPKiSB_iiiiilll,"axG",@progbits,_ZN12_GLOBAL__N_139chunk_gated_delta_rule_fwd_h_hip_kernelILi16ELb0ELb0ELb1ELb0ELb1ELb1ELb1ELb1EEEvPK12hip_bfloat16S3_S3_PKfS5_PKvPS1_S8_PvPKiSB_iiiiilll,comdat
	.globl	_ZN12_GLOBAL__N_139chunk_gated_delta_rule_fwd_h_hip_kernelILi16ELb0ELb0ELb1ELb0ELb1ELb1ELb1ELb1EEEvPK12hip_bfloat16S3_S3_PKfS5_PKvPS1_S8_PvPKiSB_iiiiilll ; -- Begin function _ZN12_GLOBAL__N_139chunk_gated_delta_rule_fwd_h_hip_kernelILi16ELb0ELb0ELb1ELb0ELb1ELb1ELb1ELb1EEEvPK12hip_bfloat16S3_S3_PKfS5_PKvPS1_S8_PvPKiSB_iiiiilll
	.p2align	8
	.type	_ZN12_GLOBAL__N_139chunk_gated_delta_rule_fwd_h_hip_kernelILi16ELb0ELb0ELb1ELb0ELb1ELb1ELb1ELb1EEEvPK12hip_bfloat16S3_S3_PKfS5_PKvPS1_S8_PvPKiSB_iiiiilll,@function
_ZN12_GLOBAL__N_139chunk_gated_delta_rule_fwd_h_hip_kernelILi16ELb0ELb0ELb1ELb0ELb1ELb1ELb1ELb1EEEvPK12hip_bfloat16S3_S3_PKfS5_PKvPS1_S8_PvPKiSB_iiiiilll: ; @_ZN12_GLOBAL__N_139chunk_gated_delta_rule_fwd_h_hip_kernelILi16ELb0ELb0ELb1ELb0ELb1ELb1ELb1ELb1EEEvPK12hip_bfloat16S3_S3_PKfS5_PKvPS1_S8_PvPKiSB_iiiiilll
; %bb.0:
	s_load_dwordx4 s[16:19], s[0:1], 0x5c
	s_load_dwordx4 s[12:15], s[0:1], 0x30
	s_abs_i32 s22, s3
	s_ashr_i32 s21, s3, 31
	s_load_dwordx8 s[4:11], s[0:1], 0x0
	s_waitcnt lgkmcnt(0)
	s_abs_i32 s20, s17
	v_cvt_f32_u32_e32 v1, s20
	s_sub_i32 s24, 0, s20
	s_ashr_i32 s23, s17, 31
	s_xor_b32 s21, s21, s23
	v_rcp_iflag_f32_e32 v1, v1
	v_lshrrev_b32_e32 v61, 6, v0
	v_bfe_u32 v62, v0, 4, 2
	v_lshlrev_b32_e32 v45, 4, v61
	v_mul_f32_e32 v1, 0x4f7ffffe, v1
	v_cvt_u32_f32_e32 v1, v1
	v_lshlrev_b32_e32 v2, 2, v62
	v_and_b32_e32 v60, 63, v0
	v_or_b32_e32 v65, v2, v45
	v_readfirstlane_b32 s25, v1
	s_mul_i32 s24, s24, s25
	s_mul_hi_u32 s24, s25, s24
	s_add_i32 s25, s25, s24
	s_mul_hi_u32 s24, s22, s25
	s_mul_i32 s25, s24, s20
	s_sub_i32 s22, s22, s25
	s_add_i32 s26, s24, 1
	s_sub_i32 s25, s22, s20
	s_cmp_ge_u32 s22, s20
	s_cselect_b32 s24, s26, s24
	s_cselect_b32 s22, s25, s22
	s_add_i32 s25, s24, 1
	s_cmp_ge_u32 s22, s20
	s_cselect_b32 s22, s25, s24
	s_abs_i32 s24, s18
	v_cvt_f32_u32_e32 v1, s24
	s_xor_b32 s22, s22, s21
	s_ashr_i32 s48, s16, 31
	s_sub_i32 s50, s22, s21
	v_rcp_iflag_f32_e32 v1, v1
	s_lshr_b32 s21, s48, 26
	s_add_i32 s21, s16, s21
	s_ashr_i32 s51, s18, 31
	v_mul_f32_e32 v1, 0x4f7ffffe, v1
	v_cvt_u32_f32_e32 v1, v1
	s_ashr_i32 s49, s21, 6
	s_xor_b32 s21, s23, s51
	s_sub_i32 s22, 0, s24
	v_readfirstlane_b32 s23, v1
	s_mul_i32 s22, s22, s23
	s_mul_hi_u32 s22, s23, s22
	s_add_i32 s23, s23, s22
	s_mul_hi_u32 s22, s20, s23
	s_mul_i32 s23, s22, s24
	s_mul_i32 s47, s50, s17
	s_sub_i32 s20, s20, s23
	s_sub_i32 s33, s3, s47
	s_add_i32 s3, s16, 63
	s_add_i32 s23, s22, 1
	s_sub_i32 s25, s20, s24
	s_cmp_ge_u32 s20, s24
	s_cselect_b32 s22, s23, s22
	s_cselect_b32 s20, s25, s20
	s_add_i32 s23, s22, 1
	s_cmp_ge_u32 s20, s24
	s_cselect_b32 s20, s23, s22
	s_xor_b32 s20, s20, s21
	s_sub_i32 s24, s20, s21
	s_abs_i32 s25, s24
	v_cvt_f32_u32_e32 v1, s25
	s_sub_i32 s27, 0, s25
	s_abs_i32 s26, s33
	s_xor_b32 s24, s33, s24
	v_rcp_iflag_f32_e32 v1, v1
	s_ashr_i32 s24, s24, 31
	s_load_dwordx2 s[34:35], s[0:1], 0x80
	s_load_dwordx4 s[20:23], s[0:1], 0x70
	v_mov_b32_e32 v49, 0
	v_mul_f32_e32 v1, 0x4f7ffffe, v1
	v_cvt_u32_f32_e32 v1, v1
	v_or_b32_e32 v66, 64, v65
	s_mul_hi_i32 s53, s50, s17
	v_lshrrev_b32_e32 v64, 3, v60
	v_readfirstlane_b32 s28, v1
	s_mul_i32 s27, s27, s28
	s_mul_hi_u32 s27, s28, s27
	s_add_i32 s28, s28, s27
	s_mul_hi_u32 s27, s26, s28
	s_mul_i32 s28, s27, s25
	s_sub_i32 s26, s26, s28
	s_add_i32 s28, s27, 1
	s_sub_i32 s29, s26, s25
	s_cmp_ge_u32 s26, s25
	s_cselect_b32 s27, s28, s27
	s_cselect_b32 s26, s29, s26
	s_add_i32 s28, s27, 1
	s_cmp_ge_u32 s26, s25
	s_cselect_b32 s25, s28, s27
	s_xor_b32 s25, s25, s24
	s_sub_i32 s54, s25, s24
	s_ashr_i32 s24, s3, 31
	s_lshr_b32 s24, s24, 26
	s_add_i32 s3, s3, s24
	s_ashr_i32 s3, s3, 6
	s_lshl_b32 s36, s2, 4
	s_mul_i32 s52, s50, s3
	v_and_b32_e32 v1, 15, v0
	s_cmp_lt_i32 s16, 64
	v_lshlrev_b32_e32 v63, 3, v0
	s_waitcnt lgkmcnt(0)
	s_mul_i32 s21, s50, s21
	s_mul_hi_u32 s46, s50, s20
	s_mul_i32 s38, s50, s20
	v_mov_b32_e32 v48, v49
	v_mov_b32_e32 v51, v49
	;; [unrolled: 1-line block ×7, first 2 shown]
	s_cbranch_scc1 .LBB527_18
; %bb.1:
	s_ashr_i32 s28, s50, 31
	s_ashr_i32 s56, s33, 31
	s_add_u32 s2, s47, s33
	s_addc_u32 s3, s53, s56
	s_mul_i32 s3, s16, s3
	s_mul_hi_u32 s24, s16, s2
	s_add_i32 s41, s24, s3
	s_mul_i32 s40, s16, s2
	s_lshl_b64 s[2:3], s[40:41], 8
	v_and_b32_e32 v68, 56, v63
	s_add_u32 s24, s6, s2
	v_lshl_or_b32 v67, v61, 3, v64
	v_lshlrev_b32_e32 v3, 1, v68
	s_addc_u32 s2, s7, s3
	v_lshl_or_b32 v69, v67, 8, v3
	s_and_b32 s25, s2, 0xffff
	s_mov_b32 s27, 0x20000
	s_movk_i32 s26, 0x4000
	s_movk_i32 s2, 0x80
	v_or_b32_e32 v70, 0x2000, v69
	buffer_load_dwordx4 v[4:7], v69, s[24:27], 0 offen
	buffer_load_dwordx4 v[8:11], v69, s[24:27], s2 offen
	;; [unrolled: 1-line block ×4, first 2 shown]
	v_lshlrev_b32_e32 v20, 3, v67
	v_and_or_b32 v22, v0, 7, v20
	v_and_b32_e32 v20, 0x78, v20
	v_lshlrev_b32_e32 v22, 4, v22
	v_xor_b32_e32 v71, v22, v20
	v_mul_lo_u32 v21, v67, s19
	v_or_b32_e32 v72, 0x1000, v71
	s_cmpk_eq_i32 s19, 0x80
	s_mov_b32 s55, s18
	v_xor_b32_e32 v20, 8, v71
	v_xor_b32_e32 v22, 8, v72
	s_cselect_b64 s[2:3], -1, 0
	s_cmpk_lg_i32 s19, 0x80
	s_waitcnt vmcnt(3)
	ds_write_b64 v71, v[4:5] offset:16384
	ds_write_b64 v20, v[6:7] offset:16384
	s_waitcnt vmcnt(2)
	ds_write_b64 v71, v[8:9] offset:24576
	ds_write_b64 v20, v[10:11] offset:24576
	;; [unrolled: 3-line block ×4, first 2 shown]
	v_lshl_add_u32 v4, v21, 1, v68
	s_cbranch_scc0 .LBB527_3
; %bb.2:
	v_lshlrev_b32_e32 v6, 1, v4
	v_add_lshl_u32 v5, v4, s19, 1
	s_lshl_b32 s26, s19, 7
	s_load_dwordx2 s[42:43], s[0:1], 0x20
	v_lshl_or_b32 v3, v67, 9, v3
	s_cbranch_execz .LBB527_4
	s_branch .LBB527_5
.LBB527_3:
                                        ; implicit-def: $vgpr5
                                        ; implicit-def: $vgpr6
                                        ; implicit-def: $sgpr26
	s_load_dwordx2 s[42:43], s[0:1], 0x20
	v_lshl_or_b32 v3, v67, 9, v3
.LBB527_4:
	v_or_b32_e32 v5, 0x100, v3
	s_movk_i32 s26, 0x4000
	v_mov_b32_e32 v6, v3
.LBB527_5:
	s_mul_hi_u32 s0, s18, s16
	s_mul_i32 s1, s51, s16
	s_add_i32 s0, s0, s1
	s_mul_i32 s1, s18, s16
	s_mul_i32 s24, s1, s28
	s_mul_hi_u32 s25, s1, s50
	s_add_i32 s24, s25, s24
	s_mul_i32 s0, s0, s50
	s_add_i32 s24, s24, s0
	s_mul_i32 s1, s1, s50
	s_ashr_i32 s57, s54, 31
	s_add_u32 s0, s1, s54
	s_addc_u32 s1, s24, s57
	s_lshl_b64 s[0:1], s[0:1], 8
	s_add_u32 s24, s4, s0
	s_addc_u32 s0, s5, s1
	s_and_b32 s25, s0, 0xffff
	s_movk_i32 s58, 0x80
	buffer_load_dwordx4 v[8:11], v6, s[24:27], 0 offen
	buffer_load_dwordx4 v[12:15], v6, s[24:27], s58 offen
	;; [unrolled: 1-line block ×4, first 2 shown]
	v_and_b32_e32 v5, 6, v0
	s_mul_i32 s0, s28, s16
	s_mul_hi_u32 s1, s50, s16
	v_lshlrev_b32_e32 v7, 2, v1
	v_lshlrev_b32_e32 v24, 3, v1
	v_xor_b32_e32 v26, v67, v5
	v_and_b32_e32 v6, 1, v0
	s_mul_i32 s28, s28, s20
	v_lshl_or_b32 v24, v65, 5, v24
	v_xor_b32_e32 v27, v65, v7
	v_lshlrev_b32_e32 v26, 2, v26
	s_add_i32 s63, s1, s0
	s_add_i32 s0, s46, s21
	v_or_b32_e32 v73, 0x9000, v24
	v_or_b32_e32 v74, 0x9800, v24
	v_lshlrev_b32_e32 v24, 1, v27
	v_xor_b32_e32 v27, 0x440, v26
	v_cmp_eq_u32_e32 vcc, 0, v6
	s_add_i32 s39, s0, s28
	s_mul_i32 s0, s33, s23
	s_mul_hi_u32 s1, s33, s22
	v_cndmask_b32_e32 v6, v27, v26, vcc
	s_add_i32 s0, s1, s0
	s_mul_i32 s1, s56, s22
	s_mov_b32 s61, 0x1000504
	v_lshlrev_b32_e32 v25, 8, v1
	s_mov_b32 s26, 0x8000
	v_xor_b32_e32 v7, v66, v7
	v_lshl_or_b32 v5, v5, 10, v6
	s_add_i32 s1, s0, s1
	s_lshl_b64 s[24:25], s[38:39], 2
	s_mov_b32 s62, 0x3020706
	v_lshlrev_b32_e32 v7, 1, v7
	v_or3_b32 v75, v24, v25, s26
	v_xor_b32_e32 v6, 8, v5
	v_xor_b32_e32 v24, 24, v5
	;; [unrolled: 1-line block ×4, first 2 shown]
	s_mul_i32 s0, s33, s22
	s_add_u32 s24, s10, s24
	v_or3_b32 v76, v7, v25, s26
	v_xor_b32_e32 v7, 16, v5
	v_xor_b32_e32 v25, 32, v5
	;; [unrolled: 1-line block ×3, first 2 shown]
	v_add_u32_e32 v6, 0x80, v6
	v_add_u32_e32 v24, 0x80, v24
	;; [unrolled: 1-line block ×4, first 2 shown]
	s_addc_u32 s25, s11, s25
	s_lshl_b64 s[0:1], s[0:1], 2
	s_add_u32 s44, s24, s0
	s_movk_i32 s0, 0xf8
	s_addc_u32 s45, s25, s1
	s_ashr_i32 s37, s36, 31
	s_lshl_b32 s30, s19, 7
	v_mov_b32_e32 v47, 0
	s_mul_i32 s59, s50, s16
	s_mov_b32 s60, 0
	v_add_u32_e32 v87, v45, v2
	s_mov_b32 s39, 0x7060302
	s_mov_b32 s65, 0
	v_mov_b32_e32 v52, v47
	v_mov_b32_e32 v53, v47
	;; [unrolled: 1-line block ×6, first 2 shown]
	s_waitcnt vmcnt(1)
	v_perm_b32 v29, v8, v16, s61
	s_waitcnt vmcnt(0)
	v_perm_b32 v30, v12, v20, s61
	v_perm_b32 v8, v8, v16, s62
	;; [unrolled: 1-line block ×15, first 2 shown]
	ds_write2st64_b32 v5, v29, v30 offset1:32
	ds_write2st64_b32 v6, v8, v12 offset1:32
	ds_write2st64_b32 v7, v16, v20 offset0:1 offset1:33
	ds_write2st64_b32 v24, v9, v13 offset0:1 offset1:33
	;; [unrolled: 1-line block ×6, first 2 shown]
	v_or_b32_e32 v5, v45, v1
	v_lshlrev_b32_e32 v5, 3, v5
	v_lshrrev_b32_e32 v7, 5, v60
	v_and_or_b32 v7, v5, s0, v7
	v_lshlrev_b32_e32 v7, 4, v7
	v_lshrrev_b32_e32 v6, 2, v60
	v_lshlrev_b32_e32 v11, 11, v61
	v_and_b32_e32 v5, 0x78, v5
	v_or_b32_e32 v12, 32, v7
	v_and_b32_e32 v10, 12, v6
	v_and_b32_e32 v6, 0x1000, v11
	v_lshrrev_b32_e32 v9, 1, v60
	v_xor_b32_e32 v12, v12, v5
	v_and_b32_e32 v9, 8, v9
	v_or_b32_e32 v12, v12, v6
	v_xor_b32_e32 v8, v7, v5
	v_xor_b32_e32 v79, v12, v9
	v_or_b32_e32 v12, 64, v7
	v_or_b32_e32 v7, 0x60, v7
	v_xor_b32_e32 v12, v12, v5
	v_xor_b32_e32 v5, v7, v5
	v_or_b32_e32 v5, v5, v6
	v_or_b32_e32 v12, v12, v6
	v_xor_b32_e32 v81, v5, v9
	v_lshlrev_b32_e32 v5, 1, v1
	v_xor_b32_e32 v80, v12, v9
	v_lshlrev_b32_e32 v12, 1, v4
	v_add_lshl_u32 v13, v4, s19, 1
	v_lshrrev_b32_e32 v4, 4, v0
	s_lshl_b64 s[0:1], s[36:37], 8
	v_or_b32_e32 v15, 1, v5
	s_add_u32 s0, s12, s0
	v_xor_b32_e32 v5, v4, v5
	v_xor_b32_e32 v15, v15, v4
	s_addc_u32 s1, s13, s1
	v_lshlrev_b32_e32 v5, 3, v5
	v_lshlrev_b32_e32 v46, 8, v4
	;; [unrolled: 1-line block ×3, first 2 shown]
	v_lshrrev_b32_e32 v19, 1, v0
	v_or3_b32 v83, v5, v46, s26
	v_or3_b32 v84, v4, v46, s26
	v_lshl_add_u64 v[4:5], s[0:1], 0, v[46:47]
	v_lshlrev_b32_e32 v46, 4, v1
	s_movk_i32 s0, 0xff
	v_lshlrev_b32_e32 v18, 3, v61
	v_and_b32_e32 v19, 24, v19
	v_lshl_add_u64 v[54:55], v[4:5], 0, v[46:47]
	v_and_b32_e32 v5, 8, v0
	v_cmp_lt_u32_e32 vcc, s0, v0
	v_xor_b32_e32 v20, v18, v19
	v_or_b32_e32 v21, 0x440, v20
	v_cndmask_b32_e64 v17, 0, 1, vcc
	v_cmp_eq_u32_e32 vcc, 0, v5
	v_or_b32_e32 v23, 64, v19
	v_xor_b32_e32 v23, v18, v23
	v_cndmask_b32_e32 v5, v21, v20, vcc
	v_or_b32_e32 v21, 32, v19
	v_or_b32_e32 v19, 0x60, v19
	v_xor_b32_e32 v21, v18, v21
	v_xor_b32_e32 v18, v18, v19
	v_or_b32_e32 v22, 0x440, v21
	v_xor_b32_e32 v24, 0x440, v23
	v_xor_b32_e32 v19, 0x440, v18
	v_or_b32_e32 v8, v8, v6
	v_or_b32_e32 v6, s36, v1
	v_and_b32_e32 v4, 7, v0
	v_cndmask_b32_e32 v21, v22, v21, vcc
	v_cndmask_b32_e32 v23, v24, v23, vcc
	;; [unrolled: 1-line block ×3, first 2 shown]
	v_xor_b32_e32 v77, v8, v9
	v_and_b32_e32 v8, 0x78, v63
	v_ashrrev_i32_e32 v7, 31, v6
	v_lshlrev_b32_e32 v15, 3, v4
	v_or_b32_e32 v5, v5, v11
	v_or_b32_e32 v21, v21, v11
	v_or_b32_e32 v23, v23, v11
	v_or_b32_e32 v11, v18, v11
	v_lshl_or_b32 v8, v62, 7, v8
	v_lshlrev_b64 v[6:7], 1, v[6:7]
	v_lshlrev_b32_e32 v17, 13, v17
	v_xor_b32_e32 v5, v5, v15
	v_xor_b32_e32 v21, v21, v15
	;; [unrolled: 1-line block ×4, first 2 shown]
	v_or_b32_e32 v78, 0x9000, v8
	v_or_b32_e32 v82, 0x9800, v8
	v_lshl_add_u64 v[8:9], s[8:9], 0, v[6:7]
	v_lshl_add_u64 v[6:7], s[14:15], 0, v[6:7]
	v_or_b32_e32 v14, 0x100, v3
	v_lshlrev_b32_e32 v16, 7, v4
	v_or_b32_e32 v4, v10, v45
	v_add_u32_e32 v20, v17, v5
	v_add_u32_e32 v22, v17, v21
	;; [unrolled: 1-line block ×4, first 2 shown]
	v_or3_b32 v10, v45, v10, 64
	v_add_u32_e32 v5, 0x2000, v5
	v_add_u32_e32 v17, 0x2000, v21
	;; [unrolled: 1-line block ×4, first 2 shown]
	v_lshlrev_b32_e32 v46, 8, v65
	v_cndmask_b32_e64 v85, v12, v3, s[2:3]
	v_cndmask_b32_e64 v86, v13, v14, s[2:3]
	v_lshl_add_u64 v[56:57], v[8:9], 0, v[46:47]
	v_lshl_add_u64 v[58:59], v[6:7], 0, v[46:47]
	s_add_i32 s37, s59, 63
	s_movk_i32 s26, 0x4000
	v_lshlrev_b32_e32 v88, 2, v4
	v_add_u32_e32 v89, v20, v16
	v_add_u32_e32 v90, v22, v16
	v_add_u32_e32 v91, v24, v16
	v_add_u32_e32 v92, v15, v16
	v_lshlrev_b32_e32 v93, 2, v10
	v_add_u32_e32 v94, v5, v16
	v_add_u32_e32 v95, v17, v16
	;; [unrolled: 1-line block ×4, first 2 shown]
	v_mov_b32_e32 v46, v47
	s_waitcnt lgkmcnt(0)
	s_barrier
.LBB527_6:                              ; =>This Inner Loop Header: Depth=1
	s_add_i32 s64, s65, 1
	s_cmp_lt_i32 s64, s49
	s_mov_b64 s[28:29], 0
	s_cselect_b64 s[2:3], -1, 0
	s_cmp_ge_i32 s64, s49
	s_mov_b64 s[24:25], 0
	s_cbranch_scc1 .LBB527_8
; %bb.7:                                ;   in Loop: Header=BB527_6 Depth=1
	s_add_i32 s0, s60, 64
	s_add_u32 s0, s40, s0
	s_addc_u32 s1, s41, 0
	s_lshl_b64 s[0:1], s[0:1], 8
	s_add_u32 s24, s6, s0
	s_addc_u32 s25, s7, s1
.LBB527_8:                              ;   in Loop: Header=BB527_6 Depth=1
	v_cndmask_b32_e64 v2, 0, 1, s[2:3]
	v_cmp_ne_u32_e64 s[0:1], 1, v2
	s_andn2_b64 vcc, exec, s[2:3]
	s_cbranch_vccnz .LBB527_10
; %bb.9:                                ;   in Loop: Header=BB527_6 Depth=1
	s_add_i32 s2, s60, 64
	s_add_u32 s2, s59, s2
	s_addc_u32 s3, s63, 0
	s_mul_i32 s28, s2, s51
	s_mul_hi_u32 s29, s2, s55
	s_add_i32 s28, s29, s28
	s_mul_i32 s3, s3, s55
	s_add_i32 s28, s28, s3
	s_mul_i32 s2, s2, s55
	s_add_u32 s2, s2, s54
	s_addc_u32 s3, s28, s57
	s_lshl_b64 s[2:3], s[2:3], 8
	s_add_u32 s28, s4, s2
	s_addc_u32 s29, s5, s3
.LBB527_10:                             ;   in Loop: Header=BB527_6 Depth=1
	v_perm_b32 v3, v53, v52, s39
	v_perm_b32 v2, v47, v46, s39
	;; [unrolled: 1-line block ×4, first 2 shown]
	ds_write_b64 v73, v[2:3]
	ds_write_b64 v74, v[4:5]
	;; [unrolled: 1-line block ×4, first 2 shown]
	s_waitcnt lgkmcnt(0)
	s_barrier
	ds_read_b64 v[10:11], v77 offset:16384
	ds_read_b64 v[12:13], v79 offset:16384
	ds_read2st64_b64 v[2:5], v78 offset1:1
	ds_read2st64_b64 v[6:9], v78 offset0:2 offset1:3
	ds_read_b64 v[14:15], v80 offset:16384
	s_waitcnt lgkmcnt(2)
	v_mfma_f32_16x16x16_bf16 a[0:3], v[10:11], v[2:3], 0
	ds_read_b64 v[2:3], v81 offset:16384
	s_add_i32 s2, s60, 63
	s_mul_i32 s3, s2, s35
	v_mfma_f32_16x16x16_bf16 a[0:3], v[12:13], v[4:5], a[0:3]
	s_mul_hi_u32 s31, s2, s34
	s_add_i32 s3, s31, s3
	s_mul_i32 s2, s2, s34
	s_waitcnt lgkmcnt(1)
	v_mfma_f32_16x16x16_bf16 a[0:3], v[14:15], v[6:7], a[0:3]
	s_lshl_b64 s[2:3], s[2:3], 2
	s_add_u32 s2, s44, s2
	s_addc_u32 s3, s45, s3
	s_waitcnt lgkmcnt(0)
	v_mfma_f32_16x16x16_bf16 a[0:3], v[2:3], v[8:9], a[0:3]
	s_and_b64 vcc, exec, s[0:1]
	v_mov_b32_e32 v100, 0
	v_mov_b32_e32 v99, 0
	;; [unrolled: 1-line block ×19, first 2 shown]
	s_cbranch_vccnz .LBB527_12
; %bb.11:                               ;   in Loop: Header=BB527_6 Depth=1
	s_and_b32 s25, s25, 0xffff
	buffer_load_dwordx4 v[14:17], v69, s[24:27], 0 offen
	buffer_load_dwordx4 v[10:13], v69, s[24:27], s58 offen
	;; [unrolled: 1-line block ×4, first 2 shown]
	v_mov_b32_e32 v99, v71
	v_mov_b32_e32 v98, v72
.LBB527_12:                             ;   in Loop: Header=BB527_6 Depth=1
	v_add_u32_e32 v24, s60, v87
	v_ashrrev_i32_e32 v18, 31, v24
	v_mul_lo_u32 v20, v18, s34
	v_mul_lo_u32 v21, v24, s35
	v_mad_u64_u32 v[18:19], s[24:25], v24, s34, 0
	v_add3_u32 v19, v19, v21, v20
	v_add_u32_e32 v20, 1, v24
	v_ashrrev_i32_e32 v21, 31, v20
	v_mul_lo_u32 v22, v21, s34
	v_mul_lo_u32 v23, v20, s35
	v_mad_u64_u32 v[20:21], s[24:25], v20, s34, 0
	v_add3_u32 v21, v21, v23, v22
	v_add_u32_e32 v22, 2, v24
	v_ashrrev_i32_e32 v23, 31, v22
	v_mul_lo_u32 v25, v23, s34
	v_mul_lo_u32 v26, v22, s35
	v_mad_u64_u32 v[22:23], s[24:25], v22, s34, 0
	s_add_u32 s24, s40, s60
	v_add3_u32 v23, v23, v26, v25
	v_add_u32_e32 v26, 3, v24
	s_addc_u32 s25, s41, 0
	v_ashrrev_i32_e32 v24, 31, v26
	s_lshl_b64 s[24:25], s[24:25], 8
	v_lshl_add_u64 v[18:19], v[18:19], 2, s[44:45]
	v_mul_lo_u32 v27, v24, s34
	v_lshl_add_u64 v[24:25], v[56:57], 0, s[24:25]
	v_mul_lo_u32 v28, v26, s35
	global_load_ushort v38, v[24:25], off
	global_load_ushort v39, v[24:25], off offset:256
	global_load_ushort v40, v[24:25], off offset:512
	global_load_ushort v41, v[24:25], off offset:768
	global_load_dword v42, v[18:19], off
	v_mad_u64_u32 v[18:19], s[66:67], v26, s34, 0
	v_lshl_add_u64 v[20:21], v[20:21], 2, s[44:45]
	v_add3_u32 v19, v19, v28, v27
	v_lshl_add_u64 v[22:23], v[22:23], 2, s[44:45]
	v_lshl_add_u64 v[18:19], v[18:19], 2, s[44:45]
	global_load_dword v43, v[20:21], off
	global_load_dword v44, v[22:23], off
	;; [unrolled: 1-line block ×3, first 2 shown]
	s_load_dword s2, s[2:3], 0x0
	ds_read_b64 v[26:27], v77 offset:24576
	ds_read2st64_b64 v[22:25], v82 offset1:1
	ds_read2st64_b64 v[28:31], v82 offset0:2 offset1:3
	ds_read_b64 v[32:33], v79 offset:24576
	ds_read_b64 v[34:35], v80 offset:24576
	;; [unrolled: 1-line block ×3, first 2 shown]
	s_waitcnt lgkmcnt(0)
	v_mfma_f32_16x16x16_bf16 a[0:3], v[26:27], v[22:23], a[0:3]
	v_mov_b32_e32 v101, 0
	v_mov_b32_e32 v18, 0
	;; [unrolled: 1-line block ×3, first 2 shown]
	v_mfma_f32_16x16x16_bf16 a[0:3], v[32:33], v[24:25], a[0:3]
	v_mov_b32_e32 v20, 0
	v_mov_b32_e32 v21, 0
	;; [unrolled: 1-line block ×3, first 2 shown]
	v_mfma_f32_16x16x16_bf16 a[0:3], v[34:35], v[28:29], a[0:3]
	v_lshl_add_u64 v[28:29], v[58:59], 0, s[24:25]
	v_mov_b32_e32 v23, 0
	v_mov_b32_e32 v24, 0
	v_mfma_f32_16x16x16_bf16 a[0:3], v[36:37], v[30:31], a[0:3]
	v_mov_b32_e32 v25, 0
	v_mov_b32_e32 v26, 0
	;; [unrolled: 1-line block ×3, first 2 shown]
	s_and_b64 vcc, exec, s[0:1]
	s_waitcnt vmcnt(7)
	v_lshlrev_b32_e32 v34, 16, v38
	s_nop 0
	v_accvgpr_read_b32 v33, a1
	v_accvgpr_read_b32 v31, a3
	;; [unrolled: 1-line block ×4, first 2 shown]
	s_waitcnt vmcnt(6)
	v_lshlrev_b32_e32 v35, 16, v39
	s_waitcnt vmcnt(4)
	v_lshlrev_b32_e32 v37, 16, v41
	v_lshlrev_b32_e32 v36, 16, v40
	s_waitcnt vmcnt(3)
	v_sub_f32_e32 v38, s2, v42
	v_pk_add_f32 v[32:33], v[34:35], v[32:33] neg_lo:[0,1] neg_hi:[0,1]
	v_pk_add_f32 v[30:31], v[36:37], v[30:31] neg_lo:[0,1] neg_hi:[0,1]
	s_waitcnt vmcnt(2)
	v_sub_f32_e32 v35, s2, v43
	s_waitcnt vmcnt(1)
	v_sub_f32_e32 v36, s2, v44
	;; [unrolled: 2-line block ×3, first 2 shown]
	v_exp_f32_e32 v34, v38
	v_exp_f32_e32 v35, v35
	v_exp_f32_e32 v36, v36
	v_exp_f32_e32 v37, v37
	global_store_short_d16_hi v[28:29], v32, off
	global_store_short_d16_hi v[28:29], v33, off offset:256
	global_store_short_d16_hi v[28:29], v30, off offset:512
	;; [unrolled: 1-line block ×3, first 2 shown]
	v_pk_mul_f32 v[28:29], v[34:35], v[32:33]
	v_pk_mul_f32 v[30:31], v[36:37], v[30:31]
	v_perm_b32 v28, v29, v28, s39
	v_perm_b32 v29, v31, v30, s39
	ds_write_b64 v74, v[28:29]
	v_mov_b32_e32 v28, 0
	v_mov_b32_e32 v29, 0
	v_mov_b32_e32 v30, 0
	v_mov_b32_e32 v31, 0
	v_mov_b32_e32 v32, 0
	v_mov_b32_e32 v33, 0
	s_cbranch_vccnz .LBB527_14
; %bb.13:                               ;   in Loop: Header=BB527_6 Depth=1
	s_and_b32 s29, s29, 0xffff
	s_mov_b32 s31, s27
	buffer_load_dwordx4 v[30:33], v85, s[28:31], 0 offen
	buffer_load_dwordx4 v[22:25], v85, s[28:31], s58 offen
	;; [unrolled: 1-line block ×4, first 2 shown]
	v_mov_b32_e32 v100, v68
	v_mov_b32_e32 v101, v67
.LBB527_14:                             ;   in Loop: Header=BB527_6 Depth=1
	s_waitcnt lgkmcnt(0)
	s_barrier
	ds_read_b64 v[34:35], v89
	ds_read_b64 v[40:41], v90
	ds_read2st64_b64 v[36:39], v82 offset1:1
	ds_read2st64_b64 v[102:105], v82 offset0:2 offset1:3
	ds_read_b64 v[42:43], v91
	ds_read_b64 v[110:111], v92
	s_add_i32 s3, s52, s65
	s_mul_hi_i32 s25, s3, s17
	s_mul_i32 s3, s3, s17
	s_waitcnt lgkmcnt(3)
	v_mfma_f32_16x16x16_bf16 a[0:3], v[34:35], v[36:37], 0
	ds_read_b64 v[34:35], v94
	s_add_u32 s24, s3, s33
	s_addc_u32 s25, s25, s56
	s_add_i32 s3, s37, s60
	v_mfma_f32_16x16x16_bf16 a[0:3], v[40:41], v[38:39], a[0:3]
	ds_read_b64 v[40:41], v95
	s_lshl_b64 s[24:25], s[24:25], 15
	s_mul_hi_i32 s29, s3, s17
	s_mul_i32 s3, s3, s17
	s_add_u32 s28, s3, s33
	s_addc_u32 s29, s29, s56
	s_lshl_b64 s[28:29], s[28:29], 9
	s_add_u32 s28, s42, s28
	s_waitcnt lgkmcnt(1)
	v_mfma_f32_16x16x16_bf16 a[4:7], v[34:35], v[36:37], 0
	s_addc_u32 s29, s43, s29
	s_and_b64 vcc, exec, s[0:1]
	v_mfma_f32_16x16x16_bf16 a[0:3], v[42:43], v[102:103], a[0:3]
	ds_read_b64 v[42:43], v96
	ds_read_b64 v[112:113], v97
	global_load_dwordx4 v[34:37], v93, s[28:29]
	s_waitcnt lgkmcnt(2)
	v_mfma_f32_16x16x16_bf16 a[4:7], v[40:41], v[38:39], a[4:7]
	global_load_dwordx4 v[38:41], v88, s[28:29]
	ds_read_b64 v[106:107], v83
	ds_read_b64 v[108:109], v84
	s_waitcnt lgkmcnt(3)
	v_mfma_f32_16x16x16_bf16 a[8:11], v[42:43], v[102:103], a[4:7]
	v_lshl_add_u64 v[42:43], v[54:55], 0, s[24:25]
	s_waitcnt lgkmcnt(0)
	global_store_dwordx4 v[42:43], v[106:109], off
	v_mfma_f32_16x16x16_bf16 a[4:7], v[110:111], v[104:105], a[0:3]
	s_waitcnt vmcnt(2)
	v_mov_b32_e32 v44, v37
	v_mfma_f32_16x16x16_bf16 a[0:3], v[112:113], v[104:105], a[8:11]
	v_mov_b32_e32 v43, v36
	v_mov_b32_e32 v42, v35
	s_cbranch_vccnz .LBB527_16
; %bb.15:                               ;   in Loop: Header=BB527_6 Depth=1
	v_lshrrev_b32_e32 v35, 3, v100
	v_and_b32_e32 v35, 6, v35
	v_xor_b32_e32 v36, v35, v101
	v_lshlrev_b32_e32 v36, 2, v36
	v_and_b32_e32 v37, 8, v100
	v_xor_b32_e32 v100, 0x440, v36
	v_cmp_eq_u32_e32 vcc, 0, v37
	v_perm_b32 v37, v22, v18, s61
	s_nop 0
	v_cndmask_b32_e32 v36, v100, v36, vcc
	v_lshl_or_b32 v35, v35, 10, v36
	v_perm_b32 v36, v30, v26, s61
	s_barrier
	ds_write2st64_b32 v35, v36, v37 offset1:32
	v_xor_b32_e32 v36, 8, v35
	v_perm_b32 v26, v30, v26, s62
	v_perm_b32 v18, v22, v18, s62
	v_add_u32_e32 v22, 0x80, v36
	ds_write2st64_b32 v22, v26, v18 offset1:32
	v_xor_b32_e32 v18, 16, v35
	v_perm_b32 v22, v31, v27, s61
	v_perm_b32 v26, v23, v19, s61
	ds_write2st64_b32 v18, v22, v26 offset0:1 offset1:33
	v_xor_b32_e32 v18, 24, v35
	v_perm_b32 v22, v31, v27, s62
	v_perm_b32 v19, v23, v19, s62
	v_add_u32_e32 v18, 0x80, v18
	ds_write2st64_b32 v18, v22, v19 offset0:1 offset1:33
	v_xor_b32_e32 v18, 32, v35
	v_perm_b32 v19, v32, v28, s61
	v_perm_b32 v22, v24, v20, s61
	ds_write2st64_b32 v18, v19, v22 offset0:2 offset1:34
	v_xor_b32_e32 v18, 40, v35
	v_perm_b32 v19, v32, v28, s62
	v_perm_b32 v20, v24, v20, s62
	v_add_u32_e32 v18, 0x80, v18
	ds_write2st64_b32 v18, v19, v20 offset0:2 offset1:34
	;; [unrolled: 9-line block ×3, first 2 shown]
	ds_write_b64 v99, v[14:15] offset:16384
	v_xor_b32_e32 v14, 8, v99
	ds_write_b64 v14, v[16:17] offset:16384
	ds_write_b64 v99, v[10:11] offset:24576
	;; [unrolled: 1-line block ×4, first 2 shown]
	v_xor_b32_e32 v6, 8, v98
	ds_write_b64 v6, v[8:9] offset:16384
	ds_write_b64 v98, v[2:3] offset:24576
	;; [unrolled: 1-line block ×3, first 2 shown]
.LBB527_16:                             ;   in Loop: Header=BB527_6 Depth=1
	v_exp_f32_e32 v10, s2
	s_waitcnt vmcnt(1)
	v_exp_f32_e32 v12, v38
	v_exp_f32_e32 v13, v39
	;; [unrolled: 1-line block ×4, first 2 shown]
	v_accvgpr_read_b32 v2, a4
	v_accvgpr_read_b32 v3, a5
	v_pk_mul_f32 v[12:13], v[10:11], v[12:13] op_sel_hi:[0,1]
	v_pk_fma_f32 v[46:47], v[46:47], v[12:13], v[2:3]
	v_exp_f32_e32 v12, v34
	v_exp_f32_e32 v13, v42
	v_pk_mul_f32 v[2:3], v[10:11], v[14:15] op_sel_hi:[0,1]
	v_exp_f32_e32 v14, v43
	v_exp_f32_e32 v15, v44
	v_accvgpr_read_b32 v4, a6
	v_accvgpr_read_b32 v5, a7
	;; [unrolled: 1-line block ×5, first 2 shown]
	v_pk_fma_f32 v[52:53], v[52:53], v[2:3], v[4:5]
	v_pk_mul_f32 v[2:3], v[10:11], v[12:13] op_sel_hi:[0,1]
	v_accvgpr_read_b32 v8, a2
	v_pk_fma_f32 v[50:51], v[50:51], v[2:3], v[6:7]
	v_pk_mul_f32 v[2:3], v[10:11], v[14:15] op_sel_hi:[0,1]
	s_add_i32 s60, s60, 64
	s_cmp_eq_u32 s49, s64
	v_pk_fma_f32 v[48:49], v[48:49], v[2:3], v[8:9]
	s_cbranch_scc1 .LBB527_18
; %bb.17:                               ;   in Loop: Header=BB527_6 Depth=1
	s_mov_b32 s65, s64
	s_branch .LBB527_6
.LBB527_18:
	s_lshl_b32 s42, s49, 6
	s_sub_i32 s43, s16, s42
	s_cmp_gt_i32 s43, 0
	s_cbranch_scc0 .LBB527_75
; %bb.19:
	s_ashr_i32 s39, s50, 31
	s_ashr_i32 s2, s42, 31
	s_cmpk_lg_i32 s19, 0x80
	s_cselect_b64 s[30:31], -1, 0
	s_and_b64 vcc, exec, s[30:31]
	s_cbranch_vccz .LBB527_21
; %bb.20:
	s_mul_i32 s1, s50, s16
	s_mul_hi_i32 s0, s50, s16
	s_add_u32 s1, s1, s42
	s_addc_u32 s0, s0, s2
	s_mul_i32 s3, s1, s51
	s_mul_hi_u32 s24, s1, s18
	s_add_i32 s3, s24, s3
	s_mul_i32 s0, s0, s18
	s_add_i32 s3, s3, s0
	s_mul_i32 s1, s1, s18
	s_ashr_i32 s0, s54, 31
	s_add_u32 s40, s1, s54
	s_addc_u32 s41, s3, s0
	s_cbranch_execz .LBB527_22
	s_branch .LBB527_23
.LBB527_21:
                                        ; implicit-def: $sgpr40_sgpr41
.LBB527_22:
	s_mul_hi_i32 s0, s50, s18
	s_mul_i32 s50, s50, s18
	s_ashr_i32 s1, s54, 31
	s_add_u32 s3, s50, s54
	s_addc_u32 s0, s0, s1
	s_mul_i32 s1, s3, s48
	s_mul_hi_u32 s18, s3, s16
	s_add_i32 s1, s18, s1
	s_mul_i32 s0, s0, s16
	s_add_i32 s1, s1, s0
	s_mul_i32 s3, s3, s16
	s_add_u32 s40, s3, s42
	s_addc_u32 s41, s1, s2
.LBB527_23:
	s_add_i32 s3, s52, s49
	s_ashr_i32 s18, s33, 31
	s_add_u32 s0, s47, s33
	s_addc_u32 s1, s53, s18
	s_mul_i32 s24, s0, s48
	s_mul_hi_u32 s25, s0, s16
	s_add_i32 s24, s25, s24
	s_mul_i32 s1, s1, s16
	s_add_i32 s24, s24, s1
	s_mul_i32 s0, s0, s16
	s_add_u32 s0, s0, s42
	s_addc_u32 s1, s24, s2
	s_mov_b32 s2, 0x7060302
	v_lshlrev_b32_e32 v6, 3, v1
	s_lshl_b64 s[28:29], s[0:1], 8
	v_perm_b32 v3, v53, v52, s2
	v_perm_b32 v2, v47, v46, s2
	;; [unrolled: 1-line block ×4, first 2 shown]
	v_lshlrev_b32_e32 v34, 2, v1
	v_lshl_or_b32 v6, v65, 5, v6
	s_add_u32 s0, s6, s28
	ds_write2st64_b64 v6, v[2:3], v[4:5] offset0:72 offset1:76
	v_xor_b32_e32 v6, v65, v34
	v_lshlrev_b32_e32 v7, 8, v1
	s_addc_u32 s1, s7, s29
	v_lshl_or_b32 v6, v6, 1, v7
	s_mul_hi_i32 s6, s3, s17
	s_mul_i32 s3, s3, s17
	ds_write_b64 v6, v[2:3] offset:32768
	v_xor_b32_e32 v2, v66, v34
	s_add_u32 s2, s3, s33
	v_lshl_or_b32 v2, v2, 1, v7
	s_addc_u32 s3, s6, s18
	v_lshlrev_b32_e32 v3, 1, v1
	ds_write_b64 v2, v[4:5] offset:32768
	v_lshrrev_b32_e32 v2, 4, v0
	s_ashr_i32 s37, s36, 31
	s_lshl_b64 s[2:3], s[2:3], 15
	v_or_b32_e32 v4, 1, v3
	s_add_u32 s6, s12, s2
	v_xor_b32_e32 v3, v2, v3
	v_xor_b32_e32 v4, v4, v2
	v_lshlrev_b32_e32 v6, 8, v2
	s_addc_u32 s7, s13, s3
	s_lshl_b64 s[2:3], s[36:37], 8
	v_lshl_or_b32 v2, v3, 3, v6
	v_lshl_or_b32 v4, v4, 3, v6
	s_waitcnt lgkmcnt(0)
	s_barrier
	s_add_u32 s2, s6, s2
	ds_read_b64 v[2:3], v2 offset:32768
	ds_read_b64 v[4:5], v4 offset:32768
	s_addc_u32 s3, s7, s3
	v_mov_b32_e32 v7, 0
	s_cmp_lg_u32 s43, 64
	v_lshl_add_u64 v[8:9], s[2:3], 0, v[6:7]
	v_lshlrev_b32_e32 v6, 4, v1
	s_cselect_b64 s[6:7], -1, 0
	v_lshl_or_b32 v35, v61, 3, v64
	s_mov_b32 s24, 0
	v_lshl_add_u64 v[6:7], v[8:9], 0, v[6:7]
	v_or_b32_e32 v19, 32, v35
	v_and_b32_e32 v18, 56, v63
	s_and_b64 vcc, exec, s[6:7]
	s_waitcnt lgkmcnt(0)
	global_store_dwordx4 v[6:7], v[2:5], off
	s_cbranch_vccz .LBB527_29
; %bb.24:
	s_mov_b32 s25, s24
	s_mov_b32 s26, s24
	;; [unrolled: 1-line block ×3, first 2 shown]
	v_mov_b64_e32 v[6:7], s[24:25]
	v_mov_b64_e32 v[8:9], s[26:27]
	;; [unrolled: 1-line block ×3, first 2 shown]
	v_cmp_gt_i32_e32 vcc, s43, v35
	v_mov_b64_e32 v[4:5], v[8:9]
	s_and_saveexec_b64 s[2:3], vcc
	s_cbranch_execz .LBB527_26
; %bb.25:
	v_lshlrev_b32_e32 v2, 8, v35
	v_mov_b32_e32 v3, 0
	v_lshl_add_u64 v[4:5], s[0:1], 0, v[2:3]
	v_lshlrev_b32_e32 v2, 1, v18
	v_lshl_add_u64 v[10:11], v[4:5], 0, v[2:3]
	global_load_dwordx4 v[6:9], v[10:11], off
	global_load_dwordx4 v[2:5], v[10:11], off offset:128
.LBB527_26:
	s_or_b64 exec, exec, s[2:3]
	s_mov_b32 s25, s24
	s_mov_b32 s26, s24
	;; [unrolled: 1-line block ×3, first 2 shown]
	v_mov_b64_e32 v[14:15], s[24:25]
	v_mov_b64_e32 v[16:17], s[26:27]
	;; [unrolled: 1-line block ×3, first 2 shown]
	v_cmp_gt_i32_e32 vcc, s43, v19
	v_lshlrev_b32_e32 v20, 7, v19
	v_mov_b64_e32 v[12:13], v[16:17]
	s_and_saveexec_b64 s[2:3], vcc
	s_cbranch_execz .LBB527_28
; %bb.27:
	v_lshlrev_b32_e32 v10, 1, v20
	v_mov_b32_e32 v11, 0
	v_lshl_add_u64 v[12:13], s[0:1], 0, v[10:11]
	v_lshlrev_b32_e32 v10, 1, v18
	v_lshl_add_u64 v[22:23], v[12:13], 0, v[10:11]
	global_load_dwordx4 v[14:17], v[22:23], off
	global_load_dwordx4 v[10:13], v[22:23], off offset:128
.LBB527_28:
	s_or_b64 exec, exec, s[2:3]
	v_lshrrev_b32_e32 v21, 3, v18
	v_lshlrev_b32_e32 v22, 3, v35
	v_or_b32_e32 v21, v22, v21
	v_lshlrev_b32_e32 v21, 4, v21
	v_and_b32_e32 v22, 0x78, v22
	v_xor_b32_e32 v21, v21, v22
	s_branch .LBB527_31
.LBB527_29:
                                        ; implicit-def: $vgpr21
                                        ; implicit-def: $vgpr20
                                        ; implicit-def: $vgpr6_vgpr7_vgpr8_vgpr9
                                        ; implicit-def: $vgpr2_vgpr3_vgpr4_vgpr5
                                        ; implicit-def: $vgpr14_vgpr15_vgpr16_vgpr17
                                        ; implicit-def: $vgpr10_vgpr11_vgpr12_vgpr13
	s_cbranch_execz .LBB527_31
; %bb.30:
	s_waitcnt vmcnt(0)
	v_lshlrev_b32_e32 v2, 1, v18
	v_lshl_or_b32 v20, v35, 8, v2
	s_and_b32 s1, s1, 0xffff
	s_mov_b32 s3, 0x20000
	s_movk_i32 s2, 0x4000
	v_lshl_or_b32 v21, v19, 8, v2
	s_movk_i32 s12, 0x80
	buffer_load_dwordx4 v[6:9], v20, s[0:3], 0 offen
	buffer_load_dwordx4 v[2:5], v20, s[0:3], s12 offen
	;; [unrolled: 1-line block ×4, first 2 shown]
	v_lshrrev_b32_e32 v20, 3, v18
	v_lshlrev_b32_e32 v21, 3, v35
	v_or_b32_e32 v20, v21, v20
	v_lshlrev_b32_e32 v20, 4, v20
	v_and_b32_e32 v21, 0x78, v21
	v_xor_b32_e32 v21, v20, v21
	v_lshlrev_b32_e32 v20, 7, v19
.LBB527_31:
	s_lshl_b64 s[0:1], s[40:41], 8
	s_add_u32 s4, s4, s0
	s_movk_i32 s0, 0x1000
	v_and_or_b32 v19, v20, s0, v21
	s_waitcnt vmcnt(1)
	ds_write_b64 v21, v[6:7] offset:16384
	v_xor_b32_e32 v6, 8, v21
	ds_write_b64 v6, v[8:9] offset:16384
	s_waitcnt vmcnt(0)
	ds_write_b64 v21, v[2:3] offset:24576
	ds_write_b64 v6, v[4:5] offset:24576
	;; [unrolled: 1-line block ×3, first 2 shown]
	v_xor_b32_e32 v2, 8, v19
	ds_write_b64 v2, v[16:17] offset:16384
	ds_write_b64 v19, v[10:11] offset:24576
	;; [unrolled: 1-line block ×3, first 2 shown]
	v_or_b32_e32 v2, v45, v1
	s_addc_u32 s5, s5, s1
	s_add_i32 s2, s16, -1
	v_lshlrev_b32_e32 v2, 3, v2
	v_lshrrev_b32_e32 v4, 5, v60
	s_movk_i32 s16, 0xf8
	v_and_or_b32 v4, v2, s16, v4
	v_lshlrev_b32_e32 v3, 11, v61
	v_lshlrev_b32_e32 v12, 4, v4
	v_and_b32_e32 v13, 0x78, v2
	v_and_b32_e32 v14, 0x1000, v3
	v_lshlrev_b32_e32 v3, 2, v0
	v_xor_b32_e32 v2, v12, v13
	v_lshrrev_b32_e32 v4, 1, v60
	v_and_b32_e32 v3, 60, v3
	v_or_b32_e32 v2, v2, v14
	v_and_b32_e32 v15, 8, v4
	v_xor_b32_e32 v26, v2, v15
	v_lshl_or_b32 v2, v62, 6, v3
	v_lshlrev_b32_e32 v19, 1, v2
	v_or_b32_e32 v2, 32, v12
	v_xor_b32_e32 v2, v2, v13
	s_waitcnt lgkmcnt(0)
	s_barrier
	ds_read_b64 v[10:11], v26 offset:16384
	v_or_b32_e32 v2, v2, v14
	v_xor_b32_e32 v27, v2, v15
	v_or_b32_e32 v2, 64, v12
	v_xor_b32_e32 v2, v2, v13
	v_or_b32_e32 v2, v2, v14
	v_or_b32_e32 v12, 0x60, v12
	v_xor_b32_e32 v28, v2, v15
	ds_read2st64_b64 v[2:5], v19 offset0:72 offset1:73
	ds_read2st64_b64 v[6:9], v19 offset0:74 offset1:75
	v_xor_b32_e32 v16, v12, v13
	ds_read_b64 v[12:13], v27 offset:16384
	s_waitcnt lgkmcnt(2)
	v_mfma_f32_16x16x16_bf16 a[0:3], v[10:11], v[2:3], 0
	s_add_i32 s0, s46, s21
	s_mul_i32 s39, s39, s20
	s_add_i32 s39, s0, s39
	s_mul_i32 s0, s33, s23
	s_mul_hi_u32 s1, s33, s22
	s_ashr_i32 s3, s2, 31
	s_mul_i32 s12, s2, s35
	s_mul_hi_u32 s13, s2, s34
	s_add_i32 s0, s1, s0
	s_mul_i32 s1, s18, s22
	s_add_i32 s12, s13, s12
	s_mul_i32 s3, s3, s34
	v_or_b32_e32 v14, v16, v14
	s_add_i32 s1, s0, s1
	s_add_i32 s3, s12, s3
	s_lshl_b64 s[12:13], s[38:39], 2
	v_xor_b32_e32 v36, v14, v15
	ds_read_b64 v[14:15], v28 offset:16384
	ds_read_b64 v[16:17], v36 offset:16384
	s_waitcnt lgkmcnt(2)
	v_mfma_f32_16x16x16_bf16 a[0:3], v[12:13], v[4:5], a[0:3]
	s_mul_i32 s0, s33, s22
	s_add_u32 s10, s10, s12
	s_addc_u32 s11, s11, s13
	s_lshl_b64 s[0:1], s[0:1], 2
	s_mul_i32 s2, s2, s34
	s_add_u32 s10, s10, s0
	s_addc_u32 s11, s11, s1
	s_lshl_b64 s[0:1], s[2:3], 2
	s_waitcnt lgkmcnt(1)
	v_mfma_f32_16x16x16_bf16 a[0:3], v[14:15], v[6:7], a[0:3]
	s_add_u32 s0, s10, s0
	s_addc_u32 s1, s11, s1
	s_load_dword s12, s[0:1], 0x0
	s_waitcnt lgkmcnt(0)
	v_mfma_f32_16x16x16_bf16 a[0:3], v[16:17], v[8:9], a[0:3]
	s_and_b64 vcc, exec, s[30:31]
	s_cbranch_vccz .LBB527_42
; %bb.32:
	v_lshlrev_b32_e32 v20, 1, v35
	s_and_b64 vcc, exec, s[6:7]
	s_cbranch_vccz .LBB527_43
; %bb.33:
	v_cmp_gt_i32_e32 vcc, s43, v20
	v_mov_b32_e32 v6, 0
	v_mov_b32_e32 v2, 0
	v_mov_b32_e32 v3, 0
	v_mov_b32_e32 v4, 0
	v_mov_b32_e32 v5, 0
	s_and_saveexec_b64 s[0:1], vcc
	s_cbranch_execz .LBB527_35
; %bb.34:
	v_mad_i64_i32 v[2:3], s[2:3], s19, v20, 0
	v_lshl_add_u64 v[2:3], v[2:3], 1, s[4:5]
	v_lshlrev_b32_e32 v4, 1, v18
	v_mov_b32_e32 v5, 0
	v_lshl_add_u64 v[2:3], v[2:3], 0, v[4:5]
	global_load_dwordx4 v[2:5], v[2:3], off
.LBB527_35:
	s_or_b64 exec, exec, s[0:1]
	v_or_b32_e32 v21, 1, v20
	v_cmp_gt_i32_e64 s[0:1], s43, v21
	v_mov_b32_e32 v7, 0
	v_mov_b32_e32 v8, 0
	v_mov_b32_e32 v9, 0
	s_and_saveexec_b64 s[2:3], s[0:1]
	s_cbranch_execz .LBB527_37
; %bb.36:
	v_mad_i64_i32 v[6:7], s[16:17], s19, v21, 0
	v_lshl_add_u64 v[6:7], v[6:7], 1, s[4:5]
	v_lshlrev_b32_e32 v8, 1, v18
	v_mov_b32_e32 v9, 0
	v_lshl_add_u64 v[6:7], v[6:7], 0, v[8:9]
	global_load_dwordx4 v[6:9], v[6:7], off
.LBB527_37:
	s_or_b64 exec, exec, s[2:3]
	v_mov_b32_e32 v17, 0
	v_mov_b32_e32 v10, 0
	;; [unrolled: 1-line block ×5, first 2 shown]
	s_and_saveexec_b64 s[2:3], vcc
	s_cbranch_execz .LBB527_39
; %bb.38:
	v_mad_i64_i32 v[10:11], s[16:17], s19, v20, 0
	v_lshl_add_u64 v[10:11], v[10:11], 1, s[4:5]
	v_lshlrev_b32_e32 v12, 1, v18
	v_mov_b32_e32 v13, 0
	v_lshl_add_u64 v[10:11], v[10:11], 0, v[12:13]
	global_load_dwordx4 v[10:13], v[10:11], off offset:128
.LBB527_39:
	s_or_b64 exec, exec, s[2:3]
	v_mov_b32_e32 v16, 0
	v_mov_b32_e32 v15, 0
	;; [unrolled: 1-line block ×3, first 2 shown]
	s_and_saveexec_b64 s[2:3], s[0:1]
	s_cbranch_execz .LBB527_41
; %bb.40:
	v_mad_i64_i32 v[14:15], s[0:1], s19, v21, 0
	v_lshl_add_u64 v[14:15], v[14:15], 1, s[4:5]
	v_lshlrev_b32_e32 v16, 1, v18
	v_mov_b32_e32 v17, 0
	v_lshl_add_u64 v[14:15], v[14:15], 0, v[16:17]
	global_load_dwordx4 v[14:17], v[14:15], off offset:128
.LBB527_41:
	s_or_b64 exec, exec, s[2:3]
	s_branch .LBB527_45
.LBB527_42:
                                        ; implicit-def: $vgpr5
                                        ; implicit-def: $vgpr9
                                        ; implicit-def: $vgpr13
                                        ; implicit-def: $vgpr17
	v_lshrrev_b32_e32 v37, 2, v60
	s_branch .LBB527_46
.LBB527_43:
                                        ; implicit-def: $vgpr5
                                        ; implicit-def: $vgpr9
                                        ; implicit-def: $vgpr13
                                        ; implicit-def: $vgpr17
	s_cbranch_execz .LBB527_45
; %bb.44:
	s_waitcnt vmcnt(0)
	v_mad_u64_u32 v[2:3], s[0:1], v20, s19, v[18:19]
	v_lshlrev_b32_e32 v20, 1, v2
	s_lshl_b32 s2, s19, 7
	s_and_b32 s1, s5, 0xffff
	s_mov_b32 s3, 0x20000
	s_mov_b32 s0, s4
	v_add_lshl_u32 v21, v2, s19, 1
	s_movk_i32 s13, 0x80
	buffer_load_dwordx4 v[2:5], v20, s[0:3], 0 offen
	buffer_load_dwordx4 v[10:13], v20, s[0:3], s13 offen
	;; [unrolled: 1-line block ×4, first 2 shown]
.LBB527_45:
	v_lshrrev_b32_e32 v37, 2, v60
	s_cbranch_execnz .LBB527_58
.LBB527_46:
	s_and_b64 vcc, exec, s[6:7]
	s_cbranch_vccz .LBB527_56
; %bb.47:
	s_waitcnt vmcnt(0)
	v_lshlrev_b32_e32 v7, 1, v35
	v_cmp_gt_i32_e32 vcc, s43, v7
	v_mov_b32_e32 v6, 0
	v_lshlrev_b32_e32 v14, 9, v35
	v_mov_b32_e32 v2, 0
	v_mov_b32_e32 v3, 0
	;; [unrolled: 1-line block ×4, first 2 shown]
	s_and_saveexec_b64 s[0:1], vcc
	s_cbranch_execz .LBB527_49
; %bb.48:
	v_mov_b32_e32 v15, 0
	v_lshl_add_u64 v[2:3], s[4:5], 0, v[14:15]
	v_lshlrev_b32_e32 v4, 1, v18
	v_mov_b32_e32 v5, v15
	v_lshl_add_u64 v[2:3], v[2:3], 0, v[4:5]
	global_load_dwordx4 v[2:5], v[2:3], off
.LBB527_49:
	s_or_b64 exec, exec, s[0:1]
	v_or_b32_e32 v7, 1, v7
	v_cmp_gt_i32_e64 s[0:1], s43, v7
	v_lshlrev_b32_e32 v20, 8, v7
	v_mov_b32_e32 v7, 0
	v_mov_b32_e32 v8, 0
	;; [unrolled: 1-line block ×3, first 2 shown]
	s_and_saveexec_b64 s[2:3], s[0:1]
	s_cbranch_execz .LBB527_51
; %bb.50:
	v_mov_b32_e32 v21, 0
	v_lshl_add_u64 v[6:7], s[4:5], 0, v[20:21]
	v_lshlrev_b32_e32 v8, 1, v18
	v_mov_b32_e32 v9, v21
	v_lshl_add_u64 v[6:7], v[6:7], 0, v[8:9]
	global_load_dwordx4 v[6:9], v[6:7], off
.LBB527_51:
	s_or_b64 exec, exec, s[2:3]
	v_mov_b32_e32 v17, 0
	v_mov_b32_e32 v10, 0
	;; [unrolled: 1-line block ×5, first 2 shown]
	s_and_saveexec_b64 s[2:3], vcc
	s_cbranch_execz .LBB527_53
; %bb.52:
	v_mov_b32_e32 v15, 0
	v_lshl_add_u64 v[10:11], s[4:5], 0, v[14:15]
	v_lshlrev_b32_e32 v14, 1, v18
	v_lshl_add_u64 v[10:11], v[10:11], 0, v[14:15]
	global_load_dwordx4 v[10:13], v[10:11], off offset:128
.LBB527_53:
	s_or_b64 exec, exec, s[2:3]
	v_mov_b32_e32 v16, 0
	v_mov_b32_e32 v15, 0
	;; [unrolled: 1-line block ×3, first 2 shown]
	s_and_saveexec_b64 s[2:3], s[0:1]
	s_cbranch_execz .LBB527_55
; %bb.54:
	v_mov_b32_e32 v21, 0
	v_lshl_add_u64 v[14:15], s[4:5], 0, v[20:21]
	v_lshlrev_b32_e32 v20, 1, v18
	v_lshl_add_u64 v[14:15], v[14:15], 0, v[20:21]
	global_load_dwordx4 v[14:17], v[14:15], off offset:128
.LBB527_55:
	s_or_b64 exec, exec, s[2:3]
	s_branch .LBB527_58
.LBB527_56:
                                        ; implicit-def: $vgpr5
                                        ; implicit-def: $vgpr9
                                        ; implicit-def: $vgpr13
                                        ; implicit-def: $vgpr17
	s_cbranch_execz .LBB527_58
; %bb.57:
	s_waitcnt vmcnt(0)
	v_lshlrev_b32_e32 v2, 1, v18
	v_lshl_or_b32 v18, v35, 9, v2
	s_and_b32 s5, s5, 0xffff
	s_mov_b32 s7, 0x20000
	s_movk_i32 s6, 0x4000
	s_movk_i32 s0, 0x80
	buffer_load_dwordx4 v[2:5], v18, s[4:7], 0 offen
	buffer_load_dwordx4 v[6:9], v18, s[4:7], 0 offen offset:256
	buffer_load_dwordx4 v[10:13], v18, s[4:7], s0 offen
	buffer_load_dwordx4 v[14:17], v18, s[4:7], s0 offen offset:256
.LBB527_58:
	ds_read2st64_b64 v[22:25], v19 offset0:76 offset1:77
	ds_read2st64_b64 v[18:21], v19 offset0:78 offset1:79
	ds_read_b64 v[32:33], v26 offset:24576
	ds_read_b64 v[30:31], v27 offset:24576
	;; [unrolled: 1-line block ×4, first 2 shown]
	v_and_b32_e32 v36, 6, v0
	v_xor_b32_e32 v35, v35, v36
	v_lshlrev_b32_e32 v35, 2, v35
	v_and_b32_e32 v0, 1, v0
	v_xor_b32_e32 v38, 0x440, v35
	v_cmp_eq_u32_e32 vcc, 0, v0
	s_mov_b32 s0, 0x1000504
	s_mov_b32 s1, 0x3020706
	v_cndmask_b32_e32 v0, v38, v35, vcc
	v_lshl_or_b32 v0, v36, 10, v0
	s_waitcnt vmcnt(0)
	v_perm_b32 v35, v2, v6, s0
	v_perm_b32 v36, v10, v14, s0
	ds_write2st64_b32 v0, v35, v36 offset1:32
	v_xor_b32_e32 v35, 8, v0
	v_perm_b32 v2, v2, v6, s1
	v_perm_b32 v6, v10, v14, s1
	v_add_u32_e32 v10, 0x80, v35
	ds_write2st64_b32 v10, v2, v6 offset1:32
	v_xor_b32_e32 v2, 16, v0
	v_perm_b32 v6, v3, v7, s0
	v_perm_b32 v10, v11, v15, s0
	ds_write2st64_b32 v2, v6, v10 offset0:1 offset1:33
	v_xor_b32_e32 v2, 24, v0
	v_perm_b32 v3, v3, v7, s1
	v_perm_b32 v6, v11, v15, s1
	v_add_u32_e32 v2, 0x80, v2
	ds_write2st64_b32 v2, v3, v6 offset0:1 offset1:33
	v_xor_b32_e32 v2, 32, v0
	v_perm_b32 v3, v4, v8, s0
	v_perm_b32 v6, v12, v16, s0
	ds_write2st64_b32 v2, v3, v6 offset0:2 offset1:34
	v_xor_b32_e32 v2, 40, v0
	v_perm_b32 v3, v4, v8, s1
	v_perm_b32 v4, v12, v16, s1
	v_add_u32_e32 v2, 0x80, v2
	ds_write2st64_b32 v2, v3, v4 offset0:2 offset1:34
	v_xor_b32_e32 v2, 48, v0
	v_perm_b32 v3, v5, v9, s0
	v_perm_b32 v4, v13, v17, s0
	v_xor_b32_e32 v0, 56, v0
	v_and_or_b32 v8, v37, 12, v45
	ds_write2st64_b32 v2, v3, v4 offset0:3 offset1:35
	v_perm_b32 v2, v5, v9, s1
	v_perm_b32 v3, v13, v17, s1
	v_add_u32_e32 v0, 0x80, v0
	v_cmp_gt_i32_e64 s[2:3], s43, v8
	v_mov_b32_e32 v10, 0
	v_mov_b32_e32 v15, 0
	ds_write2st64_b32 v0, v2, v3 offset0:3 offset1:35
	s_and_saveexec_b64 s[0:1], s[2:3]
	s_cbranch_execz .LBB527_60
; %bb.59:
	v_add_u32_e32 v0, s42, v8
	v_ashrrev_i32_e32 v2, 31, v0
	v_mul_lo_u32 v4, v2, s34
	v_mul_lo_u32 v5, v0, s35
	v_mad_u64_u32 v[2:3], s[4:5], v0, s34, 0
	v_add3_u32 v3, v3, v5, v4
	v_lshl_add_u64 v[2:3], v[2:3], 2, s[10:11]
	global_load_dword v0, v[2:3], off
	s_waitcnt vmcnt(0)
	v_sub_f32_e32 v0, s12, v0
	v_exp_f32_e32 v15, v0
.LBB527_60:
	s_or_b64 exec, exec, s[0:1]
	v_or_b32_e32 v13, 1, v8
	v_cmp_gt_i32_e64 s[4:5], s43, v13
	s_and_saveexec_b64 s[0:1], s[4:5]
	s_cbranch_execz .LBB527_62
; %bb.61:
	v_add_u32_e32 v0, s42, v13
	v_ashrrev_i32_e32 v2, 31, v0
	v_mul_lo_u32 v4, v2, s34
	v_mul_lo_u32 v5, v0, s35
	v_mad_u64_u32 v[2:3], s[6:7], v0, s34, 0
	v_add3_u32 v3, v3, v5, v4
	v_lshl_add_u64 v[2:3], v[2:3], 2, s[10:11]
	global_load_dword v0, v[2:3], off
	s_waitcnt vmcnt(0)
	v_sub_f32_e32 v0, s12, v0
	v_exp_f32_e32 v10, v0
.LBB527_62:
	s_or_b64 exec, exec, s[0:1]
	v_or_b32_e32 v11, 2, v8
	v_cmp_gt_i32_e32 vcc, s43, v11
	v_mov_b32_e32 v9, 0
	v_mov_b32_e32 v14, 0
	s_and_saveexec_b64 s[0:1], vcc
	s_cbranch_execz .LBB527_64
; %bb.63:
	v_add_u32_e32 v0, s42, v11
	v_ashrrev_i32_e32 v2, 31, v0
	v_mul_lo_u32 v4, v2, s34
	v_mul_lo_u32 v5, v0, s35
	v_mad_u64_u32 v[2:3], s[6:7], v0, s34, 0
	v_add3_u32 v3, v3, v5, v4
	v_lshl_add_u64 v[2:3], v[2:3], 2, s[10:11]
	global_load_dword v0, v[2:3], off
	s_waitcnt vmcnt(0)
	v_sub_f32_e32 v0, s12, v0
	v_exp_f32_e32 v14, v0
.LBB527_64:
	s_or_b64 exec, exec, s[0:1]
	v_or_b32_e32 v12, 3, v8
	v_cmp_gt_i32_e64 s[0:1], s43, v12
	s_and_saveexec_b64 s[6:7], s[0:1]
	s_cbranch_execz .LBB527_66
; %bb.65:
	v_add_u32_e32 v0, s42, v12
	v_ashrrev_i32_e32 v2, 31, v0
	v_mul_lo_u32 v4, v2, s34
	v_mul_lo_u32 v5, v0, s35
	v_mad_u64_u32 v[2:3], s[16:17], v0, s34, 0
	v_add3_u32 v3, v3, v5, v4
	v_lshl_add_u64 v[2:3], v[2:3], 2, s[10:11]
	global_load_dword v0, v[2:3], off
	s_waitcnt vmcnt(0)
	v_sub_f32_e32 v0, s12, v0
	v_exp_f32_e32 v9, v0
.LBB527_66:
	s_or_b64 exec, exec, s[6:7]
	s_waitcnt lgkmcnt(11)
	v_mfma_f32_16x16x16_bf16 a[0:3], v[32:33], v[22:23], a[0:3]
	v_or_b32_e32 v0, s36, v1
	s_add_u32 s6, s8, s28
	v_ashrrev_i32_e32 v1, 31, v0
	s_waitcnt lgkmcnt(10)
	v_mfma_f32_16x16x16_bf16 a[0:3], v[30:31], v[24:25], a[0:3]
	s_addc_u32 s7, s9, s29
	v_lshlrev_b64 v[0:1], 1, v[0:1]
	v_lshl_add_u64 v[4:5], s[6:7], 0, v[0:1]
	s_waitcnt lgkmcnt(9)
	v_mfma_f32_16x16x16_bf16 a[0:3], v[28:29], v[18:19], a[0:3]
	s_add_u32 s6, s14, s28
	s_addc_u32 s7, s15, s29
	v_lshl_add_u64 v[6:7], s[6:7], 0, v[0:1]
	s_waitcnt lgkmcnt(8)
	v_mfma_f32_16x16x16_bf16 a[0:3], v[26:27], v[20:21], a[0:3]
	v_mov_b32_e32 v16, 0
	v_mov_b32_e32 v17, 0
	s_nop 4
	v_accvgpr_read_b32 v0, a0
	v_accvgpr_read_b32 v1, a1
	;; [unrolled: 1-line block ×4, first 2 shown]
	s_and_saveexec_b64 s[6:7], s[2:3]
	s_cbranch_execz .LBB527_68
; %bb.67:
	v_lshlrev_b32_e32 v18, 8, v8
	v_mov_b32_e32 v19, 0
	v_lshl_add_u64 v[20:21], v[4:5], 0, v[18:19]
	global_load_ushort v17, v[20:21], off
	v_lshl_add_u64 v[18:19], v[6:7], 0, v[18:19]
	s_waitcnt vmcnt(0)
	v_lshlrev_b32_e32 v17, 16, v17
	v_sub_f32_e32 v0, v17, v0
	global_store_short_d16_hi v[18:19], v0, off
	v_mul_f32_e32 v0, v15, v0
	v_lshrrev_b32_e32 v17, 16, v0
.LBB527_68:
	s_or_b64 exec, exec, s[6:7]
	s_and_saveexec_b64 s[2:3], s[4:5]
	s_cbranch_execz .LBB527_70
; %bb.69:
	v_lshlrev_b32_e32 v18, 8, v13
	v_mov_b32_e32 v19, 0
	v_lshl_add_u64 v[20:21], v[4:5], 0, v[18:19]
	global_load_ushort v0, v[20:21], off
	v_lshl_add_u64 v[18:19], v[6:7], 0, v[18:19]
	s_waitcnt vmcnt(0)
	v_lshlrev_b32_e32 v0, 16, v0
	v_sub_f32_e32 v0, v0, v1
	global_store_short_d16_hi v[18:19], v0, off
	v_mul_f32_e32 v0, v10, v0
	v_lshrrev_b32_e32 v16, 16, v0
.LBB527_70:
	s_or_b64 exec, exec, s[2:3]
	v_mov_b32_e32 v0, 0
	v_mov_b32_e32 v1, 0
	s_and_saveexec_b64 s[2:3], vcc
	s_cbranch_execz .LBB527_72
; %bb.71:
	v_lshlrev_b32_e32 v10, 8, v11
	v_mov_b32_e32 v11, 0
	v_lshl_add_u64 v[18:19], v[4:5], 0, v[10:11]
	global_load_ushort v1, v[18:19], off
	v_lshl_add_u64 v[10:11], v[6:7], 0, v[10:11]
	s_waitcnt vmcnt(0)
	v_lshlrev_b32_e32 v1, 16, v1
	v_sub_f32_e32 v1, v1, v2
	global_store_short_d16_hi v[10:11], v1, off
	v_mul_f32_e32 v1, v14, v1
	v_lshrrev_b32_e32 v1, 16, v1
.LBB527_72:
	s_or_b64 exec, exec, s[2:3]
	s_and_saveexec_b64 s[2:3], s[0:1]
	s_cbranch_execz .LBB527_74
; %bb.73:
	v_lshlrev_b32_e32 v10, 8, v12
	v_mov_b32_e32 v11, 0
	v_lshl_add_u64 v[4:5], v[4:5], 0, v[10:11]
	global_load_ushort v0, v[4:5], off
	v_lshl_add_u64 v[4:5], v[6:7], 0, v[10:11]
	s_waitcnt vmcnt(0)
	v_lshlrev_b32_e32 v0, 16, v0
	v_sub_f32_e32 v0, v0, v3
	global_store_short_d16_hi v[4:5], v0, off
	v_mul_f32_e32 v0, v9, v0
	v_lshrrev_b32_e32 v0, 16, v0
.LBB527_74:
	s_or_b64 exec, exec, s[2:3]
	s_mov_b32 s0, 0x5040100
	v_lshlrev_b32_e32 v2, 1, v34
	v_perm_b32 v1, v0, v1, s0
	v_perm_b32 v0, v16, v17, s0
	v_lshl_or_b32 v2, v8, 5, v2
	ds_write_b64 v2, v[0:1] offset:38912
	s_waitcnt lgkmcnt(0)
	s_barrier
.LBB527_75:
	s_endpgm
	.section	.rodata,"a",@progbits
	.p2align	6, 0x0
	.amdhsa_kernel _ZN12_GLOBAL__N_139chunk_gated_delta_rule_fwd_h_hip_kernelILi16ELb0ELb0ELb1ELb0ELb1ELb1ELb1ELb1EEEvPK12hip_bfloat16S3_S3_PKfS5_PKvPS1_S8_PvPKiSB_iiiiilll
		.amdhsa_group_segment_fixed_size 40960
		.amdhsa_private_segment_fixed_size 0
		.amdhsa_kernarg_size 136
		.amdhsa_user_sgpr_count 2
		.amdhsa_user_sgpr_dispatch_ptr 0
		.amdhsa_user_sgpr_queue_ptr 0
		.amdhsa_user_sgpr_kernarg_segment_ptr 1
		.amdhsa_user_sgpr_dispatch_id 0
		.amdhsa_user_sgpr_kernarg_preload_length 0
		.amdhsa_user_sgpr_kernarg_preload_offset 0
		.amdhsa_user_sgpr_private_segment_size 0
		.amdhsa_uses_dynamic_stack 0
		.amdhsa_enable_private_segment 0
		.amdhsa_system_sgpr_workgroup_id_x 1
		.amdhsa_system_sgpr_workgroup_id_y 1
		.amdhsa_system_sgpr_workgroup_id_z 0
		.amdhsa_system_sgpr_workgroup_info 0
		.amdhsa_system_vgpr_workitem_id 0
		.amdhsa_next_free_vgpr 128
		.amdhsa_next_free_sgpr 68
		.amdhsa_accum_offset 116
		.amdhsa_reserve_vcc 1
		.amdhsa_float_round_mode_32 0
		.amdhsa_float_round_mode_16_64 0
		.amdhsa_float_denorm_mode_32 3
		.amdhsa_float_denorm_mode_16_64 3
		.amdhsa_dx10_clamp 1
		.amdhsa_ieee_mode 1
		.amdhsa_fp16_overflow 0
		.amdhsa_tg_split 0
		.amdhsa_exception_fp_ieee_invalid_op 0
		.amdhsa_exception_fp_denorm_src 0
		.amdhsa_exception_fp_ieee_div_zero 0
		.amdhsa_exception_fp_ieee_overflow 0
		.amdhsa_exception_fp_ieee_underflow 0
		.amdhsa_exception_fp_ieee_inexact 0
		.amdhsa_exception_int_div_zero 0
	.end_amdhsa_kernel
	.section	.text._ZN12_GLOBAL__N_139chunk_gated_delta_rule_fwd_h_hip_kernelILi16ELb0ELb0ELb1ELb0ELb1ELb1ELb1ELb1EEEvPK12hip_bfloat16S3_S3_PKfS5_PKvPS1_S8_PvPKiSB_iiiiilll,"axG",@progbits,_ZN12_GLOBAL__N_139chunk_gated_delta_rule_fwd_h_hip_kernelILi16ELb0ELb0ELb1ELb0ELb1ELb1ELb1ELb1EEEvPK12hip_bfloat16S3_S3_PKfS5_PKvPS1_S8_PvPKiSB_iiiiilll,comdat
.Lfunc_end527:
	.size	_ZN12_GLOBAL__N_139chunk_gated_delta_rule_fwd_h_hip_kernelILi16ELb0ELb0ELb1ELb0ELb1ELb1ELb1ELb1EEEvPK12hip_bfloat16S3_S3_PKfS5_PKvPS1_S8_PvPKiSB_iiiiilll, .Lfunc_end527-_ZN12_GLOBAL__N_139chunk_gated_delta_rule_fwd_h_hip_kernelILi16ELb0ELb0ELb1ELb0ELb1ELb1ELb1ELb1EEEvPK12hip_bfloat16S3_S3_PKfS5_PKvPS1_S8_PvPKiSB_iiiiilll
                                        ; -- End function
	.section	.AMDGPU.csdata,"",@progbits
; Kernel info:
; codeLenInByte = 7468
; NumSgprs: 74
; NumVgprs: 114
; NumAgprs: 12
; TotalNumVgprs: 128
; ScratchSize: 0
; MemoryBound: 0
; FloatMode: 240
; IeeeMode: 1
; LDSByteSize: 40960 bytes/workgroup (compile time only)
; SGPRBlocks: 9
; VGPRBlocks: 15
; NumSGPRsForWavesPerEU: 74
; NumVGPRsForWavesPerEU: 128
; AccumOffset: 116
; Occupancy: 1
; WaveLimiterHint : 1
; COMPUTE_PGM_RSRC2:SCRATCH_EN: 0
; COMPUTE_PGM_RSRC2:USER_SGPR: 2
; COMPUTE_PGM_RSRC2:TRAP_HANDLER: 0
; COMPUTE_PGM_RSRC2:TGID_X_EN: 1
; COMPUTE_PGM_RSRC2:TGID_Y_EN: 1
; COMPUTE_PGM_RSRC2:TGID_Z_EN: 0
; COMPUTE_PGM_RSRC2:TIDIG_COMP_CNT: 0
; COMPUTE_PGM_RSRC3_GFX90A:ACCUM_OFFSET: 28
; COMPUTE_PGM_RSRC3_GFX90A:TG_SPLIT: 0
	.section	.text._ZN12_GLOBAL__N_139chunk_gated_delta_rule_fwd_h_hip_kernelILi16ELb0ELb0ELb0ELb0ELb1ELb1ELb1ELb1EEEvPK12hip_bfloat16S3_S3_PKfS5_PKvPS1_S8_PvPKiSB_iiiiilll,"axG",@progbits,_ZN12_GLOBAL__N_139chunk_gated_delta_rule_fwd_h_hip_kernelILi16ELb0ELb0ELb0ELb0ELb1ELb1ELb1ELb1EEEvPK12hip_bfloat16S3_S3_PKfS5_PKvPS1_S8_PvPKiSB_iiiiilll,comdat
	.globl	_ZN12_GLOBAL__N_139chunk_gated_delta_rule_fwd_h_hip_kernelILi16ELb0ELb0ELb0ELb0ELb1ELb1ELb1ELb1EEEvPK12hip_bfloat16S3_S3_PKfS5_PKvPS1_S8_PvPKiSB_iiiiilll ; -- Begin function _ZN12_GLOBAL__N_139chunk_gated_delta_rule_fwd_h_hip_kernelILi16ELb0ELb0ELb0ELb0ELb1ELb1ELb1ELb1EEEvPK12hip_bfloat16S3_S3_PKfS5_PKvPS1_S8_PvPKiSB_iiiiilll
	.p2align	8
	.type	_ZN12_GLOBAL__N_139chunk_gated_delta_rule_fwd_h_hip_kernelILi16ELb0ELb0ELb0ELb0ELb1ELb1ELb1ELb1EEEvPK12hip_bfloat16S3_S3_PKfS5_PKvPS1_S8_PvPKiSB_iiiiilll,@function
_ZN12_GLOBAL__N_139chunk_gated_delta_rule_fwd_h_hip_kernelILi16ELb0ELb0ELb0ELb0ELb1ELb1ELb1ELb1EEEvPK12hip_bfloat16S3_S3_PKfS5_PKvPS1_S8_PvPKiSB_iiiiilll: ; @_ZN12_GLOBAL__N_139chunk_gated_delta_rule_fwd_h_hip_kernelILi16ELb0ELb0ELb0ELb0ELb1ELb1ELb1ELb1EEEvPK12hip_bfloat16S3_S3_PKfS5_PKvPS1_S8_PvPKiSB_iiiiilll
; %bb.0:
	s_load_dwordx4 s[12:15], s[0:1], 0x5c
	s_load_dwordx2 s[36:37], s[0:1], 0x30
	s_abs_i32 s18, s3
	s_ashr_i32 s17, s3, 31
	s_load_dwordx8 s[4:11], s[0:1], 0x0
	s_waitcnt lgkmcnt(0)
	s_abs_i32 s16, s13
	v_cvt_f32_u32_e32 v1, s16
	s_sub_i32 s20, 0, s16
	s_ashr_i32 s19, s13, 31
	s_xor_b32 s17, s17, s19
	v_rcp_iflag_f32_e32 v1, v1
	v_lshrrev_b32_e32 v59, 6, v0
	v_bfe_u32 v60, v0, 4, 2
	v_lshlrev_b32_e32 v45, 4, v59
	v_mul_f32_e32 v1, 0x4f7ffffe, v1
	v_cvt_u32_f32_e32 v1, v1
	v_lshlrev_b32_e32 v2, 2, v60
	v_and_b32_e32 v58, 63, v0
	v_or_b32_e32 v63, v2, v45
	v_readfirstlane_b32 s21, v1
	s_mul_i32 s20, s20, s21
	s_mul_hi_u32 s20, s21, s20
	s_add_i32 s21, s21, s20
	s_mul_hi_u32 s20, s18, s21
	s_mul_i32 s21, s20, s16
	s_sub_i32 s18, s18, s21
	s_add_i32 s22, s20, 1
	s_sub_i32 s21, s18, s16
	s_cmp_ge_u32 s18, s16
	s_cselect_b32 s20, s22, s20
	s_cselect_b32 s18, s21, s18
	s_add_i32 s21, s20, 1
	s_cmp_ge_u32 s18, s16
	s_cselect_b32 s18, s21, s20
	s_abs_i32 s20, s14
	v_cvt_f32_u32_e32 v1, s20
	s_xor_b32 s18, s18, s17
	s_ashr_i32 s46, s12, 31
	s_sub_i32 s48, s18, s17
	v_rcp_iflag_f32_e32 v1, v1
	s_lshr_b32 s17, s46, 26
	s_add_i32 s17, s12, s17
	s_ashr_i32 s49, s14, 31
	v_mul_f32_e32 v1, 0x4f7ffffe, v1
	v_cvt_u32_f32_e32 v1, v1
	s_ashr_i32 s47, s17, 6
	s_xor_b32 s17, s19, s49
	s_sub_i32 s18, 0, s20
	v_readfirstlane_b32 s19, v1
	s_mul_i32 s18, s18, s19
	s_mul_hi_u32 s18, s19, s18
	s_add_i32 s19, s19, s18
	s_mul_hi_u32 s18, s16, s19
	s_mul_i32 s19, s18, s20
	s_mul_i32 s45, s48, s13
	s_sub_i32 s16, s16, s19
	s_sub_i32 s33, s3, s45
	s_add_i32 s3, s12, 63
	s_add_i32 s19, s18, 1
	s_sub_i32 s21, s16, s20
	s_cmp_ge_u32 s16, s20
	s_cselect_b32 s18, s19, s18
	s_cselect_b32 s16, s21, s16
	s_add_i32 s19, s18, 1
	s_cmp_ge_u32 s16, s20
	s_cselect_b32 s16, s19, s18
	s_xor_b32 s16, s16, s17
	s_sub_i32 s20, s16, s17
	s_abs_i32 s21, s20
	v_cvt_f32_u32_e32 v1, s21
	s_sub_i32 s23, 0, s21
	s_abs_i32 s22, s33
	s_xor_b32 s20, s33, s20
	v_rcp_iflag_f32_e32 v1, v1
	s_ashr_i32 s20, s20, 31
	s_load_dwordx2 s[28:29], s[0:1], 0x80
	s_load_dwordx4 s[16:19], s[0:1], 0x70
	v_mov_b32_e32 v49, 0
	v_mul_f32_e32 v1, 0x4f7ffffe, v1
	v_cvt_u32_f32_e32 v1, v1
	v_or_b32_e32 v64, 64, v63
	s_mul_hi_i32 s51, s48, s13
	v_lshrrev_b32_e32 v62, 3, v58
	v_readfirstlane_b32 s24, v1
	s_mul_i32 s23, s23, s24
	s_mul_hi_u32 s23, s24, s23
	s_add_i32 s24, s24, s23
	s_mul_hi_u32 s23, s22, s24
	s_mul_i32 s24, s23, s21
	s_sub_i32 s22, s22, s24
	s_add_i32 s24, s23, 1
	s_sub_i32 s25, s22, s21
	s_cmp_ge_u32 s22, s21
	s_cselect_b32 s23, s24, s23
	s_cselect_b32 s22, s25, s22
	s_add_i32 s24, s23, 1
	s_cmp_ge_u32 s22, s21
	s_cselect_b32 s21, s24, s23
	s_xor_b32 s21, s21, s20
	s_sub_i32 s52, s21, s20
	s_ashr_i32 s20, s3, 31
	s_lshr_b32 s20, s20, 26
	s_add_i32 s3, s3, s20
	s_ashr_i32 s3, s3, 6
	s_lshl_b32 s30, s2, 4
	s_mul_i32 s50, s48, s3
	v_and_b32_e32 v1, 15, v0
	s_cmp_lt_i32 s12, 64
	v_lshlrev_b32_e32 v61, 3, v0
	s_waitcnt lgkmcnt(0)
	s_mul_i32 s17, s48, s17
	s_mul_hi_u32 s44, s48, s16
	s_mul_i32 s34, s48, s16
	v_mov_b32_e32 v48, v49
	v_mov_b32_e32 v51, v49
	;; [unrolled: 1-line block ×7, first 2 shown]
	s_cbranch_scc1 .LBB528_18
; %bb.1:
	s_ashr_i32 s24, s48, 31
	s_ashr_i32 s54, s33, 31
	s_add_u32 s2, s45, s33
	s_addc_u32 s3, s51, s54
	s_mul_i32 s3, s12, s3
	s_mul_hi_u32 s20, s12, s2
	s_add_i32 s39, s20, s3
	s_mul_i32 s38, s12, s2
	s_lshl_b64 s[2:3], s[38:39], 8
	v_and_b32_e32 v66, 56, v61
	s_add_u32 s20, s6, s2
	v_lshl_or_b32 v65, v59, 3, v62
	v_lshlrev_b32_e32 v3, 1, v66
	s_addc_u32 s2, s7, s3
	v_lshl_or_b32 v67, v65, 8, v3
	s_and_b32 s21, s2, 0xffff
	s_mov_b32 s23, 0x20000
	s_movk_i32 s22, 0x4000
	s_movk_i32 s2, 0x80
	v_or_b32_e32 v68, 0x2000, v67
	buffer_load_dwordx4 v[4:7], v67, s[20:23], 0 offen
	buffer_load_dwordx4 v[8:11], v67, s[20:23], s2 offen
	;; [unrolled: 1-line block ×4, first 2 shown]
	v_lshlrev_b32_e32 v20, 3, v65
	v_and_or_b32 v22, v0, 7, v20
	v_and_b32_e32 v20, 0x78, v20
	v_lshlrev_b32_e32 v22, 4, v22
	v_xor_b32_e32 v69, v22, v20
	v_mul_lo_u32 v21, v65, s15
	v_or_b32_e32 v70, 0x1000, v69
	s_cmpk_eq_i32 s15, 0x80
	s_mov_b32 s53, s14
	v_xor_b32_e32 v20, 8, v69
	v_xor_b32_e32 v22, 8, v70
	s_cselect_b64 s[2:3], -1, 0
	s_cmpk_lg_i32 s15, 0x80
	s_waitcnt vmcnt(3)
	ds_write_b64 v69, v[4:5] offset:16384
	ds_write_b64 v20, v[6:7] offset:16384
	s_waitcnt vmcnt(2)
	ds_write_b64 v69, v[8:9] offset:24576
	ds_write_b64 v20, v[10:11] offset:24576
	;; [unrolled: 3-line block ×4, first 2 shown]
	v_lshl_add_u32 v4, v21, 1, v66
	s_cbranch_scc0 .LBB528_3
; %bb.2:
	v_lshlrev_b32_e32 v6, 1, v4
	v_add_lshl_u32 v5, v4, s15, 1
	s_lshl_b32 s22, s15, 7
	s_load_dwordx2 s[40:41], s[0:1], 0x20
	v_lshl_or_b32 v3, v65, 9, v3
	s_cbranch_execz .LBB528_4
	s_branch .LBB528_5
.LBB528_3:
                                        ; implicit-def: $vgpr5
                                        ; implicit-def: $vgpr6
                                        ; implicit-def: $sgpr22
	s_load_dwordx2 s[40:41], s[0:1], 0x20
	v_lshl_or_b32 v3, v65, 9, v3
.LBB528_4:
	v_or_b32_e32 v5, 0x100, v3
	s_movk_i32 s22, 0x4000
	v_mov_b32_e32 v6, v3
.LBB528_5:
	s_mul_hi_u32 s0, s14, s12
	s_mul_i32 s1, s49, s12
	s_add_i32 s0, s0, s1
	s_mul_i32 s1, s14, s12
	s_mul_i32 s20, s1, s24
	s_mul_hi_u32 s21, s1, s48
	s_add_i32 s20, s21, s20
	s_mul_i32 s0, s0, s48
	s_add_i32 s20, s20, s0
	s_mul_i32 s1, s1, s48
	s_ashr_i32 s55, s52, 31
	s_add_u32 s0, s1, s52
	s_addc_u32 s1, s20, s55
	s_lshl_b64 s[0:1], s[0:1], 8
	s_add_u32 s20, s4, s0
	s_addc_u32 s0, s5, s1
	s_and_b32 s21, s0, 0xffff
	s_movk_i32 s56, 0x80
	buffer_load_dwordx4 v[8:11], v6, s[20:23], 0 offen
	buffer_load_dwordx4 v[12:15], v6, s[20:23], s56 offen
	buffer_load_dwordx4 v[16:19], v5, s[20:23], 0 offen
	buffer_load_dwordx4 v[20:23], v5, s[20:23], s56 offen
	v_and_b32_e32 v5, 6, v0
	s_mul_i32 s0, s24, s12
	s_mul_hi_u32 s1, s48, s12
	v_lshlrev_b32_e32 v7, 2, v1
	v_lshlrev_b32_e32 v24, 3, v1
	v_xor_b32_e32 v26, v65, v5
	v_and_b32_e32 v6, 1, v0
	s_mul_i32 s24, s24, s16
	v_lshl_or_b32 v24, v63, 5, v24
	v_xor_b32_e32 v27, v63, v7
	v_lshlrev_b32_e32 v26, 2, v26
	s_add_i32 s61, s1, s0
	s_add_i32 s0, s44, s17
	v_or_b32_e32 v71, 0x9000, v24
	v_or_b32_e32 v72, 0x9800, v24
	v_lshlrev_b32_e32 v24, 1, v27
	v_xor_b32_e32 v27, 0x440, v26
	v_cmp_eq_u32_e32 vcc, 0, v6
	s_add_i32 s35, s0, s24
	s_mul_i32 s0, s33, s19
	s_mul_hi_u32 s1, s33, s18
	v_cndmask_b32_e32 v6, v27, v26, vcc
	s_add_i32 s0, s1, s0
	s_mul_i32 s1, s54, s18
	s_mov_b32 s59, 0x1000504
	v_lshlrev_b32_e32 v25, 8, v1
	s_mov_b32 s22, 0x8000
	v_xor_b32_e32 v7, v64, v7
	v_lshl_or_b32 v5, v5, 10, v6
	s_add_i32 s1, s0, s1
	s_lshl_b64 s[20:21], s[34:35], 2
	s_mov_b32 s60, 0x3020706
	v_lshlrev_b32_e32 v7, 1, v7
	v_or3_b32 v73, v24, v25, s22
	v_xor_b32_e32 v6, 8, v5
	v_xor_b32_e32 v24, 24, v5
	;; [unrolled: 1-line block ×4, first 2 shown]
	s_mul_i32 s0, s33, s18
	s_add_u32 s20, s10, s20
	v_or3_b32 v74, v7, v25, s22
	v_xor_b32_e32 v7, 16, v5
	v_xor_b32_e32 v25, 32, v5
	;; [unrolled: 1-line block ×3, first 2 shown]
	v_add_u32_e32 v6, 0x80, v6
	v_add_u32_e32 v24, 0x80, v24
	;; [unrolled: 1-line block ×4, first 2 shown]
	s_addc_u32 s21, s11, s21
	s_lshl_b64 s[0:1], s[0:1], 2
	s_add_u32 s42, s20, s0
	s_movk_i32 s0, 0xf8
	s_addc_u32 s43, s21, s1
	s_ashr_i32 s31, s30, 31
	s_lshl_b32 s26, s15, 7
	v_mov_b32_e32 v47, 0
	s_mul_i32 s57, s48, s12
	s_mov_b32 s58, 0
	v_add_u32_e32 v85, v45, v2
	s_mov_b32 s35, 0x7060302
	s_mov_b32 s63, 0
	v_mov_b32_e32 v52, v47
	v_mov_b32_e32 v53, v47
	;; [unrolled: 1-line block ×6, first 2 shown]
	s_waitcnt vmcnt(1)
	v_perm_b32 v29, v8, v16, s59
	s_waitcnt vmcnt(0)
	v_perm_b32 v30, v12, v20, s59
	v_perm_b32 v8, v8, v16, s60
	;; [unrolled: 1-line block ×15, first 2 shown]
	ds_write2st64_b32 v5, v29, v30 offset1:32
	ds_write2st64_b32 v6, v8, v12 offset1:32
	ds_write2st64_b32 v7, v16, v20 offset0:1 offset1:33
	ds_write2st64_b32 v24, v9, v13 offset0:1 offset1:33
	;; [unrolled: 1-line block ×6, first 2 shown]
	v_or_b32_e32 v5, v45, v1
	v_lshlrev_b32_e32 v5, 3, v5
	v_lshrrev_b32_e32 v7, 5, v58
	v_and_or_b32 v7, v5, s0, v7
	v_lshlrev_b32_e32 v7, 4, v7
	v_lshrrev_b32_e32 v6, 2, v58
	v_lshlrev_b32_e32 v9, 11, v59
	v_and_b32_e32 v5, 0x78, v5
	v_or_b32_e32 v12, 32, v7
	v_and_b32_e32 v8, 12, v6
	v_and_b32_e32 v6, 0x1000, v9
	v_lshrrev_b32_e32 v11, 1, v58
	v_xor_b32_e32 v12, v12, v5
	v_and_b32_e32 v11, 8, v11
	v_or_b32_e32 v12, v12, v6
	v_xor_b32_e32 v10, v7, v5
	v_xor_b32_e32 v77, v12, v11
	v_or_b32_e32 v12, 64, v7
	v_or_b32_e32 v7, 0x60, v7
	;; [unrolled: 1-line block ×3, first 2 shown]
	v_xor_b32_e32 v12, v12, v5
	v_xor_b32_e32 v5, v7, v5
	v_xor_b32_e32 v75, v10, v11
	v_and_b32_e32 v10, 0x78, v61
	v_or_b32_e32 v5, v5, v6
	v_lshl_or_b32 v10, v60, 7, v10
	v_or_b32_e32 v12, v12, v6
	v_xor_b32_e32 v79, v5, v11
	v_lshlrev_b32_e32 v5, 1, v1
	v_or_b32_e32 v76, 0x9000, v10
	v_xor_b32_e32 v78, v12, v11
	v_or_b32_e32 v80, 0x9800, v10
	v_lshlrev_b32_e32 v10, 1, v4
	v_add_lshl_u32 v11, v4, s15, 1
	v_lshrrev_b32_e32 v4, 4, v0
	s_lshl_b64 s[0:1], s[30:31], 8
	v_or_b32_e32 v13, 1, v5
	s_add_u32 s0, s36, s0
	v_xor_b32_e32 v5, v4, v5
	v_xor_b32_e32 v13, v13, v4
	s_addc_u32 s1, s37, s1
	v_lshlrev_b32_e32 v5, 3, v5
	v_lshlrev_b32_e32 v46, 8, v4
	;; [unrolled: 1-line block ×3, first 2 shown]
	v_lshrrev_b32_e32 v17, 1, v0
	v_or3_b32 v81, v5, v46, s22
	v_or3_b32 v82, v4, v46, s22
	v_lshl_add_u64 v[4:5], s[0:1], 0, v[46:47]
	v_lshlrev_b32_e32 v46, 4, v1
	s_movk_i32 s0, 0xff
	v_lshlrev_b32_e32 v16, 3, v59
	v_and_b32_e32 v17, 24, v17
	v_lshl_add_u64 v[54:55], v[4:5], 0, v[46:47]
	v_and_b32_e32 v5, 8, v0
	v_cmp_lt_u32_e32 vcc, s0, v0
	v_xor_b32_e32 v18, v16, v17
	v_or_b32_e32 v19, 0x440, v18
	v_cndmask_b32_e64 v15, 0, 1, vcc
	v_cmp_eq_u32_e32 vcc, 0, v5
	v_or_b32_e32 v21, 64, v17
	v_xor_b32_e32 v21, v16, v21
	v_cndmask_b32_e32 v5, v19, v18, vcc
	v_or_b32_e32 v19, 32, v17
	v_or_b32_e32 v17, 0x60, v17
	v_xor_b32_e32 v19, v16, v19
	v_xor_b32_e32 v16, v16, v17
	v_or_b32_e32 v20, 0x440, v19
	v_xor_b32_e32 v22, 0x440, v21
	v_xor_b32_e32 v17, 0x440, v16
	v_and_b32_e32 v4, 7, v0
	v_cndmask_b32_e32 v19, v20, v19, vcc
	v_cndmask_b32_e32 v21, v22, v21, vcc
	;; [unrolled: 1-line block ×3, first 2 shown]
	v_or_b32_e32 v6, s30, v1
	v_lshlrev_b32_e32 v13, 3, v4
	v_or_b32_e32 v5, v5, v9
	v_or_b32_e32 v19, v19, v9
	;; [unrolled: 1-line block ×4, first 2 shown]
	v_ashrrev_i32_e32 v7, 31, v6
	v_lshlrev_b32_e32 v15, 13, v15
	v_xor_b32_e32 v5, v5, v13
	v_xor_b32_e32 v19, v19, v13
	;; [unrolled: 1-line block ×4, first 2 shown]
	v_lshl_add_u64 v[6:7], v[6:7], 1, s[8:9]
	v_or_b32_e32 v12, 0x100, v3
	v_lshlrev_b32_e32 v14, 7, v4
	v_or_b32_e32 v4, v8, v45
	v_add_u32_e32 v18, v15, v5
	v_add_u32_e32 v20, v15, v19
	;; [unrolled: 1-line block ×4, first 2 shown]
	v_or3_b32 v8, v45, v8, 64
	v_add_u32_e32 v5, 0x2000, v5
	v_add_u32_e32 v15, 0x2000, v19
	;; [unrolled: 1-line block ×4, first 2 shown]
	v_lshlrev_b32_e32 v46, 8, v63
	v_cndmask_b32_e64 v83, v10, v3, s[2:3]
	v_cndmask_b32_e64 v84, v11, v12, s[2:3]
	v_lshl_add_u64 v[56:57], v[6:7], 0, v[46:47]
	s_add_i32 s31, s57, 63
	s_movk_i32 s22, 0x4000
	v_lshlrev_b32_e32 v86, 2, v4
	v_add_u32_e32 v87, v18, v14
	v_add_u32_e32 v88, v20, v14
	v_add_u32_e32 v89, v22, v14
	v_add_u32_e32 v90, v13, v14
	v_lshlrev_b32_e32 v91, 2, v8
	v_add_u32_e32 v92, v5, v14
	v_add_u32_e32 v93, v15, v14
	;; [unrolled: 1-line block ×4, first 2 shown]
	v_mov_b32_e32 v46, v47
	s_waitcnt lgkmcnt(0)
	s_barrier
.LBB528_6:                              ; =>This Inner Loop Header: Depth=1
	s_add_i32 s62, s63, 1
	s_cmp_lt_i32 s62, s47
	s_mov_b64 s[24:25], 0
	s_cselect_b64 s[2:3], -1, 0
	s_cmp_ge_i32 s62, s47
	s_mov_b64 s[20:21], 0
	s_cbranch_scc1 .LBB528_8
; %bb.7:                                ;   in Loop: Header=BB528_6 Depth=1
	s_add_i32 s0, s58, 64
	s_add_u32 s0, s38, s0
	s_addc_u32 s1, s39, 0
	s_lshl_b64 s[0:1], s[0:1], 8
	s_add_u32 s20, s6, s0
	s_addc_u32 s21, s7, s1
.LBB528_8:                              ;   in Loop: Header=BB528_6 Depth=1
	v_cndmask_b32_e64 v2, 0, 1, s[2:3]
	v_cmp_ne_u32_e64 s[0:1], 1, v2
	s_andn2_b64 vcc, exec, s[2:3]
	s_cbranch_vccnz .LBB528_10
; %bb.9:                                ;   in Loop: Header=BB528_6 Depth=1
	s_add_i32 s2, s58, 64
	s_add_u32 s2, s57, s2
	s_addc_u32 s3, s61, 0
	s_mul_i32 s24, s2, s49
	s_mul_hi_u32 s25, s2, s53
	s_add_i32 s24, s25, s24
	s_mul_i32 s3, s3, s53
	s_add_i32 s24, s24, s3
	s_mul_i32 s2, s2, s53
	s_add_u32 s2, s2, s52
	s_addc_u32 s3, s24, s55
	s_lshl_b64 s[2:3], s[2:3], 8
	s_add_u32 s24, s4, s2
	s_addc_u32 s25, s5, s3
.LBB528_10:                             ;   in Loop: Header=BB528_6 Depth=1
	v_perm_b32 v3, v53, v52, s35
	v_perm_b32 v2, v47, v46, s35
	;; [unrolled: 1-line block ×4, first 2 shown]
	ds_write_b64 v71, v[2:3]
	ds_write_b64 v72, v[4:5]
	;; [unrolled: 1-line block ×4, first 2 shown]
	s_waitcnt lgkmcnt(0)
	s_barrier
	ds_read_b64 v[10:11], v75 offset:16384
	ds_read_b64 v[12:13], v77 offset:16384
	ds_read2st64_b64 v[2:5], v76 offset1:1
	ds_read2st64_b64 v[6:9], v76 offset0:2 offset1:3
	ds_read_b64 v[14:15], v78 offset:16384
	s_waitcnt lgkmcnt(2)
	v_mfma_f32_16x16x16_bf16 a[0:3], v[10:11], v[2:3], 0
	ds_read_b64 v[2:3], v79 offset:16384
	s_add_i32 s2, s58, 63
	s_mul_i32 s3, s2, s29
	v_mfma_f32_16x16x16_bf16 a[0:3], v[12:13], v[4:5], a[0:3]
	s_mul_hi_u32 s27, s2, s28
	s_add_i32 s3, s27, s3
	s_mul_i32 s2, s2, s28
	s_waitcnt lgkmcnt(1)
	v_mfma_f32_16x16x16_bf16 a[0:3], v[14:15], v[6:7], a[0:3]
	s_lshl_b64 s[2:3], s[2:3], 2
	s_add_u32 s2, s42, s2
	s_addc_u32 s3, s43, s3
	s_waitcnt lgkmcnt(0)
	v_mfma_f32_16x16x16_bf16 a[0:3], v[2:3], v[8:9], a[0:3]
	s_and_b64 vcc, exec, s[0:1]
	v_mov_b32_e32 v98, 0
	v_mov_b32_e32 v97, 0
	;; [unrolled: 1-line block ×19, first 2 shown]
	s_cbranch_vccnz .LBB528_12
; %bb.11:                               ;   in Loop: Header=BB528_6 Depth=1
	s_and_b32 s21, s21, 0xffff
	buffer_load_dwordx4 v[14:17], v67, s[20:23], 0 offen
	buffer_load_dwordx4 v[10:13], v67, s[20:23], s56 offen
	;; [unrolled: 1-line block ×4, first 2 shown]
	v_mov_b32_e32 v97, v69
	v_mov_b32_e32 v96, v70
.LBB528_12:                             ;   in Loop: Header=BB528_6 Depth=1
	v_add_u32_e32 v24, s58, v85
	v_ashrrev_i32_e32 v18, 31, v24
	v_mul_lo_u32 v20, v18, s28
	v_mul_lo_u32 v21, v24, s29
	v_mad_u64_u32 v[18:19], s[20:21], v24, s28, 0
	v_add3_u32 v19, v19, v21, v20
	v_add_u32_e32 v20, 1, v24
	v_ashrrev_i32_e32 v21, 31, v20
	v_mul_lo_u32 v22, v21, s28
	v_mul_lo_u32 v23, v20, s29
	v_mad_u64_u32 v[20:21], s[20:21], v20, s28, 0
	v_add3_u32 v21, v21, v23, v22
	v_add_u32_e32 v22, 2, v24
	v_ashrrev_i32_e32 v23, 31, v22
	v_mul_lo_u32 v25, v23, s28
	v_mul_lo_u32 v26, v22, s29
	v_mad_u64_u32 v[22:23], s[20:21], v22, s28, 0
	v_add_u32_e32 v24, 3, v24
	v_add3_u32 v23, v23, v26, v25
	v_ashrrev_i32_e32 v25, 31, v24
	v_mul_lo_u32 v28, v25, s28
	v_mul_lo_u32 v29, v24, s29
	v_mad_u64_u32 v[24:25], s[20:21], v24, s28, 0
	s_add_u32 s20, s38, s58
	s_addc_u32 s21, s39, 0
	s_lshl_b64 s[20:21], s[20:21], 8
	v_lshl_add_u64 v[18:19], v[18:19], 2, s[42:43]
	v_lshl_add_u64 v[26:27], v[56:57], 0, s[20:21]
	;; [unrolled: 1-line block ×3, first 2 shown]
	global_load_ushort v42, v[26:27], off
	global_load_ushort v43, v[26:27], off offset:256
	global_load_ushort v44, v[26:27], off offset:512
	;; [unrolled: 1-line block ×3, first 2 shown]
	v_add3_u32 v25, v25, v29, v28
	global_load_dword v101, v[18:19], off
	v_lshl_add_u64 v[22:23], v[22:23], 2, s[42:43]
	v_lshl_add_u64 v[18:19], v[24:25], 2, s[42:43]
	global_load_dword v102, v[20:21], off
	global_load_dword v103, v[22:23], off
	global_load_dword v104, v[18:19], off
	s_load_dword s2, s[2:3], 0x0
	ds_read2st64_b64 v[26:29], v80 offset1:1
	ds_read2st64_b64 v[32:35], v80 offset0:2 offset1:3
	ds_read_b64 v[30:31], v75 offset:24576
	ds_read_b64 v[36:37], v77 offset:24576
	;; [unrolled: 1-line block ×4, first 2 shown]
	s_waitcnt lgkmcnt(0)
	v_mfma_f32_16x16x16_bf16 a[0:3], v[30:31], v[26:27], a[0:3]
	v_mov_b32_e32 v99, 0
	v_mov_b32_e32 v18, 0
	v_mov_b32_e32 v19, 0
	v_mfma_f32_16x16x16_bf16 a[0:3], v[36:37], v[28:29], a[0:3]
	v_mov_b32_e32 v20, 0
	v_mov_b32_e32 v21, 0
	v_mov_b32_e32 v22, 0
	;; [unrolled: 4-line block ×4, first 2 shown]
	v_mov_b32_e32 v29, 0
	v_mov_b32_e32 v30, 0
	;; [unrolled: 1-line block ×4, first 2 shown]
	v_accvgpr_read_b32 v37, a1
	v_accvgpr_read_b32 v35, a3
	;; [unrolled: 1-line block ×4, first 2 shown]
	s_and_b64 vcc, exec, s[0:1]
	s_waitcnt vmcnt(7)
	v_lshlrev_b32_e32 v38, 16, v42
	s_waitcnt vmcnt(6)
	v_lshlrev_b32_e32 v39, 16, v43
	s_waitcnt vmcnt(5)
	v_lshlrev_b32_e32 v40, 16, v44
	s_waitcnt vmcnt(4)
	v_lshlrev_b32_e32 v41, 16, v100
	v_pk_add_f32 v[36:37], v[38:39], v[36:37] neg_lo:[0,1] neg_hi:[0,1]
	s_waitcnt vmcnt(3)
	v_sub_f32_e32 v33, s2, v101
	v_exp_f32_e32 v42, v33
	s_waitcnt vmcnt(2)
	v_sub_f32_e32 v33, s2, v102
	s_waitcnt vmcnt(1)
	v_sub_f32_e32 v44, s2, v103
	;; [unrolled: 2-line block ×3, first 2 shown]
	v_exp_f32_e32 v43, v33
	v_exp_f32_e32 v100, v44
	;; [unrolled: 1-line block ×3, first 2 shown]
	v_pk_add_f32 v[34:35], v[40:41], v[34:35] neg_lo:[0,1] neg_hi:[0,1]
	v_pk_mul_f32 v[36:37], v[42:43], v[36:37]
	v_mov_b32_e32 v33, 0
	v_pk_mul_f32 v[34:35], v[100:101], v[34:35]
	s_nop 0
	v_perm_b32 v35, v35, v34, s35
	v_perm_b32 v34, v37, v36, s35
	ds_write_b64 v72, v[34:35]
	s_cbranch_vccnz .LBB528_14
; %bb.13:                               ;   in Loop: Header=BB528_6 Depth=1
	s_and_b32 s25, s25, 0xffff
	s_mov_b32 s27, s23
	buffer_load_dwordx4 v[30:33], v83, s[24:27], 0 offen
	buffer_load_dwordx4 v[22:25], v83, s[24:27], s56 offen
	;; [unrolled: 1-line block ×4, first 2 shown]
	v_mov_b32_e32 v98, v66
	v_mov_b32_e32 v99, v65
.LBB528_14:                             ;   in Loop: Header=BB528_6 Depth=1
	s_waitcnt lgkmcnt(0)
	s_barrier
	ds_read_b64 v[34:35], v87
	ds_read_b64 v[40:41], v88
	ds_read2st64_b64 v[36:39], v80 offset1:1
	ds_read2st64_b64 v[100:103], v80 offset0:2 offset1:3
	ds_read_b64 v[42:43], v89
	ds_read_b64 v[108:109], v90
	s_add_i32 s3, s50, s63
	s_mul_hi_i32 s21, s3, s13
	s_mul_i32 s3, s3, s13
	s_waitcnt lgkmcnt(3)
	v_mfma_f32_16x16x16_bf16 a[0:3], v[34:35], v[36:37], 0
	ds_read_b64 v[34:35], v92
	s_add_u32 s20, s3, s33
	s_addc_u32 s21, s21, s54
	s_add_i32 s3, s31, s58
	v_mfma_f32_16x16x16_bf16 a[0:3], v[40:41], v[38:39], a[0:3]
	ds_read_b64 v[40:41], v93
	s_lshl_b64 s[20:21], s[20:21], 15
	s_mul_hi_i32 s25, s3, s13
	s_mul_i32 s3, s3, s13
	s_add_u32 s24, s3, s33
	s_addc_u32 s25, s25, s54
	s_lshl_b64 s[24:25], s[24:25], 9
	s_add_u32 s24, s40, s24
	s_waitcnt lgkmcnt(1)
	v_mfma_f32_16x16x16_bf16 a[4:7], v[34:35], v[36:37], 0
	s_addc_u32 s25, s41, s25
	s_and_b64 vcc, exec, s[0:1]
	v_mfma_f32_16x16x16_bf16 a[0:3], v[42:43], v[100:101], a[0:3]
	ds_read_b64 v[42:43], v94
	ds_read_b64 v[110:111], v95
	global_load_dwordx4 v[34:37], v91, s[24:25]
	s_waitcnt lgkmcnt(2)
	v_mfma_f32_16x16x16_bf16 a[4:7], v[40:41], v[38:39], a[4:7]
	global_load_dwordx4 v[38:41], v86, s[24:25]
	ds_read_b64 v[104:105], v81
	ds_read_b64 v[106:107], v82
	s_waitcnt lgkmcnt(3)
	v_mfma_f32_16x16x16_bf16 a[8:11], v[42:43], v[100:101], a[4:7]
	v_lshl_add_u64 v[42:43], v[54:55], 0, s[20:21]
	s_waitcnt lgkmcnt(0)
	global_store_dwordx4 v[42:43], v[104:107], off
	v_mfma_f32_16x16x16_bf16 a[4:7], v[108:109], v[102:103], a[0:3]
	s_waitcnt vmcnt(2)
	v_mov_b32_e32 v44, v37
	v_mfma_f32_16x16x16_bf16 a[0:3], v[110:111], v[102:103], a[8:11]
	v_mov_b32_e32 v43, v36
	v_mov_b32_e32 v42, v35
	s_cbranch_vccnz .LBB528_16
; %bb.15:                               ;   in Loop: Header=BB528_6 Depth=1
	v_lshrrev_b32_e32 v35, 3, v98
	v_and_b32_e32 v35, 6, v35
	v_xor_b32_e32 v36, v35, v99
	v_lshlrev_b32_e32 v36, 2, v36
	v_and_b32_e32 v37, 8, v98
	v_xor_b32_e32 v98, 0x440, v36
	v_cmp_eq_u32_e32 vcc, 0, v37
	v_perm_b32 v37, v22, v18, s59
	s_nop 0
	v_cndmask_b32_e32 v36, v98, v36, vcc
	v_lshl_or_b32 v35, v35, 10, v36
	v_perm_b32 v36, v30, v26, s59
	s_barrier
	ds_write2st64_b32 v35, v36, v37 offset1:32
	v_xor_b32_e32 v36, 8, v35
	v_perm_b32 v26, v30, v26, s60
	v_perm_b32 v18, v22, v18, s60
	v_add_u32_e32 v22, 0x80, v36
	ds_write2st64_b32 v22, v26, v18 offset1:32
	v_xor_b32_e32 v18, 16, v35
	v_perm_b32 v22, v31, v27, s59
	v_perm_b32 v26, v23, v19, s59
	ds_write2st64_b32 v18, v22, v26 offset0:1 offset1:33
	v_xor_b32_e32 v18, 24, v35
	v_perm_b32 v22, v31, v27, s60
	v_perm_b32 v19, v23, v19, s60
	v_add_u32_e32 v18, 0x80, v18
	ds_write2st64_b32 v18, v22, v19 offset0:1 offset1:33
	v_xor_b32_e32 v18, 32, v35
	v_perm_b32 v19, v32, v28, s59
	v_perm_b32 v22, v24, v20, s59
	ds_write2st64_b32 v18, v19, v22 offset0:2 offset1:34
	v_xor_b32_e32 v18, 40, v35
	v_perm_b32 v19, v32, v28, s60
	v_perm_b32 v20, v24, v20, s60
	v_add_u32_e32 v18, 0x80, v18
	ds_write2st64_b32 v18, v19, v20 offset0:2 offset1:34
	;; [unrolled: 9-line block ×3, first 2 shown]
	ds_write_b64 v97, v[14:15] offset:16384
	v_xor_b32_e32 v14, 8, v97
	ds_write_b64 v14, v[16:17] offset:16384
	ds_write_b64 v97, v[10:11] offset:24576
	;; [unrolled: 1-line block ×4, first 2 shown]
	v_xor_b32_e32 v6, 8, v96
	ds_write_b64 v6, v[8:9] offset:16384
	ds_write_b64 v96, v[2:3] offset:24576
	;; [unrolled: 1-line block ×3, first 2 shown]
.LBB528_16:                             ;   in Loop: Header=BB528_6 Depth=1
	v_exp_f32_e32 v10, s2
	s_waitcnt vmcnt(1)
	v_exp_f32_e32 v12, v38
	v_exp_f32_e32 v13, v39
	;; [unrolled: 1-line block ×4, first 2 shown]
	v_accvgpr_read_b32 v2, a4
	v_accvgpr_read_b32 v3, a5
	v_pk_mul_f32 v[12:13], v[10:11], v[12:13] op_sel_hi:[0,1]
	v_pk_fma_f32 v[46:47], v[46:47], v[12:13], v[2:3]
	v_exp_f32_e32 v12, v34
	v_exp_f32_e32 v13, v42
	v_pk_mul_f32 v[2:3], v[10:11], v[14:15] op_sel_hi:[0,1]
	v_exp_f32_e32 v14, v43
	v_exp_f32_e32 v15, v44
	v_accvgpr_read_b32 v4, a6
	v_accvgpr_read_b32 v5, a7
	;; [unrolled: 1-line block ×5, first 2 shown]
	v_pk_fma_f32 v[52:53], v[52:53], v[2:3], v[4:5]
	v_pk_mul_f32 v[2:3], v[10:11], v[12:13] op_sel_hi:[0,1]
	v_accvgpr_read_b32 v8, a2
	v_pk_fma_f32 v[50:51], v[50:51], v[2:3], v[6:7]
	v_pk_mul_f32 v[2:3], v[10:11], v[14:15] op_sel_hi:[0,1]
	s_add_i32 s58, s58, 64
	s_cmp_eq_u32 s47, s62
	v_pk_fma_f32 v[48:49], v[48:49], v[2:3], v[8:9]
	s_cbranch_scc1 .LBB528_18
; %bb.17:                               ;   in Loop: Header=BB528_6 Depth=1
	s_mov_b32 s63, s62
	s_branch .LBB528_6
.LBB528_18:
	s_lshl_b32 s40, s47, 6
	s_sub_i32 s41, s12, s40
	s_cmp_gt_i32 s41, 0
	s_cbranch_scc0 .LBB528_75
; %bb.19:
	s_ashr_i32 s35, s48, 31
	s_ashr_i32 s2, s40, 31
	s_cmpk_lg_i32 s15, 0x80
	s_cselect_b64 s[26:27], -1, 0
	s_and_b64 vcc, exec, s[26:27]
	s_cbranch_vccz .LBB528_21
; %bb.20:
	s_mul_i32 s1, s48, s12
	s_mul_hi_i32 s0, s48, s12
	s_add_u32 s1, s1, s40
	s_addc_u32 s0, s0, s2
	s_mul_i32 s3, s1, s49
	s_mul_hi_u32 s20, s1, s14
	s_add_i32 s3, s20, s3
	s_mul_i32 s0, s0, s14
	s_add_i32 s3, s3, s0
	s_mul_i32 s1, s1, s14
	s_ashr_i32 s0, s52, 31
	s_add_u32 s38, s1, s52
	s_addc_u32 s39, s3, s0
	s_cbranch_execz .LBB528_22
	s_branch .LBB528_23
.LBB528_21:
                                        ; implicit-def: $sgpr38_sgpr39
.LBB528_22:
	s_mul_hi_i32 s0, s48, s14
	s_mul_i32 s48, s48, s14
	s_ashr_i32 s1, s52, 31
	s_add_u32 s3, s48, s52
	s_addc_u32 s0, s0, s1
	s_mul_i32 s1, s3, s46
	s_mul_hi_u32 s14, s3, s12
	s_add_i32 s1, s14, s1
	s_mul_i32 s0, s0, s12
	s_add_i32 s1, s1, s0
	s_mul_i32 s3, s3, s12
	s_add_u32 s38, s3, s40
	s_addc_u32 s39, s1, s2
.LBB528_23:
	s_add_i32 s3, s50, s47
	s_ashr_i32 s14, s33, 31
	s_add_u32 s0, s45, s33
	s_addc_u32 s1, s51, s14
	s_mul_i32 s20, s0, s46
	s_mul_hi_u32 s21, s0, s12
	s_add_i32 s20, s21, s20
	s_mul_i32 s1, s1, s12
	s_add_i32 s20, s20, s1
	s_mul_i32 s0, s0, s12
	s_add_u32 s0, s0, s40
	s_addc_u32 s1, s20, s2
	s_mov_b32 s2, 0x7060302
	v_lshlrev_b32_e32 v6, 3, v1
	s_lshl_b64 s[24:25], s[0:1], 8
	v_perm_b32 v3, v53, v52, s2
	v_perm_b32 v2, v47, v46, s2
	v_perm_b32 v5, v49, v48, s2
	v_perm_b32 v4, v51, v50, s2
	v_lshlrev_b32_e32 v34, 2, v1
	v_lshl_or_b32 v6, v63, 5, v6
	s_add_u32 s0, s6, s24
	ds_write2st64_b64 v6, v[2:3], v[4:5] offset0:72 offset1:76
	v_xor_b32_e32 v6, v63, v34
	v_lshlrev_b32_e32 v7, 8, v1
	s_addc_u32 s1, s7, s25
	v_lshl_or_b32 v6, v6, 1, v7
	s_mul_hi_i32 s6, s3, s13
	s_mul_i32 s3, s3, s13
	ds_write_b64 v6, v[2:3] offset:32768
	v_xor_b32_e32 v2, v64, v34
	s_add_u32 s2, s3, s33
	v_lshl_or_b32 v2, v2, 1, v7
	s_addc_u32 s3, s6, s14
	v_lshlrev_b32_e32 v3, 1, v1
	ds_write_b64 v2, v[4:5] offset:32768
	v_lshrrev_b32_e32 v2, 4, v0
	s_ashr_i32 s31, s30, 31
	s_lshl_b64 s[2:3], s[2:3], 15
	v_or_b32_e32 v4, 1, v3
	s_add_u32 s6, s36, s2
	v_xor_b32_e32 v3, v2, v3
	v_xor_b32_e32 v4, v4, v2
	v_lshlrev_b32_e32 v6, 8, v2
	s_addc_u32 s7, s37, s3
	s_lshl_b64 s[2:3], s[30:31], 8
	v_lshl_or_b32 v2, v3, 3, v6
	v_lshl_or_b32 v4, v4, 3, v6
	s_waitcnt lgkmcnt(0)
	s_barrier
	s_add_u32 s2, s6, s2
	ds_read_b64 v[2:3], v2 offset:32768
	ds_read_b64 v[4:5], v4 offset:32768
	s_addc_u32 s3, s7, s3
	v_mov_b32_e32 v7, 0
	s_cmp_lg_u32 s41, 64
	v_lshl_add_u64 v[8:9], s[2:3], 0, v[6:7]
	v_lshlrev_b32_e32 v6, 4, v1
	s_cselect_b64 s[6:7], -1, 0
	v_lshl_or_b32 v35, v59, 3, v62
	s_mov_b32 s20, 0
	v_lshl_add_u64 v[6:7], v[8:9], 0, v[6:7]
	v_or_b32_e32 v19, 32, v35
	v_and_b32_e32 v18, 56, v61
	s_and_b64 vcc, exec, s[6:7]
	s_waitcnt lgkmcnt(0)
	global_store_dwordx4 v[6:7], v[2:5], off
	s_cbranch_vccz .LBB528_29
; %bb.24:
	s_mov_b32 s21, s20
	s_mov_b32 s22, s20
	;; [unrolled: 1-line block ×3, first 2 shown]
	v_mov_b64_e32 v[6:7], s[20:21]
	v_mov_b64_e32 v[8:9], s[22:23]
	;; [unrolled: 1-line block ×3, first 2 shown]
	v_cmp_gt_i32_e32 vcc, s41, v35
	v_mov_b64_e32 v[4:5], v[8:9]
	s_and_saveexec_b64 s[2:3], vcc
	s_cbranch_execz .LBB528_26
; %bb.25:
	v_lshlrev_b32_e32 v2, 8, v35
	v_mov_b32_e32 v3, 0
	v_lshl_add_u64 v[4:5], s[0:1], 0, v[2:3]
	v_lshlrev_b32_e32 v2, 1, v18
	v_lshl_add_u64 v[10:11], v[4:5], 0, v[2:3]
	global_load_dwordx4 v[6:9], v[10:11], off
	global_load_dwordx4 v[2:5], v[10:11], off offset:128
.LBB528_26:
	s_or_b64 exec, exec, s[2:3]
	s_mov_b32 s21, s20
	s_mov_b32 s22, s20
	;; [unrolled: 1-line block ×3, first 2 shown]
	v_mov_b64_e32 v[14:15], s[20:21]
	v_mov_b64_e32 v[16:17], s[22:23]
	;; [unrolled: 1-line block ×3, first 2 shown]
	v_cmp_gt_i32_e32 vcc, s41, v19
	v_lshlrev_b32_e32 v20, 7, v19
	v_mov_b64_e32 v[12:13], v[16:17]
	s_and_saveexec_b64 s[2:3], vcc
	s_cbranch_execz .LBB528_28
; %bb.27:
	v_lshlrev_b32_e32 v10, 1, v20
	v_mov_b32_e32 v11, 0
	v_lshl_add_u64 v[12:13], s[0:1], 0, v[10:11]
	v_lshlrev_b32_e32 v10, 1, v18
	v_lshl_add_u64 v[22:23], v[12:13], 0, v[10:11]
	global_load_dwordx4 v[14:17], v[22:23], off
	global_load_dwordx4 v[10:13], v[22:23], off offset:128
.LBB528_28:
	s_or_b64 exec, exec, s[2:3]
	v_lshrrev_b32_e32 v21, 3, v18
	v_lshlrev_b32_e32 v22, 3, v35
	v_or_b32_e32 v21, v22, v21
	v_lshlrev_b32_e32 v21, 4, v21
	v_and_b32_e32 v22, 0x78, v22
	v_xor_b32_e32 v21, v21, v22
	s_branch .LBB528_31
.LBB528_29:
                                        ; implicit-def: $vgpr21
                                        ; implicit-def: $vgpr20
                                        ; implicit-def: $vgpr6_vgpr7_vgpr8_vgpr9
                                        ; implicit-def: $vgpr2_vgpr3_vgpr4_vgpr5
                                        ; implicit-def: $vgpr14_vgpr15_vgpr16_vgpr17
                                        ; implicit-def: $vgpr10_vgpr11_vgpr12_vgpr13
	s_cbranch_execz .LBB528_31
; %bb.30:
	s_waitcnt vmcnt(0)
	v_lshlrev_b32_e32 v2, 1, v18
	v_lshl_or_b32 v20, v35, 8, v2
	s_and_b32 s1, s1, 0xffff
	s_mov_b32 s3, 0x20000
	s_movk_i32 s2, 0x4000
	v_lshl_or_b32 v21, v19, 8, v2
	s_movk_i32 s13, 0x80
	buffer_load_dwordx4 v[6:9], v20, s[0:3], 0 offen
	buffer_load_dwordx4 v[2:5], v20, s[0:3], s13 offen
	buffer_load_dwordx4 v[14:17], v21, s[0:3], 0 offen
	buffer_load_dwordx4 v[10:13], v21, s[0:3], s13 offen
	v_lshrrev_b32_e32 v20, 3, v18
	v_lshlrev_b32_e32 v21, 3, v35
	v_or_b32_e32 v20, v21, v20
	v_lshlrev_b32_e32 v20, 4, v20
	v_and_b32_e32 v21, 0x78, v21
	v_xor_b32_e32 v21, v20, v21
	v_lshlrev_b32_e32 v20, 7, v19
.LBB528_31:
	s_lshl_b64 s[0:1], s[38:39], 8
	s_add_u32 s4, s4, s0
	s_movk_i32 s0, 0x1000
	v_and_or_b32 v19, v20, s0, v21
	s_waitcnt vmcnt(1)
	ds_write_b64 v21, v[6:7] offset:16384
	v_xor_b32_e32 v6, 8, v21
	s_addc_u32 s5, s5, s1
	ds_write_b64 v6, v[8:9] offset:16384
	s_waitcnt vmcnt(0)
	ds_write_b64 v21, v[2:3] offset:24576
	ds_write_b64 v6, v[4:5] offset:24576
	;; [unrolled: 1-line block ×3, first 2 shown]
	v_xor_b32_e32 v2, 8, v19
	s_add_i32 s0, s44, s17
	s_mul_i32 s35, s35, s16
	ds_write_b64 v2, v[16:17] offset:16384
	ds_write_b64 v19, v[10:11] offset:24576
	;; [unrolled: 1-line block ×3, first 2 shown]
	s_add_i32 s35, s0, s35
	s_mul_i32 s0, s33, s19
	s_mul_hi_u32 s1, s33, s18
	v_or_b32_e32 v2, v45, v1
	s_add_i32 s0, s1, s0
	s_mul_i32 s1, s14, s18
	v_lshlrev_b32_e32 v2, 3, v2
	v_lshrrev_b32_e32 v4, 5, v58
	s_movk_i32 s14, 0xf8
	v_and_or_b32 v4, v2, s14, v4
	v_lshlrev_b32_e32 v3, 11, v59
	v_lshlrev_b32_e32 v12, 4, v4
	v_and_b32_e32 v13, 0x78, v2
	v_and_b32_e32 v14, 0x1000, v3
	v_lshlrev_b32_e32 v3, 2, v0
	v_xor_b32_e32 v2, v12, v13
	v_lshrrev_b32_e32 v4, 1, v58
	v_and_b32_e32 v3, 60, v3
	v_or_b32_e32 v2, v2, v14
	v_and_b32_e32 v15, 8, v4
	v_xor_b32_e32 v26, v2, v15
	v_lshl_or_b32 v2, v60, 6, v3
	v_lshlrev_b32_e32 v19, 1, v2
	v_or_b32_e32 v2, 32, v12
	v_xor_b32_e32 v2, v2, v13
	s_waitcnt lgkmcnt(0)
	s_barrier
	ds_read_b64 v[10:11], v26 offset:16384
	v_or_b32_e32 v2, v2, v14
	v_xor_b32_e32 v27, v2, v15
	v_or_b32_e32 v2, 64, v12
	v_xor_b32_e32 v2, v2, v13
	v_or_b32_e32 v2, v2, v14
	v_or_b32_e32 v12, 0x60, v12
	v_xor_b32_e32 v28, v2, v15
	ds_read2st64_b64 v[2:5], v19 offset0:72 offset1:73
	ds_read2st64_b64 v[6:9], v19 offset0:74 offset1:75
	v_xor_b32_e32 v16, v12, v13
	ds_read_b64 v[12:13], v27 offset:16384
	s_waitcnt lgkmcnt(2)
	v_mfma_f32_16x16x16_bf16 a[0:3], v[10:11], v[2:3], 0
	s_add_i32 s2, s12, -1
	s_ashr_i32 s3, s2, 31
	s_mul_i32 s12, s2, s29
	s_mul_hi_u32 s13, s2, s28
	s_add_i32 s12, s13, s12
	s_mul_i32 s3, s3, s28
	v_or_b32_e32 v14, v16, v14
	s_add_i32 s1, s0, s1
	s_add_i32 s3, s12, s3
	s_lshl_b64 s[12:13], s[34:35], 2
	v_xor_b32_e32 v36, v14, v15
	ds_read_b64 v[14:15], v28 offset:16384
	ds_read_b64 v[16:17], v36 offset:16384
	s_waitcnt lgkmcnt(2)
	v_mfma_f32_16x16x16_bf16 a[0:3], v[12:13], v[4:5], a[0:3]
	s_mul_i32 s0, s33, s18
	s_add_u32 s10, s10, s12
	s_addc_u32 s11, s11, s13
	s_lshl_b64 s[0:1], s[0:1], 2
	s_mul_i32 s2, s2, s28
	s_add_u32 s10, s10, s0
	s_addc_u32 s11, s11, s1
	s_lshl_b64 s[0:1], s[2:3], 2
	s_waitcnt lgkmcnt(1)
	v_mfma_f32_16x16x16_bf16 a[0:3], v[14:15], v[6:7], a[0:3]
	s_add_u32 s0, s10, s0
	s_addc_u32 s1, s11, s1
	s_load_dword s12, s[0:1], 0x0
	s_waitcnt lgkmcnt(0)
	v_mfma_f32_16x16x16_bf16 a[0:3], v[16:17], v[8:9], a[0:3]
	s_and_b64 vcc, exec, s[26:27]
	s_cbranch_vccz .LBB528_42
; %bb.32:
	v_lshlrev_b32_e32 v20, 1, v35
	s_and_b64 vcc, exec, s[6:7]
	s_cbranch_vccz .LBB528_43
; %bb.33:
	v_cmp_gt_i32_e32 vcc, s41, v20
	v_mov_b32_e32 v6, 0
	v_mov_b32_e32 v2, 0
	v_mov_b32_e32 v3, 0
	v_mov_b32_e32 v4, 0
	v_mov_b32_e32 v5, 0
	s_and_saveexec_b64 s[0:1], vcc
	s_cbranch_execz .LBB528_35
; %bb.34:
	v_mad_i64_i32 v[2:3], s[2:3], s15, v20, 0
	v_lshl_add_u64 v[2:3], v[2:3], 1, s[4:5]
	v_lshlrev_b32_e32 v4, 1, v18
	v_mov_b32_e32 v5, 0
	v_lshl_add_u64 v[2:3], v[2:3], 0, v[4:5]
	global_load_dwordx4 v[2:5], v[2:3], off
.LBB528_35:
	s_or_b64 exec, exec, s[0:1]
	v_or_b32_e32 v21, 1, v20
	v_cmp_gt_i32_e64 s[0:1], s41, v21
	v_mov_b32_e32 v7, 0
	v_mov_b32_e32 v8, 0
	;; [unrolled: 1-line block ×3, first 2 shown]
	s_and_saveexec_b64 s[2:3], s[0:1]
	s_cbranch_execz .LBB528_37
; %bb.36:
	v_mad_i64_i32 v[6:7], s[16:17], s15, v21, 0
	v_lshl_add_u64 v[6:7], v[6:7], 1, s[4:5]
	v_lshlrev_b32_e32 v8, 1, v18
	v_mov_b32_e32 v9, 0
	v_lshl_add_u64 v[6:7], v[6:7], 0, v[8:9]
	global_load_dwordx4 v[6:9], v[6:7], off
.LBB528_37:
	s_or_b64 exec, exec, s[2:3]
	v_mov_b32_e32 v17, 0
	v_mov_b32_e32 v10, 0
	;; [unrolled: 1-line block ×5, first 2 shown]
	s_and_saveexec_b64 s[2:3], vcc
	s_cbranch_execz .LBB528_39
; %bb.38:
	v_mad_i64_i32 v[10:11], s[16:17], s15, v20, 0
	v_lshl_add_u64 v[10:11], v[10:11], 1, s[4:5]
	v_lshlrev_b32_e32 v12, 1, v18
	v_mov_b32_e32 v13, 0
	v_lshl_add_u64 v[10:11], v[10:11], 0, v[12:13]
	global_load_dwordx4 v[10:13], v[10:11], off offset:128
.LBB528_39:
	s_or_b64 exec, exec, s[2:3]
	v_mov_b32_e32 v16, 0
	v_mov_b32_e32 v15, 0
	;; [unrolled: 1-line block ×3, first 2 shown]
	s_and_saveexec_b64 s[2:3], s[0:1]
	s_cbranch_execz .LBB528_41
; %bb.40:
	v_mad_i64_i32 v[14:15], s[0:1], s15, v21, 0
	v_lshl_add_u64 v[14:15], v[14:15], 1, s[4:5]
	v_lshlrev_b32_e32 v16, 1, v18
	v_mov_b32_e32 v17, 0
	v_lshl_add_u64 v[14:15], v[14:15], 0, v[16:17]
	global_load_dwordx4 v[14:17], v[14:15], off offset:128
.LBB528_41:
	s_or_b64 exec, exec, s[2:3]
	s_branch .LBB528_45
.LBB528_42:
                                        ; implicit-def: $vgpr5
                                        ; implicit-def: $vgpr9
                                        ; implicit-def: $vgpr13
                                        ; implicit-def: $vgpr17
	v_lshrrev_b32_e32 v37, 2, v58
	s_branch .LBB528_46
.LBB528_43:
                                        ; implicit-def: $vgpr5
                                        ; implicit-def: $vgpr9
                                        ; implicit-def: $vgpr13
                                        ; implicit-def: $vgpr17
	s_cbranch_execz .LBB528_45
; %bb.44:
	s_waitcnt vmcnt(0)
	v_mad_u64_u32 v[2:3], s[0:1], v20, s15, v[18:19]
	v_lshlrev_b32_e32 v20, 1, v2
	s_lshl_b32 s2, s15, 7
	s_and_b32 s1, s5, 0xffff
	s_mov_b32 s3, 0x20000
	s_mov_b32 s0, s4
	v_add_lshl_u32 v21, v2, s15, 1
	s_movk_i32 s13, 0x80
	buffer_load_dwordx4 v[2:5], v20, s[0:3], 0 offen
	buffer_load_dwordx4 v[10:13], v20, s[0:3], s13 offen
	;; [unrolled: 1-line block ×4, first 2 shown]
.LBB528_45:
	v_lshrrev_b32_e32 v37, 2, v58
	s_cbranch_execnz .LBB528_58
.LBB528_46:
	s_and_b64 vcc, exec, s[6:7]
	s_cbranch_vccz .LBB528_56
; %bb.47:
	s_waitcnt vmcnt(0)
	v_lshlrev_b32_e32 v7, 1, v35
	v_cmp_gt_i32_e32 vcc, s41, v7
	v_mov_b32_e32 v6, 0
	v_lshlrev_b32_e32 v14, 9, v35
	v_mov_b32_e32 v2, 0
	v_mov_b32_e32 v3, 0
	;; [unrolled: 1-line block ×4, first 2 shown]
	s_and_saveexec_b64 s[0:1], vcc
	s_cbranch_execz .LBB528_49
; %bb.48:
	v_mov_b32_e32 v15, 0
	v_lshl_add_u64 v[2:3], s[4:5], 0, v[14:15]
	v_lshlrev_b32_e32 v4, 1, v18
	v_mov_b32_e32 v5, v15
	v_lshl_add_u64 v[2:3], v[2:3], 0, v[4:5]
	global_load_dwordx4 v[2:5], v[2:3], off
.LBB528_49:
	s_or_b64 exec, exec, s[0:1]
	v_or_b32_e32 v7, 1, v7
	v_cmp_gt_i32_e64 s[0:1], s41, v7
	v_lshlrev_b32_e32 v20, 8, v7
	v_mov_b32_e32 v7, 0
	v_mov_b32_e32 v8, 0
	;; [unrolled: 1-line block ×3, first 2 shown]
	s_and_saveexec_b64 s[2:3], s[0:1]
	s_cbranch_execz .LBB528_51
; %bb.50:
	v_mov_b32_e32 v21, 0
	v_lshl_add_u64 v[6:7], s[4:5], 0, v[20:21]
	v_lshlrev_b32_e32 v8, 1, v18
	v_mov_b32_e32 v9, v21
	v_lshl_add_u64 v[6:7], v[6:7], 0, v[8:9]
	global_load_dwordx4 v[6:9], v[6:7], off
.LBB528_51:
	s_or_b64 exec, exec, s[2:3]
	v_mov_b32_e32 v17, 0
	v_mov_b32_e32 v10, 0
	;; [unrolled: 1-line block ×5, first 2 shown]
	s_and_saveexec_b64 s[2:3], vcc
	s_cbranch_execz .LBB528_53
; %bb.52:
	v_mov_b32_e32 v15, 0
	v_lshl_add_u64 v[10:11], s[4:5], 0, v[14:15]
	v_lshlrev_b32_e32 v14, 1, v18
	v_lshl_add_u64 v[10:11], v[10:11], 0, v[14:15]
	global_load_dwordx4 v[10:13], v[10:11], off offset:128
.LBB528_53:
	s_or_b64 exec, exec, s[2:3]
	v_mov_b32_e32 v16, 0
	v_mov_b32_e32 v15, 0
	;; [unrolled: 1-line block ×3, first 2 shown]
	s_and_saveexec_b64 s[2:3], s[0:1]
	s_cbranch_execz .LBB528_55
; %bb.54:
	v_mov_b32_e32 v21, 0
	v_lshl_add_u64 v[14:15], s[4:5], 0, v[20:21]
	v_lshlrev_b32_e32 v20, 1, v18
	v_lshl_add_u64 v[14:15], v[14:15], 0, v[20:21]
	global_load_dwordx4 v[14:17], v[14:15], off offset:128
.LBB528_55:
	s_or_b64 exec, exec, s[2:3]
	s_branch .LBB528_58
.LBB528_56:
                                        ; implicit-def: $vgpr5
                                        ; implicit-def: $vgpr9
                                        ; implicit-def: $vgpr13
                                        ; implicit-def: $vgpr17
	s_cbranch_execz .LBB528_58
; %bb.57:
	s_waitcnt vmcnt(0)
	v_lshlrev_b32_e32 v2, 1, v18
	v_lshl_or_b32 v18, v35, 9, v2
	s_and_b32 s5, s5, 0xffff
	s_mov_b32 s7, 0x20000
	s_movk_i32 s6, 0x4000
	s_movk_i32 s0, 0x80
	buffer_load_dwordx4 v[2:5], v18, s[4:7], 0 offen
	buffer_load_dwordx4 v[6:9], v18, s[4:7], 0 offen offset:256
	buffer_load_dwordx4 v[10:13], v18, s[4:7], s0 offen
	buffer_load_dwordx4 v[14:17], v18, s[4:7], s0 offen offset:256
.LBB528_58:
	ds_read2st64_b64 v[22:25], v19 offset0:76 offset1:77
	ds_read2st64_b64 v[18:21], v19 offset0:78 offset1:79
	ds_read_b64 v[30:31], v26 offset:24576
	ds_read_b64 v[32:33], v27 offset:24576
	;; [unrolled: 1-line block ×4, first 2 shown]
	v_and_b32_e32 v36, 6, v0
	v_xor_b32_e32 v35, v35, v36
	v_lshlrev_b32_e32 v35, 2, v35
	v_and_b32_e32 v0, 1, v0
	v_xor_b32_e32 v38, 0x440, v35
	v_cmp_eq_u32_e32 vcc, 0, v0
	s_mov_b32 s0, 0x1000504
	s_mov_b32 s1, 0x3020706
	v_cndmask_b32_e32 v0, v38, v35, vcc
	v_lshl_or_b32 v0, v36, 10, v0
	s_waitcnt vmcnt(0)
	v_perm_b32 v35, v2, v6, s0
	v_perm_b32 v36, v10, v14, s0
	ds_write2st64_b32 v0, v35, v36 offset1:32
	v_xor_b32_e32 v35, 8, v0
	v_perm_b32 v2, v2, v6, s1
	v_perm_b32 v6, v10, v14, s1
	v_add_u32_e32 v10, 0x80, v35
	ds_write2st64_b32 v10, v2, v6 offset1:32
	v_xor_b32_e32 v2, 16, v0
	v_perm_b32 v6, v3, v7, s0
	v_perm_b32 v10, v11, v15, s0
	ds_write2st64_b32 v2, v6, v10 offset0:1 offset1:33
	v_xor_b32_e32 v2, 24, v0
	v_perm_b32 v3, v3, v7, s1
	v_perm_b32 v6, v11, v15, s1
	v_add_u32_e32 v2, 0x80, v2
	ds_write2st64_b32 v2, v3, v6 offset0:1 offset1:33
	v_xor_b32_e32 v2, 32, v0
	v_perm_b32 v3, v4, v8, s0
	v_perm_b32 v6, v12, v16, s0
	ds_write2st64_b32 v2, v3, v6 offset0:2 offset1:34
	v_xor_b32_e32 v2, 40, v0
	v_perm_b32 v3, v4, v8, s1
	v_perm_b32 v4, v12, v16, s1
	v_add_u32_e32 v2, 0x80, v2
	ds_write2st64_b32 v2, v3, v4 offset0:2 offset1:34
	v_xor_b32_e32 v2, 48, v0
	v_perm_b32 v3, v5, v9, s0
	v_perm_b32 v4, v13, v17, s0
	v_xor_b32_e32 v0, 56, v0
	v_and_or_b32 v6, v37, 12, v45
	ds_write2st64_b32 v2, v3, v4 offset0:3 offset1:35
	v_perm_b32 v2, v5, v9, s1
	v_perm_b32 v3, v13, v17, s1
	v_add_u32_e32 v0, 0x80, v0
	v_cmp_gt_i32_e32 vcc, s41, v6
	v_mov_b32_e32 v7, 0
	v_mov_b32_e32 v11, 0
	ds_write2st64_b32 v0, v2, v3 offset0:3 offset1:35
	s_and_saveexec_b64 s[0:1], vcc
	s_cbranch_execz .LBB528_60
; %bb.59:
	v_add_u32_e32 v0, s40, v6
	v_ashrrev_i32_e32 v2, 31, v0
	v_mul_lo_u32 v4, v2, s28
	v_mul_lo_u32 v5, v0, s29
	v_mad_u64_u32 v[2:3], s[2:3], v0, s28, 0
	v_add3_u32 v3, v3, v5, v4
	v_lshl_add_u64 v[2:3], v[2:3], 2, s[10:11]
	global_load_dword v0, v[2:3], off
	s_waitcnt vmcnt(0)
	v_sub_f32_e32 v0, s12, v0
	v_exp_f32_e32 v11, v0
.LBB528_60:
	s_or_b64 exec, exec, s[0:1]
	v_or_b32_e32 v9, 1, v6
	v_cmp_gt_i32_e64 s[0:1], s41, v9
	s_and_saveexec_b64 s[2:3], s[0:1]
	s_cbranch_execz .LBB528_62
; %bb.61:
	v_add_u32_e32 v0, s40, v9
	v_ashrrev_i32_e32 v2, 31, v0
	v_mul_lo_u32 v4, v2, s28
	v_mul_lo_u32 v5, v0, s29
	v_mad_u64_u32 v[2:3], s[4:5], v0, s28, 0
	v_add3_u32 v3, v3, v5, v4
	v_lshl_add_u64 v[2:3], v[2:3], 2, s[10:11]
	global_load_dword v0, v[2:3], off
	s_waitcnt vmcnt(0)
	v_sub_f32_e32 v0, s12, v0
	v_exp_f32_e32 v7, v0
.LBB528_62:
	s_or_b64 exec, exec, s[2:3]
	v_or_b32_e32 v10, 2, v6
	v_cmp_gt_i32_e64 s[2:3], s41, v10
	v_mov_b32_e32 v8, 0
	v_mov_b32_e32 v13, 0
	s_and_saveexec_b64 s[4:5], s[2:3]
	s_cbranch_execz .LBB528_64
; %bb.63:
	v_add_u32_e32 v0, s40, v10
	v_ashrrev_i32_e32 v2, 31, v0
	v_mul_lo_u32 v4, v2, s28
	v_mul_lo_u32 v5, v0, s29
	v_mad_u64_u32 v[2:3], s[6:7], v0, s28, 0
	v_add3_u32 v3, v3, v5, v4
	v_lshl_add_u64 v[2:3], v[2:3], 2, s[10:11]
	global_load_dword v0, v[2:3], off
	s_waitcnt vmcnt(0)
	v_sub_f32_e32 v0, s12, v0
	v_exp_f32_e32 v13, v0
.LBB528_64:
	s_or_b64 exec, exec, s[4:5]
	v_or_b32_e32 v12, 3, v6
	v_cmp_gt_i32_e64 s[4:5], s41, v12
	s_and_saveexec_b64 s[6:7], s[4:5]
	s_cbranch_execz .LBB528_66
; %bb.65:
	v_add_u32_e32 v0, s40, v12
	v_ashrrev_i32_e32 v2, 31, v0
	v_mul_lo_u32 v4, v2, s28
	v_mul_lo_u32 v5, v0, s29
	v_mad_u64_u32 v[2:3], s[14:15], v0, s28, 0
	v_add3_u32 v3, v3, v5, v4
	v_lshl_add_u64 v[2:3], v[2:3], 2, s[10:11]
	global_load_dword v0, v[2:3], off
	s_waitcnt vmcnt(0)
	v_sub_f32_e32 v0, s12, v0
	v_exp_f32_e32 v8, v0
.LBB528_66:
	s_or_b64 exec, exec, s[6:7]
	s_waitcnt lgkmcnt(11)
	v_mfma_f32_16x16x16_bf16 a[0:3], v[30:31], v[22:23], a[0:3]
	v_or_b32_e32 v0, s30, v1
	s_add_u32 s6, s8, s24
	s_addc_u32 s7, s9, s25
	s_waitcnt lgkmcnt(10)
	v_mfma_f32_16x16x16_bf16 a[0:3], v[32:33], v[24:25], a[0:3]
	v_ashrrev_i32_e32 v1, 31, v0
	v_lshl_add_u64 v[4:5], v[0:1], 1, s[6:7]
	v_mov_b32_e32 v14, 0
	s_waitcnt lgkmcnt(9)
	v_mfma_f32_16x16x16_bf16 a[0:3], v[28:29], v[18:19], a[0:3]
	v_mov_b32_e32 v15, 0
	s_waitcnt lgkmcnt(8)
	v_mfma_f32_16x16x16_bf16 a[0:3], v[26:27], v[20:21], a[0:3]
	s_nop 6
	v_accvgpr_read_b32 v0, a0
	v_accvgpr_read_b32 v1, a1
	v_accvgpr_read_b32 v2, a2
	v_accvgpr_read_b32 v3, a3
	s_and_saveexec_b64 s[6:7], vcc
	s_cbranch_execz .LBB528_68
; %bb.67:
	v_lshlrev_b32_e32 v16, 8, v6
	v_mov_b32_e32 v17, 0
	v_lshl_add_u64 v[16:17], v[4:5], 0, v[16:17]
	global_load_ushort v15, v[16:17], off
	s_waitcnt vmcnt(0)
	v_lshlrev_b32_e32 v15, 16, v15
	v_sub_f32_e32 v0, v15, v0
	v_mul_f32_e32 v0, v11, v0
	v_lshrrev_b32_e32 v15, 16, v0
.LBB528_68:
	s_or_b64 exec, exec, s[6:7]
	s_and_saveexec_b64 s[6:7], s[0:1]
	s_cbranch_execz .LBB528_70
; %bb.69:
	v_lshlrev_b32_e32 v16, 8, v9
	v_mov_b32_e32 v17, 0
	v_lshl_add_u64 v[16:17], v[4:5], 0, v[16:17]
	global_load_ushort v0, v[16:17], off
	s_waitcnt vmcnt(0)
	v_lshlrev_b32_e32 v0, 16, v0
	v_sub_f32_e32 v0, v0, v1
	v_mul_f32_e32 v0, v7, v0
	v_lshrrev_b32_e32 v14, 16, v0
.LBB528_70:
	s_or_b64 exec, exec, s[6:7]
	v_mov_b32_e32 v0, 0
	v_mov_b32_e32 v1, 0
	s_and_saveexec_b64 s[0:1], s[2:3]
	s_cbranch_execz .LBB528_72
; %bb.71:
	v_lshlrev_b32_e32 v10, 8, v10
	v_mov_b32_e32 v11, 0
	v_lshl_add_u64 v[10:11], v[4:5], 0, v[10:11]
	global_load_ushort v1, v[10:11], off
	s_waitcnt vmcnt(0)
	v_lshlrev_b32_e32 v1, 16, v1
	v_sub_f32_e32 v1, v1, v2
	v_mul_f32_e32 v1, v13, v1
	v_lshrrev_b32_e32 v1, 16, v1
.LBB528_72:
	s_or_b64 exec, exec, s[0:1]
	s_and_saveexec_b64 s[0:1], s[4:5]
	s_cbranch_execz .LBB528_74
; %bb.73:
	v_lshlrev_b32_e32 v10, 8, v12
	v_mov_b32_e32 v11, 0
	v_lshl_add_u64 v[4:5], v[4:5], 0, v[10:11]
	global_load_ushort v0, v[4:5], off
	s_waitcnt vmcnt(0)
	v_lshlrev_b32_e32 v0, 16, v0
	v_sub_f32_e32 v0, v0, v3
	v_mul_f32_e32 v0, v8, v0
	v_lshrrev_b32_e32 v0, 16, v0
.LBB528_74:
	s_or_b64 exec, exec, s[0:1]
	s_mov_b32 s0, 0x5040100
	v_lshlrev_b32_e32 v2, 1, v34
	v_perm_b32 v1, v0, v1, s0
	v_perm_b32 v0, v14, v15, s0
	v_lshl_or_b32 v2, v6, 5, v2
	ds_write_b64 v2, v[0:1] offset:38912
	s_waitcnt lgkmcnt(0)
	s_barrier
.LBB528_75:
	s_endpgm
	.section	.rodata,"a",@progbits
	.p2align	6, 0x0
	.amdhsa_kernel _ZN12_GLOBAL__N_139chunk_gated_delta_rule_fwd_h_hip_kernelILi16ELb0ELb0ELb0ELb0ELb1ELb1ELb1ELb1EEEvPK12hip_bfloat16S3_S3_PKfS5_PKvPS1_S8_PvPKiSB_iiiiilll
		.amdhsa_group_segment_fixed_size 40960
		.amdhsa_private_segment_fixed_size 0
		.amdhsa_kernarg_size 136
		.amdhsa_user_sgpr_count 2
		.amdhsa_user_sgpr_dispatch_ptr 0
		.amdhsa_user_sgpr_queue_ptr 0
		.amdhsa_user_sgpr_kernarg_segment_ptr 1
		.amdhsa_user_sgpr_dispatch_id 0
		.amdhsa_user_sgpr_kernarg_preload_length 0
		.amdhsa_user_sgpr_kernarg_preload_offset 0
		.amdhsa_user_sgpr_private_segment_size 0
		.amdhsa_uses_dynamic_stack 0
		.amdhsa_enable_private_segment 0
		.amdhsa_system_sgpr_workgroup_id_x 1
		.amdhsa_system_sgpr_workgroup_id_y 1
		.amdhsa_system_sgpr_workgroup_id_z 0
		.amdhsa_system_sgpr_workgroup_info 0
		.amdhsa_system_vgpr_workitem_id 0
		.amdhsa_next_free_vgpr 124
		.amdhsa_next_free_sgpr 64
		.amdhsa_accum_offset 112
		.amdhsa_reserve_vcc 1
		.amdhsa_float_round_mode_32 0
		.amdhsa_float_round_mode_16_64 0
		.amdhsa_float_denorm_mode_32 3
		.amdhsa_float_denorm_mode_16_64 3
		.amdhsa_dx10_clamp 1
		.amdhsa_ieee_mode 1
		.amdhsa_fp16_overflow 0
		.amdhsa_tg_split 0
		.amdhsa_exception_fp_ieee_invalid_op 0
		.amdhsa_exception_fp_denorm_src 0
		.amdhsa_exception_fp_ieee_div_zero 0
		.amdhsa_exception_fp_ieee_overflow 0
		.amdhsa_exception_fp_ieee_underflow 0
		.amdhsa_exception_fp_ieee_inexact 0
		.amdhsa_exception_int_div_zero 0
	.end_amdhsa_kernel
	.section	.text._ZN12_GLOBAL__N_139chunk_gated_delta_rule_fwd_h_hip_kernelILi16ELb0ELb0ELb0ELb0ELb1ELb1ELb1ELb1EEEvPK12hip_bfloat16S3_S3_PKfS5_PKvPS1_S8_PvPKiSB_iiiiilll,"axG",@progbits,_ZN12_GLOBAL__N_139chunk_gated_delta_rule_fwd_h_hip_kernelILi16ELb0ELb0ELb0ELb0ELb1ELb1ELb1ELb1EEEvPK12hip_bfloat16S3_S3_PKfS5_PKvPS1_S8_PvPKiSB_iiiiilll,comdat
.Lfunc_end528:
	.size	_ZN12_GLOBAL__N_139chunk_gated_delta_rule_fwd_h_hip_kernelILi16ELb0ELb0ELb0ELb0ELb1ELb1ELb1ELb1EEEvPK12hip_bfloat16S3_S3_PKfS5_PKvPS1_S8_PvPKiSB_iiiiilll, .Lfunc_end528-_ZN12_GLOBAL__N_139chunk_gated_delta_rule_fwd_h_hip_kernelILi16ELb0ELb0ELb0ELb0ELb1ELb1ELb1ELb1EEEvPK12hip_bfloat16S3_S3_PKfS5_PKvPS1_S8_PvPKiSB_iiiiilll
                                        ; -- End function
	.section	.AMDGPU.csdata,"",@progbits
; Kernel info:
; codeLenInByte = 7320
; NumSgprs: 70
; NumVgprs: 112
; NumAgprs: 12
; TotalNumVgprs: 124
; ScratchSize: 0
; MemoryBound: 0
; FloatMode: 240
; IeeeMode: 1
; LDSByteSize: 40960 bytes/workgroup (compile time only)
; SGPRBlocks: 8
; VGPRBlocks: 15
; NumSGPRsForWavesPerEU: 70
; NumVGPRsForWavesPerEU: 124
; AccumOffset: 112
; Occupancy: 1
; WaveLimiterHint : 1
; COMPUTE_PGM_RSRC2:SCRATCH_EN: 0
; COMPUTE_PGM_RSRC2:USER_SGPR: 2
; COMPUTE_PGM_RSRC2:TRAP_HANDLER: 0
; COMPUTE_PGM_RSRC2:TGID_X_EN: 1
; COMPUTE_PGM_RSRC2:TGID_Y_EN: 1
; COMPUTE_PGM_RSRC2:TGID_Z_EN: 0
; COMPUTE_PGM_RSRC2:TIDIG_COMP_CNT: 0
; COMPUTE_PGM_RSRC3_GFX90A:ACCUM_OFFSET: 27
; COMPUTE_PGM_RSRC3_GFX90A:TG_SPLIT: 0
	.section	.text._ZN12_GLOBAL__N_139chunk_gated_delta_rule_fwd_h_hip_kernelILi16ELb1ELb1ELb1ELb1ELb1ELb1ELb0ELb1EEEvPK12hip_bfloat16S3_S3_PKfS5_PKvPS1_S8_PvPKiSB_iiiiilll,"axG",@progbits,_ZN12_GLOBAL__N_139chunk_gated_delta_rule_fwd_h_hip_kernelILi16ELb1ELb1ELb1ELb1ELb1ELb1ELb0ELb1EEEvPK12hip_bfloat16S3_S3_PKfS5_PKvPS1_S8_PvPKiSB_iiiiilll,comdat
	.globl	_ZN12_GLOBAL__N_139chunk_gated_delta_rule_fwd_h_hip_kernelILi16ELb1ELb1ELb1ELb1ELb1ELb1ELb0ELb1EEEvPK12hip_bfloat16S3_S3_PKfS5_PKvPS1_S8_PvPKiSB_iiiiilll ; -- Begin function _ZN12_GLOBAL__N_139chunk_gated_delta_rule_fwd_h_hip_kernelILi16ELb1ELb1ELb1ELb1ELb1ELb1ELb0ELb1EEEvPK12hip_bfloat16S3_S3_PKfS5_PKvPS1_S8_PvPKiSB_iiiiilll
	.p2align	8
	.type	_ZN12_GLOBAL__N_139chunk_gated_delta_rule_fwd_h_hip_kernelILi16ELb1ELb1ELb1ELb1ELb1ELb1ELb0ELb1EEEvPK12hip_bfloat16S3_S3_PKfS5_PKvPS1_S8_PvPKiSB_iiiiilll,@function
_ZN12_GLOBAL__N_139chunk_gated_delta_rule_fwd_h_hip_kernelILi16ELb1ELb1ELb1ELb1ELb1ELb1ELb0ELb1EEEvPK12hip_bfloat16S3_S3_PKfS5_PKvPS1_S8_PvPKiSB_iiiiilll: ; @_ZN12_GLOBAL__N_139chunk_gated_delta_rule_fwd_h_hip_kernelILi16ELb1ELb1ELb1ELb1ELb1ELb1ELb0ELb1EEEvPK12hip_bfloat16S3_S3_PKfS5_PKvPS1_S8_PvPKiSB_iiiiilll
; %bb.0:
	s_load_dwordx4 s[28:31], s[0:1], 0x5c
	s_load_dwordx4 s[4:7], s[0:1], 0x70
	s_abs_i32 s11, s3
	s_ashr_i32 s10, s3, 31
	s_load_dwordx4 s[24:27], s[0:1], 0x40
	s_load_dwordx2 s[8:9], s[0:1], 0x50
	s_waitcnt lgkmcnt(0)
	s_abs_i32 s14, s29
	v_cvt_f32_u32_e32 v1, s14
	s_sub_i32 s12, 0, s14
	s_ashr_i32 s15, s29, 31
	s_xor_b32 s10, s10, s15
	v_rcp_iflag_f32_e32 v1, v1
	v_and_b32_e32 v67, 15, v0
	v_bfe_u32 v66, v0, 4, 2
	v_mov_b32_e32 v49, 0
	v_mul_f32_e32 v1, 0x4f7ffffe, v1
	v_cvt_u32_f32_e32 v1, v1
	v_lshlrev_b32_e32 v68, 3, v0
	v_readfirstlane_b32 s13, v1
	s_mul_i32 s12, s12, s13
	s_mul_hi_u32 s12, s13, s12
	s_add_i32 s13, s13, s12
	s_mul_hi_u32 s12, s11, s13
	s_mul_i32 s13, s12, s14
	s_sub_i32 s11, s11, s13
	s_add_i32 s16, s12, 1
	s_sub_i32 s13, s11, s14
	s_cmp_ge_u32 s11, s14
	s_cselect_b32 s12, s16, s12
	s_cselect_b32 s11, s13, s11
	s_add_i32 s13, s12, 1
	s_cmp_ge_u32 s11, s14
	s_cselect_b32 s11, s13, s12
	s_xor_b32 s11, s11, s10
	s_sub_i32 s36, s11, s10
	s_mul_i32 s16, s36, s29
	s_ashr_i32 s37, s36, 31
	s_sub_i32 s33, s3, s16
	s_lshl_b64 s[10:11], s[36:37], 2
	s_add_u32 s12, s26, s10
	s_addc_u32 s13, s27, s11
	s_add_u32 s38, s8, s10
	s_addc_u32 s39, s9, s11
	s_abs_i32 s3, s30
	v_cvt_f32_u32_e32 v1, s3
	s_load_dwordx2 s[34:35], s[12:13], 0x0
	s_sub_i32 s9, 0, s3
	s_lshl_b32 s2, s2, 4
	v_rcp_iflag_f32_e32 v1, v1
	v_or_b32_e32 v58, s2, v67
	s_waitcnt lgkmcnt(0)
	s_sub_i32 s56, s35, s34
	s_ashr_i32 s8, s56, 31
	v_mul_f32_e32 v1, 0x4f7ffffe, v1
	v_cvt_u32_f32_e32 v1, v1
	s_lshr_b32 s8, s8, 26
	s_add_i32 s8, s56, s8
	s_ashr_i32 s55, s8, 6
	v_readfirstlane_b32 s10, v1
	s_mul_i32 s9, s9, s10
	s_mul_hi_u32 s9, s10, s9
	s_add_i32 s10, s10, s9
	s_mul_hi_u32 s9, s14, s10
	s_mul_i32 s10, s9, s3
	s_ashr_i32 s8, s30, 31
	s_sub_i32 s10, s14, s10
	s_xor_b32 s8, s15, s8
	s_add_i32 s11, s9, 1
	s_sub_i32 s12, s10, s3
	s_cmp_ge_u32 s10, s3
	s_cselect_b32 s9, s11, s9
	s_cselect_b32 s10, s12, s10
	s_add_i32 s11, s9, 1
	s_cmp_ge_u32 s10, s3
	s_cselect_b32 s3, s11, s9
	s_xor_b32 s3, s3, s8
	s_sub_i32 s3, s3, s8
	s_abs_i32 s17, s3
	v_cvt_f32_u32_e32 v1, s17
	s_sub_i32 s19, 0, s17
	s_abs_i32 s18, s33
	s_xor_b32 s3, s33, s3
	v_rcp_iflag_f32_e32 v2, v1
	s_ashr_i32 s3, s3, 31
	s_load_dwordx8 s[8:15], s[0:1], 0x20
	v_lshrrev_b32_e32 v1, 6, v0
	v_mul_f32_e32 v2, 0x4f7ffffe, v2
	v_cvt_u32_f32_e32 v2, v2
	v_lshlrev_b32_e32 v45, 4, v1
	v_lshlrev_b32_e32 v46, 7, v58
	v_lshl_or_b32 v70, v66, 2, v45
	v_readfirstlane_b32 s20, v2
	s_mul_i32 s19, s19, s20
	s_mul_hi_u32 s19, s20, s19
	s_add_i32 s20, s20, s19
	s_mul_hi_u32 s19, s18, s20
	s_mul_i32 s20, s19, s17
	s_sub_i32 s18, s18, s20
	s_add_i32 s20, s19, 1
	s_sub_i32 s21, s18, s17
	s_cmp_ge_u32 s18, s17
	s_cselect_b32 s19, s20, s19
	s_cselect_b32 s18, s21, s18
	s_add_i32 s20, s19, 1
	s_cmp_ge_u32 s18, s17
	s_cselect_b32 s17, s20, s19
	s_xor_b32 s17, s17, s3
	s_sub_i32 s57, s17, s3
	s_ashr_i32 s48, s33, 31
	s_mul_hi_i32 s3, s36, s29
	s_add_u32 s16, s16, s33
	s_addc_u32 s17, s3, s48
	s_lshl_b64 s[26:27], s[16:17], 15
	s_waitcnt lgkmcnt(0)
	s_add_u32 s10, s10, s26
	s_addc_u32 s11, s11, s27
	v_ashrrev_i32_e32 v47, 31, v46
	v_lshl_add_u64 v[2:3], v[46:47], 1, s[10:11]
	v_lshlrev_b32_e32 v48, 1, v70
	v_lshl_add_u64 v[2:3], v[2:3], 0, v[48:49]
	global_load_dwordx2 v[4:5], v[2:3], off
	global_load_dwordx2 v[6:7], v[2:3], off offset:128
	s_load_dwordx8 s[16:23], s[0:1], 0x0
	s_load_dwordx2 s[10:11], s[0:1], 0x80
	s_load_dword s60, s[38:39], 0x0
	v_and_b32_e32 v49, 63, v0
	v_lshrrev_b32_e32 v69, 3, v49
	v_or_b32_e32 v71, 64, v70
	s_mul_i32 s49, s36, s5
	s_mul_hi_u32 s50, s36, s4
	s_mul_i32 s42, s36, s4
	s_mul_i32 s51, s37, s4
	s_mul_hi_i32 s58, s33, s28
	s_mul_i32 s59, s33, s28
	s_mul_i32 s52, s33, s7
	s_mul_hi_u32 s53, s33, s6
	s_mul_i32 s54, s48, s6
	s_cmp_lt_i32 s56, 64
	s_mul_i32 s40, s33, s6
	s_waitcnt vmcnt(1)
	v_and_b32_e32 v53, 0xffff0000, v4
	v_lshlrev_b32_e32 v52, 16, v4
	v_and_b32_e32 v57, 0xffff0000, v5
	v_lshlrev_b32_e32 v56, 16, v5
	s_waitcnt vmcnt(0)
	v_and_b32_e32 v51, 0xffff0000, v6
	v_lshlrev_b32_e32 v50, 16, v6
	v_and_b32_e32 v55, 0xffff0000, v7
	v_lshlrev_b32_e32 v54, 16, v7
	s_cbranch_scc1 .LBB529_18
; %bb.1:
	s_ashr_i32 s1, s34, 31
	s_add_u32 s0, s59, s34
	s_addc_u32 s1, s58, s1
	s_lshl_b64 s[0:1], s[0:1], 8
	v_and_b32_e32 v73, 56, v68
	s_waitcnt lgkmcnt(0)
	s_add_u32 s4, s18, s0
	v_lshl_or_b32 v72, v1, 3, v69
	v_lshlrev_b32_e32 v2, 1, v73
	s_addc_u32 s0, s19, s1
	v_lshl_or_b32 v74, v72, 8, v2
	s_and_b32 s5, s0, 0xffff
	s_mov_b32 s7, 0x20000
	s_movk_i32 s6, 0x4000
	s_movk_i32 s0, 0x80
	v_or_b32_e32 v75, 0x2000, v74
	buffer_load_dwordx4 v[4:7], v74, s[4:7], 0 offen
	buffer_load_dwordx4 v[8:11], v74, s[4:7], s0 offen
	;; [unrolled: 1-line block ×4, first 2 shown]
	v_lshlrev_b32_e32 v3, 3, v72
	v_and_or_b32 v21, v0, 7, v3
	v_and_b32_e32 v3, 0x78, v3
	v_lshlrev_b32_e32 v21, 4, v21
	v_xor_b32_e32 v76, v21, v3
	v_mul_lo_u32 v20, v72, s31
	v_or_b32_e32 v77, 0x1000, v76
	v_xor_b32_e32 v3, 8, v76
	s_cmpk_eq_i32 s31, 0x80
	s_mov_b32 s61, s34
	v_xor_b32_e32 v21, 8, v77
	s_cselect_b64 s[0:1], -1, 0
	s_cmpk_lg_i32 s31, 0x80
	s_waitcnt vmcnt(3)
	ds_write_b64 v76, v[4:5] offset:16384
	ds_write_b64 v3, v[6:7] offset:16384
	s_waitcnt vmcnt(2)
	ds_write_b64 v76, v[8:9] offset:24576
	ds_write_b64 v3, v[10:11] offset:24576
	;; [unrolled: 3-line block ×4, first 2 shown]
	v_lshl_add_u32 v3, v20, 1, v73
	s_cbranch_scc0 .LBB529_3
; %bb.2:
	v_lshlrev_b32_e32 v5, 1, v3
	v_add_lshl_u32 v4, v3, s31, 1
	s_lshl_b32 s6, s31, 7
	v_lshl_or_b32 v2, v72, 9, v2
	s_cbranch_execz .LBB529_4
	s_branch .LBB529_5
.LBB529_3:
                                        ; implicit-def: $vgpr4
                                        ; implicit-def: $vgpr5
                                        ; implicit-def: $sgpr6
	v_lshl_or_b32 v2, v72, 9, v2
.LBB529_4:
	v_or_b32_e32 v4, 0x100, v2
	s_movk_i32 s6, 0x4000
	v_mov_b32_e32 v5, v2
.LBB529_5:
	s_mul_i32 s4, s34, s30
	s_ashr_i32 s62, s57, 31
	s_mul_hi_i32 s3, s34, s30
	s_add_u32 s4, s4, s57
	s_addc_u32 s5, s3, s62
	s_lshl_b64 s[4:5], s[4:5], 8
	s_add_u32 s4, s16, s4
	s_addc_u32 s3, s17, s5
	s_and_b32 s5, s3, 0xffff
	s_movk_i32 s63, 0x80
	buffer_load_dwordx4 v[6:9], v5, s[4:7], 0 offen
	buffer_load_dwordx4 v[10:13], v5, s[4:7], s63 offen
	;; [unrolled: 1-line block ×4, first 2 shown]
	v_and_b32_e32 v4, 6, v0
	v_lshlrev_b32_e32 v22, 2, v67
	v_lshlrev_b32_e32 v23, 3, v67
	v_xor_b32_e32 v27, v72, v4
	v_and_b32_e32 v5, 1, v0
	v_lshl_or_b32 v23, v70, 5, v23
	v_xor_b32_e32 v28, v70, v22
	v_lshlrev_b32_e32 v27, 2, v27
	s_add_i32 s3, s50, s49
	v_or_b32_e32 v78, 0x9000, v23
	v_or_b32_e32 v79, 0x9800, v23
	v_lshlrev_b32_e32 v23, 1, v28
	v_xor_b32_e32 v28, 0x440, v27
	v_cmp_eq_u32_e32 vcc, 0, v5
	s_add_i32 s4, s53, s52
	s_add_i32 s43, s3, s51
	v_cndmask_b32_e32 v5, v28, v27, vcc
	s_add_i32 s41, s4, s54
	s_lshl_b64 s[4:5], s[42:43], 2
	s_mov_b32 s64, 0x1000504
	s_mov_b32 s65, 0x3020706
	v_lshlrev_b32_e32 v24, 8, v67
	s_mov_b32 s6, 0x8000
	v_xor_b32_e32 v22, v71, v22
	v_lshl_or_b32 v4, v4, 10, v5
	s_add_u32 s3, s22, s4
	v_or_b32_e32 v25, v45, v67
	v_lshlrev_b32_e32 v22, 1, v22
	v_or3_b32 v80, v23, v24, s6
	v_xor_b32_e32 v5, 8, v4
	v_xor_b32_e32 v23, 24, v4
	v_xor_b32_e32 v27, 40, v4
	v_xor_b32_e32 v29, 56, v4
	s_addc_u32 s36, s23, s5
	s_lshl_b64 s[4:5], s[40:41], 2
	v_or3_b32 v81, v22, v24, s6
	v_xor_b32_e32 v22, 16, v4
	v_xor_b32_e32 v24, 32, v4
	;; [unrolled: 1-line block ×3, first 2 shown]
	v_add_u32_e32 v5, 0x80, v5
	v_add_u32_e32 v23, 0x80, v23
	;; [unrolled: 1-line block ×4, first 2 shown]
	s_add_u32 s44, s3, s4
	s_movk_i32 s3, 0xf8
	s_addc_u32 s45, s36, s5
	v_ashrrev_i32_e32 v59, 31, v58
	s_lshl_b32 s38, s31, 7
	v_lshrrev_b32_e32 v26, 2, v49
	s_mov_b32 s66, 0
	s_waitcnt vmcnt(1)
	v_perm_b32 v30, v6, v14, s64
	s_waitcnt vmcnt(0)
	v_perm_b32 v31, v10, v18, s64
	v_perm_b32 v6, v6, v14, s65
	;; [unrolled: 1-line block ×15, first 2 shown]
	ds_write2st64_b32 v4, v30, v31 offset1:32
	ds_write2st64_b32 v5, v6, v10 offset1:32
	ds_write2st64_b32 v22, v14, v18 offset0:1 offset1:33
	ds_write2st64_b32 v23, v7, v11 offset0:1 offset1:33
	;; [unrolled: 1-line block ×6, first 2 shown]
	v_lshlrev_b32_e32 v4, 3, v25
	v_lshrrev_b32_e32 v6, 5, v49
	v_and_or_b32 v6, v4, s3, v6
	v_lshlrev_b32_e32 v6, 4, v6
	v_lshlrev_b32_e32 v13, 11, v1
	v_and_b32_e32 v4, 0x78, v4
	v_or_b32_e32 v9, 32, v6
	v_and_b32_e32 v5, 0x1000, v13
	v_lshrrev_b32_e32 v8, 1, v49
	v_xor_b32_e32 v9, v9, v4
	v_and_b32_e32 v8, 8, v8
	v_or_b32_e32 v9, v9, v5
	v_xor_b32_e32 v7, v6, v4
	v_xor_b32_e32 v84, v9, v8
	v_or_b32_e32 v9, 64, v6
	v_or_b32_e32 v6, 0x60, v6
	v_xor_b32_e32 v9, v9, v4
	v_xor_b32_e32 v4, v6, v4
	v_or_b32_e32 v7, v7, v5
	v_or_b32_e32 v9, v9, v5
	;; [unrolled: 1-line block ×3, first 2 shown]
	v_xor_b32_e32 v82, v7, v8
	v_xor_b32_e32 v85, v9, v8
	;; [unrolled: 1-line block ×3, first 2 shown]
	v_lshrrev_b32_e32 v8, 4, v0
	v_lshlrev_b32_e32 v9, 1, v67
	s_ashr_i32 s3, s2, 31
	v_or_b32_e32 v10, 1, v9
	v_xor_b32_e32 v9, v8, v9
	s_lshl_b64 s[4:5], s[2:3], 8
	v_xor_b32_e32 v10, v10, v8
	v_lshlrev_b32_e32 v9, 3, v9
	v_lshlrev_b32_e32 v8, 8, v8
	v_lshlrev_b64 v[4:5], 1, v[58:59]
	s_add_u32 s4, s12, s4
	v_or3_b32 v59, v9, v8, s6
	v_lshlrev_b32_e32 v9, 3, v10
	s_addc_u32 s5, s13, s5
	v_or3_b32 v88, v9, v8, s6
	v_mov_b32_e32 v9, 0
	v_lshrrev_b32_e32 v19, 1, v0
	v_lshl_add_u64 v[10:11], s[4:5], 0, v[8:9]
	v_lshlrev_b32_e32 v8, 4, v67
	s_movk_i32 s3, 0xff
	v_lshlrev_b32_e32 v18, 3, v1
	v_and_b32_e32 v19, 24, v19
	v_lshl_add_u64 v[60:61], v[10:11], 0, v[8:9]
	v_and_b32_e32 v8, 7, v0
	v_and_b32_e32 v11, 8, v0
	v_cmp_lt_u32_e32 vcc, s3, v0
	v_xor_b32_e32 v20, v18, v19
	v_lshlrev_b32_e32 v16, 3, v8
	v_lshlrev_b32_e32 v17, 7, v8
	v_cndmask_b32_e64 v8, 0, 1, vcc
	v_or_b32_e32 v21, 0x440, v20
	v_cmp_eq_u32_e32 vcc, 0, v11
	v_or_b32_e32 v23, 64, v19
	v_xor_b32_e32 v23, v18, v23
	v_cndmask_b32_e32 v11, v21, v20, vcc
	v_or_b32_e32 v21, 32, v19
	v_or_b32_e32 v19, 0x60, v19
	v_xor_b32_e32 v21, v18, v21
	v_xor_b32_e32 v18, v18, v19
	v_or_b32_e32 v22, 0x440, v21
	v_xor_b32_e32 v24, 0x440, v23
	v_xor_b32_e32 v19, 0x440, v18
	v_cndmask_b32_e32 v21, v22, v21, vcc
	v_cndmask_b32_e32 v23, v24, v23, vcc
	;; [unrolled: 1-line block ×3, first 2 shown]
	v_and_b32_e32 v7, 0x78, v68
	v_or_b32_e32 v11, v11, v13
	v_or_b32_e32 v21, v21, v13
	;; [unrolled: 1-line block ×4, first 2 shown]
	v_and_b32_e32 v12, 12, v26
	v_lshl_or_b32 v7, v66, 7, v7
	v_lshlrev_b32_e32 v8, 13, v8
	v_xor_b32_e32 v11, v11, v16
	v_xor_b32_e32 v21, v21, v16
	;; [unrolled: 1-line block ×4, first 2 shown]
	v_or_b32_e32 v83, 0x9000, v7
	v_or_b32_e32 v87, 0x9800, v7
	v_lshl_add_u64 v[6:7], s[20:21], 0, v[4:5]
	v_lshl_add_u64 v[4:5], s[14:15], 0, v[4:5]
	v_lshlrev_b32_e32 v14, 1, v3
	v_add_lshl_u32 v3, v3, s31, 1
	v_or_b32_e32 v15, 0x100, v2
	v_or_b32_e32 v10, v12, v45
	v_add_u32_e32 v20, v8, v11
	v_add_u32_e32 v22, v8, v21
	;; [unrolled: 1-line block ×4, first 2 shown]
	v_or3_b32 v12, v45, v12, 64
	v_add_u32_e32 v11, 0x2000, v11
	v_add_u32_e32 v18, 0x2000, v21
	v_add_u32_e32 v19, 0x2000, v23
	v_add_u32_e32 v13, 0x2000, v13
	v_lshlrev_b32_e32 v8, 8, v70
	v_cndmask_b32_e64 v89, v14, v2, s[0:1]
	v_cndmask_b32_e64 v90, v3, v15, s[0:1]
	v_lshl_add_u64 v[62:63], v[6:7], 0, v[8:9]
	v_lshl_add_u64 v[64:65], v[4:5], 0, v[8:9]
	s_mov_b32 s3, 0x7060302
	s_movk_i32 s6, 0x4000
	v_lshlrev_b32_e32 v91, 2, v10
	v_add_u32_e32 v92, v20, v17
	v_add_u32_e32 v93, v22, v17
	;; [unrolled: 1-line block ×4, first 2 shown]
	v_lshlrev_b32_e32 v96, 2, v12
	v_add_u32_e32 v97, v11, v17
	v_add_u32_e32 v98, v18, v17
	;; [unrolled: 1-line block ×4, first 2 shown]
	s_waitcnt lgkmcnt(0)
	s_barrier
.LBB529_6:                              ; =>This Inner Loop Header: Depth=1
	s_add_i32 s41, s66, 1
	s_cmp_lt_i32 s41, s55
	s_mov_b64 s[36:37], 0
	s_cselect_b64 s[46:47], -1, 0
	s_cmp_ge_i32 s41, s55
	s_mov_b64 s[4:5], 0
	s_cbranch_scc1 .LBB529_8
; %bb.7:                                ;   in Loop: Header=BB529_6 Depth=1
	s_add_i32 s0, s61, 64
	s_ashr_i32 s1, s0, 31
	s_add_u32 s0, s59, s0
	s_addc_u32 s1, s58, s1
	s_lshl_b64 s[0:1], s[0:1], 8
	s_add_u32 s4, s18, s0
	s_addc_u32 s5, s19, s1
.LBB529_8:                              ;   in Loop: Header=BB529_6 Depth=1
	v_cndmask_b32_e64 v2, 0, 1, s[46:47]
	v_cmp_ne_u32_e64 s[0:1], 1, v2
	s_andn2_b64 vcc, exec, s[46:47]
	s_cbranch_vccnz .LBB529_10
; %bb.9:                                ;   in Loop: Header=BB529_6 Depth=1
	s_add_i32 s36, s61, 64
	s_mul_hi_i32 s37, s36, s30
	s_mul_i32 s36, s36, s30
	s_add_u32 s36, s36, s57
	s_addc_u32 s37, s37, s62
	s_lshl_b64 s[36:37], s[36:37], 8
	s_add_u32 s36, s16, s36
	s_addc_u32 s37, s17, s37
.LBB529_10:                             ;   in Loop: Header=BB529_6 Depth=1
	v_perm_b32 v3, v57, v56, s3
	v_perm_b32 v2, v53, v52, s3
	;; [unrolled: 1-line block ×4, first 2 shown]
	ds_write_b64 v78, v[2:3]
	ds_write_b64 v79, v[4:5]
	;; [unrolled: 1-line block ×4, first 2 shown]
	s_waitcnt lgkmcnt(0)
	s_barrier
	ds_read_b64 v[10:11], v82 offset:16384
	ds_read_b64 v[12:13], v84 offset:16384
	ds_read2st64_b64 v[2:5], v83 offset1:1
	s_waitcnt lgkmcnt(0)
	v_mfma_f32_16x16x16_bf16 a[0:3], v[10:11], v[2:3], 0
	ds_read2st64_b64 v[6:9], v83 offset0:2 offset1:3
	ds_read_b64 v[14:15], v85 offset:16384
	ds_read_b64 v[2:3], v86 offset:16384
	s_add_i32 s43, s61, 63
	v_mfma_f32_16x16x16_bf16 a[0:3], v[12:13], v[4:5], a[0:3]
	s_ashr_i32 s39, s43, 31
	s_mul_i32 s46, s43, s11
	s_mul_hi_u32 s47, s43, s10
	s_waitcnt lgkmcnt(1)
	v_mfma_f32_16x16x16_bf16 a[0:3], v[14:15], v[6:7], a[0:3]
	s_add_i32 s46, s47, s46
	s_mul_i32 s39, s39, s10
	s_add_i32 s47, s46, s39
	s_mul_i32 s46, s43, s10
	s_waitcnt lgkmcnt(0)
	v_mfma_f32_16x16x16_bf16 a[0:3], v[2:3], v[8:9], a[0:3]
	s_lshl_b64 s[46:47], s[46:47], 2
	s_add_u32 s46, s44, s46
	s_addc_u32 s47, s45, s47
	s_and_b64 vcc, exec, s[0:1]
	v_mov_b32_e32 v103, 0
	v_mov_b32_e32 v102, 0
	;; [unrolled: 1-line block ×19, first 2 shown]
	s_cbranch_vccnz .LBB529_12
; %bb.11:                               ;   in Loop: Header=BB529_6 Depth=1
	s_and_b32 s5, s5, 0xffff
	buffer_load_dwordx4 v[14:17], v74, s[4:7], 0 offen
	buffer_load_dwordx4 v[10:13], v74, s[4:7], s63 offen
	;; [unrolled: 1-line block ×4, first 2 shown]
	v_mov_b32_e32 v102, v76
	v_mov_b32_e32 v101, v77
.LBB529_12:                             ;   in Loop: Header=BB529_6 Depth=1
	v_add_u32_e32 v22, s61, v70
	v_ashrrev_i32_e32 v18, 31, v22
	v_mul_lo_u32 v20, v18, s10
	v_mul_lo_u32 v21, v22, s11
	v_mad_u64_u32 v[18:19], s[4:5], v22, s10, 0
	v_add3_u32 v19, v19, v21, v20
	v_lshl_add_u64 v[18:19], v[18:19], 2, s[44:45]
	global_load_dword v36, v[18:19], off
	v_add_u32_e32 v18, 1, v22
	v_ashrrev_i32_e32 v19, 31, v18
	v_mul_lo_u32 v20, v19, s10
	v_mul_lo_u32 v21, v18, s11
	v_mad_u64_u32 v[18:19], s[4:5], v18, s10, 0
	v_add3_u32 v19, v19, v21, v20
	v_add_u32_e32 v20, 2, v22
	v_ashrrev_i32_e32 v21, 31, v20
	v_mul_lo_u32 v23, v21, s10
	v_mul_lo_u32 v24, v20, s11
	v_mad_u64_u32 v[20:21], s[4:5], v20, s10, 0
	v_add_u32_e32 v22, 3, v22
	v_add3_u32 v21, v21, v24, v23
	v_ashrrev_i32_e32 v23, 31, v22
	v_mul_lo_u32 v26, v23, s10
	v_mul_lo_u32 v27, v22, s11
	v_mad_u64_u32 v[22:23], s[4:5], v22, s10, 0
	s_ashr_i32 s5, s61, 31
	s_add_u32 s4, s59, s61
	s_addc_u32 s5, s58, s5
	s_lshl_b64 s[68:69], s[4:5], 8
	v_lshl_add_u64 v[18:19], v[18:19], 2, s[44:45]
	v_lshl_add_u64 v[24:25], v[62:63], 0, s[68:69]
	v_add3_u32 v23, v23, v27, v26
	v_lshl_add_u64 v[20:21], v[20:21], 2, s[44:45]
	global_load_ushort v37, v[24:25], off
	global_load_ushort v38, v[24:25], off offset:256
	global_load_ushort v39, v[24:25], off offset:512
	;; [unrolled: 1-line block ×3, first 2 shown]
	v_lshl_add_u64 v[22:23], v[22:23], 2, s[44:45]
	global_load_dword v41, v[18:19], off
	global_load_dword v42, v[20:21], off
	;; [unrolled: 1-line block ×3, first 2 shown]
	s_load_dword s4, s[46:47], 0x0
	ds_read_b64 v[20:21], v82 offset:24576
	ds_read2st64_b64 v[22:25], v87 offset1:1
	ds_read2st64_b64 v[26:29], v87 offset0:2 offset1:3
	ds_read_b64 v[30:31], v84 offset:24576
	ds_read_b64 v[32:33], v85 offset:24576
	;; [unrolled: 1-line block ×3, first 2 shown]
	s_waitcnt lgkmcnt(0)
	v_mfma_f32_16x16x16_bf16 a[0:3], v[20:21], v[22:23], a[0:3]
	v_mov_b32_e32 v104, 0
	v_mov_b32_e32 v18, 0
	;; [unrolled: 1-line block ×3, first 2 shown]
	v_mfma_f32_16x16x16_bf16 a[0:3], v[30:31], v[24:25], a[0:3]
	v_lshl_add_u64 v[30:31], v[64:65], 0, s[68:69]
	v_mov_b32_e32 v20, 0
	v_mov_b32_e32 v21, 0
	v_mfma_f32_16x16x16_bf16 a[0:3], v[32:33], v[26:27], a[0:3]
	v_mov_b32_e32 v22, 0
	v_mov_b32_e32 v23, 0
	;; [unrolled: 1-line block ×3, first 2 shown]
	v_mfma_f32_16x16x16_bf16 a[0:3], v[34:35], v[28:29], a[0:3]
	v_mov_b32_e32 v25, 0
	v_mov_b32_e32 v26, 0
	s_and_b64 vcc, exec, s[0:1]
	s_waitcnt vmcnt(7)
	v_sub_f32_e32 v27, s4, v36
	s_nop 1
	v_accvgpr_read_b32 v33, a1
	v_accvgpr_read_b32 v32, a0
	;; [unrolled: 1-line block ×4, first 2 shown]
	s_waitcnt vmcnt(6)
	v_lshlrev_b32_e32 v34, 16, v37
	s_waitcnt vmcnt(5)
	v_lshlrev_b32_e32 v35, 16, v38
	v_exp_f32_e32 v38, v27
	s_waitcnt vmcnt(3)
	v_lshlrev_b32_e32 v37, 16, v40
	s_waitcnt vmcnt(2)
	v_sub_f32_e32 v27, s4, v41
	s_waitcnt vmcnt(1)
	v_sub_f32_e32 v40, s4, v42
	;; [unrolled: 2-line block ×3, first 2 shown]
	v_lshlrev_b32_e32 v36, 16, v39
	v_pk_add_f32 v[32:33], v[34:35], v[32:33] neg_lo:[0,1] neg_hi:[0,1]
	v_exp_f32_e32 v39, v27
	v_exp_f32_e32 v34, v40
	;; [unrolled: 1-line block ×3, first 2 shown]
	v_pk_add_f32 v[28:29], v[36:37], v[28:29] neg_lo:[0,1] neg_hi:[0,1]
	global_store_short_d16_hi v[30:31], v32, off
	global_store_short_d16_hi v[30:31], v33, off offset:256
	global_store_short_d16_hi v[30:31], v28, off offset:512
	;; [unrolled: 1-line block ×3, first 2 shown]
	v_pk_mul_f32 v[30:31], v[38:39], v[32:33]
	v_pk_mul_f32 v[28:29], v[34:35], v[28:29]
	v_perm_b32 v30, v31, v30, s3
	v_perm_b32 v31, v29, v28, s3
	ds_write_b64 v79, v[30:31]
	v_mov_b32_e32 v27, 0
	v_mov_b32_e32 v28, 0
	;; [unrolled: 1-line block ×7, first 2 shown]
	s_cbranch_vccnz .LBB529_14
; %bb.13:                               ;   in Loop: Header=BB529_6 Depth=1
	s_and_b32 s37, s37, 0xffff
	s_mov_b32 s39, s7
	buffer_load_dwordx4 v[30:33], v89, s[36:39], 0 offen
	buffer_load_dwordx4 v[22:25], v89, s[36:39], s63 offen
	;; [unrolled: 1-line block ×4, first 2 shown]
	v_mov_b32_e32 v103, v73
	v_mov_b32_e32 v104, v72
.LBB529_14:                             ;   in Loop: Header=BB529_6 Depth=1
	s_waitcnt lgkmcnt(0)
	s_barrier
	ds_read_b64 v[34:35], v92
	ds_read_b64 v[40:41], v93
	ds_read2st64_b64 v[36:39], v87 offset1:1
	ds_read2st64_b64 v[106:109], v87 offset0:2 offset1:3
	ds_read_b64 v[42:43], v94
	ds_read_b64 v[114:115], v95
	s_add_i32 s5, s60, s66
	s_mul_hi_i32 s37, s5, s29
	s_mul_i32 s5, s5, s29
	s_waitcnt lgkmcnt(3)
	v_mfma_f32_16x16x16_bf16 a[0:3], v[34:35], v[36:37], 0
	ds_read_b64 v[34:35], v97
	s_add_u32 s36, s5, s33
	s_addc_u32 s37, s37, s48
	v_mfma_f32_16x16x16_bf16 a[0:3], v[40:41], v[38:39], a[0:3]
	ds_read_b64 v[40:41], v98
	s_lshl_b64 s[36:37], s[36:37], 15
	s_mul_i32 s39, s43, s29
	s_mul_hi_i32 s5, s43, s29
	s_add_u32 s46, s39, s33
	s_addc_u32 s47, s5, s48
	s_lshl_b64 s[46:47], s[46:47], 9
	s_add_u32 s46, s8, s46
	s_waitcnt lgkmcnt(1)
	v_mfma_f32_16x16x16_bf16 a[4:7], v[34:35], v[36:37], 0
	s_addc_u32 s47, s9, s47
	s_and_b64 vcc, exec, s[0:1]
	v_mfma_f32_16x16x16_bf16 a[0:3], v[42:43], v[106:107], a[0:3]
	ds_read_b64 v[42:43], v99
	ds_read_b64 v[116:117], v100
	global_load_dwordx4 v[34:37], v96, s[46:47]
	s_waitcnt lgkmcnt(2)
	v_mfma_f32_16x16x16_bf16 a[4:7], v[40:41], v[38:39], a[4:7]
	global_load_dwordx4 v[38:41], v91, s[46:47]
	ds_read_b64 v[110:111], v59
	ds_read_b64 v[112:113], v88
	s_waitcnt lgkmcnt(3)
	v_mfma_f32_16x16x16_bf16 a[8:11], v[42:43], v[106:107], a[4:7]
	v_lshl_add_u64 v[42:43], v[60:61], 0, s[36:37]
	s_waitcnt lgkmcnt(0)
	global_store_dwordx4 v[42:43], v[110:113], off
	v_mfma_f32_16x16x16_bf16 a[4:7], v[114:115], v[108:109], a[0:3]
	s_waitcnt vmcnt(2)
	v_mov_b32_e32 v44, v37
	v_mfma_f32_16x16x16_bf16 a[0:3], v[116:117], v[108:109], a[8:11]
	v_mov_b32_e32 v43, v36
	v_mov_b32_e32 v42, v35
	s_cbranch_vccnz .LBB529_16
; %bb.15:                               ;   in Loop: Header=BB529_6 Depth=1
	v_lshrrev_b32_e32 v35, 3, v103
	v_and_b32_e32 v35, 6, v35
	v_xor_b32_e32 v36, v35, v104
	v_lshlrev_b32_e32 v36, 2, v36
	v_and_b32_e32 v37, 8, v103
	v_xor_b32_e32 v103, 0x440, v36
	v_cmp_eq_u32_e32 vcc, 0, v37
	v_perm_b32 v37, v22, v18, s64
	s_nop 0
	v_cndmask_b32_e32 v36, v103, v36, vcc
	v_lshl_or_b32 v35, v35, 10, v36
	v_perm_b32 v36, v30, v26, s64
	s_barrier
	ds_write2st64_b32 v35, v36, v37 offset1:32
	v_xor_b32_e32 v36, 8, v35
	v_perm_b32 v26, v30, v26, s65
	v_perm_b32 v18, v22, v18, s65
	v_add_u32_e32 v22, 0x80, v36
	ds_write2st64_b32 v22, v26, v18 offset1:32
	v_xor_b32_e32 v18, 16, v35
	v_perm_b32 v22, v31, v27, s64
	v_perm_b32 v26, v23, v19, s64
	ds_write2st64_b32 v18, v22, v26 offset0:1 offset1:33
	v_xor_b32_e32 v18, 24, v35
	v_perm_b32 v22, v31, v27, s65
	v_perm_b32 v19, v23, v19, s65
	v_add_u32_e32 v18, 0x80, v18
	ds_write2st64_b32 v18, v22, v19 offset0:1 offset1:33
	v_xor_b32_e32 v18, 32, v35
	v_perm_b32 v19, v32, v28, s64
	v_perm_b32 v22, v24, v20, s64
	ds_write2st64_b32 v18, v19, v22 offset0:2 offset1:34
	v_xor_b32_e32 v18, 40, v35
	v_perm_b32 v19, v32, v28, s65
	v_perm_b32 v20, v24, v20, s65
	v_add_u32_e32 v18, 0x80, v18
	ds_write2st64_b32 v18, v19, v20 offset0:2 offset1:34
	;; [unrolled: 9-line block ×3, first 2 shown]
	ds_write_b64 v102, v[14:15] offset:16384
	v_xor_b32_e32 v14, 8, v102
	ds_write_b64 v14, v[16:17] offset:16384
	ds_write_b64 v102, v[10:11] offset:24576
	;; [unrolled: 1-line block ×4, first 2 shown]
	v_xor_b32_e32 v6, 8, v101
	ds_write_b64 v6, v[8:9] offset:16384
	ds_write_b64 v101, v[2:3] offset:24576
	;; [unrolled: 1-line block ×3, first 2 shown]
.LBB529_16:                             ;   in Loop: Header=BB529_6 Depth=1
	v_exp_f32_e32 v10, s4
	s_waitcnt vmcnt(1)
	v_exp_f32_e32 v12, v38
	v_exp_f32_e32 v13, v39
	;; [unrolled: 1-line block ×4, first 2 shown]
	v_accvgpr_read_b32 v2, a4
	v_accvgpr_read_b32 v3, a5
	v_pk_mul_f32 v[12:13], v[10:11], v[12:13] op_sel_hi:[0,1]
	v_pk_fma_f32 v[52:53], v[52:53], v[12:13], v[2:3]
	v_exp_f32_e32 v12, v34
	v_exp_f32_e32 v13, v42
	v_pk_mul_f32 v[2:3], v[10:11], v[14:15] op_sel_hi:[0,1]
	v_exp_f32_e32 v14, v43
	v_exp_f32_e32 v15, v44
	v_accvgpr_read_b32 v4, a6
	v_accvgpr_read_b32 v5, a7
	;; [unrolled: 1-line block ×5, first 2 shown]
	v_pk_fma_f32 v[56:57], v[56:57], v[2:3], v[4:5]
	v_pk_mul_f32 v[2:3], v[10:11], v[12:13] op_sel_hi:[0,1]
	v_accvgpr_read_b32 v8, a2
	v_pk_fma_f32 v[50:51], v[50:51], v[2:3], v[6:7]
	v_pk_mul_f32 v[2:3], v[10:11], v[14:15] op_sel_hi:[0,1]
	s_add_i32 s61, s61, 64
	s_cmp_eq_u32 s55, s41
	v_pk_fma_f32 v[54:55], v[54:55], v[2:3], v[8:9]
	s_cbranch_scc1 .LBB529_18
; %bb.17:                               ;   in Loop: Header=BB529_6 Depth=1
	s_mov_b32 s66, s41
	s_branch .LBB529_6
.LBB529_18:
	s_lshl_b32 s0, s55, 6
	s_sub_i32 s46, s56, s0
	s_cmp_gt_i32 s46, 0
	s_cbranch_scc0 .LBB529_75
; %bb.19:
	s_add_i32 s34, s0, s34
	s_ashr_i32 s3, s34, 31
	s_cmpk_lg_i32 s31, 0x80
	s_cselect_b64 s[38:39], -1, 0
	s_and_b64 vcc, exec, s[38:39]
	s_cbranch_vccz .LBB529_21
; %bb.20:
	s_mul_i32 s1, s34, s30
	s_ashr_i32 s4, s57, 31
	s_mul_hi_i32 s0, s34, s30
	s_add_u32 s44, s1, s57
	s_addc_u32 s45, s0, s4
	s_cbranch_execz .LBB529_22
	s_branch .LBB529_23
.LBB529_21:
                                        ; implicit-def: $sgpr44_sgpr45
.LBB529_22:
	s_mul_i32 s1, s57, s28
	s_mul_hi_i32 s0, s57, s28
	s_add_u32 s44, s1, s34
	s_addc_u32 s45, s0, s3
.LBB529_23:
	s_waitcnt lgkmcnt(0)
	s_add_i32 s4, s55, s60
	s_add_u32 s0, s59, s34
	s_addc_u32 s1, s58, s3
	s_mov_b32 s3, 0x7060302
	v_lshlrev_b32_e32 v6, 3, v67
	s_lshl_b64 s[36:37], s[0:1], 8
	v_perm_b32 v3, v57, v56, s3
	v_perm_b32 v2, v53, v52, s3
	;; [unrolled: 1-line block ×4, first 2 shown]
	v_lshlrev_b32_e32 v34, 2, v67
	v_lshl_or_b32 v6, v70, 5, v6
	s_add_u32 s0, s18, s36
	ds_write2st64_b64 v6, v[2:3], v[4:5] offset0:72 offset1:76
	v_xor_b32_e32 v6, v70, v34
	v_lshlrev_b32_e32 v7, 8, v67
	s_addc_u32 s1, s19, s37
	v_lshl_or_b32 v6, v6, 1, v7
	s_mul_hi_i32 s3, s4, s29
	s_mul_i32 s4, s4, s29
	ds_write_b64 v6, v[2:3] offset:32768
	v_xor_b32_e32 v2, v71, v34
	s_add_u32 s4, s4, s33
	v_lshl_or_b32 v2, v2, 1, v7
	s_addc_u32 s5, s3, s48
	v_lshlrev_b32_e32 v3, 1, v67
	ds_write_b64 v2, v[4:5] offset:32768
	v_lshrrev_b32_e32 v2, 4, v0
	s_ashr_i32 s3, s2, 31
	s_lshl_b64 s[4:5], s[4:5], 15
	v_or_b32_e32 v4, 1, v3
	s_add_u32 s4, s12, s4
	v_xor_b32_e32 v3, v2, v3
	v_xor_b32_e32 v4, v4, v2
	v_lshlrev_b32_e32 v6, 8, v2
	s_addc_u32 s5, s13, s5
	s_lshl_b64 s[2:3], s[2:3], 8
	v_lshl_or_b32 v2, v3, 3, v6
	v_lshl_or_b32 v4, v4, 3, v6
	s_waitcnt lgkmcnt(0)
	s_barrier
	s_add_u32 s2, s4, s2
	ds_read_b64 v[2:3], v2 offset:32768
	ds_read_b64 v[4:5], v4 offset:32768
	s_addc_u32 s3, s5, s3
	v_mov_b32_e32 v7, 0
	s_cmp_lg_u32 s46, 64
	v_lshl_add_u64 v[8:9], s[2:3], 0, v[6:7]
	v_lshlrev_b32_e32 v6, 4, v67
	s_cselect_b64 s[18:19], -1, 0
	v_lshl_or_b32 v36, v1, 3, v69
	s_mov_b32 s4, 0
	v_lshl_add_u64 v[6:7], v[8:9], 0, v[6:7]
	v_or_b32_e32 v19, 32, v36
	v_and_b32_e32 v18, 56, v68
	s_and_b64 vcc, exec, s[18:19]
	s_waitcnt lgkmcnt(0)
	global_store_dwordx4 v[6:7], v[2:5], off
	s_cbranch_vccz .LBB529_29
; %bb.24:
	s_mov_b32 s6, s4
	s_mov_b32 s7, s4
	;; [unrolled: 1-line block ×3, first 2 shown]
	v_mov_b64_e32 v[8:9], s[6:7]
	v_mov_b64_e32 v[6:7], s[4:5]
	;; [unrolled: 1-line block ×3, first 2 shown]
	v_cmp_gt_i32_e32 vcc, s46, v36
	v_mov_b64_e32 v[4:5], v[8:9]
	s_and_saveexec_b64 s[2:3], vcc
	s_cbranch_execz .LBB529_26
; %bb.25:
	v_lshlrev_b32_e32 v2, 8, v36
	v_mov_b32_e32 v3, 0
	v_lshl_add_u64 v[4:5], s[0:1], 0, v[2:3]
	v_lshlrev_b32_e32 v2, 1, v18
	v_lshl_add_u64 v[10:11], v[4:5], 0, v[2:3]
	global_load_dwordx4 v[6:9], v[10:11], off
	global_load_dwordx4 v[2:5], v[10:11], off offset:128
.LBB529_26:
	s_or_b64 exec, exec, s[2:3]
	s_mov_b32 s6, s4
	s_mov_b32 s7, s4
	;; [unrolled: 1-line block ×3, first 2 shown]
	v_mov_b64_e32 v[16:17], s[6:7]
	v_mov_b64_e32 v[14:15], s[4:5]
	;; [unrolled: 1-line block ×3, first 2 shown]
	v_cmp_gt_i32_e32 vcc, s46, v19
	v_lshlrev_b32_e32 v20, 7, v19
	v_mov_b64_e32 v[12:13], v[16:17]
	s_and_saveexec_b64 s[2:3], vcc
	s_cbranch_execz .LBB529_28
; %bb.27:
	v_lshlrev_b32_e32 v10, 1, v20
	v_mov_b32_e32 v11, 0
	v_lshl_add_u64 v[12:13], s[0:1], 0, v[10:11]
	v_lshlrev_b32_e32 v10, 1, v18
	v_lshl_add_u64 v[22:23], v[12:13], 0, v[10:11]
	global_load_dwordx4 v[14:17], v[22:23], off
	global_load_dwordx4 v[10:13], v[22:23], off offset:128
.LBB529_28:
	s_or_b64 exec, exec, s[2:3]
	v_lshrrev_b32_e32 v21, 3, v18
	v_lshlrev_b32_e32 v22, 3, v36
	v_or_b32_e32 v21, v22, v21
	v_lshlrev_b32_e32 v21, 4, v21
	v_and_b32_e32 v22, 0x78, v22
	v_xor_b32_e32 v21, v21, v22
	s_branch .LBB529_31
.LBB529_29:
                                        ; implicit-def: $vgpr21
                                        ; implicit-def: $vgpr20
                                        ; implicit-def: $vgpr6_vgpr7_vgpr8_vgpr9
                                        ; implicit-def: $vgpr2_vgpr3_vgpr4_vgpr5
                                        ; implicit-def: $vgpr14_vgpr15_vgpr16_vgpr17
                                        ; implicit-def: $vgpr10_vgpr11_vgpr12_vgpr13
	s_cbranch_execz .LBB529_31
; %bb.30:
	s_waitcnt vmcnt(0)
	v_lshlrev_b32_e32 v2, 1, v18
	v_lshl_or_b32 v20, v36, 8, v2
	s_and_b32 s1, s1, 0xffff
	s_mov_b32 s3, 0x20000
	s_movk_i32 s2, 0x4000
	v_lshl_or_b32 v21, v19, 8, v2
	s_movk_i32 s4, 0x80
	buffer_load_dwordx4 v[6:9], v20, s[0:3], 0 offen
	buffer_load_dwordx4 v[2:5], v20, s[0:3], s4 offen
	;; [unrolled: 1-line block ×4, first 2 shown]
	v_lshrrev_b32_e32 v20, 3, v18
	v_lshlrev_b32_e32 v21, 3, v36
	v_or_b32_e32 v20, v21, v20
	v_lshlrev_b32_e32 v20, 4, v20
	v_and_b32_e32 v21, 0x78, v21
	v_xor_b32_e32 v21, v20, v21
	v_lshlrev_b32_e32 v20, 7, v19
.LBB529_31:
	s_lshl_b64 s[0:1], s[44:45], 8
	s_add_u32 s4, s16, s0
	s_movk_i32 s0, 0x1000
	v_and_or_b32 v19, v20, s0, v21
	s_waitcnt vmcnt(1)
	ds_write_b64 v21, v[6:7] offset:16384
	v_xor_b32_e32 v6, 8, v21
	ds_write_b64 v6, v[8:9] offset:16384
	s_waitcnt vmcnt(0)
	ds_write_b64 v21, v[2:3] offset:24576
	ds_write_b64 v6, v[4:5] offset:24576
	;; [unrolled: 1-line block ×3, first 2 shown]
	v_xor_b32_e32 v2, 8, v19
	ds_write_b64 v2, v[16:17] offset:16384
	ds_write_b64 v19, v[10:11] offset:24576
	ds_write_b64 v2, v[12:13] offset:24576
	v_or_b32_e32 v2, v45, v67
	v_lshlrev_b32_e32 v2, 3, v2
	v_lshrrev_b32_e32 v4, 5, v49
	s_movk_i32 s6, 0xf8
	v_and_or_b32 v4, v2, s6, v4
	v_lshlrev_b32_e32 v35, 11, v1
	v_lshlrev_b32_e32 v12, 4, v4
	v_and_b32_e32 v13, 0x78, v2
	v_and_b32_e32 v14, 0x1000, v35
	v_lshlrev_b32_e32 v3, 2, v0
	v_xor_b32_e32 v2, v12, v13
	v_lshrrev_b32_e32 v4, 1, v49
	v_and_b32_e32 v3, 60, v3
	v_or_b32_e32 v2, v2, v14
	v_and_b32_e32 v15, 8, v4
	v_xor_b32_e32 v26, v2, v15
	v_lshl_or_b32 v2, v66, 6, v3
	v_lshlrev_b32_e32 v37, 1, v2
	v_or_b32_e32 v2, 32, v12
	v_xor_b32_e32 v2, v2, v13
	s_waitcnt lgkmcnt(0)
	s_barrier
	ds_read_b64 v[10:11], v26 offset:16384
	v_or_b32_e32 v2, v2, v14
	v_xor_b32_e32 v27, v2, v15
	v_or_b32_e32 v2, 64, v12
	v_xor_b32_e32 v2, v2, v13
	v_or_b32_e32 v2, v2, v14
	v_or_b32_e32 v12, 0x60, v12
	v_xor_b32_e32 v28, v2, v15
	ds_read2st64_b64 v[2:5], v37 offset0:72 offset1:73
	ds_read2st64_b64 v[6:9], v37 offset0:74 offset1:75
	v_xor_b32_e32 v16, v12, v13
	ds_read_b64 v[12:13], v27 offset:16384
	s_addc_u32 s5, s17, s1
	s_add_i32 s0, s50, s49
	s_waitcnt lgkmcnt(2)
	v_mfma_f32_16x16x16_bf16 a[0:3], v[10:11], v[2:3], 0
	s_add_i32 s17, s35, -1
	s_add_i32 s43, s0, s51
	s_add_i32 s0, s53, s52
	;; [unrolled: 1-line block ×3, first 2 shown]
	s_ashr_i32 s0, s17, 31
	s_mul_i32 s1, s17, s11
	s_mul_hi_u32 s2, s17, s10
	s_add_i32 s1, s2, s1
	s_mul_i32 s0, s0, s10
	v_or_b32_e32 v14, v16, v14
	s_add_i32 s1, s1, s0
	s_lshl_b64 s[2:3], s[42:43], 2
	v_xor_b32_e32 v38, v14, v15
	ds_read_b64 v[14:15], v28 offset:16384
	ds_read_b64 v[16:17], v38 offset:16384
	s_waitcnt lgkmcnt(2)
	v_mfma_f32_16x16x16_bf16 a[0:3], v[12:13], v[4:5], a[0:3]
	s_add_u32 s6, s22, s2
	s_addc_u32 s7, s23, s3
	s_lshl_b64 s[2:3], s[40:41], 2
	s_mul_i32 s0, s17, s10
	s_add_u32 s12, s6, s2
	s_addc_u32 s13, s7, s3
	s_lshl_b64 s[0:1], s[0:1], 2
	s_waitcnt lgkmcnt(1)
	v_mfma_f32_16x16x16_bf16 a[0:3], v[14:15], v[6:7], a[0:3]
	s_add_u32 s0, s12, s0
	s_addc_u32 s1, s13, s1
	s_load_dword s16, s[0:1], 0x0
	s_waitcnt lgkmcnt(0)
	v_mfma_f32_16x16x16_bf16 a[0:3], v[16:17], v[8:9], a[0:3]
	s_and_b64 vcc, exec, s[38:39]
	s_cbranch_vccz .LBB529_42
; %bb.32:
	v_lshlrev_b32_e32 v19, 1, v36
	s_and_b64 vcc, exec, s[18:19]
	s_cbranch_vccz .LBB529_43
; %bb.33:
	v_cmp_gt_i32_e32 vcc, s46, v19
	v_mov_b32_e32 v6, 0
	v_mov_b32_e32 v2, 0
	;; [unrolled: 1-line block ×5, first 2 shown]
	s_and_saveexec_b64 s[0:1], vcc
	s_cbranch_execz .LBB529_35
; %bb.34:
	v_mad_i64_i32 v[2:3], s[2:3], s31, v19, 0
	v_lshl_add_u64 v[2:3], v[2:3], 1, s[4:5]
	v_lshlrev_b32_e32 v4, 1, v18
	v_mov_b32_e32 v5, 0
	v_lshl_add_u64 v[2:3], v[2:3], 0, v[4:5]
	global_load_dwordx4 v[2:5], v[2:3], off
.LBB529_35:
	s_or_b64 exec, exec, s[0:1]
	v_or_b32_e32 v20, 1, v19
	v_cmp_gt_i32_e64 s[0:1], s46, v20
	v_mov_b32_e32 v7, 0
	v_mov_b32_e32 v8, 0
	;; [unrolled: 1-line block ×3, first 2 shown]
	s_and_saveexec_b64 s[2:3], s[0:1]
	s_cbranch_execz .LBB529_37
; %bb.36:
	v_mad_i64_i32 v[6:7], s[6:7], s31, v20, 0
	v_lshl_add_u64 v[6:7], v[6:7], 1, s[4:5]
	v_lshlrev_b32_e32 v8, 1, v18
	v_mov_b32_e32 v9, 0
	v_lshl_add_u64 v[6:7], v[6:7], 0, v[8:9]
	global_load_dwordx4 v[6:9], v[6:7], off
.LBB529_37:
	s_or_b64 exec, exec, s[2:3]
	v_mov_b32_e32 v17, 0
	v_mov_b32_e32 v10, 0
	;; [unrolled: 1-line block ×5, first 2 shown]
	s_and_saveexec_b64 s[2:3], vcc
	s_cbranch_execz .LBB529_39
; %bb.38:
	v_mad_i64_i32 v[10:11], s[6:7], s31, v19, 0
	v_lshl_add_u64 v[10:11], v[10:11], 1, s[4:5]
	v_lshlrev_b32_e32 v12, 1, v18
	v_mov_b32_e32 v13, 0
	v_lshl_add_u64 v[10:11], v[10:11], 0, v[12:13]
	global_load_dwordx4 v[10:13], v[10:11], off offset:128
.LBB529_39:
	s_or_b64 exec, exec, s[2:3]
	v_mov_b32_e32 v16, 0
	v_mov_b32_e32 v15, 0
	;; [unrolled: 1-line block ×3, first 2 shown]
	s_and_saveexec_b64 s[2:3], s[0:1]
	s_cbranch_execz .LBB529_41
; %bb.40:
	v_mad_i64_i32 v[14:15], s[0:1], s31, v20, 0
	v_lshl_add_u64 v[14:15], v[14:15], 1, s[4:5]
	v_lshlrev_b32_e32 v16, 1, v18
	v_mov_b32_e32 v17, 0
	v_lshl_add_u64 v[14:15], v[14:15], 0, v[16:17]
	global_load_dwordx4 v[14:17], v[14:15], off offset:128
.LBB529_41:
	s_or_b64 exec, exec, s[2:3]
	s_branch .LBB529_45
.LBB529_42:
                                        ; implicit-def: $vgpr5
                                        ; implicit-def: $vgpr9
                                        ; implicit-def: $vgpr13
                                        ; implicit-def: $vgpr17
	v_lshrrev_b32_e32 v19, 2, v49
	s_branch .LBB529_46
.LBB529_43:
                                        ; implicit-def: $vgpr5
                                        ; implicit-def: $vgpr9
                                        ; implicit-def: $vgpr13
                                        ; implicit-def: $vgpr17
	s_cbranch_execz .LBB529_45
; %bb.44:
	s_waitcnt vmcnt(0)
	v_mad_u64_u32 v[2:3], s[0:1], v19, s31, v[18:19]
	v_lshlrev_b32_e32 v19, 1, v2
	s_lshl_b32 s2, s31, 7
	s_and_b32 s1, s5, 0xffff
	s_mov_b32 s3, 0x20000
	s_mov_b32 s0, s4
	v_add_lshl_u32 v20, v2, s31, 1
	s_movk_i32 s6, 0x80
	buffer_load_dwordx4 v[2:5], v19, s[0:3], 0 offen
	buffer_load_dwordx4 v[10:13], v19, s[0:3], s6 offen
	;; [unrolled: 1-line block ×4, first 2 shown]
.LBB529_45:
	v_lshrrev_b32_e32 v19, 2, v49
	s_cbranch_execnz .LBB529_58
.LBB529_46:
	s_and_b64 vcc, exec, s[18:19]
	s_cbranch_vccz .LBB529_56
; %bb.47:
	s_waitcnt vmcnt(0)
	v_lshlrev_b32_e32 v7, 1, v36
	v_cmp_gt_i32_e32 vcc, s46, v7
	v_mov_b32_e32 v6, 0
	v_lshlrev_b32_e32 v14, 9, v36
	v_mov_b32_e32 v2, 0
	v_mov_b32_e32 v3, 0
	;; [unrolled: 1-line block ×4, first 2 shown]
	s_and_saveexec_b64 s[0:1], vcc
	s_cbranch_execz .LBB529_49
; %bb.48:
	v_mov_b32_e32 v15, 0
	v_lshl_add_u64 v[2:3], s[4:5], 0, v[14:15]
	v_lshlrev_b32_e32 v4, 1, v18
	v_mov_b32_e32 v5, v15
	v_lshl_add_u64 v[2:3], v[2:3], 0, v[4:5]
	global_load_dwordx4 v[2:5], v[2:3], off
.LBB529_49:
	s_or_b64 exec, exec, s[0:1]
	v_or_b32_e32 v7, 1, v7
	v_cmp_gt_i32_e64 s[0:1], s46, v7
	v_lshlrev_b32_e32 v20, 8, v7
	v_mov_b32_e32 v7, 0
	v_mov_b32_e32 v8, 0
	;; [unrolled: 1-line block ×3, first 2 shown]
	s_and_saveexec_b64 s[2:3], s[0:1]
	s_cbranch_execz .LBB529_51
; %bb.50:
	v_mov_b32_e32 v21, 0
	v_lshl_add_u64 v[6:7], s[4:5], 0, v[20:21]
	v_lshlrev_b32_e32 v8, 1, v18
	v_mov_b32_e32 v9, v21
	v_lshl_add_u64 v[6:7], v[6:7], 0, v[8:9]
	global_load_dwordx4 v[6:9], v[6:7], off
.LBB529_51:
	s_or_b64 exec, exec, s[2:3]
	v_mov_b32_e32 v17, 0
	v_mov_b32_e32 v10, 0
	;; [unrolled: 1-line block ×5, first 2 shown]
	s_and_saveexec_b64 s[2:3], vcc
	s_cbranch_execz .LBB529_53
; %bb.52:
	v_mov_b32_e32 v15, 0
	v_lshl_add_u64 v[10:11], s[4:5], 0, v[14:15]
	v_lshlrev_b32_e32 v14, 1, v18
	v_lshl_add_u64 v[10:11], v[10:11], 0, v[14:15]
	global_load_dwordx4 v[10:13], v[10:11], off offset:128
.LBB529_53:
	s_or_b64 exec, exec, s[2:3]
	v_mov_b32_e32 v16, 0
	v_mov_b32_e32 v15, 0
	;; [unrolled: 1-line block ×3, first 2 shown]
	s_and_saveexec_b64 s[2:3], s[0:1]
	s_cbranch_execz .LBB529_55
; %bb.54:
	v_mov_b32_e32 v21, 0
	v_lshl_add_u64 v[14:15], s[4:5], 0, v[20:21]
	v_lshlrev_b32_e32 v20, 1, v18
	v_lshl_add_u64 v[14:15], v[14:15], 0, v[20:21]
	global_load_dwordx4 v[14:17], v[14:15], off offset:128
.LBB529_55:
	s_or_b64 exec, exec, s[2:3]
	s_branch .LBB529_58
.LBB529_56:
                                        ; implicit-def: $vgpr5
                                        ; implicit-def: $vgpr9
                                        ; implicit-def: $vgpr13
                                        ; implicit-def: $vgpr17
	s_cbranch_execz .LBB529_58
; %bb.57:
	s_waitcnt vmcnt(0)
	v_lshlrev_b32_e32 v2, 1, v18
	v_lshl_or_b32 v18, v36, 9, v2
	s_and_b32 s5, s5, 0xffff
	s_mov_b32 s7, 0x20000
	s_movk_i32 s6, 0x4000
	s_movk_i32 s0, 0x80
	buffer_load_dwordx4 v[2:5], v18, s[4:7], 0 offen
	buffer_load_dwordx4 v[6:9], v18, s[4:7], 0 offen offset:256
	buffer_load_dwordx4 v[10:13], v18, s[4:7], s0 offen
	buffer_load_dwordx4 v[14:17], v18, s[4:7], s0 offen offset:256
.LBB529_58:
	v_and_b32_e32 v39, 12, v19
	ds_read2st64_b64 v[22:25], v37 offset0:76 offset1:77
	ds_read2st64_b64 v[18:21], v37 offset0:78 offset1:79
	ds_read_b64 v[32:33], v26 offset:24576
	ds_read_b64 v[30:31], v27 offset:24576
	;; [unrolled: 1-line block ×4, first 2 shown]
	v_and_b32_e32 v38, 6, v0
	v_xor_b32_e32 v36, v36, v38
	v_lshlrev_b32_e32 v36, 2, v36
	v_and_b32_e32 v40, 1, v0
	v_xor_b32_e32 v41, 0x440, v36
	v_cmp_eq_u32_e32 vcc, 0, v40
	s_mov_b32 s0, 0x1000504
	s_waitcnt vmcnt(0)
	v_perm_b32 v40, v10, v14, s0
	v_cndmask_b32_e32 v36, v41, v36, vcc
	v_lshl_or_b32 v36, v38, 10, v36
	v_perm_b32 v38, v2, v6, s0
	ds_write2st64_b32 v36, v38, v40 offset1:32
	v_xor_b32_e32 v38, 8, v36
	s_mov_b32 s1, 0x3020706
	v_perm_b32 v2, v2, v6, s1
	v_perm_b32 v6, v10, v14, s1
	v_add_u32_e32 v10, 0x80, v38
	ds_write2st64_b32 v10, v2, v6 offset1:32
	v_xor_b32_e32 v2, 16, v36
	v_perm_b32 v6, v3, v7, s0
	v_perm_b32 v10, v11, v15, s0
	ds_write2st64_b32 v2, v6, v10 offset0:1 offset1:33
	v_xor_b32_e32 v2, 24, v36
	v_perm_b32 v3, v3, v7, s1
	v_perm_b32 v6, v11, v15, s1
	v_add_u32_e32 v2, 0x80, v2
	ds_write2st64_b32 v2, v3, v6 offset0:1 offset1:33
	v_xor_b32_e32 v2, 32, v36
	v_perm_b32 v3, v4, v8, s0
	v_perm_b32 v6, v12, v16, s0
	ds_write2st64_b32 v2, v3, v6 offset0:2 offset1:34
	v_xor_b32_e32 v2, 40, v36
	v_perm_b32 v3, v4, v8, s1
	v_perm_b32 v4, v12, v16, s1
	v_add_u32_e32 v2, 0x80, v2
	ds_write2st64_b32 v2, v3, v4 offset0:2 offset1:34
	v_xor_b32_e32 v2, 48, v36
	v_perm_b32 v3, v5, v9, s0
	v_perm_b32 v4, v13, v17, s0
	ds_write2st64_b32 v2, v3, v4 offset0:3 offset1:35
	v_xor_b32_e32 v2, 56, v36
	v_or_b32_e32 v10, v39, v45
	v_perm_b32 v3, v5, v9, s1
	v_perm_b32 v4, v13, v17, s1
	v_add_u32_e32 v2, 0x80, v2
	v_cmp_gt_i32_e64 s[2:3], s46, v10
	v_mov_b32_e32 v12, 0
	v_mov_b32_e32 v17, 0
	ds_write2st64_b32 v2, v3, v4 offset0:3 offset1:35
	s_and_saveexec_b64 s[0:1], s[2:3]
	s_cbranch_execz .LBB529_60
; %bb.59:
	v_add_u32_e32 v2, s34, v10
	v_ashrrev_i32_e32 v3, 31, v2
	v_mul_lo_u32 v4, v3, s10
	v_mul_lo_u32 v5, v2, s11
	v_mad_u64_u32 v[2:3], s[4:5], v2, s10, 0
	v_add3_u32 v3, v3, v5, v4
	v_lshl_add_u64 v[2:3], v[2:3], 2, s[12:13]
	global_load_dword v2, v[2:3], off
	s_waitcnt vmcnt(0)
	v_sub_f32_e32 v2, s16, v2
	v_exp_f32_e32 v17, v2
.LBB529_60:
	s_or_b64 exec, exec, s[0:1]
	v_or_b32_e32 v15, 1, v10
	v_cmp_gt_i32_e64 s[4:5], s46, v15
	s_and_saveexec_b64 s[0:1], s[4:5]
	s_cbranch_execz .LBB529_62
; %bb.61:
	v_add_u32_e32 v2, s34, v15
	v_ashrrev_i32_e32 v3, 31, v2
	v_mul_lo_u32 v4, v3, s10
	v_mul_lo_u32 v5, v2, s11
	v_mad_u64_u32 v[2:3], s[6:7], v2, s10, 0
	v_add3_u32 v3, v3, v5, v4
	v_lshl_add_u64 v[2:3], v[2:3], 2, s[12:13]
	global_load_dword v2, v[2:3], off
	s_waitcnt vmcnt(0)
	v_sub_f32_e32 v2, s16, v2
	v_exp_f32_e32 v12, v2
.LBB529_62:
	s_or_b64 exec, exec, s[0:1]
	v_or_b32_e32 v14, 2, v10
	v_cmp_gt_i32_e64 s[0:1], s46, v14
	v_mov_b32_e32 v11, 0
	v_mov_b32_e32 v16, 0
	s_and_saveexec_b64 s[6:7], s[0:1]
	s_cbranch_execz .LBB529_64
; %bb.63:
	v_add_u32_e32 v2, s34, v14
	v_ashrrev_i32_e32 v3, 31, v2
	v_mul_lo_u32 v4, v3, s10
	v_mul_lo_u32 v5, v2, s11
	v_mad_u64_u32 v[2:3], s[18:19], v2, s10, 0
	v_add3_u32 v3, v3, v5, v4
	v_lshl_add_u64 v[2:3], v[2:3], 2, s[12:13]
	global_load_dword v2, v[2:3], off
	s_waitcnt vmcnt(0)
	v_sub_f32_e32 v2, s16, v2
	v_exp_f32_e32 v16, v2
.LBB529_64:
	s_or_b64 exec, exec, s[6:7]
	v_or_b32_e32 v13, 3, v10
	v_cmp_gt_i32_e32 vcc, s46, v13
	s_and_saveexec_b64 s[6:7], vcc
	s_cbranch_execz .LBB529_66
; %bb.65:
	v_add_u32_e32 v2, s34, v13
	v_ashrrev_i32_e32 v3, 31, v2
	v_mul_lo_u32 v4, v3, s10
	v_mul_lo_u32 v5, v2, s11
	v_mad_u64_u32 v[2:3], s[10:11], v2, s10, 0
	v_add3_u32 v3, v3, v5, v4
	v_lshl_add_u64 v[2:3], v[2:3], 2, s[12:13]
	global_load_dword v2, v[2:3], off
	s_waitcnt vmcnt(0)
	v_sub_f32_e32 v2, s16, v2
	v_exp_f32_e32 v11, v2
.LBB529_66:
	s_or_b64 exec, exec, s[6:7]
	s_waitcnt lgkmcnt(11)
	v_mfma_f32_16x16x16_bf16 a[0:3], v[32:33], v[22:23], a[0:3]
	s_add_u32 s6, s20, s36
	v_ashrrev_i32_e32 v59, 31, v58
	s_addc_u32 s7, s21, s37
	s_waitcnt lgkmcnt(10)
	v_mfma_f32_16x16x16_bf16 a[0:3], v[30:31], v[24:25], a[0:3]
	v_lshlrev_b64 v[2:3], 1, v[58:59]
	v_lshl_add_u64 v[6:7], s[6:7], 0, v[2:3]
	s_add_u32 s6, s14, s36
	s_waitcnt lgkmcnt(9)
	v_mfma_f32_16x16x16_bf16 a[0:3], v[28:29], v[18:19], a[0:3]
	s_addc_u32 s7, s15, s37
	v_lshl_add_u64 v[8:9], s[6:7], 0, v[2:3]
	v_mov_b32_e32 v18, 0
	s_waitcnt lgkmcnt(8)
	v_mfma_f32_16x16x16_bf16 a[0:3], v[26:27], v[20:21], a[0:3]
	v_mov_b32_e32 v19, 0
	s_nop 5
	v_accvgpr_read_b32 v5, a3
	v_accvgpr_read_b32 v4, a2
	;; [unrolled: 1-line block ×4, first 2 shown]
	s_and_saveexec_b64 s[6:7], s[2:3]
	s_cbranch_execz .LBB529_68
; %bb.67:
	v_lshlrev_b32_e32 v20, 8, v10
	v_mov_b32_e32 v21, 0
	v_lshl_add_u64 v[22:23], v[6:7], 0, v[20:21]
	global_load_ushort v19, v[22:23], off
	v_lshl_add_u64 v[20:21], v[8:9], 0, v[20:21]
	s_waitcnt vmcnt(0)
	v_lshlrev_b32_e32 v19, 16, v19
	v_sub_f32_e32 v2, v19, v2
	global_store_short_d16_hi v[20:21], v2, off
	v_mul_f32_e32 v2, v17, v2
	v_lshrrev_b32_e32 v19, 16, v2
.LBB529_68:
	s_or_b64 exec, exec, s[6:7]
	s_and_saveexec_b64 s[2:3], s[4:5]
	s_cbranch_execz .LBB529_70
; %bb.69:
	v_lshlrev_b32_e32 v20, 8, v15
	v_mov_b32_e32 v21, 0
	v_lshl_add_u64 v[22:23], v[6:7], 0, v[20:21]
	global_load_ushort v2, v[22:23], off
	v_lshl_add_u64 v[20:21], v[8:9], 0, v[20:21]
	s_waitcnt vmcnt(0)
	v_lshlrev_b32_e32 v2, 16, v2
	v_sub_f32_e32 v2, v2, v3
	global_store_short_d16_hi v[20:21], v2, off
	v_mul_f32_e32 v2, v12, v2
	v_lshrrev_b32_e32 v18, 16, v2
.LBB529_70:
	s_or_b64 exec, exec, s[2:3]
	v_mov_b32_e32 v3, 0
	v_mov_b32_e32 v12, 0
	s_and_saveexec_b64 s[2:3], s[0:1]
	s_cbranch_execz .LBB529_72
; %bb.71:
	v_lshlrev_b32_e32 v14, 8, v14
	v_mov_b32_e32 v15, 0
	v_lshl_add_u64 v[20:21], v[6:7], 0, v[14:15]
	global_load_ushort v2, v[20:21], off
	v_lshl_add_u64 v[14:15], v[8:9], 0, v[14:15]
	s_waitcnt vmcnt(0)
	v_lshlrev_b32_e32 v2, 16, v2
	v_sub_f32_e32 v2, v2, v4
	global_store_short_d16_hi v[14:15], v2, off
	v_mul_f32_e32 v2, v16, v2
	v_lshrrev_b32_e32 v12, 16, v2
.LBB529_72:
	s_or_b64 exec, exec, s[2:3]
	v_or_b32_e32 v2, 0x9800, v37
	s_and_saveexec_b64 s[0:1], vcc
	s_cbranch_execz .LBB529_74
; %bb.73:
	v_lshlrev_b32_e32 v14, 8, v13
	v_mov_b32_e32 v15, 0
	v_lshl_add_u64 v[6:7], v[6:7], 0, v[14:15]
	global_load_ushort v3, v[6:7], off
	v_lshl_add_u64 v[6:7], v[8:9], 0, v[14:15]
	s_waitcnt vmcnt(0)
	v_lshlrev_b32_e32 v3, 16, v3
	v_sub_f32_e32 v3, v3, v5
	global_store_short_d16_hi v[6:7], v3, off
	v_mul_f32_e32 v3, v11, v3
	v_lshrrev_b32_e32 v3, 16, v3
.LBB529_74:
	s_or_b64 exec, exec, s[0:1]
	s_mov_b32 s0, 0x5040100
	v_perm_b32 v5, v3, v12, s0
	v_lshlrev_b32_e32 v3, 1, v34
	v_perm_b32 v4, v18, v19, s0
	v_lshl_or_b32 v3, v10, 5, v3
	s_movk_i32 s2, 0xff
	ds_write_b64 v3, v[4:5] offset:38912
	v_and_b32_e32 v3, 7, v0
	v_cmp_lt_u32_e32 vcc, s2, v0
	v_and_b32_e32 v4, 8, v0
	v_lshlrev_b32_e32 v11, 3, v3
	v_lshlrev_b32_e32 v20, 7, v3
	v_cndmask_b32_e64 v3, 0, 1, vcc
	v_lshrrev_b32_e32 v0, 1, v0
	v_lshlrev_b32_e32 v16, 13, v3
	v_lshlrev_b32_e32 v3, 3, v1
	v_and_b32_e32 v0, 24, v0
	v_xor_b32_e32 v5, v3, v0
	v_or_b32_e32 v6, 0x440, v5
	v_cmp_eq_u32_e32 vcc, 0, v4
	s_waitcnt lgkmcnt(0)
	s_barrier
	v_cndmask_b32_e32 v4, v6, v5, vcc
	v_or_b32_e32 v4, v4, v35
	v_xor_b32_e32 v21, v4, v11
	v_or_b32_e32 v4, 32, v0
	v_xor_b32_e32 v4, v3, v4
	v_or_b32_e32 v5, 0x440, v4
	v_cndmask_b32_e32 v4, v5, v4, vcc
	v_or_b32_e32 v4, v4, v35
	v_xor_b32_e32 v22, v4, v11
	v_or_b32_e32 v4, 64, v0
	v_xor_b32_e32 v4, v3, v4
	v_xor_b32_e32 v5, 0x440, v4
	v_cndmask_b32_e32 v4, v5, v4, vcc
	v_add3_u32 v8, v16, v21, v20
	v_or_b32_e32 v4, v4, v35
	v_or_b32_e32 v0, 0x60, v0
	v_xor_b32_e32 v23, v4, v11
	ds_read2st64_b64 v[4:7], v2 offset1:1
	ds_read2st64_b64 v[12:15], v2 offset0:2 offset1:3
	v_xor_b32_e32 v0, v3, v0
	ds_read_b64 v[2:3], v8
	v_add3_u32 v9, v16, v22, v20
	v_xor_b32_e32 v8, 0x440, v0
	v_cndmask_b32_e32 v0, v8, v0, vcc
	ds_read_b64 v[8:9], v9
	s_mul_i32 s0, s17, s29
	s_mul_hi_i32 s1, s17, s29
	s_add_u32 s0, s0, s33
	v_or_b32_e32 v0, v0, v35
	s_waitcnt lgkmcnt(1)
	v_mfma_f32_16x16x16_bf16 a[0:3], v[2:3], v[4:5], 0
	s_addc_u32 s1, s1, s48
	v_xor_b32_e32 v24, v0, v11
	s_lshl_b64 s[0:1], s[0:1], 9
	v_add3_u32 v17, v16, v23, v20
	v_add3_u32 v0, v16, v24, v20
	s_add_u32 s0, s8, s0
	ds_read_b64 v[16:17], v17
	ds_read_b64 v[18:19], v0
	s_addc_u32 s1, s9, s1
	v_lshlrev_b32_e32 v0, 2, v10
	s_waitcnt lgkmcnt(2)
	v_mfma_f32_16x16x16_bf16 a[0:3], v[8:9], v[6:7], a[0:3]
	global_load_dwordx4 v[8:11], v0, s[0:1]
	v_add_u32_e32 v0, v21, v20
	v_lshlrev_b32_e32 v2, 6, v1
	ds_read_b64 v[0:1], v0 offset:8192
	v_lshlrev_b32_e32 v3, 2, v39
	s_movk_i32 s2, 0x100
	v_or3_b32 v2, v2, v3, s2
	v_add_u32_e32 v3, v22, v20
	v_add_u32_e32 v21, v23, v20
	;; [unrolled: 1-line block ×3, first 2 shown]
	s_waitcnt lgkmcnt(2)
	v_mfma_f32_16x16x16_bf16 a[0:3], v[16:17], v[12:13], a[0:3]
	ds_read_b64 v[16:17], v3 offset:8192
	ds_read_b64 v[20:21], v21 offset:8192
	;; [unrolled: 1-line block ×3, first 2 shown]
	v_exp_f32_e32 v24, s16
	s_waitcnt vmcnt(0)
	v_exp_f32_e32 v10, v10
	s_waitcnt lgkmcnt(3)
	v_mfma_f32_16x16x16_bf16 a[4:7], v[0:1], v[4:5], 0
	global_load_dwordx4 v[0:3], v2, s[0:1]
	v_exp_f32_e32 v11, v11
	v_exp_f32_e32 v8, v8
	v_mfma_f32_16x16x16_bf16 a[0:3], v[18:19], v[14:15], a[0:3]
	v_exp_f32_e32 v9, v9
	v_pk_mul_f32 v[10:11], v[24:25], v[10:11] op_sel_hi:[0,1]
	v_pk_mul_f32 v[8:9], v[24:25], v[8:9] op_sel_hi:[0,1]
	s_waitcnt vmcnt(0)
	v_exp_f32_e32 v0, v0
	s_nop 1
	v_accvgpr_read_b32 v19, a1
	v_accvgpr_read_b32 v5, a3
	;; [unrolled: 1-line block ×4, first 2 shown]
	s_waitcnt lgkmcnt(2)
	v_mfma_f32_16x16x16_bf16 a[0:3], v[16:17], v[6:7], a[4:7]
	v_pk_fma_f32 v[56:57], v[56:57], v[10:11], v[4:5]
	v_mov_b32_e32 v4, v3
	v_mov_b32_e32 v3, v2
	s_waitcnt lgkmcnt(1)
	v_mfma_f32_16x16x16_bf16 a[0:3], v[20:21], v[12:13], a[0:3]
	v_mov_b32_e32 v2, v1
	v_exp_f32_e32 v1, v2
	v_exp_f32_e32 v2, v3
	s_waitcnt lgkmcnt(0)
	v_mfma_f32_16x16x16_bf16 a[0:3], v[22:23], v[14:15], a[0:3]
	v_exp_f32_e32 v3, v4
	v_pk_mul_f32 v[0:1], v[24:25], v[0:1] op_sel_hi:[0,1]
	v_pk_fma_f32 v[52:53], v[52:53], v[8:9], v[18:19]
	s_nop 3
	v_accvgpr_read_b32 v7, a1
	v_accvgpr_read_b32 v6, a0
	v_accvgpr_read_b32 v5, a3
	v_accvgpr_read_b32 v4, a2
	v_pk_fma_f32 v[50:51], v[50:51], v[0:1], v[6:7]
	v_pk_mul_f32 v[0:1], v[24:25], v[2:3] op_sel_hi:[0,1]
	v_pk_fma_f32 v[54:55], v[54:55], v[0:1], v[4:5]
.LBB529_75:
	s_add_u32 s0, s24, s26
	s_addc_u32 s1, s25, s27
	v_lshl_add_u64 v[0:1], v[46:47], 1, s[0:1]
	v_mov_b32_e32 v49, 0
	s_mov_b32 s0, 0x7060302
	v_lshl_add_u64 v[0:1], v[0:1], 0, v[48:49]
	v_perm_b32 v3, v57, v56, s0
	v_perm_b32 v2, v53, v52, s0
	global_store_dwordx2 v[0:1], v[2:3], off
	v_perm_b32 v3, v55, v54, s0
	v_perm_b32 v2, v51, v50, s0
	global_store_dwordx2 v[0:1], v[2:3], off offset:128
	s_endpgm
	.section	.rodata,"a",@progbits
	.p2align	6, 0x0
	.amdhsa_kernel _ZN12_GLOBAL__N_139chunk_gated_delta_rule_fwd_h_hip_kernelILi16ELb1ELb1ELb1ELb1ELb1ELb1ELb0ELb1EEEvPK12hip_bfloat16S3_S3_PKfS5_PKvPS1_S8_PvPKiSB_iiiiilll
		.amdhsa_group_segment_fixed_size 40960
		.amdhsa_private_segment_fixed_size 0
		.amdhsa_kernarg_size 136
		.amdhsa_user_sgpr_count 2
		.amdhsa_user_sgpr_dispatch_ptr 0
		.amdhsa_user_sgpr_queue_ptr 0
		.amdhsa_user_sgpr_kernarg_segment_ptr 1
		.amdhsa_user_sgpr_dispatch_id 0
		.amdhsa_user_sgpr_kernarg_preload_length 0
		.amdhsa_user_sgpr_kernarg_preload_offset 0
		.amdhsa_user_sgpr_private_segment_size 0
		.amdhsa_uses_dynamic_stack 0
		.amdhsa_enable_private_segment 0
		.amdhsa_system_sgpr_workgroup_id_x 1
		.amdhsa_system_sgpr_workgroup_id_y 1
		.amdhsa_system_sgpr_workgroup_id_z 0
		.amdhsa_system_sgpr_workgroup_info 0
		.amdhsa_system_vgpr_workitem_id 0
		.amdhsa_next_free_vgpr 132
		.amdhsa_next_free_sgpr 70
		.amdhsa_accum_offset 120
		.amdhsa_reserve_vcc 1
		.amdhsa_float_round_mode_32 0
		.amdhsa_float_round_mode_16_64 0
		.amdhsa_float_denorm_mode_32 3
		.amdhsa_float_denorm_mode_16_64 3
		.amdhsa_dx10_clamp 1
		.amdhsa_ieee_mode 1
		.amdhsa_fp16_overflow 0
		.amdhsa_tg_split 0
		.amdhsa_exception_fp_ieee_invalid_op 0
		.amdhsa_exception_fp_denorm_src 0
		.amdhsa_exception_fp_ieee_div_zero 0
		.amdhsa_exception_fp_ieee_overflow 0
		.amdhsa_exception_fp_ieee_underflow 0
		.amdhsa_exception_fp_ieee_inexact 0
		.amdhsa_exception_int_div_zero 0
	.end_amdhsa_kernel
	.section	.text._ZN12_GLOBAL__N_139chunk_gated_delta_rule_fwd_h_hip_kernelILi16ELb1ELb1ELb1ELb1ELb1ELb1ELb0ELb1EEEvPK12hip_bfloat16S3_S3_PKfS5_PKvPS1_S8_PvPKiSB_iiiiilll,"axG",@progbits,_ZN12_GLOBAL__N_139chunk_gated_delta_rule_fwd_h_hip_kernelILi16ELb1ELb1ELb1ELb1ELb1ELb1ELb0ELb1EEEvPK12hip_bfloat16S3_S3_PKfS5_PKvPS1_S8_PvPKiSB_iiiiilll,comdat
.Lfunc_end529:
	.size	_ZN12_GLOBAL__N_139chunk_gated_delta_rule_fwd_h_hip_kernelILi16ELb1ELb1ELb1ELb1ELb1ELb1ELb0ELb1EEEvPK12hip_bfloat16S3_S3_PKfS5_PKvPS1_S8_PvPKiSB_iiiiilll, .Lfunc_end529-_ZN12_GLOBAL__N_139chunk_gated_delta_rule_fwd_h_hip_kernelILi16ELb1ELb1ELb1ELb1ELb1ELb1ELb0ELb1EEEvPK12hip_bfloat16S3_S3_PKfS5_PKvPS1_S8_PvPKiSB_iiiiilll
                                        ; -- End function
	.section	.AMDGPU.csdata,"",@progbits
; Kernel info:
; codeLenInByte = 8096
; NumSgprs: 76
; NumVgprs: 118
; NumAgprs: 12
; TotalNumVgprs: 132
; ScratchSize: 0
; MemoryBound: 0
; FloatMode: 240
; IeeeMode: 1
; LDSByteSize: 40960 bytes/workgroup (compile time only)
; SGPRBlocks: 9
; VGPRBlocks: 16
; NumSGPRsForWavesPerEU: 76
; NumVGPRsForWavesPerEU: 132
; AccumOffset: 120
; Occupancy: 1
; WaveLimiterHint : 1
; COMPUTE_PGM_RSRC2:SCRATCH_EN: 0
; COMPUTE_PGM_RSRC2:USER_SGPR: 2
; COMPUTE_PGM_RSRC2:TRAP_HANDLER: 0
; COMPUTE_PGM_RSRC2:TGID_X_EN: 1
; COMPUTE_PGM_RSRC2:TGID_Y_EN: 1
; COMPUTE_PGM_RSRC2:TGID_Z_EN: 0
; COMPUTE_PGM_RSRC2:TIDIG_COMP_CNT: 0
; COMPUTE_PGM_RSRC3_GFX90A:ACCUM_OFFSET: 29
; COMPUTE_PGM_RSRC3_GFX90A:TG_SPLIT: 0
	.section	.text._ZN12_GLOBAL__N_139chunk_gated_delta_rule_fwd_h_hip_kernelILi16ELb1ELb1ELb0ELb1ELb1ELb1ELb0ELb1EEEvPK12hip_bfloat16S3_S3_PKfS5_PKvPS1_S8_PvPKiSB_iiiiilll,"axG",@progbits,_ZN12_GLOBAL__N_139chunk_gated_delta_rule_fwd_h_hip_kernelILi16ELb1ELb1ELb0ELb1ELb1ELb1ELb0ELb1EEEvPK12hip_bfloat16S3_S3_PKfS5_PKvPS1_S8_PvPKiSB_iiiiilll,comdat
	.globl	_ZN12_GLOBAL__N_139chunk_gated_delta_rule_fwd_h_hip_kernelILi16ELb1ELb1ELb0ELb1ELb1ELb1ELb0ELb1EEEvPK12hip_bfloat16S3_S3_PKfS5_PKvPS1_S8_PvPKiSB_iiiiilll ; -- Begin function _ZN12_GLOBAL__N_139chunk_gated_delta_rule_fwd_h_hip_kernelILi16ELb1ELb1ELb0ELb1ELb1ELb1ELb0ELb1EEEvPK12hip_bfloat16S3_S3_PKfS5_PKvPS1_S8_PvPKiSB_iiiiilll
	.p2align	8
	.type	_ZN12_GLOBAL__N_139chunk_gated_delta_rule_fwd_h_hip_kernelILi16ELb1ELb1ELb0ELb1ELb1ELb1ELb0ELb1EEEvPK12hip_bfloat16S3_S3_PKfS5_PKvPS1_S8_PvPKiSB_iiiiilll,@function
_ZN12_GLOBAL__N_139chunk_gated_delta_rule_fwd_h_hip_kernelILi16ELb1ELb1ELb0ELb1ELb1ELb1ELb0ELb1EEEvPK12hip_bfloat16S3_S3_PKfS5_PKvPS1_S8_PvPKiSB_iiiiilll: ; @_ZN12_GLOBAL__N_139chunk_gated_delta_rule_fwd_h_hip_kernelILi16ELb1ELb1ELb0ELb1ELb1ELb1ELb0ELb1EEEvPK12hip_bfloat16S3_S3_PKfS5_PKvPS1_S8_PvPKiSB_iiiiilll
; %bb.0:
	s_load_dwordx4 s[16:19], s[0:1], 0x5c
	s_load_dwordx4 s[24:27], s[0:1], 0x70
	s_abs_i32 s7, s3
	s_ashr_i32 s6, s3, 31
	s_load_dwordx4 s[12:15], s[0:1], 0x40
	s_load_dwordx2 s[4:5], s[0:1], 0x50
	s_waitcnt lgkmcnt(0)
	s_abs_i32 s10, s17
	v_cvt_f32_u32_e32 v1, s10
	s_sub_i32 s8, 0, s10
	s_ashr_i32 s11, s17, 31
	s_xor_b32 s6, s6, s11
	v_rcp_iflag_f32_e32 v1, v1
	v_and_b32_e32 v65, 15, v0
	v_bfe_u32 v64, v0, 4, 2
	v_mov_b32_e32 v49, 0
	v_mul_f32_e32 v1, 0x4f7ffffe, v1
	v_cvt_u32_f32_e32 v1, v1
	v_lshlrev_b32_e32 v66, 3, v0
	v_readfirstlane_b32 s9, v1
	s_mul_i32 s8, s8, s9
	s_mul_hi_u32 s8, s9, s8
	s_add_i32 s9, s9, s8
	s_mul_hi_u32 s8, s7, s9
	s_mul_i32 s9, s8, s10
	s_sub_i32 s7, s7, s9
	s_add_i32 s20, s8, 1
	s_sub_i32 s9, s7, s10
	s_cmp_ge_u32 s7, s10
	s_cselect_b32 s8, s20, s8
	s_cselect_b32 s7, s9, s7
	s_add_i32 s9, s8, 1
	s_cmp_ge_u32 s7, s10
	s_cselect_b32 s7, s9, s8
	s_xor_b32 s7, s7, s6
	s_sub_i32 s28, s7, s6
	s_mul_i32 s36, s28, s17
	s_ashr_i32 s29, s28, 31
	s_sub_i32 s33, s3, s36
	s_lshl_b64 s[6:7], s[28:29], 2
	s_add_u32 s8, s14, s6
	s_addc_u32 s9, s15, s7
	s_add_u32 s30, s4, s6
	s_addc_u32 s31, s5, s7
	s_abs_i32 s3, s18
	v_cvt_f32_u32_e32 v1, s3
	s_load_dwordx2 s[34:35], s[8:9], 0x0
	s_sub_i32 s5, 0, s3
	s_lshl_b32 s2, s2, 4
	v_rcp_iflag_f32_e32 v1, v1
	s_load_dwordx4 s[20:23], s[0:1], 0x20
	s_load_dwordx2 s[40:41], s[0:1], 0x30
	s_waitcnt lgkmcnt(0)
	s_sub_i32 s54, s35, s34
	s_ashr_i32 s4, s54, 31
	v_mul_f32_e32 v1, 0x4f7ffffe, v1
	v_cvt_u32_f32_e32 v1, v1
	s_lshr_b32 s4, s4, 26
	s_add_i32 s4, s54, s4
	s_ashr_i32 s53, s4, 6
	v_readfirstlane_b32 s6, v1
	s_mul_i32 s5, s5, s6
	s_mul_hi_u32 s5, s6, s5
	s_add_i32 s6, s6, s5
	s_mul_hi_u32 s5, s10, s6
	s_mul_i32 s6, s5, s3
	s_ashr_i32 s4, s18, 31
	s_sub_i32 s6, s10, s6
	s_xor_b32 s4, s11, s4
	s_add_i32 s7, s5, 1
	s_sub_i32 s8, s6, s3
	s_cmp_ge_u32 s6, s3
	s_cselect_b32 s5, s7, s5
	s_cselect_b32 s6, s8, s6
	s_add_i32 s7, s5, 1
	s_cmp_ge_u32 s6, s3
	s_cselect_b32 s3, s7, s5
	s_xor_b32 s3, s3, s4
	s_sub_i32 s3, s3, s4
	s_abs_i32 s4, s3
	v_cvt_f32_u32_e32 v1, s4
	s_sub_i32 s6, 0, s4
	s_abs_i32 s5, s33
	s_xor_b32 s3, s33, s3
	v_rcp_iflag_f32_e32 v2, v1
	s_ashr_i32 s3, s3, 31
	v_lshrrev_b32_e32 v1, 6, v0
	v_or_b32_e32 v58, s2, v65
	v_mul_f32_e32 v2, 0x4f7ffffe, v2
	v_cvt_u32_f32_e32 v2, v2
	v_lshlrev_b32_e32 v45, 4, v1
	v_lshlrev_b32_e32 v46, 7, v58
	v_lshl_or_b32 v68, v64, 2, v45
	v_readfirstlane_b32 s7, v2
	s_mul_i32 s6, s6, s7
	s_mul_hi_u32 s6, s7, s6
	s_add_i32 s7, s7, s6
	s_mul_hi_u32 s6, s5, s7
	s_mul_i32 s7, s6, s4
	s_sub_i32 s5, s5, s7
	s_add_i32 s7, s6, 1
	s_sub_i32 s8, s5, s4
	s_cmp_ge_u32 s5, s4
	s_cselect_b32 s6, s7, s6
	s_cselect_b32 s5, s8, s5
	s_add_i32 s7, s6, 1
	s_cmp_ge_u32 s5, s4
	s_cselect_b32 s4, s7, s6
	s_xor_b32 s4, s4, s3
	s_sub_i32 s55, s4, s3
	s_ashr_i32 s46, s33, 31
	s_mul_hi_i32 s3, s28, s17
	s_add_u32 s4, s36, s33
	s_addc_u32 s5, s3, s46
	s_lshl_b64 s[14:15], s[4:5], 15
	s_add_u32 s4, s22, s14
	s_addc_u32 s5, s23, s15
	v_ashrrev_i32_e32 v47, 31, v46
	v_lshl_add_u64 v[2:3], v[46:47], 1, s[4:5]
	v_lshlrev_b32_e32 v48, 1, v68
	v_lshl_add_u64 v[2:3], v[2:3], 0, v[48:49]
	global_load_dwordx2 v[4:5], v[2:3], off
	global_load_dwordx2 v[6:7], v[2:3], off offset:128
	s_load_dwordx8 s[4:11], s[0:1], 0x0
	s_load_dwordx2 s[22:23], s[0:1], 0x80
	s_load_dword s58, s[30:31], 0x0
	v_and_b32_e32 v49, 63, v0
	v_lshrrev_b32_e32 v67, 3, v49
	v_or_b32_e32 v69, 64, v68
	s_mul_i32 s47, s28, s25
	s_mul_hi_u32 s48, s28, s24
	s_mul_i32 s38, s28, s24
	s_mul_i32 s49, s29, s24
	s_mul_hi_i32 s56, s33, s16
	s_mul_i32 s57, s33, s16
	s_mul_i32 s50, s33, s27
	s_mul_hi_u32 s51, s33, s26
	s_mul_i32 s52, s46, s26
	s_cmp_lt_i32 s54, 64
	s_mul_i32 s36, s33, s26
	s_waitcnt vmcnt(1)
	v_and_b32_e32 v53, 0xffff0000, v4
	v_lshlrev_b32_e32 v52, 16, v4
	v_and_b32_e32 v57, 0xffff0000, v5
	v_lshlrev_b32_e32 v56, 16, v5
	s_waitcnt vmcnt(0)
	v_and_b32_e32 v51, 0xffff0000, v6
	v_lshlrev_b32_e32 v50, 16, v6
	v_and_b32_e32 v55, 0xffff0000, v7
	v_lshlrev_b32_e32 v54, 16, v7
	s_cbranch_scc1 .LBB530_18
; %bb.1:
	s_ashr_i32 s1, s34, 31
	s_add_u32 s0, s57, s34
	s_addc_u32 s1, s56, s1
	s_lshl_b64 s[0:1], s[0:1], 8
	v_and_b32_e32 v71, 56, v66
	s_waitcnt lgkmcnt(0)
	s_add_u32 s24, s6, s0
	v_lshl_or_b32 v70, v1, 3, v67
	v_lshlrev_b32_e32 v2, 1, v71
	s_addc_u32 s0, s7, s1
	v_lshl_or_b32 v72, v70, 8, v2
	s_and_b32 s25, s0, 0xffff
	s_mov_b32 s27, 0x20000
	s_movk_i32 s26, 0x4000
	s_movk_i32 s0, 0x80
	v_or_b32_e32 v73, 0x2000, v72
	buffer_load_dwordx4 v[4:7], v72, s[24:27], 0 offen
	buffer_load_dwordx4 v[8:11], v72, s[24:27], s0 offen
	;; [unrolled: 1-line block ×4, first 2 shown]
	v_lshlrev_b32_e32 v3, 3, v70
	v_and_or_b32 v21, v0, 7, v3
	v_and_b32_e32 v3, 0x78, v3
	v_lshlrev_b32_e32 v21, 4, v21
	v_xor_b32_e32 v74, v21, v3
	v_mul_lo_u32 v20, v70, s19
	v_or_b32_e32 v75, 0x1000, v74
	v_xor_b32_e32 v3, 8, v74
	s_cmpk_eq_i32 s19, 0x80
	s_mov_b32 s59, s34
	v_xor_b32_e32 v21, 8, v75
	s_cselect_b64 s[0:1], -1, 0
	s_cmpk_lg_i32 s19, 0x80
	s_waitcnt vmcnt(3)
	ds_write_b64 v74, v[4:5] offset:16384
	ds_write_b64 v3, v[6:7] offset:16384
	s_waitcnt vmcnt(2)
	ds_write_b64 v74, v[8:9] offset:24576
	ds_write_b64 v3, v[10:11] offset:24576
	;; [unrolled: 3-line block ×4, first 2 shown]
	v_lshl_add_u32 v3, v20, 1, v71
	s_cbranch_scc0 .LBB530_3
; %bb.2:
	v_lshlrev_b32_e32 v5, 1, v3
	v_add_lshl_u32 v4, v3, s19, 1
	s_lshl_b32 s26, s19, 7
	v_lshl_or_b32 v2, v70, 9, v2
	s_cbranch_execz .LBB530_4
	s_branch .LBB530_5
.LBB530_3:
                                        ; implicit-def: $vgpr4
                                        ; implicit-def: $vgpr5
                                        ; implicit-def: $sgpr26
	v_lshl_or_b32 v2, v70, 9, v2
.LBB530_4:
	v_or_b32_e32 v4, 0x100, v2
	s_movk_i32 s26, 0x4000
	v_mov_b32_e32 v5, v2
.LBB530_5:
	s_mul_i32 s24, s34, s18
	s_ashr_i32 s60, s55, 31
	s_mul_hi_i32 s3, s34, s18
	s_add_u32 s24, s24, s55
	s_addc_u32 s25, s3, s60
	s_lshl_b64 s[24:25], s[24:25], 8
	s_add_u32 s24, s4, s24
	s_addc_u32 s3, s5, s25
	s_and_b32 s25, s3, 0xffff
	s_movk_i32 s61, 0x80
	buffer_load_dwordx4 v[6:9], v5, s[24:27], 0 offen
	buffer_load_dwordx4 v[10:13], v5, s[24:27], s61 offen
	;; [unrolled: 1-line block ×4, first 2 shown]
	v_and_b32_e32 v4, 6, v0
	v_lshlrev_b32_e32 v22, 2, v65
	v_lshlrev_b32_e32 v23, 3, v65
	v_xor_b32_e32 v27, v70, v4
	v_and_b32_e32 v5, 1, v0
	v_lshl_or_b32 v23, v68, 5, v23
	v_xor_b32_e32 v28, v68, v22
	v_lshlrev_b32_e32 v27, 2, v27
	s_add_i32 s3, s48, s47
	v_or_b32_e32 v76, 0x9000, v23
	v_or_b32_e32 v77, 0x9800, v23
	v_lshlrev_b32_e32 v23, 1, v28
	v_xor_b32_e32 v28, 0x440, v27
	v_cmp_eq_u32_e32 vcc, 0, v5
	s_add_i32 s24, s51, s50
	s_add_i32 s39, s3, s49
	v_cndmask_b32_e32 v5, v28, v27, vcc
	s_add_i32 s37, s24, s52
	s_lshl_b64 s[24:25], s[38:39], 2
	s_mov_b32 s62, 0x1000504
	s_mov_b32 s63, 0x3020706
	v_lshlrev_b32_e32 v24, 8, v65
	s_mov_b32 s26, 0x8000
	v_xor_b32_e32 v22, v69, v22
	v_lshl_or_b32 v4, v4, 10, v5
	s_add_u32 s3, s10, s24
	v_or_b32_e32 v25, v45, v65
	v_lshlrev_b32_e32 v22, 1, v22
	v_or3_b32 v78, v23, v24, s26
	v_xor_b32_e32 v5, 8, v4
	v_xor_b32_e32 v23, 24, v4
	v_xor_b32_e32 v27, 40, v4
	v_xor_b32_e32 v29, 56, v4
	s_addc_u32 s28, s11, s25
	s_lshl_b64 s[24:25], s[36:37], 2
	v_or3_b32 v79, v22, v24, s26
	v_xor_b32_e32 v22, 16, v4
	v_xor_b32_e32 v24, 32, v4
	v_xor_b32_e32 v28, 48, v4
	v_add_u32_e32 v5, 0x80, v5
	v_add_u32_e32 v23, 0x80, v23
	;; [unrolled: 1-line block ×4, first 2 shown]
	s_add_u32 s42, s3, s24
	s_movk_i32 s3, 0xf8
	s_addc_u32 s43, s28, s25
	v_ashrrev_i32_e32 v59, 31, v58
	s_lshl_b32 s30, s19, 7
	v_lshrrev_b32_e32 v26, 2, v49
	s_mov_b32 s64, 0
	s_waitcnt vmcnt(1)
	v_perm_b32 v30, v6, v14, s62
	s_waitcnt vmcnt(0)
	v_perm_b32 v31, v10, v18, s62
	v_perm_b32 v6, v6, v14, s63
	v_perm_b32 v10, v10, v18, s63
	v_perm_b32 v14, v7, v15, s62
	v_perm_b32 v18, v11, v19, s62
	v_perm_b32 v7, v7, v15, s63
	v_perm_b32 v11, v11, v19, s63
	v_perm_b32 v15, v8, v16, s62
	v_perm_b32 v19, v12, v20, s62
	v_perm_b32 v8, v8, v16, s63
	v_perm_b32 v12, v12, v20, s63
	v_perm_b32 v16, v9, v17, s62
	v_perm_b32 v20, v13, v21, s62
	v_perm_b32 v9, v9, v17, s63
	v_perm_b32 v13, v13, v21, s63
	ds_write2st64_b32 v4, v30, v31 offset1:32
	ds_write2st64_b32 v5, v6, v10 offset1:32
	ds_write2st64_b32 v22, v14, v18 offset0:1 offset1:33
	ds_write2st64_b32 v23, v7, v11 offset0:1 offset1:33
	;; [unrolled: 1-line block ×6, first 2 shown]
	v_lshlrev_b32_e32 v4, 3, v25
	v_lshrrev_b32_e32 v6, 5, v49
	v_and_or_b32 v6, v4, s3, v6
	v_lshlrev_b32_e32 v6, 4, v6
	v_lshlrev_b32_e32 v11, 11, v1
	v_and_b32_e32 v4, 0x78, v4
	v_or_b32_e32 v9, 32, v6
	v_and_b32_e32 v5, 0x1000, v11
	v_xor_b32_e32 v7, v6, v4
	v_lshrrev_b32_e32 v8, 1, v49
	v_xor_b32_e32 v9, v9, v4
	v_or_b32_e32 v7, v7, v5
	v_and_b32_e32 v8, 8, v8
	v_or_b32_e32 v9, v9, v5
	v_xor_b32_e32 v80, v7, v8
	v_and_b32_e32 v7, 0x78, v66
	v_xor_b32_e32 v82, v9, v8
	v_or_b32_e32 v9, 64, v6
	v_or_b32_e32 v6, 0x60, v6
	v_lshl_or_b32 v7, v64, 7, v7
	v_xor_b32_e32 v9, v9, v4
	v_xor_b32_e32 v4, v6, v4
	v_or_b32_e32 v81, 0x9000, v7
	v_or_b32_e32 v9, v9, v5
	;; [unrolled: 1-line block ×4, first 2 shown]
	v_lshrrev_b32_e32 v6, 4, v0
	v_lshlrev_b32_e32 v7, 1, v65
	v_xor_b32_e32 v83, v9, v8
	v_xor_b32_e32 v84, v4, v8
	s_ashr_i32 s3, s2, 31
	v_or_b32_e32 v8, 1, v7
	v_xor_b32_e32 v7, v6, v7
	s_lshl_b64 s[24:25], s[2:3], 8
	v_xor_b32_e32 v8, v8, v6
	v_lshlrev_b32_e32 v7, 3, v7
	v_lshlrev_b32_e32 v6, 8, v6
	v_lshl_add_u64 v[4:5], v[58:59], 1, s[8:9]
	s_add_u32 s24, s40, s24
	v_or3_b32 v59, v7, v6, s26
	v_lshlrev_b32_e32 v7, 3, v8
	s_addc_u32 s25, s41, s25
	v_or3_b32 v86, v7, v6, s26
	v_mov_b32_e32 v7, 0
	v_lshrrev_b32_e32 v17, 1, v0
	v_lshl_add_u64 v[8:9], s[24:25], 0, v[6:7]
	v_lshlrev_b32_e32 v6, 4, v65
	s_movk_i32 s3, 0xff
	v_lshlrev_b32_e32 v16, 3, v1
	v_and_b32_e32 v17, 24, v17
	v_lshl_add_u64 v[60:61], v[8:9], 0, v[6:7]
	v_and_b32_e32 v6, 7, v0
	v_and_b32_e32 v9, 8, v0
	v_cmp_lt_u32_e32 vcc, s3, v0
	v_xor_b32_e32 v18, v16, v17
	v_lshlrev_b32_e32 v14, 3, v6
	v_lshlrev_b32_e32 v15, 7, v6
	v_cndmask_b32_e64 v6, 0, 1, vcc
	v_or_b32_e32 v19, 0x440, v18
	v_cmp_eq_u32_e32 vcc, 0, v9
	v_or_b32_e32 v21, 64, v17
	v_xor_b32_e32 v21, v16, v21
	v_cndmask_b32_e32 v9, v19, v18, vcc
	v_or_b32_e32 v19, 32, v17
	v_or_b32_e32 v17, 0x60, v17
	v_xor_b32_e32 v19, v16, v19
	v_xor_b32_e32 v16, v16, v17
	v_or_b32_e32 v20, 0x440, v19
	v_xor_b32_e32 v22, 0x440, v21
	v_xor_b32_e32 v17, 0x440, v16
	v_cndmask_b32_e32 v19, v20, v19, vcc
	v_cndmask_b32_e32 v21, v22, v21, vcc
	;; [unrolled: 1-line block ×3, first 2 shown]
	v_or_b32_e32 v9, v9, v11
	v_or_b32_e32 v19, v19, v11
	;; [unrolled: 1-line block ×4, first 2 shown]
	v_and_b32_e32 v10, 12, v26
	v_lshlrev_b32_e32 v6, 13, v6
	v_xor_b32_e32 v9, v9, v14
	v_xor_b32_e32 v19, v19, v14
	;; [unrolled: 1-line block ×4, first 2 shown]
	v_lshlrev_b32_e32 v12, 1, v3
	v_add_lshl_u32 v3, v3, s19, 1
	v_or_b32_e32 v13, 0x100, v2
	v_or_b32_e32 v8, v10, v45
	v_add_u32_e32 v18, v6, v9
	v_add_u32_e32 v20, v6, v19
	;; [unrolled: 1-line block ×4, first 2 shown]
	v_or3_b32 v10, v45, v10, 64
	v_add_u32_e32 v9, 0x2000, v9
	v_add_u32_e32 v16, 0x2000, v19
	;; [unrolled: 1-line block ×4, first 2 shown]
	v_lshlrev_b32_e32 v6, 8, v68
	v_cndmask_b32_e64 v87, v12, v2, s[0:1]
	v_cndmask_b32_e64 v88, v3, v13, s[0:1]
	v_lshl_add_u64 v[62:63], v[4:5], 0, v[6:7]
	s_mov_b32 s3, 0x7060302
	s_movk_i32 s26, 0x4000
	v_lshlrev_b32_e32 v89, 2, v8
	v_add_u32_e32 v90, v18, v15
	v_add_u32_e32 v91, v20, v15
	;; [unrolled: 1-line block ×4, first 2 shown]
	v_lshlrev_b32_e32 v94, 2, v10
	v_add_u32_e32 v95, v9, v15
	v_add_u32_e32 v96, v16, v15
	;; [unrolled: 1-line block ×4, first 2 shown]
	s_waitcnt lgkmcnt(0)
	s_barrier
.LBB530_6:                              ; =>This Inner Loop Header: Depth=1
	s_add_i32 s37, s64, 1
	s_cmp_lt_i32 s37, s53
	s_mov_b64 s[28:29], 0
	s_cselect_b64 s[44:45], -1, 0
	s_cmp_ge_i32 s37, s53
	s_mov_b64 s[24:25], 0
	s_cbranch_scc1 .LBB530_8
; %bb.7:                                ;   in Loop: Header=BB530_6 Depth=1
	s_add_i32 s0, s59, 64
	s_ashr_i32 s1, s0, 31
	s_add_u32 s0, s57, s0
	s_addc_u32 s1, s56, s1
	s_lshl_b64 s[0:1], s[0:1], 8
	s_add_u32 s24, s6, s0
	s_addc_u32 s25, s7, s1
.LBB530_8:                              ;   in Loop: Header=BB530_6 Depth=1
	v_cndmask_b32_e64 v2, 0, 1, s[44:45]
	v_cmp_ne_u32_e64 s[0:1], 1, v2
	s_andn2_b64 vcc, exec, s[44:45]
	s_cbranch_vccnz .LBB530_10
; %bb.9:                                ;   in Loop: Header=BB530_6 Depth=1
	s_add_i32 s28, s59, 64
	s_mul_hi_i32 s29, s28, s18
	s_mul_i32 s28, s28, s18
	s_add_u32 s28, s28, s55
	s_addc_u32 s29, s29, s60
	s_lshl_b64 s[28:29], s[28:29], 8
	s_add_u32 s28, s4, s28
	s_addc_u32 s29, s5, s29
.LBB530_10:                             ;   in Loop: Header=BB530_6 Depth=1
	v_perm_b32 v3, v57, v56, s3
	v_perm_b32 v2, v53, v52, s3
	;; [unrolled: 1-line block ×4, first 2 shown]
	ds_write_b64 v76, v[2:3]
	ds_write_b64 v77, v[4:5]
	ds_write_b64 v78, v[2:3]
	ds_write_b64 v79, v[4:5]
	s_waitcnt lgkmcnt(0)
	s_barrier
	ds_read_b64 v[10:11], v80 offset:16384
	ds_read_b64 v[12:13], v82 offset:16384
	ds_read2st64_b64 v[2:5], v81 offset1:1
	s_waitcnt lgkmcnt(0)
	v_mfma_f32_16x16x16_bf16 a[0:3], v[10:11], v[2:3], 0
	ds_read2st64_b64 v[6:9], v81 offset0:2 offset1:3
	ds_read_b64 v[14:15], v83 offset:16384
	ds_read_b64 v[2:3], v84 offset:16384
	s_add_i32 s39, s59, 63
	v_mfma_f32_16x16x16_bf16 a[0:3], v[12:13], v[4:5], a[0:3]
	s_ashr_i32 s31, s39, 31
	s_mul_i32 s44, s39, s23
	s_mul_hi_u32 s45, s39, s22
	s_waitcnt lgkmcnt(1)
	v_mfma_f32_16x16x16_bf16 a[0:3], v[14:15], v[6:7], a[0:3]
	s_add_i32 s44, s45, s44
	s_mul_i32 s31, s31, s22
	s_add_i32 s45, s44, s31
	s_mul_i32 s44, s39, s22
	s_waitcnt lgkmcnt(0)
	v_mfma_f32_16x16x16_bf16 a[0:3], v[2:3], v[8:9], a[0:3]
	s_lshl_b64 s[44:45], s[44:45], 2
	s_add_u32 s44, s42, s44
	s_addc_u32 s45, s43, s45
	s_and_b64 vcc, exec, s[0:1]
	v_mov_b32_e32 v101, 0
	v_mov_b32_e32 v100, 0
	;; [unrolled: 1-line block ×19, first 2 shown]
	s_cbranch_vccnz .LBB530_12
; %bb.11:                               ;   in Loop: Header=BB530_6 Depth=1
	s_and_b32 s25, s25, 0xffff
	buffer_load_dwordx4 v[14:17], v72, s[24:27], 0 offen
	buffer_load_dwordx4 v[10:13], v72, s[24:27], s61 offen
	;; [unrolled: 1-line block ×4, first 2 shown]
	v_mov_b32_e32 v100, v74
	v_mov_b32_e32 v99, v75
.LBB530_12:                             ;   in Loop: Header=BB530_6 Depth=1
	v_add_u32_e32 v22, s59, v68
	v_ashrrev_i32_e32 v18, 31, v22
	v_mul_lo_u32 v20, v18, s22
	v_mul_lo_u32 v21, v22, s23
	v_mad_u64_u32 v[18:19], s[24:25], v22, s22, 0
	v_add3_u32 v19, v19, v21, v20
	v_lshl_add_u64 v[18:19], v[18:19], 2, s[42:43]
	global_load_dword v40, v[18:19], off
	v_add_u32_e32 v18, 1, v22
	v_ashrrev_i32_e32 v19, 31, v18
	v_mul_lo_u32 v20, v19, s22
	v_mul_lo_u32 v21, v18, s23
	v_mad_u64_u32 v[18:19], s[24:25], v18, s22, 0
	v_add3_u32 v19, v19, v21, v20
	v_add_u32_e32 v20, 2, v22
	v_ashrrev_i32_e32 v21, 31, v20
	v_mul_lo_u32 v23, v21, s22
	v_mul_lo_u32 v24, v20, s23
	v_mad_u64_u32 v[20:21], s[24:25], v20, s22, 0
	v_add_u32_e32 v22, 3, v22
	v_add3_u32 v21, v21, v24, v23
	v_ashrrev_i32_e32 v23, 31, v22
	v_mul_lo_u32 v26, v23, s22
	v_mul_lo_u32 v27, v22, s23
	v_mad_u64_u32 v[22:23], s[24:25], v22, s22, 0
	s_ashr_i32 s25, s59, 31
	s_add_u32 s24, s57, s59
	s_addc_u32 s25, s56, s25
	s_lshl_b64 s[24:25], s[24:25], 8
	v_lshl_add_u64 v[18:19], v[18:19], 2, s[42:43]
	v_lshl_add_u64 v[24:25], v[62:63], 0, s[24:25]
	v_add3_u32 v23, v23, v27, v26
	v_lshl_add_u64 v[20:21], v[20:21], 2, s[42:43]
	global_load_ushort v41, v[24:25], off
	global_load_ushort v42, v[24:25], off offset:256
	global_load_ushort v43, v[24:25], off offset:512
	;; [unrolled: 1-line block ×3, first 2 shown]
	v_lshl_add_u64 v[22:23], v[22:23], 2, s[42:43]
	global_load_dword v103, v[18:19], off
	global_load_dword v104, v[20:21], off
	;; [unrolled: 1-line block ×3, first 2 shown]
	s_load_dword s24, s[44:45], 0x0
	ds_read2st64_b64 v[26:29], v85 offset1:1
	ds_read2st64_b64 v[30:33], v85 offset0:2 offset1:3
	ds_read_b64 v[24:25], v80 offset:24576
	ds_read_b64 v[34:35], v82 offset:24576
	;; [unrolled: 1-line block ×4, first 2 shown]
	s_waitcnt lgkmcnt(0)
	v_mfma_f32_16x16x16_bf16 a[0:3], v[24:25], v[26:27], a[0:3]
	v_mov_b32_e32 v102, 0
	v_mov_b32_e32 v18, 0
	v_mov_b32_e32 v19, 0
	v_mfma_f32_16x16x16_bf16 a[0:3], v[34:35], v[28:29], a[0:3]
	v_mov_b32_e32 v20, 0
	v_mov_b32_e32 v21, 0
	v_mov_b32_e32 v22, 0
	;; [unrolled: 4-line block ×4, first 2 shown]
	v_mov_b32_e32 v29, 0
	v_mov_b32_e32 v30, 0
	;; [unrolled: 1-line block ×3, first 2 shown]
	s_and_b64 vcc, exec, s[0:1]
	v_accvgpr_read_b32 v35, a1
	v_accvgpr_read_b32 v33, a3
	;; [unrolled: 1-line block ×4, first 2 shown]
	s_waitcnt vmcnt(7)
	v_sub_f32_e32 v40, s24, v40
	v_exp_f32_e32 v40, v40
	s_waitcnt vmcnt(6)
	v_lshlrev_b32_e32 v36, 16, v41
	s_waitcnt vmcnt(5)
	v_lshlrev_b32_e32 v37, 16, v42
	;; [unrolled: 2-line block ×3, first 2 shown]
	s_waitcnt vmcnt(2)
	v_sub_f32_e32 v41, s24, v103
	s_waitcnt vmcnt(1)
	v_sub_f32_e32 v42, s24, v104
	;; [unrolled: 2-line block ×3, first 2 shown]
	v_exp_f32_e32 v41, v41
	v_exp_f32_e32 v42, v42
	;; [unrolled: 1-line block ×3, first 2 shown]
	v_lshlrev_b32_e32 v39, 16, v44
	v_pk_add_f32 v[34:35], v[36:37], v[34:35] neg_lo:[0,1] neg_hi:[0,1]
	v_pk_add_f32 v[32:33], v[38:39], v[32:33] neg_lo:[0,1] neg_hi:[0,1]
	v_pk_mul_f32 v[34:35], v[40:41], v[34:35]
	v_pk_mul_f32 v[32:33], v[42:43], v[32:33]
	s_nop 0
	v_perm_b32 v33, v33, v32, s3
	v_perm_b32 v32, v35, v34, s3
	ds_write_b64 v77, v[32:33]
	v_mov_b32_e32 v32, 0
	v_mov_b32_e32 v33, 0
	s_cbranch_vccnz .LBB530_14
; %bb.13:                               ;   in Loop: Header=BB530_6 Depth=1
	s_and_b32 s29, s29, 0xffff
	s_mov_b32 s31, s27
	buffer_load_dwordx4 v[30:33], v87, s[28:31], 0 offen
	buffer_load_dwordx4 v[22:25], v87, s[28:31], s61 offen
	;; [unrolled: 1-line block ×4, first 2 shown]
	v_mov_b32_e32 v101, v71
	v_mov_b32_e32 v102, v70
.LBB530_14:                             ;   in Loop: Header=BB530_6 Depth=1
	s_waitcnt lgkmcnt(0)
	s_barrier
	ds_read_b64 v[34:35], v90
	ds_read_b64 v[40:41], v91
	ds_read2st64_b64 v[36:39], v85 offset1:1
	ds_read2st64_b64 v[104:107], v85 offset0:2 offset1:3
	ds_read_b64 v[42:43], v92
	ds_read_b64 v[112:113], v93
	s_add_i32 s25, s58, s64
	s_mul_hi_i32 s29, s25, s17
	s_mul_i32 s25, s25, s17
	s_waitcnt lgkmcnt(3)
	v_mfma_f32_16x16x16_bf16 a[0:3], v[34:35], v[36:37], 0
	ds_read_b64 v[34:35], v95
	s_add_u32 s28, s25, s33
	s_addc_u32 s29, s29, s46
	v_mfma_f32_16x16x16_bf16 a[0:3], v[40:41], v[38:39], a[0:3]
	ds_read_b64 v[40:41], v96
	s_lshl_b64 s[28:29], s[28:29], 15
	s_mul_i32 s31, s39, s17
	s_mul_hi_i32 s25, s39, s17
	s_add_u32 s44, s31, s33
	s_addc_u32 s45, s25, s46
	s_lshl_b64 s[44:45], s[44:45], 9
	s_add_u32 s44, s20, s44
	s_waitcnt lgkmcnt(1)
	v_mfma_f32_16x16x16_bf16 a[4:7], v[34:35], v[36:37], 0
	s_addc_u32 s45, s21, s45
	s_and_b64 vcc, exec, s[0:1]
	v_mfma_f32_16x16x16_bf16 a[0:3], v[42:43], v[104:105], a[0:3]
	ds_read_b64 v[42:43], v97
	ds_read_b64 v[114:115], v98
	global_load_dwordx4 v[34:37], v94, s[44:45]
	s_waitcnt lgkmcnt(2)
	v_mfma_f32_16x16x16_bf16 a[4:7], v[40:41], v[38:39], a[4:7]
	global_load_dwordx4 v[38:41], v89, s[44:45]
	ds_read_b64 v[108:109], v59
	ds_read_b64 v[110:111], v86
	s_waitcnt lgkmcnt(3)
	v_mfma_f32_16x16x16_bf16 a[8:11], v[42:43], v[104:105], a[4:7]
	v_lshl_add_u64 v[42:43], v[60:61], 0, s[28:29]
	s_waitcnt lgkmcnt(0)
	global_store_dwordx4 v[42:43], v[108:111], off
	v_mfma_f32_16x16x16_bf16 a[4:7], v[112:113], v[106:107], a[0:3]
	s_waitcnt vmcnt(2)
	v_mov_b32_e32 v44, v37
	v_mfma_f32_16x16x16_bf16 a[0:3], v[114:115], v[106:107], a[8:11]
	v_mov_b32_e32 v43, v36
	v_mov_b32_e32 v42, v35
	s_cbranch_vccnz .LBB530_16
; %bb.15:                               ;   in Loop: Header=BB530_6 Depth=1
	v_lshrrev_b32_e32 v35, 3, v101
	v_and_b32_e32 v35, 6, v35
	v_xor_b32_e32 v36, v35, v102
	v_lshlrev_b32_e32 v36, 2, v36
	v_and_b32_e32 v37, 8, v101
	v_xor_b32_e32 v101, 0x440, v36
	v_cmp_eq_u32_e32 vcc, 0, v37
	v_perm_b32 v37, v22, v18, s62
	s_nop 0
	v_cndmask_b32_e32 v36, v101, v36, vcc
	v_lshl_or_b32 v35, v35, 10, v36
	v_perm_b32 v36, v30, v26, s62
	s_barrier
	ds_write2st64_b32 v35, v36, v37 offset1:32
	v_xor_b32_e32 v36, 8, v35
	v_perm_b32 v26, v30, v26, s63
	v_perm_b32 v18, v22, v18, s63
	v_add_u32_e32 v22, 0x80, v36
	ds_write2st64_b32 v22, v26, v18 offset1:32
	v_xor_b32_e32 v18, 16, v35
	v_perm_b32 v22, v31, v27, s62
	v_perm_b32 v26, v23, v19, s62
	ds_write2st64_b32 v18, v22, v26 offset0:1 offset1:33
	v_xor_b32_e32 v18, 24, v35
	v_perm_b32 v22, v31, v27, s63
	v_perm_b32 v19, v23, v19, s63
	v_add_u32_e32 v18, 0x80, v18
	ds_write2st64_b32 v18, v22, v19 offset0:1 offset1:33
	v_xor_b32_e32 v18, 32, v35
	v_perm_b32 v19, v32, v28, s62
	v_perm_b32 v22, v24, v20, s62
	ds_write2st64_b32 v18, v19, v22 offset0:2 offset1:34
	v_xor_b32_e32 v18, 40, v35
	v_perm_b32 v19, v32, v28, s63
	v_perm_b32 v20, v24, v20, s63
	v_add_u32_e32 v18, 0x80, v18
	ds_write2st64_b32 v18, v19, v20 offset0:2 offset1:34
	v_xor_b32_e32 v18, 48, v35
	v_perm_b32 v19, v33, v29, s62
	v_perm_b32 v20, v25, v21, s62
	ds_write2st64_b32 v18, v19, v20 offset0:3 offset1:35
	v_xor_b32_e32 v18, 56, v35
	v_perm_b32 v19, v33, v29, s63
	v_perm_b32 v20, v25, v21, s63
	v_add_u32_e32 v18, 0x80, v18
	ds_write2st64_b32 v18, v19, v20 offset0:3 offset1:35
	ds_write_b64 v100, v[14:15] offset:16384
	v_xor_b32_e32 v14, 8, v100
	ds_write_b64 v14, v[16:17] offset:16384
	ds_write_b64 v100, v[10:11] offset:24576
	;; [unrolled: 1-line block ×4, first 2 shown]
	v_xor_b32_e32 v6, 8, v99
	ds_write_b64 v6, v[8:9] offset:16384
	ds_write_b64 v99, v[2:3] offset:24576
	;; [unrolled: 1-line block ×3, first 2 shown]
.LBB530_16:                             ;   in Loop: Header=BB530_6 Depth=1
	v_exp_f32_e32 v10, s24
	s_waitcnt vmcnt(1)
	v_exp_f32_e32 v12, v38
	v_exp_f32_e32 v13, v39
	;; [unrolled: 1-line block ×4, first 2 shown]
	v_accvgpr_read_b32 v2, a4
	v_accvgpr_read_b32 v3, a5
	v_pk_mul_f32 v[12:13], v[10:11], v[12:13] op_sel_hi:[0,1]
	v_pk_fma_f32 v[52:53], v[52:53], v[12:13], v[2:3]
	v_exp_f32_e32 v12, v34
	v_exp_f32_e32 v13, v42
	v_pk_mul_f32 v[2:3], v[10:11], v[14:15] op_sel_hi:[0,1]
	v_exp_f32_e32 v14, v43
	v_exp_f32_e32 v15, v44
	v_accvgpr_read_b32 v4, a6
	v_accvgpr_read_b32 v5, a7
	v_accvgpr_read_b32 v9, a3
	v_accvgpr_read_b32 v7, a1
	v_accvgpr_read_b32 v6, a0
	v_pk_fma_f32 v[56:57], v[56:57], v[2:3], v[4:5]
	v_pk_mul_f32 v[2:3], v[10:11], v[12:13] op_sel_hi:[0,1]
	v_accvgpr_read_b32 v8, a2
	v_pk_fma_f32 v[50:51], v[50:51], v[2:3], v[6:7]
	v_pk_mul_f32 v[2:3], v[10:11], v[14:15] op_sel_hi:[0,1]
	s_add_i32 s59, s59, 64
	s_cmp_eq_u32 s53, s37
	v_pk_fma_f32 v[54:55], v[54:55], v[2:3], v[8:9]
	s_cbranch_scc1 .LBB530_18
; %bb.17:                               ;   in Loop: Header=BB530_6 Depth=1
	s_mov_b32 s64, s37
	s_branch .LBB530_6
.LBB530_18:
	s_lshl_b32 s0, s53, 6
	s_sub_i32 s44, s54, s0
	s_cmp_gt_i32 s44, 0
	s_cbranch_scc0 .LBB530_75
; %bb.19:
	s_add_i32 s34, s0, s34
	s_ashr_i32 s3, s34, 31
	s_cmpk_lg_i32 s19, 0x80
	s_cselect_b64 s[30:31], -1, 0
	s_and_b64 vcc, exec, s[30:31]
	s_cbranch_vccz .LBB530_21
; %bb.20:
	s_mul_hi_i32 s0, s34, s18
	s_mul_i32 s1, s34, s18
	s_ashr_i32 s18, s55, 31
	s_add_u32 s42, s1, s55
	s_addc_u32 s43, s0, s18
	s_cbranch_execz .LBB530_22
	s_branch .LBB530_23
.LBB530_21:
                                        ; implicit-def: $sgpr42_sgpr43
.LBB530_22:
	s_mul_i32 s1, s55, s16
	s_mul_hi_i32 s0, s55, s16
	s_add_u32 s42, s1, s34
	s_addc_u32 s43, s0, s3
.LBB530_23:
	s_waitcnt lgkmcnt(0)
	s_add_i32 s16, s53, s58
	s_add_u32 s0, s57, s34
	s_addc_u32 s1, s56, s3
	s_mov_b32 s3, 0x7060302
	v_lshlrev_b32_e32 v6, 3, v65
	s_lshl_b64 s[28:29], s[0:1], 8
	v_perm_b32 v3, v57, v56, s3
	v_perm_b32 v2, v53, v52, s3
	;; [unrolled: 1-line block ×4, first 2 shown]
	v_lshlrev_b32_e32 v34, 2, v65
	v_lshl_or_b32 v6, v68, 5, v6
	s_add_u32 s0, s6, s28
	ds_write2st64_b64 v6, v[2:3], v[4:5] offset0:72 offset1:76
	v_xor_b32_e32 v6, v68, v34
	v_lshlrev_b32_e32 v7, 8, v65
	s_addc_u32 s1, s7, s29
	v_lshl_or_b32 v6, v6, 1, v7
	s_mul_hi_i32 s3, s16, s17
	s_mul_i32 s16, s16, s17
	ds_write_b64 v6, v[2:3] offset:32768
	v_xor_b32_e32 v2, v69, v34
	s_add_u32 s6, s16, s33
	v_lshl_or_b32 v2, v2, 1, v7
	s_addc_u32 s7, s3, s46
	v_lshlrev_b32_e32 v3, 1, v65
	ds_write_b64 v2, v[4:5] offset:32768
	v_lshrrev_b32_e32 v2, 4, v0
	s_ashr_i32 s3, s2, 31
	s_lshl_b64 s[6:7], s[6:7], 15
	v_or_b32_e32 v4, 1, v3
	s_add_u32 s6, s40, s6
	v_xor_b32_e32 v3, v2, v3
	v_xor_b32_e32 v4, v4, v2
	v_lshlrev_b32_e32 v6, 8, v2
	s_addc_u32 s7, s41, s7
	s_lshl_b64 s[2:3], s[2:3], 8
	v_lshl_or_b32 v2, v3, 3, v6
	v_lshl_or_b32 v4, v4, 3, v6
	s_waitcnt lgkmcnt(0)
	s_barrier
	s_add_u32 s2, s6, s2
	ds_read_b64 v[2:3], v2 offset:32768
	ds_read_b64 v[4:5], v4 offset:32768
	s_addc_u32 s3, s7, s3
	v_mov_b32_e32 v7, 0
	s_cmp_lg_u32 s44, 64
	v_lshl_add_u64 v[8:9], s[2:3], 0, v[6:7]
	v_lshlrev_b32_e32 v6, 4, v65
	s_cselect_b64 s[6:7], -1, 0
	v_lshl_or_b32 v36, v1, 3, v67
	s_mov_b32 s24, 0
	v_lshl_add_u64 v[6:7], v[8:9], 0, v[6:7]
	v_or_b32_e32 v19, 32, v36
	v_and_b32_e32 v18, 56, v66
	s_and_b64 vcc, exec, s[6:7]
	s_waitcnt lgkmcnt(0)
	global_store_dwordx4 v[6:7], v[2:5], off
	s_cbranch_vccz .LBB530_29
; %bb.24:
	s_mov_b32 s25, s24
	s_mov_b32 s26, s24
	;; [unrolled: 1-line block ×3, first 2 shown]
	v_mov_b64_e32 v[6:7], s[24:25]
	v_mov_b64_e32 v[8:9], s[26:27]
	;; [unrolled: 1-line block ×3, first 2 shown]
	v_cmp_gt_i32_e32 vcc, s44, v36
	v_mov_b64_e32 v[4:5], v[8:9]
	s_and_saveexec_b64 s[2:3], vcc
	s_cbranch_execz .LBB530_26
; %bb.25:
	v_lshlrev_b32_e32 v2, 8, v36
	v_mov_b32_e32 v3, 0
	v_lshl_add_u64 v[4:5], s[0:1], 0, v[2:3]
	v_lshlrev_b32_e32 v2, 1, v18
	v_lshl_add_u64 v[10:11], v[4:5], 0, v[2:3]
	global_load_dwordx4 v[6:9], v[10:11], off
	global_load_dwordx4 v[2:5], v[10:11], off offset:128
.LBB530_26:
	s_or_b64 exec, exec, s[2:3]
	s_mov_b32 s25, s24
	s_mov_b32 s26, s24
	;; [unrolled: 1-line block ×3, first 2 shown]
	v_mov_b64_e32 v[14:15], s[24:25]
	v_mov_b64_e32 v[16:17], s[26:27]
	v_mov_b64_e32 v[10:11], v[14:15]
	v_cmp_gt_i32_e32 vcc, s44, v19
	v_lshlrev_b32_e32 v20, 7, v19
	v_mov_b64_e32 v[12:13], v[16:17]
	s_and_saveexec_b64 s[2:3], vcc
	s_cbranch_execz .LBB530_28
; %bb.27:
	v_lshlrev_b32_e32 v10, 1, v20
	v_mov_b32_e32 v11, 0
	v_lshl_add_u64 v[12:13], s[0:1], 0, v[10:11]
	v_lshlrev_b32_e32 v10, 1, v18
	v_lshl_add_u64 v[22:23], v[12:13], 0, v[10:11]
	global_load_dwordx4 v[14:17], v[22:23], off
	global_load_dwordx4 v[10:13], v[22:23], off offset:128
.LBB530_28:
	s_or_b64 exec, exec, s[2:3]
	v_lshrrev_b32_e32 v21, 3, v18
	v_lshlrev_b32_e32 v22, 3, v36
	v_or_b32_e32 v21, v22, v21
	v_lshlrev_b32_e32 v21, 4, v21
	v_and_b32_e32 v22, 0x78, v22
	v_xor_b32_e32 v21, v21, v22
	s_branch .LBB530_31
.LBB530_29:
                                        ; implicit-def: $vgpr21
                                        ; implicit-def: $vgpr20
                                        ; implicit-def: $vgpr6_vgpr7_vgpr8_vgpr9
                                        ; implicit-def: $vgpr2_vgpr3_vgpr4_vgpr5
                                        ; implicit-def: $vgpr14_vgpr15_vgpr16_vgpr17
                                        ; implicit-def: $vgpr10_vgpr11_vgpr12_vgpr13
	s_cbranch_execz .LBB530_31
; %bb.30:
	s_waitcnt vmcnt(0)
	v_lshlrev_b32_e32 v2, 1, v18
	v_lshl_or_b32 v20, v36, 8, v2
	s_and_b32 s1, s1, 0xffff
	s_mov_b32 s3, 0x20000
	s_movk_i32 s2, 0x4000
	v_lshl_or_b32 v21, v19, 8, v2
	s_movk_i32 s16, 0x80
	buffer_load_dwordx4 v[6:9], v20, s[0:3], 0 offen
	buffer_load_dwordx4 v[2:5], v20, s[0:3], s16 offen
	;; [unrolled: 1-line block ×4, first 2 shown]
	v_lshrrev_b32_e32 v20, 3, v18
	v_lshlrev_b32_e32 v21, 3, v36
	v_or_b32_e32 v20, v21, v20
	v_lshlrev_b32_e32 v20, 4, v20
	v_and_b32_e32 v21, 0x78, v21
	v_xor_b32_e32 v21, v20, v21
	v_lshlrev_b32_e32 v20, 7, v19
.LBB530_31:
	s_lshl_b64 s[0:1], s[42:43], 8
	s_add_u32 s4, s4, s0
	s_movk_i32 s0, 0x1000
	v_and_or_b32 v19, v20, s0, v21
	s_waitcnt vmcnt(1)
	ds_write_b64 v21, v[6:7] offset:16384
	v_xor_b32_e32 v6, 8, v21
	ds_write_b64 v6, v[8:9] offset:16384
	s_waitcnt vmcnt(0)
	ds_write_b64 v21, v[2:3] offset:24576
	ds_write_b64 v6, v[4:5] offset:24576
	;; [unrolled: 1-line block ×3, first 2 shown]
	v_xor_b32_e32 v2, 8, v19
	ds_write_b64 v2, v[16:17] offset:16384
	ds_write_b64 v19, v[10:11] offset:24576
	;; [unrolled: 1-line block ×3, first 2 shown]
	v_or_b32_e32 v2, v45, v65
	v_lshlrev_b32_e32 v2, 3, v2
	v_lshrrev_b32_e32 v4, 5, v49
	s_movk_i32 s16, 0xf8
	v_and_or_b32 v4, v2, s16, v4
	v_lshlrev_b32_e32 v35, 11, v1
	v_lshlrev_b32_e32 v12, 4, v4
	v_and_b32_e32 v13, 0x78, v2
	v_and_b32_e32 v14, 0x1000, v35
	v_lshlrev_b32_e32 v3, 2, v0
	v_xor_b32_e32 v2, v12, v13
	v_lshrrev_b32_e32 v4, 1, v49
	v_and_b32_e32 v3, 60, v3
	v_or_b32_e32 v2, v2, v14
	v_and_b32_e32 v15, 8, v4
	v_xor_b32_e32 v26, v2, v15
	v_lshl_or_b32 v2, v64, 6, v3
	v_lshlrev_b32_e32 v37, 1, v2
	v_or_b32_e32 v2, 32, v12
	v_xor_b32_e32 v2, v2, v13
	s_waitcnt lgkmcnt(0)
	s_barrier
	ds_read_b64 v[10:11], v26 offset:16384
	v_or_b32_e32 v2, v2, v14
	v_xor_b32_e32 v27, v2, v15
	v_or_b32_e32 v2, 64, v12
	v_xor_b32_e32 v2, v2, v13
	v_or_b32_e32 v2, v2, v14
	v_or_b32_e32 v12, 0x60, v12
	v_xor_b32_e32 v28, v2, v15
	ds_read2st64_b64 v[2:5], v37 offset0:72 offset1:73
	ds_read2st64_b64 v[6:9], v37 offset0:74 offset1:75
	v_xor_b32_e32 v16, v12, v13
	ds_read_b64 v[12:13], v27 offset:16384
	s_addc_u32 s5, s5, s1
	s_add_i32 s0, s48, s47
	s_waitcnt lgkmcnt(2)
	v_mfma_f32_16x16x16_bf16 a[0:3], v[10:11], v[2:3], 0
	s_add_i32 s18, s35, -1
	s_add_i32 s39, s0, s49
	s_add_i32 s0, s51, s50
	;; [unrolled: 1-line block ×3, first 2 shown]
	s_ashr_i32 s0, s18, 31
	s_mul_i32 s1, s18, s23
	s_mul_hi_u32 s2, s18, s22
	s_add_i32 s1, s2, s1
	s_mul_i32 s0, s0, s22
	v_or_b32_e32 v14, v16, v14
	s_add_i32 s1, s1, s0
	s_lshl_b64 s[2:3], s[38:39], 2
	v_xor_b32_e32 v38, v14, v15
	ds_read_b64 v[14:15], v28 offset:16384
	ds_read_b64 v[16:17], v38 offset:16384
	s_waitcnt lgkmcnt(2)
	v_mfma_f32_16x16x16_bf16 a[0:3], v[12:13], v[4:5], a[0:3]
	s_add_u32 s10, s10, s2
	s_addc_u32 s11, s11, s3
	s_lshl_b64 s[2:3], s[36:37], 2
	s_mul_i32 s0, s18, s22
	s_add_u32 s10, s10, s2
	s_addc_u32 s11, s11, s3
	s_lshl_b64 s[0:1], s[0:1], 2
	s_waitcnt lgkmcnt(1)
	v_mfma_f32_16x16x16_bf16 a[0:3], v[14:15], v[6:7], a[0:3]
	s_add_u32 s0, s10, s0
	s_addc_u32 s1, s11, s1
	s_load_dword s16, s[0:1], 0x0
	s_waitcnt lgkmcnt(0)
	v_mfma_f32_16x16x16_bf16 a[0:3], v[16:17], v[8:9], a[0:3]
	s_and_b64 vcc, exec, s[30:31]
	s_cbranch_vccz .LBB530_42
; %bb.32:
	v_lshlrev_b32_e32 v19, 1, v36
	s_and_b64 vcc, exec, s[6:7]
	s_cbranch_vccz .LBB530_43
; %bb.33:
	v_cmp_gt_i32_e32 vcc, s44, v19
	v_mov_b32_e32 v6, 0
	v_mov_b32_e32 v2, 0
	;; [unrolled: 1-line block ×5, first 2 shown]
	s_and_saveexec_b64 s[0:1], vcc
	s_cbranch_execz .LBB530_35
; %bb.34:
	v_mad_i64_i32 v[2:3], s[2:3], s19, v19, 0
	v_lshl_add_u64 v[2:3], v[2:3], 1, s[4:5]
	v_lshlrev_b32_e32 v4, 1, v18
	v_mov_b32_e32 v5, 0
	v_lshl_add_u64 v[2:3], v[2:3], 0, v[4:5]
	global_load_dwordx4 v[2:5], v[2:3], off
.LBB530_35:
	s_or_b64 exec, exec, s[0:1]
	v_or_b32_e32 v20, 1, v19
	v_cmp_gt_i32_e64 s[0:1], s44, v20
	v_mov_b32_e32 v7, 0
	v_mov_b32_e32 v8, 0
	;; [unrolled: 1-line block ×3, first 2 shown]
	s_and_saveexec_b64 s[2:3], s[0:1]
	s_cbranch_execz .LBB530_37
; %bb.36:
	v_mad_i64_i32 v[6:7], s[24:25], s19, v20, 0
	v_lshl_add_u64 v[6:7], v[6:7], 1, s[4:5]
	v_lshlrev_b32_e32 v8, 1, v18
	v_mov_b32_e32 v9, 0
	v_lshl_add_u64 v[6:7], v[6:7], 0, v[8:9]
	global_load_dwordx4 v[6:9], v[6:7], off
.LBB530_37:
	s_or_b64 exec, exec, s[2:3]
	v_mov_b32_e32 v17, 0
	v_mov_b32_e32 v10, 0
	;; [unrolled: 1-line block ×5, first 2 shown]
	s_and_saveexec_b64 s[2:3], vcc
	s_cbranch_execz .LBB530_39
; %bb.38:
	v_mad_i64_i32 v[10:11], s[24:25], s19, v19, 0
	v_lshl_add_u64 v[10:11], v[10:11], 1, s[4:5]
	v_lshlrev_b32_e32 v12, 1, v18
	v_mov_b32_e32 v13, 0
	v_lshl_add_u64 v[10:11], v[10:11], 0, v[12:13]
	global_load_dwordx4 v[10:13], v[10:11], off offset:128
.LBB530_39:
	s_or_b64 exec, exec, s[2:3]
	v_mov_b32_e32 v16, 0
	v_mov_b32_e32 v15, 0
	;; [unrolled: 1-line block ×3, first 2 shown]
	s_and_saveexec_b64 s[2:3], s[0:1]
	s_cbranch_execz .LBB530_41
; %bb.40:
	v_mad_i64_i32 v[14:15], s[0:1], s19, v20, 0
	v_lshl_add_u64 v[14:15], v[14:15], 1, s[4:5]
	v_lshlrev_b32_e32 v16, 1, v18
	v_mov_b32_e32 v17, 0
	v_lshl_add_u64 v[14:15], v[14:15], 0, v[16:17]
	global_load_dwordx4 v[14:17], v[14:15], off offset:128
.LBB530_41:
	s_or_b64 exec, exec, s[2:3]
	s_branch .LBB530_45
.LBB530_42:
                                        ; implicit-def: $vgpr5
                                        ; implicit-def: $vgpr9
                                        ; implicit-def: $vgpr13
                                        ; implicit-def: $vgpr17
	v_lshrrev_b32_e32 v19, 2, v49
	s_branch .LBB530_46
.LBB530_43:
                                        ; implicit-def: $vgpr5
                                        ; implicit-def: $vgpr9
                                        ; implicit-def: $vgpr13
                                        ; implicit-def: $vgpr17
	s_cbranch_execz .LBB530_45
; %bb.44:
	s_waitcnt vmcnt(0)
	v_mad_u64_u32 v[2:3], s[0:1], v19, s19, v[18:19]
	v_lshlrev_b32_e32 v19, 1, v2
	s_lshl_b32 s2, s19, 7
	s_and_b32 s1, s5, 0xffff
	s_mov_b32 s3, 0x20000
	s_mov_b32 s0, s4
	v_add_lshl_u32 v20, v2, s19, 1
	s_movk_i32 s19, 0x80
	buffer_load_dwordx4 v[2:5], v19, s[0:3], 0 offen
	buffer_load_dwordx4 v[10:13], v19, s[0:3], s19 offen
	;; [unrolled: 1-line block ×4, first 2 shown]
.LBB530_45:
	v_lshrrev_b32_e32 v19, 2, v49
	s_cbranch_execnz .LBB530_58
.LBB530_46:
	s_and_b64 vcc, exec, s[6:7]
	s_cbranch_vccz .LBB530_56
; %bb.47:
	s_waitcnt vmcnt(0)
	v_lshlrev_b32_e32 v7, 1, v36
	v_cmp_gt_i32_e32 vcc, s44, v7
	v_mov_b32_e32 v6, 0
	v_lshlrev_b32_e32 v14, 9, v36
	v_mov_b32_e32 v2, 0
	v_mov_b32_e32 v3, 0
	v_mov_b32_e32 v4, 0
	v_mov_b32_e32 v5, 0
	s_and_saveexec_b64 s[0:1], vcc
	s_cbranch_execz .LBB530_49
; %bb.48:
	v_mov_b32_e32 v15, 0
	v_lshl_add_u64 v[2:3], s[4:5], 0, v[14:15]
	v_lshlrev_b32_e32 v4, 1, v18
	v_mov_b32_e32 v5, v15
	v_lshl_add_u64 v[2:3], v[2:3], 0, v[4:5]
	global_load_dwordx4 v[2:5], v[2:3], off
.LBB530_49:
	s_or_b64 exec, exec, s[0:1]
	v_or_b32_e32 v7, 1, v7
	v_cmp_gt_i32_e64 s[0:1], s44, v7
	v_lshlrev_b32_e32 v20, 8, v7
	v_mov_b32_e32 v7, 0
	v_mov_b32_e32 v8, 0
	;; [unrolled: 1-line block ×3, first 2 shown]
	s_and_saveexec_b64 s[2:3], s[0:1]
	s_cbranch_execz .LBB530_51
; %bb.50:
	v_mov_b32_e32 v21, 0
	v_lshl_add_u64 v[6:7], s[4:5], 0, v[20:21]
	v_lshlrev_b32_e32 v8, 1, v18
	v_mov_b32_e32 v9, v21
	v_lshl_add_u64 v[6:7], v[6:7], 0, v[8:9]
	global_load_dwordx4 v[6:9], v[6:7], off
.LBB530_51:
	s_or_b64 exec, exec, s[2:3]
	v_mov_b32_e32 v17, 0
	v_mov_b32_e32 v10, 0
	;; [unrolled: 1-line block ×5, first 2 shown]
	s_and_saveexec_b64 s[2:3], vcc
	s_cbranch_execz .LBB530_53
; %bb.52:
	v_mov_b32_e32 v15, 0
	v_lshl_add_u64 v[10:11], s[4:5], 0, v[14:15]
	v_lshlrev_b32_e32 v14, 1, v18
	v_lshl_add_u64 v[10:11], v[10:11], 0, v[14:15]
	global_load_dwordx4 v[10:13], v[10:11], off offset:128
.LBB530_53:
	s_or_b64 exec, exec, s[2:3]
	v_mov_b32_e32 v16, 0
	v_mov_b32_e32 v15, 0
	;; [unrolled: 1-line block ×3, first 2 shown]
	s_and_saveexec_b64 s[2:3], s[0:1]
	s_cbranch_execz .LBB530_55
; %bb.54:
	v_mov_b32_e32 v21, 0
	v_lshl_add_u64 v[14:15], s[4:5], 0, v[20:21]
	v_lshlrev_b32_e32 v20, 1, v18
	v_lshl_add_u64 v[14:15], v[14:15], 0, v[20:21]
	global_load_dwordx4 v[14:17], v[14:15], off offset:128
.LBB530_55:
	s_or_b64 exec, exec, s[2:3]
	s_branch .LBB530_58
.LBB530_56:
                                        ; implicit-def: $vgpr5
                                        ; implicit-def: $vgpr9
                                        ; implicit-def: $vgpr13
                                        ; implicit-def: $vgpr17
	s_cbranch_execz .LBB530_58
; %bb.57:
	s_waitcnt vmcnt(0)
	v_lshlrev_b32_e32 v2, 1, v18
	v_lshl_or_b32 v18, v36, 9, v2
	s_and_b32 s5, s5, 0xffff
	s_mov_b32 s7, 0x20000
	s_movk_i32 s6, 0x4000
	s_movk_i32 s0, 0x80
	buffer_load_dwordx4 v[2:5], v18, s[4:7], 0 offen
	buffer_load_dwordx4 v[6:9], v18, s[4:7], 0 offen offset:256
	buffer_load_dwordx4 v[10:13], v18, s[4:7], s0 offen
	buffer_load_dwordx4 v[14:17], v18, s[4:7], s0 offen offset:256
.LBB530_58:
	v_and_b32_e32 v39, 12, v19
	ds_read2st64_b64 v[22:25], v37 offset0:76 offset1:77
	ds_read2st64_b64 v[18:21], v37 offset0:78 offset1:79
	ds_read_b64 v[30:31], v26 offset:24576
	ds_read_b64 v[32:33], v27 offset:24576
	;; [unrolled: 1-line block ×4, first 2 shown]
	v_and_b32_e32 v38, 6, v0
	v_xor_b32_e32 v36, v36, v38
	v_lshlrev_b32_e32 v36, 2, v36
	v_and_b32_e32 v40, 1, v0
	v_xor_b32_e32 v41, 0x440, v36
	v_cmp_eq_u32_e32 vcc, 0, v40
	s_mov_b32 s0, 0x1000504
	s_waitcnt vmcnt(0)
	v_perm_b32 v40, v10, v14, s0
	v_cndmask_b32_e32 v36, v41, v36, vcc
	v_lshl_or_b32 v36, v38, 10, v36
	v_perm_b32 v38, v2, v6, s0
	ds_write2st64_b32 v36, v38, v40 offset1:32
	v_xor_b32_e32 v38, 8, v36
	s_mov_b32 s1, 0x3020706
	v_perm_b32 v2, v2, v6, s1
	v_perm_b32 v6, v10, v14, s1
	v_add_u32_e32 v10, 0x80, v38
	ds_write2st64_b32 v10, v2, v6 offset1:32
	v_xor_b32_e32 v2, 16, v36
	v_perm_b32 v6, v3, v7, s0
	v_perm_b32 v10, v11, v15, s0
	ds_write2st64_b32 v2, v6, v10 offset0:1 offset1:33
	v_xor_b32_e32 v2, 24, v36
	v_perm_b32 v3, v3, v7, s1
	v_perm_b32 v6, v11, v15, s1
	v_add_u32_e32 v2, 0x80, v2
	ds_write2st64_b32 v2, v3, v6 offset0:1 offset1:33
	v_xor_b32_e32 v2, 32, v36
	v_perm_b32 v3, v4, v8, s0
	v_perm_b32 v6, v12, v16, s0
	ds_write2st64_b32 v2, v3, v6 offset0:2 offset1:34
	v_xor_b32_e32 v2, 40, v36
	v_perm_b32 v3, v4, v8, s1
	v_perm_b32 v4, v12, v16, s1
	v_add_u32_e32 v2, 0x80, v2
	ds_write2st64_b32 v2, v3, v4 offset0:2 offset1:34
	v_xor_b32_e32 v2, 48, v36
	v_perm_b32 v3, v5, v9, s0
	v_perm_b32 v4, v13, v17, s0
	ds_write2st64_b32 v2, v3, v4 offset0:3 offset1:35
	v_xor_b32_e32 v2, 56, v36
	v_or_b32_e32 v8, v39, v45
	v_perm_b32 v3, v5, v9, s1
	v_perm_b32 v4, v13, v17, s1
	v_add_u32_e32 v2, 0x80, v2
	v_cmp_gt_i32_e32 vcc, s44, v8
	v_mov_b32_e32 v9, 0
	v_mov_b32_e32 v13, 0
	ds_write2st64_b32 v2, v3, v4 offset0:3 offset1:35
	s_and_saveexec_b64 s[0:1], vcc
	s_cbranch_execz .LBB530_60
; %bb.59:
	v_add_u32_e32 v2, s34, v8
	v_ashrrev_i32_e32 v3, 31, v2
	v_mul_lo_u32 v4, v3, s22
	v_mul_lo_u32 v5, v2, s23
	v_mad_u64_u32 v[2:3], s[2:3], v2, s22, 0
	v_add3_u32 v3, v3, v5, v4
	v_lshl_add_u64 v[2:3], v[2:3], 2, s[10:11]
	global_load_dword v2, v[2:3], off
	s_waitcnt vmcnt(0)
	v_sub_f32_e32 v2, s16, v2
	v_exp_f32_e32 v13, v2
.LBB530_60:
	s_or_b64 exec, exec, s[0:1]
	v_or_b32_e32 v11, 1, v8
	v_cmp_gt_i32_e64 s[0:1], s44, v11
	s_and_saveexec_b64 s[2:3], s[0:1]
	s_cbranch_execz .LBB530_62
; %bb.61:
	v_add_u32_e32 v2, s34, v11
	v_ashrrev_i32_e32 v3, 31, v2
	v_mul_lo_u32 v4, v3, s22
	v_mul_lo_u32 v5, v2, s23
	v_mad_u64_u32 v[2:3], s[4:5], v2, s22, 0
	v_add3_u32 v3, v3, v5, v4
	v_lshl_add_u64 v[2:3], v[2:3], 2, s[10:11]
	global_load_dword v2, v[2:3], off
	s_waitcnt vmcnt(0)
	v_sub_f32_e32 v2, s16, v2
	v_exp_f32_e32 v9, v2
.LBB530_62:
	s_or_b64 exec, exec, s[2:3]
	v_or_b32_e32 v12, 2, v8
	v_cmp_gt_i32_e64 s[2:3], s44, v12
	v_mov_b32_e32 v10, 0
	v_mov_b32_e32 v15, 0
	s_and_saveexec_b64 s[4:5], s[2:3]
	s_cbranch_execz .LBB530_64
; %bb.63:
	v_add_u32_e32 v2, s34, v12
	v_ashrrev_i32_e32 v3, 31, v2
	v_mul_lo_u32 v4, v3, s22
	v_mul_lo_u32 v5, v2, s23
	v_mad_u64_u32 v[2:3], s[6:7], v2, s22, 0
	v_add3_u32 v3, v3, v5, v4
	v_lshl_add_u64 v[2:3], v[2:3], 2, s[10:11]
	global_load_dword v2, v[2:3], off
	s_waitcnt vmcnt(0)
	v_sub_f32_e32 v2, s16, v2
	v_exp_f32_e32 v15, v2
.LBB530_64:
	s_or_b64 exec, exec, s[4:5]
	v_or_b32_e32 v14, 3, v8
	v_cmp_gt_i32_e64 s[4:5], s44, v14
	s_and_saveexec_b64 s[6:7], s[4:5]
	s_cbranch_execz .LBB530_66
; %bb.65:
	v_add_u32_e32 v2, s34, v14
	v_ashrrev_i32_e32 v3, 31, v2
	v_mul_lo_u32 v4, v3, s22
	v_mul_lo_u32 v5, v2, s23
	v_mad_u64_u32 v[2:3], s[22:23], v2, s22, 0
	v_add3_u32 v3, v3, v5, v4
	v_lshl_add_u64 v[2:3], v[2:3], 2, s[10:11]
	global_load_dword v2, v[2:3], off
	s_waitcnt vmcnt(0)
	v_sub_f32_e32 v2, s16, v2
	v_exp_f32_e32 v10, v2
.LBB530_66:
	s_or_b64 exec, exec, s[6:7]
	s_waitcnt lgkmcnt(11)
	v_mfma_f32_16x16x16_bf16 a[0:3], v[30:31], v[22:23], a[0:3]
	s_add_u32 s6, s8, s28
	v_ashrrev_i32_e32 v59, 31, v58
	s_addc_u32 s7, s9, s29
	s_waitcnt lgkmcnt(10)
	v_mfma_f32_16x16x16_bf16 a[0:3], v[32:33], v[24:25], a[0:3]
	v_mov_b32_e32 v16, 0
	v_lshl_add_u64 v[6:7], v[58:59], 1, s[6:7]
	v_mov_b32_e32 v17, 0
	s_waitcnt lgkmcnt(9)
	v_mfma_f32_16x16x16_bf16 a[0:3], v[28:29], v[18:19], a[0:3]
	s_waitcnt lgkmcnt(8)
	v_mfma_f32_16x16x16_bf16 a[0:3], v[26:27], v[20:21], a[0:3]
	s_nop 6
	v_accvgpr_read_b32 v5, a3
	v_accvgpr_read_b32 v4, a2
	v_accvgpr_read_b32 v3, a1
	v_accvgpr_read_b32 v2, a0
	s_and_saveexec_b64 s[6:7], vcc
	s_cbranch_execz .LBB530_68
; %bb.67:
	v_lshlrev_b32_e32 v18, 8, v8
	v_mov_b32_e32 v19, 0
	v_lshl_add_u64 v[18:19], v[6:7], 0, v[18:19]
	global_load_ushort v17, v[18:19], off
	s_waitcnt vmcnt(0)
	v_lshlrev_b32_e32 v17, 16, v17
	v_sub_f32_e32 v2, v17, v2
	v_mul_f32_e32 v2, v13, v2
	v_lshrrev_b32_e32 v17, 16, v2
.LBB530_68:
	s_or_b64 exec, exec, s[6:7]
	s_and_saveexec_b64 s[6:7], s[0:1]
	s_cbranch_execz .LBB530_70
; %bb.69:
	v_lshlrev_b32_e32 v18, 8, v11
	v_mov_b32_e32 v19, 0
	v_lshl_add_u64 v[18:19], v[6:7], 0, v[18:19]
	global_load_ushort v2, v[18:19], off
	s_waitcnt vmcnt(0)
	v_lshlrev_b32_e32 v2, 16, v2
	v_sub_f32_e32 v2, v2, v3
	v_mul_f32_e32 v2, v9, v2
	v_lshrrev_b32_e32 v16, 16, v2
.LBB530_70:
	s_or_b64 exec, exec, s[6:7]
	v_mov_b32_e32 v3, 0
	v_mov_b32_e32 v9, 0
	s_and_saveexec_b64 s[0:1], s[2:3]
	s_cbranch_execz .LBB530_72
; %bb.71:
	v_lshlrev_b32_e32 v12, 8, v12
	v_mov_b32_e32 v13, 0
	v_lshl_add_u64 v[12:13], v[6:7], 0, v[12:13]
	global_load_ushort v2, v[12:13], off
	s_waitcnt vmcnt(0)
	v_lshlrev_b32_e32 v2, 16, v2
	v_sub_f32_e32 v2, v2, v4
	v_mul_f32_e32 v2, v15, v2
	v_lshrrev_b32_e32 v9, 16, v2
.LBB530_72:
	s_or_b64 exec, exec, s[0:1]
	v_or_b32_e32 v2, 0x9800, v37
	s_and_saveexec_b64 s[0:1], s[4:5]
	s_cbranch_execz .LBB530_74
; %bb.73:
	v_lshlrev_b32_e32 v12, 8, v14
	v_mov_b32_e32 v13, 0
	v_lshl_add_u64 v[6:7], v[6:7], 0, v[12:13]
	global_load_ushort v3, v[6:7], off
	s_waitcnt vmcnt(0)
	v_lshlrev_b32_e32 v3, 16, v3
	v_sub_f32_e32 v3, v3, v5
	v_mul_f32_e32 v3, v10, v3
	v_lshrrev_b32_e32 v3, 16, v3
.LBB530_74:
	s_or_b64 exec, exec, s[0:1]
	s_mov_b32 s0, 0x5040100
	v_perm_b32 v5, v3, v9, s0
	v_lshlrev_b32_e32 v3, 1, v34
	v_perm_b32 v4, v16, v17, s0
	v_lshl_or_b32 v3, v8, 5, v3
	s_movk_i32 s2, 0xff
	ds_write_b64 v3, v[4:5] offset:38912
	v_and_b32_e32 v3, 7, v0
	v_cmp_lt_u32_e32 vcc, s2, v0
	v_and_b32_e32 v4, 8, v0
	v_lshlrev_b32_e32 v9, 3, v3
	v_lshlrev_b32_e32 v22, 7, v3
	v_cndmask_b32_e64 v3, 0, 1, vcc
	v_lshrrev_b32_e32 v0, 1, v0
	v_lshlrev_b32_e32 v16, 13, v3
	v_lshlrev_b32_e32 v3, 3, v1
	v_and_b32_e32 v0, 24, v0
	v_xor_b32_e32 v5, v3, v0
	v_or_b32_e32 v6, 0x440, v5
	v_cmp_eq_u32_e32 vcc, 0, v4
	s_waitcnt lgkmcnt(0)
	s_barrier
	v_cndmask_b32_e32 v4, v6, v5, vcc
	v_or_b32_e32 v4, v4, v35
	v_xor_b32_e32 v23, v4, v9
	v_or_b32_e32 v4, 32, v0
	v_xor_b32_e32 v4, v3, v4
	v_or_b32_e32 v5, 0x440, v4
	v_cndmask_b32_e32 v4, v5, v4, vcc
	v_or_b32_e32 v4, v4, v35
	v_xor_b32_e32 v24, v4, v9
	v_or_b32_e32 v4, 64, v0
	v_xor_b32_e32 v4, v3, v4
	v_xor_b32_e32 v5, 0x440, v4
	v_cndmask_b32_e32 v4, v5, v4, vcc
	v_add3_u32 v14, v16, v23, v22
	v_or_b32_e32 v4, v4, v35
	v_or_b32_e32 v0, 0x60, v0
	v_xor_b32_e32 v25, v4, v9
	ds_read2st64_b64 v[4:7], v2 offset1:1
	ds_read2st64_b64 v[10:13], v2 offset0:2 offset1:3
	v_xor_b32_e32 v0, v3, v0
	ds_read_b64 v[2:3], v14
	v_add3_u32 v15, v16, v24, v22
	v_xor_b32_e32 v14, 0x440, v0
	v_cndmask_b32_e32 v0, v14, v0, vcc
	ds_read_b64 v[14:15], v15
	s_mul_i32 s0, s18, s17
	s_mul_hi_i32 s1, s18, s17
	s_add_u32 s0, s0, s33
	v_or_b32_e32 v0, v0, v35
	s_waitcnt lgkmcnt(1)
	v_mfma_f32_16x16x16_bf16 a[0:3], v[2:3], v[4:5], 0
	s_addc_u32 s1, s1, s46
	v_xor_b32_e32 v9, v0, v9
	s_lshl_b64 s[0:1], s[0:1], 9
	v_add3_u32 v17, v16, v25, v22
	v_add3_u32 v0, v16, v9, v22
	s_add_u32 s0, s20, s0
	ds_read_b64 v[18:19], v17
	ds_read_b64 v[20:21], v0
	s_addc_u32 s1, s21, s1
	v_lshlrev_b32_e32 v0, 2, v8
	s_waitcnt lgkmcnt(2)
	v_mfma_f32_16x16x16_bf16 a[0:3], v[14:15], v[6:7], a[0:3]
	global_load_dwordx4 v[14:17], v0, s[0:1]
	v_add_u32_e32 v0, v23, v22
	v_lshlrev_b32_e32 v2, 6, v1
	ds_read_b64 v[0:1], v0 offset:8192
	v_lshlrev_b32_e32 v3, 2, v39
	s_movk_i32 s2, 0x100
	s_waitcnt lgkmcnt(2)
	v_mfma_f32_16x16x16_bf16 a[0:3], v[18:19], v[10:11], a[0:3]
	v_or3_b32 v2, v2, v3, s2
	v_add_u32_e32 v3, v24, v22
	v_add_u32_e32 v18, v25, v22
	;; [unrolled: 1-line block ×3, first 2 shown]
	ds_read_b64 v[8:9], v3 offset:8192
	ds_read_b64 v[18:19], v18 offset:8192
	;; [unrolled: 1-line block ×3, first 2 shown]
	s_waitcnt lgkmcnt(3)
	v_mfma_f32_16x16x16_bf16 a[4:7], v[0:1], v[4:5], 0
	global_load_dwordx4 v[0:3], v2, s[0:1]
	v_exp_f32_e32 v24, s16
	s_waitcnt vmcnt(1)
	v_exp_f32_e32 v16, v16
	v_mfma_f32_16x16x16_bf16 a[0:3], v[20:21], v[12:13], a[0:3]
	v_exp_f32_e32 v17, v17
	v_exp_f32_e32 v14, v14
	;; [unrolled: 1-line block ×3, first 2 shown]
	v_pk_mul_f32 v[16:17], v[24:25], v[16:17] op_sel_hi:[0,1]
	v_pk_mul_f32 v[14:15], v[24:25], v[14:15] op_sel_hi:[0,1]
	s_nop 1
	v_accvgpr_read_b32 v21, a1
	v_accvgpr_read_b32 v5, a3
	;; [unrolled: 1-line block ×4, first 2 shown]
	s_waitcnt lgkmcnt(2)
	v_mfma_f32_16x16x16_bf16 a[0:3], v[8:9], v[6:7], a[4:7]
	v_pk_fma_f32 v[56:57], v[56:57], v[16:17], v[4:5]
	s_waitcnt vmcnt(0)
	v_mov_b32_e32 v4, v3
	v_mov_b32_e32 v3, v2
	s_waitcnt lgkmcnt(1)
	v_mfma_f32_16x16x16_bf16 a[0:3], v[18:19], v[10:11], a[0:3]
	v_mov_b32_e32 v2, v1
	v_exp_f32_e32 v0, v0
	v_exp_f32_e32 v1, v2
	s_waitcnt lgkmcnt(0)
	v_mfma_f32_16x16x16_bf16 a[0:3], v[22:23], v[12:13], a[0:3]
	v_exp_f32_e32 v2, v3
	v_exp_f32_e32 v3, v4
	v_pk_mul_f32 v[0:1], v[24:25], v[0:1] op_sel_hi:[0,1]
	v_pk_fma_f32 v[52:53], v[52:53], v[14:15], v[20:21]
	s_nop 2
	v_accvgpr_read_b32 v7, a1
	v_accvgpr_read_b32 v6, a0
	;; [unrolled: 1-line block ×4, first 2 shown]
	v_pk_fma_f32 v[50:51], v[50:51], v[0:1], v[6:7]
	v_pk_mul_f32 v[0:1], v[24:25], v[2:3] op_sel_hi:[0,1]
	v_pk_fma_f32 v[54:55], v[54:55], v[0:1], v[4:5]
.LBB530_75:
	s_add_u32 s0, s12, s14
	s_addc_u32 s1, s13, s15
	v_lshl_add_u64 v[0:1], v[46:47], 1, s[0:1]
	v_mov_b32_e32 v49, 0
	s_mov_b32 s0, 0x7060302
	v_lshl_add_u64 v[0:1], v[0:1], 0, v[48:49]
	v_perm_b32 v3, v57, v56, s0
	v_perm_b32 v2, v53, v52, s0
	global_store_dwordx2 v[0:1], v[2:3], off
	v_perm_b32 v3, v55, v54, s0
	v_perm_b32 v2, v51, v50, s0
	global_store_dwordx2 v[0:1], v[2:3], off offset:128
	s_endpgm
	.section	.rodata,"a",@progbits
	.p2align	6, 0x0
	.amdhsa_kernel _ZN12_GLOBAL__N_139chunk_gated_delta_rule_fwd_h_hip_kernelILi16ELb1ELb1ELb0ELb1ELb1ELb1ELb0ELb1EEEvPK12hip_bfloat16S3_S3_PKfS5_PKvPS1_S8_PvPKiSB_iiiiilll
		.amdhsa_group_segment_fixed_size 40960
		.amdhsa_private_segment_fixed_size 0
		.amdhsa_kernarg_size 136
		.amdhsa_user_sgpr_count 2
		.amdhsa_user_sgpr_dispatch_ptr 0
		.amdhsa_user_sgpr_queue_ptr 0
		.amdhsa_user_sgpr_kernarg_segment_ptr 1
		.amdhsa_user_sgpr_dispatch_id 0
		.amdhsa_user_sgpr_kernarg_preload_length 0
		.amdhsa_user_sgpr_kernarg_preload_offset 0
		.amdhsa_user_sgpr_private_segment_size 0
		.amdhsa_uses_dynamic_stack 0
		.amdhsa_enable_private_segment 0
		.amdhsa_system_sgpr_workgroup_id_x 1
		.amdhsa_system_sgpr_workgroup_id_y 1
		.amdhsa_system_sgpr_workgroup_id_z 0
		.amdhsa_system_sgpr_workgroup_info 0
		.amdhsa_system_vgpr_workitem_id 0
		.amdhsa_next_free_vgpr 128
		.amdhsa_next_free_sgpr 65
		.amdhsa_accum_offset 116
		.amdhsa_reserve_vcc 1
		.amdhsa_float_round_mode_32 0
		.amdhsa_float_round_mode_16_64 0
		.amdhsa_float_denorm_mode_32 3
		.amdhsa_float_denorm_mode_16_64 3
		.amdhsa_dx10_clamp 1
		.amdhsa_ieee_mode 1
		.amdhsa_fp16_overflow 0
		.amdhsa_tg_split 0
		.amdhsa_exception_fp_ieee_invalid_op 0
		.amdhsa_exception_fp_denorm_src 0
		.amdhsa_exception_fp_ieee_div_zero 0
		.amdhsa_exception_fp_ieee_overflow 0
		.amdhsa_exception_fp_ieee_underflow 0
		.amdhsa_exception_fp_ieee_inexact 0
		.amdhsa_exception_int_div_zero 0
	.end_amdhsa_kernel
	.section	.text._ZN12_GLOBAL__N_139chunk_gated_delta_rule_fwd_h_hip_kernelILi16ELb1ELb1ELb0ELb1ELb1ELb1ELb0ELb1EEEvPK12hip_bfloat16S3_S3_PKfS5_PKvPS1_S8_PvPKiSB_iiiiilll,"axG",@progbits,_ZN12_GLOBAL__N_139chunk_gated_delta_rule_fwd_h_hip_kernelILi16ELb1ELb1ELb0ELb1ELb1ELb1ELb0ELb1EEEvPK12hip_bfloat16S3_S3_PKfS5_PKvPS1_S8_PvPKiSB_iiiiilll,comdat
.Lfunc_end530:
	.size	_ZN12_GLOBAL__N_139chunk_gated_delta_rule_fwd_h_hip_kernelILi16ELb1ELb1ELb0ELb1ELb1ELb1ELb0ELb1EEEvPK12hip_bfloat16S3_S3_PKfS5_PKvPS1_S8_PvPKiSB_iiiiilll, .Lfunc_end530-_ZN12_GLOBAL__N_139chunk_gated_delta_rule_fwd_h_hip_kernelILi16ELb1ELb1ELb0ELb1ELb1ELb1ELb0ELb1EEEvPK12hip_bfloat16S3_S3_PKfS5_PKvPS1_S8_PvPKiSB_iiiiilll
                                        ; -- End function
	.section	.AMDGPU.csdata,"",@progbits
; Kernel info:
; codeLenInByte = 7948
; NumSgprs: 71
; NumVgprs: 116
; NumAgprs: 12
; TotalNumVgprs: 128
; ScratchSize: 0
; MemoryBound: 0
; FloatMode: 240
; IeeeMode: 1
; LDSByteSize: 40960 bytes/workgroup (compile time only)
; SGPRBlocks: 8
; VGPRBlocks: 15
; NumSGPRsForWavesPerEU: 71
; NumVGPRsForWavesPerEU: 128
; AccumOffset: 116
; Occupancy: 1
; WaveLimiterHint : 1
; COMPUTE_PGM_RSRC2:SCRATCH_EN: 0
; COMPUTE_PGM_RSRC2:USER_SGPR: 2
; COMPUTE_PGM_RSRC2:TRAP_HANDLER: 0
; COMPUTE_PGM_RSRC2:TGID_X_EN: 1
; COMPUTE_PGM_RSRC2:TGID_Y_EN: 1
; COMPUTE_PGM_RSRC2:TGID_Z_EN: 0
; COMPUTE_PGM_RSRC2:TIDIG_COMP_CNT: 0
; COMPUTE_PGM_RSRC3_GFX90A:ACCUM_OFFSET: 28
; COMPUTE_PGM_RSRC3_GFX90A:TG_SPLIT: 0
	.section	.text._ZN12_GLOBAL__N_139chunk_gated_delta_rule_fwd_h_hip_kernelILi16ELb1ELb0ELb1ELb1ELb1ELb1ELb0ELb1EEEvPK12hip_bfloat16S3_S3_PKfS5_PKvPS1_S8_PvPKiSB_iiiiilll,"axG",@progbits,_ZN12_GLOBAL__N_139chunk_gated_delta_rule_fwd_h_hip_kernelILi16ELb1ELb0ELb1ELb1ELb1ELb1ELb0ELb1EEEvPK12hip_bfloat16S3_S3_PKfS5_PKvPS1_S8_PvPKiSB_iiiiilll,comdat
	.globl	_ZN12_GLOBAL__N_139chunk_gated_delta_rule_fwd_h_hip_kernelILi16ELb1ELb0ELb1ELb1ELb1ELb1ELb0ELb1EEEvPK12hip_bfloat16S3_S3_PKfS5_PKvPS1_S8_PvPKiSB_iiiiilll ; -- Begin function _ZN12_GLOBAL__N_139chunk_gated_delta_rule_fwd_h_hip_kernelILi16ELb1ELb0ELb1ELb1ELb1ELb1ELb0ELb1EEEvPK12hip_bfloat16S3_S3_PKfS5_PKvPS1_S8_PvPKiSB_iiiiilll
	.p2align	8
	.type	_ZN12_GLOBAL__N_139chunk_gated_delta_rule_fwd_h_hip_kernelILi16ELb1ELb0ELb1ELb1ELb1ELb1ELb0ELb1EEEvPK12hip_bfloat16S3_S3_PKfS5_PKvPS1_S8_PvPKiSB_iiiiilll,@function
_ZN12_GLOBAL__N_139chunk_gated_delta_rule_fwd_h_hip_kernelILi16ELb1ELb0ELb1ELb1ELb1ELb1ELb0ELb1EEEvPK12hip_bfloat16S3_S3_PKfS5_PKvPS1_S8_PvPKiSB_iiiiilll: ; @_ZN12_GLOBAL__N_139chunk_gated_delta_rule_fwd_h_hip_kernelILi16ELb1ELb0ELb1ELb1ELb1ELb1ELb0ELb1EEEvPK12hip_bfloat16S3_S3_PKfS5_PKvPS1_S8_PvPKiSB_iiiiilll
; %bb.0:
	s_load_dwordx4 s[12:15], s[0:1], 0x5c
	s_load_dwordx4 s[4:7], s[0:1], 0x48
	s_abs_i32 s9, s3
	s_ashr_i32 s8, s3, 31
	v_and_b32_e32 v64, 15, v0
	s_waitcnt lgkmcnt(0)
	s_abs_i32 s10, s13
	v_cvt_f32_u32_e32 v1, s10
	s_sub_i32 s16, 0, s10
	s_ashr_i32 s11, s13, 31
	s_xor_b32 s8, s8, s11
	v_rcp_iflag_f32_e32 v1, v1
	v_lshrrev_b32_e32 v62, 6, v0
	v_bfe_u32 v63, v0, 4, 2
	v_mov_b32_e32 v5, 0
	v_mul_f32_e32 v1, 0x4f7ffffe, v1
	v_cvt_u32_f32_e32 v1, v1
	v_and_b32_e32 v45, 63, v0
	v_lshlrev_b32_e32 v65, 3, v0
	v_lshrrev_b32_e32 v66, 3, v45
	v_readfirstlane_b32 s17, v1
	s_mul_i32 s16, s16, s17
	s_mul_hi_u32 s16, s17, s16
	s_add_i32 s17, s17, s16
	s_mul_hi_u32 s16, s9, s17
	s_mul_i32 s17, s16, s10
	s_sub_i32 s9, s9, s17
	s_add_i32 s18, s16, 1
	s_sub_i32 s17, s9, s10
	s_cmp_ge_u32 s9, s10
	s_cselect_b32 s16, s18, s16
	s_cselect_b32 s9, s17, s9
	s_add_i32 s17, s16, 1
	s_cmp_ge_u32 s9, s10
	s_cselect_b32 s9, s17, s16
	s_xor_b32 s9, s9, s8
	s_sub_i32 s20, s9, s8
	s_mul_i32 s24, s20, s13
	s_ashr_i32 s21, s20, 31
	s_sub_i32 s49, s3, s24
	s_lshl_b64 s[8:9], s[20:21], 2
	s_add_u32 s4, s4, s8
	s_addc_u32 s5, s5, s9
	s_add_u32 s22, s6, s8
	s_addc_u32 s23, s7, s9
	s_abs_i32 s3, s14
	v_cvt_f32_u32_e32 v1, s3
	s_load_dwordx2 s[34:35], s[4:5], 0x0
	s_lshl_b32 s40, s2, 4
	s_ashr_i32 s2, s14, 31
	v_rcp_iflag_f32_e32 v1, v1
	s_xor_b32 s2, s11, s2
	s_waitcnt lgkmcnt(0)
	s_sub_i32 s52, s35, s34
	s_ashr_i32 s4, s52, 31
	v_mul_f32_e32 v1, 0x4f7ffffe, v1
	v_cvt_u32_f32_e32 v1, v1
	s_lshr_b32 s4, s4, 26
	s_add_i32 s4, s52, s4
	s_ashr_i32 s50, s4, 6
	s_sub_i32 s4, 0, s3
	v_readfirstlane_b32 s5, v1
	s_mul_i32 s4, s4, s5
	s_mul_hi_u32 s4, s5, s4
	s_add_i32 s5, s5, s4
	s_mul_hi_u32 s4, s10, s5
	s_mul_i32 s5, s4, s3
	s_sub_i32 s5, s10, s5
	s_add_i32 s6, s4, 1
	s_sub_i32 s7, s5, s3
	s_cmp_ge_u32 s5, s3
	s_cselect_b32 s4, s6, s4
	s_cselect_b32 s5, s7, s5
	s_add_i32 s6, s4, 1
	s_cmp_ge_u32 s5, s3
	s_cselect_b32 s3, s6, s4
	s_xor_b32 s3, s3, s2
	s_sub_i32 s2, s3, s2
	s_abs_i32 s3, s2
	v_cvt_f32_u32_e32 v1, s3
	s_sub_i32 s5, 0, s3
	s_abs_i32 s4, s49
	s_xor_b32 s2, s49, s2
	v_rcp_iflag_f32_e32 v1, v1
	s_ashr_i32 s2, s2, 31
	s_load_dwordx4 s[16:19], s[0:1], 0x28
	s_load_dwordx2 s[28:29], s[0:1], 0x38
	v_or_b32_e32 v46, s40, v64
	v_mul_f32_e32 v1, 0x4f7ffffe, v1
	v_cvt_u32_f32_e32 v1, v1
	v_lshlrev_b32_e32 v2, 7, v46
	v_ashrrev_i32_e32 v3, 31, v2
	s_mul_hi_i32 s54, s49, s12
	v_readfirstlane_b32 s6, v1
	s_mul_i32 s5, s5, s6
	s_mul_hi_u32 s5, s6, s5
	s_add_i32 s6, s6, s5
	s_mul_hi_u32 s5, s4, s6
	s_mul_i32 s6, s5, s3
	s_sub_i32 s4, s4, s6
	s_add_i32 s6, s5, 1
	s_sub_i32 s7, s4, s3
	s_cmp_ge_u32 s4, s3
	s_cselect_b32 s5, s6, s5
	s_cselect_b32 s4, s7, s4
	s_add_i32 s6, s5, 1
	s_cmp_ge_u32 s4, s3
	s_cselect_b32 s3, s6, s5
	s_xor_b32 s3, s3, s2
	s_sub_i32 s53, s3, s2
	s_ashr_i32 s51, s49, 31
	s_mul_hi_i32 s3, s20, s13
	s_add_u32 s2, s24, s49
	s_addc_u32 s3, s3, s51
	s_lshl_b64 s[2:3], s[2:3], 15
	v_lshlrev_b32_e32 v1, 4, v62
	s_waitcnt lgkmcnt(0)
	s_add_u32 s2, s16, s2
	v_lshl_or_b32 v67, v63, 2, v1
	s_addc_u32 s3, s17, s3
	v_lshl_add_u64 v[2:3], v[2:3], 1, s[2:3]
	v_lshlrev_b32_e32 v4, 1, v67
	v_lshl_add_u64 v[2:3], v[2:3], 0, v[4:5]
	global_load_dwordx2 v[4:5], v[2:3], off
	global_load_dwordx2 v[6:7], v[2:3], off offset:128
	s_load_dwordx8 s[4:11], s[0:1], 0x0
	s_load_dwordx2 s[30:31], s[0:1], 0x80
	s_load_dwordx4 s[24:27], s[0:1], 0x70
	s_load_dword s56, s[22:23], 0x0
	v_or_b32_e32 v68, 64, v67
	s_mul_i32 s55, s49, s12
	s_cmp_lt_i32 s52, 64
	s_waitcnt lgkmcnt(0)
	s_mul_i32 s33, s20, s25
	s_mul_hi_u32 s44, s20, s24
	s_mul_i32 s38, s20, s24
	s_mul_i32 s45, s21, s24
	;; [unrolled: 1-line block ×3, first 2 shown]
	s_mul_hi_u32 s47, s49, s26
	s_mul_i32 s48, s51, s26
	s_mul_i32 s36, s49, s26
	s_waitcnt vmcnt(1)
	v_and_b32_e32 v51, 0xffff0000, v4
	v_lshlrev_b32_e32 v50, 16, v4
	v_and_b32_e32 v55, 0xffff0000, v5
	v_lshlrev_b32_e32 v54, 16, v5
	s_waitcnt vmcnt(0)
	v_and_b32_e32 v49, 0xffff0000, v6
	v_lshlrev_b32_e32 v48, 16, v6
	v_and_b32_e32 v53, 0xffff0000, v7
	v_lshlrev_b32_e32 v52, 16, v7
	s_cbranch_scc1 .LBB531_18
; %bb.1:
	s_ashr_i32 s3, s34, 31
	s_add_u32 s2, s55, s34
	s_addc_u32 s3, s54, s3
	s_lshl_b64 s[2:3], s[2:3], 8
	v_and_b32_e32 v70, 56, v65
	s_add_u32 s20, s6, s2
	v_lshl_or_b32 v69, v62, 3, v66
	v_lshlrev_b32_e32 v2, 1, v70
	s_addc_u32 s2, s7, s3
	v_lshl_or_b32 v71, v69, 8, v2
	s_and_b32 s21, s2, 0xffff
	s_mov_b32 s23, 0x20000
	s_movk_i32 s22, 0x4000
	s_movk_i32 s2, 0x80
	v_or_b32_e32 v72, 0x2000, v71
	buffer_load_dwordx4 v[4:7], v71, s[20:23], 0 offen
	buffer_load_dwordx4 v[8:11], v71, s[20:23], s2 offen
	;; [unrolled: 1-line block ×4, first 2 shown]
	v_lshlrev_b32_e32 v3, 3, v69
	v_and_or_b32 v21, v0, 7, v3
	v_and_b32_e32 v3, 0x78, v3
	v_lshlrev_b32_e32 v21, 4, v21
	v_xor_b32_e32 v73, v21, v3
	v_mul_lo_u32 v20, v69, s15
	v_or_b32_e32 v74, 0x1000, v73
	v_xor_b32_e32 v3, 8, v73
	s_cmpk_eq_i32 s15, 0x80
	s_mov_b32 s57, s34
	v_xor_b32_e32 v21, 8, v74
	s_cselect_b64 s[2:3], -1, 0
	s_cmpk_lg_i32 s15, 0x80
	s_waitcnt vmcnt(3)
	ds_write_b64 v73, v[4:5] offset:16384
	ds_write_b64 v3, v[6:7] offset:16384
	s_waitcnt vmcnt(2)
	ds_write_b64 v73, v[8:9] offset:24576
	ds_write_b64 v3, v[10:11] offset:24576
	;; [unrolled: 3-line block ×4, first 2 shown]
	v_lshl_add_u32 v3, v20, 1, v70
	s_cbranch_scc0 .LBB531_3
; %bb.2:
	v_lshlrev_b32_e32 v5, 1, v3
	v_add_lshl_u32 v4, v3, s15, 1
	s_lshl_b32 s22, s15, 7
	s_load_dwordx2 s[16:17], s[0:1], 0x20
	v_lshl_or_b32 v2, v69, 9, v2
	s_cbranch_execz .LBB531_4
	s_branch .LBB531_5
.LBB531_3:
                                        ; implicit-def: $vgpr4
                                        ; implicit-def: $vgpr5
                                        ; implicit-def: $sgpr22
	s_load_dwordx2 s[16:17], s[0:1], 0x20
	v_lshl_or_b32 v2, v69, 9, v2
.LBB531_4:
	v_or_b32_e32 v4, 0x100, v2
	s_movk_i32 s22, 0x4000
	v_mov_b32_e32 v5, v2
.LBB531_5:
	s_mul_i32 s0, s34, s14
	s_ashr_i32 s58, s53, 31
	s_mul_hi_i32 s1, s34, s14
	s_add_u32 s0, s0, s53
	s_addc_u32 s1, s1, s58
	s_lshl_b64 s[0:1], s[0:1], 8
	s_add_u32 s20, s4, s0
	s_addc_u32 s0, s5, s1
	s_and_b32 s21, s0, 0xffff
	s_movk_i32 s59, 0x80
	buffer_load_dwordx4 v[6:9], v5, s[20:23], 0 offen
	buffer_load_dwordx4 v[10:13], v5, s[20:23], s59 offen
	;; [unrolled: 1-line block ×4, first 2 shown]
	v_and_b32_e32 v4, 6, v0
	v_lshlrev_b32_e32 v22, 2, v64
	v_lshlrev_b32_e32 v23, 3, v64
	v_xor_b32_e32 v27, v69, v4
	v_and_b32_e32 v5, 1, v0
	v_lshl_or_b32 v23, v67, 5, v23
	v_xor_b32_e32 v28, v67, v22
	v_lshlrev_b32_e32 v27, 2, v27
	s_add_i32 s0, s44, s33
	v_or_b32_e32 v75, 0x9000, v23
	v_or_b32_e32 v76, 0x9800, v23
	v_lshlrev_b32_e32 v23, 1, v28
	v_xor_b32_e32 v28, 0x440, v27
	v_cmp_eq_u32_e32 vcc, 0, v5
	s_add_i32 s1, s47, s46
	s_add_i32 s39, s0, s45
	v_cndmask_b32_e32 v5, v28, v27, vcc
	s_add_i32 s37, s1, s48
	s_lshl_b64 s[0:1], s[38:39], 2
	s_mov_b32 s60, 0x1000504
	s_mov_b32 s61, 0x3020706
	v_lshlrev_b32_e32 v24, 8, v64
	s_mov_b32 s20, 0x8000
	v_xor_b32_e32 v22, v68, v22
	v_lshl_or_b32 v4, v4, 10, v5
	s_add_u32 s21, s10, s0
	v_or_b32_e32 v25, v1, v64
	v_lshlrev_b32_e32 v22, 1, v22
	v_or3_b32 v77, v23, v24, s20
	v_xor_b32_e32 v5, 8, v4
	v_xor_b32_e32 v23, 24, v4
	;; [unrolled: 1-line block ×4, first 2 shown]
	s_addc_u32 s22, s11, s1
	s_lshl_b64 s[0:1], s[36:37], 2
	v_or3_b32 v78, v22, v24, s20
	v_xor_b32_e32 v22, 16, v4
	v_xor_b32_e32 v24, 32, v4
	;; [unrolled: 1-line block ×3, first 2 shown]
	v_add_u32_e32 v5, 0x80, v5
	v_add_u32_e32 v23, 0x80, v23
	;; [unrolled: 1-line block ×4, first 2 shown]
	s_add_u32 s42, s21, s0
	s_movk_i32 s0, 0xf8
	s_addc_u32 s43, s22, s1
	s_ashr_i32 s41, s40, 31
	v_ashrrev_i32_e32 v47, 31, v46
	s_lshl_b32 s26, s15, 7
	v_lshrrev_b32_e32 v26, 2, v45
	s_mov_b32 s62, 0
	s_mov_b32 s37, 0x7060302
	s_movk_i32 s22, 0x4000
	s_waitcnt vmcnt(1)
	v_perm_b32 v30, v6, v14, s60
	s_waitcnt vmcnt(0)
	v_perm_b32 v31, v10, v18, s60
	v_perm_b32 v6, v6, v14, s61
	;; [unrolled: 1-line block ×15, first 2 shown]
	ds_write2st64_b32 v4, v30, v31 offset1:32
	ds_write2st64_b32 v5, v6, v10 offset1:32
	ds_write2st64_b32 v22, v14, v18 offset0:1 offset1:33
	ds_write2st64_b32 v23, v7, v11 offset0:1 offset1:33
	;; [unrolled: 1-line block ×6, first 2 shown]
	v_lshlrev_b32_e32 v4, 3, v25
	v_lshrrev_b32_e32 v6, 5, v45
	v_and_or_b32 v6, v4, s0, v6
	v_lshlrev_b32_e32 v6, 4, v6
	v_lshlrev_b32_e32 v13, 11, v62
	v_and_b32_e32 v4, 0x78, v4
	v_or_b32_e32 v9, 32, v6
	v_and_b32_e32 v5, 0x1000, v13
	v_lshrrev_b32_e32 v8, 1, v45
	v_xor_b32_e32 v9, v9, v4
	v_and_b32_e32 v8, 8, v8
	v_or_b32_e32 v9, v9, v5
	v_xor_b32_e32 v7, v6, v4
	v_xor_b32_e32 v81, v9, v8
	v_or_b32_e32 v9, 64, v6
	v_or_b32_e32 v6, 0x60, v6
	v_xor_b32_e32 v9, v9, v4
	v_xor_b32_e32 v4, v6, v4
	v_or_b32_e32 v7, v7, v5
	v_or_b32_e32 v9, v9, v5
	;; [unrolled: 1-line block ×3, first 2 shown]
	v_xor_b32_e32 v79, v7, v8
	v_xor_b32_e32 v82, v9, v8
	;; [unrolled: 1-line block ×3, first 2 shown]
	v_lshrrev_b32_e32 v8, 4, v0
	v_lshlrev_b32_e32 v9, 1, v64
	v_or_b32_e32 v10, 1, v9
	v_xor_b32_e32 v9, v8, v9
	s_lshl_b64 s[0:1], s[40:41], 8
	v_xor_b32_e32 v10, v10, v8
	v_lshlrev_b32_e32 v9, 3, v9
	v_lshlrev_b32_e32 v8, 8, v8
	v_lshlrev_b64 v[4:5], 1, v[46:47]
	s_add_u32 s0, s18, s0
	v_or3_b32 v47, v9, v8, s20
	v_lshlrev_b32_e32 v9, 3, v10
	s_addc_u32 s1, s19, s1
	v_or3_b32 v85, v9, v8, s20
	v_mov_b32_e32 v9, 0
	v_lshrrev_b32_e32 v19, 1, v0
	v_lshl_add_u64 v[10:11], s[0:1], 0, v[8:9]
	v_lshlrev_b32_e32 v8, 4, v64
	s_movk_i32 s0, 0xff
	v_lshlrev_b32_e32 v18, 3, v62
	v_and_b32_e32 v19, 24, v19
	v_lshl_add_u64 v[56:57], v[10:11], 0, v[8:9]
	v_and_b32_e32 v8, 7, v0
	v_and_b32_e32 v11, 8, v0
	v_cmp_lt_u32_e32 vcc, s0, v0
	v_xor_b32_e32 v20, v18, v19
	v_lshlrev_b32_e32 v16, 3, v8
	v_lshlrev_b32_e32 v17, 7, v8
	v_cndmask_b32_e64 v8, 0, 1, vcc
	v_or_b32_e32 v21, 0x440, v20
	v_cmp_eq_u32_e32 vcc, 0, v11
	v_or_b32_e32 v23, 64, v19
	v_xor_b32_e32 v23, v18, v23
	v_cndmask_b32_e32 v11, v21, v20, vcc
	v_or_b32_e32 v21, 32, v19
	v_or_b32_e32 v19, 0x60, v19
	v_xor_b32_e32 v21, v18, v21
	v_xor_b32_e32 v18, v18, v19
	v_or_b32_e32 v22, 0x440, v21
	v_xor_b32_e32 v24, 0x440, v23
	v_xor_b32_e32 v19, 0x440, v18
	v_cndmask_b32_e32 v21, v22, v21, vcc
	v_cndmask_b32_e32 v23, v24, v23, vcc
	;; [unrolled: 1-line block ×3, first 2 shown]
	v_and_b32_e32 v7, 0x78, v65
	v_or_b32_e32 v11, v11, v13
	v_or_b32_e32 v21, v21, v13
	;; [unrolled: 1-line block ×4, first 2 shown]
	v_and_b32_e32 v12, 12, v26
	v_lshl_or_b32 v7, v63, 7, v7
	v_lshlrev_b32_e32 v8, 13, v8
	v_xor_b32_e32 v11, v11, v16
	v_xor_b32_e32 v21, v21, v16
	;; [unrolled: 1-line block ×4, first 2 shown]
	v_or_b32_e32 v80, 0x9000, v7
	v_or_b32_e32 v84, 0x9800, v7
	v_lshl_add_u64 v[6:7], s[8:9], 0, v[4:5]
	v_lshl_add_u64 v[4:5], s[28:29], 0, v[4:5]
	v_lshlrev_b32_e32 v14, 1, v3
	v_add_lshl_u32 v3, v3, s15, 1
	v_or_b32_e32 v15, 0x100, v2
	v_or_b32_e32 v10, v12, v1
	v_add_u32_e32 v20, v8, v11
	v_add_u32_e32 v22, v8, v21
	;; [unrolled: 1-line block ×4, first 2 shown]
	v_or3_b32 v12, v1, v12, 64
	v_add_u32_e32 v11, 0x2000, v11
	v_add_u32_e32 v18, 0x2000, v21
	v_add_u32_e32 v19, 0x2000, v23
	v_add_u32_e32 v13, 0x2000, v13
	v_lshlrev_b32_e32 v8, 8, v67
	v_cndmask_b32_e64 v86, v14, v2, s[2:3]
	v_cndmask_b32_e64 v87, v3, v15, s[2:3]
	v_lshl_add_u64 v[58:59], v[6:7], 0, v[8:9]
	v_lshl_add_u64 v[60:61], v[4:5], 0, v[8:9]
	v_lshlrev_b32_e32 v88, 2, v10
	v_add_u32_e32 v89, v20, v17
	v_add_u32_e32 v90, v22, v17
	;; [unrolled: 1-line block ×4, first 2 shown]
	v_lshlrev_b32_e32 v93, 2, v12
	v_add_u32_e32 v94, v11, v17
	v_add_u32_e32 v95, v18, v17
	;; [unrolled: 1-line block ×4, first 2 shown]
	s_waitcnt lgkmcnt(0)
	s_barrier
.LBB531_6:                              ; =>This Inner Loop Header: Depth=1
	s_add_i32 s39, s62, 1
	s_cmp_lt_i32 s39, s50
	s_mov_b64 s[24:25], 0
	s_cselect_b64 s[2:3], -1, 0
	s_cmp_ge_i32 s39, s50
	s_mov_b64 s[20:21], 0
	s_cbranch_scc1 .LBB531_8
; %bb.7:                                ;   in Loop: Header=BB531_6 Depth=1
	s_add_i32 s0, s57, 64
	s_ashr_i32 s1, s0, 31
	s_add_u32 s0, s55, s0
	s_addc_u32 s1, s54, s1
	s_lshl_b64 s[0:1], s[0:1], 8
	s_add_u32 s20, s6, s0
	s_addc_u32 s21, s7, s1
.LBB531_8:                              ;   in Loop: Header=BB531_6 Depth=1
	v_cndmask_b32_e64 v2, 0, 1, s[2:3]
	v_cmp_ne_u32_e64 s[0:1], 1, v2
	s_andn2_b64 vcc, exec, s[2:3]
	s_cbranch_vccnz .LBB531_10
; %bb.9:                                ;   in Loop: Header=BB531_6 Depth=1
	s_add_i32 s2, s57, 64
	s_mul_hi_i32 s3, s2, s14
	s_mul_i32 s2, s2, s14
	s_add_u32 s2, s2, s53
	s_addc_u32 s3, s3, s58
	s_lshl_b64 s[2:3], s[2:3], 8
	s_add_u32 s24, s4, s2
	s_addc_u32 s25, s5, s3
.LBB531_10:                             ;   in Loop: Header=BB531_6 Depth=1
	v_perm_b32 v3, v55, v54, s37
	v_perm_b32 v2, v51, v50, s37
	;; [unrolled: 1-line block ×4, first 2 shown]
	ds_write_b64 v75, v[2:3]
	ds_write_b64 v76, v[4:5]
	;; [unrolled: 1-line block ×4, first 2 shown]
	s_waitcnt lgkmcnt(0)
	s_barrier
	ds_read_b64 v[10:11], v79 offset:16384
	ds_read_b64 v[12:13], v81 offset:16384
	ds_read2st64_b64 v[2:5], v80 offset1:1
	s_waitcnt lgkmcnt(0)
	v_mfma_f32_16x16x16_bf16 a[0:3], v[10:11], v[2:3], 0
	ds_read2st64_b64 v[6:9], v80 offset0:2 offset1:3
	ds_read_b64 v[14:15], v82 offset:16384
	ds_read_b64 v[2:3], v83 offset:16384
	s_add_i32 s41, s57, 63
	v_mfma_f32_16x16x16_bf16 a[0:3], v[12:13], v[4:5], a[0:3]
	s_ashr_i32 s2, s41, 31
	s_mul_i32 s3, s41, s31
	s_mul_hi_u32 s27, s41, s30
	s_waitcnt lgkmcnt(1)
	v_mfma_f32_16x16x16_bf16 a[0:3], v[14:15], v[6:7], a[0:3]
	s_add_i32 s3, s27, s3
	s_mul_i32 s2, s2, s30
	s_add_i32 s3, s3, s2
	s_mul_i32 s2, s41, s30
	s_waitcnt lgkmcnt(0)
	v_mfma_f32_16x16x16_bf16 a[0:3], v[2:3], v[8:9], a[0:3]
	s_lshl_b64 s[2:3], s[2:3], 2
	s_add_u32 s2, s42, s2
	s_addc_u32 s3, s43, s3
	s_and_b64 vcc, exec, s[0:1]
	v_mov_b32_e32 v100, 0
	v_mov_b32_e32 v99, 0
	;; [unrolled: 1-line block ×19, first 2 shown]
	s_cbranch_vccnz .LBB531_12
; %bb.11:                               ;   in Loop: Header=BB531_6 Depth=1
	s_and_b32 s21, s21, 0xffff
	buffer_load_dwordx4 v[14:17], v71, s[20:23], 0 offen
	buffer_load_dwordx4 v[10:13], v71, s[20:23], s59 offen
	;; [unrolled: 1-line block ×4, first 2 shown]
	v_mov_b32_e32 v99, v73
	v_mov_b32_e32 v98, v74
.LBB531_12:                             ;   in Loop: Header=BB531_6 Depth=1
	v_add_u32_e32 v22, s57, v67
	v_ashrrev_i32_e32 v18, 31, v22
	v_mul_lo_u32 v20, v18, s30
	v_mul_lo_u32 v21, v22, s31
	v_mad_u64_u32 v[18:19], s[20:21], v22, s30, 0
	v_add3_u32 v19, v19, v21, v20
	v_lshl_add_u64 v[18:19], v[18:19], 2, s[42:43]
	global_load_dword v36, v[18:19], off
	v_add_u32_e32 v18, 1, v22
	v_ashrrev_i32_e32 v19, 31, v18
	v_mul_lo_u32 v20, v19, s30
	v_mul_lo_u32 v21, v18, s31
	v_mad_u64_u32 v[18:19], s[20:21], v18, s30, 0
	v_add3_u32 v19, v19, v21, v20
	v_add_u32_e32 v20, 2, v22
	v_ashrrev_i32_e32 v21, 31, v20
	v_mul_lo_u32 v23, v21, s30
	v_mul_lo_u32 v24, v20, s31
	v_mad_u64_u32 v[20:21], s[20:21], v20, s30, 0
	v_add_u32_e32 v22, 3, v22
	v_add3_u32 v21, v21, v24, v23
	v_ashrrev_i32_e32 v23, 31, v22
	v_mul_lo_u32 v26, v23, s30
	v_mul_lo_u32 v27, v22, s31
	v_mad_u64_u32 v[22:23], s[20:21], v22, s30, 0
	s_ashr_i32 s21, s57, 31
	s_add_u32 s20, s55, s57
	s_addc_u32 s21, s54, s21
	s_lshl_b64 s[20:21], s[20:21], 8
	v_lshl_add_u64 v[18:19], v[18:19], 2, s[42:43]
	v_lshl_add_u64 v[24:25], v[58:59], 0, s[20:21]
	v_add3_u32 v23, v23, v27, v26
	v_lshl_add_u64 v[20:21], v[20:21], 2, s[42:43]
	global_load_ushort v37, v[24:25], off
	global_load_ushort v38, v[24:25], off offset:256
	global_load_ushort v39, v[24:25], off offset:512
	;; [unrolled: 1-line block ×3, first 2 shown]
	v_lshl_add_u64 v[22:23], v[22:23], 2, s[42:43]
	global_load_dword v41, v[18:19], off
	global_load_dword v42, v[20:21], off
	;; [unrolled: 1-line block ×3, first 2 shown]
	s_load_dword s2, s[2:3], 0x0
	ds_read_b64 v[20:21], v79 offset:24576
	ds_read2st64_b64 v[22:25], v84 offset1:1
	ds_read2st64_b64 v[26:29], v84 offset0:2 offset1:3
	ds_read_b64 v[30:31], v81 offset:24576
	ds_read_b64 v[32:33], v82 offset:24576
	;; [unrolled: 1-line block ×3, first 2 shown]
	s_waitcnt lgkmcnt(0)
	v_mfma_f32_16x16x16_bf16 a[0:3], v[20:21], v[22:23], a[0:3]
	v_mov_b32_e32 v101, 0
	v_mov_b32_e32 v18, 0
	v_mov_b32_e32 v19, 0
	v_mfma_f32_16x16x16_bf16 a[0:3], v[30:31], v[24:25], a[0:3]
	v_lshl_add_u64 v[30:31], v[60:61], 0, s[20:21]
	v_mov_b32_e32 v20, 0
	v_mov_b32_e32 v21, 0
	v_mfma_f32_16x16x16_bf16 a[0:3], v[32:33], v[26:27], a[0:3]
	v_mov_b32_e32 v22, 0
	v_mov_b32_e32 v23, 0
	;; [unrolled: 1-line block ×3, first 2 shown]
	v_mfma_f32_16x16x16_bf16 a[0:3], v[34:35], v[28:29], a[0:3]
	v_mov_b32_e32 v25, 0
	v_mov_b32_e32 v26, 0
	s_and_b64 vcc, exec, s[0:1]
	s_waitcnt vmcnt(7)
	v_sub_f32_e32 v27, s2, v36
	s_nop 1
	v_accvgpr_read_b32 v33, a1
	v_accvgpr_read_b32 v32, a0
	;; [unrolled: 1-line block ×4, first 2 shown]
	s_waitcnt vmcnt(6)
	v_lshlrev_b32_e32 v34, 16, v37
	s_waitcnt vmcnt(5)
	v_lshlrev_b32_e32 v35, 16, v38
	v_exp_f32_e32 v38, v27
	s_waitcnt vmcnt(3)
	v_lshlrev_b32_e32 v37, 16, v40
	s_waitcnt vmcnt(2)
	v_sub_f32_e32 v27, s2, v41
	s_waitcnt vmcnt(1)
	v_sub_f32_e32 v40, s2, v42
	;; [unrolled: 2-line block ×3, first 2 shown]
	v_lshlrev_b32_e32 v36, 16, v39
	v_pk_add_f32 v[32:33], v[34:35], v[32:33] neg_lo:[0,1] neg_hi:[0,1]
	v_exp_f32_e32 v39, v27
	v_exp_f32_e32 v34, v40
	;; [unrolled: 1-line block ×3, first 2 shown]
	v_pk_add_f32 v[28:29], v[36:37], v[28:29] neg_lo:[0,1] neg_hi:[0,1]
	global_store_short_d16_hi v[30:31], v32, off
	global_store_short_d16_hi v[30:31], v33, off offset:256
	global_store_short_d16_hi v[30:31], v28, off offset:512
	;; [unrolled: 1-line block ×3, first 2 shown]
	v_pk_mul_f32 v[30:31], v[38:39], v[32:33]
	v_pk_mul_f32 v[28:29], v[34:35], v[28:29]
	v_perm_b32 v30, v31, v30, s37
	v_perm_b32 v31, v29, v28, s37
	ds_write_b64 v76, v[30:31]
	v_mov_b32_e32 v27, 0
	v_mov_b32_e32 v28, 0
	;; [unrolled: 1-line block ×7, first 2 shown]
	s_cbranch_vccnz .LBB531_14
; %bb.13:                               ;   in Loop: Header=BB531_6 Depth=1
	s_and_b32 s25, s25, 0xffff
	s_mov_b32 s27, s23
	buffer_load_dwordx4 v[30:33], v86, s[24:27], 0 offen
	buffer_load_dwordx4 v[22:25], v86, s[24:27], s59 offen
	buffer_load_dwordx4 v[26:29], v87, s[24:27], 0 offen
	buffer_load_dwordx4 v[18:21], v87, s[24:27], s59 offen
	v_mov_b32_e32 v100, v70
	v_mov_b32_e32 v101, v69
.LBB531_14:                             ;   in Loop: Header=BB531_6 Depth=1
	s_waitcnt lgkmcnt(0)
	s_barrier
	ds_read_b64 v[34:35], v89
	ds_read_b64 v[40:41], v90
	ds_read2st64_b64 v[36:39], v84 offset1:1
	ds_read2st64_b64 v[102:105], v84 offset0:2 offset1:3
	ds_read_b64 v[42:43], v91
	ds_read_b64 v[110:111], v92
	s_add_i32 s3, s56, s62
	s_mul_hi_i32 s21, s3, s13
	s_mul_i32 s3, s3, s13
	s_waitcnt lgkmcnt(3)
	v_mfma_f32_16x16x16_bf16 a[0:3], v[34:35], v[36:37], 0
	ds_read_b64 v[34:35], v94
	s_add_u32 s20, s3, s49
	s_addc_u32 s21, s21, s51
	v_mfma_f32_16x16x16_bf16 a[0:3], v[40:41], v[38:39], a[0:3]
	ds_read_b64 v[40:41], v95
	s_lshl_b64 s[20:21], s[20:21], 15
	s_mul_i32 s24, s41, s13
	s_mul_hi_i32 s3, s41, s13
	s_add_u32 s24, s24, s49
	s_addc_u32 s25, s3, s51
	s_lshl_b64 s[24:25], s[24:25], 9
	s_add_u32 s24, s16, s24
	s_waitcnt lgkmcnt(1)
	v_mfma_f32_16x16x16_bf16 a[4:7], v[34:35], v[36:37], 0
	s_addc_u32 s25, s17, s25
	s_and_b64 vcc, exec, s[0:1]
	v_mfma_f32_16x16x16_bf16 a[0:3], v[42:43], v[102:103], a[0:3]
	ds_read_b64 v[42:43], v96
	ds_read_b64 v[112:113], v97
	global_load_dwordx4 v[34:37], v93, s[24:25]
	s_waitcnt lgkmcnt(2)
	v_mfma_f32_16x16x16_bf16 a[4:7], v[40:41], v[38:39], a[4:7]
	global_load_dwordx4 v[38:41], v88, s[24:25]
	ds_read_b64 v[106:107], v47
	ds_read_b64 v[108:109], v85
	s_waitcnt lgkmcnt(3)
	v_mfma_f32_16x16x16_bf16 a[8:11], v[42:43], v[102:103], a[4:7]
	v_lshl_add_u64 v[42:43], v[56:57], 0, s[20:21]
	s_waitcnt lgkmcnt(0)
	global_store_dwordx4 v[42:43], v[106:109], off
	v_mfma_f32_16x16x16_bf16 a[4:7], v[110:111], v[104:105], a[0:3]
	s_waitcnt vmcnt(2)
	v_mov_b32_e32 v44, v37
	v_mfma_f32_16x16x16_bf16 a[0:3], v[112:113], v[104:105], a[8:11]
	v_mov_b32_e32 v43, v36
	v_mov_b32_e32 v42, v35
	s_cbranch_vccnz .LBB531_16
; %bb.15:                               ;   in Loop: Header=BB531_6 Depth=1
	v_lshrrev_b32_e32 v35, 3, v100
	v_and_b32_e32 v35, 6, v35
	v_xor_b32_e32 v36, v35, v101
	v_lshlrev_b32_e32 v36, 2, v36
	v_and_b32_e32 v37, 8, v100
	v_xor_b32_e32 v100, 0x440, v36
	v_cmp_eq_u32_e32 vcc, 0, v37
	v_perm_b32 v37, v22, v18, s60
	s_nop 0
	v_cndmask_b32_e32 v36, v100, v36, vcc
	v_lshl_or_b32 v35, v35, 10, v36
	v_perm_b32 v36, v30, v26, s60
	s_barrier
	ds_write2st64_b32 v35, v36, v37 offset1:32
	v_xor_b32_e32 v36, 8, v35
	v_perm_b32 v26, v30, v26, s61
	v_perm_b32 v18, v22, v18, s61
	v_add_u32_e32 v22, 0x80, v36
	ds_write2st64_b32 v22, v26, v18 offset1:32
	v_xor_b32_e32 v18, 16, v35
	v_perm_b32 v22, v31, v27, s60
	v_perm_b32 v26, v23, v19, s60
	ds_write2st64_b32 v18, v22, v26 offset0:1 offset1:33
	v_xor_b32_e32 v18, 24, v35
	v_perm_b32 v22, v31, v27, s61
	v_perm_b32 v19, v23, v19, s61
	v_add_u32_e32 v18, 0x80, v18
	ds_write2st64_b32 v18, v22, v19 offset0:1 offset1:33
	v_xor_b32_e32 v18, 32, v35
	v_perm_b32 v19, v32, v28, s60
	v_perm_b32 v22, v24, v20, s60
	ds_write2st64_b32 v18, v19, v22 offset0:2 offset1:34
	v_xor_b32_e32 v18, 40, v35
	v_perm_b32 v19, v32, v28, s61
	v_perm_b32 v20, v24, v20, s61
	v_add_u32_e32 v18, 0x80, v18
	ds_write2st64_b32 v18, v19, v20 offset0:2 offset1:34
	;; [unrolled: 9-line block ×3, first 2 shown]
	ds_write_b64 v99, v[14:15] offset:16384
	v_xor_b32_e32 v14, 8, v99
	ds_write_b64 v14, v[16:17] offset:16384
	ds_write_b64 v99, v[10:11] offset:24576
	;; [unrolled: 1-line block ×4, first 2 shown]
	v_xor_b32_e32 v6, 8, v98
	ds_write_b64 v6, v[8:9] offset:16384
	ds_write_b64 v98, v[2:3] offset:24576
	;; [unrolled: 1-line block ×3, first 2 shown]
.LBB531_16:                             ;   in Loop: Header=BB531_6 Depth=1
	v_exp_f32_e32 v10, s2
	s_waitcnt vmcnt(1)
	v_exp_f32_e32 v12, v38
	v_exp_f32_e32 v13, v39
	;; [unrolled: 1-line block ×4, first 2 shown]
	v_accvgpr_read_b32 v2, a4
	v_accvgpr_read_b32 v3, a5
	v_pk_mul_f32 v[12:13], v[10:11], v[12:13] op_sel_hi:[0,1]
	v_pk_fma_f32 v[50:51], v[50:51], v[12:13], v[2:3]
	v_exp_f32_e32 v12, v34
	v_exp_f32_e32 v13, v42
	v_pk_mul_f32 v[2:3], v[10:11], v[14:15] op_sel_hi:[0,1]
	v_exp_f32_e32 v14, v43
	v_exp_f32_e32 v15, v44
	v_accvgpr_read_b32 v4, a6
	v_accvgpr_read_b32 v5, a7
	;; [unrolled: 1-line block ×5, first 2 shown]
	v_pk_fma_f32 v[54:55], v[54:55], v[2:3], v[4:5]
	v_pk_mul_f32 v[2:3], v[10:11], v[12:13] op_sel_hi:[0,1]
	v_accvgpr_read_b32 v8, a2
	v_pk_fma_f32 v[48:49], v[48:49], v[2:3], v[6:7]
	v_pk_mul_f32 v[2:3], v[10:11], v[14:15] op_sel_hi:[0,1]
	s_add_i32 s57, s57, 64
	s_cmp_eq_u32 s50, s39
	v_pk_fma_f32 v[52:53], v[52:53], v[2:3], v[8:9]
	s_cbranch_scc1 .LBB531_18
; %bb.17:                               ;   in Loop: Header=BB531_6 Depth=1
	s_mov_b32 s62, s39
	s_branch .LBB531_6
.LBB531_18:
	s_lshl_b32 s26, s50, 6
	s_sub_i32 s27, s52, s26
	s_cmp_gt_i32 s27, 0
	s_cbranch_scc0 .LBB531_75
; %bb.19:
	s_add_i32 s26, s26, s34
	s_ashr_i32 s2, s26, 31
	s_cmpk_lg_i32 s15, 0x80
	s_cselect_b64 s[22:23], -1, 0
	s_and_b64 vcc, exec, s[22:23]
	s_cbranch_vccz .LBB531_21
; %bb.20:
	s_mul_i32 s1, s26, s14
	s_ashr_i32 s3, s53, 31
	s_mul_hi_i32 s0, s26, s14
	s_add_u32 s24, s1, s53
	s_addc_u32 s25, s0, s3
	s_cbranch_execz .LBB531_22
	s_branch .LBB531_23
.LBB531_21:
                                        ; implicit-def: $sgpr24_sgpr25
.LBB531_22:
	s_mul_i32 s1, s53, s12
	s_mul_hi_i32 s0, s53, s12
	s_add_u32 s24, s1, s26
	s_addc_u32 s25, s0, s2
.LBB531_23:
	s_add_i32 s3, s50, s56
	s_add_u32 s0, s55, s26
	s_addc_u32 s1, s54, s2
	s_mov_b32 s2, 0x7060302
	v_lshlrev_b32_e32 v6, 3, v64
	s_lshl_b64 s[20:21], s[0:1], 8
	v_perm_b32 v3, v55, v54, s2
	v_perm_b32 v2, v51, v50, s2
	;; [unrolled: 1-line block ×4, first 2 shown]
	v_lshlrev_b32_e32 v34, 2, v64
	v_lshl_or_b32 v6, v67, 5, v6
	s_add_u32 s0, s6, s20
	ds_write2st64_b64 v6, v[2:3], v[4:5] offset0:72 offset1:76
	v_xor_b32_e32 v6, v67, v34
	v_lshlrev_b32_e32 v7, 8, v64
	s_addc_u32 s1, s7, s21
	v_lshl_or_b32 v6, v6, 1, v7
	s_mul_hi_i32 s6, s3, s13
	s_mul_i32 s3, s3, s13
	ds_write_b64 v6, v[2:3] offset:32768
	v_xor_b32_e32 v2, v68, v34
	s_add_u32 s2, s3, s49
	v_lshl_or_b32 v2, v2, 1, v7
	s_addc_u32 s3, s6, s51
	v_lshlrev_b32_e32 v3, 1, v64
	ds_write_b64 v2, v[4:5] offset:32768
	v_lshrrev_b32_e32 v2, 4, v0
	s_ashr_i32 s41, s40, 31
	s_lshl_b64 s[2:3], s[2:3], 15
	v_or_b32_e32 v4, 1, v3
	s_add_u32 s6, s18, s2
	v_xor_b32_e32 v3, v2, v3
	v_xor_b32_e32 v4, v4, v2
	v_lshlrev_b32_e32 v6, 8, v2
	s_addc_u32 s7, s19, s3
	s_lshl_b64 s[2:3], s[40:41], 8
	v_lshl_or_b32 v2, v3, 3, v6
	v_lshl_or_b32 v4, v4, 3, v6
	s_waitcnt lgkmcnt(0)
	s_barrier
	s_add_u32 s2, s6, s2
	ds_read_b64 v[2:3], v2 offset:32768
	ds_read_b64 v[4:5], v4 offset:32768
	s_addc_u32 s3, s7, s3
	v_mov_b32_e32 v7, 0
	s_cmp_lg_u32 s27, 64
	v_lshl_add_u64 v[8:9], s[2:3], 0, v[6:7]
	v_lshlrev_b32_e32 v6, 4, v64
	s_cselect_b64 s[6:7], -1, 0
	v_lshl_or_b32 v35, v62, 3, v66
	s_mov_b32 s16, 0
	v_lshl_add_u64 v[6:7], v[8:9], 0, v[6:7]
	v_or_b32_e32 v19, 32, v35
	v_and_b32_e32 v18, 56, v65
	s_and_b64 vcc, exec, s[6:7]
	s_waitcnt lgkmcnt(0)
	global_store_dwordx4 v[6:7], v[2:5], off
	s_cbranch_vccz .LBB531_29
; %bb.24:
	s_mov_b32 s17, s16
	s_mov_b32 s18, s16
	s_mov_b32 s19, s16
	v_mov_b64_e32 v[6:7], s[16:17]
	v_mov_b64_e32 v[8:9], s[18:19]
	;; [unrolled: 1-line block ×3, first 2 shown]
	v_cmp_gt_i32_e32 vcc, s27, v35
	v_mov_b64_e32 v[4:5], v[8:9]
	s_and_saveexec_b64 s[2:3], vcc
	s_cbranch_execz .LBB531_26
; %bb.25:
	v_lshlrev_b32_e32 v2, 8, v35
	v_mov_b32_e32 v3, 0
	v_lshl_add_u64 v[4:5], s[0:1], 0, v[2:3]
	v_lshlrev_b32_e32 v2, 1, v18
	v_lshl_add_u64 v[10:11], v[4:5], 0, v[2:3]
	global_load_dwordx4 v[6:9], v[10:11], off
	global_load_dwordx4 v[2:5], v[10:11], off offset:128
.LBB531_26:
	s_or_b64 exec, exec, s[2:3]
	s_mov_b32 s17, s16
	s_mov_b32 s18, s16
	;; [unrolled: 1-line block ×3, first 2 shown]
	v_mov_b64_e32 v[14:15], s[16:17]
	v_mov_b64_e32 v[16:17], s[18:19]
	;; [unrolled: 1-line block ×3, first 2 shown]
	v_cmp_gt_i32_e32 vcc, s27, v19
	v_lshlrev_b32_e32 v20, 7, v19
	v_mov_b64_e32 v[12:13], v[16:17]
	s_and_saveexec_b64 s[2:3], vcc
	s_cbranch_execz .LBB531_28
; %bb.27:
	v_lshlrev_b32_e32 v10, 1, v20
	v_mov_b32_e32 v11, 0
	v_lshl_add_u64 v[12:13], s[0:1], 0, v[10:11]
	v_lshlrev_b32_e32 v10, 1, v18
	v_lshl_add_u64 v[22:23], v[12:13], 0, v[10:11]
	global_load_dwordx4 v[14:17], v[22:23], off
	global_load_dwordx4 v[10:13], v[22:23], off offset:128
.LBB531_28:
	s_or_b64 exec, exec, s[2:3]
	v_lshrrev_b32_e32 v21, 3, v18
	v_lshlrev_b32_e32 v22, 3, v35
	v_or_b32_e32 v21, v22, v21
	v_lshlrev_b32_e32 v21, 4, v21
	v_and_b32_e32 v22, 0x78, v22
	v_xor_b32_e32 v21, v21, v22
	s_branch .LBB531_31
.LBB531_29:
                                        ; implicit-def: $vgpr21
                                        ; implicit-def: $vgpr20
                                        ; implicit-def: $vgpr6_vgpr7_vgpr8_vgpr9
                                        ; implicit-def: $vgpr2_vgpr3_vgpr4_vgpr5
                                        ; implicit-def: $vgpr14_vgpr15_vgpr16_vgpr17
                                        ; implicit-def: $vgpr10_vgpr11_vgpr12_vgpr13
	s_cbranch_execz .LBB531_31
; %bb.30:
	s_waitcnt vmcnt(0)
	v_lshlrev_b32_e32 v2, 1, v18
	v_lshl_or_b32 v20, v35, 8, v2
	s_and_b32 s1, s1, 0xffff
	s_mov_b32 s3, 0x20000
	s_movk_i32 s2, 0x4000
	v_lshl_or_b32 v21, v19, 8, v2
	s_movk_i32 s12, 0x80
	buffer_load_dwordx4 v[6:9], v20, s[0:3], 0 offen
	buffer_load_dwordx4 v[2:5], v20, s[0:3], s12 offen
	;; [unrolled: 1-line block ×4, first 2 shown]
	v_lshrrev_b32_e32 v20, 3, v18
	v_lshlrev_b32_e32 v21, 3, v35
	v_or_b32_e32 v20, v21, v20
	v_lshlrev_b32_e32 v20, 4, v20
	v_and_b32_e32 v21, 0x78, v21
	v_xor_b32_e32 v21, v20, v21
	v_lshlrev_b32_e32 v20, 7, v19
.LBB531_31:
	s_lshl_b64 s[0:1], s[24:25], 8
	s_add_u32 s4, s4, s0
	s_movk_i32 s0, 0x1000
	v_and_or_b32 v19, v20, s0, v21
	s_waitcnt vmcnt(1)
	ds_write_b64 v21, v[6:7] offset:16384
	v_xor_b32_e32 v6, 8, v21
	ds_write_b64 v6, v[8:9] offset:16384
	s_waitcnt vmcnt(0)
	ds_write_b64 v21, v[2:3] offset:24576
	ds_write_b64 v6, v[4:5] offset:24576
	;; [unrolled: 1-line block ×3, first 2 shown]
	v_xor_b32_e32 v2, 8, v19
	ds_write_b64 v2, v[16:17] offset:16384
	ds_write_b64 v19, v[10:11] offset:24576
	;; [unrolled: 1-line block ×3, first 2 shown]
	v_or_b32_e32 v2, v1, v64
	v_lshlrev_b32_e32 v2, 3, v2
	v_lshrrev_b32_e32 v4, 5, v45
	s_movk_i32 s12, 0xf8
	v_and_or_b32 v4, v2, s12, v4
	v_lshlrev_b32_e32 v3, 11, v62
	v_lshlrev_b32_e32 v12, 4, v4
	v_and_b32_e32 v13, 0x78, v2
	v_and_b32_e32 v14, 0x1000, v3
	v_lshlrev_b32_e32 v3, 2, v0
	v_xor_b32_e32 v2, v12, v13
	v_lshrrev_b32_e32 v4, 1, v45
	v_and_b32_e32 v3, 60, v3
	v_or_b32_e32 v2, v2, v14
	v_and_b32_e32 v15, 8, v4
	v_xor_b32_e32 v26, v2, v15
	v_lshl_or_b32 v2, v63, 6, v3
	v_lshlrev_b32_e32 v19, 1, v2
	v_or_b32_e32 v2, 32, v12
	v_xor_b32_e32 v2, v2, v13
	s_waitcnt lgkmcnt(0)
	s_barrier
	ds_read_b64 v[10:11], v26 offset:16384
	v_or_b32_e32 v2, v2, v14
	v_xor_b32_e32 v27, v2, v15
	v_or_b32_e32 v2, 64, v12
	v_xor_b32_e32 v2, v2, v13
	v_or_b32_e32 v2, v2, v14
	v_or_b32_e32 v12, 0x60, v12
	v_xor_b32_e32 v28, v2, v15
	ds_read2st64_b64 v[2:5], v19 offset0:72 offset1:73
	ds_read2st64_b64 v[6:9], v19 offset0:74 offset1:75
	v_xor_b32_e32 v16, v12, v13
	ds_read_b64 v[12:13], v27 offset:16384
	s_addc_u32 s5, s5, s1
	s_add_i32 s1, s44, s33
	s_waitcnt lgkmcnt(2)
	v_mfma_f32_16x16x16_bf16 a[0:3], v[10:11], v[2:3], 0
	s_add_i32 s0, s35, -1
	s_add_i32 s39, s1, s45
	s_add_i32 s1, s47, s46
	;; [unrolled: 1-line block ×3, first 2 shown]
	s_ashr_i32 s1, s0, 31
	s_mul_i32 s2, s0, s31
	s_mul_hi_u32 s3, s0, s30
	s_add_i32 s2, s3, s2
	s_mul_i32 s1, s1, s30
	v_or_b32_e32 v14, v16, v14
	s_add_i32 s1, s2, s1
	s_lshl_b64 s[2:3], s[38:39], 2
	v_xor_b32_e32 v36, v14, v15
	ds_read_b64 v[14:15], v28 offset:16384
	ds_read_b64 v[16:17], v36 offset:16384
	s_waitcnt lgkmcnt(2)
	v_mfma_f32_16x16x16_bf16 a[0:3], v[12:13], v[4:5], a[0:3]
	s_add_u32 s10, s10, s2
	s_addc_u32 s11, s11, s3
	s_lshl_b64 s[2:3], s[36:37], 2
	s_mul_i32 s0, s0, s30
	s_add_u32 s10, s10, s2
	s_addc_u32 s11, s11, s3
	s_lshl_b64 s[0:1], s[0:1], 2
	s_waitcnt lgkmcnt(1)
	v_mfma_f32_16x16x16_bf16 a[0:3], v[14:15], v[6:7], a[0:3]
	s_add_u32 s0, s10, s0
	s_addc_u32 s1, s11, s1
	s_load_dword s12, s[0:1], 0x0
	s_waitcnt lgkmcnt(0)
	v_mfma_f32_16x16x16_bf16 a[0:3], v[16:17], v[8:9], a[0:3]
	s_and_b64 vcc, exec, s[22:23]
	s_cbranch_vccz .LBB531_42
; %bb.32:
	v_lshlrev_b32_e32 v20, 1, v35
	s_and_b64 vcc, exec, s[6:7]
	s_cbranch_vccz .LBB531_43
; %bb.33:
	v_cmp_gt_i32_e32 vcc, s27, v20
	v_mov_b32_e32 v6, 0
	v_mov_b32_e32 v2, 0
	;; [unrolled: 1-line block ×5, first 2 shown]
	s_and_saveexec_b64 s[0:1], vcc
	s_cbranch_execz .LBB531_35
; %bb.34:
	v_mad_i64_i32 v[2:3], s[2:3], s15, v20, 0
	v_lshl_add_u64 v[2:3], v[2:3], 1, s[4:5]
	v_lshlrev_b32_e32 v4, 1, v18
	v_mov_b32_e32 v5, 0
	v_lshl_add_u64 v[2:3], v[2:3], 0, v[4:5]
	global_load_dwordx4 v[2:5], v[2:3], off
.LBB531_35:
	s_or_b64 exec, exec, s[0:1]
	v_or_b32_e32 v21, 1, v20
	v_cmp_gt_i32_e64 s[0:1], s27, v21
	v_mov_b32_e32 v7, 0
	v_mov_b32_e32 v8, 0
	;; [unrolled: 1-line block ×3, first 2 shown]
	s_and_saveexec_b64 s[2:3], s[0:1]
	s_cbranch_execz .LBB531_37
; %bb.36:
	v_mad_i64_i32 v[6:7], s[16:17], s15, v21, 0
	v_lshl_add_u64 v[6:7], v[6:7], 1, s[4:5]
	v_lshlrev_b32_e32 v8, 1, v18
	v_mov_b32_e32 v9, 0
	v_lshl_add_u64 v[6:7], v[6:7], 0, v[8:9]
	global_load_dwordx4 v[6:9], v[6:7], off
.LBB531_37:
	s_or_b64 exec, exec, s[2:3]
	v_mov_b32_e32 v17, 0
	v_mov_b32_e32 v10, 0
	v_mov_b32_e32 v11, 0
	v_mov_b32_e32 v12, 0
	v_mov_b32_e32 v13, 0
	s_and_saveexec_b64 s[2:3], vcc
	s_cbranch_execz .LBB531_39
; %bb.38:
	v_mad_i64_i32 v[10:11], s[16:17], s15, v20, 0
	v_lshl_add_u64 v[10:11], v[10:11], 1, s[4:5]
	v_lshlrev_b32_e32 v12, 1, v18
	v_mov_b32_e32 v13, 0
	v_lshl_add_u64 v[10:11], v[10:11], 0, v[12:13]
	global_load_dwordx4 v[10:13], v[10:11], off offset:128
.LBB531_39:
	s_or_b64 exec, exec, s[2:3]
	v_mov_b32_e32 v16, 0
	v_mov_b32_e32 v15, 0
	;; [unrolled: 1-line block ×3, first 2 shown]
	s_and_saveexec_b64 s[2:3], s[0:1]
	s_cbranch_execz .LBB531_41
; %bb.40:
	v_mad_i64_i32 v[14:15], s[0:1], s15, v21, 0
	v_lshl_add_u64 v[14:15], v[14:15], 1, s[4:5]
	v_lshlrev_b32_e32 v16, 1, v18
	v_mov_b32_e32 v17, 0
	v_lshl_add_u64 v[14:15], v[14:15], 0, v[16:17]
	global_load_dwordx4 v[14:17], v[14:15], off offset:128
.LBB531_41:
	s_or_b64 exec, exec, s[2:3]
	s_branch .LBB531_45
.LBB531_42:
                                        ; implicit-def: $vgpr5
                                        ; implicit-def: $vgpr9
                                        ; implicit-def: $vgpr13
                                        ; implicit-def: $vgpr17
	v_lshrrev_b32_e32 v37, 2, v45
	s_branch .LBB531_46
.LBB531_43:
                                        ; implicit-def: $vgpr5
                                        ; implicit-def: $vgpr9
                                        ; implicit-def: $vgpr13
                                        ; implicit-def: $vgpr17
	s_cbranch_execz .LBB531_45
; %bb.44:
	s_waitcnt vmcnt(0)
	v_mad_u64_u32 v[2:3], s[0:1], v20, s15, v[18:19]
	v_lshlrev_b32_e32 v20, 1, v2
	s_lshl_b32 s2, s15, 7
	s_and_b32 s1, s5, 0xffff
	s_mov_b32 s3, 0x20000
	s_mov_b32 s0, s4
	v_add_lshl_u32 v21, v2, s15, 1
	s_movk_i32 s13, 0x80
	buffer_load_dwordx4 v[2:5], v20, s[0:3], 0 offen
	buffer_load_dwordx4 v[10:13], v20, s[0:3], s13 offen
	;; [unrolled: 1-line block ×4, first 2 shown]
.LBB531_45:
	v_lshrrev_b32_e32 v37, 2, v45
	s_cbranch_execnz .LBB531_58
.LBB531_46:
	s_and_b64 vcc, exec, s[6:7]
	s_cbranch_vccz .LBB531_56
; %bb.47:
	s_waitcnt vmcnt(0)
	v_lshlrev_b32_e32 v7, 1, v35
	v_cmp_gt_i32_e32 vcc, s27, v7
	v_mov_b32_e32 v6, 0
	v_lshlrev_b32_e32 v14, 9, v35
	v_mov_b32_e32 v2, 0
	v_mov_b32_e32 v3, 0
	;; [unrolled: 1-line block ×4, first 2 shown]
	s_and_saveexec_b64 s[0:1], vcc
	s_cbranch_execz .LBB531_49
; %bb.48:
	v_mov_b32_e32 v15, 0
	v_lshl_add_u64 v[2:3], s[4:5], 0, v[14:15]
	v_lshlrev_b32_e32 v4, 1, v18
	v_mov_b32_e32 v5, v15
	v_lshl_add_u64 v[2:3], v[2:3], 0, v[4:5]
	global_load_dwordx4 v[2:5], v[2:3], off
.LBB531_49:
	s_or_b64 exec, exec, s[0:1]
	v_or_b32_e32 v7, 1, v7
	v_cmp_gt_i32_e64 s[0:1], s27, v7
	v_lshlrev_b32_e32 v20, 8, v7
	v_mov_b32_e32 v7, 0
	v_mov_b32_e32 v8, 0
	;; [unrolled: 1-line block ×3, first 2 shown]
	s_and_saveexec_b64 s[2:3], s[0:1]
	s_cbranch_execz .LBB531_51
; %bb.50:
	v_mov_b32_e32 v21, 0
	v_lshl_add_u64 v[6:7], s[4:5], 0, v[20:21]
	v_lshlrev_b32_e32 v8, 1, v18
	v_mov_b32_e32 v9, v21
	v_lshl_add_u64 v[6:7], v[6:7], 0, v[8:9]
	global_load_dwordx4 v[6:9], v[6:7], off
.LBB531_51:
	s_or_b64 exec, exec, s[2:3]
	v_mov_b32_e32 v17, 0
	v_mov_b32_e32 v10, 0
	;; [unrolled: 1-line block ×5, first 2 shown]
	s_and_saveexec_b64 s[2:3], vcc
	s_cbranch_execz .LBB531_53
; %bb.52:
	v_mov_b32_e32 v15, 0
	v_lshl_add_u64 v[10:11], s[4:5], 0, v[14:15]
	v_lshlrev_b32_e32 v14, 1, v18
	v_lshl_add_u64 v[10:11], v[10:11], 0, v[14:15]
	global_load_dwordx4 v[10:13], v[10:11], off offset:128
.LBB531_53:
	s_or_b64 exec, exec, s[2:3]
	v_mov_b32_e32 v16, 0
	v_mov_b32_e32 v15, 0
	;; [unrolled: 1-line block ×3, first 2 shown]
	s_and_saveexec_b64 s[2:3], s[0:1]
	s_cbranch_execz .LBB531_55
; %bb.54:
	v_mov_b32_e32 v21, 0
	v_lshl_add_u64 v[14:15], s[4:5], 0, v[20:21]
	v_lshlrev_b32_e32 v20, 1, v18
	v_lshl_add_u64 v[14:15], v[14:15], 0, v[20:21]
	global_load_dwordx4 v[14:17], v[14:15], off offset:128
.LBB531_55:
	s_or_b64 exec, exec, s[2:3]
	s_branch .LBB531_58
.LBB531_56:
                                        ; implicit-def: $vgpr5
                                        ; implicit-def: $vgpr9
                                        ; implicit-def: $vgpr13
                                        ; implicit-def: $vgpr17
	s_cbranch_execz .LBB531_58
; %bb.57:
	s_waitcnt vmcnt(0)
	v_lshlrev_b32_e32 v2, 1, v18
	v_lshl_or_b32 v18, v35, 9, v2
	s_and_b32 s5, s5, 0xffff
	s_mov_b32 s7, 0x20000
	s_movk_i32 s6, 0x4000
	s_movk_i32 s0, 0x80
	buffer_load_dwordx4 v[2:5], v18, s[4:7], 0 offen
	buffer_load_dwordx4 v[6:9], v18, s[4:7], 0 offen offset:256
	buffer_load_dwordx4 v[10:13], v18, s[4:7], s0 offen
	buffer_load_dwordx4 v[14:17], v18, s[4:7], s0 offen offset:256
.LBB531_58:
	ds_read2st64_b64 v[22:25], v19 offset0:76 offset1:77
	ds_read2st64_b64 v[18:21], v19 offset0:78 offset1:79
	ds_read_b64 v[32:33], v26 offset:24576
	ds_read_b64 v[30:31], v27 offset:24576
	;; [unrolled: 1-line block ×4, first 2 shown]
	v_and_b32_e32 v36, 6, v0
	v_xor_b32_e32 v35, v35, v36
	v_lshlrev_b32_e32 v35, 2, v35
	v_and_b32_e32 v0, 1, v0
	v_xor_b32_e32 v38, 0x440, v35
	v_cmp_eq_u32_e32 vcc, 0, v0
	s_mov_b32 s0, 0x1000504
	s_mov_b32 s1, 0x3020706
	v_cndmask_b32_e32 v0, v38, v35, vcc
	v_lshl_or_b32 v0, v36, 10, v0
	s_waitcnt vmcnt(0)
	v_perm_b32 v35, v2, v6, s0
	v_perm_b32 v36, v10, v14, s0
	ds_write2st64_b32 v0, v35, v36 offset1:32
	v_xor_b32_e32 v35, 8, v0
	v_perm_b32 v2, v2, v6, s1
	v_perm_b32 v6, v10, v14, s1
	v_add_u32_e32 v10, 0x80, v35
	ds_write2st64_b32 v10, v2, v6 offset1:32
	v_xor_b32_e32 v2, 16, v0
	v_perm_b32 v6, v3, v7, s0
	v_perm_b32 v10, v11, v15, s0
	ds_write2st64_b32 v2, v6, v10 offset0:1 offset1:33
	v_xor_b32_e32 v2, 24, v0
	v_perm_b32 v3, v3, v7, s1
	v_perm_b32 v6, v11, v15, s1
	v_add_u32_e32 v2, 0x80, v2
	ds_write2st64_b32 v2, v3, v6 offset0:1 offset1:33
	v_xor_b32_e32 v2, 32, v0
	v_perm_b32 v3, v4, v8, s0
	v_perm_b32 v6, v12, v16, s0
	ds_write2st64_b32 v2, v3, v6 offset0:2 offset1:34
	v_xor_b32_e32 v2, 40, v0
	v_perm_b32 v3, v4, v8, s1
	v_perm_b32 v4, v12, v16, s1
	v_add_u32_e32 v2, 0x80, v2
	ds_write2st64_b32 v2, v3, v4 offset0:2 offset1:34
	v_xor_b32_e32 v2, 48, v0
	v_perm_b32 v3, v5, v9, s0
	v_perm_b32 v4, v13, v17, s0
	v_xor_b32_e32 v0, 56, v0
	v_and_or_b32 v8, v37, 12, v1
	ds_write2st64_b32 v2, v3, v4 offset0:3 offset1:35
	v_perm_b32 v2, v5, v9, s1
	v_perm_b32 v3, v13, v17, s1
	v_add_u32_e32 v0, 0x80, v0
	v_cmp_gt_i32_e64 s[2:3], s27, v8
	v_mov_b32_e32 v10, 0
	v_mov_b32_e32 v15, 0
	ds_write2st64_b32 v0, v2, v3 offset0:3 offset1:35
	s_and_saveexec_b64 s[0:1], s[2:3]
	s_cbranch_execz .LBB531_60
; %bb.59:
	v_add_u32_e32 v0, s26, v8
	v_ashrrev_i32_e32 v1, 31, v0
	v_mul_lo_u32 v2, v1, s30
	v_mul_lo_u32 v3, v0, s31
	v_mad_u64_u32 v[0:1], s[4:5], v0, s30, 0
	v_add3_u32 v1, v1, v3, v2
	v_lshl_add_u64 v[0:1], v[0:1], 2, s[10:11]
	global_load_dword v0, v[0:1], off
	s_waitcnt vmcnt(0)
	v_sub_f32_e32 v0, s12, v0
	v_exp_f32_e32 v15, v0
.LBB531_60:
	s_or_b64 exec, exec, s[0:1]
	v_or_b32_e32 v13, 1, v8
	v_cmp_gt_i32_e64 s[4:5], s27, v13
	s_and_saveexec_b64 s[0:1], s[4:5]
	s_cbranch_execz .LBB531_62
; %bb.61:
	v_add_u32_e32 v0, s26, v13
	v_ashrrev_i32_e32 v1, 31, v0
	v_mul_lo_u32 v2, v1, s30
	v_mul_lo_u32 v3, v0, s31
	v_mad_u64_u32 v[0:1], s[6:7], v0, s30, 0
	v_add3_u32 v1, v1, v3, v2
	v_lshl_add_u64 v[0:1], v[0:1], 2, s[10:11]
	global_load_dword v0, v[0:1], off
	s_waitcnt vmcnt(0)
	v_sub_f32_e32 v0, s12, v0
	v_exp_f32_e32 v10, v0
.LBB531_62:
	s_or_b64 exec, exec, s[0:1]
	v_or_b32_e32 v11, 2, v8
	v_cmp_gt_i32_e32 vcc, s27, v11
	v_mov_b32_e32 v9, 0
	v_mov_b32_e32 v14, 0
	s_and_saveexec_b64 s[0:1], vcc
	s_cbranch_execz .LBB531_64
; %bb.63:
	v_add_u32_e32 v0, s26, v11
	v_ashrrev_i32_e32 v1, 31, v0
	v_mul_lo_u32 v2, v1, s30
	v_mul_lo_u32 v3, v0, s31
	v_mad_u64_u32 v[0:1], s[6:7], v0, s30, 0
	v_add3_u32 v1, v1, v3, v2
	v_lshl_add_u64 v[0:1], v[0:1], 2, s[10:11]
	global_load_dword v0, v[0:1], off
	s_waitcnt vmcnt(0)
	v_sub_f32_e32 v0, s12, v0
	v_exp_f32_e32 v14, v0
.LBB531_64:
	s_or_b64 exec, exec, s[0:1]
	v_or_b32_e32 v12, 3, v8
	v_cmp_gt_i32_e64 s[0:1], s27, v12
	s_and_saveexec_b64 s[6:7], s[0:1]
	s_cbranch_execz .LBB531_66
; %bb.65:
	v_add_u32_e32 v0, s26, v12
	v_ashrrev_i32_e32 v1, 31, v0
	v_mul_lo_u32 v2, v1, s30
	v_mul_lo_u32 v3, v0, s31
	v_mad_u64_u32 v[0:1], s[14:15], v0, s30, 0
	v_add3_u32 v1, v1, v3, v2
	v_lshl_add_u64 v[0:1], v[0:1], 2, s[10:11]
	global_load_dword v0, v[0:1], off
	s_waitcnt vmcnt(0)
	v_sub_f32_e32 v0, s12, v0
	v_exp_f32_e32 v9, v0
.LBB531_66:
	s_or_b64 exec, exec, s[6:7]
	s_waitcnt lgkmcnt(11)
	v_mfma_f32_16x16x16_bf16 a[0:3], v[32:33], v[22:23], a[0:3]
	s_add_u32 s6, s8, s20
	v_ashrrev_i32_e32 v47, 31, v46
	s_addc_u32 s7, s9, s21
	s_waitcnt lgkmcnt(10)
	v_mfma_f32_16x16x16_bf16 a[0:3], v[30:31], v[24:25], a[0:3]
	v_lshlrev_b64 v[0:1], 1, v[46:47]
	v_lshl_add_u64 v[4:5], s[6:7], 0, v[0:1]
	s_add_u32 s6, s28, s20
	s_waitcnt lgkmcnt(9)
	v_mfma_f32_16x16x16_bf16 a[0:3], v[28:29], v[18:19], a[0:3]
	s_addc_u32 s7, s29, s21
	v_lshl_add_u64 v[6:7], s[6:7], 0, v[0:1]
	v_mov_b32_e32 v16, 0
	s_waitcnt lgkmcnt(8)
	v_mfma_f32_16x16x16_bf16 a[0:3], v[26:27], v[20:21], a[0:3]
	v_mov_b32_e32 v17, 0
	s_nop 5
	v_accvgpr_read_b32 v0, a0
	v_accvgpr_read_b32 v1, a1
	;; [unrolled: 1-line block ×4, first 2 shown]
	s_and_saveexec_b64 s[6:7], s[2:3]
	s_cbranch_execz .LBB531_68
; %bb.67:
	v_lshlrev_b32_e32 v18, 8, v8
	v_mov_b32_e32 v19, 0
	v_lshl_add_u64 v[20:21], v[4:5], 0, v[18:19]
	global_load_ushort v17, v[20:21], off
	v_lshl_add_u64 v[18:19], v[6:7], 0, v[18:19]
	s_waitcnt vmcnt(0)
	v_lshlrev_b32_e32 v17, 16, v17
	v_sub_f32_e32 v0, v17, v0
	global_store_short_d16_hi v[18:19], v0, off
	v_mul_f32_e32 v0, v15, v0
	v_lshrrev_b32_e32 v17, 16, v0
.LBB531_68:
	s_or_b64 exec, exec, s[6:7]
	s_and_saveexec_b64 s[2:3], s[4:5]
	s_cbranch_execz .LBB531_70
; %bb.69:
	v_lshlrev_b32_e32 v18, 8, v13
	v_mov_b32_e32 v19, 0
	v_lshl_add_u64 v[20:21], v[4:5], 0, v[18:19]
	global_load_ushort v0, v[20:21], off
	v_lshl_add_u64 v[18:19], v[6:7], 0, v[18:19]
	s_waitcnt vmcnt(0)
	v_lshlrev_b32_e32 v0, 16, v0
	v_sub_f32_e32 v0, v0, v1
	global_store_short_d16_hi v[18:19], v0, off
	v_mul_f32_e32 v0, v10, v0
	v_lshrrev_b32_e32 v16, 16, v0
.LBB531_70:
	s_or_b64 exec, exec, s[2:3]
	v_mov_b32_e32 v0, 0
	v_mov_b32_e32 v1, 0
	s_and_saveexec_b64 s[2:3], vcc
	s_cbranch_execz .LBB531_72
; %bb.71:
	v_lshlrev_b32_e32 v10, 8, v11
	v_mov_b32_e32 v11, 0
	v_lshl_add_u64 v[18:19], v[4:5], 0, v[10:11]
	global_load_ushort v1, v[18:19], off
	v_lshl_add_u64 v[10:11], v[6:7], 0, v[10:11]
	s_waitcnt vmcnt(0)
	v_lshlrev_b32_e32 v1, 16, v1
	v_sub_f32_e32 v1, v1, v2
	global_store_short_d16_hi v[10:11], v1, off
	v_mul_f32_e32 v1, v14, v1
	v_lshrrev_b32_e32 v1, 16, v1
.LBB531_72:
	s_or_b64 exec, exec, s[2:3]
	s_and_saveexec_b64 s[2:3], s[0:1]
	s_cbranch_execz .LBB531_74
; %bb.73:
	v_lshlrev_b32_e32 v10, 8, v12
	v_mov_b32_e32 v11, 0
	v_lshl_add_u64 v[4:5], v[4:5], 0, v[10:11]
	global_load_ushort v0, v[4:5], off
	v_lshl_add_u64 v[4:5], v[6:7], 0, v[10:11]
	s_waitcnt vmcnt(0)
	v_lshlrev_b32_e32 v0, 16, v0
	v_sub_f32_e32 v0, v0, v3
	global_store_short_d16_hi v[4:5], v0, off
	v_mul_f32_e32 v0, v9, v0
	v_lshrrev_b32_e32 v0, 16, v0
.LBB531_74:
	s_or_b64 exec, exec, s[2:3]
	s_mov_b32 s0, 0x5040100
	v_lshlrev_b32_e32 v2, 1, v34
	v_perm_b32 v1, v0, v1, s0
	v_perm_b32 v0, v16, v17, s0
	v_lshl_or_b32 v2, v8, 5, v2
	ds_write_b64 v2, v[0:1] offset:38912
	s_waitcnt lgkmcnt(0)
	s_barrier
.LBB531_75:
	s_endpgm
	.section	.rodata,"a",@progbits
	.p2align	6, 0x0
	.amdhsa_kernel _ZN12_GLOBAL__N_139chunk_gated_delta_rule_fwd_h_hip_kernelILi16ELb1ELb0ELb1ELb1ELb1ELb1ELb0ELb1EEEvPK12hip_bfloat16S3_S3_PKfS5_PKvPS1_S8_PvPKiSB_iiiiilll
		.amdhsa_group_segment_fixed_size 40960
		.amdhsa_private_segment_fixed_size 0
		.amdhsa_kernarg_size 136
		.amdhsa_user_sgpr_count 2
		.amdhsa_user_sgpr_dispatch_ptr 0
		.amdhsa_user_sgpr_queue_ptr 0
		.amdhsa_user_sgpr_kernarg_segment_ptr 1
		.amdhsa_user_sgpr_dispatch_id 0
		.amdhsa_user_sgpr_kernarg_preload_length 0
		.amdhsa_user_sgpr_kernarg_preload_offset 0
		.amdhsa_user_sgpr_private_segment_size 0
		.amdhsa_uses_dynamic_stack 0
		.amdhsa_enable_private_segment 0
		.amdhsa_system_sgpr_workgroup_id_x 1
		.amdhsa_system_sgpr_workgroup_id_y 1
		.amdhsa_system_sgpr_workgroup_id_z 0
		.amdhsa_system_sgpr_workgroup_info 0
		.amdhsa_system_vgpr_workitem_id 0
		.amdhsa_next_free_vgpr 128
		.amdhsa_next_free_sgpr 63
		.amdhsa_accum_offset 116
		.amdhsa_reserve_vcc 1
		.amdhsa_float_round_mode_32 0
		.amdhsa_float_round_mode_16_64 0
		.amdhsa_float_denorm_mode_32 3
		.amdhsa_float_denorm_mode_16_64 3
		.amdhsa_dx10_clamp 1
		.amdhsa_ieee_mode 1
		.amdhsa_fp16_overflow 0
		.amdhsa_tg_split 0
		.amdhsa_exception_fp_ieee_invalid_op 0
		.amdhsa_exception_fp_denorm_src 0
		.amdhsa_exception_fp_ieee_div_zero 0
		.amdhsa_exception_fp_ieee_overflow 0
		.amdhsa_exception_fp_ieee_underflow 0
		.amdhsa_exception_fp_ieee_inexact 0
		.amdhsa_exception_int_div_zero 0
	.end_amdhsa_kernel
	.section	.text._ZN12_GLOBAL__N_139chunk_gated_delta_rule_fwd_h_hip_kernelILi16ELb1ELb0ELb1ELb1ELb1ELb1ELb0ELb1EEEvPK12hip_bfloat16S3_S3_PKfS5_PKvPS1_S8_PvPKiSB_iiiiilll,"axG",@progbits,_ZN12_GLOBAL__N_139chunk_gated_delta_rule_fwd_h_hip_kernelILi16ELb1ELb0ELb1ELb1ELb1ELb1ELb0ELb1EEEvPK12hip_bfloat16S3_S3_PKfS5_PKvPS1_S8_PvPKiSB_iiiiilll,comdat
.Lfunc_end531:
	.size	_ZN12_GLOBAL__N_139chunk_gated_delta_rule_fwd_h_hip_kernelILi16ELb1ELb0ELb1ELb1ELb1ELb1ELb0ELb1EEEvPK12hip_bfloat16S3_S3_PKfS5_PKvPS1_S8_PvPKiSB_iiiiilll, .Lfunc_end531-_ZN12_GLOBAL__N_139chunk_gated_delta_rule_fwd_h_hip_kernelILi16ELb1ELb0ELb1ELb1ELb1ELb1ELb0ELb1EEEvPK12hip_bfloat16S3_S3_PKfS5_PKvPS1_S8_PvPKiSB_iiiiilll
                                        ; -- End function
	.section	.AMDGPU.csdata,"",@progbits
; Kernel info:
; codeLenInByte = 7372
; NumSgprs: 69
; NumVgprs: 114
; NumAgprs: 12
; TotalNumVgprs: 128
; ScratchSize: 0
; MemoryBound: 0
; FloatMode: 240
; IeeeMode: 1
; LDSByteSize: 40960 bytes/workgroup (compile time only)
; SGPRBlocks: 8
; VGPRBlocks: 15
; NumSGPRsForWavesPerEU: 69
; NumVGPRsForWavesPerEU: 128
; AccumOffset: 116
; Occupancy: 1
; WaveLimiterHint : 1
; COMPUTE_PGM_RSRC2:SCRATCH_EN: 0
; COMPUTE_PGM_RSRC2:USER_SGPR: 2
; COMPUTE_PGM_RSRC2:TRAP_HANDLER: 0
; COMPUTE_PGM_RSRC2:TGID_X_EN: 1
; COMPUTE_PGM_RSRC2:TGID_Y_EN: 1
; COMPUTE_PGM_RSRC2:TGID_Z_EN: 0
; COMPUTE_PGM_RSRC2:TIDIG_COMP_CNT: 0
; COMPUTE_PGM_RSRC3_GFX90A:ACCUM_OFFSET: 28
; COMPUTE_PGM_RSRC3_GFX90A:TG_SPLIT: 0
	.section	.text._ZN12_GLOBAL__N_139chunk_gated_delta_rule_fwd_h_hip_kernelILi16ELb1ELb0ELb0ELb1ELb1ELb1ELb0ELb1EEEvPK12hip_bfloat16S3_S3_PKfS5_PKvPS1_S8_PvPKiSB_iiiiilll,"axG",@progbits,_ZN12_GLOBAL__N_139chunk_gated_delta_rule_fwd_h_hip_kernelILi16ELb1ELb0ELb0ELb1ELb1ELb1ELb0ELb1EEEvPK12hip_bfloat16S3_S3_PKfS5_PKvPS1_S8_PvPKiSB_iiiiilll,comdat
	.globl	_ZN12_GLOBAL__N_139chunk_gated_delta_rule_fwd_h_hip_kernelILi16ELb1ELb0ELb0ELb1ELb1ELb1ELb0ELb1EEEvPK12hip_bfloat16S3_S3_PKfS5_PKvPS1_S8_PvPKiSB_iiiiilll ; -- Begin function _ZN12_GLOBAL__N_139chunk_gated_delta_rule_fwd_h_hip_kernelILi16ELb1ELb0ELb0ELb1ELb1ELb1ELb0ELb1EEEvPK12hip_bfloat16S3_S3_PKfS5_PKvPS1_S8_PvPKiSB_iiiiilll
	.p2align	8
	.type	_ZN12_GLOBAL__N_139chunk_gated_delta_rule_fwd_h_hip_kernelILi16ELb1ELb0ELb0ELb1ELb1ELb1ELb0ELb1EEEvPK12hip_bfloat16S3_S3_PKfS5_PKvPS1_S8_PvPKiSB_iiiiilll,@function
_ZN12_GLOBAL__N_139chunk_gated_delta_rule_fwd_h_hip_kernelILi16ELb1ELb0ELb0ELb1ELb1ELb1ELb0ELb1EEEvPK12hip_bfloat16S3_S3_PKfS5_PKvPS1_S8_PvPKiSB_iiiiilll: ; @_ZN12_GLOBAL__N_139chunk_gated_delta_rule_fwd_h_hip_kernelILi16ELb1ELb0ELb0ELb1ELb1ELb1ELb0ELb1EEEvPK12hip_bfloat16S3_S3_PKfS5_PKvPS1_S8_PvPKiSB_iiiiilll
; %bb.0:
	s_load_dwordx4 s[12:15], s[0:1], 0x5c
	s_load_dwordx4 s[20:23], s[0:1], 0x70
	s_abs_i32 s9, s3
	s_ashr_i32 s8, s3, 31
	s_load_dwordx4 s[4:7], s[0:1], 0x48
	s_waitcnt lgkmcnt(0)
	s_abs_i32 s10, s13
	v_cvt_f32_u32_e32 v1, s10
	s_sub_i32 s16, 0, s10
	s_ashr_i32 s11, s13, 31
	s_xor_b32 s8, s8, s11
	v_rcp_iflag_f32_e32 v1, v1
	v_and_b32_e32 v62, 15, v0
	v_lshrrev_b32_e32 v60, 6, v0
	v_bfe_u32 v61, v0, 4, 2
	v_mul_f32_e32 v1, 0x4f7ffffe, v1
	v_cvt_u32_f32_e32 v1, v1
	v_mov_b32_e32 v5, 0
	v_and_b32_e32 v45, 63, v0
	v_lshlrev_b32_e32 v63, 3, v0
	v_readfirstlane_b32 s17, v1
	s_mul_i32 s16, s16, s17
	s_mul_hi_u32 s16, s17, s16
	s_add_i32 s17, s17, s16
	s_mul_hi_u32 s16, s9, s17
	s_mul_i32 s17, s16, s10
	s_sub_i32 s9, s9, s17
	s_add_i32 s18, s16, 1
	s_sub_i32 s17, s9, s10
	s_cmp_ge_u32 s9, s10
	s_cselect_b32 s16, s18, s16
	s_cselect_b32 s9, s17, s9
	s_add_i32 s17, s16, 1
	s_cmp_ge_u32 s9, s10
	s_cselect_b32 s9, s17, s16
	s_load_dwordx4 s[16:19], s[0:1], 0x28
	s_xor_b32 s9, s9, s8
	s_sub_i32 s24, s9, s8
	s_mul_i32 s28, s24, s13
	s_ashr_i32 s25, s24, 31
	s_sub_i32 s47, s3, s28
	s_lshl_b64 s[8:9], s[24:25], 2
	s_add_u32 s4, s4, s8
	s_addc_u32 s5, s5, s9
	s_add_u32 s26, s6, s8
	s_addc_u32 s27, s7, s9
	s_abs_i32 s3, s14
	v_cvt_f32_u32_e32 v1, s3
	s_load_dwordx2 s[30:31], s[4:5], 0x0
	s_lshl_b32 s38, s2, 4
	s_ashr_i32 s2, s14, 31
	v_rcp_iflag_f32_e32 v1, v1
	s_xor_b32 s2, s11, s2
	s_waitcnt lgkmcnt(0)
	s_sub_i32 s50, s31, s30
	s_ashr_i32 s4, s50, 31
	v_mul_f32_e32 v1, 0x4f7ffffe, v1
	v_cvt_u32_f32_e32 v1, v1
	s_lshr_b32 s4, s4, 26
	s_add_i32 s4, s50, s4
	s_ashr_i32 s48, s4, 6
	s_sub_i32 s4, 0, s3
	v_readfirstlane_b32 s5, v1
	s_mul_i32 s4, s4, s5
	s_mul_hi_u32 s4, s5, s4
	s_add_i32 s5, s5, s4
	s_mul_hi_u32 s4, s10, s5
	s_mul_i32 s5, s4, s3
	s_sub_i32 s5, s10, s5
	s_add_i32 s6, s4, 1
	s_sub_i32 s7, s5, s3
	s_cmp_ge_u32 s5, s3
	s_cselect_b32 s4, s6, s4
	s_cselect_b32 s5, s7, s5
	s_add_i32 s6, s4, 1
	s_cmp_ge_u32 s5, s3
	s_cselect_b32 s3, s6, s4
	s_xor_b32 s3, s3, s2
	s_sub_i32 s2, s3, s2
	s_abs_i32 s3, s2
	v_cvt_f32_u32_e32 v1, s3
	s_sub_i32 s5, 0, s3
	s_abs_i32 s4, s47
	s_xor_b32 s2, s47, s2
	v_rcp_iflag_f32_e32 v1, v1
	s_ashr_i32 s2, s2, 31
	v_or_b32_e32 v46, s38, v62
	v_lshlrev_b32_e32 v2, 7, v46
	v_mul_f32_e32 v1, 0x4f7ffffe, v1
	v_cvt_u32_f32_e32 v1, v1
	v_ashrrev_i32_e32 v3, 31, v2
	v_lshrrev_b32_e32 v64, 3, v45
	s_mul_i32 s33, s24, s21
	v_readfirstlane_b32 s6, v1
	s_mul_i32 s5, s5, s6
	s_mul_hi_u32 s5, s6, s5
	s_add_i32 s6, s6, s5
	s_mul_hi_u32 s5, s4, s6
	s_mul_i32 s6, s5, s3
	s_sub_i32 s4, s4, s6
	s_add_i32 s6, s5, 1
	s_sub_i32 s7, s4, s3
	s_cmp_ge_u32 s4, s3
	s_cselect_b32 s5, s6, s5
	s_cselect_b32 s4, s7, s4
	s_add_i32 s6, s5, 1
	s_cmp_ge_u32 s4, s3
	s_cselect_b32 s3, s6, s5
	s_xor_b32 s3, s3, s2
	s_sub_i32 s51, s3, s2
	s_ashr_i32 s49, s47, 31
	s_mul_hi_i32 s3, s24, s13
	s_add_u32 s2, s28, s47
	s_addc_u32 s3, s3, s49
	s_lshl_b64 s[2:3], s[2:3], 15
	v_lshlrev_b32_e32 v1, 4, v60
	s_add_u32 s2, s16, s2
	v_lshl_or_b32 v65, v61, 2, v1
	s_addc_u32 s3, s17, s3
	v_lshl_add_u64 v[2:3], v[2:3], 1, s[2:3]
	v_lshlrev_b32_e32 v4, 1, v65
	v_lshl_add_u64 v[2:3], v[2:3], 0, v[4:5]
	global_load_dwordx2 v[4:5], v[2:3], off
	global_load_dwordx2 v[6:7], v[2:3], off offset:128
	s_load_dwordx8 s[4:11], s[0:1], 0x0
	s_load_dwordx2 s[28:29], s[0:1], 0x80
	s_load_dword s54, s[26:27], 0x0
	v_or_b32_e32 v66, 64, v65
	s_mul_hi_u32 s42, s24, s20
	s_mul_i32 s36, s24, s20
	s_mul_i32 s43, s25, s20
	s_mul_hi_i32 s52, s47, s12
	s_mul_i32 s53, s47, s12
	s_mul_i32 s44, s47, s23
	s_mul_hi_u32 s45, s47, s22
	s_mul_i32 s46, s49, s22
	s_cmp_lt_i32 s50, 64
	s_mul_i32 s34, s47, s22
	s_waitcnt vmcnt(1)
	v_and_b32_e32 v51, 0xffff0000, v4
	v_lshlrev_b32_e32 v50, 16, v4
	v_and_b32_e32 v55, 0xffff0000, v5
	v_lshlrev_b32_e32 v54, 16, v5
	s_waitcnt vmcnt(0)
	v_and_b32_e32 v49, 0xffff0000, v6
	v_lshlrev_b32_e32 v48, 16, v6
	v_and_b32_e32 v53, 0xffff0000, v7
	v_lshlrev_b32_e32 v52, 16, v7
	s_cbranch_scc1 .LBB532_18
; %bb.1:
	s_ashr_i32 s3, s30, 31
	s_add_u32 s2, s53, s30
	s_addc_u32 s3, s52, s3
	s_lshl_b64 s[2:3], s[2:3], 8
	v_and_b32_e32 v68, 56, v63
	s_waitcnt lgkmcnt(0)
	s_add_u32 s20, s6, s2
	v_lshl_or_b32 v67, v60, 3, v64
	v_lshlrev_b32_e32 v2, 1, v68
	s_addc_u32 s2, s7, s3
	v_lshl_or_b32 v69, v67, 8, v2
	s_and_b32 s21, s2, 0xffff
	s_mov_b32 s23, 0x20000
	s_movk_i32 s22, 0x4000
	s_movk_i32 s2, 0x80
	v_or_b32_e32 v70, 0x2000, v69
	buffer_load_dwordx4 v[4:7], v69, s[20:23], 0 offen
	buffer_load_dwordx4 v[8:11], v69, s[20:23], s2 offen
	;; [unrolled: 1-line block ×4, first 2 shown]
	v_lshlrev_b32_e32 v3, 3, v67
	v_and_or_b32 v21, v0, 7, v3
	v_and_b32_e32 v3, 0x78, v3
	v_lshlrev_b32_e32 v21, 4, v21
	v_xor_b32_e32 v71, v21, v3
	v_mul_lo_u32 v20, v67, s15
	v_or_b32_e32 v72, 0x1000, v71
	v_xor_b32_e32 v3, 8, v71
	s_cmpk_eq_i32 s15, 0x80
	s_mov_b32 s55, s30
	v_xor_b32_e32 v21, 8, v72
	s_cselect_b64 s[2:3], -1, 0
	s_cmpk_lg_i32 s15, 0x80
	s_waitcnt vmcnt(3)
	ds_write_b64 v71, v[4:5] offset:16384
	ds_write_b64 v3, v[6:7] offset:16384
	s_waitcnt vmcnt(2)
	ds_write_b64 v71, v[8:9] offset:24576
	ds_write_b64 v3, v[10:11] offset:24576
	;; [unrolled: 3-line block ×4, first 2 shown]
	v_lshl_add_u32 v3, v20, 1, v68
	s_cbranch_scc0 .LBB532_3
; %bb.2:
	v_lshlrev_b32_e32 v5, 1, v3
	v_add_lshl_u32 v4, v3, s15, 1
	s_lshl_b32 s22, s15, 7
	s_load_dwordx2 s[16:17], s[0:1], 0x20
	v_lshl_or_b32 v2, v67, 9, v2
	s_cbranch_execz .LBB532_4
	s_branch .LBB532_5
.LBB532_3:
                                        ; implicit-def: $vgpr4
                                        ; implicit-def: $vgpr5
                                        ; implicit-def: $sgpr22
	s_load_dwordx2 s[16:17], s[0:1], 0x20
	v_lshl_or_b32 v2, v67, 9, v2
.LBB532_4:
	v_or_b32_e32 v4, 0x100, v2
	s_movk_i32 s22, 0x4000
	v_mov_b32_e32 v5, v2
.LBB532_5:
	s_mul_i32 s0, s30, s14
	s_ashr_i32 s56, s51, 31
	s_mul_hi_i32 s1, s30, s14
	s_add_u32 s0, s0, s51
	s_addc_u32 s1, s1, s56
	s_lshl_b64 s[0:1], s[0:1], 8
	s_add_u32 s20, s4, s0
	s_addc_u32 s0, s5, s1
	s_and_b32 s21, s0, 0xffff
	s_movk_i32 s57, 0x80
	buffer_load_dwordx4 v[6:9], v5, s[20:23], 0 offen
	buffer_load_dwordx4 v[10:13], v5, s[20:23], s57 offen
	;; [unrolled: 1-line block ×4, first 2 shown]
	v_and_b32_e32 v4, 6, v0
	v_lshlrev_b32_e32 v22, 2, v62
	v_lshlrev_b32_e32 v23, 3, v62
	v_xor_b32_e32 v27, v67, v4
	v_and_b32_e32 v5, 1, v0
	v_lshl_or_b32 v23, v65, 5, v23
	v_xor_b32_e32 v28, v65, v22
	v_lshlrev_b32_e32 v27, 2, v27
	s_add_i32 s0, s42, s33
	v_or_b32_e32 v73, 0x9000, v23
	v_or_b32_e32 v74, 0x9800, v23
	v_lshlrev_b32_e32 v23, 1, v28
	v_xor_b32_e32 v28, 0x440, v27
	v_cmp_eq_u32_e32 vcc, 0, v5
	s_add_i32 s1, s45, s44
	s_add_i32 s37, s0, s43
	v_cndmask_b32_e32 v5, v28, v27, vcc
	s_add_i32 s35, s1, s46
	s_lshl_b64 s[0:1], s[36:37], 2
	s_mov_b32 s58, 0x1000504
	s_mov_b32 s59, 0x3020706
	v_lshlrev_b32_e32 v24, 8, v62
	s_mov_b32 s20, 0x8000
	v_xor_b32_e32 v22, v66, v22
	v_lshl_or_b32 v4, v4, 10, v5
	s_add_u32 s21, s10, s0
	v_or_b32_e32 v25, v1, v62
	v_lshlrev_b32_e32 v22, 1, v22
	v_or3_b32 v75, v23, v24, s20
	v_xor_b32_e32 v5, 8, v4
	v_xor_b32_e32 v23, 24, v4
	;; [unrolled: 1-line block ×4, first 2 shown]
	s_addc_u32 s22, s11, s1
	s_lshl_b64 s[0:1], s[34:35], 2
	v_or3_b32 v76, v22, v24, s20
	v_xor_b32_e32 v22, 16, v4
	v_xor_b32_e32 v24, 32, v4
	v_xor_b32_e32 v28, 48, v4
	v_add_u32_e32 v5, 0x80, v5
	v_add_u32_e32 v23, 0x80, v23
	;; [unrolled: 1-line block ×4, first 2 shown]
	s_add_u32 s40, s21, s0
	s_movk_i32 s0, 0xf8
	s_addc_u32 s41, s22, s1
	s_ashr_i32 s39, s38, 31
	v_ashrrev_i32_e32 v47, 31, v46
	s_lshl_b32 s26, s15, 7
	v_lshrrev_b32_e32 v26, 2, v45
	s_mov_b32 s60, 0
	s_mov_b32 s35, 0x7060302
	s_movk_i32 s22, 0x4000
	s_waitcnt vmcnt(1)
	v_perm_b32 v30, v6, v14, s58
	s_waitcnt vmcnt(0)
	v_perm_b32 v31, v10, v18, s58
	v_perm_b32 v6, v6, v14, s59
	;; [unrolled: 1-line block ×15, first 2 shown]
	ds_write2st64_b32 v4, v30, v31 offset1:32
	ds_write2st64_b32 v5, v6, v10 offset1:32
	ds_write2st64_b32 v22, v14, v18 offset0:1 offset1:33
	ds_write2st64_b32 v23, v7, v11 offset0:1 offset1:33
	;; [unrolled: 1-line block ×6, first 2 shown]
	v_lshlrev_b32_e32 v4, 3, v25
	v_lshrrev_b32_e32 v6, 5, v45
	v_and_or_b32 v6, v4, s0, v6
	v_lshlrev_b32_e32 v6, 4, v6
	v_lshlrev_b32_e32 v11, 11, v60
	v_and_b32_e32 v4, 0x78, v4
	v_or_b32_e32 v9, 32, v6
	v_and_b32_e32 v5, 0x1000, v11
	v_xor_b32_e32 v7, v6, v4
	v_lshrrev_b32_e32 v8, 1, v45
	v_xor_b32_e32 v9, v9, v4
	v_or_b32_e32 v7, v7, v5
	v_and_b32_e32 v8, 8, v8
	v_or_b32_e32 v9, v9, v5
	v_xor_b32_e32 v77, v7, v8
	v_and_b32_e32 v7, 0x78, v63
	v_xor_b32_e32 v79, v9, v8
	v_or_b32_e32 v9, 64, v6
	v_or_b32_e32 v6, 0x60, v6
	v_lshl_or_b32 v7, v61, 7, v7
	v_xor_b32_e32 v9, v9, v4
	v_xor_b32_e32 v4, v6, v4
	v_or_b32_e32 v78, 0x9000, v7
	v_or_b32_e32 v9, v9, v5
	;; [unrolled: 1-line block ×4, first 2 shown]
	v_lshrrev_b32_e32 v6, 4, v0
	v_lshlrev_b32_e32 v7, 1, v62
	v_xor_b32_e32 v80, v9, v8
	v_xor_b32_e32 v81, v4, v8
	v_or_b32_e32 v8, 1, v7
	v_xor_b32_e32 v7, v6, v7
	s_lshl_b64 s[0:1], s[38:39], 8
	v_xor_b32_e32 v8, v8, v6
	v_lshlrev_b32_e32 v7, 3, v7
	v_lshlrev_b32_e32 v6, 8, v6
	v_lshl_add_u64 v[4:5], v[46:47], 1, s[8:9]
	s_add_u32 s0, s18, s0
	v_or3_b32 v47, v7, v6, s20
	v_lshlrev_b32_e32 v7, 3, v8
	s_addc_u32 s1, s19, s1
	v_or3_b32 v83, v7, v6, s20
	v_mov_b32_e32 v7, 0
	v_lshrrev_b32_e32 v17, 1, v0
	v_lshl_add_u64 v[8:9], s[0:1], 0, v[6:7]
	v_lshlrev_b32_e32 v6, 4, v62
	s_movk_i32 s0, 0xff
	v_lshlrev_b32_e32 v16, 3, v60
	v_and_b32_e32 v17, 24, v17
	v_lshl_add_u64 v[56:57], v[8:9], 0, v[6:7]
	v_and_b32_e32 v6, 7, v0
	v_and_b32_e32 v9, 8, v0
	v_cmp_lt_u32_e32 vcc, s0, v0
	v_xor_b32_e32 v18, v16, v17
	v_lshlrev_b32_e32 v14, 3, v6
	v_lshlrev_b32_e32 v15, 7, v6
	v_cndmask_b32_e64 v6, 0, 1, vcc
	v_or_b32_e32 v19, 0x440, v18
	v_cmp_eq_u32_e32 vcc, 0, v9
	v_or_b32_e32 v21, 64, v17
	v_xor_b32_e32 v21, v16, v21
	v_cndmask_b32_e32 v9, v19, v18, vcc
	v_or_b32_e32 v19, 32, v17
	v_or_b32_e32 v17, 0x60, v17
	v_xor_b32_e32 v19, v16, v19
	v_xor_b32_e32 v16, v16, v17
	v_or_b32_e32 v20, 0x440, v19
	v_xor_b32_e32 v22, 0x440, v21
	v_xor_b32_e32 v17, 0x440, v16
	v_cndmask_b32_e32 v19, v20, v19, vcc
	v_cndmask_b32_e32 v21, v22, v21, vcc
	;; [unrolled: 1-line block ×3, first 2 shown]
	v_or_b32_e32 v9, v9, v11
	v_or_b32_e32 v19, v19, v11
	;; [unrolled: 1-line block ×4, first 2 shown]
	v_and_b32_e32 v10, 12, v26
	v_lshlrev_b32_e32 v6, 13, v6
	v_xor_b32_e32 v9, v9, v14
	v_xor_b32_e32 v19, v19, v14
	;; [unrolled: 1-line block ×4, first 2 shown]
	v_lshlrev_b32_e32 v12, 1, v3
	v_add_lshl_u32 v3, v3, s15, 1
	v_or_b32_e32 v13, 0x100, v2
	v_or_b32_e32 v8, v10, v1
	v_add_u32_e32 v18, v6, v9
	v_add_u32_e32 v20, v6, v19
	;; [unrolled: 1-line block ×4, first 2 shown]
	v_or3_b32 v10, v1, v10, 64
	v_add_u32_e32 v9, 0x2000, v9
	v_add_u32_e32 v16, 0x2000, v19
	;; [unrolled: 1-line block ×4, first 2 shown]
	v_lshlrev_b32_e32 v6, 8, v65
	v_cndmask_b32_e64 v84, v12, v2, s[2:3]
	v_cndmask_b32_e64 v85, v3, v13, s[2:3]
	v_lshl_add_u64 v[58:59], v[4:5], 0, v[6:7]
	v_lshlrev_b32_e32 v86, 2, v8
	v_add_u32_e32 v87, v18, v15
	v_add_u32_e32 v88, v20, v15
	;; [unrolled: 1-line block ×4, first 2 shown]
	v_lshlrev_b32_e32 v91, 2, v10
	v_add_u32_e32 v92, v9, v15
	v_add_u32_e32 v93, v16, v15
	;; [unrolled: 1-line block ×4, first 2 shown]
	s_waitcnt lgkmcnt(0)
	s_barrier
.LBB532_6:                              ; =>This Inner Loop Header: Depth=1
	s_add_i32 s37, s60, 1
	s_cmp_lt_i32 s37, s48
	s_mov_b64 s[24:25], 0
	s_cselect_b64 s[2:3], -1, 0
	s_cmp_ge_i32 s37, s48
	s_mov_b64 s[20:21], 0
	s_cbranch_scc1 .LBB532_8
; %bb.7:                                ;   in Loop: Header=BB532_6 Depth=1
	s_add_i32 s0, s55, 64
	s_ashr_i32 s1, s0, 31
	s_add_u32 s0, s53, s0
	s_addc_u32 s1, s52, s1
	s_lshl_b64 s[0:1], s[0:1], 8
	s_add_u32 s20, s6, s0
	s_addc_u32 s21, s7, s1
.LBB532_8:                              ;   in Loop: Header=BB532_6 Depth=1
	v_cndmask_b32_e64 v2, 0, 1, s[2:3]
	v_cmp_ne_u32_e64 s[0:1], 1, v2
	s_andn2_b64 vcc, exec, s[2:3]
	s_cbranch_vccnz .LBB532_10
; %bb.9:                                ;   in Loop: Header=BB532_6 Depth=1
	s_add_i32 s2, s55, 64
	s_mul_hi_i32 s3, s2, s14
	s_mul_i32 s2, s2, s14
	s_add_u32 s2, s2, s51
	s_addc_u32 s3, s3, s56
	s_lshl_b64 s[2:3], s[2:3], 8
	s_add_u32 s24, s4, s2
	s_addc_u32 s25, s5, s3
.LBB532_10:                             ;   in Loop: Header=BB532_6 Depth=1
	v_perm_b32 v3, v55, v54, s35
	v_perm_b32 v2, v51, v50, s35
	v_perm_b32 v5, v53, v52, s35
	v_perm_b32 v4, v49, v48, s35
	ds_write_b64 v73, v[2:3]
	ds_write_b64 v74, v[4:5]
	;; [unrolled: 1-line block ×4, first 2 shown]
	s_waitcnt lgkmcnt(0)
	s_barrier
	ds_read_b64 v[10:11], v77 offset:16384
	ds_read_b64 v[12:13], v79 offset:16384
	ds_read2st64_b64 v[2:5], v78 offset1:1
	s_waitcnt lgkmcnt(0)
	v_mfma_f32_16x16x16_bf16 a[0:3], v[10:11], v[2:3], 0
	ds_read2st64_b64 v[6:9], v78 offset0:2 offset1:3
	ds_read_b64 v[14:15], v80 offset:16384
	ds_read_b64 v[2:3], v81 offset:16384
	s_add_i32 s39, s55, 63
	v_mfma_f32_16x16x16_bf16 a[0:3], v[12:13], v[4:5], a[0:3]
	s_ashr_i32 s2, s39, 31
	s_mul_i32 s3, s39, s29
	s_mul_hi_u32 s27, s39, s28
	s_waitcnt lgkmcnt(1)
	v_mfma_f32_16x16x16_bf16 a[0:3], v[14:15], v[6:7], a[0:3]
	s_add_i32 s3, s27, s3
	s_mul_i32 s2, s2, s28
	s_add_i32 s3, s3, s2
	s_mul_i32 s2, s39, s28
	s_waitcnt lgkmcnt(0)
	v_mfma_f32_16x16x16_bf16 a[0:3], v[2:3], v[8:9], a[0:3]
	s_lshl_b64 s[2:3], s[2:3], 2
	s_add_u32 s2, s40, s2
	s_addc_u32 s3, s41, s3
	s_and_b64 vcc, exec, s[0:1]
	v_mov_b32_e32 v98, 0
	v_mov_b32_e32 v97, 0
	;; [unrolled: 1-line block ×19, first 2 shown]
	s_cbranch_vccnz .LBB532_12
; %bb.11:                               ;   in Loop: Header=BB532_6 Depth=1
	s_and_b32 s21, s21, 0xffff
	buffer_load_dwordx4 v[14:17], v69, s[20:23], 0 offen
	buffer_load_dwordx4 v[10:13], v69, s[20:23], s57 offen
	;; [unrolled: 1-line block ×4, first 2 shown]
	v_mov_b32_e32 v97, v71
	v_mov_b32_e32 v96, v72
.LBB532_12:                             ;   in Loop: Header=BB532_6 Depth=1
	v_add_u32_e32 v22, s55, v65
	v_ashrrev_i32_e32 v18, 31, v22
	v_mul_lo_u32 v20, v18, s28
	v_mul_lo_u32 v21, v22, s29
	v_mad_u64_u32 v[18:19], s[20:21], v22, s28, 0
	v_add3_u32 v19, v19, v21, v20
	v_lshl_add_u64 v[18:19], v[18:19], 2, s[40:41]
	global_load_dword v40, v[18:19], off
	v_add_u32_e32 v18, 1, v22
	v_ashrrev_i32_e32 v19, 31, v18
	v_mul_lo_u32 v20, v19, s28
	v_mul_lo_u32 v21, v18, s29
	v_mad_u64_u32 v[18:19], s[20:21], v18, s28, 0
	v_add3_u32 v19, v19, v21, v20
	v_add_u32_e32 v20, 2, v22
	v_ashrrev_i32_e32 v21, 31, v20
	v_mul_lo_u32 v23, v21, s28
	v_mul_lo_u32 v24, v20, s29
	v_mad_u64_u32 v[20:21], s[20:21], v20, s28, 0
	v_add_u32_e32 v22, 3, v22
	v_add3_u32 v21, v21, v24, v23
	v_ashrrev_i32_e32 v23, 31, v22
	v_mul_lo_u32 v26, v23, s28
	v_mul_lo_u32 v27, v22, s29
	v_mad_u64_u32 v[22:23], s[20:21], v22, s28, 0
	s_ashr_i32 s21, s55, 31
	s_add_u32 s20, s53, s55
	s_addc_u32 s21, s52, s21
	s_lshl_b64 s[20:21], s[20:21], 8
	v_lshl_add_u64 v[18:19], v[18:19], 2, s[40:41]
	v_lshl_add_u64 v[24:25], v[58:59], 0, s[20:21]
	v_add3_u32 v23, v23, v27, v26
	v_lshl_add_u64 v[20:21], v[20:21], 2, s[40:41]
	global_load_ushort v41, v[24:25], off
	global_load_ushort v42, v[24:25], off offset:256
	global_load_ushort v43, v[24:25], off offset:512
	;; [unrolled: 1-line block ×3, first 2 shown]
	v_lshl_add_u64 v[22:23], v[22:23], 2, s[40:41]
	global_load_dword v100, v[18:19], off
	global_load_dword v101, v[20:21], off
	;; [unrolled: 1-line block ×3, first 2 shown]
	s_load_dword s2, s[2:3], 0x0
	ds_read2st64_b64 v[26:29], v82 offset1:1
	ds_read2st64_b64 v[30:33], v82 offset0:2 offset1:3
	ds_read_b64 v[24:25], v77 offset:24576
	ds_read_b64 v[34:35], v79 offset:24576
	;; [unrolled: 1-line block ×4, first 2 shown]
	s_waitcnt lgkmcnt(0)
	v_mfma_f32_16x16x16_bf16 a[0:3], v[24:25], v[26:27], a[0:3]
	v_mov_b32_e32 v99, 0
	v_mov_b32_e32 v18, 0
	v_mov_b32_e32 v19, 0
	v_mfma_f32_16x16x16_bf16 a[0:3], v[34:35], v[28:29], a[0:3]
	v_mov_b32_e32 v20, 0
	v_mov_b32_e32 v21, 0
	v_mov_b32_e32 v22, 0
	;; [unrolled: 4-line block ×4, first 2 shown]
	v_mov_b32_e32 v29, 0
	v_mov_b32_e32 v30, 0
	;; [unrolled: 1-line block ×3, first 2 shown]
	s_and_b64 vcc, exec, s[0:1]
	v_accvgpr_read_b32 v35, a1
	v_accvgpr_read_b32 v33, a3
	;; [unrolled: 1-line block ×4, first 2 shown]
	s_waitcnt vmcnt(7)
	v_sub_f32_e32 v40, s2, v40
	v_exp_f32_e32 v40, v40
	s_waitcnt vmcnt(6)
	v_lshlrev_b32_e32 v36, 16, v41
	s_waitcnt vmcnt(5)
	v_lshlrev_b32_e32 v37, 16, v42
	;; [unrolled: 2-line block ×3, first 2 shown]
	s_waitcnt vmcnt(2)
	v_sub_f32_e32 v41, s2, v100
	s_waitcnt vmcnt(1)
	v_sub_f32_e32 v42, s2, v101
	;; [unrolled: 2-line block ×3, first 2 shown]
	v_exp_f32_e32 v41, v41
	v_exp_f32_e32 v42, v42
	;; [unrolled: 1-line block ×3, first 2 shown]
	v_lshlrev_b32_e32 v39, 16, v44
	v_pk_add_f32 v[34:35], v[36:37], v[34:35] neg_lo:[0,1] neg_hi:[0,1]
	v_pk_add_f32 v[32:33], v[38:39], v[32:33] neg_lo:[0,1] neg_hi:[0,1]
	v_pk_mul_f32 v[34:35], v[40:41], v[34:35]
	v_pk_mul_f32 v[32:33], v[42:43], v[32:33]
	s_nop 0
	v_perm_b32 v33, v33, v32, s35
	v_perm_b32 v32, v35, v34, s35
	ds_write_b64 v74, v[32:33]
	v_mov_b32_e32 v32, 0
	v_mov_b32_e32 v33, 0
	s_cbranch_vccnz .LBB532_14
; %bb.13:                               ;   in Loop: Header=BB532_6 Depth=1
	s_and_b32 s25, s25, 0xffff
	s_mov_b32 s27, s23
	buffer_load_dwordx4 v[30:33], v84, s[24:27], 0 offen
	buffer_load_dwordx4 v[22:25], v84, s[24:27], s57 offen
	;; [unrolled: 1-line block ×4, first 2 shown]
	v_mov_b32_e32 v98, v68
	v_mov_b32_e32 v99, v67
.LBB532_14:                             ;   in Loop: Header=BB532_6 Depth=1
	s_waitcnt lgkmcnt(0)
	s_barrier
	ds_read_b64 v[34:35], v87
	ds_read_b64 v[40:41], v88
	ds_read2st64_b64 v[36:39], v82 offset1:1
	ds_read2st64_b64 v[100:103], v82 offset0:2 offset1:3
	ds_read_b64 v[42:43], v89
	ds_read_b64 v[108:109], v90
	s_add_i32 s3, s54, s60
	s_mul_hi_i32 s21, s3, s13
	s_mul_i32 s3, s3, s13
	s_waitcnt lgkmcnt(3)
	v_mfma_f32_16x16x16_bf16 a[0:3], v[34:35], v[36:37], 0
	ds_read_b64 v[34:35], v92
	s_add_u32 s20, s3, s47
	s_addc_u32 s21, s21, s49
	v_mfma_f32_16x16x16_bf16 a[0:3], v[40:41], v[38:39], a[0:3]
	ds_read_b64 v[40:41], v93
	s_lshl_b64 s[20:21], s[20:21], 15
	s_mul_i32 s24, s39, s13
	s_mul_hi_i32 s3, s39, s13
	s_add_u32 s24, s24, s47
	s_addc_u32 s25, s3, s49
	s_lshl_b64 s[24:25], s[24:25], 9
	s_add_u32 s24, s16, s24
	s_waitcnt lgkmcnt(1)
	v_mfma_f32_16x16x16_bf16 a[4:7], v[34:35], v[36:37], 0
	s_addc_u32 s25, s17, s25
	s_and_b64 vcc, exec, s[0:1]
	v_mfma_f32_16x16x16_bf16 a[0:3], v[42:43], v[100:101], a[0:3]
	ds_read_b64 v[42:43], v94
	ds_read_b64 v[110:111], v95
	global_load_dwordx4 v[34:37], v91, s[24:25]
	s_waitcnt lgkmcnt(2)
	v_mfma_f32_16x16x16_bf16 a[4:7], v[40:41], v[38:39], a[4:7]
	global_load_dwordx4 v[38:41], v86, s[24:25]
	ds_read_b64 v[104:105], v47
	ds_read_b64 v[106:107], v83
	s_waitcnt lgkmcnt(3)
	v_mfma_f32_16x16x16_bf16 a[8:11], v[42:43], v[100:101], a[4:7]
	v_lshl_add_u64 v[42:43], v[56:57], 0, s[20:21]
	s_waitcnt lgkmcnt(0)
	global_store_dwordx4 v[42:43], v[104:107], off
	v_mfma_f32_16x16x16_bf16 a[4:7], v[108:109], v[102:103], a[0:3]
	s_waitcnt vmcnt(2)
	v_mov_b32_e32 v44, v37
	v_mfma_f32_16x16x16_bf16 a[0:3], v[110:111], v[102:103], a[8:11]
	v_mov_b32_e32 v43, v36
	v_mov_b32_e32 v42, v35
	s_cbranch_vccnz .LBB532_16
; %bb.15:                               ;   in Loop: Header=BB532_6 Depth=1
	v_lshrrev_b32_e32 v35, 3, v98
	v_and_b32_e32 v35, 6, v35
	v_xor_b32_e32 v36, v35, v99
	v_lshlrev_b32_e32 v36, 2, v36
	v_and_b32_e32 v37, 8, v98
	v_xor_b32_e32 v98, 0x440, v36
	v_cmp_eq_u32_e32 vcc, 0, v37
	v_perm_b32 v37, v22, v18, s58
	s_nop 0
	v_cndmask_b32_e32 v36, v98, v36, vcc
	v_lshl_or_b32 v35, v35, 10, v36
	v_perm_b32 v36, v30, v26, s58
	s_barrier
	ds_write2st64_b32 v35, v36, v37 offset1:32
	v_xor_b32_e32 v36, 8, v35
	v_perm_b32 v26, v30, v26, s59
	v_perm_b32 v18, v22, v18, s59
	v_add_u32_e32 v22, 0x80, v36
	ds_write2st64_b32 v22, v26, v18 offset1:32
	v_xor_b32_e32 v18, 16, v35
	v_perm_b32 v22, v31, v27, s58
	v_perm_b32 v26, v23, v19, s58
	ds_write2st64_b32 v18, v22, v26 offset0:1 offset1:33
	v_xor_b32_e32 v18, 24, v35
	v_perm_b32 v22, v31, v27, s59
	v_perm_b32 v19, v23, v19, s59
	v_add_u32_e32 v18, 0x80, v18
	ds_write2st64_b32 v18, v22, v19 offset0:1 offset1:33
	v_xor_b32_e32 v18, 32, v35
	v_perm_b32 v19, v32, v28, s58
	v_perm_b32 v22, v24, v20, s58
	ds_write2st64_b32 v18, v19, v22 offset0:2 offset1:34
	v_xor_b32_e32 v18, 40, v35
	v_perm_b32 v19, v32, v28, s59
	v_perm_b32 v20, v24, v20, s59
	v_add_u32_e32 v18, 0x80, v18
	ds_write2st64_b32 v18, v19, v20 offset0:2 offset1:34
	;; [unrolled: 9-line block ×3, first 2 shown]
	ds_write_b64 v97, v[14:15] offset:16384
	v_xor_b32_e32 v14, 8, v97
	ds_write_b64 v14, v[16:17] offset:16384
	ds_write_b64 v97, v[10:11] offset:24576
	;; [unrolled: 1-line block ×4, first 2 shown]
	v_xor_b32_e32 v6, 8, v96
	ds_write_b64 v6, v[8:9] offset:16384
	ds_write_b64 v96, v[2:3] offset:24576
	;; [unrolled: 1-line block ×3, first 2 shown]
.LBB532_16:                             ;   in Loop: Header=BB532_6 Depth=1
	v_exp_f32_e32 v10, s2
	s_waitcnt vmcnt(1)
	v_exp_f32_e32 v12, v38
	v_exp_f32_e32 v13, v39
	;; [unrolled: 1-line block ×4, first 2 shown]
	v_accvgpr_read_b32 v2, a4
	v_accvgpr_read_b32 v3, a5
	v_pk_mul_f32 v[12:13], v[10:11], v[12:13] op_sel_hi:[0,1]
	v_pk_fma_f32 v[50:51], v[50:51], v[12:13], v[2:3]
	v_exp_f32_e32 v12, v34
	v_exp_f32_e32 v13, v42
	v_pk_mul_f32 v[2:3], v[10:11], v[14:15] op_sel_hi:[0,1]
	v_exp_f32_e32 v14, v43
	v_exp_f32_e32 v15, v44
	v_accvgpr_read_b32 v4, a6
	v_accvgpr_read_b32 v5, a7
	;; [unrolled: 1-line block ×5, first 2 shown]
	v_pk_fma_f32 v[54:55], v[54:55], v[2:3], v[4:5]
	v_pk_mul_f32 v[2:3], v[10:11], v[12:13] op_sel_hi:[0,1]
	v_accvgpr_read_b32 v8, a2
	v_pk_fma_f32 v[48:49], v[48:49], v[2:3], v[6:7]
	v_pk_mul_f32 v[2:3], v[10:11], v[14:15] op_sel_hi:[0,1]
	s_add_i32 s55, s55, 64
	s_cmp_eq_u32 s48, s37
	v_pk_fma_f32 v[52:53], v[52:53], v[2:3], v[8:9]
	s_cbranch_scc1 .LBB532_18
; %bb.17:                               ;   in Loop: Header=BB532_6 Depth=1
	s_mov_b32 s60, s37
	s_branch .LBB532_6
.LBB532_18:
	s_lshl_b32 s26, s48, 6
	s_sub_i32 s27, s50, s26
	s_cmp_gt_i32 s27, 0
	s_cbranch_scc0 .LBB532_75
; %bb.19:
	s_add_i32 s26, s26, s30
	s_ashr_i32 s2, s26, 31
	s_cmpk_lg_i32 s15, 0x80
	s_cselect_b64 s[22:23], -1, 0
	s_and_b64 vcc, exec, s[22:23]
	s_cbranch_vccz .LBB532_21
; %bb.20:
	s_mul_i32 s1, s26, s14
	s_ashr_i32 s3, s51, 31
	s_mul_hi_i32 s0, s26, s14
	s_add_u32 s24, s1, s51
	s_addc_u32 s25, s0, s3
	s_cbranch_execz .LBB532_22
	s_branch .LBB532_23
.LBB532_21:
                                        ; implicit-def: $sgpr24_sgpr25
.LBB532_22:
	s_mul_i32 s1, s51, s12
	s_mul_hi_i32 s0, s51, s12
	s_add_u32 s24, s1, s26
	s_addc_u32 s25, s0, s2
.LBB532_23:
	s_waitcnt lgkmcnt(0)
	s_add_i32 s3, s48, s54
	s_add_u32 s0, s53, s26
	s_addc_u32 s1, s52, s2
	s_mov_b32 s2, 0x7060302
	v_lshlrev_b32_e32 v6, 3, v62
	s_lshl_b64 s[20:21], s[0:1], 8
	v_perm_b32 v3, v55, v54, s2
	v_perm_b32 v2, v51, v50, s2
	;; [unrolled: 1-line block ×4, first 2 shown]
	v_lshlrev_b32_e32 v34, 2, v62
	v_lshl_or_b32 v6, v65, 5, v6
	s_add_u32 s0, s6, s20
	ds_write2st64_b64 v6, v[2:3], v[4:5] offset0:72 offset1:76
	v_xor_b32_e32 v6, v65, v34
	v_lshlrev_b32_e32 v7, 8, v62
	s_addc_u32 s1, s7, s21
	v_lshl_or_b32 v6, v6, 1, v7
	s_mul_hi_i32 s6, s3, s13
	s_mul_i32 s3, s3, s13
	ds_write_b64 v6, v[2:3] offset:32768
	v_xor_b32_e32 v2, v66, v34
	s_add_u32 s2, s3, s47
	v_lshl_or_b32 v2, v2, 1, v7
	s_addc_u32 s3, s6, s49
	v_lshlrev_b32_e32 v3, 1, v62
	ds_write_b64 v2, v[4:5] offset:32768
	v_lshrrev_b32_e32 v2, 4, v0
	s_ashr_i32 s39, s38, 31
	s_lshl_b64 s[2:3], s[2:3], 15
	v_or_b32_e32 v4, 1, v3
	s_add_u32 s6, s18, s2
	v_xor_b32_e32 v3, v2, v3
	v_xor_b32_e32 v4, v4, v2
	v_lshlrev_b32_e32 v6, 8, v2
	s_addc_u32 s7, s19, s3
	s_lshl_b64 s[2:3], s[38:39], 8
	v_lshl_or_b32 v2, v3, 3, v6
	v_lshl_or_b32 v4, v4, 3, v6
	s_waitcnt lgkmcnt(0)
	s_barrier
	s_add_u32 s2, s6, s2
	ds_read_b64 v[2:3], v2 offset:32768
	ds_read_b64 v[4:5], v4 offset:32768
	s_addc_u32 s3, s7, s3
	v_mov_b32_e32 v7, 0
	s_cmp_lg_u32 s27, 64
	v_lshl_add_u64 v[8:9], s[2:3], 0, v[6:7]
	v_lshlrev_b32_e32 v6, 4, v62
	s_cselect_b64 s[6:7], -1, 0
	v_lshl_or_b32 v35, v60, 3, v64
	s_mov_b32 s16, 0
	v_lshl_add_u64 v[6:7], v[8:9], 0, v[6:7]
	v_or_b32_e32 v19, 32, v35
	v_and_b32_e32 v18, 56, v63
	s_and_b64 vcc, exec, s[6:7]
	s_waitcnt lgkmcnt(0)
	global_store_dwordx4 v[6:7], v[2:5], off
	s_cbranch_vccz .LBB532_29
; %bb.24:
	s_mov_b32 s17, s16
	s_mov_b32 s18, s16
	;; [unrolled: 1-line block ×3, first 2 shown]
	v_mov_b64_e32 v[6:7], s[16:17]
	v_mov_b64_e32 v[8:9], s[18:19]
	;; [unrolled: 1-line block ×3, first 2 shown]
	v_cmp_gt_i32_e32 vcc, s27, v35
	v_mov_b64_e32 v[4:5], v[8:9]
	s_and_saveexec_b64 s[2:3], vcc
	s_cbranch_execz .LBB532_26
; %bb.25:
	v_lshlrev_b32_e32 v2, 8, v35
	v_mov_b32_e32 v3, 0
	v_lshl_add_u64 v[4:5], s[0:1], 0, v[2:3]
	v_lshlrev_b32_e32 v2, 1, v18
	v_lshl_add_u64 v[10:11], v[4:5], 0, v[2:3]
	global_load_dwordx4 v[6:9], v[10:11], off
	global_load_dwordx4 v[2:5], v[10:11], off offset:128
.LBB532_26:
	s_or_b64 exec, exec, s[2:3]
	s_mov_b32 s17, s16
	s_mov_b32 s18, s16
	s_mov_b32 s19, s16
	v_mov_b64_e32 v[14:15], s[16:17]
	v_mov_b64_e32 v[16:17], s[18:19]
	;; [unrolled: 1-line block ×3, first 2 shown]
	v_cmp_gt_i32_e32 vcc, s27, v19
	v_lshlrev_b32_e32 v20, 7, v19
	v_mov_b64_e32 v[12:13], v[16:17]
	s_and_saveexec_b64 s[2:3], vcc
	s_cbranch_execz .LBB532_28
; %bb.27:
	v_lshlrev_b32_e32 v10, 1, v20
	v_mov_b32_e32 v11, 0
	v_lshl_add_u64 v[12:13], s[0:1], 0, v[10:11]
	v_lshlrev_b32_e32 v10, 1, v18
	v_lshl_add_u64 v[22:23], v[12:13], 0, v[10:11]
	global_load_dwordx4 v[14:17], v[22:23], off
	global_load_dwordx4 v[10:13], v[22:23], off offset:128
.LBB532_28:
	s_or_b64 exec, exec, s[2:3]
	v_lshrrev_b32_e32 v21, 3, v18
	v_lshlrev_b32_e32 v22, 3, v35
	v_or_b32_e32 v21, v22, v21
	v_lshlrev_b32_e32 v21, 4, v21
	v_and_b32_e32 v22, 0x78, v22
	v_xor_b32_e32 v21, v21, v22
	s_branch .LBB532_31
.LBB532_29:
                                        ; implicit-def: $vgpr21
                                        ; implicit-def: $vgpr20
                                        ; implicit-def: $vgpr6_vgpr7_vgpr8_vgpr9
                                        ; implicit-def: $vgpr2_vgpr3_vgpr4_vgpr5
                                        ; implicit-def: $vgpr14_vgpr15_vgpr16_vgpr17
                                        ; implicit-def: $vgpr10_vgpr11_vgpr12_vgpr13
	s_cbranch_execz .LBB532_31
; %bb.30:
	s_waitcnt vmcnt(0)
	v_lshlrev_b32_e32 v2, 1, v18
	v_lshl_or_b32 v20, v35, 8, v2
	s_and_b32 s1, s1, 0xffff
	s_mov_b32 s3, 0x20000
	s_movk_i32 s2, 0x4000
	v_lshl_or_b32 v21, v19, 8, v2
	s_movk_i32 s12, 0x80
	buffer_load_dwordx4 v[6:9], v20, s[0:3], 0 offen
	buffer_load_dwordx4 v[2:5], v20, s[0:3], s12 offen
	;; [unrolled: 1-line block ×4, first 2 shown]
	v_lshrrev_b32_e32 v20, 3, v18
	v_lshlrev_b32_e32 v21, 3, v35
	v_or_b32_e32 v20, v21, v20
	v_lshlrev_b32_e32 v20, 4, v20
	v_and_b32_e32 v21, 0x78, v21
	v_xor_b32_e32 v21, v20, v21
	v_lshlrev_b32_e32 v20, 7, v19
.LBB532_31:
	s_lshl_b64 s[0:1], s[24:25], 8
	s_add_u32 s4, s4, s0
	s_movk_i32 s0, 0x1000
	v_and_or_b32 v19, v20, s0, v21
	s_waitcnt vmcnt(1)
	ds_write_b64 v21, v[6:7] offset:16384
	v_xor_b32_e32 v6, 8, v21
	ds_write_b64 v6, v[8:9] offset:16384
	s_waitcnt vmcnt(0)
	ds_write_b64 v21, v[2:3] offset:24576
	ds_write_b64 v6, v[4:5] offset:24576
	;; [unrolled: 1-line block ×3, first 2 shown]
	v_xor_b32_e32 v2, 8, v19
	ds_write_b64 v2, v[16:17] offset:16384
	ds_write_b64 v19, v[10:11] offset:24576
	;; [unrolled: 1-line block ×3, first 2 shown]
	v_or_b32_e32 v2, v1, v62
	v_lshlrev_b32_e32 v2, 3, v2
	v_lshrrev_b32_e32 v4, 5, v45
	s_movk_i32 s12, 0xf8
	v_and_or_b32 v4, v2, s12, v4
	v_lshlrev_b32_e32 v3, 11, v60
	v_lshlrev_b32_e32 v12, 4, v4
	v_and_b32_e32 v13, 0x78, v2
	v_and_b32_e32 v14, 0x1000, v3
	v_lshlrev_b32_e32 v3, 2, v0
	v_xor_b32_e32 v2, v12, v13
	v_lshrrev_b32_e32 v4, 1, v45
	v_and_b32_e32 v3, 60, v3
	v_or_b32_e32 v2, v2, v14
	v_and_b32_e32 v15, 8, v4
	v_xor_b32_e32 v26, v2, v15
	v_lshl_or_b32 v2, v61, 6, v3
	v_lshlrev_b32_e32 v19, 1, v2
	v_or_b32_e32 v2, 32, v12
	v_xor_b32_e32 v2, v2, v13
	s_waitcnt lgkmcnt(0)
	s_barrier
	ds_read_b64 v[10:11], v26 offset:16384
	v_or_b32_e32 v2, v2, v14
	v_xor_b32_e32 v27, v2, v15
	v_or_b32_e32 v2, 64, v12
	v_xor_b32_e32 v2, v2, v13
	v_or_b32_e32 v2, v2, v14
	v_or_b32_e32 v12, 0x60, v12
	v_xor_b32_e32 v28, v2, v15
	ds_read2st64_b64 v[2:5], v19 offset0:72 offset1:73
	ds_read2st64_b64 v[6:9], v19 offset0:74 offset1:75
	v_xor_b32_e32 v16, v12, v13
	ds_read_b64 v[12:13], v27 offset:16384
	s_addc_u32 s5, s5, s1
	s_add_i32 s1, s42, s33
	s_waitcnt lgkmcnt(2)
	v_mfma_f32_16x16x16_bf16 a[0:3], v[10:11], v[2:3], 0
	s_add_i32 s0, s31, -1
	s_add_i32 s37, s1, s43
	s_add_i32 s1, s45, s44
	s_add_i32 s35, s1, s46
	s_ashr_i32 s1, s0, 31
	s_mul_i32 s2, s0, s29
	s_mul_hi_u32 s3, s0, s28
	s_add_i32 s2, s3, s2
	s_mul_i32 s1, s1, s28
	v_or_b32_e32 v14, v16, v14
	s_add_i32 s1, s2, s1
	s_lshl_b64 s[2:3], s[36:37], 2
	v_xor_b32_e32 v36, v14, v15
	ds_read_b64 v[14:15], v28 offset:16384
	ds_read_b64 v[16:17], v36 offset:16384
	s_waitcnt lgkmcnt(2)
	v_mfma_f32_16x16x16_bf16 a[0:3], v[12:13], v[4:5], a[0:3]
	s_add_u32 s10, s10, s2
	s_addc_u32 s11, s11, s3
	s_lshl_b64 s[2:3], s[34:35], 2
	s_mul_i32 s0, s0, s28
	s_add_u32 s10, s10, s2
	s_addc_u32 s11, s11, s3
	s_lshl_b64 s[0:1], s[0:1], 2
	s_waitcnt lgkmcnt(1)
	v_mfma_f32_16x16x16_bf16 a[0:3], v[14:15], v[6:7], a[0:3]
	s_add_u32 s0, s10, s0
	s_addc_u32 s1, s11, s1
	s_load_dword s12, s[0:1], 0x0
	s_waitcnt lgkmcnt(0)
	v_mfma_f32_16x16x16_bf16 a[0:3], v[16:17], v[8:9], a[0:3]
	s_and_b64 vcc, exec, s[22:23]
	s_cbranch_vccz .LBB532_42
; %bb.32:
	v_lshlrev_b32_e32 v20, 1, v35
	s_and_b64 vcc, exec, s[6:7]
	s_cbranch_vccz .LBB532_43
; %bb.33:
	v_cmp_gt_i32_e32 vcc, s27, v20
	v_mov_b32_e32 v6, 0
	v_mov_b32_e32 v2, 0
	;; [unrolled: 1-line block ×5, first 2 shown]
	s_and_saveexec_b64 s[0:1], vcc
	s_cbranch_execz .LBB532_35
; %bb.34:
	v_mad_i64_i32 v[2:3], s[2:3], s15, v20, 0
	v_lshl_add_u64 v[2:3], v[2:3], 1, s[4:5]
	v_lshlrev_b32_e32 v4, 1, v18
	v_mov_b32_e32 v5, 0
	v_lshl_add_u64 v[2:3], v[2:3], 0, v[4:5]
	global_load_dwordx4 v[2:5], v[2:3], off
.LBB532_35:
	s_or_b64 exec, exec, s[0:1]
	v_or_b32_e32 v21, 1, v20
	v_cmp_gt_i32_e64 s[0:1], s27, v21
	v_mov_b32_e32 v7, 0
	v_mov_b32_e32 v8, 0
	;; [unrolled: 1-line block ×3, first 2 shown]
	s_and_saveexec_b64 s[2:3], s[0:1]
	s_cbranch_execz .LBB532_37
; %bb.36:
	v_mad_i64_i32 v[6:7], s[16:17], s15, v21, 0
	v_lshl_add_u64 v[6:7], v[6:7], 1, s[4:5]
	v_lshlrev_b32_e32 v8, 1, v18
	v_mov_b32_e32 v9, 0
	v_lshl_add_u64 v[6:7], v[6:7], 0, v[8:9]
	global_load_dwordx4 v[6:9], v[6:7], off
.LBB532_37:
	s_or_b64 exec, exec, s[2:3]
	v_mov_b32_e32 v17, 0
	v_mov_b32_e32 v10, 0
	;; [unrolled: 1-line block ×5, first 2 shown]
	s_and_saveexec_b64 s[2:3], vcc
	s_cbranch_execz .LBB532_39
; %bb.38:
	v_mad_i64_i32 v[10:11], s[16:17], s15, v20, 0
	v_lshl_add_u64 v[10:11], v[10:11], 1, s[4:5]
	v_lshlrev_b32_e32 v12, 1, v18
	v_mov_b32_e32 v13, 0
	v_lshl_add_u64 v[10:11], v[10:11], 0, v[12:13]
	global_load_dwordx4 v[10:13], v[10:11], off offset:128
.LBB532_39:
	s_or_b64 exec, exec, s[2:3]
	v_mov_b32_e32 v16, 0
	v_mov_b32_e32 v15, 0
	;; [unrolled: 1-line block ×3, first 2 shown]
	s_and_saveexec_b64 s[2:3], s[0:1]
	s_cbranch_execz .LBB532_41
; %bb.40:
	v_mad_i64_i32 v[14:15], s[0:1], s15, v21, 0
	v_lshl_add_u64 v[14:15], v[14:15], 1, s[4:5]
	v_lshlrev_b32_e32 v16, 1, v18
	v_mov_b32_e32 v17, 0
	v_lshl_add_u64 v[14:15], v[14:15], 0, v[16:17]
	global_load_dwordx4 v[14:17], v[14:15], off offset:128
.LBB532_41:
	s_or_b64 exec, exec, s[2:3]
	s_branch .LBB532_45
.LBB532_42:
                                        ; implicit-def: $vgpr5
                                        ; implicit-def: $vgpr9
                                        ; implicit-def: $vgpr13
                                        ; implicit-def: $vgpr17
	v_lshrrev_b32_e32 v37, 2, v45
	s_branch .LBB532_46
.LBB532_43:
                                        ; implicit-def: $vgpr5
                                        ; implicit-def: $vgpr9
                                        ; implicit-def: $vgpr13
                                        ; implicit-def: $vgpr17
	s_cbranch_execz .LBB532_45
; %bb.44:
	s_waitcnt vmcnt(0)
	v_mad_u64_u32 v[2:3], s[0:1], v20, s15, v[18:19]
	v_lshlrev_b32_e32 v20, 1, v2
	s_lshl_b32 s2, s15, 7
	s_and_b32 s1, s5, 0xffff
	s_mov_b32 s3, 0x20000
	s_mov_b32 s0, s4
	v_add_lshl_u32 v21, v2, s15, 1
	s_movk_i32 s13, 0x80
	buffer_load_dwordx4 v[2:5], v20, s[0:3], 0 offen
	buffer_load_dwordx4 v[10:13], v20, s[0:3], s13 offen
	;; [unrolled: 1-line block ×4, first 2 shown]
.LBB532_45:
	v_lshrrev_b32_e32 v37, 2, v45
	s_cbranch_execnz .LBB532_58
.LBB532_46:
	s_and_b64 vcc, exec, s[6:7]
	s_cbranch_vccz .LBB532_56
; %bb.47:
	s_waitcnt vmcnt(0)
	v_lshlrev_b32_e32 v7, 1, v35
	v_cmp_gt_i32_e32 vcc, s27, v7
	v_mov_b32_e32 v6, 0
	v_lshlrev_b32_e32 v14, 9, v35
	v_mov_b32_e32 v2, 0
	v_mov_b32_e32 v3, 0
	;; [unrolled: 1-line block ×4, first 2 shown]
	s_and_saveexec_b64 s[0:1], vcc
	s_cbranch_execz .LBB532_49
; %bb.48:
	v_mov_b32_e32 v15, 0
	v_lshl_add_u64 v[2:3], s[4:5], 0, v[14:15]
	v_lshlrev_b32_e32 v4, 1, v18
	v_mov_b32_e32 v5, v15
	v_lshl_add_u64 v[2:3], v[2:3], 0, v[4:5]
	global_load_dwordx4 v[2:5], v[2:3], off
.LBB532_49:
	s_or_b64 exec, exec, s[0:1]
	v_or_b32_e32 v7, 1, v7
	v_cmp_gt_i32_e64 s[0:1], s27, v7
	v_lshlrev_b32_e32 v20, 8, v7
	v_mov_b32_e32 v7, 0
	v_mov_b32_e32 v8, 0
	;; [unrolled: 1-line block ×3, first 2 shown]
	s_and_saveexec_b64 s[2:3], s[0:1]
	s_cbranch_execz .LBB532_51
; %bb.50:
	v_mov_b32_e32 v21, 0
	v_lshl_add_u64 v[6:7], s[4:5], 0, v[20:21]
	v_lshlrev_b32_e32 v8, 1, v18
	v_mov_b32_e32 v9, v21
	v_lshl_add_u64 v[6:7], v[6:7], 0, v[8:9]
	global_load_dwordx4 v[6:9], v[6:7], off
.LBB532_51:
	s_or_b64 exec, exec, s[2:3]
	v_mov_b32_e32 v17, 0
	v_mov_b32_e32 v10, 0
	;; [unrolled: 1-line block ×5, first 2 shown]
	s_and_saveexec_b64 s[2:3], vcc
	s_cbranch_execz .LBB532_53
; %bb.52:
	v_mov_b32_e32 v15, 0
	v_lshl_add_u64 v[10:11], s[4:5], 0, v[14:15]
	v_lshlrev_b32_e32 v14, 1, v18
	v_lshl_add_u64 v[10:11], v[10:11], 0, v[14:15]
	global_load_dwordx4 v[10:13], v[10:11], off offset:128
.LBB532_53:
	s_or_b64 exec, exec, s[2:3]
	v_mov_b32_e32 v16, 0
	v_mov_b32_e32 v15, 0
	;; [unrolled: 1-line block ×3, first 2 shown]
	s_and_saveexec_b64 s[2:3], s[0:1]
	s_cbranch_execz .LBB532_55
; %bb.54:
	v_mov_b32_e32 v21, 0
	v_lshl_add_u64 v[14:15], s[4:5], 0, v[20:21]
	v_lshlrev_b32_e32 v20, 1, v18
	v_lshl_add_u64 v[14:15], v[14:15], 0, v[20:21]
	global_load_dwordx4 v[14:17], v[14:15], off offset:128
.LBB532_55:
	s_or_b64 exec, exec, s[2:3]
	s_branch .LBB532_58
.LBB532_56:
                                        ; implicit-def: $vgpr5
                                        ; implicit-def: $vgpr9
                                        ; implicit-def: $vgpr13
                                        ; implicit-def: $vgpr17
	s_cbranch_execz .LBB532_58
; %bb.57:
	s_waitcnt vmcnt(0)
	v_lshlrev_b32_e32 v2, 1, v18
	v_lshl_or_b32 v18, v35, 9, v2
	s_and_b32 s5, s5, 0xffff
	s_mov_b32 s7, 0x20000
	s_movk_i32 s6, 0x4000
	s_movk_i32 s0, 0x80
	buffer_load_dwordx4 v[2:5], v18, s[4:7], 0 offen
	buffer_load_dwordx4 v[6:9], v18, s[4:7], 0 offen offset:256
	buffer_load_dwordx4 v[10:13], v18, s[4:7], s0 offen
	buffer_load_dwordx4 v[14:17], v18, s[4:7], s0 offen offset:256
.LBB532_58:
	ds_read2st64_b64 v[22:25], v19 offset0:76 offset1:77
	ds_read2st64_b64 v[18:21], v19 offset0:78 offset1:79
	ds_read_b64 v[30:31], v26 offset:24576
	ds_read_b64 v[32:33], v27 offset:24576
	;; [unrolled: 1-line block ×4, first 2 shown]
	v_and_b32_e32 v36, 6, v0
	v_xor_b32_e32 v35, v35, v36
	v_lshlrev_b32_e32 v35, 2, v35
	v_and_b32_e32 v0, 1, v0
	v_xor_b32_e32 v38, 0x440, v35
	v_cmp_eq_u32_e32 vcc, 0, v0
	s_mov_b32 s0, 0x1000504
	s_mov_b32 s1, 0x3020706
	v_cndmask_b32_e32 v0, v38, v35, vcc
	v_lshl_or_b32 v0, v36, 10, v0
	s_waitcnt vmcnt(0)
	v_perm_b32 v35, v2, v6, s0
	v_perm_b32 v36, v10, v14, s0
	ds_write2st64_b32 v0, v35, v36 offset1:32
	v_xor_b32_e32 v35, 8, v0
	v_perm_b32 v2, v2, v6, s1
	v_perm_b32 v6, v10, v14, s1
	v_add_u32_e32 v10, 0x80, v35
	ds_write2st64_b32 v10, v2, v6 offset1:32
	v_xor_b32_e32 v2, 16, v0
	v_perm_b32 v6, v3, v7, s0
	v_perm_b32 v10, v11, v15, s0
	ds_write2st64_b32 v2, v6, v10 offset0:1 offset1:33
	v_xor_b32_e32 v2, 24, v0
	v_perm_b32 v3, v3, v7, s1
	v_perm_b32 v6, v11, v15, s1
	v_add_u32_e32 v2, 0x80, v2
	ds_write2st64_b32 v2, v3, v6 offset0:1 offset1:33
	v_xor_b32_e32 v2, 32, v0
	v_perm_b32 v3, v4, v8, s0
	v_perm_b32 v6, v12, v16, s0
	ds_write2st64_b32 v2, v3, v6 offset0:2 offset1:34
	v_xor_b32_e32 v2, 40, v0
	v_perm_b32 v3, v4, v8, s1
	v_perm_b32 v4, v12, v16, s1
	v_add_u32_e32 v2, 0x80, v2
	ds_write2st64_b32 v2, v3, v4 offset0:2 offset1:34
	v_xor_b32_e32 v2, 48, v0
	v_perm_b32 v3, v5, v9, s0
	v_perm_b32 v4, v13, v17, s0
	v_xor_b32_e32 v0, 56, v0
	v_and_or_b32 v6, v37, 12, v1
	ds_write2st64_b32 v2, v3, v4 offset0:3 offset1:35
	v_perm_b32 v2, v5, v9, s1
	v_perm_b32 v3, v13, v17, s1
	v_add_u32_e32 v0, 0x80, v0
	v_cmp_gt_i32_e32 vcc, s27, v6
	v_mov_b32_e32 v7, 0
	v_mov_b32_e32 v11, 0
	ds_write2st64_b32 v0, v2, v3 offset0:3 offset1:35
	s_and_saveexec_b64 s[0:1], vcc
	s_cbranch_execz .LBB532_60
; %bb.59:
	v_add_u32_e32 v0, s26, v6
	v_ashrrev_i32_e32 v1, 31, v0
	v_mul_lo_u32 v2, v1, s28
	v_mul_lo_u32 v3, v0, s29
	v_mad_u64_u32 v[0:1], s[2:3], v0, s28, 0
	v_add3_u32 v1, v1, v3, v2
	v_lshl_add_u64 v[0:1], v[0:1], 2, s[10:11]
	global_load_dword v0, v[0:1], off
	s_waitcnt vmcnt(0)
	v_sub_f32_e32 v0, s12, v0
	v_exp_f32_e32 v11, v0
.LBB532_60:
	s_or_b64 exec, exec, s[0:1]
	v_or_b32_e32 v9, 1, v6
	v_cmp_gt_i32_e64 s[0:1], s27, v9
	s_and_saveexec_b64 s[2:3], s[0:1]
	s_cbranch_execz .LBB532_62
; %bb.61:
	v_add_u32_e32 v0, s26, v9
	v_ashrrev_i32_e32 v1, 31, v0
	v_mul_lo_u32 v2, v1, s28
	v_mul_lo_u32 v3, v0, s29
	v_mad_u64_u32 v[0:1], s[4:5], v0, s28, 0
	v_add3_u32 v1, v1, v3, v2
	v_lshl_add_u64 v[0:1], v[0:1], 2, s[10:11]
	global_load_dword v0, v[0:1], off
	s_waitcnt vmcnt(0)
	v_sub_f32_e32 v0, s12, v0
	v_exp_f32_e32 v7, v0
.LBB532_62:
	s_or_b64 exec, exec, s[2:3]
	v_or_b32_e32 v10, 2, v6
	v_cmp_gt_i32_e64 s[2:3], s27, v10
	v_mov_b32_e32 v8, 0
	v_mov_b32_e32 v13, 0
	s_and_saveexec_b64 s[4:5], s[2:3]
	s_cbranch_execz .LBB532_64
; %bb.63:
	v_add_u32_e32 v0, s26, v10
	v_ashrrev_i32_e32 v1, 31, v0
	v_mul_lo_u32 v2, v1, s28
	v_mul_lo_u32 v3, v0, s29
	v_mad_u64_u32 v[0:1], s[6:7], v0, s28, 0
	v_add3_u32 v1, v1, v3, v2
	v_lshl_add_u64 v[0:1], v[0:1], 2, s[10:11]
	global_load_dword v0, v[0:1], off
	s_waitcnt vmcnt(0)
	v_sub_f32_e32 v0, s12, v0
	v_exp_f32_e32 v13, v0
.LBB532_64:
	s_or_b64 exec, exec, s[4:5]
	v_or_b32_e32 v12, 3, v6
	v_cmp_gt_i32_e64 s[4:5], s27, v12
	s_and_saveexec_b64 s[6:7], s[4:5]
	s_cbranch_execz .LBB532_66
; %bb.65:
	v_add_u32_e32 v0, s26, v12
	v_ashrrev_i32_e32 v1, 31, v0
	v_mul_lo_u32 v2, v1, s28
	v_mul_lo_u32 v3, v0, s29
	v_mad_u64_u32 v[0:1], s[14:15], v0, s28, 0
	v_add3_u32 v1, v1, v3, v2
	v_lshl_add_u64 v[0:1], v[0:1], 2, s[10:11]
	global_load_dword v0, v[0:1], off
	s_waitcnt vmcnt(0)
	v_sub_f32_e32 v0, s12, v0
	v_exp_f32_e32 v8, v0
.LBB532_66:
	s_or_b64 exec, exec, s[6:7]
	s_waitcnt lgkmcnt(11)
	v_mfma_f32_16x16x16_bf16 a[0:3], v[30:31], v[22:23], a[0:3]
	s_add_u32 s6, s8, s20
	v_ashrrev_i32_e32 v47, 31, v46
	s_addc_u32 s7, s9, s21
	s_waitcnt lgkmcnt(10)
	v_mfma_f32_16x16x16_bf16 a[0:3], v[32:33], v[24:25], a[0:3]
	v_mov_b32_e32 v14, 0
	v_lshl_add_u64 v[4:5], v[46:47], 1, s[6:7]
	v_mov_b32_e32 v15, 0
	s_waitcnt lgkmcnt(9)
	v_mfma_f32_16x16x16_bf16 a[0:3], v[28:29], v[18:19], a[0:3]
	s_waitcnt lgkmcnt(8)
	v_mfma_f32_16x16x16_bf16 a[0:3], v[26:27], v[20:21], a[0:3]
	s_nop 6
	v_accvgpr_read_b32 v0, a0
	v_accvgpr_read_b32 v1, a1
	;; [unrolled: 1-line block ×4, first 2 shown]
	s_and_saveexec_b64 s[6:7], vcc
	s_cbranch_execz .LBB532_68
; %bb.67:
	v_lshlrev_b32_e32 v16, 8, v6
	v_mov_b32_e32 v17, 0
	v_lshl_add_u64 v[16:17], v[4:5], 0, v[16:17]
	global_load_ushort v15, v[16:17], off
	s_waitcnt vmcnt(0)
	v_lshlrev_b32_e32 v15, 16, v15
	v_sub_f32_e32 v0, v15, v0
	v_mul_f32_e32 v0, v11, v0
	v_lshrrev_b32_e32 v15, 16, v0
.LBB532_68:
	s_or_b64 exec, exec, s[6:7]
	s_and_saveexec_b64 s[6:7], s[0:1]
	s_cbranch_execz .LBB532_70
; %bb.69:
	v_lshlrev_b32_e32 v16, 8, v9
	v_mov_b32_e32 v17, 0
	v_lshl_add_u64 v[16:17], v[4:5], 0, v[16:17]
	global_load_ushort v0, v[16:17], off
	s_waitcnt vmcnt(0)
	v_lshlrev_b32_e32 v0, 16, v0
	v_sub_f32_e32 v0, v0, v1
	v_mul_f32_e32 v0, v7, v0
	v_lshrrev_b32_e32 v14, 16, v0
.LBB532_70:
	s_or_b64 exec, exec, s[6:7]
	v_mov_b32_e32 v0, 0
	v_mov_b32_e32 v1, 0
	s_and_saveexec_b64 s[0:1], s[2:3]
	s_cbranch_execz .LBB532_72
; %bb.71:
	v_lshlrev_b32_e32 v10, 8, v10
	v_mov_b32_e32 v11, 0
	v_lshl_add_u64 v[10:11], v[4:5], 0, v[10:11]
	global_load_ushort v1, v[10:11], off
	s_waitcnt vmcnt(0)
	v_lshlrev_b32_e32 v1, 16, v1
	v_sub_f32_e32 v1, v1, v2
	v_mul_f32_e32 v1, v13, v1
	v_lshrrev_b32_e32 v1, 16, v1
.LBB532_72:
	s_or_b64 exec, exec, s[0:1]
	s_and_saveexec_b64 s[0:1], s[4:5]
	s_cbranch_execz .LBB532_74
; %bb.73:
	v_lshlrev_b32_e32 v10, 8, v12
	v_mov_b32_e32 v11, 0
	v_lshl_add_u64 v[4:5], v[4:5], 0, v[10:11]
	global_load_ushort v0, v[4:5], off
	s_waitcnt vmcnt(0)
	v_lshlrev_b32_e32 v0, 16, v0
	v_sub_f32_e32 v0, v0, v3
	v_mul_f32_e32 v0, v8, v0
	v_lshrrev_b32_e32 v0, 16, v0
.LBB532_74:
	s_or_b64 exec, exec, s[0:1]
	s_mov_b32 s0, 0x5040100
	v_lshlrev_b32_e32 v2, 1, v34
	v_perm_b32 v1, v0, v1, s0
	v_perm_b32 v0, v14, v15, s0
	v_lshl_or_b32 v2, v6, 5, v2
	ds_write_b64 v2, v[0:1] offset:38912
	s_waitcnt lgkmcnt(0)
	s_barrier
.LBB532_75:
	s_endpgm
	.section	.rodata,"a",@progbits
	.p2align	6, 0x0
	.amdhsa_kernel _ZN12_GLOBAL__N_139chunk_gated_delta_rule_fwd_h_hip_kernelILi16ELb1ELb0ELb0ELb1ELb1ELb1ELb0ELb1EEEvPK12hip_bfloat16S3_S3_PKfS5_PKvPS1_S8_PvPKiSB_iiiiilll
		.amdhsa_group_segment_fixed_size 40960
		.amdhsa_private_segment_fixed_size 0
		.amdhsa_kernarg_size 136
		.amdhsa_user_sgpr_count 2
		.amdhsa_user_sgpr_dispatch_ptr 0
		.amdhsa_user_sgpr_queue_ptr 0
		.amdhsa_user_sgpr_kernarg_segment_ptr 1
		.amdhsa_user_sgpr_dispatch_id 0
		.amdhsa_user_sgpr_kernarg_preload_length 0
		.amdhsa_user_sgpr_kernarg_preload_offset 0
		.amdhsa_user_sgpr_private_segment_size 0
		.amdhsa_uses_dynamic_stack 0
		.amdhsa_enable_private_segment 0
		.amdhsa_system_sgpr_workgroup_id_x 1
		.amdhsa_system_sgpr_workgroup_id_y 1
		.amdhsa_system_sgpr_workgroup_id_z 0
		.amdhsa_system_sgpr_workgroup_info 0
		.amdhsa_system_vgpr_workitem_id 0
		.amdhsa_next_free_vgpr 124
		.amdhsa_next_free_sgpr 61
		.amdhsa_accum_offset 112
		.amdhsa_reserve_vcc 1
		.amdhsa_float_round_mode_32 0
		.amdhsa_float_round_mode_16_64 0
		.amdhsa_float_denorm_mode_32 3
		.amdhsa_float_denorm_mode_16_64 3
		.amdhsa_dx10_clamp 1
		.amdhsa_ieee_mode 1
		.amdhsa_fp16_overflow 0
		.amdhsa_tg_split 0
		.amdhsa_exception_fp_ieee_invalid_op 0
		.amdhsa_exception_fp_denorm_src 0
		.amdhsa_exception_fp_ieee_div_zero 0
		.amdhsa_exception_fp_ieee_overflow 0
		.amdhsa_exception_fp_ieee_underflow 0
		.amdhsa_exception_fp_ieee_inexact 0
		.amdhsa_exception_int_div_zero 0
	.end_amdhsa_kernel
	.section	.text._ZN12_GLOBAL__N_139chunk_gated_delta_rule_fwd_h_hip_kernelILi16ELb1ELb0ELb0ELb1ELb1ELb1ELb0ELb1EEEvPK12hip_bfloat16S3_S3_PKfS5_PKvPS1_S8_PvPKiSB_iiiiilll,"axG",@progbits,_ZN12_GLOBAL__N_139chunk_gated_delta_rule_fwd_h_hip_kernelILi16ELb1ELb0ELb0ELb1ELb1ELb1ELb0ELb1EEEvPK12hip_bfloat16S3_S3_PKfS5_PKvPS1_S8_PvPKiSB_iiiiilll,comdat
.Lfunc_end532:
	.size	_ZN12_GLOBAL__N_139chunk_gated_delta_rule_fwd_h_hip_kernelILi16ELb1ELb0ELb0ELb1ELb1ELb1ELb0ELb1EEEvPK12hip_bfloat16S3_S3_PKfS5_PKvPS1_S8_PvPKiSB_iiiiilll, .Lfunc_end532-_ZN12_GLOBAL__N_139chunk_gated_delta_rule_fwd_h_hip_kernelILi16ELb1ELb0ELb0ELb1ELb1ELb1ELb0ELb1EEEvPK12hip_bfloat16S3_S3_PKfS5_PKvPS1_S8_PvPKiSB_iiiiilll
                                        ; -- End function
	.section	.AMDGPU.csdata,"",@progbits
; Kernel info:
; codeLenInByte = 7212
; NumSgprs: 67
; NumVgprs: 112
; NumAgprs: 12
; TotalNumVgprs: 124
; ScratchSize: 0
; MemoryBound: 0
; FloatMode: 240
; IeeeMode: 1
; LDSByteSize: 40960 bytes/workgroup (compile time only)
; SGPRBlocks: 8
; VGPRBlocks: 15
; NumSGPRsForWavesPerEU: 67
; NumVGPRsForWavesPerEU: 124
; AccumOffset: 112
; Occupancy: 1
; WaveLimiterHint : 1
; COMPUTE_PGM_RSRC2:SCRATCH_EN: 0
; COMPUTE_PGM_RSRC2:USER_SGPR: 2
; COMPUTE_PGM_RSRC2:TRAP_HANDLER: 0
; COMPUTE_PGM_RSRC2:TGID_X_EN: 1
; COMPUTE_PGM_RSRC2:TGID_Y_EN: 1
; COMPUTE_PGM_RSRC2:TGID_Z_EN: 0
; COMPUTE_PGM_RSRC2:TIDIG_COMP_CNT: 0
; COMPUTE_PGM_RSRC3_GFX90A:ACCUM_OFFSET: 27
; COMPUTE_PGM_RSRC3_GFX90A:TG_SPLIT: 0
	.section	.text._ZN12_GLOBAL__N_139chunk_gated_delta_rule_fwd_h_hip_kernelILi16ELb0ELb1ELb1ELb1ELb1ELb1ELb0ELb1EEEvPK12hip_bfloat16S3_S3_PKfS5_PKvPS1_S8_PvPKiSB_iiiiilll,"axG",@progbits,_ZN12_GLOBAL__N_139chunk_gated_delta_rule_fwd_h_hip_kernelILi16ELb0ELb1ELb1ELb1ELb1ELb1ELb0ELb1EEEvPK12hip_bfloat16S3_S3_PKfS5_PKvPS1_S8_PvPKiSB_iiiiilll,comdat
	.globl	_ZN12_GLOBAL__N_139chunk_gated_delta_rule_fwd_h_hip_kernelILi16ELb0ELb1ELb1ELb1ELb1ELb1ELb0ELb1EEEvPK12hip_bfloat16S3_S3_PKfS5_PKvPS1_S8_PvPKiSB_iiiiilll ; -- Begin function _ZN12_GLOBAL__N_139chunk_gated_delta_rule_fwd_h_hip_kernelILi16ELb0ELb1ELb1ELb1ELb1ELb1ELb0ELb1EEEvPK12hip_bfloat16S3_S3_PKfS5_PKvPS1_S8_PvPKiSB_iiiiilll
	.p2align	8
	.type	_ZN12_GLOBAL__N_139chunk_gated_delta_rule_fwd_h_hip_kernelILi16ELb0ELb1ELb1ELb1ELb1ELb1ELb0ELb1EEEvPK12hip_bfloat16S3_S3_PKfS5_PKvPS1_S8_PvPKiSB_iiiiilll,@function
_ZN12_GLOBAL__N_139chunk_gated_delta_rule_fwd_h_hip_kernelILi16ELb0ELb1ELb1ELb1ELb1ELb1ELb0ELb1EEEvPK12hip_bfloat16S3_S3_PKfS5_PKvPS1_S8_PvPKiSB_iiiiilll: ; @_ZN12_GLOBAL__N_139chunk_gated_delta_rule_fwd_h_hip_kernelILi16ELb0ELb1ELb1ELb1ELb1ELb1ELb0ELb1EEEvPK12hip_bfloat16S3_S3_PKfS5_PKvPS1_S8_PvPKiSB_iiiiilll
; %bb.0:
	s_load_dwordx4 s[20:23], s[0:1], 0x5c
	s_load_dwordx2 s[40:41], s[0:1], 0x20
	s_abs_i32 s27, s3
	s_ashr_i32 s26, s3, 31
	s_load_dwordx2 s[24:25], s[0:1], 0x50
	s_load_dwordx8 s[4:11], s[0:1], 0x30
	s_load_dwordx8 s[12:19], s[0:1], 0x0
	s_waitcnt lgkmcnt(0)
	s_abs_i32 s30, s21
	v_cvt_f32_u32_e32 v1, s30
	s_sub_i32 s28, 0, s30
	s_ashr_i32 s33, s21, 31
	s_xor_b32 s26, s26, s33
	v_rcp_iflag_f32_e32 v1, v1
	v_lshrrev_b32_e32 v45, 6, v0
	v_bfe_u32 v62, v0, 4, 2
	v_lshlrev_b32_e32 v60, 4, v45
	v_mul_f32_e32 v1, 0x4f7ffffe, v1
	v_cvt_u32_f32_e32 v1, v1
	v_lshlrev_b32_e32 v2, 2, v62
	v_and_b32_e32 v61, 63, v0
	v_mov_b32_e32 v49, 0
	v_readfirstlane_b32 s29, v1
	s_mul_i32 s28, s28, s29
	s_mul_hi_u32 s28, s29, s28
	s_add_i32 s29, s29, s28
	s_mul_hi_u32 s28, s27, s29
	s_mul_i32 s29, s28, s30
	s_sub_i32 s27, s27, s29
	s_add_i32 s31, s28, 1
	s_sub_i32 s29, s27, s30
	s_cmp_ge_u32 s27, s30
	s_cselect_b32 s28, s31, s28
	s_cselect_b32 s27, s29, s27
	s_add_i32 s29, s28, 1
	s_cmp_ge_u32 s27, s30
	s_cselect_b32 s27, s29, s28
	s_xor_b32 s27, s27, s26
	s_sub_i32 s34, s27, s26
	s_mul_i32 s26, s34, s21
	s_ashr_i32 s35, s34, 31
	s_sub_i32 s48, s3, s26
	s_lshl_b64 s[26:27], s[34:35], 2
	s_add_u32 s10, s10, s26
	s_addc_u32 s11, s11, s27
	s_add_u32 s28, s24, s26
	s_addc_u32 s29, s25, s27
	s_abs_i32 s3, s22
	v_cvt_f32_u32_e32 v1, s3
	s_load_dwordx2 s[42:43], s[10:11], 0x0
	s_sub_i32 s11, 0, s3
	s_mov_b32 s49, s21
	v_rcp_iflag_f32_e32 v1, v1
	v_and_b32_e32 v63, 15, v0
	s_waitcnt lgkmcnt(0)
	s_sub_i32 s53, s43, s42
	s_ashr_i32 s10, s53, 31
	v_mul_f32_e32 v1, 0x4f7ffffe, v1
	v_cvt_u32_f32_e32 v1, v1
	s_lshr_b32 s10, s10, 26
	s_add_i32 s10, s53, s10
	s_ashr_i32 s54, s10, 6
	v_readfirstlane_b32 s24, v1
	s_mul_i32 s11, s11, s24
	s_mul_hi_u32 s11, s24, s11
	s_add_i32 s24, s24, s11
	s_mul_hi_u32 s11, s30, s24
	s_mul_i32 s24, s11, s3
	s_ashr_i32 s10, s22, 31
	s_sub_i32 s24, s30, s24
	s_xor_b32 s10, s33, s10
	s_add_i32 s25, s11, 1
	s_sub_i32 s26, s24, s3
	s_cmp_ge_u32 s24, s3
	s_cselect_b32 s11, s25, s11
	s_cselect_b32 s24, s26, s24
	s_add_i32 s25, s11, 1
	s_cmp_ge_u32 s24, s3
	s_cselect_b32 s3, s25, s11
	s_xor_b32 s3, s3, s10
	s_sub_i32 s3, s3, s10
	s_abs_i32 s30, s3
	v_cvt_f32_u32_e32 v1, s30
	s_load_dwordx2 s[10:11], s[0:1], 0x80
	s_load_dwordx4 s[24:27], s[0:1], 0x70
	s_load_dword s55, s[28:29], 0x0
	s_xor_b32 s0, s48, s3
	v_rcp_iflag_f32_e32 v1, v1
	s_sub_i32 s3, 0, s30
	s_abs_i32 s1, s48
	s_ashr_i32 s0, s0, 31
	v_mul_f32_e32 v1, 0x4f7ffffe, v1
	v_cvt_u32_f32_e32 v1, v1
	s_mul_hi_i32 s56, s48, s20
	s_mul_i32 s57, s48, s20
	v_lshrrev_b32_e32 v65, 3, v61
	v_readfirstlane_b32 s28, v1
	s_mul_i32 s3, s3, s28
	s_mul_hi_u32 s3, s28, s3
	s_add_i32 s28, s28, s3
	s_mul_hi_u32 s3, s1, s28
	s_mul_i32 s28, s3, s30
	s_sub_i32 s1, s1, s28
	s_add_i32 s28, s3, 1
	s_sub_i32 s29, s1, s30
	s_cmp_ge_u32 s1, s30
	s_cselect_b32 s3, s28, s3
	s_cselect_b32 s1, s29, s1
	s_add_i32 s28, s3, 1
	s_cmp_ge_u32 s1, s30
	s_cselect_b32 s1, s28, s3
	s_xor_b32 s1, s1, s0
	s_sub_i32 s58, s1, s0
	v_or_b32_e32 v1, v2, v60
	s_lshl_b32 s2, s2, 4
	v_or_b32_e32 v66, 64, v1
	s_cmp_lt_i32 s53, 64
	v_lshlrev_b32_e32 v64, 3, v0
	s_waitcnt lgkmcnt(0)
	s_mul_i32 s50, s34, s25
	s_mul_hi_u32 s51, s34, s24
	s_mul_i32 s52, s35, s24
	s_mul_i32 s44, s34, s24
	v_mov_b32_e32 v48, v49
	v_mov_b32_e32 v51, v49
	;; [unrolled: 1-line block ×7, first 2 shown]
	s_cbranch_scc1 .LBB533_18
; %bb.1:
	s_ashr_i32 s60, s48, 31
	s_ashr_i32 s1, s42, 31
	s_add_u32 s0, s57, s42
	s_addc_u32 s1, s56, s1
	s_lshl_b64 s[0:1], s[0:1], 8
	v_and_b32_e32 v68, 56, v64
	s_add_u32 s28, s14, s0
	v_lshl_or_b32 v67, v45, 3, v65
	v_lshlrev_b32_e32 v3, 1, v68
	s_addc_u32 s0, s15, s1
	v_lshl_or_b32 v69, v67, 8, v3
	s_and_b32 s29, s0, 0xffff
	s_mov_b32 s31, 0x20000
	s_movk_i32 s30, 0x4000
	s_movk_i32 s0, 0x80
	v_or_b32_e32 v70, 0x2000, v69
	buffer_load_dwordx4 v[4:7], v69, s[28:31], 0 offen
	buffer_load_dwordx4 v[8:11], v69, s[28:31], s0 offen
	;; [unrolled: 1-line block ×4, first 2 shown]
	v_lshlrev_b32_e32 v20, 3, v67
	v_and_or_b32 v22, v0, 7, v20
	v_and_b32_e32 v20, 0x78, v20
	v_lshlrev_b32_e32 v22, 4, v22
	v_xor_b32_e32 v71, v22, v20
	v_mul_lo_u32 v21, v67, s23
	v_or_b32_e32 v72, 0x1000, v71
	s_cmpk_eq_i32 s23, 0x80
	s_mov_b32 s59, s42
	v_xor_b32_e32 v20, 8, v71
	v_xor_b32_e32 v22, 8, v72
	s_cselect_b64 s[0:1], -1, 0
	s_cmpk_lg_i32 s23, 0x80
	s_waitcnt vmcnt(3)
	ds_write_b64 v71, v[4:5] offset:16384
	ds_write_b64 v20, v[6:7] offset:16384
	s_waitcnt vmcnt(2)
	ds_write_b64 v71, v[8:9] offset:24576
	ds_write_b64 v20, v[10:11] offset:24576
	;; [unrolled: 3-line block ×4, first 2 shown]
	v_lshl_add_u32 v4, v21, 1, v68
	s_cbranch_scc0 .LBB533_3
; %bb.2:
	v_lshlrev_b32_e32 v6, 1, v4
	v_add_lshl_u32 v5, v4, s23, 1
	s_lshl_b32 s30, s23, 7
	v_lshl_or_b32 v3, v67, 9, v3
	s_cbranch_execz .LBB533_4
	s_branch .LBB533_5
.LBB533_3:
                                        ; implicit-def: $vgpr5
                                        ; implicit-def: $vgpr6
                                        ; implicit-def: $sgpr30
	v_lshl_or_b32 v3, v67, 9, v3
.LBB533_4:
	v_or_b32_e32 v5, 0x100, v3
	s_movk_i32 s30, 0x4000
	v_mov_b32_e32 v6, v3
.LBB533_5:
	s_mul_i32 s24, s42, s22
	s_ashr_i32 s61, s58, 31
	s_mul_hi_i32 s3, s42, s22
	s_add_u32 s24, s24, s58
	s_addc_u32 s25, s3, s61
	s_lshl_b64 s[24:25], s[24:25], 8
	s_add_u32 s28, s12, s24
	s_addc_u32 s3, s13, s25
	s_and_b32 s29, s3, 0xffff
	s_movk_i32 s62, 0x80
	buffer_load_dwordx4 v[8:11], v6, s[28:31], 0 offen
	buffer_load_dwordx4 v[12:15], v6, s[28:31], s62 offen
	;; [unrolled: 1-line block ×4, first 2 shown]
	v_and_b32_e32 v5, 6, v0
	v_lshlrev_b32_e32 v7, 2, v63
	v_lshlrev_b32_e32 v24, 3, v63
	v_xor_b32_e32 v26, v67, v5
	v_and_b32_e32 v6, 1, v0
	v_lshl_or_b32 v24, v1, 5, v24
	v_xor_b32_e32 v27, v1, v7
	v_lshlrev_b32_e32 v26, 2, v26
	s_mul_i32 s3, s48, s27
	s_mul_hi_u32 s25, s48, s26
	v_or_b32_e32 v73, 0x9000, v24
	v_or_b32_e32 v74, 0x9800, v24
	v_lshlrev_b32_e32 v24, 1, v27
	v_xor_b32_e32 v27, 0x440, v26
	v_cmp_eq_u32_e32 vcc, 0, v6
	s_add_i32 s29, s51, s50
	s_mul_i32 s28, s60, s26
	v_cndmask_b32_e32 v6, v27, v26, vcc
	s_add_i32 s3, s25, s3
	s_add_i32 s45, s29, s52
	s_mov_b32 s63, 0x1000504
	v_lshlrev_b32_e32 v25, 8, v63
	s_mov_b32 s30, 0x8000
	v_xor_b32_e32 v7, v66, v7
	v_lshl_or_b32 v5, v5, 10, v6
	s_add_i32 s25, s3, s28
	s_lshl_b64 s[28:29], s[44:45], 2
	s_mov_b32 s64, 0x3020706
	s_mul_i32 s24, s48, s26
	v_lshlrev_b32_e32 v7, 1, v7
	v_or3_b32 v75, v24, v25, s30
	v_xor_b32_e32 v6, 8, v5
	v_xor_b32_e32 v24, 24, v5
	;; [unrolled: 1-line block ×4, first 2 shown]
	s_add_u32 s3, s18, s28
	v_or3_b32 v76, v7, v25, s30
	v_xor_b32_e32 v7, 16, v5
	v_xor_b32_e32 v25, 32, v5
	;; [unrolled: 1-line block ×3, first 2 shown]
	v_add_u32_e32 v6, 0x80, v6
	v_add_u32_e32 v24, 0x80, v24
	;; [unrolled: 1-line block ×4, first 2 shown]
	s_addc_u32 s28, s19, s29
	s_lshl_b64 s[24:25], s[24:25], 2
	s_add_u32 s24, s3, s24
	s_movk_i32 s3, 0xf8
	s_addc_u32 s25, s28, s25
	s_lshl_b32 s38, s23, 7
	v_mov_b32_e32 v47, 0
	s_mov_b32 s65, 0
	v_add_u32_e32 v87, v60, v2
	v_mov_b32_e32 v52, v47
	v_mov_b32_e32 v53, v47
	v_mov_b32_e32 v50, v47
	v_mov_b32_e32 v51, v47
	v_mov_b32_e32 v48, v47
	v_mov_b32_e32 v49, v47
	s_waitcnt vmcnt(1)
	v_perm_b32 v29, v8, v16, s63
	s_waitcnt vmcnt(0)
	v_perm_b32 v30, v12, v20, s63
	v_perm_b32 v8, v8, v16, s64
	;; [unrolled: 1-line block ×15, first 2 shown]
	ds_write2st64_b32 v5, v29, v30 offset1:32
	ds_write2st64_b32 v6, v8, v12 offset1:32
	ds_write2st64_b32 v7, v16, v20 offset0:1 offset1:33
	ds_write2st64_b32 v24, v9, v13 offset0:1 offset1:33
	;; [unrolled: 1-line block ×6, first 2 shown]
	v_or_b32_e32 v5, v60, v63
	v_lshlrev_b32_e32 v5, 3, v5
	v_lshrrev_b32_e32 v7, 5, v61
	v_and_or_b32 v7, v5, s3, v7
	v_lshlrev_b32_e32 v7, 4, v7
	v_lshrrev_b32_e32 v6, 2, v61
	v_lshlrev_b32_e32 v11, 11, v45
	v_and_b32_e32 v5, 0x78, v5
	v_or_b32_e32 v12, 32, v7
	v_and_b32_e32 v10, 12, v6
	v_and_b32_e32 v6, 0x1000, v11
	v_lshrrev_b32_e32 v9, 1, v61
	v_xor_b32_e32 v12, v12, v5
	v_and_b32_e32 v9, 8, v9
	v_or_b32_e32 v12, v12, v6
	v_xor_b32_e32 v8, v7, v5
	v_xor_b32_e32 v79, v12, v9
	v_or_b32_e32 v12, 64, v7
	v_or_b32_e32 v7, 0x60, v7
	v_xor_b32_e32 v12, v12, v5
	v_xor_b32_e32 v5, v7, v5
	v_or_b32_e32 v5, v5, v6
	v_or_b32_e32 v12, v12, v6
	v_xor_b32_e32 v81, v5, v9
	s_ashr_i32 s3, s2, 31
	v_lshlrev_b32_e32 v5, 1, v63
	v_xor_b32_e32 v80, v12, v9
	v_lshlrev_b32_e32 v12, 1, v4
	v_add_lshl_u32 v13, v4, s23, 1
	v_lshrrev_b32_e32 v4, 4, v0
	s_lshl_b64 s[28:29], s[2:3], 8
	v_or_b32_e32 v15, 1, v5
	s_add_u32 s28, s4, s28
	v_xor_b32_e32 v5, v4, v5
	v_xor_b32_e32 v15, v15, v4
	s_addc_u32 s29, s5, s29
	v_lshlrev_b32_e32 v5, 3, v5
	v_lshlrev_b32_e32 v46, 8, v4
	;; [unrolled: 1-line block ×3, first 2 shown]
	v_lshrrev_b32_e32 v19, 1, v0
	v_or3_b32 v83, v5, v46, s30
	v_or3_b32 v84, v4, v46, s30
	v_lshl_add_u64 v[4:5], s[28:29], 0, v[46:47]
	v_lshlrev_b32_e32 v46, 4, v63
	s_movk_i32 s3, 0xff
	v_lshlrev_b32_e32 v18, 3, v45
	v_and_b32_e32 v19, 24, v19
	v_lshl_add_u64 v[54:55], v[4:5], 0, v[46:47]
	v_and_b32_e32 v5, 8, v0
	v_cmp_lt_u32_e32 vcc, s3, v0
	v_xor_b32_e32 v20, v18, v19
	v_or_b32_e32 v21, 0x440, v20
	v_cndmask_b32_e64 v17, 0, 1, vcc
	v_cmp_eq_u32_e32 vcc, 0, v5
	v_or_b32_e32 v23, 64, v19
	v_xor_b32_e32 v23, v18, v23
	v_cndmask_b32_e32 v5, v21, v20, vcc
	v_or_b32_e32 v21, 32, v19
	v_or_b32_e32 v19, 0x60, v19
	v_xor_b32_e32 v21, v18, v21
	v_xor_b32_e32 v18, v18, v19
	v_or_b32_e32 v22, 0x440, v21
	v_xor_b32_e32 v24, 0x440, v23
	v_xor_b32_e32 v19, 0x440, v18
	v_or_b32_e32 v8, v8, v6
	v_or_b32_e32 v6, s2, v63
	v_and_b32_e32 v4, 7, v0
	v_cndmask_b32_e32 v21, v22, v21, vcc
	v_cndmask_b32_e32 v23, v24, v23, vcc
	;; [unrolled: 1-line block ×3, first 2 shown]
	v_xor_b32_e32 v77, v8, v9
	v_and_b32_e32 v8, 0x78, v64
	v_ashrrev_i32_e32 v7, 31, v6
	v_lshlrev_b32_e32 v15, 3, v4
	v_or_b32_e32 v5, v5, v11
	v_or_b32_e32 v21, v21, v11
	v_or_b32_e32 v23, v23, v11
	v_or_b32_e32 v11, v18, v11
	v_lshl_or_b32 v8, v62, 7, v8
	v_lshlrev_b64 v[6:7], 1, v[6:7]
	v_lshlrev_b32_e32 v17, 13, v17
	v_xor_b32_e32 v5, v5, v15
	v_xor_b32_e32 v21, v21, v15
	;; [unrolled: 1-line block ×4, first 2 shown]
	v_or_b32_e32 v78, 0x9000, v8
	v_or_b32_e32 v82, 0x9800, v8
	v_lshl_add_u64 v[8:9], s[16:17], 0, v[6:7]
	v_lshl_add_u64 v[6:7], s[6:7], 0, v[6:7]
	v_or_b32_e32 v14, 0x100, v3
	v_lshlrev_b32_e32 v16, 7, v4
	v_or_b32_e32 v4, v10, v60
	v_add_u32_e32 v20, v17, v5
	v_add_u32_e32 v22, v17, v21
	;; [unrolled: 1-line block ×4, first 2 shown]
	v_or3_b32 v10, v60, v10, 64
	v_add_u32_e32 v5, 0x2000, v5
	v_add_u32_e32 v17, 0x2000, v21
	;; [unrolled: 1-line block ×4, first 2 shown]
	v_lshlrev_b32_e32 v46, 8, v1
	v_cndmask_b32_e64 v85, v12, v3, s[0:1]
	v_cndmask_b32_e64 v86, v13, v14, s[0:1]
	v_lshl_add_u64 v[56:57], v[8:9], 0, v[46:47]
	v_lshl_add_u64 v[58:59], v[6:7], 0, v[46:47]
	s_mov_b32 s3, 0x7060302
	s_movk_i32 s30, 0x4000
	v_lshlrev_b32_e32 v88, 2, v4
	v_add_u32_e32 v89, v20, v16
	v_add_u32_e32 v90, v22, v16
	;; [unrolled: 1-line block ×4, first 2 shown]
	v_lshlrev_b32_e32 v93, 2, v10
	v_add_u32_e32 v94, v5, v16
	v_add_u32_e32 v95, v17, v16
	;; [unrolled: 1-line block ×4, first 2 shown]
	v_mov_b32_e32 v46, v47
	s_waitcnt lgkmcnt(0)
	s_barrier
.LBB533_6:                              ; =>This Inner Loop Header: Depth=1
	s_add_i32 s45, s65, 1
	s_cmp_lt_i32 s45, s54
	s_mov_b64 s[36:37], 0
	s_cselect_b64 s[46:47], -1, 0
	s_cmp_ge_i32 s45, s54
	s_mov_b64 s[28:29], 0
	s_cbranch_scc1 .LBB533_8
; %bb.7:                                ;   in Loop: Header=BB533_6 Depth=1
	s_add_i32 s0, s59, 64
	s_ashr_i32 s1, s0, 31
	s_add_u32 s0, s57, s0
	s_addc_u32 s1, s56, s1
	s_lshl_b64 s[0:1], s[0:1], 8
	s_add_u32 s28, s14, s0
	s_addc_u32 s29, s15, s1
.LBB533_8:                              ;   in Loop: Header=BB533_6 Depth=1
	v_cndmask_b32_e64 v2, 0, 1, s[46:47]
	v_cmp_ne_u32_e64 s[0:1], 1, v2
	s_andn2_b64 vcc, exec, s[46:47]
	s_cbranch_vccnz .LBB533_10
; %bb.9:                                ;   in Loop: Header=BB533_6 Depth=1
	s_add_i32 s36, s59, 64
	s_mul_hi_i32 s37, s36, s22
	s_mul_i32 s36, s36, s22
	s_add_u32 s36, s36, s58
	s_addc_u32 s37, s37, s61
	s_lshl_b64 s[36:37], s[36:37], 8
	s_add_u32 s36, s12, s36
	s_addc_u32 s37, s13, s37
.LBB533_10:                             ;   in Loop: Header=BB533_6 Depth=1
	v_perm_b32 v3, v53, v52, s3
	v_perm_b32 v2, v47, v46, s3
	;; [unrolled: 1-line block ×4, first 2 shown]
	ds_write_b64 v73, v[2:3]
	ds_write_b64 v74, v[4:5]
	;; [unrolled: 1-line block ×4, first 2 shown]
	s_waitcnt lgkmcnt(0)
	s_barrier
	ds_read_b64 v[10:11], v77 offset:16384
	ds_read_b64 v[12:13], v79 offset:16384
	ds_read2st64_b64 v[2:5], v78 offset1:1
	s_waitcnt lgkmcnt(0)
	v_mfma_f32_16x16x16_bf16 a[0:3], v[10:11], v[2:3], 0
	ds_read2st64_b64 v[6:9], v78 offset0:2 offset1:3
	ds_read_b64 v[14:15], v80 offset:16384
	ds_read_b64 v[2:3], v81 offset:16384
	s_add_i32 s66, s59, 63
	v_mfma_f32_16x16x16_bf16 a[0:3], v[12:13], v[4:5], a[0:3]
	s_ashr_i32 s39, s66, 31
	s_mul_i32 s46, s66, s11
	s_mul_hi_u32 s47, s66, s10
	s_waitcnt lgkmcnt(1)
	v_mfma_f32_16x16x16_bf16 a[0:3], v[14:15], v[6:7], a[0:3]
	s_add_i32 s46, s47, s46
	s_mul_i32 s39, s39, s10
	s_add_i32 s47, s46, s39
	s_mul_i32 s46, s66, s10
	s_waitcnt lgkmcnt(0)
	v_mfma_f32_16x16x16_bf16 a[0:3], v[2:3], v[8:9], a[0:3]
	s_lshl_b64 s[46:47], s[46:47], 2
	s_add_u32 s46, s24, s46
	s_addc_u32 s47, s25, s47
	s_and_b64 vcc, exec, s[0:1]
	v_mov_b32_e32 v100, 0
	v_mov_b32_e32 v99, 0
	;; [unrolled: 1-line block ×19, first 2 shown]
	s_cbranch_vccnz .LBB533_12
; %bb.11:                               ;   in Loop: Header=BB533_6 Depth=1
	s_and_b32 s29, s29, 0xffff
	buffer_load_dwordx4 v[14:17], v69, s[28:31], 0 offen
	buffer_load_dwordx4 v[10:13], v69, s[28:31], s62 offen
	;; [unrolled: 1-line block ×4, first 2 shown]
	v_mov_b32_e32 v99, v71
	v_mov_b32_e32 v98, v72
.LBB533_12:                             ;   in Loop: Header=BB533_6 Depth=1
	v_add_u32_e32 v22, s59, v87
	v_ashrrev_i32_e32 v18, 31, v22
	v_mul_lo_u32 v20, v18, s10
	v_mul_lo_u32 v21, v22, s11
	v_mad_u64_u32 v[18:19], s[28:29], v22, s10, 0
	v_add3_u32 v19, v19, v21, v20
	v_lshl_add_u64 v[18:19], v[18:19], 2, s[24:25]
	global_load_dword v36, v[18:19], off
	v_add_u32_e32 v18, 1, v22
	v_ashrrev_i32_e32 v19, 31, v18
	v_mul_lo_u32 v20, v19, s10
	v_mul_lo_u32 v21, v18, s11
	v_mad_u64_u32 v[18:19], s[28:29], v18, s10, 0
	v_add3_u32 v19, v19, v21, v20
	v_add_u32_e32 v20, 2, v22
	v_ashrrev_i32_e32 v21, 31, v20
	v_mul_lo_u32 v23, v21, s10
	v_mul_lo_u32 v24, v20, s11
	v_mad_u64_u32 v[20:21], s[28:29], v20, s10, 0
	v_add_u32_e32 v22, 3, v22
	v_add3_u32 v21, v21, v24, v23
	v_ashrrev_i32_e32 v23, 31, v22
	v_mul_lo_u32 v26, v23, s10
	v_mul_lo_u32 v27, v22, s11
	v_mad_u64_u32 v[22:23], s[28:29], v22, s10, 0
	s_ashr_i32 s29, s59, 31
	s_add_u32 s28, s57, s59
	s_addc_u32 s29, s56, s29
	s_lshl_b64 s[68:69], s[28:29], 8
	v_lshl_add_u64 v[18:19], v[18:19], 2, s[24:25]
	v_lshl_add_u64 v[24:25], v[56:57], 0, s[68:69]
	v_add3_u32 v23, v23, v27, v26
	v_lshl_add_u64 v[20:21], v[20:21], 2, s[24:25]
	global_load_ushort v37, v[24:25], off
	global_load_ushort v38, v[24:25], off offset:256
	global_load_ushort v39, v[24:25], off offset:512
	;; [unrolled: 1-line block ×3, first 2 shown]
	v_lshl_add_u64 v[22:23], v[22:23], 2, s[24:25]
	global_load_dword v41, v[18:19], off
	global_load_dword v42, v[20:21], off
	;; [unrolled: 1-line block ×3, first 2 shown]
	s_load_dword s28, s[46:47], 0x0
	ds_read_b64 v[20:21], v77 offset:24576
	ds_read2st64_b64 v[22:25], v82 offset1:1
	ds_read2st64_b64 v[26:29], v82 offset0:2 offset1:3
	ds_read_b64 v[30:31], v79 offset:24576
	ds_read_b64 v[32:33], v80 offset:24576
	;; [unrolled: 1-line block ×3, first 2 shown]
	s_waitcnt lgkmcnt(0)
	v_mfma_f32_16x16x16_bf16 a[0:3], v[20:21], v[22:23], a[0:3]
	v_mov_b32_e32 v101, 0
	v_mov_b32_e32 v18, 0
	;; [unrolled: 1-line block ×3, first 2 shown]
	v_mfma_f32_16x16x16_bf16 a[0:3], v[30:31], v[24:25], a[0:3]
	v_lshl_add_u64 v[30:31], v[58:59], 0, s[68:69]
	v_mov_b32_e32 v20, 0
	v_mov_b32_e32 v21, 0
	v_mfma_f32_16x16x16_bf16 a[0:3], v[32:33], v[26:27], a[0:3]
	v_mov_b32_e32 v22, 0
	v_mov_b32_e32 v23, 0
	;; [unrolled: 1-line block ×3, first 2 shown]
	v_mfma_f32_16x16x16_bf16 a[0:3], v[34:35], v[28:29], a[0:3]
	v_mov_b32_e32 v25, 0
	v_mov_b32_e32 v26, 0
	s_and_b64 vcc, exec, s[0:1]
	s_waitcnt vmcnt(7)
	v_sub_f32_e32 v27, s28, v36
	s_nop 1
	v_accvgpr_read_b32 v33, a1
	v_accvgpr_read_b32 v32, a0
	;; [unrolled: 1-line block ×4, first 2 shown]
	s_waitcnt vmcnt(6)
	v_lshlrev_b32_e32 v34, 16, v37
	s_waitcnt vmcnt(5)
	v_lshlrev_b32_e32 v35, 16, v38
	v_exp_f32_e32 v38, v27
	s_waitcnt vmcnt(3)
	v_lshlrev_b32_e32 v37, 16, v40
	s_waitcnt vmcnt(2)
	v_sub_f32_e32 v27, s28, v41
	s_waitcnt vmcnt(1)
	v_sub_f32_e32 v40, s28, v42
	;; [unrolled: 2-line block ×3, first 2 shown]
	v_lshlrev_b32_e32 v36, 16, v39
	v_pk_add_f32 v[32:33], v[34:35], v[32:33] neg_lo:[0,1] neg_hi:[0,1]
	v_exp_f32_e32 v39, v27
	v_exp_f32_e32 v34, v40
	;; [unrolled: 1-line block ×3, first 2 shown]
	v_pk_add_f32 v[28:29], v[36:37], v[28:29] neg_lo:[0,1] neg_hi:[0,1]
	global_store_short_d16_hi v[30:31], v32, off
	global_store_short_d16_hi v[30:31], v33, off offset:256
	global_store_short_d16_hi v[30:31], v28, off offset:512
	;; [unrolled: 1-line block ×3, first 2 shown]
	v_pk_mul_f32 v[30:31], v[38:39], v[32:33]
	v_pk_mul_f32 v[28:29], v[34:35], v[28:29]
	v_perm_b32 v30, v31, v30, s3
	v_perm_b32 v31, v29, v28, s3
	ds_write_b64 v74, v[30:31]
	v_mov_b32_e32 v27, 0
	v_mov_b32_e32 v28, 0
	;; [unrolled: 1-line block ×7, first 2 shown]
	s_cbranch_vccnz .LBB533_14
; %bb.13:                               ;   in Loop: Header=BB533_6 Depth=1
	s_and_b32 s37, s37, 0xffff
	s_mov_b32 s39, s31
	buffer_load_dwordx4 v[30:33], v85, s[36:39], 0 offen
	buffer_load_dwordx4 v[22:25], v85, s[36:39], s62 offen
	;; [unrolled: 1-line block ×4, first 2 shown]
	v_mov_b32_e32 v100, v68
	v_mov_b32_e32 v101, v67
.LBB533_14:                             ;   in Loop: Header=BB533_6 Depth=1
	s_waitcnt lgkmcnt(0)
	s_barrier
	ds_read_b64 v[34:35], v89
	ds_read_b64 v[40:41], v90
	ds_read2st64_b64 v[36:39], v82 offset1:1
	ds_read2st64_b64 v[102:105], v82 offset0:2 offset1:3
	ds_read_b64 v[42:43], v91
	ds_read_b64 v[110:111], v92
	s_add_i32 s29, s55, s65
	s_mul_hi_i32 s37, s29, s49
	s_mul_i32 s29, s29, s49
	s_waitcnt lgkmcnt(3)
	v_mfma_f32_16x16x16_bf16 a[0:3], v[34:35], v[36:37], 0
	ds_read_b64 v[34:35], v94
	s_add_u32 s36, s29, s48
	s_addc_u32 s37, s37, s60
	v_mfma_f32_16x16x16_bf16 a[0:3], v[40:41], v[38:39], a[0:3]
	ds_read_b64 v[40:41], v95
	s_lshl_b64 s[36:37], s[36:37], 15
	s_mul_i32 s39, s66, s49
	s_mul_hi_i32 s29, s66, s49
	s_add_u32 s46, s39, s48
	s_addc_u32 s47, s29, s60
	s_lshl_b64 s[46:47], s[46:47], 9
	s_add_u32 s46, s40, s46
	s_waitcnt lgkmcnt(1)
	v_mfma_f32_16x16x16_bf16 a[4:7], v[34:35], v[36:37], 0
	s_addc_u32 s47, s41, s47
	s_and_b64 vcc, exec, s[0:1]
	v_mfma_f32_16x16x16_bf16 a[0:3], v[42:43], v[102:103], a[0:3]
	ds_read_b64 v[42:43], v96
	ds_read_b64 v[112:113], v97
	global_load_dwordx4 v[34:37], v93, s[46:47]
	s_waitcnt lgkmcnt(2)
	v_mfma_f32_16x16x16_bf16 a[4:7], v[40:41], v[38:39], a[4:7]
	global_load_dwordx4 v[38:41], v88, s[46:47]
	ds_read_b64 v[106:107], v83
	ds_read_b64 v[108:109], v84
	s_waitcnt lgkmcnt(3)
	v_mfma_f32_16x16x16_bf16 a[8:11], v[42:43], v[102:103], a[4:7]
	v_lshl_add_u64 v[42:43], v[54:55], 0, s[36:37]
	s_waitcnt lgkmcnt(0)
	global_store_dwordx4 v[42:43], v[106:109], off
	v_mfma_f32_16x16x16_bf16 a[4:7], v[110:111], v[104:105], a[0:3]
	s_waitcnt vmcnt(2)
	v_mov_b32_e32 v44, v37
	v_mfma_f32_16x16x16_bf16 a[0:3], v[112:113], v[104:105], a[8:11]
	v_mov_b32_e32 v43, v36
	v_mov_b32_e32 v42, v35
	s_cbranch_vccnz .LBB533_16
; %bb.15:                               ;   in Loop: Header=BB533_6 Depth=1
	v_lshrrev_b32_e32 v35, 3, v100
	v_and_b32_e32 v35, 6, v35
	v_xor_b32_e32 v36, v35, v101
	v_lshlrev_b32_e32 v36, 2, v36
	v_and_b32_e32 v37, 8, v100
	v_xor_b32_e32 v100, 0x440, v36
	v_cmp_eq_u32_e32 vcc, 0, v37
	v_perm_b32 v37, v22, v18, s63
	s_nop 0
	v_cndmask_b32_e32 v36, v100, v36, vcc
	v_lshl_or_b32 v35, v35, 10, v36
	v_perm_b32 v36, v30, v26, s63
	s_barrier
	ds_write2st64_b32 v35, v36, v37 offset1:32
	v_xor_b32_e32 v36, 8, v35
	v_perm_b32 v26, v30, v26, s64
	v_perm_b32 v18, v22, v18, s64
	v_add_u32_e32 v22, 0x80, v36
	ds_write2st64_b32 v22, v26, v18 offset1:32
	v_xor_b32_e32 v18, 16, v35
	v_perm_b32 v22, v31, v27, s63
	v_perm_b32 v26, v23, v19, s63
	ds_write2st64_b32 v18, v22, v26 offset0:1 offset1:33
	v_xor_b32_e32 v18, 24, v35
	v_perm_b32 v22, v31, v27, s64
	v_perm_b32 v19, v23, v19, s64
	v_add_u32_e32 v18, 0x80, v18
	ds_write2st64_b32 v18, v22, v19 offset0:1 offset1:33
	v_xor_b32_e32 v18, 32, v35
	v_perm_b32 v19, v32, v28, s63
	v_perm_b32 v22, v24, v20, s63
	ds_write2st64_b32 v18, v19, v22 offset0:2 offset1:34
	v_xor_b32_e32 v18, 40, v35
	v_perm_b32 v19, v32, v28, s64
	v_perm_b32 v20, v24, v20, s64
	v_add_u32_e32 v18, 0x80, v18
	ds_write2st64_b32 v18, v19, v20 offset0:2 offset1:34
	;; [unrolled: 9-line block ×3, first 2 shown]
	ds_write_b64 v99, v[14:15] offset:16384
	v_xor_b32_e32 v14, 8, v99
	ds_write_b64 v14, v[16:17] offset:16384
	ds_write_b64 v99, v[10:11] offset:24576
	;; [unrolled: 1-line block ×4, first 2 shown]
	v_xor_b32_e32 v6, 8, v98
	ds_write_b64 v6, v[8:9] offset:16384
	ds_write_b64 v98, v[2:3] offset:24576
	;; [unrolled: 1-line block ×3, first 2 shown]
.LBB533_16:                             ;   in Loop: Header=BB533_6 Depth=1
	v_exp_f32_e32 v10, s28
	s_waitcnt vmcnt(1)
	v_exp_f32_e32 v12, v38
	v_exp_f32_e32 v13, v39
	;; [unrolled: 1-line block ×4, first 2 shown]
	v_accvgpr_read_b32 v2, a4
	v_accvgpr_read_b32 v3, a5
	v_pk_mul_f32 v[12:13], v[10:11], v[12:13] op_sel_hi:[0,1]
	v_pk_fma_f32 v[46:47], v[46:47], v[12:13], v[2:3]
	v_exp_f32_e32 v12, v34
	v_exp_f32_e32 v13, v42
	v_pk_mul_f32 v[2:3], v[10:11], v[14:15] op_sel_hi:[0,1]
	v_exp_f32_e32 v14, v43
	v_exp_f32_e32 v15, v44
	v_accvgpr_read_b32 v4, a6
	v_accvgpr_read_b32 v5, a7
	;; [unrolled: 1-line block ×5, first 2 shown]
	v_pk_fma_f32 v[52:53], v[52:53], v[2:3], v[4:5]
	v_pk_mul_f32 v[2:3], v[10:11], v[12:13] op_sel_hi:[0,1]
	v_accvgpr_read_b32 v8, a2
	v_pk_fma_f32 v[50:51], v[50:51], v[2:3], v[6:7]
	v_pk_mul_f32 v[2:3], v[10:11], v[14:15] op_sel_hi:[0,1]
	s_add_i32 s59, s59, 64
	s_cmp_eq_u32 s54, s45
	v_pk_fma_f32 v[48:49], v[48:49], v[2:3], v[8:9]
	s_cbranch_scc1 .LBB533_18
; %bb.17:                               ;   in Loop: Header=BB533_6 Depth=1
	s_mov_b32 s65, s45
	s_branch .LBB533_6
.LBB533_18:
	s_lshl_b32 s3, s54, 6
	s_sub_i32 s53, s53, s3
	s_cmp_gt_i32 s53, 0
	v_or_b32_e32 v26, s2, v63
	s_cbranch_scc1 .LBB533_20
; %bb.19:
	s_ashr_i32 s25, s48, 31
	v_or_b32_e32 v2, s2, v63
	s_cbranch_execz .LBB533_21
	s_branch .LBB533_77
.LBB533_20:
                                        ; implicit-def: $vgpr2
                                        ; implicit-def: $sgpr24_sgpr25
.LBB533_21:
	s_add_i32 s24, s3, s42
	s_ashr_i32 s3, s24, 31
	s_cmpk_lg_i32 s23, 0x80
	s_cselect_b64 s[38:39], -1, 0
	s_and_b64 vcc, exec, s[38:39]
	s_cbranch_vccz .LBB533_23
; %bb.22:
	s_mul_hi_i32 s0, s24, s22
	s_mul_i32 s1, s24, s22
	s_ashr_i32 s22, s58, 31
	s_add_u32 s46, s1, s58
	s_addc_u32 s47, s0, s22
	s_cbranch_execz .LBB533_24
	s_branch .LBB533_25
.LBB533_23:
                                        ; implicit-def: $sgpr46_sgpr47
.LBB533_24:
	s_mul_i32 s1, s58, s20
	s_mul_hi_i32 s0, s58, s20
	s_add_u32 s46, s1, s24
	s_addc_u32 s47, s0, s3
.LBB533_25:
	s_add_i32 s20, s54, s55
	s_ashr_i32 s25, s48, 31
	s_add_u32 s0, s57, s24
	s_addc_u32 s1, s56, s3
	s_mov_b32 s3, 0x7060302
	v_lshlrev_b32_e32 v6, 3, v63
	s_lshl_b64 s[36:37], s[0:1], 8
	v_perm_b32 v3, v53, v52, s3
	v_perm_b32 v2, v47, v46, s3
	;; [unrolled: 1-line block ×4, first 2 shown]
	v_lshlrev_b32_e32 v36, 2, v63
	v_lshl_or_b32 v6, v1, 5, v6
	s_add_u32 s0, s14, s36
	ds_write2st64_b64 v6, v[2:3], v[4:5] offset0:72 offset1:76
	v_xor_b32_e32 v6, v1, v36
	v_lshlrev_b32_e32 v7, 8, v63
	s_addc_u32 s1, s15, s37
	v_lshl_or_b32 v6, v6, 1, v7
	s_mul_hi_i32 s3, s20, s21
	s_mul_i32 s20, s20, s21
	ds_write_b64 v6, v[2:3] offset:32768
	v_xor_b32_e32 v2, v66, v36
	s_add_u32 s14, s20, s48
	v_lshl_or_b32 v2, v2, 1, v7
	s_addc_u32 s15, s3, s25
	v_lshlrev_b32_e32 v3, 1, v63
	ds_write_b64 v2, v[4:5] offset:32768
	v_lshrrev_b32_e32 v2, 4, v0
	s_ashr_i32 s3, s2, 31
	s_lshl_b64 s[14:15], s[14:15], 15
	v_or_b32_e32 v4, 1, v3
	s_add_u32 s4, s4, s14
	v_xor_b32_e32 v3, v2, v3
	v_xor_b32_e32 v4, v4, v2
	v_lshlrev_b32_e32 v6, 8, v2
	s_addc_u32 s5, s5, s15
	s_lshl_b64 s[2:3], s[2:3], 8
	v_lshl_or_b32 v2, v3, 3, v6
	v_lshl_or_b32 v4, v4, 3, v6
	s_waitcnt lgkmcnt(0)
	s_barrier
	s_add_u32 s2, s4, s2
	ds_read_b64 v[2:3], v2 offset:32768
	ds_read_b64 v[4:5], v4 offset:32768
	s_addc_u32 s3, s5, s3
	v_mov_b32_e32 v7, 0
	s_cmp_lg_u32 s53, 64
	v_lshl_add_u64 v[8:9], s[2:3], 0, v[6:7]
	v_lshlrev_b32_e32 v6, 4, v63
	s_cselect_b64 s[4:5], -1, 0
	v_lshl_or_b32 v27, v45, 3, v65
	s_mov_b32 s28, 0
	v_lshl_add_u64 v[6:7], v[8:9], 0, v[6:7]
	v_or_b32_e32 v19, 32, v27
	v_and_b32_e32 v18, 56, v64
	s_and_b64 vcc, exec, s[4:5]
	s_waitcnt lgkmcnt(0)
	global_store_dwordx4 v[6:7], v[2:5], off
	s_cbranch_vccz .LBB533_31
; %bb.26:
	s_mov_b32 s29, s28
	s_mov_b32 s30, s28
	;; [unrolled: 1-line block ×3, first 2 shown]
	v_mov_b64_e32 v[6:7], s[28:29]
	v_mov_b64_e32 v[8:9], s[30:31]
	;; [unrolled: 1-line block ×3, first 2 shown]
	v_cmp_gt_i32_e32 vcc, s53, v27
	v_mov_b64_e32 v[4:5], v[8:9]
	s_and_saveexec_b64 s[2:3], vcc
	s_cbranch_execz .LBB533_28
; %bb.27:
	v_lshlrev_b32_e32 v2, 8, v27
	v_mov_b32_e32 v3, 0
	v_lshl_add_u64 v[4:5], s[0:1], 0, v[2:3]
	v_lshlrev_b32_e32 v2, 1, v18
	v_lshl_add_u64 v[10:11], v[4:5], 0, v[2:3]
	global_load_dwordx4 v[6:9], v[10:11], off
	global_load_dwordx4 v[2:5], v[10:11], off offset:128
.LBB533_28:
	s_or_b64 exec, exec, s[2:3]
	s_mov_b32 s29, s28
	s_mov_b32 s30, s28
	;; [unrolled: 1-line block ×3, first 2 shown]
	v_mov_b64_e32 v[14:15], s[28:29]
	v_mov_b64_e32 v[16:17], s[30:31]
	;; [unrolled: 1-line block ×3, first 2 shown]
	v_cmp_gt_i32_e32 vcc, s53, v19
	v_lshlrev_b32_e32 v20, 7, v19
	v_mov_b64_e32 v[12:13], v[16:17]
	s_and_saveexec_b64 s[2:3], vcc
	s_cbranch_execz .LBB533_30
; %bb.29:
	v_lshlrev_b32_e32 v10, 1, v20
	v_mov_b32_e32 v11, 0
	v_lshl_add_u64 v[12:13], s[0:1], 0, v[10:11]
	v_lshlrev_b32_e32 v10, 1, v18
	v_lshl_add_u64 v[22:23], v[12:13], 0, v[10:11]
	global_load_dwordx4 v[14:17], v[22:23], off
	global_load_dwordx4 v[10:13], v[22:23], off offset:128
.LBB533_30:
	s_or_b64 exec, exec, s[2:3]
	v_lshrrev_b32_e32 v21, 3, v18
	v_lshlrev_b32_e32 v22, 3, v27
	v_or_b32_e32 v21, v22, v21
	v_lshlrev_b32_e32 v21, 4, v21
	v_and_b32_e32 v22, 0x78, v22
	v_xor_b32_e32 v21, v21, v22
	s_branch .LBB533_33
.LBB533_31:
                                        ; implicit-def: $vgpr21
                                        ; implicit-def: $vgpr20
                                        ; implicit-def: $vgpr6_vgpr7_vgpr8_vgpr9
                                        ; implicit-def: $vgpr2_vgpr3_vgpr4_vgpr5
                                        ; implicit-def: $vgpr14_vgpr15_vgpr16_vgpr17
                                        ; implicit-def: $vgpr10_vgpr11_vgpr12_vgpr13
	s_cbranch_execz .LBB533_33
; %bb.32:
	s_waitcnt vmcnt(0)
	v_lshlrev_b32_e32 v2, 1, v18
	v_lshl_or_b32 v20, v27, 8, v2
	s_and_b32 s1, s1, 0xffff
	s_mov_b32 s3, 0x20000
	s_movk_i32 s2, 0x4000
	v_lshl_or_b32 v21, v19, 8, v2
	s_movk_i32 s14, 0x80
	buffer_load_dwordx4 v[6:9], v20, s[0:3], 0 offen
	buffer_load_dwordx4 v[2:5], v20, s[0:3], s14 offen
	;; [unrolled: 1-line block ×4, first 2 shown]
	v_lshrrev_b32_e32 v20, 3, v18
	v_lshlrev_b32_e32 v21, 3, v27
	v_or_b32_e32 v20, v21, v20
	v_lshlrev_b32_e32 v20, 4, v20
	v_and_b32_e32 v21, 0x78, v21
	v_xor_b32_e32 v21, v20, v21
	v_lshlrev_b32_e32 v20, 7, v19
.LBB533_33:
	s_lshl_b64 s[0:1], s[46:47], 8
	s_add_u32 s12, s12, s0
	s_movk_i32 s0, 0x1000
	v_and_or_b32 v19, v20, s0, v21
	s_waitcnt vmcnt(1)
	ds_write_b64 v21, v[6:7] offset:16384
	v_xor_b32_e32 v6, 8, v21
	ds_write_b64 v6, v[8:9] offset:16384
	s_waitcnt vmcnt(0)
	ds_write_b64 v21, v[2:3] offset:24576
	ds_write_b64 v6, v[4:5] offset:24576
	;; [unrolled: 1-line block ×3, first 2 shown]
	v_xor_b32_e32 v2, 8, v19
	ds_write_b64 v2, v[16:17] offset:16384
	ds_write_b64 v19, v[10:11] offset:24576
	;; [unrolled: 1-line block ×3, first 2 shown]
	v_or_b32_e32 v2, v60, v63
	v_lshlrev_b32_e32 v2, 3, v2
	v_lshrrev_b32_e32 v4, 5, v61
	s_movk_i32 s20, 0xf8
	v_and_or_b32 v4, v2, s20, v4
	v_lshlrev_b32_e32 v37, 11, v45
	v_lshlrev_b32_e32 v12, 4, v4
	v_and_b32_e32 v13, 0x78, v2
	v_and_b32_e32 v14, 0x1000, v37
	v_lshlrev_b32_e32 v3, 2, v0
	v_xor_b32_e32 v2, v12, v13
	v_lshrrev_b32_e32 v4, 1, v61
	v_and_b32_e32 v3, 60, v3
	v_or_b32_e32 v2, v2, v14
	v_and_b32_e32 v15, 8, v4
	v_xor_b32_e32 v28, v2, v15
	v_lshl_or_b32 v2, v62, 6, v3
	v_lshlrev_b32_e32 v38, 1, v2
	v_or_b32_e32 v2, 32, v12
	v_xor_b32_e32 v2, v2, v13
	s_waitcnt lgkmcnt(0)
	s_barrier
	ds_read_b64 v[10:11], v28 offset:16384
	v_or_b32_e32 v2, v2, v14
	v_xor_b32_e32 v29, v2, v15
	v_or_b32_e32 v2, 64, v12
	v_xor_b32_e32 v2, v2, v13
	v_or_b32_e32 v2, v2, v14
	v_or_b32_e32 v12, 0x60, v12
	v_xor_b32_e32 v30, v2, v15
	ds_read2st64_b64 v[2:5], v38 offset0:72 offset1:73
	ds_read2st64_b64 v[6:9], v38 offset0:74 offset1:75
	v_xor_b32_e32 v16, v12, v13
	ds_read_b64 v[12:13], v29 offset:16384
	s_waitcnt lgkmcnt(2)
	v_mfma_f32_16x16x16_bf16 a[0:3], v[10:11], v[2:3], 0
	s_addc_u32 s13, s13, s1
	s_add_i32 s22, s43, -1
	s_add_i32 s0, s51, s50
	s_add_i32 s45, s0, s52
	s_mul_i32 s0, s48, s27
	s_mul_hi_u32 s1, s48, s26
	s_ashr_i32 s2, s22, 31
	s_mul_i32 s3, s22, s11
	s_mul_hi_u32 s14, s22, s10
	s_add_i32 s0, s1, s0
	s_mul_i32 s1, s25, s26
	s_add_i32 s3, s14, s3
	s_mul_i32 s2, s2, s10
	v_or_b32_e32 v14, v16, v14
	s_add_i32 s1, s0, s1
	s_add_i32 s3, s3, s2
	s_lshl_b64 s[14:15], s[44:45], 2
	v_xor_b32_e32 v39, v14, v15
	ds_read_b64 v[14:15], v30 offset:16384
	ds_read_b64 v[16:17], v39 offset:16384
	s_waitcnt lgkmcnt(2)
	v_mfma_f32_16x16x16_bf16 a[0:3], v[12:13], v[4:5], a[0:3]
	s_mul_i32 s0, s48, s26
	s_add_u32 s14, s18, s14
	s_addc_u32 s15, s19, s15
	s_lshl_b64 s[0:1], s[0:1], 2
	s_mul_i32 s2, s22, s10
	s_add_u32 s18, s14, s0
	s_addc_u32 s19, s15, s1
	s_lshl_b64 s[0:1], s[2:3], 2
	s_waitcnt lgkmcnt(1)
	v_mfma_f32_16x16x16_bf16 a[0:3], v[14:15], v[6:7], a[0:3]
	s_add_u32 s0, s18, s0
	s_addc_u32 s1, s19, s1
	s_load_dword s20, s[0:1], 0x0
	s_waitcnt lgkmcnt(0)
	v_mfma_f32_16x16x16_bf16 a[0:3], v[16:17], v[8:9], a[0:3]
	s_and_b64 vcc, exec, s[38:39]
	s_cbranch_vccz .LBB533_44
; %bb.34:
	v_lshlrev_b32_e32 v19, 1, v27
	s_and_b64 vcc, exec, s[4:5]
	s_cbranch_vccz .LBB533_45
; %bb.35:
	v_cmp_gt_i32_e32 vcc, s53, v19
	v_mov_b32_e32 v6, 0
	v_mov_b32_e32 v2, 0
	;; [unrolled: 1-line block ×5, first 2 shown]
	s_and_saveexec_b64 s[0:1], vcc
	s_cbranch_execz .LBB533_37
; %bb.36:
	v_mad_i64_i32 v[2:3], s[2:3], s23, v19, 0
	v_lshl_add_u64 v[2:3], v[2:3], 1, s[12:13]
	v_lshlrev_b32_e32 v4, 1, v18
	v_mov_b32_e32 v5, 0
	v_lshl_add_u64 v[2:3], v[2:3], 0, v[4:5]
	global_load_dwordx4 v[2:5], v[2:3], off
.LBB533_37:
	s_or_b64 exec, exec, s[0:1]
	v_or_b32_e32 v20, 1, v19
	v_cmp_gt_i32_e64 s[0:1], s53, v20
	v_mov_b32_e32 v7, 0
	v_mov_b32_e32 v8, 0
	;; [unrolled: 1-line block ×3, first 2 shown]
	s_and_saveexec_b64 s[2:3], s[0:1]
	s_cbranch_execz .LBB533_39
; %bb.38:
	v_mad_i64_i32 v[6:7], s[14:15], s23, v20, 0
	v_lshl_add_u64 v[6:7], v[6:7], 1, s[12:13]
	v_lshlrev_b32_e32 v8, 1, v18
	v_mov_b32_e32 v9, 0
	v_lshl_add_u64 v[6:7], v[6:7], 0, v[8:9]
	global_load_dwordx4 v[6:9], v[6:7], off
.LBB533_39:
	s_or_b64 exec, exec, s[2:3]
	v_mov_b32_e32 v17, 0
	v_mov_b32_e32 v10, 0
	;; [unrolled: 1-line block ×5, first 2 shown]
	s_and_saveexec_b64 s[2:3], vcc
	s_cbranch_execz .LBB533_41
; %bb.40:
	v_mad_i64_i32 v[10:11], s[14:15], s23, v19, 0
	v_lshl_add_u64 v[10:11], v[10:11], 1, s[12:13]
	v_lshlrev_b32_e32 v12, 1, v18
	v_mov_b32_e32 v13, 0
	v_lshl_add_u64 v[10:11], v[10:11], 0, v[12:13]
	global_load_dwordx4 v[10:13], v[10:11], off offset:128
.LBB533_41:
	s_or_b64 exec, exec, s[2:3]
	v_mov_b32_e32 v16, 0
	v_mov_b32_e32 v15, 0
	;; [unrolled: 1-line block ×3, first 2 shown]
	s_and_saveexec_b64 s[2:3], s[0:1]
	s_cbranch_execz .LBB533_43
; %bb.42:
	v_mad_i64_i32 v[14:15], s[0:1], s23, v20, 0
	v_lshl_add_u64 v[14:15], v[14:15], 1, s[12:13]
	v_lshlrev_b32_e32 v16, 1, v18
	v_mov_b32_e32 v17, 0
	v_lshl_add_u64 v[14:15], v[14:15], 0, v[16:17]
	global_load_dwordx4 v[14:17], v[14:15], off offset:128
.LBB533_43:
	s_or_b64 exec, exec, s[2:3]
	s_branch .LBB533_47
.LBB533_44:
                                        ; implicit-def: $vgpr5
                                        ; implicit-def: $vgpr9
                                        ; implicit-def: $vgpr13
                                        ; implicit-def: $vgpr17
	v_lshrrev_b32_e32 v19, 2, v61
	s_branch .LBB533_48
.LBB533_45:
                                        ; implicit-def: $vgpr5
                                        ; implicit-def: $vgpr9
                                        ; implicit-def: $vgpr13
                                        ; implicit-def: $vgpr17
	s_cbranch_execz .LBB533_47
; %bb.46:
	s_waitcnt vmcnt(0)
	v_mad_u64_u32 v[2:3], s[0:1], v19, s23, v[18:19]
	v_lshlrev_b32_e32 v19, 1, v2
	s_lshl_b32 s2, s23, 7
	s_and_b32 s1, s13, 0xffff
	s_mov_b32 s3, 0x20000
	s_mov_b32 s0, s12
	v_add_lshl_u32 v20, v2, s23, 1
	s_movk_i32 s14, 0x80
	buffer_load_dwordx4 v[2:5], v19, s[0:3], 0 offen
	buffer_load_dwordx4 v[10:13], v19, s[0:3], s14 offen
	;; [unrolled: 1-line block ×4, first 2 shown]
.LBB533_47:
	v_lshrrev_b32_e32 v19, 2, v61
	s_cbranch_execnz .LBB533_60
.LBB533_48:
	s_and_b64 vcc, exec, s[4:5]
	s_cbranch_vccz .LBB533_58
; %bb.49:
	s_waitcnt vmcnt(0)
	v_lshlrev_b32_e32 v7, 1, v27
	v_cmp_gt_i32_e32 vcc, s53, v7
	v_mov_b32_e32 v6, 0
	v_lshlrev_b32_e32 v14, 9, v27
	v_mov_b32_e32 v2, 0
	v_mov_b32_e32 v3, 0
	;; [unrolled: 1-line block ×4, first 2 shown]
	s_and_saveexec_b64 s[0:1], vcc
	s_cbranch_execz .LBB533_51
; %bb.50:
	v_mov_b32_e32 v15, 0
	v_lshl_add_u64 v[2:3], s[12:13], 0, v[14:15]
	v_lshlrev_b32_e32 v4, 1, v18
	v_mov_b32_e32 v5, v15
	v_lshl_add_u64 v[2:3], v[2:3], 0, v[4:5]
	global_load_dwordx4 v[2:5], v[2:3], off
.LBB533_51:
	s_or_b64 exec, exec, s[0:1]
	v_or_b32_e32 v7, 1, v7
	v_cmp_gt_i32_e64 s[0:1], s53, v7
	v_lshlrev_b32_e32 v20, 8, v7
	v_mov_b32_e32 v7, 0
	v_mov_b32_e32 v8, 0
	;; [unrolled: 1-line block ×3, first 2 shown]
	s_and_saveexec_b64 s[2:3], s[0:1]
	s_cbranch_execz .LBB533_53
; %bb.52:
	v_mov_b32_e32 v21, 0
	v_lshl_add_u64 v[6:7], s[12:13], 0, v[20:21]
	v_lshlrev_b32_e32 v8, 1, v18
	v_mov_b32_e32 v9, v21
	v_lshl_add_u64 v[6:7], v[6:7], 0, v[8:9]
	global_load_dwordx4 v[6:9], v[6:7], off
.LBB533_53:
	s_or_b64 exec, exec, s[2:3]
	v_mov_b32_e32 v17, 0
	v_mov_b32_e32 v10, 0
	;; [unrolled: 1-line block ×5, first 2 shown]
	s_and_saveexec_b64 s[2:3], vcc
	s_cbranch_execz .LBB533_55
; %bb.54:
	v_mov_b32_e32 v15, 0
	v_lshl_add_u64 v[10:11], s[12:13], 0, v[14:15]
	v_lshlrev_b32_e32 v14, 1, v18
	v_lshl_add_u64 v[10:11], v[10:11], 0, v[14:15]
	global_load_dwordx4 v[10:13], v[10:11], off offset:128
.LBB533_55:
	s_or_b64 exec, exec, s[2:3]
	v_mov_b32_e32 v16, 0
	v_mov_b32_e32 v15, 0
	;; [unrolled: 1-line block ×3, first 2 shown]
	s_and_saveexec_b64 s[2:3], s[0:1]
	s_cbranch_execz .LBB533_57
; %bb.56:
	v_mov_b32_e32 v21, 0
	v_lshl_add_u64 v[14:15], s[12:13], 0, v[20:21]
	v_lshlrev_b32_e32 v20, 1, v18
	v_lshl_add_u64 v[14:15], v[14:15], 0, v[20:21]
	global_load_dwordx4 v[14:17], v[14:15], off offset:128
.LBB533_57:
	s_or_b64 exec, exec, s[2:3]
	s_branch .LBB533_60
.LBB533_58:
                                        ; implicit-def: $vgpr5
                                        ; implicit-def: $vgpr9
                                        ; implicit-def: $vgpr13
                                        ; implicit-def: $vgpr17
	s_cbranch_execz .LBB533_60
; %bb.59:
	s_waitcnt vmcnt(0)
	v_lshlrev_b32_e32 v2, 1, v18
	v_lshl_or_b32 v18, v27, 9, v2
	s_and_b32 s13, s13, 0xffff
	s_mov_b32 s15, 0x20000
	s_movk_i32 s14, 0x4000
	s_movk_i32 s0, 0x80
	buffer_load_dwordx4 v[2:5], v18, s[12:15], 0 offen
	buffer_load_dwordx4 v[6:9], v18, s[12:15], 0 offen offset:256
	buffer_load_dwordx4 v[10:13], v18, s[12:15], s0 offen
	buffer_load_dwordx4 v[14:17], v18, s[12:15], s0 offen offset:256
.LBB533_60:
	v_and_b32_e32 v40, 12, v19
	ds_read2st64_b64 v[22:25], v38 offset0:76 offset1:77
	ds_read2st64_b64 v[18:21], v38 offset0:78 offset1:79
	ds_read_b64 v[34:35], v28 offset:24576
	ds_read_b64 v[32:33], v29 offset:24576
	;; [unrolled: 1-line block ×4, first 2 shown]
	v_and_b32_e32 v39, 6, v0
	v_xor_b32_e32 v27, v27, v39
	v_lshlrev_b32_e32 v27, 2, v27
	v_and_b32_e32 v41, 1, v0
	v_xor_b32_e32 v42, 0x440, v27
	v_cmp_eq_u32_e32 vcc, 0, v41
	s_mov_b32 s0, 0x1000504
	s_waitcnt vmcnt(0)
	v_perm_b32 v41, v10, v14, s0
	v_cndmask_b32_e32 v27, v42, v27, vcc
	v_lshl_or_b32 v27, v39, 10, v27
	v_perm_b32 v39, v2, v6, s0
	ds_write2st64_b32 v27, v39, v41 offset1:32
	v_xor_b32_e32 v39, 8, v27
	s_mov_b32 s1, 0x3020706
	v_perm_b32 v2, v2, v6, s1
	v_perm_b32 v6, v10, v14, s1
	v_add_u32_e32 v10, 0x80, v39
	ds_write2st64_b32 v10, v2, v6 offset1:32
	v_xor_b32_e32 v2, 16, v27
	v_perm_b32 v6, v3, v7, s0
	v_perm_b32 v10, v11, v15, s0
	ds_write2st64_b32 v2, v6, v10 offset0:1 offset1:33
	v_xor_b32_e32 v2, 24, v27
	v_perm_b32 v3, v3, v7, s1
	v_perm_b32 v6, v11, v15, s1
	v_add_u32_e32 v2, 0x80, v2
	ds_write2st64_b32 v2, v3, v6 offset0:1 offset1:33
	v_xor_b32_e32 v2, 32, v27
	v_perm_b32 v3, v4, v8, s0
	v_perm_b32 v6, v12, v16, s0
	ds_write2st64_b32 v2, v3, v6 offset0:2 offset1:34
	v_xor_b32_e32 v2, 40, v27
	v_perm_b32 v3, v4, v8, s1
	v_perm_b32 v4, v12, v16, s1
	v_add_u32_e32 v2, 0x80, v2
	ds_write2st64_b32 v2, v3, v4 offset0:2 offset1:34
	v_xor_b32_e32 v2, 48, v27
	v_perm_b32 v3, v5, v9, s0
	v_perm_b32 v4, v13, v17, s0
	ds_write2st64_b32 v2, v3, v4 offset0:3 offset1:35
	v_xor_b32_e32 v2, 56, v27
	v_or_b32_e32 v10, v40, v60
	v_perm_b32 v3, v5, v9, s1
	v_perm_b32 v4, v13, v17, s1
	v_add_u32_e32 v2, 0x80, v2
	v_cmp_gt_i32_e64 s[2:3], s53, v10
	v_mov_b32_e32 v12, 0
	v_mov_b32_e32 v17, 0
	ds_write2st64_b32 v2, v3, v4 offset0:3 offset1:35
	s_and_saveexec_b64 s[0:1], s[2:3]
	s_cbranch_execz .LBB533_62
; %bb.61:
	v_add_u32_e32 v2, s24, v10
	v_ashrrev_i32_e32 v3, 31, v2
	v_mul_lo_u32 v4, v3, s10
	v_mul_lo_u32 v5, v2, s11
	v_mad_u64_u32 v[2:3], s[4:5], v2, s10, 0
	v_add3_u32 v3, v3, v5, v4
	v_lshl_add_u64 v[2:3], v[2:3], 2, s[18:19]
	global_load_dword v2, v[2:3], off
	s_waitcnt vmcnt(0)
	v_sub_f32_e32 v2, s20, v2
	v_exp_f32_e32 v17, v2
.LBB533_62:
	s_or_b64 exec, exec, s[0:1]
	v_or_b32_e32 v15, 1, v10
	v_cmp_gt_i32_e64 s[4:5], s53, v15
	s_and_saveexec_b64 s[0:1], s[4:5]
	s_cbranch_execz .LBB533_64
; %bb.63:
	v_add_u32_e32 v2, s24, v15
	v_ashrrev_i32_e32 v3, 31, v2
	v_mul_lo_u32 v4, v3, s10
	v_mul_lo_u32 v5, v2, s11
	v_mad_u64_u32 v[2:3], s[12:13], v2, s10, 0
	v_add3_u32 v3, v3, v5, v4
	v_lshl_add_u64 v[2:3], v[2:3], 2, s[18:19]
	global_load_dword v2, v[2:3], off
	s_waitcnt vmcnt(0)
	v_sub_f32_e32 v2, s20, v2
	v_exp_f32_e32 v12, v2
.LBB533_64:
	s_or_b64 exec, exec, s[0:1]
	v_or_b32_e32 v14, 2, v10
	v_cmp_gt_i32_e64 s[0:1], s53, v14
	v_mov_b32_e32 v11, 0
	v_mov_b32_e32 v16, 0
	s_and_saveexec_b64 s[12:13], s[0:1]
	s_cbranch_execz .LBB533_66
; %bb.65:
	v_add_u32_e32 v2, s24, v14
	v_ashrrev_i32_e32 v3, 31, v2
	v_mul_lo_u32 v4, v3, s10
	v_mul_lo_u32 v5, v2, s11
	v_mad_u64_u32 v[2:3], s[14:15], v2, s10, 0
	v_add3_u32 v3, v3, v5, v4
	v_lshl_add_u64 v[2:3], v[2:3], 2, s[18:19]
	global_load_dword v2, v[2:3], off
	s_waitcnt vmcnt(0)
	v_sub_f32_e32 v2, s20, v2
	v_exp_f32_e32 v16, v2
.LBB533_66:
	s_or_b64 exec, exec, s[12:13]
	v_or_b32_e32 v13, 3, v10
	v_cmp_gt_i32_e32 vcc, s53, v13
	s_and_saveexec_b64 s[12:13], vcc
	s_cbranch_execz .LBB533_68
; %bb.67:
	v_add_u32_e32 v2, s24, v13
	v_ashrrev_i32_e32 v3, 31, v2
	v_mul_lo_u32 v4, v3, s10
	v_mul_lo_u32 v5, v2, s11
	v_mad_u64_u32 v[2:3], s[10:11], v2, s10, 0
	v_add3_u32 v3, v3, v5, v4
	v_lshl_add_u64 v[2:3], v[2:3], 2, s[18:19]
	global_load_dword v2, v[2:3], off
	s_waitcnt vmcnt(0)
	v_sub_f32_e32 v2, s20, v2
	v_exp_f32_e32 v11, v2
.LBB533_68:
	s_or_b64 exec, exec, s[12:13]
	s_waitcnt lgkmcnt(11)
	v_mfma_f32_16x16x16_bf16 a[0:3], v[34:35], v[22:23], a[0:3]
	s_add_u32 s10, s16, s36
	s_addc_u32 s11, s17, s37
	v_ashrrev_i32_e32 v27, 31, v26
	s_waitcnt lgkmcnt(10)
	v_mfma_f32_16x16x16_bf16 a[0:3], v[32:33], v[24:25], a[0:3]
	s_add_u32 s6, s6, s36
	v_lshlrev_b64 v[2:3], 1, v[26:27]
	s_addc_u32 s7, s7, s37
	s_waitcnt lgkmcnt(9)
	v_mfma_f32_16x16x16_bf16 a[0:3], v[30:31], v[18:19], a[0:3]
	v_lshl_add_u64 v[6:7], s[10:11], 0, v[2:3]
	v_lshl_add_u64 v[8:9], s[6:7], 0, v[2:3]
	v_mov_b32_e32 v18, 0
	s_waitcnt lgkmcnt(8)
	v_mfma_f32_16x16x16_bf16 a[0:3], v[28:29], v[20:21], a[0:3]
	v_mov_b32_e32 v19, 0
	s_nop 5
	v_accvgpr_read_b32 v5, a3
	v_accvgpr_read_b32 v4, a2
	;; [unrolled: 1-line block ×4, first 2 shown]
	s_and_saveexec_b64 s[6:7], s[2:3]
	s_cbranch_execz .LBB533_70
; %bb.69:
	v_lshlrev_b32_e32 v20, 8, v10
	v_mov_b32_e32 v21, 0
	v_lshl_add_u64 v[22:23], v[6:7], 0, v[20:21]
	global_load_ushort v19, v[22:23], off
	v_lshl_add_u64 v[20:21], v[8:9], 0, v[20:21]
	s_waitcnt vmcnt(0)
	v_lshlrev_b32_e32 v19, 16, v19
	v_sub_f32_e32 v2, v19, v2
	global_store_short_d16_hi v[20:21], v2, off
	v_mul_f32_e32 v2, v17, v2
	v_lshrrev_b32_e32 v19, 16, v2
.LBB533_70:
	s_or_b64 exec, exec, s[6:7]
	s_and_saveexec_b64 s[2:3], s[4:5]
	s_cbranch_execz .LBB533_72
; %bb.71:
	v_lshlrev_b32_e32 v20, 8, v15
	v_mov_b32_e32 v21, 0
	v_lshl_add_u64 v[22:23], v[6:7], 0, v[20:21]
	global_load_ushort v2, v[22:23], off
	v_lshl_add_u64 v[20:21], v[8:9], 0, v[20:21]
	s_waitcnt vmcnt(0)
	v_lshlrev_b32_e32 v2, 16, v2
	v_sub_f32_e32 v2, v2, v3
	global_store_short_d16_hi v[20:21], v2, off
	v_mul_f32_e32 v2, v12, v2
	v_lshrrev_b32_e32 v18, 16, v2
.LBB533_72:
	s_or_b64 exec, exec, s[2:3]
	v_mov_b32_e32 v3, 0
	v_mov_b32_e32 v12, 0
	s_and_saveexec_b64 s[2:3], s[0:1]
	s_cbranch_execz .LBB533_74
; %bb.73:
	v_lshlrev_b32_e32 v14, 8, v14
	v_mov_b32_e32 v15, 0
	v_lshl_add_u64 v[20:21], v[6:7], 0, v[14:15]
	global_load_ushort v2, v[20:21], off
	v_lshl_add_u64 v[14:15], v[8:9], 0, v[14:15]
	s_waitcnt vmcnt(0)
	v_lshlrev_b32_e32 v2, 16, v2
	v_sub_f32_e32 v2, v2, v4
	global_store_short_d16_hi v[14:15], v2, off
	v_mul_f32_e32 v2, v16, v2
	v_lshrrev_b32_e32 v12, 16, v2
.LBB533_74:
	s_or_b64 exec, exec, s[2:3]
	v_or_b32_e32 v2, 0x9800, v38
	s_and_saveexec_b64 s[0:1], vcc
	s_cbranch_execz .LBB533_76
; %bb.75:
	v_lshlrev_b32_e32 v14, 8, v13
	v_mov_b32_e32 v15, 0
	v_lshl_add_u64 v[6:7], v[6:7], 0, v[14:15]
	global_load_ushort v3, v[6:7], off
	v_lshl_add_u64 v[6:7], v[8:9], 0, v[14:15]
	s_waitcnt vmcnt(0)
	v_lshlrev_b32_e32 v3, 16, v3
	v_sub_f32_e32 v3, v3, v5
	global_store_short_d16_hi v[6:7], v3, off
	v_mul_f32_e32 v3, v11, v3
	v_lshrrev_b32_e32 v3, 16, v3
.LBB533_76:
	s_or_b64 exec, exec, s[0:1]
	s_mov_b32 s0, 0x5040100
	v_perm_b32 v5, v3, v12, s0
	v_lshlrev_b32_e32 v3, 1, v36
	v_perm_b32 v4, v18, v19, s0
	v_lshl_or_b32 v3, v10, 5, v3
	s_movk_i32 s2, 0xff
	ds_write_b64 v3, v[4:5] offset:38912
	v_and_b32_e32 v3, 7, v0
	v_cmp_lt_u32_e32 vcc, s2, v0
	v_and_b32_e32 v4, 8, v0
	v_lshlrev_b32_e32 v11, 3, v3
	v_lshlrev_b32_e32 v20, 7, v3
	v_cndmask_b32_e64 v3, 0, 1, vcc
	v_lshrrev_b32_e32 v0, 1, v0
	v_lshlrev_b32_e32 v16, 13, v3
	v_lshlrev_b32_e32 v3, 3, v45
	v_and_b32_e32 v0, 24, v0
	v_xor_b32_e32 v5, v3, v0
	v_or_b32_e32 v6, 0x440, v5
	v_cmp_eq_u32_e32 vcc, 0, v4
	s_waitcnt lgkmcnt(0)
	s_barrier
	v_cndmask_b32_e32 v4, v6, v5, vcc
	v_or_b32_e32 v4, v4, v37
	v_xor_b32_e32 v21, v4, v11
	v_or_b32_e32 v4, 32, v0
	v_xor_b32_e32 v4, v3, v4
	v_or_b32_e32 v5, 0x440, v4
	v_cndmask_b32_e32 v4, v5, v4, vcc
	v_or_b32_e32 v4, v4, v37
	v_xor_b32_e32 v22, v4, v11
	v_or_b32_e32 v4, 64, v0
	v_xor_b32_e32 v4, v3, v4
	v_xor_b32_e32 v5, 0x440, v4
	v_cndmask_b32_e32 v4, v5, v4, vcc
	v_add3_u32 v8, v16, v21, v20
	v_or_b32_e32 v4, v4, v37
	v_or_b32_e32 v0, 0x60, v0
	v_xor_b32_e32 v23, v4, v11
	ds_read2st64_b64 v[4:7], v2 offset1:1
	ds_read2st64_b64 v[12:15], v2 offset0:2 offset1:3
	v_xor_b32_e32 v0, v3, v0
	ds_read_b64 v[2:3], v8
	v_add3_u32 v9, v16, v22, v20
	v_xor_b32_e32 v8, 0x440, v0
	v_cndmask_b32_e32 v0, v8, v0, vcc
	ds_read_b64 v[8:9], v9
	s_mul_i32 s0, s22, s21
	s_mul_hi_i32 s1, s22, s21
	s_add_u32 s0, s0, s48
	s_waitcnt lgkmcnt(1)
	v_mfma_f32_16x16x16_bf16 a[0:3], v[2:3], v[4:5], 0
	s_addc_u32 s1, s1, s25
	v_or_b32_e32 v0, v0, v37
	s_lshl_b64 s[0:1], s[0:1], 9
	v_xor_b32_e32 v0, v0, v11
	s_add_u32 s0, s40, s0
	v_add3_u32 v17, v16, v23, v20
	v_add3_u32 v11, v16, v0, v20
	s_addc_u32 s1, s41, s1
	v_lshlrev_b32_e32 v2, 2, v10
	ds_read_b64 v[16:17], v17
	ds_read_b64 v[18:19], v11
	s_waitcnt lgkmcnt(2)
	v_mfma_f32_16x16x16_bf16 a[0:3], v[8:9], v[6:7], a[0:3]
	global_load_dwordx4 v[8:11], v2, s[0:1]
	v_add_u32_e32 v2, v21, v20
	ds_read_b64 v[2:3], v2 offset:8192
	s_waitcnt lgkmcnt(2)
	v_mfma_f32_16x16x16_bf16 a[0:3], v[16:17], v[12:13], a[0:3]
	v_lshlrev_b32_e32 v16, 6, v45
	v_lshlrev_b32_e32 v17, 2, v40
	s_movk_i32 s2, 0x100
	v_or3_b32 v24, v16, v17, s2
	v_add_u32_e32 v16, v22, v20
	v_add_u32_e32 v21, v23, v20
	;; [unrolled: 1-line block ×3, first 2 shown]
	ds_read_b64 v[16:17], v16 offset:8192
	ds_read_b64 v[20:21], v21 offset:8192
	;; [unrolled: 1-line block ×3, first 2 shown]
	s_waitcnt lgkmcnt(3)
	v_mfma_f32_16x16x16_bf16 a[4:7], v[2:3], v[4:5], 0
	global_load_dwordx4 v[2:5], v24, s[0:1]
	v_exp_f32_e32 v0, s20
	s_waitcnt vmcnt(1)
	v_exp_f32_e32 v8, v8
	v_mfma_f32_16x16x16_bf16 a[0:3], v[18:19], v[14:15], a[0:3]
	v_exp_f32_e32 v9, v9
	v_exp_f32_e32 v10, v10
	;; [unrolled: 1-line block ×3, first 2 shown]
	v_pk_mul_f32 v[8:9], v[0:1], v[8:9] op_sel_hi:[0,1]
	v_pk_mul_f32 v[10:11], v[0:1], v[10:11] op_sel_hi:[0,1]
	s_nop 1
	v_accvgpr_read_b32 v25, a1
	v_accvgpr_read_b32 v19, a3
	;; [unrolled: 1-line block ×4, first 2 shown]
	s_waitcnt lgkmcnt(2)
	v_mfma_f32_16x16x16_bf16 a[0:3], v[16:17], v[6:7], a[4:7]
	s_waitcnt vmcnt(0)
	v_mov_b32_e32 v6, v5
	v_mov_b32_e32 v5, v4
	;; [unrolled: 1-line block ×3, first 2 shown]
	s_waitcnt lgkmcnt(1)
	v_mfma_f32_16x16x16_bf16 a[0:3], v[20:21], v[12:13], a[0:3]
	v_exp_f32_e32 v2, v2
	v_exp_f32_e32 v3, v4
	;; [unrolled: 1-line block ×3, first 2 shown]
	s_waitcnt lgkmcnt(0)
	v_mfma_f32_16x16x16_bf16 a[0:3], v[22:23], v[14:15], a[0:3]
	v_exp_f32_e32 v5, v6
	v_pk_fma_f32 v[46:47], v[46:47], v[8:9], v[24:25]
	v_pk_mul_f32 v[2:3], v[0:1], v[2:3] op_sel_hi:[0,1]
	v_pk_fma_f32 v[52:53], v[52:53], v[10:11], v[18:19]
	s_nop 2
	v_accvgpr_read_b32 v9, a1
	v_accvgpr_read_b32 v8, a0
	;; [unrolled: 1-line block ×4, first 2 shown]
	v_pk_fma_f32 v[50:51], v[50:51], v[2:3], v[8:9]
	v_pk_mul_f32 v[2:3], v[0:1], v[4:5] op_sel_hi:[0,1]
	v_pk_fma_f32 v[48:49], v[48:49], v[2:3], v[6:7]
	v_mov_b32_e32 v2, v26
.LBB533_77:
	s_mul_i32 s0, s49, s35
	s_mul_hi_u32 s1, s49, s34
	s_add_i32 s0, s1, s0
	s_mul_i32 s1, s33, s34
	s_add_i32 s1, s0, s1
	s_mul_i32 s0, s49, s34
	s_add_u32 s0, s0, s48
	s_addc_u32 s1, s1, s25
	s_lshl_b64 s[0:1], s[0:1], 15
	s_add_u32 s0, s8, s0
	v_lshlrev_b32_e32 v2, 7, v2
	s_addc_u32 s1, s9, s1
	v_ashrrev_i32_e32 v3, 31, v2
	v_lshl_add_u64 v[2:3], v[2:3], 1, s[0:1]
	v_lshlrev_b32_e32 v0, 1, v1
	v_mov_b32_e32 v1, 0
	s_mov_b32 s0, 0x7060302
	v_lshl_add_u64 v[0:1], v[2:3], 0, v[0:1]
	v_perm_b32 v3, v53, v52, s0
	v_perm_b32 v2, v47, v46, s0
	global_store_dwordx2 v[0:1], v[2:3], off
	v_perm_b32 v3, v49, v48, s0
	v_perm_b32 v2, v51, v50, s0
	global_store_dwordx2 v[0:1], v[2:3], off offset:128
	s_endpgm
	.section	.rodata,"a",@progbits
	.p2align	6, 0x0
	.amdhsa_kernel _ZN12_GLOBAL__N_139chunk_gated_delta_rule_fwd_h_hip_kernelILi16ELb0ELb1ELb1ELb1ELb1ELb1ELb0ELb1EEEvPK12hip_bfloat16S3_S3_PKfS5_PKvPS1_S8_PvPKiSB_iiiiilll
		.amdhsa_group_segment_fixed_size 40960
		.amdhsa_private_segment_fixed_size 0
		.amdhsa_kernarg_size 136
		.amdhsa_user_sgpr_count 2
		.amdhsa_user_sgpr_dispatch_ptr 0
		.amdhsa_user_sgpr_queue_ptr 0
		.amdhsa_user_sgpr_kernarg_segment_ptr 1
		.amdhsa_user_sgpr_dispatch_id 0
		.amdhsa_user_sgpr_kernarg_preload_length 0
		.amdhsa_user_sgpr_kernarg_preload_offset 0
		.amdhsa_user_sgpr_private_segment_size 0
		.amdhsa_uses_dynamic_stack 0
		.amdhsa_enable_private_segment 0
		.amdhsa_system_sgpr_workgroup_id_x 1
		.amdhsa_system_sgpr_workgroup_id_y 1
		.amdhsa_system_sgpr_workgroup_id_z 0
		.amdhsa_system_sgpr_workgroup_info 0
		.amdhsa_system_vgpr_workitem_id 0
		.amdhsa_next_free_vgpr 128
		.amdhsa_next_free_sgpr 70
		.amdhsa_accum_offset 116
		.amdhsa_reserve_vcc 1
		.amdhsa_float_round_mode_32 0
		.amdhsa_float_round_mode_16_64 0
		.amdhsa_float_denorm_mode_32 3
		.amdhsa_float_denorm_mode_16_64 3
		.amdhsa_dx10_clamp 1
		.amdhsa_ieee_mode 1
		.amdhsa_fp16_overflow 0
		.amdhsa_tg_split 0
		.amdhsa_exception_fp_ieee_invalid_op 0
		.amdhsa_exception_fp_denorm_src 0
		.amdhsa_exception_fp_ieee_div_zero 0
		.amdhsa_exception_fp_ieee_overflow 0
		.amdhsa_exception_fp_ieee_underflow 0
		.amdhsa_exception_fp_ieee_inexact 0
		.amdhsa_exception_int_div_zero 0
	.end_amdhsa_kernel
	.section	.text._ZN12_GLOBAL__N_139chunk_gated_delta_rule_fwd_h_hip_kernelILi16ELb0ELb1ELb1ELb1ELb1ELb1ELb0ELb1EEEvPK12hip_bfloat16S3_S3_PKfS5_PKvPS1_S8_PvPKiSB_iiiiilll,"axG",@progbits,_ZN12_GLOBAL__N_139chunk_gated_delta_rule_fwd_h_hip_kernelILi16ELb0ELb1ELb1ELb1ELb1ELb1ELb0ELb1EEEvPK12hip_bfloat16S3_S3_PKfS5_PKvPS1_S8_PvPKiSB_iiiiilll,comdat
.Lfunc_end533:
	.size	_ZN12_GLOBAL__N_139chunk_gated_delta_rule_fwd_h_hip_kernelILi16ELb0ELb1ELb1ELb1ELb1ELb1ELb0ELb1EEEvPK12hip_bfloat16S3_S3_PKfS5_PKvPS1_S8_PvPKiSB_iiiiilll, .Lfunc_end533-_ZN12_GLOBAL__N_139chunk_gated_delta_rule_fwd_h_hip_kernelILi16ELb0ELb1ELb1ELb1ELb1ELb1ELb0ELb1EEEvPK12hip_bfloat16S3_S3_PKfS5_PKvPS1_S8_PvPKiSB_iiiiilll
                                        ; -- End function
	.section	.AMDGPU.csdata,"",@progbits
; Kernel info:
; codeLenInByte = 8120
; NumSgprs: 76
; NumVgprs: 114
; NumAgprs: 12
; TotalNumVgprs: 128
; ScratchSize: 0
; MemoryBound: 0
; FloatMode: 240
; IeeeMode: 1
; LDSByteSize: 40960 bytes/workgroup (compile time only)
; SGPRBlocks: 9
; VGPRBlocks: 15
; NumSGPRsForWavesPerEU: 76
; NumVGPRsForWavesPerEU: 128
; AccumOffset: 116
; Occupancy: 1
; WaveLimiterHint : 1
; COMPUTE_PGM_RSRC2:SCRATCH_EN: 0
; COMPUTE_PGM_RSRC2:USER_SGPR: 2
; COMPUTE_PGM_RSRC2:TRAP_HANDLER: 0
; COMPUTE_PGM_RSRC2:TGID_X_EN: 1
; COMPUTE_PGM_RSRC2:TGID_Y_EN: 1
; COMPUTE_PGM_RSRC2:TGID_Z_EN: 0
; COMPUTE_PGM_RSRC2:TIDIG_COMP_CNT: 0
; COMPUTE_PGM_RSRC3_GFX90A:ACCUM_OFFSET: 28
; COMPUTE_PGM_RSRC3_GFX90A:TG_SPLIT: 0
	.section	.text._ZN12_GLOBAL__N_139chunk_gated_delta_rule_fwd_h_hip_kernelILi16ELb0ELb1ELb0ELb1ELb1ELb1ELb0ELb1EEEvPK12hip_bfloat16S3_S3_PKfS5_PKvPS1_S8_PvPKiSB_iiiiilll,"axG",@progbits,_ZN12_GLOBAL__N_139chunk_gated_delta_rule_fwd_h_hip_kernelILi16ELb0ELb1ELb0ELb1ELb1ELb1ELb0ELb1EEEvPK12hip_bfloat16S3_S3_PKfS5_PKvPS1_S8_PvPKiSB_iiiiilll,comdat
	.globl	_ZN12_GLOBAL__N_139chunk_gated_delta_rule_fwd_h_hip_kernelILi16ELb0ELb1ELb0ELb1ELb1ELb1ELb0ELb1EEEvPK12hip_bfloat16S3_S3_PKfS5_PKvPS1_S8_PvPKiSB_iiiiilll ; -- Begin function _ZN12_GLOBAL__N_139chunk_gated_delta_rule_fwd_h_hip_kernelILi16ELb0ELb1ELb0ELb1ELb1ELb1ELb0ELb1EEEvPK12hip_bfloat16S3_S3_PKfS5_PKvPS1_S8_PvPKiSB_iiiiilll
	.p2align	8
	.type	_ZN12_GLOBAL__N_139chunk_gated_delta_rule_fwd_h_hip_kernelILi16ELb0ELb1ELb0ELb1ELb1ELb1ELb0ELb1EEEvPK12hip_bfloat16S3_S3_PKfS5_PKvPS1_S8_PvPKiSB_iiiiilll,@function
_ZN12_GLOBAL__N_139chunk_gated_delta_rule_fwd_h_hip_kernelILi16ELb0ELb1ELb0ELb1ELb1ELb1ELb0ELb1EEEvPK12hip_bfloat16S3_S3_PKfS5_PKvPS1_S8_PvPKiSB_iiiiilll: ; @_ZN12_GLOBAL__N_139chunk_gated_delta_rule_fwd_h_hip_kernelILi16ELb0ELb1ELb0ELb1ELb1ELb1ELb0ELb1EEEvPK12hip_bfloat16S3_S3_PKfS5_PKvPS1_S8_PvPKiSB_iiiiilll
; %bb.0:
	s_load_dwordx4 s[16:19], s[0:1], 0x5c
	s_load_dwordx4 s[20:23], s[0:1], 0x70
	s_abs_i32 s27, s3
	s_ashr_i32 s26, s3, 31
	s_load_dwordx8 s[4:11], s[0:1], 0x0
	s_load_dwordx2 s[36:37], s[0:1], 0x20
	s_load_dwordx2 s[42:43], s[0:1], 0x30
	s_waitcnt lgkmcnt(0)
	s_abs_i32 s28, s17
	v_cvt_f32_u32_e32 v1, s28
	s_sub_i32 s29, 0, s28
	s_ashr_i32 s33, s17, 31
	s_xor_b32 s26, s26, s33
	v_rcp_iflag_f32_e32 v1, v1
	s_load_dwordx4 s[12:15], s[0:1], 0x40
	s_load_dwordx2 s[24:25], s[0:1], 0x50
	v_lshrrev_b32_e32 v45, 6, v0
	v_bfe_u32 v60, v0, 4, 2
	v_mul_f32_e32 v1, 0x4f7ffffe, v1
	v_cvt_u32_f32_e32 v1, v1
	v_lshlrev_b32_e32 v58, 4, v45
	v_lshlrev_b32_e32 v2, 2, v60
	v_and_b32_e32 v59, 63, v0
	v_readfirstlane_b32 s30, v1
	s_mul_i32 s29, s29, s30
	s_mul_hi_u32 s29, s30, s29
	s_add_i32 s30, s30, s29
	s_mul_hi_u32 s29, s27, s30
	s_mul_i32 s30, s29, s28
	s_sub_i32 s27, s27, s30
	s_add_i32 s30, s29, 1
	s_sub_i32 s31, s27, s28
	s_cmp_ge_u32 s27, s28
	s_cselect_b32 s29, s30, s29
	s_cselect_b32 s27, s31, s27
	s_add_i32 s30, s29, 1
	s_cmp_ge_u32 s27, s28
	s_cselect_b32 s27, s30, s29
	s_xor_b32 s27, s27, s26
	s_sub_i32 s34, s27, s26
	s_mul_i32 s26, s34, s17
	s_ashr_i32 s35, s34, 31
	s_sub_i32 s46, s3, s26
	s_lshl_b64 s[26:27], s[34:35], 2
	s_waitcnt lgkmcnt(0)
	s_add_u32 s14, s14, s26
	s_addc_u32 s15, s15, s27
	s_add_u32 s24, s24, s26
	s_addc_u32 s25, s25, s27
	s_abs_i32 s3, s18
	v_cvt_f32_u32_e32 v1, s3
	s_load_dwordx2 s[38:39], s[14:15], 0x0
	s_sub_i32 s15, 0, s3
	s_load_dword s53, s[24:25], 0x0
	v_rcp_iflag_f32_e32 v1, v1
	v_mov_b32_e32 v49, 0
	s_waitcnt lgkmcnt(0)
	s_sub_i32 s51, s39, s38
	s_ashr_i32 s14, s51, 31
	v_mul_f32_e32 v1, 0x4f7ffffe, v1
	v_cvt_u32_f32_e32 v1, v1
	s_lshr_b32 s14, s14, 26
	s_add_i32 s14, s51, s14
	s_ashr_i32 s52, s14, 6
	v_readfirstlane_b32 s26, v1
	s_mul_i32 s15, s15, s26
	s_mul_hi_u32 s15, s26, s15
	s_add_i32 s26, s26, s15
	s_mul_hi_u32 s15, s28, s26
	s_mul_i32 s26, s15, s3
	s_ashr_i32 s14, s18, 31
	s_sub_i32 s26, s28, s26
	s_xor_b32 s14, s33, s14
	s_add_i32 s27, s15, 1
	s_sub_i32 s28, s26, s3
	s_cmp_ge_u32 s26, s3
	s_cselect_b32 s15, s27, s15
	s_cselect_b32 s26, s28, s26
	s_add_i32 s27, s15, 1
	s_cmp_ge_u32 s26, s3
	s_cselect_b32 s3, s27, s15
	s_xor_b32 s3, s3, s14
	s_sub_i32 s3, s3, s14
	s_abs_i32 s26, s3
	v_cvt_f32_u32_e32 v1, s26
	s_load_dwordx2 s[14:15], s[0:1], 0x80
	s_xor_b32 s0, s46, s3
	s_sub_i32 s3, 0, s26
	v_rcp_iflag_f32_e32 v1, v1
	s_abs_i32 s1, s46
	s_ashr_i32 s0, s0, 31
	s_mov_b32 s47, s17
	v_mul_f32_e32 v1, 0x4f7ffffe, v1
	v_cvt_u32_f32_e32 v1, v1
	v_and_b32_e32 v61, 15, v0
	s_mul_hi_i32 s54, s46, s16
	s_mul_i32 s55, s46, s16
	v_readfirstlane_b32 s24, v1
	s_mul_i32 s3, s3, s24
	s_mul_hi_u32 s3, s24, s3
	s_add_i32 s24, s24, s3
	s_mul_hi_u32 s3, s1, s24
	s_mul_i32 s24, s3, s26
	s_sub_i32 s1, s1, s24
	s_add_i32 s24, s3, 1
	s_sub_i32 s25, s1, s26
	s_cmp_ge_u32 s1, s26
	s_cselect_b32 s3, s24, s3
	s_cselect_b32 s1, s25, s1
	s_add_i32 s24, s3, 1
	s_cmp_ge_u32 s1, s26
	s_cselect_b32 s1, s24, s3
	s_xor_b32 s1, s1, s0
	s_sub_i32 s56, s1, s0
	v_or_b32_e32 v1, v2, v58
	s_lshl_b32 s2, s2, 4
	v_or_b32_e32 v64, 64, v1
	s_cmp_lt_i32 s51, 64
	v_lshrrev_b32_e32 v63, 3, v59
	v_lshlrev_b32_e32 v62, 3, v0
	s_mul_i32 s48, s34, s21
	s_mul_hi_u32 s49, s34, s20
	s_mul_i32 s50, s35, s20
	s_mul_i32 s40, s34, s20
	v_mov_b32_e32 v48, v49
	v_mov_b32_e32 v51, v49
	;; [unrolled: 1-line block ×7, first 2 shown]
	s_cbranch_scc1 .LBB534_18
; %bb.1:
	s_ashr_i32 s58, s46, 31
	s_ashr_i32 s1, s38, 31
	s_add_u32 s0, s55, s38
	s_addc_u32 s1, s54, s1
	s_lshl_b64 s[0:1], s[0:1], 8
	v_and_b32_e32 v66, 56, v62
	s_add_u32 s24, s6, s0
	v_lshl_or_b32 v65, v45, 3, v63
	v_lshlrev_b32_e32 v3, 1, v66
	s_addc_u32 s0, s7, s1
	v_lshl_or_b32 v67, v65, 8, v3
	s_and_b32 s25, s0, 0xffff
	s_mov_b32 s27, 0x20000
	s_movk_i32 s26, 0x4000
	s_movk_i32 s0, 0x80
	v_or_b32_e32 v68, 0x2000, v67
	buffer_load_dwordx4 v[4:7], v67, s[24:27], 0 offen
	buffer_load_dwordx4 v[8:11], v67, s[24:27], s0 offen
	;; [unrolled: 1-line block ×4, first 2 shown]
	v_lshlrev_b32_e32 v20, 3, v65
	v_and_or_b32 v22, v0, 7, v20
	v_and_b32_e32 v20, 0x78, v20
	v_lshlrev_b32_e32 v22, 4, v22
	v_xor_b32_e32 v69, v22, v20
	v_mul_lo_u32 v21, v65, s19
	v_or_b32_e32 v70, 0x1000, v69
	s_cmpk_eq_i32 s19, 0x80
	s_mov_b32 s57, s38
	v_xor_b32_e32 v20, 8, v69
	v_xor_b32_e32 v22, 8, v70
	s_cselect_b64 s[0:1], -1, 0
	s_cmpk_lg_i32 s19, 0x80
	s_waitcnt vmcnt(3)
	ds_write_b64 v69, v[4:5] offset:16384
	ds_write_b64 v20, v[6:7] offset:16384
	s_waitcnt vmcnt(2)
	ds_write_b64 v69, v[8:9] offset:24576
	ds_write_b64 v20, v[10:11] offset:24576
	;; [unrolled: 3-line block ×4, first 2 shown]
	v_lshl_add_u32 v4, v21, 1, v66
	s_cbranch_scc0 .LBB534_3
; %bb.2:
	v_lshlrev_b32_e32 v6, 1, v4
	v_add_lshl_u32 v5, v4, s19, 1
	s_lshl_b32 s26, s19, 7
	v_lshl_or_b32 v3, v65, 9, v3
	s_cbranch_execz .LBB534_4
	s_branch .LBB534_5
.LBB534_3:
                                        ; implicit-def: $vgpr5
                                        ; implicit-def: $vgpr6
                                        ; implicit-def: $sgpr26
	v_lshl_or_b32 v3, v65, 9, v3
.LBB534_4:
	v_or_b32_e32 v5, 0x100, v3
	s_movk_i32 s26, 0x4000
	v_mov_b32_e32 v6, v3
.LBB534_5:
	s_mul_i32 s20, s38, s18
	s_ashr_i32 s59, s56, 31
	s_mul_hi_i32 s3, s38, s18
	s_add_u32 s20, s20, s56
	s_addc_u32 s21, s3, s59
	s_lshl_b64 s[20:21], s[20:21], 8
	s_add_u32 s24, s4, s20
	s_addc_u32 s3, s5, s21
	s_and_b32 s25, s3, 0xffff
	s_movk_i32 s60, 0x80
	buffer_load_dwordx4 v[8:11], v6, s[24:27], 0 offen
	buffer_load_dwordx4 v[12:15], v6, s[24:27], s60 offen
	;; [unrolled: 1-line block ×4, first 2 shown]
	v_and_b32_e32 v5, 6, v0
	v_lshlrev_b32_e32 v7, 2, v61
	v_lshlrev_b32_e32 v24, 3, v61
	v_xor_b32_e32 v26, v65, v5
	v_and_b32_e32 v6, 1, v0
	v_lshl_or_b32 v24, v1, 5, v24
	v_xor_b32_e32 v27, v1, v7
	v_lshlrev_b32_e32 v26, 2, v26
	s_mul_i32 s3, s46, s23
	s_mul_hi_u32 s21, s46, s22
	v_or_b32_e32 v71, 0x9000, v24
	v_or_b32_e32 v72, 0x9800, v24
	v_lshlrev_b32_e32 v24, 1, v27
	v_xor_b32_e32 v27, 0x440, v26
	v_cmp_eq_u32_e32 vcc, 0, v6
	s_add_i32 s25, s49, s48
	s_mul_i32 s24, s58, s22
	v_cndmask_b32_e32 v6, v27, v26, vcc
	s_add_i32 s3, s21, s3
	s_add_i32 s41, s25, s50
	s_mov_b32 s61, 0x1000504
	v_lshlrev_b32_e32 v25, 8, v61
	s_mov_b32 s26, 0x8000
	v_xor_b32_e32 v7, v64, v7
	v_lshl_or_b32 v5, v5, 10, v6
	s_add_i32 s21, s3, s24
	s_lshl_b64 s[24:25], s[40:41], 2
	s_mov_b32 s62, 0x3020706
	s_mul_i32 s20, s46, s22
	v_lshlrev_b32_e32 v7, 1, v7
	v_or3_b32 v73, v24, v25, s26
	v_xor_b32_e32 v6, 8, v5
	v_xor_b32_e32 v24, 24, v5
	;; [unrolled: 1-line block ×4, first 2 shown]
	s_add_u32 s3, s10, s24
	v_or3_b32 v74, v7, v25, s26
	v_xor_b32_e32 v7, 16, v5
	v_xor_b32_e32 v25, 32, v5
	;; [unrolled: 1-line block ×3, first 2 shown]
	v_add_u32_e32 v6, 0x80, v6
	v_add_u32_e32 v24, 0x80, v24
	;; [unrolled: 1-line block ×4, first 2 shown]
	s_addc_u32 s24, s11, s25
	s_lshl_b64 s[20:21], s[20:21], 2
	s_add_u32 s20, s3, s20
	s_movk_i32 s3, 0xf8
	s_addc_u32 s21, s24, s21
	s_lshl_b32 s30, s19, 7
	v_mov_b32_e32 v47, 0
	s_mov_b32 s63, 0
	v_add_u32_e32 v85, v58, v2
	v_mov_b32_e32 v52, v47
	v_mov_b32_e32 v53, v47
	;; [unrolled: 1-line block ×6, first 2 shown]
	s_waitcnt vmcnt(1)
	v_perm_b32 v29, v8, v16, s61
	s_waitcnt vmcnt(0)
	v_perm_b32 v30, v12, v20, s61
	v_perm_b32 v8, v8, v16, s62
	;; [unrolled: 1-line block ×15, first 2 shown]
	ds_write2st64_b32 v5, v29, v30 offset1:32
	ds_write2st64_b32 v6, v8, v12 offset1:32
	ds_write2st64_b32 v7, v16, v20 offset0:1 offset1:33
	ds_write2st64_b32 v24, v9, v13 offset0:1 offset1:33
	;; [unrolled: 1-line block ×6, first 2 shown]
	v_or_b32_e32 v5, v58, v61
	v_lshlrev_b32_e32 v5, 3, v5
	v_lshrrev_b32_e32 v7, 5, v59
	v_and_or_b32 v7, v5, s3, v7
	v_lshlrev_b32_e32 v7, 4, v7
	v_lshrrev_b32_e32 v6, 2, v59
	v_lshlrev_b32_e32 v9, 11, v45
	v_and_b32_e32 v5, 0x78, v5
	v_or_b32_e32 v12, 32, v7
	v_and_b32_e32 v8, 12, v6
	v_and_b32_e32 v6, 0x1000, v9
	v_lshrrev_b32_e32 v11, 1, v59
	v_xor_b32_e32 v12, v12, v5
	v_and_b32_e32 v11, 8, v11
	v_or_b32_e32 v12, v12, v6
	v_xor_b32_e32 v10, v7, v5
	v_xor_b32_e32 v77, v12, v11
	v_or_b32_e32 v12, 64, v7
	v_or_b32_e32 v7, 0x60, v7
	;; [unrolled: 1-line block ×3, first 2 shown]
	v_xor_b32_e32 v12, v12, v5
	v_xor_b32_e32 v5, v7, v5
	;; [unrolled: 1-line block ×3, first 2 shown]
	v_and_b32_e32 v10, 0x78, v62
	v_or_b32_e32 v5, v5, v6
	v_lshl_or_b32 v10, v60, 7, v10
	v_or_b32_e32 v12, v12, v6
	v_xor_b32_e32 v79, v5, v11
	s_ashr_i32 s3, s2, 31
	v_lshlrev_b32_e32 v5, 1, v61
	v_or_b32_e32 v76, 0x9000, v10
	v_xor_b32_e32 v78, v12, v11
	v_or_b32_e32 v80, 0x9800, v10
	v_lshlrev_b32_e32 v10, 1, v4
	v_add_lshl_u32 v11, v4, s19, 1
	v_lshrrev_b32_e32 v4, 4, v0
	s_lshl_b64 s[24:25], s[2:3], 8
	v_or_b32_e32 v13, 1, v5
	s_add_u32 s24, s42, s24
	v_xor_b32_e32 v5, v4, v5
	v_xor_b32_e32 v13, v13, v4
	s_addc_u32 s25, s43, s25
	v_lshlrev_b32_e32 v5, 3, v5
	v_lshlrev_b32_e32 v46, 8, v4
	;; [unrolled: 1-line block ×3, first 2 shown]
	v_lshrrev_b32_e32 v17, 1, v0
	v_or3_b32 v81, v5, v46, s26
	v_or3_b32 v82, v4, v46, s26
	v_lshl_add_u64 v[4:5], s[24:25], 0, v[46:47]
	v_lshlrev_b32_e32 v46, 4, v61
	s_movk_i32 s3, 0xff
	v_lshlrev_b32_e32 v16, 3, v45
	v_and_b32_e32 v17, 24, v17
	v_lshl_add_u64 v[54:55], v[4:5], 0, v[46:47]
	v_and_b32_e32 v5, 8, v0
	v_cmp_lt_u32_e32 vcc, s3, v0
	v_xor_b32_e32 v18, v16, v17
	v_or_b32_e32 v19, 0x440, v18
	v_cndmask_b32_e64 v15, 0, 1, vcc
	v_cmp_eq_u32_e32 vcc, 0, v5
	v_or_b32_e32 v21, 64, v17
	v_xor_b32_e32 v21, v16, v21
	v_cndmask_b32_e32 v5, v19, v18, vcc
	v_or_b32_e32 v19, 32, v17
	v_or_b32_e32 v17, 0x60, v17
	v_xor_b32_e32 v19, v16, v19
	v_xor_b32_e32 v16, v16, v17
	v_or_b32_e32 v20, 0x440, v19
	v_xor_b32_e32 v22, 0x440, v21
	v_xor_b32_e32 v17, 0x440, v16
	v_and_b32_e32 v4, 7, v0
	v_cndmask_b32_e32 v19, v20, v19, vcc
	v_cndmask_b32_e32 v21, v22, v21, vcc
	;; [unrolled: 1-line block ×3, first 2 shown]
	v_or_b32_e32 v6, s2, v61
	v_lshlrev_b32_e32 v13, 3, v4
	v_or_b32_e32 v5, v5, v9
	v_or_b32_e32 v19, v19, v9
	;; [unrolled: 1-line block ×4, first 2 shown]
	v_ashrrev_i32_e32 v7, 31, v6
	v_lshlrev_b32_e32 v15, 13, v15
	v_xor_b32_e32 v5, v5, v13
	v_xor_b32_e32 v19, v19, v13
	;; [unrolled: 1-line block ×4, first 2 shown]
	v_lshl_add_u64 v[6:7], v[6:7], 1, s[8:9]
	v_or_b32_e32 v12, 0x100, v3
	v_lshlrev_b32_e32 v14, 7, v4
	v_or_b32_e32 v4, v8, v58
	v_add_u32_e32 v18, v15, v5
	v_add_u32_e32 v20, v15, v19
	;; [unrolled: 1-line block ×4, first 2 shown]
	v_or3_b32 v8, v58, v8, 64
	v_add_u32_e32 v5, 0x2000, v5
	v_add_u32_e32 v15, 0x2000, v19
	v_add_u32_e32 v16, 0x2000, v21
	v_add_u32_e32 v9, 0x2000, v9
	v_lshlrev_b32_e32 v46, 8, v1
	v_cndmask_b32_e64 v83, v10, v3, s[0:1]
	v_cndmask_b32_e64 v84, v11, v12, s[0:1]
	v_lshl_add_u64 v[56:57], v[6:7], 0, v[46:47]
	s_mov_b32 s3, 0x7060302
	s_movk_i32 s26, 0x4000
	v_lshlrev_b32_e32 v86, 2, v4
	v_add_u32_e32 v87, v18, v14
	v_add_u32_e32 v88, v20, v14
	;; [unrolled: 1-line block ×4, first 2 shown]
	v_lshlrev_b32_e32 v91, 2, v8
	v_add_u32_e32 v92, v5, v14
	v_add_u32_e32 v93, v15, v14
	;; [unrolled: 1-line block ×4, first 2 shown]
	v_mov_b32_e32 v46, v47
	s_waitcnt lgkmcnt(0)
	s_barrier
.LBB534_6:                              ; =>This Inner Loop Header: Depth=1
	s_add_i32 s41, s63, 1
	s_cmp_lt_i32 s41, s52
	s_mov_b64 s[28:29], 0
	s_cselect_b64 s[44:45], -1, 0
	s_cmp_ge_i32 s41, s52
	s_mov_b64 s[24:25], 0
	s_cbranch_scc1 .LBB534_8
; %bb.7:                                ;   in Loop: Header=BB534_6 Depth=1
	s_add_i32 s0, s57, 64
	s_ashr_i32 s1, s0, 31
	s_add_u32 s0, s55, s0
	s_addc_u32 s1, s54, s1
	s_lshl_b64 s[0:1], s[0:1], 8
	s_add_u32 s24, s6, s0
	s_addc_u32 s25, s7, s1
.LBB534_8:                              ;   in Loop: Header=BB534_6 Depth=1
	v_cndmask_b32_e64 v2, 0, 1, s[44:45]
	v_cmp_ne_u32_e64 s[0:1], 1, v2
	s_andn2_b64 vcc, exec, s[44:45]
	s_cbranch_vccnz .LBB534_10
; %bb.9:                                ;   in Loop: Header=BB534_6 Depth=1
	s_add_i32 s28, s57, 64
	s_mul_hi_i32 s29, s28, s18
	s_mul_i32 s28, s28, s18
	s_add_u32 s28, s28, s56
	s_addc_u32 s29, s29, s59
	s_lshl_b64 s[28:29], s[28:29], 8
	s_add_u32 s28, s4, s28
	s_addc_u32 s29, s5, s29
.LBB534_10:                             ;   in Loop: Header=BB534_6 Depth=1
	v_perm_b32 v3, v53, v52, s3
	v_perm_b32 v2, v47, v46, s3
	;; [unrolled: 1-line block ×4, first 2 shown]
	ds_write_b64 v71, v[2:3]
	ds_write_b64 v72, v[4:5]
	;; [unrolled: 1-line block ×4, first 2 shown]
	s_waitcnt lgkmcnt(0)
	s_barrier
	ds_read_b64 v[10:11], v75 offset:16384
	ds_read_b64 v[12:13], v77 offset:16384
	ds_read2st64_b64 v[2:5], v76 offset1:1
	s_waitcnt lgkmcnt(0)
	v_mfma_f32_16x16x16_bf16 a[0:3], v[10:11], v[2:3], 0
	ds_read2st64_b64 v[6:9], v76 offset0:2 offset1:3
	ds_read_b64 v[14:15], v78 offset:16384
	ds_read_b64 v[2:3], v79 offset:16384
	s_add_i32 s64, s57, 63
	v_mfma_f32_16x16x16_bf16 a[0:3], v[12:13], v[4:5], a[0:3]
	s_ashr_i32 s31, s64, 31
	s_mul_i32 s44, s64, s15
	s_mul_hi_u32 s45, s64, s14
	s_waitcnt lgkmcnt(1)
	v_mfma_f32_16x16x16_bf16 a[0:3], v[14:15], v[6:7], a[0:3]
	s_add_i32 s44, s45, s44
	s_mul_i32 s31, s31, s14
	s_add_i32 s45, s44, s31
	s_mul_i32 s44, s64, s14
	s_waitcnt lgkmcnt(0)
	v_mfma_f32_16x16x16_bf16 a[0:3], v[2:3], v[8:9], a[0:3]
	s_lshl_b64 s[44:45], s[44:45], 2
	s_add_u32 s44, s20, s44
	s_addc_u32 s45, s21, s45
	s_and_b64 vcc, exec, s[0:1]
	v_mov_b32_e32 v98, 0
	v_mov_b32_e32 v97, 0
	;; [unrolled: 1-line block ×19, first 2 shown]
	s_cbranch_vccnz .LBB534_12
; %bb.11:                               ;   in Loop: Header=BB534_6 Depth=1
	s_and_b32 s25, s25, 0xffff
	buffer_load_dwordx4 v[14:17], v67, s[24:27], 0 offen
	buffer_load_dwordx4 v[10:13], v67, s[24:27], s60 offen
	;; [unrolled: 1-line block ×4, first 2 shown]
	v_mov_b32_e32 v97, v69
	v_mov_b32_e32 v96, v70
.LBB534_12:                             ;   in Loop: Header=BB534_6 Depth=1
	v_add_u32_e32 v22, s57, v85
	v_ashrrev_i32_e32 v18, 31, v22
	v_mul_lo_u32 v20, v18, s14
	v_mul_lo_u32 v21, v22, s15
	v_mad_u64_u32 v[18:19], s[24:25], v22, s14, 0
	v_add3_u32 v19, v19, v21, v20
	v_lshl_add_u64 v[18:19], v[18:19], 2, s[20:21]
	global_load_dword v40, v[18:19], off
	v_add_u32_e32 v18, 1, v22
	v_ashrrev_i32_e32 v19, 31, v18
	v_mul_lo_u32 v20, v19, s14
	v_mul_lo_u32 v21, v18, s15
	v_mad_u64_u32 v[18:19], s[24:25], v18, s14, 0
	v_add3_u32 v19, v19, v21, v20
	v_add_u32_e32 v20, 2, v22
	v_ashrrev_i32_e32 v21, 31, v20
	v_mul_lo_u32 v23, v21, s14
	v_mul_lo_u32 v24, v20, s15
	v_mad_u64_u32 v[20:21], s[24:25], v20, s14, 0
	v_add_u32_e32 v22, 3, v22
	v_add3_u32 v21, v21, v24, v23
	v_ashrrev_i32_e32 v23, 31, v22
	v_mul_lo_u32 v26, v23, s14
	v_mul_lo_u32 v27, v22, s15
	v_mad_u64_u32 v[22:23], s[24:25], v22, s14, 0
	s_ashr_i32 s25, s57, 31
	s_add_u32 s24, s55, s57
	s_addc_u32 s25, s54, s25
	s_lshl_b64 s[24:25], s[24:25], 8
	v_lshl_add_u64 v[18:19], v[18:19], 2, s[20:21]
	v_lshl_add_u64 v[24:25], v[56:57], 0, s[24:25]
	v_add3_u32 v23, v23, v27, v26
	v_lshl_add_u64 v[20:21], v[20:21], 2, s[20:21]
	global_load_ushort v41, v[24:25], off
	global_load_ushort v42, v[24:25], off offset:256
	global_load_ushort v43, v[24:25], off offset:512
	;; [unrolled: 1-line block ×3, first 2 shown]
	v_lshl_add_u64 v[22:23], v[22:23], 2, s[20:21]
	global_load_dword v100, v[18:19], off
	global_load_dword v101, v[20:21], off
	;; [unrolled: 1-line block ×3, first 2 shown]
	s_load_dword s24, s[44:45], 0x0
	ds_read2st64_b64 v[26:29], v80 offset1:1
	ds_read2st64_b64 v[30:33], v80 offset0:2 offset1:3
	ds_read_b64 v[24:25], v75 offset:24576
	ds_read_b64 v[34:35], v77 offset:24576
	;; [unrolled: 1-line block ×4, first 2 shown]
	s_waitcnt lgkmcnt(0)
	v_mfma_f32_16x16x16_bf16 a[0:3], v[24:25], v[26:27], a[0:3]
	v_mov_b32_e32 v99, 0
	v_mov_b32_e32 v18, 0
	v_mov_b32_e32 v19, 0
	v_mfma_f32_16x16x16_bf16 a[0:3], v[34:35], v[28:29], a[0:3]
	v_mov_b32_e32 v20, 0
	v_mov_b32_e32 v21, 0
	v_mov_b32_e32 v22, 0
	;; [unrolled: 4-line block ×4, first 2 shown]
	v_mov_b32_e32 v29, 0
	v_mov_b32_e32 v30, 0
	;; [unrolled: 1-line block ×3, first 2 shown]
	s_and_b64 vcc, exec, s[0:1]
	v_accvgpr_read_b32 v35, a1
	v_accvgpr_read_b32 v33, a3
	;; [unrolled: 1-line block ×4, first 2 shown]
	s_waitcnt vmcnt(7)
	v_sub_f32_e32 v40, s24, v40
	v_exp_f32_e32 v40, v40
	s_waitcnt vmcnt(6)
	v_lshlrev_b32_e32 v36, 16, v41
	s_waitcnt vmcnt(5)
	v_lshlrev_b32_e32 v37, 16, v42
	;; [unrolled: 2-line block ×3, first 2 shown]
	s_waitcnt vmcnt(2)
	v_sub_f32_e32 v41, s24, v100
	s_waitcnt vmcnt(1)
	v_sub_f32_e32 v42, s24, v101
	;; [unrolled: 2-line block ×3, first 2 shown]
	v_exp_f32_e32 v41, v41
	v_exp_f32_e32 v42, v42
	;; [unrolled: 1-line block ×3, first 2 shown]
	v_lshlrev_b32_e32 v39, 16, v44
	v_pk_add_f32 v[34:35], v[36:37], v[34:35] neg_lo:[0,1] neg_hi:[0,1]
	v_pk_add_f32 v[32:33], v[38:39], v[32:33] neg_lo:[0,1] neg_hi:[0,1]
	v_pk_mul_f32 v[34:35], v[40:41], v[34:35]
	v_pk_mul_f32 v[32:33], v[42:43], v[32:33]
	s_nop 0
	v_perm_b32 v33, v33, v32, s3
	v_perm_b32 v32, v35, v34, s3
	ds_write_b64 v72, v[32:33]
	v_mov_b32_e32 v32, 0
	v_mov_b32_e32 v33, 0
	s_cbranch_vccnz .LBB534_14
; %bb.13:                               ;   in Loop: Header=BB534_6 Depth=1
	s_and_b32 s29, s29, 0xffff
	s_mov_b32 s31, s27
	buffer_load_dwordx4 v[30:33], v83, s[28:31], 0 offen
	buffer_load_dwordx4 v[22:25], v83, s[28:31], s60 offen
	buffer_load_dwordx4 v[26:29], v84, s[28:31], 0 offen
	buffer_load_dwordx4 v[18:21], v84, s[28:31], s60 offen
	v_mov_b32_e32 v98, v66
	v_mov_b32_e32 v99, v65
.LBB534_14:                             ;   in Loop: Header=BB534_6 Depth=1
	s_waitcnt lgkmcnt(0)
	s_barrier
	ds_read_b64 v[34:35], v87
	ds_read_b64 v[40:41], v88
	ds_read2st64_b64 v[36:39], v80 offset1:1
	ds_read2st64_b64 v[100:103], v80 offset0:2 offset1:3
	ds_read_b64 v[42:43], v89
	ds_read_b64 v[108:109], v90
	s_add_i32 s25, s53, s63
	s_mul_hi_i32 s29, s25, s47
	s_mul_i32 s25, s25, s47
	s_waitcnt lgkmcnt(3)
	v_mfma_f32_16x16x16_bf16 a[0:3], v[34:35], v[36:37], 0
	ds_read_b64 v[34:35], v92
	s_add_u32 s28, s25, s46
	s_addc_u32 s29, s29, s58
	v_mfma_f32_16x16x16_bf16 a[0:3], v[40:41], v[38:39], a[0:3]
	ds_read_b64 v[40:41], v93
	s_lshl_b64 s[28:29], s[28:29], 15
	s_mul_i32 s31, s64, s47
	s_mul_hi_i32 s25, s64, s47
	s_add_u32 s44, s31, s46
	s_addc_u32 s45, s25, s58
	s_lshl_b64 s[44:45], s[44:45], 9
	s_add_u32 s44, s36, s44
	s_waitcnt lgkmcnt(1)
	v_mfma_f32_16x16x16_bf16 a[4:7], v[34:35], v[36:37], 0
	s_addc_u32 s45, s37, s45
	s_and_b64 vcc, exec, s[0:1]
	v_mfma_f32_16x16x16_bf16 a[0:3], v[42:43], v[100:101], a[0:3]
	ds_read_b64 v[42:43], v94
	ds_read_b64 v[110:111], v95
	global_load_dwordx4 v[34:37], v91, s[44:45]
	s_waitcnt lgkmcnt(2)
	v_mfma_f32_16x16x16_bf16 a[4:7], v[40:41], v[38:39], a[4:7]
	global_load_dwordx4 v[38:41], v86, s[44:45]
	ds_read_b64 v[104:105], v81
	ds_read_b64 v[106:107], v82
	s_waitcnt lgkmcnt(3)
	v_mfma_f32_16x16x16_bf16 a[8:11], v[42:43], v[100:101], a[4:7]
	v_lshl_add_u64 v[42:43], v[54:55], 0, s[28:29]
	s_waitcnt lgkmcnt(0)
	global_store_dwordx4 v[42:43], v[104:107], off
	v_mfma_f32_16x16x16_bf16 a[4:7], v[108:109], v[102:103], a[0:3]
	s_waitcnt vmcnt(2)
	v_mov_b32_e32 v44, v37
	v_mfma_f32_16x16x16_bf16 a[0:3], v[110:111], v[102:103], a[8:11]
	v_mov_b32_e32 v43, v36
	v_mov_b32_e32 v42, v35
	s_cbranch_vccnz .LBB534_16
; %bb.15:                               ;   in Loop: Header=BB534_6 Depth=1
	v_lshrrev_b32_e32 v35, 3, v98
	v_and_b32_e32 v35, 6, v35
	v_xor_b32_e32 v36, v35, v99
	v_lshlrev_b32_e32 v36, 2, v36
	v_and_b32_e32 v37, 8, v98
	v_xor_b32_e32 v98, 0x440, v36
	v_cmp_eq_u32_e32 vcc, 0, v37
	v_perm_b32 v37, v22, v18, s61
	s_nop 0
	v_cndmask_b32_e32 v36, v98, v36, vcc
	v_lshl_or_b32 v35, v35, 10, v36
	v_perm_b32 v36, v30, v26, s61
	s_barrier
	ds_write2st64_b32 v35, v36, v37 offset1:32
	v_xor_b32_e32 v36, 8, v35
	v_perm_b32 v26, v30, v26, s62
	v_perm_b32 v18, v22, v18, s62
	v_add_u32_e32 v22, 0x80, v36
	ds_write2st64_b32 v22, v26, v18 offset1:32
	v_xor_b32_e32 v18, 16, v35
	v_perm_b32 v22, v31, v27, s61
	v_perm_b32 v26, v23, v19, s61
	ds_write2st64_b32 v18, v22, v26 offset0:1 offset1:33
	v_xor_b32_e32 v18, 24, v35
	v_perm_b32 v22, v31, v27, s62
	v_perm_b32 v19, v23, v19, s62
	v_add_u32_e32 v18, 0x80, v18
	ds_write2st64_b32 v18, v22, v19 offset0:1 offset1:33
	v_xor_b32_e32 v18, 32, v35
	v_perm_b32 v19, v32, v28, s61
	v_perm_b32 v22, v24, v20, s61
	ds_write2st64_b32 v18, v19, v22 offset0:2 offset1:34
	v_xor_b32_e32 v18, 40, v35
	v_perm_b32 v19, v32, v28, s62
	v_perm_b32 v20, v24, v20, s62
	v_add_u32_e32 v18, 0x80, v18
	ds_write2st64_b32 v18, v19, v20 offset0:2 offset1:34
	;; [unrolled: 9-line block ×3, first 2 shown]
	ds_write_b64 v97, v[14:15] offset:16384
	v_xor_b32_e32 v14, 8, v97
	ds_write_b64 v14, v[16:17] offset:16384
	ds_write_b64 v97, v[10:11] offset:24576
	;; [unrolled: 1-line block ×4, first 2 shown]
	v_xor_b32_e32 v6, 8, v96
	ds_write_b64 v6, v[8:9] offset:16384
	ds_write_b64 v96, v[2:3] offset:24576
	;; [unrolled: 1-line block ×3, first 2 shown]
.LBB534_16:                             ;   in Loop: Header=BB534_6 Depth=1
	v_exp_f32_e32 v10, s24
	s_waitcnt vmcnt(1)
	v_exp_f32_e32 v12, v38
	v_exp_f32_e32 v13, v39
	;; [unrolled: 1-line block ×4, first 2 shown]
	v_accvgpr_read_b32 v2, a4
	v_accvgpr_read_b32 v3, a5
	v_pk_mul_f32 v[12:13], v[10:11], v[12:13] op_sel_hi:[0,1]
	v_pk_fma_f32 v[46:47], v[46:47], v[12:13], v[2:3]
	v_exp_f32_e32 v12, v34
	v_exp_f32_e32 v13, v42
	v_pk_mul_f32 v[2:3], v[10:11], v[14:15] op_sel_hi:[0,1]
	v_exp_f32_e32 v14, v43
	v_exp_f32_e32 v15, v44
	v_accvgpr_read_b32 v4, a6
	v_accvgpr_read_b32 v5, a7
	;; [unrolled: 1-line block ×5, first 2 shown]
	v_pk_fma_f32 v[52:53], v[52:53], v[2:3], v[4:5]
	v_pk_mul_f32 v[2:3], v[10:11], v[12:13] op_sel_hi:[0,1]
	v_accvgpr_read_b32 v8, a2
	v_pk_fma_f32 v[50:51], v[50:51], v[2:3], v[6:7]
	v_pk_mul_f32 v[2:3], v[10:11], v[14:15] op_sel_hi:[0,1]
	s_add_i32 s57, s57, 64
	s_cmp_eq_u32 s52, s41
	v_pk_fma_f32 v[48:49], v[48:49], v[2:3], v[8:9]
	s_cbranch_scc1 .LBB534_18
; %bb.17:                               ;   in Loop: Header=BB534_6 Depth=1
	s_mov_b32 s63, s41
	s_branch .LBB534_6
.LBB534_18:
	s_lshl_b32 s3, s52, 6
	s_sub_i32 s51, s51, s3
	s_cmp_gt_i32 s51, 0
	v_or_b32_e32 v26, s2, v61
	s_cbranch_scc1 .LBB534_20
; %bb.19:
	s_ashr_i32 s21, s46, 31
	v_or_b32_e32 v2, s2, v61
	s_cbranch_execz .LBB534_21
	s_branch .LBB534_77
.LBB534_20:
                                        ; implicit-def: $vgpr2
                                        ; implicit-def: $sgpr20_sgpr21
.LBB534_21:
	s_add_i32 s20, s3, s38
	s_ashr_i32 s3, s20, 31
	s_cmpk_lg_i32 s19, 0x80
	s_cselect_b64 s[30:31], -1, 0
	s_and_b64 vcc, exec, s[30:31]
	s_cbranch_vccz .LBB534_23
; %bb.22:
	s_mul_hi_i32 s0, s20, s18
	s_mul_i32 s1, s20, s18
	s_ashr_i32 s18, s56, 31
	s_add_u32 s44, s1, s56
	s_addc_u32 s45, s0, s18
	s_cbranch_execz .LBB534_24
	s_branch .LBB534_25
.LBB534_23:
                                        ; implicit-def: $sgpr44_sgpr45
.LBB534_24:
	s_mul_i32 s1, s56, s16
	s_mul_hi_i32 s0, s56, s16
	s_add_u32 s44, s1, s20
	s_addc_u32 s45, s0, s3
.LBB534_25:
	s_add_i32 s16, s52, s53
	s_ashr_i32 s21, s46, 31
	s_add_u32 s0, s55, s20
	s_addc_u32 s1, s54, s3
	s_mov_b32 s3, 0x7060302
	v_lshlrev_b32_e32 v6, 3, v61
	s_lshl_b64 s[28:29], s[0:1], 8
	v_perm_b32 v3, v53, v52, s3
	v_perm_b32 v2, v47, v46, s3
	;; [unrolled: 1-line block ×4, first 2 shown]
	v_lshlrev_b32_e32 v36, 2, v61
	v_lshl_or_b32 v6, v1, 5, v6
	s_add_u32 s0, s6, s28
	ds_write2st64_b64 v6, v[2:3], v[4:5] offset0:72 offset1:76
	v_xor_b32_e32 v6, v1, v36
	v_lshlrev_b32_e32 v7, 8, v61
	s_addc_u32 s1, s7, s29
	v_lshl_or_b32 v6, v6, 1, v7
	s_mul_hi_i32 s3, s16, s17
	s_mul_i32 s16, s16, s17
	ds_write_b64 v6, v[2:3] offset:32768
	v_xor_b32_e32 v2, v64, v36
	s_add_u32 s6, s16, s46
	v_lshl_or_b32 v2, v2, 1, v7
	s_addc_u32 s7, s3, s21
	v_lshlrev_b32_e32 v3, 1, v61
	ds_write_b64 v2, v[4:5] offset:32768
	v_lshrrev_b32_e32 v2, 4, v0
	s_ashr_i32 s3, s2, 31
	s_lshl_b64 s[6:7], s[6:7], 15
	v_or_b32_e32 v4, 1, v3
	s_add_u32 s6, s42, s6
	v_xor_b32_e32 v3, v2, v3
	v_xor_b32_e32 v4, v4, v2
	v_lshlrev_b32_e32 v6, 8, v2
	s_addc_u32 s7, s43, s7
	s_lshl_b64 s[2:3], s[2:3], 8
	v_lshl_or_b32 v2, v3, 3, v6
	v_lshl_or_b32 v4, v4, 3, v6
	s_waitcnt lgkmcnt(0)
	s_barrier
	s_add_u32 s2, s6, s2
	ds_read_b64 v[2:3], v2 offset:32768
	ds_read_b64 v[4:5], v4 offset:32768
	s_addc_u32 s3, s7, s3
	v_mov_b32_e32 v7, 0
	s_cmp_lg_u32 s51, 64
	v_lshl_add_u64 v[8:9], s[2:3], 0, v[6:7]
	v_lshlrev_b32_e32 v6, 4, v61
	s_cselect_b64 s[6:7], -1, 0
	v_lshl_or_b32 v27, v45, 3, v63
	s_mov_b32 s24, 0
	v_lshl_add_u64 v[6:7], v[8:9], 0, v[6:7]
	v_or_b32_e32 v19, 32, v27
	v_and_b32_e32 v18, 56, v62
	s_and_b64 vcc, exec, s[6:7]
	s_waitcnt lgkmcnt(0)
	global_store_dwordx4 v[6:7], v[2:5], off
	s_cbranch_vccz .LBB534_31
; %bb.26:
	s_mov_b32 s25, s24
	s_mov_b32 s26, s24
	;; [unrolled: 1-line block ×3, first 2 shown]
	v_mov_b64_e32 v[6:7], s[24:25]
	v_mov_b64_e32 v[8:9], s[26:27]
	;; [unrolled: 1-line block ×3, first 2 shown]
	v_cmp_gt_i32_e32 vcc, s51, v27
	v_mov_b64_e32 v[4:5], v[8:9]
	s_and_saveexec_b64 s[2:3], vcc
	s_cbranch_execz .LBB534_28
; %bb.27:
	v_lshlrev_b32_e32 v2, 8, v27
	v_mov_b32_e32 v3, 0
	v_lshl_add_u64 v[4:5], s[0:1], 0, v[2:3]
	v_lshlrev_b32_e32 v2, 1, v18
	v_lshl_add_u64 v[10:11], v[4:5], 0, v[2:3]
	global_load_dwordx4 v[6:9], v[10:11], off
	global_load_dwordx4 v[2:5], v[10:11], off offset:128
.LBB534_28:
	s_or_b64 exec, exec, s[2:3]
	s_mov_b32 s25, s24
	s_mov_b32 s26, s24
	;; [unrolled: 1-line block ×3, first 2 shown]
	v_mov_b64_e32 v[14:15], s[24:25]
	v_mov_b64_e32 v[16:17], s[26:27]
	;; [unrolled: 1-line block ×3, first 2 shown]
	v_cmp_gt_i32_e32 vcc, s51, v19
	v_lshlrev_b32_e32 v20, 7, v19
	v_mov_b64_e32 v[12:13], v[16:17]
	s_and_saveexec_b64 s[2:3], vcc
	s_cbranch_execz .LBB534_30
; %bb.29:
	v_lshlrev_b32_e32 v10, 1, v20
	v_mov_b32_e32 v11, 0
	v_lshl_add_u64 v[12:13], s[0:1], 0, v[10:11]
	v_lshlrev_b32_e32 v10, 1, v18
	v_lshl_add_u64 v[22:23], v[12:13], 0, v[10:11]
	global_load_dwordx4 v[14:17], v[22:23], off
	global_load_dwordx4 v[10:13], v[22:23], off offset:128
.LBB534_30:
	s_or_b64 exec, exec, s[2:3]
	v_lshrrev_b32_e32 v21, 3, v18
	v_lshlrev_b32_e32 v22, 3, v27
	v_or_b32_e32 v21, v22, v21
	v_lshlrev_b32_e32 v21, 4, v21
	v_and_b32_e32 v22, 0x78, v22
	v_xor_b32_e32 v21, v21, v22
	s_branch .LBB534_33
.LBB534_31:
                                        ; implicit-def: $vgpr21
                                        ; implicit-def: $vgpr20
                                        ; implicit-def: $vgpr6_vgpr7_vgpr8_vgpr9
                                        ; implicit-def: $vgpr2_vgpr3_vgpr4_vgpr5
                                        ; implicit-def: $vgpr14_vgpr15_vgpr16_vgpr17
                                        ; implicit-def: $vgpr10_vgpr11_vgpr12_vgpr13
	s_cbranch_execz .LBB534_33
; %bb.32:
	s_waitcnt vmcnt(0)
	v_lshlrev_b32_e32 v2, 1, v18
	v_lshl_or_b32 v20, v27, 8, v2
	s_and_b32 s1, s1, 0xffff
	s_mov_b32 s3, 0x20000
	s_movk_i32 s2, 0x4000
	v_lshl_or_b32 v21, v19, 8, v2
	s_movk_i32 s16, 0x80
	buffer_load_dwordx4 v[6:9], v20, s[0:3], 0 offen
	buffer_load_dwordx4 v[2:5], v20, s[0:3], s16 offen
	;; [unrolled: 1-line block ×4, first 2 shown]
	v_lshrrev_b32_e32 v20, 3, v18
	v_lshlrev_b32_e32 v21, 3, v27
	v_or_b32_e32 v20, v21, v20
	v_lshlrev_b32_e32 v20, 4, v20
	v_and_b32_e32 v21, 0x78, v21
	v_xor_b32_e32 v21, v20, v21
	v_lshlrev_b32_e32 v20, 7, v19
.LBB534_33:
	s_lshl_b64 s[0:1], s[44:45], 8
	s_add_u32 s4, s4, s0
	s_movk_i32 s0, 0x1000
	v_and_or_b32 v19, v20, s0, v21
	s_waitcnt vmcnt(1)
	ds_write_b64 v21, v[6:7] offset:16384
	v_xor_b32_e32 v6, 8, v21
	s_addc_u32 s5, s5, s1
	ds_write_b64 v6, v[8:9] offset:16384
	s_waitcnt vmcnt(0)
	ds_write_b64 v21, v[2:3] offset:24576
	ds_write_b64 v6, v[4:5] offset:24576
	;; [unrolled: 1-line block ×3, first 2 shown]
	v_xor_b32_e32 v2, 8, v19
	s_add_i32 s18, s39, -1
	ds_write_b64 v2, v[16:17] offset:16384
	ds_write_b64 v19, v[10:11] offset:24576
	;; [unrolled: 1-line block ×3, first 2 shown]
	s_mul_i32 s3, s18, s15
	s_mul_hi_u32 s16, s18, s14
	v_or_b32_e32 v2, v58, v61
	s_add_i32 s3, s16, s3
	v_lshlrev_b32_e32 v2, 3, v2
	v_lshrrev_b32_e32 v4, 5, v59
	s_movk_i32 s16, 0xf8
	v_and_or_b32 v4, v2, s16, v4
	v_lshlrev_b32_e32 v37, 11, v45
	v_lshlrev_b32_e32 v12, 4, v4
	v_and_b32_e32 v13, 0x78, v2
	v_and_b32_e32 v14, 0x1000, v37
	v_lshlrev_b32_e32 v3, 2, v0
	v_xor_b32_e32 v2, v12, v13
	v_lshrrev_b32_e32 v4, 1, v59
	v_and_b32_e32 v3, 60, v3
	v_or_b32_e32 v2, v2, v14
	v_and_b32_e32 v15, 8, v4
	v_xor_b32_e32 v28, v2, v15
	v_lshl_or_b32 v2, v60, 6, v3
	v_lshlrev_b32_e32 v38, 1, v2
	v_or_b32_e32 v2, 32, v12
	v_xor_b32_e32 v2, v2, v13
	s_waitcnt lgkmcnt(0)
	s_barrier
	ds_read_b64 v[10:11], v28 offset:16384
	v_or_b32_e32 v2, v2, v14
	v_xor_b32_e32 v29, v2, v15
	v_or_b32_e32 v2, 64, v12
	v_xor_b32_e32 v2, v2, v13
	v_or_b32_e32 v2, v2, v14
	v_or_b32_e32 v12, 0x60, v12
	v_xor_b32_e32 v30, v2, v15
	ds_read2st64_b64 v[2:5], v38 offset0:72 offset1:73
	ds_read2st64_b64 v[6:9], v38 offset0:74 offset1:75
	v_xor_b32_e32 v16, v12, v13
	ds_read_b64 v[12:13], v29 offset:16384
	s_waitcnt lgkmcnt(2)
	v_mfma_f32_16x16x16_bf16 a[0:3], v[10:11], v[2:3], 0
	s_add_i32 s0, s49, s48
	s_add_i32 s41, s0, s50
	s_mul_i32 s0, s46, s23
	s_mul_hi_u32 s1, s46, s22
	s_ashr_i32 s2, s18, 31
	s_add_i32 s0, s1, s0
	s_mul_i32 s1, s21, s22
	s_mul_i32 s2, s2, s14
	v_or_b32_e32 v14, v16, v14
	s_add_i32 s1, s0, s1
	s_mul_i32 s0, s46, s22
	s_add_i32 s3, s3, s2
	s_lshl_b64 s[22:23], s[40:41], 2
	v_xor_b32_e32 v39, v14, v15
	ds_read_b64 v[14:15], v30 offset:16384
	ds_read_b64 v[16:17], v39 offset:16384
	s_waitcnt lgkmcnt(2)
	v_mfma_f32_16x16x16_bf16 a[0:3], v[12:13], v[4:5], a[0:3]
	s_add_u32 s10, s10, s22
	s_addc_u32 s11, s11, s23
	s_lshl_b64 s[0:1], s[0:1], 2
	s_mul_i32 s2, s18, s14
	s_add_u32 s10, s10, s0
	s_addc_u32 s11, s11, s1
	s_lshl_b64 s[0:1], s[2:3], 2
	s_waitcnt lgkmcnt(1)
	v_mfma_f32_16x16x16_bf16 a[0:3], v[14:15], v[6:7], a[0:3]
	s_add_u32 s0, s10, s0
	s_addc_u32 s1, s11, s1
	s_load_dword s16, s[0:1], 0x0
	s_waitcnt lgkmcnt(0)
	v_mfma_f32_16x16x16_bf16 a[0:3], v[16:17], v[8:9], a[0:3]
	s_and_b64 vcc, exec, s[30:31]
	s_cbranch_vccz .LBB534_44
; %bb.34:
	v_lshlrev_b32_e32 v19, 1, v27
	s_and_b64 vcc, exec, s[6:7]
	s_cbranch_vccz .LBB534_45
; %bb.35:
	v_cmp_gt_i32_e32 vcc, s51, v19
	v_mov_b32_e32 v6, 0
	v_mov_b32_e32 v2, 0
	;; [unrolled: 1-line block ×5, first 2 shown]
	s_and_saveexec_b64 s[0:1], vcc
	s_cbranch_execz .LBB534_37
; %bb.36:
	v_mad_i64_i32 v[2:3], s[2:3], s19, v19, 0
	v_lshl_add_u64 v[2:3], v[2:3], 1, s[4:5]
	v_lshlrev_b32_e32 v4, 1, v18
	v_mov_b32_e32 v5, 0
	v_lshl_add_u64 v[2:3], v[2:3], 0, v[4:5]
	global_load_dwordx4 v[2:5], v[2:3], off
.LBB534_37:
	s_or_b64 exec, exec, s[0:1]
	v_or_b32_e32 v20, 1, v19
	v_cmp_gt_i32_e64 s[0:1], s51, v20
	v_mov_b32_e32 v7, 0
	v_mov_b32_e32 v8, 0
	;; [unrolled: 1-line block ×3, first 2 shown]
	s_and_saveexec_b64 s[2:3], s[0:1]
	s_cbranch_execz .LBB534_39
; %bb.38:
	v_mad_i64_i32 v[6:7], s[22:23], s19, v20, 0
	v_lshl_add_u64 v[6:7], v[6:7], 1, s[4:5]
	v_lshlrev_b32_e32 v8, 1, v18
	v_mov_b32_e32 v9, 0
	v_lshl_add_u64 v[6:7], v[6:7], 0, v[8:9]
	global_load_dwordx4 v[6:9], v[6:7], off
.LBB534_39:
	s_or_b64 exec, exec, s[2:3]
	v_mov_b32_e32 v17, 0
	v_mov_b32_e32 v10, 0
	;; [unrolled: 1-line block ×5, first 2 shown]
	s_and_saveexec_b64 s[2:3], vcc
	s_cbranch_execz .LBB534_41
; %bb.40:
	v_mad_i64_i32 v[10:11], s[22:23], s19, v19, 0
	v_lshl_add_u64 v[10:11], v[10:11], 1, s[4:5]
	v_lshlrev_b32_e32 v12, 1, v18
	v_mov_b32_e32 v13, 0
	v_lshl_add_u64 v[10:11], v[10:11], 0, v[12:13]
	global_load_dwordx4 v[10:13], v[10:11], off offset:128
.LBB534_41:
	s_or_b64 exec, exec, s[2:3]
	v_mov_b32_e32 v16, 0
	v_mov_b32_e32 v15, 0
	;; [unrolled: 1-line block ×3, first 2 shown]
	s_and_saveexec_b64 s[2:3], s[0:1]
	s_cbranch_execz .LBB534_43
; %bb.42:
	v_mad_i64_i32 v[14:15], s[0:1], s19, v20, 0
	v_lshl_add_u64 v[14:15], v[14:15], 1, s[4:5]
	v_lshlrev_b32_e32 v16, 1, v18
	v_mov_b32_e32 v17, 0
	v_lshl_add_u64 v[14:15], v[14:15], 0, v[16:17]
	global_load_dwordx4 v[14:17], v[14:15], off offset:128
.LBB534_43:
	s_or_b64 exec, exec, s[2:3]
	s_branch .LBB534_47
.LBB534_44:
                                        ; implicit-def: $vgpr5
                                        ; implicit-def: $vgpr9
                                        ; implicit-def: $vgpr13
                                        ; implicit-def: $vgpr17
	v_lshrrev_b32_e32 v19, 2, v59
	s_branch .LBB534_48
.LBB534_45:
                                        ; implicit-def: $vgpr5
                                        ; implicit-def: $vgpr9
                                        ; implicit-def: $vgpr13
                                        ; implicit-def: $vgpr17
	s_cbranch_execz .LBB534_47
; %bb.46:
	s_waitcnt vmcnt(0)
	v_mad_u64_u32 v[2:3], s[0:1], v19, s19, v[18:19]
	v_lshlrev_b32_e32 v19, 1, v2
	s_lshl_b32 s2, s19, 7
	s_and_b32 s1, s5, 0xffff
	s_mov_b32 s3, 0x20000
	s_mov_b32 s0, s4
	v_add_lshl_u32 v20, v2, s19, 1
	s_movk_i32 s19, 0x80
	buffer_load_dwordx4 v[2:5], v19, s[0:3], 0 offen
	buffer_load_dwordx4 v[10:13], v19, s[0:3], s19 offen
	;; [unrolled: 1-line block ×4, first 2 shown]
.LBB534_47:
	v_lshrrev_b32_e32 v19, 2, v59
	s_cbranch_execnz .LBB534_60
.LBB534_48:
	s_and_b64 vcc, exec, s[6:7]
	s_cbranch_vccz .LBB534_58
; %bb.49:
	s_waitcnt vmcnt(0)
	v_lshlrev_b32_e32 v7, 1, v27
	v_cmp_gt_i32_e32 vcc, s51, v7
	v_mov_b32_e32 v6, 0
	v_lshlrev_b32_e32 v14, 9, v27
	v_mov_b32_e32 v2, 0
	v_mov_b32_e32 v3, 0
	;; [unrolled: 1-line block ×4, first 2 shown]
	s_and_saveexec_b64 s[0:1], vcc
	s_cbranch_execz .LBB534_51
; %bb.50:
	v_mov_b32_e32 v15, 0
	v_lshl_add_u64 v[2:3], s[4:5], 0, v[14:15]
	v_lshlrev_b32_e32 v4, 1, v18
	v_mov_b32_e32 v5, v15
	v_lshl_add_u64 v[2:3], v[2:3], 0, v[4:5]
	global_load_dwordx4 v[2:5], v[2:3], off
.LBB534_51:
	s_or_b64 exec, exec, s[0:1]
	v_or_b32_e32 v7, 1, v7
	v_cmp_gt_i32_e64 s[0:1], s51, v7
	v_lshlrev_b32_e32 v20, 8, v7
	v_mov_b32_e32 v7, 0
	v_mov_b32_e32 v8, 0
	;; [unrolled: 1-line block ×3, first 2 shown]
	s_and_saveexec_b64 s[2:3], s[0:1]
	s_cbranch_execz .LBB534_53
; %bb.52:
	v_mov_b32_e32 v21, 0
	v_lshl_add_u64 v[6:7], s[4:5], 0, v[20:21]
	v_lshlrev_b32_e32 v8, 1, v18
	v_mov_b32_e32 v9, v21
	v_lshl_add_u64 v[6:7], v[6:7], 0, v[8:9]
	global_load_dwordx4 v[6:9], v[6:7], off
.LBB534_53:
	s_or_b64 exec, exec, s[2:3]
	v_mov_b32_e32 v17, 0
	v_mov_b32_e32 v10, 0
	;; [unrolled: 1-line block ×5, first 2 shown]
	s_and_saveexec_b64 s[2:3], vcc
	s_cbranch_execz .LBB534_55
; %bb.54:
	v_mov_b32_e32 v15, 0
	v_lshl_add_u64 v[10:11], s[4:5], 0, v[14:15]
	v_lshlrev_b32_e32 v14, 1, v18
	v_lshl_add_u64 v[10:11], v[10:11], 0, v[14:15]
	global_load_dwordx4 v[10:13], v[10:11], off offset:128
.LBB534_55:
	s_or_b64 exec, exec, s[2:3]
	v_mov_b32_e32 v16, 0
	v_mov_b32_e32 v15, 0
	;; [unrolled: 1-line block ×3, first 2 shown]
	s_and_saveexec_b64 s[2:3], s[0:1]
	s_cbranch_execz .LBB534_57
; %bb.56:
	v_mov_b32_e32 v21, 0
	v_lshl_add_u64 v[14:15], s[4:5], 0, v[20:21]
	v_lshlrev_b32_e32 v20, 1, v18
	v_lshl_add_u64 v[14:15], v[14:15], 0, v[20:21]
	global_load_dwordx4 v[14:17], v[14:15], off offset:128
.LBB534_57:
	s_or_b64 exec, exec, s[2:3]
	s_branch .LBB534_60
.LBB534_58:
                                        ; implicit-def: $vgpr5
                                        ; implicit-def: $vgpr9
                                        ; implicit-def: $vgpr13
                                        ; implicit-def: $vgpr17
	s_cbranch_execz .LBB534_60
; %bb.59:
	s_waitcnt vmcnt(0)
	v_lshlrev_b32_e32 v2, 1, v18
	v_lshl_or_b32 v18, v27, 9, v2
	s_and_b32 s5, s5, 0xffff
	s_mov_b32 s7, 0x20000
	s_movk_i32 s6, 0x4000
	s_movk_i32 s0, 0x80
	buffer_load_dwordx4 v[2:5], v18, s[4:7], 0 offen
	buffer_load_dwordx4 v[6:9], v18, s[4:7], 0 offen offset:256
	buffer_load_dwordx4 v[10:13], v18, s[4:7], s0 offen
	buffer_load_dwordx4 v[14:17], v18, s[4:7], s0 offen offset:256
.LBB534_60:
	v_and_b32_e32 v40, 12, v19
	ds_read2st64_b64 v[22:25], v38 offset0:76 offset1:77
	ds_read2st64_b64 v[18:21], v38 offset0:78 offset1:79
	ds_read_b64 v[32:33], v28 offset:24576
	ds_read_b64 v[34:35], v29 offset:24576
	;; [unrolled: 1-line block ×4, first 2 shown]
	v_and_b32_e32 v39, 6, v0
	v_xor_b32_e32 v27, v27, v39
	v_lshlrev_b32_e32 v27, 2, v27
	v_and_b32_e32 v41, 1, v0
	v_xor_b32_e32 v42, 0x440, v27
	v_cmp_eq_u32_e32 vcc, 0, v41
	s_mov_b32 s0, 0x1000504
	s_waitcnt vmcnt(0)
	v_perm_b32 v41, v10, v14, s0
	v_cndmask_b32_e32 v27, v42, v27, vcc
	v_lshl_or_b32 v27, v39, 10, v27
	v_perm_b32 v39, v2, v6, s0
	ds_write2st64_b32 v27, v39, v41 offset1:32
	v_xor_b32_e32 v39, 8, v27
	s_mov_b32 s1, 0x3020706
	v_perm_b32 v2, v2, v6, s1
	v_perm_b32 v6, v10, v14, s1
	v_add_u32_e32 v10, 0x80, v39
	ds_write2st64_b32 v10, v2, v6 offset1:32
	v_xor_b32_e32 v2, 16, v27
	v_perm_b32 v6, v3, v7, s0
	v_perm_b32 v10, v11, v15, s0
	ds_write2st64_b32 v2, v6, v10 offset0:1 offset1:33
	v_xor_b32_e32 v2, 24, v27
	v_perm_b32 v3, v3, v7, s1
	v_perm_b32 v6, v11, v15, s1
	v_add_u32_e32 v2, 0x80, v2
	ds_write2st64_b32 v2, v3, v6 offset0:1 offset1:33
	v_xor_b32_e32 v2, 32, v27
	v_perm_b32 v3, v4, v8, s0
	v_perm_b32 v6, v12, v16, s0
	ds_write2st64_b32 v2, v3, v6 offset0:2 offset1:34
	v_xor_b32_e32 v2, 40, v27
	v_perm_b32 v3, v4, v8, s1
	v_perm_b32 v4, v12, v16, s1
	v_add_u32_e32 v2, 0x80, v2
	ds_write2st64_b32 v2, v3, v4 offset0:2 offset1:34
	v_xor_b32_e32 v2, 48, v27
	v_perm_b32 v3, v5, v9, s0
	v_perm_b32 v4, v13, v17, s0
	ds_write2st64_b32 v2, v3, v4 offset0:3 offset1:35
	v_xor_b32_e32 v2, 56, v27
	v_or_b32_e32 v8, v40, v58
	v_perm_b32 v3, v5, v9, s1
	v_perm_b32 v4, v13, v17, s1
	v_add_u32_e32 v2, 0x80, v2
	v_cmp_gt_i32_e32 vcc, s51, v8
	v_mov_b32_e32 v9, 0
	v_mov_b32_e32 v14, 0
	ds_write2st64_b32 v2, v3, v4 offset0:3 offset1:35
	s_and_saveexec_b64 s[0:1], vcc
	s_cbranch_execz .LBB534_62
; %bb.61:
	v_add_u32_e32 v2, s20, v8
	v_ashrrev_i32_e32 v3, 31, v2
	v_mul_lo_u32 v4, v3, s14
	v_mul_lo_u32 v5, v2, s15
	v_mad_u64_u32 v[2:3], s[2:3], v2, s14, 0
	v_add3_u32 v3, v3, v5, v4
	v_lshl_add_u64 v[2:3], v[2:3], 2, s[10:11]
	global_load_dword v2, v[2:3], off
	s_waitcnt vmcnt(0)
	v_sub_f32_e32 v2, s16, v2
	v_exp_f32_e32 v14, v2
.LBB534_62:
	s_or_b64 exec, exec, s[0:1]
	v_or_b32_e32 v11, 1, v8
	v_cmp_gt_i32_e64 s[0:1], s51, v11
	s_and_saveexec_b64 s[2:3], s[0:1]
	s_cbranch_execz .LBB534_64
; %bb.63:
	v_add_u32_e32 v2, s20, v11
	v_ashrrev_i32_e32 v3, 31, v2
	v_mul_lo_u32 v4, v3, s14
	v_mul_lo_u32 v5, v2, s15
	v_mad_u64_u32 v[2:3], s[4:5], v2, s14, 0
	v_add3_u32 v3, v3, v5, v4
	v_lshl_add_u64 v[2:3], v[2:3], 2, s[10:11]
	global_load_dword v2, v[2:3], off
	s_waitcnt vmcnt(0)
	v_sub_f32_e32 v2, s16, v2
	v_exp_f32_e32 v9, v2
.LBB534_64:
	s_or_b64 exec, exec, s[2:3]
	v_or_b32_e32 v12, 2, v8
	v_cmp_gt_i32_e64 s[2:3], s51, v12
	v_mov_b32_e32 v10, 0
	v_mov_b32_e32 v15, 0
	s_and_saveexec_b64 s[4:5], s[2:3]
	s_cbranch_execz .LBB534_66
; %bb.65:
	v_add_u32_e32 v2, s20, v12
	v_ashrrev_i32_e32 v3, 31, v2
	v_mul_lo_u32 v4, v3, s14
	v_mul_lo_u32 v5, v2, s15
	v_mad_u64_u32 v[2:3], s[6:7], v2, s14, 0
	v_add3_u32 v3, v3, v5, v4
	v_lshl_add_u64 v[2:3], v[2:3], 2, s[10:11]
	global_load_dword v2, v[2:3], off
	s_waitcnt vmcnt(0)
	v_sub_f32_e32 v2, s16, v2
	v_exp_f32_e32 v15, v2
.LBB534_66:
	s_or_b64 exec, exec, s[4:5]
	v_or_b32_e32 v13, 3, v8
	v_cmp_gt_i32_e64 s[4:5], s51, v13
	s_and_saveexec_b64 s[6:7], s[4:5]
	s_cbranch_execz .LBB534_68
; %bb.67:
	v_add_u32_e32 v2, s20, v13
	v_ashrrev_i32_e32 v3, 31, v2
	v_mul_lo_u32 v4, v3, s14
	v_mul_lo_u32 v5, v2, s15
	v_mad_u64_u32 v[2:3], s[14:15], v2, s14, 0
	v_add3_u32 v3, v3, v5, v4
	v_lshl_add_u64 v[2:3], v[2:3], 2, s[10:11]
	global_load_dword v2, v[2:3], off
	s_waitcnt vmcnt(0)
	v_sub_f32_e32 v2, s16, v2
	v_exp_f32_e32 v10, v2
.LBB534_68:
	s_or_b64 exec, exec, s[6:7]
	s_waitcnt lgkmcnt(11)
	v_mfma_f32_16x16x16_bf16 a[0:3], v[32:33], v[22:23], a[0:3]
	s_add_u32 s6, s8, s28
	v_ashrrev_i32_e32 v27, 31, v26
	s_addc_u32 s7, s9, s29
	s_waitcnt lgkmcnt(10)
	v_mfma_f32_16x16x16_bf16 a[0:3], v[34:35], v[24:25], a[0:3]
	v_mov_b32_e32 v16, 0
	v_lshl_add_u64 v[6:7], v[26:27], 1, s[6:7]
	v_mov_b32_e32 v17, 0
	s_waitcnt lgkmcnt(9)
	v_mfma_f32_16x16x16_bf16 a[0:3], v[30:31], v[18:19], a[0:3]
	s_waitcnt lgkmcnt(8)
	v_mfma_f32_16x16x16_bf16 a[0:3], v[28:29], v[20:21], a[0:3]
	s_nop 6
	v_accvgpr_read_b32 v5, a3
	v_accvgpr_read_b32 v4, a2
	;; [unrolled: 1-line block ×4, first 2 shown]
	s_and_saveexec_b64 s[6:7], vcc
	s_cbranch_execz .LBB534_70
; %bb.69:
	v_lshlrev_b32_e32 v18, 8, v8
	v_mov_b32_e32 v19, 0
	v_lshl_add_u64 v[18:19], v[6:7], 0, v[18:19]
	global_load_ushort v17, v[18:19], off
	s_waitcnt vmcnt(0)
	v_lshlrev_b32_e32 v17, 16, v17
	v_sub_f32_e32 v2, v17, v2
	v_mul_f32_e32 v2, v14, v2
	v_lshrrev_b32_e32 v17, 16, v2
.LBB534_70:
	s_or_b64 exec, exec, s[6:7]
	s_and_saveexec_b64 s[6:7], s[0:1]
	s_cbranch_execz .LBB534_72
; %bb.71:
	v_lshlrev_b32_e32 v18, 8, v11
	v_mov_b32_e32 v19, 0
	v_lshl_add_u64 v[18:19], v[6:7], 0, v[18:19]
	global_load_ushort v2, v[18:19], off
	s_waitcnt vmcnt(0)
	v_lshlrev_b32_e32 v2, 16, v2
	v_sub_f32_e32 v2, v2, v3
	v_mul_f32_e32 v2, v9, v2
	v_lshrrev_b32_e32 v16, 16, v2
.LBB534_72:
	s_or_b64 exec, exec, s[6:7]
	v_mov_b32_e32 v3, 0
	v_mov_b32_e32 v9, 0
	s_and_saveexec_b64 s[0:1], s[2:3]
	s_cbranch_execz .LBB534_74
; %bb.73:
	v_lshlrev_b32_e32 v18, 8, v12
	v_mov_b32_e32 v19, 0
	v_lshl_add_u64 v[18:19], v[6:7], 0, v[18:19]
	global_load_ushort v2, v[18:19], off
	s_waitcnt vmcnt(0)
	v_lshlrev_b32_e32 v2, 16, v2
	v_sub_f32_e32 v2, v2, v4
	v_mul_f32_e32 v2, v15, v2
	v_lshrrev_b32_e32 v9, 16, v2
.LBB534_74:
	s_or_b64 exec, exec, s[0:1]
	v_or_b32_e32 v2, 0x9800, v38
	s_and_saveexec_b64 s[0:1], s[4:5]
	s_cbranch_execz .LBB534_76
; %bb.75:
	v_lshlrev_b32_e32 v12, 8, v13
	v_mov_b32_e32 v13, 0
	v_lshl_add_u64 v[6:7], v[6:7], 0, v[12:13]
	global_load_ushort v3, v[6:7], off
	s_waitcnt vmcnt(0)
	v_lshlrev_b32_e32 v3, 16, v3
	v_sub_f32_e32 v3, v3, v5
	v_mul_f32_e32 v3, v10, v3
	v_lshrrev_b32_e32 v3, 16, v3
.LBB534_76:
	s_or_b64 exec, exec, s[0:1]
	s_mov_b32 s0, 0x5040100
	v_perm_b32 v5, v3, v9, s0
	v_lshlrev_b32_e32 v3, 1, v36
	v_perm_b32 v4, v16, v17, s0
	v_lshl_or_b32 v3, v8, 5, v3
	s_movk_i32 s2, 0xff
	ds_write_b64 v3, v[4:5] offset:38912
	v_and_b32_e32 v3, 7, v0
	v_cmp_lt_u32_e32 vcc, s2, v0
	v_and_b32_e32 v4, 8, v0
	v_lshlrev_b32_e32 v9, 3, v3
	v_lshlrev_b32_e32 v22, 7, v3
	v_cndmask_b32_e64 v3, 0, 1, vcc
	v_lshrrev_b32_e32 v0, 1, v0
	v_lshlrev_b32_e32 v16, 13, v3
	v_lshlrev_b32_e32 v3, 3, v45
	v_and_b32_e32 v0, 24, v0
	v_xor_b32_e32 v5, v3, v0
	v_or_b32_e32 v6, 0x440, v5
	v_cmp_eq_u32_e32 vcc, 0, v4
	s_waitcnt lgkmcnt(0)
	s_barrier
	v_cndmask_b32_e32 v4, v6, v5, vcc
	v_or_b32_e32 v4, v4, v37
	v_xor_b32_e32 v23, v4, v9
	v_or_b32_e32 v4, 32, v0
	v_xor_b32_e32 v4, v3, v4
	v_or_b32_e32 v5, 0x440, v4
	v_cndmask_b32_e32 v4, v5, v4, vcc
	v_or_b32_e32 v4, v4, v37
	v_xor_b32_e32 v24, v4, v9
	v_or_b32_e32 v4, 64, v0
	v_xor_b32_e32 v4, v3, v4
	v_xor_b32_e32 v5, 0x440, v4
	v_cndmask_b32_e32 v4, v5, v4, vcc
	v_add3_u32 v14, v16, v23, v22
	v_or_b32_e32 v4, v4, v37
	v_or_b32_e32 v0, 0x60, v0
	v_xor_b32_e32 v25, v4, v9
	ds_read2st64_b64 v[4:7], v2 offset1:1
	ds_read2st64_b64 v[10:13], v2 offset0:2 offset1:3
	v_xor_b32_e32 v0, v3, v0
	ds_read_b64 v[2:3], v14
	v_add3_u32 v15, v16, v24, v22
	v_xor_b32_e32 v14, 0x440, v0
	v_cndmask_b32_e32 v0, v14, v0, vcc
	ds_read_b64 v[14:15], v15
	s_mul_i32 s0, s18, s17
	s_mul_hi_i32 s1, s18, s17
	s_add_u32 s0, s0, s46
	s_waitcnt lgkmcnt(1)
	v_mfma_f32_16x16x16_bf16 a[0:3], v[2:3], v[4:5], 0
	s_addc_u32 s1, s1, s21
	s_lshl_b64 s[0:1], s[0:1], 9
	v_or_b32_e32 v0, v0, v37
	s_add_u32 s0, s36, s0
	v_add3_u32 v17, v16, v25, v22
	v_xor_b32_e32 v0, v0, v9
	s_addc_u32 s1, s37, s1
	v_lshlrev_b32_e32 v2, 2, v8
	v_add3_u32 v9, v16, v0, v22
	ds_read_b64 v[18:19], v17
	ds_read_b64 v[20:21], v9
	s_waitcnt lgkmcnt(2)
	v_mfma_f32_16x16x16_bf16 a[0:3], v[14:15], v[6:7], a[0:3]
	global_load_dwordx4 v[14:17], v2, s[0:1]
	v_add_u32_e32 v2, v23, v22
	ds_read_b64 v[2:3], v2 offset:8192
	v_lshlrev_b32_e32 v8, 6, v45
	v_lshlrev_b32_e32 v9, 2, v40
	s_movk_i32 s2, 0x100
	s_waitcnt lgkmcnt(2)
	v_mfma_f32_16x16x16_bf16 a[0:3], v[18:19], v[10:11], a[0:3]
	v_or3_b32 v27, v8, v9, s2
	v_add_u32_e32 v8, v24, v22
	v_add_u32_e32 v18, v25, v22
	;; [unrolled: 1-line block ×3, first 2 shown]
	ds_read_b64 v[8:9], v8 offset:8192
	ds_read_b64 v[18:19], v18 offset:8192
	;; [unrolled: 1-line block ×3, first 2 shown]
	s_waitcnt lgkmcnt(3)
	v_mfma_f32_16x16x16_bf16 a[4:7], v[2:3], v[4:5], 0
	global_load_dwordx4 v[2:5], v27, s[0:1]
	v_exp_f32_e32 v0, s16
	s_waitcnt vmcnt(1)
	v_exp_f32_e32 v14, v14
	v_mfma_f32_16x16x16_bf16 a[0:3], v[20:21], v[12:13], a[0:3]
	v_exp_f32_e32 v15, v15
	v_exp_f32_e32 v16, v16
	;; [unrolled: 1-line block ×3, first 2 shown]
	v_pk_mul_f32 v[14:15], v[0:1], v[14:15] op_sel_hi:[0,1]
	v_pk_mul_f32 v[16:17], v[0:1], v[16:17] op_sel_hi:[0,1]
	s_nop 1
	v_accvgpr_read_b32 v25, a1
	v_accvgpr_read_b32 v21, a3
	;; [unrolled: 1-line block ×4, first 2 shown]
	s_waitcnt lgkmcnt(2)
	v_mfma_f32_16x16x16_bf16 a[0:3], v[8:9], v[6:7], a[4:7]
	s_waitcnt vmcnt(0)
	v_mov_b32_e32 v6, v5
	v_mov_b32_e32 v5, v4
	;; [unrolled: 1-line block ×3, first 2 shown]
	s_waitcnt lgkmcnt(1)
	v_mfma_f32_16x16x16_bf16 a[0:3], v[18:19], v[10:11], a[0:3]
	v_exp_f32_e32 v2, v2
	v_exp_f32_e32 v3, v4
	;; [unrolled: 1-line block ×3, first 2 shown]
	s_waitcnt lgkmcnt(0)
	v_mfma_f32_16x16x16_bf16 a[0:3], v[22:23], v[12:13], a[0:3]
	v_exp_f32_e32 v5, v6
	v_pk_mul_f32 v[2:3], v[0:1], v[2:3] op_sel_hi:[0,1]
	v_pk_fma_f32 v[46:47], v[46:47], v[14:15], v[24:25]
	v_pk_fma_f32 v[52:53], v[52:53], v[16:17], v[20:21]
	s_nop 2
	v_accvgpr_read_b32 v9, a1
	v_accvgpr_read_b32 v8, a0
	;; [unrolled: 1-line block ×4, first 2 shown]
	v_pk_fma_f32 v[50:51], v[50:51], v[2:3], v[8:9]
	v_pk_mul_f32 v[2:3], v[0:1], v[4:5] op_sel_hi:[0,1]
	v_pk_fma_f32 v[48:49], v[48:49], v[2:3], v[6:7]
	v_mov_b32_e32 v2, v26
.LBB534_77:
	s_mul_i32 s0, s47, s35
	s_mul_hi_u32 s1, s47, s34
	s_add_i32 s0, s1, s0
	s_mul_i32 s1, s33, s34
	s_add_i32 s1, s0, s1
	s_mul_i32 s0, s47, s34
	s_add_u32 s0, s0, s46
	s_addc_u32 s1, s1, s21
	s_lshl_b64 s[0:1], s[0:1], 15
	s_add_u32 s0, s12, s0
	v_lshlrev_b32_e32 v2, 7, v2
	s_addc_u32 s1, s13, s1
	v_ashrrev_i32_e32 v3, 31, v2
	v_lshl_add_u64 v[2:3], v[2:3], 1, s[0:1]
	v_lshlrev_b32_e32 v0, 1, v1
	v_mov_b32_e32 v1, 0
	s_mov_b32 s0, 0x7060302
	v_lshl_add_u64 v[0:1], v[2:3], 0, v[0:1]
	v_perm_b32 v3, v53, v52, s0
	v_perm_b32 v2, v47, v46, s0
	global_store_dwordx2 v[0:1], v[2:3], off
	v_perm_b32 v3, v49, v48, s0
	v_perm_b32 v2, v51, v50, s0
	global_store_dwordx2 v[0:1], v[2:3], off offset:128
	s_endpgm
	.section	.rodata,"a",@progbits
	.p2align	6, 0x0
	.amdhsa_kernel _ZN12_GLOBAL__N_139chunk_gated_delta_rule_fwd_h_hip_kernelILi16ELb0ELb1ELb0ELb1ELb1ELb1ELb0ELb1EEEvPK12hip_bfloat16S3_S3_PKfS5_PKvPS1_S8_PvPKiSB_iiiiilll
		.amdhsa_group_segment_fixed_size 40960
		.amdhsa_private_segment_fixed_size 0
		.amdhsa_kernarg_size 136
		.amdhsa_user_sgpr_count 2
		.amdhsa_user_sgpr_dispatch_ptr 0
		.amdhsa_user_sgpr_queue_ptr 0
		.amdhsa_user_sgpr_kernarg_segment_ptr 1
		.amdhsa_user_sgpr_dispatch_id 0
		.amdhsa_user_sgpr_kernarg_preload_length 0
		.amdhsa_user_sgpr_kernarg_preload_offset 0
		.amdhsa_user_sgpr_private_segment_size 0
		.amdhsa_uses_dynamic_stack 0
		.amdhsa_enable_private_segment 0
		.amdhsa_system_sgpr_workgroup_id_x 1
		.amdhsa_system_sgpr_workgroup_id_y 1
		.amdhsa_system_sgpr_workgroup_id_z 0
		.amdhsa_system_sgpr_workgroup_info 0
		.amdhsa_system_vgpr_workitem_id 0
		.amdhsa_next_free_vgpr 124
		.amdhsa_next_free_sgpr 65
		.amdhsa_accum_offset 112
		.amdhsa_reserve_vcc 1
		.amdhsa_float_round_mode_32 0
		.amdhsa_float_round_mode_16_64 0
		.amdhsa_float_denorm_mode_32 3
		.amdhsa_float_denorm_mode_16_64 3
		.amdhsa_dx10_clamp 1
		.amdhsa_ieee_mode 1
		.amdhsa_fp16_overflow 0
		.amdhsa_tg_split 0
		.amdhsa_exception_fp_ieee_invalid_op 0
		.amdhsa_exception_fp_denorm_src 0
		.amdhsa_exception_fp_ieee_div_zero 0
		.amdhsa_exception_fp_ieee_overflow 0
		.amdhsa_exception_fp_ieee_underflow 0
		.amdhsa_exception_fp_ieee_inexact 0
		.amdhsa_exception_int_div_zero 0
	.end_amdhsa_kernel
	.section	.text._ZN12_GLOBAL__N_139chunk_gated_delta_rule_fwd_h_hip_kernelILi16ELb0ELb1ELb0ELb1ELb1ELb1ELb0ELb1EEEvPK12hip_bfloat16S3_S3_PKfS5_PKvPS1_S8_PvPKiSB_iiiiilll,"axG",@progbits,_ZN12_GLOBAL__N_139chunk_gated_delta_rule_fwd_h_hip_kernelILi16ELb0ELb1ELb0ELb1ELb1ELb1ELb0ELb1EEEvPK12hip_bfloat16S3_S3_PKfS5_PKvPS1_S8_PvPKiSB_iiiiilll,comdat
.Lfunc_end534:
	.size	_ZN12_GLOBAL__N_139chunk_gated_delta_rule_fwd_h_hip_kernelILi16ELb0ELb1ELb0ELb1ELb1ELb1ELb0ELb1EEEvPK12hip_bfloat16S3_S3_PKfS5_PKvPS1_S8_PvPKiSB_iiiiilll, .Lfunc_end534-_ZN12_GLOBAL__N_139chunk_gated_delta_rule_fwd_h_hip_kernelILi16ELb0ELb1ELb0ELb1ELb1ELb1ELb0ELb1EEEvPK12hip_bfloat16S3_S3_PKfS5_PKvPS1_S8_PvPKiSB_iiiiilll
                                        ; -- End function
	.section	.AMDGPU.csdata,"",@progbits
; Kernel info:
; codeLenInByte = 7976
; NumSgprs: 71
; NumVgprs: 112
; NumAgprs: 12
; TotalNumVgprs: 124
; ScratchSize: 0
; MemoryBound: 0
; FloatMode: 240
; IeeeMode: 1
; LDSByteSize: 40960 bytes/workgroup (compile time only)
; SGPRBlocks: 8
; VGPRBlocks: 15
; NumSGPRsForWavesPerEU: 71
; NumVGPRsForWavesPerEU: 124
; AccumOffset: 112
; Occupancy: 1
; WaveLimiterHint : 1
; COMPUTE_PGM_RSRC2:SCRATCH_EN: 0
; COMPUTE_PGM_RSRC2:USER_SGPR: 2
; COMPUTE_PGM_RSRC2:TRAP_HANDLER: 0
; COMPUTE_PGM_RSRC2:TGID_X_EN: 1
; COMPUTE_PGM_RSRC2:TGID_Y_EN: 1
; COMPUTE_PGM_RSRC2:TGID_Z_EN: 0
; COMPUTE_PGM_RSRC2:TIDIG_COMP_CNT: 0
; COMPUTE_PGM_RSRC3_GFX90A:ACCUM_OFFSET: 27
; COMPUTE_PGM_RSRC3_GFX90A:TG_SPLIT: 0
	.section	.text._ZN12_GLOBAL__N_139chunk_gated_delta_rule_fwd_h_hip_kernelILi16ELb0ELb0ELb1ELb1ELb1ELb1ELb0ELb1EEEvPK12hip_bfloat16S3_S3_PKfS5_PKvPS1_S8_PvPKiSB_iiiiilll,"axG",@progbits,_ZN12_GLOBAL__N_139chunk_gated_delta_rule_fwd_h_hip_kernelILi16ELb0ELb0ELb1ELb1ELb1ELb1ELb0ELb1EEEvPK12hip_bfloat16S3_S3_PKfS5_PKvPS1_S8_PvPKiSB_iiiiilll,comdat
	.globl	_ZN12_GLOBAL__N_139chunk_gated_delta_rule_fwd_h_hip_kernelILi16ELb0ELb0ELb1ELb1ELb1ELb1ELb0ELb1EEEvPK12hip_bfloat16S3_S3_PKfS5_PKvPS1_S8_PvPKiSB_iiiiilll ; -- Begin function _ZN12_GLOBAL__N_139chunk_gated_delta_rule_fwd_h_hip_kernelILi16ELb0ELb0ELb1ELb1ELb1ELb1ELb0ELb1EEEvPK12hip_bfloat16S3_S3_PKfS5_PKvPS1_S8_PvPKiSB_iiiiilll
	.p2align	8
	.type	_ZN12_GLOBAL__N_139chunk_gated_delta_rule_fwd_h_hip_kernelILi16ELb0ELb0ELb1ELb1ELb1ELb1ELb0ELb1EEEvPK12hip_bfloat16S3_S3_PKfS5_PKvPS1_S8_PvPKiSB_iiiiilll,@function
_ZN12_GLOBAL__N_139chunk_gated_delta_rule_fwd_h_hip_kernelILi16ELb0ELb0ELb1ELb1ELb1ELb1ELb0ELb1EEEvPK12hip_bfloat16S3_S3_PKfS5_PKvPS1_S8_PvPKiSB_iiiiilll: ; @_ZN12_GLOBAL__N_139chunk_gated_delta_rule_fwd_h_hip_kernelILi16ELb0ELb0ELb1ELb1ELb1ELb1ELb0ELb1EEEvPK12hip_bfloat16S3_S3_PKfS5_PKvPS1_S8_PvPKiSB_iiiiilll
; %bb.0:
	s_load_dwordx4 s[16:19], s[0:1], 0x5c
	s_load_dwordx4 s[20:23], s[0:1], 0x70
	s_abs_i32 s25, s3
	s_ashr_i32 s24, s3, 31
	s_load_dwordx4 s[12:15], s[0:1], 0x30
	s_load_dwordx4 s[28:31], s[0:1], 0x48
	s_waitcnt lgkmcnt(0)
	s_abs_i32 s34, s17
	v_cvt_f32_u32_e32 v1, s34
	s_sub_i32 s26, 0, s34
	s_ashr_i32 s35, s17, 31
	s_xor_b32 s24, s24, s35
	v_rcp_iflag_f32_e32 v1, v1
	s_load_dwordx8 s[4:11], s[0:1], 0x0
	v_lshrrev_b32_e32 v61, 6, v0
	v_bfe_u32 v62, v0, 4, 2
	v_mul_f32_e32 v1, 0x4f7ffffe, v1
	v_cvt_u32_f32_e32 v1, v1
	v_lshlrev_b32_e32 v45, 4, v61
	v_lshlrev_b32_e32 v2, 2, v62
	v_and_b32_e32 v60, 63, v0
	v_readfirstlane_b32 s27, v1
	s_mul_i32 s26, s26, s27
	s_mul_hi_u32 s26, s27, s26
	s_add_i32 s27, s27, s26
	s_mul_hi_u32 s26, s25, s27
	s_mul_i32 s27, s26, s34
	s_sub_i32 s25, s25, s27
	s_add_i32 s33, s26, 1
	s_sub_i32 s27, s25, s34
	s_cmp_ge_u32 s25, s34
	s_cselect_b32 s26, s33, s26
	s_cselect_b32 s25, s27, s25
	s_add_i32 s27, s26, 1
	s_cmp_ge_u32 s25, s34
	s_cselect_b32 s25, s27, s26
	s_xor_b32 s25, s25, s24
	s_sub_i32 s24, s25, s24
	s_mul_i32 s25, s24, s17
	s_sub_i32 s33, s3, s25
	s_ashr_i32 s25, s24, 31
	s_lshl_b64 s[26:27], s[24:25], 2
	s_add_u32 s28, s28, s26
	s_addc_u32 s29, s29, s27
	s_add_u32 s26, s30, s26
	s_addc_u32 s27, s31, s27
	s_abs_i32 s3, s18
	v_cvt_f32_u32_e32 v1, s3
	s_load_dwordx2 s[38:39], s[28:29], 0x0
	s_sub_i32 s29, 0, s3
	s_load_dword s48, s[26:27], 0x0
	v_rcp_iflag_f32_e32 v1, v1
	v_or_b32_e32 v66, v2, v45
	s_waitcnt lgkmcnt(0)
	s_sub_i32 s49, s39, s38
	s_ashr_i32 s28, s49, 31
	v_mul_f32_e32 v1, 0x4f7ffffe, v1
	v_cvt_u32_f32_e32 v1, v1
	s_lshr_b32 s28, s28, 26
	s_add_i32 s28, s49, s28
	s_ashr_i32 s47, s28, 6
	v_readfirstlane_b32 s30, v1
	s_mul_i32 s29, s29, s30
	s_mul_hi_u32 s29, s30, s29
	s_add_i32 s30, s30, s29
	s_mul_hi_u32 s29, s34, s30
	s_mul_i32 s30, s29, s3
	s_ashr_i32 s28, s18, 31
	s_sub_i32 s30, s34, s30
	s_xor_b32 s28, s35, s28
	s_add_i32 s31, s29, 1
	s_sub_i32 s34, s30, s3
	s_cmp_ge_u32 s30, s3
	s_cselect_b32 s29, s31, s29
	s_cselect_b32 s30, s34, s30
	s_add_i32 s31, s29, 1
	s_cmp_ge_u32 s30, s3
	s_cselect_b32 s3, s31, s29
	s_xor_b32 s3, s3, s28
	s_sub_i32 s3, s3, s28
	s_abs_i32 s28, s3
	v_cvt_f32_u32_e32 v1, s28
	s_sub_i32 s27, 0, s28
	s_abs_i32 s26, s33
	s_xor_b32 s3, s33, s3
	v_rcp_iflag_f32_e32 v1, v1
	s_ashr_i32 s3, s3, 31
	s_load_dwordx2 s[34:35], s[0:1], 0x80
	v_mov_b32_e32 v49, 0
	v_mul_f32_e32 v1, 0x4f7ffffe, v1
	v_cvt_u32_f32_e32 v1, v1
	v_or_b32_e32 v65, 64, v66
	s_mul_hi_i32 s50, s33, s16
	s_mul_i32 s51, s33, s16
	v_readfirstlane_b32 s29, v1
	s_mul_i32 s27, s27, s29
	s_mul_hi_u32 s27, s29, s27
	s_add_i32 s29, s29, s27
	s_mul_hi_u32 s27, s26, s29
	s_mul_i32 s29, s27, s28
	s_sub_i32 s26, s26, s29
	s_add_i32 s29, s27, 1
	s_sub_i32 s30, s26, s28
	s_cmp_ge_u32 s26, s28
	s_cselect_b32 s27, s29, s27
	s_cselect_b32 s26, s30, s26
	s_add_i32 s29, s27, 1
	s_cmp_ge_u32 s26, s28
	s_cselect_b32 s26, s29, s27
	s_xor_b32 s26, s26, s3
	s_sub_i32 s53, s26, s3
	s_lshl_b32 s36, s2, 4
	v_and_b32_e32 v1, 15, v0
	s_cmp_lt_i32 s49, 64
	v_lshrrev_b32_e32 v64, 3, v60
	v_lshlrev_b32_e32 v63, 3, v0
	s_mul_i32 s44, s24, s21
	s_mul_hi_u32 s45, s24, s20
	s_mul_i32 s46, s25, s20
	s_mul_i32 s20, s24, s20
	v_mov_b32_e32 v48, v49
	v_mov_b32_e32 v51, v49
	;; [unrolled: 1-line block ×7, first 2 shown]
	s_cbranch_scc1 .LBB535_18
; %bb.1:
	s_ashr_i32 s55, s33, 31
	s_ashr_i32 s3, s38, 31
	s_add_u32 s2, s51, s38
	s_addc_u32 s3, s50, s3
	s_lshl_b64 s[2:3], s[2:3], 8
	v_and_b32_e32 v68, 56, v63
	s_add_u32 s24, s6, s2
	v_lshl_or_b32 v67, v61, 3, v64
	v_lshlrev_b32_e32 v3, 1, v68
	s_addc_u32 s2, s7, s3
	v_lshl_or_b32 v69, v67, 8, v3
	s_and_b32 s25, s2, 0xffff
	s_mov_b32 s27, 0x20000
	s_movk_i32 s26, 0x4000
	s_movk_i32 s2, 0x80
	v_or_b32_e32 v70, 0x2000, v69
	buffer_load_dwordx4 v[4:7], v69, s[24:27], 0 offen
	buffer_load_dwordx4 v[8:11], v69, s[24:27], s2 offen
	buffer_load_dwordx4 v[12:15], v70, s[24:27], 0 offen
	buffer_load_dwordx4 v[16:19], v70, s[24:27], s2 offen
	v_lshlrev_b32_e32 v20, 3, v67
	v_and_or_b32 v22, v0, 7, v20
	v_and_b32_e32 v20, 0x78, v20
	v_lshlrev_b32_e32 v22, 4, v22
	v_xor_b32_e32 v71, v22, v20
	v_mul_lo_u32 v21, v67, s19
	v_or_b32_e32 v72, 0x1000, v71
	s_cmpk_eq_i32 s19, 0x80
	s_mov_b32 s52, s17
	s_mov_b32 s54, s38
	v_xor_b32_e32 v20, 8, v71
	v_xor_b32_e32 v22, 8, v72
	s_cselect_b64 s[2:3], -1, 0
	s_cmpk_lg_i32 s19, 0x80
	s_waitcnt vmcnt(3)
	ds_write_b64 v71, v[4:5] offset:16384
	ds_write_b64 v20, v[6:7] offset:16384
	s_waitcnt vmcnt(2)
	ds_write_b64 v71, v[8:9] offset:24576
	ds_write_b64 v20, v[10:11] offset:24576
	;; [unrolled: 3-line block ×4, first 2 shown]
	v_lshl_add_u32 v4, v21, 1, v68
	s_cbranch_scc0 .LBB535_3
; %bb.2:
	v_lshlrev_b32_e32 v6, 1, v4
	v_add_lshl_u32 v5, v4, s19, 1
	s_lshl_b32 s26, s19, 7
	s_load_dwordx2 s[40:41], s[0:1], 0x20
	v_lshl_or_b32 v3, v67, 9, v3
	s_cbranch_execz .LBB535_4
	s_branch .LBB535_5
.LBB535_3:
                                        ; implicit-def: $vgpr5
                                        ; implicit-def: $vgpr6
                                        ; implicit-def: $sgpr26
	s_load_dwordx2 s[40:41], s[0:1], 0x20
	v_lshl_or_b32 v3, v67, 9, v3
.LBB535_4:
	v_or_b32_e32 v5, 0x100, v3
	s_movk_i32 s26, 0x4000
	v_mov_b32_e32 v6, v3
.LBB535_5:
	s_mul_i32 s0, s38, s18
	s_ashr_i32 s56, s53, 31
	s_mul_hi_i32 s1, s38, s18
	s_add_u32 s0, s0, s53
	s_addc_u32 s1, s1, s56
	s_lshl_b64 s[0:1], s[0:1], 8
	s_add_u32 s24, s4, s0
	s_addc_u32 s0, s5, s1
	s_and_b32 s25, s0, 0xffff
	s_movk_i32 s57, 0x80
	buffer_load_dwordx4 v[8:11], v6, s[24:27], 0 offen
	buffer_load_dwordx4 v[12:15], v6, s[24:27], s57 offen
	;; [unrolled: 1-line block ×4, first 2 shown]
	v_and_b32_e32 v5, 6, v0
	v_lshlrev_b32_e32 v7, 2, v1
	v_lshlrev_b32_e32 v24, 3, v1
	v_xor_b32_e32 v26, v67, v5
	v_and_b32_e32 v6, 1, v0
	v_lshl_or_b32 v24, v66, 5, v24
	v_xor_b32_e32 v27, v66, v7
	v_lshlrev_b32_e32 v26, 2, v26
	s_mul_i32 s1, s33, s23
	s_mul_hi_u32 s21, s33, s22
	v_or_b32_e32 v73, 0x9000, v24
	v_or_b32_e32 v74, 0x9800, v24
	v_lshlrev_b32_e32 v24, 1, v27
	v_xor_b32_e32 v27, 0x440, v26
	v_cmp_eq_u32_e32 vcc, 0, v6
	s_add_i32 s25, s45, s44
	s_mul_i32 s24, s55, s22
	v_cndmask_b32_e32 v6, v27, v26, vcc
	s_add_i32 s1, s21, s1
	s_add_i32 s21, s25, s46
	s_mov_b32 s58, 0x1000504
	v_lshlrev_b32_e32 v25, 8, v1
	s_mov_b32 s26, 0x8000
	v_xor_b32_e32 v7, v65, v7
	v_lshl_or_b32 v5, v5, 10, v6
	s_add_i32 s1, s1, s24
	s_lshl_b64 s[24:25], s[20:21], 2
	s_mov_b32 s59, 0x3020706
	s_mul_i32 s0, s33, s22
	v_lshlrev_b32_e32 v7, 1, v7
	v_or3_b32 v75, v24, v25, s26
	v_xor_b32_e32 v6, 8, v5
	v_xor_b32_e32 v24, 24, v5
	;; [unrolled: 1-line block ×4, first 2 shown]
	s_add_u32 s21, s10, s24
	v_or3_b32 v76, v7, v25, s26
	v_xor_b32_e32 v7, 16, v5
	v_xor_b32_e32 v25, 32, v5
	;; [unrolled: 1-line block ×3, first 2 shown]
	v_add_u32_e32 v6, 0x80, v6
	v_add_u32_e32 v24, 0x80, v24
	;; [unrolled: 1-line block ×4, first 2 shown]
	s_addc_u32 s24, s11, s25
	s_lshl_b64 s[0:1], s[0:1], 2
	s_add_u32 s42, s21, s0
	s_movk_i32 s0, 0xf8
	s_addc_u32 s43, s24, s1
	s_ashr_i32 s37, s36, 31
	s_lshl_b32 s30, s19, 7
	v_mov_b32_e32 v47, 0
	s_mov_b32 s60, 0
	v_add_u32_e32 v87, v45, v2
	s_mov_b32 s21, 0x7060302
	v_mov_b32_e32 v52, v47
	v_mov_b32_e32 v53, v47
	;; [unrolled: 1-line block ×6, first 2 shown]
	s_waitcnt vmcnt(1)
	v_perm_b32 v29, v8, v16, s58
	s_waitcnt vmcnt(0)
	v_perm_b32 v30, v12, v20, s58
	v_perm_b32 v8, v8, v16, s59
	;; [unrolled: 1-line block ×15, first 2 shown]
	ds_write2st64_b32 v5, v29, v30 offset1:32
	ds_write2st64_b32 v6, v8, v12 offset1:32
	ds_write2st64_b32 v7, v16, v20 offset0:1 offset1:33
	ds_write2st64_b32 v24, v9, v13 offset0:1 offset1:33
	;; [unrolled: 1-line block ×6, first 2 shown]
	v_or_b32_e32 v5, v45, v1
	v_lshlrev_b32_e32 v5, 3, v5
	v_lshrrev_b32_e32 v7, 5, v60
	v_and_or_b32 v7, v5, s0, v7
	v_lshlrev_b32_e32 v7, 4, v7
	v_lshrrev_b32_e32 v6, 2, v60
	v_lshlrev_b32_e32 v11, 11, v61
	v_and_b32_e32 v5, 0x78, v5
	v_or_b32_e32 v12, 32, v7
	v_and_b32_e32 v10, 12, v6
	v_and_b32_e32 v6, 0x1000, v11
	v_lshrrev_b32_e32 v9, 1, v60
	v_xor_b32_e32 v12, v12, v5
	v_and_b32_e32 v9, 8, v9
	v_or_b32_e32 v12, v12, v6
	v_xor_b32_e32 v8, v7, v5
	v_xor_b32_e32 v79, v12, v9
	v_or_b32_e32 v12, 64, v7
	v_or_b32_e32 v7, 0x60, v7
	v_xor_b32_e32 v12, v12, v5
	v_xor_b32_e32 v5, v7, v5
	v_or_b32_e32 v5, v5, v6
	v_or_b32_e32 v12, v12, v6
	v_xor_b32_e32 v81, v5, v9
	v_lshlrev_b32_e32 v5, 1, v1
	v_xor_b32_e32 v80, v12, v9
	v_lshlrev_b32_e32 v12, 1, v4
	v_add_lshl_u32 v13, v4, s19, 1
	v_lshrrev_b32_e32 v4, 4, v0
	s_lshl_b64 s[0:1], s[36:37], 8
	v_or_b32_e32 v15, 1, v5
	s_add_u32 s0, s12, s0
	v_xor_b32_e32 v5, v4, v5
	v_xor_b32_e32 v15, v15, v4
	s_addc_u32 s1, s13, s1
	v_lshlrev_b32_e32 v5, 3, v5
	v_lshlrev_b32_e32 v46, 8, v4
	;; [unrolled: 1-line block ×3, first 2 shown]
	v_lshrrev_b32_e32 v19, 1, v0
	v_or3_b32 v83, v5, v46, s26
	v_or3_b32 v84, v4, v46, s26
	v_lshl_add_u64 v[4:5], s[0:1], 0, v[46:47]
	v_lshlrev_b32_e32 v46, 4, v1
	s_movk_i32 s0, 0xff
	v_lshlrev_b32_e32 v18, 3, v61
	v_and_b32_e32 v19, 24, v19
	v_lshl_add_u64 v[54:55], v[4:5], 0, v[46:47]
	v_and_b32_e32 v5, 8, v0
	v_cmp_lt_u32_e32 vcc, s0, v0
	v_xor_b32_e32 v20, v18, v19
	v_or_b32_e32 v21, 0x440, v20
	v_cndmask_b32_e64 v17, 0, 1, vcc
	v_cmp_eq_u32_e32 vcc, 0, v5
	v_or_b32_e32 v23, 64, v19
	v_xor_b32_e32 v23, v18, v23
	v_cndmask_b32_e32 v5, v21, v20, vcc
	v_or_b32_e32 v21, 32, v19
	v_or_b32_e32 v19, 0x60, v19
	v_xor_b32_e32 v21, v18, v21
	v_xor_b32_e32 v18, v18, v19
	v_or_b32_e32 v22, 0x440, v21
	v_xor_b32_e32 v24, 0x440, v23
	v_xor_b32_e32 v19, 0x440, v18
	v_or_b32_e32 v8, v8, v6
	v_or_b32_e32 v6, s36, v1
	v_and_b32_e32 v4, 7, v0
	v_cndmask_b32_e32 v21, v22, v21, vcc
	v_cndmask_b32_e32 v23, v24, v23, vcc
	;; [unrolled: 1-line block ×3, first 2 shown]
	v_xor_b32_e32 v77, v8, v9
	v_and_b32_e32 v8, 0x78, v63
	v_ashrrev_i32_e32 v7, 31, v6
	v_lshlrev_b32_e32 v15, 3, v4
	v_or_b32_e32 v5, v5, v11
	v_or_b32_e32 v21, v21, v11
	;; [unrolled: 1-line block ×4, first 2 shown]
	v_lshl_or_b32 v8, v62, 7, v8
	v_lshlrev_b64 v[6:7], 1, v[6:7]
	v_lshlrev_b32_e32 v17, 13, v17
	v_xor_b32_e32 v5, v5, v15
	v_xor_b32_e32 v21, v21, v15
	;; [unrolled: 1-line block ×4, first 2 shown]
	v_or_b32_e32 v78, 0x9000, v8
	v_or_b32_e32 v82, 0x9800, v8
	v_lshl_add_u64 v[8:9], s[8:9], 0, v[6:7]
	v_lshl_add_u64 v[6:7], s[14:15], 0, v[6:7]
	v_or_b32_e32 v14, 0x100, v3
	v_lshlrev_b32_e32 v16, 7, v4
	v_or_b32_e32 v4, v10, v45
	v_add_u32_e32 v20, v17, v5
	v_add_u32_e32 v22, v17, v21
	;; [unrolled: 1-line block ×4, first 2 shown]
	v_or3_b32 v10, v45, v10, 64
	v_add_u32_e32 v5, 0x2000, v5
	v_add_u32_e32 v17, 0x2000, v21
	v_add_u32_e32 v18, 0x2000, v23
	v_add_u32_e32 v11, 0x2000, v11
	v_lshlrev_b32_e32 v46, 8, v66
	v_cndmask_b32_e64 v85, v12, v3, s[2:3]
	v_cndmask_b32_e64 v86, v13, v14, s[2:3]
	v_lshl_add_u64 v[56:57], v[8:9], 0, v[46:47]
	v_lshl_add_u64 v[58:59], v[6:7], 0, v[46:47]
	s_movk_i32 s26, 0x4000
	v_lshlrev_b32_e32 v88, 2, v4
	v_add_u32_e32 v89, v20, v16
	v_add_u32_e32 v90, v22, v16
	;; [unrolled: 1-line block ×4, first 2 shown]
	v_lshlrev_b32_e32 v93, 2, v10
	v_add_u32_e32 v94, v5, v16
	v_add_u32_e32 v95, v17, v16
	;; [unrolled: 1-line block ×4, first 2 shown]
	v_mov_b32_e32 v46, v47
	s_waitcnt lgkmcnt(0)
	s_barrier
.LBB535_6:                              ; =>This Inner Loop Header: Depth=1
	s_add_i32 s37, s60, 1
	s_cmp_lt_i32 s37, s47
	s_mov_b64 s[28:29], 0
	s_cselect_b64 s[2:3], -1, 0
	s_cmp_ge_i32 s37, s47
	s_mov_b64 s[24:25], 0
	s_cbranch_scc1 .LBB535_8
; %bb.7:                                ;   in Loop: Header=BB535_6 Depth=1
	s_add_i32 s0, s54, 64
	s_ashr_i32 s1, s0, 31
	s_add_u32 s0, s51, s0
	s_addc_u32 s1, s50, s1
	s_lshl_b64 s[0:1], s[0:1], 8
	s_add_u32 s24, s6, s0
	s_addc_u32 s25, s7, s1
.LBB535_8:                              ;   in Loop: Header=BB535_6 Depth=1
	v_cndmask_b32_e64 v2, 0, 1, s[2:3]
	v_cmp_ne_u32_e64 s[0:1], 1, v2
	s_andn2_b64 vcc, exec, s[2:3]
	s_cbranch_vccnz .LBB535_10
; %bb.9:                                ;   in Loop: Header=BB535_6 Depth=1
	s_add_i32 s2, s54, 64
	s_mul_hi_i32 s3, s2, s18
	s_mul_i32 s2, s2, s18
	s_add_u32 s2, s2, s53
	s_addc_u32 s3, s3, s56
	s_lshl_b64 s[2:3], s[2:3], 8
	s_add_u32 s28, s4, s2
	s_addc_u32 s29, s5, s3
.LBB535_10:                             ;   in Loop: Header=BB535_6 Depth=1
	v_perm_b32 v3, v53, v52, s21
	v_perm_b32 v2, v47, v46, s21
	;; [unrolled: 1-line block ×4, first 2 shown]
	ds_write_b64 v73, v[2:3]
	ds_write_b64 v74, v[4:5]
	;; [unrolled: 1-line block ×4, first 2 shown]
	s_waitcnt lgkmcnt(0)
	s_barrier
	ds_read_b64 v[10:11], v77 offset:16384
	ds_read_b64 v[12:13], v79 offset:16384
	ds_read2st64_b64 v[2:5], v78 offset1:1
	s_waitcnt lgkmcnt(0)
	v_mfma_f32_16x16x16_bf16 a[0:3], v[10:11], v[2:3], 0
	ds_read2st64_b64 v[6:9], v78 offset0:2 offset1:3
	ds_read_b64 v[14:15], v80 offset:16384
	ds_read_b64 v[2:3], v81 offset:16384
	s_add_i32 s61, s54, 63
	v_mfma_f32_16x16x16_bf16 a[0:3], v[12:13], v[4:5], a[0:3]
	s_ashr_i32 s2, s61, 31
	s_mul_i32 s3, s61, s35
	s_mul_hi_u32 s31, s61, s34
	s_waitcnt lgkmcnt(1)
	v_mfma_f32_16x16x16_bf16 a[0:3], v[14:15], v[6:7], a[0:3]
	s_add_i32 s3, s31, s3
	s_mul_i32 s2, s2, s34
	s_add_i32 s3, s3, s2
	s_mul_i32 s2, s61, s34
	s_waitcnt lgkmcnt(0)
	v_mfma_f32_16x16x16_bf16 a[0:3], v[2:3], v[8:9], a[0:3]
	s_lshl_b64 s[2:3], s[2:3], 2
	s_add_u32 s2, s42, s2
	s_addc_u32 s3, s43, s3
	s_and_b64 vcc, exec, s[0:1]
	v_mov_b32_e32 v100, 0
	v_mov_b32_e32 v99, 0
	;; [unrolled: 1-line block ×19, first 2 shown]
	s_cbranch_vccnz .LBB535_12
; %bb.11:                               ;   in Loop: Header=BB535_6 Depth=1
	s_and_b32 s25, s25, 0xffff
	buffer_load_dwordx4 v[14:17], v69, s[24:27], 0 offen
	buffer_load_dwordx4 v[10:13], v69, s[24:27], s57 offen
	;; [unrolled: 1-line block ×4, first 2 shown]
	v_mov_b32_e32 v99, v71
	v_mov_b32_e32 v98, v72
.LBB535_12:                             ;   in Loop: Header=BB535_6 Depth=1
	v_add_u32_e32 v22, s54, v87
	v_ashrrev_i32_e32 v18, 31, v22
	v_mul_lo_u32 v20, v18, s34
	v_mul_lo_u32 v21, v22, s35
	v_mad_u64_u32 v[18:19], s[24:25], v22, s34, 0
	v_add3_u32 v19, v19, v21, v20
	v_lshl_add_u64 v[18:19], v[18:19], 2, s[42:43]
	global_load_dword v36, v[18:19], off
	v_add_u32_e32 v18, 1, v22
	v_ashrrev_i32_e32 v19, 31, v18
	v_mul_lo_u32 v20, v19, s34
	v_mul_lo_u32 v21, v18, s35
	v_mad_u64_u32 v[18:19], s[24:25], v18, s34, 0
	v_add3_u32 v19, v19, v21, v20
	v_add_u32_e32 v20, 2, v22
	v_ashrrev_i32_e32 v21, 31, v20
	v_mul_lo_u32 v23, v21, s34
	v_mul_lo_u32 v24, v20, s35
	v_mad_u64_u32 v[20:21], s[24:25], v20, s34, 0
	v_add_u32_e32 v22, 3, v22
	v_add3_u32 v21, v21, v24, v23
	v_ashrrev_i32_e32 v23, 31, v22
	v_mul_lo_u32 v26, v23, s34
	v_mul_lo_u32 v27, v22, s35
	v_mad_u64_u32 v[22:23], s[24:25], v22, s34, 0
	s_ashr_i32 s25, s54, 31
	s_add_u32 s24, s51, s54
	s_addc_u32 s25, s50, s25
	s_lshl_b64 s[24:25], s[24:25], 8
	v_lshl_add_u64 v[18:19], v[18:19], 2, s[42:43]
	v_lshl_add_u64 v[24:25], v[56:57], 0, s[24:25]
	v_add3_u32 v23, v23, v27, v26
	v_lshl_add_u64 v[20:21], v[20:21], 2, s[42:43]
	global_load_ushort v37, v[24:25], off
	global_load_ushort v38, v[24:25], off offset:256
	global_load_ushort v39, v[24:25], off offset:512
	;; [unrolled: 1-line block ×3, first 2 shown]
	v_lshl_add_u64 v[22:23], v[22:23], 2, s[42:43]
	global_load_dword v41, v[18:19], off
	global_load_dword v42, v[20:21], off
	;; [unrolled: 1-line block ×3, first 2 shown]
	s_load_dword s2, s[2:3], 0x0
	ds_read_b64 v[20:21], v77 offset:24576
	ds_read2st64_b64 v[22:25], v82 offset1:1
	ds_read2st64_b64 v[26:29], v82 offset0:2 offset1:3
	ds_read_b64 v[30:31], v79 offset:24576
	ds_read_b64 v[32:33], v80 offset:24576
	ds_read_b64 v[34:35], v81 offset:24576
	s_waitcnt lgkmcnt(0)
	v_mfma_f32_16x16x16_bf16 a[0:3], v[20:21], v[22:23], a[0:3]
	v_mov_b32_e32 v101, 0
	v_mov_b32_e32 v18, 0
	;; [unrolled: 1-line block ×3, first 2 shown]
	v_mfma_f32_16x16x16_bf16 a[0:3], v[30:31], v[24:25], a[0:3]
	v_lshl_add_u64 v[30:31], v[58:59], 0, s[24:25]
	v_mov_b32_e32 v20, 0
	v_mov_b32_e32 v21, 0
	v_mfma_f32_16x16x16_bf16 a[0:3], v[32:33], v[26:27], a[0:3]
	v_mov_b32_e32 v22, 0
	v_mov_b32_e32 v23, 0
	;; [unrolled: 1-line block ×3, first 2 shown]
	v_mfma_f32_16x16x16_bf16 a[0:3], v[34:35], v[28:29], a[0:3]
	v_mov_b32_e32 v25, 0
	v_mov_b32_e32 v26, 0
	s_and_b64 vcc, exec, s[0:1]
	s_waitcnt vmcnt(7)
	v_sub_f32_e32 v27, s2, v36
	s_nop 1
	v_accvgpr_read_b32 v33, a1
	v_accvgpr_read_b32 v32, a0
	;; [unrolled: 1-line block ×4, first 2 shown]
	s_waitcnt vmcnt(6)
	v_lshlrev_b32_e32 v34, 16, v37
	s_waitcnt vmcnt(5)
	v_lshlrev_b32_e32 v35, 16, v38
	v_exp_f32_e32 v38, v27
	s_waitcnt vmcnt(3)
	v_lshlrev_b32_e32 v37, 16, v40
	s_waitcnt vmcnt(2)
	v_sub_f32_e32 v27, s2, v41
	s_waitcnt vmcnt(1)
	v_sub_f32_e32 v40, s2, v42
	;; [unrolled: 2-line block ×3, first 2 shown]
	v_lshlrev_b32_e32 v36, 16, v39
	v_pk_add_f32 v[32:33], v[34:35], v[32:33] neg_lo:[0,1] neg_hi:[0,1]
	v_exp_f32_e32 v39, v27
	v_exp_f32_e32 v34, v40
	;; [unrolled: 1-line block ×3, first 2 shown]
	v_pk_add_f32 v[28:29], v[36:37], v[28:29] neg_lo:[0,1] neg_hi:[0,1]
	global_store_short_d16_hi v[30:31], v32, off
	global_store_short_d16_hi v[30:31], v33, off offset:256
	global_store_short_d16_hi v[30:31], v28, off offset:512
	;; [unrolled: 1-line block ×3, first 2 shown]
	v_pk_mul_f32 v[30:31], v[38:39], v[32:33]
	v_pk_mul_f32 v[28:29], v[34:35], v[28:29]
	v_perm_b32 v30, v31, v30, s21
	v_perm_b32 v31, v29, v28, s21
	ds_write_b64 v74, v[30:31]
	v_mov_b32_e32 v27, 0
	v_mov_b32_e32 v28, 0
	;; [unrolled: 1-line block ×7, first 2 shown]
	s_cbranch_vccnz .LBB535_14
; %bb.13:                               ;   in Loop: Header=BB535_6 Depth=1
	s_and_b32 s29, s29, 0xffff
	s_mov_b32 s31, s27
	buffer_load_dwordx4 v[30:33], v85, s[28:31], 0 offen
	buffer_load_dwordx4 v[22:25], v85, s[28:31], s57 offen
	;; [unrolled: 1-line block ×4, first 2 shown]
	v_mov_b32_e32 v100, v68
	v_mov_b32_e32 v101, v67
.LBB535_14:                             ;   in Loop: Header=BB535_6 Depth=1
	s_waitcnt lgkmcnt(0)
	s_barrier
	ds_read_b64 v[34:35], v89
	ds_read_b64 v[40:41], v90
	ds_read2st64_b64 v[36:39], v82 offset1:1
	ds_read2st64_b64 v[102:105], v82 offset0:2 offset1:3
	ds_read_b64 v[42:43], v91
	ds_read_b64 v[110:111], v92
	s_add_i32 s3, s48, s60
	s_mul_hi_i32 s25, s3, s52
	s_mul_i32 s3, s3, s52
	s_waitcnt lgkmcnt(3)
	v_mfma_f32_16x16x16_bf16 a[0:3], v[34:35], v[36:37], 0
	ds_read_b64 v[34:35], v94
	s_add_u32 s24, s3, s33
	s_addc_u32 s25, s25, s55
	v_mfma_f32_16x16x16_bf16 a[0:3], v[40:41], v[38:39], a[0:3]
	ds_read_b64 v[40:41], v95
	s_lshl_b64 s[24:25], s[24:25], 15
	s_mul_i32 s28, s61, s52
	s_mul_hi_i32 s3, s61, s52
	s_add_u32 s28, s28, s33
	s_addc_u32 s29, s3, s55
	s_lshl_b64 s[28:29], s[28:29], 9
	s_add_u32 s28, s40, s28
	s_waitcnt lgkmcnt(1)
	v_mfma_f32_16x16x16_bf16 a[4:7], v[34:35], v[36:37], 0
	s_addc_u32 s29, s41, s29
	s_and_b64 vcc, exec, s[0:1]
	v_mfma_f32_16x16x16_bf16 a[0:3], v[42:43], v[102:103], a[0:3]
	ds_read_b64 v[42:43], v96
	ds_read_b64 v[112:113], v97
	global_load_dwordx4 v[34:37], v93, s[28:29]
	s_waitcnt lgkmcnt(2)
	v_mfma_f32_16x16x16_bf16 a[4:7], v[40:41], v[38:39], a[4:7]
	global_load_dwordx4 v[38:41], v88, s[28:29]
	ds_read_b64 v[106:107], v83
	ds_read_b64 v[108:109], v84
	s_waitcnt lgkmcnt(3)
	v_mfma_f32_16x16x16_bf16 a[8:11], v[42:43], v[102:103], a[4:7]
	v_lshl_add_u64 v[42:43], v[54:55], 0, s[24:25]
	s_waitcnt lgkmcnt(0)
	global_store_dwordx4 v[42:43], v[106:109], off
	v_mfma_f32_16x16x16_bf16 a[4:7], v[110:111], v[104:105], a[0:3]
	s_waitcnt vmcnt(2)
	v_mov_b32_e32 v44, v37
	v_mfma_f32_16x16x16_bf16 a[0:3], v[112:113], v[104:105], a[8:11]
	v_mov_b32_e32 v43, v36
	v_mov_b32_e32 v42, v35
	s_cbranch_vccnz .LBB535_16
; %bb.15:                               ;   in Loop: Header=BB535_6 Depth=1
	v_lshrrev_b32_e32 v35, 3, v100
	v_and_b32_e32 v35, 6, v35
	v_xor_b32_e32 v36, v35, v101
	v_lshlrev_b32_e32 v36, 2, v36
	v_and_b32_e32 v37, 8, v100
	v_xor_b32_e32 v100, 0x440, v36
	v_cmp_eq_u32_e32 vcc, 0, v37
	v_perm_b32 v37, v22, v18, s58
	s_nop 0
	v_cndmask_b32_e32 v36, v100, v36, vcc
	v_lshl_or_b32 v35, v35, 10, v36
	v_perm_b32 v36, v30, v26, s58
	s_barrier
	ds_write2st64_b32 v35, v36, v37 offset1:32
	v_xor_b32_e32 v36, 8, v35
	v_perm_b32 v26, v30, v26, s59
	v_perm_b32 v18, v22, v18, s59
	v_add_u32_e32 v22, 0x80, v36
	ds_write2st64_b32 v22, v26, v18 offset1:32
	v_xor_b32_e32 v18, 16, v35
	v_perm_b32 v22, v31, v27, s58
	v_perm_b32 v26, v23, v19, s58
	ds_write2st64_b32 v18, v22, v26 offset0:1 offset1:33
	v_xor_b32_e32 v18, 24, v35
	v_perm_b32 v22, v31, v27, s59
	v_perm_b32 v19, v23, v19, s59
	v_add_u32_e32 v18, 0x80, v18
	ds_write2st64_b32 v18, v22, v19 offset0:1 offset1:33
	v_xor_b32_e32 v18, 32, v35
	v_perm_b32 v19, v32, v28, s58
	v_perm_b32 v22, v24, v20, s58
	ds_write2st64_b32 v18, v19, v22 offset0:2 offset1:34
	v_xor_b32_e32 v18, 40, v35
	v_perm_b32 v19, v32, v28, s59
	v_perm_b32 v20, v24, v20, s59
	v_add_u32_e32 v18, 0x80, v18
	ds_write2st64_b32 v18, v19, v20 offset0:2 offset1:34
	v_xor_b32_e32 v18, 48, v35
	v_perm_b32 v19, v33, v29, s58
	v_perm_b32 v20, v25, v21, s58
	ds_write2st64_b32 v18, v19, v20 offset0:3 offset1:35
	v_xor_b32_e32 v18, 56, v35
	v_perm_b32 v19, v33, v29, s59
	v_perm_b32 v20, v25, v21, s59
	v_add_u32_e32 v18, 0x80, v18
	ds_write2st64_b32 v18, v19, v20 offset0:3 offset1:35
	ds_write_b64 v99, v[14:15] offset:16384
	v_xor_b32_e32 v14, 8, v99
	ds_write_b64 v14, v[16:17] offset:16384
	ds_write_b64 v99, v[10:11] offset:24576
	ds_write_b64 v14, v[12:13] offset:24576
	ds_write_b64 v98, v[6:7] offset:16384
	v_xor_b32_e32 v6, 8, v98
	ds_write_b64 v6, v[8:9] offset:16384
	ds_write_b64 v98, v[2:3] offset:24576
	;; [unrolled: 1-line block ×3, first 2 shown]
.LBB535_16:                             ;   in Loop: Header=BB535_6 Depth=1
	v_exp_f32_e32 v10, s2
	s_waitcnt vmcnt(1)
	v_exp_f32_e32 v12, v38
	v_exp_f32_e32 v13, v39
	;; [unrolled: 1-line block ×4, first 2 shown]
	v_accvgpr_read_b32 v2, a4
	v_accvgpr_read_b32 v3, a5
	v_pk_mul_f32 v[12:13], v[10:11], v[12:13] op_sel_hi:[0,1]
	v_pk_fma_f32 v[46:47], v[46:47], v[12:13], v[2:3]
	v_exp_f32_e32 v12, v34
	v_exp_f32_e32 v13, v42
	v_pk_mul_f32 v[2:3], v[10:11], v[14:15] op_sel_hi:[0,1]
	v_exp_f32_e32 v14, v43
	v_exp_f32_e32 v15, v44
	v_accvgpr_read_b32 v4, a6
	v_accvgpr_read_b32 v5, a7
	;; [unrolled: 1-line block ×5, first 2 shown]
	v_pk_fma_f32 v[52:53], v[52:53], v[2:3], v[4:5]
	v_pk_mul_f32 v[2:3], v[10:11], v[12:13] op_sel_hi:[0,1]
	v_accvgpr_read_b32 v8, a2
	v_pk_fma_f32 v[50:51], v[50:51], v[2:3], v[6:7]
	v_pk_mul_f32 v[2:3], v[10:11], v[14:15] op_sel_hi:[0,1]
	s_add_i32 s54, s54, 64
	s_cmp_eq_u32 s47, s37
	v_pk_fma_f32 v[48:49], v[48:49], v[2:3], v[8:9]
	s_cbranch_scc1 .LBB535_18
; %bb.17:                               ;   in Loop: Header=BB535_6 Depth=1
	s_mov_b32 s60, s37
	s_branch .LBB535_6
.LBB535_18:
	s_lshl_b32 s0, s47, 6
	s_sub_i32 s42, s49, s0
	s_cmp_gt_i32 s42, 0
	s_cbranch_scc0 .LBB535_75
; %bb.19:
	s_add_i32 s38, s0, s38
	s_ashr_i32 s2, s38, 31
	s_cmpk_lg_i32 s19, 0x80
	s_cselect_b64 s[30:31], -1, 0
	s_and_b64 vcc, exec, s[30:31]
	s_cbranch_vccz .LBB535_21
; %bb.20:
	s_mul_i32 s1, s38, s18
	s_ashr_i32 s3, s53, 31
	s_mul_hi_i32 s0, s38, s18
	s_add_u32 s40, s1, s53
	s_addc_u32 s41, s0, s3
	s_cbranch_execz .LBB535_22
	s_branch .LBB535_23
.LBB535_21:
                                        ; implicit-def: $sgpr40_sgpr41
.LBB535_22:
	s_mul_i32 s1, s53, s16
	s_mul_hi_i32 s0, s53, s16
	s_add_u32 s40, s1, s38
	s_addc_u32 s41, s0, s2
.LBB535_23:
	s_add_i32 s3, s47, s48
	s_ashr_i32 s16, s33, 31
	s_add_u32 s0, s51, s38
	s_addc_u32 s1, s50, s2
	s_mov_b32 s2, 0x7060302
	v_lshlrev_b32_e32 v6, 3, v1
	s_lshl_b64 s[28:29], s[0:1], 8
	v_perm_b32 v3, v53, v52, s2
	v_perm_b32 v2, v47, v46, s2
	;; [unrolled: 1-line block ×4, first 2 shown]
	v_lshlrev_b32_e32 v34, 2, v1
	v_lshl_or_b32 v6, v66, 5, v6
	s_add_u32 s0, s6, s28
	ds_write2st64_b64 v6, v[2:3], v[4:5] offset0:72 offset1:76
	v_xor_b32_e32 v6, v66, v34
	v_lshlrev_b32_e32 v7, 8, v1
	s_addc_u32 s1, s7, s29
	v_lshl_or_b32 v6, v6, 1, v7
	s_mul_hi_i32 s6, s3, s17
	s_mul_i32 s3, s3, s17
	ds_write_b64 v6, v[2:3] offset:32768
	v_xor_b32_e32 v2, v65, v34
	s_add_u32 s2, s3, s33
	v_lshl_or_b32 v2, v2, 1, v7
	s_addc_u32 s3, s6, s16
	v_lshlrev_b32_e32 v3, 1, v1
	ds_write_b64 v2, v[4:5] offset:32768
	v_lshrrev_b32_e32 v2, 4, v0
	s_ashr_i32 s37, s36, 31
	s_lshl_b64 s[2:3], s[2:3], 15
	v_or_b32_e32 v4, 1, v3
	s_add_u32 s6, s12, s2
	v_xor_b32_e32 v3, v2, v3
	v_xor_b32_e32 v4, v4, v2
	v_lshlrev_b32_e32 v6, 8, v2
	s_addc_u32 s7, s13, s3
	s_lshl_b64 s[2:3], s[36:37], 8
	v_lshl_or_b32 v2, v3, 3, v6
	v_lshl_or_b32 v4, v4, 3, v6
	s_waitcnt lgkmcnt(0)
	s_barrier
	s_add_u32 s2, s6, s2
	ds_read_b64 v[2:3], v2 offset:32768
	ds_read_b64 v[4:5], v4 offset:32768
	s_addc_u32 s3, s7, s3
	v_mov_b32_e32 v7, 0
	s_cmp_lg_u32 s42, 64
	v_lshl_add_u64 v[8:9], s[2:3], 0, v[6:7]
	v_lshlrev_b32_e32 v6, 4, v1
	s_cselect_b64 s[6:7], -1, 0
	v_lshl_or_b32 v35, v61, 3, v64
	s_mov_b32 s24, 0
	v_lshl_add_u64 v[6:7], v[8:9], 0, v[6:7]
	v_or_b32_e32 v19, 32, v35
	v_and_b32_e32 v18, 56, v63
	s_and_b64 vcc, exec, s[6:7]
	s_waitcnt lgkmcnt(0)
	global_store_dwordx4 v[6:7], v[2:5], off
	s_cbranch_vccz .LBB535_29
; %bb.24:
	s_mov_b32 s25, s24
	s_mov_b32 s26, s24
	;; [unrolled: 1-line block ×3, first 2 shown]
	v_mov_b64_e32 v[6:7], s[24:25]
	v_mov_b64_e32 v[8:9], s[26:27]
	;; [unrolled: 1-line block ×3, first 2 shown]
	v_cmp_gt_i32_e32 vcc, s42, v35
	v_mov_b64_e32 v[4:5], v[8:9]
	s_and_saveexec_b64 s[2:3], vcc
	s_cbranch_execz .LBB535_26
; %bb.25:
	v_lshlrev_b32_e32 v2, 8, v35
	v_mov_b32_e32 v3, 0
	v_lshl_add_u64 v[4:5], s[0:1], 0, v[2:3]
	v_lshlrev_b32_e32 v2, 1, v18
	v_lshl_add_u64 v[10:11], v[4:5], 0, v[2:3]
	global_load_dwordx4 v[6:9], v[10:11], off
	global_load_dwordx4 v[2:5], v[10:11], off offset:128
.LBB535_26:
	s_or_b64 exec, exec, s[2:3]
	s_mov_b32 s25, s24
	s_mov_b32 s26, s24
	;; [unrolled: 1-line block ×3, first 2 shown]
	v_mov_b64_e32 v[14:15], s[24:25]
	v_mov_b64_e32 v[16:17], s[26:27]
	;; [unrolled: 1-line block ×3, first 2 shown]
	v_cmp_gt_i32_e32 vcc, s42, v19
	v_lshlrev_b32_e32 v20, 7, v19
	v_mov_b64_e32 v[12:13], v[16:17]
	s_and_saveexec_b64 s[2:3], vcc
	s_cbranch_execz .LBB535_28
; %bb.27:
	v_lshlrev_b32_e32 v10, 1, v20
	v_mov_b32_e32 v11, 0
	v_lshl_add_u64 v[12:13], s[0:1], 0, v[10:11]
	v_lshlrev_b32_e32 v10, 1, v18
	v_lshl_add_u64 v[22:23], v[12:13], 0, v[10:11]
	global_load_dwordx4 v[14:17], v[22:23], off
	global_load_dwordx4 v[10:13], v[22:23], off offset:128
.LBB535_28:
	s_or_b64 exec, exec, s[2:3]
	v_lshrrev_b32_e32 v21, 3, v18
	v_lshlrev_b32_e32 v22, 3, v35
	v_or_b32_e32 v21, v22, v21
	v_lshlrev_b32_e32 v21, 4, v21
	v_and_b32_e32 v22, 0x78, v22
	v_xor_b32_e32 v21, v21, v22
	s_branch .LBB535_31
.LBB535_29:
                                        ; implicit-def: $vgpr21
                                        ; implicit-def: $vgpr20
                                        ; implicit-def: $vgpr6_vgpr7_vgpr8_vgpr9
                                        ; implicit-def: $vgpr2_vgpr3_vgpr4_vgpr5
                                        ; implicit-def: $vgpr14_vgpr15_vgpr16_vgpr17
                                        ; implicit-def: $vgpr10_vgpr11_vgpr12_vgpr13
	s_cbranch_execz .LBB535_31
; %bb.30:
	s_waitcnt vmcnt(0)
	v_lshlrev_b32_e32 v2, 1, v18
	v_lshl_or_b32 v20, v35, 8, v2
	s_and_b32 s1, s1, 0xffff
	s_mov_b32 s3, 0x20000
	s_movk_i32 s2, 0x4000
	v_lshl_or_b32 v21, v19, 8, v2
	s_movk_i32 s12, 0x80
	buffer_load_dwordx4 v[6:9], v20, s[0:3], 0 offen
	buffer_load_dwordx4 v[2:5], v20, s[0:3], s12 offen
	;; [unrolled: 1-line block ×4, first 2 shown]
	v_lshrrev_b32_e32 v20, 3, v18
	v_lshlrev_b32_e32 v21, 3, v35
	v_or_b32_e32 v20, v21, v20
	v_lshlrev_b32_e32 v20, 4, v20
	v_and_b32_e32 v21, 0x78, v21
	v_xor_b32_e32 v21, v20, v21
	v_lshlrev_b32_e32 v20, 7, v19
.LBB535_31:
	s_lshl_b64 s[0:1], s[40:41], 8
	s_add_u32 s4, s4, s0
	s_movk_i32 s0, 0x1000
	v_and_or_b32 v19, v20, s0, v21
	s_waitcnt vmcnt(1)
	ds_write_b64 v21, v[6:7] offset:16384
	v_xor_b32_e32 v6, 8, v21
	s_addc_u32 s5, s5, s1
	ds_write_b64 v6, v[8:9] offset:16384
	s_waitcnt vmcnt(0)
	ds_write_b64 v21, v[2:3] offset:24576
	ds_write_b64 v6, v[4:5] offset:24576
	;; [unrolled: 1-line block ×3, first 2 shown]
	v_xor_b32_e32 v2, 8, v19
	s_add_i32 s0, s45, s44
	ds_write_b64 v2, v[16:17] offset:16384
	ds_write_b64 v19, v[10:11] offset:24576
	;; [unrolled: 1-line block ×3, first 2 shown]
	s_add_i32 s21, s0, s46
	s_mul_i32 s0, s33, s23
	s_mul_hi_u32 s1, s33, s22
	v_or_b32_e32 v2, v45, v1
	s_add_i32 s0, s1, s0
	s_mul_i32 s1, s16, s22
	v_lshlrev_b32_e32 v2, 3, v2
	v_lshrrev_b32_e32 v4, 5, v60
	s_movk_i32 s16, 0xf8
	v_and_or_b32 v4, v2, s16, v4
	v_lshlrev_b32_e32 v3, 11, v61
	v_lshlrev_b32_e32 v12, 4, v4
	v_and_b32_e32 v13, 0x78, v2
	v_and_b32_e32 v14, 0x1000, v3
	v_lshlrev_b32_e32 v3, 2, v0
	v_xor_b32_e32 v2, v12, v13
	v_lshrrev_b32_e32 v4, 1, v60
	v_and_b32_e32 v3, 60, v3
	v_or_b32_e32 v2, v2, v14
	v_and_b32_e32 v15, 8, v4
	v_xor_b32_e32 v26, v2, v15
	v_lshl_or_b32 v2, v62, 6, v3
	v_lshlrev_b32_e32 v19, 1, v2
	v_or_b32_e32 v2, 32, v12
	v_xor_b32_e32 v2, v2, v13
	s_waitcnt lgkmcnt(0)
	s_barrier
	ds_read_b64 v[10:11], v26 offset:16384
	v_or_b32_e32 v2, v2, v14
	v_xor_b32_e32 v27, v2, v15
	v_or_b32_e32 v2, 64, v12
	v_xor_b32_e32 v2, v2, v13
	v_or_b32_e32 v2, v2, v14
	v_or_b32_e32 v12, 0x60, v12
	v_xor_b32_e32 v28, v2, v15
	ds_read2st64_b64 v[2:5], v19 offset0:72 offset1:73
	ds_read2st64_b64 v[6:9], v19 offset0:74 offset1:75
	v_xor_b32_e32 v16, v12, v13
	ds_read_b64 v[12:13], v27 offset:16384
	s_waitcnt lgkmcnt(2)
	v_mfma_f32_16x16x16_bf16 a[0:3], v[10:11], v[2:3], 0
	s_add_i32 s2, s39, -1
	s_ashr_i32 s3, s2, 31
	s_mul_i32 s12, s2, s35
	s_mul_hi_u32 s13, s2, s34
	s_add_i32 s12, s13, s12
	s_mul_i32 s3, s3, s34
	v_or_b32_e32 v14, v16, v14
	s_add_i32 s1, s0, s1
	s_add_i32 s3, s12, s3
	s_lshl_b64 s[12:13], s[20:21], 2
	v_xor_b32_e32 v36, v14, v15
	ds_read_b64 v[14:15], v28 offset:16384
	ds_read_b64 v[16:17], v36 offset:16384
	s_waitcnt lgkmcnt(2)
	v_mfma_f32_16x16x16_bf16 a[0:3], v[12:13], v[4:5], a[0:3]
	s_mul_i32 s0, s33, s22
	s_add_u32 s10, s10, s12
	s_addc_u32 s11, s11, s13
	s_lshl_b64 s[0:1], s[0:1], 2
	s_mul_i32 s2, s2, s34
	s_add_u32 s10, s10, s0
	s_addc_u32 s11, s11, s1
	s_lshl_b64 s[0:1], s[2:3], 2
	s_waitcnt lgkmcnt(1)
	v_mfma_f32_16x16x16_bf16 a[0:3], v[14:15], v[6:7], a[0:3]
	s_add_u32 s0, s10, s0
	s_addc_u32 s1, s11, s1
	s_load_dword s12, s[0:1], 0x0
	s_waitcnt lgkmcnt(0)
	v_mfma_f32_16x16x16_bf16 a[0:3], v[16:17], v[8:9], a[0:3]
	s_and_b64 vcc, exec, s[30:31]
	s_cbranch_vccz .LBB535_42
; %bb.32:
	v_lshlrev_b32_e32 v20, 1, v35
	s_and_b64 vcc, exec, s[6:7]
	s_cbranch_vccz .LBB535_43
; %bb.33:
	v_cmp_gt_i32_e32 vcc, s42, v20
	v_mov_b32_e32 v6, 0
	v_mov_b32_e32 v2, 0
	;; [unrolled: 1-line block ×5, first 2 shown]
	s_and_saveexec_b64 s[0:1], vcc
	s_cbranch_execz .LBB535_35
; %bb.34:
	v_mad_i64_i32 v[2:3], s[2:3], s19, v20, 0
	v_lshl_add_u64 v[2:3], v[2:3], 1, s[4:5]
	v_lshlrev_b32_e32 v4, 1, v18
	v_mov_b32_e32 v5, 0
	v_lshl_add_u64 v[2:3], v[2:3], 0, v[4:5]
	global_load_dwordx4 v[2:5], v[2:3], off
.LBB535_35:
	s_or_b64 exec, exec, s[0:1]
	v_or_b32_e32 v21, 1, v20
	v_cmp_gt_i32_e64 s[0:1], s42, v21
	v_mov_b32_e32 v7, 0
	v_mov_b32_e32 v8, 0
	;; [unrolled: 1-line block ×3, first 2 shown]
	s_and_saveexec_b64 s[2:3], s[0:1]
	s_cbranch_execz .LBB535_37
; %bb.36:
	v_mad_i64_i32 v[6:7], s[16:17], s19, v21, 0
	v_lshl_add_u64 v[6:7], v[6:7], 1, s[4:5]
	v_lshlrev_b32_e32 v8, 1, v18
	v_mov_b32_e32 v9, 0
	v_lshl_add_u64 v[6:7], v[6:7], 0, v[8:9]
	global_load_dwordx4 v[6:9], v[6:7], off
.LBB535_37:
	s_or_b64 exec, exec, s[2:3]
	v_mov_b32_e32 v17, 0
	v_mov_b32_e32 v10, 0
	;; [unrolled: 1-line block ×5, first 2 shown]
	s_and_saveexec_b64 s[2:3], vcc
	s_cbranch_execz .LBB535_39
; %bb.38:
	v_mad_i64_i32 v[10:11], s[16:17], s19, v20, 0
	v_lshl_add_u64 v[10:11], v[10:11], 1, s[4:5]
	v_lshlrev_b32_e32 v12, 1, v18
	v_mov_b32_e32 v13, 0
	v_lshl_add_u64 v[10:11], v[10:11], 0, v[12:13]
	global_load_dwordx4 v[10:13], v[10:11], off offset:128
.LBB535_39:
	s_or_b64 exec, exec, s[2:3]
	v_mov_b32_e32 v16, 0
	v_mov_b32_e32 v15, 0
	;; [unrolled: 1-line block ×3, first 2 shown]
	s_and_saveexec_b64 s[2:3], s[0:1]
	s_cbranch_execz .LBB535_41
; %bb.40:
	v_mad_i64_i32 v[14:15], s[0:1], s19, v21, 0
	v_lshl_add_u64 v[14:15], v[14:15], 1, s[4:5]
	v_lshlrev_b32_e32 v16, 1, v18
	v_mov_b32_e32 v17, 0
	v_lshl_add_u64 v[14:15], v[14:15], 0, v[16:17]
	global_load_dwordx4 v[14:17], v[14:15], off offset:128
.LBB535_41:
	s_or_b64 exec, exec, s[2:3]
	s_branch .LBB535_45
.LBB535_42:
                                        ; implicit-def: $vgpr5
                                        ; implicit-def: $vgpr9
                                        ; implicit-def: $vgpr13
                                        ; implicit-def: $vgpr17
	v_lshrrev_b32_e32 v37, 2, v60
	s_branch .LBB535_46
.LBB535_43:
                                        ; implicit-def: $vgpr5
                                        ; implicit-def: $vgpr9
                                        ; implicit-def: $vgpr13
                                        ; implicit-def: $vgpr17
	s_cbranch_execz .LBB535_45
; %bb.44:
	s_waitcnt vmcnt(0)
	v_mad_u64_u32 v[2:3], s[0:1], v20, s19, v[18:19]
	v_lshlrev_b32_e32 v20, 1, v2
	s_lshl_b32 s2, s19, 7
	s_and_b32 s1, s5, 0xffff
	s_mov_b32 s3, 0x20000
	s_mov_b32 s0, s4
	v_add_lshl_u32 v21, v2, s19, 1
	s_movk_i32 s13, 0x80
	buffer_load_dwordx4 v[2:5], v20, s[0:3], 0 offen
	buffer_load_dwordx4 v[10:13], v20, s[0:3], s13 offen
	;; [unrolled: 1-line block ×4, first 2 shown]
.LBB535_45:
	v_lshrrev_b32_e32 v37, 2, v60
	s_cbranch_execnz .LBB535_58
.LBB535_46:
	s_and_b64 vcc, exec, s[6:7]
	s_cbranch_vccz .LBB535_56
; %bb.47:
	s_waitcnt vmcnt(0)
	v_lshlrev_b32_e32 v7, 1, v35
	v_cmp_gt_i32_e32 vcc, s42, v7
	v_mov_b32_e32 v6, 0
	v_lshlrev_b32_e32 v14, 9, v35
	v_mov_b32_e32 v2, 0
	v_mov_b32_e32 v3, 0
	;; [unrolled: 1-line block ×4, first 2 shown]
	s_and_saveexec_b64 s[0:1], vcc
	s_cbranch_execz .LBB535_49
; %bb.48:
	v_mov_b32_e32 v15, 0
	v_lshl_add_u64 v[2:3], s[4:5], 0, v[14:15]
	v_lshlrev_b32_e32 v4, 1, v18
	v_mov_b32_e32 v5, v15
	v_lshl_add_u64 v[2:3], v[2:3], 0, v[4:5]
	global_load_dwordx4 v[2:5], v[2:3], off
.LBB535_49:
	s_or_b64 exec, exec, s[0:1]
	v_or_b32_e32 v7, 1, v7
	v_cmp_gt_i32_e64 s[0:1], s42, v7
	v_lshlrev_b32_e32 v20, 8, v7
	v_mov_b32_e32 v7, 0
	v_mov_b32_e32 v8, 0
	;; [unrolled: 1-line block ×3, first 2 shown]
	s_and_saveexec_b64 s[2:3], s[0:1]
	s_cbranch_execz .LBB535_51
; %bb.50:
	v_mov_b32_e32 v21, 0
	v_lshl_add_u64 v[6:7], s[4:5], 0, v[20:21]
	v_lshlrev_b32_e32 v8, 1, v18
	v_mov_b32_e32 v9, v21
	v_lshl_add_u64 v[6:7], v[6:7], 0, v[8:9]
	global_load_dwordx4 v[6:9], v[6:7], off
.LBB535_51:
	s_or_b64 exec, exec, s[2:3]
	v_mov_b32_e32 v17, 0
	v_mov_b32_e32 v10, 0
	;; [unrolled: 1-line block ×5, first 2 shown]
	s_and_saveexec_b64 s[2:3], vcc
	s_cbranch_execz .LBB535_53
; %bb.52:
	v_mov_b32_e32 v15, 0
	v_lshl_add_u64 v[10:11], s[4:5], 0, v[14:15]
	v_lshlrev_b32_e32 v14, 1, v18
	v_lshl_add_u64 v[10:11], v[10:11], 0, v[14:15]
	global_load_dwordx4 v[10:13], v[10:11], off offset:128
.LBB535_53:
	s_or_b64 exec, exec, s[2:3]
	v_mov_b32_e32 v16, 0
	v_mov_b32_e32 v15, 0
	;; [unrolled: 1-line block ×3, first 2 shown]
	s_and_saveexec_b64 s[2:3], s[0:1]
	s_cbranch_execz .LBB535_55
; %bb.54:
	v_mov_b32_e32 v21, 0
	v_lshl_add_u64 v[14:15], s[4:5], 0, v[20:21]
	v_lshlrev_b32_e32 v20, 1, v18
	v_lshl_add_u64 v[14:15], v[14:15], 0, v[20:21]
	global_load_dwordx4 v[14:17], v[14:15], off offset:128
.LBB535_55:
	s_or_b64 exec, exec, s[2:3]
	s_branch .LBB535_58
.LBB535_56:
                                        ; implicit-def: $vgpr5
                                        ; implicit-def: $vgpr9
                                        ; implicit-def: $vgpr13
                                        ; implicit-def: $vgpr17
	s_cbranch_execz .LBB535_58
; %bb.57:
	s_waitcnt vmcnt(0)
	v_lshlrev_b32_e32 v2, 1, v18
	v_lshl_or_b32 v18, v35, 9, v2
	s_and_b32 s5, s5, 0xffff
	s_mov_b32 s7, 0x20000
	s_movk_i32 s6, 0x4000
	s_movk_i32 s0, 0x80
	buffer_load_dwordx4 v[2:5], v18, s[4:7], 0 offen
	buffer_load_dwordx4 v[6:9], v18, s[4:7], 0 offen offset:256
	buffer_load_dwordx4 v[10:13], v18, s[4:7], s0 offen
	buffer_load_dwordx4 v[14:17], v18, s[4:7], s0 offen offset:256
.LBB535_58:
	ds_read2st64_b64 v[22:25], v19 offset0:76 offset1:77
	ds_read2st64_b64 v[18:21], v19 offset0:78 offset1:79
	ds_read_b64 v[32:33], v26 offset:24576
	ds_read_b64 v[30:31], v27 offset:24576
	;; [unrolled: 1-line block ×4, first 2 shown]
	v_and_b32_e32 v36, 6, v0
	v_xor_b32_e32 v35, v35, v36
	v_lshlrev_b32_e32 v35, 2, v35
	v_and_b32_e32 v0, 1, v0
	v_xor_b32_e32 v38, 0x440, v35
	v_cmp_eq_u32_e32 vcc, 0, v0
	s_mov_b32 s0, 0x1000504
	s_mov_b32 s1, 0x3020706
	v_cndmask_b32_e32 v0, v38, v35, vcc
	v_lshl_or_b32 v0, v36, 10, v0
	s_waitcnt vmcnt(0)
	v_perm_b32 v35, v2, v6, s0
	v_perm_b32 v36, v10, v14, s0
	ds_write2st64_b32 v0, v35, v36 offset1:32
	v_xor_b32_e32 v35, 8, v0
	v_perm_b32 v2, v2, v6, s1
	v_perm_b32 v6, v10, v14, s1
	v_add_u32_e32 v10, 0x80, v35
	ds_write2st64_b32 v10, v2, v6 offset1:32
	v_xor_b32_e32 v2, 16, v0
	v_perm_b32 v6, v3, v7, s0
	v_perm_b32 v10, v11, v15, s0
	ds_write2st64_b32 v2, v6, v10 offset0:1 offset1:33
	v_xor_b32_e32 v2, 24, v0
	v_perm_b32 v3, v3, v7, s1
	v_perm_b32 v6, v11, v15, s1
	v_add_u32_e32 v2, 0x80, v2
	ds_write2st64_b32 v2, v3, v6 offset0:1 offset1:33
	v_xor_b32_e32 v2, 32, v0
	v_perm_b32 v3, v4, v8, s0
	v_perm_b32 v6, v12, v16, s0
	ds_write2st64_b32 v2, v3, v6 offset0:2 offset1:34
	v_xor_b32_e32 v2, 40, v0
	v_perm_b32 v3, v4, v8, s1
	v_perm_b32 v4, v12, v16, s1
	v_add_u32_e32 v2, 0x80, v2
	ds_write2st64_b32 v2, v3, v4 offset0:2 offset1:34
	v_xor_b32_e32 v2, 48, v0
	v_perm_b32 v3, v5, v9, s0
	v_perm_b32 v4, v13, v17, s0
	v_xor_b32_e32 v0, 56, v0
	v_and_or_b32 v8, v37, 12, v45
	ds_write2st64_b32 v2, v3, v4 offset0:3 offset1:35
	v_perm_b32 v2, v5, v9, s1
	v_perm_b32 v3, v13, v17, s1
	v_add_u32_e32 v0, 0x80, v0
	v_cmp_gt_i32_e64 s[2:3], s42, v8
	v_mov_b32_e32 v10, 0
	v_mov_b32_e32 v15, 0
	ds_write2st64_b32 v0, v2, v3 offset0:3 offset1:35
	s_and_saveexec_b64 s[0:1], s[2:3]
	s_cbranch_execz .LBB535_60
; %bb.59:
	v_add_u32_e32 v0, s38, v8
	v_ashrrev_i32_e32 v2, 31, v0
	v_mul_lo_u32 v4, v2, s34
	v_mul_lo_u32 v5, v0, s35
	v_mad_u64_u32 v[2:3], s[4:5], v0, s34, 0
	v_add3_u32 v3, v3, v5, v4
	v_lshl_add_u64 v[2:3], v[2:3], 2, s[10:11]
	global_load_dword v0, v[2:3], off
	s_waitcnt vmcnt(0)
	v_sub_f32_e32 v0, s12, v0
	v_exp_f32_e32 v15, v0
.LBB535_60:
	s_or_b64 exec, exec, s[0:1]
	v_or_b32_e32 v13, 1, v8
	v_cmp_gt_i32_e64 s[4:5], s42, v13
	s_and_saveexec_b64 s[0:1], s[4:5]
	s_cbranch_execz .LBB535_62
; %bb.61:
	v_add_u32_e32 v0, s38, v13
	v_ashrrev_i32_e32 v2, 31, v0
	v_mul_lo_u32 v4, v2, s34
	v_mul_lo_u32 v5, v0, s35
	v_mad_u64_u32 v[2:3], s[6:7], v0, s34, 0
	v_add3_u32 v3, v3, v5, v4
	v_lshl_add_u64 v[2:3], v[2:3], 2, s[10:11]
	global_load_dword v0, v[2:3], off
	s_waitcnt vmcnt(0)
	v_sub_f32_e32 v0, s12, v0
	v_exp_f32_e32 v10, v0
.LBB535_62:
	s_or_b64 exec, exec, s[0:1]
	v_or_b32_e32 v11, 2, v8
	v_cmp_gt_i32_e32 vcc, s42, v11
	v_mov_b32_e32 v9, 0
	v_mov_b32_e32 v14, 0
	s_and_saveexec_b64 s[0:1], vcc
	s_cbranch_execz .LBB535_64
; %bb.63:
	v_add_u32_e32 v0, s38, v11
	v_ashrrev_i32_e32 v2, 31, v0
	v_mul_lo_u32 v4, v2, s34
	v_mul_lo_u32 v5, v0, s35
	v_mad_u64_u32 v[2:3], s[6:7], v0, s34, 0
	v_add3_u32 v3, v3, v5, v4
	v_lshl_add_u64 v[2:3], v[2:3], 2, s[10:11]
	global_load_dword v0, v[2:3], off
	s_waitcnt vmcnt(0)
	v_sub_f32_e32 v0, s12, v0
	v_exp_f32_e32 v14, v0
.LBB535_64:
	s_or_b64 exec, exec, s[0:1]
	v_or_b32_e32 v12, 3, v8
	v_cmp_gt_i32_e64 s[0:1], s42, v12
	s_and_saveexec_b64 s[6:7], s[0:1]
	s_cbranch_execz .LBB535_66
; %bb.65:
	v_add_u32_e32 v0, s38, v12
	v_ashrrev_i32_e32 v2, 31, v0
	v_mul_lo_u32 v4, v2, s34
	v_mul_lo_u32 v5, v0, s35
	v_mad_u64_u32 v[2:3], s[16:17], v0, s34, 0
	v_add3_u32 v3, v3, v5, v4
	v_lshl_add_u64 v[2:3], v[2:3], 2, s[10:11]
	global_load_dword v0, v[2:3], off
	s_waitcnt vmcnt(0)
	v_sub_f32_e32 v0, s12, v0
	v_exp_f32_e32 v9, v0
.LBB535_66:
	s_or_b64 exec, exec, s[6:7]
	s_waitcnt lgkmcnt(11)
	v_mfma_f32_16x16x16_bf16 a[0:3], v[32:33], v[22:23], a[0:3]
	v_or_b32_e32 v0, s36, v1
	s_add_u32 s6, s8, s28
	v_ashrrev_i32_e32 v1, 31, v0
	s_waitcnt lgkmcnt(10)
	v_mfma_f32_16x16x16_bf16 a[0:3], v[30:31], v[24:25], a[0:3]
	s_addc_u32 s7, s9, s29
	v_lshlrev_b64 v[0:1], 1, v[0:1]
	v_lshl_add_u64 v[4:5], s[6:7], 0, v[0:1]
	s_waitcnt lgkmcnt(9)
	v_mfma_f32_16x16x16_bf16 a[0:3], v[28:29], v[18:19], a[0:3]
	s_add_u32 s6, s14, s28
	s_addc_u32 s7, s15, s29
	v_lshl_add_u64 v[6:7], s[6:7], 0, v[0:1]
	s_waitcnt lgkmcnt(8)
	v_mfma_f32_16x16x16_bf16 a[0:3], v[26:27], v[20:21], a[0:3]
	v_mov_b32_e32 v16, 0
	v_mov_b32_e32 v17, 0
	s_nop 4
	v_accvgpr_read_b32 v0, a0
	v_accvgpr_read_b32 v1, a1
	;; [unrolled: 1-line block ×4, first 2 shown]
	s_and_saveexec_b64 s[6:7], s[2:3]
	s_cbranch_execz .LBB535_68
; %bb.67:
	v_lshlrev_b32_e32 v18, 8, v8
	v_mov_b32_e32 v19, 0
	v_lshl_add_u64 v[20:21], v[4:5], 0, v[18:19]
	global_load_ushort v17, v[20:21], off
	v_lshl_add_u64 v[18:19], v[6:7], 0, v[18:19]
	s_waitcnt vmcnt(0)
	v_lshlrev_b32_e32 v17, 16, v17
	v_sub_f32_e32 v0, v17, v0
	global_store_short_d16_hi v[18:19], v0, off
	v_mul_f32_e32 v0, v15, v0
	v_lshrrev_b32_e32 v17, 16, v0
.LBB535_68:
	s_or_b64 exec, exec, s[6:7]
	s_and_saveexec_b64 s[2:3], s[4:5]
	s_cbranch_execz .LBB535_70
; %bb.69:
	v_lshlrev_b32_e32 v18, 8, v13
	v_mov_b32_e32 v19, 0
	v_lshl_add_u64 v[20:21], v[4:5], 0, v[18:19]
	global_load_ushort v0, v[20:21], off
	v_lshl_add_u64 v[18:19], v[6:7], 0, v[18:19]
	s_waitcnt vmcnt(0)
	v_lshlrev_b32_e32 v0, 16, v0
	v_sub_f32_e32 v0, v0, v1
	global_store_short_d16_hi v[18:19], v0, off
	v_mul_f32_e32 v0, v10, v0
	v_lshrrev_b32_e32 v16, 16, v0
.LBB535_70:
	s_or_b64 exec, exec, s[2:3]
	v_mov_b32_e32 v0, 0
	v_mov_b32_e32 v1, 0
	s_and_saveexec_b64 s[2:3], vcc
	s_cbranch_execz .LBB535_72
; %bb.71:
	v_lshlrev_b32_e32 v10, 8, v11
	v_mov_b32_e32 v11, 0
	v_lshl_add_u64 v[18:19], v[4:5], 0, v[10:11]
	global_load_ushort v1, v[18:19], off
	v_lshl_add_u64 v[10:11], v[6:7], 0, v[10:11]
	s_waitcnt vmcnt(0)
	v_lshlrev_b32_e32 v1, 16, v1
	v_sub_f32_e32 v1, v1, v2
	global_store_short_d16_hi v[10:11], v1, off
	v_mul_f32_e32 v1, v14, v1
	v_lshrrev_b32_e32 v1, 16, v1
.LBB535_72:
	s_or_b64 exec, exec, s[2:3]
	s_and_saveexec_b64 s[2:3], s[0:1]
	s_cbranch_execz .LBB535_74
; %bb.73:
	v_lshlrev_b32_e32 v10, 8, v12
	v_mov_b32_e32 v11, 0
	v_lshl_add_u64 v[4:5], v[4:5], 0, v[10:11]
	global_load_ushort v0, v[4:5], off
	v_lshl_add_u64 v[4:5], v[6:7], 0, v[10:11]
	s_waitcnt vmcnt(0)
	v_lshlrev_b32_e32 v0, 16, v0
	v_sub_f32_e32 v0, v0, v3
	global_store_short_d16_hi v[4:5], v0, off
	v_mul_f32_e32 v0, v9, v0
	v_lshrrev_b32_e32 v0, 16, v0
.LBB535_74:
	s_or_b64 exec, exec, s[2:3]
	s_mov_b32 s0, 0x5040100
	v_lshlrev_b32_e32 v2, 1, v34
	v_perm_b32 v1, v0, v1, s0
	v_perm_b32 v0, v16, v17, s0
	v_lshl_or_b32 v2, v8, 5, v2
	ds_write_b64 v2, v[0:1] offset:38912
	s_waitcnt lgkmcnt(0)
	s_barrier
.LBB535_75:
	s_endpgm
	.section	.rodata,"a",@progbits
	.p2align	6, 0x0
	.amdhsa_kernel _ZN12_GLOBAL__N_139chunk_gated_delta_rule_fwd_h_hip_kernelILi16ELb0ELb0ELb1ELb1ELb1ELb1ELb0ELb1EEEvPK12hip_bfloat16S3_S3_PKfS5_PKvPS1_S8_PvPKiSB_iiiiilll
		.amdhsa_group_segment_fixed_size 40960
		.amdhsa_private_segment_fixed_size 0
		.amdhsa_kernarg_size 136
		.amdhsa_user_sgpr_count 2
		.amdhsa_user_sgpr_dispatch_ptr 0
		.amdhsa_user_sgpr_queue_ptr 0
		.amdhsa_user_sgpr_kernarg_segment_ptr 1
		.amdhsa_user_sgpr_dispatch_id 0
		.amdhsa_user_sgpr_kernarg_preload_length 0
		.amdhsa_user_sgpr_kernarg_preload_offset 0
		.amdhsa_user_sgpr_private_segment_size 0
		.amdhsa_uses_dynamic_stack 0
		.amdhsa_enable_private_segment 0
		.amdhsa_system_sgpr_workgroup_id_x 1
		.amdhsa_system_sgpr_workgroup_id_y 1
		.amdhsa_system_sgpr_workgroup_id_z 0
		.amdhsa_system_sgpr_workgroup_info 0
		.amdhsa_system_vgpr_workitem_id 0
		.amdhsa_next_free_vgpr 128
		.amdhsa_next_free_sgpr 62
		.amdhsa_accum_offset 116
		.amdhsa_reserve_vcc 1
		.amdhsa_float_round_mode_32 0
		.amdhsa_float_round_mode_16_64 0
		.amdhsa_float_denorm_mode_32 3
		.amdhsa_float_denorm_mode_16_64 3
		.amdhsa_dx10_clamp 1
		.amdhsa_ieee_mode 1
		.amdhsa_fp16_overflow 0
		.amdhsa_tg_split 0
		.amdhsa_exception_fp_ieee_invalid_op 0
		.amdhsa_exception_fp_denorm_src 0
		.amdhsa_exception_fp_ieee_div_zero 0
		.amdhsa_exception_fp_ieee_overflow 0
		.amdhsa_exception_fp_ieee_underflow 0
		.amdhsa_exception_fp_ieee_inexact 0
		.amdhsa_exception_int_div_zero 0
	.end_amdhsa_kernel
	.section	.text._ZN12_GLOBAL__N_139chunk_gated_delta_rule_fwd_h_hip_kernelILi16ELb0ELb0ELb1ELb1ELb1ELb1ELb0ELb1EEEvPK12hip_bfloat16S3_S3_PKfS5_PKvPS1_S8_PvPKiSB_iiiiilll,"axG",@progbits,_ZN12_GLOBAL__N_139chunk_gated_delta_rule_fwd_h_hip_kernelILi16ELb0ELb0ELb1ELb1ELb1ELb1ELb0ELb1EEEvPK12hip_bfloat16S3_S3_PKfS5_PKvPS1_S8_PvPKiSB_iiiiilll,comdat
.Lfunc_end535:
	.size	_ZN12_GLOBAL__N_139chunk_gated_delta_rule_fwd_h_hip_kernelILi16ELb0ELb0ELb1ELb1ELb1ELb1ELb0ELb1EEEvPK12hip_bfloat16S3_S3_PKfS5_PKvPS1_S8_PvPKiSB_iiiiilll, .Lfunc_end535-_ZN12_GLOBAL__N_139chunk_gated_delta_rule_fwd_h_hip_kernelILi16ELb0ELb0ELb1ELb1ELb1ELb1ELb0ELb1EEEvPK12hip_bfloat16S3_S3_PKfS5_PKvPS1_S8_PvPKiSB_iiiiilll
                                        ; -- End function
	.section	.AMDGPU.csdata,"",@progbits
; Kernel info:
; codeLenInByte = 7320
; NumSgprs: 68
; NumVgprs: 114
; NumAgprs: 12
; TotalNumVgprs: 128
; ScratchSize: 0
; MemoryBound: 0
; FloatMode: 240
; IeeeMode: 1
; LDSByteSize: 40960 bytes/workgroup (compile time only)
; SGPRBlocks: 8
; VGPRBlocks: 15
; NumSGPRsForWavesPerEU: 68
; NumVGPRsForWavesPerEU: 128
; AccumOffset: 116
; Occupancy: 1
; WaveLimiterHint : 1
; COMPUTE_PGM_RSRC2:SCRATCH_EN: 0
; COMPUTE_PGM_RSRC2:USER_SGPR: 2
; COMPUTE_PGM_RSRC2:TRAP_HANDLER: 0
; COMPUTE_PGM_RSRC2:TGID_X_EN: 1
; COMPUTE_PGM_RSRC2:TGID_Y_EN: 1
; COMPUTE_PGM_RSRC2:TGID_Z_EN: 0
; COMPUTE_PGM_RSRC2:TIDIG_COMP_CNT: 0
; COMPUTE_PGM_RSRC3_GFX90A:ACCUM_OFFSET: 28
; COMPUTE_PGM_RSRC3_GFX90A:TG_SPLIT: 0
	.section	.text._ZN12_GLOBAL__N_139chunk_gated_delta_rule_fwd_h_hip_kernelILi16ELb0ELb0ELb0ELb1ELb1ELb1ELb0ELb1EEEvPK12hip_bfloat16S3_S3_PKfS5_PKvPS1_S8_PvPKiSB_iiiiilll,"axG",@progbits,_ZN12_GLOBAL__N_139chunk_gated_delta_rule_fwd_h_hip_kernelILi16ELb0ELb0ELb0ELb1ELb1ELb1ELb0ELb1EEEvPK12hip_bfloat16S3_S3_PKfS5_PKvPS1_S8_PvPKiSB_iiiiilll,comdat
	.globl	_ZN12_GLOBAL__N_139chunk_gated_delta_rule_fwd_h_hip_kernelILi16ELb0ELb0ELb0ELb1ELb1ELb1ELb0ELb1EEEvPK12hip_bfloat16S3_S3_PKfS5_PKvPS1_S8_PvPKiSB_iiiiilll ; -- Begin function _ZN12_GLOBAL__N_139chunk_gated_delta_rule_fwd_h_hip_kernelILi16ELb0ELb0ELb0ELb1ELb1ELb1ELb0ELb1EEEvPK12hip_bfloat16S3_S3_PKfS5_PKvPS1_S8_PvPKiSB_iiiiilll
	.p2align	8
	.type	_ZN12_GLOBAL__N_139chunk_gated_delta_rule_fwd_h_hip_kernelILi16ELb0ELb0ELb0ELb1ELb1ELb1ELb0ELb1EEEvPK12hip_bfloat16S3_S3_PKfS5_PKvPS1_S8_PvPKiSB_iiiiilll,@function
_ZN12_GLOBAL__N_139chunk_gated_delta_rule_fwd_h_hip_kernelILi16ELb0ELb0ELb0ELb1ELb1ELb1ELb0ELb1EEEvPK12hip_bfloat16S3_S3_PKfS5_PKvPS1_S8_PvPKiSB_iiiiilll: ; @_ZN12_GLOBAL__N_139chunk_gated_delta_rule_fwd_h_hip_kernelILi16ELb0ELb0ELb0ELb1ELb1ELb1ELb0ELb1EEEvPK12hip_bfloat16S3_S3_PKfS5_PKvPS1_S8_PvPKiSB_iiiiilll
; %bb.0:
	s_load_dwordx4 s[12:15], s[0:1], 0x5c
	s_load_dwordx4 s[16:19], s[0:1], 0x70
	s_abs_i32 s21, s3
	s_ashr_i32 s20, s3, 31
	s_load_dwordx2 s[36:37], s[0:1], 0x30
	s_load_dwordx4 s[24:27], s[0:1], 0x48
	s_waitcnt lgkmcnt(0)
	s_abs_i32 s28, s13
	v_cvt_f32_u32_e32 v1, s28
	s_sub_i32 s22, 0, s28
	s_ashr_i32 s29, s13, 31
	s_xor_b32 s20, s20, s29
	v_rcp_iflag_f32_e32 v1, v1
	s_load_dwordx8 s[4:11], s[0:1], 0x0
	v_lshrrev_b32_e32 v59, 6, v0
	v_bfe_u32 v60, v0, 4, 2
	v_mul_f32_e32 v1, 0x4f7ffffe, v1
	v_cvt_u32_f32_e32 v1, v1
	v_lshlrev_b32_e32 v45, 4, v59
	v_lshlrev_b32_e32 v2, 2, v60
	v_and_b32_e32 v58, 63, v0
	v_readfirstlane_b32 s23, v1
	s_mul_i32 s22, s22, s23
	s_mul_hi_u32 s22, s23, s22
	s_add_i32 s23, s23, s22
	s_mul_hi_u32 s22, s21, s23
	s_mul_i32 s23, s22, s28
	s_sub_i32 s21, s21, s23
	s_add_i32 s30, s22, 1
	s_sub_i32 s23, s21, s28
	s_cmp_ge_u32 s21, s28
	s_cselect_b32 s22, s30, s22
	s_cselect_b32 s21, s23, s21
	s_add_i32 s23, s22, 1
	s_cmp_ge_u32 s21, s28
	s_cselect_b32 s21, s23, s22
	s_xor_b32 s21, s21, s20
	s_sub_i32 s20, s21, s20
	s_mul_i32 s21, s20, s13
	s_sub_i32 s33, s3, s21
	s_ashr_i32 s21, s20, 31
	s_lshl_b64 s[22:23], s[20:21], 2
	s_add_u32 s24, s24, s22
	s_addc_u32 s25, s25, s23
	s_add_u32 s22, s26, s22
	s_addc_u32 s23, s27, s23
	s_abs_i32 s3, s14
	v_cvt_f32_u32_e32 v1, s3
	s_load_dwordx2 s[34:35], s[24:25], 0x0
	s_sub_i32 s25, 0, s3
	s_load_dword s46, s[22:23], 0x0
	v_rcp_iflag_f32_e32 v1, v1
	v_or_b32_e32 v64, v2, v45
	s_waitcnt lgkmcnt(0)
	s_sub_i32 s47, s35, s34
	s_ashr_i32 s24, s47, 31
	v_mul_f32_e32 v1, 0x4f7ffffe, v1
	v_cvt_u32_f32_e32 v1, v1
	s_lshr_b32 s24, s24, 26
	s_add_i32 s24, s47, s24
	s_ashr_i32 s45, s24, 6
	v_readfirstlane_b32 s26, v1
	s_mul_i32 s25, s25, s26
	s_mul_hi_u32 s25, s26, s25
	s_add_i32 s26, s26, s25
	s_mul_hi_u32 s25, s28, s26
	s_mul_i32 s26, s25, s3
	s_ashr_i32 s24, s14, 31
	s_sub_i32 s26, s28, s26
	s_xor_b32 s24, s29, s24
	s_add_i32 s27, s25, 1
	s_sub_i32 s28, s26, s3
	s_cmp_ge_u32 s26, s3
	s_cselect_b32 s25, s27, s25
	s_cselect_b32 s26, s28, s26
	s_add_i32 s27, s25, 1
	s_cmp_ge_u32 s26, s3
	s_cselect_b32 s3, s27, s25
	s_xor_b32 s3, s3, s24
	s_sub_i32 s3, s3, s24
	s_abs_i32 s24, s3
	v_cvt_f32_u32_e32 v1, s24
	s_sub_i32 s23, 0, s24
	s_abs_i32 s22, s33
	s_xor_b32 s3, s33, s3
	v_rcp_iflag_f32_e32 v1, v1
	s_ashr_i32 s3, s3, 31
	s_load_dwordx2 s[28:29], s[0:1], 0x80
	v_mov_b32_e32 v49, 0
	v_mul_f32_e32 v1, 0x4f7ffffe, v1
	v_cvt_u32_f32_e32 v1, v1
	v_or_b32_e32 v63, 64, v64
	s_mul_hi_i32 s48, s33, s12
	s_mul_i32 s49, s33, s12
	v_readfirstlane_b32 s25, v1
	s_mul_i32 s23, s23, s25
	s_mul_hi_u32 s23, s25, s23
	s_add_i32 s25, s25, s23
	s_mul_hi_u32 s23, s22, s25
	s_mul_i32 s25, s23, s24
	s_sub_i32 s22, s22, s25
	s_add_i32 s25, s23, 1
	s_sub_i32 s26, s22, s24
	s_cmp_ge_u32 s22, s24
	s_cselect_b32 s23, s25, s23
	s_cselect_b32 s22, s26, s22
	s_add_i32 s25, s23, 1
	s_cmp_ge_u32 s22, s24
	s_cselect_b32 s22, s25, s23
	s_xor_b32 s22, s22, s3
	s_sub_i32 s51, s22, s3
	s_lshl_b32 s30, s2, 4
	v_and_b32_e32 v1, 15, v0
	s_cmp_lt_i32 s47, 64
	v_lshrrev_b32_e32 v62, 3, v58
	v_lshlrev_b32_e32 v61, 3, v0
	s_mul_i32 s42, s20, s17
	s_mul_hi_u32 s43, s20, s16
	s_mul_i32 s44, s21, s16
	s_mul_i32 s16, s20, s16
	v_mov_b32_e32 v48, v49
	v_mov_b32_e32 v51, v49
	v_mov_b32_e32 v50, v49
	v_mov_b32_e32 v53, v49
	v_mov_b32_e32 v52, v49
	v_mov_b32_e32 v47, v49
	v_mov_b32_e32 v46, v49
	s_cbranch_scc1 .LBB536_18
; %bb.1:
	s_ashr_i32 s53, s33, 31
	s_ashr_i32 s3, s34, 31
	s_add_u32 s2, s49, s34
	s_addc_u32 s3, s48, s3
	s_lshl_b64 s[2:3], s[2:3], 8
	v_and_b32_e32 v66, 56, v61
	s_add_u32 s20, s6, s2
	v_lshl_or_b32 v65, v59, 3, v62
	v_lshlrev_b32_e32 v3, 1, v66
	s_addc_u32 s2, s7, s3
	v_lshl_or_b32 v67, v65, 8, v3
	s_and_b32 s21, s2, 0xffff
	s_mov_b32 s23, 0x20000
	s_movk_i32 s22, 0x4000
	s_movk_i32 s2, 0x80
	v_or_b32_e32 v68, 0x2000, v67
	buffer_load_dwordx4 v[4:7], v67, s[20:23], 0 offen
	buffer_load_dwordx4 v[8:11], v67, s[20:23], s2 offen
	;; [unrolled: 1-line block ×4, first 2 shown]
	v_lshlrev_b32_e32 v20, 3, v65
	v_and_or_b32 v22, v0, 7, v20
	v_and_b32_e32 v20, 0x78, v20
	v_lshlrev_b32_e32 v22, 4, v22
	v_xor_b32_e32 v69, v22, v20
	v_mul_lo_u32 v21, v65, s15
	v_or_b32_e32 v70, 0x1000, v69
	s_cmpk_eq_i32 s15, 0x80
	s_mov_b32 s50, s13
	s_mov_b32 s52, s34
	v_xor_b32_e32 v20, 8, v69
	v_xor_b32_e32 v22, 8, v70
	s_cselect_b64 s[2:3], -1, 0
	s_cmpk_lg_i32 s15, 0x80
	s_waitcnt vmcnt(3)
	ds_write_b64 v69, v[4:5] offset:16384
	ds_write_b64 v20, v[6:7] offset:16384
	s_waitcnt vmcnt(2)
	ds_write_b64 v69, v[8:9] offset:24576
	ds_write_b64 v20, v[10:11] offset:24576
	;; [unrolled: 3-line block ×4, first 2 shown]
	v_lshl_add_u32 v4, v21, 1, v66
	s_cbranch_scc0 .LBB536_3
; %bb.2:
	v_lshlrev_b32_e32 v6, 1, v4
	v_add_lshl_u32 v5, v4, s15, 1
	s_lshl_b32 s22, s15, 7
	s_load_dwordx2 s[38:39], s[0:1], 0x20
	v_lshl_or_b32 v3, v65, 9, v3
	s_cbranch_execz .LBB536_4
	s_branch .LBB536_5
.LBB536_3:
                                        ; implicit-def: $vgpr5
                                        ; implicit-def: $vgpr6
                                        ; implicit-def: $sgpr22
	s_load_dwordx2 s[38:39], s[0:1], 0x20
	v_lshl_or_b32 v3, v65, 9, v3
.LBB536_4:
	v_or_b32_e32 v5, 0x100, v3
	s_movk_i32 s22, 0x4000
	v_mov_b32_e32 v6, v3
.LBB536_5:
	s_mul_i32 s0, s34, s14
	s_ashr_i32 s54, s51, 31
	s_mul_hi_i32 s1, s34, s14
	s_add_u32 s0, s0, s51
	s_addc_u32 s1, s1, s54
	s_lshl_b64 s[0:1], s[0:1], 8
	s_add_u32 s20, s4, s0
	s_addc_u32 s0, s5, s1
	s_and_b32 s21, s0, 0xffff
	s_movk_i32 s55, 0x80
	buffer_load_dwordx4 v[8:11], v6, s[20:23], 0 offen
	buffer_load_dwordx4 v[12:15], v6, s[20:23], s55 offen
	;; [unrolled: 1-line block ×4, first 2 shown]
	v_and_b32_e32 v5, 6, v0
	v_lshlrev_b32_e32 v7, 2, v1
	v_lshlrev_b32_e32 v24, 3, v1
	v_xor_b32_e32 v26, v65, v5
	v_and_b32_e32 v6, 1, v0
	v_lshl_or_b32 v24, v64, 5, v24
	v_xor_b32_e32 v27, v64, v7
	v_lshlrev_b32_e32 v26, 2, v26
	s_mul_i32 s1, s33, s19
	s_mul_hi_u32 s17, s33, s18
	v_or_b32_e32 v71, 0x9000, v24
	v_or_b32_e32 v72, 0x9800, v24
	v_lshlrev_b32_e32 v24, 1, v27
	v_xor_b32_e32 v27, 0x440, v26
	v_cmp_eq_u32_e32 vcc, 0, v6
	s_add_i32 s21, s43, s42
	s_mul_i32 s20, s53, s18
	v_cndmask_b32_e32 v6, v27, v26, vcc
	s_add_i32 s1, s17, s1
	s_add_i32 s17, s21, s44
	s_mov_b32 s56, 0x1000504
	v_lshlrev_b32_e32 v25, 8, v1
	s_mov_b32 s22, 0x8000
	v_xor_b32_e32 v7, v63, v7
	v_lshl_or_b32 v5, v5, 10, v6
	s_add_i32 s1, s1, s20
	s_lshl_b64 s[20:21], s[16:17], 2
	s_mov_b32 s57, 0x3020706
	s_mul_i32 s0, s33, s18
	v_lshlrev_b32_e32 v7, 1, v7
	v_or3_b32 v73, v24, v25, s22
	v_xor_b32_e32 v6, 8, v5
	v_xor_b32_e32 v24, 24, v5
	v_xor_b32_e32 v26, 40, v5
	v_xor_b32_e32 v28, 56, v5
	s_add_u32 s17, s10, s20
	v_or3_b32 v74, v7, v25, s22
	v_xor_b32_e32 v7, 16, v5
	v_xor_b32_e32 v25, 32, v5
	;; [unrolled: 1-line block ×3, first 2 shown]
	v_add_u32_e32 v6, 0x80, v6
	v_add_u32_e32 v24, 0x80, v24
	;; [unrolled: 1-line block ×4, first 2 shown]
	s_addc_u32 s20, s11, s21
	s_lshl_b64 s[0:1], s[0:1], 2
	s_add_u32 s40, s17, s0
	s_movk_i32 s0, 0xf8
	s_addc_u32 s41, s20, s1
	s_ashr_i32 s31, s30, 31
	s_lshl_b32 s26, s15, 7
	v_mov_b32_e32 v47, 0
	s_mov_b32 s58, 0
	v_add_u32_e32 v85, v45, v2
	s_mov_b32 s17, 0x7060302
	v_mov_b32_e32 v52, v47
	v_mov_b32_e32 v53, v47
	;; [unrolled: 1-line block ×6, first 2 shown]
	s_waitcnt vmcnt(1)
	v_perm_b32 v29, v8, v16, s56
	s_waitcnt vmcnt(0)
	v_perm_b32 v30, v12, v20, s56
	v_perm_b32 v8, v8, v16, s57
	;; [unrolled: 1-line block ×15, first 2 shown]
	ds_write2st64_b32 v5, v29, v30 offset1:32
	ds_write2st64_b32 v6, v8, v12 offset1:32
	ds_write2st64_b32 v7, v16, v20 offset0:1 offset1:33
	ds_write2st64_b32 v24, v9, v13 offset0:1 offset1:33
	;; [unrolled: 1-line block ×6, first 2 shown]
	v_or_b32_e32 v5, v45, v1
	v_lshlrev_b32_e32 v5, 3, v5
	v_lshrrev_b32_e32 v7, 5, v58
	v_and_or_b32 v7, v5, s0, v7
	v_lshlrev_b32_e32 v7, 4, v7
	v_lshrrev_b32_e32 v6, 2, v58
	v_lshlrev_b32_e32 v9, 11, v59
	v_and_b32_e32 v5, 0x78, v5
	v_or_b32_e32 v12, 32, v7
	v_and_b32_e32 v8, 12, v6
	v_and_b32_e32 v6, 0x1000, v9
	v_lshrrev_b32_e32 v11, 1, v58
	v_xor_b32_e32 v12, v12, v5
	v_and_b32_e32 v11, 8, v11
	v_or_b32_e32 v12, v12, v6
	v_xor_b32_e32 v10, v7, v5
	v_xor_b32_e32 v77, v12, v11
	v_or_b32_e32 v12, 64, v7
	v_or_b32_e32 v7, 0x60, v7
	;; [unrolled: 1-line block ×3, first 2 shown]
	v_xor_b32_e32 v12, v12, v5
	v_xor_b32_e32 v5, v7, v5
	;; [unrolled: 1-line block ×3, first 2 shown]
	v_and_b32_e32 v10, 0x78, v61
	v_or_b32_e32 v5, v5, v6
	v_lshl_or_b32 v10, v60, 7, v10
	v_or_b32_e32 v12, v12, v6
	v_xor_b32_e32 v79, v5, v11
	v_lshlrev_b32_e32 v5, 1, v1
	v_or_b32_e32 v76, 0x9000, v10
	v_xor_b32_e32 v78, v12, v11
	v_or_b32_e32 v80, 0x9800, v10
	v_lshlrev_b32_e32 v10, 1, v4
	v_add_lshl_u32 v11, v4, s15, 1
	v_lshrrev_b32_e32 v4, 4, v0
	s_lshl_b64 s[0:1], s[30:31], 8
	v_or_b32_e32 v13, 1, v5
	s_add_u32 s0, s36, s0
	v_xor_b32_e32 v5, v4, v5
	v_xor_b32_e32 v13, v13, v4
	s_addc_u32 s1, s37, s1
	v_lshlrev_b32_e32 v5, 3, v5
	v_lshlrev_b32_e32 v46, 8, v4
	;; [unrolled: 1-line block ×3, first 2 shown]
	v_lshrrev_b32_e32 v17, 1, v0
	v_or3_b32 v81, v5, v46, s22
	v_or3_b32 v82, v4, v46, s22
	v_lshl_add_u64 v[4:5], s[0:1], 0, v[46:47]
	v_lshlrev_b32_e32 v46, 4, v1
	s_movk_i32 s0, 0xff
	v_lshlrev_b32_e32 v16, 3, v59
	v_and_b32_e32 v17, 24, v17
	v_lshl_add_u64 v[54:55], v[4:5], 0, v[46:47]
	v_and_b32_e32 v5, 8, v0
	v_cmp_lt_u32_e32 vcc, s0, v0
	v_xor_b32_e32 v18, v16, v17
	v_or_b32_e32 v19, 0x440, v18
	v_cndmask_b32_e64 v15, 0, 1, vcc
	v_cmp_eq_u32_e32 vcc, 0, v5
	v_or_b32_e32 v21, 64, v17
	v_xor_b32_e32 v21, v16, v21
	v_cndmask_b32_e32 v5, v19, v18, vcc
	v_or_b32_e32 v19, 32, v17
	v_or_b32_e32 v17, 0x60, v17
	v_xor_b32_e32 v19, v16, v19
	v_xor_b32_e32 v16, v16, v17
	v_or_b32_e32 v20, 0x440, v19
	v_xor_b32_e32 v22, 0x440, v21
	v_xor_b32_e32 v17, 0x440, v16
	v_and_b32_e32 v4, 7, v0
	v_cndmask_b32_e32 v19, v20, v19, vcc
	v_cndmask_b32_e32 v21, v22, v21, vcc
	;; [unrolled: 1-line block ×3, first 2 shown]
	v_or_b32_e32 v6, s30, v1
	v_lshlrev_b32_e32 v13, 3, v4
	v_or_b32_e32 v5, v5, v9
	v_or_b32_e32 v19, v19, v9
	;; [unrolled: 1-line block ×4, first 2 shown]
	v_ashrrev_i32_e32 v7, 31, v6
	v_lshlrev_b32_e32 v15, 13, v15
	v_xor_b32_e32 v5, v5, v13
	v_xor_b32_e32 v19, v19, v13
	;; [unrolled: 1-line block ×4, first 2 shown]
	v_lshl_add_u64 v[6:7], v[6:7], 1, s[8:9]
	v_or_b32_e32 v12, 0x100, v3
	v_lshlrev_b32_e32 v14, 7, v4
	v_or_b32_e32 v4, v8, v45
	v_add_u32_e32 v18, v15, v5
	v_add_u32_e32 v20, v15, v19
	;; [unrolled: 1-line block ×4, first 2 shown]
	v_or3_b32 v8, v45, v8, 64
	v_add_u32_e32 v5, 0x2000, v5
	v_add_u32_e32 v15, 0x2000, v19
	;; [unrolled: 1-line block ×4, first 2 shown]
	v_lshlrev_b32_e32 v46, 8, v64
	v_cndmask_b32_e64 v83, v10, v3, s[2:3]
	v_cndmask_b32_e64 v84, v11, v12, s[2:3]
	v_lshl_add_u64 v[56:57], v[6:7], 0, v[46:47]
	s_movk_i32 s22, 0x4000
	v_lshlrev_b32_e32 v86, 2, v4
	v_add_u32_e32 v87, v18, v14
	v_add_u32_e32 v88, v20, v14
	;; [unrolled: 1-line block ×4, first 2 shown]
	v_lshlrev_b32_e32 v91, 2, v8
	v_add_u32_e32 v92, v5, v14
	v_add_u32_e32 v93, v15, v14
	;; [unrolled: 1-line block ×4, first 2 shown]
	v_mov_b32_e32 v46, v47
	s_waitcnt lgkmcnt(0)
	s_barrier
.LBB536_6:                              ; =>This Inner Loop Header: Depth=1
	s_add_i32 s31, s58, 1
	s_cmp_lt_i32 s31, s45
	s_mov_b64 s[24:25], 0
	s_cselect_b64 s[2:3], -1, 0
	s_cmp_ge_i32 s31, s45
	s_mov_b64 s[20:21], 0
	s_cbranch_scc1 .LBB536_8
; %bb.7:                                ;   in Loop: Header=BB536_6 Depth=1
	s_add_i32 s0, s52, 64
	s_ashr_i32 s1, s0, 31
	s_add_u32 s0, s49, s0
	s_addc_u32 s1, s48, s1
	s_lshl_b64 s[0:1], s[0:1], 8
	s_add_u32 s20, s6, s0
	s_addc_u32 s21, s7, s1
.LBB536_8:                              ;   in Loop: Header=BB536_6 Depth=1
	v_cndmask_b32_e64 v2, 0, 1, s[2:3]
	v_cmp_ne_u32_e64 s[0:1], 1, v2
	s_andn2_b64 vcc, exec, s[2:3]
	s_cbranch_vccnz .LBB536_10
; %bb.9:                                ;   in Loop: Header=BB536_6 Depth=1
	s_add_i32 s2, s52, 64
	s_mul_hi_i32 s3, s2, s14
	s_mul_i32 s2, s2, s14
	s_add_u32 s2, s2, s51
	s_addc_u32 s3, s3, s54
	s_lshl_b64 s[2:3], s[2:3], 8
	s_add_u32 s24, s4, s2
	s_addc_u32 s25, s5, s3
.LBB536_10:                             ;   in Loop: Header=BB536_6 Depth=1
	v_perm_b32 v3, v53, v52, s17
	v_perm_b32 v2, v47, v46, s17
	v_perm_b32 v5, v49, v48, s17
	v_perm_b32 v4, v51, v50, s17
	ds_write_b64 v71, v[2:3]
	ds_write_b64 v72, v[4:5]
	;; [unrolled: 1-line block ×4, first 2 shown]
	s_waitcnt lgkmcnt(0)
	s_barrier
	ds_read_b64 v[10:11], v75 offset:16384
	ds_read_b64 v[12:13], v77 offset:16384
	ds_read2st64_b64 v[2:5], v76 offset1:1
	s_waitcnt lgkmcnt(0)
	v_mfma_f32_16x16x16_bf16 a[0:3], v[10:11], v[2:3], 0
	ds_read2st64_b64 v[6:9], v76 offset0:2 offset1:3
	ds_read_b64 v[14:15], v78 offset:16384
	ds_read_b64 v[2:3], v79 offset:16384
	s_add_i32 s59, s52, 63
	v_mfma_f32_16x16x16_bf16 a[0:3], v[12:13], v[4:5], a[0:3]
	s_ashr_i32 s2, s59, 31
	s_mul_i32 s3, s59, s29
	s_mul_hi_u32 s27, s59, s28
	s_waitcnt lgkmcnt(1)
	v_mfma_f32_16x16x16_bf16 a[0:3], v[14:15], v[6:7], a[0:3]
	s_add_i32 s3, s27, s3
	s_mul_i32 s2, s2, s28
	s_add_i32 s3, s3, s2
	s_mul_i32 s2, s59, s28
	s_waitcnt lgkmcnt(0)
	v_mfma_f32_16x16x16_bf16 a[0:3], v[2:3], v[8:9], a[0:3]
	s_lshl_b64 s[2:3], s[2:3], 2
	s_add_u32 s2, s40, s2
	s_addc_u32 s3, s41, s3
	s_and_b64 vcc, exec, s[0:1]
	v_mov_b32_e32 v98, 0
	v_mov_b32_e32 v97, 0
	;; [unrolled: 1-line block ×19, first 2 shown]
	s_cbranch_vccnz .LBB536_12
; %bb.11:                               ;   in Loop: Header=BB536_6 Depth=1
	s_and_b32 s21, s21, 0xffff
	buffer_load_dwordx4 v[14:17], v67, s[20:23], 0 offen
	buffer_load_dwordx4 v[10:13], v67, s[20:23], s55 offen
	;; [unrolled: 1-line block ×4, first 2 shown]
	v_mov_b32_e32 v97, v69
	v_mov_b32_e32 v96, v70
.LBB536_12:                             ;   in Loop: Header=BB536_6 Depth=1
	v_add_u32_e32 v22, s52, v85
	v_ashrrev_i32_e32 v18, 31, v22
	v_mul_lo_u32 v20, v18, s28
	v_mul_lo_u32 v21, v22, s29
	v_mad_u64_u32 v[18:19], s[20:21], v22, s28, 0
	v_add3_u32 v19, v19, v21, v20
	v_lshl_add_u64 v[18:19], v[18:19], 2, s[40:41]
	global_load_dword v40, v[18:19], off
	v_add_u32_e32 v18, 1, v22
	v_ashrrev_i32_e32 v19, 31, v18
	v_mul_lo_u32 v20, v19, s28
	v_mul_lo_u32 v21, v18, s29
	v_mad_u64_u32 v[18:19], s[20:21], v18, s28, 0
	v_add3_u32 v19, v19, v21, v20
	v_add_u32_e32 v20, 2, v22
	v_ashrrev_i32_e32 v21, 31, v20
	v_mul_lo_u32 v23, v21, s28
	v_mul_lo_u32 v24, v20, s29
	v_mad_u64_u32 v[20:21], s[20:21], v20, s28, 0
	v_add_u32_e32 v22, 3, v22
	v_add3_u32 v21, v21, v24, v23
	v_ashrrev_i32_e32 v23, 31, v22
	v_mul_lo_u32 v26, v23, s28
	v_mul_lo_u32 v27, v22, s29
	v_mad_u64_u32 v[22:23], s[20:21], v22, s28, 0
	s_ashr_i32 s21, s52, 31
	s_add_u32 s20, s49, s52
	s_addc_u32 s21, s48, s21
	s_lshl_b64 s[20:21], s[20:21], 8
	v_lshl_add_u64 v[18:19], v[18:19], 2, s[40:41]
	v_lshl_add_u64 v[24:25], v[56:57], 0, s[20:21]
	v_add3_u32 v23, v23, v27, v26
	v_lshl_add_u64 v[20:21], v[20:21], 2, s[40:41]
	global_load_ushort v41, v[24:25], off
	global_load_ushort v42, v[24:25], off offset:256
	global_load_ushort v43, v[24:25], off offset:512
	;; [unrolled: 1-line block ×3, first 2 shown]
	v_lshl_add_u64 v[22:23], v[22:23], 2, s[40:41]
	global_load_dword v100, v[18:19], off
	global_load_dword v101, v[20:21], off
	;; [unrolled: 1-line block ×3, first 2 shown]
	s_load_dword s2, s[2:3], 0x0
	ds_read2st64_b64 v[26:29], v80 offset1:1
	ds_read2st64_b64 v[30:33], v80 offset0:2 offset1:3
	ds_read_b64 v[24:25], v75 offset:24576
	ds_read_b64 v[34:35], v77 offset:24576
	;; [unrolled: 1-line block ×4, first 2 shown]
	s_waitcnt lgkmcnt(0)
	v_mfma_f32_16x16x16_bf16 a[0:3], v[24:25], v[26:27], a[0:3]
	v_mov_b32_e32 v99, 0
	v_mov_b32_e32 v18, 0
	v_mov_b32_e32 v19, 0
	v_mfma_f32_16x16x16_bf16 a[0:3], v[34:35], v[28:29], a[0:3]
	v_mov_b32_e32 v20, 0
	v_mov_b32_e32 v21, 0
	v_mov_b32_e32 v22, 0
	;; [unrolled: 4-line block ×4, first 2 shown]
	v_mov_b32_e32 v29, 0
	v_mov_b32_e32 v30, 0
	;; [unrolled: 1-line block ×3, first 2 shown]
	s_and_b64 vcc, exec, s[0:1]
	v_accvgpr_read_b32 v35, a1
	v_accvgpr_read_b32 v33, a3
	;; [unrolled: 1-line block ×4, first 2 shown]
	s_waitcnt vmcnt(7)
	v_sub_f32_e32 v40, s2, v40
	v_exp_f32_e32 v40, v40
	s_waitcnt vmcnt(6)
	v_lshlrev_b32_e32 v36, 16, v41
	s_waitcnt vmcnt(5)
	v_lshlrev_b32_e32 v37, 16, v42
	;; [unrolled: 2-line block ×3, first 2 shown]
	s_waitcnt vmcnt(2)
	v_sub_f32_e32 v41, s2, v100
	s_waitcnt vmcnt(1)
	v_sub_f32_e32 v42, s2, v101
	;; [unrolled: 2-line block ×3, first 2 shown]
	v_exp_f32_e32 v41, v41
	v_exp_f32_e32 v42, v42
	;; [unrolled: 1-line block ×3, first 2 shown]
	v_lshlrev_b32_e32 v39, 16, v44
	v_pk_add_f32 v[34:35], v[36:37], v[34:35] neg_lo:[0,1] neg_hi:[0,1]
	v_pk_add_f32 v[32:33], v[38:39], v[32:33] neg_lo:[0,1] neg_hi:[0,1]
	v_pk_mul_f32 v[34:35], v[40:41], v[34:35]
	v_pk_mul_f32 v[32:33], v[42:43], v[32:33]
	s_nop 0
	v_perm_b32 v33, v33, v32, s17
	v_perm_b32 v32, v35, v34, s17
	ds_write_b64 v72, v[32:33]
	v_mov_b32_e32 v32, 0
	v_mov_b32_e32 v33, 0
	s_cbranch_vccnz .LBB536_14
; %bb.13:                               ;   in Loop: Header=BB536_6 Depth=1
	s_and_b32 s25, s25, 0xffff
	s_mov_b32 s27, s23
	buffer_load_dwordx4 v[30:33], v83, s[24:27], 0 offen
	buffer_load_dwordx4 v[22:25], v83, s[24:27], s55 offen
	buffer_load_dwordx4 v[26:29], v84, s[24:27], 0 offen
	buffer_load_dwordx4 v[18:21], v84, s[24:27], s55 offen
	v_mov_b32_e32 v98, v66
	v_mov_b32_e32 v99, v65
.LBB536_14:                             ;   in Loop: Header=BB536_6 Depth=1
	s_waitcnt lgkmcnt(0)
	s_barrier
	ds_read_b64 v[34:35], v87
	ds_read_b64 v[40:41], v88
	ds_read2st64_b64 v[36:39], v80 offset1:1
	ds_read2st64_b64 v[100:103], v80 offset0:2 offset1:3
	ds_read_b64 v[42:43], v89
	ds_read_b64 v[108:109], v90
	s_add_i32 s3, s46, s58
	s_mul_hi_i32 s21, s3, s50
	s_mul_i32 s3, s3, s50
	s_waitcnt lgkmcnt(3)
	v_mfma_f32_16x16x16_bf16 a[0:3], v[34:35], v[36:37], 0
	ds_read_b64 v[34:35], v92
	s_add_u32 s20, s3, s33
	s_addc_u32 s21, s21, s53
	v_mfma_f32_16x16x16_bf16 a[0:3], v[40:41], v[38:39], a[0:3]
	ds_read_b64 v[40:41], v93
	s_lshl_b64 s[20:21], s[20:21], 15
	s_mul_i32 s24, s59, s50
	s_mul_hi_i32 s3, s59, s50
	s_add_u32 s24, s24, s33
	s_addc_u32 s25, s3, s53
	s_lshl_b64 s[24:25], s[24:25], 9
	s_add_u32 s24, s38, s24
	s_waitcnt lgkmcnt(1)
	v_mfma_f32_16x16x16_bf16 a[4:7], v[34:35], v[36:37], 0
	s_addc_u32 s25, s39, s25
	s_and_b64 vcc, exec, s[0:1]
	v_mfma_f32_16x16x16_bf16 a[0:3], v[42:43], v[100:101], a[0:3]
	ds_read_b64 v[42:43], v94
	ds_read_b64 v[110:111], v95
	global_load_dwordx4 v[34:37], v91, s[24:25]
	s_waitcnt lgkmcnt(2)
	v_mfma_f32_16x16x16_bf16 a[4:7], v[40:41], v[38:39], a[4:7]
	global_load_dwordx4 v[38:41], v86, s[24:25]
	ds_read_b64 v[104:105], v81
	ds_read_b64 v[106:107], v82
	s_waitcnt lgkmcnt(3)
	v_mfma_f32_16x16x16_bf16 a[8:11], v[42:43], v[100:101], a[4:7]
	v_lshl_add_u64 v[42:43], v[54:55], 0, s[20:21]
	s_waitcnt lgkmcnt(0)
	global_store_dwordx4 v[42:43], v[104:107], off
	v_mfma_f32_16x16x16_bf16 a[4:7], v[108:109], v[102:103], a[0:3]
	s_waitcnt vmcnt(2)
	v_mov_b32_e32 v44, v37
	v_mfma_f32_16x16x16_bf16 a[0:3], v[110:111], v[102:103], a[8:11]
	v_mov_b32_e32 v43, v36
	v_mov_b32_e32 v42, v35
	s_cbranch_vccnz .LBB536_16
; %bb.15:                               ;   in Loop: Header=BB536_6 Depth=1
	v_lshrrev_b32_e32 v35, 3, v98
	v_and_b32_e32 v35, 6, v35
	v_xor_b32_e32 v36, v35, v99
	v_lshlrev_b32_e32 v36, 2, v36
	v_and_b32_e32 v37, 8, v98
	v_xor_b32_e32 v98, 0x440, v36
	v_cmp_eq_u32_e32 vcc, 0, v37
	v_perm_b32 v37, v22, v18, s56
	s_nop 0
	v_cndmask_b32_e32 v36, v98, v36, vcc
	v_lshl_or_b32 v35, v35, 10, v36
	v_perm_b32 v36, v30, v26, s56
	s_barrier
	ds_write2st64_b32 v35, v36, v37 offset1:32
	v_xor_b32_e32 v36, 8, v35
	v_perm_b32 v26, v30, v26, s57
	v_perm_b32 v18, v22, v18, s57
	v_add_u32_e32 v22, 0x80, v36
	ds_write2st64_b32 v22, v26, v18 offset1:32
	v_xor_b32_e32 v18, 16, v35
	v_perm_b32 v22, v31, v27, s56
	v_perm_b32 v26, v23, v19, s56
	ds_write2st64_b32 v18, v22, v26 offset0:1 offset1:33
	v_xor_b32_e32 v18, 24, v35
	v_perm_b32 v22, v31, v27, s57
	v_perm_b32 v19, v23, v19, s57
	v_add_u32_e32 v18, 0x80, v18
	ds_write2st64_b32 v18, v22, v19 offset0:1 offset1:33
	v_xor_b32_e32 v18, 32, v35
	v_perm_b32 v19, v32, v28, s56
	v_perm_b32 v22, v24, v20, s56
	ds_write2st64_b32 v18, v19, v22 offset0:2 offset1:34
	v_xor_b32_e32 v18, 40, v35
	v_perm_b32 v19, v32, v28, s57
	v_perm_b32 v20, v24, v20, s57
	v_add_u32_e32 v18, 0x80, v18
	ds_write2st64_b32 v18, v19, v20 offset0:2 offset1:34
	;; [unrolled: 9-line block ×3, first 2 shown]
	ds_write_b64 v97, v[14:15] offset:16384
	v_xor_b32_e32 v14, 8, v97
	ds_write_b64 v14, v[16:17] offset:16384
	ds_write_b64 v97, v[10:11] offset:24576
	;; [unrolled: 1-line block ×4, first 2 shown]
	v_xor_b32_e32 v6, 8, v96
	ds_write_b64 v6, v[8:9] offset:16384
	ds_write_b64 v96, v[2:3] offset:24576
	;; [unrolled: 1-line block ×3, first 2 shown]
.LBB536_16:                             ;   in Loop: Header=BB536_6 Depth=1
	v_exp_f32_e32 v10, s2
	s_waitcnt vmcnt(1)
	v_exp_f32_e32 v12, v38
	v_exp_f32_e32 v13, v39
	;; [unrolled: 1-line block ×4, first 2 shown]
	v_accvgpr_read_b32 v2, a4
	v_accvgpr_read_b32 v3, a5
	v_pk_mul_f32 v[12:13], v[10:11], v[12:13] op_sel_hi:[0,1]
	v_pk_fma_f32 v[46:47], v[46:47], v[12:13], v[2:3]
	v_exp_f32_e32 v12, v34
	v_exp_f32_e32 v13, v42
	v_pk_mul_f32 v[2:3], v[10:11], v[14:15] op_sel_hi:[0,1]
	v_exp_f32_e32 v14, v43
	v_exp_f32_e32 v15, v44
	v_accvgpr_read_b32 v4, a6
	v_accvgpr_read_b32 v5, a7
	;; [unrolled: 1-line block ×5, first 2 shown]
	v_pk_fma_f32 v[52:53], v[52:53], v[2:3], v[4:5]
	v_pk_mul_f32 v[2:3], v[10:11], v[12:13] op_sel_hi:[0,1]
	v_accvgpr_read_b32 v8, a2
	v_pk_fma_f32 v[50:51], v[50:51], v[2:3], v[6:7]
	v_pk_mul_f32 v[2:3], v[10:11], v[14:15] op_sel_hi:[0,1]
	s_add_i32 s52, s52, 64
	s_cmp_eq_u32 s45, s31
	v_pk_fma_f32 v[48:49], v[48:49], v[2:3], v[8:9]
	s_cbranch_scc1 .LBB536_18
; %bb.17:                               ;   in Loop: Header=BB536_6 Depth=1
	s_mov_b32 s58, s31
	s_branch .LBB536_6
.LBB536_18:
	s_lshl_b32 s0, s45, 6
	s_sub_i32 s40, s47, s0
	s_cmp_gt_i32 s40, 0
	s_cbranch_scc0 .LBB536_75
; %bb.19:
	s_add_i32 s34, s0, s34
	s_ashr_i32 s2, s34, 31
	s_cmpk_lg_i32 s15, 0x80
	s_cselect_b64 s[26:27], -1, 0
	s_and_b64 vcc, exec, s[26:27]
	s_cbranch_vccz .LBB536_21
; %bb.20:
	s_mul_i32 s1, s34, s14
	s_ashr_i32 s3, s51, 31
	s_mul_hi_i32 s0, s34, s14
	s_add_u32 s38, s1, s51
	s_addc_u32 s39, s0, s3
	s_cbranch_execz .LBB536_22
	s_branch .LBB536_23
.LBB536_21:
                                        ; implicit-def: $sgpr38_sgpr39
.LBB536_22:
	s_mul_i32 s1, s51, s12
	s_mul_hi_i32 s0, s51, s12
	s_add_u32 s38, s1, s34
	s_addc_u32 s39, s0, s2
.LBB536_23:
	s_add_i32 s3, s45, s46
	s_ashr_i32 s12, s33, 31
	s_add_u32 s0, s49, s34
	s_addc_u32 s1, s48, s2
	s_mov_b32 s2, 0x7060302
	v_lshlrev_b32_e32 v6, 3, v1
	s_lshl_b64 s[24:25], s[0:1], 8
	v_perm_b32 v3, v53, v52, s2
	v_perm_b32 v2, v47, v46, s2
	;; [unrolled: 1-line block ×4, first 2 shown]
	v_lshlrev_b32_e32 v34, 2, v1
	v_lshl_or_b32 v6, v64, 5, v6
	s_add_u32 s0, s6, s24
	ds_write2st64_b64 v6, v[2:3], v[4:5] offset0:72 offset1:76
	v_xor_b32_e32 v6, v64, v34
	v_lshlrev_b32_e32 v7, 8, v1
	s_addc_u32 s1, s7, s25
	v_lshl_or_b32 v6, v6, 1, v7
	s_mul_hi_i32 s6, s3, s13
	s_mul_i32 s3, s3, s13
	ds_write_b64 v6, v[2:3] offset:32768
	v_xor_b32_e32 v2, v63, v34
	s_add_u32 s2, s3, s33
	v_lshl_or_b32 v2, v2, 1, v7
	s_addc_u32 s3, s6, s12
	v_lshlrev_b32_e32 v3, 1, v1
	ds_write_b64 v2, v[4:5] offset:32768
	v_lshrrev_b32_e32 v2, 4, v0
	s_ashr_i32 s31, s30, 31
	s_lshl_b64 s[2:3], s[2:3], 15
	v_or_b32_e32 v4, 1, v3
	s_add_u32 s6, s36, s2
	v_xor_b32_e32 v3, v2, v3
	v_xor_b32_e32 v4, v4, v2
	v_lshlrev_b32_e32 v6, 8, v2
	s_addc_u32 s7, s37, s3
	s_lshl_b64 s[2:3], s[30:31], 8
	v_lshl_or_b32 v2, v3, 3, v6
	v_lshl_or_b32 v4, v4, 3, v6
	s_waitcnt lgkmcnt(0)
	s_barrier
	s_add_u32 s2, s6, s2
	ds_read_b64 v[2:3], v2 offset:32768
	ds_read_b64 v[4:5], v4 offset:32768
	s_addc_u32 s3, s7, s3
	v_mov_b32_e32 v7, 0
	s_cmp_lg_u32 s40, 64
	v_lshl_add_u64 v[8:9], s[2:3], 0, v[6:7]
	v_lshlrev_b32_e32 v6, 4, v1
	s_cselect_b64 s[6:7], -1, 0
	v_lshl_or_b32 v35, v59, 3, v62
	s_mov_b32 s20, 0
	v_lshl_add_u64 v[6:7], v[8:9], 0, v[6:7]
	v_or_b32_e32 v19, 32, v35
	v_and_b32_e32 v18, 56, v61
	s_and_b64 vcc, exec, s[6:7]
	s_waitcnt lgkmcnt(0)
	global_store_dwordx4 v[6:7], v[2:5], off
	s_cbranch_vccz .LBB536_29
; %bb.24:
	s_mov_b32 s21, s20
	s_mov_b32 s22, s20
	;; [unrolled: 1-line block ×3, first 2 shown]
	v_mov_b64_e32 v[6:7], s[20:21]
	v_mov_b64_e32 v[8:9], s[22:23]
	;; [unrolled: 1-line block ×3, first 2 shown]
	v_cmp_gt_i32_e32 vcc, s40, v35
	v_mov_b64_e32 v[4:5], v[8:9]
	s_and_saveexec_b64 s[2:3], vcc
	s_cbranch_execz .LBB536_26
; %bb.25:
	v_lshlrev_b32_e32 v2, 8, v35
	v_mov_b32_e32 v3, 0
	v_lshl_add_u64 v[4:5], s[0:1], 0, v[2:3]
	v_lshlrev_b32_e32 v2, 1, v18
	v_lshl_add_u64 v[10:11], v[4:5], 0, v[2:3]
	global_load_dwordx4 v[6:9], v[10:11], off
	global_load_dwordx4 v[2:5], v[10:11], off offset:128
.LBB536_26:
	s_or_b64 exec, exec, s[2:3]
	s_mov_b32 s21, s20
	s_mov_b32 s22, s20
	;; [unrolled: 1-line block ×3, first 2 shown]
	v_mov_b64_e32 v[14:15], s[20:21]
	v_mov_b64_e32 v[16:17], s[22:23]
	;; [unrolled: 1-line block ×3, first 2 shown]
	v_cmp_gt_i32_e32 vcc, s40, v19
	v_lshlrev_b32_e32 v20, 7, v19
	v_mov_b64_e32 v[12:13], v[16:17]
	s_and_saveexec_b64 s[2:3], vcc
	s_cbranch_execz .LBB536_28
; %bb.27:
	v_lshlrev_b32_e32 v10, 1, v20
	v_mov_b32_e32 v11, 0
	v_lshl_add_u64 v[12:13], s[0:1], 0, v[10:11]
	v_lshlrev_b32_e32 v10, 1, v18
	v_lshl_add_u64 v[22:23], v[12:13], 0, v[10:11]
	global_load_dwordx4 v[14:17], v[22:23], off
	global_load_dwordx4 v[10:13], v[22:23], off offset:128
.LBB536_28:
	s_or_b64 exec, exec, s[2:3]
	v_lshrrev_b32_e32 v21, 3, v18
	v_lshlrev_b32_e32 v22, 3, v35
	v_or_b32_e32 v21, v22, v21
	v_lshlrev_b32_e32 v21, 4, v21
	v_and_b32_e32 v22, 0x78, v22
	v_xor_b32_e32 v21, v21, v22
	s_branch .LBB536_31
.LBB536_29:
                                        ; implicit-def: $vgpr21
                                        ; implicit-def: $vgpr20
                                        ; implicit-def: $vgpr6_vgpr7_vgpr8_vgpr9
                                        ; implicit-def: $vgpr2_vgpr3_vgpr4_vgpr5
                                        ; implicit-def: $vgpr14_vgpr15_vgpr16_vgpr17
                                        ; implicit-def: $vgpr10_vgpr11_vgpr12_vgpr13
	s_cbranch_execz .LBB536_31
; %bb.30:
	s_waitcnt vmcnt(0)
	v_lshlrev_b32_e32 v2, 1, v18
	v_lshl_or_b32 v20, v35, 8, v2
	s_and_b32 s1, s1, 0xffff
	s_mov_b32 s3, 0x20000
	s_movk_i32 s2, 0x4000
	v_lshl_or_b32 v21, v19, 8, v2
	s_movk_i32 s13, 0x80
	buffer_load_dwordx4 v[6:9], v20, s[0:3], 0 offen
	buffer_load_dwordx4 v[2:5], v20, s[0:3], s13 offen
	;; [unrolled: 1-line block ×4, first 2 shown]
	v_lshrrev_b32_e32 v20, 3, v18
	v_lshlrev_b32_e32 v21, 3, v35
	v_or_b32_e32 v20, v21, v20
	v_lshlrev_b32_e32 v20, 4, v20
	v_and_b32_e32 v21, 0x78, v21
	v_xor_b32_e32 v21, v20, v21
	v_lshlrev_b32_e32 v20, 7, v19
.LBB536_31:
	s_lshl_b64 s[0:1], s[38:39], 8
	s_add_u32 s4, s4, s0
	s_movk_i32 s0, 0x1000
	v_and_or_b32 v19, v20, s0, v21
	s_waitcnt vmcnt(1)
	ds_write_b64 v21, v[6:7] offset:16384
	v_xor_b32_e32 v6, 8, v21
	ds_write_b64 v6, v[8:9] offset:16384
	s_waitcnt vmcnt(0)
	ds_write_b64 v21, v[2:3] offset:24576
	ds_write_b64 v6, v[4:5] offset:24576
	;; [unrolled: 1-line block ×3, first 2 shown]
	v_xor_b32_e32 v2, 8, v19
	ds_write_b64 v2, v[16:17] offset:16384
	ds_write_b64 v19, v[10:11] offset:24576
	;; [unrolled: 1-line block ×3, first 2 shown]
	v_or_b32_e32 v2, v45, v1
	v_lshlrev_b32_e32 v2, 3, v2
	v_lshrrev_b32_e32 v4, 5, v58
	s_movk_i32 s14, 0xf8
	v_and_or_b32 v4, v2, s14, v4
	v_lshlrev_b32_e32 v3, 11, v59
	v_lshlrev_b32_e32 v12, 4, v4
	v_and_b32_e32 v13, 0x78, v2
	v_and_b32_e32 v14, 0x1000, v3
	v_lshlrev_b32_e32 v3, 2, v0
	v_xor_b32_e32 v2, v12, v13
	v_lshrrev_b32_e32 v4, 1, v58
	v_and_b32_e32 v3, 60, v3
	v_or_b32_e32 v2, v2, v14
	v_and_b32_e32 v15, 8, v4
	v_xor_b32_e32 v26, v2, v15
	v_lshl_or_b32 v2, v60, 6, v3
	v_lshlrev_b32_e32 v19, 1, v2
	v_or_b32_e32 v2, 32, v12
	v_xor_b32_e32 v2, v2, v13
	s_waitcnt lgkmcnt(0)
	s_barrier
	ds_read_b64 v[10:11], v26 offset:16384
	v_or_b32_e32 v2, v2, v14
	v_xor_b32_e32 v27, v2, v15
	v_or_b32_e32 v2, 64, v12
	v_xor_b32_e32 v2, v2, v13
	v_or_b32_e32 v2, v2, v14
	v_or_b32_e32 v12, 0x60, v12
	v_xor_b32_e32 v28, v2, v15
	ds_read2st64_b64 v[2:5], v19 offset0:72 offset1:73
	ds_read2st64_b64 v[6:9], v19 offset0:74 offset1:75
	v_xor_b32_e32 v16, v12, v13
	ds_read_b64 v[12:13], v27 offset:16384
	s_addc_u32 s5, s5, s1
	s_add_i32 s0, s43, s42
	s_waitcnt lgkmcnt(2)
	v_mfma_f32_16x16x16_bf16 a[0:3], v[10:11], v[2:3], 0
	s_add_i32 s2, s35, -1
	s_add_i32 s17, s0, s44
	s_mul_i32 s0, s33, s19
	s_mul_hi_u32 s1, s33, s18
	s_add_i32 s0, s1, s0
	s_mul_i32 s1, s12, s18
	s_ashr_i32 s3, s2, 31
	s_mul_i32 s12, s2, s29
	s_mul_hi_u32 s13, s2, s28
	s_add_i32 s12, s13, s12
	s_mul_i32 s3, s3, s28
	v_or_b32_e32 v14, v16, v14
	s_add_i32 s1, s0, s1
	s_add_i32 s3, s12, s3
	s_lshl_b64 s[12:13], s[16:17], 2
	v_xor_b32_e32 v36, v14, v15
	ds_read_b64 v[14:15], v28 offset:16384
	ds_read_b64 v[16:17], v36 offset:16384
	s_waitcnt lgkmcnt(2)
	v_mfma_f32_16x16x16_bf16 a[0:3], v[12:13], v[4:5], a[0:3]
	s_mul_i32 s0, s33, s18
	s_add_u32 s10, s10, s12
	s_addc_u32 s11, s11, s13
	s_lshl_b64 s[0:1], s[0:1], 2
	s_mul_i32 s2, s2, s28
	s_add_u32 s10, s10, s0
	s_addc_u32 s11, s11, s1
	s_lshl_b64 s[0:1], s[2:3], 2
	s_waitcnt lgkmcnt(1)
	v_mfma_f32_16x16x16_bf16 a[0:3], v[14:15], v[6:7], a[0:3]
	s_add_u32 s0, s10, s0
	s_addc_u32 s1, s11, s1
	s_load_dword s12, s[0:1], 0x0
	s_waitcnt lgkmcnt(0)
	v_mfma_f32_16x16x16_bf16 a[0:3], v[16:17], v[8:9], a[0:3]
	s_and_b64 vcc, exec, s[26:27]
	s_cbranch_vccz .LBB536_42
; %bb.32:
	v_lshlrev_b32_e32 v20, 1, v35
	s_and_b64 vcc, exec, s[6:7]
	s_cbranch_vccz .LBB536_43
; %bb.33:
	v_cmp_gt_i32_e32 vcc, s40, v20
	v_mov_b32_e32 v6, 0
	v_mov_b32_e32 v2, 0
	;; [unrolled: 1-line block ×5, first 2 shown]
	s_and_saveexec_b64 s[0:1], vcc
	s_cbranch_execz .LBB536_35
; %bb.34:
	v_mad_i64_i32 v[2:3], s[2:3], s15, v20, 0
	v_lshl_add_u64 v[2:3], v[2:3], 1, s[4:5]
	v_lshlrev_b32_e32 v4, 1, v18
	v_mov_b32_e32 v5, 0
	v_lshl_add_u64 v[2:3], v[2:3], 0, v[4:5]
	global_load_dwordx4 v[2:5], v[2:3], off
.LBB536_35:
	s_or_b64 exec, exec, s[0:1]
	v_or_b32_e32 v21, 1, v20
	v_cmp_gt_i32_e64 s[0:1], s40, v21
	v_mov_b32_e32 v7, 0
	v_mov_b32_e32 v8, 0
	;; [unrolled: 1-line block ×3, first 2 shown]
	s_and_saveexec_b64 s[2:3], s[0:1]
	s_cbranch_execz .LBB536_37
; %bb.36:
	v_mad_i64_i32 v[6:7], s[16:17], s15, v21, 0
	v_lshl_add_u64 v[6:7], v[6:7], 1, s[4:5]
	v_lshlrev_b32_e32 v8, 1, v18
	v_mov_b32_e32 v9, 0
	v_lshl_add_u64 v[6:7], v[6:7], 0, v[8:9]
	global_load_dwordx4 v[6:9], v[6:7], off
.LBB536_37:
	s_or_b64 exec, exec, s[2:3]
	v_mov_b32_e32 v17, 0
	v_mov_b32_e32 v10, 0
	;; [unrolled: 1-line block ×5, first 2 shown]
	s_and_saveexec_b64 s[2:3], vcc
	s_cbranch_execz .LBB536_39
; %bb.38:
	v_mad_i64_i32 v[10:11], s[16:17], s15, v20, 0
	v_lshl_add_u64 v[10:11], v[10:11], 1, s[4:5]
	v_lshlrev_b32_e32 v12, 1, v18
	v_mov_b32_e32 v13, 0
	v_lshl_add_u64 v[10:11], v[10:11], 0, v[12:13]
	global_load_dwordx4 v[10:13], v[10:11], off offset:128
.LBB536_39:
	s_or_b64 exec, exec, s[2:3]
	v_mov_b32_e32 v16, 0
	v_mov_b32_e32 v15, 0
	;; [unrolled: 1-line block ×3, first 2 shown]
	s_and_saveexec_b64 s[2:3], s[0:1]
	s_cbranch_execz .LBB536_41
; %bb.40:
	v_mad_i64_i32 v[14:15], s[0:1], s15, v21, 0
	v_lshl_add_u64 v[14:15], v[14:15], 1, s[4:5]
	v_lshlrev_b32_e32 v16, 1, v18
	v_mov_b32_e32 v17, 0
	v_lshl_add_u64 v[14:15], v[14:15], 0, v[16:17]
	global_load_dwordx4 v[14:17], v[14:15], off offset:128
.LBB536_41:
	s_or_b64 exec, exec, s[2:3]
	s_branch .LBB536_45
.LBB536_42:
                                        ; implicit-def: $vgpr5
                                        ; implicit-def: $vgpr9
                                        ; implicit-def: $vgpr13
                                        ; implicit-def: $vgpr17
	v_lshrrev_b32_e32 v37, 2, v58
	s_branch .LBB536_46
.LBB536_43:
                                        ; implicit-def: $vgpr5
                                        ; implicit-def: $vgpr9
                                        ; implicit-def: $vgpr13
                                        ; implicit-def: $vgpr17
	s_cbranch_execz .LBB536_45
; %bb.44:
	s_waitcnt vmcnt(0)
	v_mad_u64_u32 v[2:3], s[0:1], v20, s15, v[18:19]
	v_lshlrev_b32_e32 v20, 1, v2
	s_lshl_b32 s2, s15, 7
	s_and_b32 s1, s5, 0xffff
	s_mov_b32 s3, 0x20000
	s_mov_b32 s0, s4
	v_add_lshl_u32 v21, v2, s15, 1
	s_movk_i32 s13, 0x80
	buffer_load_dwordx4 v[2:5], v20, s[0:3], 0 offen
	buffer_load_dwordx4 v[10:13], v20, s[0:3], s13 offen
	;; [unrolled: 1-line block ×4, first 2 shown]
.LBB536_45:
	v_lshrrev_b32_e32 v37, 2, v58
	s_cbranch_execnz .LBB536_58
.LBB536_46:
	s_and_b64 vcc, exec, s[6:7]
	s_cbranch_vccz .LBB536_56
; %bb.47:
	s_waitcnt vmcnt(0)
	v_lshlrev_b32_e32 v7, 1, v35
	v_cmp_gt_i32_e32 vcc, s40, v7
	v_mov_b32_e32 v6, 0
	v_lshlrev_b32_e32 v14, 9, v35
	v_mov_b32_e32 v2, 0
	v_mov_b32_e32 v3, 0
	;; [unrolled: 1-line block ×4, first 2 shown]
	s_and_saveexec_b64 s[0:1], vcc
	s_cbranch_execz .LBB536_49
; %bb.48:
	v_mov_b32_e32 v15, 0
	v_lshl_add_u64 v[2:3], s[4:5], 0, v[14:15]
	v_lshlrev_b32_e32 v4, 1, v18
	v_mov_b32_e32 v5, v15
	v_lshl_add_u64 v[2:3], v[2:3], 0, v[4:5]
	global_load_dwordx4 v[2:5], v[2:3], off
.LBB536_49:
	s_or_b64 exec, exec, s[0:1]
	v_or_b32_e32 v7, 1, v7
	v_cmp_gt_i32_e64 s[0:1], s40, v7
	v_lshlrev_b32_e32 v20, 8, v7
	v_mov_b32_e32 v7, 0
	v_mov_b32_e32 v8, 0
	;; [unrolled: 1-line block ×3, first 2 shown]
	s_and_saveexec_b64 s[2:3], s[0:1]
	s_cbranch_execz .LBB536_51
; %bb.50:
	v_mov_b32_e32 v21, 0
	v_lshl_add_u64 v[6:7], s[4:5], 0, v[20:21]
	v_lshlrev_b32_e32 v8, 1, v18
	v_mov_b32_e32 v9, v21
	v_lshl_add_u64 v[6:7], v[6:7], 0, v[8:9]
	global_load_dwordx4 v[6:9], v[6:7], off
.LBB536_51:
	s_or_b64 exec, exec, s[2:3]
	v_mov_b32_e32 v17, 0
	v_mov_b32_e32 v10, 0
	;; [unrolled: 1-line block ×5, first 2 shown]
	s_and_saveexec_b64 s[2:3], vcc
	s_cbranch_execz .LBB536_53
; %bb.52:
	v_mov_b32_e32 v15, 0
	v_lshl_add_u64 v[10:11], s[4:5], 0, v[14:15]
	v_lshlrev_b32_e32 v14, 1, v18
	v_lshl_add_u64 v[10:11], v[10:11], 0, v[14:15]
	global_load_dwordx4 v[10:13], v[10:11], off offset:128
.LBB536_53:
	s_or_b64 exec, exec, s[2:3]
	v_mov_b32_e32 v16, 0
	v_mov_b32_e32 v15, 0
	;; [unrolled: 1-line block ×3, first 2 shown]
	s_and_saveexec_b64 s[2:3], s[0:1]
	s_cbranch_execz .LBB536_55
; %bb.54:
	v_mov_b32_e32 v21, 0
	v_lshl_add_u64 v[14:15], s[4:5], 0, v[20:21]
	v_lshlrev_b32_e32 v20, 1, v18
	v_lshl_add_u64 v[14:15], v[14:15], 0, v[20:21]
	global_load_dwordx4 v[14:17], v[14:15], off offset:128
.LBB536_55:
	s_or_b64 exec, exec, s[2:3]
	s_branch .LBB536_58
.LBB536_56:
                                        ; implicit-def: $vgpr5
                                        ; implicit-def: $vgpr9
                                        ; implicit-def: $vgpr13
                                        ; implicit-def: $vgpr17
	s_cbranch_execz .LBB536_58
; %bb.57:
	s_waitcnt vmcnt(0)
	v_lshlrev_b32_e32 v2, 1, v18
	v_lshl_or_b32 v18, v35, 9, v2
	s_and_b32 s5, s5, 0xffff
	s_mov_b32 s7, 0x20000
	s_movk_i32 s6, 0x4000
	s_movk_i32 s0, 0x80
	buffer_load_dwordx4 v[2:5], v18, s[4:7], 0 offen
	buffer_load_dwordx4 v[6:9], v18, s[4:7], 0 offen offset:256
	buffer_load_dwordx4 v[10:13], v18, s[4:7], s0 offen
	buffer_load_dwordx4 v[14:17], v18, s[4:7], s0 offen offset:256
.LBB536_58:
	ds_read2st64_b64 v[22:25], v19 offset0:76 offset1:77
	ds_read2st64_b64 v[18:21], v19 offset0:78 offset1:79
	ds_read_b64 v[30:31], v26 offset:24576
	ds_read_b64 v[32:33], v27 offset:24576
	;; [unrolled: 1-line block ×4, first 2 shown]
	v_and_b32_e32 v36, 6, v0
	v_xor_b32_e32 v35, v35, v36
	v_lshlrev_b32_e32 v35, 2, v35
	v_and_b32_e32 v0, 1, v0
	v_xor_b32_e32 v38, 0x440, v35
	v_cmp_eq_u32_e32 vcc, 0, v0
	s_mov_b32 s0, 0x1000504
	s_mov_b32 s1, 0x3020706
	v_cndmask_b32_e32 v0, v38, v35, vcc
	v_lshl_or_b32 v0, v36, 10, v0
	s_waitcnt vmcnt(0)
	v_perm_b32 v35, v2, v6, s0
	v_perm_b32 v36, v10, v14, s0
	ds_write2st64_b32 v0, v35, v36 offset1:32
	v_xor_b32_e32 v35, 8, v0
	v_perm_b32 v2, v2, v6, s1
	v_perm_b32 v6, v10, v14, s1
	v_add_u32_e32 v10, 0x80, v35
	ds_write2st64_b32 v10, v2, v6 offset1:32
	v_xor_b32_e32 v2, 16, v0
	v_perm_b32 v6, v3, v7, s0
	v_perm_b32 v10, v11, v15, s0
	ds_write2st64_b32 v2, v6, v10 offset0:1 offset1:33
	v_xor_b32_e32 v2, 24, v0
	v_perm_b32 v3, v3, v7, s1
	v_perm_b32 v6, v11, v15, s1
	v_add_u32_e32 v2, 0x80, v2
	ds_write2st64_b32 v2, v3, v6 offset0:1 offset1:33
	v_xor_b32_e32 v2, 32, v0
	v_perm_b32 v3, v4, v8, s0
	v_perm_b32 v6, v12, v16, s0
	ds_write2st64_b32 v2, v3, v6 offset0:2 offset1:34
	v_xor_b32_e32 v2, 40, v0
	v_perm_b32 v3, v4, v8, s1
	v_perm_b32 v4, v12, v16, s1
	v_add_u32_e32 v2, 0x80, v2
	ds_write2st64_b32 v2, v3, v4 offset0:2 offset1:34
	v_xor_b32_e32 v2, 48, v0
	v_perm_b32 v3, v5, v9, s0
	v_perm_b32 v4, v13, v17, s0
	v_xor_b32_e32 v0, 56, v0
	v_and_or_b32 v6, v37, 12, v45
	ds_write2st64_b32 v2, v3, v4 offset0:3 offset1:35
	v_perm_b32 v2, v5, v9, s1
	v_perm_b32 v3, v13, v17, s1
	v_add_u32_e32 v0, 0x80, v0
	v_cmp_gt_i32_e32 vcc, s40, v6
	v_mov_b32_e32 v7, 0
	v_mov_b32_e32 v11, 0
	ds_write2st64_b32 v0, v2, v3 offset0:3 offset1:35
	s_and_saveexec_b64 s[0:1], vcc
	s_cbranch_execz .LBB536_60
; %bb.59:
	v_add_u32_e32 v0, s34, v6
	v_ashrrev_i32_e32 v2, 31, v0
	v_mul_lo_u32 v4, v2, s28
	v_mul_lo_u32 v5, v0, s29
	v_mad_u64_u32 v[2:3], s[2:3], v0, s28, 0
	v_add3_u32 v3, v3, v5, v4
	v_lshl_add_u64 v[2:3], v[2:3], 2, s[10:11]
	global_load_dword v0, v[2:3], off
	s_waitcnt vmcnt(0)
	v_sub_f32_e32 v0, s12, v0
	v_exp_f32_e32 v11, v0
.LBB536_60:
	s_or_b64 exec, exec, s[0:1]
	v_or_b32_e32 v9, 1, v6
	v_cmp_gt_i32_e64 s[0:1], s40, v9
	s_and_saveexec_b64 s[2:3], s[0:1]
	s_cbranch_execz .LBB536_62
; %bb.61:
	v_add_u32_e32 v0, s34, v9
	v_ashrrev_i32_e32 v2, 31, v0
	v_mul_lo_u32 v4, v2, s28
	v_mul_lo_u32 v5, v0, s29
	v_mad_u64_u32 v[2:3], s[4:5], v0, s28, 0
	v_add3_u32 v3, v3, v5, v4
	v_lshl_add_u64 v[2:3], v[2:3], 2, s[10:11]
	global_load_dword v0, v[2:3], off
	s_waitcnt vmcnt(0)
	v_sub_f32_e32 v0, s12, v0
	v_exp_f32_e32 v7, v0
.LBB536_62:
	s_or_b64 exec, exec, s[2:3]
	v_or_b32_e32 v10, 2, v6
	v_cmp_gt_i32_e64 s[2:3], s40, v10
	v_mov_b32_e32 v8, 0
	v_mov_b32_e32 v13, 0
	s_and_saveexec_b64 s[4:5], s[2:3]
	s_cbranch_execz .LBB536_64
; %bb.63:
	v_add_u32_e32 v0, s34, v10
	v_ashrrev_i32_e32 v2, 31, v0
	v_mul_lo_u32 v4, v2, s28
	v_mul_lo_u32 v5, v0, s29
	v_mad_u64_u32 v[2:3], s[6:7], v0, s28, 0
	v_add3_u32 v3, v3, v5, v4
	v_lshl_add_u64 v[2:3], v[2:3], 2, s[10:11]
	global_load_dword v0, v[2:3], off
	s_waitcnt vmcnt(0)
	v_sub_f32_e32 v0, s12, v0
	v_exp_f32_e32 v13, v0
.LBB536_64:
	s_or_b64 exec, exec, s[4:5]
	v_or_b32_e32 v12, 3, v6
	v_cmp_gt_i32_e64 s[4:5], s40, v12
	s_and_saveexec_b64 s[6:7], s[4:5]
	s_cbranch_execz .LBB536_66
; %bb.65:
	v_add_u32_e32 v0, s34, v12
	v_ashrrev_i32_e32 v2, 31, v0
	v_mul_lo_u32 v4, v2, s28
	v_mul_lo_u32 v5, v0, s29
	v_mad_u64_u32 v[2:3], s[14:15], v0, s28, 0
	v_add3_u32 v3, v3, v5, v4
	v_lshl_add_u64 v[2:3], v[2:3], 2, s[10:11]
	global_load_dword v0, v[2:3], off
	s_waitcnt vmcnt(0)
	v_sub_f32_e32 v0, s12, v0
	v_exp_f32_e32 v8, v0
.LBB536_66:
	s_or_b64 exec, exec, s[6:7]
	s_waitcnt lgkmcnt(11)
	v_mfma_f32_16x16x16_bf16 a[0:3], v[30:31], v[22:23], a[0:3]
	v_or_b32_e32 v0, s30, v1
	s_add_u32 s6, s8, s24
	s_addc_u32 s7, s9, s25
	s_waitcnt lgkmcnt(10)
	v_mfma_f32_16x16x16_bf16 a[0:3], v[32:33], v[24:25], a[0:3]
	v_ashrrev_i32_e32 v1, 31, v0
	v_lshl_add_u64 v[4:5], v[0:1], 1, s[6:7]
	v_mov_b32_e32 v14, 0
	s_waitcnt lgkmcnt(9)
	v_mfma_f32_16x16x16_bf16 a[0:3], v[28:29], v[18:19], a[0:3]
	v_mov_b32_e32 v15, 0
	s_waitcnt lgkmcnt(8)
	v_mfma_f32_16x16x16_bf16 a[0:3], v[26:27], v[20:21], a[0:3]
	s_nop 6
	v_accvgpr_read_b32 v0, a0
	v_accvgpr_read_b32 v1, a1
	v_accvgpr_read_b32 v2, a2
	v_accvgpr_read_b32 v3, a3
	s_and_saveexec_b64 s[6:7], vcc
	s_cbranch_execz .LBB536_68
; %bb.67:
	v_lshlrev_b32_e32 v16, 8, v6
	v_mov_b32_e32 v17, 0
	v_lshl_add_u64 v[16:17], v[4:5], 0, v[16:17]
	global_load_ushort v15, v[16:17], off
	s_waitcnt vmcnt(0)
	v_lshlrev_b32_e32 v15, 16, v15
	v_sub_f32_e32 v0, v15, v0
	v_mul_f32_e32 v0, v11, v0
	v_lshrrev_b32_e32 v15, 16, v0
.LBB536_68:
	s_or_b64 exec, exec, s[6:7]
	s_and_saveexec_b64 s[6:7], s[0:1]
	s_cbranch_execz .LBB536_70
; %bb.69:
	v_lshlrev_b32_e32 v16, 8, v9
	v_mov_b32_e32 v17, 0
	v_lshl_add_u64 v[16:17], v[4:5], 0, v[16:17]
	global_load_ushort v0, v[16:17], off
	s_waitcnt vmcnt(0)
	v_lshlrev_b32_e32 v0, 16, v0
	v_sub_f32_e32 v0, v0, v1
	v_mul_f32_e32 v0, v7, v0
	v_lshrrev_b32_e32 v14, 16, v0
.LBB536_70:
	s_or_b64 exec, exec, s[6:7]
	v_mov_b32_e32 v0, 0
	v_mov_b32_e32 v1, 0
	s_and_saveexec_b64 s[0:1], s[2:3]
	s_cbranch_execz .LBB536_72
; %bb.71:
	v_lshlrev_b32_e32 v10, 8, v10
	v_mov_b32_e32 v11, 0
	v_lshl_add_u64 v[10:11], v[4:5], 0, v[10:11]
	global_load_ushort v1, v[10:11], off
	s_waitcnt vmcnt(0)
	v_lshlrev_b32_e32 v1, 16, v1
	v_sub_f32_e32 v1, v1, v2
	v_mul_f32_e32 v1, v13, v1
	v_lshrrev_b32_e32 v1, 16, v1
.LBB536_72:
	s_or_b64 exec, exec, s[0:1]
	s_and_saveexec_b64 s[0:1], s[4:5]
	s_cbranch_execz .LBB536_74
; %bb.73:
	v_lshlrev_b32_e32 v10, 8, v12
	v_mov_b32_e32 v11, 0
	v_lshl_add_u64 v[4:5], v[4:5], 0, v[10:11]
	global_load_ushort v0, v[4:5], off
	s_waitcnt vmcnt(0)
	v_lshlrev_b32_e32 v0, 16, v0
	v_sub_f32_e32 v0, v0, v3
	v_mul_f32_e32 v0, v8, v0
	v_lshrrev_b32_e32 v0, 16, v0
.LBB536_74:
	s_or_b64 exec, exec, s[0:1]
	s_mov_b32 s0, 0x5040100
	v_lshlrev_b32_e32 v2, 1, v34
	v_perm_b32 v1, v0, v1, s0
	v_perm_b32 v0, v14, v15, s0
	v_lshl_or_b32 v2, v6, 5, v2
	ds_write_b64 v2, v[0:1] offset:38912
	s_waitcnt lgkmcnt(0)
	s_barrier
.LBB536_75:
	s_endpgm
	.section	.rodata,"a",@progbits
	.p2align	6, 0x0
	.amdhsa_kernel _ZN12_GLOBAL__N_139chunk_gated_delta_rule_fwd_h_hip_kernelILi16ELb0ELb0ELb0ELb1ELb1ELb1ELb0ELb1EEEvPK12hip_bfloat16S3_S3_PKfS5_PKvPS1_S8_PvPKiSB_iiiiilll
		.amdhsa_group_segment_fixed_size 40960
		.amdhsa_private_segment_fixed_size 0
		.amdhsa_kernarg_size 136
		.amdhsa_user_sgpr_count 2
		.amdhsa_user_sgpr_dispatch_ptr 0
		.amdhsa_user_sgpr_queue_ptr 0
		.amdhsa_user_sgpr_kernarg_segment_ptr 1
		.amdhsa_user_sgpr_dispatch_id 0
		.amdhsa_user_sgpr_kernarg_preload_length 0
		.amdhsa_user_sgpr_kernarg_preload_offset 0
		.amdhsa_user_sgpr_private_segment_size 0
		.amdhsa_uses_dynamic_stack 0
		.amdhsa_enable_private_segment 0
		.amdhsa_system_sgpr_workgroup_id_x 1
		.amdhsa_system_sgpr_workgroup_id_y 1
		.amdhsa_system_sgpr_workgroup_id_z 0
		.amdhsa_system_sgpr_workgroup_info 0
		.amdhsa_system_vgpr_workitem_id 0
		.amdhsa_next_free_vgpr 124
		.amdhsa_next_free_sgpr 60
		.amdhsa_accum_offset 112
		.amdhsa_reserve_vcc 1
		.amdhsa_float_round_mode_32 0
		.amdhsa_float_round_mode_16_64 0
		.amdhsa_float_denorm_mode_32 3
		.amdhsa_float_denorm_mode_16_64 3
		.amdhsa_dx10_clamp 1
		.amdhsa_ieee_mode 1
		.amdhsa_fp16_overflow 0
		.amdhsa_tg_split 0
		.amdhsa_exception_fp_ieee_invalid_op 0
		.amdhsa_exception_fp_denorm_src 0
		.amdhsa_exception_fp_ieee_div_zero 0
		.amdhsa_exception_fp_ieee_overflow 0
		.amdhsa_exception_fp_ieee_underflow 0
		.amdhsa_exception_fp_ieee_inexact 0
		.amdhsa_exception_int_div_zero 0
	.end_amdhsa_kernel
	.section	.text._ZN12_GLOBAL__N_139chunk_gated_delta_rule_fwd_h_hip_kernelILi16ELb0ELb0ELb0ELb1ELb1ELb1ELb0ELb1EEEvPK12hip_bfloat16S3_S3_PKfS5_PKvPS1_S8_PvPKiSB_iiiiilll,"axG",@progbits,_ZN12_GLOBAL__N_139chunk_gated_delta_rule_fwd_h_hip_kernelILi16ELb0ELb0ELb0ELb1ELb1ELb1ELb0ELb1EEEvPK12hip_bfloat16S3_S3_PKfS5_PKvPS1_S8_PvPKiSB_iiiiilll,comdat
.Lfunc_end536:
	.size	_ZN12_GLOBAL__N_139chunk_gated_delta_rule_fwd_h_hip_kernelILi16ELb0ELb0ELb0ELb1ELb1ELb1ELb0ELb1EEEvPK12hip_bfloat16S3_S3_PKfS5_PKvPS1_S8_PvPKiSB_iiiiilll, .Lfunc_end536-_ZN12_GLOBAL__N_139chunk_gated_delta_rule_fwd_h_hip_kernelILi16ELb0ELb0ELb0ELb1ELb1ELb1ELb0ELb1EEEvPK12hip_bfloat16S3_S3_PKfS5_PKvPS1_S8_PvPKiSB_iiiiilll
                                        ; -- End function
	.section	.AMDGPU.csdata,"",@progbits
; Kernel info:
; codeLenInByte = 7168
; NumSgprs: 66
; NumVgprs: 112
; NumAgprs: 12
; TotalNumVgprs: 124
; ScratchSize: 0
; MemoryBound: 0
; FloatMode: 240
; IeeeMode: 1
; LDSByteSize: 40960 bytes/workgroup (compile time only)
; SGPRBlocks: 8
; VGPRBlocks: 15
; NumSGPRsForWavesPerEU: 66
; NumVGPRsForWavesPerEU: 124
; AccumOffset: 112
; Occupancy: 1
; WaveLimiterHint : 1
; COMPUTE_PGM_RSRC2:SCRATCH_EN: 0
; COMPUTE_PGM_RSRC2:USER_SGPR: 2
; COMPUTE_PGM_RSRC2:TRAP_HANDLER: 0
; COMPUTE_PGM_RSRC2:TGID_X_EN: 1
; COMPUTE_PGM_RSRC2:TGID_Y_EN: 1
; COMPUTE_PGM_RSRC2:TGID_Z_EN: 0
; COMPUTE_PGM_RSRC2:TIDIG_COMP_CNT: 0
; COMPUTE_PGM_RSRC3_GFX90A:ACCUM_OFFSET: 27
; COMPUTE_PGM_RSRC3_GFX90A:TG_SPLIT: 0
	.section	.text._ZN12_GLOBAL__N_139chunk_gated_delta_rule_fwd_h_hip_kernelILi16ELb1ELb1ELb1ELb0ELb1ELb1ELb0ELb1EEEvPK12hip_bfloat16S3_S3_PKfS5_PKvPS1_S8_PvPKiSB_iiiiilll,"axG",@progbits,_ZN12_GLOBAL__N_139chunk_gated_delta_rule_fwd_h_hip_kernelILi16ELb1ELb1ELb1ELb0ELb1ELb1ELb0ELb1EEEvPK12hip_bfloat16S3_S3_PKfS5_PKvPS1_S8_PvPKiSB_iiiiilll,comdat
	.globl	_ZN12_GLOBAL__N_139chunk_gated_delta_rule_fwd_h_hip_kernelILi16ELb1ELb1ELb1ELb0ELb1ELb1ELb0ELb1EEEvPK12hip_bfloat16S3_S3_PKfS5_PKvPS1_S8_PvPKiSB_iiiiilll ; -- Begin function _ZN12_GLOBAL__N_139chunk_gated_delta_rule_fwd_h_hip_kernelILi16ELb1ELb1ELb1ELb0ELb1ELb1ELb0ELb1EEEvPK12hip_bfloat16S3_S3_PKfS5_PKvPS1_S8_PvPKiSB_iiiiilll
	.p2align	8
	.type	_ZN12_GLOBAL__N_139chunk_gated_delta_rule_fwd_h_hip_kernelILi16ELb1ELb1ELb1ELb0ELb1ELb1ELb0ELb1EEEvPK12hip_bfloat16S3_S3_PKfS5_PKvPS1_S8_PvPKiSB_iiiiilll,@function
_ZN12_GLOBAL__N_139chunk_gated_delta_rule_fwd_h_hip_kernelILi16ELb1ELb1ELb1ELb0ELb1ELb1ELb0ELb1EEEvPK12hip_bfloat16S3_S3_PKfS5_PKvPS1_S8_PvPKiSB_iiiiilll: ; @_ZN12_GLOBAL__N_139chunk_gated_delta_rule_fwd_h_hip_kernelILi16ELb1ELb1ELb1ELb0ELb1ELb1ELb0ELb1EEEvPK12hip_bfloat16S3_S3_PKfS5_PKvPS1_S8_PvPKiSB_iiiiilll
; %bb.0:
	s_load_dwordx4 s[24:27], s[0:1], 0x5c
	s_abs_i32 s6, s3
	s_ashr_i32 s5, s3, 31
	v_and_b32_e32 v67, 15, v0
	v_bfe_u32 v66, v0, 4, 2
	s_waitcnt lgkmcnt(0)
	s_abs_i32 s4, s25
	v_cvt_f32_u32_e32 v1, s4
	s_sub_i32 s8, 0, s4
	s_ashr_i32 s7, s25, 31
	s_xor_b32 s5, s5, s7
	v_rcp_iflag_f32_e32 v1, v1
	v_mov_b32_e32 v49, 0
	v_lshlrev_b32_e32 v68, 3, v0
	v_mul_f32_e32 v1, 0x4f7ffffe, v1
	v_cvt_u32_f32_e32 v1, v1
	s_nop 0
	v_readfirstlane_b32 s9, v1
	s_mul_i32 s8, s8, s9
	s_mul_hi_u32 s8, s9, s8
	s_add_i32 s9, s9, s8
	s_mul_hi_u32 s8, s6, s9
	s_mul_i32 s9, s8, s4
	s_sub_i32 s6, s6, s9
	s_add_i32 s10, s8, 1
	s_sub_i32 s9, s6, s4
	s_cmp_ge_u32 s6, s4
	s_cselect_b32 s8, s10, s8
	s_cselect_b32 s6, s9, s6
	s_add_i32 s9, s8, 1
	s_cmp_ge_u32 s6, s4
	s_cselect_b32 s6, s9, s8
	s_xor_b32 s6, s6, s5
	s_sub_i32 s59, s6, s5
	s_mul_i32 s6, s59, s25
	s_sub_i32 s33, s3, s6
	s_abs_i32 s3, s26
	v_cvt_f32_u32_e32 v1, s3
	s_add_i32 s8, s24, 63
	s_ashr_i32 s9, s8, 31
	s_lshr_b32 s5, s9, 26
	v_rcp_iflag_f32_e32 v1, v1
	s_ashr_i32 s58, s24, 31
	s_add_i32 s8, s8, s5
	s_lshr_b32 s5, s58, 26
	v_mul_f32_e32 v1, 0x4f7ffffe, v1
	v_cvt_u32_f32_e32 v1, v1
	s_add_i32 s5, s24, s5
	s_ashr_i32 s61, s26, 31
	s_ashr_i32 s28, s8, 6
	;; [unrolled: 1-line block ×3, first 2 shown]
	s_xor_b32 s5, s7, s61
	s_sub_i32 s7, 0, s3
	v_readfirstlane_b32 s8, v1
	s_mul_i32 s7, s7, s8
	s_mul_hi_u32 s7, s8, s7
	s_add_i32 s8, s8, s7
	s_mul_hi_u32 s7, s4, s8
	s_mul_i32 s8, s7, s3
	s_sub_i32 s4, s4, s8
	s_lshl_b32 s2, s2, 4
	s_add_i32 s8, s7, 1
	s_sub_i32 s9, s4, s3
	s_cmp_ge_u32 s4, s3
	s_cselect_b32 s7, s8, s7
	s_cselect_b32 s4, s9, s4
	s_add_i32 s8, s7, 1
	s_cmp_ge_u32 s4, s3
	s_cselect_b32 s3, s8, s7
	s_xor_b32 s3, s3, s5
	s_sub_i32 s3, s3, s5
	s_abs_i32 s4, s3
	v_cvt_f32_u32_e32 v1, s4
	s_sub_i32 s7, 0, s4
	s_abs_i32 s5, s33
	s_xor_b32 s3, s33, s3
	v_rcp_iflag_f32_e32 v2, v1
	s_ashr_i32 s3, s3, 31
	s_load_dwordx8 s[8:15], s[0:1], 0x20
	v_lshrrev_b32_e32 v1, 6, v0
	v_mul_f32_e32 v2, 0x4f7ffffe, v2
	v_cvt_u32_f32_e32 v2, v2
	v_or_b32_e32 v58, s2, v67
	v_lshlrev_b32_e32 v45, 4, v1
	v_lshlrev_b32_e32 v46, 7, v58
	v_readfirstlane_b32 s16, v2
	s_mul_i32 s7, s7, s16
	s_mul_hi_u32 s7, s16, s7
	s_add_i32 s16, s16, s7
	s_mul_hi_u32 s7, s5, s16
	s_mul_i32 s16, s7, s4
	s_sub_i32 s5, s5, s16
	s_add_i32 s16, s7, 1
	s_sub_i32 s17, s5, s4
	s_cmp_ge_u32 s5, s4
	s_cselect_b32 s7, s16, s7
	s_cselect_b32 s5, s17, s5
	s_add_i32 s16, s7, 1
	s_cmp_ge_u32 s5, s4
	s_cselect_b32 s4, s16, s7
	s_xor_b32 s4, s4, s3
	s_sub_i32 s62, s4, s3
	s_ashr_i32 s3, s59, 31
	s_ashr_i32 s50, s33, 31
	s_mul_hi_i32 s4, s59, s25
	s_add_u32 s42, s6, s33
	s_addc_u32 s43, s4, s50
	s_lshl_b64 s[34:35], s[42:43], 15
	s_waitcnt lgkmcnt(0)
	s_add_u32 s4, s10, s34
	v_lshl_or_b32 v70, v66, 2, v45
	s_addc_u32 s5, s11, s35
	v_ashrrev_i32_e32 v47, 31, v46
	v_lshl_add_u64 v[2:3], v[46:47], 1, s[4:5]
	v_lshlrev_b32_e32 v48, 1, v70
	v_lshl_add_u64 v[2:3], v[2:3], 0, v[48:49]
	global_load_dwordx2 v[4:5], v[2:3], off
	global_load_dwordx2 v[6:7], v[2:3], off offset:128
	s_load_dwordx2 s[10:11], s[0:1], 0x40
	s_load_dwordx8 s[16:23], s[0:1], 0x0
	s_load_dwordx2 s[36:37], s[0:1], 0x80
	s_load_dwordx4 s[4:7], s[0:1], 0x70
	v_and_b32_e32 v49, 63, v0
	v_lshrrev_b32_e32 v69, 3, v49
	v_or_b32_e32 v71, 64, v70
	s_mul_i32 s51, s59, s24
	s_waitcnt lgkmcnt(0)
	s_mul_i32 s52, s59, s5
	s_mul_hi_u32 s53, s59, s4
	s_mul_i32 s40, s59, s4
	s_mul_i32 s63, s59, s28
	;; [unrolled: 1-line block ×3, first 2 shown]
	s_mul_hi_u32 s55, s33, s6
	s_mul_i32 s57, s3, s4
	s_mul_i32 s56, s50, s6
	s_mul_hi_u32 s64, s42, s24
	s_mul_i32 s44, s42, s24
	s_mul_i32 s65, s43, s24
	s_cmp_lt_i32 s24, 64
	s_mul_i32 s38, s33, s6
	s_waitcnt vmcnt(1)
	v_and_b32_e32 v53, 0xffff0000, v4
	v_lshlrev_b32_e32 v52, 16, v4
	v_and_b32_e32 v57, 0xffff0000, v5
	v_lshlrev_b32_e32 v56, 16, v5
	s_waitcnt vmcnt(0)
	v_and_b32_e32 v51, 0xffff0000, v6
	v_lshlrev_b32_e32 v50, 16, v6
	v_and_b32_e32 v55, 0xffff0000, v7
	v_lshlrev_b32_e32 v54, 16, v7
	s_cbranch_scc1 .LBB537_18
; %bb.1:
	s_add_i32 s45, s64, s65
	s_lshl_b64 s[0:1], s[44:45], 8
	v_and_b32_e32 v73, 56, v68
	s_add_u32 s4, s18, s0
	v_lshl_or_b32 v72, v1, 3, v69
	v_lshlrev_b32_e32 v2, 1, v73
	s_addc_u32 s0, s19, s1
	v_lshl_or_b32 v74, v72, 8, v2
	s_and_b32 s5, s0, 0xffff
	s_mov_b32 s7, 0x20000
	s_movk_i32 s6, 0x4000
	s_movk_i32 s0, 0x80
	v_or_b32_e32 v75, 0x2000, v74
	buffer_load_dwordx4 v[4:7], v74, s[4:7], 0 offen
	buffer_load_dwordx4 v[8:11], v74, s[4:7], s0 offen
	;; [unrolled: 1-line block ×4, first 2 shown]
	v_lshlrev_b32_e32 v3, 3, v72
	v_and_or_b32 v21, v0, 7, v3
	v_and_b32_e32 v3, 0x78, v3
	v_lshlrev_b32_e32 v21, 4, v21
	v_xor_b32_e32 v76, v21, v3
	v_mul_lo_u32 v20, v72, s27
	v_or_b32_e32 v77, 0x1000, v76
	v_xor_b32_e32 v3, 8, v76
	s_cmpk_eq_i32 s27, 0x80
	s_mov_b32 s66, s26
	v_xor_b32_e32 v21, 8, v77
	s_cselect_b64 s[0:1], -1, 0
	s_cmpk_lg_i32 s27, 0x80
	s_waitcnt vmcnt(3)
	ds_write_b64 v76, v[4:5] offset:16384
	ds_write_b64 v3, v[6:7] offset:16384
	s_waitcnt vmcnt(2)
	ds_write_b64 v76, v[8:9] offset:24576
	ds_write_b64 v3, v[10:11] offset:24576
	;; [unrolled: 3-line block ×4, first 2 shown]
	v_lshl_add_u32 v3, v20, 1, v73
	s_cbranch_scc0 .LBB537_3
; %bb.2:
	v_lshlrev_b32_e32 v5, 1, v3
	v_add_lshl_u32 v4, v3, s27, 1
	s_lshl_b32 s6, s27, 7
	v_lshl_or_b32 v2, v72, 9, v2
	s_cbranch_execz .LBB537_4
	s_branch .LBB537_5
.LBB537_3:
                                        ; implicit-def: $vgpr4
                                        ; implicit-def: $vgpr5
                                        ; implicit-def: $sgpr6
	v_lshl_or_b32 v2, v72, 9, v2
.LBB537_4:
	v_or_b32_e32 v4, 0x100, v2
	s_movk_i32 s6, 0x4000
	v_mov_b32_e32 v5, v2
.LBB537_5:
	s_mul_hi_u32 s4, s26, s24
	s_mul_i32 s5, s61, s24
	s_add_i32 s4, s4, s5
	s_mul_i32 s5, s26, s24
	s_mul_i32 s7, s5, s3
	s_mul_hi_u32 s28, s5, s59
	s_add_i32 s7, s28, s7
	s_mul_i32 s4, s4, s59
	s_add_i32 s7, s7, s4
	s_mul_i32 s5, s5, s59
	s_ashr_i32 s43, s62, 31
	s_add_u32 s4, s5, s62
	s_addc_u32 s5, s7, s43
	s_lshl_b64 s[4:5], s[4:5], 8
	s_add_u32 s4, s16, s4
	s_addc_u32 s5, s17, s5
	s_and_b32 s5, s5, 0xffff
	s_mov_b32 s7, 0x20000
	s_movk_i32 s67, 0x80
	buffer_load_dwordx4 v[6:9], v5, s[4:7], 0 offen
	buffer_load_dwordx4 v[10:13], v5, s[4:7], s67 offen
	;; [unrolled: 1-line block ×4, first 2 shown]
	v_and_b32_e32 v4, 6, v0
	v_lshlrev_b32_e32 v22, 2, v67
	v_lshlrev_b32_e32 v23, 3, v67
	v_xor_b32_e32 v25, v72, v4
	v_and_b32_e32 v5, 1, v0
	s_mul_i32 s3, s3, s24
	s_mul_hi_u32 s4, s59, s24
	v_lshl_or_b32 v23, v70, 5, v23
	v_xor_b32_e32 v26, v70, v22
	v_lshlrev_b32_e32 v25, 2, v25
	v_or_b32_e32 v78, 0x9000, v23
	v_or_b32_e32 v79, 0x9800, v23
	v_lshlrev_b32_e32 v23, 1, v26
	v_xor_b32_e32 v26, 0x440, v25
	v_cmp_eq_u32_e32 vcc, 0, v5
	s_add_i32 s71, s4, s3
	s_add_i32 s3, s53, s52
	v_cndmask_b32_e32 v5, v26, v25, vcc
	s_add_i32 s4, s55, s54
	s_add_i32 s41, s3, s57
	s_mov_b32 s69, 0x1000504
	v_lshlrev_b32_e32 v24, 8, v67
	s_mov_b32 s6, 0x8000
	v_xor_b32_e32 v22, v71, v22
	v_lshl_or_b32 v4, v4, 10, v5
	s_add_i32 s39, s4, s56
	s_lshl_b64 s[4:5], s[40:41], 2
	s_mov_b32 s70, 0x3020706
	v_lshlrev_b32_e32 v22, 1, v22
	v_or3_b32 v80, v23, v24, s6
	v_xor_b32_e32 v5, 8, v4
	v_xor_b32_e32 v23, 24, v4
	;; [unrolled: 1-line block ×4, first 2 shown]
	s_add_u32 s3, s22, s4
	v_or3_b32 v81, v22, v24, s6
	v_xor_b32_e32 v22, 16, v4
	v_xor_b32_e32 v24, 32, v4
	;; [unrolled: 1-line block ×3, first 2 shown]
	v_add_u32_e32 v5, 0x80, v5
	v_add_u32_e32 v23, 0x80, v23
	;; [unrolled: 1-line block ×4, first 2 shown]
	s_addc_u32 s28, s23, s5
	s_lshl_b64 s[4:5], s[38:39], 2
	s_add_u32 s46, s3, s4
	s_movk_i32 s3, 0xf8
	s_addc_u32 s47, s28, s5
	v_ashrrev_i32_e32 v59, 31, v58
	s_lshl_b32 s30, s27, 7
	s_mov_b32 s68, 0
	s_mov_b32 s39, 0x7060302
	;; [unrolled: 1-line block ×3, first 2 shown]
	s_waitcnt vmcnt(1)
	v_perm_b32 v28, v6, v14, s69
	s_waitcnt vmcnt(0)
	v_perm_b32 v29, v10, v18, s69
	v_perm_b32 v6, v6, v14, s70
	;; [unrolled: 1-line block ×15, first 2 shown]
	ds_write2st64_b32 v4, v28, v29 offset1:32
	ds_write2st64_b32 v5, v6, v10 offset1:32
	ds_write2st64_b32 v22, v14, v18 offset0:1 offset1:33
	ds_write2st64_b32 v23, v7, v11 offset0:1 offset1:33
	;; [unrolled: 1-line block ×6, first 2 shown]
	v_or_b32_e32 v4, v45, v67
	v_lshlrev_b32_e32 v4, 3, v4
	v_lshrrev_b32_e32 v6, 5, v49
	v_and_or_b32 v6, v4, s3, v6
	v_lshlrev_b32_e32 v6, 4, v6
	v_lshrrev_b32_e32 v5, 2, v49
	v_lshlrev_b32_e32 v13, 11, v1
	v_and_b32_e32 v4, 0x78, v4
	v_or_b32_e32 v9, 32, v6
	v_and_b32_e32 v12, 12, v5
	v_and_b32_e32 v5, 0x1000, v13
	v_lshrrev_b32_e32 v8, 1, v49
	v_xor_b32_e32 v9, v9, v4
	v_and_b32_e32 v8, 8, v8
	v_or_b32_e32 v9, v9, v5
	v_xor_b32_e32 v7, v6, v4
	v_xor_b32_e32 v84, v9, v8
	v_or_b32_e32 v9, 64, v6
	v_or_b32_e32 v6, 0x60, v6
	v_xor_b32_e32 v9, v9, v4
	v_xor_b32_e32 v4, v6, v4
	v_or_b32_e32 v7, v7, v5
	v_or_b32_e32 v9, v9, v5
	v_or_b32_e32 v4, v4, v5
	v_xor_b32_e32 v82, v7, v8
	v_xor_b32_e32 v85, v9, v8
	v_xor_b32_e32 v86, v4, v8
	v_lshrrev_b32_e32 v8, 4, v0
	v_lshlrev_b32_e32 v9, 1, v67
	s_ashr_i32 s3, s2, 31
	v_or_b32_e32 v10, 1, v9
	v_xor_b32_e32 v9, v8, v9
	s_lshl_b64 s[4:5], s[2:3], 8
	v_xor_b32_e32 v10, v10, v8
	v_lshlrev_b32_e32 v9, 3, v9
	v_lshlrev_b32_e32 v8, 8, v8
	v_lshlrev_b64 v[4:5], 1, v[58:59]
	s_add_u32 s4, s12, s4
	v_or3_b32 v59, v9, v8, s6
	v_lshlrev_b32_e32 v9, 3, v10
	s_addc_u32 s5, s13, s5
	v_or3_b32 v88, v9, v8, s6
	v_mov_b32_e32 v9, 0
	v_lshrrev_b32_e32 v19, 1, v0
	v_lshl_add_u64 v[10:11], s[4:5], 0, v[8:9]
	v_lshlrev_b32_e32 v8, 4, v67
	s_movk_i32 s3, 0xff
	v_lshlrev_b32_e32 v18, 3, v1
	v_and_b32_e32 v19, 24, v19
	v_lshl_add_u64 v[60:61], v[10:11], 0, v[8:9]
	v_and_b32_e32 v8, 7, v0
	v_and_b32_e32 v11, 8, v0
	v_cmp_lt_u32_e32 vcc, s3, v0
	v_xor_b32_e32 v20, v18, v19
	v_lshlrev_b32_e32 v16, 3, v8
	v_lshlrev_b32_e32 v17, 7, v8
	v_cndmask_b32_e64 v8, 0, 1, vcc
	v_or_b32_e32 v21, 0x440, v20
	v_cmp_eq_u32_e32 vcc, 0, v11
	v_or_b32_e32 v23, 64, v19
	v_xor_b32_e32 v23, v18, v23
	v_cndmask_b32_e32 v11, v21, v20, vcc
	v_or_b32_e32 v21, 32, v19
	v_or_b32_e32 v19, 0x60, v19
	v_xor_b32_e32 v21, v18, v21
	v_xor_b32_e32 v18, v18, v19
	v_or_b32_e32 v22, 0x440, v21
	v_xor_b32_e32 v24, 0x440, v23
	v_xor_b32_e32 v19, 0x440, v18
	v_cndmask_b32_e32 v21, v22, v21, vcc
	v_cndmask_b32_e32 v23, v24, v23, vcc
	;; [unrolled: 1-line block ×3, first 2 shown]
	v_and_b32_e32 v7, 0x78, v68
	v_or_b32_e32 v11, v11, v13
	v_or_b32_e32 v21, v21, v13
	;; [unrolled: 1-line block ×4, first 2 shown]
	v_lshl_or_b32 v7, v66, 7, v7
	v_lshlrev_b32_e32 v8, 13, v8
	v_xor_b32_e32 v11, v11, v16
	v_xor_b32_e32 v21, v21, v16
	;; [unrolled: 1-line block ×4, first 2 shown]
	v_or_b32_e32 v83, 0x9000, v7
	v_or_b32_e32 v87, 0x9800, v7
	v_lshl_add_u64 v[6:7], s[20:21], 0, v[4:5]
	v_lshl_add_u64 v[4:5], s[14:15], 0, v[4:5]
	v_lshlrev_b32_e32 v14, 1, v3
	v_add_lshl_u32 v3, v3, s27, 1
	v_or_b32_e32 v15, 0x100, v2
	v_or_b32_e32 v10, v12, v45
	v_add_u32_e32 v20, v8, v11
	v_add_u32_e32 v22, v8, v21
	;; [unrolled: 1-line block ×4, first 2 shown]
	v_or3_b32 v12, v45, v12, 64
	v_add_u32_e32 v11, 0x2000, v11
	v_add_u32_e32 v18, 0x2000, v21
	;; [unrolled: 1-line block ×4, first 2 shown]
	v_lshlrev_b32_e32 v8, 8, v70
	v_cndmask_b32_e64 v89, v14, v2, s[0:1]
	v_cndmask_b32_e64 v90, v3, v15, s[0:1]
	v_lshl_add_u64 v[62:63], v[6:7], 0, v[8:9]
	v_lshl_add_u64 v[64:65], v[4:5], 0, v[8:9]
	s_add_i32 s3, s51, 63
	s_movk_i32 s6, 0x4000
	v_lshlrev_b32_e32 v91, 2, v10
	v_add_u32_e32 v92, v20, v17
	v_add_u32_e32 v93, v22, v17
	;; [unrolled: 1-line block ×4, first 2 shown]
	v_lshlrev_b32_e32 v96, 2, v12
	v_add_u32_e32 v97, v11, v17
	v_add_u32_e32 v98, v18, v17
	;; [unrolled: 1-line block ×4, first 2 shown]
	s_waitcnt lgkmcnt(0)
	s_barrier
.LBB537_6:                              ; =>This Inner Loop Header: Depth=1
	s_add_i32 s41, s72, 1
	s_cmp_lt_i32 s41, s60
	s_mov_b64 s[28:29], 0
	s_cselect_b64 s[48:49], -1, 0
	s_cmp_ge_i32 s41, s60
	s_mov_b64 s[4:5], 0
	s_cbranch_scc1 .LBB537_8
; %bb.7:                                ;   in Loop: Header=BB537_6 Depth=1
	s_add_i32 s0, s68, 64
	s_add_u32 s0, s44, s0
	s_addc_u32 s1, s45, 0
	s_lshl_b64 s[0:1], s[0:1], 8
	s_add_u32 s4, s18, s0
	s_addc_u32 s5, s19, s1
.LBB537_8:                              ;   in Loop: Header=BB537_6 Depth=1
	v_cndmask_b32_e64 v2, 0, 1, s[48:49]
	v_cmp_ne_u32_e64 s[0:1], 1, v2
	s_andn2_b64 vcc, exec, s[48:49]
	s_cbranch_vccnz .LBB537_10
; %bb.9:                                ;   in Loop: Header=BB537_6 Depth=1
	s_add_i32 s28, s68, 64
	s_add_u32 s28, s51, s28
	s_addc_u32 s29, s71, 0
	s_mul_i32 s31, s28, s61
	s_mul_hi_u32 s48, s28, s66
	s_add_i32 s31, s48, s31
	s_mul_i32 s29, s29, s66
	s_add_i32 s31, s31, s29
	s_mul_i32 s28, s28, s66
	s_add_u32 s28, s28, s62
	s_addc_u32 s29, s31, s43
	s_lshl_b64 s[28:29], s[28:29], 8
	s_add_u32 s28, s16, s28
	s_addc_u32 s29, s17, s29
.LBB537_10:                             ;   in Loop: Header=BB537_6 Depth=1
	v_perm_b32 v3, v57, v56, s39
	v_perm_b32 v2, v53, v52, s39
	;; [unrolled: 1-line block ×4, first 2 shown]
	ds_write_b64 v78, v[2:3]
	ds_write_b64 v79, v[4:5]
	;; [unrolled: 1-line block ×4, first 2 shown]
	s_waitcnt lgkmcnt(0)
	s_barrier
	ds_read_b64 v[10:11], v82 offset:16384
	ds_read_b64 v[12:13], v84 offset:16384
	ds_read2st64_b64 v[2:5], v83 offset1:1
	ds_read2st64_b64 v[6:9], v83 offset0:2 offset1:3
	ds_read_b64 v[14:15], v85 offset:16384
	s_waitcnt lgkmcnt(2)
	v_mfma_f32_16x16x16_bf16 a[0:3], v[10:11], v[2:3], 0
	ds_read_b64 v[2:3], v86 offset:16384
	s_add_i32 s31, s68, 63
	s_mul_i32 s48, s31, s37
	v_mfma_f32_16x16x16_bf16 a[0:3], v[12:13], v[4:5], a[0:3]
	s_mul_hi_u32 s49, s31, s36
	s_add_i32 s49, s49, s48
	s_mul_i32 s48, s31, s36
	s_waitcnt lgkmcnt(1)
	v_mfma_f32_16x16x16_bf16 a[0:3], v[14:15], v[6:7], a[0:3]
	s_lshl_b64 s[48:49], s[48:49], 2
	s_add_u32 s48, s46, s48
	s_addc_u32 s49, s47, s49
	s_waitcnt lgkmcnt(0)
	v_mfma_f32_16x16x16_bf16 a[0:3], v[2:3], v[8:9], a[0:3]
	s_and_b64 vcc, exec, s[0:1]
	v_mov_b32_e32 v103, 0
	v_mov_b32_e32 v102, 0
	;; [unrolled: 1-line block ×19, first 2 shown]
	s_cbranch_vccnz .LBB537_12
; %bb.11:                               ;   in Loop: Header=BB537_6 Depth=1
	s_and_b32 s5, s5, 0xffff
	buffer_load_dwordx4 v[14:17], v74, s[4:7], 0 offen
	buffer_load_dwordx4 v[10:13], v74, s[4:7], s67 offen
	;; [unrolled: 1-line block ×4, first 2 shown]
	v_mov_b32_e32 v102, v76
	v_mov_b32_e32 v101, v77
.LBB537_12:                             ;   in Loop: Header=BB537_6 Depth=1
	v_add_u32_e32 v24, s68, v70
	v_ashrrev_i32_e32 v18, 31, v24
	v_mul_lo_u32 v20, v18, s36
	v_mul_lo_u32 v21, v24, s37
	v_mad_u64_u32 v[18:19], s[4:5], v24, s36, 0
	v_add3_u32 v19, v19, v21, v20
	v_add_u32_e32 v20, 1, v24
	v_ashrrev_i32_e32 v21, 31, v20
	v_mul_lo_u32 v22, v21, s36
	v_mul_lo_u32 v23, v20, s37
	v_mad_u64_u32 v[20:21], s[4:5], v20, s36, 0
	v_add3_u32 v21, v21, v23, v22
	v_add_u32_e32 v22, 2, v24
	v_ashrrev_i32_e32 v23, 31, v22
	v_mul_lo_u32 v25, v23, s36
	v_mul_lo_u32 v26, v22, s37
	v_mad_u64_u32 v[22:23], s[4:5], v22, s36, 0
	s_add_u32 s4, s44, s68
	v_add3_u32 v23, v23, v26, v25
	v_add_u32_e32 v26, 3, v24
	s_addc_u32 s5, s45, 0
	v_ashrrev_i32_e32 v24, 31, v26
	s_lshl_b64 s[74:75], s[4:5], 8
	v_lshl_add_u64 v[18:19], v[18:19], 2, s[46:47]
	v_mul_lo_u32 v27, v24, s36
	v_lshl_add_u64 v[24:25], v[62:63], 0, s[74:75]
	v_mul_lo_u32 v28, v26, s37
	global_load_ushort v38, v[24:25], off
	global_load_ushort v39, v[24:25], off offset:256
	global_load_ushort v40, v[24:25], off offset:512
	;; [unrolled: 1-line block ×3, first 2 shown]
	global_load_dword v42, v[18:19], off
	v_mad_u64_u32 v[18:19], s[4:5], v26, s36, 0
	v_lshl_add_u64 v[20:21], v[20:21], 2, s[46:47]
	v_add3_u32 v19, v19, v28, v27
	v_lshl_add_u64 v[22:23], v[22:23], 2, s[46:47]
	v_lshl_add_u64 v[18:19], v[18:19], 2, s[46:47]
	global_load_dword v43, v[20:21], off
	global_load_dword v44, v[22:23], off
	;; [unrolled: 1-line block ×3, first 2 shown]
	s_load_dword s4, s[48:49], 0x0
	ds_read_b64 v[26:27], v82 offset:24576
	ds_read2st64_b64 v[22:25], v87 offset1:1
	ds_read2st64_b64 v[28:31], v87 offset0:2 offset1:3
	ds_read_b64 v[32:33], v84 offset:24576
	ds_read_b64 v[34:35], v85 offset:24576
	;; [unrolled: 1-line block ×3, first 2 shown]
	s_waitcnt lgkmcnt(0)
	v_mfma_f32_16x16x16_bf16 a[0:3], v[26:27], v[22:23], a[0:3]
	v_mov_b32_e32 v104, 0
	v_mov_b32_e32 v18, 0
	;; [unrolled: 1-line block ×3, first 2 shown]
	v_mfma_f32_16x16x16_bf16 a[0:3], v[32:33], v[24:25], a[0:3]
	v_mov_b32_e32 v20, 0
	v_mov_b32_e32 v21, 0
	;; [unrolled: 1-line block ×3, first 2 shown]
	v_mfma_f32_16x16x16_bf16 a[0:3], v[34:35], v[28:29], a[0:3]
	v_lshl_add_u64 v[28:29], v[64:65], 0, s[74:75]
	v_mov_b32_e32 v23, 0
	v_mov_b32_e32 v24, 0
	v_mfma_f32_16x16x16_bf16 a[0:3], v[36:37], v[30:31], a[0:3]
	v_mov_b32_e32 v25, 0
	v_mov_b32_e32 v26, 0
	;; [unrolled: 1-line block ×3, first 2 shown]
	s_and_b64 vcc, exec, s[0:1]
	s_waitcnt vmcnt(7)
	v_lshlrev_b32_e32 v34, 16, v38
	s_nop 0
	v_accvgpr_read_b32 v33, a1
	v_accvgpr_read_b32 v31, a3
	;; [unrolled: 1-line block ×4, first 2 shown]
	s_waitcnt vmcnt(6)
	v_lshlrev_b32_e32 v35, 16, v39
	s_waitcnt vmcnt(4)
	v_lshlrev_b32_e32 v37, 16, v41
	v_lshlrev_b32_e32 v36, 16, v40
	s_waitcnt vmcnt(3)
	v_sub_f32_e32 v38, s4, v42
	v_pk_add_f32 v[32:33], v[34:35], v[32:33] neg_lo:[0,1] neg_hi:[0,1]
	v_pk_add_f32 v[30:31], v[36:37], v[30:31] neg_lo:[0,1] neg_hi:[0,1]
	s_waitcnt vmcnt(2)
	v_sub_f32_e32 v35, s4, v43
	s_waitcnt vmcnt(1)
	v_sub_f32_e32 v36, s4, v44
	;; [unrolled: 2-line block ×3, first 2 shown]
	v_exp_f32_e32 v34, v38
	v_exp_f32_e32 v35, v35
	;; [unrolled: 1-line block ×4, first 2 shown]
	global_store_short_d16_hi v[28:29], v32, off
	global_store_short_d16_hi v[28:29], v33, off offset:256
	global_store_short_d16_hi v[28:29], v30, off offset:512
	;; [unrolled: 1-line block ×3, first 2 shown]
	v_pk_mul_f32 v[28:29], v[34:35], v[32:33]
	v_pk_mul_f32 v[30:31], v[36:37], v[30:31]
	v_perm_b32 v28, v29, v28, s39
	v_perm_b32 v29, v31, v30, s39
	ds_write_b64 v79, v[28:29]
	v_mov_b32_e32 v28, 0
	v_mov_b32_e32 v29, 0
	;; [unrolled: 1-line block ×6, first 2 shown]
	s_cbranch_vccnz .LBB537_14
; %bb.13:                               ;   in Loop: Header=BB537_6 Depth=1
	s_and_b32 s29, s29, 0xffff
	s_mov_b32 s31, s7
	buffer_load_dwordx4 v[30:33], v89, s[28:31], 0 offen
	buffer_load_dwordx4 v[22:25], v89, s[28:31], s67 offen
	;; [unrolled: 1-line block ×4, first 2 shown]
	v_mov_b32_e32 v103, v73
	v_mov_b32_e32 v104, v72
.LBB537_14:                             ;   in Loop: Header=BB537_6 Depth=1
	s_waitcnt lgkmcnt(0)
	s_barrier
	ds_read_b64 v[34:35], v92
	ds_read_b64 v[40:41], v93
	ds_read2st64_b64 v[36:39], v87 offset1:1
	ds_read2st64_b64 v[106:109], v87 offset0:2 offset1:3
	ds_read_b64 v[42:43], v94
	ds_read_b64 v[114:115], v95
	s_add_i32 s5, s63, s72
	s_mul_hi_i32 s29, s5, s25
	s_mul_i32 s5, s5, s25
	s_waitcnt lgkmcnt(3)
	v_mfma_f32_16x16x16_bf16 a[0:3], v[34:35], v[36:37], 0
	ds_read_b64 v[34:35], v97
	s_add_u32 s28, s5, s33
	s_addc_u32 s29, s29, s50
	s_add_i32 s5, s3, s68
	v_mfma_f32_16x16x16_bf16 a[0:3], v[40:41], v[38:39], a[0:3]
	ds_read_b64 v[40:41], v98
	s_lshl_b64 s[28:29], s[28:29], 15
	s_mul_hi_i32 s31, s5, s25
	s_mul_i32 s5, s5, s25
	s_add_u32 s48, s5, s33
	s_addc_u32 s49, s31, s50
	s_lshl_b64 s[48:49], s[48:49], 9
	s_add_u32 s48, s8, s48
	s_waitcnt lgkmcnt(1)
	v_mfma_f32_16x16x16_bf16 a[4:7], v[34:35], v[36:37], 0
	s_addc_u32 s49, s9, s49
	s_and_b64 vcc, exec, s[0:1]
	v_mfma_f32_16x16x16_bf16 a[0:3], v[42:43], v[106:107], a[0:3]
	ds_read_b64 v[42:43], v99
	ds_read_b64 v[116:117], v100
	global_load_dwordx4 v[34:37], v96, s[48:49]
	s_waitcnt lgkmcnt(2)
	v_mfma_f32_16x16x16_bf16 a[4:7], v[40:41], v[38:39], a[4:7]
	global_load_dwordx4 v[38:41], v91, s[48:49]
	ds_read_b64 v[110:111], v59
	ds_read_b64 v[112:113], v88
	s_waitcnt lgkmcnt(3)
	v_mfma_f32_16x16x16_bf16 a[8:11], v[42:43], v[106:107], a[4:7]
	v_lshl_add_u64 v[42:43], v[60:61], 0, s[28:29]
	s_waitcnt lgkmcnt(0)
	global_store_dwordx4 v[42:43], v[110:113], off
	v_mfma_f32_16x16x16_bf16 a[4:7], v[114:115], v[108:109], a[0:3]
	s_waitcnt vmcnt(2)
	v_mov_b32_e32 v44, v37
	v_mfma_f32_16x16x16_bf16 a[0:3], v[116:117], v[108:109], a[8:11]
	v_mov_b32_e32 v43, v36
	v_mov_b32_e32 v42, v35
	s_cbranch_vccnz .LBB537_16
; %bb.15:                               ;   in Loop: Header=BB537_6 Depth=1
	v_lshrrev_b32_e32 v35, 3, v103
	v_and_b32_e32 v35, 6, v35
	v_xor_b32_e32 v36, v35, v104
	v_lshlrev_b32_e32 v36, 2, v36
	v_and_b32_e32 v37, 8, v103
	v_xor_b32_e32 v103, 0x440, v36
	v_cmp_eq_u32_e32 vcc, 0, v37
	v_perm_b32 v37, v22, v18, s69
	s_nop 0
	v_cndmask_b32_e32 v36, v103, v36, vcc
	v_lshl_or_b32 v35, v35, 10, v36
	v_perm_b32 v36, v30, v26, s69
	s_barrier
	ds_write2st64_b32 v35, v36, v37 offset1:32
	v_xor_b32_e32 v36, 8, v35
	v_perm_b32 v26, v30, v26, s70
	v_perm_b32 v18, v22, v18, s70
	v_add_u32_e32 v22, 0x80, v36
	ds_write2st64_b32 v22, v26, v18 offset1:32
	v_xor_b32_e32 v18, 16, v35
	v_perm_b32 v22, v31, v27, s69
	v_perm_b32 v26, v23, v19, s69
	ds_write2st64_b32 v18, v22, v26 offset0:1 offset1:33
	v_xor_b32_e32 v18, 24, v35
	v_perm_b32 v22, v31, v27, s70
	v_perm_b32 v19, v23, v19, s70
	v_add_u32_e32 v18, 0x80, v18
	ds_write2st64_b32 v18, v22, v19 offset0:1 offset1:33
	v_xor_b32_e32 v18, 32, v35
	v_perm_b32 v19, v32, v28, s69
	v_perm_b32 v22, v24, v20, s69
	ds_write2st64_b32 v18, v19, v22 offset0:2 offset1:34
	v_xor_b32_e32 v18, 40, v35
	v_perm_b32 v19, v32, v28, s70
	v_perm_b32 v20, v24, v20, s70
	v_add_u32_e32 v18, 0x80, v18
	ds_write2st64_b32 v18, v19, v20 offset0:2 offset1:34
	;; [unrolled: 9-line block ×3, first 2 shown]
	ds_write_b64 v102, v[14:15] offset:16384
	v_xor_b32_e32 v14, 8, v102
	ds_write_b64 v14, v[16:17] offset:16384
	ds_write_b64 v102, v[10:11] offset:24576
	;; [unrolled: 1-line block ×4, first 2 shown]
	v_xor_b32_e32 v6, 8, v101
	ds_write_b64 v6, v[8:9] offset:16384
	ds_write_b64 v101, v[2:3] offset:24576
	;; [unrolled: 1-line block ×3, first 2 shown]
.LBB537_16:                             ;   in Loop: Header=BB537_6 Depth=1
	v_exp_f32_e32 v10, s4
	s_waitcnt vmcnt(1)
	v_exp_f32_e32 v12, v38
	v_exp_f32_e32 v13, v39
	;; [unrolled: 1-line block ×4, first 2 shown]
	v_accvgpr_read_b32 v2, a4
	v_accvgpr_read_b32 v3, a5
	v_pk_mul_f32 v[12:13], v[10:11], v[12:13] op_sel_hi:[0,1]
	v_pk_fma_f32 v[52:53], v[52:53], v[12:13], v[2:3]
	v_exp_f32_e32 v12, v34
	v_exp_f32_e32 v13, v42
	v_pk_mul_f32 v[2:3], v[10:11], v[14:15] op_sel_hi:[0,1]
	v_exp_f32_e32 v14, v43
	v_exp_f32_e32 v15, v44
	v_accvgpr_read_b32 v4, a6
	v_accvgpr_read_b32 v5, a7
	;; [unrolled: 1-line block ×5, first 2 shown]
	v_pk_fma_f32 v[56:57], v[56:57], v[2:3], v[4:5]
	v_pk_mul_f32 v[2:3], v[10:11], v[12:13] op_sel_hi:[0,1]
	v_accvgpr_read_b32 v8, a2
	v_pk_fma_f32 v[50:51], v[50:51], v[2:3], v[6:7]
	v_pk_mul_f32 v[2:3], v[10:11], v[14:15] op_sel_hi:[0,1]
	s_add_i32 s68, s68, 64
	s_cmp_eq_u32 s60, s41
	v_pk_fma_f32 v[54:55], v[54:55], v[2:3], v[8:9]
	s_cbranch_scc1 .LBB537_18
; %bb.17:                               ;   in Loop: Header=BB537_6 Depth=1
	s_mov_b32 s72, s41
	s_branch .LBB537_6
.LBB537_18:
	s_lshl_b32 s43, s60, 6
	s_sub_i32 s45, s24, s43
	s_cmp_gt_i32 s45, 0
	s_cbranch_scc0 .LBB537_75
; %bb.19:
	s_ashr_i32 s3, s43, 31
	s_cmpk_lg_i32 s27, 0x80
	s_cselect_b64 s[30:31], -1, 0
	s_and_b64 vcc, exec, s[30:31]
	s_cbranch_vccz .LBB537_21
; %bb.20:
	s_mul_hi_i32 s0, s59, s24
	s_add_u32 s1, s51, s43
	s_addc_u32 s0, s0, s3
	s_mul_i32 s4, s1, s61
	s_mul_hi_u32 s5, s1, s26
	s_add_i32 s4, s5, s4
	s_mul_i32 s0, s0, s26
	s_add_i32 s4, s4, s0
	s_mul_i32 s1, s1, s26
	s_ashr_i32 s0, s62, 31
	s_add_u32 s46, s1, s62
	s_addc_u32 s47, s4, s0
	s_cbranch_execz .LBB537_22
	s_branch .LBB537_23
.LBB537_21:
                                        ; implicit-def: $sgpr46_sgpr47
.LBB537_22:
	s_mul_hi_i32 s0, s59, s26
	s_mul_i32 s59, s59, s26
	s_ashr_i32 s1, s62, 31
	s_add_u32 s4, s59, s62
	s_addc_u32 s0, s0, s1
	s_mul_i32 s1, s4, s58
	s_mul_hi_u32 s5, s4, s24
	s_add_i32 s1, s5, s1
	s_mul_i32 s0, s0, s24
	s_add_i32 s1, s1, s0
	s_mul_i32 s4, s4, s24
	s_add_u32 s46, s4, s43
	s_addc_u32 s47, s1, s3
.LBB537_23:
	s_mul_i32 s0, s42, s58
	s_add_i32 s0, s64, s0
	s_add_i32 s4, s63, s60
	;; [unrolled: 1-line block ×3, first 2 shown]
	s_add_u32 s0, s44, s43
	s_addc_u32 s1, s1, s3
	s_mov_b32 s3, 0x7060302
	v_lshlrev_b32_e32 v6, 3, v67
	s_lshl_b64 s[28:29], s[0:1], 8
	v_perm_b32 v3, v57, v56, s3
	v_perm_b32 v2, v53, v52, s3
	;; [unrolled: 1-line block ×4, first 2 shown]
	v_lshlrev_b32_e32 v34, 2, v67
	v_lshl_or_b32 v6, v70, 5, v6
	s_add_u32 s0, s18, s28
	ds_write2st64_b64 v6, v[2:3], v[4:5] offset0:72 offset1:76
	v_xor_b32_e32 v6, v70, v34
	v_lshlrev_b32_e32 v7, 8, v67
	s_addc_u32 s1, s19, s29
	v_lshl_or_b32 v6, v6, 1, v7
	s_mul_hi_i32 s3, s4, s25
	s_mul_i32 s4, s4, s25
	ds_write_b64 v6, v[2:3] offset:32768
	v_xor_b32_e32 v2, v71, v34
	s_add_u32 s4, s4, s33
	v_lshl_or_b32 v2, v2, 1, v7
	s_addc_u32 s5, s3, s50
	v_lshlrev_b32_e32 v3, 1, v67
	ds_write_b64 v2, v[4:5] offset:32768
	v_lshrrev_b32_e32 v2, 4, v0
	s_ashr_i32 s3, s2, 31
	s_lshl_b64 s[4:5], s[4:5], 15
	v_or_b32_e32 v4, 1, v3
	s_add_u32 s4, s12, s4
	v_xor_b32_e32 v3, v2, v3
	v_xor_b32_e32 v4, v4, v2
	v_lshlrev_b32_e32 v6, 8, v2
	s_addc_u32 s5, s13, s5
	s_lshl_b64 s[2:3], s[2:3], 8
	v_lshl_or_b32 v2, v3, 3, v6
	v_lshl_or_b32 v4, v4, 3, v6
	s_waitcnt lgkmcnt(0)
	s_barrier
	s_add_u32 s2, s4, s2
	ds_read_b64 v[2:3], v2 offset:32768
	ds_read_b64 v[4:5], v4 offset:32768
	s_addc_u32 s3, s5, s3
	v_mov_b32_e32 v7, 0
	s_cmp_lg_u32 s45, 64
	v_lshl_add_u64 v[8:9], s[2:3], 0, v[6:7]
	v_lshlrev_b32_e32 v6, 4, v67
	s_cselect_b64 s[18:19], -1, 0
	v_lshl_or_b32 v36, v1, 3, v69
	s_mov_b32 s4, 0
	v_lshl_add_u64 v[6:7], v[8:9], 0, v[6:7]
	v_or_b32_e32 v19, 32, v36
	v_and_b32_e32 v18, 56, v68
	s_and_b64 vcc, exec, s[18:19]
	s_waitcnt lgkmcnt(0)
	global_store_dwordx4 v[6:7], v[2:5], off
	s_cbranch_vccz .LBB537_29
; %bb.24:
	s_mov_b32 s6, s4
	s_mov_b32 s7, s4
	;; [unrolled: 1-line block ×3, first 2 shown]
	v_mov_b64_e32 v[8:9], s[6:7]
	v_mov_b64_e32 v[6:7], s[4:5]
	;; [unrolled: 1-line block ×3, first 2 shown]
	v_cmp_gt_i32_e32 vcc, s45, v36
	v_mov_b64_e32 v[4:5], v[8:9]
	s_and_saveexec_b64 s[2:3], vcc
	s_cbranch_execz .LBB537_26
; %bb.25:
	v_lshlrev_b32_e32 v2, 8, v36
	v_mov_b32_e32 v3, 0
	v_lshl_add_u64 v[4:5], s[0:1], 0, v[2:3]
	v_lshlrev_b32_e32 v2, 1, v18
	v_lshl_add_u64 v[10:11], v[4:5], 0, v[2:3]
	global_load_dwordx4 v[6:9], v[10:11], off
	global_load_dwordx4 v[2:5], v[10:11], off offset:128
.LBB537_26:
	s_or_b64 exec, exec, s[2:3]
	s_mov_b32 s6, s4
	s_mov_b32 s7, s4
	;; [unrolled: 1-line block ×3, first 2 shown]
	v_mov_b64_e32 v[16:17], s[6:7]
	v_mov_b64_e32 v[14:15], s[4:5]
	;; [unrolled: 1-line block ×3, first 2 shown]
	v_cmp_gt_i32_e32 vcc, s45, v19
	v_lshlrev_b32_e32 v20, 7, v19
	v_mov_b64_e32 v[12:13], v[16:17]
	s_and_saveexec_b64 s[2:3], vcc
	s_cbranch_execz .LBB537_28
; %bb.27:
	v_lshlrev_b32_e32 v10, 1, v20
	v_mov_b32_e32 v11, 0
	v_lshl_add_u64 v[12:13], s[0:1], 0, v[10:11]
	v_lshlrev_b32_e32 v10, 1, v18
	v_lshl_add_u64 v[22:23], v[12:13], 0, v[10:11]
	global_load_dwordx4 v[14:17], v[22:23], off
	global_load_dwordx4 v[10:13], v[22:23], off offset:128
.LBB537_28:
	s_or_b64 exec, exec, s[2:3]
	v_lshrrev_b32_e32 v21, 3, v18
	v_lshlrev_b32_e32 v22, 3, v36
	v_or_b32_e32 v21, v22, v21
	v_lshlrev_b32_e32 v21, 4, v21
	v_and_b32_e32 v22, 0x78, v22
	v_xor_b32_e32 v21, v21, v22
	s_branch .LBB537_31
.LBB537_29:
                                        ; implicit-def: $vgpr21
                                        ; implicit-def: $vgpr20
                                        ; implicit-def: $vgpr6_vgpr7_vgpr8_vgpr9
                                        ; implicit-def: $vgpr2_vgpr3_vgpr4_vgpr5
                                        ; implicit-def: $vgpr14_vgpr15_vgpr16_vgpr17
                                        ; implicit-def: $vgpr10_vgpr11_vgpr12_vgpr13
	s_cbranch_execz .LBB537_31
; %bb.30:
	s_waitcnt vmcnt(0)
	v_lshlrev_b32_e32 v2, 1, v18
	v_lshl_or_b32 v20, v36, 8, v2
	s_and_b32 s1, s1, 0xffff
	s_mov_b32 s3, 0x20000
	s_movk_i32 s2, 0x4000
	v_lshl_or_b32 v21, v19, 8, v2
	s_movk_i32 s4, 0x80
	buffer_load_dwordx4 v[6:9], v20, s[0:3], 0 offen
	buffer_load_dwordx4 v[2:5], v20, s[0:3], s4 offen
	buffer_load_dwordx4 v[14:17], v21, s[0:3], 0 offen
	buffer_load_dwordx4 v[10:13], v21, s[0:3], s4 offen
	v_lshrrev_b32_e32 v20, 3, v18
	v_lshlrev_b32_e32 v21, 3, v36
	v_or_b32_e32 v20, v21, v20
	v_lshlrev_b32_e32 v20, 4, v20
	v_and_b32_e32 v21, 0x78, v21
	v_xor_b32_e32 v21, v20, v21
	v_lshlrev_b32_e32 v20, 7, v19
.LBB537_31:
	s_lshl_b64 s[0:1], s[46:47], 8
	s_add_u32 s4, s16, s0
	s_movk_i32 s0, 0x1000
	v_and_or_b32 v19, v20, s0, v21
	s_waitcnt vmcnt(1)
	ds_write_b64 v21, v[6:7] offset:16384
	v_xor_b32_e32 v6, 8, v21
	ds_write_b64 v6, v[8:9] offset:16384
	s_waitcnt vmcnt(0)
	ds_write_b64 v21, v[2:3] offset:24576
	ds_write_b64 v6, v[4:5] offset:24576
	;; [unrolled: 1-line block ×3, first 2 shown]
	v_xor_b32_e32 v2, 8, v19
	ds_write_b64 v2, v[16:17] offset:16384
	ds_write_b64 v19, v[10:11] offset:24576
	;; [unrolled: 1-line block ×3, first 2 shown]
	v_or_b32_e32 v2, v45, v67
	v_lshlrev_b32_e32 v2, 3, v2
	v_lshrrev_b32_e32 v4, 5, v49
	s_movk_i32 s6, 0xf8
	v_and_or_b32 v4, v2, s6, v4
	v_lshlrev_b32_e32 v35, 11, v1
	v_lshlrev_b32_e32 v12, 4, v4
	v_and_b32_e32 v13, 0x78, v2
	v_and_b32_e32 v14, 0x1000, v35
	v_lshlrev_b32_e32 v3, 2, v0
	v_xor_b32_e32 v2, v12, v13
	v_lshrrev_b32_e32 v4, 1, v49
	v_and_b32_e32 v3, 60, v3
	v_or_b32_e32 v2, v2, v14
	v_and_b32_e32 v15, 8, v4
	v_xor_b32_e32 v26, v2, v15
	v_lshl_or_b32 v2, v66, 6, v3
	v_lshlrev_b32_e32 v37, 1, v2
	v_or_b32_e32 v2, 32, v12
	v_xor_b32_e32 v2, v2, v13
	s_waitcnt lgkmcnt(0)
	s_barrier
	ds_read_b64 v[10:11], v26 offset:16384
	v_or_b32_e32 v2, v2, v14
	v_xor_b32_e32 v27, v2, v15
	v_or_b32_e32 v2, 64, v12
	v_xor_b32_e32 v2, v2, v13
	v_or_b32_e32 v2, v2, v14
	v_or_b32_e32 v12, 0x60, v12
	v_xor_b32_e32 v28, v2, v15
	ds_read2st64_b64 v[2:5], v37 offset0:72 offset1:73
	ds_read2st64_b64 v[6:9], v37 offset0:74 offset1:75
	v_xor_b32_e32 v16, v12, v13
	ds_read_b64 v[12:13], v27 offset:16384
	s_addc_u32 s5, s17, s1
	s_add_i32 s0, s53, s52
	s_waitcnt lgkmcnt(2)
	v_mfma_f32_16x16x16_bf16 a[0:3], v[10:11], v[2:3], 0
	s_add_i32 s17, s24, -1
	s_add_i32 s41, s0, s57
	s_add_i32 s0, s55, s54
	;; [unrolled: 1-line block ×3, first 2 shown]
	s_ashr_i32 s0, s17, 31
	s_mul_i32 s1, s17, s37
	s_mul_hi_u32 s2, s17, s36
	s_add_i32 s1, s2, s1
	s_mul_i32 s0, s0, s36
	v_or_b32_e32 v14, v16, v14
	s_add_i32 s1, s1, s0
	s_lshl_b64 s[2:3], s[40:41], 2
	v_xor_b32_e32 v38, v14, v15
	ds_read_b64 v[14:15], v28 offset:16384
	ds_read_b64 v[16:17], v38 offset:16384
	s_waitcnt lgkmcnt(2)
	v_mfma_f32_16x16x16_bf16 a[0:3], v[12:13], v[4:5], a[0:3]
	s_add_u32 s6, s22, s2
	s_addc_u32 s7, s23, s3
	s_lshl_b64 s[2:3], s[38:39], 2
	s_mul_i32 s0, s17, s36
	s_add_u32 s12, s6, s2
	s_addc_u32 s13, s7, s3
	s_lshl_b64 s[0:1], s[0:1], 2
	s_waitcnt lgkmcnt(1)
	v_mfma_f32_16x16x16_bf16 a[0:3], v[14:15], v[6:7], a[0:3]
	s_add_u32 s0, s12, s0
	s_addc_u32 s1, s13, s1
	s_load_dword s16, s[0:1], 0x0
	s_waitcnt lgkmcnt(0)
	v_mfma_f32_16x16x16_bf16 a[0:3], v[16:17], v[8:9], a[0:3]
	s_and_b64 vcc, exec, s[30:31]
	s_cbranch_vccz .LBB537_42
; %bb.32:
	v_lshlrev_b32_e32 v19, 1, v36
	s_and_b64 vcc, exec, s[18:19]
	s_cbranch_vccz .LBB537_43
; %bb.33:
	v_cmp_gt_i32_e32 vcc, s45, v19
	v_mov_b32_e32 v6, 0
	v_mov_b32_e32 v2, 0
	;; [unrolled: 1-line block ×5, first 2 shown]
	s_and_saveexec_b64 s[0:1], vcc
	s_cbranch_execz .LBB537_35
; %bb.34:
	v_mad_i64_i32 v[2:3], s[2:3], s27, v19, 0
	v_lshl_add_u64 v[2:3], v[2:3], 1, s[4:5]
	v_lshlrev_b32_e32 v4, 1, v18
	v_mov_b32_e32 v5, 0
	v_lshl_add_u64 v[2:3], v[2:3], 0, v[4:5]
	global_load_dwordx4 v[2:5], v[2:3], off
.LBB537_35:
	s_or_b64 exec, exec, s[0:1]
	v_or_b32_e32 v20, 1, v19
	v_cmp_gt_i32_e64 s[0:1], s45, v20
	v_mov_b32_e32 v7, 0
	v_mov_b32_e32 v8, 0
	;; [unrolled: 1-line block ×3, first 2 shown]
	s_and_saveexec_b64 s[2:3], s[0:1]
	s_cbranch_execz .LBB537_37
; %bb.36:
	v_mad_i64_i32 v[6:7], s[6:7], s27, v20, 0
	v_lshl_add_u64 v[6:7], v[6:7], 1, s[4:5]
	v_lshlrev_b32_e32 v8, 1, v18
	v_mov_b32_e32 v9, 0
	v_lshl_add_u64 v[6:7], v[6:7], 0, v[8:9]
	global_load_dwordx4 v[6:9], v[6:7], off
.LBB537_37:
	s_or_b64 exec, exec, s[2:3]
	v_mov_b32_e32 v17, 0
	v_mov_b32_e32 v10, 0
	v_mov_b32_e32 v11, 0
	v_mov_b32_e32 v12, 0
	v_mov_b32_e32 v13, 0
	s_and_saveexec_b64 s[2:3], vcc
	s_cbranch_execz .LBB537_39
; %bb.38:
	v_mad_i64_i32 v[10:11], s[6:7], s27, v19, 0
	v_lshl_add_u64 v[10:11], v[10:11], 1, s[4:5]
	v_lshlrev_b32_e32 v12, 1, v18
	v_mov_b32_e32 v13, 0
	v_lshl_add_u64 v[10:11], v[10:11], 0, v[12:13]
	global_load_dwordx4 v[10:13], v[10:11], off offset:128
.LBB537_39:
	s_or_b64 exec, exec, s[2:3]
	v_mov_b32_e32 v16, 0
	v_mov_b32_e32 v15, 0
	;; [unrolled: 1-line block ×3, first 2 shown]
	s_and_saveexec_b64 s[2:3], s[0:1]
	s_cbranch_execz .LBB537_41
; %bb.40:
	v_mad_i64_i32 v[14:15], s[0:1], s27, v20, 0
	v_lshl_add_u64 v[14:15], v[14:15], 1, s[4:5]
	v_lshlrev_b32_e32 v16, 1, v18
	v_mov_b32_e32 v17, 0
	v_lshl_add_u64 v[14:15], v[14:15], 0, v[16:17]
	global_load_dwordx4 v[14:17], v[14:15], off offset:128
.LBB537_41:
	s_or_b64 exec, exec, s[2:3]
	s_branch .LBB537_45
.LBB537_42:
                                        ; implicit-def: $vgpr5
                                        ; implicit-def: $vgpr9
                                        ; implicit-def: $vgpr13
                                        ; implicit-def: $vgpr17
	v_lshrrev_b32_e32 v19, 2, v49
	s_branch .LBB537_46
.LBB537_43:
                                        ; implicit-def: $vgpr5
                                        ; implicit-def: $vgpr9
                                        ; implicit-def: $vgpr13
                                        ; implicit-def: $vgpr17
	s_cbranch_execz .LBB537_45
; %bb.44:
	s_waitcnt vmcnt(0)
	v_mad_u64_u32 v[2:3], s[0:1], v19, s27, v[18:19]
	v_lshlrev_b32_e32 v19, 1, v2
	s_lshl_b32 s2, s27, 7
	s_and_b32 s1, s5, 0xffff
	s_mov_b32 s3, 0x20000
	s_mov_b32 s0, s4
	v_add_lshl_u32 v20, v2, s27, 1
	s_movk_i32 s6, 0x80
	buffer_load_dwordx4 v[2:5], v19, s[0:3], 0 offen
	buffer_load_dwordx4 v[10:13], v19, s[0:3], s6 offen
	;; [unrolled: 1-line block ×4, first 2 shown]
.LBB537_45:
	v_lshrrev_b32_e32 v19, 2, v49
	s_cbranch_execnz .LBB537_58
.LBB537_46:
	s_and_b64 vcc, exec, s[18:19]
	s_cbranch_vccz .LBB537_56
; %bb.47:
	s_waitcnt vmcnt(0)
	v_lshlrev_b32_e32 v7, 1, v36
	v_cmp_gt_i32_e32 vcc, s45, v7
	v_mov_b32_e32 v6, 0
	v_lshlrev_b32_e32 v14, 9, v36
	v_mov_b32_e32 v2, 0
	v_mov_b32_e32 v3, 0
	;; [unrolled: 1-line block ×4, first 2 shown]
	s_and_saveexec_b64 s[0:1], vcc
	s_cbranch_execz .LBB537_49
; %bb.48:
	v_mov_b32_e32 v15, 0
	v_lshl_add_u64 v[2:3], s[4:5], 0, v[14:15]
	v_lshlrev_b32_e32 v4, 1, v18
	v_mov_b32_e32 v5, v15
	v_lshl_add_u64 v[2:3], v[2:3], 0, v[4:5]
	global_load_dwordx4 v[2:5], v[2:3], off
.LBB537_49:
	s_or_b64 exec, exec, s[0:1]
	v_or_b32_e32 v7, 1, v7
	v_cmp_gt_i32_e64 s[0:1], s45, v7
	v_lshlrev_b32_e32 v20, 8, v7
	v_mov_b32_e32 v7, 0
	v_mov_b32_e32 v8, 0
	;; [unrolled: 1-line block ×3, first 2 shown]
	s_and_saveexec_b64 s[2:3], s[0:1]
	s_cbranch_execz .LBB537_51
; %bb.50:
	v_mov_b32_e32 v21, 0
	v_lshl_add_u64 v[6:7], s[4:5], 0, v[20:21]
	v_lshlrev_b32_e32 v8, 1, v18
	v_mov_b32_e32 v9, v21
	v_lshl_add_u64 v[6:7], v[6:7], 0, v[8:9]
	global_load_dwordx4 v[6:9], v[6:7], off
.LBB537_51:
	s_or_b64 exec, exec, s[2:3]
	v_mov_b32_e32 v17, 0
	v_mov_b32_e32 v10, 0
	;; [unrolled: 1-line block ×5, first 2 shown]
	s_and_saveexec_b64 s[2:3], vcc
	s_cbranch_execz .LBB537_53
; %bb.52:
	v_mov_b32_e32 v15, 0
	v_lshl_add_u64 v[10:11], s[4:5], 0, v[14:15]
	v_lshlrev_b32_e32 v14, 1, v18
	v_lshl_add_u64 v[10:11], v[10:11], 0, v[14:15]
	global_load_dwordx4 v[10:13], v[10:11], off offset:128
.LBB537_53:
	s_or_b64 exec, exec, s[2:3]
	v_mov_b32_e32 v16, 0
	v_mov_b32_e32 v15, 0
	;; [unrolled: 1-line block ×3, first 2 shown]
	s_and_saveexec_b64 s[2:3], s[0:1]
	s_cbranch_execz .LBB537_55
; %bb.54:
	v_mov_b32_e32 v21, 0
	v_lshl_add_u64 v[14:15], s[4:5], 0, v[20:21]
	v_lshlrev_b32_e32 v20, 1, v18
	v_lshl_add_u64 v[14:15], v[14:15], 0, v[20:21]
	global_load_dwordx4 v[14:17], v[14:15], off offset:128
.LBB537_55:
	s_or_b64 exec, exec, s[2:3]
	s_branch .LBB537_58
.LBB537_56:
                                        ; implicit-def: $vgpr5
                                        ; implicit-def: $vgpr9
                                        ; implicit-def: $vgpr13
                                        ; implicit-def: $vgpr17
	s_cbranch_execz .LBB537_58
; %bb.57:
	s_waitcnt vmcnt(0)
	v_lshlrev_b32_e32 v2, 1, v18
	v_lshl_or_b32 v18, v36, 9, v2
	s_and_b32 s5, s5, 0xffff
	s_mov_b32 s7, 0x20000
	s_movk_i32 s6, 0x4000
	s_movk_i32 s0, 0x80
	buffer_load_dwordx4 v[2:5], v18, s[4:7], 0 offen
	buffer_load_dwordx4 v[6:9], v18, s[4:7], 0 offen offset:256
	buffer_load_dwordx4 v[10:13], v18, s[4:7], s0 offen
	buffer_load_dwordx4 v[14:17], v18, s[4:7], s0 offen offset:256
.LBB537_58:
	v_and_b32_e32 v39, 12, v19
	ds_read2st64_b64 v[22:25], v37 offset0:76 offset1:77
	ds_read2st64_b64 v[18:21], v37 offset0:78 offset1:79
	ds_read_b64 v[32:33], v26 offset:24576
	ds_read_b64 v[30:31], v27 offset:24576
	;; [unrolled: 1-line block ×4, first 2 shown]
	v_and_b32_e32 v38, 6, v0
	v_xor_b32_e32 v36, v36, v38
	v_lshlrev_b32_e32 v36, 2, v36
	v_and_b32_e32 v40, 1, v0
	v_xor_b32_e32 v41, 0x440, v36
	v_cmp_eq_u32_e32 vcc, 0, v40
	s_mov_b32 s0, 0x1000504
	s_waitcnt vmcnt(0)
	v_perm_b32 v40, v10, v14, s0
	v_cndmask_b32_e32 v36, v41, v36, vcc
	v_lshl_or_b32 v36, v38, 10, v36
	v_perm_b32 v38, v2, v6, s0
	ds_write2st64_b32 v36, v38, v40 offset1:32
	v_xor_b32_e32 v38, 8, v36
	s_mov_b32 s1, 0x3020706
	v_perm_b32 v2, v2, v6, s1
	v_perm_b32 v6, v10, v14, s1
	v_add_u32_e32 v10, 0x80, v38
	ds_write2st64_b32 v10, v2, v6 offset1:32
	v_xor_b32_e32 v2, 16, v36
	v_perm_b32 v6, v3, v7, s0
	v_perm_b32 v10, v11, v15, s0
	ds_write2st64_b32 v2, v6, v10 offset0:1 offset1:33
	v_xor_b32_e32 v2, 24, v36
	v_perm_b32 v3, v3, v7, s1
	v_perm_b32 v6, v11, v15, s1
	v_add_u32_e32 v2, 0x80, v2
	ds_write2st64_b32 v2, v3, v6 offset0:1 offset1:33
	v_xor_b32_e32 v2, 32, v36
	v_perm_b32 v3, v4, v8, s0
	v_perm_b32 v6, v12, v16, s0
	ds_write2st64_b32 v2, v3, v6 offset0:2 offset1:34
	v_xor_b32_e32 v2, 40, v36
	v_perm_b32 v3, v4, v8, s1
	v_perm_b32 v4, v12, v16, s1
	v_add_u32_e32 v2, 0x80, v2
	ds_write2st64_b32 v2, v3, v4 offset0:2 offset1:34
	v_xor_b32_e32 v2, 48, v36
	v_perm_b32 v3, v5, v9, s0
	v_perm_b32 v4, v13, v17, s0
	ds_write2st64_b32 v2, v3, v4 offset0:3 offset1:35
	v_xor_b32_e32 v2, 56, v36
	v_or_b32_e32 v10, v39, v45
	v_perm_b32 v3, v5, v9, s1
	v_perm_b32 v4, v13, v17, s1
	v_add_u32_e32 v2, 0x80, v2
	v_cmp_gt_i32_e64 s[2:3], s45, v10
	v_mov_b32_e32 v12, 0
	v_mov_b32_e32 v17, 0
	ds_write2st64_b32 v2, v3, v4 offset0:3 offset1:35
	s_and_saveexec_b64 s[0:1], s[2:3]
	s_cbranch_execz .LBB537_60
; %bb.59:
	v_add_u32_e32 v2, s43, v10
	v_ashrrev_i32_e32 v3, 31, v2
	v_mul_lo_u32 v4, v3, s36
	v_mul_lo_u32 v5, v2, s37
	v_mad_u64_u32 v[2:3], s[4:5], v2, s36, 0
	v_add3_u32 v3, v3, v5, v4
	v_lshl_add_u64 v[2:3], v[2:3], 2, s[12:13]
	global_load_dword v2, v[2:3], off
	s_waitcnt vmcnt(0)
	v_sub_f32_e32 v2, s16, v2
	v_exp_f32_e32 v17, v2
.LBB537_60:
	s_or_b64 exec, exec, s[0:1]
	v_or_b32_e32 v15, 1, v10
	v_cmp_gt_i32_e64 s[4:5], s45, v15
	s_and_saveexec_b64 s[0:1], s[4:5]
	s_cbranch_execz .LBB537_62
; %bb.61:
	v_add_u32_e32 v2, s43, v15
	v_ashrrev_i32_e32 v3, 31, v2
	v_mul_lo_u32 v4, v3, s36
	v_mul_lo_u32 v5, v2, s37
	v_mad_u64_u32 v[2:3], s[6:7], v2, s36, 0
	v_add3_u32 v3, v3, v5, v4
	v_lshl_add_u64 v[2:3], v[2:3], 2, s[12:13]
	global_load_dword v2, v[2:3], off
	s_waitcnt vmcnt(0)
	v_sub_f32_e32 v2, s16, v2
	v_exp_f32_e32 v12, v2
.LBB537_62:
	s_or_b64 exec, exec, s[0:1]
	v_or_b32_e32 v14, 2, v10
	v_cmp_gt_i32_e64 s[0:1], s45, v14
	v_mov_b32_e32 v11, 0
	v_mov_b32_e32 v16, 0
	s_and_saveexec_b64 s[6:7], s[0:1]
	s_cbranch_execz .LBB537_64
; %bb.63:
	v_add_u32_e32 v2, s43, v14
	v_ashrrev_i32_e32 v3, 31, v2
	v_mul_lo_u32 v4, v3, s36
	v_mul_lo_u32 v5, v2, s37
	v_mad_u64_u32 v[2:3], s[18:19], v2, s36, 0
	v_add3_u32 v3, v3, v5, v4
	v_lshl_add_u64 v[2:3], v[2:3], 2, s[12:13]
	global_load_dword v2, v[2:3], off
	s_waitcnt vmcnt(0)
	v_sub_f32_e32 v2, s16, v2
	v_exp_f32_e32 v16, v2
.LBB537_64:
	s_or_b64 exec, exec, s[6:7]
	v_or_b32_e32 v13, 3, v10
	v_cmp_gt_i32_e32 vcc, s45, v13
	s_and_saveexec_b64 s[6:7], vcc
	s_cbranch_execz .LBB537_66
; %bb.65:
	v_add_u32_e32 v2, s43, v13
	v_ashrrev_i32_e32 v3, 31, v2
	v_mul_lo_u32 v4, v3, s36
	v_mul_lo_u32 v5, v2, s37
	v_mad_u64_u32 v[2:3], s[18:19], v2, s36, 0
	v_add3_u32 v3, v3, v5, v4
	v_lshl_add_u64 v[2:3], v[2:3], 2, s[12:13]
	global_load_dword v2, v[2:3], off
	s_waitcnt vmcnt(0)
	v_sub_f32_e32 v2, s16, v2
	v_exp_f32_e32 v11, v2
.LBB537_66:
	s_or_b64 exec, exec, s[6:7]
	s_waitcnt lgkmcnt(11)
	v_mfma_f32_16x16x16_bf16 a[0:3], v[32:33], v[22:23], a[0:3]
	s_add_u32 s6, s20, s28
	v_ashrrev_i32_e32 v59, 31, v58
	s_addc_u32 s7, s21, s29
	s_waitcnt lgkmcnt(10)
	v_mfma_f32_16x16x16_bf16 a[0:3], v[30:31], v[24:25], a[0:3]
	v_lshlrev_b64 v[2:3], 1, v[58:59]
	v_lshl_add_u64 v[6:7], s[6:7], 0, v[2:3]
	s_add_u32 s6, s14, s28
	s_waitcnt lgkmcnt(9)
	v_mfma_f32_16x16x16_bf16 a[0:3], v[28:29], v[18:19], a[0:3]
	s_addc_u32 s7, s15, s29
	v_lshl_add_u64 v[8:9], s[6:7], 0, v[2:3]
	v_mov_b32_e32 v18, 0
	s_waitcnt lgkmcnt(8)
	v_mfma_f32_16x16x16_bf16 a[0:3], v[26:27], v[20:21], a[0:3]
	v_mov_b32_e32 v19, 0
	s_nop 5
	v_accvgpr_read_b32 v5, a3
	v_accvgpr_read_b32 v4, a2
	;; [unrolled: 1-line block ×4, first 2 shown]
	s_and_saveexec_b64 s[6:7], s[2:3]
	s_cbranch_execz .LBB537_68
; %bb.67:
	v_lshlrev_b32_e32 v20, 8, v10
	v_mov_b32_e32 v21, 0
	v_lshl_add_u64 v[22:23], v[6:7], 0, v[20:21]
	global_load_ushort v19, v[22:23], off
	v_lshl_add_u64 v[20:21], v[8:9], 0, v[20:21]
	s_waitcnt vmcnt(0)
	v_lshlrev_b32_e32 v19, 16, v19
	v_sub_f32_e32 v2, v19, v2
	global_store_short_d16_hi v[20:21], v2, off
	v_mul_f32_e32 v2, v17, v2
	v_lshrrev_b32_e32 v19, 16, v2
.LBB537_68:
	s_or_b64 exec, exec, s[6:7]
	s_and_saveexec_b64 s[2:3], s[4:5]
	s_cbranch_execz .LBB537_70
; %bb.69:
	v_lshlrev_b32_e32 v20, 8, v15
	v_mov_b32_e32 v21, 0
	v_lshl_add_u64 v[22:23], v[6:7], 0, v[20:21]
	global_load_ushort v2, v[22:23], off
	v_lshl_add_u64 v[20:21], v[8:9], 0, v[20:21]
	s_waitcnt vmcnt(0)
	v_lshlrev_b32_e32 v2, 16, v2
	v_sub_f32_e32 v2, v2, v3
	global_store_short_d16_hi v[20:21], v2, off
	v_mul_f32_e32 v2, v12, v2
	v_lshrrev_b32_e32 v18, 16, v2
.LBB537_70:
	s_or_b64 exec, exec, s[2:3]
	v_mov_b32_e32 v3, 0
	v_mov_b32_e32 v12, 0
	s_and_saveexec_b64 s[2:3], s[0:1]
	s_cbranch_execz .LBB537_72
; %bb.71:
	v_lshlrev_b32_e32 v14, 8, v14
	v_mov_b32_e32 v15, 0
	v_lshl_add_u64 v[20:21], v[6:7], 0, v[14:15]
	global_load_ushort v2, v[20:21], off
	v_lshl_add_u64 v[14:15], v[8:9], 0, v[14:15]
	s_waitcnt vmcnt(0)
	v_lshlrev_b32_e32 v2, 16, v2
	v_sub_f32_e32 v2, v2, v4
	global_store_short_d16_hi v[14:15], v2, off
	v_mul_f32_e32 v2, v16, v2
	v_lshrrev_b32_e32 v12, 16, v2
.LBB537_72:
	s_or_b64 exec, exec, s[2:3]
	v_or_b32_e32 v2, 0x9800, v37
	s_and_saveexec_b64 s[0:1], vcc
	s_cbranch_execz .LBB537_74
; %bb.73:
	v_lshlrev_b32_e32 v14, 8, v13
	v_mov_b32_e32 v15, 0
	v_lshl_add_u64 v[6:7], v[6:7], 0, v[14:15]
	global_load_ushort v3, v[6:7], off
	v_lshl_add_u64 v[6:7], v[8:9], 0, v[14:15]
	s_waitcnt vmcnt(0)
	v_lshlrev_b32_e32 v3, 16, v3
	v_sub_f32_e32 v3, v3, v5
	global_store_short_d16_hi v[6:7], v3, off
	v_mul_f32_e32 v3, v11, v3
	v_lshrrev_b32_e32 v3, 16, v3
.LBB537_74:
	s_or_b64 exec, exec, s[0:1]
	s_mov_b32 s0, 0x5040100
	v_perm_b32 v5, v3, v12, s0
	v_lshlrev_b32_e32 v3, 1, v34
	v_perm_b32 v4, v18, v19, s0
	v_lshl_or_b32 v3, v10, 5, v3
	s_movk_i32 s2, 0xff
	ds_write_b64 v3, v[4:5] offset:38912
	v_and_b32_e32 v3, 7, v0
	v_cmp_lt_u32_e32 vcc, s2, v0
	v_and_b32_e32 v4, 8, v0
	v_lshlrev_b32_e32 v11, 3, v3
	v_lshlrev_b32_e32 v20, 7, v3
	v_cndmask_b32_e64 v3, 0, 1, vcc
	v_lshrrev_b32_e32 v0, 1, v0
	v_lshlrev_b32_e32 v16, 13, v3
	v_lshlrev_b32_e32 v3, 3, v1
	v_and_b32_e32 v0, 24, v0
	v_xor_b32_e32 v5, v3, v0
	v_or_b32_e32 v6, 0x440, v5
	v_cmp_eq_u32_e32 vcc, 0, v4
	s_waitcnt lgkmcnt(0)
	s_barrier
	v_cndmask_b32_e32 v4, v6, v5, vcc
	v_or_b32_e32 v4, v4, v35
	v_xor_b32_e32 v21, v4, v11
	v_or_b32_e32 v4, 32, v0
	v_xor_b32_e32 v4, v3, v4
	v_or_b32_e32 v5, 0x440, v4
	v_cndmask_b32_e32 v4, v5, v4, vcc
	v_or_b32_e32 v4, v4, v35
	v_xor_b32_e32 v22, v4, v11
	v_or_b32_e32 v4, 64, v0
	v_xor_b32_e32 v4, v3, v4
	v_xor_b32_e32 v5, 0x440, v4
	v_cndmask_b32_e32 v4, v5, v4, vcc
	v_add3_u32 v8, v16, v21, v20
	v_or_b32_e32 v4, v4, v35
	v_or_b32_e32 v0, 0x60, v0
	v_xor_b32_e32 v23, v4, v11
	ds_read2st64_b64 v[4:7], v2 offset1:1
	ds_read2st64_b64 v[12:15], v2 offset0:2 offset1:3
	v_xor_b32_e32 v0, v3, v0
	ds_read_b64 v[2:3], v8
	v_add3_u32 v9, v16, v22, v20
	v_xor_b32_e32 v8, 0x440, v0
	v_cndmask_b32_e32 v0, v8, v0, vcc
	ds_read_b64 v[8:9], v9
	s_add_i32 s0, s17, s51
	s_mul_hi_i32 s1, s0, s25
	s_mul_i32 s0, s0, s25
	s_add_u32 s0, s0, s33
	v_or_b32_e32 v0, v0, v35
	s_waitcnt lgkmcnt(1)
	v_mfma_f32_16x16x16_bf16 a[0:3], v[2:3], v[4:5], 0
	s_addc_u32 s1, s1, s50
	v_xor_b32_e32 v24, v0, v11
	s_lshl_b64 s[0:1], s[0:1], 9
	v_add3_u32 v17, v16, v23, v20
	v_add3_u32 v0, v16, v24, v20
	s_add_u32 s0, s8, s0
	ds_read_b64 v[16:17], v17
	ds_read_b64 v[18:19], v0
	s_addc_u32 s1, s9, s1
	v_lshlrev_b32_e32 v0, 2, v10
	s_waitcnt lgkmcnt(2)
	v_mfma_f32_16x16x16_bf16 a[0:3], v[8:9], v[6:7], a[0:3]
	global_load_dwordx4 v[8:11], v0, s[0:1]
	v_add_u32_e32 v0, v21, v20
	v_lshlrev_b32_e32 v2, 6, v1
	ds_read_b64 v[0:1], v0 offset:8192
	v_lshlrev_b32_e32 v3, 2, v39
	s_movk_i32 s2, 0x100
	v_or3_b32 v2, v2, v3, s2
	v_add_u32_e32 v3, v22, v20
	v_add_u32_e32 v21, v23, v20
	;; [unrolled: 1-line block ×3, first 2 shown]
	s_waitcnt lgkmcnt(2)
	v_mfma_f32_16x16x16_bf16 a[0:3], v[16:17], v[12:13], a[0:3]
	ds_read_b64 v[16:17], v3 offset:8192
	ds_read_b64 v[20:21], v21 offset:8192
	ds_read_b64 v[22:23], v22 offset:8192
	v_exp_f32_e32 v24, s16
	s_waitcnt vmcnt(0)
	v_exp_f32_e32 v10, v10
	s_waitcnt lgkmcnt(3)
	v_mfma_f32_16x16x16_bf16 a[4:7], v[0:1], v[4:5], 0
	global_load_dwordx4 v[0:3], v2, s[0:1]
	v_exp_f32_e32 v11, v11
	v_exp_f32_e32 v8, v8
	v_mfma_f32_16x16x16_bf16 a[0:3], v[18:19], v[14:15], a[0:3]
	v_exp_f32_e32 v9, v9
	v_pk_mul_f32 v[10:11], v[24:25], v[10:11] op_sel_hi:[0,1]
	v_pk_mul_f32 v[8:9], v[24:25], v[8:9] op_sel_hi:[0,1]
	s_waitcnt vmcnt(0)
	v_exp_f32_e32 v0, v0
	s_nop 1
	v_accvgpr_read_b32 v19, a1
	v_accvgpr_read_b32 v5, a3
	v_accvgpr_read_b32 v4, a2
	v_accvgpr_read_b32 v18, a0
	s_waitcnt lgkmcnt(2)
	v_mfma_f32_16x16x16_bf16 a[0:3], v[16:17], v[6:7], a[4:7]
	v_pk_fma_f32 v[56:57], v[56:57], v[10:11], v[4:5]
	v_mov_b32_e32 v4, v3
	v_mov_b32_e32 v3, v2
	s_waitcnt lgkmcnt(1)
	v_mfma_f32_16x16x16_bf16 a[0:3], v[20:21], v[12:13], a[0:3]
	v_mov_b32_e32 v2, v1
	v_exp_f32_e32 v1, v2
	v_exp_f32_e32 v2, v3
	s_waitcnt lgkmcnt(0)
	v_mfma_f32_16x16x16_bf16 a[0:3], v[22:23], v[14:15], a[0:3]
	v_exp_f32_e32 v3, v4
	v_pk_mul_f32 v[0:1], v[24:25], v[0:1] op_sel_hi:[0,1]
	v_pk_fma_f32 v[52:53], v[52:53], v[8:9], v[18:19]
	s_nop 3
	v_accvgpr_read_b32 v7, a1
	v_accvgpr_read_b32 v6, a0
	;; [unrolled: 1-line block ×4, first 2 shown]
	v_pk_fma_f32 v[50:51], v[50:51], v[0:1], v[6:7]
	v_pk_mul_f32 v[0:1], v[24:25], v[2:3] op_sel_hi:[0,1]
	v_pk_fma_f32 v[54:55], v[54:55], v[0:1], v[4:5]
.LBB537_75:
	s_add_u32 s0, s10, s34
	s_addc_u32 s1, s11, s35
	v_lshl_add_u64 v[0:1], v[46:47], 1, s[0:1]
	v_mov_b32_e32 v49, 0
	s_mov_b32 s0, 0x7060302
	v_lshl_add_u64 v[0:1], v[0:1], 0, v[48:49]
	v_perm_b32 v3, v57, v56, s0
	v_perm_b32 v2, v53, v52, s0
	global_store_dwordx2 v[0:1], v[2:3], off
	v_perm_b32 v3, v55, v54, s0
	v_perm_b32 v2, v51, v50, s0
	global_store_dwordx2 v[0:1], v[2:3], off offset:128
	s_endpgm
	.section	.rodata,"a",@progbits
	.p2align	6, 0x0
	.amdhsa_kernel _ZN12_GLOBAL__N_139chunk_gated_delta_rule_fwd_h_hip_kernelILi16ELb1ELb1ELb1ELb0ELb1ELb1ELb0ELb1EEEvPK12hip_bfloat16S3_S3_PKfS5_PKvPS1_S8_PvPKiSB_iiiiilll
		.amdhsa_group_segment_fixed_size 40960
		.amdhsa_private_segment_fixed_size 0
		.amdhsa_kernarg_size 136
		.amdhsa_user_sgpr_count 2
		.amdhsa_user_sgpr_dispatch_ptr 0
		.amdhsa_user_sgpr_queue_ptr 0
		.amdhsa_user_sgpr_kernarg_segment_ptr 1
		.amdhsa_user_sgpr_dispatch_id 0
		.amdhsa_user_sgpr_kernarg_preload_length 0
		.amdhsa_user_sgpr_kernarg_preload_offset 0
		.amdhsa_user_sgpr_private_segment_size 0
		.amdhsa_uses_dynamic_stack 0
		.amdhsa_enable_private_segment 0
		.amdhsa_system_sgpr_workgroup_id_x 1
		.amdhsa_system_sgpr_workgroup_id_y 1
		.amdhsa_system_sgpr_workgroup_id_z 0
		.amdhsa_system_sgpr_workgroup_info 0
		.amdhsa_system_vgpr_workitem_id 0
		.amdhsa_next_free_vgpr 132
		.amdhsa_next_free_sgpr 76
		.amdhsa_accum_offset 120
		.amdhsa_reserve_vcc 1
		.amdhsa_float_round_mode_32 0
		.amdhsa_float_round_mode_16_64 0
		.amdhsa_float_denorm_mode_32 3
		.amdhsa_float_denorm_mode_16_64 3
		.amdhsa_dx10_clamp 1
		.amdhsa_ieee_mode 1
		.amdhsa_fp16_overflow 0
		.amdhsa_tg_split 0
		.amdhsa_exception_fp_ieee_invalid_op 0
		.amdhsa_exception_fp_denorm_src 0
		.amdhsa_exception_fp_ieee_div_zero 0
		.amdhsa_exception_fp_ieee_overflow 0
		.amdhsa_exception_fp_ieee_underflow 0
		.amdhsa_exception_fp_ieee_inexact 0
		.amdhsa_exception_int_div_zero 0
	.end_amdhsa_kernel
	.section	.text._ZN12_GLOBAL__N_139chunk_gated_delta_rule_fwd_h_hip_kernelILi16ELb1ELb1ELb1ELb0ELb1ELb1ELb0ELb1EEEvPK12hip_bfloat16S3_S3_PKfS5_PKvPS1_S8_PvPKiSB_iiiiilll,"axG",@progbits,_ZN12_GLOBAL__N_139chunk_gated_delta_rule_fwd_h_hip_kernelILi16ELb1ELb1ELb1ELb0ELb1ELb1ELb0ELb1EEEvPK12hip_bfloat16S3_S3_PKfS5_PKvPS1_S8_PvPKiSB_iiiiilll,comdat
.Lfunc_end537:
	.size	_ZN12_GLOBAL__N_139chunk_gated_delta_rule_fwd_h_hip_kernelILi16ELb1ELb1ELb1ELb0ELb1ELb1ELb0ELb1EEEvPK12hip_bfloat16S3_S3_PKfS5_PKvPS1_S8_PvPKiSB_iiiiilll, .Lfunc_end537-_ZN12_GLOBAL__N_139chunk_gated_delta_rule_fwd_h_hip_kernelILi16ELb1ELb1ELb1ELb0ELb1ELb1ELb0ELb1EEEvPK12hip_bfloat16S3_S3_PKfS5_PKvPS1_S8_PvPKiSB_iiiiilll
                                        ; -- End function
	.section	.AMDGPU.csdata,"",@progbits
; Kernel info:
; codeLenInByte = 8212
; NumSgprs: 82
; NumVgprs: 118
; NumAgprs: 12
; TotalNumVgprs: 132
; ScratchSize: 0
; MemoryBound: 0
; FloatMode: 240
; IeeeMode: 1
; LDSByteSize: 40960 bytes/workgroup (compile time only)
; SGPRBlocks: 10
; VGPRBlocks: 16
; NumSGPRsForWavesPerEU: 82
; NumVGPRsForWavesPerEU: 132
; AccumOffset: 120
; Occupancy: 1
; WaveLimiterHint : 1
; COMPUTE_PGM_RSRC2:SCRATCH_EN: 0
; COMPUTE_PGM_RSRC2:USER_SGPR: 2
; COMPUTE_PGM_RSRC2:TRAP_HANDLER: 0
; COMPUTE_PGM_RSRC2:TGID_X_EN: 1
; COMPUTE_PGM_RSRC2:TGID_Y_EN: 1
; COMPUTE_PGM_RSRC2:TGID_Z_EN: 0
; COMPUTE_PGM_RSRC2:TIDIG_COMP_CNT: 0
; COMPUTE_PGM_RSRC3_GFX90A:ACCUM_OFFSET: 29
; COMPUTE_PGM_RSRC3_GFX90A:TG_SPLIT: 0
	.section	.text._ZN12_GLOBAL__N_139chunk_gated_delta_rule_fwd_h_hip_kernelILi16ELb1ELb1ELb0ELb0ELb1ELb1ELb0ELb1EEEvPK12hip_bfloat16S3_S3_PKfS5_PKvPS1_S8_PvPKiSB_iiiiilll,"axG",@progbits,_ZN12_GLOBAL__N_139chunk_gated_delta_rule_fwd_h_hip_kernelILi16ELb1ELb1ELb0ELb0ELb1ELb1ELb0ELb1EEEvPK12hip_bfloat16S3_S3_PKfS5_PKvPS1_S8_PvPKiSB_iiiiilll,comdat
	.globl	_ZN12_GLOBAL__N_139chunk_gated_delta_rule_fwd_h_hip_kernelILi16ELb1ELb1ELb0ELb0ELb1ELb1ELb0ELb1EEEvPK12hip_bfloat16S3_S3_PKfS5_PKvPS1_S8_PvPKiSB_iiiiilll ; -- Begin function _ZN12_GLOBAL__N_139chunk_gated_delta_rule_fwd_h_hip_kernelILi16ELb1ELb1ELb0ELb0ELb1ELb1ELb0ELb1EEEvPK12hip_bfloat16S3_S3_PKfS5_PKvPS1_S8_PvPKiSB_iiiiilll
	.p2align	8
	.type	_ZN12_GLOBAL__N_139chunk_gated_delta_rule_fwd_h_hip_kernelILi16ELb1ELb1ELb0ELb0ELb1ELb1ELb0ELb1EEEvPK12hip_bfloat16S3_S3_PKfS5_PKvPS1_S8_PvPKiSB_iiiiilll,@function
_ZN12_GLOBAL__N_139chunk_gated_delta_rule_fwd_h_hip_kernelILi16ELb1ELb1ELb0ELb0ELb1ELb1ELb0ELb1EEEvPK12hip_bfloat16S3_S3_PKfS5_PKvPS1_S8_PvPKiSB_iiiiilll: ; @_ZN12_GLOBAL__N_139chunk_gated_delta_rule_fwd_h_hip_kernelILi16ELb1ELb1ELb0ELb0ELb1ELb1ELb0ELb1EEEvPK12hip_bfloat16S3_S3_PKfS5_PKvPS1_S8_PvPKiSB_iiiiilll
; %bb.0:
	s_load_dwordx4 s[12:15], s[0:1], 0x5c
	s_abs_i32 s6, s3
	s_ashr_i32 s5, s3, 31
	s_load_dwordx4 s[16:19], s[0:1], 0x20
	s_load_dwordx2 s[38:39], s[0:1], 0x30
	v_and_b32_e32 v65, 15, v0
	s_waitcnt lgkmcnt(0)
	s_abs_i32 s4, s13
	v_cvt_f32_u32_e32 v1, s4
	s_sub_i32 s8, 0, s4
	s_ashr_i32 s7, s13, 31
	s_xor_b32 s5, s5, s7
	v_rcp_iflag_f32_e32 v1, v1
	v_bfe_u32 v64, v0, 4, 2
	v_mov_b32_e32 v49, 0
	v_lshlrev_b32_e32 v66, 3, v0
	v_mul_f32_e32 v1, 0x4f7ffffe, v1
	v_cvt_u32_f32_e32 v1, v1
	s_nop 0
	v_readfirstlane_b32 s9, v1
	s_mul_i32 s8, s8, s9
	s_mul_hi_u32 s8, s9, s8
	s_add_i32 s9, s9, s8
	s_mul_hi_u32 s8, s6, s9
	s_mul_i32 s9, s8, s4
	s_sub_i32 s6, s6, s9
	s_add_i32 s10, s8, 1
	s_sub_i32 s9, s6, s4
	s_cmp_ge_u32 s6, s4
	s_cselect_b32 s8, s10, s8
	s_cselect_b32 s6, s9, s6
	s_add_i32 s9, s8, 1
	s_cmp_ge_u32 s6, s4
	s_cselect_b32 s6, s9, s8
	s_xor_b32 s6, s6, s5
	s_sub_i32 s57, s6, s5
	s_mul_i32 s6, s57, s13
	s_sub_i32 s33, s3, s6
	s_abs_i32 s3, s14
	v_cvt_f32_u32_e32 v1, s3
	s_add_i32 s8, s12, 63
	s_ashr_i32 s9, s8, 31
	s_lshr_b32 s5, s9, 26
	v_rcp_iflag_f32_e32 v1, v1
	s_ashr_i32 s56, s12, 31
	s_add_i32 s8, s8, s5
	s_lshr_b32 s5, s56, 26
	v_mul_f32_e32 v1, 0x4f7ffffe, v1
	v_cvt_u32_f32_e32 v1, v1
	s_add_i32 s5, s12, s5
	s_ashr_i32 s59, s14, 31
	s_ashr_i32 s24, s8, 6
	;; [unrolled: 1-line block ×3, first 2 shown]
	s_xor_b32 s5, s7, s59
	s_sub_i32 s7, 0, s3
	v_readfirstlane_b32 s8, v1
	s_mul_i32 s7, s7, s8
	s_mul_hi_u32 s7, s8, s7
	s_add_i32 s8, s8, s7
	s_mul_hi_u32 s7, s4, s8
	s_mul_i32 s8, s7, s3
	s_sub_i32 s4, s4, s8
	s_lshl_b32 s2, s2, 4
	s_add_i32 s8, s7, 1
	s_sub_i32 s9, s4, s3
	s_cmp_ge_u32 s4, s3
	s_cselect_b32 s7, s8, s7
	s_cselect_b32 s4, s9, s4
	s_add_i32 s8, s7, 1
	s_cmp_ge_u32 s4, s3
	s_cselect_b32 s3, s8, s7
	s_xor_b32 s3, s3, s5
	s_sub_i32 s3, s3, s5
	s_abs_i32 s4, s3
	v_cvt_f32_u32_e32 v1, s4
	s_sub_i32 s7, 0, s4
	s_abs_i32 s5, s33
	s_xor_b32 s3, s33, s3
	v_rcp_iflag_f32_e32 v2, v1
	s_ashr_i32 s3, s3, 31
	v_lshrrev_b32_e32 v1, 6, v0
	v_or_b32_e32 v58, s2, v65
	v_mul_f32_e32 v2, 0x4f7ffffe, v2
	v_cvt_u32_f32_e32 v2, v2
	v_lshlrev_b32_e32 v45, 4, v1
	v_lshlrev_b32_e32 v46, 7, v58
	v_lshl_or_b32 v68, v64, 2, v45
	v_readfirstlane_b32 s8, v2
	s_mul_i32 s7, s7, s8
	s_mul_hi_u32 s7, s8, s7
	s_add_i32 s8, s8, s7
	s_mul_hi_u32 s7, s5, s8
	s_mul_i32 s8, s7, s4
	s_sub_i32 s5, s5, s8
	s_add_i32 s8, s7, 1
	s_sub_i32 s9, s5, s4
	s_cmp_ge_u32 s5, s4
	s_cselect_b32 s7, s8, s7
	s_cselect_b32 s5, s9, s5
	s_add_i32 s8, s7, 1
	s_cmp_ge_u32 s5, s4
	s_cselect_b32 s4, s8, s7
	s_xor_b32 s4, s4, s3
	s_sub_i32 s60, s4, s3
	s_ashr_i32 s3, s57, 31
	s_ashr_i32 s48, s33, 31
	s_mul_hi_i32 s4, s57, s13
	s_add_u32 s40, s6, s33
	s_addc_u32 s41, s4, s48
	s_lshl_b64 s[28:29], s[40:41], 15
	s_add_u32 s4, s18, s28
	s_addc_u32 s5, s19, s29
	v_ashrrev_i32_e32 v47, 31, v46
	v_lshl_add_u64 v[2:3], v[46:47], 1, s[4:5]
	v_lshlrev_b32_e32 v48, 1, v68
	v_lshl_add_u64 v[2:3], v[2:3], 0, v[48:49]
	global_load_dwordx2 v[4:5], v[2:3], off
	global_load_dwordx2 v[6:7], v[2:3], off offset:128
	s_load_dwordx2 s[18:19], s[0:1], 0x40
	s_load_dwordx8 s[4:11], s[0:1], 0x0
	s_load_dwordx2 s[30:31], s[0:1], 0x80
	s_load_dwordx4 s[20:23], s[0:1], 0x70
	v_and_b32_e32 v49, 63, v0
	v_lshrrev_b32_e32 v67, 3, v49
	v_or_b32_e32 v69, 64, v68
	s_mul_i32 s49, s57, s12
	s_waitcnt lgkmcnt(0)
	s_mul_i32 s50, s57, s21
	s_mul_hi_u32 s51, s57, s20
	s_mul_i32 s36, s57, s20
	s_mul_i32 s61, s57, s24
	;; [unrolled: 1-line block ×3, first 2 shown]
	s_mul_hi_u32 s53, s33, s22
	s_mul_i32 s55, s3, s20
	s_mul_i32 s54, s48, s22
	s_mul_hi_u32 s62, s40, s12
	s_mul_i32 s42, s40, s12
	s_mul_i32 s63, s41, s12
	s_cmp_lt_i32 s12, 64
	s_mul_i32 s34, s33, s22
	s_waitcnt vmcnt(1)
	v_and_b32_e32 v53, 0xffff0000, v4
	v_lshlrev_b32_e32 v52, 16, v4
	v_and_b32_e32 v57, 0xffff0000, v5
	v_lshlrev_b32_e32 v56, 16, v5
	s_waitcnt vmcnt(0)
	v_and_b32_e32 v51, 0xffff0000, v6
	v_lshlrev_b32_e32 v50, 16, v6
	v_and_b32_e32 v55, 0xffff0000, v7
	v_lshlrev_b32_e32 v54, 16, v7
	s_cbranch_scc1 .LBB538_18
; %bb.1:
	s_add_i32 s43, s62, s63
	s_lshl_b64 s[0:1], s[42:43], 8
	v_and_b32_e32 v71, 56, v66
	s_add_u32 s20, s6, s0
	v_lshl_or_b32 v70, v1, 3, v67
	v_lshlrev_b32_e32 v2, 1, v71
	s_addc_u32 s0, s7, s1
	v_lshl_or_b32 v72, v70, 8, v2
	s_and_b32 s21, s0, 0xffff
	s_mov_b32 s23, 0x20000
	s_movk_i32 s22, 0x4000
	s_movk_i32 s0, 0x80
	v_or_b32_e32 v73, 0x2000, v72
	buffer_load_dwordx4 v[4:7], v72, s[20:23], 0 offen
	buffer_load_dwordx4 v[8:11], v72, s[20:23], s0 offen
	;; [unrolled: 1-line block ×4, first 2 shown]
	v_lshlrev_b32_e32 v3, 3, v70
	v_and_or_b32 v21, v0, 7, v3
	v_and_b32_e32 v3, 0x78, v3
	v_lshlrev_b32_e32 v21, 4, v21
	v_xor_b32_e32 v74, v21, v3
	v_mul_lo_u32 v20, v70, s15
	v_or_b32_e32 v75, 0x1000, v74
	v_xor_b32_e32 v3, 8, v74
	s_cmpk_eq_i32 s15, 0x80
	s_mov_b32 s64, s14
	v_xor_b32_e32 v21, 8, v75
	s_cselect_b64 s[0:1], -1, 0
	s_cmpk_lg_i32 s15, 0x80
	s_waitcnt vmcnt(3)
	ds_write_b64 v74, v[4:5] offset:16384
	ds_write_b64 v3, v[6:7] offset:16384
	s_waitcnt vmcnt(2)
	ds_write_b64 v74, v[8:9] offset:24576
	ds_write_b64 v3, v[10:11] offset:24576
	;; [unrolled: 3-line block ×4, first 2 shown]
	v_lshl_add_u32 v3, v20, 1, v71
	s_cbranch_scc0 .LBB538_3
; %bb.2:
	v_lshlrev_b32_e32 v5, 1, v3
	v_add_lshl_u32 v4, v3, s15, 1
	s_lshl_b32 s22, s15, 7
	v_lshl_or_b32 v2, v70, 9, v2
	s_cbranch_execz .LBB538_4
	s_branch .LBB538_5
.LBB538_3:
                                        ; implicit-def: $vgpr4
                                        ; implicit-def: $vgpr5
                                        ; implicit-def: $sgpr22
	v_lshl_or_b32 v2, v70, 9, v2
.LBB538_4:
	v_or_b32_e32 v4, 0x100, v2
	s_movk_i32 s22, 0x4000
	v_mov_b32_e32 v5, v2
.LBB538_5:
	s_mul_hi_u32 s20, s14, s12
	s_mul_i32 s21, s59, s12
	s_add_i32 s20, s20, s21
	s_mul_i32 s21, s14, s12
	s_mul_i32 s23, s21, s3
	s_mul_hi_u32 s24, s21, s57
	s_add_i32 s23, s24, s23
	s_mul_i32 s20, s20, s57
	s_add_i32 s23, s23, s20
	s_mul_i32 s21, s21, s57
	s_ashr_i32 s41, s60, 31
	s_add_u32 s20, s21, s60
	s_addc_u32 s21, s23, s41
	s_lshl_b64 s[20:21], s[20:21], 8
	s_add_u32 s20, s4, s20
	s_addc_u32 s21, s5, s21
	s_and_b32 s21, s21, 0xffff
	s_mov_b32 s23, 0x20000
	s_movk_i32 s65, 0x80
	buffer_load_dwordx4 v[6:9], v5, s[20:23], 0 offen
	buffer_load_dwordx4 v[10:13], v5, s[20:23], s65 offen
	;; [unrolled: 1-line block ×4, first 2 shown]
	v_and_b32_e32 v4, 6, v0
	v_lshlrev_b32_e32 v22, 2, v65
	v_lshlrev_b32_e32 v23, 3, v65
	v_xor_b32_e32 v25, v70, v4
	v_and_b32_e32 v5, 1, v0
	s_mul_i32 s3, s3, s12
	s_mul_hi_u32 s20, s57, s12
	v_lshl_or_b32 v23, v68, 5, v23
	v_xor_b32_e32 v26, v68, v22
	v_lshlrev_b32_e32 v25, 2, v25
	v_or_b32_e32 v76, 0x9000, v23
	v_or_b32_e32 v77, 0x9800, v23
	v_lshlrev_b32_e32 v23, 1, v26
	v_xor_b32_e32 v26, 0x440, v25
	v_cmp_eq_u32_e32 vcc, 0, v5
	s_add_i32 s69, s20, s3
	s_add_i32 s3, s51, s50
	v_cndmask_b32_e32 v5, v26, v25, vcc
	s_add_i32 s20, s53, s52
	s_add_i32 s37, s3, s55
	s_mov_b32 s67, 0x1000504
	v_lshlrev_b32_e32 v24, 8, v65
	s_mov_b32 s22, 0x8000
	v_xor_b32_e32 v22, v69, v22
	v_lshl_or_b32 v4, v4, 10, v5
	s_add_i32 s35, s20, s54
	s_lshl_b64 s[20:21], s[36:37], 2
	s_mov_b32 s68, 0x3020706
	v_lshlrev_b32_e32 v22, 1, v22
	v_or3_b32 v78, v23, v24, s22
	v_xor_b32_e32 v5, 8, v4
	v_xor_b32_e32 v23, 24, v4
	;; [unrolled: 1-line block ×4, first 2 shown]
	s_add_u32 s3, s10, s20
	v_or3_b32 v79, v22, v24, s22
	v_xor_b32_e32 v22, 16, v4
	v_xor_b32_e32 v24, 32, v4
	v_xor_b32_e32 v26, 48, v4
	v_add_u32_e32 v5, 0x80, v5
	v_add_u32_e32 v23, 0x80, v23
	v_add_u32_e32 v25, 0x80, v25
	v_add_u32_e32 v27, 0x80, v27
	s_addc_u32 s24, s11, s21
	s_lshl_b64 s[20:21], s[34:35], 2
	s_add_u32 s44, s3, s20
	s_movk_i32 s3, 0xf8
	s_addc_u32 s45, s24, s21
	v_ashrrev_i32_e32 v59, 31, v58
	s_lshl_b32 s26, s15, 7
	s_mov_b32 s66, 0
	s_mov_b32 s35, 0x7060302
	s_mov_b32 s70, 0
	s_waitcnt vmcnt(1)
	v_perm_b32 v28, v6, v14, s67
	s_waitcnt vmcnt(0)
	v_perm_b32 v29, v10, v18, s67
	v_perm_b32 v6, v6, v14, s68
	;; [unrolled: 1-line block ×15, first 2 shown]
	ds_write2st64_b32 v4, v28, v29 offset1:32
	ds_write2st64_b32 v5, v6, v10 offset1:32
	ds_write2st64_b32 v22, v14, v18 offset0:1 offset1:33
	ds_write2st64_b32 v23, v7, v11 offset0:1 offset1:33
	ds_write2st64_b32 v24, v15, v19 offset0:2 offset1:34
	ds_write2st64_b32 v25, v8, v12 offset0:2 offset1:34
	ds_write2st64_b32 v26, v16, v20 offset0:3 offset1:35
	ds_write2st64_b32 v27, v9, v13 offset0:3 offset1:35
	v_or_b32_e32 v4, v45, v65
	v_lshlrev_b32_e32 v4, 3, v4
	v_lshrrev_b32_e32 v6, 5, v49
	v_and_or_b32 v6, v4, s3, v6
	v_lshlrev_b32_e32 v6, 4, v6
	v_lshrrev_b32_e32 v5, 2, v49
	v_lshlrev_b32_e32 v11, 11, v1
	v_and_b32_e32 v4, 0x78, v4
	v_or_b32_e32 v9, 32, v6
	v_and_b32_e32 v10, 12, v5
	v_and_b32_e32 v5, 0x1000, v11
	v_xor_b32_e32 v7, v6, v4
	v_lshrrev_b32_e32 v8, 1, v49
	v_xor_b32_e32 v9, v9, v4
	v_or_b32_e32 v7, v7, v5
	v_and_b32_e32 v8, 8, v8
	v_or_b32_e32 v9, v9, v5
	v_xor_b32_e32 v80, v7, v8
	v_and_b32_e32 v7, 0x78, v66
	v_xor_b32_e32 v82, v9, v8
	v_or_b32_e32 v9, 64, v6
	v_or_b32_e32 v6, 0x60, v6
	v_lshl_or_b32 v7, v64, 7, v7
	v_xor_b32_e32 v9, v9, v4
	v_xor_b32_e32 v4, v6, v4
	v_or_b32_e32 v81, 0x9000, v7
	v_or_b32_e32 v9, v9, v5
	;; [unrolled: 1-line block ×4, first 2 shown]
	v_lshrrev_b32_e32 v6, 4, v0
	v_lshlrev_b32_e32 v7, 1, v65
	v_xor_b32_e32 v83, v9, v8
	v_xor_b32_e32 v84, v4, v8
	s_ashr_i32 s3, s2, 31
	v_or_b32_e32 v8, 1, v7
	v_xor_b32_e32 v7, v6, v7
	s_lshl_b64 s[20:21], s[2:3], 8
	v_xor_b32_e32 v8, v8, v6
	v_lshlrev_b32_e32 v7, 3, v7
	v_lshlrev_b32_e32 v6, 8, v6
	v_lshl_add_u64 v[4:5], v[58:59], 1, s[8:9]
	s_add_u32 s20, s38, s20
	v_or3_b32 v59, v7, v6, s22
	v_lshlrev_b32_e32 v7, 3, v8
	s_addc_u32 s21, s39, s21
	v_or3_b32 v86, v7, v6, s22
	v_mov_b32_e32 v7, 0
	v_lshrrev_b32_e32 v17, 1, v0
	v_lshl_add_u64 v[8:9], s[20:21], 0, v[6:7]
	v_lshlrev_b32_e32 v6, 4, v65
	s_movk_i32 s3, 0xff
	v_lshlrev_b32_e32 v16, 3, v1
	v_and_b32_e32 v17, 24, v17
	v_lshl_add_u64 v[60:61], v[8:9], 0, v[6:7]
	v_and_b32_e32 v6, 7, v0
	v_and_b32_e32 v9, 8, v0
	v_cmp_lt_u32_e32 vcc, s3, v0
	v_xor_b32_e32 v18, v16, v17
	v_lshlrev_b32_e32 v14, 3, v6
	v_lshlrev_b32_e32 v15, 7, v6
	v_cndmask_b32_e64 v6, 0, 1, vcc
	v_or_b32_e32 v19, 0x440, v18
	v_cmp_eq_u32_e32 vcc, 0, v9
	v_or_b32_e32 v21, 64, v17
	v_xor_b32_e32 v21, v16, v21
	v_cndmask_b32_e32 v9, v19, v18, vcc
	v_or_b32_e32 v19, 32, v17
	v_or_b32_e32 v17, 0x60, v17
	v_xor_b32_e32 v19, v16, v19
	v_xor_b32_e32 v16, v16, v17
	v_or_b32_e32 v20, 0x440, v19
	v_xor_b32_e32 v22, 0x440, v21
	v_xor_b32_e32 v17, 0x440, v16
	v_cndmask_b32_e32 v19, v20, v19, vcc
	v_cndmask_b32_e32 v21, v22, v21, vcc
	;; [unrolled: 1-line block ×3, first 2 shown]
	v_or_b32_e32 v9, v9, v11
	v_or_b32_e32 v19, v19, v11
	;; [unrolled: 1-line block ×4, first 2 shown]
	v_lshlrev_b32_e32 v6, 13, v6
	v_xor_b32_e32 v9, v9, v14
	v_xor_b32_e32 v19, v19, v14
	;; [unrolled: 1-line block ×4, first 2 shown]
	v_lshlrev_b32_e32 v12, 1, v3
	v_add_lshl_u32 v3, v3, s15, 1
	v_or_b32_e32 v13, 0x100, v2
	v_or_b32_e32 v8, v10, v45
	v_add_u32_e32 v18, v6, v9
	v_add_u32_e32 v20, v6, v19
	;; [unrolled: 1-line block ×4, first 2 shown]
	v_or3_b32 v10, v45, v10, 64
	v_add_u32_e32 v9, 0x2000, v9
	v_add_u32_e32 v16, 0x2000, v19
	;; [unrolled: 1-line block ×4, first 2 shown]
	v_lshlrev_b32_e32 v6, 8, v68
	v_cndmask_b32_e64 v87, v12, v2, s[0:1]
	v_cndmask_b32_e64 v88, v3, v13, s[0:1]
	v_lshl_add_u64 v[62:63], v[4:5], 0, v[6:7]
	s_add_i32 s3, s49, 63
	s_movk_i32 s22, 0x4000
	v_lshlrev_b32_e32 v89, 2, v8
	v_add_u32_e32 v90, v18, v15
	v_add_u32_e32 v91, v20, v15
	;; [unrolled: 1-line block ×4, first 2 shown]
	v_lshlrev_b32_e32 v94, 2, v10
	v_add_u32_e32 v95, v9, v15
	v_add_u32_e32 v96, v16, v15
	v_add_u32_e32 v97, v17, v15
	v_add_u32_e32 v98, v11, v15
	s_waitcnt lgkmcnt(0)
	s_barrier
.LBB538_6:                              ; =>This Inner Loop Header: Depth=1
	s_add_i32 s37, s70, 1
	s_cmp_lt_i32 s37, s58
	s_mov_b64 s[24:25], 0
	s_cselect_b64 s[46:47], -1, 0
	s_cmp_ge_i32 s37, s58
	s_mov_b64 s[20:21], 0
	s_cbranch_scc1 .LBB538_8
; %bb.7:                                ;   in Loop: Header=BB538_6 Depth=1
	s_add_i32 s0, s66, 64
	s_add_u32 s0, s42, s0
	s_addc_u32 s1, s43, 0
	s_lshl_b64 s[0:1], s[0:1], 8
	s_add_u32 s20, s6, s0
	s_addc_u32 s21, s7, s1
.LBB538_8:                              ;   in Loop: Header=BB538_6 Depth=1
	v_cndmask_b32_e64 v2, 0, 1, s[46:47]
	v_cmp_ne_u32_e64 s[0:1], 1, v2
	s_andn2_b64 vcc, exec, s[46:47]
	s_cbranch_vccnz .LBB538_10
; %bb.9:                                ;   in Loop: Header=BB538_6 Depth=1
	s_add_i32 s24, s66, 64
	s_add_u32 s24, s49, s24
	s_addc_u32 s25, s69, 0
	s_mul_i32 s27, s24, s59
	s_mul_hi_u32 s46, s24, s64
	s_add_i32 s27, s46, s27
	s_mul_i32 s25, s25, s64
	s_add_i32 s27, s27, s25
	s_mul_i32 s24, s24, s64
	s_add_u32 s24, s24, s60
	s_addc_u32 s25, s27, s41
	s_lshl_b64 s[24:25], s[24:25], 8
	s_add_u32 s24, s4, s24
	s_addc_u32 s25, s5, s25
.LBB538_10:                             ;   in Loop: Header=BB538_6 Depth=1
	v_perm_b32 v3, v57, v56, s35
	v_perm_b32 v2, v53, v52, s35
	;; [unrolled: 1-line block ×4, first 2 shown]
	ds_write_b64 v76, v[2:3]
	ds_write_b64 v77, v[4:5]
	;; [unrolled: 1-line block ×4, first 2 shown]
	s_waitcnt lgkmcnt(0)
	s_barrier
	ds_read_b64 v[10:11], v80 offset:16384
	ds_read_b64 v[12:13], v82 offset:16384
	ds_read2st64_b64 v[2:5], v81 offset1:1
	ds_read2st64_b64 v[6:9], v81 offset0:2 offset1:3
	ds_read_b64 v[14:15], v83 offset:16384
	s_waitcnt lgkmcnt(2)
	v_mfma_f32_16x16x16_bf16 a[0:3], v[10:11], v[2:3], 0
	ds_read_b64 v[2:3], v84 offset:16384
	s_add_i32 s27, s66, 63
	s_mul_i32 s46, s27, s31
	v_mfma_f32_16x16x16_bf16 a[0:3], v[12:13], v[4:5], a[0:3]
	s_mul_hi_u32 s47, s27, s30
	s_add_i32 s47, s47, s46
	s_mul_i32 s46, s27, s30
	s_waitcnt lgkmcnt(1)
	v_mfma_f32_16x16x16_bf16 a[0:3], v[14:15], v[6:7], a[0:3]
	s_lshl_b64 s[46:47], s[46:47], 2
	s_add_u32 s46, s44, s46
	s_addc_u32 s47, s45, s47
	s_waitcnt lgkmcnt(0)
	v_mfma_f32_16x16x16_bf16 a[0:3], v[2:3], v[8:9], a[0:3]
	s_and_b64 vcc, exec, s[0:1]
	v_mov_b32_e32 v101, 0
	v_mov_b32_e32 v100, 0
	;; [unrolled: 1-line block ×19, first 2 shown]
	s_cbranch_vccnz .LBB538_12
; %bb.11:                               ;   in Loop: Header=BB538_6 Depth=1
	s_and_b32 s21, s21, 0xffff
	buffer_load_dwordx4 v[14:17], v72, s[20:23], 0 offen
	buffer_load_dwordx4 v[10:13], v72, s[20:23], s65 offen
	;; [unrolled: 1-line block ×4, first 2 shown]
	v_mov_b32_e32 v100, v74
	v_mov_b32_e32 v99, v75
.LBB538_12:                             ;   in Loop: Header=BB538_6 Depth=1
	v_add_u32_e32 v24, s66, v68
	v_ashrrev_i32_e32 v18, 31, v24
	v_mul_lo_u32 v20, v18, s30
	v_mul_lo_u32 v21, v24, s31
	v_mad_u64_u32 v[18:19], s[20:21], v24, s30, 0
	v_add3_u32 v19, v19, v21, v20
	v_add_u32_e32 v20, 1, v24
	v_ashrrev_i32_e32 v21, 31, v20
	v_mul_lo_u32 v22, v21, s30
	v_mul_lo_u32 v23, v20, s31
	v_mad_u64_u32 v[20:21], s[20:21], v20, s30, 0
	v_add3_u32 v21, v21, v23, v22
	v_add_u32_e32 v22, 2, v24
	v_ashrrev_i32_e32 v23, 31, v22
	v_mul_lo_u32 v25, v23, s30
	v_mul_lo_u32 v26, v22, s31
	v_mad_u64_u32 v[22:23], s[20:21], v22, s30, 0
	v_add_u32_e32 v24, 3, v24
	v_add3_u32 v23, v23, v26, v25
	v_ashrrev_i32_e32 v25, 31, v24
	v_mul_lo_u32 v28, v25, s30
	v_mul_lo_u32 v29, v24, s31
	v_mad_u64_u32 v[24:25], s[20:21], v24, s30, 0
	s_add_u32 s20, s42, s66
	s_addc_u32 s21, s43, 0
	s_lshl_b64 s[20:21], s[20:21], 8
	v_lshl_add_u64 v[18:19], v[18:19], 2, s[44:45]
	v_lshl_add_u64 v[26:27], v[62:63], 0, s[20:21]
	;; [unrolled: 1-line block ×3, first 2 shown]
	global_load_ushort v42, v[26:27], off
	global_load_ushort v43, v[26:27], off offset:256
	global_load_ushort v44, v[26:27], off offset:512
	;; [unrolled: 1-line block ×3, first 2 shown]
	v_add3_u32 v25, v25, v29, v28
	global_load_dword v104, v[18:19], off
	v_lshl_add_u64 v[22:23], v[22:23], 2, s[44:45]
	v_lshl_add_u64 v[18:19], v[24:25], 2, s[44:45]
	global_load_dword v105, v[20:21], off
	global_load_dword v106, v[22:23], off
	;; [unrolled: 1-line block ×3, first 2 shown]
	s_load_dword s20, s[46:47], 0x0
	ds_read2st64_b64 v[26:29], v85 offset1:1
	ds_read2st64_b64 v[32:35], v85 offset0:2 offset1:3
	ds_read_b64 v[30:31], v80 offset:24576
	ds_read_b64 v[36:37], v82 offset:24576
	;; [unrolled: 1-line block ×4, first 2 shown]
	s_waitcnt lgkmcnt(0)
	v_mfma_f32_16x16x16_bf16 a[0:3], v[30:31], v[26:27], a[0:3]
	v_mov_b32_e32 v102, 0
	v_mov_b32_e32 v18, 0
	v_mov_b32_e32 v19, 0
	v_mfma_f32_16x16x16_bf16 a[0:3], v[36:37], v[28:29], a[0:3]
	v_mov_b32_e32 v20, 0
	v_mov_b32_e32 v21, 0
	v_mov_b32_e32 v22, 0
	;; [unrolled: 4-line block ×4, first 2 shown]
	v_mov_b32_e32 v29, 0
	v_mov_b32_e32 v30, 0
	;; [unrolled: 1-line block ×4, first 2 shown]
	v_accvgpr_read_b32 v37, a1
	v_accvgpr_read_b32 v35, a3
	;; [unrolled: 1-line block ×4, first 2 shown]
	s_and_b64 vcc, exec, s[0:1]
	s_waitcnt vmcnt(7)
	v_lshlrev_b32_e32 v38, 16, v42
	s_waitcnt vmcnt(6)
	v_lshlrev_b32_e32 v39, 16, v43
	;; [unrolled: 2-line block ×4, first 2 shown]
	v_pk_add_f32 v[36:37], v[38:39], v[36:37] neg_lo:[0,1] neg_hi:[0,1]
	s_waitcnt vmcnt(3)
	v_sub_f32_e32 v33, s20, v104
	v_exp_f32_e32 v42, v33
	s_waitcnt vmcnt(2)
	v_sub_f32_e32 v33, s20, v105
	s_waitcnt vmcnt(1)
	v_sub_f32_e32 v44, s20, v106
	s_waitcnt vmcnt(0)
	v_sub_f32_e32 v103, s20, v107
	v_exp_f32_e32 v43, v33
	v_exp_f32_e32 v104, v44
	v_exp_f32_e32 v105, v103
	v_pk_add_f32 v[34:35], v[40:41], v[34:35] neg_lo:[0,1] neg_hi:[0,1]
	v_pk_mul_f32 v[36:37], v[42:43], v[36:37]
	v_mov_b32_e32 v33, 0
	v_pk_mul_f32 v[34:35], v[104:105], v[34:35]
	s_nop 0
	v_perm_b32 v35, v35, v34, s35
	v_perm_b32 v34, v37, v36, s35
	ds_write_b64 v77, v[34:35]
	s_cbranch_vccnz .LBB538_14
; %bb.13:                               ;   in Loop: Header=BB538_6 Depth=1
	s_and_b32 s25, s25, 0xffff
	s_mov_b32 s27, s23
	buffer_load_dwordx4 v[30:33], v87, s[24:27], 0 offen
	buffer_load_dwordx4 v[22:25], v87, s[24:27], s65 offen
	;; [unrolled: 1-line block ×4, first 2 shown]
	v_mov_b32_e32 v101, v71
	v_mov_b32_e32 v102, v70
.LBB538_14:                             ;   in Loop: Header=BB538_6 Depth=1
	s_waitcnt lgkmcnt(0)
	s_barrier
	ds_read_b64 v[34:35], v90
	ds_read_b64 v[40:41], v91
	ds_read2st64_b64 v[36:39], v85 offset1:1
	ds_read2st64_b64 v[104:107], v85 offset0:2 offset1:3
	ds_read_b64 v[42:43], v92
	ds_read_b64 v[112:113], v93
	s_add_i32 s21, s61, s70
	s_mul_hi_i32 s25, s21, s13
	s_mul_i32 s21, s21, s13
	s_waitcnt lgkmcnt(3)
	v_mfma_f32_16x16x16_bf16 a[0:3], v[34:35], v[36:37], 0
	ds_read_b64 v[34:35], v95
	s_add_u32 s24, s21, s33
	s_addc_u32 s25, s25, s48
	s_add_i32 s21, s3, s66
	v_mfma_f32_16x16x16_bf16 a[0:3], v[40:41], v[38:39], a[0:3]
	ds_read_b64 v[40:41], v96
	s_lshl_b64 s[24:25], s[24:25], 15
	s_mul_hi_i32 s27, s21, s13
	s_mul_i32 s21, s21, s13
	s_add_u32 s46, s21, s33
	s_addc_u32 s47, s27, s48
	s_lshl_b64 s[46:47], s[46:47], 9
	s_add_u32 s46, s16, s46
	s_waitcnt lgkmcnt(1)
	v_mfma_f32_16x16x16_bf16 a[4:7], v[34:35], v[36:37], 0
	s_addc_u32 s47, s17, s47
	s_and_b64 vcc, exec, s[0:1]
	v_mfma_f32_16x16x16_bf16 a[0:3], v[42:43], v[104:105], a[0:3]
	ds_read_b64 v[42:43], v97
	ds_read_b64 v[114:115], v98
	global_load_dwordx4 v[34:37], v94, s[46:47]
	s_waitcnt lgkmcnt(2)
	v_mfma_f32_16x16x16_bf16 a[4:7], v[40:41], v[38:39], a[4:7]
	global_load_dwordx4 v[38:41], v89, s[46:47]
	ds_read_b64 v[108:109], v59
	ds_read_b64 v[110:111], v86
	s_waitcnt lgkmcnt(3)
	v_mfma_f32_16x16x16_bf16 a[8:11], v[42:43], v[104:105], a[4:7]
	v_lshl_add_u64 v[42:43], v[60:61], 0, s[24:25]
	s_waitcnt lgkmcnt(0)
	global_store_dwordx4 v[42:43], v[108:111], off
	v_mfma_f32_16x16x16_bf16 a[4:7], v[112:113], v[106:107], a[0:3]
	s_waitcnt vmcnt(2)
	v_mov_b32_e32 v44, v37
	v_mfma_f32_16x16x16_bf16 a[0:3], v[114:115], v[106:107], a[8:11]
	v_mov_b32_e32 v43, v36
	v_mov_b32_e32 v42, v35
	s_cbranch_vccnz .LBB538_16
; %bb.15:                               ;   in Loop: Header=BB538_6 Depth=1
	v_lshrrev_b32_e32 v35, 3, v101
	v_and_b32_e32 v35, 6, v35
	v_xor_b32_e32 v36, v35, v102
	v_lshlrev_b32_e32 v36, 2, v36
	v_and_b32_e32 v37, 8, v101
	v_xor_b32_e32 v101, 0x440, v36
	v_cmp_eq_u32_e32 vcc, 0, v37
	v_perm_b32 v37, v22, v18, s67
	s_nop 0
	v_cndmask_b32_e32 v36, v101, v36, vcc
	v_lshl_or_b32 v35, v35, 10, v36
	v_perm_b32 v36, v30, v26, s67
	s_barrier
	ds_write2st64_b32 v35, v36, v37 offset1:32
	v_xor_b32_e32 v36, 8, v35
	v_perm_b32 v26, v30, v26, s68
	v_perm_b32 v18, v22, v18, s68
	v_add_u32_e32 v22, 0x80, v36
	ds_write2st64_b32 v22, v26, v18 offset1:32
	v_xor_b32_e32 v18, 16, v35
	v_perm_b32 v22, v31, v27, s67
	v_perm_b32 v26, v23, v19, s67
	ds_write2st64_b32 v18, v22, v26 offset0:1 offset1:33
	v_xor_b32_e32 v18, 24, v35
	v_perm_b32 v22, v31, v27, s68
	v_perm_b32 v19, v23, v19, s68
	v_add_u32_e32 v18, 0x80, v18
	ds_write2st64_b32 v18, v22, v19 offset0:1 offset1:33
	v_xor_b32_e32 v18, 32, v35
	v_perm_b32 v19, v32, v28, s67
	v_perm_b32 v22, v24, v20, s67
	ds_write2st64_b32 v18, v19, v22 offset0:2 offset1:34
	v_xor_b32_e32 v18, 40, v35
	v_perm_b32 v19, v32, v28, s68
	v_perm_b32 v20, v24, v20, s68
	v_add_u32_e32 v18, 0x80, v18
	ds_write2st64_b32 v18, v19, v20 offset0:2 offset1:34
	;; [unrolled: 9-line block ×3, first 2 shown]
	ds_write_b64 v100, v[14:15] offset:16384
	v_xor_b32_e32 v14, 8, v100
	ds_write_b64 v14, v[16:17] offset:16384
	ds_write_b64 v100, v[10:11] offset:24576
	;; [unrolled: 1-line block ×4, first 2 shown]
	v_xor_b32_e32 v6, 8, v99
	ds_write_b64 v6, v[8:9] offset:16384
	ds_write_b64 v99, v[2:3] offset:24576
	;; [unrolled: 1-line block ×3, first 2 shown]
.LBB538_16:                             ;   in Loop: Header=BB538_6 Depth=1
	v_exp_f32_e32 v10, s20
	s_waitcnt vmcnt(1)
	v_exp_f32_e32 v12, v38
	v_exp_f32_e32 v13, v39
	;; [unrolled: 1-line block ×4, first 2 shown]
	v_accvgpr_read_b32 v2, a4
	v_accvgpr_read_b32 v3, a5
	v_pk_mul_f32 v[12:13], v[10:11], v[12:13] op_sel_hi:[0,1]
	v_pk_fma_f32 v[52:53], v[52:53], v[12:13], v[2:3]
	v_exp_f32_e32 v12, v34
	v_exp_f32_e32 v13, v42
	v_pk_mul_f32 v[2:3], v[10:11], v[14:15] op_sel_hi:[0,1]
	v_exp_f32_e32 v14, v43
	v_exp_f32_e32 v15, v44
	v_accvgpr_read_b32 v4, a6
	v_accvgpr_read_b32 v5, a7
	;; [unrolled: 1-line block ×5, first 2 shown]
	v_pk_fma_f32 v[56:57], v[56:57], v[2:3], v[4:5]
	v_pk_mul_f32 v[2:3], v[10:11], v[12:13] op_sel_hi:[0,1]
	v_accvgpr_read_b32 v8, a2
	v_pk_fma_f32 v[50:51], v[50:51], v[2:3], v[6:7]
	v_pk_mul_f32 v[2:3], v[10:11], v[14:15] op_sel_hi:[0,1]
	s_add_i32 s66, s66, 64
	s_cmp_eq_u32 s58, s37
	v_pk_fma_f32 v[54:55], v[54:55], v[2:3], v[8:9]
	s_cbranch_scc1 .LBB538_18
; %bb.17:                               ;   in Loop: Header=BB538_6 Depth=1
	s_mov_b32 s70, s37
	s_branch .LBB538_6
.LBB538_18:
	s_lshl_b32 s41, s58, 6
	s_sub_i32 s43, s12, s41
	s_cmp_gt_i32 s43, 0
	s_cbranch_scc0 .LBB538_75
; %bb.19:
	s_ashr_i32 s3, s41, 31
	s_cmpk_lg_i32 s15, 0x80
	s_cselect_b64 s[26:27], -1, 0
	s_and_b64 vcc, exec, s[26:27]
	s_cbranch_vccz .LBB538_21
; %bb.20:
	s_mul_hi_i32 s0, s57, s12
	s_add_u32 s1, s49, s41
	s_addc_u32 s0, s0, s3
	s_mul_i32 s20, s1, s59
	s_mul_hi_u32 s21, s1, s14
	s_add_i32 s20, s21, s20
	s_mul_i32 s0, s0, s14
	s_add_i32 s20, s20, s0
	s_mul_i32 s1, s1, s14
	s_ashr_i32 s0, s60, 31
	s_add_u32 s44, s1, s60
	s_addc_u32 s45, s20, s0
	s_cbranch_execz .LBB538_22
	s_branch .LBB538_23
.LBB538_21:
                                        ; implicit-def: $sgpr44_sgpr45
.LBB538_22:
	s_mul_hi_i32 s0, s57, s14
	s_mul_i32 s57, s57, s14
	s_ashr_i32 s1, s60, 31
	s_add_u32 s14, s57, s60
	s_addc_u32 s0, s0, s1
	s_mul_i32 s1, s14, s56
	s_mul_hi_u32 s20, s14, s12
	s_add_i32 s1, s20, s1
	s_mul_i32 s0, s0, s12
	s_add_i32 s1, s1, s0
	s_mul_i32 s14, s14, s12
	s_add_u32 s44, s14, s41
	s_addc_u32 s45, s1, s3
.LBB538_23:
	s_mul_i32 s0, s40, s56
	s_add_i32 s0, s62, s0
	s_add_i32 s14, s61, s58
	;; [unrolled: 1-line block ×3, first 2 shown]
	s_add_u32 s0, s42, s41
	s_addc_u32 s1, s1, s3
	s_mov_b32 s3, 0x7060302
	v_lshlrev_b32_e32 v6, 3, v65
	s_lshl_b64 s[24:25], s[0:1], 8
	v_perm_b32 v3, v57, v56, s3
	v_perm_b32 v2, v53, v52, s3
	;; [unrolled: 1-line block ×4, first 2 shown]
	v_lshlrev_b32_e32 v34, 2, v65
	v_lshl_or_b32 v6, v68, 5, v6
	s_add_u32 s0, s6, s24
	ds_write2st64_b64 v6, v[2:3], v[4:5] offset0:72 offset1:76
	v_xor_b32_e32 v6, v68, v34
	v_lshlrev_b32_e32 v7, 8, v65
	s_addc_u32 s1, s7, s25
	v_lshl_or_b32 v6, v6, 1, v7
	s_mul_hi_i32 s3, s14, s13
	s_mul_i32 s14, s14, s13
	ds_write_b64 v6, v[2:3] offset:32768
	v_xor_b32_e32 v2, v69, v34
	s_add_u32 s6, s14, s33
	v_lshl_or_b32 v2, v2, 1, v7
	s_addc_u32 s7, s3, s48
	v_lshlrev_b32_e32 v3, 1, v65
	ds_write_b64 v2, v[4:5] offset:32768
	v_lshrrev_b32_e32 v2, 4, v0
	s_ashr_i32 s3, s2, 31
	s_lshl_b64 s[6:7], s[6:7], 15
	v_or_b32_e32 v4, 1, v3
	s_add_u32 s6, s38, s6
	v_xor_b32_e32 v3, v2, v3
	v_xor_b32_e32 v4, v4, v2
	v_lshlrev_b32_e32 v6, 8, v2
	s_addc_u32 s7, s39, s7
	s_lshl_b64 s[2:3], s[2:3], 8
	v_lshl_or_b32 v2, v3, 3, v6
	v_lshl_or_b32 v4, v4, 3, v6
	s_waitcnt lgkmcnt(0)
	s_barrier
	s_add_u32 s2, s6, s2
	ds_read_b64 v[2:3], v2 offset:32768
	ds_read_b64 v[4:5], v4 offset:32768
	s_addc_u32 s3, s7, s3
	v_mov_b32_e32 v7, 0
	s_cmp_lg_u32 s43, 64
	v_lshl_add_u64 v[8:9], s[2:3], 0, v[6:7]
	v_lshlrev_b32_e32 v6, 4, v65
	s_cselect_b64 s[6:7], -1, 0
	v_lshl_or_b32 v36, v1, 3, v67
	s_mov_b32 s20, 0
	v_lshl_add_u64 v[6:7], v[8:9], 0, v[6:7]
	v_or_b32_e32 v19, 32, v36
	v_and_b32_e32 v18, 56, v66
	s_and_b64 vcc, exec, s[6:7]
	s_waitcnt lgkmcnt(0)
	global_store_dwordx4 v[6:7], v[2:5], off
	s_cbranch_vccz .LBB538_29
; %bb.24:
	s_mov_b32 s21, s20
	s_mov_b32 s22, s20
	;; [unrolled: 1-line block ×3, first 2 shown]
	v_mov_b64_e32 v[6:7], s[20:21]
	v_mov_b64_e32 v[8:9], s[22:23]
	v_mov_b64_e32 v[2:3], v[6:7]
	v_cmp_gt_i32_e32 vcc, s43, v36
	v_mov_b64_e32 v[4:5], v[8:9]
	s_and_saveexec_b64 s[2:3], vcc
	s_cbranch_execz .LBB538_26
; %bb.25:
	v_lshlrev_b32_e32 v2, 8, v36
	v_mov_b32_e32 v3, 0
	v_lshl_add_u64 v[4:5], s[0:1], 0, v[2:3]
	v_lshlrev_b32_e32 v2, 1, v18
	v_lshl_add_u64 v[10:11], v[4:5], 0, v[2:3]
	global_load_dwordx4 v[6:9], v[10:11], off
	global_load_dwordx4 v[2:5], v[10:11], off offset:128
.LBB538_26:
	s_or_b64 exec, exec, s[2:3]
	s_mov_b32 s21, s20
	s_mov_b32 s22, s20
	;; [unrolled: 1-line block ×3, first 2 shown]
	v_mov_b64_e32 v[14:15], s[20:21]
	v_mov_b64_e32 v[16:17], s[22:23]
	;; [unrolled: 1-line block ×3, first 2 shown]
	v_cmp_gt_i32_e32 vcc, s43, v19
	v_lshlrev_b32_e32 v20, 7, v19
	v_mov_b64_e32 v[12:13], v[16:17]
	s_and_saveexec_b64 s[2:3], vcc
	s_cbranch_execz .LBB538_28
; %bb.27:
	v_lshlrev_b32_e32 v10, 1, v20
	v_mov_b32_e32 v11, 0
	v_lshl_add_u64 v[12:13], s[0:1], 0, v[10:11]
	v_lshlrev_b32_e32 v10, 1, v18
	v_lshl_add_u64 v[22:23], v[12:13], 0, v[10:11]
	global_load_dwordx4 v[14:17], v[22:23], off
	global_load_dwordx4 v[10:13], v[22:23], off offset:128
.LBB538_28:
	s_or_b64 exec, exec, s[2:3]
	v_lshrrev_b32_e32 v21, 3, v18
	v_lshlrev_b32_e32 v22, 3, v36
	v_or_b32_e32 v21, v22, v21
	v_lshlrev_b32_e32 v21, 4, v21
	v_and_b32_e32 v22, 0x78, v22
	v_xor_b32_e32 v21, v21, v22
	s_branch .LBB538_31
.LBB538_29:
                                        ; implicit-def: $vgpr21
                                        ; implicit-def: $vgpr20
                                        ; implicit-def: $vgpr6_vgpr7_vgpr8_vgpr9
                                        ; implicit-def: $vgpr2_vgpr3_vgpr4_vgpr5
                                        ; implicit-def: $vgpr14_vgpr15_vgpr16_vgpr17
                                        ; implicit-def: $vgpr10_vgpr11_vgpr12_vgpr13
	s_cbranch_execz .LBB538_31
; %bb.30:
	s_waitcnt vmcnt(0)
	v_lshlrev_b32_e32 v2, 1, v18
	v_lshl_or_b32 v20, v36, 8, v2
	s_and_b32 s1, s1, 0xffff
	s_mov_b32 s3, 0x20000
	s_movk_i32 s2, 0x4000
	v_lshl_or_b32 v21, v19, 8, v2
	s_movk_i32 s14, 0x80
	buffer_load_dwordx4 v[6:9], v20, s[0:3], 0 offen
	buffer_load_dwordx4 v[2:5], v20, s[0:3], s14 offen
	;; [unrolled: 1-line block ×4, first 2 shown]
	v_lshrrev_b32_e32 v20, 3, v18
	v_lshlrev_b32_e32 v21, 3, v36
	v_or_b32_e32 v20, v21, v20
	v_lshlrev_b32_e32 v20, 4, v20
	v_and_b32_e32 v21, 0x78, v21
	v_xor_b32_e32 v21, v20, v21
	v_lshlrev_b32_e32 v20, 7, v19
.LBB538_31:
	s_lshl_b64 s[0:1], s[44:45], 8
	s_add_u32 s4, s4, s0
	s_movk_i32 s0, 0x1000
	v_and_or_b32 v19, v20, s0, v21
	s_waitcnt vmcnt(1)
	ds_write_b64 v21, v[6:7] offset:16384
	v_xor_b32_e32 v6, 8, v21
	ds_write_b64 v6, v[8:9] offset:16384
	s_waitcnt vmcnt(0)
	ds_write_b64 v21, v[2:3] offset:24576
	ds_write_b64 v6, v[4:5] offset:24576
	;; [unrolled: 1-line block ×3, first 2 shown]
	v_xor_b32_e32 v2, 8, v19
	ds_write_b64 v2, v[16:17] offset:16384
	ds_write_b64 v19, v[10:11] offset:24576
	;; [unrolled: 1-line block ×3, first 2 shown]
	v_or_b32_e32 v2, v45, v65
	s_addc_u32 s5, s5, s1
	s_add_i32 s14, s12, -1
	v_lshlrev_b32_e32 v2, 3, v2
	v_lshrrev_b32_e32 v4, 5, v49
	s_movk_i32 s12, 0xf8
	v_and_or_b32 v4, v2, s12, v4
	v_lshlrev_b32_e32 v35, 11, v1
	v_lshlrev_b32_e32 v12, 4, v4
	v_and_b32_e32 v13, 0x78, v2
	v_and_b32_e32 v14, 0x1000, v35
	v_lshlrev_b32_e32 v3, 2, v0
	v_xor_b32_e32 v2, v12, v13
	v_lshrrev_b32_e32 v4, 1, v49
	v_and_b32_e32 v3, 60, v3
	v_or_b32_e32 v2, v2, v14
	v_and_b32_e32 v15, 8, v4
	v_xor_b32_e32 v26, v2, v15
	v_lshl_or_b32 v2, v64, 6, v3
	v_lshlrev_b32_e32 v37, 1, v2
	v_or_b32_e32 v2, 32, v12
	v_xor_b32_e32 v2, v2, v13
	s_waitcnt lgkmcnt(0)
	s_barrier
	ds_read_b64 v[10:11], v26 offset:16384
	v_or_b32_e32 v2, v2, v14
	v_xor_b32_e32 v27, v2, v15
	v_or_b32_e32 v2, 64, v12
	v_xor_b32_e32 v2, v2, v13
	v_or_b32_e32 v2, v2, v14
	v_or_b32_e32 v12, 0x60, v12
	v_xor_b32_e32 v28, v2, v15
	ds_read2st64_b64 v[2:5], v37 offset0:72 offset1:73
	ds_read2st64_b64 v[6:9], v37 offset0:74 offset1:75
	v_xor_b32_e32 v16, v12, v13
	ds_read_b64 v[12:13], v27 offset:16384
	s_add_i32 s0, s51, s50
	s_waitcnt lgkmcnt(2)
	v_mfma_f32_16x16x16_bf16 a[0:3], v[10:11], v[2:3], 0
	s_add_i32 s37, s0, s55
	s_add_i32 s0, s53, s52
	;; [unrolled: 1-line block ×3, first 2 shown]
	s_ashr_i32 s0, s14, 31
	s_mul_i32 s1, s14, s31
	s_mul_hi_u32 s2, s14, s30
	s_add_i32 s1, s2, s1
	s_mul_i32 s0, s0, s30
	v_or_b32_e32 v14, v16, v14
	s_add_i32 s1, s1, s0
	s_lshl_b64 s[2:3], s[36:37], 2
	v_xor_b32_e32 v38, v14, v15
	ds_read_b64 v[14:15], v28 offset:16384
	ds_read_b64 v[16:17], v38 offset:16384
	s_waitcnt lgkmcnt(2)
	v_mfma_f32_16x16x16_bf16 a[0:3], v[12:13], v[4:5], a[0:3]
	s_add_u32 s10, s10, s2
	s_addc_u32 s11, s11, s3
	s_lshl_b64 s[2:3], s[34:35], 2
	s_mul_i32 s0, s14, s30
	s_add_u32 s10, s10, s2
	s_addc_u32 s11, s11, s3
	s_lshl_b64 s[0:1], s[0:1], 2
	s_waitcnt lgkmcnt(1)
	v_mfma_f32_16x16x16_bf16 a[0:3], v[14:15], v[6:7], a[0:3]
	s_add_u32 s0, s10, s0
	s_addc_u32 s1, s11, s1
	s_load_dword s12, s[0:1], 0x0
	s_waitcnt lgkmcnt(0)
	v_mfma_f32_16x16x16_bf16 a[0:3], v[16:17], v[8:9], a[0:3]
	s_and_b64 vcc, exec, s[26:27]
	s_cbranch_vccz .LBB538_42
; %bb.32:
	v_lshlrev_b32_e32 v19, 1, v36
	s_and_b64 vcc, exec, s[6:7]
	s_cbranch_vccz .LBB538_43
; %bb.33:
	v_cmp_gt_i32_e32 vcc, s43, v19
	v_mov_b32_e32 v6, 0
	v_mov_b32_e32 v2, 0
	;; [unrolled: 1-line block ×5, first 2 shown]
	s_and_saveexec_b64 s[0:1], vcc
	s_cbranch_execz .LBB538_35
; %bb.34:
	v_mad_i64_i32 v[2:3], s[2:3], s15, v19, 0
	v_lshl_add_u64 v[2:3], v[2:3], 1, s[4:5]
	v_lshlrev_b32_e32 v4, 1, v18
	v_mov_b32_e32 v5, 0
	v_lshl_add_u64 v[2:3], v[2:3], 0, v[4:5]
	global_load_dwordx4 v[2:5], v[2:3], off
.LBB538_35:
	s_or_b64 exec, exec, s[0:1]
	v_or_b32_e32 v20, 1, v19
	v_cmp_gt_i32_e64 s[0:1], s43, v20
	v_mov_b32_e32 v7, 0
	v_mov_b32_e32 v8, 0
	;; [unrolled: 1-line block ×3, first 2 shown]
	s_and_saveexec_b64 s[2:3], s[0:1]
	s_cbranch_execz .LBB538_37
; %bb.36:
	v_mad_i64_i32 v[6:7], s[20:21], s15, v20, 0
	v_lshl_add_u64 v[6:7], v[6:7], 1, s[4:5]
	v_lshlrev_b32_e32 v8, 1, v18
	v_mov_b32_e32 v9, 0
	v_lshl_add_u64 v[6:7], v[6:7], 0, v[8:9]
	global_load_dwordx4 v[6:9], v[6:7], off
.LBB538_37:
	s_or_b64 exec, exec, s[2:3]
	v_mov_b32_e32 v17, 0
	v_mov_b32_e32 v10, 0
	;; [unrolled: 1-line block ×5, first 2 shown]
	s_and_saveexec_b64 s[2:3], vcc
	s_cbranch_execz .LBB538_39
; %bb.38:
	v_mad_i64_i32 v[10:11], s[20:21], s15, v19, 0
	v_lshl_add_u64 v[10:11], v[10:11], 1, s[4:5]
	v_lshlrev_b32_e32 v12, 1, v18
	v_mov_b32_e32 v13, 0
	v_lshl_add_u64 v[10:11], v[10:11], 0, v[12:13]
	global_load_dwordx4 v[10:13], v[10:11], off offset:128
.LBB538_39:
	s_or_b64 exec, exec, s[2:3]
	v_mov_b32_e32 v16, 0
	v_mov_b32_e32 v15, 0
	;; [unrolled: 1-line block ×3, first 2 shown]
	s_and_saveexec_b64 s[2:3], s[0:1]
	s_cbranch_execz .LBB538_41
; %bb.40:
	v_mad_i64_i32 v[14:15], s[0:1], s15, v20, 0
	v_lshl_add_u64 v[14:15], v[14:15], 1, s[4:5]
	v_lshlrev_b32_e32 v16, 1, v18
	v_mov_b32_e32 v17, 0
	v_lshl_add_u64 v[14:15], v[14:15], 0, v[16:17]
	global_load_dwordx4 v[14:17], v[14:15], off offset:128
.LBB538_41:
	s_or_b64 exec, exec, s[2:3]
	s_branch .LBB538_45
.LBB538_42:
                                        ; implicit-def: $vgpr5
                                        ; implicit-def: $vgpr9
                                        ; implicit-def: $vgpr13
                                        ; implicit-def: $vgpr17
	v_lshrrev_b32_e32 v19, 2, v49
	s_branch .LBB538_46
.LBB538_43:
                                        ; implicit-def: $vgpr5
                                        ; implicit-def: $vgpr9
                                        ; implicit-def: $vgpr13
                                        ; implicit-def: $vgpr17
	s_cbranch_execz .LBB538_45
; %bb.44:
	s_waitcnt vmcnt(0)
	v_mad_u64_u32 v[2:3], s[0:1], v19, s15, v[18:19]
	v_lshlrev_b32_e32 v19, 1, v2
	s_lshl_b32 s2, s15, 7
	s_and_b32 s1, s5, 0xffff
	s_mov_b32 s3, 0x20000
	s_mov_b32 s0, s4
	v_add_lshl_u32 v20, v2, s15, 1
	s_movk_i32 s15, 0x80
	buffer_load_dwordx4 v[2:5], v19, s[0:3], 0 offen
	buffer_load_dwordx4 v[10:13], v19, s[0:3], s15 offen
	;; [unrolled: 1-line block ×4, first 2 shown]
.LBB538_45:
	v_lshrrev_b32_e32 v19, 2, v49
	s_cbranch_execnz .LBB538_58
.LBB538_46:
	s_and_b64 vcc, exec, s[6:7]
	s_cbranch_vccz .LBB538_56
; %bb.47:
	s_waitcnt vmcnt(0)
	v_lshlrev_b32_e32 v7, 1, v36
	v_cmp_gt_i32_e32 vcc, s43, v7
	v_mov_b32_e32 v6, 0
	v_lshlrev_b32_e32 v14, 9, v36
	v_mov_b32_e32 v2, 0
	v_mov_b32_e32 v3, 0
	;; [unrolled: 1-line block ×4, first 2 shown]
	s_and_saveexec_b64 s[0:1], vcc
	s_cbranch_execz .LBB538_49
; %bb.48:
	v_mov_b32_e32 v15, 0
	v_lshl_add_u64 v[2:3], s[4:5], 0, v[14:15]
	v_lshlrev_b32_e32 v4, 1, v18
	v_mov_b32_e32 v5, v15
	v_lshl_add_u64 v[2:3], v[2:3], 0, v[4:5]
	global_load_dwordx4 v[2:5], v[2:3], off
.LBB538_49:
	s_or_b64 exec, exec, s[0:1]
	v_or_b32_e32 v7, 1, v7
	v_cmp_gt_i32_e64 s[0:1], s43, v7
	v_lshlrev_b32_e32 v20, 8, v7
	v_mov_b32_e32 v7, 0
	v_mov_b32_e32 v8, 0
	;; [unrolled: 1-line block ×3, first 2 shown]
	s_and_saveexec_b64 s[2:3], s[0:1]
	s_cbranch_execz .LBB538_51
; %bb.50:
	v_mov_b32_e32 v21, 0
	v_lshl_add_u64 v[6:7], s[4:5], 0, v[20:21]
	v_lshlrev_b32_e32 v8, 1, v18
	v_mov_b32_e32 v9, v21
	v_lshl_add_u64 v[6:7], v[6:7], 0, v[8:9]
	global_load_dwordx4 v[6:9], v[6:7], off
.LBB538_51:
	s_or_b64 exec, exec, s[2:3]
	v_mov_b32_e32 v17, 0
	v_mov_b32_e32 v10, 0
	;; [unrolled: 1-line block ×5, first 2 shown]
	s_and_saveexec_b64 s[2:3], vcc
	s_cbranch_execz .LBB538_53
; %bb.52:
	v_mov_b32_e32 v15, 0
	v_lshl_add_u64 v[10:11], s[4:5], 0, v[14:15]
	v_lshlrev_b32_e32 v14, 1, v18
	v_lshl_add_u64 v[10:11], v[10:11], 0, v[14:15]
	global_load_dwordx4 v[10:13], v[10:11], off offset:128
.LBB538_53:
	s_or_b64 exec, exec, s[2:3]
	v_mov_b32_e32 v16, 0
	v_mov_b32_e32 v15, 0
	;; [unrolled: 1-line block ×3, first 2 shown]
	s_and_saveexec_b64 s[2:3], s[0:1]
	s_cbranch_execz .LBB538_55
; %bb.54:
	v_mov_b32_e32 v21, 0
	v_lshl_add_u64 v[14:15], s[4:5], 0, v[20:21]
	v_lshlrev_b32_e32 v20, 1, v18
	v_lshl_add_u64 v[14:15], v[14:15], 0, v[20:21]
	global_load_dwordx4 v[14:17], v[14:15], off offset:128
.LBB538_55:
	s_or_b64 exec, exec, s[2:3]
	s_branch .LBB538_58
.LBB538_56:
                                        ; implicit-def: $vgpr5
                                        ; implicit-def: $vgpr9
                                        ; implicit-def: $vgpr13
                                        ; implicit-def: $vgpr17
	s_cbranch_execz .LBB538_58
; %bb.57:
	s_waitcnt vmcnt(0)
	v_lshlrev_b32_e32 v2, 1, v18
	v_lshl_or_b32 v18, v36, 9, v2
	s_and_b32 s5, s5, 0xffff
	s_mov_b32 s7, 0x20000
	s_movk_i32 s6, 0x4000
	s_movk_i32 s0, 0x80
	buffer_load_dwordx4 v[2:5], v18, s[4:7], 0 offen
	buffer_load_dwordx4 v[6:9], v18, s[4:7], 0 offen offset:256
	buffer_load_dwordx4 v[10:13], v18, s[4:7], s0 offen
	buffer_load_dwordx4 v[14:17], v18, s[4:7], s0 offen offset:256
.LBB538_58:
	v_and_b32_e32 v39, 12, v19
	ds_read2st64_b64 v[22:25], v37 offset0:76 offset1:77
	ds_read2st64_b64 v[18:21], v37 offset0:78 offset1:79
	ds_read_b64 v[30:31], v26 offset:24576
	ds_read_b64 v[32:33], v27 offset:24576
	;; [unrolled: 1-line block ×4, first 2 shown]
	v_and_b32_e32 v38, 6, v0
	v_xor_b32_e32 v36, v36, v38
	v_lshlrev_b32_e32 v36, 2, v36
	v_and_b32_e32 v40, 1, v0
	v_xor_b32_e32 v41, 0x440, v36
	v_cmp_eq_u32_e32 vcc, 0, v40
	s_mov_b32 s0, 0x1000504
	s_waitcnt vmcnt(0)
	v_perm_b32 v40, v10, v14, s0
	v_cndmask_b32_e32 v36, v41, v36, vcc
	v_lshl_or_b32 v36, v38, 10, v36
	v_perm_b32 v38, v2, v6, s0
	ds_write2st64_b32 v36, v38, v40 offset1:32
	v_xor_b32_e32 v38, 8, v36
	s_mov_b32 s1, 0x3020706
	v_perm_b32 v2, v2, v6, s1
	v_perm_b32 v6, v10, v14, s1
	v_add_u32_e32 v10, 0x80, v38
	ds_write2st64_b32 v10, v2, v6 offset1:32
	v_xor_b32_e32 v2, 16, v36
	v_perm_b32 v6, v3, v7, s0
	v_perm_b32 v10, v11, v15, s0
	ds_write2st64_b32 v2, v6, v10 offset0:1 offset1:33
	v_xor_b32_e32 v2, 24, v36
	v_perm_b32 v3, v3, v7, s1
	v_perm_b32 v6, v11, v15, s1
	v_add_u32_e32 v2, 0x80, v2
	ds_write2st64_b32 v2, v3, v6 offset0:1 offset1:33
	v_xor_b32_e32 v2, 32, v36
	v_perm_b32 v3, v4, v8, s0
	v_perm_b32 v6, v12, v16, s0
	ds_write2st64_b32 v2, v3, v6 offset0:2 offset1:34
	v_xor_b32_e32 v2, 40, v36
	v_perm_b32 v3, v4, v8, s1
	v_perm_b32 v4, v12, v16, s1
	v_add_u32_e32 v2, 0x80, v2
	ds_write2st64_b32 v2, v3, v4 offset0:2 offset1:34
	v_xor_b32_e32 v2, 48, v36
	v_perm_b32 v3, v5, v9, s0
	v_perm_b32 v4, v13, v17, s0
	ds_write2st64_b32 v2, v3, v4 offset0:3 offset1:35
	v_xor_b32_e32 v2, 56, v36
	v_or_b32_e32 v8, v39, v45
	v_perm_b32 v3, v5, v9, s1
	v_perm_b32 v4, v13, v17, s1
	v_add_u32_e32 v2, 0x80, v2
	v_cmp_gt_i32_e32 vcc, s43, v8
	v_mov_b32_e32 v9, 0
	v_mov_b32_e32 v13, 0
	ds_write2st64_b32 v2, v3, v4 offset0:3 offset1:35
	s_and_saveexec_b64 s[0:1], vcc
	s_cbranch_execz .LBB538_60
; %bb.59:
	v_add_u32_e32 v2, s41, v8
	v_ashrrev_i32_e32 v3, 31, v2
	v_mul_lo_u32 v4, v3, s30
	v_mul_lo_u32 v5, v2, s31
	v_mad_u64_u32 v[2:3], s[2:3], v2, s30, 0
	v_add3_u32 v3, v3, v5, v4
	v_lshl_add_u64 v[2:3], v[2:3], 2, s[10:11]
	global_load_dword v2, v[2:3], off
	s_waitcnt vmcnt(0)
	v_sub_f32_e32 v2, s12, v2
	v_exp_f32_e32 v13, v2
.LBB538_60:
	s_or_b64 exec, exec, s[0:1]
	v_or_b32_e32 v11, 1, v8
	v_cmp_gt_i32_e64 s[0:1], s43, v11
	s_and_saveexec_b64 s[2:3], s[0:1]
	s_cbranch_execz .LBB538_62
; %bb.61:
	v_add_u32_e32 v2, s41, v11
	v_ashrrev_i32_e32 v3, 31, v2
	v_mul_lo_u32 v4, v3, s30
	v_mul_lo_u32 v5, v2, s31
	v_mad_u64_u32 v[2:3], s[4:5], v2, s30, 0
	v_add3_u32 v3, v3, v5, v4
	v_lshl_add_u64 v[2:3], v[2:3], 2, s[10:11]
	global_load_dword v2, v[2:3], off
	s_waitcnt vmcnt(0)
	v_sub_f32_e32 v2, s12, v2
	v_exp_f32_e32 v9, v2
.LBB538_62:
	s_or_b64 exec, exec, s[2:3]
	v_or_b32_e32 v12, 2, v8
	v_cmp_gt_i32_e64 s[2:3], s43, v12
	v_mov_b32_e32 v10, 0
	v_mov_b32_e32 v15, 0
	s_and_saveexec_b64 s[4:5], s[2:3]
	s_cbranch_execz .LBB538_64
; %bb.63:
	v_add_u32_e32 v2, s41, v12
	v_ashrrev_i32_e32 v3, 31, v2
	v_mul_lo_u32 v4, v3, s30
	v_mul_lo_u32 v5, v2, s31
	v_mad_u64_u32 v[2:3], s[6:7], v2, s30, 0
	v_add3_u32 v3, v3, v5, v4
	v_lshl_add_u64 v[2:3], v[2:3], 2, s[10:11]
	global_load_dword v2, v[2:3], off
	s_waitcnt vmcnt(0)
	v_sub_f32_e32 v2, s12, v2
	v_exp_f32_e32 v15, v2
.LBB538_64:
	s_or_b64 exec, exec, s[4:5]
	v_or_b32_e32 v14, 3, v8
	v_cmp_gt_i32_e64 s[4:5], s43, v14
	s_and_saveexec_b64 s[6:7], s[4:5]
	s_cbranch_execz .LBB538_66
; %bb.65:
	v_add_u32_e32 v2, s41, v14
	v_ashrrev_i32_e32 v3, 31, v2
	v_mul_lo_u32 v4, v3, s30
	v_mul_lo_u32 v5, v2, s31
	v_mad_u64_u32 v[2:3], s[20:21], v2, s30, 0
	v_add3_u32 v3, v3, v5, v4
	v_lshl_add_u64 v[2:3], v[2:3], 2, s[10:11]
	global_load_dword v2, v[2:3], off
	s_waitcnt vmcnt(0)
	v_sub_f32_e32 v2, s12, v2
	v_exp_f32_e32 v10, v2
.LBB538_66:
	s_or_b64 exec, exec, s[6:7]
	s_waitcnt lgkmcnt(11)
	v_mfma_f32_16x16x16_bf16 a[0:3], v[30:31], v[22:23], a[0:3]
	s_add_u32 s6, s8, s24
	v_ashrrev_i32_e32 v59, 31, v58
	s_addc_u32 s7, s9, s25
	s_waitcnt lgkmcnt(10)
	v_mfma_f32_16x16x16_bf16 a[0:3], v[32:33], v[24:25], a[0:3]
	v_mov_b32_e32 v16, 0
	v_lshl_add_u64 v[6:7], v[58:59], 1, s[6:7]
	v_mov_b32_e32 v17, 0
	s_waitcnt lgkmcnt(9)
	v_mfma_f32_16x16x16_bf16 a[0:3], v[28:29], v[18:19], a[0:3]
	s_waitcnt lgkmcnt(8)
	v_mfma_f32_16x16x16_bf16 a[0:3], v[26:27], v[20:21], a[0:3]
	s_nop 6
	v_accvgpr_read_b32 v5, a3
	v_accvgpr_read_b32 v4, a2
	;; [unrolled: 1-line block ×4, first 2 shown]
	s_and_saveexec_b64 s[6:7], vcc
	s_cbranch_execz .LBB538_68
; %bb.67:
	v_lshlrev_b32_e32 v18, 8, v8
	v_mov_b32_e32 v19, 0
	v_lshl_add_u64 v[18:19], v[6:7], 0, v[18:19]
	global_load_ushort v17, v[18:19], off
	s_waitcnt vmcnt(0)
	v_lshlrev_b32_e32 v17, 16, v17
	v_sub_f32_e32 v2, v17, v2
	v_mul_f32_e32 v2, v13, v2
	v_lshrrev_b32_e32 v17, 16, v2
.LBB538_68:
	s_or_b64 exec, exec, s[6:7]
	s_and_saveexec_b64 s[6:7], s[0:1]
	s_cbranch_execz .LBB538_70
; %bb.69:
	v_lshlrev_b32_e32 v18, 8, v11
	v_mov_b32_e32 v19, 0
	v_lshl_add_u64 v[18:19], v[6:7], 0, v[18:19]
	global_load_ushort v2, v[18:19], off
	s_waitcnt vmcnt(0)
	v_lshlrev_b32_e32 v2, 16, v2
	v_sub_f32_e32 v2, v2, v3
	v_mul_f32_e32 v2, v9, v2
	v_lshrrev_b32_e32 v16, 16, v2
.LBB538_70:
	s_or_b64 exec, exec, s[6:7]
	v_mov_b32_e32 v3, 0
	v_mov_b32_e32 v9, 0
	s_and_saveexec_b64 s[0:1], s[2:3]
	s_cbranch_execz .LBB538_72
; %bb.71:
	v_lshlrev_b32_e32 v12, 8, v12
	v_mov_b32_e32 v13, 0
	v_lshl_add_u64 v[12:13], v[6:7], 0, v[12:13]
	global_load_ushort v2, v[12:13], off
	s_waitcnt vmcnt(0)
	v_lshlrev_b32_e32 v2, 16, v2
	v_sub_f32_e32 v2, v2, v4
	v_mul_f32_e32 v2, v15, v2
	v_lshrrev_b32_e32 v9, 16, v2
.LBB538_72:
	s_or_b64 exec, exec, s[0:1]
	v_or_b32_e32 v2, 0x9800, v37
	s_and_saveexec_b64 s[0:1], s[4:5]
	s_cbranch_execz .LBB538_74
; %bb.73:
	v_lshlrev_b32_e32 v12, 8, v14
	v_mov_b32_e32 v13, 0
	v_lshl_add_u64 v[6:7], v[6:7], 0, v[12:13]
	global_load_ushort v3, v[6:7], off
	s_waitcnt vmcnt(0)
	v_lshlrev_b32_e32 v3, 16, v3
	v_sub_f32_e32 v3, v3, v5
	v_mul_f32_e32 v3, v10, v3
	v_lshrrev_b32_e32 v3, 16, v3
.LBB538_74:
	s_or_b64 exec, exec, s[0:1]
	s_mov_b32 s0, 0x5040100
	v_perm_b32 v5, v3, v9, s0
	v_lshlrev_b32_e32 v3, 1, v34
	v_perm_b32 v4, v16, v17, s0
	v_lshl_or_b32 v3, v8, 5, v3
	s_movk_i32 s2, 0xff
	ds_write_b64 v3, v[4:5] offset:38912
	v_and_b32_e32 v3, 7, v0
	v_cmp_lt_u32_e32 vcc, s2, v0
	v_and_b32_e32 v4, 8, v0
	v_lshlrev_b32_e32 v9, 3, v3
	v_lshlrev_b32_e32 v22, 7, v3
	v_cndmask_b32_e64 v3, 0, 1, vcc
	v_lshrrev_b32_e32 v0, 1, v0
	v_lshlrev_b32_e32 v16, 13, v3
	v_lshlrev_b32_e32 v3, 3, v1
	v_and_b32_e32 v0, 24, v0
	v_xor_b32_e32 v5, v3, v0
	v_or_b32_e32 v6, 0x440, v5
	v_cmp_eq_u32_e32 vcc, 0, v4
	s_waitcnt lgkmcnt(0)
	s_barrier
	v_cndmask_b32_e32 v4, v6, v5, vcc
	v_or_b32_e32 v4, v4, v35
	v_xor_b32_e32 v23, v4, v9
	v_or_b32_e32 v4, 32, v0
	v_xor_b32_e32 v4, v3, v4
	v_or_b32_e32 v5, 0x440, v4
	v_cndmask_b32_e32 v4, v5, v4, vcc
	v_or_b32_e32 v4, v4, v35
	v_xor_b32_e32 v24, v4, v9
	v_or_b32_e32 v4, 64, v0
	v_xor_b32_e32 v4, v3, v4
	v_xor_b32_e32 v5, 0x440, v4
	v_cndmask_b32_e32 v4, v5, v4, vcc
	v_add3_u32 v14, v16, v23, v22
	v_or_b32_e32 v4, v4, v35
	v_or_b32_e32 v0, 0x60, v0
	v_xor_b32_e32 v25, v4, v9
	ds_read2st64_b64 v[4:7], v2 offset1:1
	ds_read2st64_b64 v[10:13], v2 offset0:2 offset1:3
	v_xor_b32_e32 v0, v3, v0
	ds_read_b64 v[2:3], v14
	v_add3_u32 v15, v16, v24, v22
	v_xor_b32_e32 v14, 0x440, v0
	v_cndmask_b32_e32 v0, v14, v0, vcc
	ds_read_b64 v[14:15], v15
	s_add_i32 s0, s14, s49
	s_mul_hi_i32 s1, s0, s13
	s_mul_i32 s0, s0, s13
	s_add_u32 s0, s0, s33
	v_or_b32_e32 v0, v0, v35
	s_waitcnt lgkmcnt(1)
	v_mfma_f32_16x16x16_bf16 a[0:3], v[2:3], v[4:5], 0
	s_addc_u32 s1, s1, s48
	v_xor_b32_e32 v9, v0, v9
	s_lshl_b64 s[0:1], s[0:1], 9
	v_add3_u32 v17, v16, v25, v22
	v_add3_u32 v0, v16, v9, v22
	s_add_u32 s0, s16, s0
	ds_read_b64 v[18:19], v17
	ds_read_b64 v[20:21], v0
	s_addc_u32 s1, s17, s1
	v_lshlrev_b32_e32 v0, 2, v8
	s_waitcnt lgkmcnt(2)
	v_mfma_f32_16x16x16_bf16 a[0:3], v[14:15], v[6:7], a[0:3]
	global_load_dwordx4 v[14:17], v0, s[0:1]
	v_add_u32_e32 v0, v23, v22
	v_lshlrev_b32_e32 v2, 6, v1
	ds_read_b64 v[0:1], v0 offset:8192
	v_lshlrev_b32_e32 v3, 2, v39
	s_movk_i32 s2, 0x100
	s_waitcnt lgkmcnt(2)
	v_mfma_f32_16x16x16_bf16 a[0:3], v[18:19], v[10:11], a[0:3]
	v_or3_b32 v2, v2, v3, s2
	v_add_u32_e32 v3, v24, v22
	v_add_u32_e32 v18, v25, v22
	v_add_u32_e32 v22, v9, v22
	ds_read_b64 v[8:9], v3 offset:8192
	ds_read_b64 v[18:19], v18 offset:8192
	;; [unrolled: 1-line block ×3, first 2 shown]
	s_waitcnt lgkmcnt(3)
	v_mfma_f32_16x16x16_bf16 a[4:7], v[0:1], v[4:5], 0
	global_load_dwordx4 v[0:3], v2, s[0:1]
	v_exp_f32_e32 v24, s12
	s_waitcnt vmcnt(1)
	v_exp_f32_e32 v16, v16
	v_mfma_f32_16x16x16_bf16 a[0:3], v[20:21], v[12:13], a[0:3]
	v_exp_f32_e32 v17, v17
	v_exp_f32_e32 v14, v14
	;; [unrolled: 1-line block ×3, first 2 shown]
	v_pk_mul_f32 v[16:17], v[24:25], v[16:17] op_sel_hi:[0,1]
	v_pk_mul_f32 v[14:15], v[24:25], v[14:15] op_sel_hi:[0,1]
	s_nop 1
	v_accvgpr_read_b32 v21, a1
	v_accvgpr_read_b32 v5, a3
	;; [unrolled: 1-line block ×4, first 2 shown]
	s_waitcnt lgkmcnt(2)
	v_mfma_f32_16x16x16_bf16 a[0:3], v[8:9], v[6:7], a[4:7]
	v_pk_fma_f32 v[56:57], v[56:57], v[16:17], v[4:5]
	s_waitcnt vmcnt(0)
	v_mov_b32_e32 v4, v3
	v_mov_b32_e32 v3, v2
	s_waitcnt lgkmcnt(1)
	v_mfma_f32_16x16x16_bf16 a[0:3], v[18:19], v[10:11], a[0:3]
	v_mov_b32_e32 v2, v1
	v_exp_f32_e32 v0, v0
	v_exp_f32_e32 v1, v2
	s_waitcnt lgkmcnt(0)
	v_mfma_f32_16x16x16_bf16 a[0:3], v[22:23], v[12:13], a[0:3]
	v_exp_f32_e32 v2, v3
	v_exp_f32_e32 v3, v4
	v_pk_mul_f32 v[0:1], v[24:25], v[0:1] op_sel_hi:[0,1]
	v_pk_fma_f32 v[52:53], v[52:53], v[14:15], v[20:21]
	s_nop 2
	v_accvgpr_read_b32 v7, a1
	v_accvgpr_read_b32 v6, a0
	;; [unrolled: 1-line block ×4, first 2 shown]
	v_pk_fma_f32 v[50:51], v[50:51], v[0:1], v[6:7]
	v_pk_mul_f32 v[0:1], v[24:25], v[2:3] op_sel_hi:[0,1]
	v_pk_fma_f32 v[54:55], v[54:55], v[0:1], v[4:5]
.LBB538_75:
	s_add_u32 s0, s18, s28
	s_addc_u32 s1, s19, s29
	v_lshl_add_u64 v[0:1], v[46:47], 1, s[0:1]
	v_mov_b32_e32 v49, 0
	s_mov_b32 s0, 0x7060302
	v_lshl_add_u64 v[0:1], v[0:1], 0, v[48:49]
	v_perm_b32 v3, v57, v56, s0
	v_perm_b32 v2, v53, v52, s0
	global_store_dwordx2 v[0:1], v[2:3], off
	v_perm_b32 v3, v55, v54, s0
	v_perm_b32 v2, v51, v50, s0
	global_store_dwordx2 v[0:1], v[2:3], off offset:128
	s_endpgm
	.section	.rodata,"a",@progbits
	.p2align	6, 0x0
	.amdhsa_kernel _ZN12_GLOBAL__N_139chunk_gated_delta_rule_fwd_h_hip_kernelILi16ELb1ELb1ELb0ELb0ELb1ELb1ELb0ELb1EEEvPK12hip_bfloat16S3_S3_PKfS5_PKvPS1_S8_PvPKiSB_iiiiilll
		.amdhsa_group_segment_fixed_size 40960
		.amdhsa_private_segment_fixed_size 0
		.amdhsa_kernarg_size 136
		.amdhsa_user_sgpr_count 2
		.amdhsa_user_sgpr_dispatch_ptr 0
		.amdhsa_user_sgpr_queue_ptr 0
		.amdhsa_user_sgpr_kernarg_segment_ptr 1
		.amdhsa_user_sgpr_dispatch_id 0
		.amdhsa_user_sgpr_kernarg_preload_length 0
		.amdhsa_user_sgpr_kernarg_preload_offset 0
		.amdhsa_user_sgpr_private_segment_size 0
		.amdhsa_uses_dynamic_stack 0
		.amdhsa_enable_private_segment 0
		.amdhsa_system_sgpr_workgroup_id_x 1
		.amdhsa_system_sgpr_workgroup_id_y 1
		.amdhsa_system_sgpr_workgroup_id_z 0
		.amdhsa_system_sgpr_workgroup_info 0
		.amdhsa_system_vgpr_workitem_id 0
		.amdhsa_next_free_vgpr 128
		.amdhsa_next_free_sgpr 71
		.amdhsa_accum_offset 116
		.amdhsa_reserve_vcc 1
		.amdhsa_float_round_mode_32 0
		.amdhsa_float_round_mode_16_64 0
		.amdhsa_float_denorm_mode_32 3
		.amdhsa_float_denorm_mode_16_64 3
		.amdhsa_dx10_clamp 1
		.amdhsa_ieee_mode 1
		.amdhsa_fp16_overflow 0
		.amdhsa_tg_split 0
		.amdhsa_exception_fp_ieee_invalid_op 0
		.amdhsa_exception_fp_denorm_src 0
		.amdhsa_exception_fp_ieee_div_zero 0
		.amdhsa_exception_fp_ieee_overflow 0
		.amdhsa_exception_fp_ieee_underflow 0
		.amdhsa_exception_fp_ieee_inexact 0
		.amdhsa_exception_int_div_zero 0
	.end_amdhsa_kernel
	.section	.text._ZN12_GLOBAL__N_139chunk_gated_delta_rule_fwd_h_hip_kernelILi16ELb1ELb1ELb0ELb0ELb1ELb1ELb0ELb1EEEvPK12hip_bfloat16S3_S3_PKfS5_PKvPS1_S8_PvPKiSB_iiiiilll,"axG",@progbits,_ZN12_GLOBAL__N_139chunk_gated_delta_rule_fwd_h_hip_kernelILi16ELb1ELb1ELb0ELb0ELb1ELb1ELb0ELb1EEEvPK12hip_bfloat16S3_S3_PKfS5_PKvPS1_S8_PvPKiSB_iiiiilll,comdat
.Lfunc_end538:
	.size	_ZN12_GLOBAL__N_139chunk_gated_delta_rule_fwd_h_hip_kernelILi16ELb1ELb1ELb0ELb0ELb1ELb1ELb0ELb1EEEvPK12hip_bfloat16S3_S3_PKfS5_PKvPS1_S8_PvPKiSB_iiiiilll, .Lfunc_end538-_ZN12_GLOBAL__N_139chunk_gated_delta_rule_fwd_h_hip_kernelILi16ELb1ELb1ELb0ELb0ELb1ELb1ELb0ELb1EEEvPK12hip_bfloat16S3_S3_PKfS5_PKvPS1_S8_PvPKiSB_iiiiilll
                                        ; -- End function
	.section	.AMDGPU.csdata,"",@progbits
; Kernel info:
; codeLenInByte = 8068
; NumSgprs: 77
; NumVgprs: 116
; NumAgprs: 12
; TotalNumVgprs: 128
; ScratchSize: 0
; MemoryBound: 0
; FloatMode: 240
; IeeeMode: 1
; LDSByteSize: 40960 bytes/workgroup (compile time only)
; SGPRBlocks: 9
; VGPRBlocks: 15
; NumSGPRsForWavesPerEU: 77
; NumVGPRsForWavesPerEU: 128
; AccumOffset: 116
; Occupancy: 1
; WaveLimiterHint : 1
; COMPUTE_PGM_RSRC2:SCRATCH_EN: 0
; COMPUTE_PGM_RSRC2:USER_SGPR: 2
; COMPUTE_PGM_RSRC2:TRAP_HANDLER: 0
; COMPUTE_PGM_RSRC2:TGID_X_EN: 1
; COMPUTE_PGM_RSRC2:TGID_Y_EN: 1
; COMPUTE_PGM_RSRC2:TGID_Z_EN: 0
; COMPUTE_PGM_RSRC2:TIDIG_COMP_CNT: 0
; COMPUTE_PGM_RSRC3_GFX90A:ACCUM_OFFSET: 28
; COMPUTE_PGM_RSRC3_GFX90A:TG_SPLIT: 0
	.section	.text._ZN12_GLOBAL__N_139chunk_gated_delta_rule_fwd_h_hip_kernelILi16ELb1ELb0ELb1ELb0ELb1ELb1ELb0ELb1EEEvPK12hip_bfloat16S3_S3_PKfS5_PKvPS1_S8_PvPKiSB_iiiiilll,"axG",@progbits,_ZN12_GLOBAL__N_139chunk_gated_delta_rule_fwd_h_hip_kernelILi16ELb1ELb0ELb1ELb0ELb1ELb1ELb0ELb1EEEvPK12hip_bfloat16S3_S3_PKfS5_PKvPS1_S8_PvPKiSB_iiiiilll,comdat
	.globl	_ZN12_GLOBAL__N_139chunk_gated_delta_rule_fwd_h_hip_kernelILi16ELb1ELb0ELb1ELb0ELb1ELb1ELb0ELb1EEEvPK12hip_bfloat16S3_S3_PKfS5_PKvPS1_S8_PvPKiSB_iiiiilll ; -- Begin function _ZN12_GLOBAL__N_139chunk_gated_delta_rule_fwd_h_hip_kernelILi16ELb1ELb0ELb1ELb0ELb1ELb1ELb0ELb1EEEvPK12hip_bfloat16S3_S3_PKfS5_PKvPS1_S8_PvPKiSB_iiiiilll
	.p2align	8
	.type	_ZN12_GLOBAL__N_139chunk_gated_delta_rule_fwd_h_hip_kernelILi16ELb1ELb0ELb1ELb0ELb1ELb1ELb0ELb1EEEvPK12hip_bfloat16S3_S3_PKfS5_PKvPS1_S8_PvPKiSB_iiiiilll,@function
_ZN12_GLOBAL__N_139chunk_gated_delta_rule_fwd_h_hip_kernelILi16ELb1ELb0ELb1ELb0ELb1ELb1ELb0ELb1EEEvPK12hip_bfloat16S3_S3_PKfS5_PKvPS1_S8_PvPKiSB_iiiiilll: ; @_ZN12_GLOBAL__N_139chunk_gated_delta_rule_fwd_h_hip_kernelILi16ELb1ELb0ELb1ELb0ELb1ELb1ELb0ELb1EEEvPK12hip_bfloat16S3_S3_PKfS5_PKvPS1_S8_PvPKiSB_iiiiilll
; %bb.0:
	s_load_dwordx4 s[12:15], s[0:1], 0x5c
	s_load_dwordx4 s[20:23], s[0:1], 0x70
	s_abs_i32 s6, s3
	s_ashr_i32 s5, s3, 31
	s_load_dwordx4 s[16:19], s[0:1], 0x28
	s_load_dwordx2 s[28:29], s[0:1], 0x38
	s_waitcnt lgkmcnt(0)
	s_abs_i32 s4, s13
	v_cvt_f32_u32_e32 v1, s4
	s_sub_i32 s8, 0, s4
	s_ashr_i32 s7, s13, 31
	s_xor_b32 s5, s5, s7
	v_rcp_iflag_f32_e32 v1, v1
	v_and_b32_e32 v64, 15, v0
	v_lshrrev_b32_e32 v62, 6, v0
	v_bfe_u32 v63, v0, 4, 2
	v_mul_f32_e32 v1, 0x4f7ffffe, v1
	v_cvt_u32_f32_e32 v1, v1
	v_mov_b32_e32 v5, 0
	v_and_b32_e32 v45, 63, v0
	v_lshlrev_b32_e32 v65, 3, v0
	v_readfirstlane_b32 s9, v1
	s_mul_i32 s8, s8, s9
	s_mul_hi_u32 s8, s9, s8
	s_add_i32 s9, s9, s8
	s_mul_hi_u32 s8, s6, s9
	s_mul_i32 s9, s8, s4
	s_sub_i32 s6, s6, s9
	s_add_i32 s10, s8, 1
	s_sub_i32 s9, s6, s4
	s_cmp_ge_u32 s6, s4
	s_cselect_b32 s8, s10, s8
	s_cselect_b32 s6, s9, s6
	s_add_i32 s9, s8, 1
	s_cmp_ge_u32 s6, s4
	s_cselect_b32 s6, s9, s8
	s_xor_b32 s6, s6, s5
	s_add_i32 s8, s12, 63
	s_sub_i32 s53, s6, s5
	s_ashr_i32 s9, s8, 31
	s_mul_i32 s5, s53, s13
	s_sub_i32 s51, s3, s5
	s_lshr_b32 s3, s9, 26
	s_add_i32 s8, s8, s3
	s_abs_i32 s3, s14
	v_cvt_f32_u32_e32 v1, s3
	s_ashr_i32 s52, s12, 31
	s_lshr_b32 s6, s52, 26
	s_add_i32 s6, s12, s6
	v_rcp_iflag_f32_e32 v1, v1
	s_ashr_i32 s56, s14, 31
	s_ashr_i32 s54, s6, 6
	s_lshl_b32 s38, s2, 4
	v_mul_f32_e32 v1, 0x4f7ffffe, v1
	v_cvt_u32_f32_e32 v1, v1
	s_xor_b32 s2, s7, s56
	s_sub_i32 s6, 0, s3
	s_ashr_i32 s25, s8, 6
	v_readfirstlane_b32 s7, v1
	s_mul_i32 s6, s6, s7
	s_mul_hi_u32 s6, s7, s6
	s_add_i32 s7, s7, s6
	s_mul_hi_u32 s6, s4, s7
	s_mul_i32 s7, s6, s3
	s_sub_i32 s4, s4, s7
	s_add_i32 s7, s6, 1
	s_sub_i32 s8, s4, s3
	s_cmp_ge_u32 s4, s3
	s_cselect_b32 s6, s7, s6
	s_cselect_b32 s4, s8, s4
	s_add_i32 s7, s6, 1
	s_cmp_ge_u32 s4, s3
	s_cselect_b32 s3, s7, s6
	s_xor_b32 s3, s3, s2
	s_sub_i32 s2, s3, s2
	s_abs_i32 s3, s2
	v_cvt_f32_u32_e32 v1, s3
	s_sub_i32 s6, 0, s3
	s_abs_i32 s4, s51
	s_xor_b32 s2, s51, s2
	v_rcp_iflag_f32_e32 v1, v1
	s_ashr_i32 s2, s2, 31
	v_or_b32_e32 v46, s38, v64
	v_lshlrev_b32_e32 v2, 7, v46
	v_mul_f32_e32 v1, 0x4f7ffffe, v1
	v_cvt_u32_f32_e32 v1, v1
	v_ashrrev_i32_e32 v3, 31, v2
	v_lshrrev_b32_e32 v66, 3, v45
	s_mul_i32 s33, s53, s21
	v_readfirstlane_b32 s7, v1
	s_mul_i32 s6, s6, s7
	s_mul_hi_u32 s6, s7, s6
	s_add_i32 s7, s7, s6
	s_mul_hi_u32 s6, s4, s7
	s_mul_i32 s7, s6, s3
	s_sub_i32 s4, s4, s7
	s_add_i32 s7, s6, 1
	s_sub_i32 s8, s4, s3
	s_cmp_ge_u32 s4, s3
	s_cselect_b32 s6, s7, s6
	s_cselect_b32 s4, s8, s4
	s_add_i32 s7, s6, 1
	s_cmp_ge_u32 s4, s3
	s_cselect_b32 s3, s7, s6
	s_xor_b32 s3, s3, s2
	s_sub_i32 s57, s3, s2
	s_ashr_i32 s24, s53, 31
	s_ashr_i32 s55, s51, 31
	s_mul_hi_i32 s2, s53, s13
	s_add_u32 s40, s5, s51
	s_addc_u32 s41, s2, s55
	s_lshl_b64 s[2:3], s[40:41], 15
	v_lshlrev_b32_e32 v1, 4, v62
	s_add_u32 s2, s16, s2
	v_lshl_or_b32 v67, v63, 2, v1
	s_addc_u32 s3, s17, s3
	v_lshl_add_u64 v[2:3], v[2:3], 1, s[2:3]
	v_lshlrev_b32_e32 v4, 1, v67
	v_lshl_add_u64 v[2:3], v[2:3], 0, v[4:5]
	global_load_dwordx2 v[4:5], v[2:3], off
	global_load_dwordx2 v[6:7], v[2:3], off offset:128
	s_load_dwordx8 s[4:11], s[0:1], 0x0
	s_load_dwordx2 s[30:31], s[0:1], 0x80
	v_or_b32_e32 v68, 64, v67
	s_mul_hi_u32 s46, s53, s20
	s_mul_i32 s36, s53, s20
	s_mul_i32 s58, s53, s25
	;; [unrolled: 1-line block ×3, first 2 shown]
	s_mul_hi_u32 s48, s51, s22
	s_mul_i32 s50, s24, s20
	s_mul_i32 s49, s55, s22
	s_mul_hi_u32 s59, s40, s12
	s_mul_i32 s16, s40, s12
	s_mul_i32 s41, s41, s12
	s_cmp_lt_i32 s12, 64
	s_mul_i32 s34, s51, s22
	s_waitcnt vmcnt(1)
	v_and_b32_e32 v51, 0xffff0000, v4
	v_lshlrev_b32_e32 v50, 16, v4
	v_and_b32_e32 v55, 0xffff0000, v5
	v_lshlrev_b32_e32 v54, 16, v5
	s_waitcnt vmcnt(0)
	v_and_b32_e32 v49, 0xffff0000, v6
	v_lshlrev_b32_e32 v48, 16, v6
	v_and_b32_e32 v53, 0xffff0000, v7
	v_lshlrev_b32_e32 v52, 16, v7
	s_cbranch_scc1 .LBB539_18
; %bb.1:
	s_add_i32 s17, s59, s41
	s_lshl_b64 s[2:3], s[16:17], 8
	v_and_b32_e32 v70, 56, v65
	s_waitcnt lgkmcnt(0)
	s_add_u32 s20, s6, s2
	v_lshl_or_b32 v69, v62, 3, v66
	v_lshlrev_b32_e32 v2, 1, v70
	s_addc_u32 s2, s7, s3
	v_lshl_or_b32 v71, v69, 8, v2
	s_and_b32 s21, s2, 0xffff
	s_mov_b32 s23, 0x20000
	s_movk_i32 s22, 0x4000
	s_movk_i32 s2, 0x80
	v_or_b32_e32 v72, 0x2000, v71
	buffer_load_dwordx4 v[4:7], v71, s[20:23], 0 offen
	buffer_load_dwordx4 v[8:11], v71, s[20:23], s2 offen
	;; [unrolled: 1-line block ×4, first 2 shown]
	v_lshlrev_b32_e32 v3, 3, v69
	v_and_or_b32 v21, v0, 7, v3
	v_and_b32_e32 v3, 0x78, v3
	v_lshlrev_b32_e32 v21, 4, v21
	v_xor_b32_e32 v73, v21, v3
	v_mul_lo_u32 v20, v69, s15
	v_or_b32_e32 v74, 0x1000, v73
	v_xor_b32_e32 v3, 8, v73
	s_cmpk_eq_i32 s15, 0x80
	s_mov_b32 s60, s14
	v_xor_b32_e32 v21, 8, v74
	s_cselect_b64 s[2:3], -1, 0
	s_cmpk_lg_i32 s15, 0x80
	s_waitcnt vmcnt(3)
	ds_write_b64 v73, v[4:5] offset:16384
	ds_write_b64 v3, v[6:7] offset:16384
	s_waitcnt vmcnt(2)
	ds_write_b64 v73, v[8:9] offset:24576
	ds_write_b64 v3, v[10:11] offset:24576
	;; [unrolled: 3-line block ×4, first 2 shown]
	v_lshl_add_u32 v3, v20, 1, v70
	s_cbranch_scc0 .LBB539_3
; %bb.2:
	v_lshlrev_b32_e32 v5, 1, v3
	v_add_lshl_u32 v4, v3, s15, 1
	s_lshl_b32 s22, s15, 7
	s_load_dwordx2 s[42:43], s[0:1], 0x20
	v_lshl_or_b32 v2, v69, 9, v2
	s_cbranch_execz .LBB539_4
	s_branch .LBB539_5
.LBB539_3:
                                        ; implicit-def: $vgpr4
                                        ; implicit-def: $vgpr5
                                        ; implicit-def: $sgpr22
	s_load_dwordx2 s[42:43], s[0:1], 0x20
	v_lshl_or_b32 v2, v69, 9, v2
.LBB539_4:
	v_or_b32_e32 v4, 0x100, v2
	s_movk_i32 s22, 0x4000
	v_mov_b32_e32 v5, v2
.LBB539_5:
	s_mul_hi_u32 s0, s14, s12
	s_mul_i32 s1, s56, s12
	s_add_i32 s0, s0, s1
	s_mul_i32 s1, s14, s12
	s_mul_i32 s20, s1, s24
	s_mul_hi_u32 s21, s1, s53
	s_add_i32 s20, s21, s20
	s_mul_i32 s0, s0, s53
	s_add_i32 s20, s20, s0
	s_mul_i32 s1, s1, s53
	s_ashr_i32 s61, s57, 31
	s_add_u32 s0, s1, s57
	s_addc_u32 s1, s20, s61
	s_lshl_b64 s[0:1], s[0:1], 8
	s_add_u32 s20, s4, s0
	s_addc_u32 s0, s5, s1
	s_and_b32 s21, s0, 0xffff
	s_movk_i32 s62, 0x80
	buffer_load_dwordx4 v[6:9], v5, s[20:23], 0 offen
	buffer_load_dwordx4 v[10:13], v5, s[20:23], s62 offen
	;; [unrolled: 1-line block ×4, first 2 shown]
	v_and_b32_e32 v4, 6, v0
	v_lshlrev_b32_e32 v22, 2, v64
	v_lshlrev_b32_e32 v23, 3, v64
	v_xor_b32_e32 v25, v69, v4
	v_and_b32_e32 v5, 1, v0
	s_mul_i32 s24, s24, s12
	s_mul_hi_u32 s0, s53, s12
	v_lshl_or_b32 v23, v67, 5, v23
	v_xor_b32_e32 v26, v67, v22
	v_lshlrev_b32_e32 v25, 2, v25
	v_or_b32_e32 v75, 0x9000, v23
	v_or_b32_e32 v76, 0x9800, v23
	v_lshlrev_b32_e32 v23, 1, v26
	v_xor_b32_e32 v26, 0x440, v25
	v_cmp_eq_u32_e32 vcc, 0, v5
	s_add_i32 s67, s0, s24
	s_add_i32 s0, s46, s33
	v_cndmask_b32_e32 v5, v26, v25, vcc
	s_add_i32 s1, s48, s47
	s_add_i32 s37, s0, s50
	s_mov_b32 s65, 0x1000504
	v_lshlrev_b32_e32 v24, 8, v64
	s_mov_b32 s20, 0x8000
	v_xor_b32_e32 v22, v68, v22
	v_lshl_or_b32 v4, v4, 10, v5
	s_add_i32 s35, s1, s49
	s_lshl_b64 s[0:1], s[36:37], 2
	s_mov_b32 s66, 0x3020706
	v_lshlrev_b32_e32 v22, 1, v22
	v_or3_b32 v77, v23, v24, s20
	v_xor_b32_e32 v5, 8, v4
	v_xor_b32_e32 v23, 24, v4
	;; [unrolled: 1-line block ×4, first 2 shown]
	s_add_u32 s21, s10, s0
	v_or3_b32 v78, v22, v24, s20
	v_xor_b32_e32 v22, 16, v4
	v_xor_b32_e32 v24, 32, v4
	;; [unrolled: 1-line block ×3, first 2 shown]
	v_add_u32_e32 v5, 0x80, v5
	v_add_u32_e32 v23, 0x80, v23
	;; [unrolled: 1-line block ×4, first 2 shown]
	s_addc_u32 s22, s11, s1
	s_lshl_b64 s[0:1], s[34:35], 2
	s_add_u32 s44, s21, s0
	s_movk_i32 s0, 0xf8
	s_addc_u32 s45, s22, s1
	s_ashr_i32 s39, s38, 31
	v_ashrrev_i32_e32 v47, 31, v46
	s_lshl_b32 s26, s15, 7
	s_mul_i32 s63, s53, s12
	s_mov_b32 s64, 0
	s_mov_b32 s37, 0x7060302
	s_movk_i32 s22, 0x4000
	s_mov_b32 s68, 0
	s_waitcnt vmcnt(1)
	v_perm_b32 v28, v6, v14, s65
	s_waitcnt vmcnt(0)
	v_perm_b32 v29, v10, v18, s65
	v_perm_b32 v6, v6, v14, s66
	;; [unrolled: 1-line block ×15, first 2 shown]
	ds_write2st64_b32 v4, v28, v29 offset1:32
	ds_write2st64_b32 v5, v6, v10 offset1:32
	ds_write2st64_b32 v22, v14, v18 offset0:1 offset1:33
	ds_write2st64_b32 v23, v7, v11 offset0:1 offset1:33
	;; [unrolled: 1-line block ×6, first 2 shown]
	v_or_b32_e32 v4, v1, v64
	v_lshlrev_b32_e32 v4, 3, v4
	v_lshrrev_b32_e32 v6, 5, v45
	v_and_or_b32 v6, v4, s0, v6
	v_lshlrev_b32_e32 v6, 4, v6
	v_lshrrev_b32_e32 v5, 2, v45
	v_lshlrev_b32_e32 v13, 11, v62
	v_and_b32_e32 v4, 0x78, v4
	v_or_b32_e32 v9, 32, v6
	v_and_b32_e32 v12, 12, v5
	v_and_b32_e32 v5, 0x1000, v13
	v_lshrrev_b32_e32 v8, 1, v45
	v_xor_b32_e32 v9, v9, v4
	v_and_b32_e32 v8, 8, v8
	v_or_b32_e32 v9, v9, v5
	v_xor_b32_e32 v7, v6, v4
	v_xor_b32_e32 v81, v9, v8
	v_or_b32_e32 v9, 64, v6
	v_or_b32_e32 v6, 0x60, v6
	v_xor_b32_e32 v9, v9, v4
	v_xor_b32_e32 v4, v6, v4
	v_or_b32_e32 v7, v7, v5
	v_or_b32_e32 v9, v9, v5
	;; [unrolled: 1-line block ×3, first 2 shown]
	v_xor_b32_e32 v79, v7, v8
	v_xor_b32_e32 v82, v9, v8
	;; [unrolled: 1-line block ×3, first 2 shown]
	v_lshrrev_b32_e32 v8, 4, v0
	v_lshlrev_b32_e32 v9, 1, v64
	v_or_b32_e32 v10, 1, v9
	v_xor_b32_e32 v9, v8, v9
	s_lshl_b64 s[0:1], s[38:39], 8
	v_xor_b32_e32 v10, v10, v8
	v_lshlrev_b32_e32 v9, 3, v9
	v_lshlrev_b32_e32 v8, 8, v8
	v_lshlrev_b64 v[4:5], 1, v[46:47]
	s_add_u32 s0, s18, s0
	v_or3_b32 v47, v9, v8, s20
	v_lshlrev_b32_e32 v9, 3, v10
	s_addc_u32 s1, s19, s1
	v_or3_b32 v85, v9, v8, s20
	v_mov_b32_e32 v9, 0
	v_lshrrev_b32_e32 v19, 1, v0
	v_lshl_add_u64 v[10:11], s[0:1], 0, v[8:9]
	v_lshlrev_b32_e32 v8, 4, v64
	s_movk_i32 s0, 0xff
	v_lshlrev_b32_e32 v18, 3, v62
	v_and_b32_e32 v19, 24, v19
	v_lshl_add_u64 v[56:57], v[10:11], 0, v[8:9]
	v_and_b32_e32 v8, 7, v0
	v_and_b32_e32 v11, 8, v0
	v_cmp_lt_u32_e32 vcc, s0, v0
	v_xor_b32_e32 v20, v18, v19
	v_lshlrev_b32_e32 v16, 3, v8
	v_lshlrev_b32_e32 v17, 7, v8
	v_cndmask_b32_e64 v8, 0, 1, vcc
	v_or_b32_e32 v21, 0x440, v20
	v_cmp_eq_u32_e32 vcc, 0, v11
	v_or_b32_e32 v23, 64, v19
	v_xor_b32_e32 v23, v18, v23
	v_cndmask_b32_e32 v11, v21, v20, vcc
	v_or_b32_e32 v21, 32, v19
	v_or_b32_e32 v19, 0x60, v19
	v_xor_b32_e32 v21, v18, v21
	v_xor_b32_e32 v18, v18, v19
	v_or_b32_e32 v22, 0x440, v21
	v_xor_b32_e32 v24, 0x440, v23
	v_xor_b32_e32 v19, 0x440, v18
	v_cndmask_b32_e32 v21, v22, v21, vcc
	v_cndmask_b32_e32 v23, v24, v23, vcc
	;; [unrolled: 1-line block ×3, first 2 shown]
	v_and_b32_e32 v7, 0x78, v65
	v_or_b32_e32 v11, v11, v13
	v_or_b32_e32 v21, v21, v13
	;; [unrolled: 1-line block ×4, first 2 shown]
	v_lshl_or_b32 v7, v63, 7, v7
	v_lshlrev_b32_e32 v8, 13, v8
	v_xor_b32_e32 v11, v11, v16
	v_xor_b32_e32 v21, v21, v16
	;; [unrolled: 1-line block ×4, first 2 shown]
	v_or_b32_e32 v80, 0x9000, v7
	v_or_b32_e32 v84, 0x9800, v7
	v_lshl_add_u64 v[6:7], s[8:9], 0, v[4:5]
	v_lshl_add_u64 v[4:5], s[28:29], 0, v[4:5]
	v_lshlrev_b32_e32 v14, 1, v3
	v_add_lshl_u32 v3, v3, s15, 1
	v_or_b32_e32 v15, 0x100, v2
	v_or_b32_e32 v10, v12, v1
	v_add_u32_e32 v20, v8, v11
	v_add_u32_e32 v22, v8, v21
	;; [unrolled: 1-line block ×4, first 2 shown]
	v_or3_b32 v12, v1, v12, 64
	v_add_u32_e32 v11, 0x2000, v11
	v_add_u32_e32 v18, 0x2000, v21
	;; [unrolled: 1-line block ×4, first 2 shown]
	v_lshlrev_b32_e32 v8, 8, v67
	v_cndmask_b32_e64 v86, v14, v2, s[2:3]
	v_cndmask_b32_e64 v87, v3, v15, s[2:3]
	v_lshl_add_u64 v[58:59], v[6:7], 0, v[8:9]
	v_lshl_add_u64 v[60:61], v[4:5], 0, v[8:9]
	s_add_i32 s35, s63, 63
	v_lshlrev_b32_e32 v88, 2, v10
	v_add_u32_e32 v89, v20, v17
	v_add_u32_e32 v90, v22, v17
	;; [unrolled: 1-line block ×4, first 2 shown]
	v_lshlrev_b32_e32 v93, 2, v12
	v_add_u32_e32 v94, v11, v17
	v_add_u32_e32 v95, v18, v17
	;; [unrolled: 1-line block ×4, first 2 shown]
	s_waitcnt lgkmcnt(0)
	s_barrier
.LBB539_6:                              ; =>This Inner Loop Header: Depth=1
	s_add_i32 s39, s68, 1
	s_cmp_lt_i32 s39, s54
	s_mov_b64 s[24:25], 0
	s_cselect_b64 s[2:3], -1, 0
	s_cmp_ge_i32 s39, s54
	s_mov_b64 s[20:21], 0
	s_cbranch_scc1 .LBB539_8
; %bb.7:                                ;   in Loop: Header=BB539_6 Depth=1
	s_add_i32 s0, s64, 64
	s_add_u32 s0, s16, s0
	s_addc_u32 s1, s17, 0
	s_lshl_b64 s[0:1], s[0:1], 8
	s_add_u32 s20, s6, s0
	s_addc_u32 s21, s7, s1
.LBB539_8:                              ;   in Loop: Header=BB539_6 Depth=1
	v_cndmask_b32_e64 v2, 0, 1, s[2:3]
	v_cmp_ne_u32_e64 s[0:1], 1, v2
	s_andn2_b64 vcc, exec, s[2:3]
	s_cbranch_vccnz .LBB539_10
; %bb.9:                                ;   in Loop: Header=BB539_6 Depth=1
	s_add_i32 s2, s64, 64
	s_add_u32 s2, s63, s2
	s_addc_u32 s3, s67, 0
	s_mul_i32 s24, s2, s56
	s_mul_hi_u32 s25, s2, s60
	s_add_i32 s24, s25, s24
	s_mul_i32 s3, s3, s60
	s_add_i32 s24, s24, s3
	s_mul_i32 s2, s2, s60
	s_add_u32 s2, s2, s57
	s_addc_u32 s3, s24, s61
	s_lshl_b64 s[2:3], s[2:3], 8
	s_add_u32 s24, s4, s2
	s_addc_u32 s25, s5, s3
.LBB539_10:                             ;   in Loop: Header=BB539_6 Depth=1
	v_perm_b32 v3, v55, v54, s37
	v_perm_b32 v2, v51, v50, s37
	;; [unrolled: 1-line block ×4, first 2 shown]
	ds_write_b64 v75, v[2:3]
	ds_write_b64 v76, v[4:5]
	;; [unrolled: 1-line block ×4, first 2 shown]
	s_waitcnt lgkmcnt(0)
	s_barrier
	ds_read_b64 v[10:11], v79 offset:16384
	ds_read_b64 v[12:13], v81 offset:16384
	ds_read2st64_b64 v[2:5], v80 offset1:1
	ds_read2st64_b64 v[6:9], v80 offset0:2 offset1:3
	ds_read_b64 v[14:15], v82 offset:16384
	s_waitcnt lgkmcnt(2)
	v_mfma_f32_16x16x16_bf16 a[0:3], v[10:11], v[2:3], 0
	ds_read_b64 v[2:3], v83 offset:16384
	s_add_i32 s2, s64, 63
	s_mul_i32 s3, s2, s31
	v_mfma_f32_16x16x16_bf16 a[0:3], v[12:13], v[4:5], a[0:3]
	s_mul_hi_u32 s27, s2, s30
	s_add_i32 s3, s27, s3
	s_mul_i32 s2, s2, s30
	s_waitcnt lgkmcnt(1)
	v_mfma_f32_16x16x16_bf16 a[0:3], v[14:15], v[6:7], a[0:3]
	s_lshl_b64 s[2:3], s[2:3], 2
	s_add_u32 s2, s44, s2
	s_addc_u32 s3, s45, s3
	s_waitcnt lgkmcnt(0)
	v_mfma_f32_16x16x16_bf16 a[0:3], v[2:3], v[8:9], a[0:3]
	s_and_b64 vcc, exec, s[0:1]
	v_mov_b32_e32 v100, 0
	v_mov_b32_e32 v99, 0
	;; [unrolled: 1-line block ×19, first 2 shown]
	s_cbranch_vccnz .LBB539_12
; %bb.11:                               ;   in Loop: Header=BB539_6 Depth=1
	s_and_b32 s21, s21, 0xffff
	buffer_load_dwordx4 v[14:17], v71, s[20:23], 0 offen
	buffer_load_dwordx4 v[10:13], v71, s[20:23], s62 offen
	;; [unrolled: 1-line block ×4, first 2 shown]
	v_mov_b32_e32 v99, v73
	v_mov_b32_e32 v98, v74
.LBB539_12:                             ;   in Loop: Header=BB539_6 Depth=1
	v_add_u32_e32 v24, s64, v67
	v_ashrrev_i32_e32 v18, 31, v24
	v_mul_lo_u32 v20, v18, s30
	v_mul_lo_u32 v21, v24, s31
	v_mad_u64_u32 v[18:19], s[20:21], v24, s30, 0
	v_add3_u32 v19, v19, v21, v20
	v_add_u32_e32 v20, 1, v24
	v_ashrrev_i32_e32 v21, 31, v20
	v_mul_lo_u32 v22, v21, s30
	v_mul_lo_u32 v23, v20, s31
	v_mad_u64_u32 v[20:21], s[20:21], v20, s30, 0
	v_add3_u32 v21, v21, v23, v22
	v_add_u32_e32 v22, 2, v24
	v_ashrrev_i32_e32 v23, 31, v22
	v_mul_lo_u32 v25, v23, s30
	v_mul_lo_u32 v26, v22, s31
	v_mad_u64_u32 v[22:23], s[20:21], v22, s30, 0
	s_add_u32 s20, s16, s64
	v_add3_u32 v23, v23, v26, v25
	v_add_u32_e32 v26, 3, v24
	s_addc_u32 s21, s17, 0
	v_ashrrev_i32_e32 v24, 31, v26
	s_lshl_b64 s[20:21], s[20:21], 8
	v_lshl_add_u64 v[18:19], v[18:19], 2, s[44:45]
	v_mul_lo_u32 v27, v24, s30
	v_lshl_add_u64 v[24:25], v[58:59], 0, s[20:21]
	v_mul_lo_u32 v28, v26, s31
	global_load_ushort v38, v[24:25], off
	global_load_ushort v39, v[24:25], off offset:256
	global_load_ushort v40, v[24:25], off offset:512
	;; [unrolled: 1-line block ×3, first 2 shown]
	global_load_dword v42, v[18:19], off
	v_mad_u64_u32 v[18:19], s[70:71], v26, s30, 0
	v_lshl_add_u64 v[20:21], v[20:21], 2, s[44:45]
	v_add3_u32 v19, v19, v28, v27
	v_lshl_add_u64 v[22:23], v[22:23], 2, s[44:45]
	v_lshl_add_u64 v[18:19], v[18:19], 2, s[44:45]
	global_load_dword v43, v[20:21], off
	global_load_dword v44, v[22:23], off
	;; [unrolled: 1-line block ×3, first 2 shown]
	s_load_dword s2, s[2:3], 0x0
	ds_read_b64 v[26:27], v79 offset:24576
	ds_read2st64_b64 v[22:25], v84 offset1:1
	ds_read2st64_b64 v[28:31], v84 offset0:2 offset1:3
	ds_read_b64 v[32:33], v81 offset:24576
	ds_read_b64 v[34:35], v82 offset:24576
	;; [unrolled: 1-line block ×3, first 2 shown]
	s_waitcnt lgkmcnt(0)
	v_mfma_f32_16x16x16_bf16 a[0:3], v[26:27], v[22:23], a[0:3]
	v_mov_b32_e32 v101, 0
	v_mov_b32_e32 v18, 0
	;; [unrolled: 1-line block ×3, first 2 shown]
	v_mfma_f32_16x16x16_bf16 a[0:3], v[32:33], v[24:25], a[0:3]
	v_mov_b32_e32 v20, 0
	v_mov_b32_e32 v21, 0
	;; [unrolled: 1-line block ×3, first 2 shown]
	v_mfma_f32_16x16x16_bf16 a[0:3], v[34:35], v[28:29], a[0:3]
	v_lshl_add_u64 v[28:29], v[60:61], 0, s[20:21]
	v_mov_b32_e32 v23, 0
	v_mov_b32_e32 v24, 0
	v_mfma_f32_16x16x16_bf16 a[0:3], v[36:37], v[30:31], a[0:3]
	v_mov_b32_e32 v25, 0
	v_mov_b32_e32 v26, 0
	;; [unrolled: 1-line block ×3, first 2 shown]
	s_and_b64 vcc, exec, s[0:1]
	s_waitcnt vmcnt(7)
	v_lshlrev_b32_e32 v34, 16, v38
	s_nop 0
	v_accvgpr_read_b32 v33, a1
	v_accvgpr_read_b32 v31, a3
	;; [unrolled: 1-line block ×4, first 2 shown]
	s_waitcnt vmcnt(6)
	v_lshlrev_b32_e32 v35, 16, v39
	s_waitcnt vmcnt(4)
	v_lshlrev_b32_e32 v37, 16, v41
	v_lshlrev_b32_e32 v36, 16, v40
	s_waitcnt vmcnt(3)
	v_sub_f32_e32 v38, s2, v42
	v_pk_add_f32 v[32:33], v[34:35], v[32:33] neg_lo:[0,1] neg_hi:[0,1]
	v_pk_add_f32 v[30:31], v[36:37], v[30:31] neg_lo:[0,1] neg_hi:[0,1]
	s_waitcnt vmcnt(2)
	v_sub_f32_e32 v35, s2, v43
	s_waitcnt vmcnt(1)
	v_sub_f32_e32 v36, s2, v44
	;; [unrolled: 2-line block ×3, first 2 shown]
	v_exp_f32_e32 v34, v38
	v_exp_f32_e32 v35, v35
	;; [unrolled: 1-line block ×4, first 2 shown]
	global_store_short_d16_hi v[28:29], v32, off
	global_store_short_d16_hi v[28:29], v33, off offset:256
	global_store_short_d16_hi v[28:29], v30, off offset:512
	;; [unrolled: 1-line block ×3, first 2 shown]
	v_pk_mul_f32 v[28:29], v[34:35], v[32:33]
	v_pk_mul_f32 v[30:31], v[36:37], v[30:31]
	v_perm_b32 v28, v29, v28, s37
	v_perm_b32 v29, v31, v30, s37
	ds_write_b64 v76, v[28:29]
	v_mov_b32_e32 v28, 0
	v_mov_b32_e32 v29, 0
	;; [unrolled: 1-line block ×6, first 2 shown]
	s_cbranch_vccnz .LBB539_14
; %bb.13:                               ;   in Loop: Header=BB539_6 Depth=1
	s_and_b32 s25, s25, 0xffff
	s_mov_b32 s27, s23
	buffer_load_dwordx4 v[30:33], v86, s[24:27], 0 offen
	buffer_load_dwordx4 v[22:25], v86, s[24:27], s62 offen
	;; [unrolled: 1-line block ×4, first 2 shown]
	v_mov_b32_e32 v100, v70
	v_mov_b32_e32 v101, v69
.LBB539_14:                             ;   in Loop: Header=BB539_6 Depth=1
	s_waitcnt lgkmcnt(0)
	s_barrier
	ds_read_b64 v[34:35], v89
	ds_read_b64 v[40:41], v90
	ds_read2st64_b64 v[36:39], v84 offset1:1
	ds_read2st64_b64 v[102:105], v84 offset0:2 offset1:3
	ds_read_b64 v[42:43], v91
	ds_read_b64 v[110:111], v92
	s_add_i32 s3, s58, s68
	s_mul_hi_i32 s21, s3, s13
	s_mul_i32 s3, s3, s13
	s_waitcnt lgkmcnt(3)
	v_mfma_f32_16x16x16_bf16 a[0:3], v[34:35], v[36:37], 0
	ds_read_b64 v[34:35], v94
	s_add_u32 s20, s3, s51
	s_addc_u32 s21, s21, s55
	s_add_i32 s3, s35, s64
	v_mfma_f32_16x16x16_bf16 a[0:3], v[40:41], v[38:39], a[0:3]
	ds_read_b64 v[40:41], v95
	s_lshl_b64 s[20:21], s[20:21], 15
	s_mul_hi_i32 s25, s3, s13
	s_mul_i32 s3, s3, s13
	s_add_u32 s24, s3, s51
	s_addc_u32 s25, s25, s55
	s_lshl_b64 s[24:25], s[24:25], 9
	s_add_u32 s24, s42, s24
	s_waitcnt lgkmcnt(1)
	v_mfma_f32_16x16x16_bf16 a[4:7], v[34:35], v[36:37], 0
	s_addc_u32 s25, s43, s25
	s_and_b64 vcc, exec, s[0:1]
	v_mfma_f32_16x16x16_bf16 a[0:3], v[42:43], v[102:103], a[0:3]
	ds_read_b64 v[42:43], v96
	ds_read_b64 v[112:113], v97
	global_load_dwordx4 v[34:37], v93, s[24:25]
	s_waitcnt lgkmcnt(2)
	v_mfma_f32_16x16x16_bf16 a[4:7], v[40:41], v[38:39], a[4:7]
	global_load_dwordx4 v[38:41], v88, s[24:25]
	ds_read_b64 v[106:107], v47
	ds_read_b64 v[108:109], v85
	s_waitcnt lgkmcnt(3)
	v_mfma_f32_16x16x16_bf16 a[8:11], v[42:43], v[102:103], a[4:7]
	v_lshl_add_u64 v[42:43], v[56:57], 0, s[20:21]
	s_waitcnt lgkmcnt(0)
	global_store_dwordx4 v[42:43], v[106:109], off
	v_mfma_f32_16x16x16_bf16 a[4:7], v[110:111], v[104:105], a[0:3]
	s_waitcnt vmcnt(2)
	v_mov_b32_e32 v44, v37
	v_mfma_f32_16x16x16_bf16 a[0:3], v[112:113], v[104:105], a[8:11]
	v_mov_b32_e32 v43, v36
	v_mov_b32_e32 v42, v35
	s_cbranch_vccnz .LBB539_16
; %bb.15:                               ;   in Loop: Header=BB539_6 Depth=1
	v_lshrrev_b32_e32 v35, 3, v100
	v_and_b32_e32 v35, 6, v35
	v_xor_b32_e32 v36, v35, v101
	v_lshlrev_b32_e32 v36, 2, v36
	v_and_b32_e32 v37, 8, v100
	v_xor_b32_e32 v100, 0x440, v36
	v_cmp_eq_u32_e32 vcc, 0, v37
	v_perm_b32 v37, v22, v18, s65
	s_nop 0
	v_cndmask_b32_e32 v36, v100, v36, vcc
	v_lshl_or_b32 v35, v35, 10, v36
	v_perm_b32 v36, v30, v26, s65
	s_barrier
	ds_write2st64_b32 v35, v36, v37 offset1:32
	v_xor_b32_e32 v36, 8, v35
	v_perm_b32 v26, v30, v26, s66
	v_perm_b32 v18, v22, v18, s66
	v_add_u32_e32 v22, 0x80, v36
	ds_write2st64_b32 v22, v26, v18 offset1:32
	v_xor_b32_e32 v18, 16, v35
	v_perm_b32 v22, v31, v27, s65
	v_perm_b32 v26, v23, v19, s65
	ds_write2st64_b32 v18, v22, v26 offset0:1 offset1:33
	v_xor_b32_e32 v18, 24, v35
	v_perm_b32 v22, v31, v27, s66
	v_perm_b32 v19, v23, v19, s66
	v_add_u32_e32 v18, 0x80, v18
	ds_write2st64_b32 v18, v22, v19 offset0:1 offset1:33
	v_xor_b32_e32 v18, 32, v35
	v_perm_b32 v19, v32, v28, s65
	v_perm_b32 v22, v24, v20, s65
	ds_write2st64_b32 v18, v19, v22 offset0:2 offset1:34
	v_xor_b32_e32 v18, 40, v35
	v_perm_b32 v19, v32, v28, s66
	v_perm_b32 v20, v24, v20, s66
	v_add_u32_e32 v18, 0x80, v18
	ds_write2st64_b32 v18, v19, v20 offset0:2 offset1:34
	;; [unrolled: 9-line block ×3, first 2 shown]
	ds_write_b64 v99, v[14:15] offset:16384
	v_xor_b32_e32 v14, 8, v99
	ds_write_b64 v14, v[16:17] offset:16384
	ds_write_b64 v99, v[10:11] offset:24576
	ds_write_b64 v14, v[12:13] offset:24576
	ds_write_b64 v98, v[6:7] offset:16384
	v_xor_b32_e32 v6, 8, v98
	ds_write_b64 v6, v[8:9] offset:16384
	ds_write_b64 v98, v[2:3] offset:24576
	;; [unrolled: 1-line block ×3, first 2 shown]
.LBB539_16:                             ;   in Loop: Header=BB539_6 Depth=1
	v_exp_f32_e32 v10, s2
	s_waitcnt vmcnt(1)
	v_exp_f32_e32 v12, v38
	v_exp_f32_e32 v13, v39
	;; [unrolled: 1-line block ×4, first 2 shown]
	v_accvgpr_read_b32 v2, a4
	v_accvgpr_read_b32 v3, a5
	v_pk_mul_f32 v[12:13], v[10:11], v[12:13] op_sel_hi:[0,1]
	v_pk_fma_f32 v[50:51], v[50:51], v[12:13], v[2:3]
	v_exp_f32_e32 v12, v34
	v_exp_f32_e32 v13, v42
	v_pk_mul_f32 v[2:3], v[10:11], v[14:15] op_sel_hi:[0,1]
	v_exp_f32_e32 v14, v43
	v_exp_f32_e32 v15, v44
	v_accvgpr_read_b32 v4, a6
	v_accvgpr_read_b32 v5, a7
	;; [unrolled: 1-line block ×5, first 2 shown]
	v_pk_fma_f32 v[54:55], v[54:55], v[2:3], v[4:5]
	v_pk_mul_f32 v[2:3], v[10:11], v[12:13] op_sel_hi:[0,1]
	v_accvgpr_read_b32 v8, a2
	v_pk_fma_f32 v[48:49], v[48:49], v[2:3], v[6:7]
	v_pk_mul_f32 v[2:3], v[10:11], v[14:15] op_sel_hi:[0,1]
	s_add_i32 s64, s64, 64
	s_cmp_eq_u32 s54, s39
	v_pk_fma_f32 v[52:53], v[52:53], v[2:3], v[8:9]
	s_cbranch_scc1 .LBB539_18
; %bb.17:                               ;   in Loop: Header=BB539_6 Depth=1
	s_mov_b32 s68, s39
	s_branch .LBB539_6
.LBB539_18:
	s_lshl_b32 s26, s54, 6
	s_sub_i32 s27, s12, s26
	s_cmp_gt_i32 s27, 0
	s_cbranch_scc0 .LBB539_75
; %bb.19:
	s_ashr_i32 s2, s26, 31
	s_cmpk_lg_i32 s15, 0x80
	s_cselect_b64 s[22:23], -1, 0
	s_and_b64 vcc, exec, s[22:23]
	s_cbranch_vccz .LBB539_21
; %bb.20:
	s_mul_i32 s1, s53, s12
	s_mul_hi_i32 s0, s53, s12
	s_add_u32 s1, s1, s26
	s_addc_u32 s0, s0, s2
	s_mul_i32 s3, s1, s56
	s_mul_hi_u32 s17, s1, s14
	s_add_i32 s3, s17, s3
	s_mul_i32 s0, s0, s14
	s_add_i32 s3, s3, s0
	s_mul_i32 s1, s1, s14
	s_ashr_i32 s0, s57, 31
	s_add_u32 s24, s1, s57
	s_addc_u32 s25, s3, s0
	s_cbranch_execz .LBB539_22
	s_branch .LBB539_23
.LBB539_21:
                                        ; implicit-def: $sgpr24_sgpr25
.LBB539_22:
	s_mul_hi_i32 s0, s53, s14
	s_mul_i32 s53, s53, s14
	s_ashr_i32 s1, s57, 31
	s_add_u32 s3, s53, s57
	s_addc_u32 s0, s0, s1
	s_mul_i32 s1, s3, s52
	s_mul_hi_u32 s14, s3, s12
	s_add_i32 s1, s14, s1
	s_mul_i32 s0, s0, s12
	s_add_i32 s1, s1, s0
	s_mul_i32 s3, s3, s12
	s_add_u32 s24, s3, s26
	s_addc_u32 s25, s1, s2
.LBB539_23:
	s_mul_i32 s0, s40, s52
	s_add_i32 s0, s59, s0
	s_add_i32 s3, s58, s54
	;; [unrolled: 1-line block ×3, first 2 shown]
	s_add_u32 s0, s16, s26
	s_addc_u32 s1, s1, s2
	s_mov_b32 s2, 0x7060302
	v_lshlrev_b32_e32 v6, 3, v64
	s_lshl_b64 s[20:21], s[0:1], 8
	v_perm_b32 v3, v55, v54, s2
	v_perm_b32 v2, v51, v50, s2
	;; [unrolled: 1-line block ×4, first 2 shown]
	v_lshlrev_b32_e32 v34, 2, v64
	v_lshl_or_b32 v6, v67, 5, v6
	s_waitcnt lgkmcnt(0)
	s_add_u32 s0, s6, s20
	ds_write2st64_b64 v6, v[2:3], v[4:5] offset0:72 offset1:76
	v_xor_b32_e32 v6, v67, v34
	v_lshlrev_b32_e32 v7, 8, v64
	s_addc_u32 s1, s7, s21
	v_lshl_or_b32 v6, v6, 1, v7
	s_mul_hi_i32 s6, s3, s13
	s_mul_i32 s3, s3, s13
	ds_write_b64 v6, v[2:3] offset:32768
	v_xor_b32_e32 v2, v68, v34
	s_add_u32 s2, s3, s51
	v_lshl_or_b32 v2, v2, 1, v7
	s_addc_u32 s3, s6, s55
	v_lshlrev_b32_e32 v3, 1, v64
	ds_write_b64 v2, v[4:5] offset:32768
	v_lshrrev_b32_e32 v2, 4, v0
	s_ashr_i32 s39, s38, 31
	s_lshl_b64 s[2:3], s[2:3], 15
	v_or_b32_e32 v4, 1, v3
	s_add_u32 s6, s18, s2
	v_xor_b32_e32 v3, v2, v3
	v_xor_b32_e32 v4, v4, v2
	v_lshlrev_b32_e32 v6, 8, v2
	s_addc_u32 s7, s19, s3
	s_lshl_b64 s[2:3], s[38:39], 8
	v_lshl_or_b32 v2, v3, 3, v6
	v_lshl_or_b32 v4, v4, 3, v6
	s_waitcnt lgkmcnt(0)
	s_barrier
	s_add_u32 s2, s6, s2
	ds_read_b64 v[2:3], v2 offset:32768
	ds_read_b64 v[4:5], v4 offset:32768
	s_addc_u32 s3, s7, s3
	v_mov_b32_e32 v7, 0
	s_cmp_lg_u32 s27, 64
	v_lshl_add_u64 v[8:9], s[2:3], 0, v[6:7]
	v_lshlrev_b32_e32 v6, 4, v64
	s_cselect_b64 s[6:7], -1, 0
	v_lshl_or_b32 v35, v62, 3, v66
	s_mov_b32 s16, 0
	v_lshl_add_u64 v[6:7], v[8:9], 0, v[6:7]
	v_or_b32_e32 v19, 32, v35
	v_and_b32_e32 v18, 56, v65
	s_and_b64 vcc, exec, s[6:7]
	s_waitcnt lgkmcnt(0)
	global_store_dwordx4 v[6:7], v[2:5], off
	s_cbranch_vccz .LBB539_29
; %bb.24:
	s_mov_b32 s17, s16
	s_mov_b32 s18, s16
	;; [unrolled: 1-line block ×3, first 2 shown]
	v_mov_b64_e32 v[6:7], s[16:17]
	v_mov_b64_e32 v[8:9], s[18:19]
	;; [unrolled: 1-line block ×3, first 2 shown]
	v_cmp_gt_i32_e32 vcc, s27, v35
	v_mov_b64_e32 v[4:5], v[8:9]
	s_and_saveexec_b64 s[2:3], vcc
	s_cbranch_execz .LBB539_26
; %bb.25:
	v_lshlrev_b32_e32 v2, 8, v35
	v_mov_b32_e32 v3, 0
	v_lshl_add_u64 v[4:5], s[0:1], 0, v[2:3]
	v_lshlrev_b32_e32 v2, 1, v18
	v_lshl_add_u64 v[10:11], v[4:5], 0, v[2:3]
	global_load_dwordx4 v[6:9], v[10:11], off
	global_load_dwordx4 v[2:5], v[10:11], off offset:128
.LBB539_26:
	s_or_b64 exec, exec, s[2:3]
	s_mov_b32 s17, s16
	s_mov_b32 s18, s16
	;; [unrolled: 1-line block ×3, first 2 shown]
	v_mov_b64_e32 v[14:15], s[16:17]
	v_mov_b64_e32 v[16:17], s[18:19]
	;; [unrolled: 1-line block ×3, first 2 shown]
	v_cmp_gt_i32_e32 vcc, s27, v19
	v_lshlrev_b32_e32 v20, 7, v19
	v_mov_b64_e32 v[12:13], v[16:17]
	s_and_saveexec_b64 s[2:3], vcc
	s_cbranch_execz .LBB539_28
; %bb.27:
	v_lshlrev_b32_e32 v10, 1, v20
	v_mov_b32_e32 v11, 0
	v_lshl_add_u64 v[12:13], s[0:1], 0, v[10:11]
	v_lshlrev_b32_e32 v10, 1, v18
	v_lshl_add_u64 v[22:23], v[12:13], 0, v[10:11]
	global_load_dwordx4 v[14:17], v[22:23], off
	global_load_dwordx4 v[10:13], v[22:23], off offset:128
.LBB539_28:
	s_or_b64 exec, exec, s[2:3]
	v_lshrrev_b32_e32 v21, 3, v18
	v_lshlrev_b32_e32 v22, 3, v35
	v_or_b32_e32 v21, v22, v21
	v_lshlrev_b32_e32 v21, 4, v21
	v_and_b32_e32 v22, 0x78, v22
	v_xor_b32_e32 v21, v21, v22
	s_branch .LBB539_31
.LBB539_29:
                                        ; implicit-def: $vgpr21
                                        ; implicit-def: $vgpr20
                                        ; implicit-def: $vgpr6_vgpr7_vgpr8_vgpr9
                                        ; implicit-def: $vgpr2_vgpr3_vgpr4_vgpr5
                                        ; implicit-def: $vgpr14_vgpr15_vgpr16_vgpr17
                                        ; implicit-def: $vgpr10_vgpr11_vgpr12_vgpr13
	s_cbranch_execz .LBB539_31
; %bb.30:
	s_waitcnt vmcnt(0)
	v_lshlrev_b32_e32 v2, 1, v18
	v_lshl_or_b32 v20, v35, 8, v2
	s_and_b32 s1, s1, 0xffff
	s_mov_b32 s3, 0x20000
	s_movk_i32 s2, 0x4000
	v_lshl_or_b32 v21, v19, 8, v2
	s_movk_i32 s13, 0x80
	buffer_load_dwordx4 v[6:9], v20, s[0:3], 0 offen
	buffer_load_dwordx4 v[2:5], v20, s[0:3], s13 offen
	;; [unrolled: 1-line block ×4, first 2 shown]
	v_lshrrev_b32_e32 v20, 3, v18
	v_lshlrev_b32_e32 v21, 3, v35
	v_or_b32_e32 v20, v21, v20
	v_lshlrev_b32_e32 v20, 4, v20
	v_and_b32_e32 v21, 0x78, v21
	v_xor_b32_e32 v21, v20, v21
	v_lshlrev_b32_e32 v20, 7, v19
.LBB539_31:
	s_lshl_b64 s[0:1], s[24:25], 8
	s_add_u32 s4, s4, s0
	s_movk_i32 s0, 0x1000
	v_and_or_b32 v19, v20, s0, v21
	s_waitcnt vmcnt(1)
	ds_write_b64 v21, v[6:7] offset:16384
	v_xor_b32_e32 v6, 8, v21
	ds_write_b64 v6, v[8:9] offset:16384
	s_waitcnt vmcnt(0)
	ds_write_b64 v21, v[2:3] offset:24576
	ds_write_b64 v6, v[4:5] offset:24576
	;; [unrolled: 1-line block ×3, first 2 shown]
	v_xor_b32_e32 v2, 8, v19
	ds_write_b64 v2, v[16:17] offset:16384
	ds_write_b64 v19, v[10:11] offset:24576
	;; [unrolled: 1-line block ×3, first 2 shown]
	v_or_b32_e32 v2, v1, v64
	s_addc_u32 s5, s5, s1
	s_add_i32 s0, s12, -1
	v_lshlrev_b32_e32 v2, 3, v2
	v_lshrrev_b32_e32 v4, 5, v45
	s_movk_i32 s12, 0xf8
	v_and_or_b32 v4, v2, s12, v4
	v_lshlrev_b32_e32 v3, 11, v62
	v_lshlrev_b32_e32 v12, 4, v4
	v_and_b32_e32 v13, 0x78, v2
	v_and_b32_e32 v14, 0x1000, v3
	v_lshlrev_b32_e32 v3, 2, v0
	v_xor_b32_e32 v2, v12, v13
	v_lshrrev_b32_e32 v4, 1, v45
	v_and_b32_e32 v3, 60, v3
	v_or_b32_e32 v2, v2, v14
	v_and_b32_e32 v15, 8, v4
	v_xor_b32_e32 v26, v2, v15
	v_lshl_or_b32 v2, v63, 6, v3
	v_lshlrev_b32_e32 v19, 1, v2
	v_or_b32_e32 v2, 32, v12
	v_xor_b32_e32 v2, v2, v13
	s_waitcnt lgkmcnt(0)
	s_barrier
	ds_read_b64 v[10:11], v26 offset:16384
	v_or_b32_e32 v2, v2, v14
	v_xor_b32_e32 v27, v2, v15
	v_or_b32_e32 v2, 64, v12
	v_xor_b32_e32 v2, v2, v13
	v_or_b32_e32 v2, v2, v14
	v_or_b32_e32 v12, 0x60, v12
	v_xor_b32_e32 v28, v2, v15
	ds_read2st64_b64 v[2:5], v19 offset0:72 offset1:73
	ds_read2st64_b64 v[6:9], v19 offset0:74 offset1:75
	v_xor_b32_e32 v16, v12, v13
	ds_read_b64 v[12:13], v27 offset:16384
	s_add_i32 s1, s46, s33
	s_waitcnt lgkmcnt(2)
	v_mfma_f32_16x16x16_bf16 a[0:3], v[10:11], v[2:3], 0
	s_add_i32 s37, s1, s50
	s_add_i32 s1, s48, s47
	s_add_i32 s35, s1, s49
	s_ashr_i32 s1, s0, 31
	s_mul_i32 s2, s0, s31
	s_mul_hi_u32 s3, s0, s30
	s_add_i32 s2, s3, s2
	s_mul_i32 s1, s1, s30
	v_or_b32_e32 v14, v16, v14
	s_add_i32 s1, s2, s1
	s_lshl_b64 s[2:3], s[36:37], 2
	v_xor_b32_e32 v36, v14, v15
	ds_read_b64 v[14:15], v28 offset:16384
	ds_read_b64 v[16:17], v36 offset:16384
	s_waitcnt lgkmcnt(2)
	v_mfma_f32_16x16x16_bf16 a[0:3], v[12:13], v[4:5], a[0:3]
	s_add_u32 s10, s10, s2
	s_addc_u32 s11, s11, s3
	s_lshl_b64 s[2:3], s[34:35], 2
	s_mul_i32 s0, s0, s30
	s_add_u32 s10, s10, s2
	s_addc_u32 s11, s11, s3
	s_lshl_b64 s[0:1], s[0:1], 2
	s_waitcnt lgkmcnt(1)
	v_mfma_f32_16x16x16_bf16 a[0:3], v[14:15], v[6:7], a[0:3]
	s_add_u32 s0, s10, s0
	s_addc_u32 s1, s11, s1
	s_load_dword s12, s[0:1], 0x0
	s_waitcnt lgkmcnt(0)
	v_mfma_f32_16x16x16_bf16 a[0:3], v[16:17], v[8:9], a[0:3]
	s_and_b64 vcc, exec, s[22:23]
	s_cbranch_vccz .LBB539_42
; %bb.32:
	v_lshlrev_b32_e32 v20, 1, v35
	s_and_b64 vcc, exec, s[6:7]
	s_cbranch_vccz .LBB539_43
; %bb.33:
	v_cmp_gt_i32_e32 vcc, s27, v20
	v_mov_b32_e32 v6, 0
	v_mov_b32_e32 v2, 0
	;; [unrolled: 1-line block ×5, first 2 shown]
	s_and_saveexec_b64 s[0:1], vcc
	s_cbranch_execz .LBB539_35
; %bb.34:
	v_mad_i64_i32 v[2:3], s[2:3], s15, v20, 0
	v_lshl_add_u64 v[2:3], v[2:3], 1, s[4:5]
	v_lshlrev_b32_e32 v4, 1, v18
	v_mov_b32_e32 v5, 0
	v_lshl_add_u64 v[2:3], v[2:3], 0, v[4:5]
	global_load_dwordx4 v[2:5], v[2:3], off
.LBB539_35:
	s_or_b64 exec, exec, s[0:1]
	v_or_b32_e32 v21, 1, v20
	v_cmp_gt_i32_e64 s[0:1], s27, v21
	v_mov_b32_e32 v7, 0
	v_mov_b32_e32 v8, 0
	;; [unrolled: 1-line block ×3, first 2 shown]
	s_and_saveexec_b64 s[2:3], s[0:1]
	s_cbranch_execz .LBB539_37
; %bb.36:
	v_mad_i64_i32 v[6:7], s[16:17], s15, v21, 0
	v_lshl_add_u64 v[6:7], v[6:7], 1, s[4:5]
	v_lshlrev_b32_e32 v8, 1, v18
	v_mov_b32_e32 v9, 0
	v_lshl_add_u64 v[6:7], v[6:7], 0, v[8:9]
	global_load_dwordx4 v[6:9], v[6:7], off
.LBB539_37:
	s_or_b64 exec, exec, s[2:3]
	v_mov_b32_e32 v17, 0
	v_mov_b32_e32 v10, 0
	;; [unrolled: 1-line block ×5, first 2 shown]
	s_and_saveexec_b64 s[2:3], vcc
	s_cbranch_execz .LBB539_39
; %bb.38:
	v_mad_i64_i32 v[10:11], s[16:17], s15, v20, 0
	v_lshl_add_u64 v[10:11], v[10:11], 1, s[4:5]
	v_lshlrev_b32_e32 v12, 1, v18
	v_mov_b32_e32 v13, 0
	v_lshl_add_u64 v[10:11], v[10:11], 0, v[12:13]
	global_load_dwordx4 v[10:13], v[10:11], off offset:128
.LBB539_39:
	s_or_b64 exec, exec, s[2:3]
	v_mov_b32_e32 v16, 0
	v_mov_b32_e32 v15, 0
	;; [unrolled: 1-line block ×3, first 2 shown]
	s_and_saveexec_b64 s[2:3], s[0:1]
	s_cbranch_execz .LBB539_41
; %bb.40:
	v_mad_i64_i32 v[14:15], s[0:1], s15, v21, 0
	v_lshl_add_u64 v[14:15], v[14:15], 1, s[4:5]
	v_lshlrev_b32_e32 v16, 1, v18
	v_mov_b32_e32 v17, 0
	v_lshl_add_u64 v[14:15], v[14:15], 0, v[16:17]
	global_load_dwordx4 v[14:17], v[14:15], off offset:128
.LBB539_41:
	s_or_b64 exec, exec, s[2:3]
	s_branch .LBB539_45
.LBB539_42:
                                        ; implicit-def: $vgpr5
                                        ; implicit-def: $vgpr9
                                        ; implicit-def: $vgpr13
                                        ; implicit-def: $vgpr17
	v_lshrrev_b32_e32 v37, 2, v45
	s_branch .LBB539_46
.LBB539_43:
                                        ; implicit-def: $vgpr5
                                        ; implicit-def: $vgpr9
                                        ; implicit-def: $vgpr13
                                        ; implicit-def: $vgpr17
	s_cbranch_execz .LBB539_45
; %bb.44:
	s_waitcnt vmcnt(0)
	v_mad_u64_u32 v[2:3], s[0:1], v20, s15, v[18:19]
	v_lshlrev_b32_e32 v20, 1, v2
	s_lshl_b32 s2, s15, 7
	s_and_b32 s1, s5, 0xffff
	s_mov_b32 s3, 0x20000
	s_mov_b32 s0, s4
	v_add_lshl_u32 v21, v2, s15, 1
	s_movk_i32 s13, 0x80
	buffer_load_dwordx4 v[2:5], v20, s[0:3], 0 offen
	buffer_load_dwordx4 v[10:13], v20, s[0:3], s13 offen
	;; [unrolled: 1-line block ×4, first 2 shown]
.LBB539_45:
	v_lshrrev_b32_e32 v37, 2, v45
	s_cbranch_execnz .LBB539_58
.LBB539_46:
	s_and_b64 vcc, exec, s[6:7]
	s_cbranch_vccz .LBB539_56
; %bb.47:
	s_waitcnt vmcnt(0)
	v_lshlrev_b32_e32 v7, 1, v35
	v_cmp_gt_i32_e32 vcc, s27, v7
	v_mov_b32_e32 v6, 0
	v_lshlrev_b32_e32 v14, 9, v35
	v_mov_b32_e32 v2, 0
	v_mov_b32_e32 v3, 0
	;; [unrolled: 1-line block ×4, first 2 shown]
	s_and_saveexec_b64 s[0:1], vcc
	s_cbranch_execz .LBB539_49
; %bb.48:
	v_mov_b32_e32 v15, 0
	v_lshl_add_u64 v[2:3], s[4:5], 0, v[14:15]
	v_lshlrev_b32_e32 v4, 1, v18
	v_mov_b32_e32 v5, v15
	v_lshl_add_u64 v[2:3], v[2:3], 0, v[4:5]
	global_load_dwordx4 v[2:5], v[2:3], off
.LBB539_49:
	s_or_b64 exec, exec, s[0:1]
	v_or_b32_e32 v7, 1, v7
	v_cmp_gt_i32_e64 s[0:1], s27, v7
	v_lshlrev_b32_e32 v20, 8, v7
	v_mov_b32_e32 v7, 0
	v_mov_b32_e32 v8, 0
	;; [unrolled: 1-line block ×3, first 2 shown]
	s_and_saveexec_b64 s[2:3], s[0:1]
	s_cbranch_execz .LBB539_51
; %bb.50:
	v_mov_b32_e32 v21, 0
	v_lshl_add_u64 v[6:7], s[4:5], 0, v[20:21]
	v_lshlrev_b32_e32 v8, 1, v18
	v_mov_b32_e32 v9, v21
	v_lshl_add_u64 v[6:7], v[6:7], 0, v[8:9]
	global_load_dwordx4 v[6:9], v[6:7], off
.LBB539_51:
	s_or_b64 exec, exec, s[2:3]
	v_mov_b32_e32 v17, 0
	v_mov_b32_e32 v10, 0
	;; [unrolled: 1-line block ×5, first 2 shown]
	s_and_saveexec_b64 s[2:3], vcc
	s_cbranch_execz .LBB539_53
; %bb.52:
	v_mov_b32_e32 v15, 0
	v_lshl_add_u64 v[10:11], s[4:5], 0, v[14:15]
	v_lshlrev_b32_e32 v14, 1, v18
	v_lshl_add_u64 v[10:11], v[10:11], 0, v[14:15]
	global_load_dwordx4 v[10:13], v[10:11], off offset:128
.LBB539_53:
	s_or_b64 exec, exec, s[2:3]
	v_mov_b32_e32 v16, 0
	v_mov_b32_e32 v15, 0
	;; [unrolled: 1-line block ×3, first 2 shown]
	s_and_saveexec_b64 s[2:3], s[0:1]
	s_cbranch_execz .LBB539_55
; %bb.54:
	v_mov_b32_e32 v21, 0
	v_lshl_add_u64 v[14:15], s[4:5], 0, v[20:21]
	v_lshlrev_b32_e32 v20, 1, v18
	v_lshl_add_u64 v[14:15], v[14:15], 0, v[20:21]
	global_load_dwordx4 v[14:17], v[14:15], off offset:128
.LBB539_55:
	s_or_b64 exec, exec, s[2:3]
	s_branch .LBB539_58
.LBB539_56:
                                        ; implicit-def: $vgpr5
                                        ; implicit-def: $vgpr9
                                        ; implicit-def: $vgpr13
                                        ; implicit-def: $vgpr17
	s_cbranch_execz .LBB539_58
; %bb.57:
	s_waitcnt vmcnt(0)
	v_lshlrev_b32_e32 v2, 1, v18
	v_lshl_or_b32 v18, v35, 9, v2
	s_and_b32 s5, s5, 0xffff
	s_mov_b32 s7, 0x20000
	s_movk_i32 s6, 0x4000
	s_movk_i32 s0, 0x80
	buffer_load_dwordx4 v[2:5], v18, s[4:7], 0 offen
	buffer_load_dwordx4 v[6:9], v18, s[4:7], 0 offen offset:256
	buffer_load_dwordx4 v[10:13], v18, s[4:7], s0 offen
	buffer_load_dwordx4 v[14:17], v18, s[4:7], s0 offen offset:256
.LBB539_58:
	ds_read2st64_b64 v[22:25], v19 offset0:76 offset1:77
	ds_read2st64_b64 v[18:21], v19 offset0:78 offset1:79
	ds_read_b64 v[32:33], v26 offset:24576
	ds_read_b64 v[30:31], v27 offset:24576
	;; [unrolled: 1-line block ×4, first 2 shown]
	v_and_b32_e32 v36, 6, v0
	v_xor_b32_e32 v35, v35, v36
	v_lshlrev_b32_e32 v35, 2, v35
	v_and_b32_e32 v0, 1, v0
	v_xor_b32_e32 v38, 0x440, v35
	v_cmp_eq_u32_e32 vcc, 0, v0
	s_mov_b32 s0, 0x1000504
	s_mov_b32 s1, 0x3020706
	v_cndmask_b32_e32 v0, v38, v35, vcc
	v_lshl_or_b32 v0, v36, 10, v0
	s_waitcnt vmcnt(0)
	v_perm_b32 v35, v2, v6, s0
	v_perm_b32 v36, v10, v14, s0
	ds_write2st64_b32 v0, v35, v36 offset1:32
	v_xor_b32_e32 v35, 8, v0
	v_perm_b32 v2, v2, v6, s1
	v_perm_b32 v6, v10, v14, s1
	v_add_u32_e32 v10, 0x80, v35
	ds_write2st64_b32 v10, v2, v6 offset1:32
	v_xor_b32_e32 v2, 16, v0
	v_perm_b32 v6, v3, v7, s0
	v_perm_b32 v10, v11, v15, s0
	ds_write2st64_b32 v2, v6, v10 offset0:1 offset1:33
	v_xor_b32_e32 v2, 24, v0
	v_perm_b32 v3, v3, v7, s1
	v_perm_b32 v6, v11, v15, s1
	v_add_u32_e32 v2, 0x80, v2
	ds_write2st64_b32 v2, v3, v6 offset0:1 offset1:33
	v_xor_b32_e32 v2, 32, v0
	v_perm_b32 v3, v4, v8, s0
	v_perm_b32 v6, v12, v16, s0
	ds_write2st64_b32 v2, v3, v6 offset0:2 offset1:34
	v_xor_b32_e32 v2, 40, v0
	v_perm_b32 v3, v4, v8, s1
	v_perm_b32 v4, v12, v16, s1
	v_add_u32_e32 v2, 0x80, v2
	ds_write2st64_b32 v2, v3, v4 offset0:2 offset1:34
	v_xor_b32_e32 v2, 48, v0
	v_perm_b32 v3, v5, v9, s0
	v_perm_b32 v4, v13, v17, s0
	v_xor_b32_e32 v0, 56, v0
	v_and_or_b32 v8, v37, 12, v1
	ds_write2st64_b32 v2, v3, v4 offset0:3 offset1:35
	v_perm_b32 v2, v5, v9, s1
	v_perm_b32 v3, v13, v17, s1
	v_add_u32_e32 v0, 0x80, v0
	v_cmp_gt_i32_e64 s[2:3], s27, v8
	v_mov_b32_e32 v10, 0
	v_mov_b32_e32 v15, 0
	ds_write2st64_b32 v0, v2, v3 offset0:3 offset1:35
	s_and_saveexec_b64 s[0:1], s[2:3]
	s_cbranch_execz .LBB539_60
; %bb.59:
	v_add_u32_e32 v0, s26, v8
	v_ashrrev_i32_e32 v1, 31, v0
	v_mul_lo_u32 v2, v1, s30
	v_mul_lo_u32 v3, v0, s31
	v_mad_u64_u32 v[0:1], s[4:5], v0, s30, 0
	v_add3_u32 v1, v1, v3, v2
	v_lshl_add_u64 v[0:1], v[0:1], 2, s[10:11]
	global_load_dword v0, v[0:1], off
	s_waitcnt vmcnt(0)
	v_sub_f32_e32 v0, s12, v0
	v_exp_f32_e32 v15, v0
.LBB539_60:
	s_or_b64 exec, exec, s[0:1]
	v_or_b32_e32 v13, 1, v8
	v_cmp_gt_i32_e64 s[4:5], s27, v13
	s_and_saveexec_b64 s[0:1], s[4:5]
	s_cbranch_execz .LBB539_62
; %bb.61:
	v_add_u32_e32 v0, s26, v13
	v_ashrrev_i32_e32 v1, 31, v0
	v_mul_lo_u32 v2, v1, s30
	v_mul_lo_u32 v3, v0, s31
	v_mad_u64_u32 v[0:1], s[6:7], v0, s30, 0
	v_add3_u32 v1, v1, v3, v2
	v_lshl_add_u64 v[0:1], v[0:1], 2, s[10:11]
	global_load_dword v0, v[0:1], off
	s_waitcnt vmcnt(0)
	v_sub_f32_e32 v0, s12, v0
	v_exp_f32_e32 v10, v0
.LBB539_62:
	s_or_b64 exec, exec, s[0:1]
	v_or_b32_e32 v11, 2, v8
	v_cmp_gt_i32_e32 vcc, s27, v11
	v_mov_b32_e32 v9, 0
	v_mov_b32_e32 v14, 0
	s_and_saveexec_b64 s[0:1], vcc
	s_cbranch_execz .LBB539_64
; %bb.63:
	v_add_u32_e32 v0, s26, v11
	v_ashrrev_i32_e32 v1, 31, v0
	v_mul_lo_u32 v2, v1, s30
	v_mul_lo_u32 v3, v0, s31
	v_mad_u64_u32 v[0:1], s[6:7], v0, s30, 0
	v_add3_u32 v1, v1, v3, v2
	v_lshl_add_u64 v[0:1], v[0:1], 2, s[10:11]
	global_load_dword v0, v[0:1], off
	s_waitcnt vmcnt(0)
	v_sub_f32_e32 v0, s12, v0
	v_exp_f32_e32 v14, v0
.LBB539_64:
	s_or_b64 exec, exec, s[0:1]
	v_or_b32_e32 v12, 3, v8
	v_cmp_gt_i32_e64 s[0:1], s27, v12
	s_and_saveexec_b64 s[6:7], s[0:1]
	s_cbranch_execz .LBB539_66
; %bb.65:
	v_add_u32_e32 v0, s26, v12
	v_ashrrev_i32_e32 v1, 31, v0
	v_mul_lo_u32 v2, v1, s30
	v_mul_lo_u32 v3, v0, s31
	v_mad_u64_u32 v[0:1], s[14:15], v0, s30, 0
	v_add3_u32 v1, v1, v3, v2
	v_lshl_add_u64 v[0:1], v[0:1], 2, s[10:11]
	global_load_dword v0, v[0:1], off
	s_waitcnt vmcnt(0)
	v_sub_f32_e32 v0, s12, v0
	v_exp_f32_e32 v9, v0
.LBB539_66:
	s_or_b64 exec, exec, s[6:7]
	s_waitcnt lgkmcnt(11)
	v_mfma_f32_16x16x16_bf16 a[0:3], v[32:33], v[22:23], a[0:3]
	s_add_u32 s6, s8, s20
	v_ashrrev_i32_e32 v47, 31, v46
	s_addc_u32 s7, s9, s21
	s_waitcnt lgkmcnt(10)
	v_mfma_f32_16x16x16_bf16 a[0:3], v[30:31], v[24:25], a[0:3]
	v_lshlrev_b64 v[0:1], 1, v[46:47]
	v_lshl_add_u64 v[4:5], s[6:7], 0, v[0:1]
	s_add_u32 s6, s28, s20
	s_waitcnt lgkmcnt(9)
	v_mfma_f32_16x16x16_bf16 a[0:3], v[28:29], v[18:19], a[0:3]
	s_addc_u32 s7, s29, s21
	v_lshl_add_u64 v[6:7], s[6:7], 0, v[0:1]
	v_mov_b32_e32 v16, 0
	s_waitcnt lgkmcnt(8)
	v_mfma_f32_16x16x16_bf16 a[0:3], v[26:27], v[20:21], a[0:3]
	v_mov_b32_e32 v17, 0
	s_nop 5
	v_accvgpr_read_b32 v0, a0
	v_accvgpr_read_b32 v1, a1
	v_accvgpr_read_b32 v2, a2
	v_accvgpr_read_b32 v3, a3
	s_and_saveexec_b64 s[6:7], s[2:3]
	s_cbranch_execz .LBB539_68
; %bb.67:
	v_lshlrev_b32_e32 v18, 8, v8
	v_mov_b32_e32 v19, 0
	v_lshl_add_u64 v[20:21], v[4:5], 0, v[18:19]
	global_load_ushort v17, v[20:21], off
	v_lshl_add_u64 v[18:19], v[6:7], 0, v[18:19]
	s_waitcnt vmcnt(0)
	v_lshlrev_b32_e32 v17, 16, v17
	v_sub_f32_e32 v0, v17, v0
	global_store_short_d16_hi v[18:19], v0, off
	v_mul_f32_e32 v0, v15, v0
	v_lshrrev_b32_e32 v17, 16, v0
.LBB539_68:
	s_or_b64 exec, exec, s[6:7]
	s_and_saveexec_b64 s[2:3], s[4:5]
	s_cbranch_execz .LBB539_70
; %bb.69:
	v_lshlrev_b32_e32 v18, 8, v13
	v_mov_b32_e32 v19, 0
	v_lshl_add_u64 v[20:21], v[4:5], 0, v[18:19]
	global_load_ushort v0, v[20:21], off
	v_lshl_add_u64 v[18:19], v[6:7], 0, v[18:19]
	s_waitcnt vmcnt(0)
	v_lshlrev_b32_e32 v0, 16, v0
	v_sub_f32_e32 v0, v0, v1
	global_store_short_d16_hi v[18:19], v0, off
	v_mul_f32_e32 v0, v10, v0
	v_lshrrev_b32_e32 v16, 16, v0
.LBB539_70:
	s_or_b64 exec, exec, s[2:3]
	v_mov_b32_e32 v0, 0
	v_mov_b32_e32 v1, 0
	s_and_saveexec_b64 s[2:3], vcc
	s_cbranch_execz .LBB539_72
; %bb.71:
	v_lshlrev_b32_e32 v10, 8, v11
	v_mov_b32_e32 v11, 0
	v_lshl_add_u64 v[18:19], v[4:5], 0, v[10:11]
	global_load_ushort v1, v[18:19], off
	v_lshl_add_u64 v[10:11], v[6:7], 0, v[10:11]
	s_waitcnt vmcnt(0)
	v_lshlrev_b32_e32 v1, 16, v1
	v_sub_f32_e32 v1, v1, v2
	global_store_short_d16_hi v[10:11], v1, off
	v_mul_f32_e32 v1, v14, v1
	v_lshrrev_b32_e32 v1, 16, v1
.LBB539_72:
	s_or_b64 exec, exec, s[2:3]
	s_and_saveexec_b64 s[2:3], s[0:1]
	s_cbranch_execz .LBB539_74
; %bb.73:
	v_lshlrev_b32_e32 v10, 8, v12
	v_mov_b32_e32 v11, 0
	v_lshl_add_u64 v[4:5], v[4:5], 0, v[10:11]
	global_load_ushort v0, v[4:5], off
	v_lshl_add_u64 v[4:5], v[6:7], 0, v[10:11]
	s_waitcnt vmcnt(0)
	v_lshlrev_b32_e32 v0, 16, v0
	v_sub_f32_e32 v0, v0, v3
	global_store_short_d16_hi v[4:5], v0, off
	v_mul_f32_e32 v0, v9, v0
	v_lshrrev_b32_e32 v0, 16, v0
.LBB539_74:
	s_or_b64 exec, exec, s[2:3]
	s_mov_b32 s0, 0x5040100
	v_lshlrev_b32_e32 v2, 1, v34
	v_perm_b32 v1, v0, v1, s0
	v_perm_b32 v0, v16, v17, s0
	v_lshl_or_b32 v2, v8, 5, v2
	ds_write_b64 v2, v[0:1] offset:38912
	s_waitcnt lgkmcnt(0)
	s_barrier
.LBB539_75:
	s_endpgm
	.section	.rodata,"a",@progbits
	.p2align	6, 0x0
	.amdhsa_kernel _ZN12_GLOBAL__N_139chunk_gated_delta_rule_fwd_h_hip_kernelILi16ELb1ELb0ELb1ELb0ELb1ELb1ELb0ELb1EEEvPK12hip_bfloat16S3_S3_PKfS5_PKvPS1_S8_PvPKiSB_iiiiilll
		.amdhsa_group_segment_fixed_size 40960
		.amdhsa_private_segment_fixed_size 0
		.amdhsa_kernarg_size 136
		.amdhsa_user_sgpr_count 2
		.amdhsa_user_sgpr_dispatch_ptr 0
		.amdhsa_user_sgpr_queue_ptr 0
		.amdhsa_user_sgpr_kernarg_segment_ptr 1
		.amdhsa_user_sgpr_dispatch_id 0
		.amdhsa_user_sgpr_kernarg_preload_length 0
		.amdhsa_user_sgpr_kernarg_preload_offset 0
		.amdhsa_user_sgpr_private_segment_size 0
		.amdhsa_uses_dynamic_stack 0
		.amdhsa_enable_private_segment 0
		.amdhsa_system_sgpr_workgroup_id_x 1
		.amdhsa_system_sgpr_workgroup_id_y 1
		.amdhsa_system_sgpr_workgroup_id_z 0
		.amdhsa_system_sgpr_workgroup_info 0
		.amdhsa_system_vgpr_workitem_id 0
		.amdhsa_next_free_vgpr 128
		.amdhsa_next_free_sgpr 72
		.amdhsa_accum_offset 116
		.amdhsa_reserve_vcc 1
		.amdhsa_float_round_mode_32 0
		.amdhsa_float_round_mode_16_64 0
		.amdhsa_float_denorm_mode_32 3
		.amdhsa_float_denorm_mode_16_64 3
		.amdhsa_dx10_clamp 1
		.amdhsa_ieee_mode 1
		.amdhsa_fp16_overflow 0
		.amdhsa_tg_split 0
		.amdhsa_exception_fp_ieee_invalid_op 0
		.amdhsa_exception_fp_denorm_src 0
		.amdhsa_exception_fp_ieee_div_zero 0
		.amdhsa_exception_fp_ieee_overflow 0
		.amdhsa_exception_fp_ieee_underflow 0
		.amdhsa_exception_fp_ieee_inexact 0
		.amdhsa_exception_int_div_zero 0
	.end_amdhsa_kernel
	.section	.text._ZN12_GLOBAL__N_139chunk_gated_delta_rule_fwd_h_hip_kernelILi16ELb1ELb0ELb1ELb0ELb1ELb1ELb0ELb1EEEvPK12hip_bfloat16S3_S3_PKfS5_PKvPS1_S8_PvPKiSB_iiiiilll,"axG",@progbits,_ZN12_GLOBAL__N_139chunk_gated_delta_rule_fwd_h_hip_kernelILi16ELb1ELb0ELb1ELb0ELb1ELb1ELb0ELb1EEEvPK12hip_bfloat16S3_S3_PKfS5_PKvPS1_S8_PvPKiSB_iiiiilll,comdat
.Lfunc_end539:
	.size	_ZN12_GLOBAL__N_139chunk_gated_delta_rule_fwd_h_hip_kernelILi16ELb1ELb0ELb1ELb0ELb1ELb1ELb0ELb1EEEvPK12hip_bfloat16S3_S3_PKfS5_PKvPS1_S8_PvPKiSB_iiiiilll, .Lfunc_end539-_ZN12_GLOBAL__N_139chunk_gated_delta_rule_fwd_h_hip_kernelILi16ELb1ELb0ELb1ELb0ELb1ELb1ELb0ELb1EEEvPK12hip_bfloat16S3_S3_PKfS5_PKvPS1_S8_PvPKiSB_iiiiilll
                                        ; -- End function
	.section	.AMDGPU.csdata,"",@progbits
; Kernel info:
; codeLenInByte = 7480
; NumSgprs: 78
; NumVgprs: 114
; NumAgprs: 12
; TotalNumVgprs: 128
; ScratchSize: 0
; MemoryBound: 0
; FloatMode: 240
; IeeeMode: 1
; LDSByteSize: 40960 bytes/workgroup (compile time only)
; SGPRBlocks: 9
; VGPRBlocks: 15
; NumSGPRsForWavesPerEU: 78
; NumVGPRsForWavesPerEU: 128
; AccumOffset: 116
; Occupancy: 1
; WaveLimiterHint : 1
; COMPUTE_PGM_RSRC2:SCRATCH_EN: 0
; COMPUTE_PGM_RSRC2:USER_SGPR: 2
; COMPUTE_PGM_RSRC2:TRAP_HANDLER: 0
; COMPUTE_PGM_RSRC2:TGID_X_EN: 1
; COMPUTE_PGM_RSRC2:TGID_Y_EN: 1
; COMPUTE_PGM_RSRC2:TGID_Z_EN: 0
; COMPUTE_PGM_RSRC2:TIDIG_COMP_CNT: 0
; COMPUTE_PGM_RSRC3_GFX90A:ACCUM_OFFSET: 28
; COMPUTE_PGM_RSRC3_GFX90A:TG_SPLIT: 0
	.section	.text._ZN12_GLOBAL__N_139chunk_gated_delta_rule_fwd_h_hip_kernelILi16ELb1ELb0ELb0ELb0ELb1ELb1ELb0ELb1EEEvPK12hip_bfloat16S3_S3_PKfS5_PKvPS1_S8_PvPKiSB_iiiiilll,"axG",@progbits,_ZN12_GLOBAL__N_139chunk_gated_delta_rule_fwd_h_hip_kernelILi16ELb1ELb0ELb0ELb0ELb1ELb1ELb0ELb1EEEvPK12hip_bfloat16S3_S3_PKfS5_PKvPS1_S8_PvPKiSB_iiiiilll,comdat
	.globl	_ZN12_GLOBAL__N_139chunk_gated_delta_rule_fwd_h_hip_kernelILi16ELb1ELb0ELb0ELb0ELb1ELb1ELb0ELb1EEEvPK12hip_bfloat16S3_S3_PKfS5_PKvPS1_S8_PvPKiSB_iiiiilll ; -- Begin function _ZN12_GLOBAL__N_139chunk_gated_delta_rule_fwd_h_hip_kernelILi16ELb1ELb0ELb0ELb0ELb1ELb1ELb0ELb1EEEvPK12hip_bfloat16S3_S3_PKfS5_PKvPS1_S8_PvPKiSB_iiiiilll
	.p2align	8
	.type	_ZN12_GLOBAL__N_139chunk_gated_delta_rule_fwd_h_hip_kernelILi16ELb1ELb0ELb0ELb0ELb1ELb1ELb0ELb1EEEvPK12hip_bfloat16S3_S3_PKfS5_PKvPS1_S8_PvPKiSB_iiiiilll,@function
_ZN12_GLOBAL__N_139chunk_gated_delta_rule_fwd_h_hip_kernelILi16ELb1ELb0ELb0ELb0ELb1ELb1ELb0ELb1EEEvPK12hip_bfloat16S3_S3_PKfS5_PKvPS1_S8_PvPKiSB_iiiiilll: ; @_ZN12_GLOBAL__N_139chunk_gated_delta_rule_fwd_h_hip_kernelILi16ELb1ELb0ELb0ELb0ELb1ELb1ELb0ELb1EEEvPK12hip_bfloat16S3_S3_PKfS5_PKvPS1_S8_PvPKiSB_iiiiilll
; %bb.0:
	s_load_dwordx4 s[12:15], s[0:1], 0x5c
	s_load_dwordx4 s[16:19], s[0:1], 0x28
	s_abs_i32 s6, s3
	s_ashr_i32 s5, s3, 31
	v_and_b32_e32 v62, 15, v0
	s_waitcnt lgkmcnt(0)
	s_abs_i32 s4, s13
	v_cvt_f32_u32_e32 v1, s4
	s_sub_i32 s8, 0, s4
	s_ashr_i32 s7, s13, 31
	s_xor_b32 s5, s5, s7
	v_rcp_iflag_f32_e32 v1, v1
	v_lshrrev_b32_e32 v60, 6, v0
	v_bfe_u32 v61, v0, 4, 2
	v_mov_b32_e32 v5, 0
	v_mul_f32_e32 v1, 0x4f7ffffe, v1
	v_cvt_u32_f32_e32 v1, v1
	v_and_b32_e32 v45, 63, v0
	v_lshlrev_b32_e32 v63, 3, v0
	v_lshrrev_b32_e32 v64, 3, v45
	v_readfirstlane_b32 s9, v1
	s_mul_i32 s8, s8, s9
	s_mul_hi_u32 s8, s9, s8
	s_add_i32 s9, s9, s8
	s_mul_hi_u32 s8, s6, s9
	s_mul_i32 s9, s8, s4
	s_sub_i32 s6, s6, s9
	s_add_i32 s10, s8, 1
	s_sub_i32 s9, s6, s4
	s_cmp_ge_u32 s6, s4
	s_cselect_b32 s8, s10, s8
	s_cselect_b32 s6, s9, s6
	s_add_i32 s9, s8, 1
	s_cmp_ge_u32 s6, s4
	s_cselect_b32 s6, s9, s8
	s_xor_b32 s6, s6, s5
	s_sub_i32 s51, s6, s5
	s_mul_i32 s6, s51, s13
	s_sub_i32 s49, s3, s6
	s_abs_i32 s3, s14
	v_cvt_f32_u32_e32 v1, s3
	s_add_i32 s8, s12, 63
	s_ashr_i32 s9, s8, 31
	s_lshr_b32 s5, s9, 26
	v_rcp_iflag_f32_e32 v1, v1
	s_ashr_i32 s50, s12, 31
	s_add_i32 s8, s8, s5
	s_lshr_b32 s5, s50, 26
	v_mul_f32_e32 v1, 0x4f7ffffe, v1
	v_cvt_u32_f32_e32 v1, v1
	s_add_i32 s5, s12, s5
	s_ashr_i32 s54, s14, 31
	s_ashr_i32 s52, s5, 6
	s_lshl_b32 s36, s2, 4
	s_xor_b32 s2, s7, s54
	s_sub_i32 s5, 0, s3
	v_readfirstlane_b32 s7, v1
	s_mul_i32 s5, s5, s7
	s_mul_hi_u32 s5, s7, s5
	s_add_i32 s7, s7, s5
	s_mul_hi_u32 s5, s4, s7
	s_mul_i32 s7, s5, s3
	s_sub_i32 s4, s4, s7
	s_ashr_i32 s25, s8, 6
	s_add_i32 s7, s5, 1
	s_sub_i32 s8, s4, s3
	s_cmp_ge_u32 s4, s3
	s_cselect_b32 s5, s7, s5
	s_cselect_b32 s4, s8, s4
	s_add_i32 s7, s5, 1
	s_cmp_ge_u32 s4, s3
	s_cselect_b32 s3, s7, s5
	s_xor_b32 s3, s3, s2
	s_sub_i32 s2, s3, s2
	s_abs_i32 s3, s2
	v_cvt_f32_u32_e32 v1, s3
	s_sub_i32 s5, 0, s3
	s_abs_i32 s4, s49
	s_xor_b32 s2, s49, s2
	v_rcp_iflag_f32_e32 v1, v1
	s_ashr_i32 s2, s2, 31
	v_or_b32_e32 v46, s36, v62
	v_lshlrev_b32_e32 v2, 7, v46
	v_mul_f32_e32 v1, 0x4f7ffffe, v1
	v_cvt_u32_f32_e32 v1, v1
	v_ashrrev_i32_e32 v3, 31, v2
	s_mul_i32 s56, s51, s25
	v_readfirstlane_b32 s7, v1
	s_mul_i32 s5, s5, s7
	s_mul_hi_u32 s5, s7, s5
	s_add_i32 s7, s7, s5
	s_mul_hi_u32 s5, s4, s7
	s_mul_i32 s7, s5, s3
	s_sub_i32 s4, s4, s7
	s_add_i32 s7, s5, 1
	s_sub_i32 s8, s4, s3
	s_cmp_ge_u32 s4, s3
	s_cselect_b32 s5, s7, s5
	s_cselect_b32 s4, s8, s4
	s_add_i32 s7, s5, 1
	s_cmp_ge_u32 s4, s3
	s_cselect_b32 s3, s7, s5
	s_xor_b32 s3, s3, s2
	s_sub_i32 s55, s3, s2
	s_ashr_i32 s24, s51, 31
	s_ashr_i32 s53, s49, 31
	s_mul_hi_i32 s2, s51, s13
	s_add_u32 s38, s6, s49
	s_addc_u32 s39, s2, s53
	s_lshl_b64 s[2:3], s[38:39], 15
	v_lshlrev_b32_e32 v1, 4, v60
	s_add_u32 s2, s16, s2
	v_lshl_or_b32 v65, v61, 2, v1
	s_addc_u32 s3, s17, s3
	v_lshl_add_u64 v[2:3], v[2:3], 1, s[2:3]
	v_lshlrev_b32_e32 v4, 1, v65
	v_lshl_add_u64 v[2:3], v[2:3], 0, v[4:5]
	global_load_dwordx2 v[4:5], v[2:3], off
	global_load_dwordx2 v[6:7], v[2:3], off offset:128
	s_load_dwordx8 s[4:11], s[0:1], 0x0
	s_load_dwordx2 s[28:29], s[0:1], 0x80
	s_load_dwordx4 s[20:23], s[0:1], 0x70
	v_or_b32_e32 v66, 64, v65
	s_mul_hi_u32 s57, s38, s12
	s_mul_i32 s16, s38, s12
	s_mul_i32 s39, s39, s12
	s_waitcnt lgkmcnt(0)
	s_mul_i32 s33, s51, s21
	s_mul_hi_u32 s44, s51, s20
	s_mul_i32 s34, s51, s20
	s_mul_i32 s45, s49, s23
	s_mul_hi_u32 s46, s49, s22
	s_mul_i32 s48, s24, s20
	s_mul_i32 s47, s53, s22
	s_cmp_lt_i32 s12, 64
	s_mul_i32 s30, s49, s22
	s_waitcnt vmcnt(1)
	v_and_b32_e32 v51, 0xffff0000, v4
	v_lshlrev_b32_e32 v50, 16, v4
	v_and_b32_e32 v55, 0xffff0000, v5
	v_lshlrev_b32_e32 v54, 16, v5
	s_waitcnt vmcnt(0)
	v_and_b32_e32 v49, 0xffff0000, v6
	v_lshlrev_b32_e32 v48, 16, v6
	v_and_b32_e32 v53, 0xffff0000, v7
	v_lshlrev_b32_e32 v52, 16, v7
	s_cbranch_scc1 .LBB540_18
; %bb.1:
	s_add_i32 s17, s57, s39
	s_lshl_b64 s[2:3], s[16:17], 8
	v_and_b32_e32 v68, 56, v63
	s_add_u32 s20, s6, s2
	v_lshl_or_b32 v67, v60, 3, v64
	v_lshlrev_b32_e32 v2, 1, v68
	s_addc_u32 s2, s7, s3
	v_lshl_or_b32 v69, v67, 8, v2
	s_and_b32 s21, s2, 0xffff
	s_mov_b32 s23, 0x20000
	s_movk_i32 s22, 0x4000
	s_movk_i32 s2, 0x80
	v_or_b32_e32 v70, 0x2000, v69
	buffer_load_dwordx4 v[4:7], v69, s[20:23], 0 offen
	buffer_load_dwordx4 v[8:11], v69, s[20:23], s2 offen
	;; [unrolled: 1-line block ×4, first 2 shown]
	v_lshlrev_b32_e32 v3, 3, v67
	v_and_or_b32 v21, v0, 7, v3
	v_and_b32_e32 v3, 0x78, v3
	v_lshlrev_b32_e32 v21, 4, v21
	v_xor_b32_e32 v71, v21, v3
	v_mul_lo_u32 v20, v67, s15
	v_or_b32_e32 v72, 0x1000, v71
	v_xor_b32_e32 v3, 8, v71
	s_cmpk_eq_i32 s15, 0x80
	s_mov_b32 s58, s14
	v_xor_b32_e32 v21, 8, v72
	s_cselect_b64 s[2:3], -1, 0
	s_cmpk_lg_i32 s15, 0x80
	s_waitcnt vmcnt(3)
	ds_write_b64 v71, v[4:5] offset:16384
	ds_write_b64 v3, v[6:7] offset:16384
	s_waitcnt vmcnt(2)
	ds_write_b64 v71, v[8:9] offset:24576
	ds_write_b64 v3, v[10:11] offset:24576
	;; [unrolled: 3-line block ×4, first 2 shown]
	v_lshl_add_u32 v3, v20, 1, v68
	s_cbranch_scc0 .LBB540_3
; %bb.2:
	v_lshlrev_b32_e32 v5, 1, v3
	v_add_lshl_u32 v4, v3, s15, 1
	s_lshl_b32 s22, s15, 7
	s_load_dwordx2 s[40:41], s[0:1], 0x20
	v_lshl_or_b32 v2, v67, 9, v2
	s_cbranch_execz .LBB540_4
	s_branch .LBB540_5
.LBB540_3:
                                        ; implicit-def: $vgpr4
                                        ; implicit-def: $vgpr5
                                        ; implicit-def: $sgpr22
	s_load_dwordx2 s[40:41], s[0:1], 0x20
	v_lshl_or_b32 v2, v67, 9, v2
.LBB540_4:
	v_or_b32_e32 v4, 0x100, v2
	s_movk_i32 s22, 0x4000
	v_mov_b32_e32 v5, v2
.LBB540_5:
	s_mul_hi_u32 s0, s14, s12
	s_mul_i32 s1, s54, s12
	s_add_i32 s0, s0, s1
	s_mul_i32 s1, s14, s12
	s_mul_i32 s20, s1, s24
	s_mul_hi_u32 s21, s1, s51
	s_add_i32 s20, s21, s20
	s_mul_i32 s0, s0, s51
	s_add_i32 s20, s20, s0
	s_mul_i32 s1, s1, s51
	s_ashr_i32 s59, s55, 31
	s_add_u32 s0, s1, s55
	s_addc_u32 s1, s20, s59
	s_lshl_b64 s[0:1], s[0:1], 8
	s_add_u32 s20, s4, s0
	s_addc_u32 s0, s5, s1
	s_and_b32 s21, s0, 0xffff
	s_movk_i32 s60, 0x80
	buffer_load_dwordx4 v[6:9], v5, s[20:23], 0 offen
	buffer_load_dwordx4 v[10:13], v5, s[20:23], s60 offen
	;; [unrolled: 1-line block ×4, first 2 shown]
	v_and_b32_e32 v4, 6, v0
	v_lshlrev_b32_e32 v22, 2, v62
	v_lshlrev_b32_e32 v23, 3, v62
	v_xor_b32_e32 v25, v67, v4
	v_and_b32_e32 v5, 1, v0
	s_mul_i32 s24, s24, s12
	s_mul_hi_u32 s0, s51, s12
	v_lshl_or_b32 v23, v65, 5, v23
	v_xor_b32_e32 v26, v65, v22
	v_lshlrev_b32_e32 v25, 2, v25
	v_or_b32_e32 v73, 0x9000, v23
	v_or_b32_e32 v74, 0x9800, v23
	v_lshlrev_b32_e32 v23, 1, v26
	v_xor_b32_e32 v26, 0x440, v25
	v_cmp_eq_u32_e32 vcc, 0, v5
	s_add_i32 s65, s0, s24
	s_add_i32 s0, s44, s33
	v_cndmask_b32_e32 v5, v26, v25, vcc
	s_add_i32 s1, s46, s45
	s_add_i32 s35, s0, s48
	s_mov_b32 s63, 0x1000504
	v_lshlrev_b32_e32 v24, 8, v62
	s_mov_b32 s20, 0x8000
	v_xor_b32_e32 v22, v66, v22
	v_lshl_or_b32 v4, v4, 10, v5
	s_add_i32 s31, s1, s47
	s_lshl_b64 s[0:1], s[34:35], 2
	s_mov_b32 s64, 0x3020706
	v_lshlrev_b32_e32 v22, 1, v22
	v_or3_b32 v75, v23, v24, s20
	v_xor_b32_e32 v5, 8, v4
	v_xor_b32_e32 v23, 24, v4
	;; [unrolled: 1-line block ×4, first 2 shown]
	s_add_u32 s21, s10, s0
	v_or3_b32 v76, v22, v24, s20
	v_xor_b32_e32 v22, 16, v4
	v_xor_b32_e32 v24, 32, v4
	;; [unrolled: 1-line block ×3, first 2 shown]
	v_add_u32_e32 v5, 0x80, v5
	v_add_u32_e32 v23, 0x80, v23
	;; [unrolled: 1-line block ×4, first 2 shown]
	s_addc_u32 s22, s11, s1
	s_lshl_b64 s[0:1], s[30:31], 2
	s_add_u32 s42, s21, s0
	s_movk_i32 s0, 0xf8
	s_addc_u32 s43, s22, s1
	s_ashr_i32 s37, s36, 31
	v_ashrrev_i32_e32 v47, 31, v46
	s_lshl_b32 s26, s15, 7
	s_mul_i32 s61, s51, s12
	s_mov_b32 s62, 0
	s_mov_b32 s35, 0x7060302
	s_movk_i32 s22, 0x4000
	s_mov_b32 s66, 0
	s_waitcnt vmcnt(1)
	v_perm_b32 v28, v6, v14, s63
	s_waitcnt vmcnt(0)
	v_perm_b32 v29, v10, v18, s63
	v_perm_b32 v6, v6, v14, s64
	;; [unrolled: 1-line block ×15, first 2 shown]
	ds_write2st64_b32 v4, v28, v29 offset1:32
	ds_write2st64_b32 v5, v6, v10 offset1:32
	ds_write2st64_b32 v22, v14, v18 offset0:1 offset1:33
	ds_write2st64_b32 v23, v7, v11 offset0:1 offset1:33
	;; [unrolled: 1-line block ×6, first 2 shown]
	v_or_b32_e32 v4, v1, v62
	v_lshlrev_b32_e32 v4, 3, v4
	v_lshrrev_b32_e32 v6, 5, v45
	v_and_or_b32 v6, v4, s0, v6
	v_lshlrev_b32_e32 v6, 4, v6
	v_lshrrev_b32_e32 v5, 2, v45
	v_lshlrev_b32_e32 v11, 11, v60
	v_and_b32_e32 v4, 0x78, v4
	v_or_b32_e32 v9, 32, v6
	v_and_b32_e32 v10, 12, v5
	v_and_b32_e32 v5, 0x1000, v11
	v_xor_b32_e32 v7, v6, v4
	v_lshrrev_b32_e32 v8, 1, v45
	v_xor_b32_e32 v9, v9, v4
	v_or_b32_e32 v7, v7, v5
	v_and_b32_e32 v8, 8, v8
	v_or_b32_e32 v9, v9, v5
	v_xor_b32_e32 v77, v7, v8
	v_and_b32_e32 v7, 0x78, v63
	v_xor_b32_e32 v79, v9, v8
	v_or_b32_e32 v9, 64, v6
	v_or_b32_e32 v6, 0x60, v6
	v_lshl_or_b32 v7, v61, 7, v7
	v_xor_b32_e32 v9, v9, v4
	v_xor_b32_e32 v4, v6, v4
	v_or_b32_e32 v78, 0x9000, v7
	v_or_b32_e32 v9, v9, v5
	;; [unrolled: 1-line block ×4, first 2 shown]
	v_lshrrev_b32_e32 v6, 4, v0
	v_lshlrev_b32_e32 v7, 1, v62
	v_xor_b32_e32 v80, v9, v8
	v_xor_b32_e32 v81, v4, v8
	v_or_b32_e32 v8, 1, v7
	v_xor_b32_e32 v7, v6, v7
	s_lshl_b64 s[0:1], s[36:37], 8
	v_xor_b32_e32 v8, v8, v6
	v_lshlrev_b32_e32 v7, 3, v7
	v_lshlrev_b32_e32 v6, 8, v6
	v_lshl_add_u64 v[4:5], v[46:47], 1, s[8:9]
	s_add_u32 s0, s18, s0
	v_or3_b32 v47, v7, v6, s20
	v_lshlrev_b32_e32 v7, 3, v8
	s_addc_u32 s1, s19, s1
	v_or3_b32 v83, v7, v6, s20
	v_mov_b32_e32 v7, 0
	v_lshrrev_b32_e32 v17, 1, v0
	v_lshl_add_u64 v[8:9], s[0:1], 0, v[6:7]
	v_lshlrev_b32_e32 v6, 4, v62
	s_movk_i32 s0, 0xff
	v_lshlrev_b32_e32 v16, 3, v60
	v_and_b32_e32 v17, 24, v17
	v_lshl_add_u64 v[56:57], v[8:9], 0, v[6:7]
	v_and_b32_e32 v6, 7, v0
	v_and_b32_e32 v9, 8, v0
	v_cmp_lt_u32_e32 vcc, s0, v0
	v_xor_b32_e32 v18, v16, v17
	v_lshlrev_b32_e32 v14, 3, v6
	v_lshlrev_b32_e32 v15, 7, v6
	v_cndmask_b32_e64 v6, 0, 1, vcc
	v_or_b32_e32 v19, 0x440, v18
	v_cmp_eq_u32_e32 vcc, 0, v9
	v_or_b32_e32 v21, 64, v17
	v_xor_b32_e32 v21, v16, v21
	v_cndmask_b32_e32 v9, v19, v18, vcc
	v_or_b32_e32 v19, 32, v17
	v_or_b32_e32 v17, 0x60, v17
	v_xor_b32_e32 v19, v16, v19
	v_xor_b32_e32 v16, v16, v17
	v_or_b32_e32 v20, 0x440, v19
	v_xor_b32_e32 v22, 0x440, v21
	v_xor_b32_e32 v17, 0x440, v16
	v_cndmask_b32_e32 v19, v20, v19, vcc
	v_cndmask_b32_e32 v21, v22, v21, vcc
	;; [unrolled: 1-line block ×3, first 2 shown]
	v_or_b32_e32 v9, v9, v11
	v_or_b32_e32 v19, v19, v11
	;; [unrolled: 1-line block ×4, first 2 shown]
	v_lshlrev_b32_e32 v6, 13, v6
	v_xor_b32_e32 v9, v9, v14
	v_xor_b32_e32 v19, v19, v14
	;; [unrolled: 1-line block ×4, first 2 shown]
	v_lshlrev_b32_e32 v12, 1, v3
	v_add_lshl_u32 v3, v3, s15, 1
	v_or_b32_e32 v13, 0x100, v2
	v_or_b32_e32 v8, v10, v1
	v_add_u32_e32 v18, v6, v9
	v_add_u32_e32 v20, v6, v19
	;; [unrolled: 1-line block ×4, first 2 shown]
	v_or3_b32 v10, v1, v10, 64
	v_add_u32_e32 v9, 0x2000, v9
	v_add_u32_e32 v16, 0x2000, v19
	;; [unrolled: 1-line block ×4, first 2 shown]
	v_lshlrev_b32_e32 v6, 8, v65
	v_cndmask_b32_e64 v84, v12, v2, s[2:3]
	v_cndmask_b32_e64 v85, v3, v13, s[2:3]
	v_lshl_add_u64 v[58:59], v[4:5], 0, v[6:7]
	s_add_i32 s31, s61, 63
	v_lshlrev_b32_e32 v86, 2, v8
	v_add_u32_e32 v87, v18, v15
	v_add_u32_e32 v88, v20, v15
	;; [unrolled: 1-line block ×4, first 2 shown]
	v_lshlrev_b32_e32 v91, 2, v10
	v_add_u32_e32 v92, v9, v15
	v_add_u32_e32 v93, v16, v15
	;; [unrolled: 1-line block ×4, first 2 shown]
	s_waitcnt lgkmcnt(0)
	s_barrier
.LBB540_6:                              ; =>This Inner Loop Header: Depth=1
	s_add_i32 s37, s66, 1
	s_cmp_lt_i32 s37, s52
	s_mov_b64 s[24:25], 0
	s_cselect_b64 s[2:3], -1, 0
	s_cmp_ge_i32 s37, s52
	s_mov_b64 s[20:21], 0
	s_cbranch_scc1 .LBB540_8
; %bb.7:                                ;   in Loop: Header=BB540_6 Depth=1
	s_add_i32 s0, s62, 64
	s_add_u32 s0, s16, s0
	s_addc_u32 s1, s17, 0
	s_lshl_b64 s[0:1], s[0:1], 8
	s_add_u32 s20, s6, s0
	s_addc_u32 s21, s7, s1
.LBB540_8:                              ;   in Loop: Header=BB540_6 Depth=1
	v_cndmask_b32_e64 v2, 0, 1, s[2:3]
	v_cmp_ne_u32_e64 s[0:1], 1, v2
	s_andn2_b64 vcc, exec, s[2:3]
	s_cbranch_vccnz .LBB540_10
; %bb.9:                                ;   in Loop: Header=BB540_6 Depth=1
	s_add_i32 s2, s62, 64
	s_add_u32 s2, s61, s2
	s_addc_u32 s3, s65, 0
	s_mul_i32 s24, s2, s54
	s_mul_hi_u32 s25, s2, s58
	s_add_i32 s24, s25, s24
	s_mul_i32 s3, s3, s58
	s_add_i32 s24, s24, s3
	s_mul_i32 s2, s2, s58
	s_add_u32 s2, s2, s55
	s_addc_u32 s3, s24, s59
	s_lshl_b64 s[2:3], s[2:3], 8
	s_add_u32 s24, s4, s2
	s_addc_u32 s25, s5, s3
.LBB540_10:                             ;   in Loop: Header=BB540_6 Depth=1
	v_perm_b32 v3, v55, v54, s35
	v_perm_b32 v2, v51, v50, s35
	v_perm_b32 v5, v53, v52, s35
	v_perm_b32 v4, v49, v48, s35
	ds_write_b64 v73, v[2:3]
	ds_write_b64 v74, v[4:5]
	;; [unrolled: 1-line block ×4, first 2 shown]
	s_waitcnt lgkmcnt(0)
	s_barrier
	ds_read_b64 v[10:11], v77 offset:16384
	ds_read_b64 v[12:13], v79 offset:16384
	ds_read2st64_b64 v[2:5], v78 offset1:1
	ds_read2st64_b64 v[6:9], v78 offset0:2 offset1:3
	ds_read_b64 v[14:15], v80 offset:16384
	s_waitcnt lgkmcnt(2)
	v_mfma_f32_16x16x16_bf16 a[0:3], v[10:11], v[2:3], 0
	ds_read_b64 v[2:3], v81 offset:16384
	s_add_i32 s2, s62, 63
	s_mul_i32 s3, s2, s29
	v_mfma_f32_16x16x16_bf16 a[0:3], v[12:13], v[4:5], a[0:3]
	s_mul_hi_u32 s27, s2, s28
	s_add_i32 s3, s27, s3
	s_mul_i32 s2, s2, s28
	s_waitcnt lgkmcnt(1)
	v_mfma_f32_16x16x16_bf16 a[0:3], v[14:15], v[6:7], a[0:3]
	s_lshl_b64 s[2:3], s[2:3], 2
	s_add_u32 s2, s42, s2
	s_addc_u32 s3, s43, s3
	s_waitcnt lgkmcnt(0)
	v_mfma_f32_16x16x16_bf16 a[0:3], v[2:3], v[8:9], a[0:3]
	s_and_b64 vcc, exec, s[0:1]
	v_mov_b32_e32 v98, 0
	v_mov_b32_e32 v97, 0
	;; [unrolled: 1-line block ×19, first 2 shown]
	s_cbranch_vccnz .LBB540_12
; %bb.11:                               ;   in Loop: Header=BB540_6 Depth=1
	s_and_b32 s21, s21, 0xffff
	buffer_load_dwordx4 v[14:17], v69, s[20:23], 0 offen
	buffer_load_dwordx4 v[10:13], v69, s[20:23], s60 offen
	;; [unrolled: 1-line block ×4, first 2 shown]
	v_mov_b32_e32 v97, v71
	v_mov_b32_e32 v96, v72
.LBB540_12:                             ;   in Loop: Header=BB540_6 Depth=1
	v_add_u32_e32 v24, s62, v65
	v_ashrrev_i32_e32 v18, 31, v24
	v_mul_lo_u32 v20, v18, s28
	v_mul_lo_u32 v21, v24, s29
	v_mad_u64_u32 v[18:19], s[20:21], v24, s28, 0
	v_add3_u32 v19, v19, v21, v20
	v_add_u32_e32 v20, 1, v24
	v_ashrrev_i32_e32 v21, 31, v20
	v_mul_lo_u32 v22, v21, s28
	v_mul_lo_u32 v23, v20, s29
	v_mad_u64_u32 v[20:21], s[20:21], v20, s28, 0
	v_add3_u32 v21, v21, v23, v22
	v_add_u32_e32 v22, 2, v24
	v_ashrrev_i32_e32 v23, 31, v22
	v_mul_lo_u32 v25, v23, s28
	v_mul_lo_u32 v26, v22, s29
	v_mad_u64_u32 v[22:23], s[20:21], v22, s28, 0
	v_add_u32_e32 v24, 3, v24
	v_add3_u32 v23, v23, v26, v25
	v_ashrrev_i32_e32 v25, 31, v24
	v_mul_lo_u32 v28, v25, s28
	v_mul_lo_u32 v29, v24, s29
	v_mad_u64_u32 v[24:25], s[20:21], v24, s28, 0
	s_add_u32 s20, s16, s62
	s_addc_u32 s21, s17, 0
	s_lshl_b64 s[20:21], s[20:21], 8
	v_lshl_add_u64 v[18:19], v[18:19], 2, s[42:43]
	v_lshl_add_u64 v[26:27], v[58:59], 0, s[20:21]
	v_lshl_add_u64 v[20:21], v[20:21], 2, s[42:43]
	global_load_ushort v42, v[26:27], off
	global_load_ushort v43, v[26:27], off offset:256
	global_load_ushort v44, v[26:27], off offset:512
	;; [unrolled: 1-line block ×3, first 2 shown]
	v_add3_u32 v25, v25, v29, v28
	global_load_dword v101, v[18:19], off
	v_lshl_add_u64 v[22:23], v[22:23], 2, s[42:43]
	v_lshl_add_u64 v[18:19], v[24:25], 2, s[42:43]
	global_load_dword v102, v[20:21], off
	global_load_dword v103, v[22:23], off
	;; [unrolled: 1-line block ×3, first 2 shown]
	s_load_dword s2, s[2:3], 0x0
	ds_read2st64_b64 v[26:29], v82 offset1:1
	ds_read2st64_b64 v[32:35], v82 offset0:2 offset1:3
	ds_read_b64 v[30:31], v77 offset:24576
	ds_read_b64 v[36:37], v79 offset:24576
	;; [unrolled: 1-line block ×4, first 2 shown]
	s_waitcnt lgkmcnt(0)
	v_mfma_f32_16x16x16_bf16 a[0:3], v[30:31], v[26:27], a[0:3]
	v_mov_b32_e32 v99, 0
	v_mov_b32_e32 v18, 0
	v_mov_b32_e32 v19, 0
	v_mfma_f32_16x16x16_bf16 a[0:3], v[36:37], v[28:29], a[0:3]
	v_mov_b32_e32 v20, 0
	v_mov_b32_e32 v21, 0
	v_mov_b32_e32 v22, 0
	;; [unrolled: 4-line block ×4, first 2 shown]
	v_mov_b32_e32 v29, 0
	v_mov_b32_e32 v30, 0
	;; [unrolled: 1-line block ×4, first 2 shown]
	v_accvgpr_read_b32 v37, a1
	v_accvgpr_read_b32 v35, a3
	;; [unrolled: 1-line block ×4, first 2 shown]
	s_and_b64 vcc, exec, s[0:1]
	s_waitcnt vmcnt(7)
	v_lshlrev_b32_e32 v38, 16, v42
	s_waitcnt vmcnt(6)
	v_lshlrev_b32_e32 v39, 16, v43
	;; [unrolled: 2-line block ×4, first 2 shown]
	v_pk_add_f32 v[36:37], v[38:39], v[36:37] neg_lo:[0,1] neg_hi:[0,1]
	s_waitcnt vmcnt(3)
	v_sub_f32_e32 v33, s2, v101
	v_exp_f32_e32 v42, v33
	s_waitcnt vmcnt(2)
	v_sub_f32_e32 v33, s2, v102
	s_waitcnt vmcnt(1)
	v_sub_f32_e32 v44, s2, v103
	;; [unrolled: 2-line block ×3, first 2 shown]
	v_exp_f32_e32 v43, v33
	v_exp_f32_e32 v100, v44
	;; [unrolled: 1-line block ×3, first 2 shown]
	v_pk_add_f32 v[34:35], v[40:41], v[34:35] neg_lo:[0,1] neg_hi:[0,1]
	v_pk_mul_f32 v[36:37], v[42:43], v[36:37]
	v_mov_b32_e32 v33, 0
	v_pk_mul_f32 v[34:35], v[100:101], v[34:35]
	s_nop 0
	v_perm_b32 v35, v35, v34, s35
	v_perm_b32 v34, v37, v36, s35
	ds_write_b64 v74, v[34:35]
	s_cbranch_vccnz .LBB540_14
; %bb.13:                               ;   in Loop: Header=BB540_6 Depth=1
	s_and_b32 s25, s25, 0xffff
	s_mov_b32 s27, s23
	buffer_load_dwordx4 v[30:33], v84, s[24:27], 0 offen
	buffer_load_dwordx4 v[22:25], v84, s[24:27], s60 offen
	;; [unrolled: 1-line block ×4, first 2 shown]
	v_mov_b32_e32 v98, v68
	v_mov_b32_e32 v99, v67
.LBB540_14:                             ;   in Loop: Header=BB540_6 Depth=1
	s_waitcnt lgkmcnt(0)
	s_barrier
	ds_read_b64 v[34:35], v87
	ds_read_b64 v[40:41], v88
	ds_read2st64_b64 v[36:39], v82 offset1:1
	ds_read2st64_b64 v[100:103], v82 offset0:2 offset1:3
	ds_read_b64 v[42:43], v89
	ds_read_b64 v[108:109], v90
	s_add_i32 s3, s56, s66
	s_mul_hi_i32 s21, s3, s13
	s_mul_i32 s3, s3, s13
	s_waitcnt lgkmcnt(3)
	v_mfma_f32_16x16x16_bf16 a[0:3], v[34:35], v[36:37], 0
	ds_read_b64 v[34:35], v92
	s_add_u32 s20, s3, s49
	s_addc_u32 s21, s21, s53
	s_add_i32 s3, s31, s62
	v_mfma_f32_16x16x16_bf16 a[0:3], v[40:41], v[38:39], a[0:3]
	ds_read_b64 v[40:41], v93
	s_lshl_b64 s[20:21], s[20:21], 15
	s_mul_hi_i32 s25, s3, s13
	s_mul_i32 s3, s3, s13
	s_add_u32 s24, s3, s49
	s_addc_u32 s25, s25, s53
	s_lshl_b64 s[24:25], s[24:25], 9
	s_add_u32 s24, s40, s24
	s_waitcnt lgkmcnt(1)
	v_mfma_f32_16x16x16_bf16 a[4:7], v[34:35], v[36:37], 0
	s_addc_u32 s25, s41, s25
	s_and_b64 vcc, exec, s[0:1]
	v_mfma_f32_16x16x16_bf16 a[0:3], v[42:43], v[100:101], a[0:3]
	ds_read_b64 v[42:43], v94
	ds_read_b64 v[110:111], v95
	global_load_dwordx4 v[34:37], v91, s[24:25]
	s_waitcnt lgkmcnt(2)
	v_mfma_f32_16x16x16_bf16 a[4:7], v[40:41], v[38:39], a[4:7]
	global_load_dwordx4 v[38:41], v86, s[24:25]
	ds_read_b64 v[104:105], v47
	ds_read_b64 v[106:107], v83
	s_waitcnt lgkmcnt(3)
	v_mfma_f32_16x16x16_bf16 a[8:11], v[42:43], v[100:101], a[4:7]
	v_lshl_add_u64 v[42:43], v[56:57], 0, s[20:21]
	s_waitcnt lgkmcnt(0)
	global_store_dwordx4 v[42:43], v[104:107], off
	v_mfma_f32_16x16x16_bf16 a[4:7], v[108:109], v[102:103], a[0:3]
	s_waitcnt vmcnt(2)
	v_mov_b32_e32 v44, v37
	v_mfma_f32_16x16x16_bf16 a[0:3], v[110:111], v[102:103], a[8:11]
	v_mov_b32_e32 v43, v36
	v_mov_b32_e32 v42, v35
	s_cbranch_vccnz .LBB540_16
; %bb.15:                               ;   in Loop: Header=BB540_6 Depth=1
	v_lshrrev_b32_e32 v35, 3, v98
	v_and_b32_e32 v35, 6, v35
	v_xor_b32_e32 v36, v35, v99
	v_lshlrev_b32_e32 v36, 2, v36
	v_and_b32_e32 v37, 8, v98
	v_xor_b32_e32 v98, 0x440, v36
	v_cmp_eq_u32_e32 vcc, 0, v37
	v_perm_b32 v37, v22, v18, s63
	s_nop 0
	v_cndmask_b32_e32 v36, v98, v36, vcc
	v_lshl_or_b32 v35, v35, 10, v36
	v_perm_b32 v36, v30, v26, s63
	s_barrier
	ds_write2st64_b32 v35, v36, v37 offset1:32
	v_xor_b32_e32 v36, 8, v35
	v_perm_b32 v26, v30, v26, s64
	v_perm_b32 v18, v22, v18, s64
	v_add_u32_e32 v22, 0x80, v36
	ds_write2st64_b32 v22, v26, v18 offset1:32
	v_xor_b32_e32 v18, 16, v35
	v_perm_b32 v22, v31, v27, s63
	v_perm_b32 v26, v23, v19, s63
	ds_write2st64_b32 v18, v22, v26 offset0:1 offset1:33
	v_xor_b32_e32 v18, 24, v35
	v_perm_b32 v22, v31, v27, s64
	v_perm_b32 v19, v23, v19, s64
	v_add_u32_e32 v18, 0x80, v18
	ds_write2st64_b32 v18, v22, v19 offset0:1 offset1:33
	v_xor_b32_e32 v18, 32, v35
	v_perm_b32 v19, v32, v28, s63
	v_perm_b32 v22, v24, v20, s63
	ds_write2st64_b32 v18, v19, v22 offset0:2 offset1:34
	v_xor_b32_e32 v18, 40, v35
	v_perm_b32 v19, v32, v28, s64
	v_perm_b32 v20, v24, v20, s64
	v_add_u32_e32 v18, 0x80, v18
	ds_write2st64_b32 v18, v19, v20 offset0:2 offset1:34
	;; [unrolled: 9-line block ×3, first 2 shown]
	ds_write_b64 v97, v[14:15] offset:16384
	v_xor_b32_e32 v14, 8, v97
	ds_write_b64 v14, v[16:17] offset:16384
	ds_write_b64 v97, v[10:11] offset:24576
	ds_write_b64 v14, v[12:13] offset:24576
	ds_write_b64 v96, v[6:7] offset:16384
	v_xor_b32_e32 v6, 8, v96
	ds_write_b64 v6, v[8:9] offset:16384
	ds_write_b64 v96, v[2:3] offset:24576
	;; [unrolled: 1-line block ×3, first 2 shown]
.LBB540_16:                             ;   in Loop: Header=BB540_6 Depth=1
	v_exp_f32_e32 v10, s2
	s_waitcnt vmcnt(1)
	v_exp_f32_e32 v12, v38
	v_exp_f32_e32 v13, v39
	;; [unrolled: 1-line block ×4, first 2 shown]
	v_accvgpr_read_b32 v2, a4
	v_accvgpr_read_b32 v3, a5
	v_pk_mul_f32 v[12:13], v[10:11], v[12:13] op_sel_hi:[0,1]
	v_pk_fma_f32 v[50:51], v[50:51], v[12:13], v[2:3]
	v_exp_f32_e32 v12, v34
	v_exp_f32_e32 v13, v42
	v_pk_mul_f32 v[2:3], v[10:11], v[14:15] op_sel_hi:[0,1]
	v_exp_f32_e32 v14, v43
	v_exp_f32_e32 v15, v44
	v_accvgpr_read_b32 v4, a6
	v_accvgpr_read_b32 v5, a7
	v_accvgpr_read_b32 v9, a3
	v_accvgpr_read_b32 v7, a1
	v_accvgpr_read_b32 v6, a0
	v_pk_fma_f32 v[54:55], v[54:55], v[2:3], v[4:5]
	v_pk_mul_f32 v[2:3], v[10:11], v[12:13] op_sel_hi:[0,1]
	v_accvgpr_read_b32 v8, a2
	v_pk_fma_f32 v[48:49], v[48:49], v[2:3], v[6:7]
	v_pk_mul_f32 v[2:3], v[10:11], v[14:15] op_sel_hi:[0,1]
	s_add_i32 s62, s62, 64
	s_cmp_eq_u32 s52, s37
	v_pk_fma_f32 v[52:53], v[52:53], v[2:3], v[8:9]
	s_cbranch_scc1 .LBB540_18
; %bb.17:                               ;   in Loop: Header=BB540_6 Depth=1
	s_mov_b32 s66, s37
	s_branch .LBB540_6
.LBB540_18:
	s_lshl_b32 s26, s52, 6
	s_sub_i32 s27, s12, s26
	s_cmp_gt_i32 s27, 0
	s_cbranch_scc0 .LBB540_75
; %bb.19:
	s_ashr_i32 s2, s26, 31
	s_cmpk_lg_i32 s15, 0x80
	s_cselect_b64 s[22:23], -1, 0
	s_and_b64 vcc, exec, s[22:23]
	s_cbranch_vccz .LBB540_21
; %bb.20:
	s_mul_i32 s1, s51, s12
	s_mul_hi_i32 s0, s51, s12
	s_add_u32 s1, s1, s26
	s_addc_u32 s0, s0, s2
	s_mul_i32 s3, s1, s54
	s_mul_hi_u32 s17, s1, s14
	s_add_i32 s3, s17, s3
	s_mul_i32 s0, s0, s14
	s_add_i32 s3, s3, s0
	s_mul_i32 s1, s1, s14
	s_ashr_i32 s0, s55, 31
	s_add_u32 s24, s1, s55
	s_addc_u32 s25, s3, s0
	s_cbranch_execz .LBB540_22
	s_branch .LBB540_23
.LBB540_21:
                                        ; implicit-def: $sgpr24_sgpr25
.LBB540_22:
	s_mul_hi_i32 s0, s51, s14
	s_mul_i32 s51, s51, s14
	s_ashr_i32 s1, s55, 31
	s_add_u32 s3, s51, s55
	s_addc_u32 s0, s0, s1
	s_mul_i32 s1, s3, s50
	s_mul_hi_u32 s14, s3, s12
	s_add_i32 s1, s14, s1
	s_mul_i32 s0, s0, s12
	s_add_i32 s1, s1, s0
	s_mul_i32 s3, s3, s12
	s_add_u32 s24, s3, s26
	s_addc_u32 s25, s1, s2
.LBB540_23:
	s_mul_i32 s0, s38, s50
	s_add_i32 s0, s57, s0
	s_add_i32 s3, s56, s52
	;; [unrolled: 1-line block ×3, first 2 shown]
	s_add_u32 s0, s16, s26
	s_addc_u32 s1, s1, s2
	s_mov_b32 s2, 0x7060302
	v_lshlrev_b32_e32 v6, 3, v62
	s_lshl_b64 s[20:21], s[0:1], 8
	v_perm_b32 v3, v55, v54, s2
	v_perm_b32 v2, v51, v50, s2
	;; [unrolled: 1-line block ×4, first 2 shown]
	v_lshlrev_b32_e32 v34, 2, v62
	v_lshl_or_b32 v6, v65, 5, v6
	s_add_u32 s0, s6, s20
	ds_write2st64_b64 v6, v[2:3], v[4:5] offset0:72 offset1:76
	v_xor_b32_e32 v6, v65, v34
	v_lshlrev_b32_e32 v7, 8, v62
	s_addc_u32 s1, s7, s21
	v_lshl_or_b32 v6, v6, 1, v7
	s_mul_hi_i32 s6, s3, s13
	s_mul_i32 s3, s3, s13
	ds_write_b64 v6, v[2:3] offset:32768
	v_xor_b32_e32 v2, v66, v34
	s_add_u32 s2, s3, s49
	v_lshl_or_b32 v2, v2, 1, v7
	s_addc_u32 s3, s6, s53
	v_lshlrev_b32_e32 v3, 1, v62
	ds_write_b64 v2, v[4:5] offset:32768
	v_lshrrev_b32_e32 v2, 4, v0
	s_ashr_i32 s37, s36, 31
	s_lshl_b64 s[2:3], s[2:3], 15
	v_or_b32_e32 v4, 1, v3
	s_add_u32 s6, s18, s2
	v_xor_b32_e32 v3, v2, v3
	v_xor_b32_e32 v4, v4, v2
	v_lshlrev_b32_e32 v6, 8, v2
	s_addc_u32 s7, s19, s3
	s_lshl_b64 s[2:3], s[36:37], 8
	v_lshl_or_b32 v2, v3, 3, v6
	v_lshl_or_b32 v4, v4, 3, v6
	s_waitcnt lgkmcnt(0)
	s_barrier
	s_add_u32 s2, s6, s2
	ds_read_b64 v[2:3], v2 offset:32768
	ds_read_b64 v[4:5], v4 offset:32768
	s_addc_u32 s3, s7, s3
	v_mov_b32_e32 v7, 0
	s_cmp_lg_u32 s27, 64
	v_lshl_add_u64 v[8:9], s[2:3], 0, v[6:7]
	v_lshlrev_b32_e32 v6, 4, v62
	s_cselect_b64 s[6:7], -1, 0
	v_lshl_or_b32 v35, v60, 3, v64
	s_mov_b32 s16, 0
	v_lshl_add_u64 v[6:7], v[8:9], 0, v[6:7]
	v_or_b32_e32 v19, 32, v35
	v_and_b32_e32 v18, 56, v63
	s_and_b64 vcc, exec, s[6:7]
	s_waitcnt lgkmcnt(0)
	global_store_dwordx4 v[6:7], v[2:5], off
	s_cbranch_vccz .LBB540_29
; %bb.24:
	s_mov_b32 s17, s16
	s_mov_b32 s18, s16
	s_mov_b32 s19, s16
	v_mov_b64_e32 v[6:7], s[16:17]
	v_mov_b64_e32 v[8:9], s[18:19]
	;; [unrolled: 1-line block ×3, first 2 shown]
	v_cmp_gt_i32_e32 vcc, s27, v35
	v_mov_b64_e32 v[4:5], v[8:9]
	s_and_saveexec_b64 s[2:3], vcc
	s_cbranch_execz .LBB540_26
; %bb.25:
	v_lshlrev_b32_e32 v2, 8, v35
	v_mov_b32_e32 v3, 0
	v_lshl_add_u64 v[4:5], s[0:1], 0, v[2:3]
	v_lshlrev_b32_e32 v2, 1, v18
	v_lshl_add_u64 v[10:11], v[4:5], 0, v[2:3]
	global_load_dwordx4 v[6:9], v[10:11], off
	global_load_dwordx4 v[2:5], v[10:11], off offset:128
.LBB540_26:
	s_or_b64 exec, exec, s[2:3]
	s_mov_b32 s17, s16
	s_mov_b32 s18, s16
	s_mov_b32 s19, s16
	v_mov_b64_e32 v[14:15], s[16:17]
	v_mov_b64_e32 v[16:17], s[18:19]
	;; [unrolled: 1-line block ×3, first 2 shown]
	v_cmp_gt_i32_e32 vcc, s27, v19
	v_lshlrev_b32_e32 v20, 7, v19
	v_mov_b64_e32 v[12:13], v[16:17]
	s_and_saveexec_b64 s[2:3], vcc
	s_cbranch_execz .LBB540_28
; %bb.27:
	v_lshlrev_b32_e32 v10, 1, v20
	v_mov_b32_e32 v11, 0
	v_lshl_add_u64 v[12:13], s[0:1], 0, v[10:11]
	v_lshlrev_b32_e32 v10, 1, v18
	v_lshl_add_u64 v[22:23], v[12:13], 0, v[10:11]
	global_load_dwordx4 v[14:17], v[22:23], off
	global_load_dwordx4 v[10:13], v[22:23], off offset:128
.LBB540_28:
	s_or_b64 exec, exec, s[2:3]
	v_lshrrev_b32_e32 v21, 3, v18
	v_lshlrev_b32_e32 v22, 3, v35
	v_or_b32_e32 v21, v22, v21
	v_lshlrev_b32_e32 v21, 4, v21
	v_and_b32_e32 v22, 0x78, v22
	v_xor_b32_e32 v21, v21, v22
	s_branch .LBB540_31
.LBB540_29:
                                        ; implicit-def: $vgpr21
                                        ; implicit-def: $vgpr20
                                        ; implicit-def: $vgpr6_vgpr7_vgpr8_vgpr9
                                        ; implicit-def: $vgpr2_vgpr3_vgpr4_vgpr5
                                        ; implicit-def: $vgpr14_vgpr15_vgpr16_vgpr17
                                        ; implicit-def: $vgpr10_vgpr11_vgpr12_vgpr13
	s_cbranch_execz .LBB540_31
; %bb.30:
	s_waitcnt vmcnt(0)
	v_lshlrev_b32_e32 v2, 1, v18
	v_lshl_or_b32 v20, v35, 8, v2
	s_and_b32 s1, s1, 0xffff
	s_mov_b32 s3, 0x20000
	s_movk_i32 s2, 0x4000
	v_lshl_or_b32 v21, v19, 8, v2
	s_movk_i32 s13, 0x80
	buffer_load_dwordx4 v[6:9], v20, s[0:3], 0 offen
	buffer_load_dwordx4 v[2:5], v20, s[0:3], s13 offen
	;; [unrolled: 1-line block ×4, first 2 shown]
	v_lshrrev_b32_e32 v20, 3, v18
	v_lshlrev_b32_e32 v21, 3, v35
	v_or_b32_e32 v20, v21, v20
	v_lshlrev_b32_e32 v20, 4, v20
	v_and_b32_e32 v21, 0x78, v21
	v_xor_b32_e32 v21, v20, v21
	v_lshlrev_b32_e32 v20, 7, v19
.LBB540_31:
	s_lshl_b64 s[0:1], s[24:25], 8
	s_add_u32 s4, s4, s0
	s_movk_i32 s0, 0x1000
	v_and_or_b32 v19, v20, s0, v21
	s_waitcnt vmcnt(1)
	ds_write_b64 v21, v[6:7] offset:16384
	v_xor_b32_e32 v6, 8, v21
	ds_write_b64 v6, v[8:9] offset:16384
	s_waitcnt vmcnt(0)
	ds_write_b64 v21, v[2:3] offset:24576
	ds_write_b64 v6, v[4:5] offset:24576
	;; [unrolled: 1-line block ×3, first 2 shown]
	v_xor_b32_e32 v2, 8, v19
	ds_write_b64 v2, v[16:17] offset:16384
	ds_write_b64 v19, v[10:11] offset:24576
	;; [unrolled: 1-line block ×3, first 2 shown]
	v_or_b32_e32 v2, v1, v62
	s_addc_u32 s5, s5, s1
	s_add_i32 s0, s12, -1
	v_lshlrev_b32_e32 v2, 3, v2
	v_lshrrev_b32_e32 v4, 5, v45
	s_movk_i32 s12, 0xf8
	v_and_or_b32 v4, v2, s12, v4
	v_lshlrev_b32_e32 v3, 11, v60
	v_lshlrev_b32_e32 v12, 4, v4
	v_and_b32_e32 v13, 0x78, v2
	v_and_b32_e32 v14, 0x1000, v3
	v_lshlrev_b32_e32 v3, 2, v0
	v_xor_b32_e32 v2, v12, v13
	v_lshrrev_b32_e32 v4, 1, v45
	v_and_b32_e32 v3, 60, v3
	v_or_b32_e32 v2, v2, v14
	v_and_b32_e32 v15, 8, v4
	v_xor_b32_e32 v26, v2, v15
	v_lshl_or_b32 v2, v61, 6, v3
	v_lshlrev_b32_e32 v19, 1, v2
	v_or_b32_e32 v2, 32, v12
	v_xor_b32_e32 v2, v2, v13
	s_waitcnt lgkmcnt(0)
	s_barrier
	ds_read_b64 v[10:11], v26 offset:16384
	v_or_b32_e32 v2, v2, v14
	v_xor_b32_e32 v27, v2, v15
	v_or_b32_e32 v2, 64, v12
	v_xor_b32_e32 v2, v2, v13
	v_or_b32_e32 v2, v2, v14
	v_or_b32_e32 v12, 0x60, v12
	v_xor_b32_e32 v28, v2, v15
	ds_read2st64_b64 v[2:5], v19 offset0:72 offset1:73
	ds_read2st64_b64 v[6:9], v19 offset0:74 offset1:75
	v_xor_b32_e32 v16, v12, v13
	ds_read_b64 v[12:13], v27 offset:16384
	s_add_i32 s1, s44, s33
	s_waitcnt lgkmcnt(2)
	v_mfma_f32_16x16x16_bf16 a[0:3], v[10:11], v[2:3], 0
	s_add_i32 s35, s1, s48
	s_add_i32 s1, s46, s45
	;; [unrolled: 1-line block ×3, first 2 shown]
	s_ashr_i32 s1, s0, 31
	s_mul_i32 s2, s0, s29
	s_mul_hi_u32 s3, s0, s28
	s_add_i32 s2, s3, s2
	s_mul_i32 s1, s1, s28
	v_or_b32_e32 v14, v16, v14
	s_add_i32 s1, s2, s1
	s_lshl_b64 s[2:3], s[34:35], 2
	v_xor_b32_e32 v36, v14, v15
	ds_read_b64 v[14:15], v28 offset:16384
	ds_read_b64 v[16:17], v36 offset:16384
	s_waitcnt lgkmcnt(2)
	v_mfma_f32_16x16x16_bf16 a[0:3], v[12:13], v[4:5], a[0:3]
	s_add_u32 s10, s10, s2
	s_addc_u32 s11, s11, s3
	s_lshl_b64 s[2:3], s[30:31], 2
	s_mul_i32 s0, s0, s28
	s_add_u32 s10, s10, s2
	s_addc_u32 s11, s11, s3
	s_lshl_b64 s[0:1], s[0:1], 2
	s_waitcnt lgkmcnt(1)
	v_mfma_f32_16x16x16_bf16 a[0:3], v[14:15], v[6:7], a[0:3]
	s_add_u32 s0, s10, s0
	s_addc_u32 s1, s11, s1
	s_load_dword s12, s[0:1], 0x0
	s_waitcnt lgkmcnt(0)
	v_mfma_f32_16x16x16_bf16 a[0:3], v[16:17], v[8:9], a[0:3]
	s_and_b64 vcc, exec, s[22:23]
	s_cbranch_vccz .LBB540_42
; %bb.32:
	v_lshlrev_b32_e32 v20, 1, v35
	s_and_b64 vcc, exec, s[6:7]
	s_cbranch_vccz .LBB540_43
; %bb.33:
	v_cmp_gt_i32_e32 vcc, s27, v20
	v_mov_b32_e32 v6, 0
	v_mov_b32_e32 v2, 0
	;; [unrolled: 1-line block ×5, first 2 shown]
	s_and_saveexec_b64 s[0:1], vcc
	s_cbranch_execz .LBB540_35
; %bb.34:
	v_mad_i64_i32 v[2:3], s[2:3], s15, v20, 0
	v_lshl_add_u64 v[2:3], v[2:3], 1, s[4:5]
	v_lshlrev_b32_e32 v4, 1, v18
	v_mov_b32_e32 v5, 0
	v_lshl_add_u64 v[2:3], v[2:3], 0, v[4:5]
	global_load_dwordx4 v[2:5], v[2:3], off
.LBB540_35:
	s_or_b64 exec, exec, s[0:1]
	v_or_b32_e32 v21, 1, v20
	v_cmp_gt_i32_e64 s[0:1], s27, v21
	v_mov_b32_e32 v7, 0
	v_mov_b32_e32 v8, 0
	;; [unrolled: 1-line block ×3, first 2 shown]
	s_and_saveexec_b64 s[2:3], s[0:1]
	s_cbranch_execz .LBB540_37
; %bb.36:
	v_mad_i64_i32 v[6:7], s[16:17], s15, v21, 0
	v_lshl_add_u64 v[6:7], v[6:7], 1, s[4:5]
	v_lshlrev_b32_e32 v8, 1, v18
	v_mov_b32_e32 v9, 0
	v_lshl_add_u64 v[6:7], v[6:7], 0, v[8:9]
	global_load_dwordx4 v[6:9], v[6:7], off
.LBB540_37:
	s_or_b64 exec, exec, s[2:3]
	v_mov_b32_e32 v17, 0
	v_mov_b32_e32 v10, 0
	;; [unrolled: 1-line block ×5, first 2 shown]
	s_and_saveexec_b64 s[2:3], vcc
	s_cbranch_execz .LBB540_39
; %bb.38:
	v_mad_i64_i32 v[10:11], s[16:17], s15, v20, 0
	v_lshl_add_u64 v[10:11], v[10:11], 1, s[4:5]
	v_lshlrev_b32_e32 v12, 1, v18
	v_mov_b32_e32 v13, 0
	v_lshl_add_u64 v[10:11], v[10:11], 0, v[12:13]
	global_load_dwordx4 v[10:13], v[10:11], off offset:128
.LBB540_39:
	s_or_b64 exec, exec, s[2:3]
	v_mov_b32_e32 v16, 0
	v_mov_b32_e32 v15, 0
	v_mov_b32_e32 v14, 0
	s_and_saveexec_b64 s[2:3], s[0:1]
	s_cbranch_execz .LBB540_41
; %bb.40:
	v_mad_i64_i32 v[14:15], s[0:1], s15, v21, 0
	v_lshl_add_u64 v[14:15], v[14:15], 1, s[4:5]
	v_lshlrev_b32_e32 v16, 1, v18
	v_mov_b32_e32 v17, 0
	v_lshl_add_u64 v[14:15], v[14:15], 0, v[16:17]
	global_load_dwordx4 v[14:17], v[14:15], off offset:128
.LBB540_41:
	s_or_b64 exec, exec, s[2:3]
	s_branch .LBB540_45
.LBB540_42:
                                        ; implicit-def: $vgpr5
                                        ; implicit-def: $vgpr9
                                        ; implicit-def: $vgpr13
                                        ; implicit-def: $vgpr17
	v_lshrrev_b32_e32 v37, 2, v45
	s_branch .LBB540_46
.LBB540_43:
                                        ; implicit-def: $vgpr5
                                        ; implicit-def: $vgpr9
                                        ; implicit-def: $vgpr13
                                        ; implicit-def: $vgpr17
	s_cbranch_execz .LBB540_45
; %bb.44:
	s_waitcnt vmcnt(0)
	v_mad_u64_u32 v[2:3], s[0:1], v20, s15, v[18:19]
	v_lshlrev_b32_e32 v20, 1, v2
	s_lshl_b32 s2, s15, 7
	s_and_b32 s1, s5, 0xffff
	s_mov_b32 s3, 0x20000
	s_mov_b32 s0, s4
	v_add_lshl_u32 v21, v2, s15, 1
	s_movk_i32 s13, 0x80
	buffer_load_dwordx4 v[2:5], v20, s[0:3], 0 offen
	buffer_load_dwordx4 v[10:13], v20, s[0:3], s13 offen
	;; [unrolled: 1-line block ×4, first 2 shown]
.LBB540_45:
	v_lshrrev_b32_e32 v37, 2, v45
	s_cbranch_execnz .LBB540_58
.LBB540_46:
	s_and_b64 vcc, exec, s[6:7]
	s_cbranch_vccz .LBB540_56
; %bb.47:
	s_waitcnt vmcnt(0)
	v_lshlrev_b32_e32 v7, 1, v35
	v_cmp_gt_i32_e32 vcc, s27, v7
	v_mov_b32_e32 v6, 0
	v_lshlrev_b32_e32 v14, 9, v35
	v_mov_b32_e32 v2, 0
	v_mov_b32_e32 v3, 0
	;; [unrolled: 1-line block ×4, first 2 shown]
	s_and_saveexec_b64 s[0:1], vcc
	s_cbranch_execz .LBB540_49
; %bb.48:
	v_mov_b32_e32 v15, 0
	v_lshl_add_u64 v[2:3], s[4:5], 0, v[14:15]
	v_lshlrev_b32_e32 v4, 1, v18
	v_mov_b32_e32 v5, v15
	v_lshl_add_u64 v[2:3], v[2:3], 0, v[4:5]
	global_load_dwordx4 v[2:5], v[2:3], off
.LBB540_49:
	s_or_b64 exec, exec, s[0:1]
	v_or_b32_e32 v7, 1, v7
	v_cmp_gt_i32_e64 s[0:1], s27, v7
	v_lshlrev_b32_e32 v20, 8, v7
	v_mov_b32_e32 v7, 0
	v_mov_b32_e32 v8, 0
	;; [unrolled: 1-line block ×3, first 2 shown]
	s_and_saveexec_b64 s[2:3], s[0:1]
	s_cbranch_execz .LBB540_51
; %bb.50:
	v_mov_b32_e32 v21, 0
	v_lshl_add_u64 v[6:7], s[4:5], 0, v[20:21]
	v_lshlrev_b32_e32 v8, 1, v18
	v_mov_b32_e32 v9, v21
	v_lshl_add_u64 v[6:7], v[6:7], 0, v[8:9]
	global_load_dwordx4 v[6:9], v[6:7], off
.LBB540_51:
	s_or_b64 exec, exec, s[2:3]
	v_mov_b32_e32 v17, 0
	v_mov_b32_e32 v10, 0
	;; [unrolled: 1-line block ×5, first 2 shown]
	s_and_saveexec_b64 s[2:3], vcc
	s_cbranch_execz .LBB540_53
; %bb.52:
	v_mov_b32_e32 v15, 0
	v_lshl_add_u64 v[10:11], s[4:5], 0, v[14:15]
	v_lshlrev_b32_e32 v14, 1, v18
	v_lshl_add_u64 v[10:11], v[10:11], 0, v[14:15]
	global_load_dwordx4 v[10:13], v[10:11], off offset:128
.LBB540_53:
	s_or_b64 exec, exec, s[2:3]
	v_mov_b32_e32 v16, 0
	v_mov_b32_e32 v15, 0
	;; [unrolled: 1-line block ×3, first 2 shown]
	s_and_saveexec_b64 s[2:3], s[0:1]
	s_cbranch_execz .LBB540_55
; %bb.54:
	v_mov_b32_e32 v21, 0
	v_lshl_add_u64 v[14:15], s[4:5], 0, v[20:21]
	v_lshlrev_b32_e32 v20, 1, v18
	v_lshl_add_u64 v[14:15], v[14:15], 0, v[20:21]
	global_load_dwordx4 v[14:17], v[14:15], off offset:128
.LBB540_55:
	s_or_b64 exec, exec, s[2:3]
	s_branch .LBB540_58
.LBB540_56:
                                        ; implicit-def: $vgpr5
                                        ; implicit-def: $vgpr9
                                        ; implicit-def: $vgpr13
                                        ; implicit-def: $vgpr17
	s_cbranch_execz .LBB540_58
; %bb.57:
	s_waitcnt vmcnt(0)
	v_lshlrev_b32_e32 v2, 1, v18
	v_lshl_or_b32 v18, v35, 9, v2
	s_and_b32 s5, s5, 0xffff
	s_mov_b32 s7, 0x20000
	s_movk_i32 s6, 0x4000
	s_movk_i32 s0, 0x80
	buffer_load_dwordx4 v[2:5], v18, s[4:7], 0 offen
	buffer_load_dwordx4 v[6:9], v18, s[4:7], 0 offen offset:256
	buffer_load_dwordx4 v[10:13], v18, s[4:7], s0 offen
	buffer_load_dwordx4 v[14:17], v18, s[4:7], s0 offen offset:256
.LBB540_58:
	ds_read2st64_b64 v[22:25], v19 offset0:76 offset1:77
	ds_read2st64_b64 v[18:21], v19 offset0:78 offset1:79
	ds_read_b64 v[30:31], v26 offset:24576
	ds_read_b64 v[32:33], v27 offset:24576
	;; [unrolled: 1-line block ×4, first 2 shown]
	v_and_b32_e32 v36, 6, v0
	v_xor_b32_e32 v35, v35, v36
	v_lshlrev_b32_e32 v35, 2, v35
	v_and_b32_e32 v0, 1, v0
	v_xor_b32_e32 v38, 0x440, v35
	v_cmp_eq_u32_e32 vcc, 0, v0
	s_mov_b32 s0, 0x1000504
	s_mov_b32 s1, 0x3020706
	v_cndmask_b32_e32 v0, v38, v35, vcc
	v_lshl_or_b32 v0, v36, 10, v0
	s_waitcnt vmcnt(0)
	v_perm_b32 v35, v2, v6, s0
	v_perm_b32 v36, v10, v14, s0
	ds_write2st64_b32 v0, v35, v36 offset1:32
	v_xor_b32_e32 v35, 8, v0
	v_perm_b32 v2, v2, v6, s1
	v_perm_b32 v6, v10, v14, s1
	v_add_u32_e32 v10, 0x80, v35
	ds_write2st64_b32 v10, v2, v6 offset1:32
	v_xor_b32_e32 v2, 16, v0
	v_perm_b32 v6, v3, v7, s0
	v_perm_b32 v10, v11, v15, s0
	ds_write2st64_b32 v2, v6, v10 offset0:1 offset1:33
	v_xor_b32_e32 v2, 24, v0
	v_perm_b32 v3, v3, v7, s1
	v_perm_b32 v6, v11, v15, s1
	v_add_u32_e32 v2, 0x80, v2
	ds_write2st64_b32 v2, v3, v6 offset0:1 offset1:33
	v_xor_b32_e32 v2, 32, v0
	v_perm_b32 v3, v4, v8, s0
	v_perm_b32 v6, v12, v16, s0
	ds_write2st64_b32 v2, v3, v6 offset0:2 offset1:34
	v_xor_b32_e32 v2, 40, v0
	v_perm_b32 v3, v4, v8, s1
	v_perm_b32 v4, v12, v16, s1
	v_add_u32_e32 v2, 0x80, v2
	ds_write2st64_b32 v2, v3, v4 offset0:2 offset1:34
	v_xor_b32_e32 v2, 48, v0
	v_perm_b32 v3, v5, v9, s0
	v_perm_b32 v4, v13, v17, s0
	v_xor_b32_e32 v0, 56, v0
	v_and_or_b32 v6, v37, 12, v1
	ds_write2st64_b32 v2, v3, v4 offset0:3 offset1:35
	v_perm_b32 v2, v5, v9, s1
	v_perm_b32 v3, v13, v17, s1
	v_add_u32_e32 v0, 0x80, v0
	v_cmp_gt_i32_e32 vcc, s27, v6
	v_mov_b32_e32 v7, 0
	v_mov_b32_e32 v11, 0
	ds_write2st64_b32 v0, v2, v3 offset0:3 offset1:35
	s_and_saveexec_b64 s[0:1], vcc
	s_cbranch_execz .LBB540_60
; %bb.59:
	v_add_u32_e32 v0, s26, v6
	v_ashrrev_i32_e32 v1, 31, v0
	v_mul_lo_u32 v2, v1, s28
	v_mul_lo_u32 v3, v0, s29
	v_mad_u64_u32 v[0:1], s[2:3], v0, s28, 0
	v_add3_u32 v1, v1, v3, v2
	v_lshl_add_u64 v[0:1], v[0:1], 2, s[10:11]
	global_load_dword v0, v[0:1], off
	s_waitcnt vmcnt(0)
	v_sub_f32_e32 v0, s12, v0
	v_exp_f32_e32 v11, v0
.LBB540_60:
	s_or_b64 exec, exec, s[0:1]
	v_or_b32_e32 v9, 1, v6
	v_cmp_gt_i32_e64 s[0:1], s27, v9
	s_and_saveexec_b64 s[2:3], s[0:1]
	s_cbranch_execz .LBB540_62
; %bb.61:
	v_add_u32_e32 v0, s26, v9
	v_ashrrev_i32_e32 v1, 31, v0
	v_mul_lo_u32 v2, v1, s28
	v_mul_lo_u32 v3, v0, s29
	v_mad_u64_u32 v[0:1], s[4:5], v0, s28, 0
	v_add3_u32 v1, v1, v3, v2
	v_lshl_add_u64 v[0:1], v[0:1], 2, s[10:11]
	global_load_dword v0, v[0:1], off
	s_waitcnt vmcnt(0)
	v_sub_f32_e32 v0, s12, v0
	v_exp_f32_e32 v7, v0
.LBB540_62:
	s_or_b64 exec, exec, s[2:3]
	v_or_b32_e32 v10, 2, v6
	v_cmp_gt_i32_e64 s[2:3], s27, v10
	v_mov_b32_e32 v8, 0
	v_mov_b32_e32 v13, 0
	s_and_saveexec_b64 s[4:5], s[2:3]
	s_cbranch_execz .LBB540_64
; %bb.63:
	v_add_u32_e32 v0, s26, v10
	v_ashrrev_i32_e32 v1, 31, v0
	v_mul_lo_u32 v2, v1, s28
	v_mul_lo_u32 v3, v0, s29
	v_mad_u64_u32 v[0:1], s[6:7], v0, s28, 0
	v_add3_u32 v1, v1, v3, v2
	v_lshl_add_u64 v[0:1], v[0:1], 2, s[10:11]
	global_load_dword v0, v[0:1], off
	s_waitcnt vmcnt(0)
	v_sub_f32_e32 v0, s12, v0
	v_exp_f32_e32 v13, v0
.LBB540_64:
	s_or_b64 exec, exec, s[4:5]
	v_or_b32_e32 v12, 3, v6
	v_cmp_gt_i32_e64 s[4:5], s27, v12
	s_and_saveexec_b64 s[6:7], s[4:5]
	s_cbranch_execz .LBB540_66
; %bb.65:
	v_add_u32_e32 v0, s26, v12
	v_ashrrev_i32_e32 v1, 31, v0
	v_mul_lo_u32 v2, v1, s28
	v_mul_lo_u32 v3, v0, s29
	v_mad_u64_u32 v[0:1], s[14:15], v0, s28, 0
	v_add3_u32 v1, v1, v3, v2
	v_lshl_add_u64 v[0:1], v[0:1], 2, s[10:11]
	global_load_dword v0, v[0:1], off
	s_waitcnt vmcnt(0)
	v_sub_f32_e32 v0, s12, v0
	v_exp_f32_e32 v8, v0
.LBB540_66:
	s_or_b64 exec, exec, s[6:7]
	s_waitcnt lgkmcnt(11)
	v_mfma_f32_16x16x16_bf16 a[0:3], v[30:31], v[22:23], a[0:3]
	s_add_u32 s6, s8, s20
	v_ashrrev_i32_e32 v47, 31, v46
	s_addc_u32 s7, s9, s21
	s_waitcnt lgkmcnt(10)
	v_mfma_f32_16x16x16_bf16 a[0:3], v[32:33], v[24:25], a[0:3]
	v_mov_b32_e32 v14, 0
	v_lshl_add_u64 v[4:5], v[46:47], 1, s[6:7]
	v_mov_b32_e32 v15, 0
	s_waitcnt lgkmcnt(9)
	v_mfma_f32_16x16x16_bf16 a[0:3], v[28:29], v[18:19], a[0:3]
	s_waitcnt lgkmcnt(8)
	v_mfma_f32_16x16x16_bf16 a[0:3], v[26:27], v[20:21], a[0:3]
	s_nop 6
	v_accvgpr_read_b32 v0, a0
	v_accvgpr_read_b32 v1, a1
	;; [unrolled: 1-line block ×4, first 2 shown]
	s_and_saveexec_b64 s[6:7], vcc
	s_cbranch_execz .LBB540_68
; %bb.67:
	v_lshlrev_b32_e32 v16, 8, v6
	v_mov_b32_e32 v17, 0
	v_lshl_add_u64 v[16:17], v[4:5], 0, v[16:17]
	global_load_ushort v15, v[16:17], off
	s_waitcnt vmcnt(0)
	v_lshlrev_b32_e32 v15, 16, v15
	v_sub_f32_e32 v0, v15, v0
	v_mul_f32_e32 v0, v11, v0
	v_lshrrev_b32_e32 v15, 16, v0
.LBB540_68:
	s_or_b64 exec, exec, s[6:7]
	s_and_saveexec_b64 s[6:7], s[0:1]
	s_cbranch_execz .LBB540_70
; %bb.69:
	v_lshlrev_b32_e32 v16, 8, v9
	v_mov_b32_e32 v17, 0
	v_lshl_add_u64 v[16:17], v[4:5], 0, v[16:17]
	global_load_ushort v0, v[16:17], off
	s_waitcnt vmcnt(0)
	v_lshlrev_b32_e32 v0, 16, v0
	v_sub_f32_e32 v0, v0, v1
	v_mul_f32_e32 v0, v7, v0
	v_lshrrev_b32_e32 v14, 16, v0
.LBB540_70:
	s_or_b64 exec, exec, s[6:7]
	v_mov_b32_e32 v0, 0
	v_mov_b32_e32 v1, 0
	s_and_saveexec_b64 s[0:1], s[2:3]
	s_cbranch_execz .LBB540_72
; %bb.71:
	v_lshlrev_b32_e32 v10, 8, v10
	v_mov_b32_e32 v11, 0
	v_lshl_add_u64 v[10:11], v[4:5], 0, v[10:11]
	global_load_ushort v1, v[10:11], off
	s_waitcnt vmcnt(0)
	v_lshlrev_b32_e32 v1, 16, v1
	v_sub_f32_e32 v1, v1, v2
	v_mul_f32_e32 v1, v13, v1
	v_lshrrev_b32_e32 v1, 16, v1
.LBB540_72:
	s_or_b64 exec, exec, s[0:1]
	s_and_saveexec_b64 s[0:1], s[4:5]
	s_cbranch_execz .LBB540_74
; %bb.73:
	v_lshlrev_b32_e32 v10, 8, v12
	v_mov_b32_e32 v11, 0
	v_lshl_add_u64 v[4:5], v[4:5], 0, v[10:11]
	global_load_ushort v0, v[4:5], off
	s_waitcnt vmcnt(0)
	v_lshlrev_b32_e32 v0, 16, v0
	v_sub_f32_e32 v0, v0, v3
	v_mul_f32_e32 v0, v8, v0
	v_lshrrev_b32_e32 v0, 16, v0
.LBB540_74:
	s_or_b64 exec, exec, s[0:1]
	s_mov_b32 s0, 0x5040100
	v_lshlrev_b32_e32 v2, 1, v34
	v_perm_b32 v1, v0, v1, s0
	v_perm_b32 v0, v14, v15, s0
	v_lshl_or_b32 v2, v6, 5, v2
	ds_write_b64 v2, v[0:1] offset:38912
	s_waitcnt lgkmcnt(0)
	s_barrier
.LBB540_75:
	s_endpgm
	.section	.rodata,"a",@progbits
	.p2align	6, 0x0
	.amdhsa_kernel _ZN12_GLOBAL__N_139chunk_gated_delta_rule_fwd_h_hip_kernelILi16ELb1ELb0ELb0ELb0ELb1ELb1ELb0ELb1EEEvPK12hip_bfloat16S3_S3_PKfS5_PKvPS1_S8_PvPKiSB_iiiiilll
		.amdhsa_group_segment_fixed_size 40960
		.amdhsa_private_segment_fixed_size 0
		.amdhsa_kernarg_size 136
		.amdhsa_user_sgpr_count 2
		.amdhsa_user_sgpr_dispatch_ptr 0
		.amdhsa_user_sgpr_queue_ptr 0
		.amdhsa_user_sgpr_kernarg_segment_ptr 1
		.amdhsa_user_sgpr_dispatch_id 0
		.amdhsa_user_sgpr_kernarg_preload_length 0
		.amdhsa_user_sgpr_kernarg_preload_offset 0
		.amdhsa_user_sgpr_private_segment_size 0
		.amdhsa_uses_dynamic_stack 0
		.amdhsa_enable_private_segment 0
		.amdhsa_system_sgpr_workgroup_id_x 1
		.amdhsa_system_sgpr_workgroup_id_y 1
		.amdhsa_system_sgpr_workgroup_id_z 0
		.amdhsa_system_sgpr_workgroup_info 0
		.amdhsa_system_vgpr_workitem_id 0
		.amdhsa_next_free_vgpr 124
		.amdhsa_next_free_sgpr 67
		.amdhsa_accum_offset 112
		.amdhsa_reserve_vcc 1
		.amdhsa_float_round_mode_32 0
		.amdhsa_float_round_mode_16_64 0
		.amdhsa_float_denorm_mode_32 3
		.amdhsa_float_denorm_mode_16_64 3
		.amdhsa_dx10_clamp 1
		.amdhsa_ieee_mode 1
		.amdhsa_fp16_overflow 0
		.amdhsa_tg_split 0
		.amdhsa_exception_fp_ieee_invalid_op 0
		.amdhsa_exception_fp_denorm_src 0
		.amdhsa_exception_fp_ieee_div_zero 0
		.amdhsa_exception_fp_ieee_overflow 0
		.amdhsa_exception_fp_ieee_underflow 0
		.amdhsa_exception_fp_ieee_inexact 0
		.amdhsa_exception_int_div_zero 0
	.end_amdhsa_kernel
	.section	.text._ZN12_GLOBAL__N_139chunk_gated_delta_rule_fwd_h_hip_kernelILi16ELb1ELb0ELb0ELb0ELb1ELb1ELb0ELb1EEEvPK12hip_bfloat16S3_S3_PKfS5_PKvPS1_S8_PvPKiSB_iiiiilll,"axG",@progbits,_ZN12_GLOBAL__N_139chunk_gated_delta_rule_fwd_h_hip_kernelILi16ELb1ELb0ELb0ELb0ELb1ELb1ELb0ELb1EEEvPK12hip_bfloat16S3_S3_PKfS5_PKvPS1_S8_PvPKiSB_iiiiilll,comdat
.Lfunc_end540:
	.size	_ZN12_GLOBAL__N_139chunk_gated_delta_rule_fwd_h_hip_kernelILi16ELb1ELb0ELb0ELb0ELb1ELb1ELb0ELb1EEEvPK12hip_bfloat16S3_S3_PKfS5_PKvPS1_S8_PvPKiSB_iiiiilll, .Lfunc_end540-_ZN12_GLOBAL__N_139chunk_gated_delta_rule_fwd_h_hip_kernelILi16ELb1ELb0ELb0ELb0ELb1ELb1ELb0ELb1EEEvPK12hip_bfloat16S3_S3_PKfS5_PKvPS1_S8_PvPKiSB_iiiiilll
                                        ; -- End function
	.section	.AMDGPU.csdata,"",@progbits
; Kernel info:
; codeLenInByte = 7320
; NumSgprs: 73
; NumVgprs: 112
; NumAgprs: 12
; TotalNumVgprs: 124
; ScratchSize: 0
; MemoryBound: 0
; FloatMode: 240
; IeeeMode: 1
; LDSByteSize: 40960 bytes/workgroup (compile time only)
; SGPRBlocks: 9
; VGPRBlocks: 15
; NumSGPRsForWavesPerEU: 73
; NumVGPRsForWavesPerEU: 124
; AccumOffset: 112
; Occupancy: 1
; WaveLimiterHint : 1
; COMPUTE_PGM_RSRC2:SCRATCH_EN: 0
; COMPUTE_PGM_RSRC2:USER_SGPR: 2
; COMPUTE_PGM_RSRC2:TRAP_HANDLER: 0
; COMPUTE_PGM_RSRC2:TGID_X_EN: 1
; COMPUTE_PGM_RSRC2:TGID_Y_EN: 1
; COMPUTE_PGM_RSRC2:TGID_Z_EN: 0
; COMPUTE_PGM_RSRC2:TIDIG_COMP_CNT: 0
; COMPUTE_PGM_RSRC3_GFX90A:ACCUM_OFFSET: 27
; COMPUTE_PGM_RSRC3_GFX90A:TG_SPLIT: 0
	.section	.text._ZN12_GLOBAL__N_139chunk_gated_delta_rule_fwd_h_hip_kernelILi16ELb0ELb1ELb1ELb0ELb1ELb1ELb0ELb1EEEvPK12hip_bfloat16S3_S3_PKfS5_PKvPS1_S8_PvPKiSB_iiiiilll,"axG",@progbits,_ZN12_GLOBAL__N_139chunk_gated_delta_rule_fwd_h_hip_kernelILi16ELb0ELb1ELb1ELb0ELb1ELb1ELb0ELb1EEEvPK12hip_bfloat16S3_S3_PKfS5_PKvPS1_S8_PvPKiSB_iiiiilll,comdat
	.globl	_ZN12_GLOBAL__N_139chunk_gated_delta_rule_fwd_h_hip_kernelILi16ELb0ELb1ELb1ELb0ELb1ELb1ELb0ELb1EEEvPK12hip_bfloat16S3_S3_PKfS5_PKvPS1_S8_PvPKiSB_iiiiilll ; -- Begin function _ZN12_GLOBAL__N_139chunk_gated_delta_rule_fwd_h_hip_kernelILi16ELb0ELb1ELb1ELb0ELb1ELb1ELb0ELb1EEEvPK12hip_bfloat16S3_S3_PKfS5_PKvPS1_S8_PvPKiSB_iiiiilll
	.p2align	8
	.type	_ZN12_GLOBAL__N_139chunk_gated_delta_rule_fwd_h_hip_kernelILi16ELb0ELb1ELb1ELb0ELb1ELb1ELb0ELb1EEEvPK12hip_bfloat16S3_S3_PKfS5_PKvPS1_S8_PvPKiSB_iiiiilll,@function
_ZN12_GLOBAL__N_139chunk_gated_delta_rule_fwd_h_hip_kernelILi16ELb0ELb1ELb1ELb0ELb1ELb1ELb0ELb1EEEvPK12hip_bfloat16S3_S3_PKfS5_PKvPS1_S8_PvPKiSB_iiiiilll: ; @_ZN12_GLOBAL__N_139chunk_gated_delta_rule_fwd_h_hip_kernelILi16ELb0ELb1ELb1ELb0ELb1ELb1ELb0ELb1EEEvPK12hip_bfloat16S3_S3_PKfS5_PKvPS1_S8_PvPKiSB_iiiiilll
; %bb.0:
	s_load_dwordx4 s[12:15], s[0:1], 0x5c
	s_load_dwordx2 s[34:35], s[0:1], 0x40
	s_abs_i32 s22, s3
	s_ashr_i32 s21, s3, 31
	s_load_dwordx8 s[4:11], s[0:1], 0x0
	s_load_dwordx2 s[36:37], s[0:1], 0x20
	s_load_dwordx4 s[16:19], s[0:1], 0x30
	s_waitcnt lgkmcnt(0)
	s_abs_i32 s20, s13
	v_cvt_f32_u32_e32 v1, s20
	s_sub_i32 s24, 0, s20
	s_ashr_i32 s23, s13, 31
	s_xor_b32 s21, s21, s23
	v_rcp_iflag_f32_e32 v1, v1
	v_lshrrev_b32_e32 v45, 6, v0
	v_bfe_u32 v62, v0, 4, 2
	v_lshlrev_b32_e32 v60, 4, v45
	v_mul_f32_e32 v1, 0x4f7ffffe, v1
	v_cvt_u32_f32_e32 v1, v1
	v_lshlrev_b32_e32 v2, 2, v62
	v_and_b32_e32 v61, 63, v0
	v_mov_b32_e32 v49, 0
	v_readfirstlane_b32 s25, v1
	s_mul_i32 s24, s24, s25
	s_mul_hi_u32 s24, s25, s24
	s_add_i32 s25, s25, s24
	s_mul_hi_u32 s24, s22, s25
	s_mul_i32 s25, s24, s20
	s_sub_i32 s22, s22, s25
	s_add_i32 s25, s24, 1
	s_sub_i32 s26, s22, s20
	s_cmp_ge_u32 s22, s20
	s_cselect_b32 s24, s25, s24
	s_cselect_b32 s22, s26, s22
	s_add_i32 s25, s24, 1
	s_cmp_ge_u32 s22, s20
	s_cselect_b32 s22, s25, s24
	s_xor_b32 s22, s22, s21
	s_sub_i32 s52, s22, s21
	s_abs_i32 s21, s14
	v_cvt_f32_u32_e32 v1, s21
	s_ashr_i32 s51, s12, 31
	s_lshr_b32 s22, s51, 26
	s_add_i32 s22, s12, s22
	v_rcp_iflag_f32_e32 v1, v1
	s_ashr_i32 s54, s14, 31
	s_ashr_i32 s53, s22, 6
	s_xor_b32 s22, s23, s54
	v_mul_f32_e32 v1, 0x4f7ffffe, v1
	v_cvt_u32_f32_e32 v1, v1
	s_sub_i32 s23, 0, s21
	s_mul_i32 s50, s52, s13
	s_sub_i32 s33, s3, s50
	v_readfirstlane_b32 s24, v1
	s_mul_i32 s23, s23, s24
	s_mul_hi_u32 s23, s24, s23
	s_add_i32 s24, s24, s23
	s_mul_hi_u32 s23, s20, s24
	s_mul_i32 s24, s23, s21
	s_sub_i32 s20, s20, s24
	s_add_i32 s3, s12, 63
	s_add_i32 s24, s23, 1
	s_sub_i32 s25, s20, s21
	s_cmp_ge_u32 s20, s21
	s_cselect_b32 s23, s24, s23
	s_cselect_b32 s20, s25, s20
	s_add_i32 s24, s23, 1
	s_cmp_ge_u32 s20, s21
	s_cselect_b32 s20, s24, s23
	s_xor_b32 s20, s20, s22
	s_sub_i32 s24, s20, s22
	s_abs_i32 s25, s24
	v_cvt_f32_u32_e32 v1, s25
	s_load_dwordx2 s[38:39], s[0:1], 0x80
	s_load_dwordx4 s[20:23], s[0:1], 0x70
	s_xor_b32 s0, s33, s24
	s_sub_i32 s24, 0, s25
	v_rcp_iflag_f32_e32 v1, v1
	s_abs_i32 s1, s33
	s_ashr_i32 s0, s0, 31
	s_mul_i32 s48, s52, s12
	v_mul_f32_e32 v1, 0x4f7ffffe, v1
	v_cvt_u32_f32_e32 v1, v1
	v_and_b32_e32 v63, 15, v0
	s_mul_hi_i32 s56, s52, s13
	v_lshrrev_b32_e32 v65, 3, v61
	v_readfirstlane_b32 s26, v1
	s_mul_i32 s24, s24, s26
	s_mul_hi_u32 s24, s26, s24
	s_add_i32 s26, s26, s24
	s_mul_hi_u32 s24, s1, s26
	s_mul_i32 s26, s24, s25
	s_sub_i32 s1, s1, s26
	s_add_i32 s26, s24, 1
	s_sub_i32 s27, s1, s25
	s_cmp_ge_u32 s1, s25
	s_cselect_b32 s24, s26, s24
	s_cselect_b32 s1, s27, s1
	s_add_i32 s26, s24, 1
	s_cmp_ge_u32 s1, s25
	s_cselect_b32 s1, s26, s24
	s_xor_b32 s1, s1, s0
	s_sub_i32 s57, s1, s0
	s_ashr_i32 s0, s3, 31
	s_lshr_b32 s0, s0, 26
	s_add_i32 s3, s3, s0
	v_or_b32_e32 v1, v2, v60
	s_ashr_i32 s0, s3, 6
	s_lshl_b32 s2, s2, 4
	s_mul_i32 s55, s52, s0
	v_or_b32_e32 v66, 64, v1
	s_cmp_lt_i32 s12, 64
	v_lshlrev_b32_e32 v64, 3, v0
	s_waitcnt lgkmcnt(0)
	s_mul_i32 s21, s52, s21
	s_mul_hi_u32 s49, s52, s20
	s_mul_i32 s40, s52, s20
	v_mov_b32_e32 v48, v49
	v_mov_b32_e32 v51, v49
	;; [unrolled: 1-line block ×7, first 2 shown]
	s_cbranch_scc1 .LBB541_18
; %bb.1:
	s_ashr_i32 s3, s52, 31
	s_ashr_i32 s59, s33, 31
	s_add_u32 s0, s50, s33
	s_addc_u32 s1, s56, s59
	s_mul_i32 s1, s12, s1
	s_mul_hi_u32 s24, s12, s0
	s_add_i32 s43, s24, s1
	s_mul_i32 s42, s12, s0
	s_lshl_b64 s[0:1], s[42:43], 8
	v_and_b32_e32 v68, 56, v64
	s_add_u32 s24, s6, s0
	v_lshl_or_b32 v67, v45, 3, v65
	v_lshlrev_b32_e32 v3, 1, v68
	s_addc_u32 s0, s7, s1
	v_lshl_or_b32 v69, v67, 8, v3
	s_and_b32 s25, s0, 0xffff
	s_mov_b32 s27, 0x20000
	s_movk_i32 s26, 0x4000
	s_movk_i32 s0, 0x80
	v_or_b32_e32 v70, 0x2000, v69
	buffer_load_dwordx4 v[4:7], v69, s[24:27], 0 offen
	buffer_load_dwordx4 v[8:11], v69, s[24:27], s0 offen
	;; [unrolled: 1-line block ×4, first 2 shown]
	v_lshlrev_b32_e32 v20, 3, v67
	v_and_or_b32 v22, v0, 7, v20
	v_and_b32_e32 v20, 0x78, v20
	v_lshlrev_b32_e32 v22, 4, v22
	v_xor_b32_e32 v71, v22, v20
	v_mul_lo_u32 v21, v67, s15
	v_or_b32_e32 v72, 0x1000, v71
	s_cmpk_eq_i32 s15, 0x80
	s_mov_b32 s58, s14
	v_xor_b32_e32 v20, 8, v71
	v_xor_b32_e32 v22, 8, v72
	s_cselect_b64 s[0:1], -1, 0
	s_cmpk_lg_i32 s15, 0x80
	s_waitcnt vmcnt(3)
	ds_write_b64 v71, v[4:5] offset:16384
	ds_write_b64 v20, v[6:7] offset:16384
	s_waitcnt vmcnt(2)
	ds_write_b64 v71, v[8:9] offset:24576
	ds_write_b64 v20, v[10:11] offset:24576
	;; [unrolled: 3-line block ×4, first 2 shown]
	v_lshl_add_u32 v4, v21, 1, v68
	s_cbranch_scc0 .LBB541_3
; %bb.2:
	v_lshlrev_b32_e32 v6, 1, v4
	v_add_lshl_u32 v5, v4, s15, 1
	s_lshl_b32 s26, s15, 7
	v_lshl_or_b32 v3, v67, 9, v3
	s_cbranch_execz .LBB541_4
	s_branch .LBB541_5
.LBB541_3:
                                        ; implicit-def: $vgpr5
                                        ; implicit-def: $vgpr6
                                        ; implicit-def: $sgpr26
	v_lshl_or_b32 v3, v67, 9, v3
.LBB541_4:
	v_or_b32_e32 v5, 0x100, v3
	s_movk_i32 s26, 0x4000
	v_mov_b32_e32 v6, v3
.LBB541_5:
	s_mul_hi_u32 s24, s14, s12
	s_mul_i32 s25, s54, s12
	s_add_i32 s24, s24, s25
	s_mul_i32 s25, s14, s12
	s_mul_i32 s27, s25, s3
	s_mul_hi_u32 s28, s25, s52
	s_add_i32 s27, s28, s27
	s_mul_i32 s24, s24, s52
	s_add_i32 s27, s27, s24
	s_mul_i32 s25, s25, s52
	s_ashr_i32 s60, s57, 31
	s_add_u32 s24, s25, s57
	s_addc_u32 s25, s27, s60
	s_lshl_b64 s[24:25], s[24:25], 8
	s_add_u32 s24, s4, s24
	s_addc_u32 s25, s5, s25
	s_and_b32 s25, s25, 0xffff
	s_mov_b32 s27, 0x20000
	s_movk_i32 s61, 0x80
	buffer_load_dwordx4 v[8:11], v6, s[24:27], 0 offen
	buffer_load_dwordx4 v[12:15], v6, s[24:27], s61 offen
	;; [unrolled: 1-line block ×4, first 2 shown]
	v_and_b32_e32 v5, 6, v0
	s_mul_i32 s24, s3, s12
	s_mul_hi_u32 s25, s52, s12
	v_lshlrev_b32_e32 v7, 2, v63
	v_lshlrev_b32_e32 v24, 3, v63
	v_xor_b32_e32 v26, v67, v5
	v_and_b32_e32 v6, 1, v0
	s_mul_i32 s3, s3, s20
	v_lshl_or_b32 v24, v1, 5, v24
	v_xor_b32_e32 v27, v1, v7
	v_lshlrev_b32_e32 v26, 2, v26
	s_add_i32 s65, s25, s24
	s_add_i32 s24, s49, s21
	s_mul_i32 s28, s33, s23
	v_or_b32_e32 v73, 0x9000, v24
	v_or_b32_e32 v74, 0x9800, v24
	v_lshlrev_b32_e32 v24, 1, v27
	v_xor_b32_e32 v27, 0x440, v26
	v_cmp_eq_u32_e32 vcc, 0, v6
	s_add_i32 s41, s24, s3
	s_mul_hi_u32 s3, s33, s22
	v_cndmask_b32_e32 v6, v27, v26, vcc
	s_add_i32 s3, s3, s28
	s_mul_i32 s24, s59, s22
	s_mov_b32 s63, 0x1000504
	v_lshlrev_b32_e32 v25, 8, v63
	s_mov_b32 s26, 0x8000
	v_xor_b32_e32 v7, v66, v7
	v_lshl_or_b32 v5, v5, 10, v6
	s_add_i32 s25, s3, s24
	s_lshl_b64 s[28:29], s[40:41], 2
	s_mov_b32 s64, 0x3020706
	v_lshlrev_b32_e32 v7, 1, v7
	v_or3_b32 v75, v24, v25, s26
	v_xor_b32_e32 v6, 8, v5
	v_xor_b32_e32 v24, 24, v5
	;; [unrolled: 1-line block ×4, first 2 shown]
	s_mul_i32 s24, s33, s22
	s_add_u32 s3, s10, s28
	v_or3_b32 v76, v7, v25, s26
	v_xor_b32_e32 v7, 16, v5
	v_xor_b32_e32 v25, 32, v5
	v_xor_b32_e32 v27, 48, v5
	v_add_u32_e32 v6, 0x80, v6
	v_add_u32_e32 v24, 0x80, v24
	;; [unrolled: 1-line block ×4, first 2 shown]
	s_addc_u32 s28, s11, s29
	s_lshl_b64 s[24:25], s[24:25], 2
	s_add_u32 s44, s3, s24
	s_movk_i32 s3, 0xf8
	s_addc_u32 s45, s28, s25
	s_lshl_b32 s30, s15, 7
	v_mov_b32_e32 v47, 0
	s_mov_b32 s62, 0
	v_add_u32_e32 v87, v60, v2
	s_mov_b32 s41, 0x7060302
	s_mov_b32 s67, 0
	v_mov_b32_e32 v52, v47
	v_mov_b32_e32 v53, v47
	;; [unrolled: 1-line block ×6, first 2 shown]
	s_waitcnt vmcnt(1)
	v_perm_b32 v29, v8, v16, s63
	s_waitcnt vmcnt(0)
	v_perm_b32 v30, v12, v20, s63
	v_perm_b32 v8, v8, v16, s64
	;; [unrolled: 1-line block ×15, first 2 shown]
	ds_write2st64_b32 v5, v29, v30 offset1:32
	ds_write2st64_b32 v6, v8, v12 offset1:32
	ds_write2st64_b32 v7, v16, v20 offset0:1 offset1:33
	ds_write2st64_b32 v24, v9, v13 offset0:1 offset1:33
	ds_write2st64_b32 v25, v17, v21 offset0:2 offset1:34
	ds_write2st64_b32 v26, v10, v14 offset0:2 offset1:34
	ds_write2st64_b32 v27, v18, v22 offset0:3 offset1:35
	ds_write2st64_b32 v28, v11, v15 offset0:3 offset1:35
	v_or_b32_e32 v5, v60, v63
	v_lshlrev_b32_e32 v5, 3, v5
	v_lshrrev_b32_e32 v7, 5, v61
	v_and_or_b32 v7, v5, s3, v7
	v_lshlrev_b32_e32 v7, 4, v7
	v_lshrrev_b32_e32 v6, 2, v61
	v_lshlrev_b32_e32 v11, 11, v45
	v_and_b32_e32 v5, 0x78, v5
	v_or_b32_e32 v12, 32, v7
	v_and_b32_e32 v10, 12, v6
	v_and_b32_e32 v6, 0x1000, v11
	v_lshrrev_b32_e32 v9, 1, v61
	v_xor_b32_e32 v12, v12, v5
	v_and_b32_e32 v9, 8, v9
	v_or_b32_e32 v12, v12, v6
	v_xor_b32_e32 v8, v7, v5
	v_xor_b32_e32 v79, v12, v9
	v_or_b32_e32 v12, 64, v7
	v_or_b32_e32 v7, 0x60, v7
	v_xor_b32_e32 v12, v12, v5
	v_xor_b32_e32 v5, v7, v5
	v_or_b32_e32 v5, v5, v6
	v_or_b32_e32 v12, v12, v6
	v_xor_b32_e32 v81, v5, v9
	s_ashr_i32 s3, s2, 31
	v_lshlrev_b32_e32 v5, 1, v63
	v_xor_b32_e32 v80, v12, v9
	v_lshlrev_b32_e32 v12, 1, v4
	v_add_lshl_u32 v13, v4, s15, 1
	v_lshrrev_b32_e32 v4, 4, v0
	s_lshl_b64 s[24:25], s[2:3], 8
	v_or_b32_e32 v15, 1, v5
	s_add_u32 s24, s16, s24
	v_xor_b32_e32 v5, v4, v5
	v_xor_b32_e32 v15, v15, v4
	s_addc_u32 s25, s17, s25
	v_lshlrev_b32_e32 v5, 3, v5
	v_lshlrev_b32_e32 v46, 8, v4
	;; [unrolled: 1-line block ×3, first 2 shown]
	v_lshrrev_b32_e32 v19, 1, v0
	v_or3_b32 v83, v5, v46, s26
	v_or3_b32 v84, v4, v46, s26
	v_lshl_add_u64 v[4:5], s[24:25], 0, v[46:47]
	v_lshlrev_b32_e32 v46, 4, v63
	s_movk_i32 s3, 0xff
	v_lshlrev_b32_e32 v18, 3, v45
	v_and_b32_e32 v19, 24, v19
	v_lshl_add_u64 v[54:55], v[4:5], 0, v[46:47]
	v_and_b32_e32 v5, 8, v0
	v_cmp_lt_u32_e32 vcc, s3, v0
	v_xor_b32_e32 v20, v18, v19
	v_or_b32_e32 v21, 0x440, v20
	v_cndmask_b32_e64 v17, 0, 1, vcc
	v_cmp_eq_u32_e32 vcc, 0, v5
	v_or_b32_e32 v23, 64, v19
	v_xor_b32_e32 v23, v18, v23
	v_cndmask_b32_e32 v5, v21, v20, vcc
	v_or_b32_e32 v21, 32, v19
	v_or_b32_e32 v19, 0x60, v19
	v_xor_b32_e32 v21, v18, v21
	v_xor_b32_e32 v18, v18, v19
	v_or_b32_e32 v22, 0x440, v21
	v_xor_b32_e32 v24, 0x440, v23
	v_xor_b32_e32 v19, 0x440, v18
	v_or_b32_e32 v8, v8, v6
	v_or_b32_e32 v6, s2, v63
	v_and_b32_e32 v4, 7, v0
	v_cndmask_b32_e32 v21, v22, v21, vcc
	v_cndmask_b32_e32 v23, v24, v23, vcc
	;; [unrolled: 1-line block ×3, first 2 shown]
	v_xor_b32_e32 v77, v8, v9
	v_and_b32_e32 v8, 0x78, v64
	v_ashrrev_i32_e32 v7, 31, v6
	v_lshlrev_b32_e32 v15, 3, v4
	v_or_b32_e32 v5, v5, v11
	v_or_b32_e32 v21, v21, v11
	;; [unrolled: 1-line block ×4, first 2 shown]
	v_lshl_or_b32 v8, v62, 7, v8
	v_lshlrev_b64 v[6:7], 1, v[6:7]
	v_lshlrev_b32_e32 v17, 13, v17
	v_xor_b32_e32 v5, v5, v15
	v_xor_b32_e32 v21, v21, v15
	;; [unrolled: 1-line block ×4, first 2 shown]
	v_or_b32_e32 v78, 0x9000, v8
	v_or_b32_e32 v82, 0x9800, v8
	v_lshl_add_u64 v[8:9], s[8:9], 0, v[6:7]
	v_lshl_add_u64 v[6:7], s[18:19], 0, v[6:7]
	v_or_b32_e32 v14, 0x100, v3
	v_lshlrev_b32_e32 v16, 7, v4
	v_or_b32_e32 v4, v10, v60
	v_add_u32_e32 v20, v17, v5
	v_add_u32_e32 v22, v17, v21
	;; [unrolled: 1-line block ×4, first 2 shown]
	v_or3_b32 v10, v60, v10, 64
	v_add_u32_e32 v5, 0x2000, v5
	v_add_u32_e32 v17, 0x2000, v21
	;; [unrolled: 1-line block ×4, first 2 shown]
	v_lshlrev_b32_e32 v46, 8, v1
	v_cndmask_b32_e64 v85, v12, v3, s[0:1]
	v_cndmask_b32_e64 v86, v13, v14, s[0:1]
	v_lshl_add_u64 v[56:57], v[8:9], 0, v[46:47]
	v_lshl_add_u64 v[58:59], v[6:7], 0, v[46:47]
	s_add_i32 s3, s48, 63
	s_movk_i32 s26, 0x4000
	v_lshlrev_b32_e32 v88, 2, v4
	v_add_u32_e32 v89, v20, v16
	v_add_u32_e32 v90, v22, v16
	;; [unrolled: 1-line block ×4, first 2 shown]
	v_lshlrev_b32_e32 v93, 2, v10
	v_add_u32_e32 v94, v5, v16
	v_add_u32_e32 v95, v17, v16
	;; [unrolled: 1-line block ×4, first 2 shown]
	v_mov_b32_e32 v46, v47
	s_waitcnt lgkmcnt(0)
	s_barrier
.LBB541_6:                              ; =>This Inner Loop Header: Depth=1
	s_add_i32 s66, s67, 1
	s_cmp_lt_i32 s66, s53
	s_mov_b64 s[28:29], 0
	s_cselect_b64 s[46:47], -1, 0
	s_cmp_ge_i32 s66, s53
	s_mov_b64 s[24:25], 0
	s_cbranch_scc1 .LBB541_8
; %bb.7:                                ;   in Loop: Header=BB541_6 Depth=1
	s_add_i32 s0, s62, 64
	s_add_u32 s0, s42, s0
	s_addc_u32 s1, s43, 0
	s_lshl_b64 s[0:1], s[0:1], 8
	s_add_u32 s24, s6, s0
	s_addc_u32 s25, s7, s1
.LBB541_8:                              ;   in Loop: Header=BB541_6 Depth=1
	v_cndmask_b32_e64 v2, 0, 1, s[46:47]
	v_cmp_ne_u32_e64 s[0:1], 1, v2
	s_andn2_b64 vcc, exec, s[46:47]
	s_cbranch_vccnz .LBB541_10
; %bb.9:                                ;   in Loop: Header=BB541_6 Depth=1
	s_add_i32 s28, s62, 64
	s_add_u32 s28, s48, s28
	s_addc_u32 s29, s65, 0
	s_mul_i32 s31, s28, s54
	s_mul_hi_u32 s46, s28, s58
	s_add_i32 s31, s46, s31
	s_mul_i32 s29, s29, s58
	s_add_i32 s31, s31, s29
	s_mul_i32 s28, s28, s58
	s_add_u32 s28, s28, s57
	s_addc_u32 s29, s31, s60
	s_lshl_b64 s[28:29], s[28:29], 8
	s_add_u32 s28, s4, s28
	s_addc_u32 s29, s5, s29
.LBB541_10:                             ;   in Loop: Header=BB541_6 Depth=1
	v_perm_b32 v3, v53, v52, s41
	v_perm_b32 v2, v47, v46, s41
	;; [unrolled: 1-line block ×4, first 2 shown]
	ds_write_b64 v73, v[2:3]
	ds_write_b64 v74, v[4:5]
	;; [unrolled: 1-line block ×4, first 2 shown]
	s_waitcnt lgkmcnt(0)
	s_barrier
	ds_read_b64 v[10:11], v77 offset:16384
	ds_read_b64 v[12:13], v79 offset:16384
	ds_read2st64_b64 v[2:5], v78 offset1:1
	ds_read2st64_b64 v[6:9], v78 offset0:2 offset1:3
	ds_read_b64 v[14:15], v80 offset:16384
	s_waitcnt lgkmcnt(2)
	v_mfma_f32_16x16x16_bf16 a[0:3], v[10:11], v[2:3], 0
	ds_read_b64 v[2:3], v81 offset:16384
	s_add_i32 s31, s62, 63
	s_mul_i32 s46, s31, s39
	v_mfma_f32_16x16x16_bf16 a[0:3], v[12:13], v[4:5], a[0:3]
	s_mul_hi_u32 s47, s31, s38
	s_add_i32 s47, s47, s46
	s_mul_i32 s46, s31, s38
	s_waitcnt lgkmcnt(1)
	v_mfma_f32_16x16x16_bf16 a[0:3], v[14:15], v[6:7], a[0:3]
	s_lshl_b64 s[46:47], s[46:47], 2
	s_add_u32 s46, s44, s46
	s_addc_u32 s47, s45, s47
	s_waitcnt lgkmcnt(0)
	v_mfma_f32_16x16x16_bf16 a[0:3], v[2:3], v[8:9], a[0:3]
	s_and_b64 vcc, exec, s[0:1]
	v_mov_b32_e32 v100, 0
	v_mov_b32_e32 v99, 0
	;; [unrolled: 1-line block ×19, first 2 shown]
	s_cbranch_vccnz .LBB541_12
; %bb.11:                               ;   in Loop: Header=BB541_6 Depth=1
	s_and_b32 s25, s25, 0xffff
	buffer_load_dwordx4 v[14:17], v69, s[24:27], 0 offen
	buffer_load_dwordx4 v[10:13], v69, s[24:27], s61 offen
	;; [unrolled: 1-line block ×4, first 2 shown]
	v_mov_b32_e32 v99, v71
	v_mov_b32_e32 v98, v72
.LBB541_12:                             ;   in Loop: Header=BB541_6 Depth=1
	v_add_u32_e32 v24, s62, v87
	v_ashrrev_i32_e32 v18, 31, v24
	v_mul_lo_u32 v20, v18, s38
	v_mul_lo_u32 v21, v24, s39
	v_mad_u64_u32 v[18:19], s[24:25], v24, s38, 0
	v_add3_u32 v19, v19, v21, v20
	v_add_u32_e32 v20, 1, v24
	v_ashrrev_i32_e32 v21, 31, v20
	v_mul_lo_u32 v22, v21, s38
	v_mul_lo_u32 v23, v20, s39
	v_mad_u64_u32 v[20:21], s[24:25], v20, s38, 0
	v_add3_u32 v21, v21, v23, v22
	v_add_u32_e32 v22, 2, v24
	v_ashrrev_i32_e32 v23, 31, v22
	v_mul_lo_u32 v25, v23, s38
	v_mul_lo_u32 v26, v22, s39
	v_mad_u64_u32 v[22:23], s[24:25], v22, s38, 0
	s_add_u32 s24, s42, s62
	v_add3_u32 v23, v23, v26, v25
	v_add_u32_e32 v26, 3, v24
	s_addc_u32 s25, s43, 0
	v_ashrrev_i32_e32 v24, 31, v26
	s_lshl_b64 s[68:69], s[24:25], 8
	v_lshl_add_u64 v[18:19], v[18:19], 2, s[44:45]
	v_mul_lo_u32 v27, v24, s38
	v_lshl_add_u64 v[24:25], v[56:57], 0, s[68:69]
	v_mul_lo_u32 v28, v26, s39
	global_load_ushort v38, v[24:25], off
	global_load_ushort v39, v[24:25], off offset:256
	global_load_ushort v40, v[24:25], off offset:512
	;; [unrolled: 1-line block ×3, first 2 shown]
	global_load_dword v42, v[18:19], off
	v_mad_u64_u32 v[18:19], s[24:25], v26, s38, 0
	v_lshl_add_u64 v[20:21], v[20:21], 2, s[44:45]
	v_add3_u32 v19, v19, v28, v27
	v_lshl_add_u64 v[22:23], v[22:23], 2, s[44:45]
	v_lshl_add_u64 v[18:19], v[18:19], 2, s[44:45]
	global_load_dword v43, v[20:21], off
	global_load_dword v44, v[22:23], off
	;; [unrolled: 1-line block ×3, first 2 shown]
	s_load_dword s24, s[46:47], 0x0
	ds_read_b64 v[26:27], v77 offset:24576
	ds_read2st64_b64 v[22:25], v82 offset1:1
	ds_read2st64_b64 v[28:31], v82 offset0:2 offset1:3
	ds_read_b64 v[32:33], v79 offset:24576
	ds_read_b64 v[34:35], v80 offset:24576
	;; [unrolled: 1-line block ×3, first 2 shown]
	s_waitcnt lgkmcnt(0)
	v_mfma_f32_16x16x16_bf16 a[0:3], v[26:27], v[22:23], a[0:3]
	v_mov_b32_e32 v101, 0
	v_mov_b32_e32 v18, 0
	;; [unrolled: 1-line block ×3, first 2 shown]
	v_mfma_f32_16x16x16_bf16 a[0:3], v[32:33], v[24:25], a[0:3]
	v_mov_b32_e32 v20, 0
	v_mov_b32_e32 v21, 0
	;; [unrolled: 1-line block ×3, first 2 shown]
	v_mfma_f32_16x16x16_bf16 a[0:3], v[34:35], v[28:29], a[0:3]
	v_lshl_add_u64 v[28:29], v[58:59], 0, s[68:69]
	v_mov_b32_e32 v23, 0
	v_mov_b32_e32 v24, 0
	v_mfma_f32_16x16x16_bf16 a[0:3], v[36:37], v[30:31], a[0:3]
	v_mov_b32_e32 v25, 0
	v_mov_b32_e32 v26, 0
	;; [unrolled: 1-line block ×3, first 2 shown]
	s_and_b64 vcc, exec, s[0:1]
	s_waitcnt vmcnt(7)
	v_lshlrev_b32_e32 v34, 16, v38
	s_nop 0
	v_accvgpr_read_b32 v33, a1
	v_accvgpr_read_b32 v31, a3
	;; [unrolled: 1-line block ×4, first 2 shown]
	s_waitcnt vmcnt(6)
	v_lshlrev_b32_e32 v35, 16, v39
	s_waitcnt vmcnt(4)
	v_lshlrev_b32_e32 v37, 16, v41
	v_lshlrev_b32_e32 v36, 16, v40
	s_waitcnt vmcnt(3)
	v_sub_f32_e32 v38, s24, v42
	v_pk_add_f32 v[32:33], v[34:35], v[32:33] neg_lo:[0,1] neg_hi:[0,1]
	v_pk_add_f32 v[30:31], v[36:37], v[30:31] neg_lo:[0,1] neg_hi:[0,1]
	s_waitcnt vmcnt(2)
	v_sub_f32_e32 v35, s24, v43
	s_waitcnt vmcnt(1)
	v_sub_f32_e32 v36, s24, v44
	s_waitcnt vmcnt(0)
	v_sub_f32_e32 v37, s24, v102
	v_exp_f32_e32 v34, v38
	v_exp_f32_e32 v35, v35
	;; [unrolled: 1-line block ×4, first 2 shown]
	global_store_short_d16_hi v[28:29], v32, off
	global_store_short_d16_hi v[28:29], v33, off offset:256
	global_store_short_d16_hi v[28:29], v30, off offset:512
	;; [unrolled: 1-line block ×3, first 2 shown]
	v_pk_mul_f32 v[28:29], v[34:35], v[32:33]
	v_pk_mul_f32 v[30:31], v[36:37], v[30:31]
	v_perm_b32 v28, v29, v28, s41
	v_perm_b32 v29, v31, v30, s41
	ds_write_b64 v74, v[28:29]
	v_mov_b32_e32 v28, 0
	v_mov_b32_e32 v29, 0
	v_mov_b32_e32 v30, 0
	v_mov_b32_e32 v31, 0
	v_mov_b32_e32 v32, 0
	v_mov_b32_e32 v33, 0
	s_cbranch_vccnz .LBB541_14
; %bb.13:                               ;   in Loop: Header=BB541_6 Depth=1
	s_and_b32 s29, s29, 0xffff
	s_mov_b32 s31, s27
	buffer_load_dwordx4 v[30:33], v85, s[28:31], 0 offen
	buffer_load_dwordx4 v[22:25], v85, s[28:31], s61 offen
	buffer_load_dwordx4 v[26:29], v86, s[28:31], 0 offen
	buffer_load_dwordx4 v[18:21], v86, s[28:31], s61 offen
	v_mov_b32_e32 v100, v68
	v_mov_b32_e32 v101, v67
.LBB541_14:                             ;   in Loop: Header=BB541_6 Depth=1
	s_waitcnt lgkmcnt(0)
	s_barrier
	ds_read_b64 v[34:35], v89
	ds_read_b64 v[40:41], v90
	ds_read2st64_b64 v[36:39], v82 offset1:1
	ds_read2st64_b64 v[102:105], v82 offset0:2 offset1:3
	ds_read_b64 v[42:43], v91
	ds_read_b64 v[110:111], v92
	s_add_i32 s25, s55, s67
	s_mul_hi_i32 s29, s25, s13
	s_mul_i32 s25, s25, s13
	s_waitcnt lgkmcnt(3)
	v_mfma_f32_16x16x16_bf16 a[0:3], v[34:35], v[36:37], 0
	ds_read_b64 v[34:35], v94
	s_add_u32 s28, s25, s33
	s_addc_u32 s29, s29, s59
	s_add_i32 s25, s3, s62
	v_mfma_f32_16x16x16_bf16 a[0:3], v[40:41], v[38:39], a[0:3]
	ds_read_b64 v[40:41], v95
	s_lshl_b64 s[28:29], s[28:29], 15
	s_mul_hi_i32 s31, s25, s13
	s_mul_i32 s25, s25, s13
	s_add_u32 s46, s25, s33
	s_addc_u32 s47, s31, s59
	s_lshl_b64 s[46:47], s[46:47], 9
	s_add_u32 s46, s36, s46
	s_waitcnt lgkmcnt(1)
	v_mfma_f32_16x16x16_bf16 a[4:7], v[34:35], v[36:37], 0
	s_addc_u32 s47, s37, s47
	s_and_b64 vcc, exec, s[0:1]
	v_mfma_f32_16x16x16_bf16 a[0:3], v[42:43], v[102:103], a[0:3]
	ds_read_b64 v[42:43], v96
	ds_read_b64 v[112:113], v97
	global_load_dwordx4 v[34:37], v93, s[46:47]
	s_waitcnt lgkmcnt(2)
	v_mfma_f32_16x16x16_bf16 a[4:7], v[40:41], v[38:39], a[4:7]
	global_load_dwordx4 v[38:41], v88, s[46:47]
	ds_read_b64 v[106:107], v83
	ds_read_b64 v[108:109], v84
	s_waitcnt lgkmcnt(3)
	v_mfma_f32_16x16x16_bf16 a[8:11], v[42:43], v[102:103], a[4:7]
	v_lshl_add_u64 v[42:43], v[54:55], 0, s[28:29]
	s_waitcnt lgkmcnt(0)
	global_store_dwordx4 v[42:43], v[106:109], off
	v_mfma_f32_16x16x16_bf16 a[4:7], v[110:111], v[104:105], a[0:3]
	s_waitcnt vmcnt(2)
	v_mov_b32_e32 v44, v37
	v_mfma_f32_16x16x16_bf16 a[0:3], v[112:113], v[104:105], a[8:11]
	v_mov_b32_e32 v43, v36
	v_mov_b32_e32 v42, v35
	s_cbranch_vccnz .LBB541_16
; %bb.15:                               ;   in Loop: Header=BB541_6 Depth=1
	v_lshrrev_b32_e32 v35, 3, v100
	v_and_b32_e32 v35, 6, v35
	v_xor_b32_e32 v36, v35, v101
	v_lshlrev_b32_e32 v36, 2, v36
	v_and_b32_e32 v37, 8, v100
	v_xor_b32_e32 v100, 0x440, v36
	v_cmp_eq_u32_e32 vcc, 0, v37
	v_perm_b32 v37, v22, v18, s63
	s_nop 0
	v_cndmask_b32_e32 v36, v100, v36, vcc
	v_lshl_or_b32 v35, v35, 10, v36
	v_perm_b32 v36, v30, v26, s63
	s_barrier
	ds_write2st64_b32 v35, v36, v37 offset1:32
	v_xor_b32_e32 v36, 8, v35
	v_perm_b32 v26, v30, v26, s64
	v_perm_b32 v18, v22, v18, s64
	v_add_u32_e32 v22, 0x80, v36
	ds_write2st64_b32 v22, v26, v18 offset1:32
	v_xor_b32_e32 v18, 16, v35
	v_perm_b32 v22, v31, v27, s63
	v_perm_b32 v26, v23, v19, s63
	ds_write2st64_b32 v18, v22, v26 offset0:1 offset1:33
	v_xor_b32_e32 v18, 24, v35
	v_perm_b32 v22, v31, v27, s64
	v_perm_b32 v19, v23, v19, s64
	v_add_u32_e32 v18, 0x80, v18
	ds_write2st64_b32 v18, v22, v19 offset0:1 offset1:33
	v_xor_b32_e32 v18, 32, v35
	v_perm_b32 v19, v32, v28, s63
	v_perm_b32 v22, v24, v20, s63
	ds_write2st64_b32 v18, v19, v22 offset0:2 offset1:34
	v_xor_b32_e32 v18, 40, v35
	v_perm_b32 v19, v32, v28, s64
	v_perm_b32 v20, v24, v20, s64
	v_add_u32_e32 v18, 0x80, v18
	ds_write2st64_b32 v18, v19, v20 offset0:2 offset1:34
	;; [unrolled: 9-line block ×3, first 2 shown]
	ds_write_b64 v99, v[14:15] offset:16384
	v_xor_b32_e32 v14, 8, v99
	ds_write_b64 v14, v[16:17] offset:16384
	ds_write_b64 v99, v[10:11] offset:24576
	;; [unrolled: 1-line block ×4, first 2 shown]
	v_xor_b32_e32 v6, 8, v98
	ds_write_b64 v6, v[8:9] offset:16384
	ds_write_b64 v98, v[2:3] offset:24576
	;; [unrolled: 1-line block ×3, first 2 shown]
.LBB541_16:                             ;   in Loop: Header=BB541_6 Depth=1
	v_exp_f32_e32 v10, s24
	s_waitcnt vmcnt(1)
	v_exp_f32_e32 v12, v38
	v_exp_f32_e32 v13, v39
	;; [unrolled: 1-line block ×4, first 2 shown]
	v_accvgpr_read_b32 v2, a4
	v_accvgpr_read_b32 v3, a5
	v_pk_mul_f32 v[12:13], v[10:11], v[12:13] op_sel_hi:[0,1]
	v_pk_fma_f32 v[46:47], v[46:47], v[12:13], v[2:3]
	v_exp_f32_e32 v12, v34
	v_exp_f32_e32 v13, v42
	v_pk_mul_f32 v[2:3], v[10:11], v[14:15] op_sel_hi:[0,1]
	v_exp_f32_e32 v14, v43
	v_exp_f32_e32 v15, v44
	v_accvgpr_read_b32 v4, a6
	v_accvgpr_read_b32 v5, a7
	;; [unrolled: 1-line block ×5, first 2 shown]
	v_pk_fma_f32 v[52:53], v[52:53], v[2:3], v[4:5]
	v_pk_mul_f32 v[2:3], v[10:11], v[12:13] op_sel_hi:[0,1]
	v_accvgpr_read_b32 v8, a2
	v_pk_fma_f32 v[50:51], v[50:51], v[2:3], v[6:7]
	v_pk_mul_f32 v[2:3], v[10:11], v[14:15] op_sel_hi:[0,1]
	s_add_i32 s62, s62, 64
	s_cmp_eq_u32 s53, s66
	v_pk_fma_f32 v[48:49], v[48:49], v[2:3], v[8:9]
	s_cbranch_scc1 .LBB541_18
; %bb.17:                               ;   in Loop: Header=BB541_6 Depth=1
	s_mov_b32 s67, s66
	s_branch .LBB541_6
.LBB541_18:
	s_lshl_b32 s46, s53, 6
	s_sub_i32 s47, s12, s46
	s_cmp_gt_i32 s47, 0
	v_or_b32_e32 v26, s2, v63
	s_cbranch_scc1 .LBB541_20
; %bb.19:
	s_ashr_i32 s0, s33, 31
	s_add_u32 s28, s50, s33
	s_addc_u32 s29, s56, s0
	v_or_b32_e32 v2, s2, v63
	s_cbranch_execz .LBB541_21
	s_branch .LBB541_77
.LBB541_20:
                                        ; implicit-def: $sgpr28_sgpr29
                                        ; implicit-def: $vgpr2
.LBB541_21:
	s_ashr_i32 s41, s52, 31
	s_ashr_i32 s3, s46, 31
	s_cmpk_lg_i32 s15, 0x80
	s_cselect_b64 s[42:43], -1, 0
	s_and_b64 vcc, exec, s[42:43]
	s_cbranch_vccz .LBB541_23
; %bb.22:
	s_mul_hi_i32 s0, s52, s12
	s_add_u32 s1, s48, s46
	s_addc_u32 s0, s0, s3
	s_mul_i32 s24, s1, s54
	s_mul_hi_u32 s25, s1, s14
	s_add_i32 s24, s25, s24
	s_mul_i32 s0, s0, s14
	s_add_i32 s24, s24, s0
	s_mul_i32 s1, s1, s14
	s_ashr_i32 s0, s57, 31
	s_add_u32 s44, s1, s57
	s_addc_u32 s45, s24, s0
	s_cbranch_execz .LBB541_24
	s_branch .LBB541_25
.LBB541_23:
                                        ; implicit-def: $sgpr44_sgpr45
.LBB541_24:
	s_mul_hi_i32 s0, s52, s14
	s_mul_i32 s52, s52, s14
	s_ashr_i32 s1, s57, 31
	s_add_u32 s14, s52, s57
	s_addc_u32 s0, s0, s1
	s_mul_i32 s1, s14, s51
	s_mul_hi_u32 s24, s14, s12
	s_add_i32 s1, s24, s1
	s_mul_i32 s0, s0, s12
	s_add_i32 s1, s1, s0
	s_mul_i32 s14, s14, s12
	s_add_u32 s44, s14, s46
	s_addc_u32 s45, s1, s3
.LBB541_25:
	s_add_i32 s24, s55, s53
	s_ashr_i32 s14, s33, 31
	s_add_u32 s28, s50, s33
	s_addc_u32 s29, s56, s14
	s_mul_i32 s0, s28, s51
	s_mul_hi_u32 s1, s28, s12
	s_add_i32 s0, s1, s0
	s_mul_i32 s1, s29, s12
	s_add_i32 s1, s0, s1
	s_mul_i32 s0, s28, s12
	s_add_u32 s0, s0, s46
	s_addc_u32 s1, s1, s3
	s_mov_b32 s3, 0x7060302
	v_lshlrev_b32_e32 v6, 3, v63
	s_lshl_b64 s[30:31], s[0:1], 8
	v_perm_b32 v3, v53, v52, s3
	v_perm_b32 v2, v47, v46, s3
	;; [unrolled: 1-line block ×4, first 2 shown]
	v_lshlrev_b32_e32 v36, 2, v63
	v_lshl_or_b32 v6, v1, 5, v6
	s_add_u32 s0, s6, s30
	ds_write2st64_b64 v6, v[2:3], v[4:5] offset0:72 offset1:76
	v_xor_b32_e32 v6, v1, v36
	v_lshlrev_b32_e32 v7, 8, v63
	s_addc_u32 s1, s7, s31
	v_lshl_or_b32 v6, v6, 1, v7
	s_mul_hi_i32 s3, s24, s13
	s_mul_i32 s24, s24, s13
	ds_write_b64 v6, v[2:3] offset:32768
	v_xor_b32_e32 v2, v66, v36
	s_add_u32 s6, s24, s33
	v_lshl_or_b32 v2, v2, 1, v7
	s_addc_u32 s7, s3, s14
	v_lshlrev_b32_e32 v3, 1, v63
	ds_write_b64 v2, v[4:5] offset:32768
	v_lshrrev_b32_e32 v2, 4, v0
	s_ashr_i32 s3, s2, 31
	s_lshl_b64 s[6:7], s[6:7], 15
	v_or_b32_e32 v4, 1, v3
	s_add_u32 s6, s16, s6
	v_xor_b32_e32 v3, v2, v3
	v_xor_b32_e32 v4, v4, v2
	v_lshlrev_b32_e32 v6, 8, v2
	s_addc_u32 s7, s17, s7
	s_lshl_b64 s[2:3], s[2:3], 8
	v_lshl_or_b32 v2, v3, 3, v6
	v_lshl_or_b32 v4, v4, 3, v6
	s_waitcnt lgkmcnt(0)
	s_barrier
	s_add_u32 s2, s6, s2
	ds_read_b64 v[2:3], v2 offset:32768
	ds_read_b64 v[4:5], v4 offset:32768
	s_addc_u32 s3, s7, s3
	v_mov_b32_e32 v7, 0
	s_cmp_lg_u32 s47, 64
	v_lshl_add_u64 v[8:9], s[2:3], 0, v[6:7]
	v_lshlrev_b32_e32 v6, 4, v63
	s_cselect_b64 s[6:7], -1, 0
	v_lshl_or_b32 v27, v45, 3, v65
	s_mov_b32 s24, 0
	v_lshl_add_u64 v[6:7], v[8:9], 0, v[6:7]
	v_or_b32_e32 v19, 32, v27
	v_and_b32_e32 v18, 56, v64
	s_and_b64 vcc, exec, s[6:7]
	s_waitcnt lgkmcnt(0)
	global_store_dwordx4 v[6:7], v[2:5], off
	s_cbranch_vccz .LBB541_31
; %bb.26:
	s_mov_b32 s25, s24
	s_mov_b32 s26, s24
	;; [unrolled: 1-line block ×3, first 2 shown]
	v_mov_b64_e32 v[6:7], s[24:25]
	v_mov_b64_e32 v[8:9], s[26:27]
	;; [unrolled: 1-line block ×3, first 2 shown]
	v_cmp_gt_i32_e32 vcc, s47, v27
	v_mov_b64_e32 v[4:5], v[8:9]
	s_and_saveexec_b64 s[2:3], vcc
	s_cbranch_execz .LBB541_28
; %bb.27:
	v_lshlrev_b32_e32 v2, 8, v27
	v_mov_b32_e32 v3, 0
	v_lshl_add_u64 v[4:5], s[0:1], 0, v[2:3]
	v_lshlrev_b32_e32 v2, 1, v18
	v_lshl_add_u64 v[10:11], v[4:5], 0, v[2:3]
	global_load_dwordx4 v[6:9], v[10:11], off
	global_load_dwordx4 v[2:5], v[10:11], off offset:128
.LBB541_28:
	s_or_b64 exec, exec, s[2:3]
	s_mov_b32 s25, s24
	s_mov_b32 s26, s24
	;; [unrolled: 1-line block ×3, first 2 shown]
	v_mov_b64_e32 v[14:15], s[24:25]
	v_mov_b64_e32 v[16:17], s[26:27]
	;; [unrolled: 1-line block ×3, first 2 shown]
	v_cmp_gt_i32_e32 vcc, s47, v19
	v_lshlrev_b32_e32 v20, 7, v19
	v_mov_b64_e32 v[12:13], v[16:17]
	s_and_saveexec_b64 s[2:3], vcc
	s_cbranch_execz .LBB541_30
; %bb.29:
	v_lshlrev_b32_e32 v10, 1, v20
	v_mov_b32_e32 v11, 0
	v_lshl_add_u64 v[12:13], s[0:1], 0, v[10:11]
	v_lshlrev_b32_e32 v10, 1, v18
	v_lshl_add_u64 v[22:23], v[12:13], 0, v[10:11]
	global_load_dwordx4 v[14:17], v[22:23], off
	global_load_dwordx4 v[10:13], v[22:23], off offset:128
.LBB541_30:
	s_or_b64 exec, exec, s[2:3]
	v_lshrrev_b32_e32 v21, 3, v18
	v_lshlrev_b32_e32 v22, 3, v27
	v_or_b32_e32 v21, v22, v21
	v_lshlrev_b32_e32 v21, 4, v21
	v_and_b32_e32 v22, 0x78, v22
	v_xor_b32_e32 v21, v21, v22
	s_branch .LBB541_33
.LBB541_31:
                                        ; implicit-def: $vgpr21
                                        ; implicit-def: $vgpr20
                                        ; implicit-def: $vgpr6_vgpr7_vgpr8_vgpr9
                                        ; implicit-def: $vgpr2_vgpr3_vgpr4_vgpr5
                                        ; implicit-def: $vgpr14_vgpr15_vgpr16_vgpr17
                                        ; implicit-def: $vgpr10_vgpr11_vgpr12_vgpr13
	s_cbranch_execz .LBB541_33
; %bb.32:
	s_waitcnt vmcnt(0)
	v_lshlrev_b32_e32 v2, 1, v18
	v_lshl_or_b32 v20, v27, 8, v2
	s_and_b32 s1, s1, 0xffff
	s_mov_b32 s3, 0x20000
	s_movk_i32 s2, 0x4000
	v_lshl_or_b32 v21, v19, 8, v2
	s_movk_i32 s16, 0x80
	buffer_load_dwordx4 v[6:9], v20, s[0:3], 0 offen
	buffer_load_dwordx4 v[2:5], v20, s[0:3], s16 offen
	;; [unrolled: 1-line block ×4, first 2 shown]
	v_lshrrev_b32_e32 v20, 3, v18
	v_lshlrev_b32_e32 v21, 3, v27
	v_or_b32_e32 v20, v21, v20
	v_lshlrev_b32_e32 v20, 4, v20
	v_and_b32_e32 v21, 0x78, v21
	v_xor_b32_e32 v21, v20, v21
	v_lshlrev_b32_e32 v20, 7, v19
.LBB541_33:
	s_lshl_b64 s[0:1], s[44:45], 8
	s_add_u32 s4, s4, s0
	s_movk_i32 s0, 0x1000
	v_and_or_b32 v19, v20, s0, v21
	s_waitcnt vmcnt(1)
	ds_write_b64 v21, v[6:7] offset:16384
	v_xor_b32_e32 v6, 8, v21
	s_addc_u32 s5, s5, s1
	ds_write_b64 v6, v[8:9] offset:16384
	s_waitcnt vmcnt(0)
	ds_write_b64 v21, v[2:3] offset:24576
	ds_write_b64 v6, v[4:5] offset:24576
	;; [unrolled: 1-line block ×3, first 2 shown]
	v_xor_b32_e32 v2, 8, v19
	s_add_i32 s16, s12, -1
	ds_write_b64 v2, v[16:17] offset:16384
	ds_write_b64 v19, v[10:11] offset:24576
	;; [unrolled: 1-line block ×3, first 2 shown]
	s_mul_i32 s3, s16, s39
	s_mul_hi_u32 s12, s16, s38
	v_or_b32_e32 v2, v60, v63
	s_add_i32 s3, s12, s3
	v_lshlrev_b32_e32 v2, 3, v2
	v_lshrrev_b32_e32 v4, 5, v61
	s_movk_i32 s12, 0xf8
	v_and_or_b32 v4, v2, s12, v4
	v_lshlrev_b32_e32 v37, 11, v45
	v_lshlrev_b32_e32 v12, 4, v4
	v_and_b32_e32 v13, 0x78, v2
	v_and_b32_e32 v14, 0x1000, v37
	v_lshlrev_b32_e32 v3, 2, v0
	v_xor_b32_e32 v2, v12, v13
	v_lshrrev_b32_e32 v4, 1, v61
	v_and_b32_e32 v3, 60, v3
	v_or_b32_e32 v2, v2, v14
	v_and_b32_e32 v15, 8, v4
	v_xor_b32_e32 v28, v2, v15
	v_lshl_or_b32 v2, v62, 6, v3
	v_lshlrev_b32_e32 v38, 1, v2
	v_or_b32_e32 v2, 32, v12
	v_xor_b32_e32 v2, v2, v13
	s_waitcnt lgkmcnt(0)
	s_barrier
	ds_read_b64 v[10:11], v28 offset:16384
	v_or_b32_e32 v2, v2, v14
	v_xor_b32_e32 v29, v2, v15
	v_or_b32_e32 v2, 64, v12
	v_xor_b32_e32 v2, v2, v13
	v_or_b32_e32 v2, v2, v14
	v_or_b32_e32 v12, 0x60, v12
	v_xor_b32_e32 v30, v2, v15
	ds_read2st64_b64 v[2:5], v38 offset0:72 offset1:73
	ds_read2st64_b64 v[6:9], v38 offset0:74 offset1:75
	v_xor_b32_e32 v16, v12, v13
	ds_read_b64 v[12:13], v29 offset:16384
	s_waitcnt lgkmcnt(2)
	v_mfma_f32_16x16x16_bf16 a[0:3], v[10:11], v[2:3], 0
	s_add_i32 s0, s49, s21
	s_mul_i32 s41, s41, s20
	s_add_i32 s41, s0, s41
	s_mul_i32 s0, s33, s23
	s_mul_hi_u32 s1, s33, s22
	s_ashr_i32 s2, s16, 31
	s_add_i32 s0, s1, s0
	s_mul_i32 s1, s14, s22
	s_mul_i32 s2, s2, s38
	v_or_b32_e32 v14, v16, v14
	s_add_i32 s1, s0, s1
	s_add_i32 s3, s3, s2
	s_lshl_b64 s[20:21], s[40:41], 2
	v_xor_b32_e32 v39, v14, v15
	ds_read_b64 v[14:15], v30 offset:16384
	ds_read_b64 v[16:17], v39 offset:16384
	s_waitcnt lgkmcnt(2)
	v_mfma_f32_16x16x16_bf16 a[0:3], v[12:13], v[4:5], a[0:3]
	s_mul_i32 s0, s33, s22
	s_add_u32 s10, s10, s20
	s_addc_u32 s11, s11, s21
	s_lshl_b64 s[0:1], s[0:1], 2
	s_mul_i32 s2, s16, s38
	s_add_u32 s10, s10, s0
	s_addc_u32 s11, s11, s1
	s_lshl_b64 s[0:1], s[2:3], 2
	s_waitcnt lgkmcnt(1)
	v_mfma_f32_16x16x16_bf16 a[0:3], v[14:15], v[6:7], a[0:3]
	s_add_u32 s0, s10, s0
	s_addc_u32 s1, s11, s1
	s_load_dword s12, s[0:1], 0x0
	s_waitcnt lgkmcnt(0)
	v_mfma_f32_16x16x16_bf16 a[0:3], v[16:17], v[8:9], a[0:3]
	s_and_b64 vcc, exec, s[42:43]
	s_cbranch_vccz .LBB541_44
; %bb.34:
	v_lshlrev_b32_e32 v19, 1, v27
	s_and_b64 vcc, exec, s[6:7]
	s_cbranch_vccz .LBB541_45
; %bb.35:
	v_cmp_gt_i32_e32 vcc, s47, v19
	v_mov_b32_e32 v6, 0
	v_mov_b32_e32 v2, 0
	;; [unrolled: 1-line block ×5, first 2 shown]
	s_and_saveexec_b64 s[0:1], vcc
	s_cbranch_execz .LBB541_37
; %bb.36:
	v_mad_i64_i32 v[2:3], s[2:3], s15, v19, 0
	v_lshl_add_u64 v[2:3], v[2:3], 1, s[4:5]
	v_lshlrev_b32_e32 v4, 1, v18
	v_mov_b32_e32 v5, 0
	v_lshl_add_u64 v[2:3], v[2:3], 0, v[4:5]
	global_load_dwordx4 v[2:5], v[2:3], off
.LBB541_37:
	s_or_b64 exec, exec, s[0:1]
	v_or_b32_e32 v20, 1, v19
	v_cmp_gt_i32_e64 s[0:1], s47, v20
	v_mov_b32_e32 v7, 0
	v_mov_b32_e32 v8, 0
	;; [unrolled: 1-line block ×3, first 2 shown]
	s_and_saveexec_b64 s[2:3], s[0:1]
	s_cbranch_execz .LBB541_39
; %bb.38:
	v_mad_i64_i32 v[6:7], s[20:21], s15, v20, 0
	v_lshl_add_u64 v[6:7], v[6:7], 1, s[4:5]
	v_lshlrev_b32_e32 v8, 1, v18
	v_mov_b32_e32 v9, 0
	v_lshl_add_u64 v[6:7], v[6:7], 0, v[8:9]
	global_load_dwordx4 v[6:9], v[6:7], off
.LBB541_39:
	s_or_b64 exec, exec, s[2:3]
	v_mov_b32_e32 v17, 0
	v_mov_b32_e32 v10, 0
	;; [unrolled: 1-line block ×5, first 2 shown]
	s_and_saveexec_b64 s[2:3], vcc
	s_cbranch_execz .LBB541_41
; %bb.40:
	v_mad_i64_i32 v[10:11], s[20:21], s15, v19, 0
	v_lshl_add_u64 v[10:11], v[10:11], 1, s[4:5]
	v_lshlrev_b32_e32 v12, 1, v18
	v_mov_b32_e32 v13, 0
	v_lshl_add_u64 v[10:11], v[10:11], 0, v[12:13]
	global_load_dwordx4 v[10:13], v[10:11], off offset:128
.LBB541_41:
	s_or_b64 exec, exec, s[2:3]
	v_mov_b32_e32 v16, 0
	v_mov_b32_e32 v15, 0
	;; [unrolled: 1-line block ×3, first 2 shown]
	s_and_saveexec_b64 s[2:3], s[0:1]
	s_cbranch_execz .LBB541_43
; %bb.42:
	v_mad_i64_i32 v[14:15], s[0:1], s15, v20, 0
	v_lshl_add_u64 v[14:15], v[14:15], 1, s[4:5]
	v_lshlrev_b32_e32 v16, 1, v18
	v_mov_b32_e32 v17, 0
	v_lshl_add_u64 v[14:15], v[14:15], 0, v[16:17]
	global_load_dwordx4 v[14:17], v[14:15], off offset:128
.LBB541_43:
	s_or_b64 exec, exec, s[2:3]
	s_branch .LBB541_47
.LBB541_44:
                                        ; implicit-def: $vgpr5
                                        ; implicit-def: $vgpr9
                                        ; implicit-def: $vgpr13
                                        ; implicit-def: $vgpr17
	v_lshrrev_b32_e32 v19, 2, v61
	s_branch .LBB541_48
.LBB541_45:
                                        ; implicit-def: $vgpr5
                                        ; implicit-def: $vgpr9
                                        ; implicit-def: $vgpr13
                                        ; implicit-def: $vgpr17
	s_cbranch_execz .LBB541_47
; %bb.46:
	s_waitcnt vmcnt(0)
	v_mad_u64_u32 v[2:3], s[0:1], v19, s15, v[18:19]
	v_lshlrev_b32_e32 v19, 1, v2
	s_lshl_b32 s2, s15, 7
	s_and_b32 s1, s5, 0xffff
	s_mov_b32 s3, 0x20000
	s_mov_b32 s0, s4
	v_add_lshl_u32 v20, v2, s15, 1
	s_movk_i32 s15, 0x80
	buffer_load_dwordx4 v[2:5], v19, s[0:3], 0 offen
	buffer_load_dwordx4 v[10:13], v19, s[0:3], s15 offen
	;; [unrolled: 1-line block ×4, first 2 shown]
.LBB541_47:
	v_lshrrev_b32_e32 v19, 2, v61
	s_cbranch_execnz .LBB541_60
.LBB541_48:
	s_and_b64 vcc, exec, s[6:7]
	s_cbranch_vccz .LBB541_58
; %bb.49:
	s_waitcnt vmcnt(0)
	v_lshlrev_b32_e32 v7, 1, v27
	v_cmp_gt_i32_e32 vcc, s47, v7
	v_mov_b32_e32 v6, 0
	v_lshlrev_b32_e32 v14, 9, v27
	v_mov_b32_e32 v2, 0
	v_mov_b32_e32 v3, 0
	;; [unrolled: 1-line block ×4, first 2 shown]
	s_and_saveexec_b64 s[0:1], vcc
	s_cbranch_execz .LBB541_51
; %bb.50:
	v_mov_b32_e32 v15, 0
	v_lshl_add_u64 v[2:3], s[4:5], 0, v[14:15]
	v_lshlrev_b32_e32 v4, 1, v18
	v_mov_b32_e32 v5, v15
	v_lshl_add_u64 v[2:3], v[2:3], 0, v[4:5]
	global_load_dwordx4 v[2:5], v[2:3], off
.LBB541_51:
	s_or_b64 exec, exec, s[0:1]
	v_or_b32_e32 v7, 1, v7
	v_cmp_gt_i32_e64 s[0:1], s47, v7
	v_lshlrev_b32_e32 v20, 8, v7
	v_mov_b32_e32 v7, 0
	v_mov_b32_e32 v8, 0
	;; [unrolled: 1-line block ×3, first 2 shown]
	s_and_saveexec_b64 s[2:3], s[0:1]
	s_cbranch_execz .LBB541_53
; %bb.52:
	v_mov_b32_e32 v21, 0
	v_lshl_add_u64 v[6:7], s[4:5], 0, v[20:21]
	v_lshlrev_b32_e32 v8, 1, v18
	v_mov_b32_e32 v9, v21
	v_lshl_add_u64 v[6:7], v[6:7], 0, v[8:9]
	global_load_dwordx4 v[6:9], v[6:7], off
.LBB541_53:
	s_or_b64 exec, exec, s[2:3]
	v_mov_b32_e32 v17, 0
	v_mov_b32_e32 v10, 0
	;; [unrolled: 1-line block ×5, first 2 shown]
	s_and_saveexec_b64 s[2:3], vcc
	s_cbranch_execz .LBB541_55
; %bb.54:
	v_mov_b32_e32 v15, 0
	v_lshl_add_u64 v[10:11], s[4:5], 0, v[14:15]
	v_lshlrev_b32_e32 v14, 1, v18
	v_lshl_add_u64 v[10:11], v[10:11], 0, v[14:15]
	global_load_dwordx4 v[10:13], v[10:11], off offset:128
.LBB541_55:
	s_or_b64 exec, exec, s[2:3]
	v_mov_b32_e32 v16, 0
	v_mov_b32_e32 v15, 0
	v_mov_b32_e32 v14, 0
	s_and_saveexec_b64 s[2:3], s[0:1]
	s_cbranch_execz .LBB541_57
; %bb.56:
	v_mov_b32_e32 v21, 0
	v_lshl_add_u64 v[14:15], s[4:5], 0, v[20:21]
	v_lshlrev_b32_e32 v20, 1, v18
	v_lshl_add_u64 v[14:15], v[14:15], 0, v[20:21]
	global_load_dwordx4 v[14:17], v[14:15], off offset:128
.LBB541_57:
	s_or_b64 exec, exec, s[2:3]
	s_branch .LBB541_60
.LBB541_58:
                                        ; implicit-def: $vgpr5
                                        ; implicit-def: $vgpr9
                                        ; implicit-def: $vgpr13
                                        ; implicit-def: $vgpr17
	s_cbranch_execz .LBB541_60
; %bb.59:
	s_waitcnt vmcnt(0)
	v_lshlrev_b32_e32 v2, 1, v18
	v_lshl_or_b32 v18, v27, 9, v2
	s_and_b32 s5, s5, 0xffff
	s_mov_b32 s7, 0x20000
	s_movk_i32 s6, 0x4000
	s_movk_i32 s0, 0x80
	buffer_load_dwordx4 v[2:5], v18, s[4:7], 0 offen
	buffer_load_dwordx4 v[6:9], v18, s[4:7], 0 offen offset:256
	buffer_load_dwordx4 v[10:13], v18, s[4:7], s0 offen
	buffer_load_dwordx4 v[14:17], v18, s[4:7], s0 offen offset:256
.LBB541_60:
	v_and_b32_e32 v40, 12, v19
	ds_read2st64_b64 v[22:25], v38 offset0:76 offset1:77
	ds_read2st64_b64 v[18:21], v38 offset0:78 offset1:79
	ds_read_b64 v[34:35], v28 offset:24576
	ds_read_b64 v[32:33], v29 offset:24576
	;; [unrolled: 1-line block ×4, first 2 shown]
	v_and_b32_e32 v39, 6, v0
	v_xor_b32_e32 v27, v27, v39
	v_lshlrev_b32_e32 v27, 2, v27
	v_and_b32_e32 v41, 1, v0
	v_xor_b32_e32 v42, 0x440, v27
	v_cmp_eq_u32_e32 vcc, 0, v41
	s_mov_b32 s0, 0x1000504
	s_waitcnt vmcnt(0)
	v_perm_b32 v41, v10, v14, s0
	v_cndmask_b32_e32 v27, v42, v27, vcc
	v_lshl_or_b32 v27, v39, 10, v27
	v_perm_b32 v39, v2, v6, s0
	ds_write2st64_b32 v27, v39, v41 offset1:32
	v_xor_b32_e32 v39, 8, v27
	s_mov_b32 s1, 0x3020706
	v_perm_b32 v2, v2, v6, s1
	v_perm_b32 v6, v10, v14, s1
	v_add_u32_e32 v10, 0x80, v39
	ds_write2st64_b32 v10, v2, v6 offset1:32
	v_xor_b32_e32 v2, 16, v27
	v_perm_b32 v6, v3, v7, s0
	v_perm_b32 v10, v11, v15, s0
	ds_write2st64_b32 v2, v6, v10 offset0:1 offset1:33
	v_xor_b32_e32 v2, 24, v27
	v_perm_b32 v3, v3, v7, s1
	v_perm_b32 v6, v11, v15, s1
	v_add_u32_e32 v2, 0x80, v2
	ds_write2st64_b32 v2, v3, v6 offset0:1 offset1:33
	v_xor_b32_e32 v2, 32, v27
	v_perm_b32 v3, v4, v8, s0
	v_perm_b32 v6, v12, v16, s0
	ds_write2st64_b32 v2, v3, v6 offset0:2 offset1:34
	v_xor_b32_e32 v2, 40, v27
	v_perm_b32 v3, v4, v8, s1
	v_perm_b32 v4, v12, v16, s1
	v_add_u32_e32 v2, 0x80, v2
	ds_write2st64_b32 v2, v3, v4 offset0:2 offset1:34
	v_xor_b32_e32 v2, 48, v27
	v_perm_b32 v3, v5, v9, s0
	v_perm_b32 v4, v13, v17, s0
	ds_write2st64_b32 v2, v3, v4 offset0:3 offset1:35
	v_xor_b32_e32 v2, 56, v27
	v_or_b32_e32 v10, v40, v60
	v_perm_b32 v3, v5, v9, s1
	v_perm_b32 v4, v13, v17, s1
	v_add_u32_e32 v2, 0x80, v2
	v_cmp_gt_i32_e64 s[2:3], s47, v10
	v_mov_b32_e32 v12, 0
	v_mov_b32_e32 v17, 0
	ds_write2st64_b32 v2, v3, v4 offset0:3 offset1:35
	s_and_saveexec_b64 s[0:1], s[2:3]
	s_cbranch_execz .LBB541_62
; %bb.61:
	v_add_u32_e32 v2, s46, v10
	v_ashrrev_i32_e32 v3, 31, v2
	v_mul_lo_u32 v4, v3, s38
	v_mul_lo_u32 v5, v2, s39
	v_mad_u64_u32 v[2:3], s[4:5], v2, s38, 0
	v_add3_u32 v3, v3, v5, v4
	v_lshl_add_u64 v[2:3], v[2:3], 2, s[10:11]
	global_load_dword v2, v[2:3], off
	s_waitcnt vmcnt(0)
	v_sub_f32_e32 v2, s12, v2
	v_exp_f32_e32 v17, v2
.LBB541_62:
	s_or_b64 exec, exec, s[0:1]
	v_or_b32_e32 v15, 1, v10
	v_cmp_gt_i32_e64 s[4:5], s47, v15
	s_and_saveexec_b64 s[0:1], s[4:5]
	s_cbranch_execz .LBB541_64
; %bb.63:
	v_add_u32_e32 v2, s46, v15
	v_ashrrev_i32_e32 v3, 31, v2
	v_mul_lo_u32 v4, v3, s38
	v_mul_lo_u32 v5, v2, s39
	v_mad_u64_u32 v[2:3], s[6:7], v2, s38, 0
	v_add3_u32 v3, v3, v5, v4
	v_lshl_add_u64 v[2:3], v[2:3], 2, s[10:11]
	global_load_dword v2, v[2:3], off
	s_waitcnt vmcnt(0)
	v_sub_f32_e32 v2, s12, v2
	v_exp_f32_e32 v12, v2
.LBB541_64:
	s_or_b64 exec, exec, s[0:1]
	v_or_b32_e32 v14, 2, v10
	v_cmp_gt_i32_e64 s[0:1], s47, v14
	v_mov_b32_e32 v11, 0
	v_mov_b32_e32 v16, 0
	s_and_saveexec_b64 s[6:7], s[0:1]
	s_cbranch_execz .LBB541_66
; %bb.65:
	v_add_u32_e32 v2, s46, v14
	v_ashrrev_i32_e32 v3, 31, v2
	v_mul_lo_u32 v4, v3, s38
	v_mul_lo_u32 v5, v2, s39
	v_mad_u64_u32 v[2:3], s[20:21], v2, s38, 0
	v_add3_u32 v3, v3, v5, v4
	v_lshl_add_u64 v[2:3], v[2:3], 2, s[10:11]
	global_load_dword v2, v[2:3], off
	s_waitcnt vmcnt(0)
	v_sub_f32_e32 v2, s12, v2
	v_exp_f32_e32 v16, v2
.LBB541_66:
	s_or_b64 exec, exec, s[6:7]
	v_or_b32_e32 v13, 3, v10
	v_cmp_gt_i32_e32 vcc, s47, v13
	s_and_saveexec_b64 s[6:7], vcc
	s_cbranch_execz .LBB541_68
; %bb.67:
	v_add_u32_e32 v2, s46, v13
	v_ashrrev_i32_e32 v3, 31, v2
	v_mul_lo_u32 v4, v3, s38
	v_mul_lo_u32 v5, v2, s39
	v_mad_u64_u32 v[2:3], s[20:21], v2, s38, 0
	v_add3_u32 v3, v3, v5, v4
	v_lshl_add_u64 v[2:3], v[2:3], 2, s[10:11]
	global_load_dword v2, v[2:3], off
	s_waitcnt vmcnt(0)
	v_sub_f32_e32 v2, s12, v2
	v_exp_f32_e32 v11, v2
.LBB541_68:
	s_or_b64 exec, exec, s[6:7]
	s_waitcnt lgkmcnt(11)
	v_mfma_f32_16x16x16_bf16 a[0:3], v[34:35], v[22:23], a[0:3]
	s_add_u32 s6, s8, s30
	v_ashrrev_i32_e32 v27, 31, v26
	s_addc_u32 s7, s9, s31
	s_waitcnt lgkmcnt(10)
	v_mfma_f32_16x16x16_bf16 a[0:3], v[32:33], v[24:25], a[0:3]
	v_lshlrev_b64 v[2:3], 1, v[26:27]
	v_lshl_add_u64 v[6:7], s[6:7], 0, v[2:3]
	s_add_u32 s6, s18, s30
	s_waitcnt lgkmcnt(9)
	v_mfma_f32_16x16x16_bf16 a[0:3], v[30:31], v[18:19], a[0:3]
	s_addc_u32 s7, s19, s31
	v_lshl_add_u64 v[8:9], s[6:7], 0, v[2:3]
	v_mov_b32_e32 v18, 0
	s_waitcnt lgkmcnt(8)
	v_mfma_f32_16x16x16_bf16 a[0:3], v[28:29], v[20:21], a[0:3]
	v_mov_b32_e32 v19, 0
	s_nop 5
	v_accvgpr_read_b32 v5, a3
	v_accvgpr_read_b32 v4, a2
	;; [unrolled: 1-line block ×4, first 2 shown]
	s_and_saveexec_b64 s[6:7], s[2:3]
	s_cbranch_execz .LBB541_70
; %bb.69:
	v_lshlrev_b32_e32 v20, 8, v10
	v_mov_b32_e32 v21, 0
	v_lshl_add_u64 v[22:23], v[6:7], 0, v[20:21]
	global_load_ushort v19, v[22:23], off
	v_lshl_add_u64 v[20:21], v[8:9], 0, v[20:21]
	s_waitcnt vmcnt(0)
	v_lshlrev_b32_e32 v19, 16, v19
	v_sub_f32_e32 v2, v19, v2
	global_store_short_d16_hi v[20:21], v2, off
	v_mul_f32_e32 v2, v17, v2
	v_lshrrev_b32_e32 v19, 16, v2
.LBB541_70:
	s_or_b64 exec, exec, s[6:7]
	s_and_saveexec_b64 s[2:3], s[4:5]
	s_cbranch_execz .LBB541_72
; %bb.71:
	v_lshlrev_b32_e32 v20, 8, v15
	v_mov_b32_e32 v21, 0
	v_lshl_add_u64 v[22:23], v[6:7], 0, v[20:21]
	global_load_ushort v2, v[22:23], off
	v_lshl_add_u64 v[20:21], v[8:9], 0, v[20:21]
	s_waitcnt vmcnt(0)
	v_lshlrev_b32_e32 v2, 16, v2
	v_sub_f32_e32 v2, v2, v3
	global_store_short_d16_hi v[20:21], v2, off
	v_mul_f32_e32 v2, v12, v2
	v_lshrrev_b32_e32 v18, 16, v2
.LBB541_72:
	s_or_b64 exec, exec, s[2:3]
	v_mov_b32_e32 v3, 0
	v_mov_b32_e32 v12, 0
	s_and_saveexec_b64 s[2:3], s[0:1]
	s_cbranch_execz .LBB541_74
; %bb.73:
	v_lshlrev_b32_e32 v14, 8, v14
	v_mov_b32_e32 v15, 0
	v_lshl_add_u64 v[20:21], v[6:7], 0, v[14:15]
	global_load_ushort v2, v[20:21], off
	v_lshl_add_u64 v[14:15], v[8:9], 0, v[14:15]
	s_waitcnt vmcnt(0)
	v_lshlrev_b32_e32 v2, 16, v2
	v_sub_f32_e32 v2, v2, v4
	global_store_short_d16_hi v[14:15], v2, off
	v_mul_f32_e32 v2, v16, v2
	v_lshrrev_b32_e32 v12, 16, v2
.LBB541_74:
	s_or_b64 exec, exec, s[2:3]
	v_or_b32_e32 v2, 0x9800, v38
	s_and_saveexec_b64 s[0:1], vcc
	s_cbranch_execz .LBB541_76
; %bb.75:
	v_lshlrev_b32_e32 v14, 8, v13
	v_mov_b32_e32 v15, 0
	v_lshl_add_u64 v[6:7], v[6:7], 0, v[14:15]
	global_load_ushort v3, v[6:7], off
	v_lshl_add_u64 v[6:7], v[8:9], 0, v[14:15]
	s_waitcnt vmcnt(0)
	v_lshlrev_b32_e32 v3, 16, v3
	v_sub_f32_e32 v3, v3, v5
	global_store_short_d16_hi v[6:7], v3, off
	v_mul_f32_e32 v3, v11, v3
	v_lshrrev_b32_e32 v3, 16, v3
.LBB541_76:
	s_or_b64 exec, exec, s[0:1]
	s_mov_b32 s0, 0x5040100
	v_perm_b32 v5, v3, v12, s0
	v_lshlrev_b32_e32 v3, 1, v36
	v_perm_b32 v4, v18, v19, s0
	v_lshl_or_b32 v3, v10, 5, v3
	s_movk_i32 s2, 0xff
	ds_write_b64 v3, v[4:5] offset:38912
	v_and_b32_e32 v3, 7, v0
	v_cmp_lt_u32_e32 vcc, s2, v0
	v_and_b32_e32 v4, 8, v0
	v_lshlrev_b32_e32 v11, 3, v3
	v_lshlrev_b32_e32 v20, 7, v3
	v_cndmask_b32_e64 v3, 0, 1, vcc
	v_lshrrev_b32_e32 v0, 1, v0
	v_lshlrev_b32_e32 v16, 13, v3
	v_lshlrev_b32_e32 v3, 3, v45
	v_and_b32_e32 v0, 24, v0
	v_xor_b32_e32 v5, v3, v0
	v_or_b32_e32 v6, 0x440, v5
	v_cmp_eq_u32_e32 vcc, 0, v4
	s_waitcnt lgkmcnt(0)
	s_barrier
	v_cndmask_b32_e32 v4, v6, v5, vcc
	v_or_b32_e32 v4, v4, v37
	v_xor_b32_e32 v21, v4, v11
	v_or_b32_e32 v4, 32, v0
	v_xor_b32_e32 v4, v3, v4
	v_or_b32_e32 v5, 0x440, v4
	v_cndmask_b32_e32 v4, v5, v4, vcc
	v_or_b32_e32 v4, v4, v37
	v_xor_b32_e32 v22, v4, v11
	v_or_b32_e32 v4, 64, v0
	v_xor_b32_e32 v4, v3, v4
	v_xor_b32_e32 v5, 0x440, v4
	v_cndmask_b32_e32 v4, v5, v4, vcc
	v_add3_u32 v8, v16, v21, v20
	v_or_b32_e32 v4, v4, v37
	v_or_b32_e32 v0, 0x60, v0
	v_xor_b32_e32 v23, v4, v11
	ds_read2st64_b64 v[4:7], v2 offset1:1
	ds_read2st64_b64 v[12:15], v2 offset0:2 offset1:3
	v_xor_b32_e32 v0, v3, v0
	ds_read_b64 v[2:3], v8
	v_add3_u32 v9, v16, v22, v20
	v_xor_b32_e32 v8, 0x440, v0
	v_cndmask_b32_e32 v0, v8, v0, vcc
	ds_read_b64 v[8:9], v9
	s_add_i32 s0, s16, s48
	s_mul_hi_i32 s1, s0, s13
	s_mul_i32 s0, s0, s13
	s_add_u32 s0, s0, s33
	s_waitcnt lgkmcnt(1)
	v_mfma_f32_16x16x16_bf16 a[0:3], v[2:3], v[4:5], 0
	s_addc_u32 s1, s1, s14
	v_or_b32_e32 v0, v0, v37
	s_lshl_b64 s[0:1], s[0:1], 9
	v_xor_b32_e32 v0, v0, v11
	s_add_u32 s0, s36, s0
	v_add3_u32 v17, v16, v23, v20
	v_add3_u32 v11, v16, v0, v20
	s_addc_u32 s1, s37, s1
	v_lshlrev_b32_e32 v2, 2, v10
	ds_read_b64 v[16:17], v17
	ds_read_b64 v[18:19], v11
	s_waitcnt lgkmcnt(2)
	v_mfma_f32_16x16x16_bf16 a[0:3], v[8:9], v[6:7], a[0:3]
	global_load_dwordx4 v[8:11], v2, s[0:1]
	v_add_u32_e32 v2, v21, v20
	ds_read_b64 v[2:3], v2 offset:8192
	s_waitcnt lgkmcnt(2)
	v_mfma_f32_16x16x16_bf16 a[0:3], v[16:17], v[12:13], a[0:3]
	v_lshlrev_b32_e32 v16, 6, v45
	v_lshlrev_b32_e32 v17, 2, v40
	s_movk_i32 s2, 0x100
	v_or3_b32 v24, v16, v17, s2
	v_add_u32_e32 v16, v22, v20
	v_add_u32_e32 v21, v23, v20
	;; [unrolled: 1-line block ×3, first 2 shown]
	ds_read_b64 v[16:17], v16 offset:8192
	ds_read_b64 v[20:21], v21 offset:8192
	;; [unrolled: 1-line block ×3, first 2 shown]
	s_waitcnt lgkmcnt(3)
	v_mfma_f32_16x16x16_bf16 a[4:7], v[2:3], v[4:5], 0
	global_load_dwordx4 v[2:5], v24, s[0:1]
	v_exp_f32_e32 v0, s12
	s_waitcnt vmcnt(1)
	v_exp_f32_e32 v8, v8
	v_mfma_f32_16x16x16_bf16 a[0:3], v[18:19], v[14:15], a[0:3]
	v_exp_f32_e32 v9, v9
	v_exp_f32_e32 v10, v10
	;; [unrolled: 1-line block ×3, first 2 shown]
	v_pk_mul_f32 v[8:9], v[0:1], v[8:9] op_sel_hi:[0,1]
	v_pk_mul_f32 v[10:11], v[0:1], v[10:11] op_sel_hi:[0,1]
	s_nop 1
	v_accvgpr_read_b32 v25, a1
	v_accvgpr_read_b32 v19, a3
	;; [unrolled: 1-line block ×4, first 2 shown]
	s_waitcnt lgkmcnt(2)
	v_mfma_f32_16x16x16_bf16 a[0:3], v[16:17], v[6:7], a[4:7]
	s_waitcnt vmcnt(0)
	v_mov_b32_e32 v6, v5
	v_mov_b32_e32 v5, v4
	;; [unrolled: 1-line block ×3, first 2 shown]
	s_waitcnt lgkmcnt(1)
	v_mfma_f32_16x16x16_bf16 a[0:3], v[20:21], v[12:13], a[0:3]
	v_exp_f32_e32 v2, v2
	v_exp_f32_e32 v3, v4
	;; [unrolled: 1-line block ×3, first 2 shown]
	s_waitcnt lgkmcnt(0)
	v_mfma_f32_16x16x16_bf16 a[0:3], v[22:23], v[14:15], a[0:3]
	v_exp_f32_e32 v5, v6
	v_pk_fma_f32 v[46:47], v[46:47], v[8:9], v[24:25]
	v_pk_mul_f32 v[2:3], v[0:1], v[2:3] op_sel_hi:[0,1]
	v_pk_fma_f32 v[52:53], v[52:53], v[10:11], v[18:19]
	s_nop 2
	v_accvgpr_read_b32 v9, a1
	v_accvgpr_read_b32 v8, a0
	;; [unrolled: 1-line block ×4, first 2 shown]
	v_pk_fma_f32 v[50:51], v[50:51], v[2:3], v[8:9]
	v_pk_mul_f32 v[2:3], v[0:1], v[4:5] op_sel_hi:[0,1]
	v_pk_fma_f32 v[48:49], v[48:49], v[2:3], v[6:7]
	v_mov_b32_e32 v2, v26
.LBB541_77:
	s_lshl_b64 s[0:1], s[28:29], 15
	s_add_u32 s0, s34, s0
	v_lshlrev_b32_e32 v2, 7, v2
	s_addc_u32 s1, s35, s1
	v_ashrrev_i32_e32 v3, 31, v2
	v_lshl_add_u64 v[2:3], v[2:3], 1, s[0:1]
	v_lshlrev_b32_e32 v0, 1, v1
	v_mov_b32_e32 v1, 0
	s_mov_b32 s0, 0x7060302
	v_lshl_add_u64 v[0:1], v[2:3], 0, v[0:1]
	v_perm_b32 v3, v53, v52, s0
	v_perm_b32 v2, v47, v46, s0
	global_store_dwordx2 v[0:1], v[2:3], off
	v_perm_b32 v3, v49, v48, s0
	v_perm_b32 v2, v51, v50, s0
	global_store_dwordx2 v[0:1], v[2:3], off offset:128
	s_endpgm
	.section	.rodata,"a",@progbits
	.p2align	6, 0x0
	.amdhsa_kernel _ZN12_GLOBAL__N_139chunk_gated_delta_rule_fwd_h_hip_kernelILi16ELb0ELb1ELb1ELb0ELb1ELb1ELb0ELb1EEEvPK12hip_bfloat16S3_S3_PKfS5_PKvPS1_S8_PvPKiSB_iiiiilll
		.amdhsa_group_segment_fixed_size 40960
		.amdhsa_private_segment_fixed_size 0
		.amdhsa_kernarg_size 136
		.amdhsa_user_sgpr_count 2
		.amdhsa_user_sgpr_dispatch_ptr 0
		.amdhsa_user_sgpr_queue_ptr 0
		.amdhsa_user_sgpr_kernarg_segment_ptr 1
		.amdhsa_user_sgpr_dispatch_id 0
		.amdhsa_user_sgpr_kernarg_preload_length 0
		.amdhsa_user_sgpr_kernarg_preload_offset 0
		.amdhsa_user_sgpr_private_segment_size 0
		.amdhsa_uses_dynamic_stack 0
		.amdhsa_enable_private_segment 0
		.amdhsa_system_sgpr_workgroup_id_x 1
		.amdhsa_system_sgpr_workgroup_id_y 1
		.amdhsa_system_sgpr_workgroup_id_z 0
		.amdhsa_system_sgpr_workgroup_info 0
		.amdhsa_system_vgpr_workitem_id 0
		.amdhsa_next_free_vgpr 128
		.amdhsa_next_free_sgpr 70
		.amdhsa_accum_offset 116
		.amdhsa_reserve_vcc 1
		.amdhsa_float_round_mode_32 0
		.amdhsa_float_round_mode_16_64 0
		.amdhsa_float_denorm_mode_32 3
		.amdhsa_float_denorm_mode_16_64 3
		.amdhsa_dx10_clamp 1
		.amdhsa_ieee_mode 1
		.amdhsa_fp16_overflow 0
		.amdhsa_tg_split 0
		.amdhsa_exception_fp_ieee_invalid_op 0
		.amdhsa_exception_fp_denorm_src 0
		.amdhsa_exception_fp_ieee_div_zero 0
		.amdhsa_exception_fp_ieee_overflow 0
		.amdhsa_exception_fp_ieee_underflow 0
		.amdhsa_exception_fp_ieee_inexact 0
		.amdhsa_exception_int_div_zero 0
	.end_amdhsa_kernel
	.section	.text._ZN12_GLOBAL__N_139chunk_gated_delta_rule_fwd_h_hip_kernelILi16ELb0ELb1ELb1ELb0ELb1ELb1ELb0ELb1EEEvPK12hip_bfloat16S3_S3_PKfS5_PKvPS1_S8_PvPKiSB_iiiiilll,"axG",@progbits,_ZN12_GLOBAL__N_139chunk_gated_delta_rule_fwd_h_hip_kernelILi16ELb0ELb1ELb1ELb0ELb1ELb1ELb0ELb1EEEvPK12hip_bfloat16S3_S3_PKfS5_PKvPS1_S8_PvPKiSB_iiiiilll,comdat
.Lfunc_end541:
	.size	_ZN12_GLOBAL__N_139chunk_gated_delta_rule_fwd_h_hip_kernelILi16ELb0ELb1ELb1ELb0ELb1ELb1ELb0ELb1EEEvPK12hip_bfloat16S3_S3_PKfS5_PKvPS1_S8_PvPKiSB_iiiiilll, .Lfunc_end541-_ZN12_GLOBAL__N_139chunk_gated_delta_rule_fwd_h_hip_kernelILi16ELb0ELb1ELb1ELb0ELb1ELb1ELb0ELb1EEEvPK12hip_bfloat16S3_S3_PKfS5_PKvPS1_S8_PvPKiSB_iiiiilll
                                        ; -- End function
	.section	.AMDGPU.csdata,"",@progbits
; Kernel info:
; codeLenInByte = 8256
; NumSgprs: 76
; NumVgprs: 114
; NumAgprs: 12
; TotalNumVgprs: 128
; ScratchSize: 0
; MemoryBound: 0
; FloatMode: 240
; IeeeMode: 1
; LDSByteSize: 40960 bytes/workgroup (compile time only)
; SGPRBlocks: 9
; VGPRBlocks: 15
; NumSGPRsForWavesPerEU: 76
; NumVGPRsForWavesPerEU: 128
; AccumOffset: 116
; Occupancy: 1
; WaveLimiterHint : 1
; COMPUTE_PGM_RSRC2:SCRATCH_EN: 0
; COMPUTE_PGM_RSRC2:USER_SGPR: 2
; COMPUTE_PGM_RSRC2:TRAP_HANDLER: 0
; COMPUTE_PGM_RSRC2:TGID_X_EN: 1
; COMPUTE_PGM_RSRC2:TGID_Y_EN: 1
; COMPUTE_PGM_RSRC2:TGID_Z_EN: 0
; COMPUTE_PGM_RSRC2:TIDIG_COMP_CNT: 0
; COMPUTE_PGM_RSRC3_GFX90A:ACCUM_OFFSET: 28
; COMPUTE_PGM_RSRC3_GFX90A:TG_SPLIT: 0
	.section	.text._ZN12_GLOBAL__N_139chunk_gated_delta_rule_fwd_h_hip_kernelILi16ELb0ELb1ELb0ELb0ELb1ELb1ELb0ELb1EEEvPK12hip_bfloat16S3_S3_PKfS5_PKvPS1_S8_PvPKiSB_iiiiilll,"axG",@progbits,_ZN12_GLOBAL__N_139chunk_gated_delta_rule_fwd_h_hip_kernelILi16ELb0ELb1ELb0ELb0ELb1ELb1ELb0ELb1EEEvPK12hip_bfloat16S3_S3_PKfS5_PKvPS1_S8_PvPKiSB_iiiiilll,comdat
	.globl	_ZN12_GLOBAL__N_139chunk_gated_delta_rule_fwd_h_hip_kernelILi16ELb0ELb1ELb0ELb0ELb1ELb1ELb0ELb1EEEvPK12hip_bfloat16S3_S3_PKfS5_PKvPS1_S8_PvPKiSB_iiiiilll ; -- Begin function _ZN12_GLOBAL__N_139chunk_gated_delta_rule_fwd_h_hip_kernelILi16ELb0ELb1ELb0ELb0ELb1ELb1ELb0ELb1EEEvPK12hip_bfloat16S3_S3_PKfS5_PKvPS1_S8_PvPKiSB_iiiiilll
	.p2align	8
	.type	_ZN12_GLOBAL__N_139chunk_gated_delta_rule_fwd_h_hip_kernelILi16ELb0ELb1ELb0ELb0ELb1ELb1ELb0ELb1EEEvPK12hip_bfloat16S3_S3_PKfS5_PKvPS1_S8_PvPKiSB_iiiiilll,@function
_ZN12_GLOBAL__N_139chunk_gated_delta_rule_fwd_h_hip_kernelILi16ELb0ELb1ELb0ELb0ELb1ELb1ELb0ELb1EEEvPK12hip_bfloat16S3_S3_PKfS5_PKvPS1_S8_PvPKiSB_iiiiilll: ; @_ZN12_GLOBAL__N_139chunk_gated_delta_rule_fwd_h_hip_kernelILi16ELb0ELb1ELb0ELb0ELb1ELb1ELb0ELb1EEEvPK12hip_bfloat16S3_S3_PKfS5_PKvPS1_S8_PvPKiSB_iiiiilll
; %bb.0:
	s_load_dwordx4 s[12:15], s[0:1], 0x5c
	s_load_dwordx4 s[16:19], s[0:1], 0x70
	s_abs_i32 s22, s3
	s_ashr_i32 s21, s3, 31
	s_load_dwordx8 s[4:11], s[0:1], 0x0
	s_load_dwordx2 s[30:31], s[0:1], 0x20
	s_waitcnt lgkmcnt(0)
	s_abs_i32 s20, s13
	v_cvt_f32_u32_e32 v1, s20
	s_sub_i32 s24, 0, s20
	s_ashr_i32 s23, s13, 31
	s_xor_b32 s21, s21, s23
	v_rcp_iflag_f32_e32 v1, v1
	s_load_dwordx2 s[28:29], s[0:1], 0x40
	s_load_dwordx2 s[38:39], s[0:1], 0x30
	;; [unrolled: 1-line block ×3, first 2 shown]
	v_lshrrev_b32_e32 v45, 6, v0
	v_mul_f32_e32 v1, 0x4f7ffffe, v1
	v_cvt_u32_f32_e32 v1, v1
	v_bfe_u32 v60, v0, 4, 2
	v_lshlrev_b32_e32 v58, 4, v45
	v_lshlrev_b32_e32 v2, 2, v60
	v_readfirstlane_b32 s25, v1
	s_mul_i32 s24, s24, s25
	s_mul_hi_u32 s24, s25, s24
	s_add_i32 s25, s25, s24
	s_mul_hi_u32 s24, s22, s25
	s_mul_i32 s25, s24, s20
	s_sub_i32 s22, s22, s25
	s_add_i32 s25, s24, 1
	s_sub_i32 s26, s22, s20
	s_cmp_ge_u32 s22, s20
	s_cselect_b32 s24, s25, s24
	s_cselect_b32 s22, s26, s22
	s_add_i32 s25, s24, 1
	s_cmp_ge_u32 s22, s20
	s_cselect_b32 s22, s25, s24
	s_xor_b32 s22, s22, s21
	s_sub_i32 s50, s22, s21
	s_abs_i32 s21, s14
	v_cvt_f32_u32_e32 v1, s21
	s_ashr_i32 s49, s12, 31
	s_lshr_b32 s22, s49, 26
	s_add_i32 s22, s12, s22
	v_rcp_iflag_f32_e32 v1, v1
	s_ashr_i32 s52, s14, 31
	s_ashr_i32 s51, s22, 6
	s_xor_b32 s22, s23, s52
	v_mul_f32_e32 v1, 0x4f7ffffe, v1
	v_cvt_u32_f32_e32 v1, v1
	s_sub_i32 s23, 0, s21
	s_mul_i32 s48, s50, s13
	s_sub_i32 s33, s3, s48
	v_readfirstlane_b32 s24, v1
	s_mul_i32 s23, s23, s24
	s_mul_hi_u32 s23, s24, s23
	s_add_i32 s24, s24, s23
	s_mul_hi_u32 s23, s20, s24
	s_mul_i32 s24, s23, s21
	s_sub_i32 s20, s20, s24
	s_add_i32 s3, s12, 63
	s_add_i32 s24, s23, 1
	s_sub_i32 s25, s20, s21
	s_cmp_ge_u32 s20, s21
	s_cselect_b32 s23, s24, s23
	s_cselect_b32 s20, s25, s20
	s_add_i32 s24, s23, 1
	s_cmp_ge_u32 s20, s21
	s_cselect_b32 s20, s24, s23
	s_xor_b32 s20, s20, s22
	s_sub_i32 s20, s20, s22
	s_abs_i32 s21, s20
	v_cvt_f32_u32_e32 v1, s21
	s_xor_b32 s0, s33, s20
	s_sub_i32 s20, 0, s21
	s_abs_i32 s1, s33
	v_rcp_iflag_f32_e32 v1, v1
	s_ashr_i32 s0, s0, 31
	v_and_b32_e32 v59, 63, v0
	v_mov_b32_e32 v49, 0
	v_mul_f32_e32 v1, 0x4f7ffffe, v1
	v_cvt_u32_f32_e32 v1, v1
	s_mul_i32 s46, s50, s12
	v_and_b32_e32 v61, 15, v0
	s_mul_hi_i32 s54, s50, s13
	v_readfirstlane_b32 s22, v1
	s_mul_i32 s20, s20, s22
	s_mul_hi_u32 s20, s22, s20
	s_add_i32 s22, s22, s20
	s_mul_hi_u32 s20, s1, s22
	s_mul_i32 s22, s20, s21
	s_sub_i32 s1, s1, s22
	s_add_i32 s22, s20, 1
	s_sub_i32 s23, s1, s21
	s_cmp_ge_u32 s1, s21
	s_cselect_b32 s20, s22, s20
	s_cselect_b32 s1, s23, s1
	s_add_i32 s22, s20, 1
	s_cmp_ge_u32 s1, s21
	s_cselect_b32 s1, s22, s20
	s_xor_b32 s1, s1, s0
	s_sub_i32 s55, s1, s0
	s_ashr_i32 s0, s3, 31
	s_lshr_b32 s0, s0, 26
	s_add_i32 s3, s3, s0
	v_or_b32_e32 v1, v2, v58
	s_ashr_i32 s0, s3, 6
	s_lshl_b32 s2, s2, 4
	s_mul_i32 s53, s50, s0
	v_or_b32_e32 v64, 64, v1
	s_cmp_lt_i32 s12, 64
	v_lshrrev_b32_e32 v63, 3, v59
	v_lshlrev_b32_e32 v62, 3, v0
	s_mul_i32 s17, s50, s17
	s_mul_hi_u32 s47, s50, s16
	s_mul_i32 s36, s50, s16
	v_mov_b32_e32 v48, v49
	v_mov_b32_e32 v51, v49
	;; [unrolled: 1-line block ×7, first 2 shown]
	s_cbranch_scc1 .LBB542_18
; %bb.1:
	s_ashr_i32 s3, s50, 31
	s_ashr_i32 s57, s33, 31
	s_add_u32 s0, s48, s33
	s_addc_u32 s1, s54, s57
	s_mul_i32 s1, s12, s1
	s_mul_hi_u32 s20, s12, s0
	s_add_i32 s41, s20, s1
	s_mul_i32 s40, s12, s0
	s_lshl_b64 s[0:1], s[40:41], 8
	v_and_b32_e32 v66, 56, v62
	s_add_u32 s20, s6, s0
	v_lshl_or_b32 v65, v45, 3, v63
	v_lshlrev_b32_e32 v3, 1, v66
	s_addc_u32 s0, s7, s1
	v_lshl_or_b32 v67, v65, 8, v3
	s_and_b32 s21, s0, 0xffff
	s_mov_b32 s23, 0x20000
	s_movk_i32 s22, 0x4000
	s_movk_i32 s0, 0x80
	v_or_b32_e32 v68, 0x2000, v67
	buffer_load_dwordx4 v[4:7], v67, s[20:23], 0 offen
	buffer_load_dwordx4 v[8:11], v67, s[20:23], s0 offen
	;; [unrolled: 1-line block ×4, first 2 shown]
	v_lshlrev_b32_e32 v20, 3, v65
	v_and_or_b32 v22, v0, 7, v20
	v_and_b32_e32 v20, 0x78, v20
	v_lshlrev_b32_e32 v22, 4, v22
	v_xor_b32_e32 v69, v22, v20
	v_mul_lo_u32 v21, v65, s15
	v_or_b32_e32 v70, 0x1000, v69
	s_cmpk_eq_i32 s15, 0x80
	s_mov_b32 s56, s14
	v_xor_b32_e32 v20, 8, v69
	v_xor_b32_e32 v22, 8, v70
	s_cselect_b64 s[0:1], -1, 0
	s_cmpk_lg_i32 s15, 0x80
	s_waitcnt vmcnt(3)
	ds_write_b64 v69, v[4:5] offset:16384
	ds_write_b64 v20, v[6:7] offset:16384
	s_waitcnt vmcnt(2)
	ds_write_b64 v69, v[8:9] offset:24576
	ds_write_b64 v20, v[10:11] offset:24576
	;; [unrolled: 3-line block ×4, first 2 shown]
	v_lshl_add_u32 v4, v21, 1, v66
	s_cbranch_scc0 .LBB542_3
; %bb.2:
	v_lshlrev_b32_e32 v6, 1, v4
	v_add_lshl_u32 v5, v4, s15, 1
	s_lshl_b32 s22, s15, 7
	v_lshl_or_b32 v3, v65, 9, v3
	s_cbranch_execz .LBB542_4
	s_branch .LBB542_5
.LBB542_3:
                                        ; implicit-def: $vgpr5
                                        ; implicit-def: $vgpr6
                                        ; implicit-def: $sgpr22
	v_lshl_or_b32 v3, v65, 9, v3
.LBB542_4:
	v_or_b32_e32 v5, 0x100, v3
	s_movk_i32 s22, 0x4000
	v_mov_b32_e32 v6, v3
.LBB542_5:
	s_mul_hi_u32 s20, s14, s12
	s_mul_i32 s21, s52, s12
	s_add_i32 s20, s20, s21
	s_mul_i32 s21, s14, s12
	s_mul_i32 s23, s21, s3
	s_mul_hi_u32 s24, s21, s50
	s_add_i32 s23, s24, s23
	s_mul_i32 s20, s20, s50
	s_add_i32 s23, s23, s20
	s_mul_i32 s21, s21, s50
	s_ashr_i32 s58, s55, 31
	s_add_u32 s20, s21, s55
	s_addc_u32 s21, s23, s58
	s_lshl_b64 s[20:21], s[20:21], 8
	s_add_u32 s20, s4, s20
	s_addc_u32 s21, s5, s21
	s_and_b32 s21, s21, 0xffff
	s_mov_b32 s23, 0x20000
	s_movk_i32 s59, 0x80
	buffer_load_dwordx4 v[8:11], v6, s[20:23], 0 offen
	buffer_load_dwordx4 v[12:15], v6, s[20:23], s59 offen
	;; [unrolled: 1-line block ×4, first 2 shown]
	v_and_b32_e32 v5, 6, v0
	s_mul_i32 s20, s3, s12
	s_mul_hi_u32 s21, s50, s12
	v_lshlrev_b32_e32 v7, 2, v61
	v_lshlrev_b32_e32 v24, 3, v61
	v_xor_b32_e32 v26, v65, v5
	v_and_b32_e32 v6, 1, v0
	s_mul_i32 s3, s3, s16
	v_lshl_or_b32 v24, v1, 5, v24
	v_xor_b32_e32 v27, v1, v7
	v_lshlrev_b32_e32 v26, 2, v26
	s_add_i32 s63, s21, s20
	s_add_i32 s20, s47, s17
	s_mul_i32 s24, s33, s19
	v_or_b32_e32 v71, 0x9000, v24
	v_or_b32_e32 v72, 0x9800, v24
	v_lshlrev_b32_e32 v24, 1, v27
	v_xor_b32_e32 v27, 0x440, v26
	v_cmp_eq_u32_e32 vcc, 0, v6
	s_add_i32 s37, s20, s3
	s_mul_hi_u32 s3, s33, s18
	v_cndmask_b32_e32 v6, v27, v26, vcc
	s_add_i32 s3, s3, s24
	s_mul_i32 s20, s57, s18
	s_mov_b32 s61, 0x1000504
	v_lshlrev_b32_e32 v25, 8, v61
	s_mov_b32 s22, 0x8000
	v_xor_b32_e32 v7, v64, v7
	v_lshl_or_b32 v5, v5, 10, v6
	s_add_i32 s21, s3, s20
	s_lshl_b64 s[24:25], s[36:37], 2
	s_mov_b32 s62, 0x3020706
	v_lshlrev_b32_e32 v7, 1, v7
	v_or3_b32 v73, v24, v25, s22
	v_xor_b32_e32 v6, 8, v5
	v_xor_b32_e32 v24, 24, v5
	;; [unrolled: 1-line block ×4, first 2 shown]
	s_mul_i32 s20, s33, s18
	s_add_u32 s3, s10, s24
	v_or3_b32 v74, v7, v25, s22
	v_xor_b32_e32 v7, 16, v5
	v_xor_b32_e32 v25, 32, v5
	;; [unrolled: 1-line block ×3, first 2 shown]
	v_add_u32_e32 v6, 0x80, v6
	v_add_u32_e32 v24, 0x80, v24
	;; [unrolled: 1-line block ×4, first 2 shown]
	s_addc_u32 s24, s11, s25
	s_lshl_b64 s[20:21], s[20:21], 2
	s_add_u32 s42, s3, s20
	s_movk_i32 s3, 0xf8
	s_addc_u32 s43, s24, s21
	s_lshl_b32 s26, s15, 7
	v_mov_b32_e32 v47, 0
	s_mov_b32 s60, 0
	v_add_u32_e32 v85, v58, v2
	s_mov_b32 s37, 0x7060302
	s_mov_b32 s65, 0
	v_mov_b32_e32 v52, v47
	v_mov_b32_e32 v53, v47
	;; [unrolled: 1-line block ×6, first 2 shown]
	s_waitcnt vmcnt(1)
	v_perm_b32 v29, v8, v16, s61
	s_waitcnt vmcnt(0)
	v_perm_b32 v30, v12, v20, s61
	v_perm_b32 v8, v8, v16, s62
	;; [unrolled: 1-line block ×15, first 2 shown]
	ds_write2st64_b32 v5, v29, v30 offset1:32
	ds_write2st64_b32 v6, v8, v12 offset1:32
	ds_write2st64_b32 v7, v16, v20 offset0:1 offset1:33
	ds_write2st64_b32 v24, v9, v13 offset0:1 offset1:33
	;; [unrolled: 1-line block ×6, first 2 shown]
	v_or_b32_e32 v5, v58, v61
	v_lshlrev_b32_e32 v5, 3, v5
	v_lshrrev_b32_e32 v7, 5, v59
	v_and_or_b32 v7, v5, s3, v7
	v_lshlrev_b32_e32 v7, 4, v7
	v_lshrrev_b32_e32 v6, 2, v59
	v_lshlrev_b32_e32 v9, 11, v45
	v_and_b32_e32 v5, 0x78, v5
	v_or_b32_e32 v12, 32, v7
	v_and_b32_e32 v8, 12, v6
	v_and_b32_e32 v6, 0x1000, v9
	v_lshrrev_b32_e32 v11, 1, v59
	v_xor_b32_e32 v12, v12, v5
	v_and_b32_e32 v11, 8, v11
	v_or_b32_e32 v12, v12, v6
	v_xor_b32_e32 v10, v7, v5
	v_xor_b32_e32 v77, v12, v11
	v_or_b32_e32 v12, 64, v7
	v_or_b32_e32 v7, 0x60, v7
	;; [unrolled: 1-line block ×3, first 2 shown]
	v_xor_b32_e32 v12, v12, v5
	v_xor_b32_e32 v5, v7, v5
	;; [unrolled: 1-line block ×3, first 2 shown]
	v_and_b32_e32 v10, 0x78, v62
	v_or_b32_e32 v5, v5, v6
	v_lshl_or_b32 v10, v60, 7, v10
	v_or_b32_e32 v12, v12, v6
	v_xor_b32_e32 v79, v5, v11
	s_ashr_i32 s3, s2, 31
	v_lshlrev_b32_e32 v5, 1, v61
	v_or_b32_e32 v76, 0x9000, v10
	v_xor_b32_e32 v78, v12, v11
	v_or_b32_e32 v80, 0x9800, v10
	v_lshlrev_b32_e32 v10, 1, v4
	v_add_lshl_u32 v11, v4, s15, 1
	v_lshrrev_b32_e32 v4, 4, v0
	s_lshl_b64 s[20:21], s[2:3], 8
	v_or_b32_e32 v13, 1, v5
	s_waitcnt lgkmcnt(0)
	s_add_u32 s20, s38, s20
	v_xor_b32_e32 v5, v4, v5
	v_xor_b32_e32 v13, v13, v4
	s_addc_u32 s21, s39, s21
	v_lshlrev_b32_e32 v5, 3, v5
	v_lshlrev_b32_e32 v46, 8, v4
	;; [unrolled: 1-line block ×3, first 2 shown]
	v_lshrrev_b32_e32 v17, 1, v0
	v_or3_b32 v81, v5, v46, s22
	v_or3_b32 v82, v4, v46, s22
	v_lshl_add_u64 v[4:5], s[20:21], 0, v[46:47]
	v_lshlrev_b32_e32 v46, 4, v61
	s_movk_i32 s3, 0xff
	v_lshlrev_b32_e32 v16, 3, v45
	v_and_b32_e32 v17, 24, v17
	v_lshl_add_u64 v[54:55], v[4:5], 0, v[46:47]
	v_and_b32_e32 v5, 8, v0
	v_cmp_lt_u32_e32 vcc, s3, v0
	v_xor_b32_e32 v18, v16, v17
	v_or_b32_e32 v19, 0x440, v18
	v_cndmask_b32_e64 v15, 0, 1, vcc
	v_cmp_eq_u32_e32 vcc, 0, v5
	v_or_b32_e32 v21, 64, v17
	v_xor_b32_e32 v21, v16, v21
	v_cndmask_b32_e32 v5, v19, v18, vcc
	v_or_b32_e32 v19, 32, v17
	v_or_b32_e32 v17, 0x60, v17
	v_xor_b32_e32 v19, v16, v19
	v_xor_b32_e32 v16, v16, v17
	v_or_b32_e32 v20, 0x440, v19
	v_xor_b32_e32 v22, 0x440, v21
	v_xor_b32_e32 v17, 0x440, v16
	v_and_b32_e32 v4, 7, v0
	v_cndmask_b32_e32 v19, v20, v19, vcc
	v_cndmask_b32_e32 v21, v22, v21, vcc
	;; [unrolled: 1-line block ×3, first 2 shown]
	v_or_b32_e32 v6, s2, v61
	v_lshlrev_b32_e32 v13, 3, v4
	v_or_b32_e32 v5, v5, v9
	v_or_b32_e32 v19, v19, v9
	;; [unrolled: 1-line block ×4, first 2 shown]
	v_ashrrev_i32_e32 v7, 31, v6
	v_lshlrev_b32_e32 v15, 13, v15
	v_xor_b32_e32 v5, v5, v13
	v_xor_b32_e32 v19, v19, v13
	v_xor_b32_e32 v21, v21, v13
	v_xor_b32_e32 v9, v9, v13
	v_lshl_add_u64 v[6:7], v[6:7], 1, s[8:9]
	v_or_b32_e32 v12, 0x100, v3
	v_lshlrev_b32_e32 v14, 7, v4
	v_or_b32_e32 v4, v8, v58
	v_add_u32_e32 v18, v15, v5
	v_add_u32_e32 v20, v15, v19
	;; [unrolled: 1-line block ×4, first 2 shown]
	v_or3_b32 v8, v58, v8, 64
	v_add_u32_e32 v5, 0x2000, v5
	v_add_u32_e32 v15, 0x2000, v19
	;; [unrolled: 1-line block ×4, first 2 shown]
	v_lshlrev_b32_e32 v46, 8, v1
	v_cndmask_b32_e64 v83, v10, v3, s[0:1]
	v_cndmask_b32_e64 v84, v11, v12, s[0:1]
	v_lshl_add_u64 v[56:57], v[6:7], 0, v[46:47]
	s_add_i32 s3, s46, 63
	s_movk_i32 s22, 0x4000
	v_lshlrev_b32_e32 v86, 2, v4
	v_add_u32_e32 v87, v18, v14
	v_add_u32_e32 v88, v20, v14
	;; [unrolled: 1-line block ×4, first 2 shown]
	v_lshlrev_b32_e32 v91, 2, v8
	v_add_u32_e32 v92, v5, v14
	v_add_u32_e32 v93, v15, v14
	;; [unrolled: 1-line block ×4, first 2 shown]
	v_mov_b32_e32 v46, v47
	s_barrier
.LBB542_6:                              ; =>This Inner Loop Header: Depth=1
	s_add_i32 s64, s65, 1
	s_cmp_lt_i32 s64, s51
	s_mov_b64 s[24:25], 0
	s_cselect_b64 s[44:45], -1, 0
	s_cmp_ge_i32 s64, s51
	s_mov_b64 s[20:21], 0
	s_cbranch_scc1 .LBB542_8
; %bb.7:                                ;   in Loop: Header=BB542_6 Depth=1
	s_add_i32 s0, s60, 64
	s_add_u32 s0, s40, s0
	s_addc_u32 s1, s41, 0
	s_lshl_b64 s[0:1], s[0:1], 8
	s_add_u32 s20, s6, s0
	s_addc_u32 s21, s7, s1
.LBB542_8:                              ;   in Loop: Header=BB542_6 Depth=1
	v_cndmask_b32_e64 v2, 0, 1, s[44:45]
	v_cmp_ne_u32_e64 s[0:1], 1, v2
	s_andn2_b64 vcc, exec, s[44:45]
	s_cbranch_vccnz .LBB542_10
; %bb.9:                                ;   in Loop: Header=BB542_6 Depth=1
	s_add_i32 s24, s60, 64
	s_add_u32 s24, s46, s24
	s_addc_u32 s25, s63, 0
	s_mul_i32 s27, s24, s52
	s_mul_hi_u32 s44, s24, s56
	s_add_i32 s27, s44, s27
	s_mul_i32 s25, s25, s56
	s_add_i32 s27, s27, s25
	s_mul_i32 s24, s24, s56
	s_add_u32 s24, s24, s55
	s_addc_u32 s25, s27, s58
	s_lshl_b64 s[24:25], s[24:25], 8
	s_add_u32 s24, s4, s24
	s_addc_u32 s25, s5, s25
.LBB542_10:                             ;   in Loop: Header=BB542_6 Depth=1
	v_perm_b32 v3, v53, v52, s37
	v_perm_b32 v2, v47, v46, s37
	;; [unrolled: 1-line block ×4, first 2 shown]
	ds_write_b64 v71, v[2:3]
	ds_write_b64 v72, v[4:5]
	;; [unrolled: 1-line block ×4, first 2 shown]
	s_waitcnt lgkmcnt(0)
	s_barrier
	ds_read_b64 v[10:11], v75 offset:16384
	ds_read_b64 v[12:13], v77 offset:16384
	ds_read2st64_b64 v[2:5], v76 offset1:1
	ds_read2st64_b64 v[6:9], v76 offset0:2 offset1:3
	ds_read_b64 v[14:15], v78 offset:16384
	s_waitcnt lgkmcnt(2)
	v_mfma_f32_16x16x16_bf16 a[0:3], v[10:11], v[2:3], 0
	ds_read_b64 v[2:3], v79 offset:16384
	s_add_i32 s27, s60, 63
	s_mul_i32 s44, s27, s35
	v_mfma_f32_16x16x16_bf16 a[0:3], v[12:13], v[4:5], a[0:3]
	s_mul_hi_u32 s45, s27, s34
	s_add_i32 s45, s45, s44
	s_mul_i32 s44, s27, s34
	s_waitcnt lgkmcnt(1)
	v_mfma_f32_16x16x16_bf16 a[0:3], v[14:15], v[6:7], a[0:3]
	s_lshl_b64 s[44:45], s[44:45], 2
	s_add_u32 s44, s42, s44
	s_addc_u32 s45, s43, s45
	s_waitcnt lgkmcnt(0)
	v_mfma_f32_16x16x16_bf16 a[0:3], v[2:3], v[8:9], a[0:3]
	s_and_b64 vcc, exec, s[0:1]
	v_mov_b32_e32 v98, 0
	v_mov_b32_e32 v97, 0
	;; [unrolled: 1-line block ×19, first 2 shown]
	s_cbranch_vccnz .LBB542_12
; %bb.11:                               ;   in Loop: Header=BB542_6 Depth=1
	s_and_b32 s21, s21, 0xffff
	buffer_load_dwordx4 v[14:17], v67, s[20:23], 0 offen
	buffer_load_dwordx4 v[10:13], v67, s[20:23], s59 offen
	;; [unrolled: 1-line block ×4, first 2 shown]
	v_mov_b32_e32 v97, v69
	v_mov_b32_e32 v96, v70
.LBB542_12:                             ;   in Loop: Header=BB542_6 Depth=1
	v_add_u32_e32 v24, s60, v85
	v_ashrrev_i32_e32 v18, 31, v24
	v_mul_lo_u32 v20, v18, s34
	v_mul_lo_u32 v21, v24, s35
	v_mad_u64_u32 v[18:19], s[20:21], v24, s34, 0
	v_add3_u32 v19, v19, v21, v20
	v_add_u32_e32 v20, 1, v24
	v_ashrrev_i32_e32 v21, 31, v20
	v_mul_lo_u32 v22, v21, s34
	v_mul_lo_u32 v23, v20, s35
	v_mad_u64_u32 v[20:21], s[20:21], v20, s34, 0
	v_add3_u32 v21, v21, v23, v22
	v_add_u32_e32 v22, 2, v24
	v_ashrrev_i32_e32 v23, 31, v22
	v_mul_lo_u32 v25, v23, s34
	v_mul_lo_u32 v26, v22, s35
	v_mad_u64_u32 v[22:23], s[20:21], v22, s34, 0
	v_add_u32_e32 v24, 3, v24
	v_add3_u32 v23, v23, v26, v25
	v_ashrrev_i32_e32 v25, 31, v24
	v_mul_lo_u32 v28, v25, s34
	v_mul_lo_u32 v29, v24, s35
	v_mad_u64_u32 v[24:25], s[20:21], v24, s34, 0
	s_add_u32 s20, s40, s60
	s_addc_u32 s21, s41, 0
	s_lshl_b64 s[20:21], s[20:21], 8
	v_lshl_add_u64 v[18:19], v[18:19], 2, s[42:43]
	v_lshl_add_u64 v[26:27], v[56:57], 0, s[20:21]
	;; [unrolled: 1-line block ×3, first 2 shown]
	global_load_ushort v42, v[26:27], off
	global_load_ushort v43, v[26:27], off offset:256
	global_load_ushort v44, v[26:27], off offset:512
	;; [unrolled: 1-line block ×3, first 2 shown]
	v_add3_u32 v25, v25, v29, v28
	global_load_dword v101, v[18:19], off
	v_lshl_add_u64 v[22:23], v[22:23], 2, s[42:43]
	v_lshl_add_u64 v[18:19], v[24:25], 2, s[42:43]
	global_load_dword v102, v[20:21], off
	global_load_dword v103, v[22:23], off
	global_load_dword v104, v[18:19], off
	s_load_dword s20, s[44:45], 0x0
	ds_read2st64_b64 v[26:29], v80 offset1:1
	ds_read2st64_b64 v[32:35], v80 offset0:2 offset1:3
	ds_read_b64 v[30:31], v75 offset:24576
	ds_read_b64 v[36:37], v77 offset:24576
	;; [unrolled: 1-line block ×4, first 2 shown]
	s_waitcnt lgkmcnt(0)
	v_mfma_f32_16x16x16_bf16 a[0:3], v[30:31], v[26:27], a[0:3]
	v_mov_b32_e32 v99, 0
	v_mov_b32_e32 v18, 0
	v_mov_b32_e32 v19, 0
	v_mfma_f32_16x16x16_bf16 a[0:3], v[36:37], v[28:29], a[0:3]
	v_mov_b32_e32 v20, 0
	v_mov_b32_e32 v21, 0
	v_mov_b32_e32 v22, 0
	;; [unrolled: 4-line block ×4, first 2 shown]
	v_mov_b32_e32 v29, 0
	v_mov_b32_e32 v30, 0
	;; [unrolled: 1-line block ×4, first 2 shown]
	v_accvgpr_read_b32 v37, a1
	v_accvgpr_read_b32 v35, a3
	;; [unrolled: 1-line block ×4, first 2 shown]
	s_and_b64 vcc, exec, s[0:1]
	s_waitcnt vmcnt(7)
	v_lshlrev_b32_e32 v38, 16, v42
	s_waitcnt vmcnt(6)
	v_lshlrev_b32_e32 v39, 16, v43
	;; [unrolled: 2-line block ×4, first 2 shown]
	v_pk_add_f32 v[36:37], v[38:39], v[36:37] neg_lo:[0,1] neg_hi:[0,1]
	s_waitcnt vmcnt(3)
	v_sub_f32_e32 v33, s20, v101
	v_exp_f32_e32 v42, v33
	s_waitcnt vmcnt(2)
	v_sub_f32_e32 v33, s20, v102
	s_waitcnt vmcnt(1)
	v_sub_f32_e32 v44, s20, v103
	;; [unrolled: 2-line block ×3, first 2 shown]
	v_exp_f32_e32 v43, v33
	v_exp_f32_e32 v100, v44
	;; [unrolled: 1-line block ×3, first 2 shown]
	v_pk_add_f32 v[34:35], v[40:41], v[34:35] neg_lo:[0,1] neg_hi:[0,1]
	v_pk_mul_f32 v[36:37], v[42:43], v[36:37]
	v_mov_b32_e32 v33, 0
	v_pk_mul_f32 v[34:35], v[100:101], v[34:35]
	s_nop 0
	v_perm_b32 v35, v35, v34, s37
	v_perm_b32 v34, v37, v36, s37
	ds_write_b64 v72, v[34:35]
	s_cbranch_vccnz .LBB542_14
; %bb.13:                               ;   in Loop: Header=BB542_6 Depth=1
	s_and_b32 s25, s25, 0xffff
	s_mov_b32 s27, s23
	buffer_load_dwordx4 v[30:33], v83, s[24:27], 0 offen
	buffer_load_dwordx4 v[22:25], v83, s[24:27], s59 offen
	;; [unrolled: 1-line block ×4, first 2 shown]
	v_mov_b32_e32 v98, v66
	v_mov_b32_e32 v99, v65
.LBB542_14:                             ;   in Loop: Header=BB542_6 Depth=1
	s_waitcnt lgkmcnt(0)
	s_barrier
	ds_read_b64 v[34:35], v87
	ds_read_b64 v[40:41], v88
	ds_read2st64_b64 v[36:39], v80 offset1:1
	ds_read2st64_b64 v[100:103], v80 offset0:2 offset1:3
	ds_read_b64 v[42:43], v89
	ds_read_b64 v[108:109], v90
	s_add_i32 s21, s53, s65
	s_mul_hi_i32 s25, s21, s13
	s_mul_i32 s21, s21, s13
	s_waitcnt lgkmcnt(3)
	v_mfma_f32_16x16x16_bf16 a[0:3], v[34:35], v[36:37], 0
	ds_read_b64 v[34:35], v92
	s_add_u32 s24, s21, s33
	s_addc_u32 s25, s25, s57
	s_add_i32 s21, s3, s60
	v_mfma_f32_16x16x16_bf16 a[0:3], v[40:41], v[38:39], a[0:3]
	ds_read_b64 v[40:41], v93
	s_lshl_b64 s[24:25], s[24:25], 15
	s_mul_hi_i32 s27, s21, s13
	s_mul_i32 s21, s21, s13
	s_add_u32 s44, s21, s33
	s_addc_u32 s45, s27, s57
	s_lshl_b64 s[44:45], s[44:45], 9
	s_add_u32 s44, s30, s44
	s_waitcnt lgkmcnt(1)
	v_mfma_f32_16x16x16_bf16 a[4:7], v[34:35], v[36:37], 0
	s_addc_u32 s45, s31, s45
	s_and_b64 vcc, exec, s[0:1]
	v_mfma_f32_16x16x16_bf16 a[0:3], v[42:43], v[100:101], a[0:3]
	ds_read_b64 v[42:43], v94
	ds_read_b64 v[110:111], v95
	global_load_dwordx4 v[34:37], v91, s[44:45]
	s_waitcnt lgkmcnt(2)
	v_mfma_f32_16x16x16_bf16 a[4:7], v[40:41], v[38:39], a[4:7]
	global_load_dwordx4 v[38:41], v86, s[44:45]
	ds_read_b64 v[104:105], v81
	ds_read_b64 v[106:107], v82
	s_waitcnt lgkmcnt(3)
	v_mfma_f32_16x16x16_bf16 a[8:11], v[42:43], v[100:101], a[4:7]
	v_lshl_add_u64 v[42:43], v[54:55], 0, s[24:25]
	s_waitcnt lgkmcnt(0)
	global_store_dwordx4 v[42:43], v[104:107], off
	v_mfma_f32_16x16x16_bf16 a[4:7], v[108:109], v[102:103], a[0:3]
	s_waitcnt vmcnt(2)
	v_mov_b32_e32 v44, v37
	v_mfma_f32_16x16x16_bf16 a[0:3], v[110:111], v[102:103], a[8:11]
	v_mov_b32_e32 v43, v36
	v_mov_b32_e32 v42, v35
	s_cbranch_vccnz .LBB542_16
; %bb.15:                               ;   in Loop: Header=BB542_6 Depth=1
	v_lshrrev_b32_e32 v35, 3, v98
	v_and_b32_e32 v35, 6, v35
	v_xor_b32_e32 v36, v35, v99
	v_lshlrev_b32_e32 v36, 2, v36
	v_and_b32_e32 v37, 8, v98
	v_xor_b32_e32 v98, 0x440, v36
	v_cmp_eq_u32_e32 vcc, 0, v37
	v_perm_b32 v37, v22, v18, s61
	s_nop 0
	v_cndmask_b32_e32 v36, v98, v36, vcc
	v_lshl_or_b32 v35, v35, 10, v36
	v_perm_b32 v36, v30, v26, s61
	s_barrier
	ds_write2st64_b32 v35, v36, v37 offset1:32
	v_xor_b32_e32 v36, 8, v35
	v_perm_b32 v26, v30, v26, s62
	v_perm_b32 v18, v22, v18, s62
	v_add_u32_e32 v22, 0x80, v36
	ds_write2st64_b32 v22, v26, v18 offset1:32
	v_xor_b32_e32 v18, 16, v35
	v_perm_b32 v22, v31, v27, s61
	v_perm_b32 v26, v23, v19, s61
	ds_write2st64_b32 v18, v22, v26 offset0:1 offset1:33
	v_xor_b32_e32 v18, 24, v35
	v_perm_b32 v22, v31, v27, s62
	v_perm_b32 v19, v23, v19, s62
	v_add_u32_e32 v18, 0x80, v18
	ds_write2st64_b32 v18, v22, v19 offset0:1 offset1:33
	v_xor_b32_e32 v18, 32, v35
	v_perm_b32 v19, v32, v28, s61
	v_perm_b32 v22, v24, v20, s61
	ds_write2st64_b32 v18, v19, v22 offset0:2 offset1:34
	v_xor_b32_e32 v18, 40, v35
	v_perm_b32 v19, v32, v28, s62
	v_perm_b32 v20, v24, v20, s62
	v_add_u32_e32 v18, 0x80, v18
	ds_write2st64_b32 v18, v19, v20 offset0:2 offset1:34
	;; [unrolled: 9-line block ×3, first 2 shown]
	ds_write_b64 v97, v[14:15] offset:16384
	v_xor_b32_e32 v14, 8, v97
	ds_write_b64 v14, v[16:17] offset:16384
	ds_write_b64 v97, v[10:11] offset:24576
	;; [unrolled: 1-line block ×4, first 2 shown]
	v_xor_b32_e32 v6, 8, v96
	ds_write_b64 v6, v[8:9] offset:16384
	ds_write_b64 v96, v[2:3] offset:24576
	;; [unrolled: 1-line block ×3, first 2 shown]
.LBB542_16:                             ;   in Loop: Header=BB542_6 Depth=1
	v_exp_f32_e32 v10, s20
	s_waitcnt vmcnt(1)
	v_exp_f32_e32 v12, v38
	v_exp_f32_e32 v13, v39
	;; [unrolled: 1-line block ×4, first 2 shown]
	v_accvgpr_read_b32 v2, a4
	v_accvgpr_read_b32 v3, a5
	v_pk_mul_f32 v[12:13], v[10:11], v[12:13] op_sel_hi:[0,1]
	v_pk_fma_f32 v[46:47], v[46:47], v[12:13], v[2:3]
	v_exp_f32_e32 v12, v34
	v_exp_f32_e32 v13, v42
	v_pk_mul_f32 v[2:3], v[10:11], v[14:15] op_sel_hi:[0,1]
	v_exp_f32_e32 v14, v43
	v_exp_f32_e32 v15, v44
	v_accvgpr_read_b32 v4, a6
	v_accvgpr_read_b32 v5, a7
	;; [unrolled: 1-line block ×5, first 2 shown]
	v_pk_fma_f32 v[52:53], v[52:53], v[2:3], v[4:5]
	v_pk_mul_f32 v[2:3], v[10:11], v[12:13] op_sel_hi:[0,1]
	v_accvgpr_read_b32 v8, a2
	v_pk_fma_f32 v[50:51], v[50:51], v[2:3], v[6:7]
	v_pk_mul_f32 v[2:3], v[10:11], v[14:15] op_sel_hi:[0,1]
	s_add_i32 s60, s60, 64
	s_cmp_eq_u32 s51, s64
	v_pk_fma_f32 v[48:49], v[48:49], v[2:3], v[8:9]
	s_cbranch_scc1 .LBB542_18
; %bb.17:                               ;   in Loop: Header=BB542_6 Depth=1
	s_mov_b32 s65, s64
	s_branch .LBB542_6
.LBB542_18:
	s_lshl_b32 s44, s51, 6
	s_sub_i32 s45, s12, s44
	s_cmp_gt_i32 s45, 0
	v_or_b32_e32 v26, s2, v61
	s_cbranch_scc1 .LBB542_20
; %bb.19:
	s_ashr_i32 s0, s33, 31
	s_add_u32 s24, s48, s33
	s_addc_u32 s25, s54, s0
	v_or_b32_e32 v2, s2, v61
	s_cbranch_execz .LBB542_21
	s_branch .LBB542_77
.LBB542_20:
                                        ; implicit-def: $sgpr24_sgpr25
                                        ; implicit-def: $vgpr2
.LBB542_21:
	s_ashr_i32 s37, s50, 31
	s_ashr_i32 s3, s44, 31
	s_cmpk_lg_i32 s15, 0x80
	s_cselect_b64 s[40:41], -1, 0
	s_and_b64 vcc, exec, s[40:41]
	s_cbranch_vccz .LBB542_23
; %bb.22:
	s_mul_hi_i32 s0, s50, s12
	s_add_u32 s1, s46, s44
	s_addc_u32 s0, s0, s3
	s_mul_i32 s20, s1, s52
	s_mul_hi_u32 s21, s1, s14
	s_add_i32 s20, s21, s20
	s_mul_i32 s0, s0, s14
	s_add_i32 s20, s20, s0
	s_mul_i32 s1, s1, s14
	s_ashr_i32 s0, s55, 31
	s_add_u32 s42, s1, s55
	s_addc_u32 s43, s20, s0
	s_cbranch_execz .LBB542_24
	s_branch .LBB542_25
.LBB542_23:
                                        ; implicit-def: $sgpr42_sgpr43
.LBB542_24:
	s_mul_hi_i32 s0, s50, s14
	s_mul_i32 s50, s50, s14
	s_ashr_i32 s1, s55, 31
	s_add_u32 s14, s50, s55
	s_addc_u32 s0, s0, s1
	s_mul_i32 s1, s14, s49
	s_mul_hi_u32 s20, s14, s12
	s_add_i32 s1, s20, s1
	s_mul_i32 s0, s0, s12
	s_add_i32 s1, s1, s0
	s_mul_i32 s14, s14, s12
	s_add_u32 s42, s14, s44
	s_addc_u32 s43, s1, s3
.LBB542_25:
	s_add_i32 s20, s53, s51
	s_ashr_i32 s14, s33, 31
	s_add_u32 s24, s48, s33
	s_addc_u32 s25, s54, s14
	s_mul_i32 s0, s24, s49
	s_mul_hi_u32 s1, s24, s12
	s_add_i32 s0, s1, s0
	s_mul_i32 s1, s25, s12
	s_add_i32 s1, s0, s1
	s_mul_i32 s0, s24, s12
	s_add_u32 s0, s0, s44
	s_addc_u32 s1, s1, s3
	s_mov_b32 s3, 0x7060302
	v_lshlrev_b32_e32 v6, 3, v61
	s_lshl_b64 s[26:27], s[0:1], 8
	v_perm_b32 v3, v53, v52, s3
	v_perm_b32 v2, v47, v46, s3
	;; [unrolled: 1-line block ×4, first 2 shown]
	v_lshlrev_b32_e32 v36, 2, v61
	v_lshl_or_b32 v6, v1, 5, v6
	s_add_u32 s0, s6, s26
	ds_write2st64_b64 v6, v[2:3], v[4:5] offset0:72 offset1:76
	v_xor_b32_e32 v6, v1, v36
	v_lshlrev_b32_e32 v7, 8, v61
	s_addc_u32 s1, s7, s27
	v_lshl_or_b32 v6, v6, 1, v7
	s_mul_hi_i32 s3, s20, s13
	s_mul_i32 s20, s20, s13
	ds_write_b64 v6, v[2:3] offset:32768
	v_xor_b32_e32 v2, v64, v36
	s_add_u32 s6, s20, s33
	v_lshl_or_b32 v2, v2, 1, v7
	s_addc_u32 s7, s3, s14
	v_lshlrev_b32_e32 v3, 1, v61
	ds_write_b64 v2, v[4:5] offset:32768
	v_lshrrev_b32_e32 v2, 4, v0
	s_ashr_i32 s3, s2, 31
	s_lshl_b64 s[6:7], s[6:7], 15
	v_or_b32_e32 v4, 1, v3
	s_waitcnt lgkmcnt(0)
	s_add_u32 s6, s38, s6
	v_xor_b32_e32 v3, v2, v3
	v_xor_b32_e32 v4, v4, v2
	v_lshlrev_b32_e32 v6, 8, v2
	s_addc_u32 s7, s39, s7
	s_lshl_b64 s[2:3], s[2:3], 8
	v_lshl_or_b32 v2, v3, 3, v6
	v_lshl_or_b32 v4, v4, 3, v6
	s_barrier
	s_add_u32 s2, s6, s2
	ds_read_b64 v[2:3], v2 offset:32768
	ds_read_b64 v[4:5], v4 offset:32768
	s_addc_u32 s3, s7, s3
	v_mov_b32_e32 v7, 0
	s_cmp_lg_u32 s45, 64
	v_lshl_add_u64 v[8:9], s[2:3], 0, v[6:7]
	v_lshlrev_b32_e32 v6, 4, v61
	s_cselect_b64 s[6:7], -1, 0
	v_lshl_or_b32 v27, v45, 3, v63
	s_mov_b32 s20, 0
	v_lshl_add_u64 v[6:7], v[8:9], 0, v[6:7]
	v_or_b32_e32 v19, 32, v27
	v_and_b32_e32 v18, 56, v62
	s_and_b64 vcc, exec, s[6:7]
	s_waitcnt lgkmcnt(0)
	global_store_dwordx4 v[6:7], v[2:5], off
	s_cbranch_vccz .LBB542_31
; %bb.26:
	s_mov_b32 s21, s20
	s_mov_b32 s22, s20
	;; [unrolled: 1-line block ×3, first 2 shown]
	v_mov_b64_e32 v[6:7], s[20:21]
	v_mov_b64_e32 v[8:9], s[22:23]
	;; [unrolled: 1-line block ×3, first 2 shown]
	v_cmp_gt_i32_e32 vcc, s45, v27
	v_mov_b64_e32 v[4:5], v[8:9]
	s_and_saveexec_b64 s[2:3], vcc
	s_cbranch_execz .LBB542_28
; %bb.27:
	v_lshlrev_b32_e32 v2, 8, v27
	v_mov_b32_e32 v3, 0
	v_lshl_add_u64 v[4:5], s[0:1], 0, v[2:3]
	v_lshlrev_b32_e32 v2, 1, v18
	v_lshl_add_u64 v[10:11], v[4:5], 0, v[2:3]
	global_load_dwordx4 v[6:9], v[10:11], off
	global_load_dwordx4 v[2:5], v[10:11], off offset:128
.LBB542_28:
	s_or_b64 exec, exec, s[2:3]
	s_mov_b32 s21, s20
	s_mov_b32 s22, s20
	;; [unrolled: 1-line block ×3, first 2 shown]
	v_mov_b64_e32 v[14:15], s[20:21]
	v_mov_b64_e32 v[16:17], s[22:23]
	;; [unrolled: 1-line block ×3, first 2 shown]
	v_cmp_gt_i32_e32 vcc, s45, v19
	v_lshlrev_b32_e32 v20, 7, v19
	v_mov_b64_e32 v[12:13], v[16:17]
	s_and_saveexec_b64 s[2:3], vcc
	s_cbranch_execz .LBB542_30
; %bb.29:
	v_lshlrev_b32_e32 v10, 1, v20
	v_mov_b32_e32 v11, 0
	v_lshl_add_u64 v[12:13], s[0:1], 0, v[10:11]
	v_lshlrev_b32_e32 v10, 1, v18
	v_lshl_add_u64 v[22:23], v[12:13], 0, v[10:11]
	global_load_dwordx4 v[14:17], v[22:23], off
	global_load_dwordx4 v[10:13], v[22:23], off offset:128
.LBB542_30:
	s_or_b64 exec, exec, s[2:3]
	v_lshrrev_b32_e32 v21, 3, v18
	v_lshlrev_b32_e32 v22, 3, v27
	v_or_b32_e32 v21, v22, v21
	v_lshlrev_b32_e32 v21, 4, v21
	v_and_b32_e32 v22, 0x78, v22
	v_xor_b32_e32 v21, v21, v22
	s_branch .LBB542_33
.LBB542_31:
                                        ; implicit-def: $vgpr21
                                        ; implicit-def: $vgpr20
                                        ; implicit-def: $vgpr6_vgpr7_vgpr8_vgpr9
                                        ; implicit-def: $vgpr2_vgpr3_vgpr4_vgpr5
                                        ; implicit-def: $vgpr14_vgpr15_vgpr16_vgpr17
                                        ; implicit-def: $vgpr10_vgpr11_vgpr12_vgpr13
	s_cbranch_execz .LBB542_33
; %bb.32:
	s_waitcnt vmcnt(0)
	v_lshlrev_b32_e32 v2, 1, v18
	v_lshl_or_b32 v20, v27, 8, v2
	s_and_b32 s1, s1, 0xffff
	s_mov_b32 s3, 0x20000
	s_movk_i32 s2, 0x4000
	v_lshl_or_b32 v21, v19, 8, v2
	s_movk_i32 s20, 0x80
	buffer_load_dwordx4 v[6:9], v20, s[0:3], 0 offen
	buffer_load_dwordx4 v[2:5], v20, s[0:3], s20 offen
	;; [unrolled: 1-line block ×4, first 2 shown]
	v_lshrrev_b32_e32 v20, 3, v18
	v_lshlrev_b32_e32 v21, 3, v27
	v_or_b32_e32 v20, v21, v20
	v_lshlrev_b32_e32 v20, 4, v20
	v_and_b32_e32 v21, 0x78, v21
	v_xor_b32_e32 v21, v20, v21
	v_lshlrev_b32_e32 v20, 7, v19
.LBB542_33:
	s_lshl_b64 s[0:1], s[42:43], 8
	s_add_u32 s4, s4, s0
	s_movk_i32 s0, 0x1000
	v_and_or_b32 v19, v20, s0, v21
	s_waitcnt vmcnt(1)
	ds_write_b64 v21, v[6:7] offset:16384
	v_xor_b32_e32 v6, 8, v21
	s_addc_u32 s5, s5, s1
	ds_write_b64 v6, v[8:9] offset:16384
	s_waitcnt vmcnt(0)
	ds_write_b64 v21, v[2:3] offset:24576
	ds_write_b64 v6, v[4:5] offset:24576
	ds_write_b64 v19, v[14:15] offset:16384
	v_xor_b32_e32 v2, 8, v19
	s_add_i32 s20, s12, -1
	ds_write_b64 v2, v[16:17] offset:16384
	ds_write_b64 v19, v[10:11] offset:24576
	;; [unrolled: 1-line block ×3, first 2 shown]
	s_mul_i32 s3, s20, s35
	s_mul_hi_u32 s12, s20, s34
	v_or_b32_e32 v2, v58, v61
	s_add_i32 s3, s12, s3
	v_lshlrev_b32_e32 v2, 3, v2
	v_lshrrev_b32_e32 v4, 5, v59
	s_movk_i32 s12, 0xf8
	v_and_or_b32 v4, v2, s12, v4
	v_lshlrev_b32_e32 v37, 11, v45
	v_lshlrev_b32_e32 v12, 4, v4
	v_and_b32_e32 v13, 0x78, v2
	v_and_b32_e32 v14, 0x1000, v37
	v_lshlrev_b32_e32 v3, 2, v0
	v_xor_b32_e32 v2, v12, v13
	v_lshrrev_b32_e32 v4, 1, v59
	v_and_b32_e32 v3, 60, v3
	v_or_b32_e32 v2, v2, v14
	v_and_b32_e32 v15, 8, v4
	v_xor_b32_e32 v28, v2, v15
	v_lshl_or_b32 v2, v60, 6, v3
	v_lshlrev_b32_e32 v38, 1, v2
	v_or_b32_e32 v2, 32, v12
	v_xor_b32_e32 v2, v2, v13
	s_waitcnt lgkmcnt(0)
	s_barrier
	ds_read_b64 v[10:11], v28 offset:16384
	v_or_b32_e32 v2, v2, v14
	v_xor_b32_e32 v29, v2, v15
	v_or_b32_e32 v2, 64, v12
	v_xor_b32_e32 v2, v2, v13
	v_or_b32_e32 v2, v2, v14
	v_or_b32_e32 v12, 0x60, v12
	v_xor_b32_e32 v30, v2, v15
	ds_read2st64_b64 v[2:5], v38 offset0:72 offset1:73
	ds_read2st64_b64 v[6:9], v38 offset0:74 offset1:75
	v_xor_b32_e32 v16, v12, v13
	ds_read_b64 v[12:13], v29 offset:16384
	s_waitcnt lgkmcnt(2)
	v_mfma_f32_16x16x16_bf16 a[0:3], v[10:11], v[2:3], 0
	s_add_i32 s0, s47, s17
	s_mul_i32 s37, s37, s16
	s_add_i32 s37, s0, s37
	s_mul_i32 s0, s33, s19
	s_mul_hi_u32 s1, s33, s18
	s_ashr_i32 s2, s20, 31
	s_add_i32 s0, s1, s0
	s_mul_i32 s1, s14, s18
	s_mul_i32 s2, s2, s34
	v_or_b32_e32 v14, v16, v14
	s_add_i32 s1, s0, s1
	s_add_i32 s3, s3, s2
	s_lshl_b64 s[16:17], s[36:37], 2
	v_xor_b32_e32 v39, v14, v15
	ds_read_b64 v[14:15], v30 offset:16384
	ds_read_b64 v[16:17], v39 offset:16384
	s_waitcnt lgkmcnt(2)
	v_mfma_f32_16x16x16_bf16 a[0:3], v[12:13], v[4:5], a[0:3]
	s_mul_i32 s0, s33, s18
	s_add_u32 s10, s10, s16
	s_addc_u32 s11, s11, s17
	s_lshl_b64 s[0:1], s[0:1], 2
	s_mul_i32 s2, s20, s34
	s_add_u32 s10, s10, s0
	s_addc_u32 s11, s11, s1
	s_lshl_b64 s[0:1], s[2:3], 2
	s_waitcnt lgkmcnt(1)
	v_mfma_f32_16x16x16_bf16 a[0:3], v[14:15], v[6:7], a[0:3]
	s_add_u32 s0, s10, s0
	s_addc_u32 s1, s11, s1
	s_load_dword s12, s[0:1], 0x0
	s_waitcnt lgkmcnt(0)
	v_mfma_f32_16x16x16_bf16 a[0:3], v[16:17], v[8:9], a[0:3]
	s_and_b64 vcc, exec, s[40:41]
	s_cbranch_vccz .LBB542_44
; %bb.34:
	v_lshlrev_b32_e32 v19, 1, v27
	s_and_b64 vcc, exec, s[6:7]
	s_cbranch_vccz .LBB542_45
; %bb.35:
	v_cmp_gt_i32_e32 vcc, s45, v19
	v_mov_b32_e32 v6, 0
	v_mov_b32_e32 v2, 0
	;; [unrolled: 1-line block ×5, first 2 shown]
	s_and_saveexec_b64 s[0:1], vcc
	s_cbranch_execz .LBB542_37
; %bb.36:
	v_mad_i64_i32 v[2:3], s[2:3], s15, v19, 0
	v_lshl_add_u64 v[2:3], v[2:3], 1, s[4:5]
	v_lshlrev_b32_e32 v4, 1, v18
	v_mov_b32_e32 v5, 0
	v_lshl_add_u64 v[2:3], v[2:3], 0, v[4:5]
	global_load_dwordx4 v[2:5], v[2:3], off
.LBB542_37:
	s_or_b64 exec, exec, s[0:1]
	v_or_b32_e32 v20, 1, v19
	v_cmp_gt_i32_e64 s[0:1], s45, v20
	v_mov_b32_e32 v7, 0
	v_mov_b32_e32 v8, 0
	;; [unrolled: 1-line block ×3, first 2 shown]
	s_and_saveexec_b64 s[2:3], s[0:1]
	s_cbranch_execz .LBB542_39
; %bb.38:
	v_mad_i64_i32 v[6:7], s[16:17], s15, v20, 0
	v_lshl_add_u64 v[6:7], v[6:7], 1, s[4:5]
	v_lshlrev_b32_e32 v8, 1, v18
	v_mov_b32_e32 v9, 0
	v_lshl_add_u64 v[6:7], v[6:7], 0, v[8:9]
	global_load_dwordx4 v[6:9], v[6:7], off
.LBB542_39:
	s_or_b64 exec, exec, s[2:3]
	v_mov_b32_e32 v17, 0
	v_mov_b32_e32 v10, 0
	;; [unrolled: 1-line block ×5, first 2 shown]
	s_and_saveexec_b64 s[2:3], vcc
	s_cbranch_execz .LBB542_41
; %bb.40:
	v_mad_i64_i32 v[10:11], s[16:17], s15, v19, 0
	v_lshl_add_u64 v[10:11], v[10:11], 1, s[4:5]
	v_lshlrev_b32_e32 v12, 1, v18
	v_mov_b32_e32 v13, 0
	v_lshl_add_u64 v[10:11], v[10:11], 0, v[12:13]
	global_load_dwordx4 v[10:13], v[10:11], off offset:128
.LBB542_41:
	s_or_b64 exec, exec, s[2:3]
	v_mov_b32_e32 v16, 0
	v_mov_b32_e32 v15, 0
	;; [unrolled: 1-line block ×3, first 2 shown]
	s_and_saveexec_b64 s[2:3], s[0:1]
	s_cbranch_execz .LBB542_43
; %bb.42:
	v_mad_i64_i32 v[14:15], s[0:1], s15, v20, 0
	v_lshl_add_u64 v[14:15], v[14:15], 1, s[4:5]
	v_lshlrev_b32_e32 v16, 1, v18
	v_mov_b32_e32 v17, 0
	v_lshl_add_u64 v[14:15], v[14:15], 0, v[16:17]
	global_load_dwordx4 v[14:17], v[14:15], off offset:128
.LBB542_43:
	s_or_b64 exec, exec, s[2:3]
	s_branch .LBB542_47
.LBB542_44:
                                        ; implicit-def: $vgpr5
                                        ; implicit-def: $vgpr9
                                        ; implicit-def: $vgpr13
                                        ; implicit-def: $vgpr17
	v_lshrrev_b32_e32 v19, 2, v59
	s_branch .LBB542_48
.LBB542_45:
                                        ; implicit-def: $vgpr5
                                        ; implicit-def: $vgpr9
                                        ; implicit-def: $vgpr13
                                        ; implicit-def: $vgpr17
	s_cbranch_execz .LBB542_47
; %bb.46:
	s_waitcnt vmcnt(0)
	v_mad_u64_u32 v[2:3], s[0:1], v19, s15, v[18:19]
	v_lshlrev_b32_e32 v19, 1, v2
	s_lshl_b32 s2, s15, 7
	s_and_b32 s1, s5, 0xffff
	s_mov_b32 s3, 0x20000
	s_mov_b32 s0, s4
	v_add_lshl_u32 v20, v2, s15, 1
	s_movk_i32 s15, 0x80
	buffer_load_dwordx4 v[2:5], v19, s[0:3], 0 offen
	buffer_load_dwordx4 v[10:13], v19, s[0:3], s15 offen
	;; [unrolled: 1-line block ×4, first 2 shown]
.LBB542_47:
	v_lshrrev_b32_e32 v19, 2, v59
	s_cbranch_execnz .LBB542_60
.LBB542_48:
	s_and_b64 vcc, exec, s[6:7]
	s_cbranch_vccz .LBB542_58
; %bb.49:
	s_waitcnt vmcnt(0)
	v_lshlrev_b32_e32 v7, 1, v27
	v_cmp_gt_i32_e32 vcc, s45, v7
	v_mov_b32_e32 v6, 0
	v_lshlrev_b32_e32 v14, 9, v27
	v_mov_b32_e32 v2, 0
	v_mov_b32_e32 v3, 0
	;; [unrolled: 1-line block ×4, first 2 shown]
	s_and_saveexec_b64 s[0:1], vcc
	s_cbranch_execz .LBB542_51
; %bb.50:
	v_mov_b32_e32 v15, 0
	v_lshl_add_u64 v[2:3], s[4:5], 0, v[14:15]
	v_lshlrev_b32_e32 v4, 1, v18
	v_mov_b32_e32 v5, v15
	v_lshl_add_u64 v[2:3], v[2:3], 0, v[4:5]
	global_load_dwordx4 v[2:5], v[2:3], off
.LBB542_51:
	s_or_b64 exec, exec, s[0:1]
	v_or_b32_e32 v7, 1, v7
	v_cmp_gt_i32_e64 s[0:1], s45, v7
	v_lshlrev_b32_e32 v20, 8, v7
	v_mov_b32_e32 v7, 0
	v_mov_b32_e32 v8, 0
	;; [unrolled: 1-line block ×3, first 2 shown]
	s_and_saveexec_b64 s[2:3], s[0:1]
	s_cbranch_execz .LBB542_53
; %bb.52:
	v_mov_b32_e32 v21, 0
	v_lshl_add_u64 v[6:7], s[4:5], 0, v[20:21]
	v_lshlrev_b32_e32 v8, 1, v18
	v_mov_b32_e32 v9, v21
	v_lshl_add_u64 v[6:7], v[6:7], 0, v[8:9]
	global_load_dwordx4 v[6:9], v[6:7], off
.LBB542_53:
	s_or_b64 exec, exec, s[2:3]
	v_mov_b32_e32 v17, 0
	v_mov_b32_e32 v10, 0
	;; [unrolled: 1-line block ×5, first 2 shown]
	s_and_saveexec_b64 s[2:3], vcc
	s_cbranch_execz .LBB542_55
; %bb.54:
	v_mov_b32_e32 v15, 0
	v_lshl_add_u64 v[10:11], s[4:5], 0, v[14:15]
	v_lshlrev_b32_e32 v14, 1, v18
	v_lshl_add_u64 v[10:11], v[10:11], 0, v[14:15]
	global_load_dwordx4 v[10:13], v[10:11], off offset:128
.LBB542_55:
	s_or_b64 exec, exec, s[2:3]
	v_mov_b32_e32 v16, 0
	v_mov_b32_e32 v15, 0
	;; [unrolled: 1-line block ×3, first 2 shown]
	s_and_saveexec_b64 s[2:3], s[0:1]
	s_cbranch_execz .LBB542_57
; %bb.56:
	v_mov_b32_e32 v21, 0
	v_lshl_add_u64 v[14:15], s[4:5], 0, v[20:21]
	v_lshlrev_b32_e32 v20, 1, v18
	v_lshl_add_u64 v[14:15], v[14:15], 0, v[20:21]
	global_load_dwordx4 v[14:17], v[14:15], off offset:128
.LBB542_57:
	s_or_b64 exec, exec, s[2:3]
	s_branch .LBB542_60
.LBB542_58:
                                        ; implicit-def: $vgpr5
                                        ; implicit-def: $vgpr9
                                        ; implicit-def: $vgpr13
                                        ; implicit-def: $vgpr17
	s_cbranch_execz .LBB542_60
; %bb.59:
	s_waitcnt vmcnt(0)
	v_lshlrev_b32_e32 v2, 1, v18
	v_lshl_or_b32 v18, v27, 9, v2
	s_and_b32 s5, s5, 0xffff
	s_mov_b32 s7, 0x20000
	s_movk_i32 s6, 0x4000
	s_movk_i32 s0, 0x80
	buffer_load_dwordx4 v[2:5], v18, s[4:7], 0 offen
	buffer_load_dwordx4 v[6:9], v18, s[4:7], 0 offen offset:256
	buffer_load_dwordx4 v[10:13], v18, s[4:7], s0 offen
	buffer_load_dwordx4 v[14:17], v18, s[4:7], s0 offen offset:256
.LBB542_60:
	v_and_b32_e32 v40, 12, v19
	ds_read2st64_b64 v[22:25], v38 offset0:76 offset1:77
	ds_read2st64_b64 v[18:21], v38 offset0:78 offset1:79
	ds_read_b64 v[32:33], v28 offset:24576
	ds_read_b64 v[34:35], v29 offset:24576
	;; [unrolled: 1-line block ×4, first 2 shown]
	v_and_b32_e32 v39, 6, v0
	v_xor_b32_e32 v27, v27, v39
	v_lshlrev_b32_e32 v27, 2, v27
	v_and_b32_e32 v41, 1, v0
	v_xor_b32_e32 v42, 0x440, v27
	v_cmp_eq_u32_e32 vcc, 0, v41
	s_mov_b32 s0, 0x1000504
	s_waitcnt vmcnt(0)
	v_perm_b32 v41, v10, v14, s0
	v_cndmask_b32_e32 v27, v42, v27, vcc
	v_lshl_or_b32 v27, v39, 10, v27
	v_perm_b32 v39, v2, v6, s0
	ds_write2st64_b32 v27, v39, v41 offset1:32
	v_xor_b32_e32 v39, 8, v27
	s_mov_b32 s1, 0x3020706
	v_perm_b32 v2, v2, v6, s1
	v_perm_b32 v6, v10, v14, s1
	v_add_u32_e32 v10, 0x80, v39
	ds_write2st64_b32 v10, v2, v6 offset1:32
	v_xor_b32_e32 v2, 16, v27
	v_perm_b32 v6, v3, v7, s0
	v_perm_b32 v10, v11, v15, s0
	ds_write2st64_b32 v2, v6, v10 offset0:1 offset1:33
	v_xor_b32_e32 v2, 24, v27
	v_perm_b32 v3, v3, v7, s1
	v_perm_b32 v6, v11, v15, s1
	v_add_u32_e32 v2, 0x80, v2
	ds_write2st64_b32 v2, v3, v6 offset0:1 offset1:33
	v_xor_b32_e32 v2, 32, v27
	v_perm_b32 v3, v4, v8, s0
	v_perm_b32 v6, v12, v16, s0
	ds_write2st64_b32 v2, v3, v6 offset0:2 offset1:34
	v_xor_b32_e32 v2, 40, v27
	v_perm_b32 v3, v4, v8, s1
	v_perm_b32 v4, v12, v16, s1
	v_add_u32_e32 v2, 0x80, v2
	ds_write2st64_b32 v2, v3, v4 offset0:2 offset1:34
	v_xor_b32_e32 v2, 48, v27
	v_perm_b32 v3, v5, v9, s0
	v_perm_b32 v4, v13, v17, s0
	ds_write2st64_b32 v2, v3, v4 offset0:3 offset1:35
	v_xor_b32_e32 v2, 56, v27
	v_or_b32_e32 v8, v40, v58
	v_perm_b32 v3, v5, v9, s1
	v_perm_b32 v4, v13, v17, s1
	v_add_u32_e32 v2, 0x80, v2
	v_cmp_gt_i32_e32 vcc, s45, v8
	v_mov_b32_e32 v9, 0
	v_mov_b32_e32 v13, 0
	ds_write2st64_b32 v2, v3, v4 offset0:3 offset1:35
	s_and_saveexec_b64 s[0:1], vcc
	s_cbranch_execz .LBB542_62
; %bb.61:
	v_add_u32_e32 v2, s44, v8
	v_ashrrev_i32_e32 v3, 31, v2
	v_mul_lo_u32 v4, v3, s34
	v_mul_lo_u32 v5, v2, s35
	v_mad_u64_u32 v[2:3], s[2:3], v2, s34, 0
	v_add3_u32 v3, v3, v5, v4
	v_lshl_add_u64 v[2:3], v[2:3], 2, s[10:11]
	global_load_dword v2, v[2:3], off
	s_waitcnt vmcnt(0)
	v_sub_f32_e32 v2, s12, v2
	v_exp_f32_e32 v13, v2
.LBB542_62:
	s_or_b64 exec, exec, s[0:1]
	v_or_b32_e32 v11, 1, v8
	v_cmp_gt_i32_e64 s[0:1], s45, v11
	s_and_saveexec_b64 s[2:3], s[0:1]
	s_cbranch_execz .LBB542_64
; %bb.63:
	v_add_u32_e32 v2, s44, v11
	v_ashrrev_i32_e32 v3, 31, v2
	v_mul_lo_u32 v4, v3, s34
	v_mul_lo_u32 v5, v2, s35
	v_mad_u64_u32 v[2:3], s[4:5], v2, s34, 0
	v_add3_u32 v3, v3, v5, v4
	v_lshl_add_u64 v[2:3], v[2:3], 2, s[10:11]
	global_load_dword v2, v[2:3], off
	s_waitcnt vmcnt(0)
	v_sub_f32_e32 v2, s12, v2
	v_exp_f32_e32 v9, v2
.LBB542_64:
	s_or_b64 exec, exec, s[2:3]
	v_or_b32_e32 v12, 2, v8
	v_cmp_gt_i32_e64 s[2:3], s45, v12
	v_mov_b32_e32 v10, 0
	v_mov_b32_e32 v15, 0
	s_and_saveexec_b64 s[4:5], s[2:3]
	s_cbranch_execz .LBB542_66
; %bb.65:
	v_add_u32_e32 v2, s44, v12
	v_ashrrev_i32_e32 v3, 31, v2
	v_mul_lo_u32 v4, v3, s34
	v_mul_lo_u32 v5, v2, s35
	v_mad_u64_u32 v[2:3], s[6:7], v2, s34, 0
	v_add3_u32 v3, v3, v5, v4
	v_lshl_add_u64 v[2:3], v[2:3], 2, s[10:11]
	global_load_dword v2, v[2:3], off
	s_waitcnt vmcnt(0)
	v_sub_f32_e32 v2, s12, v2
	v_exp_f32_e32 v15, v2
.LBB542_66:
	s_or_b64 exec, exec, s[4:5]
	v_or_b32_e32 v14, 3, v8
	v_cmp_gt_i32_e64 s[4:5], s45, v14
	s_and_saveexec_b64 s[6:7], s[4:5]
	s_cbranch_execz .LBB542_68
; %bb.67:
	v_add_u32_e32 v2, s44, v14
	v_ashrrev_i32_e32 v3, 31, v2
	v_mul_lo_u32 v4, v3, s34
	v_mul_lo_u32 v5, v2, s35
	v_mad_u64_u32 v[2:3], s[16:17], v2, s34, 0
	v_add3_u32 v3, v3, v5, v4
	v_lshl_add_u64 v[2:3], v[2:3], 2, s[10:11]
	global_load_dword v2, v[2:3], off
	s_waitcnt vmcnt(0)
	v_sub_f32_e32 v2, s12, v2
	v_exp_f32_e32 v10, v2
.LBB542_68:
	s_or_b64 exec, exec, s[6:7]
	s_waitcnt lgkmcnt(11)
	v_mfma_f32_16x16x16_bf16 a[0:3], v[32:33], v[22:23], a[0:3]
	s_add_u32 s6, s8, s26
	v_ashrrev_i32_e32 v27, 31, v26
	s_addc_u32 s7, s9, s27
	s_waitcnt lgkmcnt(10)
	v_mfma_f32_16x16x16_bf16 a[0:3], v[34:35], v[24:25], a[0:3]
	v_mov_b32_e32 v16, 0
	v_lshl_add_u64 v[6:7], v[26:27], 1, s[6:7]
	v_mov_b32_e32 v17, 0
	s_waitcnt lgkmcnt(9)
	v_mfma_f32_16x16x16_bf16 a[0:3], v[30:31], v[18:19], a[0:3]
	s_waitcnt lgkmcnt(8)
	v_mfma_f32_16x16x16_bf16 a[0:3], v[28:29], v[20:21], a[0:3]
	s_nop 6
	v_accvgpr_read_b32 v5, a3
	v_accvgpr_read_b32 v4, a2
	;; [unrolled: 1-line block ×4, first 2 shown]
	s_and_saveexec_b64 s[6:7], vcc
	s_cbranch_execz .LBB542_70
; %bb.69:
	v_lshlrev_b32_e32 v18, 8, v8
	v_mov_b32_e32 v19, 0
	v_lshl_add_u64 v[18:19], v[6:7], 0, v[18:19]
	global_load_ushort v17, v[18:19], off
	s_waitcnt vmcnt(0)
	v_lshlrev_b32_e32 v17, 16, v17
	v_sub_f32_e32 v2, v17, v2
	v_mul_f32_e32 v2, v13, v2
	v_lshrrev_b32_e32 v17, 16, v2
.LBB542_70:
	s_or_b64 exec, exec, s[6:7]
	s_and_saveexec_b64 s[6:7], s[0:1]
	s_cbranch_execz .LBB542_72
; %bb.71:
	v_lshlrev_b32_e32 v18, 8, v11
	v_mov_b32_e32 v19, 0
	v_lshl_add_u64 v[18:19], v[6:7], 0, v[18:19]
	global_load_ushort v2, v[18:19], off
	s_waitcnt vmcnt(0)
	v_lshlrev_b32_e32 v2, 16, v2
	v_sub_f32_e32 v2, v2, v3
	v_mul_f32_e32 v2, v9, v2
	v_lshrrev_b32_e32 v16, 16, v2
.LBB542_72:
	s_or_b64 exec, exec, s[6:7]
	v_mov_b32_e32 v3, 0
	v_mov_b32_e32 v9, 0
	s_and_saveexec_b64 s[0:1], s[2:3]
	s_cbranch_execz .LBB542_74
; %bb.73:
	v_lshlrev_b32_e32 v12, 8, v12
	v_mov_b32_e32 v13, 0
	v_lshl_add_u64 v[12:13], v[6:7], 0, v[12:13]
	global_load_ushort v2, v[12:13], off
	s_waitcnt vmcnt(0)
	v_lshlrev_b32_e32 v2, 16, v2
	v_sub_f32_e32 v2, v2, v4
	v_mul_f32_e32 v2, v15, v2
	v_lshrrev_b32_e32 v9, 16, v2
.LBB542_74:
	s_or_b64 exec, exec, s[0:1]
	v_or_b32_e32 v2, 0x9800, v38
	s_and_saveexec_b64 s[0:1], s[4:5]
	s_cbranch_execz .LBB542_76
; %bb.75:
	v_lshlrev_b32_e32 v12, 8, v14
	v_mov_b32_e32 v13, 0
	v_lshl_add_u64 v[6:7], v[6:7], 0, v[12:13]
	global_load_ushort v3, v[6:7], off
	s_waitcnt vmcnt(0)
	v_lshlrev_b32_e32 v3, 16, v3
	v_sub_f32_e32 v3, v3, v5
	v_mul_f32_e32 v3, v10, v3
	v_lshrrev_b32_e32 v3, 16, v3
.LBB542_76:
	s_or_b64 exec, exec, s[0:1]
	s_mov_b32 s0, 0x5040100
	v_perm_b32 v5, v3, v9, s0
	v_lshlrev_b32_e32 v3, 1, v36
	v_perm_b32 v4, v16, v17, s0
	v_lshl_or_b32 v3, v8, 5, v3
	s_movk_i32 s2, 0xff
	ds_write_b64 v3, v[4:5] offset:38912
	v_and_b32_e32 v3, 7, v0
	v_cmp_lt_u32_e32 vcc, s2, v0
	v_and_b32_e32 v4, 8, v0
	v_lshlrev_b32_e32 v9, 3, v3
	v_lshlrev_b32_e32 v22, 7, v3
	v_cndmask_b32_e64 v3, 0, 1, vcc
	v_lshrrev_b32_e32 v0, 1, v0
	v_lshlrev_b32_e32 v16, 13, v3
	v_lshlrev_b32_e32 v3, 3, v45
	v_and_b32_e32 v0, 24, v0
	v_xor_b32_e32 v5, v3, v0
	v_or_b32_e32 v6, 0x440, v5
	v_cmp_eq_u32_e32 vcc, 0, v4
	s_waitcnt lgkmcnt(0)
	s_barrier
	v_cndmask_b32_e32 v4, v6, v5, vcc
	v_or_b32_e32 v4, v4, v37
	v_xor_b32_e32 v23, v4, v9
	v_or_b32_e32 v4, 32, v0
	v_xor_b32_e32 v4, v3, v4
	v_or_b32_e32 v5, 0x440, v4
	v_cndmask_b32_e32 v4, v5, v4, vcc
	v_or_b32_e32 v4, v4, v37
	v_xor_b32_e32 v24, v4, v9
	v_or_b32_e32 v4, 64, v0
	v_xor_b32_e32 v4, v3, v4
	v_xor_b32_e32 v5, 0x440, v4
	v_cndmask_b32_e32 v4, v5, v4, vcc
	v_add3_u32 v14, v16, v23, v22
	v_or_b32_e32 v4, v4, v37
	v_or_b32_e32 v0, 0x60, v0
	v_xor_b32_e32 v25, v4, v9
	ds_read2st64_b64 v[4:7], v2 offset1:1
	ds_read2st64_b64 v[10:13], v2 offset0:2 offset1:3
	v_xor_b32_e32 v0, v3, v0
	ds_read_b64 v[2:3], v14
	v_add3_u32 v15, v16, v24, v22
	v_xor_b32_e32 v14, 0x440, v0
	v_cndmask_b32_e32 v0, v14, v0, vcc
	ds_read_b64 v[14:15], v15
	s_add_i32 s0, s20, s46
	s_mul_hi_i32 s1, s0, s13
	s_mul_i32 s0, s0, s13
	s_add_u32 s0, s0, s33
	s_waitcnt lgkmcnt(1)
	v_mfma_f32_16x16x16_bf16 a[0:3], v[2:3], v[4:5], 0
	s_addc_u32 s1, s1, s14
	s_lshl_b64 s[0:1], s[0:1], 9
	v_or_b32_e32 v0, v0, v37
	s_add_u32 s0, s30, s0
	v_add3_u32 v17, v16, v25, v22
	v_xor_b32_e32 v0, v0, v9
	s_addc_u32 s1, s31, s1
	v_lshlrev_b32_e32 v2, 2, v8
	v_add3_u32 v9, v16, v0, v22
	ds_read_b64 v[18:19], v17
	ds_read_b64 v[20:21], v9
	s_waitcnt lgkmcnt(2)
	v_mfma_f32_16x16x16_bf16 a[0:3], v[14:15], v[6:7], a[0:3]
	global_load_dwordx4 v[14:17], v2, s[0:1]
	v_add_u32_e32 v2, v23, v22
	ds_read_b64 v[2:3], v2 offset:8192
	v_lshlrev_b32_e32 v8, 6, v45
	v_lshlrev_b32_e32 v9, 2, v40
	s_movk_i32 s2, 0x100
	s_waitcnt lgkmcnt(2)
	v_mfma_f32_16x16x16_bf16 a[0:3], v[18:19], v[10:11], a[0:3]
	v_or3_b32 v27, v8, v9, s2
	v_add_u32_e32 v8, v24, v22
	v_add_u32_e32 v18, v25, v22
	;; [unrolled: 1-line block ×3, first 2 shown]
	ds_read_b64 v[8:9], v8 offset:8192
	ds_read_b64 v[18:19], v18 offset:8192
	ds_read_b64 v[22:23], v0 offset:8192
	s_waitcnt lgkmcnt(3)
	v_mfma_f32_16x16x16_bf16 a[4:7], v[2:3], v[4:5], 0
	global_load_dwordx4 v[2:5], v27, s[0:1]
	v_exp_f32_e32 v0, s12
	s_waitcnt vmcnt(1)
	v_exp_f32_e32 v14, v14
	v_mfma_f32_16x16x16_bf16 a[0:3], v[20:21], v[12:13], a[0:3]
	v_exp_f32_e32 v15, v15
	v_exp_f32_e32 v16, v16
	;; [unrolled: 1-line block ×3, first 2 shown]
	v_pk_mul_f32 v[14:15], v[0:1], v[14:15] op_sel_hi:[0,1]
	v_pk_mul_f32 v[16:17], v[0:1], v[16:17] op_sel_hi:[0,1]
	s_nop 1
	v_accvgpr_read_b32 v25, a1
	v_accvgpr_read_b32 v21, a3
	;; [unrolled: 1-line block ×4, first 2 shown]
	s_waitcnt lgkmcnt(2)
	v_mfma_f32_16x16x16_bf16 a[0:3], v[8:9], v[6:7], a[4:7]
	s_waitcnt vmcnt(0)
	v_mov_b32_e32 v6, v5
	v_mov_b32_e32 v5, v4
	;; [unrolled: 1-line block ×3, first 2 shown]
	s_waitcnt lgkmcnt(1)
	v_mfma_f32_16x16x16_bf16 a[0:3], v[18:19], v[10:11], a[0:3]
	v_exp_f32_e32 v2, v2
	v_exp_f32_e32 v3, v4
	;; [unrolled: 1-line block ×3, first 2 shown]
	s_waitcnt lgkmcnt(0)
	v_mfma_f32_16x16x16_bf16 a[0:3], v[22:23], v[12:13], a[0:3]
	v_exp_f32_e32 v5, v6
	v_pk_mul_f32 v[2:3], v[0:1], v[2:3] op_sel_hi:[0,1]
	v_pk_fma_f32 v[46:47], v[46:47], v[14:15], v[24:25]
	v_pk_fma_f32 v[52:53], v[52:53], v[16:17], v[20:21]
	s_nop 2
	v_accvgpr_read_b32 v9, a1
	v_accvgpr_read_b32 v8, a0
	v_accvgpr_read_b32 v7, a3
	v_accvgpr_read_b32 v6, a2
	v_pk_fma_f32 v[50:51], v[50:51], v[2:3], v[8:9]
	v_pk_mul_f32 v[2:3], v[0:1], v[4:5] op_sel_hi:[0,1]
	v_pk_fma_f32 v[48:49], v[48:49], v[2:3], v[6:7]
	v_mov_b32_e32 v2, v26
.LBB542_77:
	s_lshl_b64 s[0:1], s[24:25], 15
	s_waitcnt lgkmcnt(0)
	s_add_u32 s0, s28, s0
	v_lshlrev_b32_e32 v2, 7, v2
	s_addc_u32 s1, s29, s1
	v_ashrrev_i32_e32 v3, 31, v2
	v_lshl_add_u64 v[2:3], v[2:3], 1, s[0:1]
	v_lshlrev_b32_e32 v0, 1, v1
	v_mov_b32_e32 v1, 0
	s_mov_b32 s0, 0x7060302
	v_lshl_add_u64 v[0:1], v[2:3], 0, v[0:1]
	v_perm_b32 v3, v53, v52, s0
	v_perm_b32 v2, v47, v46, s0
	global_store_dwordx2 v[0:1], v[2:3], off
	v_perm_b32 v3, v49, v48, s0
	v_perm_b32 v2, v51, v50, s0
	global_store_dwordx2 v[0:1], v[2:3], off offset:128
	s_endpgm
	.section	.rodata,"a",@progbits
	.p2align	6, 0x0
	.amdhsa_kernel _ZN12_GLOBAL__N_139chunk_gated_delta_rule_fwd_h_hip_kernelILi16ELb0ELb1ELb0ELb0ELb1ELb1ELb0ELb1EEEvPK12hip_bfloat16S3_S3_PKfS5_PKvPS1_S8_PvPKiSB_iiiiilll
		.amdhsa_group_segment_fixed_size 40960
		.amdhsa_private_segment_fixed_size 0
		.amdhsa_kernarg_size 136
		.amdhsa_user_sgpr_count 2
		.amdhsa_user_sgpr_dispatch_ptr 0
		.amdhsa_user_sgpr_queue_ptr 0
		.amdhsa_user_sgpr_kernarg_segment_ptr 1
		.amdhsa_user_sgpr_dispatch_id 0
		.amdhsa_user_sgpr_kernarg_preload_length 0
		.amdhsa_user_sgpr_kernarg_preload_offset 0
		.amdhsa_user_sgpr_private_segment_size 0
		.amdhsa_uses_dynamic_stack 0
		.amdhsa_enable_private_segment 0
		.amdhsa_system_sgpr_workgroup_id_x 1
		.amdhsa_system_sgpr_workgroup_id_y 1
		.amdhsa_system_sgpr_workgroup_id_z 0
		.amdhsa_system_sgpr_workgroup_info 0
		.amdhsa_system_vgpr_workitem_id 0
		.amdhsa_next_free_vgpr 124
		.amdhsa_next_free_sgpr 66
		.amdhsa_accum_offset 112
		.amdhsa_reserve_vcc 1
		.amdhsa_float_round_mode_32 0
		.amdhsa_float_round_mode_16_64 0
		.amdhsa_float_denorm_mode_32 3
		.amdhsa_float_denorm_mode_16_64 3
		.amdhsa_dx10_clamp 1
		.amdhsa_ieee_mode 1
		.amdhsa_fp16_overflow 0
		.amdhsa_tg_split 0
		.amdhsa_exception_fp_ieee_invalid_op 0
		.amdhsa_exception_fp_denorm_src 0
		.amdhsa_exception_fp_ieee_div_zero 0
		.amdhsa_exception_fp_ieee_overflow 0
		.amdhsa_exception_fp_ieee_underflow 0
		.amdhsa_exception_fp_ieee_inexact 0
		.amdhsa_exception_int_div_zero 0
	.end_amdhsa_kernel
	.section	.text._ZN12_GLOBAL__N_139chunk_gated_delta_rule_fwd_h_hip_kernelILi16ELb0ELb1ELb0ELb0ELb1ELb1ELb0ELb1EEEvPK12hip_bfloat16S3_S3_PKfS5_PKvPS1_S8_PvPKiSB_iiiiilll,"axG",@progbits,_ZN12_GLOBAL__N_139chunk_gated_delta_rule_fwd_h_hip_kernelILi16ELb0ELb1ELb0ELb0ELb1ELb1ELb0ELb1EEEvPK12hip_bfloat16S3_S3_PKfS5_PKvPS1_S8_PvPKiSB_iiiiilll,comdat
.Lfunc_end542:
	.size	_ZN12_GLOBAL__N_139chunk_gated_delta_rule_fwd_h_hip_kernelILi16ELb0ELb1ELb0ELb0ELb1ELb1ELb0ELb1EEEvPK12hip_bfloat16S3_S3_PKfS5_PKvPS1_S8_PvPKiSB_iiiiilll, .Lfunc_end542-_ZN12_GLOBAL__N_139chunk_gated_delta_rule_fwd_h_hip_kernelILi16ELb0ELb1ELb0ELb0ELb1ELb1ELb0ELb1EEEvPK12hip_bfloat16S3_S3_PKfS5_PKvPS1_S8_PvPKiSB_iiiiilll
                                        ; -- End function
	.section	.AMDGPU.csdata,"",@progbits
; Kernel info:
; codeLenInByte = 8108
; NumSgprs: 72
; NumVgprs: 112
; NumAgprs: 12
; TotalNumVgprs: 124
; ScratchSize: 0
; MemoryBound: 0
; FloatMode: 240
; IeeeMode: 1
; LDSByteSize: 40960 bytes/workgroup (compile time only)
; SGPRBlocks: 8
; VGPRBlocks: 15
; NumSGPRsForWavesPerEU: 72
; NumVGPRsForWavesPerEU: 124
; AccumOffset: 112
; Occupancy: 1
; WaveLimiterHint : 1
; COMPUTE_PGM_RSRC2:SCRATCH_EN: 0
; COMPUTE_PGM_RSRC2:USER_SGPR: 2
; COMPUTE_PGM_RSRC2:TRAP_HANDLER: 0
; COMPUTE_PGM_RSRC2:TGID_X_EN: 1
; COMPUTE_PGM_RSRC2:TGID_Y_EN: 1
; COMPUTE_PGM_RSRC2:TGID_Z_EN: 0
; COMPUTE_PGM_RSRC2:TIDIG_COMP_CNT: 0
; COMPUTE_PGM_RSRC3_GFX90A:ACCUM_OFFSET: 27
; COMPUTE_PGM_RSRC3_GFX90A:TG_SPLIT: 0
	.section	.text._ZN12_GLOBAL__N_139chunk_gated_delta_rule_fwd_h_hip_kernelILi16ELb0ELb0ELb1ELb0ELb1ELb1ELb0ELb1EEEvPK12hip_bfloat16S3_S3_PKfS5_PKvPS1_S8_PvPKiSB_iiiiilll,"axG",@progbits,_ZN12_GLOBAL__N_139chunk_gated_delta_rule_fwd_h_hip_kernelILi16ELb0ELb0ELb1ELb0ELb1ELb1ELb0ELb1EEEvPK12hip_bfloat16S3_S3_PKfS5_PKvPS1_S8_PvPKiSB_iiiiilll,comdat
	.globl	_ZN12_GLOBAL__N_139chunk_gated_delta_rule_fwd_h_hip_kernelILi16ELb0ELb0ELb1ELb0ELb1ELb1ELb0ELb1EEEvPK12hip_bfloat16S3_S3_PKfS5_PKvPS1_S8_PvPKiSB_iiiiilll ; -- Begin function _ZN12_GLOBAL__N_139chunk_gated_delta_rule_fwd_h_hip_kernelILi16ELb0ELb0ELb1ELb0ELb1ELb1ELb0ELb1EEEvPK12hip_bfloat16S3_S3_PKfS5_PKvPS1_S8_PvPKiSB_iiiiilll
	.p2align	8
	.type	_ZN12_GLOBAL__N_139chunk_gated_delta_rule_fwd_h_hip_kernelILi16ELb0ELb0ELb1ELb0ELb1ELb1ELb0ELb1EEEvPK12hip_bfloat16S3_S3_PKfS5_PKvPS1_S8_PvPKiSB_iiiiilll,@function
_ZN12_GLOBAL__N_139chunk_gated_delta_rule_fwd_h_hip_kernelILi16ELb0ELb0ELb1ELb0ELb1ELb1ELb0ELb1EEEvPK12hip_bfloat16S3_S3_PKfS5_PKvPS1_S8_PvPKiSB_iiiiilll: ; @_ZN12_GLOBAL__N_139chunk_gated_delta_rule_fwd_h_hip_kernelILi16ELb0ELb0ELb1ELb0ELb1ELb1ELb0ELb1EEEvPK12hip_bfloat16S3_S3_PKfS5_PKvPS1_S8_PvPKiSB_iiiiilll
; %bb.0:
	s_load_dwordx4 s[16:19], s[0:1], 0x5c
	s_load_dwordx4 s[12:15], s[0:1], 0x30
	s_abs_i32 s22, s3
	s_ashr_i32 s21, s3, 31
	s_load_dwordx8 s[4:11], s[0:1], 0x0
	s_waitcnt lgkmcnt(0)
	s_abs_i32 s20, s17
	v_cvt_f32_u32_e32 v1, s20
	s_sub_i32 s24, 0, s20
	s_ashr_i32 s23, s17, 31
	s_xor_b32 s21, s21, s23
	v_rcp_iflag_f32_e32 v1, v1
	v_lshrrev_b32_e32 v61, 6, v0
	v_bfe_u32 v62, v0, 4, 2
	v_lshlrev_b32_e32 v45, 4, v61
	v_mul_f32_e32 v1, 0x4f7ffffe, v1
	v_cvt_u32_f32_e32 v1, v1
	v_lshlrev_b32_e32 v2, 2, v62
	v_and_b32_e32 v60, 63, v0
	v_or_b32_e32 v65, v2, v45
	v_readfirstlane_b32 s25, v1
	s_mul_i32 s24, s24, s25
	s_mul_hi_u32 s24, s25, s24
	s_add_i32 s25, s25, s24
	s_mul_hi_u32 s24, s22, s25
	s_mul_i32 s25, s24, s20
	s_sub_i32 s22, s22, s25
	s_add_i32 s26, s24, 1
	s_sub_i32 s25, s22, s20
	s_cmp_ge_u32 s22, s20
	s_cselect_b32 s24, s26, s24
	s_cselect_b32 s22, s25, s22
	s_add_i32 s25, s24, 1
	s_cmp_ge_u32 s22, s20
	s_cselect_b32 s22, s25, s24
	s_abs_i32 s24, s18
	v_cvt_f32_u32_e32 v1, s24
	s_xor_b32 s22, s22, s21
	s_ashr_i32 s48, s16, 31
	s_sub_i32 s50, s22, s21
	v_rcp_iflag_f32_e32 v1, v1
	s_lshr_b32 s21, s48, 26
	s_add_i32 s21, s16, s21
	s_ashr_i32 s51, s18, 31
	v_mul_f32_e32 v1, 0x4f7ffffe, v1
	v_cvt_u32_f32_e32 v1, v1
	s_ashr_i32 s49, s21, 6
	s_xor_b32 s21, s23, s51
	s_sub_i32 s22, 0, s24
	v_readfirstlane_b32 s23, v1
	s_mul_i32 s22, s22, s23
	s_mul_hi_u32 s22, s23, s22
	s_add_i32 s23, s23, s22
	s_mul_hi_u32 s22, s20, s23
	s_mul_i32 s23, s22, s24
	s_mul_i32 s47, s50, s17
	s_sub_i32 s20, s20, s23
	s_sub_i32 s33, s3, s47
	s_add_i32 s3, s16, 63
	s_add_i32 s23, s22, 1
	s_sub_i32 s25, s20, s24
	s_cmp_ge_u32 s20, s24
	s_cselect_b32 s22, s23, s22
	s_cselect_b32 s20, s25, s20
	s_add_i32 s23, s22, 1
	s_cmp_ge_u32 s20, s24
	s_cselect_b32 s20, s23, s22
	s_xor_b32 s20, s20, s21
	s_sub_i32 s24, s20, s21
	s_abs_i32 s25, s24
	v_cvt_f32_u32_e32 v1, s25
	s_sub_i32 s27, 0, s25
	s_abs_i32 s26, s33
	s_xor_b32 s24, s33, s24
	v_rcp_iflag_f32_e32 v1, v1
	s_ashr_i32 s24, s24, 31
	s_load_dwordx2 s[34:35], s[0:1], 0x80
	s_load_dwordx4 s[20:23], s[0:1], 0x70
	v_mov_b32_e32 v49, 0
	v_mul_f32_e32 v1, 0x4f7ffffe, v1
	v_cvt_u32_f32_e32 v1, v1
	v_or_b32_e32 v66, 64, v65
	s_mul_hi_i32 s53, s50, s17
	v_lshrrev_b32_e32 v64, 3, v60
	v_readfirstlane_b32 s28, v1
	s_mul_i32 s27, s27, s28
	s_mul_hi_u32 s27, s28, s27
	s_add_i32 s28, s28, s27
	s_mul_hi_u32 s27, s26, s28
	s_mul_i32 s28, s27, s25
	s_sub_i32 s26, s26, s28
	s_add_i32 s28, s27, 1
	s_sub_i32 s29, s26, s25
	s_cmp_ge_u32 s26, s25
	s_cselect_b32 s27, s28, s27
	s_cselect_b32 s26, s29, s26
	s_add_i32 s28, s27, 1
	s_cmp_ge_u32 s26, s25
	s_cselect_b32 s25, s28, s27
	s_xor_b32 s25, s25, s24
	s_sub_i32 s54, s25, s24
	s_ashr_i32 s24, s3, 31
	s_lshr_b32 s24, s24, 26
	s_add_i32 s3, s3, s24
	s_ashr_i32 s3, s3, 6
	s_lshl_b32 s36, s2, 4
	s_mul_i32 s52, s50, s3
	v_and_b32_e32 v1, 15, v0
	s_cmp_lt_i32 s16, 64
	v_lshlrev_b32_e32 v63, 3, v0
	s_waitcnt lgkmcnt(0)
	s_mul_i32 s21, s50, s21
	s_mul_hi_u32 s46, s50, s20
	s_mul_i32 s38, s50, s20
	v_mov_b32_e32 v48, v49
	v_mov_b32_e32 v51, v49
	;; [unrolled: 1-line block ×7, first 2 shown]
	s_cbranch_scc1 .LBB543_18
; %bb.1:
	s_ashr_i32 s28, s50, 31
	s_ashr_i32 s56, s33, 31
	s_add_u32 s2, s47, s33
	s_addc_u32 s3, s53, s56
	s_mul_i32 s3, s16, s3
	s_mul_hi_u32 s24, s16, s2
	s_add_i32 s41, s24, s3
	s_mul_i32 s40, s16, s2
	s_lshl_b64 s[2:3], s[40:41], 8
	v_and_b32_e32 v68, 56, v63
	s_add_u32 s24, s6, s2
	v_lshl_or_b32 v67, v61, 3, v64
	v_lshlrev_b32_e32 v3, 1, v68
	s_addc_u32 s2, s7, s3
	v_lshl_or_b32 v69, v67, 8, v3
	s_and_b32 s25, s2, 0xffff
	s_mov_b32 s27, 0x20000
	s_movk_i32 s26, 0x4000
	s_movk_i32 s2, 0x80
	v_or_b32_e32 v70, 0x2000, v69
	buffer_load_dwordx4 v[4:7], v69, s[24:27], 0 offen
	buffer_load_dwordx4 v[8:11], v69, s[24:27], s2 offen
	;; [unrolled: 1-line block ×4, first 2 shown]
	v_lshlrev_b32_e32 v20, 3, v67
	v_and_or_b32 v22, v0, 7, v20
	v_and_b32_e32 v20, 0x78, v20
	v_lshlrev_b32_e32 v22, 4, v22
	v_xor_b32_e32 v71, v22, v20
	v_mul_lo_u32 v21, v67, s19
	v_or_b32_e32 v72, 0x1000, v71
	s_cmpk_eq_i32 s19, 0x80
	s_mov_b32 s55, s18
	v_xor_b32_e32 v20, 8, v71
	v_xor_b32_e32 v22, 8, v72
	s_cselect_b64 s[2:3], -1, 0
	s_cmpk_lg_i32 s19, 0x80
	s_waitcnt vmcnt(3)
	ds_write_b64 v71, v[4:5] offset:16384
	ds_write_b64 v20, v[6:7] offset:16384
	s_waitcnt vmcnt(2)
	ds_write_b64 v71, v[8:9] offset:24576
	ds_write_b64 v20, v[10:11] offset:24576
	;; [unrolled: 3-line block ×4, first 2 shown]
	v_lshl_add_u32 v4, v21, 1, v68
	s_cbranch_scc0 .LBB543_3
; %bb.2:
	v_lshlrev_b32_e32 v6, 1, v4
	v_add_lshl_u32 v5, v4, s19, 1
	s_lshl_b32 s26, s19, 7
	s_load_dwordx2 s[42:43], s[0:1], 0x20
	v_lshl_or_b32 v3, v67, 9, v3
	s_cbranch_execz .LBB543_4
	s_branch .LBB543_5
.LBB543_3:
                                        ; implicit-def: $vgpr5
                                        ; implicit-def: $vgpr6
                                        ; implicit-def: $sgpr26
	s_load_dwordx2 s[42:43], s[0:1], 0x20
	v_lshl_or_b32 v3, v67, 9, v3
.LBB543_4:
	v_or_b32_e32 v5, 0x100, v3
	s_movk_i32 s26, 0x4000
	v_mov_b32_e32 v6, v3
.LBB543_5:
	s_mul_hi_u32 s0, s18, s16
	s_mul_i32 s1, s51, s16
	s_add_i32 s0, s0, s1
	s_mul_i32 s1, s18, s16
	s_mul_i32 s24, s1, s28
	s_mul_hi_u32 s25, s1, s50
	s_add_i32 s24, s25, s24
	s_mul_i32 s0, s0, s50
	s_add_i32 s24, s24, s0
	s_mul_i32 s1, s1, s50
	s_ashr_i32 s57, s54, 31
	s_add_u32 s0, s1, s54
	s_addc_u32 s1, s24, s57
	s_lshl_b64 s[0:1], s[0:1], 8
	s_add_u32 s24, s4, s0
	s_addc_u32 s0, s5, s1
	s_and_b32 s25, s0, 0xffff
	s_movk_i32 s58, 0x80
	buffer_load_dwordx4 v[8:11], v6, s[24:27], 0 offen
	buffer_load_dwordx4 v[12:15], v6, s[24:27], s58 offen
	buffer_load_dwordx4 v[16:19], v5, s[24:27], 0 offen
	buffer_load_dwordx4 v[20:23], v5, s[24:27], s58 offen
	v_and_b32_e32 v5, 6, v0
	s_mul_i32 s0, s28, s16
	s_mul_hi_u32 s1, s50, s16
	v_lshlrev_b32_e32 v7, 2, v1
	v_lshlrev_b32_e32 v24, 3, v1
	v_xor_b32_e32 v26, v67, v5
	v_and_b32_e32 v6, 1, v0
	s_mul_i32 s28, s28, s20
	v_lshl_or_b32 v24, v65, 5, v24
	v_xor_b32_e32 v27, v65, v7
	v_lshlrev_b32_e32 v26, 2, v26
	s_add_i32 s63, s1, s0
	s_add_i32 s0, s46, s21
	v_or_b32_e32 v73, 0x9000, v24
	v_or_b32_e32 v74, 0x9800, v24
	v_lshlrev_b32_e32 v24, 1, v27
	v_xor_b32_e32 v27, 0x440, v26
	v_cmp_eq_u32_e32 vcc, 0, v6
	s_add_i32 s39, s0, s28
	s_mul_i32 s0, s33, s23
	s_mul_hi_u32 s1, s33, s22
	v_cndmask_b32_e32 v6, v27, v26, vcc
	s_add_i32 s0, s1, s0
	s_mul_i32 s1, s56, s22
	s_mov_b32 s61, 0x1000504
	v_lshlrev_b32_e32 v25, 8, v1
	s_mov_b32 s26, 0x8000
	v_xor_b32_e32 v7, v66, v7
	v_lshl_or_b32 v5, v5, 10, v6
	s_add_i32 s1, s0, s1
	s_lshl_b64 s[24:25], s[38:39], 2
	s_mov_b32 s62, 0x3020706
	v_lshlrev_b32_e32 v7, 1, v7
	v_or3_b32 v75, v24, v25, s26
	v_xor_b32_e32 v6, 8, v5
	v_xor_b32_e32 v24, 24, v5
	;; [unrolled: 1-line block ×4, first 2 shown]
	s_mul_i32 s0, s33, s22
	s_add_u32 s24, s10, s24
	v_or3_b32 v76, v7, v25, s26
	v_xor_b32_e32 v7, 16, v5
	v_xor_b32_e32 v25, 32, v5
	;; [unrolled: 1-line block ×3, first 2 shown]
	v_add_u32_e32 v6, 0x80, v6
	v_add_u32_e32 v24, 0x80, v24
	;; [unrolled: 1-line block ×4, first 2 shown]
	s_addc_u32 s25, s11, s25
	s_lshl_b64 s[0:1], s[0:1], 2
	s_add_u32 s44, s24, s0
	s_movk_i32 s0, 0xf8
	s_addc_u32 s45, s25, s1
	s_ashr_i32 s37, s36, 31
	s_lshl_b32 s30, s19, 7
	v_mov_b32_e32 v47, 0
	s_mul_i32 s59, s50, s16
	s_mov_b32 s60, 0
	v_add_u32_e32 v87, v45, v2
	s_mov_b32 s39, 0x7060302
	s_mov_b32 s65, 0
	v_mov_b32_e32 v52, v47
	v_mov_b32_e32 v53, v47
	;; [unrolled: 1-line block ×6, first 2 shown]
	s_waitcnt vmcnt(1)
	v_perm_b32 v29, v8, v16, s61
	s_waitcnt vmcnt(0)
	v_perm_b32 v30, v12, v20, s61
	v_perm_b32 v8, v8, v16, s62
	;; [unrolled: 1-line block ×15, first 2 shown]
	ds_write2st64_b32 v5, v29, v30 offset1:32
	ds_write2st64_b32 v6, v8, v12 offset1:32
	ds_write2st64_b32 v7, v16, v20 offset0:1 offset1:33
	ds_write2st64_b32 v24, v9, v13 offset0:1 offset1:33
	;; [unrolled: 1-line block ×6, first 2 shown]
	v_or_b32_e32 v5, v45, v1
	v_lshlrev_b32_e32 v5, 3, v5
	v_lshrrev_b32_e32 v7, 5, v60
	v_and_or_b32 v7, v5, s0, v7
	v_lshlrev_b32_e32 v7, 4, v7
	v_lshrrev_b32_e32 v6, 2, v60
	v_lshlrev_b32_e32 v11, 11, v61
	v_and_b32_e32 v5, 0x78, v5
	v_or_b32_e32 v12, 32, v7
	v_and_b32_e32 v10, 12, v6
	v_and_b32_e32 v6, 0x1000, v11
	v_lshrrev_b32_e32 v9, 1, v60
	v_xor_b32_e32 v12, v12, v5
	v_and_b32_e32 v9, 8, v9
	v_or_b32_e32 v12, v12, v6
	v_xor_b32_e32 v8, v7, v5
	v_xor_b32_e32 v79, v12, v9
	v_or_b32_e32 v12, 64, v7
	v_or_b32_e32 v7, 0x60, v7
	v_xor_b32_e32 v12, v12, v5
	v_xor_b32_e32 v5, v7, v5
	v_or_b32_e32 v5, v5, v6
	v_or_b32_e32 v12, v12, v6
	v_xor_b32_e32 v81, v5, v9
	v_lshlrev_b32_e32 v5, 1, v1
	v_xor_b32_e32 v80, v12, v9
	v_lshlrev_b32_e32 v12, 1, v4
	v_add_lshl_u32 v13, v4, s19, 1
	v_lshrrev_b32_e32 v4, 4, v0
	s_lshl_b64 s[0:1], s[36:37], 8
	v_or_b32_e32 v15, 1, v5
	s_add_u32 s0, s12, s0
	v_xor_b32_e32 v5, v4, v5
	v_xor_b32_e32 v15, v15, v4
	s_addc_u32 s1, s13, s1
	v_lshlrev_b32_e32 v5, 3, v5
	v_lshlrev_b32_e32 v46, 8, v4
	;; [unrolled: 1-line block ×3, first 2 shown]
	v_lshrrev_b32_e32 v19, 1, v0
	v_or3_b32 v83, v5, v46, s26
	v_or3_b32 v84, v4, v46, s26
	v_lshl_add_u64 v[4:5], s[0:1], 0, v[46:47]
	v_lshlrev_b32_e32 v46, 4, v1
	s_movk_i32 s0, 0xff
	v_lshlrev_b32_e32 v18, 3, v61
	v_and_b32_e32 v19, 24, v19
	v_lshl_add_u64 v[54:55], v[4:5], 0, v[46:47]
	v_and_b32_e32 v5, 8, v0
	v_cmp_lt_u32_e32 vcc, s0, v0
	v_xor_b32_e32 v20, v18, v19
	v_or_b32_e32 v21, 0x440, v20
	v_cndmask_b32_e64 v17, 0, 1, vcc
	v_cmp_eq_u32_e32 vcc, 0, v5
	v_or_b32_e32 v23, 64, v19
	v_xor_b32_e32 v23, v18, v23
	v_cndmask_b32_e32 v5, v21, v20, vcc
	v_or_b32_e32 v21, 32, v19
	v_or_b32_e32 v19, 0x60, v19
	v_xor_b32_e32 v21, v18, v21
	v_xor_b32_e32 v18, v18, v19
	v_or_b32_e32 v22, 0x440, v21
	v_xor_b32_e32 v24, 0x440, v23
	v_xor_b32_e32 v19, 0x440, v18
	v_or_b32_e32 v8, v8, v6
	v_or_b32_e32 v6, s36, v1
	v_and_b32_e32 v4, 7, v0
	v_cndmask_b32_e32 v21, v22, v21, vcc
	v_cndmask_b32_e32 v23, v24, v23, vcc
	;; [unrolled: 1-line block ×3, first 2 shown]
	v_xor_b32_e32 v77, v8, v9
	v_and_b32_e32 v8, 0x78, v63
	v_ashrrev_i32_e32 v7, 31, v6
	v_lshlrev_b32_e32 v15, 3, v4
	v_or_b32_e32 v5, v5, v11
	v_or_b32_e32 v21, v21, v11
	;; [unrolled: 1-line block ×4, first 2 shown]
	v_lshl_or_b32 v8, v62, 7, v8
	v_lshlrev_b64 v[6:7], 1, v[6:7]
	v_lshlrev_b32_e32 v17, 13, v17
	v_xor_b32_e32 v5, v5, v15
	v_xor_b32_e32 v21, v21, v15
	;; [unrolled: 1-line block ×4, first 2 shown]
	v_or_b32_e32 v78, 0x9000, v8
	v_or_b32_e32 v82, 0x9800, v8
	v_lshl_add_u64 v[8:9], s[8:9], 0, v[6:7]
	v_lshl_add_u64 v[6:7], s[14:15], 0, v[6:7]
	v_or_b32_e32 v14, 0x100, v3
	v_lshlrev_b32_e32 v16, 7, v4
	v_or_b32_e32 v4, v10, v45
	v_add_u32_e32 v20, v17, v5
	v_add_u32_e32 v22, v17, v21
	;; [unrolled: 1-line block ×4, first 2 shown]
	v_or3_b32 v10, v45, v10, 64
	v_add_u32_e32 v5, 0x2000, v5
	v_add_u32_e32 v17, 0x2000, v21
	;; [unrolled: 1-line block ×4, first 2 shown]
	v_lshlrev_b32_e32 v46, 8, v65
	v_cndmask_b32_e64 v85, v12, v3, s[2:3]
	v_cndmask_b32_e64 v86, v13, v14, s[2:3]
	v_lshl_add_u64 v[56:57], v[8:9], 0, v[46:47]
	v_lshl_add_u64 v[58:59], v[6:7], 0, v[46:47]
	s_add_i32 s37, s59, 63
	s_movk_i32 s26, 0x4000
	v_lshlrev_b32_e32 v88, 2, v4
	v_add_u32_e32 v89, v20, v16
	v_add_u32_e32 v90, v22, v16
	;; [unrolled: 1-line block ×4, first 2 shown]
	v_lshlrev_b32_e32 v93, 2, v10
	v_add_u32_e32 v94, v5, v16
	v_add_u32_e32 v95, v17, v16
	;; [unrolled: 1-line block ×4, first 2 shown]
	v_mov_b32_e32 v46, v47
	s_waitcnt lgkmcnt(0)
	s_barrier
.LBB543_6:                              ; =>This Inner Loop Header: Depth=1
	s_add_i32 s64, s65, 1
	s_cmp_lt_i32 s64, s49
	s_mov_b64 s[28:29], 0
	s_cselect_b64 s[2:3], -1, 0
	s_cmp_ge_i32 s64, s49
	s_mov_b64 s[24:25], 0
	s_cbranch_scc1 .LBB543_8
; %bb.7:                                ;   in Loop: Header=BB543_6 Depth=1
	s_add_i32 s0, s60, 64
	s_add_u32 s0, s40, s0
	s_addc_u32 s1, s41, 0
	s_lshl_b64 s[0:1], s[0:1], 8
	s_add_u32 s24, s6, s0
	s_addc_u32 s25, s7, s1
.LBB543_8:                              ;   in Loop: Header=BB543_6 Depth=1
	v_cndmask_b32_e64 v2, 0, 1, s[2:3]
	v_cmp_ne_u32_e64 s[0:1], 1, v2
	s_andn2_b64 vcc, exec, s[2:3]
	s_cbranch_vccnz .LBB543_10
; %bb.9:                                ;   in Loop: Header=BB543_6 Depth=1
	s_add_i32 s2, s60, 64
	s_add_u32 s2, s59, s2
	s_addc_u32 s3, s63, 0
	s_mul_i32 s28, s2, s51
	s_mul_hi_u32 s29, s2, s55
	s_add_i32 s28, s29, s28
	s_mul_i32 s3, s3, s55
	s_add_i32 s28, s28, s3
	s_mul_i32 s2, s2, s55
	s_add_u32 s2, s2, s54
	s_addc_u32 s3, s28, s57
	s_lshl_b64 s[2:3], s[2:3], 8
	s_add_u32 s28, s4, s2
	s_addc_u32 s29, s5, s3
.LBB543_10:                             ;   in Loop: Header=BB543_6 Depth=1
	v_perm_b32 v3, v53, v52, s39
	v_perm_b32 v2, v47, v46, s39
	;; [unrolled: 1-line block ×4, first 2 shown]
	ds_write_b64 v73, v[2:3]
	ds_write_b64 v74, v[4:5]
	;; [unrolled: 1-line block ×4, first 2 shown]
	s_waitcnt lgkmcnt(0)
	s_barrier
	ds_read_b64 v[10:11], v77 offset:16384
	ds_read_b64 v[12:13], v79 offset:16384
	ds_read2st64_b64 v[2:5], v78 offset1:1
	ds_read2st64_b64 v[6:9], v78 offset0:2 offset1:3
	ds_read_b64 v[14:15], v80 offset:16384
	s_waitcnt lgkmcnt(2)
	v_mfma_f32_16x16x16_bf16 a[0:3], v[10:11], v[2:3], 0
	ds_read_b64 v[2:3], v81 offset:16384
	s_add_i32 s2, s60, 63
	s_mul_i32 s3, s2, s35
	v_mfma_f32_16x16x16_bf16 a[0:3], v[12:13], v[4:5], a[0:3]
	s_mul_hi_u32 s31, s2, s34
	s_add_i32 s3, s31, s3
	s_mul_i32 s2, s2, s34
	s_waitcnt lgkmcnt(1)
	v_mfma_f32_16x16x16_bf16 a[0:3], v[14:15], v[6:7], a[0:3]
	s_lshl_b64 s[2:3], s[2:3], 2
	s_add_u32 s2, s44, s2
	s_addc_u32 s3, s45, s3
	s_waitcnt lgkmcnt(0)
	v_mfma_f32_16x16x16_bf16 a[0:3], v[2:3], v[8:9], a[0:3]
	s_and_b64 vcc, exec, s[0:1]
	v_mov_b32_e32 v100, 0
	v_mov_b32_e32 v99, 0
	v_mov_b32_e32 v98, 0
	v_mov_b32_e32 v2, 0
	v_mov_b32_e32 v3, 0
	v_mov_b32_e32 v4, 0
	v_mov_b32_e32 v5, 0
	v_mov_b32_e32 v6, 0
	v_mov_b32_e32 v7, 0
	v_mov_b32_e32 v8, 0
	v_mov_b32_e32 v9, 0
	v_mov_b32_e32 v10, 0
	v_mov_b32_e32 v11, 0
	v_mov_b32_e32 v12, 0
	v_mov_b32_e32 v13, 0
	v_mov_b32_e32 v14, 0
	v_mov_b32_e32 v15, 0
	v_mov_b32_e32 v16, 0
	v_mov_b32_e32 v17, 0
	s_cbranch_vccnz .LBB543_12
; %bb.11:                               ;   in Loop: Header=BB543_6 Depth=1
	s_and_b32 s25, s25, 0xffff
	buffer_load_dwordx4 v[14:17], v69, s[24:27], 0 offen
	buffer_load_dwordx4 v[10:13], v69, s[24:27], s58 offen
	;; [unrolled: 1-line block ×4, first 2 shown]
	v_mov_b32_e32 v99, v71
	v_mov_b32_e32 v98, v72
.LBB543_12:                             ;   in Loop: Header=BB543_6 Depth=1
	v_add_u32_e32 v24, s60, v87
	v_ashrrev_i32_e32 v18, 31, v24
	v_mul_lo_u32 v20, v18, s34
	v_mul_lo_u32 v21, v24, s35
	v_mad_u64_u32 v[18:19], s[24:25], v24, s34, 0
	v_add3_u32 v19, v19, v21, v20
	v_add_u32_e32 v20, 1, v24
	v_ashrrev_i32_e32 v21, 31, v20
	v_mul_lo_u32 v22, v21, s34
	v_mul_lo_u32 v23, v20, s35
	v_mad_u64_u32 v[20:21], s[24:25], v20, s34, 0
	v_add3_u32 v21, v21, v23, v22
	v_add_u32_e32 v22, 2, v24
	v_ashrrev_i32_e32 v23, 31, v22
	v_mul_lo_u32 v25, v23, s34
	v_mul_lo_u32 v26, v22, s35
	v_mad_u64_u32 v[22:23], s[24:25], v22, s34, 0
	s_add_u32 s24, s40, s60
	v_add3_u32 v23, v23, v26, v25
	v_add_u32_e32 v26, 3, v24
	s_addc_u32 s25, s41, 0
	v_ashrrev_i32_e32 v24, 31, v26
	s_lshl_b64 s[24:25], s[24:25], 8
	v_lshl_add_u64 v[18:19], v[18:19], 2, s[44:45]
	v_mul_lo_u32 v27, v24, s34
	v_lshl_add_u64 v[24:25], v[56:57], 0, s[24:25]
	v_mul_lo_u32 v28, v26, s35
	global_load_ushort v38, v[24:25], off
	global_load_ushort v39, v[24:25], off offset:256
	global_load_ushort v40, v[24:25], off offset:512
	global_load_ushort v41, v[24:25], off offset:768
	global_load_dword v42, v[18:19], off
	v_mad_u64_u32 v[18:19], s[66:67], v26, s34, 0
	v_lshl_add_u64 v[20:21], v[20:21], 2, s[44:45]
	v_add3_u32 v19, v19, v28, v27
	v_lshl_add_u64 v[22:23], v[22:23], 2, s[44:45]
	v_lshl_add_u64 v[18:19], v[18:19], 2, s[44:45]
	global_load_dword v43, v[20:21], off
	global_load_dword v44, v[22:23], off
	;; [unrolled: 1-line block ×3, first 2 shown]
	s_load_dword s2, s[2:3], 0x0
	ds_read_b64 v[26:27], v77 offset:24576
	ds_read2st64_b64 v[22:25], v82 offset1:1
	ds_read2st64_b64 v[28:31], v82 offset0:2 offset1:3
	ds_read_b64 v[32:33], v79 offset:24576
	ds_read_b64 v[34:35], v80 offset:24576
	;; [unrolled: 1-line block ×3, first 2 shown]
	s_waitcnt lgkmcnt(0)
	v_mfma_f32_16x16x16_bf16 a[0:3], v[26:27], v[22:23], a[0:3]
	v_mov_b32_e32 v101, 0
	v_mov_b32_e32 v18, 0
	v_mov_b32_e32 v19, 0
	v_mfma_f32_16x16x16_bf16 a[0:3], v[32:33], v[24:25], a[0:3]
	v_mov_b32_e32 v20, 0
	v_mov_b32_e32 v21, 0
	v_mov_b32_e32 v22, 0
	v_mfma_f32_16x16x16_bf16 a[0:3], v[34:35], v[28:29], a[0:3]
	v_lshl_add_u64 v[28:29], v[58:59], 0, s[24:25]
	v_mov_b32_e32 v23, 0
	v_mov_b32_e32 v24, 0
	v_mfma_f32_16x16x16_bf16 a[0:3], v[36:37], v[30:31], a[0:3]
	v_mov_b32_e32 v25, 0
	v_mov_b32_e32 v26, 0
	;; [unrolled: 1-line block ×3, first 2 shown]
	s_and_b64 vcc, exec, s[0:1]
	s_waitcnt vmcnt(7)
	v_lshlrev_b32_e32 v34, 16, v38
	s_nop 0
	v_accvgpr_read_b32 v33, a1
	v_accvgpr_read_b32 v31, a3
	;; [unrolled: 1-line block ×4, first 2 shown]
	s_waitcnt vmcnt(6)
	v_lshlrev_b32_e32 v35, 16, v39
	s_waitcnt vmcnt(4)
	v_lshlrev_b32_e32 v37, 16, v41
	v_lshlrev_b32_e32 v36, 16, v40
	s_waitcnt vmcnt(3)
	v_sub_f32_e32 v38, s2, v42
	v_pk_add_f32 v[32:33], v[34:35], v[32:33] neg_lo:[0,1] neg_hi:[0,1]
	v_pk_add_f32 v[30:31], v[36:37], v[30:31] neg_lo:[0,1] neg_hi:[0,1]
	s_waitcnt vmcnt(2)
	v_sub_f32_e32 v35, s2, v43
	s_waitcnt vmcnt(1)
	v_sub_f32_e32 v36, s2, v44
	;; [unrolled: 2-line block ×3, first 2 shown]
	v_exp_f32_e32 v34, v38
	v_exp_f32_e32 v35, v35
	;; [unrolled: 1-line block ×4, first 2 shown]
	global_store_short_d16_hi v[28:29], v32, off
	global_store_short_d16_hi v[28:29], v33, off offset:256
	global_store_short_d16_hi v[28:29], v30, off offset:512
	;; [unrolled: 1-line block ×3, first 2 shown]
	v_pk_mul_f32 v[28:29], v[34:35], v[32:33]
	v_pk_mul_f32 v[30:31], v[36:37], v[30:31]
	v_perm_b32 v28, v29, v28, s39
	v_perm_b32 v29, v31, v30, s39
	ds_write_b64 v74, v[28:29]
	v_mov_b32_e32 v28, 0
	v_mov_b32_e32 v29, 0
	;; [unrolled: 1-line block ×6, first 2 shown]
	s_cbranch_vccnz .LBB543_14
; %bb.13:                               ;   in Loop: Header=BB543_6 Depth=1
	s_and_b32 s29, s29, 0xffff
	s_mov_b32 s31, s27
	buffer_load_dwordx4 v[30:33], v85, s[28:31], 0 offen
	buffer_load_dwordx4 v[22:25], v85, s[28:31], s58 offen
	;; [unrolled: 1-line block ×4, first 2 shown]
	v_mov_b32_e32 v100, v68
	v_mov_b32_e32 v101, v67
.LBB543_14:                             ;   in Loop: Header=BB543_6 Depth=1
	s_waitcnt lgkmcnt(0)
	s_barrier
	ds_read_b64 v[34:35], v89
	ds_read_b64 v[40:41], v90
	ds_read2st64_b64 v[36:39], v82 offset1:1
	ds_read2st64_b64 v[102:105], v82 offset0:2 offset1:3
	ds_read_b64 v[42:43], v91
	ds_read_b64 v[110:111], v92
	s_add_i32 s3, s52, s65
	s_mul_hi_i32 s25, s3, s17
	s_mul_i32 s3, s3, s17
	s_waitcnt lgkmcnt(3)
	v_mfma_f32_16x16x16_bf16 a[0:3], v[34:35], v[36:37], 0
	ds_read_b64 v[34:35], v94
	s_add_u32 s24, s3, s33
	s_addc_u32 s25, s25, s56
	s_add_i32 s3, s37, s60
	v_mfma_f32_16x16x16_bf16 a[0:3], v[40:41], v[38:39], a[0:3]
	ds_read_b64 v[40:41], v95
	s_lshl_b64 s[24:25], s[24:25], 15
	s_mul_hi_i32 s29, s3, s17
	s_mul_i32 s3, s3, s17
	s_add_u32 s28, s3, s33
	s_addc_u32 s29, s29, s56
	s_lshl_b64 s[28:29], s[28:29], 9
	s_add_u32 s28, s42, s28
	s_waitcnt lgkmcnt(1)
	v_mfma_f32_16x16x16_bf16 a[4:7], v[34:35], v[36:37], 0
	s_addc_u32 s29, s43, s29
	s_and_b64 vcc, exec, s[0:1]
	v_mfma_f32_16x16x16_bf16 a[0:3], v[42:43], v[102:103], a[0:3]
	ds_read_b64 v[42:43], v96
	ds_read_b64 v[112:113], v97
	global_load_dwordx4 v[34:37], v93, s[28:29]
	s_waitcnt lgkmcnt(2)
	v_mfma_f32_16x16x16_bf16 a[4:7], v[40:41], v[38:39], a[4:7]
	global_load_dwordx4 v[38:41], v88, s[28:29]
	ds_read_b64 v[106:107], v83
	ds_read_b64 v[108:109], v84
	s_waitcnt lgkmcnt(3)
	v_mfma_f32_16x16x16_bf16 a[8:11], v[42:43], v[102:103], a[4:7]
	v_lshl_add_u64 v[42:43], v[54:55], 0, s[24:25]
	s_waitcnt lgkmcnt(0)
	global_store_dwordx4 v[42:43], v[106:109], off
	v_mfma_f32_16x16x16_bf16 a[4:7], v[110:111], v[104:105], a[0:3]
	s_waitcnt vmcnt(2)
	v_mov_b32_e32 v44, v37
	v_mfma_f32_16x16x16_bf16 a[0:3], v[112:113], v[104:105], a[8:11]
	v_mov_b32_e32 v43, v36
	v_mov_b32_e32 v42, v35
	s_cbranch_vccnz .LBB543_16
; %bb.15:                               ;   in Loop: Header=BB543_6 Depth=1
	v_lshrrev_b32_e32 v35, 3, v100
	v_and_b32_e32 v35, 6, v35
	v_xor_b32_e32 v36, v35, v101
	v_lshlrev_b32_e32 v36, 2, v36
	v_and_b32_e32 v37, 8, v100
	v_xor_b32_e32 v100, 0x440, v36
	v_cmp_eq_u32_e32 vcc, 0, v37
	v_perm_b32 v37, v22, v18, s61
	s_nop 0
	v_cndmask_b32_e32 v36, v100, v36, vcc
	v_lshl_or_b32 v35, v35, 10, v36
	v_perm_b32 v36, v30, v26, s61
	s_barrier
	ds_write2st64_b32 v35, v36, v37 offset1:32
	v_xor_b32_e32 v36, 8, v35
	v_perm_b32 v26, v30, v26, s62
	v_perm_b32 v18, v22, v18, s62
	v_add_u32_e32 v22, 0x80, v36
	ds_write2st64_b32 v22, v26, v18 offset1:32
	v_xor_b32_e32 v18, 16, v35
	v_perm_b32 v22, v31, v27, s61
	v_perm_b32 v26, v23, v19, s61
	ds_write2st64_b32 v18, v22, v26 offset0:1 offset1:33
	v_xor_b32_e32 v18, 24, v35
	v_perm_b32 v22, v31, v27, s62
	v_perm_b32 v19, v23, v19, s62
	v_add_u32_e32 v18, 0x80, v18
	ds_write2st64_b32 v18, v22, v19 offset0:1 offset1:33
	v_xor_b32_e32 v18, 32, v35
	v_perm_b32 v19, v32, v28, s61
	v_perm_b32 v22, v24, v20, s61
	ds_write2st64_b32 v18, v19, v22 offset0:2 offset1:34
	v_xor_b32_e32 v18, 40, v35
	v_perm_b32 v19, v32, v28, s62
	v_perm_b32 v20, v24, v20, s62
	v_add_u32_e32 v18, 0x80, v18
	ds_write2st64_b32 v18, v19, v20 offset0:2 offset1:34
	;; [unrolled: 9-line block ×3, first 2 shown]
	ds_write_b64 v99, v[14:15] offset:16384
	v_xor_b32_e32 v14, 8, v99
	ds_write_b64 v14, v[16:17] offset:16384
	ds_write_b64 v99, v[10:11] offset:24576
	;; [unrolled: 1-line block ×4, first 2 shown]
	v_xor_b32_e32 v6, 8, v98
	ds_write_b64 v6, v[8:9] offset:16384
	ds_write_b64 v98, v[2:3] offset:24576
	;; [unrolled: 1-line block ×3, first 2 shown]
.LBB543_16:                             ;   in Loop: Header=BB543_6 Depth=1
	v_exp_f32_e32 v10, s2
	s_waitcnt vmcnt(1)
	v_exp_f32_e32 v12, v38
	v_exp_f32_e32 v13, v39
	;; [unrolled: 1-line block ×4, first 2 shown]
	v_accvgpr_read_b32 v2, a4
	v_accvgpr_read_b32 v3, a5
	v_pk_mul_f32 v[12:13], v[10:11], v[12:13] op_sel_hi:[0,1]
	v_pk_fma_f32 v[46:47], v[46:47], v[12:13], v[2:3]
	v_exp_f32_e32 v12, v34
	v_exp_f32_e32 v13, v42
	v_pk_mul_f32 v[2:3], v[10:11], v[14:15] op_sel_hi:[0,1]
	v_exp_f32_e32 v14, v43
	v_exp_f32_e32 v15, v44
	v_accvgpr_read_b32 v4, a6
	v_accvgpr_read_b32 v5, a7
	v_accvgpr_read_b32 v9, a3
	v_accvgpr_read_b32 v7, a1
	v_accvgpr_read_b32 v6, a0
	v_pk_fma_f32 v[52:53], v[52:53], v[2:3], v[4:5]
	v_pk_mul_f32 v[2:3], v[10:11], v[12:13] op_sel_hi:[0,1]
	v_accvgpr_read_b32 v8, a2
	v_pk_fma_f32 v[50:51], v[50:51], v[2:3], v[6:7]
	v_pk_mul_f32 v[2:3], v[10:11], v[14:15] op_sel_hi:[0,1]
	s_add_i32 s60, s60, 64
	s_cmp_eq_u32 s49, s64
	v_pk_fma_f32 v[48:49], v[48:49], v[2:3], v[8:9]
	s_cbranch_scc1 .LBB543_18
; %bb.17:                               ;   in Loop: Header=BB543_6 Depth=1
	s_mov_b32 s65, s64
	s_branch .LBB543_6
.LBB543_18:
	s_lshl_b32 s42, s49, 6
	s_sub_i32 s43, s16, s42
	s_cmp_gt_i32 s43, 0
	s_cbranch_scc0 .LBB543_75
; %bb.19:
	s_ashr_i32 s39, s50, 31
	s_ashr_i32 s2, s42, 31
	s_cmpk_lg_i32 s19, 0x80
	s_cselect_b64 s[30:31], -1, 0
	s_and_b64 vcc, exec, s[30:31]
	s_cbranch_vccz .LBB543_21
; %bb.20:
	s_mul_i32 s1, s50, s16
	s_mul_hi_i32 s0, s50, s16
	s_add_u32 s1, s1, s42
	s_addc_u32 s0, s0, s2
	s_mul_i32 s3, s1, s51
	s_mul_hi_u32 s24, s1, s18
	s_add_i32 s3, s24, s3
	s_mul_i32 s0, s0, s18
	s_add_i32 s3, s3, s0
	s_mul_i32 s1, s1, s18
	s_ashr_i32 s0, s54, 31
	s_add_u32 s40, s1, s54
	s_addc_u32 s41, s3, s0
	s_cbranch_execz .LBB543_22
	s_branch .LBB543_23
.LBB543_21:
                                        ; implicit-def: $sgpr40_sgpr41
.LBB543_22:
	s_mul_hi_i32 s0, s50, s18
	s_mul_i32 s50, s50, s18
	s_ashr_i32 s1, s54, 31
	s_add_u32 s3, s50, s54
	s_addc_u32 s0, s0, s1
	s_mul_i32 s1, s3, s48
	s_mul_hi_u32 s18, s3, s16
	s_add_i32 s1, s18, s1
	s_mul_i32 s0, s0, s16
	s_add_i32 s1, s1, s0
	s_mul_i32 s3, s3, s16
	s_add_u32 s40, s3, s42
	s_addc_u32 s41, s1, s2
.LBB543_23:
	s_add_i32 s3, s52, s49
	s_ashr_i32 s18, s33, 31
	s_add_u32 s0, s47, s33
	s_addc_u32 s1, s53, s18
	s_mul_i32 s24, s0, s48
	s_mul_hi_u32 s25, s0, s16
	s_add_i32 s24, s25, s24
	s_mul_i32 s1, s1, s16
	s_add_i32 s24, s24, s1
	s_mul_i32 s0, s0, s16
	s_add_u32 s0, s0, s42
	s_addc_u32 s1, s24, s2
	s_mov_b32 s2, 0x7060302
	v_lshlrev_b32_e32 v6, 3, v1
	s_lshl_b64 s[28:29], s[0:1], 8
	v_perm_b32 v3, v53, v52, s2
	v_perm_b32 v2, v47, v46, s2
	;; [unrolled: 1-line block ×4, first 2 shown]
	v_lshlrev_b32_e32 v34, 2, v1
	v_lshl_or_b32 v6, v65, 5, v6
	s_add_u32 s0, s6, s28
	ds_write2st64_b64 v6, v[2:3], v[4:5] offset0:72 offset1:76
	v_xor_b32_e32 v6, v65, v34
	v_lshlrev_b32_e32 v7, 8, v1
	s_addc_u32 s1, s7, s29
	v_lshl_or_b32 v6, v6, 1, v7
	s_mul_hi_i32 s6, s3, s17
	s_mul_i32 s3, s3, s17
	ds_write_b64 v6, v[2:3] offset:32768
	v_xor_b32_e32 v2, v66, v34
	s_add_u32 s2, s3, s33
	v_lshl_or_b32 v2, v2, 1, v7
	s_addc_u32 s3, s6, s18
	v_lshlrev_b32_e32 v3, 1, v1
	ds_write_b64 v2, v[4:5] offset:32768
	v_lshrrev_b32_e32 v2, 4, v0
	s_ashr_i32 s37, s36, 31
	s_lshl_b64 s[2:3], s[2:3], 15
	v_or_b32_e32 v4, 1, v3
	s_add_u32 s6, s12, s2
	v_xor_b32_e32 v3, v2, v3
	v_xor_b32_e32 v4, v4, v2
	v_lshlrev_b32_e32 v6, 8, v2
	s_addc_u32 s7, s13, s3
	s_lshl_b64 s[2:3], s[36:37], 8
	v_lshl_or_b32 v2, v3, 3, v6
	v_lshl_or_b32 v4, v4, 3, v6
	s_waitcnt lgkmcnt(0)
	s_barrier
	s_add_u32 s2, s6, s2
	ds_read_b64 v[2:3], v2 offset:32768
	ds_read_b64 v[4:5], v4 offset:32768
	s_addc_u32 s3, s7, s3
	v_mov_b32_e32 v7, 0
	s_cmp_lg_u32 s43, 64
	v_lshl_add_u64 v[8:9], s[2:3], 0, v[6:7]
	v_lshlrev_b32_e32 v6, 4, v1
	s_cselect_b64 s[6:7], -1, 0
	v_lshl_or_b32 v35, v61, 3, v64
	s_mov_b32 s24, 0
	v_lshl_add_u64 v[6:7], v[8:9], 0, v[6:7]
	v_or_b32_e32 v19, 32, v35
	v_and_b32_e32 v18, 56, v63
	s_and_b64 vcc, exec, s[6:7]
	s_waitcnt lgkmcnt(0)
	global_store_dwordx4 v[6:7], v[2:5], off
	s_cbranch_vccz .LBB543_29
; %bb.24:
	s_mov_b32 s25, s24
	s_mov_b32 s26, s24
	;; [unrolled: 1-line block ×3, first 2 shown]
	v_mov_b64_e32 v[6:7], s[24:25]
	v_mov_b64_e32 v[8:9], s[26:27]
	;; [unrolled: 1-line block ×3, first 2 shown]
	v_cmp_gt_i32_e32 vcc, s43, v35
	v_mov_b64_e32 v[4:5], v[8:9]
	s_and_saveexec_b64 s[2:3], vcc
	s_cbranch_execz .LBB543_26
; %bb.25:
	v_lshlrev_b32_e32 v2, 8, v35
	v_mov_b32_e32 v3, 0
	v_lshl_add_u64 v[4:5], s[0:1], 0, v[2:3]
	v_lshlrev_b32_e32 v2, 1, v18
	v_lshl_add_u64 v[10:11], v[4:5], 0, v[2:3]
	global_load_dwordx4 v[6:9], v[10:11], off
	global_load_dwordx4 v[2:5], v[10:11], off offset:128
.LBB543_26:
	s_or_b64 exec, exec, s[2:3]
	s_mov_b32 s25, s24
	s_mov_b32 s26, s24
	;; [unrolled: 1-line block ×3, first 2 shown]
	v_mov_b64_e32 v[14:15], s[24:25]
	v_mov_b64_e32 v[16:17], s[26:27]
	;; [unrolled: 1-line block ×3, first 2 shown]
	v_cmp_gt_i32_e32 vcc, s43, v19
	v_lshlrev_b32_e32 v20, 7, v19
	v_mov_b64_e32 v[12:13], v[16:17]
	s_and_saveexec_b64 s[2:3], vcc
	s_cbranch_execz .LBB543_28
; %bb.27:
	v_lshlrev_b32_e32 v10, 1, v20
	v_mov_b32_e32 v11, 0
	v_lshl_add_u64 v[12:13], s[0:1], 0, v[10:11]
	v_lshlrev_b32_e32 v10, 1, v18
	v_lshl_add_u64 v[22:23], v[12:13], 0, v[10:11]
	global_load_dwordx4 v[14:17], v[22:23], off
	global_load_dwordx4 v[10:13], v[22:23], off offset:128
.LBB543_28:
	s_or_b64 exec, exec, s[2:3]
	v_lshrrev_b32_e32 v21, 3, v18
	v_lshlrev_b32_e32 v22, 3, v35
	v_or_b32_e32 v21, v22, v21
	v_lshlrev_b32_e32 v21, 4, v21
	v_and_b32_e32 v22, 0x78, v22
	v_xor_b32_e32 v21, v21, v22
	s_branch .LBB543_31
.LBB543_29:
                                        ; implicit-def: $vgpr21
                                        ; implicit-def: $vgpr20
                                        ; implicit-def: $vgpr6_vgpr7_vgpr8_vgpr9
                                        ; implicit-def: $vgpr2_vgpr3_vgpr4_vgpr5
                                        ; implicit-def: $vgpr14_vgpr15_vgpr16_vgpr17
                                        ; implicit-def: $vgpr10_vgpr11_vgpr12_vgpr13
	s_cbranch_execz .LBB543_31
; %bb.30:
	s_waitcnt vmcnt(0)
	v_lshlrev_b32_e32 v2, 1, v18
	v_lshl_or_b32 v20, v35, 8, v2
	s_and_b32 s1, s1, 0xffff
	s_mov_b32 s3, 0x20000
	s_movk_i32 s2, 0x4000
	v_lshl_or_b32 v21, v19, 8, v2
	s_movk_i32 s12, 0x80
	buffer_load_dwordx4 v[6:9], v20, s[0:3], 0 offen
	buffer_load_dwordx4 v[2:5], v20, s[0:3], s12 offen
	;; [unrolled: 1-line block ×4, first 2 shown]
	v_lshrrev_b32_e32 v20, 3, v18
	v_lshlrev_b32_e32 v21, 3, v35
	v_or_b32_e32 v20, v21, v20
	v_lshlrev_b32_e32 v20, 4, v20
	v_and_b32_e32 v21, 0x78, v21
	v_xor_b32_e32 v21, v20, v21
	v_lshlrev_b32_e32 v20, 7, v19
.LBB543_31:
	s_lshl_b64 s[0:1], s[40:41], 8
	s_add_u32 s4, s4, s0
	s_movk_i32 s0, 0x1000
	v_and_or_b32 v19, v20, s0, v21
	s_waitcnt vmcnt(1)
	ds_write_b64 v21, v[6:7] offset:16384
	v_xor_b32_e32 v6, 8, v21
	ds_write_b64 v6, v[8:9] offset:16384
	s_waitcnt vmcnt(0)
	ds_write_b64 v21, v[2:3] offset:24576
	ds_write_b64 v6, v[4:5] offset:24576
	ds_write_b64 v19, v[14:15] offset:16384
	v_xor_b32_e32 v2, 8, v19
	ds_write_b64 v2, v[16:17] offset:16384
	ds_write_b64 v19, v[10:11] offset:24576
	;; [unrolled: 1-line block ×3, first 2 shown]
	v_or_b32_e32 v2, v45, v1
	s_addc_u32 s5, s5, s1
	s_add_i32 s2, s16, -1
	v_lshlrev_b32_e32 v2, 3, v2
	v_lshrrev_b32_e32 v4, 5, v60
	s_movk_i32 s16, 0xf8
	v_and_or_b32 v4, v2, s16, v4
	v_lshlrev_b32_e32 v3, 11, v61
	v_lshlrev_b32_e32 v12, 4, v4
	v_and_b32_e32 v13, 0x78, v2
	v_and_b32_e32 v14, 0x1000, v3
	v_lshlrev_b32_e32 v3, 2, v0
	v_xor_b32_e32 v2, v12, v13
	v_lshrrev_b32_e32 v4, 1, v60
	v_and_b32_e32 v3, 60, v3
	v_or_b32_e32 v2, v2, v14
	v_and_b32_e32 v15, 8, v4
	v_xor_b32_e32 v26, v2, v15
	v_lshl_or_b32 v2, v62, 6, v3
	v_lshlrev_b32_e32 v19, 1, v2
	v_or_b32_e32 v2, 32, v12
	v_xor_b32_e32 v2, v2, v13
	s_waitcnt lgkmcnt(0)
	s_barrier
	ds_read_b64 v[10:11], v26 offset:16384
	v_or_b32_e32 v2, v2, v14
	v_xor_b32_e32 v27, v2, v15
	v_or_b32_e32 v2, 64, v12
	v_xor_b32_e32 v2, v2, v13
	v_or_b32_e32 v2, v2, v14
	v_or_b32_e32 v12, 0x60, v12
	v_xor_b32_e32 v28, v2, v15
	ds_read2st64_b64 v[2:5], v19 offset0:72 offset1:73
	ds_read2st64_b64 v[6:9], v19 offset0:74 offset1:75
	v_xor_b32_e32 v16, v12, v13
	ds_read_b64 v[12:13], v27 offset:16384
	s_waitcnt lgkmcnt(2)
	v_mfma_f32_16x16x16_bf16 a[0:3], v[10:11], v[2:3], 0
	s_add_i32 s0, s46, s21
	s_mul_i32 s39, s39, s20
	s_add_i32 s39, s0, s39
	s_mul_i32 s0, s33, s23
	s_mul_hi_u32 s1, s33, s22
	s_ashr_i32 s3, s2, 31
	s_mul_i32 s12, s2, s35
	s_mul_hi_u32 s13, s2, s34
	s_add_i32 s0, s1, s0
	s_mul_i32 s1, s18, s22
	s_add_i32 s12, s13, s12
	s_mul_i32 s3, s3, s34
	v_or_b32_e32 v14, v16, v14
	s_add_i32 s1, s0, s1
	s_add_i32 s3, s12, s3
	s_lshl_b64 s[12:13], s[38:39], 2
	v_xor_b32_e32 v36, v14, v15
	ds_read_b64 v[14:15], v28 offset:16384
	ds_read_b64 v[16:17], v36 offset:16384
	s_waitcnt lgkmcnt(2)
	v_mfma_f32_16x16x16_bf16 a[0:3], v[12:13], v[4:5], a[0:3]
	s_mul_i32 s0, s33, s22
	s_add_u32 s10, s10, s12
	s_addc_u32 s11, s11, s13
	s_lshl_b64 s[0:1], s[0:1], 2
	s_mul_i32 s2, s2, s34
	s_add_u32 s10, s10, s0
	s_addc_u32 s11, s11, s1
	s_lshl_b64 s[0:1], s[2:3], 2
	s_waitcnt lgkmcnt(1)
	v_mfma_f32_16x16x16_bf16 a[0:3], v[14:15], v[6:7], a[0:3]
	s_add_u32 s0, s10, s0
	s_addc_u32 s1, s11, s1
	s_load_dword s12, s[0:1], 0x0
	s_waitcnt lgkmcnt(0)
	v_mfma_f32_16x16x16_bf16 a[0:3], v[16:17], v[8:9], a[0:3]
	s_and_b64 vcc, exec, s[30:31]
	s_cbranch_vccz .LBB543_42
; %bb.32:
	v_lshlrev_b32_e32 v20, 1, v35
	s_and_b64 vcc, exec, s[6:7]
	s_cbranch_vccz .LBB543_43
; %bb.33:
	v_cmp_gt_i32_e32 vcc, s43, v20
	v_mov_b32_e32 v6, 0
	v_mov_b32_e32 v2, 0
	;; [unrolled: 1-line block ×5, first 2 shown]
	s_and_saveexec_b64 s[0:1], vcc
	s_cbranch_execz .LBB543_35
; %bb.34:
	v_mad_i64_i32 v[2:3], s[2:3], s19, v20, 0
	v_lshl_add_u64 v[2:3], v[2:3], 1, s[4:5]
	v_lshlrev_b32_e32 v4, 1, v18
	v_mov_b32_e32 v5, 0
	v_lshl_add_u64 v[2:3], v[2:3], 0, v[4:5]
	global_load_dwordx4 v[2:5], v[2:3], off
.LBB543_35:
	s_or_b64 exec, exec, s[0:1]
	v_or_b32_e32 v21, 1, v20
	v_cmp_gt_i32_e64 s[0:1], s43, v21
	v_mov_b32_e32 v7, 0
	v_mov_b32_e32 v8, 0
	;; [unrolled: 1-line block ×3, first 2 shown]
	s_and_saveexec_b64 s[2:3], s[0:1]
	s_cbranch_execz .LBB543_37
; %bb.36:
	v_mad_i64_i32 v[6:7], s[16:17], s19, v21, 0
	v_lshl_add_u64 v[6:7], v[6:7], 1, s[4:5]
	v_lshlrev_b32_e32 v8, 1, v18
	v_mov_b32_e32 v9, 0
	v_lshl_add_u64 v[6:7], v[6:7], 0, v[8:9]
	global_load_dwordx4 v[6:9], v[6:7], off
.LBB543_37:
	s_or_b64 exec, exec, s[2:3]
	v_mov_b32_e32 v17, 0
	v_mov_b32_e32 v10, 0
	;; [unrolled: 1-line block ×5, first 2 shown]
	s_and_saveexec_b64 s[2:3], vcc
	s_cbranch_execz .LBB543_39
; %bb.38:
	v_mad_i64_i32 v[10:11], s[16:17], s19, v20, 0
	v_lshl_add_u64 v[10:11], v[10:11], 1, s[4:5]
	v_lshlrev_b32_e32 v12, 1, v18
	v_mov_b32_e32 v13, 0
	v_lshl_add_u64 v[10:11], v[10:11], 0, v[12:13]
	global_load_dwordx4 v[10:13], v[10:11], off offset:128
.LBB543_39:
	s_or_b64 exec, exec, s[2:3]
	v_mov_b32_e32 v16, 0
	v_mov_b32_e32 v15, 0
	;; [unrolled: 1-line block ×3, first 2 shown]
	s_and_saveexec_b64 s[2:3], s[0:1]
	s_cbranch_execz .LBB543_41
; %bb.40:
	v_mad_i64_i32 v[14:15], s[0:1], s19, v21, 0
	v_lshl_add_u64 v[14:15], v[14:15], 1, s[4:5]
	v_lshlrev_b32_e32 v16, 1, v18
	v_mov_b32_e32 v17, 0
	v_lshl_add_u64 v[14:15], v[14:15], 0, v[16:17]
	global_load_dwordx4 v[14:17], v[14:15], off offset:128
.LBB543_41:
	s_or_b64 exec, exec, s[2:3]
	s_branch .LBB543_45
.LBB543_42:
                                        ; implicit-def: $vgpr5
                                        ; implicit-def: $vgpr9
                                        ; implicit-def: $vgpr13
                                        ; implicit-def: $vgpr17
	v_lshrrev_b32_e32 v37, 2, v60
	s_branch .LBB543_46
.LBB543_43:
                                        ; implicit-def: $vgpr5
                                        ; implicit-def: $vgpr9
                                        ; implicit-def: $vgpr13
                                        ; implicit-def: $vgpr17
	s_cbranch_execz .LBB543_45
; %bb.44:
	s_waitcnt vmcnt(0)
	v_mad_u64_u32 v[2:3], s[0:1], v20, s19, v[18:19]
	v_lshlrev_b32_e32 v20, 1, v2
	s_lshl_b32 s2, s19, 7
	s_and_b32 s1, s5, 0xffff
	s_mov_b32 s3, 0x20000
	s_mov_b32 s0, s4
	v_add_lshl_u32 v21, v2, s19, 1
	s_movk_i32 s13, 0x80
	buffer_load_dwordx4 v[2:5], v20, s[0:3], 0 offen
	buffer_load_dwordx4 v[10:13], v20, s[0:3], s13 offen
	buffer_load_dwordx4 v[6:9], v21, s[0:3], 0 offen
	buffer_load_dwordx4 v[14:17], v21, s[0:3], s13 offen
.LBB543_45:
	v_lshrrev_b32_e32 v37, 2, v60
	s_cbranch_execnz .LBB543_58
.LBB543_46:
	s_and_b64 vcc, exec, s[6:7]
	s_cbranch_vccz .LBB543_56
; %bb.47:
	s_waitcnt vmcnt(0)
	v_lshlrev_b32_e32 v7, 1, v35
	v_cmp_gt_i32_e32 vcc, s43, v7
	v_mov_b32_e32 v6, 0
	v_lshlrev_b32_e32 v14, 9, v35
	v_mov_b32_e32 v2, 0
	v_mov_b32_e32 v3, 0
	;; [unrolled: 1-line block ×4, first 2 shown]
	s_and_saveexec_b64 s[0:1], vcc
	s_cbranch_execz .LBB543_49
; %bb.48:
	v_mov_b32_e32 v15, 0
	v_lshl_add_u64 v[2:3], s[4:5], 0, v[14:15]
	v_lshlrev_b32_e32 v4, 1, v18
	v_mov_b32_e32 v5, v15
	v_lshl_add_u64 v[2:3], v[2:3], 0, v[4:5]
	global_load_dwordx4 v[2:5], v[2:3], off
.LBB543_49:
	s_or_b64 exec, exec, s[0:1]
	v_or_b32_e32 v7, 1, v7
	v_cmp_gt_i32_e64 s[0:1], s43, v7
	v_lshlrev_b32_e32 v20, 8, v7
	v_mov_b32_e32 v7, 0
	v_mov_b32_e32 v8, 0
	;; [unrolled: 1-line block ×3, first 2 shown]
	s_and_saveexec_b64 s[2:3], s[0:1]
	s_cbranch_execz .LBB543_51
; %bb.50:
	v_mov_b32_e32 v21, 0
	v_lshl_add_u64 v[6:7], s[4:5], 0, v[20:21]
	v_lshlrev_b32_e32 v8, 1, v18
	v_mov_b32_e32 v9, v21
	v_lshl_add_u64 v[6:7], v[6:7], 0, v[8:9]
	global_load_dwordx4 v[6:9], v[6:7], off
.LBB543_51:
	s_or_b64 exec, exec, s[2:3]
	v_mov_b32_e32 v17, 0
	v_mov_b32_e32 v10, 0
	;; [unrolled: 1-line block ×5, first 2 shown]
	s_and_saveexec_b64 s[2:3], vcc
	s_cbranch_execz .LBB543_53
; %bb.52:
	v_mov_b32_e32 v15, 0
	v_lshl_add_u64 v[10:11], s[4:5], 0, v[14:15]
	v_lshlrev_b32_e32 v14, 1, v18
	v_lshl_add_u64 v[10:11], v[10:11], 0, v[14:15]
	global_load_dwordx4 v[10:13], v[10:11], off offset:128
.LBB543_53:
	s_or_b64 exec, exec, s[2:3]
	v_mov_b32_e32 v16, 0
	v_mov_b32_e32 v15, 0
	;; [unrolled: 1-line block ×3, first 2 shown]
	s_and_saveexec_b64 s[2:3], s[0:1]
	s_cbranch_execz .LBB543_55
; %bb.54:
	v_mov_b32_e32 v21, 0
	v_lshl_add_u64 v[14:15], s[4:5], 0, v[20:21]
	v_lshlrev_b32_e32 v20, 1, v18
	v_lshl_add_u64 v[14:15], v[14:15], 0, v[20:21]
	global_load_dwordx4 v[14:17], v[14:15], off offset:128
.LBB543_55:
	s_or_b64 exec, exec, s[2:3]
	s_branch .LBB543_58
.LBB543_56:
                                        ; implicit-def: $vgpr5
                                        ; implicit-def: $vgpr9
                                        ; implicit-def: $vgpr13
                                        ; implicit-def: $vgpr17
	s_cbranch_execz .LBB543_58
; %bb.57:
	s_waitcnt vmcnt(0)
	v_lshlrev_b32_e32 v2, 1, v18
	v_lshl_or_b32 v18, v35, 9, v2
	s_and_b32 s5, s5, 0xffff
	s_mov_b32 s7, 0x20000
	s_movk_i32 s6, 0x4000
	s_movk_i32 s0, 0x80
	buffer_load_dwordx4 v[2:5], v18, s[4:7], 0 offen
	buffer_load_dwordx4 v[6:9], v18, s[4:7], 0 offen offset:256
	buffer_load_dwordx4 v[10:13], v18, s[4:7], s0 offen
	buffer_load_dwordx4 v[14:17], v18, s[4:7], s0 offen offset:256
.LBB543_58:
	ds_read2st64_b64 v[22:25], v19 offset0:76 offset1:77
	ds_read2st64_b64 v[18:21], v19 offset0:78 offset1:79
	ds_read_b64 v[32:33], v26 offset:24576
	ds_read_b64 v[30:31], v27 offset:24576
	;; [unrolled: 1-line block ×4, first 2 shown]
	v_and_b32_e32 v36, 6, v0
	v_xor_b32_e32 v35, v35, v36
	v_lshlrev_b32_e32 v35, 2, v35
	v_and_b32_e32 v0, 1, v0
	v_xor_b32_e32 v38, 0x440, v35
	v_cmp_eq_u32_e32 vcc, 0, v0
	s_mov_b32 s0, 0x1000504
	s_mov_b32 s1, 0x3020706
	v_cndmask_b32_e32 v0, v38, v35, vcc
	v_lshl_or_b32 v0, v36, 10, v0
	s_waitcnt vmcnt(0)
	v_perm_b32 v35, v2, v6, s0
	v_perm_b32 v36, v10, v14, s0
	ds_write2st64_b32 v0, v35, v36 offset1:32
	v_xor_b32_e32 v35, 8, v0
	v_perm_b32 v2, v2, v6, s1
	v_perm_b32 v6, v10, v14, s1
	v_add_u32_e32 v10, 0x80, v35
	ds_write2st64_b32 v10, v2, v6 offset1:32
	v_xor_b32_e32 v2, 16, v0
	v_perm_b32 v6, v3, v7, s0
	v_perm_b32 v10, v11, v15, s0
	ds_write2st64_b32 v2, v6, v10 offset0:1 offset1:33
	v_xor_b32_e32 v2, 24, v0
	v_perm_b32 v3, v3, v7, s1
	v_perm_b32 v6, v11, v15, s1
	v_add_u32_e32 v2, 0x80, v2
	ds_write2st64_b32 v2, v3, v6 offset0:1 offset1:33
	v_xor_b32_e32 v2, 32, v0
	v_perm_b32 v3, v4, v8, s0
	v_perm_b32 v6, v12, v16, s0
	ds_write2st64_b32 v2, v3, v6 offset0:2 offset1:34
	v_xor_b32_e32 v2, 40, v0
	v_perm_b32 v3, v4, v8, s1
	v_perm_b32 v4, v12, v16, s1
	v_add_u32_e32 v2, 0x80, v2
	ds_write2st64_b32 v2, v3, v4 offset0:2 offset1:34
	v_xor_b32_e32 v2, 48, v0
	v_perm_b32 v3, v5, v9, s0
	v_perm_b32 v4, v13, v17, s0
	v_xor_b32_e32 v0, 56, v0
	v_and_or_b32 v8, v37, 12, v45
	ds_write2st64_b32 v2, v3, v4 offset0:3 offset1:35
	v_perm_b32 v2, v5, v9, s1
	v_perm_b32 v3, v13, v17, s1
	v_add_u32_e32 v0, 0x80, v0
	v_cmp_gt_i32_e64 s[2:3], s43, v8
	v_mov_b32_e32 v10, 0
	v_mov_b32_e32 v15, 0
	ds_write2st64_b32 v0, v2, v3 offset0:3 offset1:35
	s_and_saveexec_b64 s[0:1], s[2:3]
	s_cbranch_execz .LBB543_60
; %bb.59:
	v_add_u32_e32 v0, s42, v8
	v_ashrrev_i32_e32 v2, 31, v0
	v_mul_lo_u32 v4, v2, s34
	v_mul_lo_u32 v5, v0, s35
	v_mad_u64_u32 v[2:3], s[4:5], v0, s34, 0
	v_add3_u32 v3, v3, v5, v4
	v_lshl_add_u64 v[2:3], v[2:3], 2, s[10:11]
	global_load_dword v0, v[2:3], off
	s_waitcnt vmcnt(0)
	v_sub_f32_e32 v0, s12, v0
	v_exp_f32_e32 v15, v0
.LBB543_60:
	s_or_b64 exec, exec, s[0:1]
	v_or_b32_e32 v13, 1, v8
	v_cmp_gt_i32_e64 s[4:5], s43, v13
	s_and_saveexec_b64 s[0:1], s[4:5]
	s_cbranch_execz .LBB543_62
; %bb.61:
	v_add_u32_e32 v0, s42, v13
	v_ashrrev_i32_e32 v2, 31, v0
	v_mul_lo_u32 v4, v2, s34
	v_mul_lo_u32 v5, v0, s35
	v_mad_u64_u32 v[2:3], s[6:7], v0, s34, 0
	v_add3_u32 v3, v3, v5, v4
	v_lshl_add_u64 v[2:3], v[2:3], 2, s[10:11]
	global_load_dword v0, v[2:3], off
	s_waitcnt vmcnt(0)
	v_sub_f32_e32 v0, s12, v0
	v_exp_f32_e32 v10, v0
.LBB543_62:
	s_or_b64 exec, exec, s[0:1]
	v_or_b32_e32 v11, 2, v8
	v_cmp_gt_i32_e32 vcc, s43, v11
	v_mov_b32_e32 v9, 0
	v_mov_b32_e32 v14, 0
	s_and_saveexec_b64 s[0:1], vcc
	s_cbranch_execz .LBB543_64
; %bb.63:
	v_add_u32_e32 v0, s42, v11
	v_ashrrev_i32_e32 v2, 31, v0
	v_mul_lo_u32 v4, v2, s34
	v_mul_lo_u32 v5, v0, s35
	v_mad_u64_u32 v[2:3], s[6:7], v0, s34, 0
	v_add3_u32 v3, v3, v5, v4
	v_lshl_add_u64 v[2:3], v[2:3], 2, s[10:11]
	global_load_dword v0, v[2:3], off
	s_waitcnt vmcnt(0)
	v_sub_f32_e32 v0, s12, v0
	v_exp_f32_e32 v14, v0
.LBB543_64:
	s_or_b64 exec, exec, s[0:1]
	v_or_b32_e32 v12, 3, v8
	v_cmp_gt_i32_e64 s[0:1], s43, v12
	s_and_saveexec_b64 s[6:7], s[0:1]
	s_cbranch_execz .LBB543_66
; %bb.65:
	v_add_u32_e32 v0, s42, v12
	v_ashrrev_i32_e32 v2, 31, v0
	v_mul_lo_u32 v4, v2, s34
	v_mul_lo_u32 v5, v0, s35
	v_mad_u64_u32 v[2:3], s[16:17], v0, s34, 0
	v_add3_u32 v3, v3, v5, v4
	v_lshl_add_u64 v[2:3], v[2:3], 2, s[10:11]
	global_load_dword v0, v[2:3], off
	s_waitcnt vmcnt(0)
	v_sub_f32_e32 v0, s12, v0
	v_exp_f32_e32 v9, v0
.LBB543_66:
	s_or_b64 exec, exec, s[6:7]
	s_waitcnt lgkmcnt(11)
	v_mfma_f32_16x16x16_bf16 a[0:3], v[32:33], v[22:23], a[0:3]
	v_or_b32_e32 v0, s36, v1
	s_add_u32 s6, s8, s28
	v_ashrrev_i32_e32 v1, 31, v0
	s_waitcnt lgkmcnt(10)
	v_mfma_f32_16x16x16_bf16 a[0:3], v[30:31], v[24:25], a[0:3]
	s_addc_u32 s7, s9, s29
	v_lshlrev_b64 v[0:1], 1, v[0:1]
	v_lshl_add_u64 v[4:5], s[6:7], 0, v[0:1]
	s_waitcnt lgkmcnt(9)
	v_mfma_f32_16x16x16_bf16 a[0:3], v[28:29], v[18:19], a[0:3]
	s_add_u32 s6, s14, s28
	s_addc_u32 s7, s15, s29
	v_lshl_add_u64 v[6:7], s[6:7], 0, v[0:1]
	s_waitcnt lgkmcnt(8)
	v_mfma_f32_16x16x16_bf16 a[0:3], v[26:27], v[20:21], a[0:3]
	v_mov_b32_e32 v16, 0
	v_mov_b32_e32 v17, 0
	s_nop 4
	v_accvgpr_read_b32 v0, a0
	v_accvgpr_read_b32 v1, a1
	;; [unrolled: 1-line block ×4, first 2 shown]
	s_and_saveexec_b64 s[6:7], s[2:3]
	s_cbranch_execz .LBB543_68
; %bb.67:
	v_lshlrev_b32_e32 v18, 8, v8
	v_mov_b32_e32 v19, 0
	v_lshl_add_u64 v[20:21], v[4:5], 0, v[18:19]
	global_load_ushort v17, v[20:21], off
	v_lshl_add_u64 v[18:19], v[6:7], 0, v[18:19]
	s_waitcnt vmcnt(0)
	v_lshlrev_b32_e32 v17, 16, v17
	v_sub_f32_e32 v0, v17, v0
	global_store_short_d16_hi v[18:19], v0, off
	v_mul_f32_e32 v0, v15, v0
	v_lshrrev_b32_e32 v17, 16, v0
.LBB543_68:
	s_or_b64 exec, exec, s[6:7]
	s_and_saveexec_b64 s[2:3], s[4:5]
	s_cbranch_execz .LBB543_70
; %bb.69:
	v_lshlrev_b32_e32 v18, 8, v13
	v_mov_b32_e32 v19, 0
	v_lshl_add_u64 v[20:21], v[4:5], 0, v[18:19]
	global_load_ushort v0, v[20:21], off
	v_lshl_add_u64 v[18:19], v[6:7], 0, v[18:19]
	s_waitcnt vmcnt(0)
	v_lshlrev_b32_e32 v0, 16, v0
	v_sub_f32_e32 v0, v0, v1
	global_store_short_d16_hi v[18:19], v0, off
	v_mul_f32_e32 v0, v10, v0
	v_lshrrev_b32_e32 v16, 16, v0
.LBB543_70:
	s_or_b64 exec, exec, s[2:3]
	v_mov_b32_e32 v0, 0
	v_mov_b32_e32 v1, 0
	s_and_saveexec_b64 s[2:3], vcc
	s_cbranch_execz .LBB543_72
; %bb.71:
	v_lshlrev_b32_e32 v10, 8, v11
	v_mov_b32_e32 v11, 0
	v_lshl_add_u64 v[18:19], v[4:5], 0, v[10:11]
	global_load_ushort v1, v[18:19], off
	v_lshl_add_u64 v[10:11], v[6:7], 0, v[10:11]
	s_waitcnt vmcnt(0)
	v_lshlrev_b32_e32 v1, 16, v1
	v_sub_f32_e32 v1, v1, v2
	global_store_short_d16_hi v[10:11], v1, off
	v_mul_f32_e32 v1, v14, v1
	v_lshrrev_b32_e32 v1, 16, v1
.LBB543_72:
	s_or_b64 exec, exec, s[2:3]
	s_and_saveexec_b64 s[2:3], s[0:1]
	s_cbranch_execz .LBB543_74
; %bb.73:
	v_lshlrev_b32_e32 v10, 8, v12
	v_mov_b32_e32 v11, 0
	v_lshl_add_u64 v[4:5], v[4:5], 0, v[10:11]
	global_load_ushort v0, v[4:5], off
	v_lshl_add_u64 v[4:5], v[6:7], 0, v[10:11]
	s_waitcnt vmcnt(0)
	v_lshlrev_b32_e32 v0, 16, v0
	v_sub_f32_e32 v0, v0, v3
	global_store_short_d16_hi v[4:5], v0, off
	v_mul_f32_e32 v0, v9, v0
	v_lshrrev_b32_e32 v0, 16, v0
.LBB543_74:
	s_or_b64 exec, exec, s[2:3]
	s_mov_b32 s0, 0x5040100
	v_lshlrev_b32_e32 v2, 1, v34
	v_perm_b32 v1, v0, v1, s0
	v_perm_b32 v0, v16, v17, s0
	v_lshl_or_b32 v2, v8, 5, v2
	ds_write_b64 v2, v[0:1] offset:38912
	s_waitcnt lgkmcnt(0)
	s_barrier
.LBB543_75:
	s_endpgm
	.section	.rodata,"a",@progbits
	.p2align	6, 0x0
	.amdhsa_kernel _ZN12_GLOBAL__N_139chunk_gated_delta_rule_fwd_h_hip_kernelILi16ELb0ELb0ELb1ELb0ELb1ELb1ELb0ELb1EEEvPK12hip_bfloat16S3_S3_PKfS5_PKvPS1_S8_PvPKiSB_iiiiilll
		.amdhsa_group_segment_fixed_size 40960
		.amdhsa_private_segment_fixed_size 0
		.amdhsa_kernarg_size 136
		.amdhsa_user_sgpr_count 2
		.amdhsa_user_sgpr_dispatch_ptr 0
		.amdhsa_user_sgpr_queue_ptr 0
		.amdhsa_user_sgpr_kernarg_segment_ptr 1
		.amdhsa_user_sgpr_dispatch_id 0
		.amdhsa_user_sgpr_kernarg_preload_length 0
		.amdhsa_user_sgpr_kernarg_preload_offset 0
		.amdhsa_user_sgpr_private_segment_size 0
		.amdhsa_uses_dynamic_stack 0
		.amdhsa_enable_private_segment 0
		.amdhsa_system_sgpr_workgroup_id_x 1
		.amdhsa_system_sgpr_workgroup_id_y 1
		.amdhsa_system_sgpr_workgroup_id_z 0
		.amdhsa_system_sgpr_workgroup_info 0
		.amdhsa_system_vgpr_workitem_id 0
		.amdhsa_next_free_vgpr 128
		.amdhsa_next_free_sgpr 68
		.amdhsa_accum_offset 116
		.amdhsa_reserve_vcc 1
		.amdhsa_float_round_mode_32 0
		.amdhsa_float_round_mode_16_64 0
		.amdhsa_float_denorm_mode_32 3
		.amdhsa_float_denorm_mode_16_64 3
		.amdhsa_dx10_clamp 1
		.amdhsa_ieee_mode 1
		.amdhsa_fp16_overflow 0
		.amdhsa_tg_split 0
		.amdhsa_exception_fp_ieee_invalid_op 0
		.amdhsa_exception_fp_denorm_src 0
		.amdhsa_exception_fp_ieee_div_zero 0
		.amdhsa_exception_fp_ieee_overflow 0
		.amdhsa_exception_fp_ieee_underflow 0
		.amdhsa_exception_fp_ieee_inexact 0
		.amdhsa_exception_int_div_zero 0
	.end_amdhsa_kernel
	.section	.text._ZN12_GLOBAL__N_139chunk_gated_delta_rule_fwd_h_hip_kernelILi16ELb0ELb0ELb1ELb0ELb1ELb1ELb0ELb1EEEvPK12hip_bfloat16S3_S3_PKfS5_PKvPS1_S8_PvPKiSB_iiiiilll,"axG",@progbits,_ZN12_GLOBAL__N_139chunk_gated_delta_rule_fwd_h_hip_kernelILi16ELb0ELb0ELb1ELb0ELb1ELb1ELb0ELb1EEEvPK12hip_bfloat16S3_S3_PKfS5_PKvPS1_S8_PvPKiSB_iiiiilll,comdat
.Lfunc_end543:
	.size	_ZN12_GLOBAL__N_139chunk_gated_delta_rule_fwd_h_hip_kernelILi16ELb0ELb0ELb1ELb0ELb1ELb1ELb0ELb1EEEvPK12hip_bfloat16S3_S3_PKfS5_PKvPS1_S8_PvPKiSB_iiiiilll, .Lfunc_end543-_ZN12_GLOBAL__N_139chunk_gated_delta_rule_fwd_h_hip_kernelILi16ELb0ELb0ELb1ELb0ELb1ELb1ELb0ELb1EEEvPK12hip_bfloat16S3_S3_PKfS5_PKvPS1_S8_PvPKiSB_iiiiilll
                                        ; -- End function
	.section	.AMDGPU.csdata,"",@progbits
; Kernel info:
; codeLenInByte = 7468
; NumSgprs: 74
; NumVgprs: 114
; NumAgprs: 12
; TotalNumVgprs: 128
; ScratchSize: 0
; MemoryBound: 0
; FloatMode: 240
; IeeeMode: 1
; LDSByteSize: 40960 bytes/workgroup (compile time only)
; SGPRBlocks: 9
; VGPRBlocks: 15
; NumSGPRsForWavesPerEU: 74
; NumVGPRsForWavesPerEU: 128
; AccumOffset: 116
; Occupancy: 1
; WaveLimiterHint : 1
; COMPUTE_PGM_RSRC2:SCRATCH_EN: 0
; COMPUTE_PGM_RSRC2:USER_SGPR: 2
; COMPUTE_PGM_RSRC2:TRAP_HANDLER: 0
; COMPUTE_PGM_RSRC2:TGID_X_EN: 1
; COMPUTE_PGM_RSRC2:TGID_Y_EN: 1
; COMPUTE_PGM_RSRC2:TGID_Z_EN: 0
; COMPUTE_PGM_RSRC2:TIDIG_COMP_CNT: 0
; COMPUTE_PGM_RSRC3_GFX90A:ACCUM_OFFSET: 28
; COMPUTE_PGM_RSRC3_GFX90A:TG_SPLIT: 0
	.section	.text._ZN12_GLOBAL__N_139chunk_gated_delta_rule_fwd_h_hip_kernelILi16ELb0ELb0ELb0ELb0ELb1ELb1ELb0ELb1EEEvPK12hip_bfloat16S3_S3_PKfS5_PKvPS1_S8_PvPKiSB_iiiiilll,"axG",@progbits,_ZN12_GLOBAL__N_139chunk_gated_delta_rule_fwd_h_hip_kernelILi16ELb0ELb0ELb0ELb0ELb1ELb1ELb0ELb1EEEvPK12hip_bfloat16S3_S3_PKfS5_PKvPS1_S8_PvPKiSB_iiiiilll,comdat
	.globl	_ZN12_GLOBAL__N_139chunk_gated_delta_rule_fwd_h_hip_kernelILi16ELb0ELb0ELb0ELb0ELb1ELb1ELb0ELb1EEEvPK12hip_bfloat16S3_S3_PKfS5_PKvPS1_S8_PvPKiSB_iiiiilll ; -- Begin function _ZN12_GLOBAL__N_139chunk_gated_delta_rule_fwd_h_hip_kernelILi16ELb0ELb0ELb0ELb0ELb1ELb1ELb0ELb1EEEvPK12hip_bfloat16S3_S3_PKfS5_PKvPS1_S8_PvPKiSB_iiiiilll
	.p2align	8
	.type	_ZN12_GLOBAL__N_139chunk_gated_delta_rule_fwd_h_hip_kernelILi16ELb0ELb0ELb0ELb0ELb1ELb1ELb0ELb1EEEvPK12hip_bfloat16S3_S3_PKfS5_PKvPS1_S8_PvPKiSB_iiiiilll,@function
_ZN12_GLOBAL__N_139chunk_gated_delta_rule_fwd_h_hip_kernelILi16ELb0ELb0ELb0ELb0ELb1ELb1ELb0ELb1EEEvPK12hip_bfloat16S3_S3_PKfS5_PKvPS1_S8_PvPKiSB_iiiiilll: ; @_ZN12_GLOBAL__N_139chunk_gated_delta_rule_fwd_h_hip_kernelILi16ELb0ELb0ELb0ELb0ELb1ELb1ELb0ELb1EEEvPK12hip_bfloat16S3_S3_PKfS5_PKvPS1_S8_PvPKiSB_iiiiilll
; %bb.0:
	s_load_dwordx4 s[12:15], s[0:1], 0x5c
	s_load_dwordx2 s[36:37], s[0:1], 0x30
	s_abs_i32 s18, s3
	s_ashr_i32 s17, s3, 31
	s_load_dwordx8 s[4:11], s[0:1], 0x0
	s_waitcnt lgkmcnt(0)
	s_abs_i32 s16, s13
	v_cvt_f32_u32_e32 v1, s16
	s_sub_i32 s20, 0, s16
	s_ashr_i32 s19, s13, 31
	s_xor_b32 s17, s17, s19
	v_rcp_iflag_f32_e32 v1, v1
	v_lshrrev_b32_e32 v59, 6, v0
	v_bfe_u32 v60, v0, 4, 2
	v_lshlrev_b32_e32 v45, 4, v59
	v_mul_f32_e32 v1, 0x4f7ffffe, v1
	v_cvt_u32_f32_e32 v1, v1
	v_lshlrev_b32_e32 v2, 2, v60
	v_and_b32_e32 v58, 63, v0
	v_or_b32_e32 v63, v2, v45
	v_readfirstlane_b32 s21, v1
	s_mul_i32 s20, s20, s21
	s_mul_hi_u32 s20, s21, s20
	s_add_i32 s21, s21, s20
	s_mul_hi_u32 s20, s18, s21
	s_mul_i32 s21, s20, s16
	s_sub_i32 s18, s18, s21
	s_add_i32 s22, s20, 1
	s_sub_i32 s21, s18, s16
	s_cmp_ge_u32 s18, s16
	s_cselect_b32 s20, s22, s20
	s_cselect_b32 s18, s21, s18
	s_add_i32 s21, s20, 1
	s_cmp_ge_u32 s18, s16
	s_cselect_b32 s18, s21, s20
	s_abs_i32 s20, s14
	v_cvt_f32_u32_e32 v1, s20
	s_xor_b32 s18, s18, s17
	s_ashr_i32 s46, s12, 31
	s_sub_i32 s48, s18, s17
	v_rcp_iflag_f32_e32 v1, v1
	s_lshr_b32 s17, s46, 26
	s_add_i32 s17, s12, s17
	s_ashr_i32 s49, s14, 31
	v_mul_f32_e32 v1, 0x4f7ffffe, v1
	v_cvt_u32_f32_e32 v1, v1
	s_ashr_i32 s47, s17, 6
	s_xor_b32 s17, s19, s49
	s_sub_i32 s18, 0, s20
	v_readfirstlane_b32 s19, v1
	s_mul_i32 s18, s18, s19
	s_mul_hi_u32 s18, s19, s18
	s_add_i32 s19, s19, s18
	s_mul_hi_u32 s18, s16, s19
	s_mul_i32 s19, s18, s20
	s_mul_i32 s45, s48, s13
	s_sub_i32 s16, s16, s19
	s_sub_i32 s33, s3, s45
	s_add_i32 s3, s12, 63
	s_add_i32 s19, s18, 1
	s_sub_i32 s21, s16, s20
	s_cmp_ge_u32 s16, s20
	s_cselect_b32 s18, s19, s18
	s_cselect_b32 s16, s21, s16
	s_add_i32 s19, s18, 1
	s_cmp_ge_u32 s16, s20
	s_cselect_b32 s16, s19, s18
	s_xor_b32 s16, s16, s17
	s_sub_i32 s20, s16, s17
	s_abs_i32 s21, s20
	v_cvt_f32_u32_e32 v1, s21
	s_sub_i32 s23, 0, s21
	s_abs_i32 s22, s33
	s_xor_b32 s20, s33, s20
	v_rcp_iflag_f32_e32 v1, v1
	s_ashr_i32 s20, s20, 31
	s_load_dwordx2 s[28:29], s[0:1], 0x80
	s_load_dwordx4 s[16:19], s[0:1], 0x70
	v_mov_b32_e32 v49, 0
	v_mul_f32_e32 v1, 0x4f7ffffe, v1
	v_cvt_u32_f32_e32 v1, v1
	v_or_b32_e32 v64, 64, v63
	s_mul_hi_i32 s51, s48, s13
	v_lshrrev_b32_e32 v62, 3, v58
	v_readfirstlane_b32 s24, v1
	s_mul_i32 s23, s23, s24
	s_mul_hi_u32 s23, s24, s23
	s_add_i32 s24, s24, s23
	s_mul_hi_u32 s23, s22, s24
	s_mul_i32 s24, s23, s21
	s_sub_i32 s22, s22, s24
	s_add_i32 s24, s23, 1
	s_sub_i32 s25, s22, s21
	s_cmp_ge_u32 s22, s21
	s_cselect_b32 s23, s24, s23
	s_cselect_b32 s22, s25, s22
	s_add_i32 s24, s23, 1
	s_cmp_ge_u32 s22, s21
	s_cselect_b32 s21, s24, s23
	s_xor_b32 s21, s21, s20
	s_sub_i32 s52, s21, s20
	s_ashr_i32 s20, s3, 31
	s_lshr_b32 s20, s20, 26
	s_add_i32 s3, s3, s20
	s_ashr_i32 s3, s3, 6
	s_lshl_b32 s30, s2, 4
	s_mul_i32 s50, s48, s3
	v_and_b32_e32 v1, 15, v0
	s_cmp_lt_i32 s12, 64
	v_lshlrev_b32_e32 v61, 3, v0
	s_waitcnt lgkmcnt(0)
	s_mul_i32 s17, s48, s17
	s_mul_hi_u32 s44, s48, s16
	s_mul_i32 s34, s48, s16
	v_mov_b32_e32 v48, v49
	v_mov_b32_e32 v51, v49
	;; [unrolled: 1-line block ×7, first 2 shown]
	s_cbranch_scc1 .LBB544_18
; %bb.1:
	s_ashr_i32 s24, s48, 31
	s_ashr_i32 s54, s33, 31
	s_add_u32 s2, s45, s33
	s_addc_u32 s3, s51, s54
	s_mul_i32 s3, s12, s3
	s_mul_hi_u32 s20, s12, s2
	s_add_i32 s39, s20, s3
	s_mul_i32 s38, s12, s2
	s_lshl_b64 s[2:3], s[38:39], 8
	v_and_b32_e32 v66, 56, v61
	s_add_u32 s20, s6, s2
	v_lshl_or_b32 v65, v59, 3, v62
	v_lshlrev_b32_e32 v3, 1, v66
	s_addc_u32 s2, s7, s3
	v_lshl_or_b32 v67, v65, 8, v3
	s_and_b32 s21, s2, 0xffff
	s_mov_b32 s23, 0x20000
	s_movk_i32 s22, 0x4000
	s_movk_i32 s2, 0x80
	v_or_b32_e32 v68, 0x2000, v67
	buffer_load_dwordx4 v[4:7], v67, s[20:23], 0 offen
	buffer_load_dwordx4 v[8:11], v67, s[20:23], s2 offen
	buffer_load_dwordx4 v[12:15], v68, s[20:23], 0 offen
	buffer_load_dwordx4 v[16:19], v68, s[20:23], s2 offen
	v_lshlrev_b32_e32 v20, 3, v65
	v_and_or_b32 v22, v0, 7, v20
	v_and_b32_e32 v20, 0x78, v20
	v_lshlrev_b32_e32 v22, 4, v22
	v_xor_b32_e32 v69, v22, v20
	v_mul_lo_u32 v21, v65, s15
	v_or_b32_e32 v70, 0x1000, v69
	s_cmpk_eq_i32 s15, 0x80
	s_mov_b32 s53, s14
	v_xor_b32_e32 v20, 8, v69
	v_xor_b32_e32 v22, 8, v70
	s_cselect_b64 s[2:3], -1, 0
	s_cmpk_lg_i32 s15, 0x80
	s_waitcnt vmcnt(3)
	ds_write_b64 v69, v[4:5] offset:16384
	ds_write_b64 v20, v[6:7] offset:16384
	s_waitcnt vmcnt(2)
	ds_write_b64 v69, v[8:9] offset:24576
	ds_write_b64 v20, v[10:11] offset:24576
	;; [unrolled: 3-line block ×4, first 2 shown]
	v_lshl_add_u32 v4, v21, 1, v66
	s_cbranch_scc0 .LBB544_3
; %bb.2:
	v_lshlrev_b32_e32 v6, 1, v4
	v_add_lshl_u32 v5, v4, s15, 1
	s_lshl_b32 s22, s15, 7
	s_load_dwordx2 s[40:41], s[0:1], 0x20
	v_lshl_or_b32 v3, v65, 9, v3
	s_cbranch_execz .LBB544_4
	s_branch .LBB544_5
.LBB544_3:
                                        ; implicit-def: $vgpr5
                                        ; implicit-def: $vgpr6
                                        ; implicit-def: $sgpr22
	s_load_dwordx2 s[40:41], s[0:1], 0x20
	v_lshl_or_b32 v3, v65, 9, v3
.LBB544_4:
	v_or_b32_e32 v5, 0x100, v3
	s_movk_i32 s22, 0x4000
	v_mov_b32_e32 v6, v3
.LBB544_5:
	s_mul_hi_u32 s0, s14, s12
	s_mul_i32 s1, s49, s12
	s_add_i32 s0, s0, s1
	s_mul_i32 s1, s14, s12
	s_mul_i32 s20, s1, s24
	s_mul_hi_u32 s21, s1, s48
	s_add_i32 s20, s21, s20
	s_mul_i32 s0, s0, s48
	s_add_i32 s20, s20, s0
	s_mul_i32 s1, s1, s48
	s_ashr_i32 s55, s52, 31
	s_add_u32 s0, s1, s52
	s_addc_u32 s1, s20, s55
	s_lshl_b64 s[0:1], s[0:1], 8
	s_add_u32 s20, s4, s0
	s_addc_u32 s0, s5, s1
	s_and_b32 s21, s0, 0xffff
	s_movk_i32 s56, 0x80
	buffer_load_dwordx4 v[8:11], v6, s[20:23], 0 offen
	buffer_load_dwordx4 v[12:15], v6, s[20:23], s56 offen
	;; [unrolled: 1-line block ×4, first 2 shown]
	v_and_b32_e32 v5, 6, v0
	s_mul_i32 s0, s24, s12
	s_mul_hi_u32 s1, s48, s12
	v_lshlrev_b32_e32 v7, 2, v1
	v_lshlrev_b32_e32 v24, 3, v1
	v_xor_b32_e32 v26, v65, v5
	v_and_b32_e32 v6, 1, v0
	s_mul_i32 s24, s24, s16
	v_lshl_or_b32 v24, v63, 5, v24
	v_xor_b32_e32 v27, v63, v7
	v_lshlrev_b32_e32 v26, 2, v26
	s_add_i32 s61, s1, s0
	s_add_i32 s0, s44, s17
	v_or_b32_e32 v71, 0x9000, v24
	v_or_b32_e32 v72, 0x9800, v24
	v_lshlrev_b32_e32 v24, 1, v27
	v_xor_b32_e32 v27, 0x440, v26
	v_cmp_eq_u32_e32 vcc, 0, v6
	s_add_i32 s35, s0, s24
	s_mul_i32 s0, s33, s19
	s_mul_hi_u32 s1, s33, s18
	v_cndmask_b32_e32 v6, v27, v26, vcc
	s_add_i32 s0, s1, s0
	s_mul_i32 s1, s54, s18
	s_mov_b32 s59, 0x1000504
	v_lshlrev_b32_e32 v25, 8, v1
	s_mov_b32 s22, 0x8000
	v_xor_b32_e32 v7, v64, v7
	v_lshl_or_b32 v5, v5, 10, v6
	s_add_i32 s1, s0, s1
	s_lshl_b64 s[20:21], s[34:35], 2
	s_mov_b32 s60, 0x3020706
	v_lshlrev_b32_e32 v7, 1, v7
	v_or3_b32 v73, v24, v25, s22
	v_xor_b32_e32 v6, 8, v5
	v_xor_b32_e32 v24, 24, v5
	;; [unrolled: 1-line block ×4, first 2 shown]
	s_mul_i32 s0, s33, s18
	s_add_u32 s20, s10, s20
	v_or3_b32 v74, v7, v25, s22
	v_xor_b32_e32 v7, 16, v5
	v_xor_b32_e32 v25, 32, v5
	;; [unrolled: 1-line block ×3, first 2 shown]
	v_add_u32_e32 v6, 0x80, v6
	v_add_u32_e32 v24, 0x80, v24
	v_add_u32_e32 v26, 0x80, v26
	v_add_u32_e32 v28, 0x80, v28
	s_addc_u32 s21, s11, s21
	s_lshl_b64 s[0:1], s[0:1], 2
	s_add_u32 s42, s20, s0
	s_movk_i32 s0, 0xf8
	s_addc_u32 s43, s21, s1
	s_ashr_i32 s31, s30, 31
	s_lshl_b32 s26, s15, 7
	v_mov_b32_e32 v47, 0
	s_mul_i32 s57, s48, s12
	s_mov_b32 s58, 0
	v_add_u32_e32 v85, v45, v2
	s_mov_b32 s35, 0x7060302
	s_mov_b32 s63, 0
	v_mov_b32_e32 v52, v47
	v_mov_b32_e32 v53, v47
	;; [unrolled: 1-line block ×6, first 2 shown]
	s_waitcnt vmcnt(1)
	v_perm_b32 v29, v8, v16, s59
	s_waitcnt vmcnt(0)
	v_perm_b32 v30, v12, v20, s59
	v_perm_b32 v8, v8, v16, s60
	;; [unrolled: 1-line block ×15, first 2 shown]
	ds_write2st64_b32 v5, v29, v30 offset1:32
	ds_write2st64_b32 v6, v8, v12 offset1:32
	ds_write2st64_b32 v7, v16, v20 offset0:1 offset1:33
	ds_write2st64_b32 v24, v9, v13 offset0:1 offset1:33
	;; [unrolled: 1-line block ×6, first 2 shown]
	v_or_b32_e32 v5, v45, v1
	v_lshlrev_b32_e32 v5, 3, v5
	v_lshrrev_b32_e32 v7, 5, v58
	v_and_or_b32 v7, v5, s0, v7
	v_lshlrev_b32_e32 v7, 4, v7
	v_lshrrev_b32_e32 v6, 2, v58
	v_lshlrev_b32_e32 v9, 11, v59
	v_and_b32_e32 v5, 0x78, v5
	v_or_b32_e32 v12, 32, v7
	v_and_b32_e32 v8, 12, v6
	v_and_b32_e32 v6, 0x1000, v9
	v_lshrrev_b32_e32 v11, 1, v58
	v_xor_b32_e32 v12, v12, v5
	v_and_b32_e32 v11, 8, v11
	v_or_b32_e32 v12, v12, v6
	v_xor_b32_e32 v10, v7, v5
	v_xor_b32_e32 v77, v12, v11
	v_or_b32_e32 v12, 64, v7
	v_or_b32_e32 v7, 0x60, v7
	;; [unrolled: 1-line block ×3, first 2 shown]
	v_xor_b32_e32 v12, v12, v5
	v_xor_b32_e32 v5, v7, v5
	;; [unrolled: 1-line block ×3, first 2 shown]
	v_and_b32_e32 v10, 0x78, v61
	v_or_b32_e32 v5, v5, v6
	v_lshl_or_b32 v10, v60, 7, v10
	v_or_b32_e32 v12, v12, v6
	v_xor_b32_e32 v79, v5, v11
	v_lshlrev_b32_e32 v5, 1, v1
	v_or_b32_e32 v76, 0x9000, v10
	v_xor_b32_e32 v78, v12, v11
	v_or_b32_e32 v80, 0x9800, v10
	v_lshlrev_b32_e32 v10, 1, v4
	v_add_lshl_u32 v11, v4, s15, 1
	v_lshrrev_b32_e32 v4, 4, v0
	s_lshl_b64 s[0:1], s[30:31], 8
	v_or_b32_e32 v13, 1, v5
	s_add_u32 s0, s36, s0
	v_xor_b32_e32 v5, v4, v5
	v_xor_b32_e32 v13, v13, v4
	s_addc_u32 s1, s37, s1
	v_lshlrev_b32_e32 v5, 3, v5
	v_lshlrev_b32_e32 v46, 8, v4
	;; [unrolled: 1-line block ×3, first 2 shown]
	v_lshrrev_b32_e32 v17, 1, v0
	v_or3_b32 v81, v5, v46, s22
	v_or3_b32 v82, v4, v46, s22
	v_lshl_add_u64 v[4:5], s[0:1], 0, v[46:47]
	v_lshlrev_b32_e32 v46, 4, v1
	s_movk_i32 s0, 0xff
	v_lshlrev_b32_e32 v16, 3, v59
	v_and_b32_e32 v17, 24, v17
	v_lshl_add_u64 v[54:55], v[4:5], 0, v[46:47]
	v_and_b32_e32 v5, 8, v0
	v_cmp_lt_u32_e32 vcc, s0, v0
	v_xor_b32_e32 v18, v16, v17
	v_or_b32_e32 v19, 0x440, v18
	v_cndmask_b32_e64 v15, 0, 1, vcc
	v_cmp_eq_u32_e32 vcc, 0, v5
	v_or_b32_e32 v21, 64, v17
	v_xor_b32_e32 v21, v16, v21
	v_cndmask_b32_e32 v5, v19, v18, vcc
	v_or_b32_e32 v19, 32, v17
	v_or_b32_e32 v17, 0x60, v17
	v_xor_b32_e32 v19, v16, v19
	v_xor_b32_e32 v16, v16, v17
	v_or_b32_e32 v20, 0x440, v19
	v_xor_b32_e32 v22, 0x440, v21
	v_xor_b32_e32 v17, 0x440, v16
	v_and_b32_e32 v4, 7, v0
	v_cndmask_b32_e32 v19, v20, v19, vcc
	v_cndmask_b32_e32 v21, v22, v21, vcc
	;; [unrolled: 1-line block ×3, first 2 shown]
	v_or_b32_e32 v6, s30, v1
	v_lshlrev_b32_e32 v13, 3, v4
	v_or_b32_e32 v5, v5, v9
	v_or_b32_e32 v19, v19, v9
	;; [unrolled: 1-line block ×4, first 2 shown]
	v_ashrrev_i32_e32 v7, 31, v6
	v_lshlrev_b32_e32 v15, 13, v15
	v_xor_b32_e32 v5, v5, v13
	v_xor_b32_e32 v19, v19, v13
	;; [unrolled: 1-line block ×4, first 2 shown]
	v_lshl_add_u64 v[6:7], v[6:7], 1, s[8:9]
	v_or_b32_e32 v12, 0x100, v3
	v_lshlrev_b32_e32 v14, 7, v4
	v_or_b32_e32 v4, v8, v45
	v_add_u32_e32 v18, v15, v5
	v_add_u32_e32 v20, v15, v19
	v_add_u32_e32 v22, v15, v21
	v_add_u32_e32 v13, v15, v9
	v_or3_b32 v8, v45, v8, 64
	v_add_u32_e32 v5, 0x2000, v5
	v_add_u32_e32 v15, 0x2000, v19
	;; [unrolled: 1-line block ×4, first 2 shown]
	v_lshlrev_b32_e32 v46, 8, v63
	v_cndmask_b32_e64 v83, v10, v3, s[2:3]
	v_cndmask_b32_e64 v84, v11, v12, s[2:3]
	v_lshl_add_u64 v[56:57], v[6:7], 0, v[46:47]
	s_add_i32 s31, s57, 63
	s_movk_i32 s22, 0x4000
	v_lshlrev_b32_e32 v86, 2, v4
	v_add_u32_e32 v87, v18, v14
	v_add_u32_e32 v88, v20, v14
	;; [unrolled: 1-line block ×4, first 2 shown]
	v_lshlrev_b32_e32 v91, 2, v8
	v_add_u32_e32 v92, v5, v14
	v_add_u32_e32 v93, v15, v14
	;; [unrolled: 1-line block ×4, first 2 shown]
	v_mov_b32_e32 v46, v47
	s_waitcnt lgkmcnt(0)
	s_barrier
.LBB544_6:                              ; =>This Inner Loop Header: Depth=1
	s_add_i32 s62, s63, 1
	s_cmp_lt_i32 s62, s47
	s_mov_b64 s[24:25], 0
	s_cselect_b64 s[2:3], -1, 0
	s_cmp_ge_i32 s62, s47
	s_mov_b64 s[20:21], 0
	s_cbranch_scc1 .LBB544_8
; %bb.7:                                ;   in Loop: Header=BB544_6 Depth=1
	s_add_i32 s0, s58, 64
	s_add_u32 s0, s38, s0
	s_addc_u32 s1, s39, 0
	s_lshl_b64 s[0:1], s[0:1], 8
	s_add_u32 s20, s6, s0
	s_addc_u32 s21, s7, s1
.LBB544_8:                              ;   in Loop: Header=BB544_6 Depth=1
	v_cndmask_b32_e64 v2, 0, 1, s[2:3]
	v_cmp_ne_u32_e64 s[0:1], 1, v2
	s_andn2_b64 vcc, exec, s[2:3]
	s_cbranch_vccnz .LBB544_10
; %bb.9:                                ;   in Loop: Header=BB544_6 Depth=1
	s_add_i32 s2, s58, 64
	s_add_u32 s2, s57, s2
	s_addc_u32 s3, s61, 0
	s_mul_i32 s24, s2, s49
	s_mul_hi_u32 s25, s2, s53
	s_add_i32 s24, s25, s24
	s_mul_i32 s3, s3, s53
	s_add_i32 s24, s24, s3
	s_mul_i32 s2, s2, s53
	s_add_u32 s2, s2, s52
	s_addc_u32 s3, s24, s55
	s_lshl_b64 s[2:3], s[2:3], 8
	s_add_u32 s24, s4, s2
	s_addc_u32 s25, s5, s3
.LBB544_10:                             ;   in Loop: Header=BB544_6 Depth=1
	v_perm_b32 v3, v53, v52, s35
	v_perm_b32 v2, v47, v46, s35
	;; [unrolled: 1-line block ×4, first 2 shown]
	ds_write_b64 v71, v[2:3]
	ds_write_b64 v72, v[4:5]
	ds_write_b64 v73, v[2:3]
	ds_write_b64 v74, v[4:5]
	s_waitcnt lgkmcnt(0)
	s_barrier
	ds_read_b64 v[10:11], v75 offset:16384
	ds_read_b64 v[12:13], v77 offset:16384
	ds_read2st64_b64 v[2:5], v76 offset1:1
	ds_read2st64_b64 v[6:9], v76 offset0:2 offset1:3
	ds_read_b64 v[14:15], v78 offset:16384
	s_waitcnt lgkmcnt(2)
	v_mfma_f32_16x16x16_bf16 a[0:3], v[10:11], v[2:3], 0
	ds_read_b64 v[2:3], v79 offset:16384
	s_add_i32 s2, s58, 63
	s_mul_i32 s3, s2, s29
	v_mfma_f32_16x16x16_bf16 a[0:3], v[12:13], v[4:5], a[0:3]
	s_mul_hi_u32 s27, s2, s28
	s_add_i32 s3, s27, s3
	s_mul_i32 s2, s2, s28
	s_waitcnt lgkmcnt(1)
	v_mfma_f32_16x16x16_bf16 a[0:3], v[14:15], v[6:7], a[0:3]
	s_lshl_b64 s[2:3], s[2:3], 2
	s_add_u32 s2, s42, s2
	s_addc_u32 s3, s43, s3
	s_waitcnt lgkmcnt(0)
	v_mfma_f32_16x16x16_bf16 a[0:3], v[2:3], v[8:9], a[0:3]
	s_and_b64 vcc, exec, s[0:1]
	v_mov_b32_e32 v98, 0
	v_mov_b32_e32 v97, 0
	;; [unrolled: 1-line block ×19, first 2 shown]
	s_cbranch_vccnz .LBB544_12
; %bb.11:                               ;   in Loop: Header=BB544_6 Depth=1
	s_and_b32 s21, s21, 0xffff
	buffer_load_dwordx4 v[14:17], v67, s[20:23], 0 offen
	buffer_load_dwordx4 v[10:13], v67, s[20:23], s56 offen
	;; [unrolled: 1-line block ×4, first 2 shown]
	v_mov_b32_e32 v97, v69
	v_mov_b32_e32 v96, v70
.LBB544_12:                             ;   in Loop: Header=BB544_6 Depth=1
	v_add_u32_e32 v24, s58, v85
	v_ashrrev_i32_e32 v18, 31, v24
	v_mul_lo_u32 v20, v18, s28
	v_mul_lo_u32 v21, v24, s29
	v_mad_u64_u32 v[18:19], s[20:21], v24, s28, 0
	v_add3_u32 v19, v19, v21, v20
	v_add_u32_e32 v20, 1, v24
	v_ashrrev_i32_e32 v21, 31, v20
	v_mul_lo_u32 v22, v21, s28
	v_mul_lo_u32 v23, v20, s29
	v_mad_u64_u32 v[20:21], s[20:21], v20, s28, 0
	v_add3_u32 v21, v21, v23, v22
	v_add_u32_e32 v22, 2, v24
	v_ashrrev_i32_e32 v23, 31, v22
	v_mul_lo_u32 v25, v23, s28
	v_mul_lo_u32 v26, v22, s29
	v_mad_u64_u32 v[22:23], s[20:21], v22, s28, 0
	v_add_u32_e32 v24, 3, v24
	v_add3_u32 v23, v23, v26, v25
	v_ashrrev_i32_e32 v25, 31, v24
	v_mul_lo_u32 v28, v25, s28
	v_mul_lo_u32 v29, v24, s29
	v_mad_u64_u32 v[24:25], s[20:21], v24, s28, 0
	s_add_u32 s20, s38, s58
	s_addc_u32 s21, s39, 0
	s_lshl_b64 s[20:21], s[20:21], 8
	v_lshl_add_u64 v[18:19], v[18:19], 2, s[42:43]
	v_lshl_add_u64 v[26:27], v[56:57], 0, s[20:21]
	;; [unrolled: 1-line block ×3, first 2 shown]
	global_load_ushort v42, v[26:27], off
	global_load_ushort v43, v[26:27], off offset:256
	global_load_ushort v44, v[26:27], off offset:512
	;; [unrolled: 1-line block ×3, first 2 shown]
	v_add3_u32 v25, v25, v29, v28
	global_load_dword v101, v[18:19], off
	v_lshl_add_u64 v[22:23], v[22:23], 2, s[42:43]
	v_lshl_add_u64 v[18:19], v[24:25], 2, s[42:43]
	global_load_dword v102, v[20:21], off
	global_load_dword v103, v[22:23], off
	;; [unrolled: 1-line block ×3, first 2 shown]
	s_load_dword s2, s[2:3], 0x0
	ds_read2st64_b64 v[26:29], v80 offset1:1
	ds_read2st64_b64 v[32:35], v80 offset0:2 offset1:3
	ds_read_b64 v[30:31], v75 offset:24576
	ds_read_b64 v[36:37], v77 offset:24576
	;; [unrolled: 1-line block ×4, first 2 shown]
	s_waitcnt lgkmcnt(0)
	v_mfma_f32_16x16x16_bf16 a[0:3], v[30:31], v[26:27], a[0:3]
	v_mov_b32_e32 v99, 0
	v_mov_b32_e32 v18, 0
	v_mov_b32_e32 v19, 0
	v_mfma_f32_16x16x16_bf16 a[0:3], v[36:37], v[28:29], a[0:3]
	v_mov_b32_e32 v20, 0
	v_mov_b32_e32 v21, 0
	v_mov_b32_e32 v22, 0
	;; [unrolled: 4-line block ×4, first 2 shown]
	v_mov_b32_e32 v29, 0
	v_mov_b32_e32 v30, 0
	;; [unrolled: 1-line block ×4, first 2 shown]
	v_accvgpr_read_b32 v37, a1
	v_accvgpr_read_b32 v35, a3
	;; [unrolled: 1-line block ×4, first 2 shown]
	s_and_b64 vcc, exec, s[0:1]
	s_waitcnt vmcnt(7)
	v_lshlrev_b32_e32 v38, 16, v42
	s_waitcnt vmcnt(6)
	v_lshlrev_b32_e32 v39, 16, v43
	;; [unrolled: 2-line block ×4, first 2 shown]
	v_pk_add_f32 v[36:37], v[38:39], v[36:37] neg_lo:[0,1] neg_hi:[0,1]
	s_waitcnt vmcnt(3)
	v_sub_f32_e32 v33, s2, v101
	v_exp_f32_e32 v42, v33
	s_waitcnt vmcnt(2)
	v_sub_f32_e32 v33, s2, v102
	s_waitcnt vmcnt(1)
	v_sub_f32_e32 v44, s2, v103
	;; [unrolled: 2-line block ×3, first 2 shown]
	v_exp_f32_e32 v43, v33
	v_exp_f32_e32 v100, v44
	;; [unrolled: 1-line block ×3, first 2 shown]
	v_pk_add_f32 v[34:35], v[40:41], v[34:35] neg_lo:[0,1] neg_hi:[0,1]
	v_pk_mul_f32 v[36:37], v[42:43], v[36:37]
	v_mov_b32_e32 v33, 0
	v_pk_mul_f32 v[34:35], v[100:101], v[34:35]
	s_nop 0
	v_perm_b32 v35, v35, v34, s35
	v_perm_b32 v34, v37, v36, s35
	ds_write_b64 v72, v[34:35]
	s_cbranch_vccnz .LBB544_14
; %bb.13:                               ;   in Loop: Header=BB544_6 Depth=1
	s_and_b32 s25, s25, 0xffff
	s_mov_b32 s27, s23
	buffer_load_dwordx4 v[30:33], v83, s[24:27], 0 offen
	buffer_load_dwordx4 v[22:25], v83, s[24:27], s56 offen
	;; [unrolled: 1-line block ×4, first 2 shown]
	v_mov_b32_e32 v98, v66
	v_mov_b32_e32 v99, v65
.LBB544_14:                             ;   in Loop: Header=BB544_6 Depth=1
	s_waitcnt lgkmcnt(0)
	s_barrier
	ds_read_b64 v[34:35], v87
	ds_read_b64 v[40:41], v88
	ds_read2st64_b64 v[36:39], v80 offset1:1
	ds_read2st64_b64 v[100:103], v80 offset0:2 offset1:3
	ds_read_b64 v[42:43], v89
	ds_read_b64 v[108:109], v90
	s_add_i32 s3, s50, s63
	s_mul_hi_i32 s21, s3, s13
	s_mul_i32 s3, s3, s13
	s_waitcnt lgkmcnt(3)
	v_mfma_f32_16x16x16_bf16 a[0:3], v[34:35], v[36:37], 0
	ds_read_b64 v[34:35], v92
	s_add_u32 s20, s3, s33
	s_addc_u32 s21, s21, s54
	s_add_i32 s3, s31, s58
	v_mfma_f32_16x16x16_bf16 a[0:3], v[40:41], v[38:39], a[0:3]
	ds_read_b64 v[40:41], v93
	s_lshl_b64 s[20:21], s[20:21], 15
	s_mul_hi_i32 s25, s3, s13
	s_mul_i32 s3, s3, s13
	s_add_u32 s24, s3, s33
	s_addc_u32 s25, s25, s54
	s_lshl_b64 s[24:25], s[24:25], 9
	s_add_u32 s24, s40, s24
	s_waitcnt lgkmcnt(1)
	v_mfma_f32_16x16x16_bf16 a[4:7], v[34:35], v[36:37], 0
	s_addc_u32 s25, s41, s25
	s_and_b64 vcc, exec, s[0:1]
	v_mfma_f32_16x16x16_bf16 a[0:3], v[42:43], v[100:101], a[0:3]
	ds_read_b64 v[42:43], v94
	ds_read_b64 v[110:111], v95
	global_load_dwordx4 v[34:37], v91, s[24:25]
	s_waitcnt lgkmcnt(2)
	v_mfma_f32_16x16x16_bf16 a[4:7], v[40:41], v[38:39], a[4:7]
	global_load_dwordx4 v[38:41], v86, s[24:25]
	ds_read_b64 v[104:105], v81
	ds_read_b64 v[106:107], v82
	s_waitcnt lgkmcnt(3)
	v_mfma_f32_16x16x16_bf16 a[8:11], v[42:43], v[100:101], a[4:7]
	v_lshl_add_u64 v[42:43], v[54:55], 0, s[20:21]
	s_waitcnt lgkmcnt(0)
	global_store_dwordx4 v[42:43], v[104:107], off
	v_mfma_f32_16x16x16_bf16 a[4:7], v[108:109], v[102:103], a[0:3]
	s_waitcnt vmcnt(2)
	v_mov_b32_e32 v44, v37
	v_mfma_f32_16x16x16_bf16 a[0:3], v[110:111], v[102:103], a[8:11]
	v_mov_b32_e32 v43, v36
	v_mov_b32_e32 v42, v35
	s_cbranch_vccnz .LBB544_16
; %bb.15:                               ;   in Loop: Header=BB544_6 Depth=1
	v_lshrrev_b32_e32 v35, 3, v98
	v_and_b32_e32 v35, 6, v35
	v_xor_b32_e32 v36, v35, v99
	v_lshlrev_b32_e32 v36, 2, v36
	v_and_b32_e32 v37, 8, v98
	v_xor_b32_e32 v98, 0x440, v36
	v_cmp_eq_u32_e32 vcc, 0, v37
	v_perm_b32 v37, v22, v18, s59
	s_nop 0
	v_cndmask_b32_e32 v36, v98, v36, vcc
	v_lshl_or_b32 v35, v35, 10, v36
	v_perm_b32 v36, v30, v26, s59
	s_barrier
	ds_write2st64_b32 v35, v36, v37 offset1:32
	v_xor_b32_e32 v36, 8, v35
	v_perm_b32 v26, v30, v26, s60
	v_perm_b32 v18, v22, v18, s60
	v_add_u32_e32 v22, 0x80, v36
	ds_write2st64_b32 v22, v26, v18 offset1:32
	v_xor_b32_e32 v18, 16, v35
	v_perm_b32 v22, v31, v27, s59
	v_perm_b32 v26, v23, v19, s59
	ds_write2st64_b32 v18, v22, v26 offset0:1 offset1:33
	v_xor_b32_e32 v18, 24, v35
	v_perm_b32 v22, v31, v27, s60
	v_perm_b32 v19, v23, v19, s60
	v_add_u32_e32 v18, 0x80, v18
	ds_write2st64_b32 v18, v22, v19 offset0:1 offset1:33
	v_xor_b32_e32 v18, 32, v35
	v_perm_b32 v19, v32, v28, s59
	v_perm_b32 v22, v24, v20, s59
	ds_write2st64_b32 v18, v19, v22 offset0:2 offset1:34
	v_xor_b32_e32 v18, 40, v35
	v_perm_b32 v19, v32, v28, s60
	v_perm_b32 v20, v24, v20, s60
	v_add_u32_e32 v18, 0x80, v18
	ds_write2st64_b32 v18, v19, v20 offset0:2 offset1:34
	;; [unrolled: 9-line block ×3, first 2 shown]
	ds_write_b64 v97, v[14:15] offset:16384
	v_xor_b32_e32 v14, 8, v97
	ds_write_b64 v14, v[16:17] offset:16384
	ds_write_b64 v97, v[10:11] offset:24576
	;; [unrolled: 1-line block ×4, first 2 shown]
	v_xor_b32_e32 v6, 8, v96
	ds_write_b64 v6, v[8:9] offset:16384
	ds_write_b64 v96, v[2:3] offset:24576
	;; [unrolled: 1-line block ×3, first 2 shown]
.LBB544_16:                             ;   in Loop: Header=BB544_6 Depth=1
	v_exp_f32_e32 v10, s2
	s_waitcnt vmcnt(1)
	v_exp_f32_e32 v12, v38
	v_exp_f32_e32 v13, v39
	;; [unrolled: 1-line block ×4, first 2 shown]
	v_accvgpr_read_b32 v2, a4
	v_accvgpr_read_b32 v3, a5
	v_pk_mul_f32 v[12:13], v[10:11], v[12:13] op_sel_hi:[0,1]
	v_pk_fma_f32 v[46:47], v[46:47], v[12:13], v[2:3]
	v_exp_f32_e32 v12, v34
	v_exp_f32_e32 v13, v42
	v_pk_mul_f32 v[2:3], v[10:11], v[14:15] op_sel_hi:[0,1]
	v_exp_f32_e32 v14, v43
	v_exp_f32_e32 v15, v44
	v_accvgpr_read_b32 v4, a6
	v_accvgpr_read_b32 v5, a7
	;; [unrolled: 1-line block ×5, first 2 shown]
	v_pk_fma_f32 v[52:53], v[52:53], v[2:3], v[4:5]
	v_pk_mul_f32 v[2:3], v[10:11], v[12:13] op_sel_hi:[0,1]
	v_accvgpr_read_b32 v8, a2
	v_pk_fma_f32 v[50:51], v[50:51], v[2:3], v[6:7]
	v_pk_mul_f32 v[2:3], v[10:11], v[14:15] op_sel_hi:[0,1]
	s_add_i32 s58, s58, 64
	s_cmp_eq_u32 s47, s62
	v_pk_fma_f32 v[48:49], v[48:49], v[2:3], v[8:9]
	s_cbranch_scc1 .LBB544_18
; %bb.17:                               ;   in Loop: Header=BB544_6 Depth=1
	s_mov_b32 s63, s62
	s_branch .LBB544_6
.LBB544_18:
	s_lshl_b32 s40, s47, 6
	s_sub_i32 s41, s12, s40
	s_cmp_gt_i32 s41, 0
	s_cbranch_scc0 .LBB544_75
; %bb.19:
	s_ashr_i32 s35, s48, 31
	s_ashr_i32 s2, s40, 31
	s_cmpk_lg_i32 s15, 0x80
	s_cselect_b64 s[26:27], -1, 0
	s_and_b64 vcc, exec, s[26:27]
	s_cbranch_vccz .LBB544_21
; %bb.20:
	s_mul_i32 s1, s48, s12
	s_mul_hi_i32 s0, s48, s12
	s_add_u32 s1, s1, s40
	s_addc_u32 s0, s0, s2
	s_mul_i32 s3, s1, s49
	s_mul_hi_u32 s20, s1, s14
	s_add_i32 s3, s20, s3
	s_mul_i32 s0, s0, s14
	s_add_i32 s3, s3, s0
	s_mul_i32 s1, s1, s14
	s_ashr_i32 s0, s52, 31
	s_add_u32 s38, s1, s52
	s_addc_u32 s39, s3, s0
	s_cbranch_execz .LBB544_22
	s_branch .LBB544_23
.LBB544_21:
                                        ; implicit-def: $sgpr38_sgpr39
.LBB544_22:
	s_mul_hi_i32 s0, s48, s14
	s_mul_i32 s48, s48, s14
	s_ashr_i32 s1, s52, 31
	s_add_u32 s3, s48, s52
	s_addc_u32 s0, s0, s1
	s_mul_i32 s1, s3, s46
	s_mul_hi_u32 s14, s3, s12
	s_add_i32 s1, s14, s1
	s_mul_i32 s0, s0, s12
	s_add_i32 s1, s1, s0
	s_mul_i32 s3, s3, s12
	s_add_u32 s38, s3, s40
	s_addc_u32 s39, s1, s2
.LBB544_23:
	s_add_i32 s3, s50, s47
	s_ashr_i32 s14, s33, 31
	s_add_u32 s0, s45, s33
	s_addc_u32 s1, s51, s14
	s_mul_i32 s20, s0, s46
	s_mul_hi_u32 s21, s0, s12
	s_add_i32 s20, s21, s20
	s_mul_i32 s1, s1, s12
	s_add_i32 s20, s20, s1
	s_mul_i32 s0, s0, s12
	s_add_u32 s0, s0, s40
	s_addc_u32 s1, s20, s2
	s_mov_b32 s2, 0x7060302
	v_lshlrev_b32_e32 v6, 3, v1
	s_lshl_b64 s[24:25], s[0:1], 8
	v_perm_b32 v3, v53, v52, s2
	v_perm_b32 v2, v47, v46, s2
	;; [unrolled: 1-line block ×4, first 2 shown]
	v_lshlrev_b32_e32 v34, 2, v1
	v_lshl_or_b32 v6, v63, 5, v6
	s_add_u32 s0, s6, s24
	ds_write2st64_b64 v6, v[2:3], v[4:5] offset0:72 offset1:76
	v_xor_b32_e32 v6, v63, v34
	v_lshlrev_b32_e32 v7, 8, v1
	s_addc_u32 s1, s7, s25
	v_lshl_or_b32 v6, v6, 1, v7
	s_mul_hi_i32 s6, s3, s13
	s_mul_i32 s3, s3, s13
	ds_write_b64 v6, v[2:3] offset:32768
	v_xor_b32_e32 v2, v64, v34
	s_add_u32 s2, s3, s33
	v_lshl_or_b32 v2, v2, 1, v7
	s_addc_u32 s3, s6, s14
	v_lshlrev_b32_e32 v3, 1, v1
	ds_write_b64 v2, v[4:5] offset:32768
	v_lshrrev_b32_e32 v2, 4, v0
	s_ashr_i32 s31, s30, 31
	s_lshl_b64 s[2:3], s[2:3], 15
	v_or_b32_e32 v4, 1, v3
	s_add_u32 s6, s36, s2
	v_xor_b32_e32 v3, v2, v3
	v_xor_b32_e32 v4, v4, v2
	v_lshlrev_b32_e32 v6, 8, v2
	s_addc_u32 s7, s37, s3
	s_lshl_b64 s[2:3], s[30:31], 8
	v_lshl_or_b32 v2, v3, 3, v6
	v_lshl_or_b32 v4, v4, 3, v6
	s_waitcnt lgkmcnt(0)
	s_barrier
	s_add_u32 s2, s6, s2
	ds_read_b64 v[2:3], v2 offset:32768
	ds_read_b64 v[4:5], v4 offset:32768
	s_addc_u32 s3, s7, s3
	v_mov_b32_e32 v7, 0
	s_cmp_lg_u32 s41, 64
	v_lshl_add_u64 v[8:9], s[2:3], 0, v[6:7]
	v_lshlrev_b32_e32 v6, 4, v1
	s_cselect_b64 s[6:7], -1, 0
	v_lshl_or_b32 v35, v59, 3, v62
	s_mov_b32 s20, 0
	v_lshl_add_u64 v[6:7], v[8:9], 0, v[6:7]
	v_or_b32_e32 v19, 32, v35
	v_and_b32_e32 v18, 56, v61
	s_and_b64 vcc, exec, s[6:7]
	s_waitcnt lgkmcnt(0)
	global_store_dwordx4 v[6:7], v[2:5], off
	s_cbranch_vccz .LBB544_29
; %bb.24:
	s_mov_b32 s21, s20
	s_mov_b32 s22, s20
	;; [unrolled: 1-line block ×3, first 2 shown]
	v_mov_b64_e32 v[6:7], s[20:21]
	v_mov_b64_e32 v[8:9], s[22:23]
	;; [unrolled: 1-line block ×3, first 2 shown]
	v_cmp_gt_i32_e32 vcc, s41, v35
	v_mov_b64_e32 v[4:5], v[8:9]
	s_and_saveexec_b64 s[2:3], vcc
	s_cbranch_execz .LBB544_26
; %bb.25:
	v_lshlrev_b32_e32 v2, 8, v35
	v_mov_b32_e32 v3, 0
	v_lshl_add_u64 v[4:5], s[0:1], 0, v[2:3]
	v_lshlrev_b32_e32 v2, 1, v18
	v_lshl_add_u64 v[10:11], v[4:5], 0, v[2:3]
	global_load_dwordx4 v[6:9], v[10:11], off
	global_load_dwordx4 v[2:5], v[10:11], off offset:128
.LBB544_26:
	s_or_b64 exec, exec, s[2:3]
	s_mov_b32 s21, s20
	s_mov_b32 s22, s20
	;; [unrolled: 1-line block ×3, first 2 shown]
	v_mov_b64_e32 v[14:15], s[20:21]
	v_mov_b64_e32 v[16:17], s[22:23]
	;; [unrolled: 1-line block ×3, first 2 shown]
	v_cmp_gt_i32_e32 vcc, s41, v19
	v_lshlrev_b32_e32 v20, 7, v19
	v_mov_b64_e32 v[12:13], v[16:17]
	s_and_saveexec_b64 s[2:3], vcc
	s_cbranch_execz .LBB544_28
; %bb.27:
	v_lshlrev_b32_e32 v10, 1, v20
	v_mov_b32_e32 v11, 0
	v_lshl_add_u64 v[12:13], s[0:1], 0, v[10:11]
	v_lshlrev_b32_e32 v10, 1, v18
	v_lshl_add_u64 v[22:23], v[12:13], 0, v[10:11]
	global_load_dwordx4 v[14:17], v[22:23], off
	global_load_dwordx4 v[10:13], v[22:23], off offset:128
.LBB544_28:
	s_or_b64 exec, exec, s[2:3]
	v_lshrrev_b32_e32 v21, 3, v18
	v_lshlrev_b32_e32 v22, 3, v35
	v_or_b32_e32 v21, v22, v21
	v_lshlrev_b32_e32 v21, 4, v21
	v_and_b32_e32 v22, 0x78, v22
	v_xor_b32_e32 v21, v21, v22
	s_branch .LBB544_31
.LBB544_29:
                                        ; implicit-def: $vgpr21
                                        ; implicit-def: $vgpr20
                                        ; implicit-def: $vgpr6_vgpr7_vgpr8_vgpr9
                                        ; implicit-def: $vgpr2_vgpr3_vgpr4_vgpr5
                                        ; implicit-def: $vgpr14_vgpr15_vgpr16_vgpr17
                                        ; implicit-def: $vgpr10_vgpr11_vgpr12_vgpr13
	s_cbranch_execz .LBB544_31
; %bb.30:
	s_waitcnt vmcnt(0)
	v_lshlrev_b32_e32 v2, 1, v18
	v_lshl_or_b32 v20, v35, 8, v2
	s_and_b32 s1, s1, 0xffff
	s_mov_b32 s3, 0x20000
	s_movk_i32 s2, 0x4000
	v_lshl_or_b32 v21, v19, 8, v2
	s_movk_i32 s13, 0x80
	buffer_load_dwordx4 v[6:9], v20, s[0:3], 0 offen
	buffer_load_dwordx4 v[2:5], v20, s[0:3], s13 offen
	;; [unrolled: 1-line block ×4, first 2 shown]
	v_lshrrev_b32_e32 v20, 3, v18
	v_lshlrev_b32_e32 v21, 3, v35
	v_or_b32_e32 v20, v21, v20
	v_lshlrev_b32_e32 v20, 4, v20
	v_and_b32_e32 v21, 0x78, v21
	v_xor_b32_e32 v21, v20, v21
	v_lshlrev_b32_e32 v20, 7, v19
.LBB544_31:
	s_lshl_b64 s[0:1], s[38:39], 8
	s_add_u32 s4, s4, s0
	s_movk_i32 s0, 0x1000
	v_and_or_b32 v19, v20, s0, v21
	s_waitcnt vmcnt(1)
	ds_write_b64 v21, v[6:7] offset:16384
	v_xor_b32_e32 v6, 8, v21
	s_addc_u32 s5, s5, s1
	ds_write_b64 v6, v[8:9] offset:16384
	s_waitcnt vmcnt(0)
	ds_write_b64 v21, v[2:3] offset:24576
	ds_write_b64 v6, v[4:5] offset:24576
	ds_write_b64 v19, v[14:15] offset:16384
	v_xor_b32_e32 v2, 8, v19
	s_add_i32 s0, s44, s17
	s_mul_i32 s35, s35, s16
	ds_write_b64 v2, v[16:17] offset:16384
	ds_write_b64 v19, v[10:11] offset:24576
	;; [unrolled: 1-line block ×3, first 2 shown]
	s_add_i32 s35, s0, s35
	s_mul_i32 s0, s33, s19
	s_mul_hi_u32 s1, s33, s18
	v_or_b32_e32 v2, v45, v1
	s_add_i32 s0, s1, s0
	s_mul_i32 s1, s14, s18
	v_lshlrev_b32_e32 v2, 3, v2
	v_lshrrev_b32_e32 v4, 5, v58
	s_movk_i32 s14, 0xf8
	v_and_or_b32 v4, v2, s14, v4
	v_lshlrev_b32_e32 v3, 11, v59
	v_lshlrev_b32_e32 v12, 4, v4
	v_and_b32_e32 v13, 0x78, v2
	v_and_b32_e32 v14, 0x1000, v3
	v_lshlrev_b32_e32 v3, 2, v0
	v_xor_b32_e32 v2, v12, v13
	v_lshrrev_b32_e32 v4, 1, v58
	v_and_b32_e32 v3, 60, v3
	v_or_b32_e32 v2, v2, v14
	v_and_b32_e32 v15, 8, v4
	v_xor_b32_e32 v26, v2, v15
	v_lshl_or_b32 v2, v60, 6, v3
	v_lshlrev_b32_e32 v19, 1, v2
	v_or_b32_e32 v2, 32, v12
	v_xor_b32_e32 v2, v2, v13
	s_waitcnt lgkmcnt(0)
	s_barrier
	ds_read_b64 v[10:11], v26 offset:16384
	v_or_b32_e32 v2, v2, v14
	v_xor_b32_e32 v27, v2, v15
	v_or_b32_e32 v2, 64, v12
	v_xor_b32_e32 v2, v2, v13
	v_or_b32_e32 v2, v2, v14
	v_or_b32_e32 v12, 0x60, v12
	v_xor_b32_e32 v28, v2, v15
	ds_read2st64_b64 v[2:5], v19 offset0:72 offset1:73
	ds_read2st64_b64 v[6:9], v19 offset0:74 offset1:75
	v_xor_b32_e32 v16, v12, v13
	ds_read_b64 v[12:13], v27 offset:16384
	s_waitcnt lgkmcnt(2)
	v_mfma_f32_16x16x16_bf16 a[0:3], v[10:11], v[2:3], 0
	s_add_i32 s2, s12, -1
	s_ashr_i32 s3, s2, 31
	s_mul_i32 s12, s2, s29
	s_mul_hi_u32 s13, s2, s28
	s_add_i32 s12, s13, s12
	s_mul_i32 s3, s3, s28
	v_or_b32_e32 v14, v16, v14
	s_add_i32 s1, s0, s1
	s_add_i32 s3, s12, s3
	s_lshl_b64 s[12:13], s[34:35], 2
	v_xor_b32_e32 v36, v14, v15
	ds_read_b64 v[14:15], v28 offset:16384
	ds_read_b64 v[16:17], v36 offset:16384
	s_waitcnt lgkmcnt(2)
	v_mfma_f32_16x16x16_bf16 a[0:3], v[12:13], v[4:5], a[0:3]
	s_mul_i32 s0, s33, s18
	s_add_u32 s10, s10, s12
	s_addc_u32 s11, s11, s13
	s_lshl_b64 s[0:1], s[0:1], 2
	s_mul_i32 s2, s2, s28
	s_add_u32 s10, s10, s0
	s_addc_u32 s11, s11, s1
	s_lshl_b64 s[0:1], s[2:3], 2
	s_waitcnt lgkmcnt(1)
	v_mfma_f32_16x16x16_bf16 a[0:3], v[14:15], v[6:7], a[0:3]
	s_add_u32 s0, s10, s0
	s_addc_u32 s1, s11, s1
	s_load_dword s12, s[0:1], 0x0
	s_waitcnt lgkmcnt(0)
	v_mfma_f32_16x16x16_bf16 a[0:3], v[16:17], v[8:9], a[0:3]
	s_and_b64 vcc, exec, s[26:27]
	s_cbranch_vccz .LBB544_42
; %bb.32:
	v_lshlrev_b32_e32 v20, 1, v35
	s_and_b64 vcc, exec, s[6:7]
	s_cbranch_vccz .LBB544_43
; %bb.33:
	v_cmp_gt_i32_e32 vcc, s41, v20
	v_mov_b32_e32 v6, 0
	v_mov_b32_e32 v2, 0
	;; [unrolled: 1-line block ×5, first 2 shown]
	s_and_saveexec_b64 s[0:1], vcc
	s_cbranch_execz .LBB544_35
; %bb.34:
	v_mad_i64_i32 v[2:3], s[2:3], s15, v20, 0
	v_lshl_add_u64 v[2:3], v[2:3], 1, s[4:5]
	v_lshlrev_b32_e32 v4, 1, v18
	v_mov_b32_e32 v5, 0
	v_lshl_add_u64 v[2:3], v[2:3], 0, v[4:5]
	global_load_dwordx4 v[2:5], v[2:3], off
.LBB544_35:
	s_or_b64 exec, exec, s[0:1]
	v_or_b32_e32 v21, 1, v20
	v_cmp_gt_i32_e64 s[0:1], s41, v21
	v_mov_b32_e32 v7, 0
	v_mov_b32_e32 v8, 0
	;; [unrolled: 1-line block ×3, first 2 shown]
	s_and_saveexec_b64 s[2:3], s[0:1]
	s_cbranch_execz .LBB544_37
; %bb.36:
	v_mad_i64_i32 v[6:7], s[16:17], s15, v21, 0
	v_lshl_add_u64 v[6:7], v[6:7], 1, s[4:5]
	v_lshlrev_b32_e32 v8, 1, v18
	v_mov_b32_e32 v9, 0
	v_lshl_add_u64 v[6:7], v[6:7], 0, v[8:9]
	global_load_dwordx4 v[6:9], v[6:7], off
.LBB544_37:
	s_or_b64 exec, exec, s[2:3]
	v_mov_b32_e32 v17, 0
	v_mov_b32_e32 v10, 0
	;; [unrolled: 1-line block ×5, first 2 shown]
	s_and_saveexec_b64 s[2:3], vcc
	s_cbranch_execz .LBB544_39
; %bb.38:
	v_mad_i64_i32 v[10:11], s[16:17], s15, v20, 0
	v_lshl_add_u64 v[10:11], v[10:11], 1, s[4:5]
	v_lshlrev_b32_e32 v12, 1, v18
	v_mov_b32_e32 v13, 0
	v_lshl_add_u64 v[10:11], v[10:11], 0, v[12:13]
	global_load_dwordx4 v[10:13], v[10:11], off offset:128
.LBB544_39:
	s_or_b64 exec, exec, s[2:3]
	v_mov_b32_e32 v16, 0
	v_mov_b32_e32 v15, 0
	;; [unrolled: 1-line block ×3, first 2 shown]
	s_and_saveexec_b64 s[2:3], s[0:1]
	s_cbranch_execz .LBB544_41
; %bb.40:
	v_mad_i64_i32 v[14:15], s[0:1], s15, v21, 0
	v_lshl_add_u64 v[14:15], v[14:15], 1, s[4:5]
	v_lshlrev_b32_e32 v16, 1, v18
	v_mov_b32_e32 v17, 0
	v_lshl_add_u64 v[14:15], v[14:15], 0, v[16:17]
	global_load_dwordx4 v[14:17], v[14:15], off offset:128
.LBB544_41:
	s_or_b64 exec, exec, s[2:3]
	s_branch .LBB544_45
.LBB544_42:
                                        ; implicit-def: $vgpr5
                                        ; implicit-def: $vgpr9
                                        ; implicit-def: $vgpr13
                                        ; implicit-def: $vgpr17
	v_lshrrev_b32_e32 v37, 2, v58
	s_branch .LBB544_46
.LBB544_43:
                                        ; implicit-def: $vgpr5
                                        ; implicit-def: $vgpr9
                                        ; implicit-def: $vgpr13
                                        ; implicit-def: $vgpr17
	s_cbranch_execz .LBB544_45
; %bb.44:
	s_waitcnt vmcnt(0)
	v_mad_u64_u32 v[2:3], s[0:1], v20, s15, v[18:19]
	v_lshlrev_b32_e32 v20, 1, v2
	s_lshl_b32 s2, s15, 7
	s_and_b32 s1, s5, 0xffff
	s_mov_b32 s3, 0x20000
	s_mov_b32 s0, s4
	v_add_lshl_u32 v21, v2, s15, 1
	s_movk_i32 s13, 0x80
	buffer_load_dwordx4 v[2:5], v20, s[0:3], 0 offen
	buffer_load_dwordx4 v[10:13], v20, s[0:3], s13 offen
	;; [unrolled: 1-line block ×4, first 2 shown]
.LBB544_45:
	v_lshrrev_b32_e32 v37, 2, v58
	s_cbranch_execnz .LBB544_58
.LBB544_46:
	s_and_b64 vcc, exec, s[6:7]
	s_cbranch_vccz .LBB544_56
; %bb.47:
	s_waitcnt vmcnt(0)
	v_lshlrev_b32_e32 v7, 1, v35
	v_cmp_gt_i32_e32 vcc, s41, v7
	v_mov_b32_e32 v6, 0
	v_lshlrev_b32_e32 v14, 9, v35
	v_mov_b32_e32 v2, 0
	v_mov_b32_e32 v3, 0
	;; [unrolled: 1-line block ×4, first 2 shown]
	s_and_saveexec_b64 s[0:1], vcc
	s_cbranch_execz .LBB544_49
; %bb.48:
	v_mov_b32_e32 v15, 0
	v_lshl_add_u64 v[2:3], s[4:5], 0, v[14:15]
	v_lshlrev_b32_e32 v4, 1, v18
	v_mov_b32_e32 v5, v15
	v_lshl_add_u64 v[2:3], v[2:3], 0, v[4:5]
	global_load_dwordx4 v[2:5], v[2:3], off
.LBB544_49:
	s_or_b64 exec, exec, s[0:1]
	v_or_b32_e32 v7, 1, v7
	v_cmp_gt_i32_e64 s[0:1], s41, v7
	v_lshlrev_b32_e32 v20, 8, v7
	v_mov_b32_e32 v7, 0
	v_mov_b32_e32 v8, 0
	;; [unrolled: 1-line block ×3, first 2 shown]
	s_and_saveexec_b64 s[2:3], s[0:1]
	s_cbranch_execz .LBB544_51
; %bb.50:
	v_mov_b32_e32 v21, 0
	v_lshl_add_u64 v[6:7], s[4:5], 0, v[20:21]
	v_lshlrev_b32_e32 v8, 1, v18
	v_mov_b32_e32 v9, v21
	v_lshl_add_u64 v[6:7], v[6:7], 0, v[8:9]
	global_load_dwordx4 v[6:9], v[6:7], off
.LBB544_51:
	s_or_b64 exec, exec, s[2:3]
	v_mov_b32_e32 v17, 0
	v_mov_b32_e32 v10, 0
	;; [unrolled: 1-line block ×5, first 2 shown]
	s_and_saveexec_b64 s[2:3], vcc
	s_cbranch_execz .LBB544_53
; %bb.52:
	v_mov_b32_e32 v15, 0
	v_lshl_add_u64 v[10:11], s[4:5], 0, v[14:15]
	v_lshlrev_b32_e32 v14, 1, v18
	v_lshl_add_u64 v[10:11], v[10:11], 0, v[14:15]
	global_load_dwordx4 v[10:13], v[10:11], off offset:128
.LBB544_53:
	s_or_b64 exec, exec, s[2:3]
	v_mov_b32_e32 v16, 0
	v_mov_b32_e32 v15, 0
	;; [unrolled: 1-line block ×3, first 2 shown]
	s_and_saveexec_b64 s[2:3], s[0:1]
	s_cbranch_execz .LBB544_55
; %bb.54:
	v_mov_b32_e32 v21, 0
	v_lshl_add_u64 v[14:15], s[4:5], 0, v[20:21]
	v_lshlrev_b32_e32 v20, 1, v18
	v_lshl_add_u64 v[14:15], v[14:15], 0, v[20:21]
	global_load_dwordx4 v[14:17], v[14:15], off offset:128
.LBB544_55:
	s_or_b64 exec, exec, s[2:3]
	s_branch .LBB544_58
.LBB544_56:
                                        ; implicit-def: $vgpr5
                                        ; implicit-def: $vgpr9
                                        ; implicit-def: $vgpr13
                                        ; implicit-def: $vgpr17
	s_cbranch_execz .LBB544_58
; %bb.57:
	s_waitcnt vmcnt(0)
	v_lshlrev_b32_e32 v2, 1, v18
	v_lshl_or_b32 v18, v35, 9, v2
	s_and_b32 s5, s5, 0xffff
	s_mov_b32 s7, 0x20000
	s_movk_i32 s6, 0x4000
	s_movk_i32 s0, 0x80
	buffer_load_dwordx4 v[2:5], v18, s[4:7], 0 offen
	buffer_load_dwordx4 v[6:9], v18, s[4:7], 0 offen offset:256
	buffer_load_dwordx4 v[10:13], v18, s[4:7], s0 offen
	buffer_load_dwordx4 v[14:17], v18, s[4:7], s0 offen offset:256
.LBB544_58:
	ds_read2st64_b64 v[22:25], v19 offset0:76 offset1:77
	ds_read2st64_b64 v[18:21], v19 offset0:78 offset1:79
	ds_read_b64 v[30:31], v26 offset:24576
	ds_read_b64 v[32:33], v27 offset:24576
	;; [unrolled: 1-line block ×4, first 2 shown]
	v_and_b32_e32 v36, 6, v0
	v_xor_b32_e32 v35, v35, v36
	v_lshlrev_b32_e32 v35, 2, v35
	v_and_b32_e32 v0, 1, v0
	v_xor_b32_e32 v38, 0x440, v35
	v_cmp_eq_u32_e32 vcc, 0, v0
	s_mov_b32 s0, 0x1000504
	s_mov_b32 s1, 0x3020706
	v_cndmask_b32_e32 v0, v38, v35, vcc
	v_lshl_or_b32 v0, v36, 10, v0
	s_waitcnt vmcnt(0)
	v_perm_b32 v35, v2, v6, s0
	v_perm_b32 v36, v10, v14, s0
	ds_write2st64_b32 v0, v35, v36 offset1:32
	v_xor_b32_e32 v35, 8, v0
	v_perm_b32 v2, v2, v6, s1
	v_perm_b32 v6, v10, v14, s1
	v_add_u32_e32 v10, 0x80, v35
	ds_write2st64_b32 v10, v2, v6 offset1:32
	v_xor_b32_e32 v2, 16, v0
	v_perm_b32 v6, v3, v7, s0
	v_perm_b32 v10, v11, v15, s0
	ds_write2st64_b32 v2, v6, v10 offset0:1 offset1:33
	v_xor_b32_e32 v2, 24, v0
	v_perm_b32 v3, v3, v7, s1
	v_perm_b32 v6, v11, v15, s1
	v_add_u32_e32 v2, 0x80, v2
	ds_write2st64_b32 v2, v3, v6 offset0:1 offset1:33
	v_xor_b32_e32 v2, 32, v0
	v_perm_b32 v3, v4, v8, s0
	v_perm_b32 v6, v12, v16, s0
	ds_write2st64_b32 v2, v3, v6 offset0:2 offset1:34
	v_xor_b32_e32 v2, 40, v0
	v_perm_b32 v3, v4, v8, s1
	v_perm_b32 v4, v12, v16, s1
	v_add_u32_e32 v2, 0x80, v2
	ds_write2st64_b32 v2, v3, v4 offset0:2 offset1:34
	v_xor_b32_e32 v2, 48, v0
	v_perm_b32 v3, v5, v9, s0
	v_perm_b32 v4, v13, v17, s0
	v_xor_b32_e32 v0, 56, v0
	v_and_or_b32 v6, v37, 12, v45
	ds_write2st64_b32 v2, v3, v4 offset0:3 offset1:35
	v_perm_b32 v2, v5, v9, s1
	v_perm_b32 v3, v13, v17, s1
	v_add_u32_e32 v0, 0x80, v0
	v_cmp_gt_i32_e32 vcc, s41, v6
	v_mov_b32_e32 v7, 0
	v_mov_b32_e32 v11, 0
	ds_write2st64_b32 v0, v2, v3 offset0:3 offset1:35
	s_and_saveexec_b64 s[0:1], vcc
	s_cbranch_execz .LBB544_60
; %bb.59:
	v_add_u32_e32 v0, s40, v6
	v_ashrrev_i32_e32 v2, 31, v0
	v_mul_lo_u32 v4, v2, s28
	v_mul_lo_u32 v5, v0, s29
	v_mad_u64_u32 v[2:3], s[2:3], v0, s28, 0
	v_add3_u32 v3, v3, v5, v4
	v_lshl_add_u64 v[2:3], v[2:3], 2, s[10:11]
	global_load_dword v0, v[2:3], off
	s_waitcnt vmcnt(0)
	v_sub_f32_e32 v0, s12, v0
	v_exp_f32_e32 v11, v0
.LBB544_60:
	s_or_b64 exec, exec, s[0:1]
	v_or_b32_e32 v9, 1, v6
	v_cmp_gt_i32_e64 s[0:1], s41, v9
	s_and_saveexec_b64 s[2:3], s[0:1]
	s_cbranch_execz .LBB544_62
; %bb.61:
	v_add_u32_e32 v0, s40, v9
	v_ashrrev_i32_e32 v2, 31, v0
	v_mul_lo_u32 v4, v2, s28
	v_mul_lo_u32 v5, v0, s29
	v_mad_u64_u32 v[2:3], s[4:5], v0, s28, 0
	v_add3_u32 v3, v3, v5, v4
	v_lshl_add_u64 v[2:3], v[2:3], 2, s[10:11]
	global_load_dword v0, v[2:3], off
	s_waitcnt vmcnt(0)
	v_sub_f32_e32 v0, s12, v0
	v_exp_f32_e32 v7, v0
.LBB544_62:
	s_or_b64 exec, exec, s[2:3]
	v_or_b32_e32 v10, 2, v6
	v_cmp_gt_i32_e64 s[2:3], s41, v10
	v_mov_b32_e32 v8, 0
	v_mov_b32_e32 v13, 0
	s_and_saveexec_b64 s[4:5], s[2:3]
	s_cbranch_execz .LBB544_64
; %bb.63:
	v_add_u32_e32 v0, s40, v10
	v_ashrrev_i32_e32 v2, 31, v0
	v_mul_lo_u32 v4, v2, s28
	v_mul_lo_u32 v5, v0, s29
	v_mad_u64_u32 v[2:3], s[6:7], v0, s28, 0
	v_add3_u32 v3, v3, v5, v4
	v_lshl_add_u64 v[2:3], v[2:3], 2, s[10:11]
	global_load_dword v0, v[2:3], off
	s_waitcnt vmcnt(0)
	v_sub_f32_e32 v0, s12, v0
	v_exp_f32_e32 v13, v0
.LBB544_64:
	s_or_b64 exec, exec, s[4:5]
	v_or_b32_e32 v12, 3, v6
	v_cmp_gt_i32_e64 s[4:5], s41, v12
	s_and_saveexec_b64 s[6:7], s[4:5]
	s_cbranch_execz .LBB544_66
; %bb.65:
	v_add_u32_e32 v0, s40, v12
	v_ashrrev_i32_e32 v2, 31, v0
	v_mul_lo_u32 v4, v2, s28
	v_mul_lo_u32 v5, v0, s29
	v_mad_u64_u32 v[2:3], s[14:15], v0, s28, 0
	v_add3_u32 v3, v3, v5, v4
	v_lshl_add_u64 v[2:3], v[2:3], 2, s[10:11]
	global_load_dword v0, v[2:3], off
	s_waitcnt vmcnt(0)
	v_sub_f32_e32 v0, s12, v0
	v_exp_f32_e32 v8, v0
.LBB544_66:
	s_or_b64 exec, exec, s[6:7]
	s_waitcnt lgkmcnt(11)
	v_mfma_f32_16x16x16_bf16 a[0:3], v[30:31], v[22:23], a[0:3]
	v_or_b32_e32 v0, s30, v1
	s_add_u32 s6, s8, s24
	s_addc_u32 s7, s9, s25
	s_waitcnt lgkmcnt(10)
	v_mfma_f32_16x16x16_bf16 a[0:3], v[32:33], v[24:25], a[0:3]
	v_ashrrev_i32_e32 v1, 31, v0
	v_lshl_add_u64 v[4:5], v[0:1], 1, s[6:7]
	v_mov_b32_e32 v14, 0
	s_waitcnt lgkmcnt(9)
	v_mfma_f32_16x16x16_bf16 a[0:3], v[28:29], v[18:19], a[0:3]
	v_mov_b32_e32 v15, 0
	s_waitcnt lgkmcnt(8)
	v_mfma_f32_16x16x16_bf16 a[0:3], v[26:27], v[20:21], a[0:3]
	s_nop 6
	v_accvgpr_read_b32 v0, a0
	v_accvgpr_read_b32 v1, a1
	;; [unrolled: 1-line block ×4, first 2 shown]
	s_and_saveexec_b64 s[6:7], vcc
	s_cbranch_execz .LBB544_68
; %bb.67:
	v_lshlrev_b32_e32 v16, 8, v6
	v_mov_b32_e32 v17, 0
	v_lshl_add_u64 v[16:17], v[4:5], 0, v[16:17]
	global_load_ushort v15, v[16:17], off
	s_waitcnt vmcnt(0)
	v_lshlrev_b32_e32 v15, 16, v15
	v_sub_f32_e32 v0, v15, v0
	v_mul_f32_e32 v0, v11, v0
	v_lshrrev_b32_e32 v15, 16, v0
.LBB544_68:
	s_or_b64 exec, exec, s[6:7]
	s_and_saveexec_b64 s[6:7], s[0:1]
	s_cbranch_execz .LBB544_70
; %bb.69:
	v_lshlrev_b32_e32 v16, 8, v9
	v_mov_b32_e32 v17, 0
	v_lshl_add_u64 v[16:17], v[4:5], 0, v[16:17]
	global_load_ushort v0, v[16:17], off
	s_waitcnt vmcnt(0)
	v_lshlrev_b32_e32 v0, 16, v0
	v_sub_f32_e32 v0, v0, v1
	v_mul_f32_e32 v0, v7, v0
	v_lshrrev_b32_e32 v14, 16, v0
.LBB544_70:
	s_or_b64 exec, exec, s[6:7]
	v_mov_b32_e32 v0, 0
	v_mov_b32_e32 v1, 0
	s_and_saveexec_b64 s[0:1], s[2:3]
	s_cbranch_execz .LBB544_72
; %bb.71:
	v_lshlrev_b32_e32 v10, 8, v10
	v_mov_b32_e32 v11, 0
	v_lshl_add_u64 v[10:11], v[4:5], 0, v[10:11]
	global_load_ushort v1, v[10:11], off
	s_waitcnt vmcnt(0)
	v_lshlrev_b32_e32 v1, 16, v1
	v_sub_f32_e32 v1, v1, v2
	v_mul_f32_e32 v1, v13, v1
	v_lshrrev_b32_e32 v1, 16, v1
.LBB544_72:
	s_or_b64 exec, exec, s[0:1]
	s_and_saveexec_b64 s[0:1], s[4:5]
	s_cbranch_execz .LBB544_74
; %bb.73:
	v_lshlrev_b32_e32 v10, 8, v12
	v_mov_b32_e32 v11, 0
	v_lshl_add_u64 v[4:5], v[4:5], 0, v[10:11]
	global_load_ushort v0, v[4:5], off
	s_waitcnt vmcnt(0)
	v_lshlrev_b32_e32 v0, 16, v0
	v_sub_f32_e32 v0, v0, v3
	v_mul_f32_e32 v0, v8, v0
	v_lshrrev_b32_e32 v0, 16, v0
.LBB544_74:
	s_or_b64 exec, exec, s[0:1]
	s_mov_b32 s0, 0x5040100
	v_lshlrev_b32_e32 v2, 1, v34
	v_perm_b32 v1, v0, v1, s0
	v_perm_b32 v0, v14, v15, s0
	v_lshl_or_b32 v2, v6, 5, v2
	ds_write_b64 v2, v[0:1] offset:38912
	s_waitcnt lgkmcnt(0)
	s_barrier
.LBB544_75:
	s_endpgm
	.section	.rodata,"a",@progbits
	.p2align	6, 0x0
	.amdhsa_kernel _ZN12_GLOBAL__N_139chunk_gated_delta_rule_fwd_h_hip_kernelILi16ELb0ELb0ELb0ELb0ELb1ELb1ELb0ELb1EEEvPK12hip_bfloat16S3_S3_PKfS5_PKvPS1_S8_PvPKiSB_iiiiilll
		.amdhsa_group_segment_fixed_size 40960
		.amdhsa_private_segment_fixed_size 0
		.amdhsa_kernarg_size 136
		.amdhsa_user_sgpr_count 2
		.amdhsa_user_sgpr_dispatch_ptr 0
		.amdhsa_user_sgpr_queue_ptr 0
		.amdhsa_user_sgpr_kernarg_segment_ptr 1
		.amdhsa_user_sgpr_dispatch_id 0
		.amdhsa_user_sgpr_kernarg_preload_length 0
		.amdhsa_user_sgpr_kernarg_preload_offset 0
		.amdhsa_user_sgpr_private_segment_size 0
		.amdhsa_uses_dynamic_stack 0
		.amdhsa_enable_private_segment 0
		.amdhsa_system_sgpr_workgroup_id_x 1
		.amdhsa_system_sgpr_workgroup_id_y 1
		.amdhsa_system_sgpr_workgroup_id_z 0
		.amdhsa_system_sgpr_workgroup_info 0
		.amdhsa_system_vgpr_workitem_id 0
		.amdhsa_next_free_vgpr 124
		.amdhsa_next_free_sgpr 64
		.amdhsa_accum_offset 112
		.amdhsa_reserve_vcc 1
		.amdhsa_float_round_mode_32 0
		.amdhsa_float_round_mode_16_64 0
		.amdhsa_float_denorm_mode_32 3
		.amdhsa_float_denorm_mode_16_64 3
		.amdhsa_dx10_clamp 1
		.amdhsa_ieee_mode 1
		.amdhsa_fp16_overflow 0
		.amdhsa_tg_split 0
		.amdhsa_exception_fp_ieee_invalid_op 0
		.amdhsa_exception_fp_denorm_src 0
		.amdhsa_exception_fp_ieee_div_zero 0
		.amdhsa_exception_fp_ieee_overflow 0
		.amdhsa_exception_fp_ieee_underflow 0
		.amdhsa_exception_fp_ieee_inexact 0
		.amdhsa_exception_int_div_zero 0
	.end_amdhsa_kernel
	.section	.text._ZN12_GLOBAL__N_139chunk_gated_delta_rule_fwd_h_hip_kernelILi16ELb0ELb0ELb0ELb0ELb1ELb1ELb0ELb1EEEvPK12hip_bfloat16S3_S3_PKfS5_PKvPS1_S8_PvPKiSB_iiiiilll,"axG",@progbits,_ZN12_GLOBAL__N_139chunk_gated_delta_rule_fwd_h_hip_kernelILi16ELb0ELb0ELb0ELb0ELb1ELb1ELb0ELb1EEEvPK12hip_bfloat16S3_S3_PKfS5_PKvPS1_S8_PvPKiSB_iiiiilll,comdat
.Lfunc_end544:
	.size	_ZN12_GLOBAL__N_139chunk_gated_delta_rule_fwd_h_hip_kernelILi16ELb0ELb0ELb0ELb0ELb1ELb1ELb0ELb1EEEvPK12hip_bfloat16S3_S3_PKfS5_PKvPS1_S8_PvPKiSB_iiiiilll, .Lfunc_end544-_ZN12_GLOBAL__N_139chunk_gated_delta_rule_fwd_h_hip_kernelILi16ELb0ELb0ELb0ELb0ELb1ELb1ELb0ELb1EEEvPK12hip_bfloat16S3_S3_PKfS5_PKvPS1_S8_PvPKiSB_iiiiilll
                                        ; -- End function
	.section	.AMDGPU.csdata,"",@progbits
; Kernel info:
; codeLenInByte = 7320
; NumSgprs: 70
; NumVgprs: 112
; NumAgprs: 12
; TotalNumVgprs: 124
; ScratchSize: 0
; MemoryBound: 0
; FloatMode: 240
; IeeeMode: 1
; LDSByteSize: 40960 bytes/workgroup (compile time only)
; SGPRBlocks: 8
; VGPRBlocks: 15
; NumSGPRsForWavesPerEU: 70
; NumVGPRsForWavesPerEU: 124
; AccumOffset: 112
; Occupancy: 1
; WaveLimiterHint : 1
; COMPUTE_PGM_RSRC2:SCRATCH_EN: 0
; COMPUTE_PGM_RSRC2:USER_SGPR: 2
; COMPUTE_PGM_RSRC2:TRAP_HANDLER: 0
; COMPUTE_PGM_RSRC2:TGID_X_EN: 1
; COMPUTE_PGM_RSRC2:TGID_Y_EN: 1
; COMPUTE_PGM_RSRC2:TGID_Z_EN: 0
; COMPUTE_PGM_RSRC2:TIDIG_COMP_CNT: 0
; COMPUTE_PGM_RSRC3_GFX90A:ACCUM_OFFSET: 27
; COMPUTE_PGM_RSRC3_GFX90A:TG_SPLIT: 0
	.section	.text._ZN12_GLOBAL__N_139chunk_gated_delta_rule_fwd_h_hip_kernelILi16ELb1ELb1ELb1ELb1ELb1ELb0ELb1ELb1EEEvPK12hip_bfloat16S3_S3_PKfS5_PKvPS1_S8_PvPKiSB_iiiiilll,"axG",@progbits,_ZN12_GLOBAL__N_139chunk_gated_delta_rule_fwd_h_hip_kernelILi16ELb1ELb1ELb1ELb1ELb1ELb0ELb1ELb1EEEvPK12hip_bfloat16S3_S3_PKfS5_PKvPS1_S8_PvPKiSB_iiiiilll,comdat
	.globl	_ZN12_GLOBAL__N_139chunk_gated_delta_rule_fwd_h_hip_kernelILi16ELb1ELb1ELb1ELb1ELb1ELb0ELb1ELb1EEEvPK12hip_bfloat16S3_S3_PKfS5_PKvPS1_S8_PvPKiSB_iiiiilll ; -- Begin function _ZN12_GLOBAL__N_139chunk_gated_delta_rule_fwd_h_hip_kernelILi16ELb1ELb1ELb1ELb1ELb1ELb0ELb1ELb1EEEvPK12hip_bfloat16S3_S3_PKfS5_PKvPS1_S8_PvPKiSB_iiiiilll
	.p2align	8
	.type	_ZN12_GLOBAL__N_139chunk_gated_delta_rule_fwd_h_hip_kernelILi16ELb1ELb1ELb1ELb1ELb1ELb0ELb1ELb1EEEvPK12hip_bfloat16S3_S3_PKfS5_PKvPS1_S8_PvPKiSB_iiiiilll,@function
_ZN12_GLOBAL__N_139chunk_gated_delta_rule_fwd_h_hip_kernelILi16ELb1ELb1ELb1ELb1ELb1ELb0ELb1ELb1EEEvPK12hip_bfloat16S3_S3_PKfS5_PKvPS1_S8_PvPKiSB_iiiiilll: ; @_ZN12_GLOBAL__N_139chunk_gated_delta_rule_fwd_h_hip_kernelILi16ELb1ELb1ELb1ELb1ELb1ELb0ELb1ELb1EEEvPK12hip_bfloat16S3_S3_PKfS5_PKvPS1_S8_PvPKiSB_iiiiilll
; %bb.0:
	s_load_dwordx4 s[20:23], s[0:1], 0x5c
	s_load_dwordx4 s[4:7], s[0:1], 0x48
	s_abs_i32 s9, s3
	s_ashr_i32 s8, s3, 31
	v_and_b32_e32 v56, 15, v0
	s_waitcnt lgkmcnt(0)
	s_abs_i32 s10, s21
	v_cvt_f32_u32_e32 v1, s10
	s_sub_i32 s12, 0, s10
	s_ashr_i32 s11, s21, 31
	s_xor_b32 s8, s8, s11
	v_rcp_iflag_f32_e32 v1, v1
	v_bfe_u32 v55, v0, 4, 2
	v_mov_b32_e32 v45, 0
	v_lshlrev_b32_e32 v57, 3, v0
	v_mul_f32_e32 v1, 0x4f7ffffe, v1
	v_cvt_u32_f32_e32 v1, v1
	s_nop 0
	v_readfirstlane_b32 s13, v1
	s_mul_i32 s12, s12, s13
	s_mul_hi_u32 s12, s13, s12
	s_add_i32 s13, s13, s12
	s_mul_hi_u32 s12, s9, s13
	s_mul_i32 s13, s12, s10
	s_sub_i32 s9, s9, s13
	s_add_i32 s14, s12, 1
	s_sub_i32 s13, s9, s10
	s_cmp_ge_u32 s9, s10
	s_cselect_b32 s12, s14, s12
	s_cselect_b32 s9, s13, s9
	s_add_i32 s13, s12, 1
	s_cmp_ge_u32 s9, s10
	s_cselect_b32 s9, s13, s12
	s_xor_b32 s9, s9, s8
	s_sub_i32 s24, s9, s8
	s_mul_i32 s12, s24, s21
	s_ashr_i32 s25, s24, 31
	s_sub_i32 s51, s3, s12
	s_lshl_b64 s[8:9], s[24:25], 2
	s_add_u32 s4, s4, s8
	s_addc_u32 s5, s5, s9
	s_add_u32 s26, s6, s8
	s_addc_u32 s27, s7, s9
	s_abs_i32 s3, s22
	v_cvt_f32_u32_e32 v1, s3
	s_load_dwordx2 s[38:39], s[4:5], 0x0
	s_sub_i32 s5, 0, s3
	s_lshl_b32 s2, s2, 4
	v_rcp_iflag_f32_e32 v1, v1
	v_or_b32_e32 v46, s2, v56
	s_waitcnt lgkmcnt(0)
	s_sub_i32 s54, s39, s38
	s_ashr_i32 s4, s54, 31
	v_mul_f32_e32 v1, 0x4f7ffffe, v1
	v_cvt_u32_f32_e32 v1, v1
	s_lshr_b32 s4, s4, 26
	s_add_i32 s4, s54, s4
	s_ashr_i32 s52, s4, 6
	v_readfirstlane_b32 s6, v1
	s_mul_i32 s5, s5, s6
	s_mul_hi_u32 s5, s6, s5
	s_add_i32 s6, s6, s5
	s_mul_hi_u32 s5, s10, s6
	s_mul_i32 s6, s5, s3
	s_ashr_i32 s4, s22, 31
	s_sub_i32 s6, s10, s6
	s_xor_b32 s4, s11, s4
	s_add_i32 s7, s5, 1
	s_sub_i32 s8, s6, s3
	s_cmp_ge_u32 s6, s3
	s_cselect_b32 s5, s7, s5
	s_cselect_b32 s6, s8, s6
	s_add_i32 s7, s5, 1
	s_cmp_ge_u32 s6, s3
	s_cselect_b32 s3, s7, s5
	s_xor_b32 s3, s3, s4
	s_sub_i32 s3, s3, s4
	s_abs_i32 s13, s3
	v_cvt_f32_u32_e32 v1, s13
	s_sub_i32 s15, 0, s13
	s_abs_i32 s14, s51
	s_xor_b32 s3, s51, s3
	v_rcp_iflag_f32_e32 v2, v1
	s_ashr_i32 s3, s3, 31
	s_load_dwordx8 s[4:11], s[0:1], 0x28
	v_lshrrev_b32_e32 v1, 6, v0
	v_mul_f32_e32 v2, 0x4f7ffffe, v2
	v_cvt_u32_f32_e32 v2, v2
	v_lshlrev_b32_e32 v54, 4, v1
	v_lshlrev_b32_e32 v42, 7, v46
	v_lshl_or_b32 v59, v55, 2, v54
	v_readfirstlane_b32 s16, v2
	s_mul_i32 s15, s15, s16
	s_mul_hi_u32 s15, s16, s15
	s_add_i32 s16, s16, s15
	s_mul_hi_u32 s15, s14, s16
	s_mul_i32 s16, s15, s13
	s_sub_i32 s14, s14, s16
	s_add_i32 s16, s15, 1
	s_sub_i32 s17, s14, s13
	s_cmp_ge_u32 s14, s13
	s_cselect_b32 s15, s16, s15
	s_cselect_b32 s14, s17, s14
	s_add_i32 s16, s15, 1
	s_cmp_ge_u32 s14, s13
	s_cselect_b32 s13, s16, s15
	s_xor_b32 s13, s13, s3
	s_sub_i32 s55, s13, s3
	s_ashr_i32 s53, s51, 31
	s_mul_hi_i32 s3, s24, s21
	s_add_u32 s12, s12, s51
	s_addc_u32 s13, s3, s53
	s_lshl_b64 s[34:35], s[12:13], 15
	s_waitcnt lgkmcnt(0)
	s_add_u32 s4, s4, s34
	s_addc_u32 s5, s5, s35
	v_ashrrev_i32_e32 v43, 31, v42
	v_lshl_add_u64 v[2:3], v[42:43], 1, s[4:5]
	v_lshlrev_b32_e32 v44, 1, v59
	v_lshl_add_u64 v[2:3], v[2:3], 0, v[44:45]
	global_load_dwordx2 v[4:5], v[2:3], off
	global_load_dwordx2 v[8:9], v[2:3], off offset:128
	s_load_dwordx8 s[12:19], s[0:1], 0x0
	s_load_dwordx2 s[36:37], s[0:1], 0x80
	s_load_dwordx4 s[28:31], s[0:1], 0x70
	s_load_dword s58, s[26:27], 0x0
	v_and_b32_e32 v45, 63, v0
	v_lshrrev_b32_e32 v58, 3, v45
	v_or_b32_e32 v60, 64, v59
	s_waitcnt lgkmcnt(0)
	s_mul_i32 s33, s24, s29
	s_mul_hi_u32 s46, s24, s28
	s_mul_i32 s42, s24, s28
	s_mul_i32 s47, s25, s28
	s_mul_hi_i32 s56, s51, s20
	s_mul_i32 s57, s51, s20
	s_mul_i32 s48, s51, s31
	s_mul_hi_u32 s49, s51, s30
	s_mul_i32 s50, s53, s30
	s_cmp_lt_i32 s54, 64
	s_mul_i32 s40, s51, s30
	s_waitcnt vmcnt(1)
	v_and_b32_e32 v3, 0xffff0000, v4
	v_lshlrev_b32_e32 v2, 16, v4
	v_and_b32_e32 v61, 0xffff0000, v5
	v_lshlrev_b32_e32 v4, 16, v5
	s_waitcnt vmcnt(0)
	v_and_b32_e32 v7, 0xffff0000, v8
	v_lshlrev_b32_e32 v6, 16, v8
	v_and_b32_e32 v62, 0xffff0000, v9
	v_lshlrev_b32_e32 v8, 16, v9
	s_cbranch_scc1 .LBB545_3
; %bb.1:
	s_ashr_i32 s1, s38, 31
	s_add_u32 s0, s57, s38
	s_addc_u32 s1, s56, s1
	s_lshl_b64 s[0:1], s[0:1], 8
	v_and_b32_e32 v64, 56, v57
	s_add_u32 s24, s14, s0
	v_lshl_or_b32 v63, v1, 3, v58
	v_lshlrev_b32_e32 v5, 1, v64
	s_addc_u32 s0, s15, s1
	v_lshl_or_b32 v65, v63, 8, v5
	s_and_b32 s25, s0, 0xffff
	s_mov_b32 s27, 0x20000
	s_movk_i32 s26, 0x4000
	s_movk_i32 s0, 0x80
	v_or_b32_e32 v66, 0x2000, v65
	buffer_load_dwordx4 v[10:13], v65, s[24:27], 0 offen
	buffer_load_dwordx4 v[14:17], v65, s[24:27], s0 offen
	;; [unrolled: 1-line block ×4, first 2 shown]
	v_lshlrev_b32_e32 v9, 3, v63
	v_and_or_b32 v27, v0, 7, v9
	v_and_b32_e32 v9, 0x78, v9
	v_lshlrev_b32_e32 v27, 4, v27
	v_xor_b32_e32 v67, v27, v9
	v_mul_lo_u32 v26, v63, s23
	v_or_b32_e32 v68, 0x1000, v67
	v_xor_b32_e32 v9, 8, v67
	s_cmpk_eq_i32 s23, 0x80
	s_mov_b32 s59, s38
	v_xor_b32_e32 v27, 8, v68
	s_cselect_b64 s[0:1], -1, 0
	s_cmpk_lg_i32 s23, 0x80
	s_waitcnt vmcnt(3)
	ds_write_b64 v67, v[10:11] offset:16384
	ds_write_b64 v9, v[12:13] offset:16384
	s_waitcnt vmcnt(2)
	ds_write_b64 v67, v[14:15] offset:24576
	ds_write_b64 v9, v[16:17] offset:24576
	;; [unrolled: 3-line block ×4, first 2 shown]
	v_lshl_add_u32 v9, v26, 1, v64
	s_cbranch_scc0 .LBB545_29
; %bb.2:
	v_lshlrev_b32_e32 v11, 1, v9
	v_add_lshl_u32 v10, v9, s23, 1
	s_lshl_b32 s26, s23, 7
	v_lshl_or_b32 v5, v63, 9, v5
	s_cbranch_execz .LBB545_30
	s_branch .LBB545_31
.LBB545_3:
	v_mov_b32_e32 v9, v62
	v_mov_b32_e32 v5, v61
.LBB545_4:
	s_lshl_b32 s31, s52, 6
	s_sub_i32 s30, s54, s31
	s_cmp_gt_i32 s30, 0
	s_cbranch_scc0 .LBB545_76
; %bb.5:
	s_add_i32 s31, s31, s38
	s_ashr_i32 s3, s31, 31
	s_cmpk_lg_i32 s23, 0x80
	s_cselect_b64 s[26:27], -1, 0
	s_and_b64 vcc, exec, s[26:27]
	s_cbranch_vccz .LBB545_7
; %bb.6:
	s_mul_i32 s1, s31, s22
	s_ashr_i32 s4, s55, 31
	s_mul_hi_i32 s0, s31, s22
	s_add_u32 s28, s1, s55
	s_addc_u32 s29, s0, s4
	s_cbranch_execz .LBB545_8
	s_branch .LBB545_9
.LBB545_7:
                                        ; implicit-def: $sgpr28_sgpr29
.LBB545_8:
	s_mul_i32 s1, s55, s20
	s_mul_hi_i32 s0, s55, s20
	s_add_u32 s28, s1, s31
	s_addc_u32 s29, s0, s3
.LBB545_9:
	s_add_i32 s4, s52, s58
	s_add_u32 s0, s57, s31
	s_addc_u32 s1, s56, s3
	s_mov_b32 s3, 0x7060302
	v_lshlrev_b32_e32 v14, 3, v56
	s_lshl_b64 s[24:25], s[0:1], 8
	v_perm_b32 v11, v5, v4, s3
	v_perm_b32 v10, v3, v2, s3
	;; [unrolled: 1-line block ×4, first 2 shown]
	v_lshlrev_b32_e32 v48, 2, v56
	v_lshl_or_b32 v14, v59, 5, v14
	s_add_u32 s0, s14, s24
	ds_write2st64_b64 v14, v[10:11], v[12:13] offset0:72 offset1:76
	v_xor_b32_e32 v14, v59, v48
	v_lshlrev_b32_e32 v15, 8, v56
	s_addc_u32 s1, s15, s25
	v_lshl_or_b32 v14, v14, 1, v15
	s_mul_hi_i32 s3, s4, s21
	s_mul_i32 s4, s4, s21
	ds_write_b64 v14, v[10:11] offset:32768
	v_xor_b32_e32 v10, v60, v48
	s_add_u32 s4, s4, s51
	v_lshl_or_b32 v10, v10, 1, v15
	s_addc_u32 s5, s3, s53
	v_lshlrev_b32_e32 v11, 1, v56
	ds_write_b64 v10, v[12:13] offset:32768
	v_lshrrev_b32_e32 v10, 4, v0
	s_ashr_i32 s3, s2, 31
	s_lshl_b64 s[4:5], s[4:5], 15
	v_or_b32_e32 v12, 1, v11
	s_add_u32 s4, s6, s4
	v_xor_b32_e32 v11, v10, v11
	v_xor_b32_e32 v12, v12, v10
	v_lshlrev_b32_e32 v14, 8, v10
	s_addc_u32 s5, s7, s5
	s_lshl_b64 s[2:3], s[2:3], 8
	v_lshl_or_b32 v10, v11, 3, v14
	v_lshl_or_b32 v12, v12, 3, v14
	s_waitcnt lgkmcnt(0)
	s_barrier
	s_add_u32 s2, s4, s2
	ds_read_b64 v[10:11], v10 offset:32768
	ds_read_b64 v[12:13], v12 offset:32768
	s_addc_u32 s3, s5, s3
	v_mov_b32_e32 v15, 0
	s_cmp_lg_u32 s30, 64
	v_lshl_add_u64 v[16:17], s[2:3], 0, v[14:15]
	v_lshlrev_b32_e32 v14, 4, v56
	s_cselect_b64 s[14:15], -1, 0
	v_lshl_or_b32 v47, v1, 3, v58
	s_mov_b32 s4, 0
	v_lshl_add_u64 v[14:15], v[16:17], 0, v[14:15]
	s_waitcnt vmcnt(1)
	v_or_b32_e32 v27, 32, v47
	v_and_b32_e32 v26, 56, v57
	s_and_b64 vcc, exec, s[14:15]
	s_waitcnt lgkmcnt(0)
	global_store_dwordx4 v[14:15], v[10:13], off
	s_cbranch_vccz .LBB545_15
; %bb.10:
	s_mov_b32 s6, s4
	s_mov_b32 s7, s4
	;; [unrolled: 1-line block ×3, first 2 shown]
	v_mov_b64_e32 v[16:17], s[6:7]
	v_mov_b64_e32 v[14:15], s[4:5]
	;; [unrolled: 1-line block ×3, first 2 shown]
	v_cmp_gt_i32_e32 vcc, s30, v47
	v_mov_b64_e32 v[12:13], v[16:17]
	s_and_saveexec_b64 s[2:3], vcc
	s_cbranch_execz .LBB545_12
; %bb.11:
	v_lshlrev_b32_e32 v10, 8, v47
	v_mov_b32_e32 v11, 0
	v_lshl_add_u64 v[12:13], s[0:1], 0, v[10:11]
	v_lshlrev_b32_e32 v10, 1, v26
	v_lshl_add_u64 v[18:19], v[12:13], 0, v[10:11]
	global_load_dwordx4 v[14:17], v[18:19], off
	global_load_dwordx4 v[10:13], v[18:19], off offset:128
.LBB545_12:
	s_or_b64 exec, exec, s[2:3]
	s_mov_b32 s6, s4
	s_mov_b32 s7, s4
	;; [unrolled: 1-line block ×3, first 2 shown]
	v_mov_b64_e32 v[24:25], s[6:7]
	v_mov_b64_e32 v[22:23], s[4:5]
	;; [unrolled: 1-line block ×3, first 2 shown]
	v_cmp_gt_i32_e32 vcc, s30, v27
	v_lshlrev_b32_e32 v28, 7, v27
	v_mov_b64_e32 v[20:21], v[24:25]
	s_and_saveexec_b64 s[2:3], vcc
	s_cbranch_execz .LBB545_14
; %bb.13:
	v_lshlrev_b32_e32 v18, 1, v28
	v_mov_b32_e32 v19, 0
	v_lshl_add_u64 v[20:21], s[0:1], 0, v[18:19]
	v_lshlrev_b32_e32 v18, 1, v26
	v_lshl_add_u64 v[30:31], v[20:21], 0, v[18:19]
	global_load_dwordx4 v[22:25], v[30:31], off
	global_load_dwordx4 v[18:21], v[30:31], off offset:128
.LBB545_14:
	s_or_b64 exec, exec, s[2:3]
	v_lshrrev_b32_e32 v29, 3, v26
	v_lshlrev_b32_e32 v30, 3, v47
	v_or_b32_e32 v29, v30, v29
	v_lshlrev_b32_e32 v29, 4, v29
	v_and_b32_e32 v30, 0x78, v30
	v_xor_b32_e32 v29, v29, v30
	s_branch .LBB545_17
.LBB545_15:
                                        ; implicit-def: $vgpr29
                                        ; implicit-def: $vgpr28
                                        ; implicit-def: $vgpr14_vgpr15_vgpr16_vgpr17
                                        ; implicit-def: $vgpr10_vgpr11_vgpr12_vgpr13
                                        ; implicit-def: $vgpr22_vgpr23_vgpr24_vgpr25
                                        ; implicit-def: $vgpr18_vgpr19_vgpr20_vgpr21
	s_cbranch_execz .LBB545_17
; %bb.16:
	s_waitcnt vmcnt(0)
	v_lshlrev_b32_e32 v10, 1, v26
	v_lshl_or_b32 v28, v47, 8, v10
	s_and_b32 s1, s1, 0xffff
	s_mov_b32 s3, 0x20000
	s_movk_i32 s2, 0x4000
	v_lshl_or_b32 v29, v27, 8, v10
	s_movk_i32 s4, 0x80
	buffer_load_dwordx4 v[14:17], v28, s[0:3], 0 offen
	buffer_load_dwordx4 v[10:13], v28, s[0:3], s4 offen
	;; [unrolled: 1-line block ×4, first 2 shown]
	v_lshrrev_b32_e32 v28, 3, v26
	v_lshlrev_b32_e32 v29, 3, v47
	v_or_b32_e32 v28, v29, v28
	v_lshlrev_b32_e32 v28, 4, v28
	v_and_b32_e32 v29, 0x78, v29
	v_xor_b32_e32 v29, v28, v29
	v_lshlrev_b32_e32 v28, 7, v27
.LBB545_17:
	s_lshl_b64 s[0:1], s[28:29], 8
	s_add_u32 s4, s12, s0
	s_movk_i32 s0, 0x1000
	v_and_or_b32 v27, v28, s0, v29
	s_waitcnt vmcnt(1)
	ds_write_b64 v29, v[14:15] offset:16384
	v_xor_b32_e32 v14, 8, v29
	ds_write_b64 v14, v[16:17] offset:16384
	s_waitcnt vmcnt(0)
	ds_write_b64 v29, v[10:11] offset:24576
	ds_write_b64 v14, v[12:13] offset:24576
	;; [unrolled: 1-line block ×3, first 2 shown]
	v_xor_b32_e32 v10, 8, v27
	ds_write_b64 v10, v[24:25] offset:16384
	ds_write_b64 v27, v[18:19] offset:24576
	;; [unrolled: 1-line block ×3, first 2 shown]
	v_or_b32_e32 v10, v54, v56
	v_lshlrev_b32_e32 v10, 3, v10
	v_lshrrev_b32_e32 v12, 5, v45
	s_movk_i32 s6, 0xf8
	v_and_or_b32 v12, v10, s6, v12
	v_lshlrev_b32_e32 v49, 11, v1
	v_lshlrev_b32_e32 v20, 4, v12
	v_and_b32_e32 v21, 0x78, v10
	v_and_b32_e32 v22, 0x1000, v49
	v_lshlrev_b32_e32 v11, 2, v0
	v_xor_b32_e32 v10, v20, v21
	v_lshrrev_b32_e32 v12, 1, v45
	v_and_b32_e32 v11, 60, v11
	v_or_b32_e32 v10, v10, v22
	v_and_b32_e32 v23, 8, v12
	v_xor_b32_e32 v34, v10, v23
	v_lshl_or_b32 v10, v55, 6, v11
	v_lshlrev_b32_e32 v50, 1, v10
	v_or_b32_e32 v10, 32, v20
	v_xor_b32_e32 v10, v10, v21
	s_waitcnt lgkmcnt(0)
	s_barrier
	ds_read_b64 v[18:19], v34 offset:16384
	v_or_b32_e32 v10, v10, v22
	v_xor_b32_e32 v35, v10, v23
	v_or_b32_e32 v10, 64, v20
	v_xor_b32_e32 v10, v10, v21
	v_or_b32_e32 v10, v10, v22
	v_or_b32_e32 v20, 0x60, v20
	v_xor_b32_e32 v36, v10, v23
	ds_read2st64_b64 v[10:13], v50 offset0:72 offset1:73
	ds_read2st64_b64 v[14:17], v50 offset0:74 offset1:75
	v_xor_b32_e32 v24, v20, v21
	ds_read_b64 v[20:21], v35 offset:16384
	s_addc_u32 s5, s13, s1
	s_add_i32 s1, s46, s33
	s_waitcnt lgkmcnt(2)
	v_mfma_f32_16x16x16_bf16 a[0:3], v[18:19], v[10:11], 0
	s_add_i32 s0, s39, -1
	s_add_i32 s43, s1, s47
	s_add_i32 s1, s49, s48
	;; [unrolled: 1-line block ×3, first 2 shown]
	s_ashr_i32 s1, s0, 31
	s_mul_i32 s2, s0, s37
	s_mul_hi_u32 s3, s0, s36
	s_add_i32 s2, s3, s2
	s_mul_i32 s1, s1, s36
	v_or_b32_e32 v22, v24, v22
	s_add_i32 s1, s2, s1
	s_lshl_b64 s[2:3], s[42:43], 2
	v_xor_b32_e32 v51, v22, v23
	ds_read_b64 v[22:23], v36 offset:16384
	ds_read_b64 v[24:25], v51 offset:16384
	s_waitcnt lgkmcnt(2)
	v_mfma_f32_16x16x16_bf16 a[0:3], v[20:21], v[12:13], a[0:3]
	s_add_u32 s6, s18, s2
	s_addc_u32 s7, s19, s3
	s_lshl_b64 s[2:3], s[40:41], 2
	s_mul_i32 s0, s0, s36
	s_add_u32 s12, s6, s2
	s_addc_u32 s13, s7, s3
	s_lshl_b64 s[0:1], s[0:1], 2
	s_waitcnt lgkmcnt(1)
	v_mfma_f32_16x16x16_bf16 a[0:3], v[22:23], v[14:15], a[0:3]
	s_add_u32 s0, s12, s0
	s_addc_u32 s1, s13, s1
	s_load_dword s18, s[0:1], 0x0
	s_waitcnt lgkmcnt(0)
	v_mfma_f32_16x16x16_bf16 a[0:3], v[24:25], v[16:17], a[0:3]
	s_and_b64 vcc, exec, s[26:27]
	s_cbranch_vccz .LBB545_28
; %bb.18:
	v_lshlrev_b32_e32 v27, 1, v47
	s_and_b64 vcc, exec, s[14:15]
	s_cbranch_vccz .LBB545_44
; %bb.19:
	v_cmp_gt_i32_e32 vcc, s30, v27
	v_mov_b32_e32 v14, 0
	v_mov_b32_e32 v10, 0
	v_mov_b32_e32 v11, 0
	v_mov_b32_e32 v12, 0
	v_mov_b32_e32 v13, 0
	s_and_saveexec_b64 s[0:1], vcc
	s_cbranch_execz .LBB545_21
; %bb.20:
	v_mad_i64_i32 v[10:11], s[2:3], s23, v27, 0
	v_lshl_add_u64 v[10:11], v[10:11], 1, s[4:5]
	v_lshlrev_b32_e32 v12, 1, v26
	v_mov_b32_e32 v13, 0
	v_lshl_add_u64 v[10:11], v[10:11], 0, v[12:13]
	global_load_dwordx4 v[10:13], v[10:11], off
.LBB545_21:
	s_or_b64 exec, exec, s[0:1]
	v_or_b32_e32 v28, 1, v27
	v_cmp_gt_i32_e64 s[0:1], s30, v28
	v_mov_b32_e32 v15, 0
	v_mov_b32_e32 v16, 0
	;; [unrolled: 1-line block ×3, first 2 shown]
	s_and_saveexec_b64 s[2:3], s[0:1]
	s_cbranch_execz .LBB545_23
; %bb.22:
	v_mad_i64_i32 v[14:15], s[6:7], s23, v28, 0
	v_lshl_add_u64 v[14:15], v[14:15], 1, s[4:5]
	v_lshlrev_b32_e32 v16, 1, v26
	v_mov_b32_e32 v17, 0
	v_lshl_add_u64 v[14:15], v[14:15], 0, v[16:17]
	global_load_dwordx4 v[14:17], v[14:15], off
.LBB545_23:
	s_or_b64 exec, exec, s[2:3]
	v_mov_b32_e32 v25, 0
	v_mov_b32_e32 v18, 0
	;; [unrolled: 1-line block ×5, first 2 shown]
	s_and_saveexec_b64 s[2:3], vcc
	s_cbranch_execz .LBB545_25
; %bb.24:
	v_mad_i64_i32 v[18:19], s[6:7], s23, v27, 0
	v_lshl_add_u64 v[18:19], v[18:19], 1, s[4:5]
	v_lshlrev_b32_e32 v20, 1, v26
	v_mov_b32_e32 v21, 0
	v_lshl_add_u64 v[18:19], v[18:19], 0, v[20:21]
	global_load_dwordx4 v[18:21], v[18:19], off offset:128
.LBB545_25:
	s_or_b64 exec, exec, s[2:3]
	v_mov_b32_e32 v24, 0
	v_mov_b32_e32 v23, 0
	;; [unrolled: 1-line block ×3, first 2 shown]
	s_and_saveexec_b64 s[2:3], s[0:1]
	s_cbranch_execz .LBB545_27
; %bb.26:
	v_mad_i64_i32 v[22:23], s[0:1], s23, v28, 0
	v_lshl_add_u64 v[22:23], v[22:23], 1, s[4:5]
	v_lshlrev_b32_e32 v24, 1, v26
	v_mov_b32_e32 v25, 0
	v_lshl_add_u64 v[22:23], v[22:23], 0, v[24:25]
	global_load_dwordx4 v[22:25], v[22:23], off offset:128
.LBB545_27:
	s_or_b64 exec, exec, s[2:3]
	s_branch .LBB545_46
.LBB545_28:
                                        ; implicit-def: $vgpr13
                                        ; implicit-def: $vgpr17
                                        ; implicit-def: $vgpr21
                                        ; implicit-def: $vgpr25
	v_lshrrev_b32_e32 v45, 2, v45
	s_branch .LBB545_47
.LBB545_29:
                                        ; implicit-def: $vgpr10
                                        ; implicit-def: $vgpr11
                                        ; implicit-def: $sgpr26
	v_lshl_or_b32 v5, v63, 9, v5
.LBB545_30:
	v_or_b32_e32 v10, 0x100, v5
	s_movk_i32 s26, 0x4000
	v_mov_b32_e32 v11, v5
.LBB545_31:
	s_mul_i32 s4, s38, s22
	s_ashr_i32 s60, s55, 31
	s_mul_hi_i32 s3, s38, s22
	s_add_u32 s4, s4, s55
	s_addc_u32 s5, s3, s60
	s_lshl_b64 s[4:5], s[4:5], 8
	s_add_u32 s24, s12, s4
	s_addc_u32 s3, s13, s5
	s_and_b32 s25, s3, 0xffff
	s_movk_i32 s61, 0x80
	buffer_load_dwordx4 v[12:15], v11, s[24:27], 0 offen
	buffer_load_dwordx4 v[16:19], v11, s[24:27], s61 offen
	;; [unrolled: 1-line block ×4, first 2 shown]
	v_and_b32_e32 v10, 6, v0
	v_lshlrev_b32_e32 v28, 2, v56
	v_lshlrev_b32_e32 v29, 3, v56
	v_xor_b32_e32 v32, v63, v10
	v_and_b32_e32 v11, 1, v0
	v_lshl_or_b32 v29, v59, 5, v29
	v_xor_b32_e32 v33, v59, v28
	v_lshlrev_b32_e32 v32, 2, v32
	v_or_b32_e32 v69, 0x9000, v29
	v_or_b32_e32 v70, 0x9800, v29
	v_lshlrev_b32_e32 v29, 1, v33
	v_xor_b32_e32 v33, 0x440, v32
	v_cmp_eq_u32_e32 vcc, 0, v11
	s_add_i32 s3, s46, s33
	s_add_i32 s4, s49, s48
	v_cndmask_b32_e32 v11, v33, v32, vcc
	s_add_i32 s43, s3, s47
	v_lshl_or_b32 v10, v10, 10, v11
	s_add_i32 s41, s4, s50
	s_lshl_b64 s[4:5], s[42:43], 2
	s_mov_b32 s62, 0x1000504
	v_lshlrev_b32_e32 v30, 8, v56
	s_mov_b32 s26, 0x8000
	v_xor_b32_e32 v28, v60, v28
	v_xor_b32_e32 v11, 8, v10
	s_add_u32 s3, s18, s4
	s_mov_b32 s63, 0x3020706
	v_or_b32_e32 v31, v54, v56
	v_lshlrev_b32_e32 v28, 1, v28
	v_or3_b32 v71, v29, v30, s26
	v_xor_b32_e32 v29, 24, v10
	v_xor_b32_e32 v32, 40, v10
	;; [unrolled: 1-line block ×3, first 2 shown]
	v_add_u32_e32 v11, 0x80, v11
	s_addc_u32 s24, s19, s5
	s_lshl_b64 s[4:5], s[40:41], 2
	v_lshlrev_b32_e32 v31, 3, v31
	v_or3_b32 v72, v28, v30, s26
	v_xor_b32_e32 v28, 16, v10
	v_xor_b32_e32 v30, 32, v10
	;; [unrolled: 1-line block ×3, first 2 shown]
	v_add_u32_e32 v29, 0x80, v29
	v_add_u32_e32 v32, 0x80, v32
	;; [unrolled: 1-line block ×3, first 2 shown]
	s_add_u32 s4, s3, s4
	s_movk_i32 s3, 0xf8
	s_addc_u32 s5, s24, s5
	v_ashrrev_i32_e32 v47, 31, v46
	s_lshl_b32 s30, s23, 7
	s_mov_b32 s64, 0
	s_waitcnt vmcnt(1)
	v_perm_b32 v35, v12, v20, s62
	s_waitcnt vmcnt(0)
	v_perm_b32 v36, v16, v24, s62
	v_perm_b32 v12, v12, v20, s63
	;; [unrolled: 1-line block ×15, first 2 shown]
	ds_write2st64_b32 v10, v35, v36 offset1:32
	ds_write2st64_b32 v11, v12, v16 offset1:32
	ds_write2st64_b32 v28, v20, v24 offset0:1 offset1:33
	ds_write2st64_b32 v29, v13, v17 offset0:1 offset1:33
	;; [unrolled: 1-line block ×6, first 2 shown]
	v_lshrrev_b32_e32 v11, 5, v45
	v_and_or_b32 v11, v31, s3, v11
	v_lshlrev_b32_e32 v11, 4, v11
	v_lshlrev_b32_e32 v18, 11, v1
	v_and_b32_e32 v12, 0x78, v31
	v_or_b32_e32 v15, 32, v11
	v_and_b32_e32 v10, 0x1000, v18
	v_lshrrev_b32_e32 v19, 1, v0
	v_xor_b32_e32 v15, v15, v12
	v_and_b32_e32 v14, 8, v19
	v_or_b32_e32 v15, v15, v10
	v_xor_b32_e32 v13, v11, v12
	v_xor_b32_e32 v75, v15, v14
	v_or_b32_e32 v15, 64, v11
	v_or_b32_e32 v11, 0x60, v11
	v_xor_b32_e32 v15, v15, v12
	v_xor_b32_e32 v11, v11, v12
	v_or_b32_e32 v13, v13, v10
	v_or_b32_e32 v15, v15, v10
	;; [unrolled: 1-line block ×3, first 2 shown]
	v_xor_b32_e32 v73, v13, v14
	v_xor_b32_e32 v76, v15, v14
	;; [unrolled: 1-line block ×3, first 2 shown]
	v_lshrrev_b32_e32 v14, 4, v0
	v_lshlrev_b32_e32 v15, 1, v56
	s_ashr_i32 s3, s2, 31
	v_or_b32_e32 v16, 1, v15
	v_xor_b32_e32 v15, v14, v15
	s_lshl_b64 s[24:25], s[2:3], 8
	v_xor_b32_e32 v16, v16, v14
	v_lshlrev_b32_e32 v15, 3, v15
	v_lshlrev_b32_e32 v14, 8, v14
	v_lshlrev_b64 v[10:11], 1, v[46:47]
	s_add_u32 s24, s6, s24
	v_or3_b32 v47, v15, v14, s26
	v_lshlrev_b32_e32 v15, 3, v16
	s_addc_u32 s25, s7, s25
	v_or3_b32 v79, v15, v14, s26
	v_mov_b32_e32 v15, 0
	v_lshl_add_u64 v[16:17], s[24:25], 0, v[14:15]
	v_lshlrev_b32_e32 v14, 4, v56
	s_movk_i32 s3, 0xff
	v_lshlrev_b32_e32 v23, 3, v1
	v_and_b32_e32 v19, 24, v19
	v_lshl_add_u64 v[48:49], v[16:17], 0, v[14:15]
	v_and_b32_e32 v16, 8, v0
	v_cmp_lt_u32_e32 vcc, s3, v0
	v_xor_b32_e32 v24, v23, v19
	v_or_b32_e32 v25, 0x440, v24
	v_cndmask_b32_e64 v22, 0, 1, vcc
	v_cmp_eq_u32_e32 vcc, 0, v16
	v_and_b32_e32 v14, 7, v0
	v_lshlrev_b32_e32 v17, 3, v14
	v_cndmask_b32_e32 v16, v25, v24, vcc
	v_lshlrev_b32_e32 v14, 7, v14
	v_or_b32_e32 v16, v16, v18
	v_xad_u32 v80, v16, v17, v14
	v_or_b32_e32 v16, 32, v19
	v_xor_b32_e32 v16, v23, v16
	v_or_b32_e32 v24, 0x440, v16
	v_cndmask_b32_e32 v16, v24, v16, vcc
	v_or_b32_e32 v16, v16, v18
	v_xad_u32 v81, v16, v17, v14
	v_or_b32_e32 v16, 64, v19
	v_xor_b32_e32 v16, v23, v16
	v_xor_b32_e32 v24, 0x440, v16
	v_cndmask_b32_e32 v16, v24, v16, vcc
	v_or_b32_e32 v16, v16, v18
	v_xad_u32 v82, v16, v17, v14
	v_or_b32_e32 v16, 0x60, v19
	v_xor_b32_e32 v16, v23, v16
	v_xor_b32_e32 v19, 0x440, v16
	v_and_b32_e32 v13, 0x78, v57
	v_cndmask_b32_e32 v16, v19, v16, vcc
	v_lshl_or_b32 v13, v55, 7, v13
	v_or_b32_e32 v16, v16, v18
	v_or_b32_e32 v74, 0x9000, v13
	v_or_b32_e32 v78, 0x9800, v13
	v_lshl_add_u64 v[12:13], s[16:17], 0, v[10:11]
	v_lshl_add_u64 v[10:11], s[8:9], 0, v[10:11]
	v_lshlrev_b32_e32 v20, 1, v9
	v_add_lshl_u32 v9, v9, s23, 1
	v_or_b32_e32 v21, 0x100, v5
	v_lshlrev_b32_e32 v22, 13, v22
	v_xad_u32 v83, v16, v17, v14
	v_lshlrev_b32_e32 v14, 8, v59
	v_cndmask_b32_e64 v84, v20, v5, s[0:1]
	v_cndmask_b32_e64 v85, v9, v21, s[0:1]
	v_lshl_add_u64 v[50:51], v[12:13], 0, v[14:15]
	v_lshl_add_u64 v[52:53], v[10:11], 0, v[14:15]
	s_mov_b32 s3, 0x7060302
	s_movk_i32 s26, 0x4000
	v_add_u32_e32 v86, v22, v80
	v_add_u32_e32 v87, v22, v81
	;; [unrolled: 1-line block ×4, first 2 shown]
	s_waitcnt lgkmcnt(0)
	s_barrier
.LBB545_32:                             ; =>This Inner Loop Header: Depth=1
	s_add_i32 s41, s64, 1
	s_cmp_lt_i32 s41, s52
	s_mov_b64 s[28:29], 0
	s_cselect_b64 s[44:45], -1, 0
	s_cmp_ge_i32 s41, s52
	s_mov_b64 s[24:25], 0
	s_cbranch_scc1 .LBB545_34
; %bb.33:                               ;   in Loop: Header=BB545_32 Depth=1
	s_add_i32 s0, s59, 64
	s_ashr_i32 s1, s0, 31
	s_add_u32 s0, s57, s0
	s_addc_u32 s1, s56, s1
	s_lshl_b64 s[0:1], s[0:1], 8
	s_add_u32 s24, s14, s0
	s_addc_u32 s25, s15, s1
.LBB545_34:                             ;   in Loop: Header=BB545_32 Depth=1
	v_cndmask_b32_e64 v5, 0, 1, s[44:45]
	v_cmp_ne_u32_e64 s[0:1], 1, v5
	s_andn2_b64 vcc, exec, s[44:45]
	s_cbranch_vccnz .LBB545_36
; %bb.35:                               ;   in Loop: Header=BB545_32 Depth=1
	s_add_i32 s28, s59, 64
	s_mul_hi_i32 s29, s28, s22
	s_mul_i32 s28, s28, s22
	s_add_u32 s28, s28, s55
	s_addc_u32 s29, s29, s60
	s_lshl_b64 s[28:29], s[28:29], 8
	s_add_u32 s28, s12, s28
	s_addc_u32 s29, s13, s29
.LBB545_36:                             ;   in Loop: Header=BB545_32 Depth=1
	v_perm_b32 v11, v61, v4, s3
	v_perm_b32 v10, v3, v2, s3
	;; [unrolled: 1-line block ×4, first 2 shown]
	ds_write_b64 v69, v[10:11]
	ds_write_b64 v70, v[12:13]
	;; [unrolled: 1-line block ×4, first 2 shown]
	s_waitcnt lgkmcnt(0)
	s_barrier
	ds_read_b64 v[18:19], v73 offset:16384
	ds_read_b64 v[20:21], v75 offset:16384
	ds_read2st64_b64 v[10:13], v74 offset1:1
	s_waitcnt lgkmcnt(0)
	v_mfma_f32_16x16x16_bf16 a[0:3], v[18:19], v[10:11], 0
	ds_read2st64_b64 v[14:17], v74 offset0:2 offset1:3
	ds_read_b64 v[22:23], v76 offset:16384
	ds_read_b64 v[10:11], v77 offset:16384
	s_add_i32 s31, s59, 63
	v_mfma_f32_16x16x16_bf16 a[0:3], v[20:21], v[12:13], a[0:3]
	s_ashr_i32 s43, s31, 31
	s_mul_i32 s44, s31, s37
	s_mul_hi_u32 s45, s31, s36
	s_waitcnt lgkmcnt(1)
	v_mfma_f32_16x16x16_bf16 a[0:3], v[22:23], v[14:15], a[0:3]
	s_add_i32 s44, s45, s44
	s_mul_i32 s43, s43, s36
	s_add_i32 s45, s44, s43
	s_mul_i32 s44, s31, s36
	s_waitcnt lgkmcnt(0)
	v_mfma_f32_16x16x16_bf16 a[0:3], v[10:11], v[16:17], a[0:3]
	s_lshl_b64 s[44:45], s[44:45], 2
	s_add_u32 s44, s4, s44
	s_addc_u32 s45, s5, s45
	s_and_b64 vcc, exec, s[0:1]
	v_mov_b32_e32 v90, 0
	v_mov_b32_e32 v9, 0
	;; [unrolled: 1-line block ×19, first 2 shown]
	s_cbranch_vccnz .LBB545_38
; %bb.37:                               ;   in Loop: Header=BB545_32 Depth=1
	s_and_b32 s25, s25, 0xffff
	buffer_load_dwordx4 v[22:25], v65, s[24:27], 0 offen
	buffer_load_dwordx4 v[18:21], v65, s[24:27], s61 offen
	;; [unrolled: 1-line block ×4, first 2 shown]
	v_mov_b32_e32 v9, v67
	v_mov_b32_e32 v5, v68
.LBB545_38:                             ;   in Loop: Header=BB545_32 Depth=1
	s_waitcnt vmcnt(3)
	v_add_u32_e32 v30, s59, v59
	s_waitcnt vmcnt(1)
	v_ashrrev_i32_e32 v26, 31, v30
	v_mul_lo_u32 v28, v26, s36
	v_mul_lo_u32 v29, v30, s37
	v_mad_u64_u32 v[26:27], s[24:25], v30, s36, 0
	v_add3_u32 v27, v27, v29, v28
	v_lshl_add_u64 v[26:27], v[26:27], 2, s[4:5]
	global_load_dword v94, v[26:27], off
	v_add_u32_e32 v26, 1, v30
	v_ashrrev_i32_e32 v27, 31, v26
	v_mul_lo_u32 v28, v27, s36
	v_mul_lo_u32 v29, v26, s37
	v_mad_u64_u32 v[26:27], s[24:25], v26, s36, 0
	v_add3_u32 v27, v27, v29, v28
	v_add_u32_e32 v28, 2, v30
	v_ashrrev_i32_e32 v29, 31, v28
	v_mul_lo_u32 v31, v29, s36
	v_mul_lo_u32 v32, v28, s37
	v_mad_u64_u32 v[28:29], s[24:25], v28, s36, 0
	v_add_u32_e32 v30, 3, v30
	v_add3_u32 v29, v29, v32, v31
	v_ashrrev_i32_e32 v31, 31, v30
	v_mul_lo_u32 v34, v31, s36
	v_mul_lo_u32 v35, v30, s37
	v_mad_u64_u32 v[30:31], s[24:25], v30, s36, 0
	s_ashr_i32 s25, s59, 31
	s_add_u32 s24, s57, s59
	s_addc_u32 s25, s56, s25
	s_lshl_b64 s[66:67], s[24:25], 8
	v_lshl_add_u64 v[26:27], v[26:27], 2, s[4:5]
	v_lshl_add_u64 v[32:33], v[50:51], 0, s[66:67]
	v_add3_u32 v31, v31, v35, v34
	v_lshl_add_u64 v[28:29], v[28:29], 2, s[4:5]
	global_load_ushort v95, v[32:33], off
	global_load_ushort v96, v[32:33], off offset:256
	global_load_ushort v97, v[32:33], off offset:512
	;; [unrolled: 1-line block ×3, first 2 shown]
	v_lshl_add_u64 v[30:31], v[30:31], 2, s[4:5]
	global_load_dword v99, v[26:27], off
	global_load_dword v100, v[28:29], off
	;; [unrolled: 1-line block ×3, first 2 shown]
	s_load_dword s24, s[44:45], 0x0
	ds_read_b64 v[28:29], v73 offset:24576
	ds_read2st64_b64 v[30:33], v78 offset1:1
	ds_read2st64_b64 v[34:37], v78 offset0:2 offset1:3
	ds_read_b64 v[38:39], v75 offset:24576
	ds_read_b64 v[40:41], v76 offset:24576
	;; [unrolled: 1-line block ×3, first 2 shown]
	s_waitcnt lgkmcnt(0)
	v_mfma_f32_16x16x16_bf16 a[0:3], v[28:29], v[30:31], a[0:3]
	v_mov_b32_e32 v91, 0
	v_mov_b32_e32 v26, 0
	;; [unrolled: 1-line block ×3, first 2 shown]
	v_mfma_f32_16x16x16_bf16 a[0:3], v[38:39], v[32:33], a[0:3]
	v_lshl_add_u64 v[38:39], v[52:53], 0, s[66:67]
	v_mov_b32_e32 v28, 0
	v_mov_b32_e32 v29, 0
	v_mfma_f32_16x16x16_bf16 a[0:3], v[40:41], v[34:35], a[0:3]
	v_mov_b32_e32 v30, 0
	v_mov_b32_e32 v31, 0
	;; [unrolled: 1-line block ×3, first 2 shown]
	v_mfma_f32_16x16x16_bf16 a[0:3], v[92:93], v[36:37], a[0:3]
	v_mov_b32_e32 v33, 0
	v_mov_b32_e32 v34, 0
	s_and_b64 vcc, exec, s[0:1]
	s_waitcnt vmcnt(7)
	v_sub_f32_e32 v35, s24, v94
	s_nop 1
	v_accvgpr_read_b32 v41, a1
	v_accvgpr_read_b32 v40, a0
	v_accvgpr_read_b32 v37, a3
	v_accvgpr_read_b32 v36, a2
	s_waitcnt vmcnt(6)
	v_lshlrev_b32_e32 v92, 16, v95
	s_waitcnt vmcnt(5)
	v_lshlrev_b32_e32 v93, 16, v96
	v_exp_f32_e32 v96, v35
	s_waitcnt vmcnt(3)
	v_lshlrev_b32_e32 v95, 16, v98
	s_waitcnt vmcnt(2)
	v_sub_f32_e32 v35, s24, v99
	s_waitcnt vmcnt(1)
	v_sub_f32_e32 v98, s24, v100
	;; [unrolled: 2-line block ×3, first 2 shown]
	v_lshlrev_b32_e32 v94, 16, v97
	v_pk_add_f32 v[40:41], v[92:93], v[40:41] neg_lo:[0,1] neg_hi:[0,1]
	v_exp_f32_e32 v97, v35
	v_exp_f32_e32 v92, v98
	;; [unrolled: 1-line block ×3, first 2 shown]
	v_pk_add_f32 v[36:37], v[94:95], v[36:37] neg_lo:[0,1] neg_hi:[0,1]
	global_store_short_d16_hi v[38:39], v40, off
	global_store_short_d16_hi v[38:39], v41, off offset:256
	global_store_short_d16_hi v[38:39], v36, off offset:512
	;; [unrolled: 1-line block ×3, first 2 shown]
	v_pk_mul_f32 v[38:39], v[96:97], v[40:41]
	v_pk_mul_f32 v[36:37], v[92:93], v[36:37]
	v_perm_b32 v38, v39, v38, s3
	v_perm_b32 v39, v37, v36, s3
	ds_write_b64 v70, v[38:39]
	v_mov_b32_e32 v35, 0
	v_mov_b32_e32 v36, 0
	;; [unrolled: 1-line block ×7, first 2 shown]
	s_cbranch_vccnz .LBB545_40
; %bb.39:                               ;   in Loop: Header=BB545_32 Depth=1
	s_and_b32 s29, s29, 0xffff
	s_mov_b32 s31, s27
	buffer_load_dwordx4 v[38:41], v84, s[28:31], 0 offen
	buffer_load_dwordx4 v[30:33], v84, s[28:31], s61 offen
	;; [unrolled: 1-line block ×4, first 2 shown]
	v_mov_b32_e32 v90, v64
	v_mov_b32_e32 v91, v63
.LBB545_40:                             ;   in Loop: Header=BB545_32 Depth=1
	s_waitcnt lgkmcnt(0)
	s_barrier
	ds_read_b64 v[100:101], v86
	ds_read2st64_b64 v[92:95], v78 offset1:1
	ds_read2st64_b64 v[96:99], v78 offset0:2 offset1:3
	ds_read_b64 v[102:103], v87
	ds_read_b64 v[104:105], v88
	;; [unrolled: 1-line block ×3, first 2 shown]
	s_waitcnt lgkmcnt(4)
	v_mfma_f32_16x16x16_bf16 a[0:3], v[100:101], v[92:93], 0
	ds_read_b64 v[100:101], v80 offset:8192
	ds_read_b64 v[108:109], v81 offset:8192
	s_add_i32 s25, s58, s64
	s_mul_hi_i32 s29, s25, s21
	s_waitcnt lgkmcnt(1)
	v_mfma_f32_16x16x16_bf16 a[4:7], v[100:101], v[92:93], 0
	s_mul_i32 s25, s25, s21
	s_add_u32 s28, s25, s51
	s_addc_u32 s29, s29, s53
	v_mfma_f32_16x16x16_bf16 a[0:3], v[102:103], v[94:95], a[0:3]
	ds_read_b64 v[100:101], v47
	ds_read_b64 v[102:103], v79
	ds_read_b64 v[92:93], v82 offset:8192
	s_lshl_b64 s[28:29], s[28:29], 15
	v_mfma_f32_16x16x16_bf16 a[0:3], v[104:105], v[96:97], a[0:3]
	ds_read_b64 v[104:105], v83 offset:8192
	s_and_b64 vcc, exec, s[0:1]
	s_waitcnt lgkmcnt(4)
	v_mfma_f32_16x16x16_bf16 a[4:7], v[108:109], v[94:95], a[4:7]
	s_waitcnt lgkmcnt(1)
	v_mfma_f32_16x16x16_bf16 a[4:7], v[92:93], v[96:97], a[4:7]
	v_lshl_add_u64 v[92:93], v[48:49], 0, s[28:29]
	global_store_dwordx4 v[92:93], v[100:103], off
	v_mfma_f32_16x16x16_bf16 a[0:3], v[106:107], v[98:99], a[0:3]
	s_waitcnt lgkmcnt(0)
	v_mfma_f32_16x16x16_bf16 a[4:7], v[104:105], v[98:99], a[4:7]
	s_cbranch_vccnz .LBB545_42
; %bb.41:                               ;   in Loop: Header=BB545_32 Depth=1
	v_lshrrev_b32_e32 v92, 3, v90
	v_and_b32_e32 v92, 6, v92
	v_xor_b32_e32 v91, v92, v91
	v_lshlrev_b32_e32 v91, 2, v91
	v_and_b32_e32 v90, 8, v90
	v_xor_b32_e32 v93, 0x440, v91
	v_cmp_eq_u32_e32 vcc, 0, v90
	s_barrier
	s_nop 0
	v_cndmask_b32_e32 v90, v93, v91, vcc
	v_lshl_or_b32 v90, v92, 10, v90
	s_waitcnt vmcnt(2)
	v_perm_b32 v91, v38, v34, s62
	s_waitcnt vmcnt(1)
	v_perm_b32 v92, v30, v26, s62
	ds_write2st64_b32 v90, v91, v92 offset1:32
	v_xor_b32_e32 v91, 8, v90
	v_perm_b32 v34, v38, v34, s63
	v_perm_b32 v26, v30, v26, s63
	v_add_u32_e32 v30, 0x80, v91
	ds_write2st64_b32 v30, v34, v26 offset1:32
	v_xor_b32_e32 v26, 16, v90
	v_perm_b32 v30, v39, v35, s62
	v_perm_b32 v34, v31, v27, s62
	ds_write2st64_b32 v26, v30, v34 offset0:1 offset1:33
	v_xor_b32_e32 v26, 24, v90
	v_perm_b32 v30, v39, v35, s63
	v_perm_b32 v27, v31, v27, s63
	v_add_u32_e32 v26, 0x80, v26
	ds_write2st64_b32 v26, v30, v27 offset0:1 offset1:33
	v_xor_b32_e32 v26, 32, v90
	v_perm_b32 v27, v40, v36, s62
	v_perm_b32 v30, v32, v28, s62
	ds_write2st64_b32 v26, v27, v30 offset0:2 offset1:34
	v_xor_b32_e32 v26, 40, v90
	v_perm_b32 v27, v40, v36, s63
	v_perm_b32 v28, v32, v28, s63
	v_add_u32_e32 v26, 0x80, v26
	ds_write2st64_b32 v26, v27, v28 offset0:2 offset1:34
	;; [unrolled: 9-line block ×3, first 2 shown]
	ds_write_b64 v9, v[22:23] offset:16384
	v_xor_b32_e32 v22, 8, v9
	ds_write_b64 v22, v[24:25] offset:16384
	ds_write_b64 v9, v[18:19] offset:24576
	;; [unrolled: 1-line block ×4, first 2 shown]
	v_xor_b32_e32 v9, 8, v5
	ds_write_b64 v9, v[16:17] offset:16384
	ds_write_b64 v5, v[10:11] offset:24576
	;; [unrolled: 1-line block ×3, first 2 shown]
.LBB545_42:                             ;   in Loop: Header=BB545_32 Depth=1
	v_exp_f32_e32 v10, s24
	s_nop 2
	v_accvgpr_read_b32 v9, a1
	v_accvgpr_read_b32 v5, a0
	s_add_i32 s59, s59, 64
	v_fma_f32 v3, v3, v10, v9
	v_accvgpr_read_b32 v9, a4
	v_fma_f32 v6, v6, v10, v9
	v_accvgpr_read_b32 v9, a5
	;; [unrolled: 2-line block ×6, first 2 shown]
	v_fmac_f32_e32 v5, v61, v10
	s_cmp_eq_u32 s52, s41
	v_fmac_f32_e32 v9, v62, v10
	s_cbranch_scc1 .LBB545_4
; %bb.43:                               ;   in Loop: Header=BB545_32 Depth=1
	s_mov_b32 s64, s41
	v_mov_b32_e32 v61, v5
	v_mov_b32_e32 v62, v9
	s_branch .LBB545_32
.LBB545_44:
                                        ; implicit-def: $vgpr13
                                        ; implicit-def: $vgpr17
                                        ; implicit-def: $vgpr21
                                        ; implicit-def: $vgpr25
	s_cbranch_execz .LBB545_46
; %bb.45:
	s_waitcnt vmcnt(0)
	v_mad_u64_u32 v[10:11], s[0:1], v27, s23, v[26:27]
	v_lshlrev_b32_e32 v27, 1, v10
	s_lshl_b32 s2, s23, 7
	s_and_b32 s1, s5, 0xffff
	s_mov_b32 s3, 0x20000
	s_mov_b32 s0, s4
	v_add_lshl_u32 v28, v10, s23, 1
	s_movk_i32 s6, 0x80
	buffer_load_dwordx4 v[10:13], v27, s[0:3], 0 offen
	buffer_load_dwordx4 v[18:21], v27, s[0:3], s6 offen
	;; [unrolled: 1-line block ×4, first 2 shown]
.LBB545_46:
	v_lshrrev_b32_e32 v45, 2, v45
	s_cbranch_execnz .LBB545_59
.LBB545_47:
	s_and_b64 vcc, exec, s[14:15]
	s_cbranch_vccz .LBB545_57
; %bb.48:
	s_waitcnt vmcnt(0)
	v_lshlrev_b32_e32 v15, 1, v47
	v_cmp_gt_i32_e32 vcc, s30, v15
	v_mov_b32_e32 v14, 0
	v_lshlrev_b32_e32 v22, 9, v47
	v_mov_b32_e32 v10, 0
	v_mov_b32_e32 v11, 0
	;; [unrolled: 1-line block ×4, first 2 shown]
	s_and_saveexec_b64 s[0:1], vcc
	s_cbranch_execz .LBB545_50
; %bb.49:
	v_mov_b32_e32 v23, 0
	v_lshl_add_u64 v[10:11], s[4:5], 0, v[22:23]
	v_lshlrev_b32_e32 v12, 1, v26
	v_mov_b32_e32 v13, v23
	v_lshl_add_u64 v[10:11], v[10:11], 0, v[12:13]
	global_load_dwordx4 v[10:13], v[10:11], off
.LBB545_50:
	s_or_b64 exec, exec, s[0:1]
	v_or_b32_e32 v15, 1, v15
	v_cmp_gt_i32_e64 s[0:1], s30, v15
	v_lshlrev_b32_e32 v28, 8, v15
	v_mov_b32_e32 v15, 0
	v_mov_b32_e32 v16, 0
	;; [unrolled: 1-line block ×3, first 2 shown]
	s_and_saveexec_b64 s[2:3], s[0:1]
	s_cbranch_execz .LBB545_52
; %bb.51:
	v_mov_b32_e32 v29, 0
	v_lshl_add_u64 v[14:15], s[4:5], 0, v[28:29]
	v_lshlrev_b32_e32 v16, 1, v26
	v_mov_b32_e32 v17, v29
	v_lshl_add_u64 v[14:15], v[14:15], 0, v[16:17]
	global_load_dwordx4 v[14:17], v[14:15], off
.LBB545_52:
	s_or_b64 exec, exec, s[2:3]
	v_mov_b32_e32 v25, 0
	v_mov_b32_e32 v18, 0
	;; [unrolled: 1-line block ×5, first 2 shown]
	s_and_saveexec_b64 s[2:3], vcc
	s_cbranch_execz .LBB545_54
; %bb.53:
	v_mov_b32_e32 v23, 0
	v_lshl_add_u64 v[18:19], s[4:5], 0, v[22:23]
	v_lshlrev_b32_e32 v22, 1, v26
	v_lshl_add_u64 v[18:19], v[18:19], 0, v[22:23]
	global_load_dwordx4 v[18:21], v[18:19], off offset:128
.LBB545_54:
	s_or_b64 exec, exec, s[2:3]
	v_mov_b32_e32 v24, 0
	v_mov_b32_e32 v23, 0
	;; [unrolled: 1-line block ×3, first 2 shown]
	s_and_saveexec_b64 s[2:3], s[0:1]
	s_cbranch_execz .LBB545_56
; %bb.55:
	v_mov_b32_e32 v29, 0
	v_lshl_add_u64 v[22:23], s[4:5], 0, v[28:29]
	v_lshlrev_b32_e32 v28, 1, v26
	v_lshl_add_u64 v[22:23], v[22:23], 0, v[28:29]
	global_load_dwordx4 v[22:25], v[22:23], off offset:128
.LBB545_56:
	s_or_b64 exec, exec, s[2:3]
	s_branch .LBB545_59
.LBB545_57:
                                        ; implicit-def: $vgpr13
                                        ; implicit-def: $vgpr17
                                        ; implicit-def: $vgpr21
                                        ; implicit-def: $vgpr25
	s_cbranch_execz .LBB545_59
; %bb.58:
	s_waitcnt vmcnt(0)
	v_lshlrev_b32_e32 v10, 1, v26
	v_lshl_or_b32 v26, v47, 9, v10
	s_and_b32 s5, s5, 0xffff
	s_mov_b32 s7, 0x20000
	s_movk_i32 s6, 0x4000
	s_movk_i32 s0, 0x80
	buffer_load_dwordx4 v[10:13], v26, s[4:7], 0 offen
	buffer_load_dwordx4 v[14:17], v26, s[4:7], 0 offen offset:256
	buffer_load_dwordx4 v[18:21], v26, s[4:7], s0 offen
	buffer_load_dwordx4 v[22:25], v26, s[4:7], s0 offen offset:256
.LBB545_59:
	ds_read2st64_b64 v[30:33], v50 offset0:76 offset1:77
	ds_read2st64_b64 v[26:29], v50 offset0:78 offset1:79
	ds_read_b64 v[40:41], v34 offset:24576
	ds_read_b64 v[38:39], v35 offset:24576
	;; [unrolled: 1-line block ×4, first 2 shown]
	v_and_b32_e32 v51, 6, v0
	v_xor_b32_e32 v47, v47, v51
	v_lshlrev_b32_e32 v47, 2, v47
	v_and_b32_e32 v52, 1, v0
	v_xor_b32_e32 v53, 0x440, v47
	v_cmp_eq_u32_e32 vcc, 0, v52
	s_mov_b32 s0, 0x1000504
	s_waitcnt vmcnt(0)
	v_perm_b32 v52, v18, v22, s0
	v_cndmask_b32_e32 v47, v53, v47, vcc
	v_lshl_or_b32 v47, v51, 10, v47
	v_perm_b32 v51, v10, v14, s0
	ds_write2st64_b32 v47, v51, v52 offset1:32
	v_xor_b32_e32 v51, 8, v47
	s_mov_b32 s1, 0x3020706
	v_perm_b32 v10, v10, v14, s1
	v_perm_b32 v14, v18, v22, s1
	v_add_u32_e32 v18, 0x80, v51
	ds_write2st64_b32 v18, v10, v14 offset1:32
	v_xor_b32_e32 v10, 16, v47
	v_perm_b32 v14, v11, v15, s0
	v_perm_b32 v18, v19, v23, s0
	ds_write2st64_b32 v10, v14, v18 offset0:1 offset1:33
	v_xor_b32_e32 v10, 24, v47
	v_perm_b32 v11, v11, v15, s1
	v_perm_b32 v14, v19, v23, s1
	v_add_u32_e32 v10, 0x80, v10
	ds_write2st64_b32 v10, v11, v14 offset0:1 offset1:33
	v_xor_b32_e32 v10, 32, v47
	v_perm_b32 v11, v12, v16, s0
	v_perm_b32 v14, v20, v24, s0
	ds_write2st64_b32 v10, v11, v14 offset0:2 offset1:34
	v_xor_b32_e32 v10, 40, v47
	v_perm_b32 v11, v12, v16, s1
	v_perm_b32 v12, v20, v24, s1
	v_add_u32_e32 v10, 0x80, v10
	ds_write2st64_b32 v10, v11, v12 offset0:2 offset1:34
	v_xor_b32_e32 v10, 48, v47
	v_perm_b32 v11, v13, v17, s0
	v_perm_b32 v12, v21, v25, s0
	ds_write2st64_b32 v10, v11, v12 offset0:3 offset1:35
	v_xor_b32_e32 v10, 56, v47
	v_and_or_b32 v18, v45, 12, v54
	v_perm_b32 v11, v13, v17, s1
	v_perm_b32 v12, v21, v25, s1
	v_add_u32_e32 v10, 0x80, v10
	v_cmp_gt_i32_e64 s[2:3], s30, v18
	v_mov_b32_e32 v20, 0
	v_mov_b32_e32 v25, 0
	ds_write2st64_b32 v10, v11, v12 offset0:3 offset1:35
	s_and_saveexec_b64 s[0:1], s[2:3]
	s_cbranch_execz .LBB545_61
; %bb.60:
	v_add_u32_e32 v10, s31, v18
	v_ashrrev_i32_e32 v11, 31, v10
	v_mul_lo_u32 v12, v11, s36
	v_mul_lo_u32 v13, v10, s37
	v_mad_u64_u32 v[10:11], s[4:5], v10, s36, 0
	v_add3_u32 v11, v11, v13, v12
	v_lshl_add_u64 v[10:11], v[10:11], 2, s[12:13]
	global_load_dword v10, v[10:11], off
	s_waitcnt vmcnt(0)
	v_sub_f32_e32 v10, s18, v10
	v_exp_f32_e32 v25, v10
.LBB545_61:
	s_or_b64 exec, exec, s[0:1]
	v_or_b32_e32 v23, 1, v18
	v_cmp_gt_i32_e64 s[4:5], s30, v23
	s_and_saveexec_b64 s[0:1], s[4:5]
	s_cbranch_execz .LBB545_63
; %bb.62:
	v_add_u32_e32 v10, s31, v23
	v_ashrrev_i32_e32 v11, 31, v10
	v_mul_lo_u32 v12, v11, s36
	v_mul_lo_u32 v13, v10, s37
	v_mad_u64_u32 v[10:11], s[6:7], v10, s36, 0
	v_add3_u32 v11, v11, v13, v12
	v_lshl_add_u64 v[10:11], v[10:11], 2, s[12:13]
	global_load_dword v10, v[10:11], off
	s_waitcnt vmcnt(0)
	v_sub_f32_e32 v10, s18, v10
	v_exp_f32_e32 v20, v10
.LBB545_63:
	s_or_b64 exec, exec, s[0:1]
	v_or_b32_e32 v22, 2, v18
	v_cmp_gt_i32_e64 s[0:1], s30, v22
	v_mov_b32_e32 v19, 0
	v_mov_b32_e32 v24, 0
	s_and_saveexec_b64 s[6:7], s[0:1]
	s_cbranch_execz .LBB545_65
; %bb.64:
	v_add_u32_e32 v10, s31, v22
	v_ashrrev_i32_e32 v11, 31, v10
	v_mul_lo_u32 v12, v11, s36
	v_mul_lo_u32 v13, v10, s37
	v_mad_u64_u32 v[10:11], s[14:15], v10, s36, 0
	v_add3_u32 v11, v11, v13, v12
	v_lshl_add_u64 v[10:11], v[10:11], 2, s[12:13]
	global_load_dword v10, v[10:11], off
	s_waitcnt vmcnt(0)
	v_sub_f32_e32 v10, s18, v10
	v_exp_f32_e32 v24, v10
.LBB545_65:
	s_or_b64 exec, exec, s[6:7]
	v_or_b32_e32 v21, 3, v18
	v_cmp_gt_i32_e32 vcc, s30, v21
	s_and_saveexec_b64 s[6:7], vcc
	s_cbranch_execz .LBB545_67
; %bb.66:
	v_add_u32_e32 v10, s31, v21
	v_ashrrev_i32_e32 v11, 31, v10
	v_mul_lo_u32 v12, v11, s36
	v_mul_lo_u32 v13, v10, s37
	v_mad_u64_u32 v[10:11], s[14:15], v10, s36, 0
	v_add3_u32 v11, v11, v13, v12
	v_lshl_add_u64 v[10:11], v[10:11], 2, s[12:13]
	global_load_dword v10, v[10:11], off
	s_waitcnt vmcnt(0)
	v_sub_f32_e32 v10, s18, v10
	v_exp_f32_e32 v19, v10
.LBB545_67:
	s_or_b64 exec, exec, s[6:7]
	s_waitcnt lgkmcnt(11)
	v_mfma_f32_16x16x16_bf16 a[0:3], v[40:41], v[30:31], a[0:3]
	s_add_u32 s6, s16, s24
	v_ashrrev_i32_e32 v47, 31, v46
	s_addc_u32 s7, s17, s25
	s_waitcnt lgkmcnt(10)
	v_mfma_f32_16x16x16_bf16 a[0:3], v[38:39], v[32:33], a[0:3]
	v_lshlrev_b64 v[10:11], 1, v[46:47]
	v_lshl_add_u64 v[14:15], s[6:7], 0, v[10:11]
	s_add_u32 s6, s8, s24
	s_waitcnt lgkmcnt(9)
	v_mfma_f32_16x16x16_bf16 a[0:3], v[36:37], v[26:27], a[0:3]
	s_addc_u32 s7, s9, s25
	v_lshl_add_u64 v[16:17], s[6:7], 0, v[10:11]
	v_mov_b32_e32 v26, 0
	s_waitcnt lgkmcnt(8)
	v_mfma_f32_16x16x16_bf16 a[0:3], v[34:35], v[28:29], a[0:3]
	v_mov_b32_e32 v27, 0
	s_nop 5
	v_accvgpr_read_b32 v13, a3
	v_accvgpr_read_b32 v12, a2
	;; [unrolled: 1-line block ×4, first 2 shown]
	s_and_saveexec_b64 s[6:7], s[2:3]
	s_cbranch_execz .LBB545_69
; %bb.68:
	v_lshlrev_b32_e32 v28, 8, v18
	v_mov_b32_e32 v29, 0
	v_lshl_add_u64 v[30:31], v[14:15], 0, v[28:29]
	global_load_ushort v27, v[30:31], off
	v_lshl_add_u64 v[28:29], v[16:17], 0, v[28:29]
	s_waitcnt vmcnt(0)
	v_lshlrev_b32_e32 v27, 16, v27
	v_sub_f32_e32 v10, v27, v10
	global_store_short_d16_hi v[28:29], v10, off
	v_mul_f32_e32 v10, v25, v10
	v_lshrrev_b32_e32 v27, 16, v10
.LBB545_69:
	s_or_b64 exec, exec, s[6:7]
	s_and_saveexec_b64 s[2:3], s[4:5]
	s_cbranch_execz .LBB545_71
; %bb.70:
	v_lshlrev_b32_e32 v28, 8, v23
	v_mov_b32_e32 v29, 0
	v_lshl_add_u64 v[30:31], v[14:15], 0, v[28:29]
	global_load_ushort v10, v[30:31], off
	v_lshl_add_u64 v[28:29], v[16:17], 0, v[28:29]
	s_waitcnt vmcnt(0)
	v_lshlrev_b32_e32 v10, 16, v10
	v_sub_f32_e32 v10, v10, v11
	global_store_short_d16_hi v[28:29], v10, off
	v_mul_f32_e32 v10, v20, v10
	v_lshrrev_b32_e32 v26, 16, v10
.LBB545_71:
	s_or_b64 exec, exec, s[2:3]
	v_mov_b32_e32 v11, 0
	v_mov_b32_e32 v20, 0
	s_and_saveexec_b64 s[2:3], s[0:1]
	s_cbranch_execz .LBB545_73
; %bb.72:
	v_lshlrev_b32_e32 v22, 8, v22
	v_mov_b32_e32 v23, 0
	v_lshl_add_u64 v[28:29], v[14:15], 0, v[22:23]
	global_load_ushort v10, v[28:29], off
	v_lshl_add_u64 v[22:23], v[16:17], 0, v[22:23]
	s_waitcnt vmcnt(0)
	v_lshlrev_b32_e32 v10, 16, v10
	v_sub_f32_e32 v10, v10, v12
	global_store_short_d16_hi v[22:23], v10, off
	v_mul_f32_e32 v10, v24, v10
	v_lshrrev_b32_e32 v20, 16, v10
.LBB545_73:
	s_or_b64 exec, exec, s[2:3]
	v_or_b32_e32 v10, 0x9800, v50
	s_and_saveexec_b64 s[0:1], vcc
	s_cbranch_execz .LBB545_75
; %bb.74:
	v_lshlrev_b32_e32 v22, 8, v21
	v_mov_b32_e32 v23, 0
	v_lshl_add_u64 v[14:15], v[14:15], 0, v[22:23]
	global_load_ushort v11, v[14:15], off
	v_lshl_add_u64 v[14:15], v[16:17], 0, v[22:23]
	s_waitcnt vmcnt(0)
	v_lshlrev_b32_e32 v11, 16, v11
	v_sub_f32_e32 v11, v11, v13
	global_store_short_d16_hi v[14:15], v11, off
	v_mul_f32_e32 v11, v19, v11
	v_lshrrev_b32_e32 v11, 16, v11
.LBB545_75:
	s_or_b64 exec, exec, s[0:1]
	s_mov_b32 s0, 0x5040100
	v_perm_b32 v13, v11, v20, s0
	v_lshlrev_b32_e32 v11, 1, v48
	v_perm_b32 v12, v26, v27, s0
	v_lshl_or_b32 v11, v18, 5, v11
	s_movk_i32 s0, 0xff
	ds_write_b64 v11, v[12:13] offset:38912
	v_and_b32_e32 v11, 7, v0
	v_and_b32_e32 v12, 8, v0
	v_cmp_lt_u32_e32 vcc, s0, v0
	v_lshrrev_b32_e32 v0, 1, v0
	v_lshlrev_b32_e32 v22, 3, v1
	v_and_b32_e32 v23, 24, v0
	v_xor_b32_e32 v0, v22, v23
	v_cndmask_b32_e64 v13, 0, 1, vcc
	v_or_b32_e32 v1, 0x440, v0
	v_cmp_eq_u32_e32 vcc, 0, v12
	v_lshlrev_b32_e32 v20, 3, v11
	v_lshlrev_b32_e32 v11, 7, v11
	v_cndmask_b32_e32 v0, v1, v0, vcc
	v_or_b32_e32 v0, v0, v49
	v_lshlrev_b32_e32 v21, 13, v13
	v_xad_u32 v24, v0, v20, v11
	v_add_u32_e32 v0, v21, v24
	s_waitcnt lgkmcnt(0)
	s_barrier
	ds_read_b64 v[0:1], v0
	ds_read2st64_b64 v[12:15], v10 offset1:1
	ds_read2st64_b64 v[16:19], v10 offset0:2 offset1:3
	s_waitcnt lgkmcnt(1)
	v_mfma_f32_16x16x16_bf16 a[0:3], v[0:1], v[12:13], 0
	v_or_b32_e32 v0, 32, v23
	v_xor_b32_e32 v0, v22, v0
	v_or_b32_e32 v1, 0x440, v0
	v_cndmask_b32_e32 v0, v1, v0, vcc
	v_or_b32_e32 v0, v0, v49
	v_xad_u32 v25, v0, v20, v11
	v_add_u32_e32 v0, v21, v25
	ds_read_b64 v[0:1], v0
	v_or_b32_e32 v10, 0x60, v23
	s_waitcnt lgkmcnt(0)
	v_mfma_f32_16x16x16_bf16 a[0:3], v[0:1], v[14:15], a[0:3]
	v_or_b32_e32 v0, 64, v23
	v_xor_b32_e32 v0, v22, v0
	v_xor_b32_e32 v1, 0x440, v0
	v_cndmask_b32_e32 v0, v1, v0, vcc
	v_or_b32_e32 v0, v0, v49
	v_xad_u32 v26, v0, v20, v11
	v_xor_b32_e32 v10, v22, v10
	v_add_u32_e32 v0, v21, v26
	v_xor_b32_e32 v22, 0x440, v10
	ds_read_b64 v[0:1], v0
	v_cndmask_b32_e32 v10, v22, v10, vcc
	v_or_b32_e32 v10, v10, v49
	v_xad_u32 v22, v10, v20, v11
	v_add_u32_e32 v10, v21, v22
	ds_read_b64 v[10:11], v10
	s_waitcnt lgkmcnt(1)
	v_mfma_f32_16x16x16_bf16 a[0:3], v[0:1], v[16:17], a[0:3]
	ds_read_b64 v[0:1], v24 offset:8192
	ds_read_b64 v[20:21], v26 offset:8192
	v_exp_f32_e32 v23, s18
	s_waitcnt lgkmcnt(2)
	v_mfma_f32_16x16x16_bf16 a[0:3], v[10:11], v[18:19], a[0:3]
	ds_read_b64 v[10:11], v25 offset:8192
	s_waitcnt lgkmcnt(2)
	v_mfma_f32_16x16x16_bf16 a[4:7], v[0:1], v[12:13], 0
	ds_read_b64 v[12:13], v22 offset:8192
	s_nop 2
	v_accvgpr_read_b32 v0, a0
	v_accvgpr_read_b32 v1, a1
	s_waitcnt lgkmcnt(1)
	v_mfma_f32_16x16x16_bf16 a[4:7], v[10:11], v[14:15], a[4:7]
	v_fma_f32 v0, v2, v23, v0
	v_fma_f32 v1, v3, v23, v1
	v_accvgpr_read_b32 v2, a2
	v_mfma_f32_16x16x16_bf16 a[4:7], v[20:21], v[16:17], a[4:7]
	v_accvgpr_read_b32 v3, a3
	v_fma_f32 v2, v4, v23, v2
	v_fmac_f32_e32 v3, v5, v23
	s_waitcnt lgkmcnt(0)
	v_mfma_f32_16x16x16_bf16 a[0:3], v[12:13], v[18:19], a[4:7]
	s_nop 6
	v_accvgpr_read_b32 v4, a0
	v_accvgpr_read_b32 v5, a1
	v_fma_f32 v4, v6, v23, v4
	v_fma_f32 v5, v7, v23, v5
	v_accvgpr_read_b32 v6, a2
	v_accvgpr_read_b32 v7, a3
	v_fma_f32 v6, v8, v23, v6
	v_fmac_f32_e32 v7, v9, v23
	v_mov_b64_e32 v[8:9], v[6:7]
	v_mov_b64_e32 v[6:7], v[4:5]
	;; [unrolled: 1-line block ×4, first 2 shown]
.LBB545_76:
	s_add_u32 s0, s10, s34
	s_addc_u32 s1, s11, s35
	v_lshl_add_u64 v[0:1], v[42:43], 1, s[0:1]
	v_mov_b32_e32 v45, 0
	s_mov_b32 s0, 0x7060302
	v_lshl_add_u64 v[0:1], v[0:1], 0, v[44:45]
	v_perm_b32 v5, v5, v4, s0
	v_perm_b32 v4, v3, v2, s0
	;; [unrolled: 1-line block ×4, first 2 shown]
	global_store_dwordx2 v[0:1], v[4:5], off
	global_store_dwordx2 v[0:1], v[2:3], off offset:128
	s_endpgm
	.section	.rodata,"a",@progbits
	.p2align	6, 0x0
	.amdhsa_kernel _ZN12_GLOBAL__N_139chunk_gated_delta_rule_fwd_h_hip_kernelILi16ELb1ELb1ELb1ELb1ELb1ELb0ELb1ELb1EEEvPK12hip_bfloat16S3_S3_PKfS5_PKvPS1_S8_PvPKiSB_iiiiilll
		.amdhsa_group_segment_fixed_size 40960
		.amdhsa_private_segment_fixed_size 0
		.amdhsa_kernarg_size 136
		.amdhsa_user_sgpr_count 2
		.amdhsa_user_sgpr_dispatch_ptr 0
		.amdhsa_user_sgpr_queue_ptr 0
		.amdhsa_user_sgpr_kernarg_segment_ptr 1
		.amdhsa_user_sgpr_dispatch_id 0
		.amdhsa_user_sgpr_kernarg_preload_length 0
		.amdhsa_user_sgpr_kernarg_preload_offset 0
		.amdhsa_user_sgpr_private_segment_size 0
		.amdhsa_uses_dynamic_stack 0
		.amdhsa_enable_private_segment 0
		.amdhsa_system_sgpr_workgroup_id_x 1
		.amdhsa_system_sgpr_workgroup_id_y 1
		.amdhsa_system_sgpr_workgroup_id_z 0
		.amdhsa_system_sgpr_workgroup_info 0
		.amdhsa_system_vgpr_workitem_id 0
		.amdhsa_next_free_vgpr 120
		.amdhsa_next_free_sgpr 68
		.amdhsa_accum_offset 112
		.amdhsa_reserve_vcc 1
		.amdhsa_float_round_mode_32 0
		.amdhsa_float_round_mode_16_64 0
		.amdhsa_float_denorm_mode_32 3
		.amdhsa_float_denorm_mode_16_64 3
		.amdhsa_dx10_clamp 1
		.amdhsa_ieee_mode 1
		.amdhsa_fp16_overflow 0
		.amdhsa_tg_split 0
		.amdhsa_exception_fp_ieee_invalid_op 0
		.amdhsa_exception_fp_denorm_src 0
		.amdhsa_exception_fp_ieee_div_zero 0
		.amdhsa_exception_fp_ieee_overflow 0
		.amdhsa_exception_fp_ieee_underflow 0
		.amdhsa_exception_fp_ieee_inexact 0
		.amdhsa_exception_int_div_zero 0
	.end_amdhsa_kernel
	.section	.text._ZN12_GLOBAL__N_139chunk_gated_delta_rule_fwd_h_hip_kernelILi16ELb1ELb1ELb1ELb1ELb1ELb0ELb1ELb1EEEvPK12hip_bfloat16S3_S3_PKfS5_PKvPS1_S8_PvPKiSB_iiiiilll,"axG",@progbits,_ZN12_GLOBAL__N_139chunk_gated_delta_rule_fwd_h_hip_kernelILi16ELb1ELb1ELb1ELb1ELb1ELb0ELb1ELb1EEEvPK12hip_bfloat16S3_S3_PKfS5_PKvPS1_S8_PvPKiSB_iiiiilll,comdat
.Lfunc_end545:
	.size	_ZN12_GLOBAL__N_139chunk_gated_delta_rule_fwd_h_hip_kernelILi16ELb1ELb1ELb1ELb1ELb1ELb0ELb1ELb1EEEvPK12hip_bfloat16S3_S3_PKfS5_PKvPS1_S8_PvPKiSB_iiiiilll, .Lfunc_end545-_ZN12_GLOBAL__N_139chunk_gated_delta_rule_fwd_h_hip_kernelILi16ELb1ELb1ELb1ELb1ELb1ELb0ELb1ELb1EEEvPK12hip_bfloat16S3_S3_PKfS5_PKvPS1_S8_PvPKiSB_iiiiilll
                                        ; -- End function
	.section	.AMDGPU.csdata,"",@progbits
; Kernel info:
; codeLenInByte = 7816
; NumSgprs: 74
; NumVgprs: 110
; NumAgprs: 8
; TotalNumVgprs: 120
; ScratchSize: 0
; MemoryBound: 0
; FloatMode: 240
; IeeeMode: 1
; LDSByteSize: 40960 bytes/workgroup (compile time only)
; SGPRBlocks: 9
; VGPRBlocks: 14
; NumSGPRsForWavesPerEU: 74
; NumVGPRsForWavesPerEU: 120
; AccumOffset: 112
; Occupancy: 1
; WaveLimiterHint : 1
; COMPUTE_PGM_RSRC2:SCRATCH_EN: 0
; COMPUTE_PGM_RSRC2:USER_SGPR: 2
; COMPUTE_PGM_RSRC2:TRAP_HANDLER: 0
; COMPUTE_PGM_RSRC2:TGID_X_EN: 1
; COMPUTE_PGM_RSRC2:TGID_Y_EN: 1
; COMPUTE_PGM_RSRC2:TGID_Z_EN: 0
; COMPUTE_PGM_RSRC2:TIDIG_COMP_CNT: 0
; COMPUTE_PGM_RSRC3_GFX90A:ACCUM_OFFSET: 27
; COMPUTE_PGM_RSRC3_GFX90A:TG_SPLIT: 0
	.section	.text._ZN12_GLOBAL__N_139chunk_gated_delta_rule_fwd_h_hip_kernelILi16ELb1ELb1ELb0ELb1ELb1ELb0ELb1ELb1EEEvPK12hip_bfloat16S3_S3_PKfS5_PKvPS1_S8_PvPKiSB_iiiiilll,"axG",@progbits,_ZN12_GLOBAL__N_139chunk_gated_delta_rule_fwd_h_hip_kernelILi16ELb1ELb1ELb0ELb1ELb1ELb0ELb1ELb1EEEvPK12hip_bfloat16S3_S3_PKfS5_PKvPS1_S8_PvPKiSB_iiiiilll,comdat
	.globl	_ZN12_GLOBAL__N_139chunk_gated_delta_rule_fwd_h_hip_kernelILi16ELb1ELb1ELb0ELb1ELb1ELb0ELb1ELb1EEEvPK12hip_bfloat16S3_S3_PKfS5_PKvPS1_S8_PvPKiSB_iiiiilll ; -- Begin function _ZN12_GLOBAL__N_139chunk_gated_delta_rule_fwd_h_hip_kernelILi16ELb1ELb1ELb0ELb1ELb1ELb0ELb1ELb1EEEvPK12hip_bfloat16S3_S3_PKfS5_PKvPS1_S8_PvPKiSB_iiiiilll
	.p2align	8
	.type	_ZN12_GLOBAL__N_139chunk_gated_delta_rule_fwd_h_hip_kernelILi16ELb1ELb1ELb0ELb1ELb1ELb0ELb1ELb1EEEvPK12hip_bfloat16S3_S3_PKfS5_PKvPS1_S8_PvPKiSB_iiiiilll,@function
_ZN12_GLOBAL__N_139chunk_gated_delta_rule_fwd_h_hip_kernelILi16ELb1ELb1ELb0ELb1ELb1ELb0ELb1ELb1EEEvPK12hip_bfloat16S3_S3_PKfS5_PKvPS1_S8_PvPKiSB_iiiiilll: ; @_ZN12_GLOBAL__N_139chunk_gated_delta_rule_fwd_h_hip_kernelILi16ELb1ELb1ELb0ELb1ELb1ELb0ELb1ELb1EEEvPK12hip_bfloat16S3_S3_PKfS5_PKvPS1_S8_PvPKiSB_iiiiilll
; %bb.0:
	s_load_dwordx4 s[16:19], s[0:1], 0x5c
	s_load_dwordx2 s[4:5], s[0:1], 0x50
	s_abs_i32 s7, s3
	s_ashr_i32 s6, s3, 31
	s_load_dwordx4 s[12:15], s[0:1], 0x40
	s_load_dwordx4 s[20:23], s[0:1], 0x28
	s_waitcnt lgkmcnt(0)
	s_abs_i32 s10, s17
	v_cvt_f32_u32_e32 v1, s10
	s_sub_i32 s8, 0, s10
	s_ashr_i32 s11, s17, 31
	s_xor_b32 s6, s6, s11
	v_rcp_iflag_f32_e32 v1, v1
	v_and_b32_e32 v54, 15, v0
	v_bfe_u32 v53, v0, 4, 2
	v_mov_b32_e32 v45, 0
	v_mul_f32_e32 v1, 0x4f7ffffe, v1
	v_cvt_u32_f32_e32 v1, v1
	v_lshlrev_b32_e32 v55, 3, v0
	v_readfirstlane_b32 s9, v1
	s_mul_i32 s8, s8, s9
	s_mul_hi_u32 s8, s9, s8
	s_add_i32 s9, s9, s8
	s_mul_hi_u32 s8, s7, s9
	s_mul_i32 s9, s8, s10
	s_sub_i32 s7, s7, s9
	s_add_i32 s24, s8, 1
	s_sub_i32 s9, s7, s10
	s_cmp_ge_u32 s7, s10
	s_cselect_b32 s8, s24, s8
	s_cselect_b32 s7, s9, s7
	s_add_i32 s9, s8, 1
	s_cmp_ge_u32 s7, s10
	s_cselect_b32 s7, s9, s8
	s_xor_b32 s7, s7, s6
	s_sub_i32 s24, s7, s6
	s_mul_i32 s28, s24, s17
	s_ashr_i32 s25, s24, 31
	s_sub_i32 s49, s3, s28
	s_lshl_b64 s[6:7], s[24:25], 2
	s_add_u32 s8, s14, s6
	s_addc_u32 s9, s15, s7
	s_add_u32 s26, s4, s6
	s_addc_u32 s27, s5, s7
	s_abs_i32 s3, s18
	v_cvt_f32_u32_e32 v1, s3
	s_load_dwordx2 s[36:37], s[8:9], 0x0
	s_sub_i32 s5, 0, s3
	s_lshl_b32 s2, s2, 4
	v_rcp_iflag_f32_e32 v1, v1
	v_or_b32_e32 v46, s2, v54
	s_waitcnt lgkmcnt(0)
	s_sub_i32 s52, s37, s36
	s_ashr_i32 s4, s52, 31
	v_mul_f32_e32 v1, 0x4f7ffffe, v1
	v_cvt_u32_f32_e32 v1, v1
	s_lshr_b32 s4, s4, 26
	s_add_i32 s4, s52, s4
	s_ashr_i32 s50, s4, 6
	v_readfirstlane_b32 s6, v1
	s_mul_i32 s5, s5, s6
	s_mul_hi_u32 s5, s6, s5
	s_add_i32 s6, s6, s5
	s_mul_hi_u32 s5, s10, s6
	s_mul_i32 s6, s5, s3
	s_ashr_i32 s4, s18, 31
	s_sub_i32 s6, s10, s6
	s_xor_b32 s4, s11, s4
	s_add_i32 s7, s5, 1
	s_sub_i32 s8, s6, s3
	s_cmp_ge_u32 s6, s3
	s_cselect_b32 s5, s7, s5
	s_cselect_b32 s6, s8, s6
	s_add_i32 s7, s5, 1
	s_cmp_ge_u32 s6, s3
	s_cselect_b32 s3, s7, s5
	s_xor_b32 s3, s3, s4
	s_sub_i32 s3, s3, s4
	s_abs_i32 s4, s3
	v_cvt_f32_u32_e32 v1, s4
	s_sub_i32 s6, 0, s4
	s_abs_i32 s5, s49
	s_xor_b32 s3, s49, s3
	v_rcp_iflag_f32_e32 v2, v1
	s_ashr_i32 s3, s3, 31
	v_lshrrev_b32_e32 v1, 6, v0
	v_lshlrev_b32_e32 v52, 4, v1
	v_mul_f32_e32 v2, 0x4f7ffffe, v2
	v_cvt_u32_f32_e32 v2, v2
	v_lshlrev_b32_e32 v42, 7, v46
	v_lshl_or_b32 v57, v53, 2, v52
	v_ashrrev_i32_e32 v43, 31, v42
	v_readfirstlane_b32 s7, v2
	s_mul_i32 s6, s6, s7
	s_mul_hi_u32 s6, s7, s6
	s_add_i32 s7, s7, s6
	s_mul_hi_u32 s6, s5, s7
	s_mul_i32 s7, s6, s4
	s_sub_i32 s5, s5, s7
	s_add_i32 s7, s6, 1
	s_sub_i32 s8, s5, s4
	s_cmp_ge_u32 s5, s4
	s_cselect_b32 s6, s7, s6
	s_cselect_b32 s5, s8, s5
	s_add_i32 s7, s6, 1
	s_cmp_ge_u32 s5, s4
	s_cselect_b32 s4, s7, s6
	s_xor_b32 s4, s4, s3
	s_sub_i32 s53, s4, s3
	s_ashr_i32 s51, s49, 31
	s_mul_hi_i32 s3, s24, s17
	s_add_u32 s4, s28, s49
	s_addc_u32 s5, s3, s51
	s_lshl_b64 s[14:15], s[4:5], 15
	s_add_u32 s4, s20, s14
	s_addc_u32 s5, s21, s15
	v_lshl_add_u64 v[2:3], v[42:43], 1, s[4:5]
	v_lshlrev_b32_e32 v44, 1, v57
	v_lshl_add_u64 v[2:3], v[2:3], 0, v[44:45]
	global_load_dwordx2 v[4:5], v[2:3], off
	global_load_dwordx2 v[8:9], v[2:3], off offset:128
	s_load_dwordx8 s[4:11], s[0:1], 0x0
	s_load_dwordx2 s[34:35], s[0:1], 0x80
	s_load_dwordx4 s[28:31], s[0:1], 0x70
	s_load_dword s56, s[26:27], 0x0
	v_and_b32_e32 v45, 63, v0
	v_lshrrev_b32_e32 v56, 3, v45
	v_or_b32_e32 v58, 64, v57
	s_waitcnt lgkmcnt(0)
	s_mul_i32 s33, s24, s29
	s_mul_hi_u32 s44, s24, s28
	s_mul_i32 s40, s24, s28
	s_mul_i32 s45, s25, s28
	s_mul_hi_i32 s54, s49, s16
	s_mul_i32 s55, s49, s16
	s_mul_i32 s46, s49, s31
	s_mul_hi_u32 s47, s49, s30
	s_mul_i32 s48, s51, s30
	s_cmp_lt_i32 s52, 64
	s_mul_i32 s38, s49, s30
	s_waitcnt vmcnt(1)
	v_and_b32_e32 v3, 0xffff0000, v4
	v_lshlrev_b32_e32 v2, 16, v4
	v_and_b32_e32 v59, 0xffff0000, v5
	v_lshlrev_b32_e32 v4, 16, v5
	s_waitcnt vmcnt(0)
	v_and_b32_e32 v7, 0xffff0000, v8
	v_lshlrev_b32_e32 v6, 16, v8
	v_and_b32_e32 v60, 0xffff0000, v9
	v_lshlrev_b32_e32 v8, 16, v9
	s_cbranch_scc1 .LBB546_3
; %bb.1:
	s_ashr_i32 s1, s36, 31
	s_add_u32 s0, s55, s36
	s_addc_u32 s1, s54, s1
	s_lshl_b64 s[0:1], s[0:1], 8
	v_and_b32_e32 v62, 56, v55
	s_add_u32 s24, s6, s0
	v_lshl_or_b32 v61, v1, 3, v56
	v_lshlrev_b32_e32 v5, 1, v62
	s_addc_u32 s0, s7, s1
	v_lshl_or_b32 v63, v61, 8, v5
	s_and_b32 s25, s0, 0xffff
	s_mov_b32 s27, 0x20000
	s_movk_i32 s26, 0x4000
	s_movk_i32 s0, 0x80
	v_or_b32_e32 v64, 0x2000, v63
	buffer_load_dwordx4 v[10:13], v63, s[24:27], 0 offen
	buffer_load_dwordx4 v[14:17], v63, s[24:27], s0 offen
	;; [unrolled: 1-line block ×4, first 2 shown]
	v_lshlrev_b32_e32 v9, 3, v61
	v_and_or_b32 v27, v0, 7, v9
	v_and_b32_e32 v9, 0x78, v9
	v_lshlrev_b32_e32 v27, 4, v27
	v_xor_b32_e32 v65, v27, v9
	v_mul_lo_u32 v26, v61, s19
	v_or_b32_e32 v66, 0x1000, v65
	v_xor_b32_e32 v9, 8, v65
	s_cmpk_eq_i32 s19, 0x80
	s_mov_b32 s57, s36
	v_xor_b32_e32 v27, 8, v66
	s_cselect_b64 s[0:1], -1, 0
	s_cmpk_lg_i32 s19, 0x80
	s_waitcnt vmcnt(3)
	ds_write_b64 v65, v[10:11] offset:16384
	ds_write_b64 v9, v[12:13] offset:16384
	s_waitcnt vmcnt(2)
	ds_write_b64 v65, v[14:15] offset:24576
	ds_write_b64 v9, v[16:17] offset:24576
	;; [unrolled: 3-line block ×4, first 2 shown]
	v_lshl_add_u32 v9, v26, 1, v62
	s_cbranch_scc0 .LBB546_29
; %bb.2:
	v_lshlrev_b32_e32 v11, 1, v9
	v_add_lshl_u32 v10, v9, s19, 1
	s_lshl_b32 s26, s19, 7
	v_lshl_or_b32 v5, v61, 9, v5
	s_cbranch_execz .LBB546_30
	s_branch .LBB546_31
.LBB546_3:
	v_mov_b32_e32 v9, v60
	v_mov_b32_e32 v5, v59
.LBB546_4:
	s_lshl_b32 s31, s50, 6
	s_sub_i32 s30, s52, s31
	s_cmp_gt_i32 s30, 0
	s_cbranch_scc0 .LBB546_76
; %bb.5:
	s_add_i32 s31, s31, s36
	s_ashr_i32 s3, s31, 31
	s_cmpk_lg_i32 s19, 0x80
	s_cselect_b64 s[26:27], -1, 0
	s_and_b64 vcc, exec, s[26:27]
	s_cbranch_vccz .LBB546_7
; %bb.6:
	s_mul_hi_i32 s0, s31, s18
	s_mul_i32 s1, s31, s18
	s_ashr_i32 s18, s53, 31
	s_add_u32 s28, s1, s53
	s_addc_u32 s29, s0, s18
	s_cbranch_execz .LBB546_8
	s_branch .LBB546_9
.LBB546_7:
                                        ; implicit-def: $sgpr28_sgpr29
.LBB546_8:
	s_mul_i32 s1, s53, s16
	s_mul_hi_i32 s0, s53, s16
	s_add_u32 s28, s1, s31
	s_addc_u32 s29, s0, s3
.LBB546_9:
	s_add_i32 s16, s50, s56
	s_add_u32 s0, s55, s31
	s_addc_u32 s1, s54, s3
	s_mov_b32 s3, 0x7060302
	v_lshlrev_b32_e32 v14, 3, v54
	s_lshl_b64 s[24:25], s[0:1], 8
	v_perm_b32 v11, v5, v4, s3
	v_perm_b32 v10, v3, v2, s3
	;; [unrolled: 1-line block ×4, first 2 shown]
	v_lshlrev_b32_e32 v48, 2, v54
	v_lshl_or_b32 v14, v57, 5, v14
	s_add_u32 s0, s6, s24
	ds_write2st64_b64 v14, v[10:11], v[12:13] offset0:72 offset1:76
	v_xor_b32_e32 v14, v57, v48
	v_lshlrev_b32_e32 v15, 8, v54
	s_addc_u32 s1, s7, s25
	v_lshl_or_b32 v14, v14, 1, v15
	s_mul_hi_i32 s3, s16, s17
	s_mul_i32 s16, s16, s17
	ds_write_b64 v14, v[10:11] offset:32768
	v_xor_b32_e32 v10, v58, v48
	s_add_u32 s6, s16, s49
	v_lshl_or_b32 v10, v10, 1, v15
	s_addc_u32 s7, s3, s51
	v_lshlrev_b32_e32 v11, 1, v54
	ds_write_b64 v10, v[12:13] offset:32768
	v_lshrrev_b32_e32 v10, 4, v0
	s_ashr_i32 s3, s2, 31
	s_lshl_b64 s[6:7], s[6:7], 15
	v_or_b32_e32 v12, 1, v11
	s_add_u32 s6, s22, s6
	v_xor_b32_e32 v11, v10, v11
	v_xor_b32_e32 v12, v12, v10
	v_lshlrev_b32_e32 v14, 8, v10
	s_addc_u32 s7, s23, s7
	s_lshl_b64 s[2:3], s[2:3], 8
	v_lshl_or_b32 v10, v11, 3, v14
	v_lshl_or_b32 v12, v12, 3, v14
	s_waitcnt lgkmcnt(0)
	s_barrier
	s_add_u32 s2, s6, s2
	ds_read_b64 v[10:11], v10 offset:32768
	ds_read_b64 v[12:13], v12 offset:32768
	s_addc_u32 s3, s7, s3
	v_mov_b32_e32 v15, 0
	s_cmp_lg_u32 s30, 64
	v_lshl_add_u64 v[16:17], s[2:3], 0, v[14:15]
	v_lshlrev_b32_e32 v14, 4, v54
	s_cselect_b64 s[6:7], -1, 0
	v_lshl_or_b32 v47, v1, 3, v56
	s_mov_b32 s20, 0
	v_lshl_add_u64 v[14:15], v[16:17], 0, v[14:15]
	s_waitcnt vmcnt(1)
	v_or_b32_e32 v27, 32, v47
	v_and_b32_e32 v26, 56, v55
	s_and_b64 vcc, exec, s[6:7]
	s_waitcnt lgkmcnt(0)
	global_store_dwordx4 v[14:15], v[10:13], off
	s_cbranch_vccz .LBB546_15
; %bb.10:
	s_mov_b32 s21, s20
	s_mov_b32 s22, s20
	s_mov_b32 s23, s20
	v_mov_b64_e32 v[14:15], s[20:21]
	v_mov_b64_e32 v[16:17], s[22:23]
	;; [unrolled: 1-line block ×3, first 2 shown]
	v_cmp_gt_i32_e32 vcc, s30, v47
	v_mov_b64_e32 v[12:13], v[16:17]
	s_and_saveexec_b64 s[2:3], vcc
	s_cbranch_execz .LBB546_12
; %bb.11:
	v_lshlrev_b32_e32 v10, 8, v47
	v_mov_b32_e32 v11, 0
	v_lshl_add_u64 v[12:13], s[0:1], 0, v[10:11]
	v_lshlrev_b32_e32 v10, 1, v26
	v_lshl_add_u64 v[18:19], v[12:13], 0, v[10:11]
	global_load_dwordx4 v[14:17], v[18:19], off
	global_load_dwordx4 v[10:13], v[18:19], off offset:128
.LBB546_12:
	s_or_b64 exec, exec, s[2:3]
	s_mov_b32 s22, s20
	s_mov_b32 s23, s20
	;; [unrolled: 1-line block ×3, first 2 shown]
	v_mov_b64_e32 v[24:25], s[22:23]
	v_mov_b64_e32 v[22:23], s[20:21]
	;; [unrolled: 1-line block ×3, first 2 shown]
	v_cmp_gt_i32_e32 vcc, s30, v27
	v_lshlrev_b32_e32 v28, 7, v27
	v_mov_b64_e32 v[20:21], v[24:25]
	s_and_saveexec_b64 s[2:3], vcc
	s_cbranch_execz .LBB546_14
; %bb.13:
	v_lshlrev_b32_e32 v18, 1, v28
	v_mov_b32_e32 v19, 0
	v_lshl_add_u64 v[20:21], s[0:1], 0, v[18:19]
	v_lshlrev_b32_e32 v18, 1, v26
	v_lshl_add_u64 v[30:31], v[20:21], 0, v[18:19]
	global_load_dwordx4 v[22:25], v[30:31], off
	global_load_dwordx4 v[18:21], v[30:31], off offset:128
.LBB546_14:
	s_or_b64 exec, exec, s[2:3]
	v_lshrrev_b32_e32 v29, 3, v26
	v_lshlrev_b32_e32 v30, 3, v47
	v_or_b32_e32 v29, v30, v29
	v_lshlrev_b32_e32 v29, 4, v29
	v_and_b32_e32 v30, 0x78, v30
	v_xor_b32_e32 v29, v29, v30
	s_branch .LBB546_17
.LBB546_15:
                                        ; implicit-def: $vgpr29
                                        ; implicit-def: $vgpr28
                                        ; implicit-def: $vgpr14_vgpr15_vgpr16_vgpr17
                                        ; implicit-def: $vgpr10_vgpr11_vgpr12_vgpr13
                                        ; implicit-def: $vgpr22_vgpr23_vgpr24_vgpr25
                                        ; implicit-def: $vgpr18_vgpr19_vgpr20_vgpr21
	s_cbranch_execz .LBB546_17
; %bb.16:
	s_waitcnt vmcnt(0)
	v_lshlrev_b32_e32 v10, 1, v26
	v_lshl_or_b32 v28, v47, 8, v10
	s_and_b32 s1, s1, 0xffff
	s_mov_b32 s3, 0x20000
	s_movk_i32 s2, 0x4000
	v_lshl_or_b32 v29, v27, 8, v10
	s_movk_i32 s16, 0x80
	buffer_load_dwordx4 v[14:17], v28, s[0:3], 0 offen
	buffer_load_dwordx4 v[10:13], v28, s[0:3], s16 offen
	buffer_load_dwordx4 v[22:25], v29, s[0:3], 0 offen
	buffer_load_dwordx4 v[18:21], v29, s[0:3], s16 offen
	v_lshrrev_b32_e32 v28, 3, v26
	v_lshlrev_b32_e32 v29, 3, v47
	v_or_b32_e32 v28, v29, v28
	v_lshlrev_b32_e32 v28, 4, v28
	v_and_b32_e32 v29, 0x78, v29
	v_xor_b32_e32 v29, v28, v29
	v_lshlrev_b32_e32 v28, 7, v27
.LBB546_17:
	s_lshl_b64 s[0:1], s[28:29], 8
	s_add_u32 s4, s4, s0
	s_movk_i32 s0, 0x1000
	v_and_or_b32 v27, v28, s0, v29
	s_waitcnt vmcnt(1)
	ds_write_b64 v29, v[14:15] offset:16384
	v_xor_b32_e32 v14, 8, v29
	ds_write_b64 v14, v[16:17] offset:16384
	s_waitcnt vmcnt(0)
	ds_write_b64 v29, v[10:11] offset:24576
	ds_write_b64 v14, v[12:13] offset:24576
	;; [unrolled: 1-line block ×3, first 2 shown]
	v_xor_b32_e32 v10, 8, v27
	ds_write_b64 v10, v[24:25] offset:16384
	ds_write_b64 v27, v[18:19] offset:24576
	;; [unrolled: 1-line block ×3, first 2 shown]
	v_or_b32_e32 v10, v52, v54
	v_lshlrev_b32_e32 v10, 3, v10
	v_lshrrev_b32_e32 v12, 5, v45
	s_movk_i32 s16, 0xf8
	v_and_or_b32 v12, v10, s16, v12
	v_lshlrev_b32_e32 v49, 11, v1
	v_lshlrev_b32_e32 v20, 4, v12
	v_and_b32_e32 v21, 0x78, v10
	v_and_b32_e32 v22, 0x1000, v49
	v_lshlrev_b32_e32 v11, 2, v0
	v_xor_b32_e32 v10, v20, v21
	v_lshrrev_b32_e32 v12, 1, v45
	v_and_b32_e32 v11, 60, v11
	v_or_b32_e32 v10, v10, v22
	v_and_b32_e32 v23, 8, v12
	v_xor_b32_e32 v34, v10, v23
	v_lshl_or_b32 v10, v53, 6, v11
	v_lshlrev_b32_e32 v50, 1, v10
	v_or_b32_e32 v10, 32, v20
	v_xor_b32_e32 v10, v10, v21
	s_waitcnt lgkmcnt(0)
	s_barrier
	ds_read_b64 v[18:19], v34 offset:16384
	v_or_b32_e32 v10, v10, v22
	v_xor_b32_e32 v35, v10, v23
	v_or_b32_e32 v10, 64, v20
	v_xor_b32_e32 v10, v10, v21
	v_or_b32_e32 v10, v10, v22
	v_or_b32_e32 v20, 0x60, v20
	v_xor_b32_e32 v36, v10, v23
	ds_read2st64_b64 v[10:13], v50 offset0:72 offset1:73
	ds_read2st64_b64 v[14:17], v50 offset0:74 offset1:75
	v_xor_b32_e32 v24, v20, v21
	ds_read_b64 v[20:21], v35 offset:16384
	s_addc_u32 s5, s5, s1
	s_add_i32 s1, s44, s33
	s_waitcnt lgkmcnt(2)
	v_mfma_f32_16x16x16_bf16 a[0:3], v[18:19], v[10:11], 0
	s_add_i32 s0, s37, -1
	s_add_i32 s41, s1, s45
	s_add_i32 s1, s47, s46
	;; [unrolled: 1-line block ×3, first 2 shown]
	s_ashr_i32 s1, s0, 31
	s_mul_i32 s2, s0, s35
	s_mul_hi_u32 s3, s0, s34
	s_add_i32 s2, s3, s2
	s_mul_i32 s1, s1, s34
	v_or_b32_e32 v22, v24, v22
	s_add_i32 s1, s2, s1
	s_lshl_b64 s[2:3], s[40:41], 2
	v_xor_b32_e32 v51, v22, v23
	ds_read_b64 v[22:23], v36 offset:16384
	ds_read_b64 v[24:25], v51 offset:16384
	s_waitcnt lgkmcnt(2)
	v_mfma_f32_16x16x16_bf16 a[0:3], v[20:21], v[12:13], a[0:3]
	s_add_u32 s10, s10, s2
	s_addc_u32 s11, s11, s3
	s_lshl_b64 s[2:3], s[38:39], 2
	s_mul_i32 s0, s0, s34
	s_add_u32 s10, s10, s2
	s_addc_u32 s11, s11, s3
	s_lshl_b64 s[0:1], s[0:1], 2
	s_waitcnt lgkmcnt(1)
	v_mfma_f32_16x16x16_bf16 a[0:3], v[22:23], v[14:15], a[0:3]
	s_add_u32 s0, s10, s0
	s_addc_u32 s1, s11, s1
	s_load_dword s16, s[0:1], 0x0
	s_waitcnt lgkmcnt(0)
	v_mfma_f32_16x16x16_bf16 a[0:3], v[24:25], v[16:17], a[0:3]
	s_and_b64 vcc, exec, s[26:27]
	s_cbranch_vccz .LBB546_28
; %bb.18:
	v_lshlrev_b32_e32 v27, 1, v47
	s_and_b64 vcc, exec, s[6:7]
	s_cbranch_vccz .LBB546_44
; %bb.19:
	v_cmp_gt_i32_e32 vcc, s30, v27
	v_mov_b32_e32 v14, 0
	v_mov_b32_e32 v10, 0
	;; [unrolled: 1-line block ×5, first 2 shown]
	s_and_saveexec_b64 s[0:1], vcc
	s_cbranch_execz .LBB546_21
; %bb.20:
	v_mad_i64_i32 v[10:11], s[2:3], s19, v27, 0
	v_lshl_add_u64 v[10:11], v[10:11], 1, s[4:5]
	v_lshlrev_b32_e32 v12, 1, v26
	v_mov_b32_e32 v13, 0
	v_lshl_add_u64 v[10:11], v[10:11], 0, v[12:13]
	global_load_dwordx4 v[10:13], v[10:11], off
.LBB546_21:
	s_or_b64 exec, exec, s[0:1]
	v_or_b32_e32 v28, 1, v27
	v_cmp_gt_i32_e64 s[0:1], s30, v28
	v_mov_b32_e32 v15, 0
	v_mov_b32_e32 v16, 0
	v_mov_b32_e32 v17, 0
	s_and_saveexec_b64 s[2:3], s[0:1]
	s_cbranch_execz .LBB546_23
; %bb.22:
	v_mad_i64_i32 v[14:15], s[20:21], s19, v28, 0
	v_lshl_add_u64 v[14:15], v[14:15], 1, s[4:5]
	v_lshlrev_b32_e32 v16, 1, v26
	v_mov_b32_e32 v17, 0
	v_lshl_add_u64 v[14:15], v[14:15], 0, v[16:17]
	global_load_dwordx4 v[14:17], v[14:15], off
.LBB546_23:
	s_or_b64 exec, exec, s[2:3]
	v_mov_b32_e32 v25, 0
	v_mov_b32_e32 v18, 0
	;; [unrolled: 1-line block ×5, first 2 shown]
	s_and_saveexec_b64 s[2:3], vcc
	s_cbranch_execz .LBB546_25
; %bb.24:
	v_mad_i64_i32 v[18:19], s[20:21], s19, v27, 0
	v_lshl_add_u64 v[18:19], v[18:19], 1, s[4:5]
	v_lshlrev_b32_e32 v20, 1, v26
	v_mov_b32_e32 v21, 0
	v_lshl_add_u64 v[18:19], v[18:19], 0, v[20:21]
	global_load_dwordx4 v[18:21], v[18:19], off offset:128
.LBB546_25:
	s_or_b64 exec, exec, s[2:3]
	v_mov_b32_e32 v24, 0
	v_mov_b32_e32 v23, 0
	;; [unrolled: 1-line block ×3, first 2 shown]
	s_and_saveexec_b64 s[2:3], s[0:1]
	s_cbranch_execz .LBB546_27
; %bb.26:
	v_mad_i64_i32 v[22:23], s[0:1], s19, v28, 0
	v_lshl_add_u64 v[22:23], v[22:23], 1, s[4:5]
	v_lshlrev_b32_e32 v24, 1, v26
	v_mov_b32_e32 v25, 0
	v_lshl_add_u64 v[22:23], v[22:23], 0, v[24:25]
	global_load_dwordx4 v[22:25], v[22:23], off offset:128
.LBB546_27:
	s_or_b64 exec, exec, s[2:3]
	s_branch .LBB546_46
.LBB546_28:
                                        ; implicit-def: $vgpr13
                                        ; implicit-def: $vgpr17
                                        ; implicit-def: $vgpr21
                                        ; implicit-def: $vgpr25
	v_lshrrev_b32_e32 v45, 2, v45
	s_branch .LBB546_47
.LBB546_29:
                                        ; implicit-def: $vgpr10
                                        ; implicit-def: $vgpr11
                                        ; implicit-def: $sgpr26
	v_lshl_or_b32 v5, v61, 9, v5
.LBB546_30:
	v_or_b32_e32 v10, 0x100, v5
	s_movk_i32 s26, 0x4000
	v_mov_b32_e32 v11, v5
.LBB546_31:
	s_mul_i32 s20, s36, s18
	s_ashr_i32 s58, s53, 31
	s_mul_hi_i32 s3, s36, s18
	s_add_u32 s20, s20, s53
	s_addc_u32 s21, s3, s58
	s_lshl_b64 s[20:21], s[20:21], 8
	s_add_u32 s24, s4, s20
	s_addc_u32 s3, s5, s21
	s_and_b32 s25, s3, 0xffff
	s_movk_i32 s59, 0x80
	buffer_load_dwordx4 v[12:15], v11, s[24:27], 0 offen
	buffer_load_dwordx4 v[16:19], v11, s[24:27], s59 offen
	;; [unrolled: 1-line block ×4, first 2 shown]
	v_and_b32_e32 v10, 6, v0
	v_lshlrev_b32_e32 v28, 2, v54
	v_lshlrev_b32_e32 v29, 3, v54
	v_xor_b32_e32 v32, v61, v10
	v_and_b32_e32 v11, 1, v0
	v_lshl_or_b32 v29, v57, 5, v29
	v_xor_b32_e32 v33, v57, v28
	v_lshlrev_b32_e32 v32, 2, v32
	v_or_b32_e32 v67, 0x9000, v29
	v_or_b32_e32 v68, 0x9800, v29
	v_lshlrev_b32_e32 v29, 1, v33
	v_xor_b32_e32 v33, 0x440, v32
	v_cmp_eq_u32_e32 vcc, 0, v11
	s_add_i32 s3, s44, s33
	s_add_i32 s20, s47, s46
	v_cndmask_b32_e32 v11, v33, v32, vcc
	s_add_i32 s41, s3, s45
	v_lshl_or_b32 v10, v10, 10, v11
	s_add_i32 s39, s20, s48
	s_lshl_b64 s[20:21], s[40:41], 2
	s_mov_b32 s60, 0x1000504
	v_lshlrev_b32_e32 v30, 8, v54
	s_mov_b32 s26, 0x8000
	v_xor_b32_e32 v28, v58, v28
	v_xor_b32_e32 v11, 8, v10
	s_add_u32 s3, s10, s20
	s_mov_b32 s61, 0x3020706
	v_or_b32_e32 v31, v52, v54
	v_lshlrev_b32_e32 v28, 1, v28
	v_or3_b32 v69, v29, v30, s26
	v_xor_b32_e32 v29, 24, v10
	v_xor_b32_e32 v32, 40, v10
	;; [unrolled: 1-line block ×3, first 2 shown]
	v_add_u32_e32 v11, 0x80, v11
	s_addc_u32 s24, s11, s21
	s_lshl_b64 s[20:21], s[38:39], 2
	v_lshlrev_b32_e32 v31, 3, v31
	v_or3_b32 v70, v28, v30, s26
	v_xor_b32_e32 v28, 16, v10
	v_xor_b32_e32 v30, 32, v10
	;; [unrolled: 1-line block ×3, first 2 shown]
	v_add_u32_e32 v29, 0x80, v29
	v_add_u32_e32 v32, 0x80, v32
	v_add_u32_e32 v34, 0x80, v34
	s_add_u32 s20, s3, s20
	s_movk_i32 s3, 0xf8
	s_addc_u32 s21, s24, s21
	v_ashrrev_i32_e32 v47, 31, v46
	s_lshl_b32 s30, s19, 7
	s_mov_b32 s62, 0
	s_waitcnt vmcnt(1)
	v_perm_b32 v35, v12, v20, s60
	s_waitcnt vmcnt(0)
	v_perm_b32 v36, v16, v24, s60
	v_perm_b32 v12, v12, v20, s61
	v_perm_b32 v16, v16, v24, s61
	v_perm_b32 v20, v13, v21, s60
	v_perm_b32 v24, v17, v25, s60
	v_perm_b32 v13, v13, v21, s61
	v_perm_b32 v17, v17, v25, s61
	v_perm_b32 v21, v14, v22, s60
	v_perm_b32 v25, v18, v26, s60
	v_perm_b32 v14, v14, v22, s61
	v_perm_b32 v18, v18, v26, s61
	v_perm_b32 v22, v15, v23, s60
	v_perm_b32 v26, v19, v27, s60
	v_perm_b32 v15, v15, v23, s61
	v_perm_b32 v19, v19, v27, s61
	ds_write2st64_b32 v10, v35, v36 offset1:32
	ds_write2st64_b32 v11, v12, v16 offset1:32
	ds_write2st64_b32 v28, v20, v24 offset0:1 offset1:33
	ds_write2st64_b32 v29, v13, v17 offset0:1 offset1:33
	;; [unrolled: 1-line block ×6, first 2 shown]
	v_lshrrev_b32_e32 v11, 5, v45
	v_and_or_b32 v11, v31, s3, v11
	v_lshlrev_b32_e32 v11, 4, v11
	v_lshlrev_b32_e32 v16, 11, v1
	v_and_b32_e32 v12, 0x78, v31
	v_or_b32_e32 v15, 32, v11
	v_and_b32_e32 v10, 0x1000, v16
	v_xor_b32_e32 v13, v11, v12
	v_lshrrev_b32_e32 v17, 1, v0
	v_xor_b32_e32 v15, v15, v12
	v_or_b32_e32 v13, v13, v10
	v_and_b32_e32 v14, 8, v17
	v_or_b32_e32 v15, v15, v10
	v_xor_b32_e32 v71, v13, v14
	v_and_b32_e32 v13, 0x78, v55
	v_xor_b32_e32 v73, v15, v14
	v_or_b32_e32 v15, 64, v11
	v_or_b32_e32 v11, 0x60, v11
	v_lshl_or_b32 v13, v53, 7, v13
	v_xor_b32_e32 v15, v15, v12
	v_xor_b32_e32 v11, v11, v12
	v_or_b32_e32 v72, 0x9000, v13
	v_or_b32_e32 v15, v15, v10
	;; [unrolled: 1-line block ×4, first 2 shown]
	v_lshrrev_b32_e32 v12, 4, v0
	v_lshlrev_b32_e32 v13, 1, v54
	v_xor_b32_e32 v74, v15, v14
	v_xor_b32_e32 v75, v10, v14
	s_ashr_i32 s3, s2, 31
	v_or_b32_e32 v14, 1, v13
	v_xor_b32_e32 v13, v12, v13
	s_lshl_b64 s[24:25], s[2:3], 8
	v_xor_b32_e32 v14, v14, v12
	v_lshlrev_b32_e32 v13, 3, v13
	v_lshlrev_b32_e32 v12, 8, v12
	v_lshl_add_u64 v[10:11], v[46:47], 1, s[8:9]
	s_add_u32 s24, s22, s24
	v_or3_b32 v47, v13, v12, s26
	v_lshlrev_b32_e32 v13, 3, v14
	s_addc_u32 s25, s23, s25
	v_or3_b32 v77, v13, v12, s26
	v_mov_b32_e32 v13, 0
	v_lshl_add_u64 v[14:15], s[24:25], 0, v[12:13]
	v_lshlrev_b32_e32 v12, 4, v54
	s_movk_i32 s3, 0xff
	v_lshlrev_b32_e32 v21, 3, v1
	v_and_b32_e32 v17, 24, v17
	v_lshl_add_u64 v[48:49], v[14:15], 0, v[12:13]
	v_and_b32_e32 v14, 8, v0
	v_cmp_lt_u32_e32 vcc, s3, v0
	v_xor_b32_e32 v22, v21, v17
	v_or_b32_e32 v23, 0x440, v22
	v_cndmask_b32_e64 v20, 0, 1, vcc
	v_cmp_eq_u32_e32 vcc, 0, v14
	v_and_b32_e32 v12, 7, v0
	v_lshlrev_b32_e32 v15, 3, v12
	v_cndmask_b32_e32 v14, v23, v22, vcc
	v_lshlrev_b32_e32 v12, 7, v12
	v_or_b32_e32 v14, v14, v16
	v_xad_u32 v78, v14, v15, v12
	v_or_b32_e32 v14, 32, v17
	v_xor_b32_e32 v14, v21, v14
	v_or_b32_e32 v22, 0x440, v14
	v_cndmask_b32_e32 v14, v22, v14, vcc
	v_or_b32_e32 v14, v14, v16
	v_xad_u32 v79, v14, v15, v12
	v_or_b32_e32 v14, 64, v17
	v_xor_b32_e32 v14, v21, v14
	v_xor_b32_e32 v22, 0x440, v14
	v_cndmask_b32_e32 v14, v22, v14, vcc
	v_or_b32_e32 v14, v14, v16
	v_xad_u32 v80, v14, v15, v12
	v_or_b32_e32 v14, 0x60, v17
	v_xor_b32_e32 v14, v21, v14
	v_xor_b32_e32 v17, 0x440, v14
	v_cndmask_b32_e32 v14, v17, v14, vcc
	v_or_b32_e32 v14, v14, v16
	v_lshlrev_b32_e32 v18, 1, v9
	v_add_lshl_u32 v9, v9, s19, 1
	v_or_b32_e32 v19, 0x100, v5
	v_lshlrev_b32_e32 v20, 13, v20
	v_xad_u32 v81, v14, v15, v12
	v_lshlrev_b32_e32 v12, 8, v57
	v_cndmask_b32_e64 v82, v18, v5, s[0:1]
	v_cndmask_b32_e64 v83, v9, v19, s[0:1]
	v_lshl_add_u64 v[50:51], v[10:11], 0, v[12:13]
	s_mov_b32 s3, 0x7060302
	s_movk_i32 s26, 0x4000
	v_add_u32_e32 v84, v20, v78
	v_add_u32_e32 v85, v20, v79
	;; [unrolled: 1-line block ×4, first 2 shown]
	s_waitcnt lgkmcnt(0)
	s_barrier
.LBB546_32:                             ; =>This Inner Loop Header: Depth=1
	s_add_i32 s39, s62, 1
	s_cmp_lt_i32 s39, s50
	s_mov_b64 s[28:29], 0
	s_cselect_b64 s[42:43], -1, 0
	s_cmp_ge_i32 s39, s50
	s_mov_b64 s[24:25], 0
	s_cbranch_scc1 .LBB546_34
; %bb.33:                               ;   in Loop: Header=BB546_32 Depth=1
	s_add_i32 s0, s57, 64
	s_ashr_i32 s1, s0, 31
	s_add_u32 s0, s55, s0
	s_addc_u32 s1, s54, s1
	s_lshl_b64 s[0:1], s[0:1], 8
	s_add_u32 s24, s6, s0
	s_addc_u32 s25, s7, s1
.LBB546_34:                             ;   in Loop: Header=BB546_32 Depth=1
	v_cndmask_b32_e64 v5, 0, 1, s[42:43]
	v_cmp_ne_u32_e64 s[0:1], 1, v5
	s_andn2_b64 vcc, exec, s[42:43]
	s_cbranch_vccnz .LBB546_36
; %bb.35:                               ;   in Loop: Header=BB546_32 Depth=1
	s_add_i32 s28, s57, 64
	s_mul_hi_i32 s29, s28, s18
	s_mul_i32 s28, s28, s18
	s_add_u32 s28, s28, s53
	s_addc_u32 s29, s29, s58
	s_lshl_b64 s[28:29], s[28:29], 8
	s_add_u32 s28, s4, s28
	s_addc_u32 s29, s5, s29
.LBB546_36:                             ;   in Loop: Header=BB546_32 Depth=1
	v_perm_b32 v11, v59, v4, s3
	v_perm_b32 v10, v3, v2, s3
	;; [unrolled: 1-line block ×4, first 2 shown]
	ds_write_b64 v67, v[10:11]
	ds_write_b64 v68, v[12:13]
	ds_write_b64 v69, v[10:11]
	ds_write_b64 v70, v[12:13]
	s_waitcnt lgkmcnt(0)
	s_barrier
	ds_read_b64 v[18:19], v71 offset:16384
	ds_read_b64 v[20:21], v73 offset:16384
	ds_read2st64_b64 v[10:13], v72 offset1:1
	s_waitcnt lgkmcnt(0)
	v_mfma_f32_16x16x16_bf16 a[0:3], v[18:19], v[10:11], 0
	ds_read2st64_b64 v[14:17], v72 offset0:2 offset1:3
	ds_read_b64 v[22:23], v74 offset:16384
	ds_read_b64 v[10:11], v75 offset:16384
	s_add_i32 s31, s57, 63
	v_mfma_f32_16x16x16_bf16 a[0:3], v[20:21], v[12:13], a[0:3]
	s_ashr_i32 s41, s31, 31
	s_mul_i32 s42, s31, s35
	s_mul_hi_u32 s43, s31, s34
	s_waitcnt lgkmcnt(1)
	v_mfma_f32_16x16x16_bf16 a[0:3], v[22:23], v[14:15], a[0:3]
	s_add_i32 s42, s43, s42
	s_mul_i32 s41, s41, s34
	s_add_i32 s43, s42, s41
	s_mul_i32 s42, s31, s34
	s_waitcnt lgkmcnt(0)
	v_mfma_f32_16x16x16_bf16 a[0:3], v[10:11], v[16:17], a[0:3]
	s_lshl_b64 s[42:43], s[42:43], 2
	s_add_u32 s42, s20, s42
	s_addc_u32 s43, s21, s43
	s_and_b64 vcc, exec, s[0:1]
	v_mov_b32_e32 v88, 0
	v_mov_b32_e32 v9, 0
	v_mov_b32_e32 v5, 0
	v_mov_b32_e32 v10, 0
	v_mov_b32_e32 v11, 0
	v_mov_b32_e32 v12, 0
	v_mov_b32_e32 v13, 0
	v_mov_b32_e32 v14, 0
	v_mov_b32_e32 v15, 0
	v_mov_b32_e32 v16, 0
	v_mov_b32_e32 v17, 0
	v_mov_b32_e32 v18, 0
	v_mov_b32_e32 v19, 0
	v_mov_b32_e32 v20, 0
	v_mov_b32_e32 v21, 0
	v_mov_b32_e32 v22, 0
	v_mov_b32_e32 v23, 0
	v_mov_b32_e32 v24, 0
	v_mov_b32_e32 v25, 0
	s_cbranch_vccnz .LBB546_38
; %bb.37:                               ;   in Loop: Header=BB546_32 Depth=1
	s_and_b32 s25, s25, 0xffff
	buffer_load_dwordx4 v[22:25], v63, s[24:27], 0 offen
	buffer_load_dwordx4 v[18:21], v63, s[24:27], s59 offen
	;; [unrolled: 1-line block ×4, first 2 shown]
	v_mov_b32_e32 v9, v65
	v_mov_b32_e32 v5, v66
.LBB546_38:                             ;   in Loop: Header=BB546_32 Depth=1
	s_waitcnt vmcnt(3)
	v_add_u32_e32 v30, s57, v57
	s_waitcnt vmcnt(1)
	v_ashrrev_i32_e32 v26, 31, v30
	v_mul_lo_u32 v28, v26, s34
	v_mul_lo_u32 v29, v30, s35
	v_mad_u64_u32 v[26:27], s[24:25], v30, s34, 0
	v_add3_u32 v27, v27, v29, v28
	v_lshl_add_u64 v[26:27], v[26:27], 2, s[20:21]
	global_load_dword v96, v[26:27], off
	v_add_u32_e32 v26, 1, v30
	v_ashrrev_i32_e32 v27, 31, v26
	v_mul_lo_u32 v28, v27, s34
	v_mul_lo_u32 v29, v26, s35
	v_mad_u64_u32 v[26:27], s[24:25], v26, s34, 0
	v_add3_u32 v27, v27, v29, v28
	v_add_u32_e32 v28, 2, v30
	v_ashrrev_i32_e32 v29, 31, v28
	v_mul_lo_u32 v31, v29, s34
	v_mul_lo_u32 v32, v28, s35
	v_mad_u64_u32 v[28:29], s[24:25], v28, s34, 0
	v_add_u32_e32 v30, 3, v30
	v_add3_u32 v29, v29, v32, v31
	v_ashrrev_i32_e32 v31, 31, v30
	v_mul_lo_u32 v34, v31, s34
	v_mul_lo_u32 v35, v30, s35
	v_mad_u64_u32 v[30:31], s[24:25], v30, s34, 0
	s_ashr_i32 s25, s57, 31
	s_add_u32 s24, s55, s57
	s_addc_u32 s25, s54, s25
	s_lshl_b64 s[24:25], s[24:25], 8
	v_lshl_add_u64 v[26:27], v[26:27], 2, s[20:21]
	v_lshl_add_u64 v[32:33], v[50:51], 0, s[24:25]
	v_add3_u32 v31, v31, v35, v34
	v_lshl_add_u64 v[28:29], v[28:29], 2, s[20:21]
	global_load_ushort v97, v[32:33], off
	global_load_ushort v98, v[32:33], off offset:256
	global_load_ushort v99, v[32:33], off offset:512
	;; [unrolled: 1-line block ×3, first 2 shown]
	v_lshl_add_u64 v[30:31], v[30:31], 2, s[20:21]
	global_load_dword v101, v[26:27], off
	global_load_dword v102, v[28:29], off
	global_load_dword v103, v[30:31], off
	s_load_dword s24, s[42:43], 0x0
	ds_read2st64_b64 v[34:37], v76 offset1:1
	ds_read2st64_b64 v[38:41], v76 offset0:2 offset1:3
	ds_read_b64 v[32:33], v71 offset:24576
	ds_read_b64 v[90:91], v73 offset:24576
	;; [unrolled: 1-line block ×4, first 2 shown]
	s_waitcnt lgkmcnt(0)
	v_mfma_f32_16x16x16_bf16 a[0:3], v[32:33], v[34:35], a[0:3]
	v_mov_b32_e32 v89, 0
	v_mov_b32_e32 v26, 0
	v_mov_b32_e32 v27, 0
	v_mfma_f32_16x16x16_bf16 a[0:3], v[90:91], v[36:37], a[0:3]
	v_mov_b32_e32 v28, 0
	v_mov_b32_e32 v29, 0
	v_mov_b32_e32 v30, 0
	;; [unrolled: 4-line block ×4, first 2 shown]
	v_mov_b32_e32 v37, 0
	v_mov_b32_e32 v38, 0
	;; [unrolled: 1-line block ×3, first 2 shown]
	s_and_b64 vcc, exec, s[0:1]
	v_accvgpr_read_b32 v91, a1
	v_accvgpr_read_b32 v41, a3
	;; [unrolled: 1-line block ×4, first 2 shown]
	s_waitcnt vmcnt(7)
	v_sub_f32_e32 v96, s24, v96
	v_exp_f32_e32 v96, v96
	s_waitcnt vmcnt(6)
	v_lshlrev_b32_e32 v92, 16, v97
	s_waitcnt vmcnt(5)
	v_lshlrev_b32_e32 v93, 16, v98
	;; [unrolled: 2-line block ×3, first 2 shown]
	s_waitcnt vmcnt(2)
	v_sub_f32_e32 v97, s24, v101
	s_waitcnt vmcnt(1)
	v_sub_f32_e32 v98, s24, v102
	;; [unrolled: 2-line block ×3, first 2 shown]
	v_exp_f32_e32 v97, v97
	v_exp_f32_e32 v98, v98
	v_exp_f32_e32 v99, v99
	v_lshlrev_b32_e32 v95, 16, v100
	v_pk_add_f32 v[90:91], v[92:93], v[90:91] neg_lo:[0,1] neg_hi:[0,1]
	v_pk_add_f32 v[40:41], v[94:95], v[40:41] neg_lo:[0,1] neg_hi:[0,1]
	v_pk_mul_f32 v[90:91], v[96:97], v[90:91]
	v_pk_mul_f32 v[40:41], v[98:99], v[40:41]
	s_nop 0
	v_perm_b32 v41, v41, v40, s3
	v_perm_b32 v40, v91, v90, s3
	ds_write_b64 v68, v[40:41]
	v_mov_b32_e32 v40, 0
	v_mov_b32_e32 v41, 0
	s_cbranch_vccnz .LBB546_40
; %bb.39:                               ;   in Loop: Header=BB546_32 Depth=1
	s_and_b32 s29, s29, 0xffff
	s_mov_b32 s31, s27
	buffer_load_dwordx4 v[38:41], v82, s[28:31], 0 offen
	buffer_load_dwordx4 v[30:33], v82, s[28:31], s59 offen
	;; [unrolled: 1-line block ×4, first 2 shown]
	v_mov_b32_e32 v88, v62
	v_mov_b32_e32 v89, v61
.LBB546_40:                             ;   in Loop: Header=BB546_32 Depth=1
	s_waitcnt lgkmcnt(0)
	s_barrier
	ds_read_b64 v[98:99], v84
	ds_read2st64_b64 v[90:93], v76 offset1:1
	ds_read2st64_b64 v[94:97], v76 offset0:2 offset1:3
	ds_read_b64 v[100:101], v85
	ds_read_b64 v[102:103], v86
	;; [unrolled: 1-line block ×3, first 2 shown]
	s_waitcnt lgkmcnt(4)
	v_mfma_f32_16x16x16_bf16 a[0:3], v[98:99], v[90:91], 0
	ds_read_b64 v[98:99], v78 offset:8192
	ds_read_b64 v[106:107], v79 offset:8192
	s_add_i32 s25, s56, s62
	s_mul_hi_i32 s29, s25, s17
	s_waitcnt lgkmcnt(1)
	v_mfma_f32_16x16x16_bf16 a[4:7], v[98:99], v[90:91], 0
	s_mul_i32 s25, s25, s17
	s_add_u32 s28, s25, s49
	s_addc_u32 s29, s29, s51
	v_mfma_f32_16x16x16_bf16 a[0:3], v[100:101], v[92:93], a[0:3]
	ds_read_b64 v[98:99], v47
	ds_read_b64 v[100:101], v77
	ds_read_b64 v[90:91], v80 offset:8192
	s_lshl_b64 s[28:29], s[28:29], 15
	v_mfma_f32_16x16x16_bf16 a[0:3], v[102:103], v[94:95], a[0:3]
	ds_read_b64 v[102:103], v81 offset:8192
	s_and_b64 vcc, exec, s[0:1]
	s_waitcnt lgkmcnt(4)
	v_mfma_f32_16x16x16_bf16 a[4:7], v[106:107], v[92:93], a[4:7]
	s_waitcnt lgkmcnt(1)
	v_mfma_f32_16x16x16_bf16 a[4:7], v[90:91], v[94:95], a[4:7]
	v_lshl_add_u64 v[90:91], v[48:49], 0, s[28:29]
	global_store_dwordx4 v[90:91], v[98:101], off
	v_mfma_f32_16x16x16_bf16 a[0:3], v[104:105], v[96:97], a[0:3]
	s_waitcnt lgkmcnt(0)
	v_mfma_f32_16x16x16_bf16 a[4:7], v[102:103], v[96:97], a[4:7]
	s_cbranch_vccnz .LBB546_42
; %bb.41:                               ;   in Loop: Header=BB546_32 Depth=1
	v_lshrrev_b32_e32 v90, 3, v88
	v_and_b32_e32 v90, 6, v90
	v_xor_b32_e32 v89, v90, v89
	v_lshlrev_b32_e32 v89, 2, v89
	v_and_b32_e32 v88, 8, v88
	v_xor_b32_e32 v91, 0x440, v89
	v_cmp_eq_u32_e32 vcc, 0, v88
	s_barrier
	s_nop 0
	v_cndmask_b32_e32 v88, v91, v89, vcc
	v_lshl_or_b32 v88, v90, 10, v88
	s_waitcnt vmcnt(2)
	v_perm_b32 v89, v38, v34, s60
	s_waitcnt vmcnt(1)
	v_perm_b32 v90, v30, v26, s60
	ds_write2st64_b32 v88, v89, v90 offset1:32
	v_xor_b32_e32 v89, 8, v88
	v_perm_b32 v34, v38, v34, s61
	v_perm_b32 v26, v30, v26, s61
	v_add_u32_e32 v30, 0x80, v89
	ds_write2st64_b32 v30, v34, v26 offset1:32
	v_xor_b32_e32 v26, 16, v88
	v_perm_b32 v30, v39, v35, s60
	v_perm_b32 v34, v31, v27, s60
	ds_write2st64_b32 v26, v30, v34 offset0:1 offset1:33
	v_xor_b32_e32 v26, 24, v88
	v_perm_b32 v30, v39, v35, s61
	v_perm_b32 v27, v31, v27, s61
	v_add_u32_e32 v26, 0x80, v26
	ds_write2st64_b32 v26, v30, v27 offset0:1 offset1:33
	v_xor_b32_e32 v26, 32, v88
	v_perm_b32 v27, v40, v36, s60
	v_perm_b32 v30, v32, v28, s60
	ds_write2st64_b32 v26, v27, v30 offset0:2 offset1:34
	v_xor_b32_e32 v26, 40, v88
	v_perm_b32 v27, v40, v36, s61
	v_perm_b32 v28, v32, v28, s61
	v_add_u32_e32 v26, 0x80, v26
	ds_write2st64_b32 v26, v27, v28 offset0:2 offset1:34
	;; [unrolled: 9-line block ×3, first 2 shown]
	ds_write_b64 v9, v[22:23] offset:16384
	v_xor_b32_e32 v22, 8, v9
	ds_write_b64 v22, v[24:25] offset:16384
	ds_write_b64 v9, v[18:19] offset:24576
	;; [unrolled: 1-line block ×4, first 2 shown]
	v_xor_b32_e32 v9, 8, v5
	ds_write_b64 v9, v[16:17] offset:16384
	ds_write_b64 v5, v[10:11] offset:24576
	;; [unrolled: 1-line block ×3, first 2 shown]
.LBB546_42:                             ;   in Loop: Header=BB546_32 Depth=1
	v_exp_f32_e32 v10, s24
	s_nop 2
	v_accvgpr_read_b32 v9, a1
	v_accvgpr_read_b32 v5, a0
	s_add_i32 s57, s57, 64
	v_fma_f32 v3, v3, v10, v9
	v_accvgpr_read_b32 v9, a4
	v_fma_f32 v6, v6, v10, v9
	v_accvgpr_read_b32 v9, a5
	;; [unrolled: 2-line block ×6, first 2 shown]
	v_fmac_f32_e32 v5, v59, v10
	s_cmp_eq_u32 s50, s39
	v_fmac_f32_e32 v9, v60, v10
	s_cbranch_scc1 .LBB546_4
; %bb.43:                               ;   in Loop: Header=BB546_32 Depth=1
	s_mov_b32 s62, s39
	v_mov_b32_e32 v59, v5
	v_mov_b32_e32 v60, v9
	s_branch .LBB546_32
.LBB546_44:
                                        ; implicit-def: $vgpr13
                                        ; implicit-def: $vgpr17
                                        ; implicit-def: $vgpr21
                                        ; implicit-def: $vgpr25
	s_cbranch_execz .LBB546_46
; %bb.45:
	s_waitcnt vmcnt(0)
	v_mad_u64_u32 v[10:11], s[0:1], v27, s19, v[26:27]
	v_lshlrev_b32_e32 v27, 1, v10
	s_lshl_b32 s2, s19, 7
	s_and_b32 s1, s5, 0xffff
	s_mov_b32 s3, 0x20000
	s_mov_b32 s0, s4
	v_add_lshl_u32 v28, v10, s19, 1
	s_movk_i32 s17, 0x80
	buffer_load_dwordx4 v[10:13], v27, s[0:3], 0 offen
	buffer_load_dwordx4 v[18:21], v27, s[0:3], s17 offen
	;; [unrolled: 1-line block ×4, first 2 shown]
.LBB546_46:
	v_lshrrev_b32_e32 v45, 2, v45
	s_cbranch_execnz .LBB546_59
.LBB546_47:
	s_and_b64 vcc, exec, s[6:7]
	s_cbranch_vccz .LBB546_57
; %bb.48:
	s_waitcnt vmcnt(0)
	v_lshlrev_b32_e32 v15, 1, v47
	v_cmp_gt_i32_e32 vcc, s30, v15
	v_mov_b32_e32 v14, 0
	v_lshlrev_b32_e32 v22, 9, v47
	v_mov_b32_e32 v10, 0
	v_mov_b32_e32 v11, 0
	;; [unrolled: 1-line block ×4, first 2 shown]
	s_and_saveexec_b64 s[0:1], vcc
	s_cbranch_execz .LBB546_50
; %bb.49:
	v_mov_b32_e32 v23, 0
	v_lshl_add_u64 v[10:11], s[4:5], 0, v[22:23]
	v_lshlrev_b32_e32 v12, 1, v26
	v_mov_b32_e32 v13, v23
	v_lshl_add_u64 v[10:11], v[10:11], 0, v[12:13]
	global_load_dwordx4 v[10:13], v[10:11], off
.LBB546_50:
	s_or_b64 exec, exec, s[0:1]
	v_or_b32_e32 v15, 1, v15
	v_cmp_gt_i32_e64 s[0:1], s30, v15
	v_lshlrev_b32_e32 v28, 8, v15
	v_mov_b32_e32 v15, 0
	v_mov_b32_e32 v16, 0
	;; [unrolled: 1-line block ×3, first 2 shown]
	s_and_saveexec_b64 s[2:3], s[0:1]
	s_cbranch_execz .LBB546_52
; %bb.51:
	v_mov_b32_e32 v29, 0
	v_lshl_add_u64 v[14:15], s[4:5], 0, v[28:29]
	v_lshlrev_b32_e32 v16, 1, v26
	v_mov_b32_e32 v17, v29
	v_lshl_add_u64 v[14:15], v[14:15], 0, v[16:17]
	global_load_dwordx4 v[14:17], v[14:15], off
.LBB546_52:
	s_or_b64 exec, exec, s[2:3]
	v_mov_b32_e32 v25, 0
	v_mov_b32_e32 v18, 0
	;; [unrolled: 1-line block ×5, first 2 shown]
	s_and_saveexec_b64 s[2:3], vcc
	s_cbranch_execz .LBB546_54
; %bb.53:
	v_mov_b32_e32 v23, 0
	v_lshl_add_u64 v[18:19], s[4:5], 0, v[22:23]
	v_lshlrev_b32_e32 v22, 1, v26
	v_lshl_add_u64 v[18:19], v[18:19], 0, v[22:23]
	global_load_dwordx4 v[18:21], v[18:19], off offset:128
.LBB546_54:
	s_or_b64 exec, exec, s[2:3]
	v_mov_b32_e32 v24, 0
	v_mov_b32_e32 v23, 0
	;; [unrolled: 1-line block ×3, first 2 shown]
	s_and_saveexec_b64 s[2:3], s[0:1]
	s_cbranch_execz .LBB546_56
; %bb.55:
	v_mov_b32_e32 v29, 0
	v_lshl_add_u64 v[22:23], s[4:5], 0, v[28:29]
	v_lshlrev_b32_e32 v28, 1, v26
	v_lshl_add_u64 v[22:23], v[22:23], 0, v[28:29]
	global_load_dwordx4 v[22:25], v[22:23], off offset:128
.LBB546_56:
	s_or_b64 exec, exec, s[2:3]
	s_branch .LBB546_59
.LBB546_57:
                                        ; implicit-def: $vgpr13
                                        ; implicit-def: $vgpr17
                                        ; implicit-def: $vgpr21
                                        ; implicit-def: $vgpr25
	s_cbranch_execz .LBB546_59
; %bb.58:
	s_waitcnt vmcnt(0)
	v_lshlrev_b32_e32 v10, 1, v26
	v_lshl_or_b32 v26, v47, 9, v10
	s_and_b32 s5, s5, 0xffff
	s_mov_b32 s7, 0x20000
	s_movk_i32 s6, 0x4000
	s_movk_i32 s0, 0x80
	buffer_load_dwordx4 v[10:13], v26, s[4:7], 0 offen
	buffer_load_dwordx4 v[14:17], v26, s[4:7], 0 offen offset:256
	buffer_load_dwordx4 v[18:21], v26, s[4:7], s0 offen
	buffer_load_dwordx4 v[22:25], v26, s[4:7], s0 offen offset:256
.LBB546_59:
	ds_read2st64_b64 v[30:33], v50 offset0:76 offset1:77
	ds_read2st64_b64 v[26:29], v50 offset0:78 offset1:79
	ds_read_b64 v[38:39], v34 offset:24576
	ds_read_b64 v[40:41], v35 offset:24576
	;; [unrolled: 1-line block ×4, first 2 shown]
	v_and_b32_e32 v51, 6, v0
	v_xor_b32_e32 v47, v47, v51
	v_lshlrev_b32_e32 v47, 2, v47
	v_and_b32_e32 v53, 1, v0
	v_xor_b32_e32 v54, 0x440, v47
	v_cmp_eq_u32_e32 vcc, 0, v53
	s_mov_b32 s0, 0x1000504
	s_waitcnt vmcnt(0)
	v_perm_b32 v53, v18, v22, s0
	v_cndmask_b32_e32 v47, v54, v47, vcc
	v_lshl_or_b32 v47, v51, 10, v47
	v_perm_b32 v51, v10, v14, s0
	ds_write2st64_b32 v47, v51, v53 offset1:32
	v_xor_b32_e32 v51, 8, v47
	s_mov_b32 s1, 0x3020706
	v_perm_b32 v10, v10, v14, s1
	v_perm_b32 v14, v18, v22, s1
	v_add_u32_e32 v18, 0x80, v51
	ds_write2st64_b32 v18, v10, v14 offset1:32
	v_xor_b32_e32 v10, 16, v47
	v_perm_b32 v14, v11, v15, s0
	v_perm_b32 v18, v19, v23, s0
	ds_write2st64_b32 v10, v14, v18 offset0:1 offset1:33
	v_xor_b32_e32 v10, 24, v47
	v_perm_b32 v11, v11, v15, s1
	v_perm_b32 v14, v19, v23, s1
	v_add_u32_e32 v10, 0x80, v10
	ds_write2st64_b32 v10, v11, v14 offset0:1 offset1:33
	v_xor_b32_e32 v10, 32, v47
	v_perm_b32 v11, v12, v16, s0
	v_perm_b32 v14, v20, v24, s0
	ds_write2st64_b32 v10, v11, v14 offset0:2 offset1:34
	v_xor_b32_e32 v10, 40, v47
	v_perm_b32 v11, v12, v16, s1
	v_perm_b32 v12, v20, v24, s1
	v_add_u32_e32 v10, 0x80, v10
	ds_write2st64_b32 v10, v11, v12 offset0:2 offset1:34
	v_xor_b32_e32 v10, 48, v47
	v_perm_b32 v11, v13, v17, s0
	v_perm_b32 v12, v21, v25, s0
	ds_write2st64_b32 v10, v11, v12 offset0:3 offset1:35
	v_xor_b32_e32 v10, 56, v47
	v_and_or_b32 v16, v45, 12, v52
	v_perm_b32 v11, v13, v17, s1
	v_perm_b32 v12, v21, v25, s1
	v_add_u32_e32 v10, 0x80, v10
	v_cmp_gt_i32_e32 vcc, s30, v16
	v_mov_b32_e32 v17, 0
	v_mov_b32_e32 v21, 0
	ds_write2st64_b32 v10, v11, v12 offset0:3 offset1:35
	s_and_saveexec_b64 s[0:1], vcc
	s_cbranch_execz .LBB546_61
; %bb.60:
	v_add_u32_e32 v10, s31, v16
	v_ashrrev_i32_e32 v11, 31, v10
	v_mul_lo_u32 v12, v11, s34
	v_mul_lo_u32 v13, v10, s35
	v_mad_u64_u32 v[10:11], s[2:3], v10, s34, 0
	v_add3_u32 v11, v11, v13, v12
	v_lshl_add_u64 v[10:11], v[10:11], 2, s[10:11]
	global_load_dword v10, v[10:11], off
	s_waitcnt vmcnt(0)
	v_sub_f32_e32 v10, s16, v10
	v_exp_f32_e32 v21, v10
.LBB546_61:
	s_or_b64 exec, exec, s[0:1]
	v_or_b32_e32 v19, 1, v16
	v_cmp_gt_i32_e64 s[0:1], s30, v19
	s_and_saveexec_b64 s[2:3], s[0:1]
	s_cbranch_execz .LBB546_63
; %bb.62:
	v_add_u32_e32 v10, s31, v19
	v_ashrrev_i32_e32 v11, 31, v10
	v_mul_lo_u32 v12, v11, s34
	v_mul_lo_u32 v13, v10, s35
	v_mad_u64_u32 v[10:11], s[4:5], v10, s34, 0
	v_add3_u32 v11, v11, v13, v12
	v_lshl_add_u64 v[10:11], v[10:11], 2, s[10:11]
	global_load_dword v10, v[10:11], off
	s_waitcnt vmcnt(0)
	v_sub_f32_e32 v10, s16, v10
	v_exp_f32_e32 v17, v10
.LBB546_63:
	s_or_b64 exec, exec, s[2:3]
	v_or_b32_e32 v20, 2, v16
	v_cmp_gt_i32_e64 s[2:3], s30, v20
	v_mov_b32_e32 v18, 0
	v_mov_b32_e32 v23, 0
	s_and_saveexec_b64 s[4:5], s[2:3]
	s_cbranch_execz .LBB546_65
; %bb.64:
	v_add_u32_e32 v10, s31, v20
	v_ashrrev_i32_e32 v11, 31, v10
	v_mul_lo_u32 v12, v11, s34
	v_mul_lo_u32 v13, v10, s35
	v_mad_u64_u32 v[10:11], s[6:7], v10, s34, 0
	v_add3_u32 v11, v11, v13, v12
	v_lshl_add_u64 v[10:11], v[10:11], 2, s[10:11]
	global_load_dword v10, v[10:11], off
	s_waitcnt vmcnt(0)
	v_sub_f32_e32 v10, s16, v10
	v_exp_f32_e32 v23, v10
.LBB546_65:
	s_or_b64 exec, exec, s[4:5]
	v_or_b32_e32 v22, 3, v16
	v_cmp_gt_i32_e64 s[4:5], s30, v22
	s_and_saveexec_b64 s[6:7], s[4:5]
	s_cbranch_execz .LBB546_67
; %bb.66:
	v_add_u32_e32 v10, s31, v22
	v_ashrrev_i32_e32 v11, 31, v10
	v_mul_lo_u32 v12, v11, s34
	v_mul_lo_u32 v13, v10, s35
	v_mad_u64_u32 v[10:11], s[18:19], v10, s34, 0
	v_add3_u32 v11, v11, v13, v12
	v_lshl_add_u64 v[10:11], v[10:11], 2, s[10:11]
	global_load_dword v10, v[10:11], off
	s_waitcnt vmcnt(0)
	v_sub_f32_e32 v10, s16, v10
	v_exp_f32_e32 v18, v10
.LBB546_67:
	s_or_b64 exec, exec, s[6:7]
	s_waitcnt lgkmcnt(11)
	v_mfma_f32_16x16x16_bf16 a[0:3], v[38:39], v[30:31], a[0:3]
	s_add_u32 s6, s8, s24
	v_ashrrev_i32_e32 v47, 31, v46
	s_addc_u32 s7, s9, s25
	s_waitcnt lgkmcnt(10)
	v_mfma_f32_16x16x16_bf16 a[0:3], v[40:41], v[32:33], a[0:3]
	v_mov_b32_e32 v24, 0
	v_lshl_add_u64 v[14:15], v[46:47], 1, s[6:7]
	v_mov_b32_e32 v25, 0
	s_waitcnt lgkmcnt(9)
	v_mfma_f32_16x16x16_bf16 a[0:3], v[36:37], v[26:27], a[0:3]
	s_waitcnt lgkmcnt(8)
	v_mfma_f32_16x16x16_bf16 a[0:3], v[34:35], v[28:29], a[0:3]
	s_nop 6
	v_accvgpr_read_b32 v13, a3
	v_accvgpr_read_b32 v12, a2
	;; [unrolled: 1-line block ×4, first 2 shown]
	s_and_saveexec_b64 s[6:7], vcc
	s_cbranch_execz .LBB546_69
; %bb.68:
	v_lshlrev_b32_e32 v26, 8, v16
	v_mov_b32_e32 v27, 0
	v_lshl_add_u64 v[26:27], v[14:15], 0, v[26:27]
	global_load_ushort v25, v[26:27], off
	s_waitcnt vmcnt(0)
	v_lshlrev_b32_e32 v25, 16, v25
	v_sub_f32_e32 v10, v25, v10
	v_mul_f32_e32 v10, v21, v10
	v_lshrrev_b32_e32 v25, 16, v10
.LBB546_69:
	s_or_b64 exec, exec, s[6:7]
	s_and_saveexec_b64 s[6:7], s[0:1]
	s_cbranch_execz .LBB546_71
; %bb.70:
	v_lshlrev_b32_e32 v26, 8, v19
	v_mov_b32_e32 v27, 0
	v_lshl_add_u64 v[26:27], v[14:15], 0, v[26:27]
	global_load_ushort v10, v[26:27], off
	s_waitcnt vmcnt(0)
	v_lshlrev_b32_e32 v10, 16, v10
	v_sub_f32_e32 v10, v10, v11
	v_mul_f32_e32 v10, v17, v10
	v_lshrrev_b32_e32 v24, 16, v10
.LBB546_71:
	s_or_b64 exec, exec, s[6:7]
	v_mov_b32_e32 v11, 0
	v_mov_b32_e32 v17, 0
	s_and_saveexec_b64 s[0:1], s[2:3]
	s_cbranch_execz .LBB546_73
; %bb.72:
	v_lshlrev_b32_e32 v20, 8, v20
	v_mov_b32_e32 v21, 0
	v_lshl_add_u64 v[20:21], v[14:15], 0, v[20:21]
	global_load_ushort v10, v[20:21], off
	s_waitcnt vmcnt(0)
	v_lshlrev_b32_e32 v10, 16, v10
	v_sub_f32_e32 v10, v10, v12
	v_mul_f32_e32 v10, v23, v10
	v_lshrrev_b32_e32 v17, 16, v10
.LBB546_73:
	s_or_b64 exec, exec, s[0:1]
	v_or_b32_e32 v10, 0x9800, v50
	s_and_saveexec_b64 s[0:1], s[4:5]
	s_cbranch_execz .LBB546_75
; %bb.74:
	v_lshlrev_b32_e32 v20, 8, v22
	v_mov_b32_e32 v21, 0
	v_lshl_add_u64 v[14:15], v[14:15], 0, v[20:21]
	global_load_ushort v11, v[14:15], off
	s_waitcnt vmcnt(0)
	v_lshlrev_b32_e32 v11, 16, v11
	v_sub_f32_e32 v11, v11, v13
	v_mul_f32_e32 v11, v18, v11
	v_lshrrev_b32_e32 v11, 16, v11
.LBB546_75:
	s_or_b64 exec, exec, s[0:1]
	s_mov_b32 s0, 0x5040100
	v_perm_b32 v13, v11, v17, s0
	v_lshlrev_b32_e32 v11, 1, v48
	v_perm_b32 v12, v24, v25, s0
	v_lshl_or_b32 v11, v16, 5, v11
	s_movk_i32 s0, 0xff
	ds_write_b64 v11, v[12:13] offset:38912
	v_and_b32_e32 v11, 7, v0
	v_and_b32_e32 v12, 8, v0
	v_cmp_lt_u32_e32 vcc, s0, v0
	v_lshrrev_b32_e32 v0, 1, v0
	v_lshlrev_b32_e32 v22, 3, v1
	v_and_b32_e32 v23, 24, v0
	v_xor_b32_e32 v0, v22, v23
	v_cndmask_b32_e64 v13, 0, 1, vcc
	v_or_b32_e32 v1, 0x440, v0
	v_cmp_eq_u32_e32 vcc, 0, v12
	v_lshlrev_b32_e32 v20, 3, v11
	v_lshlrev_b32_e32 v11, 7, v11
	v_cndmask_b32_e32 v0, v1, v0, vcc
	v_or_b32_e32 v0, v0, v49
	v_lshlrev_b32_e32 v21, 13, v13
	v_xad_u32 v24, v0, v20, v11
	v_add_u32_e32 v0, v21, v24
	s_waitcnt lgkmcnt(0)
	s_barrier
	ds_read_b64 v[0:1], v0
	ds_read2st64_b64 v[12:15], v10 offset1:1
	ds_read2st64_b64 v[16:19], v10 offset0:2 offset1:3
	s_waitcnt lgkmcnt(1)
	v_mfma_f32_16x16x16_bf16 a[0:3], v[0:1], v[12:13], 0
	v_or_b32_e32 v0, 32, v23
	v_xor_b32_e32 v0, v22, v0
	v_or_b32_e32 v1, 0x440, v0
	v_cndmask_b32_e32 v0, v1, v0, vcc
	v_or_b32_e32 v0, v0, v49
	v_xad_u32 v25, v0, v20, v11
	v_add_u32_e32 v0, v21, v25
	ds_read_b64 v[0:1], v0
	v_or_b32_e32 v10, 0x60, v23
	s_waitcnt lgkmcnt(0)
	v_mfma_f32_16x16x16_bf16 a[0:3], v[0:1], v[14:15], a[0:3]
	v_or_b32_e32 v0, 64, v23
	v_xor_b32_e32 v0, v22, v0
	v_xor_b32_e32 v1, 0x440, v0
	v_cndmask_b32_e32 v0, v1, v0, vcc
	v_or_b32_e32 v0, v0, v49
	v_xad_u32 v26, v0, v20, v11
	v_xor_b32_e32 v10, v22, v10
	v_add_u32_e32 v0, v21, v26
	v_xor_b32_e32 v22, 0x440, v10
	ds_read_b64 v[0:1], v0
	v_cndmask_b32_e32 v10, v22, v10, vcc
	v_or_b32_e32 v10, v10, v49
	v_xad_u32 v22, v10, v20, v11
	v_add_u32_e32 v10, v21, v22
	ds_read_b64 v[10:11], v10
	s_waitcnt lgkmcnt(1)
	v_mfma_f32_16x16x16_bf16 a[0:3], v[0:1], v[16:17], a[0:3]
	ds_read_b64 v[0:1], v24 offset:8192
	ds_read_b64 v[20:21], v26 offset:8192
	v_exp_f32_e32 v23, s16
	s_waitcnt lgkmcnt(2)
	v_mfma_f32_16x16x16_bf16 a[0:3], v[10:11], v[18:19], a[0:3]
	ds_read_b64 v[10:11], v25 offset:8192
	s_waitcnt lgkmcnt(2)
	v_mfma_f32_16x16x16_bf16 a[4:7], v[0:1], v[12:13], 0
	ds_read_b64 v[12:13], v22 offset:8192
	s_nop 2
	v_accvgpr_read_b32 v0, a0
	v_accvgpr_read_b32 v1, a1
	s_waitcnt lgkmcnt(1)
	v_mfma_f32_16x16x16_bf16 a[4:7], v[10:11], v[14:15], a[4:7]
	v_fma_f32 v0, v2, v23, v0
	v_fma_f32 v1, v3, v23, v1
	v_accvgpr_read_b32 v2, a2
	v_mfma_f32_16x16x16_bf16 a[4:7], v[20:21], v[16:17], a[4:7]
	v_accvgpr_read_b32 v3, a3
	v_fma_f32 v2, v4, v23, v2
	v_fmac_f32_e32 v3, v5, v23
	s_waitcnt lgkmcnt(0)
	v_mfma_f32_16x16x16_bf16 a[0:3], v[12:13], v[18:19], a[4:7]
	s_nop 6
	v_accvgpr_read_b32 v4, a0
	v_accvgpr_read_b32 v5, a1
	v_fma_f32 v4, v6, v23, v4
	v_fma_f32 v5, v7, v23, v5
	v_accvgpr_read_b32 v6, a2
	v_accvgpr_read_b32 v7, a3
	v_fma_f32 v6, v8, v23, v6
	v_fmac_f32_e32 v7, v9, v23
	v_mov_b64_e32 v[8:9], v[6:7]
	v_mov_b64_e32 v[6:7], v[4:5]
	;; [unrolled: 1-line block ×4, first 2 shown]
.LBB546_76:
	s_add_u32 s0, s12, s14
	s_addc_u32 s1, s13, s15
	v_lshl_add_u64 v[0:1], v[42:43], 1, s[0:1]
	v_mov_b32_e32 v45, 0
	s_mov_b32 s0, 0x7060302
	v_lshl_add_u64 v[0:1], v[0:1], 0, v[44:45]
	v_perm_b32 v5, v5, v4, s0
	v_perm_b32 v4, v3, v2, s0
	;; [unrolled: 1-line block ×4, first 2 shown]
	global_store_dwordx2 v[0:1], v[4:5], off
	global_store_dwordx2 v[0:1], v[2:3], off offset:128
	s_endpgm
	.section	.rodata,"a",@progbits
	.p2align	6, 0x0
	.amdhsa_kernel _ZN12_GLOBAL__N_139chunk_gated_delta_rule_fwd_h_hip_kernelILi16ELb1ELb1ELb0ELb1ELb1ELb0ELb1ELb1EEEvPK12hip_bfloat16S3_S3_PKfS5_PKvPS1_S8_PvPKiSB_iiiiilll
		.amdhsa_group_segment_fixed_size 40960
		.amdhsa_private_segment_fixed_size 0
		.amdhsa_kernarg_size 136
		.amdhsa_user_sgpr_count 2
		.amdhsa_user_sgpr_dispatch_ptr 0
		.amdhsa_user_sgpr_queue_ptr 0
		.amdhsa_user_sgpr_kernarg_segment_ptr 1
		.amdhsa_user_sgpr_dispatch_id 0
		.amdhsa_user_sgpr_kernarg_preload_length 0
		.amdhsa_user_sgpr_kernarg_preload_offset 0
		.amdhsa_user_sgpr_private_segment_size 0
		.amdhsa_uses_dynamic_stack 0
		.amdhsa_enable_private_segment 0
		.amdhsa_system_sgpr_workgroup_id_x 1
		.amdhsa_system_sgpr_workgroup_id_y 1
		.amdhsa_system_sgpr_workgroup_id_z 0
		.amdhsa_system_sgpr_workgroup_info 0
		.amdhsa_system_vgpr_workitem_id 0
		.amdhsa_next_free_vgpr 116
		.amdhsa_next_free_sgpr 63
		.amdhsa_accum_offset 108
		.amdhsa_reserve_vcc 1
		.amdhsa_float_round_mode_32 0
		.amdhsa_float_round_mode_16_64 0
		.amdhsa_float_denorm_mode_32 3
		.amdhsa_float_denorm_mode_16_64 3
		.amdhsa_dx10_clamp 1
		.amdhsa_ieee_mode 1
		.amdhsa_fp16_overflow 0
		.amdhsa_tg_split 0
		.amdhsa_exception_fp_ieee_invalid_op 0
		.amdhsa_exception_fp_denorm_src 0
		.amdhsa_exception_fp_ieee_div_zero 0
		.amdhsa_exception_fp_ieee_overflow 0
		.amdhsa_exception_fp_ieee_underflow 0
		.amdhsa_exception_fp_ieee_inexact 0
		.amdhsa_exception_int_div_zero 0
	.end_amdhsa_kernel
	.section	.text._ZN12_GLOBAL__N_139chunk_gated_delta_rule_fwd_h_hip_kernelILi16ELb1ELb1ELb0ELb1ELb1ELb0ELb1ELb1EEEvPK12hip_bfloat16S3_S3_PKfS5_PKvPS1_S8_PvPKiSB_iiiiilll,"axG",@progbits,_ZN12_GLOBAL__N_139chunk_gated_delta_rule_fwd_h_hip_kernelILi16ELb1ELb1ELb0ELb1ELb1ELb0ELb1ELb1EEEvPK12hip_bfloat16S3_S3_PKfS5_PKvPS1_S8_PvPKiSB_iiiiilll,comdat
.Lfunc_end546:
	.size	_ZN12_GLOBAL__N_139chunk_gated_delta_rule_fwd_h_hip_kernelILi16ELb1ELb1ELb0ELb1ELb1ELb0ELb1ELb1EEEvPK12hip_bfloat16S3_S3_PKfS5_PKvPS1_S8_PvPKiSB_iiiiilll, .Lfunc_end546-_ZN12_GLOBAL__N_139chunk_gated_delta_rule_fwd_h_hip_kernelILi16ELb1ELb1ELb0ELb1ELb1ELb0ELb1ELb1EEEvPK12hip_bfloat16S3_S3_PKfS5_PKvPS1_S8_PvPKiSB_iiiiilll
                                        ; -- End function
	.section	.AMDGPU.csdata,"",@progbits
; Kernel info:
; codeLenInByte = 7664
; NumSgprs: 69
; NumVgprs: 108
; NumAgprs: 8
; TotalNumVgprs: 116
; ScratchSize: 0
; MemoryBound: 0
; FloatMode: 240
; IeeeMode: 1
; LDSByteSize: 40960 bytes/workgroup (compile time only)
; SGPRBlocks: 8
; VGPRBlocks: 14
; NumSGPRsForWavesPerEU: 69
; NumVGPRsForWavesPerEU: 116
; AccumOffset: 108
; Occupancy: 1
; WaveLimiterHint : 1
; COMPUTE_PGM_RSRC2:SCRATCH_EN: 0
; COMPUTE_PGM_RSRC2:USER_SGPR: 2
; COMPUTE_PGM_RSRC2:TRAP_HANDLER: 0
; COMPUTE_PGM_RSRC2:TGID_X_EN: 1
; COMPUTE_PGM_RSRC2:TGID_Y_EN: 1
; COMPUTE_PGM_RSRC2:TGID_Z_EN: 0
; COMPUTE_PGM_RSRC2:TIDIG_COMP_CNT: 0
; COMPUTE_PGM_RSRC3_GFX90A:ACCUM_OFFSET: 26
; COMPUTE_PGM_RSRC3_GFX90A:TG_SPLIT: 0
	.section	.text._ZN12_GLOBAL__N_139chunk_gated_delta_rule_fwd_h_hip_kernelILi16ELb1ELb0ELb1ELb1ELb1ELb0ELb1ELb1EEEvPK12hip_bfloat16S3_S3_PKfS5_PKvPS1_S8_PvPKiSB_iiiiilll,"axG",@progbits,_ZN12_GLOBAL__N_139chunk_gated_delta_rule_fwd_h_hip_kernelILi16ELb1ELb0ELb1ELb1ELb1ELb0ELb1ELb1EEEvPK12hip_bfloat16S3_S3_PKfS5_PKvPS1_S8_PvPKiSB_iiiiilll,comdat
	.globl	_ZN12_GLOBAL__N_139chunk_gated_delta_rule_fwd_h_hip_kernelILi16ELb1ELb0ELb1ELb1ELb1ELb0ELb1ELb1EEEvPK12hip_bfloat16S3_S3_PKfS5_PKvPS1_S8_PvPKiSB_iiiiilll ; -- Begin function _ZN12_GLOBAL__N_139chunk_gated_delta_rule_fwd_h_hip_kernelILi16ELb1ELb0ELb1ELb1ELb1ELb0ELb1ELb1EEEvPK12hip_bfloat16S3_S3_PKfS5_PKvPS1_S8_PvPKiSB_iiiiilll
	.p2align	8
	.type	_ZN12_GLOBAL__N_139chunk_gated_delta_rule_fwd_h_hip_kernelILi16ELb1ELb0ELb1ELb1ELb1ELb0ELb1ELb1EEEvPK12hip_bfloat16S3_S3_PKfS5_PKvPS1_S8_PvPKiSB_iiiiilll,@function
_ZN12_GLOBAL__N_139chunk_gated_delta_rule_fwd_h_hip_kernelILi16ELb1ELb0ELb1ELb1ELb1ELb0ELb1ELb1EEEvPK12hip_bfloat16S3_S3_PKfS5_PKvPS1_S8_PvPKiSB_iiiiilll: ; @_ZN12_GLOBAL__N_139chunk_gated_delta_rule_fwd_h_hip_kernelILi16ELb1ELb0ELb1ELb1ELb1ELb0ELb1ELb1EEEvPK12hip_bfloat16S3_S3_PKfS5_PKvPS1_S8_PvPKiSB_iiiiilll
; %bb.0:
	s_load_dwordx4 s[12:15], s[0:1], 0x5c
	s_load_dwordx4 s[4:7], s[0:1], 0x48
	s_abs_i32 s9, s3
	s_ashr_i32 s8, s3, 31
	v_and_b32_e32 v45, 15, v0
	s_waitcnt lgkmcnt(0)
	s_abs_i32 s10, s13
	v_cvt_f32_u32_e32 v1, s10
	s_sub_i32 s16, 0, s10
	s_ashr_i32 s11, s13, 31
	s_xor_b32 s8, s8, s11
	v_rcp_iflag_f32_e32 v1, v1
	v_lshrrev_b32_e32 v43, 6, v0
	v_bfe_u32 v44, v0, 4, 2
	v_mov_b32_e32 v5, 0
	v_mul_f32_e32 v1, 0x4f7ffffe, v1
	v_cvt_u32_f32_e32 v1, v1
	v_and_b32_e32 v42, 63, v0
	v_lshlrev_b32_e32 v46, 3, v0
	v_lshrrev_b32_e32 v47, 3, v42
	v_readfirstlane_b32 s17, v1
	s_mul_i32 s16, s16, s17
	s_mul_hi_u32 s16, s17, s16
	s_add_i32 s17, s17, s16
	s_mul_hi_u32 s16, s9, s17
	s_mul_i32 s17, s16, s10
	s_sub_i32 s9, s9, s17
	s_add_i32 s18, s16, 1
	s_sub_i32 s17, s9, s10
	s_cmp_ge_u32 s9, s10
	s_cselect_b32 s16, s18, s16
	s_cselect_b32 s9, s17, s9
	s_add_i32 s17, s16, 1
	s_cmp_ge_u32 s9, s10
	s_cselect_b32 s9, s17, s16
	s_xor_b32 s9, s9, s8
	s_sub_i32 s20, s9, s8
	s_mul_i32 s24, s20, s13
	s_ashr_i32 s21, s20, 31
	s_sub_i32 s47, s3, s24
	s_lshl_b64 s[8:9], s[20:21], 2
	s_add_u32 s4, s4, s8
	s_addc_u32 s5, s5, s9
	s_add_u32 s22, s6, s8
	s_addc_u32 s23, s7, s9
	s_abs_i32 s3, s14
	v_cvt_f32_u32_e32 v1, s3
	s_load_dwordx2 s[34:35], s[4:5], 0x0
	s_sub_i32 s5, 0, s3
	s_lshl_b32 s2, s2, 4
	v_rcp_iflag_f32_e32 v1, v1
	s_load_dwordx4 s[16:19], s[0:1], 0x28
	s_load_dwordx2 s[28:29], s[0:1], 0x38
	s_waitcnt lgkmcnt(0)
	s_sub_i32 s50, s35, s34
	s_ashr_i32 s4, s50, 31
	v_mul_f32_e32 v1, 0x4f7ffffe, v1
	v_cvt_u32_f32_e32 v1, v1
	s_lshr_b32 s4, s4, 26
	s_add_i32 s4, s50, s4
	s_ashr_i32 s48, s4, 6
	v_readfirstlane_b32 s6, v1
	s_mul_i32 s5, s5, s6
	s_mul_hi_u32 s5, s6, s5
	s_add_i32 s6, s6, s5
	s_mul_hi_u32 s5, s10, s6
	s_mul_i32 s6, s5, s3
	s_ashr_i32 s4, s14, 31
	s_sub_i32 s6, s10, s6
	s_xor_b32 s4, s11, s4
	s_add_i32 s7, s5, 1
	s_sub_i32 s8, s6, s3
	s_cmp_ge_u32 s6, s3
	s_cselect_b32 s5, s7, s5
	s_cselect_b32 s6, s8, s6
	s_add_i32 s7, s5, 1
	s_cmp_ge_u32 s6, s3
	s_cselect_b32 s3, s7, s5
	s_xor_b32 s3, s3, s4
	s_sub_i32 s3, s3, s4
	s_abs_i32 s4, s3
	v_cvt_f32_u32_e32 v1, s4
	s_sub_i32 s6, 0, s4
	s_abs_i32 s5, s47
	s_xor_b32 s3, s47, s3
	v_rcp_iflag_f32_e32 v1, v1
	s_ashr_i32 s3, s3, 31
	v_or_b32_e32 v34, s2, v45
	v_lshlrev_b32_e32 v2, 7, v34
	v_mul_f32_e32 v1, 0x4f7ffffe, v1
	v_cvt_u32_f32_e32 v1, v1
	v_ashrrev_i32_e32 v3, 31, v2
	s_mul_hi_i32 s52, s47, s12
	s_mul_i32 s53, s47, s12
	v_readfirstlane_b32 s7, v1
	s_mul_i32 s6, s6, s7
	s_mul_hi_u32 s6, s7, s6
	s_add_i32 s7, s7, s6
	s_mul_hi_u32 s6, s5, s7
	s_mul_i32 s7, s6, s4
	s_sub_i32 s5, s5, s7
	s_add_i32 s7, s6, 1
	s_sub_i32 s8, s5, s4
	s_cmp_ge_u32 s5, s4
	s_cselect_b32 s6, s7, s6
	s_cselect_b32 s5, s8, s5
	s_add_i32 s7, s6, 1
	s_cmp_ge_u32 s5, s4
	s_cselect_b32 s4, s7, s6
	s_xor_b32 s4, s4, s3
	s_sub_i32 s51, s4, s3
	s_ashr_i32 s49, s47, 31
	s_mul_hi_i32 s3, s20, s13
	s_add_u32 s4, s24, s47
	s_addc_u32 s5, s3, s49
	s_lshl_b64 s[4:5], s[4:5], 15
	v_lshlrev_b32_e32 v1, 4, v43
	s_add_u32 s4, s16, s4
	v_lshl_or_b32 v48, v44, 2, v1
	s_addc_u32 s5, s17, s5
	v_lshl_add_u64 v[2:3], v[2:3], 1, s[4:5]
	v_lshlrev_b32_e32 v4, 1, v48
	v_lshl_add_u64 v[2:3], v[2:3], 0, v[4:5]
	global_load_dwordx2 v[4:5], v[2:3], off
	global_load_dwordx2 v[6:7], v[2:3], off offset:128
	s_load_dwordx8 s[4:11], s[0:1], 0x0
	s_load_dwordx2 s[30:31], s[0:1], 0x80
	s_load_dwordx4 s[24:27], s[0:1], 0x70
	s_load_dword s54, s[22:23], 0x0
	v_or_b32_e32 v49, 64, v48
	s_cmp_lt_i32 s50, 64
	s_waitcnt lgkmcnt(0)
	s_mul_i32 s33, s20, s25
	s_mul_hi_u32 s42, s20, s24
	s_mul_i32 s38, s20, s24
	s_mul_i32 s43, s21, s24
	;; [unrolled: 1-line block ×3, first 2 shown]
	s_mul_hi_u32 s45, s47, s26
	s_mul_i32 s46, s49, s26
	s_mul_i32 s36, s47, s26
	s_waitcnt vmcnt(1)
	v_and_b32_e32 v50, 0xffff0000, v4
	v_lshlrev_b32_e32 v52, 16, v4
	v_and_b32_e32 v56, 0xffff0000, v5
	v_lshlrev_b32_e32 v54, 16, v5
	s_waitcnt vmcnt(0)
	v_and_b32_e32 v51, 0xffff0000, v6
	v_lshlrev_b32_e32 v53, 16, v6
	v_and_b32_e32 v57, 0xffff0000, v7
	v_lshlrev_b32_e32 v55, 16, v7
	s_cbranch_scc1 .LBB547_3
; %bb.1:
	s_ashr_i32 s1, s34, 31
	s_add_u32 s0, s53, s34
	s_addc_u32 s1, s52, s1
	s_lshl_b64 s[0:1], s[0:1], 8
	v_and_b32_e32 v59, 56, v46
	s_add_u32 s20, s6, s0
	v_lshl_or_b32 v58, v43, 3, v47
	v_lshlrev_b32_e32 v2, 1, v59
	s_addc_u32 s0, s7, s1
	v_lshl_or_b32 v60, v58, 8, v2
	s_and_b32 s21, s0, 0xffff
	s_mov_b32 s23, 0x20000
	s_movk_i32 s22, 0x4000
	s_movk_i32 s0, 0x80
	v_or_b32_e32 v61, 0x2000, v60
	buffer_load_dwordx4 v[4:7], v60, s[20:23], 0 offen
	buffer_load_dwordx4 v[8:11], v60, s[20:23], s0 offen
	;; [unrolled: 1-line block ×4, first 2 shown]
	v_lshlrev_b32_e32 v3, 3, v58
	v_and_or_b32 v21, v0, 7, v3
	v_and_b32_e32 v3, 0x78, v3
	v_lshlrev_b32_e32 v21, 4, v21
	v_xor_b32_e32 v62, v21, v3
	v_mul_lo_u32 v20, v58, s15
	v_or_b32_e32 v63, 0x1000, v62
	v_xor_b32_e32 v3, 8, v62
	s_cmpk_eq_i32 s15, 0x80
	s_mov_b32 s55, s34
	v_xor_b32_e32 v21, 8, v63
	s_cselect_b64 s[0:1], -1, 0
	s_cmpk_lg_i32 s15, 0x80
	s_waitcnt vmcnt(3)
	ds_write_b64 v62, v[4:5] offset:16384
	ds_write_b64 v3, v[6:7] offset:16384
	s_waitcnt vmcnt(2)
	ds_write_b64 v62, v[8:9] offset:24576
	ds_write_b64 v3, v[10:11] offset:24576
	s_waitcnt vmcnt(1)
	ds_write_b64 v62, v[12:13] offset:20480
	ds_write_b64 v21, v[14:15] offset:16384
	s_waitcnt vmcnt(0)
	ds_write_b64 v62, v[16:17] offset:28672
	ds_write_b64 v21, v[18:19] offset:24576
	v_lshl_add_u32 v3, v20, 1, v59
	s_cbranch_scc0 .LBB547_29
; %bb.2:
	v_lshlrev_b32_e32 v5, 1, v3
	v_add_lshl_u32 v4, v3, s15, 1
	s_lshl_b32 s22, s15, 7
	v_lshl_or_b32 v2, v58, 9, v2
	s_cbranch_execz .LBB547_30
	s_branch .LBB547_31
.LBB547_3:
	v_mov_b32_e32 v2, v57
	v_mov_b32_e32 v3, v56
.LBB547_4:
	s_lshl_b32 s26, s48, 6
	s_sub_i32 s27, s50, s26
	s_cmp_gt_i32 s27, 0
	s_cbranch_scc0 .LBB547_76
; %bb.5:
	s_add_i32 s26, s26, s34
	s_ashr_i32 s3, s26, 31
	s_cmpk_lg_i32 s15, 0x80
	s_cselect_b64 s[22:23], -1, 0
	s_and_b64 vcc, exec, s[22:23]
	s_cbranch_vccz .LBB547_7
; %bb.6:
	s_mul_hi_i32 s0, s26, s14
	s_mul_i32 s1, s26, s14
	s_ashr_i32 s14, s51, 31
	s_add_u32 s24, s1, s51
	s_addc_u32 s25, s0, s14
	s_cbranch_execz .LBB547_8
	s_branch .LBB547_9
.LBB547_7:
                                        ; implicit-def: $sgpr24_sgpr25
.LBB547_8:
	s_mul_i32 s1, s51, s12
	s_mul_hi_i32 s0, s51, s12
	s_add_u32 s24, s1, s26
	s_addc_u32 s25, s0, s3
.LBB547_9:
	s_add_i32 s12, s48, s54
	s_add_u32 s0, s53, s26
	s_addc_u32 s1, s52, s3
	s_mov_b32 s3, 0x7060302
	v_lshlrev_b32_e32 v6, 3, v45
	v_perm_b32 v5, v3, v54, s3
	v_perm_b32 v4, v50, v52, s3
	;; [unrolled: 1-line block ×4, first 2 shown]
	v_lshlrev_b32_e32 v36, 2, v45
	v_lshl_or_b32 v6, v48, 5, v6
	s_lshl_b64 s[20:21], s[0:1], 8
	ds_write2st64_b64 v6, v[4:5], v[2:3] offset0:72 offset1:76
	v_xor_b32_e32 v6, v48, v36
	v_lshlrev_b32_e32 v7, 8, v45
	s_add_u32 s0, s6, s20
	v_lshl_or_b32 v6, v6, 1, v7
	s_addc_u32 s1, s7, s21
	ds_write_b64 v6, v[4:5] offset:32768
	v_xor_b32_e32 v4, v49, v36
	s_mul_hi_i32 s3, s12, s13
	s_mul_i32 s12, s12, s13
	v_lshl_or_b32 v4, v4, 1, v7
	s_add_u32 s6, s12, s47
	ds_write_b64 v4, v[2:3] offset:32768
	s_addc_u32 s7, s3, s49
	v_lshlrev_b32_e32 v3, 1, v45
	v_lshrrev_b32_e32 v2, 4, v0
	s_ashr_i32 s3, s2, 31
	s_lshl_b64 s[6:7], s[6:7], 15
	v_or_b32_e32 v4, 1, v3
	s_add_u32 s6, s18, s6
	v_xor_b32_e32 v3, v2, v3
	v_xor_b32_e32 v4, v4, v2
	v_lshlrev_b32_e32 v6, 8, v2
	s_addc_u32 s7, s19, s7
	s_lshl_b64 s[2:3], s[2:3], 8
	v_lshl_or_b32 v2, v3, 3, v6
	v_lshl_or_b32 v4, v4, 3, v6
	s_waitcnt lgkmcnt(0)
	s_barrier
	s_add_u32 s2, s6, s2
	ds_read_b64 v[2:3], v2 offset:32768
	ds_read_b64 v[4:5], v4 offset:32768
	s_addc_u32 s3, s7, s3
	v_mov_b32_e32 v7, 0
	s_cmp_lg_u32 s27, 64
	v_lshl_add_u64 v[8:9], s[2:3], 0, v[6:7]
	v_lshlrev_b32_e32 v6, 4, v45
	s_cselect_b64 s[6:7], -1, 0
	v_lshl_or_b32 v35, v43, 3, v47
	s_mov_b32 s16, 0
	v_lshl_add_u64 v[6:7], v[8:9], 0, v[6:7]
	s_waitcnt vmcnt(1)
	v_or_b32_e32 v19, 32, v35
	v_and_b32_e32 v18, 56, v46
	s_and_b64 vcc, exec, s[6:7]
	s_waitcnt lgkmcnt(0)
	global_store_dwordx4 v[6:7], v[2:5], off
	s_cbranch_vccz .LBB547_15
; %bb.10:
	s_mov_b32 s17, s16
	s_mov_b32 s18, s16
	;; [unrolled: 1-line block ×3, first 2 shown]
	v_mov_b64_e32 v[6:7], s[16:17]
	v_mov_b64_e32 v[8:9], s[18:19]
	;; [unrolled: 1-line block ×3, first 2 shown]
	v_cmp_gt_i32_e32 vcc, s27, v35
	v_mov_b64_e32 v[4:5], v[8:9]
	s_and_saveexec_b64 s[2:3], vcc
	s_cbranch_execz .LBB547_12
; %bb.11:
	v_lshlrev_b32_e32 v2, 8, v35
	v_mov_b32_e32 v3, 0
	v_lshl_add_u64 v[4:5], s[0:1], 0, v[2:3]
	v_lshlrev_b32_e32 v2, 1, v18
	v_lshl_add_u64 v[10:11], v[4:5], 0, v[2:3]
	global_load_dwordx4 v[6:9], v[10:11], off
	global_load_dwordx4 v[2:5], v[10:11], off offset:128
.LBB547_12:
	s_or_b64 exec, exec, s[2:3]
	s_mov_b32 s17, s16
	s_mov_b32 s18, s16
	s_mov_b32 s19, s16
	v_mov_b64_e32 v[14:15], s[16:17]
	v_mov_b64_e32 v[16:17], s[18:19]
	v_mov_b64_e32 v[10:11], v[14:15]
	v_cmp_gt_i32_e32 vcc, s27, v19
	v_lshlrev_b32_e32 v20, 7, v19
	v_mov_b64_e32 v[12:13], v[16:17]
	s_and_saveexec_b64 s[2:3], vcc
	s_cbranch_execz .LBB547_14
; %bb.13:
	v_lshlrev_b32_e32 v10, 1, v20
	v_mov_b32_e32 v11, 0
	v_lshl_add_u64 v[12:13], s[0:1], 0, v[10:11]
	v_lshlrev_b32_e32 v10, 1, v18
	v_lshl_add_u64 v[22:23], v[12:13], 0, v[10:11]
	global_load_dwordx4 v[14:17], v[22:23], off
	global_load_dwordx4 v[10:13], v[22:23], off offset:128
.LBB547_14:
	s_or_b64 exec, exec, s[2:3]
	v_lshrrev_b32_e32 v21, 3, v18
	v_lshlrev_b32_e32 v22, 3, v35
	v_or_b32_e32 v21, v22, v21
	v_lshlrev_b32_e32 v21, 4, v21
	v_and_b32_e32 v22, 0x78, v22
	v_xor_b32_e32 v21, v21, v22
	s_branch .LBB547_17
.LBB547_15:
                                        ; implicit-def: $vgpr21
                                        ; implicit-def: $vgpr20
                                        ; implicit-def: $vgpr6_vgpr7_vgpr8_vgpr9
                                        ; implicit-def: $vgpr2_vgpr3_vgpr4_vgpr5
                                        ; implicit-def: $vgpr14_vgpr15_vgpr16_vgpr17
                                        ; implicit-def: $vgpr10_vgpr11_vgpr12_vgpr13
	s_cbranch_execz .LBB547_17
; %bb.16:
	s_waitcnt vmcnt(0)
	v_lshlrev_b32_e32 v2, 1, v18
	v_lshl_or_b32 v20, v35, 8, v2
	s_and_b32 s1, s1, 0xffff
	s_mov_b32 s3, 0x20000
	s_movk_i32 s2, 0x4000
	v_lshl_or_b32 v21, v19, 8, v2
	s_movk_i32 s12, 0x80
	buffer_load_dwordx4 v[6:9], v20, s[0:3], 0 offen
	buffer_load_dwordx4 v[2:5], v20, s[0:3], s12 offen
	;; [unrolled: 1-line block ×4, first 2 shown]
	v_lshrrev_b32_e32 v20, 3, v18
	v_lshlrev_b32_e32 v21, 3, v35
	v_or_b32_e32 v20, v21, v20
	v_lshlrev_b32_e32 v20, 4, v20
	v_and_b32_e32 v21, 0x78, v21
	v_xor_b32_e32 v21, v20, v21
	v_lshlrev_b32_e32 v20, 7, v19
.LBB547_17:
	s_lshl_b64 s[0:1], s[24:25], 8
	s_add_u32 s4, s4, s0
	s_movk_i32 s0, 0x1000
	v_and_or_b32 v19, v20, s0, v21
	s_waitcnt vmcnt(1)
	ds_write_b64 v21, v[6:7] offset:16384
	v_xor_b32_e32 v6, 8, v21
	ds_write_b64 v6, v[8:9] offset:16384
	s_waitcnt vmcnt(0)
	ds_write_b64 v21, v[2:3] offset:24576
	ds_write_b64 v6, v[4:5] offset:24576
	;; [unrolled: 1-line block ×3, first 2 shown]
	v_xor_b32_e32 v2, 8, v19
	ds_write_b64 v2, v[16:17] offset:16384
	ds_write_b64 v19, v[10:11] offset:24576
	;; [unrolled: 1-line block ×3, first 2 shown]
	v_or_b32_e32 v2, v1, v45
	v_lshlrev_b32_e32 v2, 3, v2
	v_lshrrev_b32_e32 v4, 5, v42
	s_movk_i32 s12, 0xf8
	v_and_or_b32 v4, v2, s12, v4
	v_lshlrev_b32_e32 v3, 11, v43
	v_lshlrev_b32_e32 v12, 4, v4
	v_and_b32_e32 v13, 0x78, v2
	v_and_b32_e32 v14, 0x1000, v3
	v_lshlrev_b32_e32 v3, 2, v0
	v_xor_b32_e32 v2, v12, v13
	v_lshrrev_b32_e32 v4, 1, v42
	v_and_b32_e32 v3, 60, v3
	v_or_b32_e32 v2, v2, v14
	v_and_b32_e32 v15, 8, v4
	v_xor_b32_e32 v26, v2, v15
	v_lshl_or_b32 v2, v44, 6, v3
	v_lshlrev_b32_e32 v19, 1, v2
	v_or_b32_e32 v2, 32, v12
	v_xor_b32_e32 v2, v2, v13
	s_waitcnt lgkmcnt(0)
	s_barrier
	ds_read_b64 v[10:11], v26 offset:16384
	v_or_b32_e32 v2, v2, v14
	v_xor_b32_e32 v27, v2, v15
	v_or_b32_e32 v2, 64, v12
	v_xor_b32_e32 v2, v2, v13
	v_or_b32_e32 v2, v2, v14
	v_or_b32_e32 v12, 0x60, v12
	v_xor_b32_e32 v28, v2, v15
	ds_read2st64_b64 v[2:5], v19 offset0:72 offset1:73
	ds_read2st64_b64 v[6:9], v19 offset0:74 offset1:75
	v_xor_b32_e32 v16, v12, v13
	ds_read_b64 v[12:13], v27 offset:16384
	s_addc_u32 s5, s5, s1
	s_add_i32 s1, s42, s33
	s_waitcnt lgkmcnt(2)
	v_mfma_f32_16x16x16_bf16 a[0:3], v[10:11], v[2:3], 0
	s_add_i32 s0, s35, -1
	s_add_i32 s39, s1, s43
	s_add_i32 s1, s45, s44
	;; [unrolled: 1-line block ×3, first 2 shown]
	s_ashr_i32 s1, s0, 31
	s_mul_i32 s2, s0, s31
	s_mul_hi_u32 s3, s0, s30
	s_add_i32 s2, s3, s2
	s_mul_i32 s1, s1, s30
	v_or_b32_e32 v14, v16, v14
	s_add_i32 s1, s2, s1
	s_lshl_b64 s[2:3], s[38:39], 2
	v_xor_b32_e32 v37, v14, v15
	ds_read_b64 v[14:15], v28 offset:16384
	ds_read_b64 v[16:17], v37 offset:16384
	s_waitcnt lgkmcnt(2)
	v_mfma_f32_16x16x16_bf16 a[0:3], v[12:13], v[4:5], a[0:3]
	s_add_u32 s10, s10, s2
	s_addc_u32 s11, s11, s3
	s_lshl_b64 s[2:3], s[36:37], 2
	s_mul_i32 s0, s0, s30
	s_add_u32 s10, s10, s2
	s_addc_u32 s11, s11, s3
	s_lshl_b64 s[0:1], s[0:1], 2
	s_waitcnt lgkmcnt(1)
	v_mfma_f32_16x16x16_bf16 a[0:3], v[14:15], v[6:7], a[0:3]
	s_add_u32 s0, s10, s0
	s_addc_u32 s1, s11, s1
	s_load_dword s12, s[0:1], 0x0
	s_waitcnt lgkmcnt(0)
	v_mfma_f32_16x16x16_bf16 a[0:3], v[16:17], v[8:9], a[0:3]
	s_and_b64 vcc, exec, s[22:23]
	s_cbranch_vccz .LBB547_28
; %bb.18:
	v_lshlrev_b32_e32 v20, 1, v35
	s_and_b64 vcc, exec, s[6:7]
	s_cbranch_vccz .LBB547_44
; %bb.19:
	v_cmp_gt_i32_e32 vcc, s27, v20
	v_mov_b32_e32 v6, 0
	v_mov_b32_e32 v2, 0
	;; [unrolled: 1-line block ×5, first 2 shown]
	s_and_saveexec_b64 s[0:1], vcc
	s_cbranch_execz .LBB547_21
; %bb.20:
	v_mad_i64_i32 v[2:3], s[2:3], s15, v20, 0
	v_lshl_add_u64 v[2:3], v[2:3], 1, s[4:5]
	v_lshlrev_b32_e32 v4, 1, v18
	v_mov_b32_e32 v5, 0
	v_lshl_add_u64 v[2:3], v[2:3], 0, v[4:5]
	global_load_dwordx4 v[2:5], v[2:3], off
.LBB547_21:
	s_or_b64 exec, exec, s[0:1]
	v_or_b32_e32 v21, 1, v20
	v_cmp_gt_i32_e64 s[0:1], s27, v21
	v_mov_b32_e32 v7, 0
	v_mov_b32_e32 v8, 0
	v_mov_b32_e32 v9, 0
	s_and_saveexec_b64 s[2:3], s[0:1]
	s_cbranch_execz .LBB547_23
; %bb.22:
	v_mad_i64_i32 v[6:7], s[16:17], s15, v21, 0
	v_lshl_add_u64 v[6:7], v[6:7], 1, s[4:5]
	v_lshlrev_b32_e32 v8, 1, v18
	v_mov_b32_e32 v9, 0
	v_lshl_add_u64 v[6:7], v[6:7], 0, v[8:9]
	global_load_dwordx4 v[6:9], v[6:7], off
.LBB547_23:
	s_or_b64 exec, exec, s[2:3]
	v_mov_b32_e32 v17, 0
	v_mov_b32_e32 v10, 0
	;; [unrolled: 1-line block ×5, first 2 shown]
	s_and_saveexec_b64 s[2:3], vcc
	s_cbranch_execz .LBB547_25
; %bb.24:
	v_mad_i64_i32 v[10:11], s[16:17], s15, v20, 0
	v_lshl_add_u64 v[10:11], v[10:11], 1, s[4:5]
	v_lshlrev_b32_e32 v12, 1, v18
	v_mov_b32_e32 v13, 0
	v_lshl_add_u64 v[10:11], v[10:11], 0, v[12:13]
	global_load_dwordx4 v[10:13], v[10:11], off offset:128
.LBB547_25:
	s_or_b64 exec, exec, s[2:3]
	v_mov_b32_e32 v16, 0
	v_mov_b32_e32 v15, 0
	;; [unrolled: 1-line block ×3, first 2 shown]
	s_and_saveexec_b64 s[2:3], s[0:1]
	s_cbranch_execz .LBB547_27
; %bb.26:
	v_mad_i64_i32 v[14:15], s[0:1], s15, v21, 0
	v_lshl_add_u64 v[14:15], v[14:15], 1, s[4:5]
	v_lshlrev_b32_e32 v16, 1, v18
	v_mov_b32_e32 v17, 0
	v_lshl_add_u64 v[14:15], v[14:15], 0, v[16:17]
	global_load_dwordx4 v[14:17], v[14:15], off offset:128
.LBB547_27:
	s_or_b64 exec, exec, s[2:3]
	s_branch .LBB547_46
.LBB547_28:
                                        ; implicit-def: $vgpr5
                                        ; implicit-def: $vgpr9
                                        ; implicit-def: $vgpr13
                                        ; implicit-def: $vgpr17
	v_lshrrev_b32_e32 v38, 2, v42
	s_branch .LBB547_47
.LBB547_29:
                                        ; implicit-def: $vgpr4
                                        ; implicit-def: $vgpr5
                                        ; implicit-def: $sgpr22
	v_lshl_or_b32 v2, v58, 9, v2
.LBB547_30:
	v_or_b32_e32 v4, 0x100, v2
	s_movk_i32 s22, 0x4000
	v_mov_b32_e32 v5, v2
.LBB547_31:
	s_mul_i32 s16, s34, s14
	s_ashr_i32 s56, s51, 31
	s_mul_hi_i32 s3, s34, s14
	s_add_u32 s16, s16, s51
	s_addc_u32 s17, s3, s56
	s_lshl_b64 s[16:17], s[16:17], 8
	s_add_u32 s20, s4, s16
	s_addc_u32 s3, s5, s17
	s_and_b32 s21, s3, 0xffff
	s_movk_i32 s57, 0x80
	buffer_load_dwordx4 v[6:9], v5, s[20:23], 0 offen
	buffer_load_dwordx4 v[10:13], v5, s[20:23], s57 offen
	;; [unrolled: 1-line block ×4, first 2 shown]
	v_and_b32_e32 v4, 6, v0
	v_lshlrev_b32_e32 v22, 2, v45
	v_lshlrev_b32_e32 v23, 3, v45
	v_xor_b32_e32 v26, v58, v4
	v_and_b32_e32 v5, 1, v0
	v_lshl_or_b32 v23, v48, 5, v23
	v_xor_b32_e32 v27, v48, v22
	v_lshlrev_b32_e32 v26, 2, v26
	v_or_b32_e32 v64, 0x9000, v23
	v_or_b32_e32 v65, 0x9800, v23
	v_lshlrev_b32_e32 v23, 1, v27
	v_xor_b32_e32 v27, 0x440, v26
	v_cmp_eq_u32_e32 vcc, 0, v5
	s_add_i32 s3, s42, s33
	s_add_i32 s16, s45, s44
	v_cndmask_b32_e32 v5, v27, v26, vcc
	s_add_i32 s39, s3, s43
	v_lshl_or_b32 v4, v4, 10, v5
	s_add_i32 s37, s16, s46
	s_lshl_b64 s[16:17], s[38:39], 2
	s_mov_b32 s58, 0x1000504
	v_lshlrev_b32_e32 v24, 8, v45
	s_mov_b32 s22, 0x8000
	v_xor_b32_e32 v22, v49, v22
	v_xor_b32_e32 v5, 8, v4
	s_add_u32 s3, s10, s16
	s_mov_b32 s59, 0x3020706
	v_or_b32_e32 v25, v1, v45
	v_lshlrev_b32_e32 v22, 1, v22
	v_or3_b32 v66, v23, v24, s22
	v_xor_b32_e32 v23, 24, v4
	v_xor_b32_e32 v26, 40, v4
	;; [unrolled: 1-line block ×3, first 2 shown]
	v_add_u32_e32 v5, 0x80, v5
	s_addc_u32 s20, s11, s17
	s_lshl_b64 s[16:17], s[36:37], 2
	v_lshlrev_b32_e32 v25, 3, v25
	v_or3_b32 v67, v22, v24, s22
	v_xor_b32_e32 v22, 16, v4
	v_xor_b32_e32 v24, 32, v4
	;; [unrolled: 1-line block ×3, first 2 shown]
	v_add_u32_e32 v23, 0x80, v23
	v_add_u32_e32 v26, 0x80, v26
	;; [unrolled: 1-line block ×3, first 2 shown]
	s_add_u32 s16, s3, s16
	s_movk_i32 s3, 0xf8
	s_addc_u32 s17, s20, s17
	v_ashrrev_i32_e32 v35, 31, v34
	s_lshl_b32 s26, s15, 7
	s_mov_b32 s60, 0
	s_waitcnt vmcnt(1)
	v_perm_b32 v29, v6, v14, s58
	s_waitcnt vmcnt(0)
	v_perm_b32 v30, v10, v18, s58
	v_perm_b32 v6, v6, v14, s59
	;; [unrolled: 1-line block ×15, first 2 shown]
	ds_write2st64_b32 v4, v29, v30 offset1:32
	ds_write2st64_b32 v5, v6, v10 offset1:32
	ds_write2st64_b32 v22, v14, v18 offset0:1 offset1:33
	ds_write2st64_b32 v23, v7, v11 offset0:1 offset1:33
	;; [unrolled: 1-line block ×6, first 2 shown]
	v_lshrrev_b32_e32 v5, 5, v42
	v_and_or_b32 v5, v25, s3, v5
	v_lshlrev_b32_e32 v5, 4, v5
	v_lshlrev_b32_e32 v12, 11, v43
	v_and_b32_e32 v6, 0x78, v25
	v_or_b32_e32 v9, 32, v5
	v_and_b32_e32 v4, 0x1000, v12
	v_lshrrev_b32_e32 v13, 1, v0
	v_xor_b32_e32 v9, v9, v6
	v_and_b32_e32 v8, 8, v13
	v_or_b32_e32 v9, v9, v4
	v_xor_b32_e32 v7, v5, v6
	v_xor_b32_e32 v70, v9, v8
	v_or_b32_e32 v9, 64, v5
	v_or_b32_e32 v5, 0x60, v5
	v_xor_b32_e32 v9, v9, v6
	v_xor_b32_e32 v5, v5, v6
	v_or_b32_e32 v7, v7, v4
	v_or_b32_e32 v9, v9, v4
	;; [unrolled: 1-line block ×3, first 2 shown]
	v_xor_b32_e32 v68, v7, v8
	v_xor_b32_e32 v71, v9, v8
	v_xor_b32_e32 v72, v4, v8
	v_lshrrev_b32_e32 v8, 4, v0
	v_lshlrev_b32_e32 v9, 1, v45
	s_ashr_i32 s3, s2, 31
	v_or_b32_e32 v10, 1, v9
	v_xor_b32_e32 v9, v8, v9
	s_lshl_b64 s[20:21], s[2:3], 8
	v_xor_b32_e32 v10, v10, v8
	v_lshlrev_b32_e32 v9, 3, v9
	v_lshlrev_b32_e32 v8, 8, v8
	v_lshlrev_b64 v[4:5], 1, v[34:35]
	s_add_u32 s20, s18, s20
	v_or3_b32 v35, v9, v8, s22
	v_lshlrev_b32_e32 v9, 3, v10
	s_addc_u32 s21, s19, s21
	v_or3_b32 v74, v9, v8, s22
	v_mov_b32_e32 v9, 0
	v_lshl_add_u64 v[10:11], s[20:21], 0, v[8:9]
	v_lshlrev_b32_e32 v8, 4, v45
	s_movk_i32 s3, 0xff
	v_lshlrev_b32_e32 v17, 3, v43
	v_and_b32_e32 v13, 24, v13
	v_lshl_add_u64 v[36:37], v[10:11], 0, v[8:9]
	v_and_b32_e32 v10, 8, v0
	v_cmp_lt_u32_e32 vcc, s3, v0
	v_xor_b32_e32 v18, v17, v13
	v_or_b32_e32 v19, 0x440, v18
	v_cndmask_b32_e64 v16, 0, 1, vcc
	v_cmp_eq_u32_e32 vcc, 0, v10
	v_and_b32_e32 v8, 7, v0
	v_lshlrev_b32_e32 v11, 3, v8
	v_cndmask_b32_e32 v10, v19, v18, vcc
	v_lshlrev_b32_e32 v8, 7, v8
	v_or_b32_e32 v10, v10, v12
	v_xad_u32 v75, v10, v11, v8
	v_or_b32_e32 v10, 32, v13
	v_xor_b32_e32 v10, v17, v10
	v_or_b32_e32 v18, 0x440, v10
	v_cndmask_b32_e32 v10, v18, v10, vcc
	v_or_b32_e32 v10, v10, v12
	v_xad_u32 v76, v10, v11, v8
	v_or_b32_e32 v10, 64, v13
	v_xor_b32_e32 v10, v17, v10
	v_xor_b32_e32 v18, 0x440, v10
	v_cndmask_b32_e32 v10, v18, v10, vcc
	v_or_b32_e32 v10, v10, v12
	v_xad_u32 v77, v10, v11, v8
	v_or_b32_e32 v10, 0x60, v13
	v_xor_b32_e32 v10, v17, v10
	v_xor_b32_e32 v13, 0x440, v10
	v_and_b32_e32 v7, 0x78, v46
	v_cndmask_b32_e32 v10, v13, v10, vcc
	v_lshl_or_b32 v7, v44, 7, v7
	v_or_b32_e32 v10, v10, v12
	v_or_b32_e32 v69, 0x9000, v7
	;; [unrolled: 1-line block ×3, first 2 shown]
	v_lshl_add_u64 v[6:7], s[8:9], 0, v[4:5]
	v_lshl_add_u64 v[4:5], s[28:29], 0, v[4:5]
	v_lshlrev_b32_e32 v14, 1, v3
	v_add_lshl_u32 v3, v3, s15, 1
	v_or_b32_e32 v15, 0x100, v2
	v_lshlrev_b32_e32 v16, 13, v16
	v_xad_u32 v78, v10, v11, v8
	v_lshlrev_b32_e32 v8, 8, v48
	v_cndmask_b32_e64 v79, v14, v2, s[0:1]
	v_cndmask_b32_e64 v80, v3, v15, s[0:1]
	v_lshl_add_u64 v[38:39], v[6:7], 0, v[8:9]
	v_lshl_add_u64 v[40:41], v[4:5], 0, v[8:9]
	s_mov_b32 s3, 0x7060302
	s_movk_i32 s22, 0x4000
	v_add_u32_e32 v81, v16, v75
	v_add_u32_e32 v82, v16, v76
	v_add_u32_e32 v83, v16, v77
	v_add_u32_e32 v84, v16, v78
	s_waitcnt lgkmcnt(0)
	s_barrier
.LBB547_32:                             ; =>This Inner Loop Header: Depth=1
	s_add_i32 s37, s60, 1
	s_cmp_lt_i32 s37, s48
	s_mov_b64 s[24:25], 0
	s_cselect_b64 s[40:41], -1, 0
	s_cmp_ge_i32 s37, s48
	s_mov_b64 s[20:21], 0
	s_cbranch_scc1 .LBB547_34
; %bb.33:                               ;   in Loop: Header=BB547_32 Depth=1
	s_add_i32 s0, s55, 64
	s_ashr_i32 s1, s0, 31
	s_add_u32 s0, s53, s0
	s_addc_u32 s1, s52, s1
	s_lshl_b64 s[0:1], s[0:1], 8
	s_add_u32 s20, s6, s0
	s_addc_u32 s21, s7, s1
.LBB547_34:                             ;   in Loop: Header=BB547_32 Depth=1
	v_cndmask_b32_e64 v2, 0, 1, s[40:41]
	v_cmp_ne_u32_e64 s[0:1], 1, v2
	s_andn2_b64 vcc, exec, s[40:41]
	s_cbranch_vccnz .LBB547_36
; %bb.35:                               ;   in Loop: Header=BB547_32 Depth=1
	s_add_i32 s24, s55, 64
	s_mul_hi_i32 s25, s24, s14
	s_mul_i32 s24, s24, s14
	s_add_u32 s24, s24, s51
	s_addc_u32 s25, s25, s56
	s_lshl_b64 s[24:25], s[24:25], 8
	s_add_u32 s24, s4, s24
	s_addc_u32 s25, s5, s25
.LBB547_36:                             ;   in Loop: Header=BB547_32 Depth=1
	v_perm_b32 v3, v56, v54, s3
	v_perm_b32 v2, v50, v52, s3
	;; [unrolled: 1-line block ×4, first 2 shown]
	ds_write_b64 v64, v[2:3]
	ds_write_b64 v65, v[4:5]
	;; [unrolled: 1-line block ×4, first 2 shown]
	s_waitcnt lgkmcnt(0)
	s_barrier
	ds_read_b64 v[10:11], v68 offset:16384
	ds_read_b64 v[12:13], v70 offset:16384
	ds_read2st64_b64 v[2:5], v69 offset1:1
	s_waitcnt lgkmcnt(0)
	v_mfma_f32_16x16x16_bf16 a[0:3], v[10:11], v[2:3], 0
	ds_read2st64_b64 v[6:9], v69 offset0:2 offset1:3
	ds_read_b64 v[14:15], v71 offset:16384
	ds_read_b64 v[2:3], v72 offset:16384
	s_add_i32 s27, s55, 63
	v_mfma_f32_16x16x16_bf16 a[0:3], v[12:13], v[4:5], a[0:3]
	s_ashr_i32 s39, s27, 31
	s_mul_i32 s40, s27, s31
	s_mul_hi_u32 s41, s27, s30
	s_waitcnt lgkmcnt(1)
	v_mfma_f32_16x16x16_bf16 a[0:3], v[14:15], v[6:7], a[0:3]
	s_add_i32 s40, s41, s40
	s_mul_i32 s39, s39, s30
	s_add_i32 s41, s40, s39
	s_mul_i32 s40, s27, s30
	s_waitcnt lgkmcnt(0)
	v_mfma_f32_16x16x16_bf16 a[0:3], v[2:3], v[8:9], a[0:3]
	s_lshl_b64 s[40:41], s[40:41], 2
	s_add_u32 s40, s16, s40
	s_addc_u32 s41, s17, s41
	s_and_b64 vcc, exec, s[0:1]
	v_mov_b32_e32 v87, 0
	v_mov_b32_e32 v86, 0
	;; [unrolled: 1-line block ×19, first 2 shown]
	s_cbranch_vccnz .LBB547_38
; %bb.37:                               ;   in Loop: Header=BB547_32 Depth=1
	s_and_b32 s21, s21, 0xffff
	buffer_load_dwordx4 v[14:17], v60, s[20:23], 0 offen
	buffer_load_dwordx4 v[10:13], v60, s[20:23], s57 offen
	;; [unrolled: 1-line block ×4, first 2 shown]
	v_mov_b32_e32 v86, v62
	v_mov_b32_e32 v85, v63
.LBB547_38:                             ;   in Loop: Header=BB547_32 Depth=1
	s_waitcnt vmcnt(3)
	v_add_u32_e32 v22, s55, v48
	s_waitcnt vmcnt(1)
	v_ashrrev_i32_e32 v18, 31, v22
	v_mul_lo_u32 v20, v18, s30
	v_mul_lo_u32 v21, v22, s31
	v_mad_u64_u32 v[18:19], s[20:21], v22, s30, 0
	v_add3_u32 v19, v19, v21, v20
	v_lshl_add_u64 v[18:19], v[18:19], 2, s[16:17]
	global_load_dword v89, v[18:19], off
	v_add_u32_e32 v18, 1, v22
	v_ashrrev_i32_e32 v19, 31, v18
	v_mul_lo_u32 v20, v19, s30
	v_mul_lo_u32 v21, v18, s31
	v_mad_u64_u32 v[18:19], s[20:21], v18, s30, 0
	v_add3_u32 v19, v19, v21, v20
	v_add_u32_e32 v20, 2, v22
	v_ashrrev_i32_e32 v21, 31, v20
	v_mul_lo_u32 v23, v21, s30
	v_mul_lo_u32 v24, v20, s31
	v_mad_u64_u32 v[20:21], s[20:21], v20, s30, 0
	v_add_u32_e32 v22, 3, v22
	v_add3_u32 v21, v21, v24, v23
	v_ashrrev_i32_e32 v23, 31, v22
	v_mul_lo_u32 v26, v23, s30
	v_mul_lo_u32 v27, v22, s31
	v_mad_u64_u32 v[22:23], s[20:21], v22, s30, 0
	s_ashr_i32 s21, s55, 31
	s_add_u32 s20, s53, s55
	s_addc_u32 s21, s52, s21
	s_lshl_b64 s[62:63], s[20:21], 8
	v_lshl_add_u64 v[18:19], v[18:19], 2, s[16:17]
	v_lshl_add_u64 v[24:25], v[38:39], 0, s[62:63]
	v_add3_u32 v23, v23, v27, v26
	v_lshl_add_u64 v[20:21], v[20:21], 2, s[16:17]
	global_load_ushort v92, v[24:25], off
	global_load_ushort v93, v[24:25], off offset:256
	global_load_ushort v94, v[24:25], off offset:512
	;; [unrolled: 1-line block ×3, first 2 shown]
	v_lshl_add_u64 v[22:23], v[22:23], 2, s[16:17]
	global_load_dword v96, v[18:19], off
	global_load_dword v97, v[20:21], off
	;; [unrolled: 1-line block ×3, first 2 shown]
	s_load_dword s20, s[40:41], 0x0
	ds_read_b64 v[20:21], v68 offset:24576
	ds_read2st64_b64 v[22:25], v73 offset1:1
	ds_read2st64_b64 v[26:29], v73 offset0:2 offset1:3
	ds_read_b64 v[30:31], v70 offset:24576
	ds_read_b64 v[32:33], v71 offset:24576
	;; [unrolled: 1-line block ×3, first 2 shown]
	s_waitcnt lgkmcnt(0)
	v_mfma_f32_16x16x16_bf16 a[0:3], v[20:21], v[22:23], a[0:3]
	v_mov_b32_e32 v88, 0
	v_mov_b32_e32 v18, 0
	v_mov_b32_e32 v19, 0
	v_mfma_f32_16x16x16_bf16 a[0:3], v[30:31], v[24:25], a[0:3]
	v_lshl_add_u64 v[30:31], v[40:41], 0, s[62:63]
	v_mov_b32_e32 v20, 0
	v_mov_b32_e32 v21, 0
	v_mfma_f32_16x16x16_bf16 a[0:3], v[32:33], v[26:27], a[0:3]
	v_mov_b32_e32 v22, 0
	v_mov_b32_e32 v23, 0
	;; [unrolled: 1-line block ×3, first 2 shown]
	v_mfma_f32_16x16x16_bf16 a[0:3], v[90:91], v[28:29], a[0:3]
	v_mov_b32_e32 v25, 0
	v_mov_b32_e32 v26, 0
	s_and_b64 vcc, exec, s[0:1]
	s_waitcnt vmcnt(7)
	v_sub_f32_e32 v27, s20, v89
	s_nop 1
	v_accvgpr_read_b32 v33, a1
	v_accvgpr_read_b32 v32, a0
	v_accvgpr_read_b32 v29, a3
	v_accvgpr_read_b32 v28, a2
	s_waitcnt vmcnt(6)
	v_lshlrev_b32_e32 v90, 16, v92
	s_waitcnt vmcnt(5)
	v_lshlrev_b32_e32 v91, 16, v93
	;; [unrolled: 2-line block ×3, first 2 shown]
	v_exp_f32_e32 v94, v27
	s_waitcnt vmcnt(2)
	v_sub_f32_e32 v27, s20, v96
	s_waitcnt vmcnt(1)
	v_sub_f32_e32 v89, s20, v97
	;; [unrolled: 2-line block ×3, first 2 shown]
	v_lshlrev_b32_e32 v93, 16, v95
	v_pk_add_f32 v[32:33], v[90:91], v[32:33] neg_lo:[0,1] neg_hi:[0,1]
	v_exp_f32_e32 v95, v27
	v_exp_f32_e32 v90, v89
	;; [unrolled: 1-line block ×3, first 2 shown]
	v_pk_add_f32 v[28:29], v[92:93], v[28:29] neg_lo:[0,1] neg_hi:[0,1]
	global_store_short_d16_hi v[30:31], v32, off
	global_store_short_d16_hi v[30:31], v33, off offset:256
	global_store_short_d16_hi v[30:31], v28, off offset:512
	;; [unrolled: 1-line block ×3, first 2 shown]
	v_pk_mul_f32 v[30:31], v[94:95], v[32:33]
	v_pk_mul_f32 v[28:29], v[90:91], v[28:29]
	v_perm_b32 v30, v31, v30, s3
	v_perm_b32 v31, v29, v28, s3
	ds_write_b64 v65, v[30:31]
	v_mov_b32_e32 v27, 0
	v_mov_b32_e32 v28, 0
	;; [unrolled: 1-line block ×7, first 2 shown]
	s_cbranch_vccnz .LBB547_40
; %bb.39:                               ;   in Loop: Header=BB547_32 Depth=1
	s_and_b32 s25, s25, 0xffff
	s_mov_b32 s27, s23
	buffer_load_dwordx4 v[30:33], v79, s[24:27], 0 offen
	buffer_load_dwordx4 v[22:25], v79, s[24:27], s57 offen
	;; [unrolled: 1-line block ×4, first 2 shown]
	v_mov_b32_e32 v87, v59
	v_mov_b32_e32 v88, v58
.LBB547_40:                             ;   in Loop: Header=BB547_32 Depth=1
	s_waitcnt lgkmcnt(0)
	s_barrier
	ds_read_b64 v[98:99], v81
	ds_read2st64_b64 v[90:93], v73 offset1:1
	ds_read2st64_b64 v[94:97], v73 offset0:2 offset1:3
	ds_read_b64 v[100:101], v82
	ds_read_b64 v[102:103], v83
	;; [unrolled: 1-line block ×3, first 2 shown]
	s_waitcnt lgkmcnt(4)
	v_mfma_f32_16x16x16_bf16 a[0:3], v[98:99], v[90:91], 0
	ds_read_b64 v[98:99], v75 offset:8192
	ds_read_b64 v[106:107], v76 offset:8192
	s_add_i32 s21, s54, s60
	s_mul_hi_i32 s25, s21, s13
	s_waitcnt lgkmcnt(1)
	v_mfma_f32_16x16x16_bf16 a[4:7], v[98:99], v[90:91], 0
	s_mul_i32 s21, s21, s13
	s_add_u32 s24, s21, s47
	s_addc_u32 s25, s25, s49
	v_mfma_f32_16x16x16_bf16 a[0:3], v[100:101], v[92:93], a[0:3]
	ds_read_b64 v[98:99], v35
	ds_read_b64 v[100:101], v74
	ds_read_b64 v[90:91], v77 offset:8192
	s_lshl_b64 s[24:25], s[24:25], 15
	v_mfma_f32_16x16x16_bf16 a[0:3], v[102:103], v[94:95], a[0:3]
	ds_read_b64 v[102:103], v78 offset:8192
	s_and_b64 vcc, exec, s[0:1]
	s_waitcnt lgkmcnt(4)
	v_mfma_f32_16x16x16_bf16 a[4:7], v[106:107], v[92:93], a[4:7]
	s_waitcnt lgkmcnt(1)
	v_mfma_f32_16x16x16_bf16 a[4:7], v[90:91], v[94:95], a[4:7]
	v_lshl_add_u64 v[90:91], v[36:37], 0, s[24:25]
	global_store_dwordx4 v[90:91], v[98:101], off
	v_mfma_f32_16x16x16_bf16 a[0:3], v[104:105], v[96:97], a[0:3]
	s_waitcnt lgkmcnt(0)
	v_mfma_f32_16x16x16_bf16 a[4:7], v[102:103], v[96:97], a[4:7]
	s_cbranch_vccnz .LBB547_42
; %bb.41:                               ;   in Loop: Header=BB547_32 Depth=1
	v_lshrrev_b32_e32 v89, 3, v87
	v_and_b32_e32 v89, 6, v89
	v_xor_b32_e32 v88, v89, v88
	v_lshlrev_b32_e32 v88, 2, v88
	v_and_b32_e32 v87, 8, v87
	v_xor_b32_e32 v90, 0x440, v88
	v_cmp_eq_u32_e32 vcc, 0, v87
	s_barrier
	s_nop 0
	v_cndmask_b32_e32 v87, v90, v88, vcc
	v_lshl_or_b32 v87, v89, 10, v87
	s_waitcnt vmcnt(2)
	v_perm_b32 v88, v30, v26, s58
	s_waitcnt vmcnt(1)
	v_perm_b32 v89, v22, v18, s58
	ds_write2st64_b32 v87, v88, v89 offset1:32
	v_xor_b32_e32 v88, 8, v87
	v_perm_b32 v26, v30, v26, s59
	v_perm_b32 v18, v22, v18, s59
	v_add_u32_e32 v22, 0x80, v88
	ds_write2st64_b32 v22, v26, v18 offset1:32
	v_xor_b32_e32 v18, 16, v87
	v_perm_b32 v22, v31, v27, s58
	v_perm_b32 v26, v23, v19, s58
	ds_write2st64_b32 v18, v22, v26 offset0:1 offset1:33
	v_xor_b32_e32 v18, 24, v87
	v_perm_b32 v22, v31, v27, s59
	v_perm_b32 v19, v23, v19, s59
	v_add_u32_e32 v18, 0x80, v18
	ds_write2st64_b32 v18, v22, v19 offset0:1 offset1:33
	v_xor_b32_e32 v18, 32, v87
	v_perm_b32 v19, v32, v28, s58
	v_perm_b32 v22, v24, v20, s58
	ds_write2st64_b32 v18, v19, v22 offset0:2 offset1:34
	v_xor_b32_e32 v18, 40, v87
	v_perm_b32 v19, v32, v28, s59
	v_perm_b32 v20, v24, v20, s59
	v_add_u32_e32 v18, 0x80, v18
	ds_write2st64_b32 v18, v19, v20 offset0:2 offset1:34
	;; [unrolled: 9-line block ×3, first 2 shown]
	ds_write_b64 v86, v[14:15] offset:16384
	v_xor_b32_e32 v14, 8, v86
	ds_write_b64 v14, v[16:17] offset:16384
	ds_write_b64 v86, v[10:11] offset:24576
	;; [unrolled: 1-line block ×4, first 2 shown]
	v_xor_b32_e32 v6, 8, v85
	ds_write_b64 v6, v[8:9] offset:16384
	ds_write_b64 v85, v[2:3] offset:24576
	ds_write_b64 v6, v[4:5] offset:24576
.LBB547_42:                             ;   in Loop: Header=BB547_32 Depth=1
	v_exp_f32_e32 v4, s20
	s_nop 2
	v_accvgpr_read_b32 v2, a0
	v_accvgpr_read_b32 v3, a1
	s_add_i32 s55, s55, 64
	v_fma_f32 v52, v52, v4, v2
	v_accvgpr_read_b32 v2, a2
	v_fma_f32 v54, v54, v4, v2
	v_accvgpr_read_b32 v2, a4
	;; [unrolled: 2-line block ×6, first 2 shown]
	v_fmac_f32_e32 v3, v56, v4
	s_cmp_eq_u32 s48, s37
	v_fmac_f32_e32 v2, v57, v4
	s_cbranch_scc1 .LBB547_4
; %bb.43:                               ;   in Loop: Header=BB547_32 Depth=1
	s_mov_b32 s60, s37
	v_mov_b32_e32 v56, v3
	v_mov_b32_e32 v57, v2
	s_branch .LBB547_32
.LBB547_44:
                                        ; implicit-def: $vgpr5
                                        ; implicit-def: $vgpr9
                                        ; implicit-def: $vgpr13
                                        ; implicit-def: $vgpr17
	s_cbranch_execz .LBB547_46
; %bb.45:
	s_waitcnt vmcnt(0)
	v_mad_u64_u32 v[2:3], s[0:1], v20, s15, v[18:19]
	v_lshlrev_b32_e32 v20, 1, v2
	s_lshl_b32 s2, s15, 7
	s_and_b32 s1, s5, 0xffff
	s_mov_b32 s3, 0x20000
	s_mov_b32 s0, s4
	v_add_lshl_u32 v21, v2, s15, 1
	s_movk_i32 s13, 0x80
	buffer_load_dwordx4 v[2:5], v20, s[0:3], 0 offen
	buffer_load_dwordx4 v[10:13], v20, s[0:3], s13 offen
	;; [unrolled: 1-line block ×4, first 2 shown]
.LBB547_46:
	v_lshrrev_b32_e32 v38, 2, v42
	s_cbranch_execnz .LBB547_59
.LBB547_47:
	s_and_b64 vcc, exec, s[6:7]
	s_cbranch_vccz .LBB547_57
; %bb.48:
	s_waitcnt vmcnt(0)
	v_lshlrev_b32_e32 v7, 1, v35
	v_cmp_gt_i32_e32 vcc, s27, v7
	v_mov_b32_e32 v6, 0
	v_lshlrev_b32_e32 v14, 9, v35
	v_mov_b32_e32 v2, 0
	v_mov_b32_e32 v3, 0
	;; [unrolled: 1-line block ×4, first 2 shown]
	s_and_saveexec_b64 s[0:1], vcc
	s_cbranch_execz .LBB547_50
; %bb.49:
	v_mov_b32_e32 v15, 0
	v_lshl_add_u64 v[2:3], s[4:5], 0, v[14:15]
	v_lshlrev_b32_e32 v4, 1, v18
	v_mov_b32_e32 v5, v15
	v_lshl_add_u64 v[2:3], v[2:3], 0, v[4:5]
	global_load_dwordx4 v[2:5], v[2:3], off
.LBB547_50:
	s_or_b64 exec, exec, s[0:1]
	v_or_b32_e32 v7, 1, v7
	v_cmp_gt_i32_e64 s[0:1], s27, v7
	v_lshlrev_b32_e32 v20, 8, v7
	v_mov_b32_e32 v7, 0
	v_mov_b32_e32 v8, 0
	;; [unrolled: 1-line block ×3, first 2 shown]
	s_and_saveexec_b64 s[2:3], s[0:1]
	s_cbranch_execz .LBB547_52
; %bb.51:
	v_mov_b32_e32 v21, 0
	v_lshl_add_u64 v[6:7], s[4:5], 0, v[20:21]
	v_lshlrev_b32_e32 v8, 1, v18
	v_mov_b32_e32 v9, v21
	v_lshl_add_u64 v[6:7], v[6:7], 0, v[8:9]
	global_load_dwordx4 v[6:9], v[6:7], off
.LBB547_52:
	s_or_b64 exec, exec, s[2:3]
	v_mov_b32_e32 v17, 0
	v_mov_b32_e32 v10, 0
	;; [unrolled: 1-line block ×5, first 2 shown]
	s_and_saveexec_b64 s[2:3], vcc
	s_cbranch_execz .LBB547_54
; %bb.53:
	v_mov_b32_e32 v15, 0
	v_lshl_add_u64 v[10:11], s[4:5], 0, v[14:15]
	v_lshlrev_b32_e32 v14, 1, v18
	v_lshl_add_u64 v[10:11], v[10:11], 0, v[14:15]
	global_load_dwordx4 v[10:13], v[10:11], off offset:128
.LBB547_54:
	s_or_b64 exec, exec, s[2:3]
	v_mov_b32_e32 v16, 0
	v_mov_b32_e32 v15, 0
	;; [unrolled: 1-line block ×3, first 2 shown]
	s_and_saveexec_b64 s[2:3], s[0:1]
	s_cbranch_execz .LBB547_56
; %bb.55:
	v_mov_b32_e32 v21, 0
	v_lshl_add_u64 v[14:15], s[4:5], 0, v[20:21]
	v_lshlrev_b32_e32 v20, 1, v18
	v_lshl_add_u64 v[14:15], v[14:15], 0, v[20:21]
	global_load_dwordx4 v[14:17], v[14:15], off offset:128
.LBB547_56:
	s_or_b64 exec, exec, s[2:3]
	s_branch .LBB547_59
.LBB547_57:
                                        ; implicit-def: $vgpr5
                                        ; implicit-def: $vgpr9
                                        ; implicit-def: $vgpr13
                                        ; implicit-def: $vgpr17
	s_cbranch_execz .LBB547_59
; %bb.58:
	s_waitcnt vmcnt(0)
	v_lshlrev_b32_e32 v2, 1, v18
	v_lshl_or_b32 v18, v35, 9, v2
	s_and_b32 s5, s5, 0xffff
	s_mov_b32 s7, 0x20000
	s_movk_i32 s6, 0x4000
	s_movk_i32 s0, 0x80
	buffer_load_dwordx4 v[2:5], v18, s[4:7], 0 offen
	buffer_load_dwordx4 v[6:9], v18, s[4:7], 0 offen offset:256
	buffer_load_dwordx4 v[10:13], v18, s[4:7], s0 offen
	buffer_load_dwordx4 v[14:17], v18, s[4:7], s0 offen offset:256
.LBB547_59:
	ds_read2st64_b64 v[22:25], v19 offset0:76 offset1:77
	ds_read2st64_b64 v[18:21], v19 offset0:78 offset1:79
	ds_read_b64 v[32:33], v26 offset:24576
	ds_read_b64 v[30:31], v27 offset:24576
	;; [unrolled: 1-line block ×4, first 2 shown]
	v_and_b32_e32 v37, 6, v0
	v_xor_b32_e32 v35, v35, v37
	v_lshlrev_b32_e32 v35, 2, v35
	v_and_b32_e32 v0, 1, v0
	v_xor_b32_e32 v39, 0x440, v35
	v_cmp_eq_u32_e32 vcc, 0, v0
	s_mov_b32 s0, 0x1000504
	s_mov_b32 s1, 0x3020706
	v_cndmask_b32_e32 v0, v39, v35, vcc
	v_lshl_or_b32 v0, v37, 10, v0
	s_waitcnt vmcnt(0)
	v_perm_b32 v35, v2, v6, s0
	v_perm_b32 v37, v10, v14, s0
	ds_write2st64_b32 v0, v35, v37 offset1:32
	v_xor_b32_e32 v35, 8, v0
	v_perm_b32 v2, v2, v6, s1
	v_perm_b32 v6, v10, v14, s1
	v_add_u32_e32 v10, 0x80, v35
	ds_write2st64_b32 v10, v2, v6 offset1:32
	v_xor_b32_e32 v2, 16, v0
	v_perm_b32 v6, v3, v7, s0
	v_perm_b32 v10, v11, v15, s0
	ds_write2st64_b32 v2, v6, v10 offset0:1 offset1:33
	v_xor_b32_e32 v2, 24, v0
	v_perm_b32 v3, v3, v7, s1
	v_perm_b32 v6, v11, v15, s1
	v_add_u32_e32 v2, 0x80, v2
	ds_write2st64_b32 v2, v3, v6 offset0:1 offset1:33
	v_xor_b32_e32 v2, 32, v0
	v_perm_b32 v3, v4, v8, s0
	v_perm_b32 v6, v12, v16, s0
	ds_write2st64_b32 v2, v3, v6 offset0:2 offset1:34
	v_xor_b32_e32 v2, 40, v0
	v_perm_b32 v3, v4, v8, s1
	v_perm_b32 v4, v12, v16, s1
	v_add_u32_e32 v2, 0x80, v2
	ds_write2st64_b32 v2, v3, v4 offset0:2 offset1:34
	v_xor_b32_e32 v2, 48, v0
	v_perm_b32 v3, v5, v9, s0
	v_perm_b32 v4, v13, v17, s0
	v_xor_b32_e32 v0, 56, v0
	v_and_or_b32 v8, v38, 12, v1
	ds_write2st64_b32 v2, v3, v4 offset0:3 offset1:35
	v_perm_b32 v2, v5, v9, s1
	v_perm_b32 v3, v13, v17, s1
	v_add_u32_e32 v0, 0x80, v0
	v_cmp_gt_i32_e64 s[2:3], s27, v8
	v_mov_b32_e32 v10, 0
	v_mov_b32_e32 v15, 0
	ds_write2st64_b32 v0, v2, v3 offset0:3 offset1:35
	s_and_saveexec_b64 s[0:1], s[2:3]
	s_cbranch_execz .LBB547_61
; %bb.60:
	v_add_u32_e32 v0, s26, v8
	v_ashrrev_i32_e32 v1, 31, v0
	v_mul_lo_u32 v2, v1, s30
	v_mul_lo_u32 v3, v0, s31
	v_mad_u64_u32 v[0:1], s[4:5], v0, s30, 0
	v_add3_u32 v1, v1, v3, v2
	v_lshl_add_u64 v[0:1], v[0:1], 2, s[10:11]
	global_load_dword v0, v[0:1], off
	s_waitcnt vmcnt(0)
	v_sub_f32_e32 v0, s12, v0
	v_exp_f32_e32 v15, v0
.LBB547_61:
	s_or_b64 exec, exec, s[0:1]
	v_or_b32_e32 v13, 1, v8
	v_cmp_gt_i32_e64 s[4:5], s27, v13
	s_and_saveexec_b64 s[0:1], s[4:5]
	s_cbranch_execz .LBB547_63
; %bb.62:
	v_add_u32_e32 v0, s26, v13
	v_ashrrev_i32_e32 v1, 31, v0
	v_mul_lo_u32 v2, v1, s30
	v_mul_lo_u32 v3, v0, s31
	v_mad_u64_u32 v[0:1], s[6:7], v0, s30, 0
	v_add3_u32 v1, v1, v3, v2
	v_lshl_add_u64 v[0:1], v[0:1], 2, s[10:11]
	global_load_dword v0, v[0:1], off
	s_waitcnt vmcnt(0)
	v_sub_f32_e32 v0, s12, v0
	v_exp_f32_e32 v10, v0
.LBB547_63:
	s_or_b64 exec, exec, s[0:1]
	v_or_b32_e32 v11, 2, v8
	v_cmp_gt_i32_e32 vcc, s27, v11
	v_mov_b32_e32 v9, 0
	v_mov_b32_e32 v14, 0
	s_and_saveexec_b64 s[0:1], vcc
	s_cbranch_execz .LBB547_65
; %bb.64:
	v_add_u32_e32 v0, s26, v11
	v_ashrrev_i32_e32 v1, 31, v0
	v_mul_lo_u32 v2, v1, s30
	v_mul_lo_u32 v3, v0, s31
	v_mad_u64_u32 v[0:1], s[6:7], v0, s30, 0
	v_add3_u32 v1, v1, v3, v2
	v_lshl_add_u64 v[0:1], v[0:1], 2, s[10:11]
	global_load_dword v0, v[0:1], off
	s_waitcnt vmcnt(0)
	v_sub_f32_e32 v0, s12, v0
	v_exp_f32_e32 v14, v0
.LBB547_65:
	s_or_b64 exec, exec, s[0:1]
	v_or_b32_e32 v12, 3, v8
	v_cmp_gt_i32_e64 s[0:1], s27, v12
	s_and_saveexec_b64 s[6:7], s[0:1]
	s_cbranch_execz .LBB547_67
; %bb.66:
	v_add_u32_e32 v0, s26, v12
	v_ashrrev_i32_e32 v1, 31, v0
	v_mul_lo_u32 v2, v1, s30
	v_mul_lo_u32 v3, v0, s31
	v_mad_u64_u32 v[0:1], s[14:15], v0, s30, 0
	v_add3_u32 v1, v1, v3, v2
	v_lshl_add_u64 v[0:1], v[0:1], 2, s[10:11]
	global_load_dword v0, v[0:1], off
	s_waitcnt vmcnt(0)
	v_sub_f32_e32 v0, s12, v0
	v_exp_f32_e32 v9, v0
.LBB547_67:
	s_or_b64 exec, exec, s[6:7]
	s_waitcnt lgkmcnt(11)
	v_mfma_f32_16x16x16_bf16 a[0:3], v[32:33], v[22:23], a[0:3]
	s_add_u32 s6, s8, s20
	v_ashrrev_i32_e32 v35, 31, v34
	s_addc_u32 s7, s9, s21
	s_waitcnt lgkmcnt(10)
	v_mfma_f32_16x16x16_bf16 a[0:3], v[30:31], v[24:25], a[0:3]
	v_lshlrev_b64 v[0:1], 1, v[34:35]
	v_lshl_add_u64 v[4:5], s[6:7], 0, v[0:1]
	s_add_u32 s6, s28, s20
	s_waitcnt lgkmcnt(9)
	v_mfma_f32_16x16x16_bf16 a[0:3], v[28:29], v[18:19], a[0:3]
	s_addc_u32 s7, s29, s21
	v_lshl_add_u64 v[6:7], s[6:7], 0, v[0:1]
	v_mov_b32_e32 v16, 0
	s_waitcnt lgkmcnt(8)
	v_mfma_f32_16x16x16_bf16 a[0:3], v[26:27], v[20:21], a[0:3]
	v_mov_b32_e32 v17, 0
	s_nop 5
	v_accvgpr_read_b32 v0, a0
	v_accvgpr_read_b32 v1, a1
	;; [unrolled: 1-line block ×4, first 2 shown]
	s_and_saveexec_b64 s[6:7], s[2:3]
	s_cbranch_execz .LBB547_69
; %bb.68:
	v_lshlrev_b32_e32 v18, 8, v8
	v_mov_b32_e32 v19, 0
	v_lshl_add_u64 v[20:21], v[4:5], 0, v[18:19]
	global_load_ushort v17, v[20:21], off
	v_lshl_add_u64 v[18:19], v[6:7], 0, v[18:19]
	s_waitcnt vmcnt(0)
	v_lshlrev_b32_e32 v17, 16, v17
	v_sub_f32_e32 v0, v17, v0
	global_store_short_d16_hi v[18:19], v0, off
	v_mul_f32_e32 v0, v15, v0
	v_lshrrev_b32_e32 v17, 16, v0
.LBB547_69:
	s_or_b64 exec, exec, s[6:7]
	s_and_saveexec_b64 s[2:3], s[4:5]
	s_cbranch_execz .LBB547_71
; %bb.70:
	v_lshlrev_b32_e32 v18, 8, v13
	v_mov_b32_e32 v19, 0
	v_lshl_add_u64 v[20:21], v[4:5], 0, v[18:19]
	global_load_ushort v0, v[20:21], off
	v_lshl_add_u64 v[18:19], v[6:7], 0, v[18:19]
	s_waitcnt vmcnt(0)
	v_lshlrev_b32_e32 v0, 16, v0
	v_sub_f32_e32 v0, v0, v1
	global_store_short_d16_hi v[18:19], v0, off
	v_mul_f32_e32 v0, v10, v0
	v_lshrrev_b32_e32 v16, 16, v0
.LBB547_71:
	s_or_b64 exec, exec, s[2:3]
	v_mov_b32_e32 v0, 0
	v_mov_b32_e32 v1, 0
	s_and_saveexec_b64 s[2:3], vcc
	s_cbranch_execz .LBB547_73
; %bb.72:
	v_lshlrev_b32_e32 v10, 8, v11
	v_mov_b32_e32 v11, 0
	v_lshl_add_u64 v[18:19], v[4:5], 0, v[10:11]
	global_load_ushort v1, v[18:19], off
	v_lshl_add_u64 v[10:11], v[6:7], 0, v[10:11]
	s_waitcnt vmcnt(0)
	v_lshlrev_b32_e32 v1, 16, v1
	v_sub_f32_e32 v1, v1, v2
	global_store_short_d16_hi v[10:11], v1, off
	v_mul_f32_e32 v1, v14, v1
	v_lshrrev_b32_e32 v1, 16, v1
.LBB547_73:
	s_or_b64 exec, exec, s[2:3]
	s_and_saveexec_b64 s[2:3], s[0:1]
	s_cbranch_execz .LBB547_75
; %bb.74:
	v_lshlrev_b32_e32 v10, 8, v12
	v_mov_b32_e32 v11, 0
	v_lshl_add_u64 v[4:5], v[4:5], 0, v[10:11]
	global_load_ushort v0, v[4:5], off
	v_lshl_add_u64 v[4:5], v[6:7], 0, v[10:11]
	s_waitcnt vmcnt(0)
	v_lshlrev_b32_e32 v0, 16, v0
	v_sub_f32_e32 v0, v0, v3
	global_store_short_d16_hi v[4:5], v0, off
	v_mul_f32_e32 v0, v9, v0
	v_lshrrev_b32_e32 v0, 16, v0
.LBB547_75:
	s_or_b64 exec, exec, s[2:3]
	s_mov_b32 s0, 0x5040100
	v_lshlrev_b32_e32 v2, 1, v36
	v_perm_b32 v1, v0, v1, s0
	v_perm_b32 v0, v16, v17, s0
	v_lshl_or_b32 v2, v8, 5, v2
	ds_write_b64 v2, v[0:1] offset:38912
	s_waitcnt lgkmcnt(0)
	s_barrier
.LBB547_76:
	s_endpgm
	.section	.rodata,"a",@progbits
	.p2align	6, 0x0
	.amdhsa_kernel _ZN12_GLOBAL__N_139chunk_gated_delta_rule_fwd_h_hip_kernelILi16ELb1ELb0ELb1ELb1ELb1ELb0ELb1ELb1EEEvPK12hip_bfloat16S3_S3_PKfS5_PKvPS1_S8_PvPKiSB_iiiiilll
		.amdhsa_group_segment_fixed_size 40960
		.amdhsa_private_segment_fixed_size 0
		.amdhsa_kernarg_size 136
		.amdhsa_user_sgpr_count 2
		.amdhsa_user_sgpr_dispatch_ptr 0
		.amdhsa_user_sgpr_queue_ptr 0
		.amdhsa_user_sgpr_kernarg_segment_ptr 1
		.amdhsa_user_sgpr_dispatch_id 0
		.amdhsa_user_sgpr_kernarg_preload_length 0
		.amdhsa_user_sgpr_kernarg_preload_offset 0
		.amdhsa_user_sgpr_private_segment_size 0
		.amdhsa_uses_dynamic_stack 0
		.amdhsa_enable_private_segment 0
		.amdhsa_system_sgpr_workgroup_id_x 1
		.amdhsa_system_sgpr_workgroup_id_y 1
		.amdhsa_system_sgpr_workgroup_id_z 0
		.amdhsa_system_sgpr_workgroup_info 0
		.amdhsa_system_vgpr_workitem_id 0
		.amdhsa_next_free_vgpr 116
		.amdhsa_next_free_sgpr 64
		.amdhsa_accum_offset 108
		.amdhsa_reserve_vcc 1
		.amdhsa_float_round_mode_32 0
		.amdhsa_float_round_mode_16_64 0
		.amdhsa_float_denorm_mode_32 3
		.amdhsa_float_denorm_mode_16_64 3
		.amdhsa_dx10_clamp 1
		.amdhsa_ieee_mode 1
		.amdhsa_fp16_overflow 0
		.amdhsa_tg_split 0
		.amdhsa_exception_fp_ieee_invalid_op 0
		.amdhsa_exception_fp_denorm_src 0
		.amdhsa_exception_fp_ieee_div_zero 0
		.amdhsa_exception_fp_ieee_overflow 0
		.amdhsa_exception_fp_ieee_underflow 0
		.amdhsa_exception_fp_ieee_inexact 0
		.amdhsa_exception_int_div_zero 0
	.end_amdhsa_kernel
	.section	.text._ZN12_GLOBAL__N_139chunk_gated_delta_rule_fwd_h_hip_kernelILi16ELb1ELb0ELb1ELb1ELb1ELb0ELb1ELb1EEEvPK12hip_bfloat16S3_S3_PKfS5_PKvPS1_S8_PvPKiSB_iiiiilll,"axG",@progbits,_ZN12_GLOBAL__N_139chunk_gated_delta_rule_fwd_h_hip_kernelILi16ELb1ELb0ELb1ELb1ELb1ELb0ELb1ELb1EEEvPK12hip_bfloat16S3_S3_PKfS5_PKvPS1_S8_PvPKiSB_iiiiilll,comdat
.Lfunc_end547:
	.size	_ZN12_GLOBAL__N_139chunk_gated_delta_rule_fwd_h_hip_kernelILi16ELb1ELb0ELb1ELb1ELb1ELb0ELb1ELb1EEEvPK12hip_bfloat16S3_S3_PKfS5_PKvPS1_S8_PvPKiSB_iiiiilll, .Lfunc_end547-_ZN12_GLOBAL__N_139chunk_gated_delta_rule_fwd_h_hip_kernelILi16ELb1ELb0ELb1ELb1ELb1ELb0ELb1ELb1EEEvPK12hip_bfloat16S3_S3_PKfS5_PKvPS1_S8_PvPKiSB_iiiiilll
                                        ; -- End function
	.section	.AMDGPU.csdata,"",@progbits
; Kernel info:
; codeLenInByte = 7208
; NumSgprs: 70
; NumVgprs: 108
; NumAgprs: 8
; TotalNumVgprs: 116
; ScratchSize: 0
; MemoryBound: 0
; FloatMode: 240
; IeeeMode: 1
; LDSByteSize: 40960 bytes/workgroup (compile time only)
; SGPRBlocks: 8
; VGPRBlocks: 14
; NumSGPRsForWavesPerEU: 70
; NumVGPRsForWavesPerEU: 116
; AccumOffset: 108
; Occupancy: 1
; WaveLimiterHint : 1
; COMPUTE_PGM_RSRC2:SCRATCH_EN: 0
; COMPUTE_PGM_RSRC2:USER_SGPR: 2
; COMPUTE_PGM_RSRC2:TRAP_HANDLER: 0
; COMPUTE_PGM_RSRC2:TGID_X_EN: 1
; COMPUTE_PGM_RSRC2:TGID_Y_EN: 1
; COMPUTE_PGM_RSRC2:TGID_Z_EN: 0
; COMPUTE_PGM_RSRC2:TIDIG_COMP_CNT: 0
; COMPUTE_PGM_RSRC3_GFX90A:ACCUM_OFFSET: 26
; COMPUTE_PGM_RSRC3_GFX90A:TG_SPLIT: 0
	.section	.text._ZN12_GLOBAL__N_139chunk_gated_delta_rule_fwd_h_hip_kernelILi16ELb1ELb0ELb0ELb1ELb1ELb0ELb1ELb1EEEvPK12hip_bfloat16S3_S3_PKfS5_PKvPS1_S8_PvPKiSB_iiiiilll,"axG",@progbits,_ZN12_GLOBAL__N_139chunk_gated_delta_rule_fwd_h_hip_kernelILi16ELb1ELb0ELb0ELb1ELb1ELb0ELb1ELb1EEEvPK12hip_bfloat16S3_S3_PKfS5_PKvPS1_S8_PvPKiSB_iiiiilll,comdat
	.globl	_ZN12_GLOBAL__N_139chunk_gated_delta_rule_fwd_h_hip_kernelILi16ELb1ELb0ELb0ELb1ELb1ELb0ELb1ELb1EEEvPK12hip_bfloat16S3_S3_PKfS5_PKvPS1_S8_PvPKiSB_iiiiilll ; -- Begin function _ZN12_GLOBAL__N_139chunk_gated_delta_rule_fwd_h_hip_kernelILi16ELb1ELb0ELb0ELb1ELb1ELb0ELb1ELb1EEEvPK12hip_bfloat16S3_S3_PKfS5_PKvPS1_S8_PvPKiSB_iiiiilll
	.p2align	8
	.type	_ZN12_GLOBAL__N_139chunk_gated_delta_rule_fwd_h_hip_kernelILi16ELb1ELb0ELb0ELb1ELb1ELb0ELb1ELb1EEEvPK12hip_bfloat16S3_S3_PKfS5_PKvPS1_S8_PvPKiSB_iiiiilll,@function
_ZN12_GLOBAL__N_139chunk_gated_delta_rule_fwd_h_hip_kernelILi16ELb1ELb0ELb0ELb1ELb1ELb0ELb1ELb1EEEvPK12hip_bfloat16S3_S3_PKfS5_PKvPS1_S8_PvPKiSB_iiiiilll: ; @_ZN12_GLOBAL__N_139chunk_gated_delta_rule_fwd_h_hip_kernelILi16ELb1ELb0ELb0ELb1ELb1ELb0ELb1ELb1EEEvPK12hip_bfloat16S3_S3_PKfS5_PKvPS1_S8_PvPKiSB_iiiiilll
; %bb.0:
	s_load_dwordx4 s[12:15], s[0:1], 0x5c
	s_load_dwordx4 s[20:23], s[0:1], 0x70
	s_abs_i32 s9, s3
	s_ashr_i32 s8, s3, 31
	s_load_dwordx4 s[4:7], s[0:1], 0x48
	s_waitcnt lgkmcnt(0)
	s_abs_i32 s10, s13
	v_cvt_f32_u32_e32 v1, s10
	s_sub_i32 s16, 0, s10
	s_ashr_i32 s11, s13, 31
	s_xor_b32 s8, s8, s11
	v_rcp_iflag_f32_e32 v1, v1
	v_and_b32_e32 v43, 15, v0
	v_lshrrev_b32_e32 v41, 6, v0
	v_bfe_u32 v42, v0, 4, 2
	v_mul_f32_e32 v1, 0x4f7ffffe, v1
	v_cvt_u32_f32_e32 v1, v1
	v_mov_b32_e32 v5, 0
	v_and_b32_e32 v40, 63, v0
	v_lshlrev_b32_e32 v44, 3, v0
	v_readfirstlane_b32 s17, v1
	s_mul_i32 s16, s16, s17
	s_mul_hi_u32 s16, s17, s16
	s_add_i32 s17, s17, s16
	s_mul_hi_u32 s16, s9, s17
	s_mul_i32 s17, s16, s10
	s_sub_i32 s9, s9, s17
	s_add_i32 s18, s16, 1
	s_sub_i32 s17, s9, s10
	s_cmp_ge_u32 s9, s10
	s_cselect_b32 s16, s18, s16
	s_cselect_b32 s9, s17, s9
	s_add_i32 s17, s16, 1
	s_cmp_ge_u32 s9, s10
	s_cselect_b32 s9, s17, s16
	s_load_dwordx4 s[16:19], s[0:1], 0x28
	s_xor_b32 s9, s9, s8
	s_sub_i32 s24, s9, s8
	s_mul_i32 s28, s24, s13
	s_ashr_i32 s25, s24, 31
	s_sub_i32 s45, s3, s28
	s_lshl_b64 s[8:9], s[24:25], 2
	s_add_u32 s4, s4, s8
	s_addc_u32 s5, s5, s9
	s_add_u32 s26, s6, s8
	s_addc_u32 s27, s7, s9
	s_abs_i32 s3, s14
	v_cvt_f32_u32_e32 v1, s3
	s_load_dwordx2 s[30:31], s[4:5], 0x0
	s_sub_i32 s5, 0, s3
	s_lshl_b32 s2, s2, 4
	v_rcp_iflag_f32_e32 v1, v1
	v_or_b32_e32 v34, s2, v43
	s_waitcnt lgkmcnt(0)
	s_sub_i32 s48, s31, s30
	s_ashr_i32 s4, s48, 31
	v_mul_f32_e32 v1, 0x4f7ffffe, v1
	v_cvt_u32_f32_e32 v1, v1
	s_lshr_b32 s4, s4, 26
	s_add_i32 s4, s48, s4
	s_ashr_i32 s46, s4, 6
	v_readfirstlane_b32 s6, v1
	s_mul_i32 s5, s5, s6
	s_mul_hi_u32 s5, s6, s5
	s_add_i32 s6, s6, s5
	s_mul_hi_u32 s5, s10, s6
	s_mul_i32 s6, s5, s3
	s_ashr_i32 s4, s14, 31
	s_sub_i32 s6, s10, s6
	s_xor_b32 s4, s11, s4
	s_add_i32 s7, s5, 1
	s_sub_i32 s8, s6, s3
	s_cmp_ge_u32 s6, s3
	s_cselect_b32 s5, s7, s5
	s_cselect_b32 s6, s8, s6
	s_add_i32 s7, s5, 1
	s_cmp_ge_u32 s6, s3
	s_cselect_b32 s3, s7, s5
	s_xor_b32 s3, s3, s4
	s_sub_i32 s3, s3, s4
	s_abs_i32 s4, s3
	v_cvt_f32_u32_e32 v1, s4
	s_sub_i32 s6, 0, s4
	s_abs_i32 s5, s45
	s_xor_b32 s3, s45, s3
	v_rcp_iflag_f32_e32 v1, v1
	s_ashr_i32 s3, s3, 31
	v_lshlrev_b32_e32 v2, 7, v34
	v_ashrrev_i32_e32 v3, 31, v2
	v_mul_f32_e32 v1, 0x4f7ffffe, v1
	v_cvt_u32_f32_e32 v1, v1
	v_lshrrev_b32_e32 v45, 3, v40
	s_mul_i32 s33, s24, s21
	s_mul_hi_u32 s40, s24, s20
	v_readfirstlane_b32 s7, v1
	s_mul_i32 s6, s6, s7
	s_mul_hi_u32 s6, s7, s6
	s_add_i32 s7, s7, s6
	s_mul_hi_u32 s6, s5, s7
	s_mul_i32 s7, s6, s4
	s_sub_i32 s5, s5, s7
	s_add_i32 s7, s6, 1
	s_sub_i32 s8, s5, s4
	s_cmp_ge_u32 s5, s4
	s_cselect_b32 s6, s7, s6
	s_cselect_b32 s5, s8, s5
	s_add_i32 s7, s6, 1
	s_cmp_ge_u32 s5, s4
	s_cselect_b32 s4, s7, s6
	s_xor_b32 s4, s4, s3
	s_sub_i32 s49, s4, s3
	s_ashr_i32 s47, s45, 31
	s_mul_hi_i32 s3, s24, s13
	s_add_u32 s4, s28, s45
	s_addc_u32 s5, s3, s47
	s_lshl_b64 s[4:5], s[4:5], 15
	v_lshlrev_b32_e32 v1, 4, v41
	s_add_u32 s4, s16, s4
	v_lshl_or_b32 v46, v42, 2, v1
	s_addc_u32 s5, s17, s5
	v_lshl_add_u64 v[2:3], v[2:3], 1, s[4:5]
	v_lshlrev_b32_e32 v4, 1, v46
	v_lshl_add_u64 v[2:3], v[2:3], 0, v[4:5]
	global_load_dwordx2 v[4:5], v[2:3], off
	global_load_dwordx2 v[6:7], v[2:3], off offset:128
	s_load_dwordx8 s[4:11], s[0:1], 0x0
	s_load_dwordx2 s[28:29], s[0:1], 0x80
	s_load_dword s52, s[26:27], 0x0
	v_or_b32_e32 v47, 64, v46
	s_mul_i32 s36, s24, s20
	s_mul_i32 s41, s25, s20
	s_mul_hi_i32 s50, s45, s12
	s_mul_i32 s51, s45, s12
	s_mul_i32 s42, s45, s23
	s_mul_hi_u32 s43, s45, s22
	s_mul_i32 s44, s47, s22
	s_cmp_lt_i32 s48, 64
	s_mul_i32 s34, s45, s22
	s_waitcnt vmcnt(1)
	v_and_b32_e32 v48, 0xffff0000, v4
	v_lshlrev_b32_e32 v50, 16, v4
	v_and_b32_e32 v54, 0xffff0000, v5
	v_lshlrev_b32_e32 v52, 16, v5
	s_waitcnt vmcnt(0)
	v_and_b32_e32 v49, 0xffff0000, v6
	v_lshlrev_b32_e32 v51, 16, v6
	v_and_b32_e32 v55, 0xffff0000, v7
	v_lshlrev_b32_e32 v53, 16, v7
	s_cbranch_scc1 .LBB548_3
; %bb.1:
	s_ashr_i32 s1, s30, 31
	s_add_u32 s0, s51, s30
	s_addc_u32 s1, s50, s1
	s_lshl_b64 s[0:1], s[0:1], 8
	v_and_b32_e32 v57, 56, v44
	s_waitcnt lgkmcnt(0)
	s_add_u32 s20, s6, s0
	v_lshl_or_b32 v56, v41, 3, v45
	v_lshlrev_b32_e32 v2, 1, v57
	s_addc_u32 s0, s7, s1
	v_lshl_or_b32 v58, v56, 8, v2
	s_and_b32 s21, s0, 0xffff
	s_mov_b32 s23, 0x20000
	s_movk_i32 s22, 0x4000
	s_movk_i32 s0, 0x80
	v_or_b32_e32 v59, 0x2000, v58
	buffer_load_dwordx4 v[4:7], v58, s[20:23], 0 offen
	buffer_load_dwordx4 v[8:11], v58, s[20:23], s0 offen
	;; [unrolled: 1-line block ×4, first 2 shown]
	v_lshlrev_b32_e32 v3, 3, v56
	v_and_or_b32 v21, v0, 7, v3
	v_and_b32_e32 v3, 0x78, v3
	v_lshlrev_b32_e32 v21, 4, v21
	v_xor_b32_e32 v60, v21, v3
	v_mul_lo_u32 v20, v56, s15
	v_or_b32_e32 v61, 0x1000, v60
	v_xor_b32_e32 v3, 8, v60
	s_cmpk_eq_i32 s15, 0x80
	s_mov_b32 s53, s30
	v_xor_b32_e32 v21, 8, v61
	s_cselect_b64 s[0:1], -1, 0
	s_cmpk_lg_i32 s15, 0x80
	s_waitcnt vmcnt(3)
	ds_write_b64 v60, v[4:5] offset:16384
	ds_write_b64 v3, v[6:7] offset:16384
	s_waitcnt vmcnt(2)
	ds_write_b64 v60, v[8:9] offset:24576
	ds_write_b64 v3, v[10:11] offset:24576
	s_waitcnt vmcnt(1)
	ds_write_b64 v60, v[12:13] offset:20480
	ds_write_b64 v21, v[14:15] offset:16384
	s_waitcnt vmcnt(0)
	ds_write_b64 v60, v[16:17] offset:28672
	ds_write_b64 v21, v[18:19] offset:24576
	v_lshl_add_u32 v3, v20, 1, v57
	s_cbranch_scc0 .LBB548_29
; %bb.2:
	v_lshlrev_b32_e32 v5, 1, v3
	v_add_lshl_u32 v4, v3, s15, 1
	s_lshl_b32 s22, s15, 7
	v_lshl_or_b32 v2, v56, 9, v2
	s_cbranch_execz .LBB548_30
	s_branch .LBB548_31
.LBB548_3:
	v_mov_b32_e32 v2, v55
	v_mov_b32_e32 v3, v54
.LBB548_4:
	s_lshl_b32 s26, s46, 6
	s_sub_i32 s27, s48, s26
	s_cmp_gt_i32 s27, 0
	s_cbranch_scc0 .LBB548_76
; %bb.5:
	s_add_i32 s26, s26, s30
	s_ashr_i32 s3, s26, 31
	s_cmpk_lg_i32 s15, 0x80
	s_cselect_b64 s[22:23], -1, 0
	s_and_b64 vcc, exec, s[22:23]
	s_cbranch_vccz .LBB548_7
; %bb.6:
	s_mul_hi_i32 s0, s26, s14
	s_mul_i32 s1, s26, s14
	s_ashr_i32 s14, s49, 31
	s_add_u32 s24, s1, s49
	s_addc_u32 s25, s0, s14
	s_cbranch_execz .LBB548_8
	s_branch .LBB548_9
.LBB548_7:
                                        ; implicit-def: $sgpr24_sgpr25
.LBB548_8:
	s_mul_i32 s1, s49, s12
	s_mul_hi_i32 s0, s49, s12
	s_add_u32 s24, s1, s26
	s_addc_u32 s25, s0, s3
.LBB548_9:
	s_waitcnt lgkmcnt(0)
	s_add_i32 s12, s46, s52
	s_add_u32 s0, s51, s26
	s_addc_u32 s1, s50, s3
	s_mov_b32 s3, 0x7060302
	v_lshlrev_b32_e32 v6, 3, v43
	v_perm_b32 v5, v3, v52, s3
	v_perm_b32 v4, v48, v50, s3
	;; [unrolled: 1-line block ×4, first 2 shown]
	v_lshlrev_b32_e32 v36, 2, v43
	v_lshl_or_b32 v6, v46, 5, v6
	s_lshl_b64 s[20:21], s[0:1], 8
	ds_write2st64_b64 v6, v[4:5], v[2:3] offset0:72 offset1:76
	v_xor_b32_e32 v6, v46, v36
	v_lshlrev_b32_e32 v7, 8, v43
	s_add_u32 s0, s6, s20
	v_lshl_or_b32 v6, v6, 1, v7
	s_addc_u32 s1, s7, s21
	ds_write_b64 v6, v[4:5] offset:32768
	v_xor_b32_e32 v4, v47, v36
	s_mul_hi_i32 s3, s12, s13
	s_mul_i32 s12, s12, s13
	v_lshl_or_b32 v4, v4, 1, v7
	s_add_u32 s6, s12, s45
	ds_write_b64 v4, v[2:3] offset:32768
	s_addc_u32 s7, s3, s47
	v_lshlrev_b32_e32 v3, 1, v43
	v_lshrrev_b32_e32 v2, 4, v0
	s_ashr_i32 s3, s2, 31
	s_lshl_b64 s[6:7], s[6:7], 15
	v_or_b32_e32 v4, 1, v3
	s_add_u32 s6, s18, s6
	v_xor_b32_e32 v3, v2, v3
	v_xor_b32_e32 v4, v4, v2
	v_lshlrev_b32_e32 v6, 8, v2
	s_addc_u32 s7, s19, s7
	s_lshl_b64 s[2:3], s[2:3], 8
	v_lshl_or_b32 v2, v3, 3, v6
	v_lshl_or_b32 v4, v4, 3, v6
	s_waitcnt lgkmcnt(0)
	s_barrier
	s_add_u32 s2, s6, s2
	ds_read_b64 v[2:3], v2 offset:32768
	ds_read_b64 v[4:5], v4 offset:32768
	s_addc_u32 s3, s7, s3
	v_mov_b32_e32 v7, 0
	s_cmp_lg_u32 s27, 64
	v_lshl_add_u64 v[8:9], s[2:3], 0, v[6:7]
	v_lshlrev_b32_e32 v6, 4, v43
	s_cselect_b64 s[6:7], -1, 0
	v_lshl_or_b32 v35, v41, 3, v45
	s_mov_b32 s16, 0
	v_lshl_add_u64 v[6:7], v[8:9], 0, v[6:7]
	s_waitcnt vmcnt(1)
	v_or_b32_e32 v19, 32, v35
	v_and_b32_e32 v18, 56, v44
	s_and_b64 vcc, exec, s[6:7]
	s_waitcnt lgkmcnt(0)
	global_store_dwordx4 v[6:7], v[2:5], off
	s_cbranch_vccz .LBB548_15
; %bb.10:
	s_mov_b32 s17, s16
	s_mov_b32 s18, s16
	;; [unrolled: 1-line block ×3, first 2 shown]
	v_mov_b64_e32 v[6:7], s[16:17]
	v_mov_b64_e32 v[8:9], s[18:19]
	;; [unrolled: 1-line block ×3, first 2 shown]
	v_cmp_gt_i32_e32 vcc, s27, v35
	v_mov_b64_e32 v[4:5], v[8:9]
	s_and_saveexec_b64 s[2:3], vcc
	s_cbranch_execz .LBB548_12
; %bb.11:
	v_lshlrev_b32_e32 v2, 8, v35
	v_mov_b32_e32 v3, 0
	v_lshl_add_u64 v[4:5], s[0:1], 0, v[2:3]
	v_lshlrev_b32_e32 v2, 1, v18
	v_lshl_add_u64 v[10:11], v[4:5], 0, v[2:3]
	global_load_dwordx4 v[6:9], v[10:11], off
	global_load_dwordx4 v[2:5], v[10:11], off offset:128
.LBB548_12:
	s_or_b64 exec, exec, s[2:3]
	s_mov_b32 s17, s16
	s_mov_b32 s18, s16
	;; [unrolled: 1-line block ×3, first 2 shown]
	v_mov_b64_e32 v[14:15], s[16:17]
	v_mov_b64_e32 v[16:17], s[18:19]
	;; [unrolled: 1-line block ×3, first 2 shown]
	v_cmp_gt_i32_e32 vcc, s27, v19
	v_lshlrev_b32_e32 v20, 7, v19
	v_mov_b64_e32 v[12:13], v[16:17]
	s_and_saveexec_b64 s[2:3], vcc
	s_cbranch_execz .LBB548_14
; %bb.13:
	v_lshlrev_b32_e32 v10, 1, v20
	v_mov_b32_e32 v11, 0
	v_lshl_add_u64 v[12:13], s[0:1], 0, v[10:11]
	v_lshlrev_b32_e32 v10, 1, v18
	v_lshl_add_u64 v[22:23], v[12:13], 0, v[10:11]
	global_load_dwordx4 v[14:17], v[22:23], off
	global_load_dwordx4 v[10:13], v[22:23], off offset:128
.LBB548_14:
	s_or_b64 exec, exec, s[2:3]
	v_lshrrev_b32_e32 v21, 3, v18
	v_lshlrev_b32_e32 v22, 3, v35
	v_or_b32_e32 v21, v22, v21
	v_lshlrev_b32_e32 v21, 4, v21
	v_and_b32_e32 v22, 0x78, v22
	v_xor_b32_e32 v21, v21, v22
	s_branch .LBB548_17
.LBB548_15:
                                        ; implicit-def: $vgpr21
                                        ; implicit-def: $vgpr20
                                        ; implicit-def: $vgpr6_vgpr7_vgpr8_vgpr9
                                        ; implicit-def: $vgpr2_vgpr3_vgpr4_vgpr5
                                        ; implicit-def: $vgpr14_vgpr15_vgpr16_vgpr17
                                        ; implicit-def: $vgpr10_vgpr11_vgpr12_vgpr13
	s_cbranch_execz .LBB548_17
; %bb.16:
	s_waitcnt vmcnt(0)
	v_lshlrev_b32_e32 v2, 1, v18
	v_lshl_or_b32 v20, v35, 8, v2
	s_and_b32 s1, s1, 0xffff
	s_mov_b32 s3, 0x20000
	s_movk_i32 s2, 0x4000
	v_lshl_or_b32 v21, v19, 8, v2
	s_movk_i32 s12, 0x80
	buffer_load_dwordx4 v[6:9], v20, s[0:3], 0 offen
	buffer_load_dwordx4 v[2:5], v20, s[0:3], s12 offen
	;; [unrolled: 1-line block ×4, first 2 shown]
	v_lshrrev_b32_e32 v20, 3, v18
	v_lshlrev_b32_e32 v21, 3, v35
	v_or_b32_e32 v20, v21, v20
	v_lshlrev_b32_e32 v20, 4, v20
	v_and_b32_e32 v21, 0x78, v21
	v_xor_b32_e32 v21, v20, v21
	v_lshlrev_b32_e32 v20, 7, v19
.LBB548_17:
	s_lshl_b64 s[0:1], s[24:25], 8
	s_add_u32 s4, s4, s0
	s_movk_i32 s0, 0x1000
	v_and_or_b32 v19, v20, s0, v21
	s_waitcnt vmcnt(1)
	ds_write_b64 v21, v[6:7] offset:16384
	v_xor_b32_e32 v6, 8, v21
	ds_write_b64 v6, v[8:9] offset:16384
	s_waitcnt vmcnt(0)
	ds_write_b64 v21, v[2:3] offset:24576
	ds_write_b64 v6, v[4:5] offset:24576
	;; [unrolled: 1-line block ×3, first 2 shown]
	v_xor_b32_e32 v2, 8, v19
	ds_write_b64 v2, v[16:17] offset:16384
	ds_write_b64 v19, v[10:11] offset:24576
	;; [unrolled: 1-line block ×3, first 2 shown]
	v_or_b32_e32 v2, v1, v43
	v_lshlrev_b32_e32 v2, 3, v2
	v_lshrrev_b32_e32 v4, 5, v40
	s_movk_i32 s12, 0xf8
	v_and_or_b32 v4, v2, s12, v4
	v_lshlrev_b32_e32 v3, 11, v41
	v_lshlrev_b32_e32 v12, 4, v4
	v_and_b32_e32 v13, 0x78, v2
	v_and_b32_e32 v14, 0x1000, v3
	v_lshlrev_b32_e32 v3, 2, v0
	v_xor_b32_e32 v2, v12, v13
	v_lshrrev_b32_e32 v4, 1, v40
	v_and_b32_e32 v3, 60, v3
	v_or_b32_e32 v2, v2, v14
	v_and_b32_e32 v15, 8, v4
	v_xor_b32_e32 v26, v2, v15
	v_lshl_or_b32 v2, v42, 6, v3
	v_lshlrev_b32_e32 v19, 1, v2
	v_or_b32_e32 v2, 32, v12
	v_xor_b32_e32 v2, v2, v13
	s_waitcnt lgkmcnt(0)
	s_barrier
	ds_read_b64 v[10:11], v26 offset:16384
	v_or_b32_e32 v2, v2, v14
	v_xor_b32_e32 v27, v2, v15
	v_or_b32_e32 v2, 64, v12
	v_xor_b32_e32 v2, v2, v13
	v_or_b32_e32 v2, v2, v14
	v_or_b32_e32 v12, 0x60, v12
	v_xor_b32_e32 v28, v2, v15
	ds_read2st64_b64 v[2:5], v19 offset0:72 offset1:73
	ds_read2st64_b64 v[6:9], v19 offset0:74 offset1:75
	v_xor_b32_e32 v16, v12, v13
	ds_read_b64 v[12:13], v27 offset:16384
	s_addc_u32 s5, s5, s1
	s_add_i32 s1, s40, s33
	s_waitcnt lgkmcnt(2)
	v_mfma_f32_16x16x16_bf16 a[0:3], v[10:11], v[2:3], 0
	s_add_i32 s0, s31, -1
	s_add_i32 s37, s1, s41
	s_add_i32 s1, s43, s42
	;; [unrolled: 1-line block ×3, first 2 shown]
	s_ashr_i32 s1, s0, 31
	s_mul_i32 s2, s0, s29
	s_mul_hi_u32 s3, s0, s28
	s_add_i32 s2, s3, s2
	s_mul_i32 s1, s1, s28
	v_or_b32_e32 v14, v16, v14
	s_add_i32 s1, s2, s1
	s_lshl_b64 s[2:3], s[36:37], 2
	v_xor_b32_e32 v37, v14, v15
	ds_read_b64 v[14:15], v28 offset:16384
	ds_read_b64 v[16:17], v37 offset:16384
	s_waitcnt lgkmcnt(2)
	v_mfma_f32_16x16x16_bf16 a[0:3], v[12:13], v[4:5], a[0:3]
	s_add_u32 s10, s10, s2
	s_addc_u32 s11, s11, s3
	s_lshl_b64 s[2:3], s[34:35], 2
	s_mul_i32 s0, s0, s28
	s_add_u32 s10, s10, s2
	s_addc_u32 s11, s11, s3
	s_lshl_b64 s[0:1], s[0:1], 2
	s_waitcnt lgkmcnt(1)
	v_mfma_f32_16x16x16_bf16 a[0:3], v[14:15], v[6:7], a[0:3]
	s_add_u32 s0, s10, s0
	s_addc_u32 s1, s11, s1
	s_load_dword s12, s[0:1], 0x0
	s_waitcnt lgkmcnt(0)
	v_mfma_f32_16x16x16_bf16 a[0:3], v[16:17], v[8:9], a[0:3]
	s_and_b64 vcc, exec, s[22:23]
	s_cbranch_vccz .LBB548_28
; %bb.18:
	v_lshlrev_b32_e32 v20, 1, v35
	s_and_b64 vcc, exec, s[6:7]
	s_cbranch_vccz .LBB548_44
; %bb.19:
	v_cmp_gt_i32_e32 vcc, s27, v20
	v_mov_b32_e32 v6, 0
	v_mov_b32_e32 v2, 0
	;; [unrolled: 1-line block ×5, first 2 shown]
	s_and_saveexec_b64 s[0:1], vcc
	s_cbranch_execz .LBB548_21
; %bb.20:
	v_mad_i64_i32 v[2:3], s[2:3], s15, v20, 0
	v_lshl_add_u64 v[2:3], v[2:3], 1, s[4:5]
	v_lshlrev_b32_e32 v4, 1, v18
	v_mov_b32_e32 v5, 0
	v_lshl_add_u64 v[2:3], v[2:3], 0, v[4:5]
	global_load_dwordx4 v[2:5], v[2:3], off
.LBB548_21:
	s_or_b64 exec, exec, s[0:1]
	v_or_b32_e32 v21, 1, v20
	v_cmp_gt_i32_e64 s[0:1], s27, v21
	v_mov_b32_e32 v7, 0
	v_mov_b32_e32 v8, 0
	;; [unrolled: 1-line block ×3, first 2 shown]
	s_and_saveexec_b64 s[2:3], s[0:1]
	s_cbranch_execz .LBB548_23
; %bb.22:
	v_mad_i64_i32 v[6:7], s[16:17], s15, v21, 0
	v_lshl_add_u64 v[6:7], v[6:7], 1, s[4:5]
	v_lshlrev_b32_e32 v8, 1, v18
	v_mov_b32_e32 v9, 0
	v_lshl_add_u64 v[6:7], v[6:7], 0, v[8:9]
	global_load_dwordx4 v[6:9], v[6:7], off
.LBB548_23:
	s_or_b64 exec, exec, s[2:3]
	v_mov_b32_e32 v17, 0
	v_mov_b32_e32 v10, 0
	;; [unrolled: 1-line block ×5, first 2 shown]
	s_and_saveexec_b64 s[2:3], vcc
	s_cbranch_execz .LBB548_25
; %bb.24:
	v_mad_i64_i32 v[10:11], s[16:17], s15, v20, 0
	v_lshl_add_u64 v[10:11], v[10:11], 1, s[4:5]
	v_lshlrev_b32_e32 v12, 1, v18
	v_mov_b32_e32 v13, 0
	v_lshl_add_u64 v[10:11], v[10:11], 0, v[12:13]
	global_load_dwordx4 v[10:13], v[10:11], off offset:128
.LBB548_25:
	s_or_b64 exec, exec, s[2:3]
	v_mov_b32_e32 v16, 0
	v_mov_b32_e32 v15, 0
	;; [unrolled: 1-line block ×3, first 2 shown]
	s_and_saveexec_b64 s[2:3], s[0:1]
	s_cbranch_execz .LBB548_27
; %bb.26:
	v_mad_i64_i32 v[14:15], s[0:1], s15, v21, 0
	v_lshl_add_u64 v[14:15], v[14:15], 1, s[4:5]
	v_lshlrev_b32_e32 v16, 1, v18
	v_mov_b32_e32 v17, 0
	v_lshl_add_u64 v[14:15], v[14:15], 0, v[16:17]
	global_load_dwordx4 v[14:17], v[14:15], off offset:128
.LBB548_27:
	s_or_b64 exec, exec, s[2:3]
	s_branch .LBB548_46
.LBB548_28:
                                        ; implicit-def: $vgpr5
                                        ; implicit-def: $vgpr9
                                        ; implicit-def: $vgpr13
                                        ; implicit-def: $vgpr17
	v_lshrrev_b32_e32 v38, 2, v40
	s_branch .LBB548_47
.LBB548_29:
                                        ; implicit-def: $vgpr4
                                        ; implicit-def: $vgpr5
                                        ; implicit-def: $sgpr22
	v_lshl_or_b32 v2, v56, 9, v2
.LBB548_30:
	v_or_b32_e32 v4, 0x100, v2
	s_movk_i32 s22, 0x4000
	v_mov_b32_e32 v5, v2
.LBB548_31:
	s_mul_i32 s16, s30, s14
	s_ashr_i32 s54, s49, 31
	s_mul_hi_i32 s3, s30, s14
	s_add_u32 s16, s16, s49
	s_addc_u32 s17, s3, s54
	s_lshl_b64 s[16:17], s[16:17], 8
	s_add_u32 s20, s4, s16
	s_addc_u32 s3, s5, s17
	s_and_b32 s21, s3, 0xffff
	s_movk_i32 s55, 0x80
	buffer_load_dwordx4 v[6:9], v5, s[20:23], 0 offen
	buffer_load_dwordx4 v[10:13], v5, s[20:23], s55 offen
	;; [unrolled: 1-line block ×4, first 2 shown]
	v_and_b32_e32 v4, 6, v0
	v_lshlrev_b32_e32 v22, 2, v43
	v_lshlrev_b32_e32 v23, 3, v43
	v_xor_b32_e32 v26, v56, v4
	v_and_b32_e32 v5, 1, v0
	v_lshl_or_b32 v23, v46, 5, v23
	v_xor_b32_e32 v27, v46, v22
	v_lshlrev_b32_e32 v26, 2, v26
	v_or_b32_e32 v62, 0x9000, v23
	v_or_b32_e32 v63, 0x9800, v23
	v_lshlrev_b32_e32 v23, 1, v27
	v_xor_b32_e32 v27, 0x440, v26
	v_cmp_eq_u32_e32 vcc, 0, v5
	s_add_i32 s3, s40, s33
	s_add_i32 s16, s43, s42
	v_cndmask_b32_e32 v5, v27, v26, vcc
	s_add_i32 s37, s3, s41
	v_lshl_or_b32 v4, v4, 10, v5
	s_add_i32 s35, s16, s44
	s_lshl_b64 s[16:17], s[36:37], 2
	s_mov_b32 s56, 0x1000504
	v_lshlrev_b32_e32 v24, 8, v43
	s_mov_b32 s22, 0x8000
	v_xor_b32_e32 v22, v47, v22
	v_xor_b32_e32 v5, 8, v4
	s_add_u32 s3, s10, s16
	s_mov_b32 s57, 0x3020706
	v_or_b32_e32 v25, v1, v43
	v_lshlrev_b32_e32 v22, 1, v22
	v_or3_b32 v64, v23, v24, s22
	v_xor_b32_e32 v23, 24, v4
	v_xor_b32_e32 v26, 40, v4
	;; [unrolled: 1-line block ×3, first 2 shown]
	v_add_u32_e32 v5, 0x80, v5
	s_addc_u32 s20, s11, s17
	s_lshl_b64 s[16:17], s[34:35], 2
	v_lshlrev_b32_e32 v25, 3, v25
	v_or3_b32 v65, v22, v24, s22
	v_xor_b32_e32 v22, 16, v4
	v_xor_b32_e32 v24, 32, v4
	;; [unrolled: 1-line block ×3, first 2 shown]
	v_add_u32_e32 v23, 0x80, v23
	v_add_u32_e32 v26, 0x80, v26
	;; [unrolled: 1-line block ×3, first 2 shown]
	s_add_u32 s16, s3, s16
	s_movk_i32 s3, 0xf8
	s_addc_u32 s17, s20, s17
	v_ashrrev_i32_e32 v35, 31, v34
	s_lshl_b32 s26, s15, 7
	s_mov_b32 s58, 0
	s_waitcnt vmcnt(1)
	v_perm_b32 v29, v6, v14, s56
	s_waitcnt vmcnt(0)
	v_perm_b32 v30, v10, v18, s56
	v_perm_b32 v6, v6, v14, s57
	v_perm_b32 v10, v10, v18, s57
	v_perm_b32 v14, v7, v15, s56
	v_perm_b32 v18, v11, v19, s56
	v_perm_b32 v7, v7, v15, s57
	v_perm_b32 v11, v11, v19, s57
	v_perm_b32 v15, v8, v16, s56
	v_perm_b32 v19, v12, v20, s56
	v_perm_b32 v8, v8, v16, s57
	v_perm_b32 v12, v12, v20, s57
	v_perm_b32 v16, v9, v17, s56
	v_perm_b32 v20, v13, v21, s56
	v_perm_b32 v9, v9, v17, s57
	v_perm_b32 v13, v13, v21, s57
	ds_write2st64_b32 v4, v29, v30 offset1:32
	ds_write2st64_b32 v5, v6, v10 offset1:32
	ds_write2st64_b32 v22, v14, v18 offset0:1 offset1:33
	ds_write2st64_b32 v23, v7, v11 offset0:1 offset1:33
	;; [unrolled: 1-line block ×6, first 2 shown]
	v_lshrrev_b32_e32 v5, 5, v40
	v_and_or_b32 v5, v25, s3, v5
	v_lshlrev_b32_e32 v5, 4, v5
	v_lshlrev_b32_e32 v10, 11, v41
	v_and_b32_e32 v6, 0x78, v25
	v_or_b32_e32 v9, 32, v5
	v_and_b32_e32 v4, 0x1000, v10
	v_xor_b32_e32 v7, v5, v6
	v_lshrrev_b32_e32 v11, 1, v0
	v_xor_b32_e32 v9, v9, v6
	v_or_b32_e32 v7, v7, v4
	v_and_b32_e32 v8, 8, v11
	v_or_b32_e32 v9, v9, v4
	v_xor_b32_e32 v66, v7, v8
	v_and_b32_e32 v7, 0x78, v44
	v_xor_b32_e32 v68, v9, v8
	v_or_b32_e32 v9, 64, v5
	v_or_b32_e32 v5, 0x60, v5
	v_lshl_or_b32 v7, v42, 7, v7
	v_xor_b32_e32 v9, v9, v6
	v_xor_b32_e32 v5, v5, v6
	v_or_b32_e32 v67, 0x9000, v7
	v_or_b32_e32 v9, v9, v4
	;; [unrolled: 1-line block ×4, first 2 shown]
	v_lshrrev_b32_e32 v6, 4, v0
	v_lshlrev_b32_e32 v7, 1, v43
	v_xor_b32_e32 v69, v9, v8
	v_xor_b32_e32 v70, v4, v8
	s_ashr_i32 s3, s2, 31
	v_or_b32_e32 v8, 1, v7
	v_xor_b32_e32 v7, v6, v7
	s_lshl_b64 s[20:21], s[2:3], 8
	v_xor_b32_e32 v8, v8, v6
	v_lshlrev_b32_e32 v7, 3, v7
	v_lshlrev_b32_e32 v6, 8, v6
	v_lshl_add_u64 v[4:5], v[34:35], 1, s[8:9]
	s_add_u32 s20, s18, s20
	v_or3_b32 v35, v7, v6, s22
	v_lshlrev_b32_e32 v7, 3, v8
	s_addc_u32 s21, s19, s21
	v_or3_b32 v72, v7, v6, s22
	v_mov_b32_e32 v7, 0
	v_lshl_add_u64 v[8:9], s[20:21], 0, v[6:7]
	v_lshlrev_b32_e32 v6, 4, v43
	s_movk_i32 s3, 0xff
	v_lshlrev_b32_e32 v15, 3, v41
	v_and_b32_e32 v11, 24, v11
	v_lshl_add_u64 v[36:37], v[8:9], 0, v[6:7]
	v_and_b32_e32 v8, 8, v0
	v_cmp_lt_u32_e32 vcc, s3, v0
	v_xor_b32_e32 v16, v15, v11
	v_or_b32_e32 v17, 0x440, v16
	v_cndmask_b32_e64 v14, 0, 1, vcc
	v_cmp_eq_u32_e32 vcc, 0, v8
	v_and_b32_e32 v6, 7, v0
	v_lshlrev_b32_e32 v9, 3, v6
	v_cndmask_b32_e32 v8, v17, v16, vcc
	v_lshlrev_b32_e32 v6, 7, v6
	v_or_b32_e32 v8, v8, v10
	v_xad_u32 v73, v8, v9, v6
	v_or_b32_e32 v8, 32, v11
	v_xor_b32_e32 v8, v15, v8
	v_or_b32_e32 v16, 0x440, v8
	v_cndmask_b32_e32 v8, v16, v8, vcc
	v_or_b32_e32 v8, v8, v10
	v_xad_u32 v74, v8, v9, v6
	v_or_b32_e32 v8, 64, v11
	v_xor_b32_e32 v8, v15, v8
	v_xor_b32_e32 v16, 0x440, v8
	v_cndmask_b32_e32 v8, v16, v8, vcc
	v_or_b32_e32 v8, v8, v10
	v_xad_u32 v75, v8, v9, v6
	v_or_b32_e32 v8, 0x60, v11
	v_xor_b32_e32 v8, v15, v8
	v_xor_b32_e32 v11, 0x440, v8
	v_cndmask_b32_e32 v8, v11, v8, vcc
	v_or_b32_e32 v8, v8, v10
	v_lshlrev_b32_e32 v12, 1, v3
	v_add_lshl_u32 v3, v3, s15, 1
	v_or_b32_e32 v13, 0x100, v2
	v_lshlrev_b32_e32 v14, 13, v14
	v_xad_u32 v76, v8, v9, v6
	v_lshlrev_b32_e32 v6, 8, v46
	v_cndmask_b32_e64 v77, v12, v2, s[0:1]
	v_cndmask_b32_e64 v78, v3, v13, s[0:1]
	v_lshl_add_u64 v[38:39], v[4:5], 0, v[6:7]
	s_mov_b32 s3, 0x7060302
	s_movk_i32 s22, 0x4000
	v_add_u32_e32 v79, v14, v73
	v_add_u32_e32 v80, v14, v74
	;; [unrolled: 1-line block ×4, first 2 shown]
	s_waitcnt lgkmcnt(0)
	s_barrier
.LBB548_32:                             ; =>This Inner Loop Header: Depth=1
	s_add_i32 s35, s58, 1
	s_cmp_lt_i32 s35, s46
	s_mov_b64 s[24:25], 0
	s_cselect_b64 s[38:39], -1, 0
	s_cmp_ge_i32 s35, s46
	s_mov_b64 s[20:21], 0
	s_cbranch_scc1 .LBB548_34
; %bb.33:                               ;   in Loop: Header=BB548_32 Depth=1
	s_add_i32 s0, s53, 64
	s_ashr_i32 s1, s0, 31
	s_add_u32 s0, s51, s0
	s_addc_u32 s1, s50, s1
	s_lshl_b64 s[0:1], s[0:1], 8
	s_add_u32 s20, s6, s0
	s_addc_u32 s21, s7, s1
.LBB548_34:                             ;   in Loop: Header=BB548_32 Depth=1
	v_cndmask_b32_e64 v2, 0, 1, s[38:39]
	v_cmp_ne_u32_e64 s[0:1], 1, v2
	s_andn2_b64 vcc, exec, s[38:39]
	s_cbranch_vccnz .LBB548_36
; %bb.35:                               ;   in Loop: Header=BB548_32 Depth=1
	s_add_i32 s24, s53, 64
	s_mul_hi_i32 s25, s24, s14
	s_mul_i32 s24, s24, s14
	s_add_u32 s24, s24, s49
	s_addc_u32 s25, s25, s54
	s_lshl_b64 s[24:25], s[24:25], 8
	s_add_u32 s24, s4, s24
	s_addc_u32 s25, s5, s25
.LBB548_36:                             ;   in Loop: Header=BB548_32 Depth=1
	v_perm_b32 v3, v54, v52, s3
	v_perm_b32 v2, v48, v50, s3
	v_perm_b32 v5, v55, v53, s3
	v_perm_b32 v4, v49, v51, s3
	ds_write_b64 v62, v[2:3]
	ds_write_b64 v63, v[4:5]
	;; [unrolled: 1-line block ×4, first 2 shown]
	s_waitcnt lgkmcnt(0)
	s_barrier
	ds_read_b64 v[10:11], v66 offset:16384
	ds_read_b64 v[12:13], v68 offset:16384
	ds_read2st64_b64 v[2:5], v67 offset1:1
	s_waitcnt lgkmcnt(0)
	v_mfma_f32_16x16x16_bf16 a[0:3], v[10:11], v[2:3], 0
	ds_read2st64_b64 v[6:9], v67 offset0:2 offset1:3
	ds_read_b64 v[14:15], v69 offset:16384
	ds_read_b64 v[2:3], v70 offset:16384
	s_add_i32 s27, s53, 63
	v_mfma_f32_16x16x16_bf16 a[0:3], v[12:13], v[4:5], a[0:3]
	s_ashr_i32 s37, s27, 31
	s_mul_i32 s38, s27, s29
	s_mul_hi_u32 s39, s27, s28
	s_waitcnt lgkmcnt(1)
	v_mfma_f32_16x16x16_bf16 a[0:3], v[14:15], v[6:7], a[0:3]
	s_add_i32 s38, s39, s38
	s_mul_i32 s37, s37, s28
	s_add_i32 s39, s38, s37
	s_mul_i32 s38, s27, s28
	s_waitcnt lgkmcnt(0)
	v_mfma_f32_16x16x16_bf16 a[0:3], v[2:3], v[8:9], a[0:3]
	s_lshl_b64 s[38:39], s[38:39], 2
	s_add_u32 s38, s16, s38
	s_addc_u32 s39, s17, s39
	s_and_b64 vcc, exec, s[0:1]
	v_mov_b32_e32 v85, 0
	v_mov_b32_e32 v84, 0
	;; [unrolled: 1-line block ×19, first 2 shown]
	s_cbranch_vccnz .LBB548_38
; %bb.37:                               ;   in Loop: Header=BB548_32 Depth=1
	s_and_b32 s21, s21, 0xffff
	buffer_load_dwordx4 v[14:17], v58, s[20:23], 0 offen
	buffer_load_dwordx4 v[10:13], v58, s[20:23], s55 offen
	;; [unrolled: 1-line block ×4, first 2 shown]
	v_mov_b32_e32 v84, v60
	v_mov_b32_e32 v83, v61
.LBB548_38:                             ;   in Loop: Header=BB548_32 Depth=1
	s_waitcnt vmcnt(3)
	v_add_u32_e32 v22, s53, v46
	s_waitcnt vmcnt(1)
	v_ashrrev_i32_e32 v18, 31, v22
	v_mul_lo_u32 v20, v18, s28
	v_mul_lo_u32 v21, v22, s29
	v_mad_u64_u32 v[18:19], s[20:21], v22, s28, 0
	v_add3_u32 v19, v19, v21, v20
	v_lshl_add_u64 v[18:19], v[18:19], 2, s[16:17]
	global_load_dword v87, v[18:19], off
	v_add_u32_e32 v18, 1, v22
	v_ashrrev_i32_e32 v19, 31, v18
	v_mul_lo_u32 v20, v19, s28
	v_mul_lo_u32 v21, v18, s29
	v_mad_u64_u32 v[18:19], s[20:21], v18, s28, 0
	v_add3_u32 v19, v19, v21, v20
	v_add_u32_e32 v20, 2, v22
	v_ashrrev_i32_e32 v21, 31, v20
	v_mul_lo_u32 v23, v21, s28
	v_mul_lo_u32 v24, v20, s29
	v_mad_u64_u32 v[20:21], s[20:21], v20, s28, 0
	v_add_u32_e32 v22, 3, v22
	v_add3_u32 v21, v21, v24, v23
	v_ashrrev_i32_e32 v23, 31, v22
	v_mul_lo_u32 v26, v23, s28
	v_mul_lo_u32 v27, v22, s29
	v_mad_u64_u32 v[22:23], s[20:21], v22, s28, 0
	s_ashr_i32 s21, s53, 31
	s_add_u32 s20, s51, s53
	s_addc_u32 s21, s50, s21
	s_lshl_b64 s[20:21], s[20:21], 8
	v_lshl_add_u64 v[18:19], v[18:19], 2, s[16:17]
	v_lshl_add_u64 v[24:25], v[38:39], 0, s[20:21]
	v_add3_u32 v23, v23, v27, v26
	v_lshl_add_u64 v[20:21], v[20:21], 2, s[16:17]
	global_load_ushort v94, v[24:25], off
	global_load_ushort v95, v[24:25], off offset:256
	global_load_ushort v96, v[24:25], off offset:512
	;; [unrolled: 1-line block ×3, first 2 shown]
	v_lshl_add_u64 v[22:23], v[22:23], 2, s[16:17]
	global_load_dword v98, v[18:19], off
	global_load_dword v99, v[20:21], off
	;; [unrolled: 1-line block ×3, first 2 shown]
	s_load_dword s20, s[38:39], 0x0
	ds_read2st64_b64 v[26:29], v71 offset1:1
	ds_read2st64_b64 v[30:33], v71 offset0:2 offset1:3
	ds_read_b64 v[24:25], v66 offset:24576
	ds_read_b64 v[88:89], v68 offset:24576
	;; [unrolled: 1-line block ×4, first 2 shown]
	s_waitcnt lgkmcnt(0)
	v_mfma_f32_16x16x16_bf16 a[0:3], v[24:25], v[26:27], a[0:3]
	v_mov_b32_e32 v86, 0
	v_mov_b32_e32 v18, 0
	v_mov_b32_e32 v19, 0
	v_mfma_f32_16x16x16_bf16 a[0:3], v[88:89], v[28:29], a[0:3]
	v_mov_b32_e32 v20, 0
	v_mov_b32_e32 v21, 0
	v_mov_b32_e32 v22, 0
	;; [unrolled: 4-line block ×4, first 2 shown]
	v_mov_b32_e32 v29, 0
	v_mov_b32_e32 v30, 0
	v_mov_b32_e32 v31, 0
	s_and_b64 vcc, exec, s[0:1]
	v_accvgpr_read_b32 v89, a1
	v_accvgpr_read_b32 v33, a3
	;; [unrolled: 1-line block ×4, first 2 shown]
	s_waitcnt vmcnt(7)
	v_sub_f32_e32 v87, s20, v87
	s_waitcnt vmcnt(6)
	v_lshlrev_b32_e32 v90, 16, v94
	v_exp_f32_e32 v94, v87
	s_waitcnt vmcnt(4)
	v_lshlrev_b32_e32 v92, 16, v96
	s_waitcnt vmcnt(3)
	v_lshlrev_b32_e32 v93, 16, v97
	s_waitcnt vmcnt(2)
	v_sub_f32_e32 v87, s20, v98
	s_waitcnt vmcnt(1)
	v_sub_f32_e32 v96, s20, v99
	;; [unrolled: 2-line block ×3, first 2 shown]
	v_lshlrev_b32_e32 v91, 16, v95
	v_exp_f32_e32 v95, v87
	v_exp_f32_e32 v96, v96
	;; [unrolled: 1-line block ×3, first 2 shown]
	v_pk_add_f32 v[88:89], v[90:91], v[88:89] neg_lo:[0,1] neg_hi:[0,1]
	v_pk_add_f32 v[32:33], v[92:93], v[32:33] neg_lo:[0,1] neg_hi:[0,1]
	v_pk_mul_f32 v[88:89], v[94:95], v[88:89]
	v_pk_mul_f32 v[32:33], v[96:97], v[32:33]
	s_nop 0
	v_perm_b32 v33, v33, v32, s3
	v_perm_b32 v32, v89, v88, s3
	ds_write_b64 v63, v[32:33]
	v_mov_b32_e32 v32, 0
	v_mov_b32_e32 v33, 0
	s_cbranch_vccnz .LBB548_40
; %bb.39:                               ;   in Loop: Header=BB548_32 Depth=1
	s_and_b32 s25, s25, 0xffff
	s_mov_b32 s27, s23
	buffer_load_dwordx4 v[30:33], v77, s[24:27], 0 offen
	buffer_load_dwordx4 v[22:25], v77, s[24:27], s55 offen
	buffer_load_dwordx4 v[26:29], v78, s[24:27], 0 offen
	buffer_load_dwordx4 v[18:21], v78, s[24:27], s55 offen
	v_mov_b32_e32 v85, v57
	v_mov_b32_e32 v86, v56
.LBB548_40:                             ;   in Loop: Header=BB548_32 Depth=1
	s_waitcnt lgkmcnt(0)
	s_barrier
	ds_read_b64 v[96:97], v79
	ds_read2st64_b64 v[88:91], v71 offset1:1
	ds_read2st64_b64 v[92:95], v71 offset0:2 offset1:3
	ds_read_b64 v[98:99], v80
	ds_read_b64 v[100:101], v81
	;; [unrolled: 1-line block ×3, first 2 shown]
	s_waitcnt lgkmcnt(4)
	v_mfma_f32_16x16x16_bf16 a[0:3], v[96:97], v[88:89], 0
	ds_read_b64 v[96:97], v73 offset:8192
	ds_read_b64 v[104:105], v74 offset:8192
	s_add_i32 s21, s52, s58
	s_mul_hi_i32 s25, s21, s13
	s_waitcnt lgkmcnt(1)
	v_mfma_f32_16x16x16_bf16 a[4:7], v[96:97], v[88:89], 0
	s_mul_i32 s21, s21, s13
	s_add_u32 s24, s21, s45
	s_addc_u32 s25, s25, s47
	v_mfma_f32_16x16x16_bf16 a[0:3], v[98:99], v[90:91], a[0:3]
	ds_read_b64 v[96:97], v35
	ds_read_b64 v[98:99], v72
	ds_read_b64 v[88:89], v75 offset:8192
	s_lshl_b64 s[24:25], s[24:25], 15
	v_mfma_f32_16x16x16_bf16 a[0:3], v[100:101], v[92:93], a[0:3]
	ds_read_b64 v[100:101], v76 offset:8192
	s_and_b64 vcc, exec, s[0:1]
	s_waitcnt lgkmcnt(4)
	v_mfma_f32_16x16x16_bf16 a[4:7], v[104:105], v[90:91], a[4:7]
	s_waitcnt lgkmcnt(1)
	v_mfma_f32_16x16x16_bf16 a[4:7], v[88:89], v[92:93], a[4:7]
	v_lshl_add_u64 v[88:89], v[36:37], 0, s[24:25]
	global_store_dwordx4 v[88:89], v[96:99], off
	v_mfma_f32_16x16x16_bf16 a[0:3], v[102:103], v[94:95], a[0:3]
	s_waitcnt lgkmcnt(0)
	v_mfma_f32_16x16x16_bf16 a[4:7], v[100:101], v[94:95], a[4:7]
	s_cbranch_vccnz .LBB548_42
; %bb.41:                               ;   in Loop: Header=BB548_32 Depth=1
	v_lshrrev_b32_e32 v87, 3, v85
	v_and_b32_e32 v87, 6, v87
	v_xor_b32_e32 v86, v87, v86
	v_lshlrev_b32_e32 v86, 2, v86
	v_and_b32_e32 v85, 8, v85
	v_xor_b32_e32 v88, 0x440, v86
	v_cmp_eq_u32_e32 vcc, 0, v85
	s_barrier
	s_nop 0
	v_cndmask_b32_e32 v85, v88, v86, vcc
	v_lshl_or_b32 v85, v87, 10, v85
	s_waitcnt vmcnt(2)
	v_perm_b32 v86, v30, v26, s56
	s_waitcnt vmcnt(1)
	v_perm_b32 v87, v22, v18, s56
	ds_write2st64_b32 v85, v86, v87 offset1:32
	v_xor_b32_e32 v86, 8, v85
	v_perm_b32 v26, v30, v26, s57
	v_perm_b32 v18, v22, v18, s57
	v_add_u32_e32 v22, 0x80, v86
	ds_write2st64_b32 v22, v26, v18 offset1:32
	v_xor_b32_e32 v18, 16, v85
	v_perm_b32 v22, v31, v27, s56
	v_perm_b32 v26, v23, v19, s56
	ds_write2st64_b32 v18, v22, v26 offset0:1 offset1:33
	v_xor_b32_e32 v18, 24, v85
	v_perm_b32 v22, v31, v27, s57
	v_perm_b32 v19, v23, v19, s57
	v_add_u32_e32 v18, 0x80, v18
	ds_write2st64_b32 v18, v22, v19 offset0:1 offset1:33
	v_xor_b32_e32 v18, 32, v85
	v_perm_b32 v19, v32, v28, s56
	v_perm_b32 v22, v24, v20, s56
	ds_write2st64_b32 v18, v19, v22 offset0:2 offset1:34
	v_xor_b32_e32 v18, 40, v85
	v_perm_b32 v19, v32, v28, s57
	v_perm_b32 v20, v24, v20, s57
	v_add_u32_e32 v18, 0x80, v18
	ds_write2st64_b32 v18, v19, v20 offset0:2 offset1:34
	;; [unrolled: 9-line block ×3, first 2 shown]
	ds_write_b64 v84, v[14:15] offset:16384
	v_xor_b32_e32 v14, 8, v84
	ds_write_b64 v14, v[16:17] offset:16384
	ds_write_b64 v84, v[10:11] offset:24576
	;; [unrolled: 1-line block ×4, first 2 shown]
	v_xor_b32_e32 v6, 8, v83
	ds_write_b64 v6, v[8:9] offset:16384
	ds_write_b64 v83, v[2:3] offset:24576
	;; [unrolled: 1-line block ×3, first 2 shown]
.LBB548_42:                             ;   in Loop: Header=BB548_32 Depth=1
	v_exp_f32_e32 v4, s20
	s_nop 2
	v_accvgpr_read_b32 v2, a0
	v_accvgpr_read_b32 v3, a1
	s_add_i32 s53, s53, 64
	v_fma_f32 v50, v50, v4, v2
	v_accvgpr_read_b32 v2, a2
	v_fma_f32 v52, v52, v4, v2
	v_accvgpr_read_b32 v2, a4
	v_fma_f32 v51, v51, v4, v2
	v_accvgpr_read_b32 v2, a5
	v_fma_f32 v49, v49, v4, v2
	v_accvgpr_read_b32 v2, a6
	v_fma_f32 v48, v48, v4, v3
	v_accvgpr_read_b32 v3, a3
	v_fma_f32 v53, v53, v4, v2
	v_accvgpr_read_b32 v2, a7
	v_fmac_f32_e32 v3, v54, v4
	s_cmp_eq_u32 s46, s35
	v_fmac_f32_e32 v2, v55, v4
	s_cbranch_scc1 .LBB548_4
; %bb.43:                               ;   in Loop: Header=BB548_32 Depth=1
	s_mov_b32 s58, s35
	v_mov_b32_e32 v54, v3
	v_mov_b32_e32 v55, v2
	s_branch .LBB548_32
.LBB548_44:
                                        ; implicit-def: $vgpr5
                                        ; implicit-def: $vgpr9
                                        ; implicit-def: $vgpr13
                                        ; implicit-def: $vgpr17
	s_cbranch_execz .LBB548_46
; %bb.45:
	s_waitcnt vmcnt(0)
	v_mad_u64_u32 v[2:3], s[0:1], v20, s15, v[18:19]
	v_lshlrev_b32_e32 v20, 1, v2
	s_lshl_b32 s2, s15, 7
	s_and_b32 s1, s5, 0xffff
	s_mov_b32 s3, 0x20000
	s_mov_b32 s0, s4
	v_add_lshl_u32 v21, v2, s15, 1
	s_movk_i32 s13, 0x80
	buffer_load_dwordx4 v[2:5], v20, s[0:3], 0 offen
	buffer_load_dwordx4 v[10:13], v20, s[0:3], s13 offen
	;; [unrolled: 1-line block ×4, first 2 shown]
.LBB548_46:
	v_lshrrev_b32_e32 v38, 2, v40
	s_cbranch_execnz .LBB548_59
.LBB548_47:
	s_and_b64 vcc, exec, s[6:7]
	s_cbranch_vccz .LBB548_57
; %bb.48:
	s_waitcnt vmcnt(0)
	v_lshlrev_b32_e32 v7, 1, v35
	v_cmp_gt_i32_e32 vcc, s27, v7
	v_mov_b32_e32 v6, 0
	v_lshlrev_b32_e32 v14, 9, v35
	v_mov_b32_e32 v2, 0
	v_mov_b32_e32 v3, 0
	;; [unrolled: 1-line block ×4, first 2 shown]
	s_and_saveexec_b64 s[0:1], vcc
	s_cbranch_execz .LBB548_50
; %bb.49:
	v_mov_b32_e32 v15, 0
	v_lshl_add_u64 v[2:3], s[4:5], 0, v[14:15]
	v_lshlrev_b32_e32 v4, 1, v18
	v_mov_b32_e32 v5, v15
	v_lshl_add_u64 v[2:3], v[2:3], 0, v[4:5]
	global_load_dwordx4 v[2:5], v[2:3], off
.LBB548_50:
	s_or_b64 exec, exec, s[0:1]
	v_or_b32_e32 v7, 1, v7
	v_cmp_gt_i32_e64 s[0:1], s27, v7
	v_lshlrev_b32_e32 v20, 8, v7
	v_mov_b32_e32 v7, 0
	v_mov_b32_e32 v8, 0
	v_mov_b32_e32 v9, 0
	s_and_saveexec_b64 s[2:3], s[0:1]
	s_cbranch_execz .LBB548_52
; %bb.51:
	v_mov_b32_e32 v21, 0
	v_lshl_add_u64 v[6:7], s[4:5], 0, v[20:21]
	v_lshlrev_b32_e32 v8, 1, v18
	v_mov_b32_e32 v9, v21
	v_lshl_add_u64 v[6:7], v[6:7], 0, v[8:9]
	global_load_dwordx4 v[6:9], v[6:7], off
.LBB548_52:
	s_or_b64 exec, exec, s[2:3]
	v_mov_b32_e32 v17, 0
	v_mov_b32_e32 v10, 0
	;; [unrolled: 1-line block ×5, first 2 shown]
	s_and_saveexec_b64 s[2:3], vcc
	s_cbranch_execz .LBB548_54
; %bb.53:
	v_mov_b32_e32 v15, 0
	v_lshl_add_u64 v[10:11], s[4:5], 0, v[14:15]
	v_lshlrev_b32_e32 v14, 1, v18
	v_lshl_add_u64 v[10:11], v[10:11], 0, v[14:15]
	global_load_dwordx4 v[10:13], v[10:11], off offset:128
.LBB548_54:
	s_or_b64 exec, exec, s[2:3]
	v_mov_b32_e32 v16, 0
	v_mov_b32_e32 v15, 0
	;; [unrolled: 1-line block ×3, first 2 shown]
	s_and_saveexec_b64 s[2:3], s[0:1]
	s_cbranch_execz .LBB548_56
; %bb.55:
	v_mov_b32_e32 v21, 0
	v_lshl_add_u64 v[14:15], s[4:5], 0, v[20:21]
	v_lshlrev_b32_e32 v20, 1, v18
	v_lshl_add_u64 v[14:15], v[14:15], 0, v[20:21]
	global_load_dwordx4 v[14:17], v[14:15], off offset:128
.LBB548_56:
	s_or_b64 exec, exec, s[2:3]
	s_branch .LBB548_59
.LBB548_57:
                                        ; implicit-def: $vgpr5
                                        ; implicit-def: $vgpr9
                                        ; implicit-def: $vgpr13
                                        ; implicit-def: $vgpr17
	s_cbranch_execz .LBB548_59
; %bb.58:
	s_waitcnt vmcnt(0)
	v_lshlrev_b32_e32 v2, 1, v18
	v_lshl_or_b32 v18, v35, 9, v2
	s_and_b32 s5, s5, 0xffff
	s_mov_b32 s7, 0x20000
	s_movk_i32 s6, 0x4000
	s_movk_i32 s0, 0x80
	buffer_load_dwordx4 v[2:5], v18, s[4:7], 0 offen
	buffer_load_dwordx4 v[6:9], v18, s[4:7], 0 offen offset:256
	buffer_load_dwordx4 v[10:13], v18, s[4:7], s0 offen
	buffer_load_dwordx4 v[14:17], v18, s[4:7], s0 offen offset:256
.LBB548_59:
	ds_read2st64_b64 v[22:25], v19 offset0:76 offset1:77
	ds_read2st64_b64 v[18:21], v19 offset0:78 offset1:79
	ds_read_b64 v[30:31], v26 offset:24576
	ds_read_b64 v[32:33], v27 offset:24576
	;; [unrolled: 1-line block ×4, first 2 shown]
	v_and_b32_e32 v37, 6, v0
	v_xor_b32_e32 v35, v35, v37
	v_lshlrev_b32_e32 v35, 2, v35
	v_and_b32_e32 v0, 1, v0
	v_xor_b32_e32 v39, 0x440, v35
	v_cmp_eq_u32_e32 vcc, 0, v0
	s_mov_b32 s0, 0x1000504
	s_mov_b32 s1, 0x3020706
	v_cndmask_b32_e32 v0, v39, v35, vcc
	v_lshl_or_b32 v0, v37, 10, v0
	s_waitcnt vmcnt(0)
	v_perm_b32 v35, v2, v6, s0
	v_perm_b32 v37, v10, v14, s0
	ds_write2st64_b32 v0, v35, v37 offset1:32
	v_xor_b32_e32 v35, 8, v0
	v_perm_b32 v2, v2, v6, s1
	v_perm_b32 v6, v10, v14, s1
	v_add_u32_e32 v10, 0x80, v35
	ds_write2st64_b32 v10, v2, v6 offset1:32
	v_xor_b32_e32 v2, 16, v0
	v_perm_b32 v6, v3, v7, s0
	v_perm_b32 v10, v11, v15, s0
	ds_write2st64_b32 v2, v6, v10 offset0:1 offset1:33
	v_xor_b32_e32 v2, 24, v0
	v_perm_b32 v3, v3, v7, s1
	v_perm_b32 v6, v11, v15, s1
	v_add_u32_e32 v2, 0x80, v2
	ds_write2st64_b32 v2, v3, v6 offset0:1 offset1:33
	v_xor_b32_e32 v2, 32, v0
	v_perm_b32 v3, v4, v8, s0
	v_perm_b32 v6, v12, v16, s0
	ds_write2st64_b32 v2, v3, v6 offset0:2 offset1:34
	v_xor_b32_e32 v2, 40, v0
	v_perm_b32 v3, v4, v8, s1
	v_perm_b32 v4, v12, v16, s1
	v_add_u32_e32 v2, 0x80, v2
	ds_write2st64_b32 v2, v3, v4 offset0:2 offset1:34
	v_xor_b32_e32 v2, 48, v0
	v_perm_b32 v3, v5, v9, s0
	v_perm_b32 v4, v13, v17, s0
	v_xor_b32_e32 v0, 56, v0
	v_and_or_b32 v6, v38, 12, v1
	ds_write2st64_b32 v2, v3, v4 offset0:3 offset1:35
	v_perm_b32 v2, v5, v9, s1
	v_perm_b32 v3, v13, v17, s1
	v_add_u32_e32 v0, 0x80, v0
	v_cmp_gt_i32_e32 vcc, s27, v6
	v_mov_b32_e32 v7, 0
	v_mov_b32_e32 v11, 0
	ds_write2st64_b32 v0, v2, v3 offset0:3 offset1:35
	s_and_saveexec_b64 s[0:1], vcc
	s_cbranch_execz .LBB548_61
; %bb.60:
	v_add_u32_e32 v0, s26, v6
	v_ashrrev_i32_e32 v1, 31, v0
	v_mul_lo_u32 v2, v1, s28
	v_mul_lo_u32 v3, v0, s29
	v_mad_u64_u32 v[0:1], s[2:3], v0, s28, 0
	v_add3_u32 v1, v1, v3, v2
	v_lshl_add_u64 v[0:1], v[0:1], 2, s[10:11]
	global_load_dword v0, v[0:1], off
	s_waitcnt vmcnt(0)
	v_sub_f32_e32 v0, s12, v0
	v_exp_f32_e32 v11, v0
.LBB548_61:
	s_or_b64 exec, exec, s[0:1]
	v_or_b32_e32 v9, 1, v6
	v_cmp_gt_i32_e64 s[0:1], s27, v9
	s_and_saveexec_b64 s[2:3], s[0:1]
	s_cbranch_execz .LBB548_63
; %bb.62:
	v_add_u32_e32 v0, s26, v9
	v_ashrrev_i32_e32 v1, 31, v0
	v_mul_lo_u32 v2, v1, s28
	v_mul_lo_u32 v3, v0, s29
	v_mad_u64_u32 v[0:1], s[4:5], v0, s28, 0
	v_add3_u32 v1, v1, v3, v2
	v_lshl_add_u64 v[0:1], v[0:1], 2, s[10:11]
	global_load_dword v0, v[0:1], off
	s_waitcnt vmcnt(0)
	v_sub_f32_e32 v0, s12, v0
	v_exp_f32_e32 v7, v0
.LBB548_63:
	s_or_b64 exec, exec, s[2:3]
	v_or_b32_e32 v10, 2, v6
	v_cmp_gt_i32_e64 s[2:3], s27, v10
	v_mov_b32_e32 v8, 0
	v_mov_b32_e32 v13, 0
	s_and_saveexec_b64 s[4:5], s[2:3]
	s_cbranch_execz .LBB548_65
; %bb.64:
	v_add_u32_e32 v0, s26, v10
	v_ashrrev_i32_e32 v1, 31, v0
	v_mul_lo_u32 v2, v1, s28
	v_mul_lo_u32 v3, v0, s29
	v_mad_u64_u32 v[0:1], s[6:7], v0, s28, 0
	v_add3_u32 v1, v1, v3, v2
	v_lshl_add_u64 v[0:1], v[0:1], 2, s[10:11]
	global_load_dword v0, v[0:1], off
	s_waitcnt vmcnt(0)
	v_sub_f32_e32 v0, s12, v0
	v_exp_f32_e32 v13, v0
.LBB548_65:
	s_or_b64 exec, exec, s[4:5]
	v_or_b32_e32 v12, 3, v6
	v_cmp_gt_i32_e64 s[4:5], s27, v12
	s_and_saveexec_b64 s[6:7], s[4:5]
	s_cbranch_execz .LBB548_67
; %bb.66:
	v_add_u32_e32 v0, s26, v12
	v_ashrrev_i32_e32 v1, 31, v0
	v_mul_lo_u32 v2, v1, s28
	v_mul_lo_u32 v3, v0, s29
	v_mad_u64_u32 v[0:1], s[14:15], v0, s28, 0
	v_add3_u32 v1, v1, v3, v2
	v_lshl_add_u64 v[0:1], v[0:1], 2, s[10:11]
	global_load_dword v0, v[0:1], off
	s_waitcnt vmcnt(0)
	v_sub_f32_e32 v0, s12, v0
	v_exp_f32_e32 v8, v0
.LBB548_67:
	s_or_b64 exec, exec, s[6:7]
	s_waitcnt lgkmcnt(11)
	v_mfma_f32_16x16x16_bf16 a[0:3], v[30:31], v[22:23], a[0:3]
	s_add_u32 s6, s8, s20
	v_ashrrev_i32_e32 v35, 31, v34
	s_addc_u32 s7, s9, s21
	s_waitcnt lgkmcnt(10)
	v_mfma_f32_16x16x16_bf16 a[0:3], v[32:33], v[24:25], a[0:3]
	v_mov_b32_e32 v14, 0
	v_lshl_add_u64 v[4:5], v[34:35], 1, s[6:7]
	v_mov_b32_e32 v15, 0
	s_waitcnt lgkmcnt(9)
	v_mfma_f32_16x16x16_bf16 a[0:3], v[28:29], v[18:19], a[0:3]
	s_waitcnt lgkmcnt(8)
	v_mfma_f32_16x16x16_bf16 a[0:3], v[26:27], v[20:21], a[0:3]
	s_nop 6
	v_accvgpr_read_b32 v0, a0
	v_accvgpr_read_b32 v1, a1
	;; [unrolled: 1-line block ×4, first 2 shown]
	s_and_saveexec_b64 s[6:7], vcc
	s_cbranch_execz .LBB548_69
; %bb.68:
	v_lshlrev_b32_e32 v16, 8, v6
	v_mov_b32_e32 v17, 0
	v_lshl_add_u64 v[16:17], v[4:5], 0, v[16:17]
	global_load_ushort v15, v[16:17], off
	s_waitcnt vmcnt(0)
	v_lshlrev_b32_e32 v15, 16, v15
	v_sub_f32_e32 v0, v15, v0
	v_mul_f32_e32 v0, v11, v0
	v_lshrrev_b32_e32 v15, 16, v0
.LBB548_69:
	s_or_b64 exec, exec, s[6:7]
	s_and_saveexec_b64 s[6:7], s[0:1]
	s_cbranch_execz .LBB548_71
; %bb.70:
	v_lshlrev_b32_e32 v16, 8, v9
	v_mov_b32_e32 v17, 0
	v_lshl_add_u64 v[16:17], v[4:5], 0, v[16:17]
	global_load_ushort v0, v[16:17], off
	s_waitcnt vmcnt(0)
	v_lshlrev_b32_e32 v0, 16, v0
	v_sub_f32_e32 v0, v0, v1
	v_mul_f32_e32 v0, v7, v0
	v_lshrrev_b32_e32 v14, 16, v0
.LBB548_71:
	s_or_b64 exec, exec, s[6:7]
	v_mov_b32_e32 v0, 0
	v_mov_b32_e32 v1, 0
	s_and_saveexec_b64 s[0:1], s[2:3]
	s_cbranch_execz .LBB548_73
; %bb.72:
	v_lshlrev_b32_e32 v10, 8, v10
	v_mov_b32_e32 v11, 0
	v_lshl_add_u64 v[10:11], v[4:5], 0, v[10:11]
	global_load_ushort v1, v[10:11], off
	s_waitcnt vmcnt(0)
	v_lshlrev_b32_e32 v1, 16, v1
	v_sub_f32_e32 v1, v1, v2
	v_mul_f32_e32 v1, v13, v1
	v_lshrrev_b32_e32 v1, 16, v1
.LBB548_73:
	s_or_b64 exec, exec, s[0:1]
	s_and_saveexec_b64 s[0:1], s[4:5]
	s_cbranch_execz .LBB548_75
; %bb.74:
	v_lshlrev_b32_e32 v10, 8, v12
	v_mov_b32_e32 v11, 0
	v_lshl_add_u64 v[4:5], v[4:5], 0, v[10:11]
	global_load_ushort v0, v[4:5], off
	s_waitcnt vmcnt(0)
	v_lshlrev_b32_e32 v0, 16, v0
	v_sub_f32_e32 v0, v0, v3
	v_mul_f32_e32 v0, v8, v0
	v_lshrrev_b32_e32 v0, 16, v0
.LBB548_75:
	s_or_b64 exec, exec, s[0:1]
	s_mov_b32 s0, 0x5040100
	v_lshlrev_b32_e32 v2, 1, v36
	v_perm_b32 v1, v0, v1, s0
	v_perm_b32 v0, v14, v15, s0
	v_lshl_or_b32 v2, v6, 5, v2
	ds_write_b64 v2, v[0:1] offset:38912
	s_waitcnt lgkmcnt(0)
	s_barrier
.LBB548_76:
	s_endpgm
	.section	.rodata,"a",@progbits
	.p2align	6, 0x0
	.amdhsa_kernel _ZN12_GLOBAL__N_139chunk_gated_delta_rule_fwd_h_hip_kernelILi16ELb1ELb0ELb0ELb1ELb1ELb0ELb1ELb1EEEvPK12hip_bfloat16S3_S3_PKfS5_PKvPS1_S8_PvPKiSB_iiiiilll
		.amdhsa_group_segment_fixed_size 40960
		.amdhsa_private_segment_fixed_size 0
		.amdhsa_kernarg_size 136
		.amdhsa_user_sgpr_count 2
		.amdhsa_user_sgpr_dispatch_ptr 0
		.amdhsa_user_sgpr_queue_ptr 0
		.amdhsa_user_sgpr_kernarg_segment_ptr 1
		.amdhsa_user_sgpr_dispatch_id 0
		.amdhsa_user_sgpr_kernarg_preload_length 0
		.amdhsa_user_sgpr_kernarg_preload_offset 0
		.amdhsa_user_sgpr_private_segment_size 0
		.amdhsa_uses_dynamic_stack 0
		.amdhsa_enable_private_segment 0
		.amdhsa_system_sgpr_workgroup_id_x 1
		.amdhsa_system_sgpr_workgroup_id_y 1
		.amdhsa_system_sgpr_workgroup_id_z 0
		.amdhsa_system_sgpr_workgroup_info 0
		.amdhsa_system_vgpr_workitem_id 0
		.amdhsa_next_free_vgpr 116
		.amdhsa_next_free_sgpr 59
		.amdhsa_accum_offset 108
		.amdhsa_reserve_vcc 1
		.amdhsa_float_round_mode_32 0
		.amdhsa_float_round_mode_16_64 0
		.amdhsa_float_denorm_mode_32 3
		.amdhsa_float_denorm_mode_16_64 3
		.amdhsa_dx10_clamp 1
		.amdhsa_ieee_mode 1
		.amdhsa_fp16_overflow 0
		.amdhsa_tg_split 0
		.amdhsa_exception_fp_ieee_invalid_op 0
		.amdhsa_exception_fp_denorm_src 0
		.amdhsa_exception_fp_ieee_div_zero 0
		.amdhsa_exception_fp_ieee_overflow 0
		.amdhsa_exception_fp_ieee_underflow 0
		.amdhsa_exception_fp_ieee_inexact 0
		.amdhsa_exception_int_div_zero 0
	.end_amdhsa_kernel
	.section	.text._ZN12_GLOBAL__N_139chunk_gated_delta_rule_fwd_h_hip_kernelILi16ELb1ELb0ELb0ELb1ELb1ELb0ELb1ELb1EEEvPK12hip_bfloat16S3_S3_PKfS5_PKvPS1_S8_PvPKiSB_iiiiilll,"axG",@progbits,_ZN12_GLOBAL__N_139chunk_gated_delta_rule_fwd_h_hip_kernelILi16ELb1ELb0ELb0ELb1ELb1ELb0ELb1ELb1EEEvPK12hip_bfloat16S3_S3_PKfS5_PKvPS1_S8_PvPKiSB_iiiiilll,comdat
.Lfunc_end548:
	.size	_ZN12_GLOBAL__N_139chunk_gated_delta_rule_fwd_h_hip_kernelILi16ELb1ELb0ELb0ELb1ELb1ELb0ELb1ELb1EEEvPK12hip_bfloat16S3_S3_PKfS5_PKvPS1_S8_PvPKiSB_iiiiilll, .Lfunc_end548-_ZN12_GLOBAL__N_139chunk_gated_delta_rule_fwd_h_hip_kernelILi16ELb1ELb0ELb0ELb1ELb1ELb0ELb1ELb1EEEvPK12hip_bfloat16S3_S3_PKfS5_PKvPS1_S8_PvPKiSB_iiiiilll
                                        ; -- End function
	.section	.AMDGPU.csdata,"",@progbits
; Kernel info:
; codeLenInByte = 7052
; NumSgprs: 65
; NumVgprs: 106
; NumAgprs: 8
; TotalNumVgprs: 116
; ScratchSize: 0
; MemoryBound: 0
; FloatMode: 240
; IeeeMode: 1
; LDSByteSize: 40960 bytes/workgroup (compile time only)
; SGPRBlocks: 8
; VGPRBlocks: 14
; NumSGPRsForWavesPerEU: 65
; NumVGPRsForWavesPerEU: 116
; AccumOffset: 108
; Occupancy: 1
; WaveLimiterHint : 1
; COMPUTE_PGM_RSRC2:SCRATCH_EN: 0
; COMPUTE_PGM_RSRC2:USER_SGPR: 2
; COMPUTE_PGM_RSRC2:TRAP_HANDLER: 0
; COMPUTE_PGM_RSRC2:TGID_X_EN: 1
; COMPUTE_PGM_RSRC2:TGID_Y_EN: 1
; COMPUTE_PGM_RSRC2:TGID_Z_EN: 0
; COMPUTE_PGM_RSRC2:TIDIG_COMP_CNT: 0
; COMPUTE_PGM_RSRC3_GFX90A:ACCUM_OFFSET: 26
; COMPUTE_PGM_RSRC3_GFX90A:TG_SPLIT: 0
	.section	.text._ZN12_GLOBAL__N_139chunk_gated_delta_rule_fwd_h_hip_kernelILi16ELb0ELb1ELb1ELb1ELb1ELb0ELb1ELb1EEEvPK12hip_bfloat16S3_S3_PKfS5_PKvPS1_S8_PvPKiSB_iiiiilll,"axG",@progbits,_ZN12_GLOBAL__N_139chunk_gated_delta_rule_fwd_h_hip_kernelILi16ELb0ELb1ELb1ELb1ELb1ELb0ELb1ELb1EEEvPK12hip_bfloat16S3_S3_PKfS5_PKvPS1_S8_PvPKiSB_iiiiilll,comdat
	.globl	_ZN12_GLOBAL__N_139chunk_gated_delta_rule_fwd_h_hip_kernelILi16ELb0ELb1ELb1ELb1ELb1ELb0ELb1ELb1EEEvPK12hip_bfloat16S3_S3_PKfS5_PKvPS1_S8_PvPKiSB_iiiiilll ; -- Begin function _ZN12_GLOBAL__N_139chunk_gated_delta_rule_fwd_h_hip_kernelILi16ELb0ELb1ELb1ELb1ELb1ELb0ELb1ELb1EEEvPK12hip_bfloat16S3_S3_PKfS5_PKvPS1_S8_PvPKiSB_iiiiilll
	.p2align	8
	.type	_ZN12_GLOBAL__N_139chunk_gated_delta_rule_fwd_h_hip_kernelILi16ELb0ELb1ELb1ELb1ELb1ELb0ELb1ELb1EEEvPK12hip_bfloat16S3_S3_PKfS5_PKvPS1_S8_PvPKiSB_iiiiilll,@function
_ZN12_GLOBAL__N_139chunk_gated_delta_rule_fwd_h_hip_kernelILi16ELb0ELb1ELb1ELb1ELb1ELb0ELb1ELb1EEEvPK12hip_bfloat16S3_S3_PKfS5_PKvPS1_S8_PvPKiSB_iiiiilll: ; @_ZN12_GLOBAL__N_139chunk_gated_delta_rule_fwd_h_hip_kernelILi16ELb0ELb1ELb1ELb1ELb1ELb0ELb1ELb1EEEvPK12hip_bfloat16S3_S3_PKfS5_PKvPS1_S8_PvPKiSB_iiiiilll
; %bb.0:
	s_load_dwordx4 s[20:23], s[0:1], 0x5c
	s_abs_i32 s27, s3
	s_ashr_i32 s26, s3, 31
	s_load_dwordx2 s[24:25], s[0:1], 0x50
	s_load_dwordx8 s[4:11], s[0:1], 0x30
	s_load_dwordx8 s[12:19], s[0:1], 0x0
	s_waitcnt lgkmcnt(0)
	s_abs_i32 s30, s21
	v_cvt_f32_u32_e32 v1, s30
	s_sub_i32 s28, 0, s30
	s_ashr_i32 s33, s21, 31
	s_xor_b32 s26, s26, s33
	v_rcp_iflag_f32_e32 v1, v1
	v_lshrrev_b32_e32 v48, 6, v0
	v_bfe_u32 v51, v0, 4, 2
	v_lshlrev_b32_e32 v49, 4, v48
	v_mul_f32_e32 v1, 0x4f7ffffe, v1
	v_cvt_u32_f32_e32 v1, v1
	v_lshlrev_b32_e32 v10, 2, v51
	v_and_b32_e32 v50, 63, v0
	v_mov_b32_e32 v9, 0
	v_readfirstlane_b32 s29, v1
	s_mul_i32 s28, s28, s29
	s_mul_hi_u32 s28, s29, s28
	s_add_i32 s29, s29, s28
	s_mul_hi_u32 s28, s27, s29
	s_mul_i32 s29, s28, s30
	s_sub_i32 s27, s27, s29
	s_add_i32 s31, s28, 1
	s_sub_i32 s29, s27, s30
	s_cmp_ge_u32 s27, s30
	s_cselect_b32 s28, s31, s28
	s_cselect_b32 s27, s29, s27
	s_add_i32 s29, s28, 1
	s_cmp_ge_u32 s27, s30
	s_cselect_b32 s27, s29, s28
	s_xor_b32 s27, s27, s26
	s_sub_i32 s34, s27, s26
	s_mul_i32 s26, s34, s21
	s_ashr_i32 s35, s34, 31
	s_sub_i32 s46, s3, s26
	s_lshl_b64 s[26:27], s[34:35], 2
	s_add_u32 s10, s10, s26
	s_addc_u32 s11, s11, s27
	s_add_u32 s28, s24, s26
	s_addc_u32 s29, s25, s27
	s_abs_i32 s3, s22
	v_cvt_f32_u32_e32 v1, s3
	s_load_dwordx2 s[40:41], s[10:11], 0x0
	s_sub_i32 s11, 0, s3
	s_mov_b32 s47, s21
	v_rcp_iflag_f32_e32 v1, v1
	v_and_b32_e32 v52, 15, v0
	s_waitcnt lgkmcnt(0)
	s_sub_i32 s51, s41, s40
	s_ashr_i32 s10, s51, 31
	v_mul_f32_e32 v1, 0x4f7ffffe, v1
	v_cvt_u32_f32_e32 v1, v1
	s_lshr_b32 s10, s10, 26
	s_add_i32 s10, s51, s10
	s_ashr_i32 s52, s10, 6
	v_readfirstlane_b32 s24, v1
	s_mul_i32 s11, s11, s24
	s_mul_hi_u32 s11, s24, s11
	s_add_i32 s24, s24, s11
	s_mul_hi_u32 s11, s30, s24
	s_mul_i32 s24, s11, s3
	s_ashr_i32 s10, s22, 31
	s_sub_i32 s24, s30, s24
	s_xor_b32 s10, s33, s10
	s_add_i32 s25, s11, 1
	s_sub_i32 s26, s24, s3
	s_cmp_ge_u32 s24, s3
	s_cselect_b32 s11, s25, s11
	s_cselect_b32 s24, s26, s24
	s_add_i32 s25, s11, 1
	s_cmp_ge_u32 s24, s3
	s_cselect_b32 s3, s25, s11
	s_xor_b32 s3, s3, s10
	s_sub_i32 s3, s3, s10
	s_abs_i32 s30, s3
	v_cvt_f32_u32_e32 v1, s30
	s_load_dwordx2 s[10:11], s[0:1], 0x80
	s_load_dwordx4 s[24:27], s[0:1], 0x70
	s_load_dword s53, s[28:29], 0x0
	s_xor_b32 s0, s46, s3
	v_rcp_iflag_f32_e32 v1, v1
	s_sub_i32 s3, 0, s30
	s_abs_i32 s1, s46
	s_ashr_i32 s0, s0, 31
	v_mul_f32_e32 v1, 0x4f7ffffe, v1
	v_cvt_u32_f32_e32 v1, v1
	s_mul_hi_i32 s54, s46, s20
	s_mul_i32 s55, s46, s20
	v_lshrrev_b32_e32 v54, 3, v50
	v_readfirstlane_b32 s28, v1
	s_mul_i32 s3, s3, s28
	s_mul_hi_u32 s3, s28, s3
	s_add_i32 s28, s28, s3
	s_mul_hi_u32 s3, s1, s28
	s_mul_i32 s28, s3, s30
	s_sub_i32 s1, s1, s28
	s_add_i32 s28, s3, 1
	s_sub_i32 s29, s1, s30
	s_cmp_ge_u32 s1, s30
	s_cselect_b32 s3, s28, s3
	s_cselect_b32 s1, s29, s1
	s_add_i32 s28, s3, 1
	s_cmp_ge_u32 s1, s30
	s_cselect_b32 s1, s28, s3
	s_xor_b32 s1, s1, s0
	s_sub_i32 s56, s1, s0
	v_or_b32_e32 v1, v10, v49
	s_lshl_b32 s2, s2, 4
	v_or_b32_e32 v55, 64, v1
	s_cmp_lt_i32 s51, 64
	v_lshlrev_b32_e32 v53, 3, v0
	s_waitcnt lgkmcnt(0)
	s_mul_i32 s48, s34, s25
	s_mul_hi_u32 s49, s34, s24
	s_mul_i32 s50, s35, s24
	s_mul_i32 s42, s34, s24
	v_mov_b32_e32 v8, v9
	v_mov_b32_e32 v7, v9
	;; [unrolled: 1-line block ×7, first 2 shown]
	s_cbranch_scc1 .LBB549_18
; %bb.1:
	s_ashr_i32 s58, s46, 31
	s_ashr_i32 s1, s40, 31
	s_add_u32 s0, s55, s40
	s_addc_u32 s1, s54, s1
	s_lshl_b64 s[0:1], s[0:1], 8
	v_and_b32_e32 v57, 56, v53
	s_add_u32 s28, s14, s0
	v_lshl_or_b32 v56, v48, 3, v54
	v_lshlrev_b32_e32 v3, 1, v57
	s_addc_u32 s0, s15, s1
	v_lshl_or_b32 v58, v56, 8, v3
	s_and_b32 s29, s0, 0xffff
	s_mov_b32 s31, 0x20000
	s_movk_i32 s30, 0x4000
	s_movk_i32 s0, 0x80
	v_or_b32_e32 v59, 0x2000, v58
	buffer_load_dwordx4 v[4:7], v58, s[28:31], 0 offen
	buffer_load_dwordx4 v[12:15], v58, s[28:31], s0 offen
	buffer_load_dwordx4 v[16:19], v59, s[28:31], 0 offen
	buffer_load_dwordx4 v[20:23], v59, s[28:31], s0 offen
	v_lshlrev_b32_e32 v2, 3, v56
	v_and_or_b32 v9, v0, 7, v2
	v_and_b32_e32 v2, 0x78, v2
	v_lshlrev_b32_e32 v9, 4, v9
	v_xor_b32_e32 v60, v9, v2
	v_mul_lo_u32 v8, v56, s23
	v_or_b32_e32 v61, 0x1000, v60
	v_xor_b32_e32 v2, 8, v60
	s_cmpk_eq_i32 s23, 0x80
	s_mov_b32 s57, s40
	v_xor_b32_e32 v9, 8, v61
	s_cselect_b64 s[0:1], -1, 0
	s_cmpk_lg_i32 s23, 0x80
	s_waitcnt vmcnt(3)
	ds_write_b64 v60, v[4:5] offset:16384
	ds_write_b64 v2, v[6:7] offset:16384
	s_waitcnt vmcnt(2)
	ds_write_b64 v60, v[12:13] offset:24576
	ds_write_b64 v2, v[14:15] offset:24576
	;; [unrolled: 3-line block ×4, first 2 shown]
	v_lshl_add_u32 v2, v8, 1, v57
	s_cbranch_scc0 .LBB549_3
; %bb.2:
	v_lshlrev_b32_e32 v6, 1, v2
	v_add_lshl_u32 v5, v2, s23, 1
	s_lshl_b32 s30, s23, 7
	v_lshl_or_b32 v4, v56, 9, v3
	s_cbranch_execz .LBB549_4
	s_branch .LBB549_5
.LBB549_3:
                                        ; implicit-def: $vgpr5
                                        ; implicit-def: $vgpr6
                                        ; implicit-def: $sgpr30
	v_lshl_or_b32 v4, v56, 9, v3
.LBB549_4:
	v_or_b32_e32 v5, 0x100, v4
	s_movk_i32 s30, 0x4000
	v_mov_b32_e32 v6, v4
.LBB549_5:
	s_mul_i32 s24, s40, s22
	s_ashr_i32 s59, s56, 31
	s_mul_hi_i32 s3, s40, s22
	s_add_u32 s24, s24, s56
	s_addc_u32 s25, s3, s59
	s_lshl_b64 s[24:25], s[24:25], 8
	s_add_u32 s28, s12, s24
	s_addc_u32 s3, s13, s25
	s_and_b32 s29, s3, 0xffff
	s_movk_i32 s60, 0x80
	buffer_load_dwordx4 v[12:15], v6, s[28:31], 0 offen
	s_nop 0
	buffer_load_dwordx4 v[6:9], v6, s[28:31], s60 offen
	s_nop 0
	buffer_load_dwordx4 v[16:19], v5, s[28:31], 0 offen
	buffer_load_dwordx4 v[20:23], v5, s[28:31], s60 offen
	v_and_b32_e32 v3, 6, v0
	v_lshlrev_b32_e32 v11, 2, v52
	v_lshlrev_b32_e32 v24, 3, v52
	v_xor_b32_e32 v26, v56, v3
	v_and_b32_e32 v5, 1, v0
	v_lshl_or_b32 v24, v1, 5, v24
	v_xor_b32_e32 v27, v1, v11
	v_lshlrev_b32_e32 v26, 2, v26
	s_mul_i32 s3, s46, s27
	s_mul_hi_u32 s25, s46, s26
	v_or_b32_e32 v62, 0x9000, v24
	v_or_b32_e32 v63, 0x9800, v24
	v_lshlrev_b32_e32 v24, 1, v27
	v_xor_b32_e32 v27, 0x440, v26
	v_cmp_eq_u32_e32 vcc, 0, v5
	s_add_i32 s29, s49, s48
	s_mul_i32 s28, s58, s26
	v_cndmask_b32_e32 v5, v27, v26, vcc
	s_add_i32 s3, s25, s3
	s_add_i32 s43, s29, s50
	s_mov_b32 s61, 0x1000504
	v_lshlrev_b32_e32 v25, 8, v52
	s_mov_b32 s30, 0x8000
	v_xor_b32_e32 v11, v55, v11
	v_lshl_or_b32 v3, v3, 10, v5
	s_add_i32 s25, s3, s28
	s_lshl_b64 s[28:29], s[42:43], 2
	s_mov_b32 s62, 0x3020706
	s_mul_i32 s24, s46, s26
	v_lshlrev_b32_e32 v11, 1, v11
	v_or3_b32 v64, v24, v25, s30
	v_xor_b32_e32 v5, 8, v3
	v_xor_b32_e32 v24, 24, v3
	;; [unrolled: 1-line block ×4, first 2 shown]
	s_add_u32 s3, s18, s28
	v_or3_b32 v65, v11, v25, s30
	v_xor_b32_e32 v11, 16, v3
	v_xor_b32_e32 v25, 32, v3
	;; [unrolled: 1-line block ×3, first 2 shown]
	v_add_u32_e32 v5, 0x80, v5
	v_add_u32_e32 v24, 0x80, v24
	;; [unrolled: 1-line block ×4, first 2 shown]
	s_addc_u32 s28, s19, s29
	s_lshl_b64 s[24:25], s[24:25], 2
	s_add_u32 s24, s3, s24
	s_movk_i32 s3, 0xf8
	s_addc_u32 s25, s28, s25
	s_lshl_b32 s38, s23, 7
	s_mov_b32 s63, 0
	v_add_u32_e32 v80, v49, v10
	s_waitcnt vmcnt(1)
	v_perm_b32 v29, v12, v16, s61
	s_waitcnt vmcnt(0)
	v_perm_b32 v30, v6, v20, s61
	v_perm_b32 v12, v12, v16, s62
	;; [unrolled: 1-line block ×15, first 2 shown]
	ds_write2st64_b32 v3, v29, v30 offset1:32
	ds_write2st64_b32 v5, v12, v6 offset1:32
	ds_write2st64_b32 v11, v16, v20 offset0:1 offset1:33
	ds_write2st64_b32 v24, v13, v7 offset0:1 offset1:33
	;; [unrolled: 1-line block ×6, first 2 shown]
	v_or_b32_e32 v3, v49, v52
	v_lshlrev_b32_e32 v3, 3, v3
	v_lshrrev_b32_e32 v7, 5, v50
	v_and_or_b32 v7, v3, s3, v7
	v_lshlrev_b32_e32 v7, 4, v7
	v_lshlrev_b32_e32 v5, 11, v48
	v_and_b32_e32 v3, 0x78, v3
	v_or_b32_e32 v12, 32, v7
	v_and_b32_e32 v6, 0x1000, v5
	v_lshrrev_b32_e32 v11, 1, v0
	v_xor_b32_e32 v12, v12, v3
	v_and_b32_e32 v9, 8, v11
	v_or_b32_e32 v12, v12, v6
	v_xor_b32_e32 v8, v7, v3
	v_xor_b32_e32 v68, v12, v9
	v_or_b32_e32 v12, 64, v7
	v_or_b32_e32 v7, 0x60, v7
	v_xor_b32_e32 v12, v12, v3
	v_xor_b32_e32 v3, v7, v3
	v_or_b32_e32 v3, v3, v6
	v_or_b32_e32 v12, v12, v6
	v_xor_b32_e32 v70, v3, v9
	v_lshlrev_b32_e32 v14, 1, v2
	v_add_lshl_u32 v15, v2, s23, 1
	v_lshrrev_b32_e32 v2, 4, v0
	v_lshlrev_b32_e32 v3, 1, v52
	v_xor_b32_e32 v69, v12, v9
	s_ashr_i32 s3, s2, 31
	v_or_b32_e32 v12, 1, v3
	v_xor_b32_e32 v3, v2, v3
	s_lshl_b64 s[28:29], s[2:3], 8
	v_xor_b32_e32 v12, v12, v2
	v_lshlrev_b32_e32 v3, 3, v3
	v_lshlrev_b32_e32 v2, 8, v2
	s_add_u32 s28, s4, s28
	v_or3_b32 v72, v3, v2, s30
	v_lshlrev_b32_e32 v3, 3, v12
	s_addc_u32 s29, s5, s29
	v_or3_b32 v73, v3, v2, s30
	v_mov_b32_e32 v3, 0
	v_lshl_add_u64 v[12:13], s[28:29], 0, v[2:3]
	v_lshlrev_b32_e32 v2, 4, v52
	s_movk_i32 s3, 0xff
	v_lshlrev_b32_e32 v18, 3, v48
	v_and_b32_e32 v11, 24, v11
	v_lshl_add_u64 v[42:43], v[12:13], 0, v[2:3]
	v_and_b32_e32 v12, 8, v0
	v_cmp_lt_u32_e32 vcc, s3, v0
	v_xor_b32_e32 v19, v18, v11
	v_or_b32_e32 v20, 0x440, v19
	v_cndmask_b32_e64 v17, 0, 1, vcc
	v_cmp_eq_u32_e32 vcc, 0, v12
	v_and_b32_e32 v2, 7, v0
	v_lshlrev_b32_e32 v13, 3, v2
	v_cndmask_b32_e32 v12, v20, v19, vcc
	v_lshlrev_b32_e32 v2, 7, v2
	v_or_b32_e32 v12, v12, v5
	v_xad_u32 v74, v12, v13, v2
	v_or_b32_e32 v12, 32, v11
	v_xor_b32_e32 v12, v18, v12
	v_or_b32_e32 v19, 0x440, v12
	v_cndmask_b32_e32 v12, v19, v12, vcc
	v_or_b32_e32 v12, v12, v5
	v_xad_u32 v75, v12, v13, v2
	v_or_b32_e32 v12, 64, v11
	v_xor_b32_e32 v12, v18, v12
	v_xor_b32_e32 v19, 0x440, v12
	v_cndmask_b32_e32 v12, v19, v12, vcc
	v_or_b32_e32 v11, 0x60, v11
	v_or_b32_e32 v12, v12, v5
	v_xor_b32_e32 v11, v18, v11
	v_or_b32_e32 v8, v8, v6
	v_or_b32_e32 v6, s2, v52
	v_xad_u32 v76, v12, v13, v2
	v_xor_b32_e32 v12, 0x440, v11
	v_xor_b32_e32 v66, v8, v9
	v_and_b32_e32 v8, 0x78, v53
	v_ashrrev_i32_e32 v7, 31, v6
	v_cndmask_b32_e32 v11, v12, v11, vcc
	v_lshl_or_b32 v8, v51, 7, v8
	v_lshlrev_b64 v[6:7], 1, v[6:7]
	v_or_b32_e32 v5, v11, v5
	v_or_b32_e32 v67, 0x9000, v8
	;; [unrolled: 1-line block ×3, first 2 shown]
	v_lshl_add_u64 v[8:9], s[16:17], 0, v[6:7]
	v_lshl_add_u64 v[6:7], s[6:7], 0, v[6:7]
	v_or_b32_e32 v16, 0x100, v4
	v_lshlrev_b32_e32 v17, 13, v17
	v_xad_u32 v77, v5, v13, v2
	v_lshlrev_b32_e32 v2, 8, v1
	v_cndmask_b32_e64 v78, v14, v4, s[0:1]
	v_cndmask_b32_e64 v79, v15, v16, s[0:1]
	v_lshl_add_u64 v[44:45], v[8:9], 0, v[2:3]
	v_lshl_add_u64 v[46:47], v[6:7], 0, v[2:3]
	s_mov_b32 s3, 0x7060302
	s_movk_i32 s30, 0x4000
	v_add_u32_e32 v81, v17, v74
	v_add_u32_e32 v82, v17, v75
	;; [unrolled: 1-line block ×4, first 2 shown]
	v_mov_b32_e32 v2, v3
	v_mov_b32_e32 v4, v3
	;; [unrolled: 1-line block ×7, first 2 shown]
	s_waitcnt lgkmcnt(0)
	s_barrier
.LBB549_6:                              ; =>This Inner Loop Header: Depth=1
	s_add_i32 s43, s63, 1
	s_cmp_lt_i32 s43, s52
	s_mov_b64 s[36:37], 0
	s_cselect_b64 s[44:45], -1, 0
	s_cmp_ge_i32 s43, s52
	s_mov_b64 s[28:29], 0
	s_cbranch_scc1 .LBB549_8
; %bb.7:                                ;   in Loop: Header=BB549_6 Depth=1
	s_add_i32 s0, s57, 64
	s_ashr_i32 s1, s0, 31
	s_add_u32 s0, s55, s0
	s_addc_u32 s1, s54, s1
	s_lshl_b64 s[0:1], s[0:1], 8
	s_add_u32 s28, s14, s0
	s_addc_u32 s29, s15, s1
.LBB549_8:                              ;   in Loop: Header=BB549_6 Depth=1
	v_cndmask_b32_e64 v5, 0, 1, s[44:45]
	v_cmp_ne_u32_e64 s[0:1], 1, v5
	s_andn2_b64 vcc, exec, s[44:45]
	s_cbranch_vccnz .LBB549_10
; %bb.9:                                ;   in Loop: Header=BB549_6 Depth=1
	s_add_i32 s36, s57, 64
	s_mul_hi_i32 s37, s36, s22
	s_mul_i32 s36, s36, s22
	s_add_u32 s36, s36, s56
	s_addc_u32 s37, s37, s59
	s_lshl_b64 s[36:37], s[36:37], 8
	s_add_u32 s36, s12, s36
	s_addc_u32 s37, s13, s37
.LBB549_10:                             ;   in Loop: Header=BB549_6 Depth=1
	v_perm_b32 v11, v86, v4, s3
	v_perm_b32 v10, v3, v2, s3
	;; [unrolled: 1-line block ×4, first 2 shown]
	ds_write_b64 v62, v[10:11]
	ds_write_b64 v63, v[12:13]
	;; [unrolled: 1-line block ×4, first 2 shown]
	s_waitcnt lgkmcnt(0)
	s_barrier
	ds_read_b64 v[18:19], v66 offset:16384
	ds_read_b64 v[20:21], v68 offset:16384
	ds_read2st64_b64 v[10:13], v67 offset1:1
	s_waitcnt lgkmcnt(0)
	v_mfma_f32_16x16x16_bf16 a[0:3], v[18:19], v[10:11], 0
	ds_read2st64_b64 v[14:17], v67 offset0:2 offset1:3
	ds_read_b64 v[22:23], v69 offset:16384
	ds_read_b64 v[10:11], v70 offset:16384
	s_add_i32 s39, s57, 63
	v_mfma_f32_16x16x16_bf16 a[0:3], v[20:21], v[12:13], a[0:3]
	s_ashr_i32 s44, s39, 31
	s_mul_i32 s45, s39, s11
	s_mul_hi_u32 s64, s39, s10
	s_waitcnt lgkmcnt(1)
	v_mfma_f32_16x16x16_bf16 a[0:3], v[22:23], v[14:15], a[0:3]
	s_add_i32 s45, s64, s45
	s_mul_i32 s44, s44, s10
	s_add_i32 s45, s45, s44
	s_mul_i32 s44, s39, s10
	s_waitcnt lgkmcnt(0)
	v_mfma_f32_16x16x16_bf16 a[0:3], v[10:11], v[16:17], a[0:3]
	s_lshl_b64 s[44:45], s[44:45], 2
	s_add_u32 s44, s24, s44
	s_addc_u32 s45, s25, s45
	s_and_b64 vcc, exec, s[0:1]
	v_mov_b32_e32 v87, 0
	v_mov_b32_e32 v9, 0
	;; [unrolled: 1-line block ×19, first 2 shown]
	s_cbranch_vccnz .LBB549_12
; %bb.11:                               ;   in Loop: Header=BB549_6 Depth=1
	s_and_b32 s29, s29, 0xffff
	buffer_load_dwordx4 v[22:25], v58, s[28:31], 0 offen
	buffer_load_dwordx4 v[18:21], v58, s[28:31], s60 offen
	;; [unrolled: 1-line block ×4, first 2 shown]
	v_mov_b32_e32 v9, v60
	v_mov_b32_e32 v5, v61
.LBB549_12:                             ;   in Loop: Header=BB549_6 Depth=1
	s_waitcnt vmcnt(3)
	v_add_u32_e32 v30, s57, v80
	s_waitcnt vmcnt(1)
	v_ashrrev_i32_e32 v26, 31, v30
	v_mul_lo_u32 v28, v26, s10
	v_mul_lo_u32 v29, v30, s11
	v_mad_u64_u32 v[26:27], s[28:29], v30, s10, 0
	v_add3_u32 v27, v27, v29, v28
	v_lshl_add_u64 v[26:27], v[26:27], 2, s[24:25]
	global_load_dword v89, v[26:27], off
	v_add_u32_e32 v26, 1, v30
	v_ashrrev_i32_e32 v27, 31, v26
	v_mul_lo_u32 v28, v27, s10
	v_mul_lo_u32 v29, v26, s11
	v_mad_u64_u32 v[26:27], s[28:29], v26, s10, 0
	v_add3_u32 v27, v27, v29, v28
	v_add_u32_e32 v28, 2, v30
	v_ashrrev_i32_e32 v29, 31, v28
	v_mul_lo_u32 v31, v29, s10
	v_mul_lo_u32 v32, v28, s11
	v_mad_u64_u32 v[28:29], s[28:29], v28, s10, 0
	v_add_u32_e32 v30, 3, v30
	v_add3_u32 v29, v29, v32, v31
	v_ashrrev_i32_e32 v31, 31, v30
	v_mul_lo_u32 v34, v31, s10
	v_mul_lo_u32 v35, v30, s11
	v_mad_u64_u32 v[30:31], s[28:29], v30, s10, 0
	s_ashr_i32 s29, s57, 31
	s_add_u32 s28, s55, s57
	s_addc_u32 s29, s54, s29
	s_lshl_b64 s[64:65], s[28:29], 8
	v_lshl_add_u64 v[26:27], v[26:27], 2, s[24:25]
	v_lshl_add_u64 v[32:33], v[44:45], 0, s[64:65]
	v_add3_u32 v31, v31, v35, v34
	v_lshl_add_u64 v[28:29], v[28:29], 2, s[24:25]
	global_load_ushort v92, v[32:33], off
	global_load_ushort v93, v[32:33], off offset:256
	global_load_ushort v94, v[32:33], off offset:512
	;; [unrolled: 1-line block ×3, first 2 shown]
	v_lshl_add_u64 v[30:31], v[30:31], 2, s[24:25]
	global_load_dword v96, v[26:27], off
	global_load_dword v97, v[28:29], off
	;; [unrolled: 1-line block ×3, first 2 shown]
	s_load_dword s28, s[44:45], 0x0
	ds_read_b64 v[28:29], v66 offset:24576
	ds_read2st64_b64 v[30:33], v71 offset1:1
	ds_read2st64_b64 v[34:37], v71 offset0:2 offset1:3
	ds_read_b64 v[38:39], v68 offset:24576
	ds_read_b64 v[40:41], v69 offset:24576
	ds_read_b64 v[90:91], v70 offset:24576
	s_waitcnt lgkmcnt(0)
	v_mfma_f32_16x16x16_bf16 a[0:3], v[28:29], v[30:31], a[0:3]
	v_mov_b32_e32 v88, 0
	v_mov_b32_e32 v26, 0
	;; [unrolled: 1-line block ×3, first 2 shown]
	v_mfma_f32_16x16x16_bf16 a[0:3], v[38:39], v[32:33], a[0:3]
	v_lshl_add_u64 v[38:39], v[46:47], 0, s[64:65]
	v_mov_b32_e32 v28, 0
	v_mov_b32_e32 v29, 0
	v_mfma_f32_16x16x16_bf16 a[0:3], v[40:41], v[34:35], a[0:3]
	v_mov_b32_e32 v30, 0
	v_mov_b32_e32 v31, 0
	;; [unrolled: 1-line block ×3, first 2 shown]
	v_mfma_f32_16x16x16_bf16 a[0:3], v[90:91], v[36:37], a[0:3]
	v_mov_b32_e32 v33, 0
	v_mov_b32_e32 v34, 0
	s_and_b64 vcc, exec, s[0:1]
	s_waitcnt vmcnt(7)
	v_sub_f32_e32 v35, s28, v89
	s_nop 1
	v_accvgpr_read_b32 v41, a1
	v_accvgpr_read_b32 v40, a0
	;; [unrolled: 1-line block ×4, first 2 shown]
	s_waitcnt vmcnt(6)
	v_lshlrev_b32_e32 v90, 16, v92
	s_waitcnt vmcnt(5)
	v_lshlrev_b32_e32 v91, 16, v93
	s_waitcnt vmcnt(4)
	v_lshlrev_b32_e32 v92, 16, v94
	v_exp_f32_e32 v94, v35
	s_waitcnt vmcnt(2)
	v_sub_f32_e32 v35, s28, v96
	s_waitcnt vmcnt(1)
	v_sub_f32_e32 v89, s28, v97
	;; [unrolled: 2-line block ×3, first 2 shown]
	v_lshlrev_b32_e32 v93, 16, v95
	v_pk_add_f32 v[40:41], v[90:91], v[40:41] neg_lo:[0,1] neg_hi:[0,1]
	v_exp_f32_e32 v95, v35
	v_exp_f32_e32 v90, v89
	;; [unrolled: 1-line block ×3, first 2 shown]
	v_pk_add_f32 v[36:37], v[92:93], v[36:37] neg_lo:[0,1] neg_hi:[0,1]
	global_store_short_d16_hi v[38:39], v40, off
	global_store_short_d16_hi v[38:39], v41, off offset:256
	global_store_short_d16_hi v[38:39], v36, off offset:512
	;; [unrolled: 1-line block ×3, first 2 shown]
	v_pk_mul_f32 v[38:39], v[94:95], v[40:41]
	v_pk_mul_f32 v[36:37], v[90:91], v[36:37]
	v_perm_b32 v38, v39, v38, s3
	v_perm_b32 v39, v37, v36, s3
	ds_write_b64 v63, v[38:39]
	v_mov_b32_e32 v35, 0
	v_mov_b32_e32 v36, 0
	;; [unrolled: 1-line block ×7, first 2 shown]
	s_cbranch_vccnz .LBB549_14
; %bb.13:                               ;   in Loop: Header=BB549_6 Depth=1
	s_and_b32 s37, s37, 0xffff
	s_mov_b32 s39, s31
	buffer_load_dwordx4 v[38:41], v78, s[36:39], 0 offen
	buffer_load_dwordx4 v[30:33], v78, s[36:39], s60 offen
	;; [unrolled: 1-line block ×4, first 2 shown]
	v_mov_b32_e32 v87, v57
	v_mov_b32_e32 v88, v56
.LBB549_14:                             ;   in Loop: Header=BB549_6 Depth=1
	s_waitcnt lgkmcnt(0)
	s_barrier
	ds_read_b64 v[98:99], v81
	ds_read2st64_b64 v[90:93], v71 offset1:1
	ds_read2st64_b64 v[94:97], v71 offset0:2 offset1:3
	ds_read_b64 v[100:101], v82
	ds_read_b64 v[102:103], v83
	;; [unrolled: 1-line block ×3, first 2 shown]
	s_waitcnt lgkmcnt(4)
	v_mfma_f32_16x16x16_bf16 a[0:3], v[98:99], v[90:91], 0
	ds_read_b64 v[98:99], v74 offset:8192
	ds_read_b64 v[106:107], v75 offset:8192
	s_add_i32 s29, s53, s63
	s_mul_hi_i32 s37, s29, s47
	s_waitcnt lgkmcnt(1)
	v_mfma_f32_16x16x16_bf16 a[4:7], v[98:99], v[90:91], 0
	s_mul_i32 s29, s29, s47
	s_add_u32 s36, s29, s46
	s_addc_u32 s37, s37, s58
	v_mfma_f32_16x16x16_bf16 a[0:3], v[100:101], v[92:93], a[0:3]
	ds_read_b64 v[98:99], v72
	ds_read_b64 v[100:101], v73
	ds_read_b64 v[90:91], v76 offset:8192
	s_lshl_b64 s[36:37], s[36:37], 15
	v_mfma_f32_16x16x16_bf16 a[0:3], v[102:103], v[94:95], a[0:3]
	ds_read_b64 v[102:103], v77 offset:8192
	s_and_b64 vcc, exec, s[0:1]
	s_waitcnt lgkmcnt(4)
	v_mfma_f32_16x16x16_bf16 a[4:7], v[106:107], v[92:93], a[4:7]
	s_waitcnt lgkmcnt(1)
	v_mfma_f32_16x16x16_bf16 a[4:7], v[90:91], v[94:95], a[4:7]
	v_lshl_add_u64 v[90:91], v[42:43], 0, s[36:37]
	global_store_dwordx4 v[90:91], v[98:101], off
	v_mfma_f32_16x16x16_bf16 a[0:3], v[104:105], v[96:97], a[0:3]
	s_waitcnt lgkmcnt(0)
	v_mfma_f32_16x16x16_bf16 a[4:7], v[102:103], v[96:97], a[4:7]
	s_cbranch_vccnz .LBB549_16
; %bb.15:                               ;   in Loop: Header=BB549_6 Depth=1
	v_lshrrev_b32_e32 v89, 3, v87
	v_and_b32_e32 v89, 6, v89
	v_xor_b32_e32 v88, v89, v88
	v_lshlrev_b32_e32 v88, 2, v88
	v_and_b32_e32 v87, 8, v87
	v_xor_b32_e32 v90, 0x440, v88
	v_cmp_eq_u32_e32 vcc, 0, v87
	s_barrier
	s_nop 0
	v_cndmask_b32_e32 v87, v90, v88, vcc
	v_lshl_or_b32 v87, v89, 10, v87
	s_waitcnt vmcnt(2)
	v_perm_b32 v88, v38, v34, s61
	s_waitcnt vmcnt(1)
	v_perm_b32 v89, v30, v26, s61
	ds_write2st64_b32 v87, v88, v89 offset1:32
	v_xor_b32_e32 v88, 8, v87
	v_perm_b32 v34, v38, v34, s62
	v_perm_b32 v26, v30, v26, s62
	v_add_u32_e32 v30, 0x80, v88
	ds_write2st64_b32 v30, v34, v26 offset1:32
	v_xor_b32_e32 v26, 16, v87
	v_perm_b32 v30, v39, v35, s61
	v_perm_b32 v34, v31, v27, s61
	ds_write2st64_b32 v26, v30, v34 offset0:1 offset1:33
	v_xor_b32_e32 v26, 24, v87
	v_perm_b32 v30, v39, v35, s62
	v_perm_b32 v27, v31, v27, s62
	v_add_u32_e32 v26, 0x80, v26
	ds_write2st64_b32 v26, v30, v27 offset0:1 offset1:33
	v_xor_b32_e32 v26, 32, v87
	v_perm_b32 v27, v40, v36, s61
	v_perm_b32 v30, v32, v28, s61
	ds_write2st64_b32 v26, v27, v30 offset0:2 offset1:34
	v_xor_b32_e32 v26, 40, v87
	v_perm_b32 v27, v40, v36, s62
	v_perm_b32 v28, v32, v28, s62
	v_add_u32_e32 v26, 0x80, v26
	ds_write2st64_b32 v26, v27, v28 offset0:2 offset1:34
	;; [unrolled: 9-line block ×3, first 2 shown]
	ds_write_b64 v9, v[22:23] offset:16384
	v_xor_b32_e32 v22, 8, v9
	ds_write_b64 v22, v[24:25] offset:16384
	ds_write_b64 v9, v[18:19] offset:24576
	;; [unrolled: 1-line block ×4, first 2 shown]
	v_xor_b32_e32 v9, 8, v5
	ds_write_b64 v9, v[16:17] offset:16384
	ds_write_b64 v5, v[10:11] offset:24576
	;; [unrolled: 1-line block ×3, first 2 shown]
.LBB549_16:                             ;   in Loop: Header=BB549_6 Depth=1
	v_exp_f32_e32 v10, s28
	s_nop 2
	v_accvgpr_read_b32 v9, a1
	v_accvgpr_read_b32 v5, a0
	s_add_i32 s57, s57, 64
	v_fma_f32 v3, v3, v10, v9
	v_accvgpr_read_b32 v9, a4
	v_fma_f32 v6, v6, v10, v9
	v_accvgpr_read_b32 v9, a5
	v_fma_f32 v2, v2, v10, v5
	v_accvgpr_read_b32 v5, a2
	v_fma_f32 v7, v7, v10, v9
	v_accvgpr_read_b32 v9, a6
	v_fma_f32 v4, v4, v10, v5
	v_accvgpr_read_b32 v5, a3
	v_fma_f32 v8, v8, v10, v9
	v_accvgpr_read_b32 v9, a7
	v_fmac_f32_e32 v5, v86, v10
	s_cmp_eq_u32 s52, s43
	v_fmac_f32_e32 v9, v85, v10
	s_cbranch_scc1 .LBB549_18
; %bb.17:                               ;   in Loop: Header=BB549_6 Depth=1
	s_mov_b32 s63, s43
	v_mov_b32_e32 v86, v5
	v_mov_b32_e32 v85, v9
	s_branch .LBB549_6
.LBB549_18:
	s_lshl_b32 s3, s52, 6
	s_sub_i32 s51, s51, s3
	s_cmp_gt_i32 s51, 0
	s_waitcnt vmcnt(2)
	v_or_b32_e32 v34, s2, v52
	s_cbranch_scc1 .LBB549_20
; %bb.19:
	s_ashr_i32 s25, s46, 31
	v_or_b32_e32 v10, s2, v52
	s_cbranch_execz .LBB549_21
	s_branch .LBB549_77
.LBB549_20:
                                        ; implicit-def: $vgpr10
                                        ; implicit-def: $sgpr24_sgpr25
.LBB549_21:
	s_add_i32 s24, s3, s40
	s_ashr_i32 s3, s24, 31
	s_cmpk_lg_i32 s23, 0x80
	s_cselect_b64 s[38:39], -1, 0
	s_and_b64 vcc, exec, s[38:39]
	s_cbranch_vccz .LBB549_23
; %bb.22:
	s_mul_hi_i32 s0, s24, s22
	s_mul_i32 s1, s24, s22
	s_ashr_i32 s22, s56, 31
	s_add_u32 s44, s1, s56
	s_addc_u32 s45, s0, s22
	s_cbranch_execz .LBB549_24
	s_branch .LBB549_25
.LBB549_23:
                                        ; implicit-def: $sgpr44_sgpr45
.LBB549_24:
	s_mul_i32 s1, s56, s20
	s_mul_hi_i32 s0, s56, s20
	s_add_u32 s44, s1, s24
	s_addc_u32 s45, s0, s3
.LBB549_25:
	s_add_i32 s20, s52, s53
	s_ashr_i32 s25, s46, 31
	s_add_u32 s0, s55, s24
	s_addc_u32 s1, s54, s3
	s_mov_b32 s3, 0x7060302
	v_lshlrev_b32_e32 v14, 3, v52
	s_lshl_b64 s[36:37], s[0:1], 8
	v_perm_b32 v11, v5, v4, s3
	v_perm_b32 v10, v3, v2, s3
	;; [unrolled: 1-line block ×4, first 2 shown]
	v_lshlrev_b32_e32 v44, 2, v52
	v_lshl_or_b32 v14, v1, 5, v14
	s_add_u32 s0, s14, s36
	ds_write2st64_b64 v14, v[10:11], v[12:13] offset0:72 offset1:76
	v_xor_b32_e32 v14, v1, v44
	v_lshlrev_b32_e32 v15, 8, v52
	s_addc_u32 s1, s15, s37
	v_lshl_or_b32 v14, v14, 1, v15
	s_mul_hi_i32 s3, s20, s21
	s_mul_i32 s20, s20, s21
	ds_write_b64 v14, v[10:11] offset:32768
	v_xor_b32_e32 v10, v55, v44
	s_add_u32 s14, s20, s46
	v_lshl_or_b32 v10, v10, 1, v15
	s_addc_u32 s15, s3, s25
	v_lshlrev_b32_e32 v11, 1, v52
	ds_write_b64 v10, v[12:13] offset:32768
	v_lshrrev_b32_e32 v10, 4, v0
	s_ashr_i32 s3, s2, 31
	s_lshl_b64 s[14:15], s[14:15], 15
	v_or_b32_e32 v12, 1, v11
	s_add_u32 s4, s4, s14
	v_xor_b32_e32 v11, v10, v11
	v_xor_b32_e32 v12, v12, v10
	v_lshlrev_b32_e32 v14, 8, v10
	s_addc_u32 s5, s5, s15
	s_lshl_b64 s[2:3], s[2:3], 8
	v_lshl_or_b32 v10, v11, 3, v14
	v_lshl_or_b32 v12, v12, 3, v14
	s_waitcnt lgkmcnt(0)
	s_barrier
	s_add_u32 s2, s4, s2
	ds_read_b64 v[10:11], v10 offset:32768
	ds_read_b64 v[12:13], v12 offset:32768
	s_addc_u32 s3, s5, s3
	v_mov_b32_e32 v15, 0
	s_cmp_lg_u32 s51, 64
	v_lshl_add_u64 v[16:17], s[2:3], 0, v[14:15]
	v_lshlrev_b32_e32 v14, 4, v52
	s_cselect_b64 s[4:5], -1, 0
	v_lshl_or_b32 v35, v48, 3, v54
	s_mov_b32 s28, 0
	v_lshl_add_u64 v[14:15], v[16:17], 0, v[14:15]
	s_waitcnt vmcnt(1)
	v_or_b32_e32 v27, 32, v35
	v_and_b32_e32 v26, 56, v53
	s_and_b64 vcc, exec, s[4:5]
	s_waitcnt lgkmcnt(0)
	global_store_dwordx4 v[14:15], v[10:13], off
	s_cbranch_vccz .LBB549_31
; %bb.26:
	s_mov_b32 s29, s28
	s_mov_b32 s30, s28
	s_mov_b32 s31, s28
	v_mov_b64_e32 v[14:15], s[28:29]
	v_mov_b64_e32 v[16:17], s[30:31]
	v_mov_b64_e32 v[10:11], v[14:15]
	v_cmp_gt_i32_e32 vcc, s51, v35
	v_mov_b64_e32 v[12:13], v[16:17]
	s_and_saveexec_b64 s[2:3], vcc
	s_cbranch_execz .LBB549_28
; %bb.27:
	v_lshlrev_b32_e32 v10, 8, v35
	v_mov_b32_e32 v11, 0
	v_lshl_add_u64 v[12:13], s[0:1], 0, v[10:11]
	v_lshlrev_b32_e32 v10, 1, v26
	v_lshl_add_u64 v[18:19], v[12:13], 0, v[10:11]
	global_load_dwordx4 v[14:17], v[18:19], off
	global_load_dwordx4 v[10:13], v[18:19], off offset:128
.LBB549_28:
	s_or_b64 exec, exec, s[2:3]
	s_mov_b32 s29, s28
	s_mov_b32 s30, s28
	s_mov_b32 s31, s28
	v_mov_b64_e32 v[22:23], s[28:29]
	v_mov_b64_e32 v[24:25], s[30:31]
	;; [unrolled: 1-line block ×3, first 2 shown]
	v_cmp_gt_i32_e32 vcc, s51, v27
	v_lshlrev_b32_e32 v28, 7, v27
	v_mov_b64_e32 v[20:21], v[24:25]
	s_and_saveexec_b64 s[2:3], vcc
	s_cbranch_execz .LBB549_30
; %bb.29:
	v_lshlrev_b32_e32 v18, 1, v28
	v_mov_b32_e32 v19, 0
	v_lshl_add_u64 v[20:21], s[0:1], 0, v[18:19]
	v_lshlrev_b32_e32 v18, 1, v26
	v_lshl_add_u64 v[30:31], v[20:21], 0, v[18:19]
	global_load_dwordx4 v[22:25], v[30:31], off
	global_load_dwordx4 v[18:21], v[30:31], off offset:128
.LBB549_30:
	s_or_b64 exec, exec, s[2:3]
	v_lshrrev_b32_e32 v29, 3, v26
	v_lshlrev_b32_e32 v30, 3, v35
	v_or_b32_e32 v29, v30, v29
	v_lshlrev_b32_e32 v29, 4, v29
	v_and_b32_e32 v30, 0x78, v30
	v_xor_b32_e32 v29, v29, v30
	s_branch .LBB549_33
.LBB549_31:
                                        ; implicit-def: $vgpr29
                                        ; implicit-def: $vgpr28
                                        ; implicit-def: $vgpr14_vgpr15_vgpr16_vgpr17
                                        ; implicit-def: $vgpr10_vgpr11_vgpr12_vgpr13
                                        ; implicit-def: $vgpr22_vgpr23_vgpr24_vgpr25
                                        ; implicit-def: $vgpr18_vgpr19_vgpr20_vgpr21
	s_cbranch_execz .LBB549_33
; %bb.32:
	s_waitcnt vmcnt(0)
	v_lshlrev_b32_e32 v10, 1, v26
	v_lshl_or_b32 v28, v35, 8, v10
	s_and_b32 s1, s1, 0xffff
	s_mov_b32 s3, 0x20000
	s_movk_i32 s2, 0x4000
	v_lshl_or_b32 v29, v27, 8, v10
	s_movk_i32 s14, 0x80
	buffer_load_dwordx4 v[14:17], v28, s[0:3], 0 offen
	buffer_load_dwordx4 v[10:13], v28, s[0:3], s14 offen
	;; [unrolled: 1-line block ×4, first 2 shown]
	v_lshrrev_b32_e32 v28, 3, v26
	v_lshlrev_b32_e32 v29, 3, v35
	v_or_b32_e32 v28, v29, v28
	v_lshlrev_b32_e32 v28, 4, v28
	v_and_b32_e32 v29, 0x78, v29
	v_xor_b32_e32 v29, v28, v29
	v_lshlrev_b32_e32 v28, 7, v27
.LBB549_33:
	s_lshl_b64 s[0:1], s[44:45], 8
	s_add_u32 s12, s12, s0
	s_movk_i32 s0, 0x1000
	v_and_or_b32 v27, v28, s0, v29
	s_waitcnt vmcnt(1)
	ds_write_b64 v29, v[14:15] offset:16384
	v_xor_b32_e32 v14, 8, v29
	ds_write_b64 v14, v[16:17] offset:16384
	s_waitcnt vmcnt(0)
	ds_write_b64 v29, v[10:11] offset:24576
	ds_write_b64 v14, v[12:13] offset:24576
	;; [unrolled: 1-line block ×3, first 2 shown]
	v_xor_b32_e32 v10, 8, v27
	ds_write_b64 v10, v[24:25] offset:16384
	ds_write_b64 v27, v[18:19] offset:24576
	;; [unrolled: 1-line block ×3, first 2 shown]
	v_or_b32_e32 v10, v49, v52
	v_lshlrev_b32_e32 v10, 3, v10
	v_lshrrev_b32_e32 v12, 5, v50
	s_movk_i32 s20, 0xf8
	v_and_or_b32 v12, v10, s20, v12
	v_lshlrev_b32_e32 v45, 11, v48
	v_lshlrev_b32_e32 v20, 4, v12
	v_and_b32_e32 v21, 0x78, v10
	v_and_b32_e32 v22, 0x1000, v45
	v_lshlrev_b32_e32 v11, 2, v0
	v_xor_b32_e32 v10, v20, v21
	v_lshrrev_b32_e32 v12, 1, v50
	v_and_b32_e32 v11, 60, v11
	v_or_b32_e32 v10, v10, v22
	v_and_b32_e32 v23, 8, v12
	v_xor_b32_e32 v36, v10, v23
	v_lshl_or_b32 v10, v51, 6, v11
	v_lshlrev_b32_e32 v46, 1, v10
	v_or_b32_e32 v10, 32, v20
	v_xor_b32_e32 v10, v10, v21
	s_waitcnt lgkmcnt(0)
	s_barrier
	ds_read_b64 v[18:19], v36 offset:16384
	v_or_b32_e32 v10, v10, v22
	v_xor_b32_e32 v37, v10, v23
	v_or_b32_e32 v10, 64, v20
	v_xor_b32_e32 v10, v10, v21
	v_or_b32_e32 v10, v10, v22
	v_or_b32_e32 v20, 0x60, v20
	v_xor_b32_e32 v38, v10, v23
	ds_read2st64_b64 v[10:13], v46 offset0:72 offset1:73
	ds_read2st64_b64 v[14:17], v46 offset0:74 offset1:75
	v_xor_b32_e32 v24, v20, v21
	ds_read_b64 v[20:21], v37 offset:16384
	s_waitcnt lgkmcnt(2)
	v_mfma_f32_16x16x16_bf16 a[0:3], v[18:19], v[10:11], 0
	s_addc_u32 s13, s13, s1
	s_add_i32 s2, s41, -1
	s_add_i32 s0, s49, s48
	s_add_i32 s43, s0, s50
	s_mul_i32 s0, s46, s27
	s_mul_hi_u32 s1, s46, s26
	s_ashr_i32 s3, s2, 31
	s_mul_i32 s14, s2, s11
	s_mul_hi_u32 s15, s2, s10
	s_add_i32 s0, s1, s0
	s_mul_i32 s1, s25, s26
	s_add_i32 s14, s15, s14
	s_mul_i32 s3, s3, s10
	v_or_b32_e32 v22, v24, v22
	s_add_i32 s1, s0, s1
	s_add_i32 s3, s14, s3
	s_lshl_b64 s[14:15], s[42:43], 2
	v_xor_b32_e32 v47, v22, v23
	ds_read_b64 v[22:23], v38 offset:16384
	ds_read_b64 v[24:25], v47 offset:16384
	s_waitcnt lgkmcnt(2)
	v_mfma_f32_16x16x16_bf16 a[0:3], v[20:21], v[12:13], a[0:3]
	s_mul_i32 s0, s46, s26
	s_add_u32 s14, s18, s14
	s_addc_u32 s15, s19, s15
	s_lshl_b64 s[0:1], s[0:1], 2
	s_mul_i32 s2, s2, s10
	s_add_u32 s18, s14, s0
	s_addc_u32 s19, s15, s1
	s_lshl_b64 s[0:1], s[2:3], 2
	s_waitcnt lgkmcnt(1)
	v_mfma_f32_16x16x16_bf16 a[0:3], v[22:23], v[14:15], a[0:3]
	s_add_u32 s0, s18, s0
	s_addc_u32 s1, s19, s1
	s_load_dword s20, s[0:1], 0x0
	s_waitcnt lgkmcnt(0)
	v_mfma_f32_16x16x16_bf16 a[0:3], v[24:25], v[16:17], a[0:3]
	s_and_b64 vcc, exec, s[38:39]
	s_cbranch_vccz .LBB549_44
; %bb.34:
	v_lshlrev_b32_e32 v27, 1, v35
	s_and_b64 vcc, exec, s[4:5]
	s_cbranch_vccz .LBB549_45
; %bb.35:
	v_cmp_gt_i32_e32 vcc, s51, v27
	v_mov_b32_e32 v14, 0
	v_mov_b32_e32 v10, 0
	;; [unrolled: 1-line block ×5, first 2 shown]
	s_and_saveexec_b64 s[0:1], vcc
	s_cbranch_execz .LBB549_37
; %bb.36:
	v_mad_i64_i32 v[10:11], s[2:3], s23, v27, 0
	v_lshl_add_u64 v[10:11], v[10:11], 1, s[12:13]
	v_lshlrev_b32_e32 v12, 1, v26
	v_mov_b32_e32 v13, 0
	v_lshl_add_u64 v[10:11], v[10:11], 0, v[12:13]
	global_load_dwordx4 v[10:13], v[10:11], off
.LBB549_37:
	s_or_b64 exec, exec, s[0:1]
	v_or_b32_e32 v28, 1, v27
	v_cmp_gt_i32_e64 s[0:1], s51, v28
	v_mov_b32_e32 v15, 0
	v_mov_b32_e32 v16, 0
	;; [unrolled: 1-line block ×3, first 2 shown]
	s_and_saveexec_b64 s[2:3], s[0:1]
	s_cbranch_execz .LBB549_39
; %bb.38:
	v_mad_i64_i32 v[14:15], s[14:15], s23, v28, 0
	v_lshl_add_u64 v[14:15], v[14:15], 1, s[12:13]
	v_lshlrev_b32_e32 v16, 1, v26
	v_mov_b32_e32 v17, 0
	v_lshl_add_u64 v[14:15], v[14:15], 0, v[16:17]
	global_load_dwordx4 v[14:17], v[14:15], off
.LBB549_39:
	s_or_b64 exec, exec, s[2:3]
	v_mov_b32_e32 v25, 0
	v_mov_b32_e32 v18, 0
	;; [unrolled: 1-line block ×5, first 2 shown]
	s_and_saveexec_b64 s[2:3], vcc
	s_cbranch_execz .LBB549_41
; %bb.40:
	v_mad_i64_i32 v[18:19], s[14:15], s23, v27, 0
	v_lshl_add_u64 v[18:19], v[18:19], 1, s[12:13]
	v_lshlrev_b32_e32 v20, 1, v26
	v_mov_b32_e32 v21, 0
	v_lshl_add_u64 v[18:19], v[18:19], 0, v[20:21]
	global_load_dwordx4 v[18:21], v[18:19], off offset:128
.LBB549_41:
	s_or_b64 exec, exec, s[2:3]
	v_mov_b32_e32 v24, 0
	v_mov_b32_e32 v23, 0
	;; [unrolled: 1-line block ×3, first 2 shown]
	s_and_saveexec_b64 s[2:3], s[0:1]
	s_cbranch_execz .LBB549_43
; %bb.42:
	v_mad_i64_i32 v[22:23], s[0:1], s23, v28, 0
	v_lshl_add_u64 v[22:23], v[22:23], 1, s[12:13]
	v_lshlrev_b32_e32 v24, 1, v26
	v_mov_b32_e32 v25, 0
	v_lshl_add_u64 v[22:23], v[22:23], 0, v[24:25]
	global_load_dwordx4 v[22:25], v[22:23], off offset:128
.LBB549_43:
	s_or_b64 exec, exec, s[2:3]
	s_branch .LBB549_47
.LBB549_44:
                                        ; implicit-def: $vgpr13
                                        ; implicit-def: $vgpr17
                                        ; implicit-def: $vgpr21
                                        ; implicit-def: $vgpr25
	v_lshrrev_b32_e32 v50, 2, v50
	s_branch .LBB549_48
.LBB549_45:
                                        ; implicit-def: $vgpr13
                                        ; implicit-def: $vgpr17
                                        ; implicit-def: $vgpr21
                                        ; implicit-def: $vgpr25
	s_cbranch_execz .LBB549_47
; %bb.46:
	s_waitcnt vmcnt(0)
	v_mad_u64_u32 v[10:11], s[0:1], v27, s23, v[26:27]
	v_lshlrev_b32_e32 v27, 1, v10
	s_lshl_b32 s2, s23, 7
	s_and_b32 s1, s13, 0xffff
	s_mov_b32 s3, 0x20000
	s_mov_b32 s0, s12
	v_add_lshl_u32 v28, v10, s23, 1
	s_movk_i32 s14, 0x80
	buffer_load_dwordx4 v[10:13], v27, s[0:3], 0 offen
	buffer_load_dwordx4 v[18:21], v27, s[0:3], s14 offen
	;; [unrolled: 1-line block ×4, first 2 shown]
.LBB549_47:
	v_lshrrev_b32_e32 v50, 2, v50
	s_cbranch_execnz .LBB549_60
.LBB549_48:
	s_and_b64 vcc, exec, s[4:5]
	s_cbranch_vccz .LBB549_58
; %bb.49:
	s_waitcnt vmcnt(0)
	v_lshlrev_b32_e32 v15, 1, v35
	v_cmp_gt_i32_e32 vcc, s51, v15
	v_mov_b32_e32 v14, 0
	v_lshlrev_b32_e32 v22, 9, v35
	v_mov_b32_e32 v10, 0
	v_mov_b32_e32 v11, 0
	;; [unrolled: 1-line block ×4, first 2 shown]
	s_and_saveexec_b64 s[0:1], vcc
	s_cbranch_execz .LBB549_51
; %bb.50:
	v_mov_b32_e32 v23, 0
	v_lshl_add_u64 v[10:11], s[12:13], 0, v[22:23]
	v_lshlrev_b32_e32 v12, 1, v26
	v_mov_b32_e32 v13, v23
	v_lshl_add_u64 v[10:11], v[10:11], 0, v[12:13]
	global_load_dwordx4 v[10:13], v[10:11], off
.LBB549_51:
	s_or_b64 exec, exec, s[0:1]
	v_or_b32_e32 v15, 1, v15
	v_cmp_gt_i32_e64 s[0:1], s51, v15
	v_lshlrev_b32_e32 v28, 8, v15
	v_mov_b32_e32 v15, 0
	v_mov_b32_e32 v16, 0
	;; [unrolled: 1-line block ×3, first 2 shown]
	s_and_saveexec_b64 s[2:3], s[0:1]
	s_cbranch_execz .LBB549_53
; %bb.52:
	v_mov_b32_e32 v29, 0
	v_lshl_add_u64 v[14:15], s[12:13], 0, v[28:29]
	v_lshlrev_b32_e32 v16, 1, v26
	v_mov_b32_e32 v17, v29
	v_lshl_add_u64 v[14:15], v[14:15], 0, v[16:17]
	global_load_dwordx4 v[14:17], v[14:15], off
.LBB549_53:
	s_or_b64 exec, exec, s[2:3]
	v_mov_b32_e32 v25, 0
	v_mov_b32_e32 v18, 0
	v_mov_b32_e32 v19, 0
	v_mov_b32_e32 v20, 0
	v_mov_b32_e32 v21, 0
	s_and_saveexec_b64 s[2:3], vcc
	s_cbranch_execz .LBB549_55
; %bb.54:
	v_mov_b32_e32 v23, 0
	v_lshl_add_u64 v[18:19], s[12:13], 0, v[22:23]
	v_lshlrev_b32_e32 v22, 1, v26
	v_lshl_add_u64 v[18:19], v[18:19], 0, v[22:23]
	global_load_dwordx4 v[18:21], v[18:19], off offset:128
.LBB549_55:
	s_or_b64 exec, exec, s[2:3]
	v_mov_b32_e32 v24, 0
	v_mov_b32_e32 v23, 0
	v_mov_b32_e32 v22, 0
	s_and_saveexec_b64 s[2:3], s[0:1]
	s_cbranch_execz .LBB549_57
; %bb.56:
	v_mov_b32_e32 v29, 0
	v_lshl_add_u64 v[22:23], s[12:13], 0, v[28:29]
	v_lshlrev_b32_e32 v28, 1, v26
	v_lshl_add_u64 v[22:23], v[22:23], 0, v[28:29]
	global_load_dwordx4 v[22:25], v[22:23], off offset:128
.LBB549_57:
	s_or_b64 exec, exec, s[2:3]
	s_branch .LBB549_60
.LBB549_58:
                                        ; implicit-def: $vgpr13
                                        ; implicit-def: $vgpr17
                                        ; implicit-def: $vgpr21
                                        ; implicit-def: $vgpr25
	s_cbranch_execz .LBB549_60
; %bb.59:
	s_waitcnt vmcnt(0)
	v_lshlrev_b32_e32 v10, 1, v26
	v_lshl_or_b32 v26, v35, 9, v10
	s_and_b32 s13, s13, 0xffff
	s_mov_b32 s15, 0x20000
	s_movk_i32 s14, 0x4000
	s_movk_i32 s0, 0x80
	buffer_load_dwordx4 v[10:13], v26, s[12:15], 0 offen
	buffer_load_dwordx4 v[14:17], v26, s[12:15], 0 offen offset:256
	buffer_load_dwordx4 v[18:21], v26, s[12:15], s0 offen
	buffer_load_dwordx4 v[22:25], v26, s[12:15], s0 offen offset:256
.LBB549_60:
	ds_read2st64_b64 v[30:33], v46 offset0:76 offset1:77
	ds_read2st64_b64 v[26:29], v46 offset0:78 offset1:79
	ds_read_b64 v[42:43], v36 offset:24576
	ds_read_b64 v[40:41], v37 offset:24576
	;; [unrolled: 1-line block ×4, first 2 shown]
	v_and_b32_e32 v47, 6, v0
	v_xor_b32_e32 v35, v35, v47
	v_lshlrev_b32_e32 v35, 2, v35
	v_and_b32_e32 v51, 1, v0
	v_xor_b32_e32 v52, 0x440, v35
	v_cmp_eq_u32_e32 vcc, 0, v51
	s_mov_b32 s0, 0x1000504
	s_waitcnt vmcnt(0)
	v_perm_b32 v51, v18, v22, s0
	v_cndmask_b32_e32 v35, v52, v35, vcc
	v_lshl_or_b32 v35, v47, 10, v35
	v_perm_b32 v47, v10, v14, s0
	ds_write2st64_b32 v35, v47, v51 offset1:32
	v_xor_b32_e32 v47, 8, v35
	s_mov_b32 s1, 0x3020706
	v_perm_b32 v10, v10, v14, s1
	v_perm_b32 v14, v18, v22, s1
	v_add_u32_e32 v18, 0x80, v47
	ds_write2st64_b32 v18, v10, v14 offset1:32
	v_xor_b32_e32 v10, 16, v35
	v_perm_b32 v14, v11, v15, s0
	v_perm_b32 v18, v19, v23, s0
	ds_write2st64_b32 v10, v14, v18 offset0:1 offset1:33
	v_xor_b32_e32 v10, 24, v35
	v_perm_b32 v11, v11, v15, s1
	v_perm_b32 v14, v19, v23, s1
	v_add_u32_e32 v10, 0x80, v10
	ds_write2st64_b32 v10, v11, v14 offset0:1 offset1:33
	v_xor_b32_e32 v10, 32, v35
	v_perm_b32 v11, v12, v16, s0
	v_perm_b32 v14, v20, v24, s0
	ds_write2st64_b32 v10, v11, v14 offset0:2 offset1:34
	v_xor_b32_e32 v10, 40, v35
	v_perm_b32 v11, v12, v16, s1
	v_perm_b32 v12, v20, v24, s1
	v_add_u32_e32 v10, 0x80, v10
	ds_write2st64_b32 v10, v11, v12 offset0:2 offset1:34
	v_xor_b32_e32 v10, 48, v35
	v_perm_b32 v11, v13, v17, s0
	v_perm_b32 v12, v21, v25, s0
	ds_write2st64_b32 v10, v11, v12 offset0:3 offset1:35
	v_xor_b32_e32 v10, 56, v35
	v_and_or_b32 v18, v50, 12, v49
	v_perm_b32 v11, v13, v17, s1
	v_perm_b32 v12, v21, v25, s1
	v_add_u32_e32 v10, 0x80, v10
	v_cmp_gt_i32_e64 s[2:3], s51, v18
	v_mov_b32_e32 v20, 0
	v_mov_b32_e32 v25, 0
	ds_write2st64_b32 v10, v11, v12 offset0:3 offset1:35
	s_and_saveexec_b64 s[0:1], s[2:3]
	s_cbranch_execz .LBB549_62
; %bb.61:
	v_add_u32_e32 v10, s24, v18
	v_ashrrev_i32_e32 v11, 31, v10
	v_mul_lo_u32 v12, v11, s10
	v_mul_lo_u32 v13, v10, s11
	v_mad_u64_u32 v[10:11], s[4:5], v10, s10, 0
	v_add3_u32 v11, v11, v13, v12
	v_lshl_add_u64 v[10:11], v[10:11], 2, s[18:19]
	global_load_dword v10, v[10:11], off
	s_waitcnt vmcnt(0)
	v_sub_f32_e32 v10, s20, v10
	v_exp_f32_e32 v25, v10
.LBB549_62:
	s_or_b64 exec, exec, s[0:1]
	v_or_b32_e32 v23, 1, v18
	v_cmp_gt_i32_e64 s[4:5], s51, v23
	s_and_saveexec_b64 s[0:1], s[4:5]
	s_cbranch_execz .LBB549_64
; %bb.63:
	v_add_u32_e32 v10, s24, v23
	v_ashrrev_i32_e32 v11, 31, v10
	v_mul_lo_u32 v12, v11, s10
	v_mul_lo_u32 v13, v10, s11
	v_mad_u64_u32 v[10:11], s[12:13], v10, s10, 0
	v_add3_u32 v11, v11, v13, v12
	v_lshl_add_u64 v[10:11], v[10:11], 2, s[18:19]
	global_load_dword v10, v[10:11], off
	s_waitcnt vmcnt(0)
	v_sub_f32_e32 v10, s20, v10
	v_exp_f32_e32 v20, v10
.LBB549_64:
	s_or_b64 exec, exec, s[0:1]
	v_or_b32_e32 v22, 2, v18
	v_cmp_gt_i32_e64 s[0:1], s51, v22
	v_mov_b32_e32 v19, 0
	v_mov_b32_e32 v24, 0
	s_and_saveexec_b64 s[12:13], s[0:1]
	s_cbranch_execz .LBB549_66
; %bb.65:
	v_add_u32_e32 v10, s24, v22
	v_ashrrev_i32_e32 v11, 31, v10
	v_mul_lo_u32 v12, v11, s10
	v_mul_lo_u32 v13, v10, s11
	v_mad_u64_u32 v[10:11], s[14:15], v10, s10, 0
	v_add3_u32 v11, v11, v13, v12
	v_lshl_add_u64 v[10:11], v[10:11], 2, s[18:19]
	global_load_dword v10, v[10:11], off
	s_waitcnt vmcnt(0)
	v_sub_f32_e32 v10, s20, v10
	v_exp_f32_e32 v24, v10
.LBB549_66:
	s_or_b64 exec, exec, s[12:13]
	v_or_b32_e32 v21, 3, v18
	v_cmp_gt_i32_e32 vcc, s51, v21
	s_and_saveexec_b64 s[12:13], vcc
	s_cbranch_execz .LBB549_68
; %bb.67:
	v_add_u32_e32 v10, s24, v21
	v_ashrrev_i32_e32 v11, 31, v10
	v_mul_lo_u32 v12, v11, s10
	v_mul_lo_u32 v13, v10, s11
	v_mad_u64_u32 v[10:11], s[10:11], v10, s10, 0
	v_add3_u32 v11, v11, v13, v12
	v_lshl_add_u64 v[10:11], v[10:11], 2, s[18:19]
	global_load_dword v10, v[10:11], off
	s_waitcnt vmcnt(0)
	v_sub_f32_e32 v10, s20, v10
	v_exp_f32_e32 v19, v10
.LBB549_68:
	s_or_b64 exec, exec, s[12:13]
	s_waitcnt lgkmcnt(11)
	v_mfma_f32_16x16x16_bf16 a[0:3], v[42:43], v[30:31], a[0:3]
	s_add_u32 s10, s16, s36
	s_addc_u32 s11, s17, s37
	v_ashrrev_i32_e32 v35, 31, v34
	s_waitcnt lgkmcnt(10)
	v_mfma_f32_16x16x16_bf16 a[0:3], v[40:41], v[32:33], a[0:3]
	s_add_u32 s6, s6, s36
	v_lshlrev_b64 v[10:11], 1, v[34:35]
	s_addc_u32 s7, s7, s37
	s_waitcnt lgkmcnt(9)
	v_mfma_f32_16x16x16_bf16 a[0:3], v[38:39], v[26:27], a[0:3]
	v_lshl_add_u64 v[14:15], s[10:11], 0, v[10:11]
	v_lshl_add_u64 v[16:17], s[6:7], 0, v[10:11]
	v_mov_b32_e32 v26, 0
	s_waitcnt lgkmcnt(8)
	v_mfma_f32_16x16x16_bf16 a[0:3], v[36:37], v[28:29], a[0:3]
	v_mov_b32_e32 v27, 0
	s_nop 5
	v_accvgpr_read_b32 v13, a3
	v_accvgpr_read_b32 v12, a2
	;; [unrolled: 1-line block ×4, first 2 shown]
	s_and_saveexec_b64 s[6:7], s[2:3]
	s_cbranch_execz .LBB549_70
; %bb.69:
	v_lshlrev_b32_e32 v28, 8, v18
	v_mov_b32_e32 v29, 0
	v_lshl_add_u64 v[30:31], v[14:15], 0, v[28:29]
	global_load_ushort v27, v[30:31], off
	v_lshl_add_u64 v[28:29], v[16:17], 0, v[28:29]
	s_waitcnt vmcnt(0)
	v_lshlrev_b32_e32 v27, 16, v27
	v_sub_f32_e32 v10, v27, v10
	global_store_short_d16_hi v[28:29], v10, off
	v_mul_f32_e32 v10, v25, v10
	v_lshrrev_b32_e32 v27, 16, v10
.LBB549_70:
	s_or_b64 exec, exec, s[6:7]
	s_and_saveexec_b64 s[2:3], s[4:5]
	s_cbranch_execz .LBB549_72
; %bb.71:
	v_lshlrev_b32_e32 v28, 8, v23
	v_mov_b32_e32 v29, 0
	v_lshl_add_u64 v[30:31], v[14:15], 0, v[28:29]
	global_load_ushort v10, v[30:31], off
	v_lshl_add_u64 v[28:29], v[16:17], 0, v[28:29]
	s_waitcnt vmcnt(0)
	v_lshlrev_b32_e32 v10, 16, v10
	v_sub_f32_e32 v10, v10, v11
	global_store_short_d16_hi v[28:29], v10, off
	v_mul_f32_e32 v10, v20, v10
	v_lshrrev_b32_e32 v26, 16, v10
.LBB549_72:
	s_or_b64 exec, exec, s[2:3]
	v_mov_b32_e32 v11, 0
	v_mov_b32_e32 v20, 0
	s_and_saveexec_b64 s[2:3], s[0:1]
	s_cbranch_execz .LBB549_74
; %bb.73:
	v_lshlrev_b32_e32 v22, 8, v22
	v_mov_b32_e32 v23, 0
	v_lshl_add_u64 v[28:29], v[14:15], 0, v[22:23]
	global_load_ushort v10, v[28:29], off
	v_lshl_add_u64 v[22:23], v[16:17], 0, v[22:23]
	s_waitcnt vmcnt(0)
	v_lshlrev_b32_e32 v10, 16, v10
	v_sub_f32_e32 v10, v10, v12
	global_store_short_d16_hi v[22:23], v10, off
	v_mul_f32_e32 v10, v24, v10
	v_lshrrev_b32_e32 v20, 16, v10
.LBB549_74:
	s_or_b64 exec, exec, s[2:3]
	v_or_b32_e32 v10, 0x9800, v46
	s_and_saveexec_b64 s[0:1], vcc
	s_cbranch_execz .LBB549_76
; %bb.75:
	v_lshlrev_b32_e32 v22, 8, v21
	v_mov_b32_e32 v23, 0
	v_lshl_add_u64 v[14:15], v[14:15], 0, v[22:23]
	global_load_ushort v11, v[14:15], off
	v_lshl_add_u64 v[14:15], v[16:17], 0, v[22:23]
	s_waitcnt vmcnt(0)
	v_lshlrev_b32_e32 v11, 16, v11
	v_sub_f32_e32 v11, v11, v13
	global_store_short_d16_hi v[14:15], v11, off
	v_mul_f32_e32 v11, v19, v11
	v_lshrrev_b32_e32 v11, 16, v11
.LBB549_76:
	s_or_b64 exec, exec, s[0:1]
	s_mov_b32 s0, 0x5040100
	v_perm_b32 v13, v11, v20, s0
	v_lshlrev_b32_e32 v11, 1, v44
	v_perm_b32 v12, v26, v27, s0
	v_lshl_or_b32 v11, v18, 5, v11
	s_movk_i32 s0, 0xff
	ds_write_b64 v11, v[12:13] offset:38912
	v_and_b32_e32 v11, 7, v0
	v_and_b32_e32 v12, 8, v0
	v_cmp_lt_u32_e32 vcc, s0, v0
	v_lshrrev_b32_e32 v0, 1, v0
	v_lshlrev_b32_e32 v22, 3, v11
	v_lshlrev_b32_e32 v23, 7, v11
	v_cndmask_b32_e64 v11, 0, 1, vcc
	v_lshlrev_b32_e32 v25, 3, v48
	v_and_b32_e32 v0, 24, v0
	v_lshlrev_b32_e32 v24, 13, v11
	v_xor_b32_e32 v11, v25, v0
	v_or_b32_e32 v13, 0x440, v11
	v_cmp_eq_u32_e32 vcc, 0, v12
	s_waitcnt lgkmcnt(0)
	s_barrier
	v_cndmask_b32_e32 v11, v13, v11, vcc
	v_or_b32_e32 v11, v11, v45
	v_xad_u32 v26, v11, v22, v23
	v_add_u32_e32 v11, v24, v26
	ds_read_b64 v[20:21], v11
	ds_read2st64_b64 v[12:15], v10 offset1:1
	ds_read2st64_b64 v[16:19], v10 offset0:2 offset1:3
	v_or_b32_e32 v10, 32, v0
	v_xor_b32_e32 v10, v25, v10
	v_or_b32_e32 v11, 0x440, v10
	v_cndmask_b32_e32 v10, v11, v10, vcc
	v_or_b32_e32 v10, v10, v45
	v_xad_u32 v27, v10, v22, v23
	v_add_u32_e32 v10, v24, v27
	ds_read_b64 v[10:11], v10
	s_waitcnt lgkmcnt(2)
	v_mfma_f32_16x16x16_bf16 a[0:3], v[20:21], v[12:13], 0
	s_waitcnt lgkmcnt(0)
	v_mfma_f32_16x16x16_bf16 a[0:3], v[10:11], v[14:15], a[0:3]
	v_or_b32_e32 v10, 64, v0
	v_xor_b32_e32 v10, v25, v10
	v_xor_b32_e32 v11, 0x440, v10
	v_cndmask_b32_e32 v10, v11, v10, vcc
	v_or_b32_e32 v10, v10, v45
	v_or_b32_e32 v0, 0x60, v0
	v_xad_u32 v28, v10, v22, v23
	v_xor_b32_e32 v0, v25, v0
	v_add_u32_e32 v10, v24, v28
	v_xor_b32_e32 v20, 0x440, v0
	ds_read_b64 v[10:11], v10
	v_cndmask_b32_e32 v0, v20, v0, vcc
	v_or_b32_e32 v0, v0, v45
	v_xad_u32 v0, v0, v22, v23
	v_add_u32_e32 v20, v24, v0
	ds_read_b64 v[20:21], v20
	s_waitcnt lgkmcnt(1)
	v_mfma_f32_16x16x16_bf16 a[0:3], v[10:11], v[16:17], a[0:3]
	ds_read_b64 v[10:11], v26 offset:8192
	ds_read_b64 v[22:23], v28 offset:8192
	v_exp_f32_e32 v24, s20
	s_waitcnt lgkmcnt(2)
	v_mfma_f32_16x16x16_bf16 a[0:3], v[20:21], v[18:19], a[0:3]
	ds_read_b64 v[20:21], v27 offset:8192
	s_waitcnt lgkmcnt(2)
	v_mfma_f32_16x16x16_bf16 a[4:7], v[10:11], v[12:13], 0
	s_nop 3
	v_accvgpr_read_b32 v10, a0
	v_fma_f32 v12, v2, v24, v10
	ds_read_b64 v[10:11], v0 offset:8192
	s_waitcnt lgkmcnt(1)
	v_mfma_f32_16x16x16_bf16 a[4:7], v[20:21], v[14:15], a[4:7]
	v_accvgpr_read_b32 v0, a1
	v_fma_f32 v13, v3, v24, v0
	v_accvgpr_read_b32 v0, a2
	v_mfma_f32_16x16x16_bf16 a[4:7], v[22:23], v[16:17], a[4:7]
	v_accvgpr_read_b32 v15, a3
	v_fma_f32 v14, v4, v24, v0
	v_fmac_f32_e32 v15, v5, v24
	s_waitcnt lgkmcnt(0)
	v_mfma_f32_16x16x16_bf16 a[0:3], v[10:11], v[18:19], a[4:7]
	v_mov_b32_e32 v10, v34
	s_nop 5
	v_accvgpr_read_b32 v0, a0
	v_fma_f32 v16, v6, v24, v0
	v_accvgpr_read_b32 v0, a1
	v_fma_f32 v17, v7, v24, v0
	v_accvgpr_read_b32 v0, a2
	v_accvgpr_read_b32 v19, a3
	v_fma_f32 v18, v8, v24, v0
	v_fmac_f32_e32 v19, v9, v24
	v_mov_b64_e32 v[2:3], v[12:13]
	v_mov_b64_e32 v[4:5], v[14:15]
	;; [unrolled: 1-line block ×4, first 2 shown]
.LBB549_77:
	s_mul_i32 s0, s47, s35
	s_mul_hi_u32 s1, s47, s34
	s_add_i32 s0, s1, s0
	s_mul_i32 s1, s33, s34
	s_add_i32 s1, s0, s1
	s_mul_i32 s0, s47, s34
	s_add_u32 s0, s0, s46
	s_addc_u32 s1, s1, s25
	s_lshl_b64 s[0:1], s[0:1], 15
	s_add_u32 s0, s8, s0
	v_lshlrev_b32_e32 v10, 7, v10
	s_addc_u32 s1, s9, s1
	v_ashrrev_i32_e32 v11, 31, v10
	v_lshl_add_u64 v[10:11], v[10:11], 1, s[0:1]
	v_lshlrev_b32_e32 v0, 1, v1
	v_mov_b32_e32 v1, 0
	s_mov_b32 s0, 0x7060302
	v_lshl_add_u64 v[0:1], v[10:11], 0, v[0:1]
	v_perm_b32 v5, v5, v4, s0
	v_perm_b32 v4, v3, v2, s0
	;; [unrolled: 1-line block ×4, first 2 shown]
	global_store_dwordx2 v[0:1], v[4:5], off
	global_store_dwordx2 v[0:1], v[2:3], off offset:128
	s_endpgm
	.section	.rodata,"a",@progbits
	.p2align	6, 0x0
	.amdhsa_kernel _ZN12_GLOBAL__N_139chunk_gated_delta_rule_fwd_h_hip_kernelILi16ELb0ELb1ELb1ELb1ELb1ELb0ELb1ELb1EEEvPK12hip_bfloat16S3_S3_PKfS5_PKvPS1_S8_PvPKiSB_iiiiilll
		.amdhsa_group_segment_fixed_size 40960
		.amdhsa_private_segment_fixed_size 0
		.amdhsa_kernarg_size 136
		.amdhsa_user_sgpr_count 2
		.amdhsa_user_sgpr_dispatch_ptr 0
		.amdhsa_user_sgpr_queue_ptr 0
		.amdhsa_user_sgpr_kernarg_segment_ptr 1
		.amdhsa_user_sgpr_dispatch_id 0
		.amdhsa_user_sgpr_kernarg_preload_length 0
		.amdhsa_user_sgpr_kernarg_preload_offset 0
		.amdhsa_user_sgpr_private_segment_size 0
		.amdhsa_uses_dynamic_stack 0
		.amdhsa_enable_private_segment 0
		.amdhsa_system_sgpr_workgroup_id_x 1
		.amdhsa_system_sgpr_workgroup_id_y 1
		.amdhsa_system_sgpr_workgroup_id_z 0
		.amdhsa_system_sgpr_workgroup_info 0
		.amdhsa_system_vgpr_workitem_id 0
		.amdhsa_next_free_vgpr 116
		.amdhsa_next_free_sgpr 66
		.amdhsa_accum_offset 108
		.amdhsa_reserve_vcc 1
		.amdhsa_float_round_mode_32 0
		.amdhsa_float_round_mode_16_64 0
		.amdhsa_float_denorm_mode_32 3
		.amdhsa_float_denorm_mode_16_64 3
		.amdhsa_dx10_clamp 1
		.amdhsa_ieee_mode 1
		.amdhsa_fp16_overflow 0
		.amdhsa_tg_split 0
		.amdhsa_exception_fp_ieee_invalid_op 0
		.amdhsa_exception_fp_denorm_src 0
		.amdhsa_exception_fp_ieee_div_zero 0
		.amdhsa_exception_fp_ieee_overflow 0
		.amdhsa_exception_fp_ieee_underflow 0
		.amdhsa_exception_fp_ieee_inexact 0
		.amdhsa_exception_int_div_zero 0
	.end_amdhsa_kernel
	.section	.text._ZN12_GLOBAL__N_139chunk_gated_delta_rule_fwd_h_hip_kernelILi16ELb0ELb1ELb1ELb1ELb1ELb0ELb1ELb1EEEvPK12hip_bfloat16S3_S3_PKfS5_PKvPS1_S8_PvPKiSB_iiiiilll,"axG",@progbits,_ZN12_GLOBAL__N_139chunk_gated_delta_rule_fwd_h_hip_kernelILi16ELb0ELb1ELb1ELb1ELb1ELb0ELb1ELb1EEEvPK12hip_bfloat16S3_S3_PKfS5_PKvPS1_S8_PvPKiSB_iiiiilll,comdat
.Lfunc_end549:
	.size	_ZN12_GLOBAL__N_139chunk_gated_delta_rule_fwd_h_hip_kernelILi16ELb0ELb1ELb1ELb1ELb1ELb0ELb1ELb1EEEvPK12hip_bfloat16S3_S3_PKfS5_PKvPS1_S8_PvPKiSB_iiiiilll, .Lfunc_end549-_ZN12_GLOBAL__N_139chunk_gated_delta_rule_fwd_h_hip_kernelILi16ELb0ELb1ELb1ELb1ELb1ELb0ELb1ELb1EEEvPK12hip_bfloat16S3_S3_PKfS5_PKvPS1_S8_PvPKiSB_iiiiilll
                                        ; -- End function
	.section	.AMDGPU.csdata,"",@progbits
; Kernel info:
; codeLenInByte = 7844
; NumSgprs: 72
; NumVgprs: 108
; NumAgprs: 8
; TotalNumVgprs: 116
; ScratchSize: 0
; MemoryBound: 0
; FloatMode: 240
; IeeeMode: 1
; LDSByteSize: 40960 bytes/workgroup (compile time only)
; SGPRBlocks: 8
; VGPRBlocks: 14
; NumSGPRsForWavesPerEU: 72
; NumVGPRsForWavesPerEU: 116
; AccumOffset: 108
; Occupancy: 1
; WaveLimiterHint : 1
; COMPUTE_PGM_RSRC2:SCRATCH_EN: 0
; COMPUTE_PGM_RSRC2:USER_SGPR: 2
; COMPUTE_PGM_RSRC2:TRAP_HANDLER: 0
; COMPUTE_PGM_RSRC2:TGID_X_EN: 1
; COMPUTE_PGM_RSRC2:TGID_Y_EN: 1
; COMPUTE_PGM_RSRC2:TGID_Z_EN: 0
; COMPUTE_PGM_RSRC2:TIDIG_COMP_CNT: 0
; COMPUTE_PGM_RSRC3_GFX90A:ACCUM_OFFSET: 26
; COMPUTE_PGM_RSRC3_GFX90A:TG_SPLIT: 0
	.section	.text._ZN12_GLOBAL__N_139chunk_gated_delta_rule_fwd_h_hip_kernelILi16ELb0ELb1ELb0ELb1ELb1ELb0ELb1ELb1EEEvPK12hip_bfloat16S3_S3_PKfS5_PKvPS1_S8_PvPKiSB_iiiiilll,"axG",@progbits,_ZN12_GLOBAL__N_139chunk_gated_delta_rule_fwd_h_hip_kernelILi16ELb0ELb1ELb0ELb1ELb1ELb0ELb1ELb1EEEvPK12hip_bfloat16S3_S3_PKfS5_PKvPS1_S8_PvPKiSB_iiiiilll,comdat
	.globl	_ZN12_GLOBAL__N_139chunk_gated_delta_rule_fwd_h_hip_kernelILi16ELb0ELb1ELb0ELb1ELb1ELb0ELb1ELb1EEEvPK12hip_bfloat16S3_S3_PKfS5_PKvPS1_S8_PvPKiSB_iiiiilll ; -- Begin function _ZN12_GLOBAL__N_139chunk_gated_delta_rule_fwd_h_hip_kernelILi16ELb0ELb1ELb0ELb1ELb1ELb0ELb1ELb1EEEvPK12hip_bfloat16S3_S3_PKfS5_PKvPS1_S8_PvPKiSB_iiiiilll
	.p2align	8
	.type	_ZN12_GLOBAL__N_139chunk_gated_delta_rule_fwd_h_hip_kernelILi16ELb0ELb1ELb0ELb1ELb1ELb0ELb1ELb1EEEvPK12hip_bfloat16S3_S3_PKfS5_PKvPS1_S8_PvPKiSB_iiiiilll,@function
_ZN12_GLOBAL__N_139chunk_gated_delta_rule_fwd_h_hip_kernelILi16ELb0ELb1ELb0ELb1ELb1ELb0ELb1ELb1EEEvPK12hip_bfloat16S3_S3_PKfS5_PKvPS1_S8_PvPKiSB_iiiiilll: ; @_ZN12_GLOBAL__N_139chunk_gated_delta_rule_fwd_h_hip_kernelILi16ELb0ELb1ELb0ELb1ELb1ELb0ELb1ELb1EEEvPK12hip_bfloat16S3_S3_PKfS5_PKvPS1_S8_PvPKiSB_iiiiilll
; %bb.0:
	s_load_dwordx4 s[16:19], s[0:1], 0x5c
	s_abs_i32 s23, s3
	s_ashr_i32 s22, s3, 31
	s_load_dwordx2 s[20:21], s[0:1], 0x50
	s_load_dwordx8 s[4:11], s[0:1], 0x0
	s_load_dwordx4 s[12:15], s[0:1], 0x40
	s_load_dwordx2 s[40:41], s[0:1], 0x30
	s_waitcnt lgkmcnt(0)
	s_abs_i32 s26, s17
	v_cvt_f32_u32_e32 v1, s26
	s_sub_i32 s24, 0, s26
	s_ashr_i32 s33, s17, 31
	s_xor_b32 s22, s22, s33
	v_rcp_iflag_f32_e32 v1, v1
	v_lshrrev_b32_e32 v46, 6, v0
	v_bfe_u32 v49, v0, 4, 2
	v_lshlrev_b32_e32 v47, 4, v46
	v_mul_f32_e32 v1, 0x4f7ffffe, v1
	v_cvt_u32_f32_e32 v1, v1
	v_lshlrev_b32_e32 v10, 2, v49
	v_and_b32_e32 v48, 63, v0
	v_mov_b32_e32 v9, 0
	v_readfirstlane_b32 s25, v1
	s_mul_i32 s24, s24, s25
	s_mul_hi_u32 s24, s25, s24
	s_add_i32 s25, s25, s24
	s_mul_hi_u32 s24, s23, s25
	s_mul_i32 s25, s24, s26
	s_sub_i32 s23, s23, s25
	s_add_i32 s27, s24, 1
	s_sub_i32 s25, s23, s26
	s_cmp_ge_u32 s23, s26
	s_cselect_b32 s24, s27, s24
	s_cselect_b32 s23, s25, s23
	s_add_i32 s25, s24, 1
	s_cmp_ge_u32 s23, s26
	s_cselect_b32 s23, s25, s24
	s_xor_b32 s23, s23, s22
	s_sub_i32 s34, s23, s22
	s_mul_i32 s22, s34, s17
	s_ashr_i32 s35, s34, 31
	s_sub_i32 s44, s3, s22
	s_lshl_b64 s[22:23], s[34:35], 2
	s_add_u32 s14, s14, s22
	s_addc_u32 s15, s15, s23
	s_add_u32 s24, s20, s22
	s_addc_u32 s25, s21, s23
	s_abs_i32 s3, s18
	v_cvt_f32_u32_e32 v1, s3
	s_load_dwordx2 s[36:37], s[14:15], 0x0
	s_sub_i32 s15, 0, s3
	s_mov_b32 s45, s17
	v_rcp_iflag_f32_e32 v1, v1
	v_and_b32_e32 v50, 15, v0
	s_waitcnt lgkmcnt(0)
	s_sub_i32 s49, s37, s36
	s_ashr_i32 s14, s49, 31
	v_mul_f32_e32 v1, 0x4f7ffffe, v1
	v_cvt_u32_f32_e32 v1, v1
	s_lshr_b32 s14, s14, 26
	s_add_i32 s14, s49, s14
	s_ashr_i32 s50, s14, 6
	v_readfirstlane_b32 s20, v1
	s_mul_i32 s15, s15, s20
	s_mul_hi_u32 s15, s20, s15
	s_add_i32 s20, s20, s15
	s_mul_hi_u32 s15, s26, s20
	s_mul_i32 s20, s15, s3
	s_ashr_i32 s14, s18, 31
	s_sub_i32 s20, s26, s20
	s_xor_b32 s14, s33, s14
	s_add_i32 s21, s15, 1
	s_sub_i32 s22, s20, s3
	s_cmp_ge_u32 s20, s3
	s_cselect_b32 s15, s21, s15
	s_cselect_b32 s20, s22, s20
	s_add_i32 s21, s15, 1
	s_cmp_ge_u32 s20, s3
	s_cselect_b32 s3, s21, s15
	s_xor_b32 s3, s3, s14
	s_sub_i32 s3, s3, s14
	s_abs_i32 s26, s3
	v_cvt_f32_u32_e32 v1, s26
	s_load_dwordx2 s[14:15], s[0:1], 0x80
	s_load_dwordx4 s[20:23], s[0:1], 0x70
	s_load_dword s51, s[24:25], 0x0
	s_xor_b32 s0, s44, s3
	v_rcp_iflag_f32_e32 v1, v1
	s_sub_i32 s3, 0, s26
	s_abs_i32 s1, s44
	s_ashr_i32 s0, s0, 31
	v_mul_f32_e32 v1, 0x4f7ffffe, v1
	v_cvt_u32_f32_e32 v1, v1
	s_mul_hi_i32 s52, s44, s16
	s_mul_i32 s53, s44, s16
	v_lshrrev_b32_e32 v52, 3, v48
	v_readfirstlane_b32 s24, v1
	s_mul_i32 s3, s3, s24
	s_mul_hi_u32 s3, s24, s3
	s_add_i32 s24, s24, s3
	s_mul_hi_u32 s3, s1, s24
	s_mul_i32 s24, s3, s26
	s_sub_i32 s1, s1, s24
	s_add_i32 s24, s3, 1
	s_sub_i32 s25, s1, s26
	s_cmp_ge_u32 s1, s26
	s_cselect_b32 s3, s24, s3
	s_cselect_b32 s1, s25, s1
	s_add_i32 s24, s3, 1
	s_cmp_ge_u32 s1, s26
	s_cselect_b32 s1, s24, s3
	s_xor_b32 s1, s1, s0
	s_sub_i32 s54, s1, s0
	v_or_b32_e32 v1, v10, v47
	s_lshl_b32 s2, s2, 4
	v_or_b32_e32 v53, 64, v1
	s_cmp_lt_i32 s49, 64
	v_lshlrev_b32_e32 v51, 3, v0
	s_waitcnt lgkmcnt(0)
	s_mul_i32 s46, s34, s21
	s_mul_hi_u32 s47, s34, s20
	s_mul_i32 s48, s35, s20
	s_mul_i32 s38, s34, s20
	v_mov_b32_e32 v8, v9
	v_mov_b32_e32 v7, v9
	;; [unrolled: 1-line block ×7, first 2 shown]
	s_cbranch_scc1 .LBB550_18
; %bb.1:
	s_ashr_i32 s56, s44, 31
	s_ashr_i32 s1, s36, 31
	s_add_u32 s0, s53, s36
	s_addc_u32 s1, s52, s1
	s_lshl_b64 s[0:1], s[0:1], 8
	v_and_b32_e32 v55, 56, v51
	s_add_u32 s24, s6, s0
	v_lshl_or_b32 v54, v46, 3, v52
	v_lshlrev_b32_e32 v3, 1, v55
	s_addc_u32 s0, s7, s1
	v_lshl_or_b32 v56, v54, 8, v3
	s_and_b32 s25, s0, 0xffff
	s_mov_b32 s27, 0x20000
	s_movk_i32 s26, 0x4000
	s_movk_i32 s0, 0x80
	v_or_b32_e32 v57, 0x2000, v56
	buffer_load_dwordx4 v[4:7], v56, s[24:27], 0 offen
	buffer_load_dwordx4 v[12:15], v56, s[24:27], s0 offen
	;; [unrolled: 1-line block ×4, first 2 shown]
	v_lshlrev_b32_e32 v2, 3, v54
	v_and_or_b32 v9, v0, 7, v2
	v_and_b32_e32 v2, 0x78, v2
	v_lshlrev_b32_e32 v9, 4, v9
	v_xor_b32_e32 v58, v9, v2
	v_mul_lo_u32 v8, v54, s19
	v_or_b32_e32 v59, 0x1000, v58
	v_xor_b32_e32 v2, 8, v58
	s_cmpk_eq_i32 s19, 0x80
	s_mov_b32 s55, s36
	v_xor_b32_e32 v9, 8, v59
	s_cselect_b64 s[0:1], -1, 0
	s_cmpk_lg_i32 s19, 0x80
	s_waitcnt vmcnt(3)
	ds_write_b64 v58, v[4:5] offset:16384
	ds_write_b64 v2, v[6:7] offset:16384
	s_waitcnt vmcnt(2)
	ds_write_b64 v58, v[12:13] offset:24576
	ds_write_b64 v2, v[14:15] offset:24576
	;; [unrolled: 3-line block ×4, first 2 shown]
	v_lshl_add_u32 v2, v8, 1, v55
	s_cbranch_scc0 .LBB550_3
; %bb.2:
	v_lshlrev_b32_e32 v6, 1, v2
	v_add_lshl_u32 v5, v2, s19, 1
	s_lshl_b32 s26, s19, 7
	v_lshl_or_b32 v4, v54, 9, v3
	s_cbranch_execz .LBB550_4
	s_branch .LBB550_5
.LBB550_3:
                                        ; implicit-def: $vgpr5
                                        ; implicit-def: $vgpr6
                                        ; implicit-def: $sgpr26
	v_lshl_or_b32 v4, v54, 9, v3
.LBB550_4:
	v_or_b32_e32 v5, 0x100, v4
	s_movk_i32 s26, 0x4000
	v_mov_b32_e32 v6, v4
.LBB550_5:
	s_mul_i32 s20, s36, s18
	s_ashr_i32 s57, s54, 31
	s_mul_hi_i32 s3, s36, s18
	s_add_u32 s20, s20, s54
	s_addc_u32 s21, s3, s57
	s_lshl_b64 s[20:21], s[20:21], 8
	s_add_u32 s24, s4, s20
	s_addc_u32 s3, s5, s21
	s_and_b32 s25, s3, 0xffff
	s_movk_i32 s58, 0x80
	buffer_load_dwordx4 v[12:15], v6, s[24:27], 0 offen
	buffer_load_dwordx4 v[16:19], v6, s[24:27], s58 offen
	;; [unrolled: 1-line block ×4, first 2 shown]
	v_and_b32_e32 v3, 6, v0
	v_lshlrev_b32_e32 v6, 2, v50
	v_lshlrev_b32_e32 v7, 3, v50
	v_xor_b32_e32 v9, v54, v3
	v_and_b32_e32 v5, 1, v0
	v_lshl_or_b32 v7, v1, 5, v7
	v_xor_b32_e32 v11, v1, v6
	v_lshlrev_b32_e32 v9, 2, v9
	s_mul_i32 s3, s44, s23
	s_mul_hi_u32 s21, s44, s22
	v_or_b32_e32 v60, 0x9000, v7
	v_or_b32_e32 v61, 0x9800, v7
	v_lshlrev_b32_e32 v7, 1, v11
	v_xor_b32_e32 v11, 0x440, v9
	v_cmp_eq_u32_e32 vcc, 0, v5
	s_add_i32 s25, s47, s46
	s_mul_i32 s24, s56, s22
	v_cndmask_b32_e32 v5, v11, v9, vcc
	s_add_i32 s3, s21, s3
	s_add_i32 s39, s25, s48
	s_mov_b32 s59, 0x1000504
	v_lshlrev_b32_e32 v8, 8, v50
	s_mov_b32 s26, 0x8000
	v_xor_b32_e32 v6, v53, v6
	v_lshl_or_b32 v3, v3, 10, v5
	s_add_i32 s21, s3, s24
	s_lshl_b64 s[24:25], s[38:39], 2
	s_mov_b32 s60, 0x3020706
	s_mul_i32 s20, s44, s22
	v_lshlrev_b32_e32 v6, 1, v6
	v_or3_b32 v62, v7, v8, s26
	v_xor_b32_e32 v5, 8, v3
	v_xor_b32_e32 v7, 24, v3
	;; [unrolled: 1-line block ×4, first 2 shown]
	s_add_u32 s3, s10, s24
	v_or3_b32 v63, v6, v8, s26
	v_xor_b32_e32 v6, 16, v3
	v_xor_b32_e32 v8, 32, v3
	;; [unrolled: 1-line block ×3, first 2 shown]
	v_add_u32_e32 v5, 0x80, v5
	v_add_u32_e32 v7, 0x80, v7
	;; [unrolled: 1-line block ×4, first 2 shown]
	s_addc_u32 s24, s11, s25
	s_lshl_b64 s[20:21], s[20:21], 2
	s_add_u32 s20, s3, s20
	s_movk_i32 s3, 0xf8
	s_addc_u32 s21, s24, s21
	s_lshl_b32 s30, s19, 7
	s_mov_b32 s61, 0
	v_add_u32_e32 v78, v47, v10
	s_waitcnt vmcnt(1)
	v_perm_b32 v29, v12, v20, s59
	s_waitcnt vmcnt(0)
	v_perm_b32 v30, v16, v24, s59
	v_perm_b32 v12, v12, v20, s60
	v_perm_b32 v16, v16, v24, s60
	v_perm_b32 v20, v13, v21, s59
	v_perm_b32 v24, v17, v25, s59
	v_perm_b32 v13, v13, v21, s60
	v_perm_b32 v17, v17, v25, s60
	v_perm_b32 v21, v14, v22, s59
	v_perm_b32 v25, v18, v26, s59
	v_perm_b32 v14, v14, v22, s60
	v_perm_b32 v18, v18, v26, s60
	v_perm_b32 v22, v15, v23, s59
	v_perm_b32 v26, v19, v27, s59
	v_perm_b32 v15, v15, v23, s60
	v_perm_b32 v19, v19, v27, s60
	ds_write2st64_b32 v3, v29, v30 offset1:32
	ds_write2st64_b32 v5, v12, v16 offset1:32
	ds_write2st64_b32 v6, v20, v24 offset0:1 offset1:33
	ds_write2st64_b32 v7, v13, v17 offset0:1 offset1:33
	;; [unrolled: 1-line block ×6, first 2 shown]
	v_or_b32_e32 v3, v47, v50
	v_lshlrev_b32_e32 v3, 3, v3
	v_lshrrev_b32_e32 v7, 5, v48
	v_and_or_b32 v7, v3, s3, v7
	v_lshlrev_b32_e32 v7, 4, v7
	v_lshlrev_b32_e32 v5, 11, v46
	v_and_b32_e32 v3, 0x78, v3
	v_or_b32_e32 v12, 32, v7
	v_and_b32_e32 v6, 0x1000, v5
	v_lshrrev_b32_e32 v11, 1, v0
	v_xor_b32_e32 v12, v12, v3
	v_and_b32_e32 v9, 8, v11
	v_or_b32_e32 v12, v12, v6
	v_xor_b32_e32 v8, v7, v3
	v_xor_b32_e32 v66, v12, v9
	v_or_b32_e32 v12, 64, v7
	v_or_b32_e32 v7, 0x60, v7
	;; [unrolled: 1-line block ×3, first 2 shown]
	v_xor_b32_e32 v12, v12, v3
	v_xor_b32_e32 v3, v7, v3
	;; [unrolled: 1-line block ×3, first 2 shown]
	v_and_b32_e32 v8, 0x78, v51
	v_or_b32_e32 v12, v12, v6
	v_or_b32_e32 v3, v3, v6
	v_lshl_or_b32 v8, v49, 7, v8
	v_xor_b32_e32 v67, v12, v9
	v_xor_b32_e32 v68, v3, v9
	v_lshlrev_b32_e32 v12, 1, v2
	v_add_lshl_u32 v13, v2, s19, 1
	v_lshrrev_b32_e32 v2, 4, v0
	v_lshlrev_b32_e32 v3, 1, v50
	v_or_b32_e32 v65, 0x9000, v8
	v_or_b32_e32 v69, 0x9800, v8
	s_ashr_i32 s3, s2, 31
	v_or_b32_e32 v8, 1, v3
	v_xor_b32_e32 v3, v2, v3
	s_lshl_b64 s[24:25], s[2:3], 8
	v_xor_b32_e32 v8, v8, v2
	v_lshlrev_b32_e32 v3, 3, v3
	v_lshlrev_b32_e32 v2, 8, v2
	s_add_u32 s24, s40, s24
	v_or3_b32 v70, v3, v2, s26
	v_lshlrev_b32_e32 v3, 3, v8
	s_addc_u32 s25, s41, s25
	v_or3_b32 v71, v3, v2, s26
	v_mov_b32_e32 v3, 0
	v_lshl_add_u64 v[8:9], s[24:25], 0, v[2:3]
	v_lshlrev_b32_e32 v2, 4, v50
	s_movk_i32 s3, 0xff
	v_lshlrev_b32_e32 v16, 3, v46
	v_and_b32_e32 v11, 24, v11
	v_lshl_add_u64 v[42:43], v[8:9], 0, v[2:3]
	v_and_b32_e32 v8, 8, v0
	v_cmp_lt_u32_e32 vcc, s3, v0
	v_xor_b32_e32 v17, v16, v11
	v_or_b32_e32 v18, 0x440, v17
	v_cndmask_b32_e64 v15, 0, 1, vcc
	v_cmp_eq_u32_e32 vcc, 0, v8
	v_and_b32_e32 v2, 7, v0
	v_lshlrev_b32_e32 v9, 3, v2
	v_cndmask_b32_e32 v8, v18, v17, vcc
	v_lshlrev_b32_e32 v2, 7, v2
	v_or_b32_e32 v8, v8, v5
	v_xad_u32 v72, v8, v9, v2
	v_or_b32_e32 v8, 32, v11
	v_xor_b32_e32 v8, v16, v8
	v_or_b32_e32 v17, 0x440, v8
	v_cndmask_b32_e32 v8, v17, v8, vcc
	v_or_b32_e32 v8, v8, v5
	v_xad_u32 v73, v8, v9, v2
	v_or_b32_e32 v8, 64, v11
	v_xor_b32_e32 v8, v16, v8
	v_xor_b32_e32 v17, 0x440, v8
	v_cndmask_b32_e32 v8, v17, v8, vcc
	v_or_b32_e32 v8, v8, v5
	v_xad_u32 v74, v8, v9, v2
	v_or_b32_e32 v8, 0x60, v11
	v_xor_b32_e32 v8, v16, v8
	v_xor_b32_e32 v11, 0x440, v8
	v_or_b32_e32 v6, s2, v50
	v_cndmask_b32_e32 v8, v11, v8, vcc
	v_ashrrev_i32_e32 v7, 31, v6
	v_or_b32_e32 v5, v8, v5
	v_lshl_add_u64 v[6:7], v[6:7], 1, s[8:9]
	v_or_b32_e32 v14, 0x100, v4
	v_lshlrev_b32_e32 v15, 13, v15
	v_xad_u32 v75, v5, v9, v2
	v_lshlrev_b32_e32 v2, 8, v1
	v_cndmask_b32_e64 v76, v12, v4, s[0:1]
	v_cndmask_b32_e64 v77, v13, v14, s[0:1]
	v_lshl_add_u64 v[44:45], v[6:7], 0, v[2:3]
	s_mov_b32 s3, 0x7060302
	s_movk_i32 s26, 0x4000
	v_add_u32_e32 v79, v15, v72
	v_add_u32_e32 v80, v15, v73
	;; [unrolled: 1-line block ×4, first 2 shown]
	v_mov_b32_e32 v2, v3
	v_mov_b32_e32 v4, v3
	;; [unrolled: 1-line block ×7, first 2 shown]
	s_waitcnt lgkmcnt(0)
	s_barrier
.LBB550_6:                              ; =>This Inner Loop Header: Depth=1
	s_add_i32 s39, s61, 1
	s_cmp_lt_i32 s39, s50
	s_mov_b64 s[28:29], 0
	s_cselect_b64 s[42:43], -1, 0
	s_cmp_ge_i32 s39, s50
	s_mov_b64 s[24:25], 0
	s_cbranch_scc1 .LBB550_8
; %bb.7:                                ;   in Loop: Header=BB550_6 Depth=1
	s_add_i32 s0, s55, 64
	s_ashr_i32 s1, s0, 31
	s_add_u32 s0, s53, s0
	s_addc_u32 s1, s52, s1
	s_lshl_b64 s[0:1], s[0:1], 8
	s_add_u32 s24, s6, s0
	s_addc_u32 s25, s7, s1
.LBB550_8:                              ;   in Loop: Header=BB550_6 Depth=1
	v_cndmask_b32_e64 v5, 0, 1, s[42:43]
	v_cmp_ne_u32_e64 s[0:1], 1, v5
	s_andn2_b64 vcc, exec, s[42:43]
	s_cbranch_vccnz .LBB550_10
; %bb.9:                                ;   in Loop: Header=BB550_6 Depth=1
	s_add_i32 s28, s55, 64
	s_mul_hi_i32 s29, s28, s18
	s_mul_i32 s28, s28, s18
	s_add_u32 s28, s28, s54
	s_addc_u32 s29, s29, s57
	s_lshl_b64 s[28:29], s[28:29], 8
	s_add_u32 s28, s4, s28
	s_addc_u32 s29, s5, s29
.LBB550_10:                             ;   in Loop: Header=BB550_6 Depth=1
	v_perm_b32 v11, v84, v4, s3
	v_perm_b32 v10, v3, v2, s3
	;; [unrolled: 1-line block ×4, first 2 shown]
	ds_write_b64 v60, v[10:11]
	ds_write_b64 v61, v[12:13]
	;; [unrolled: 1-line block ×4, first 2 shown]
	s_waitcnt lgkmcnt(0)
	s_barrier
	ds_read_b64 v[18:19], v64 offset:16384
	ds_read_b64 v[20:21], v66 offset:16384
	ds_read2st64_b64 v[10:13], v65 offset1:1
	s_waitcnt lgkmcnt(0)
	v_mfma_f32_16x16x16_bf16 a[0:3], v[18:19], v[10:11], 0
	ds_read2st64_b64 v[14:17], v65 offset0:2 offset1:3
	ds_read_b64 v[22:23], v67 offset:16384
	ds_read_b64 v[10:11], v68 offset:16384
	s_add_i32 s31, s55, 63
	v_mfma_f32_16x16x16_bf16 a[0:3], v[20:21], v[12:13], a[0:3]
	s_ashr_i32 s42, s31, 31
	s_mul_i32 s43, s31, s15
	s_mul_hi_u32 s62, s31, s14
	s_waitcnt lgkmcnt(1)
	v_mfma_f32_16x16x16_bf16 a[0:3], v[22:23], v[14:15], a[0:3]
	s_add_i32 s43, s62, s43
	s_mul_i32 s42, s42, s14
	s_add_i32 s43, s43, s42
	s_mul_i32 s42, s31, s14
	s_waitcnt lgkmcnt(0)
	v_mfma_f32_16x16x16_bf16 a[0:3], v[10:11], v[16:17], a[0:3]
	s_lshl_b64 s[42:43], s[42:43], 2
	s_add_u32 s42, s20, s42
	s_addc_u32 s43, s21, s43
	s_and_b64 vcc, exec, s[0:1]
	v_mov_b32_e32 v85, 0
	v_mov_b32_e32 v9, 0
	;; [unrolled: 1-line block ×19, first 2 shown]
	s_cbranch_vccnz .LBB550_12
; %bb.11:                               ;   in Loop: Header=BB550_6 Depth=1
	s_and_b32 s25, s25, 0xffff
	buffer_load_dwordx4 v[22:25], v56, s[24:27], 0 offen
	buffer_load_dwordx4 v[18:21], v56, s[24:27], s58 offen
	;; [unrolled: 1-line block ×4, first 2 shown]
	v_mov_b32_e32 v9, v58
	v_mov_b32_e32 v5, v59
.LBB550_12:                             ;   in Loop: Header=BB550_6 Depth=1
	s_waitcnt vmcnt(3)
	v_add_u32_e32 v30, s55, v78
	s_waitcnt vmcnt(1)
	v_ashrrev_i32_e32 v26, 31, v30
	v_mul_lo_u32 v28, v26, s14
	v_mul_lo_u32 v29, v30, s15
	v_mad_u64_u32 v[26:27], s[24:25], v30, s14, 0
	v_add3_u32 v27, v27, v29, v28
	v_lshl_add_u64 v[26:27], v[26:27], 2, s[20:21]
	global_load_dword v87, v[26:27], off
	v_add_u32_e32 v26, 1, v30
	v_ashrrev_i32_e32 v27, 31, v26
	v_mul_lo_u32 v28, v27, s14
	v_mul_lo_u32 v29, v26, s15
	v_mad_u64_u32 v[26:27], s[24:25], v26, s14, 0
	v_add3_u32 v27, v27, v29, v28
	v_add_u32_e32 v28, 2, v30
	v_ashrrev_i32_e32 v29, 31, v28
	v_mul_lo_u32 v31, v29, s14
	v_mul_lo_u32 v32, v28, s15
	v_mad_u64_u32 v[28:29], s[24:25], v28, s14, 0
	v_add_u32_e32 v30, 3, v30
	v_add3_u32 v29, v29, v32, v31
	v_ashrrev_i32_e32 v31, 31, v30
	v_mul_lo_u32 v34, v31, s14
	v_mul_lo_u32 v35, v30, s15
	v_mad_u64_u32 v[30:31], s[24:25], v30, s14, 0
	s_ashr_i32 s25, s55, 31
	s_add_u32 s24, s53, s55
	s_addc_u32 s25, s52, s25
	s_lshl_b64 s[24:25], s[24:25], 8
	v_lshl_add_u64 v[26:27], v[26:27], 2, s[20:21]
	v_lshl_add_u64 v[32:33], v[44:45], 0, s[24:25]
	v_add3_u32 v31, v31, v35, v34
	v_lshl_add_u64 v[28:29], v[28:29], 2, s[20:21]
	global_load_ushort v94, v[32:33], off
	global_load_ushort v95, v[32:33], off offset:256
	global_load_ushort v96, v[32:33], off offset:512
	;; [unrolled: 1-line block ×3, first 2 shown]
	v_lshl_add_u64 v[30:31], v[30:31], 2, s[20:21]
	global_load_dword v98, v[26:27], off
	global_load_dword v99, v[28:29], off
	;; [unrolled: 1-line block ×3, first 2 shown]
	s_load_dword s24, s[42:43], 0x0
	ds_read2st64_b64 v[34:37], v69 offset1:1
	ds_read2st64_b64 v[38:41], v69 offset0:2 offset1:3
	ds_read_b64 v[32:33], v64 offset:24576
	ds_read_b64 v[88:89], v66 offset:24576
	ds_read_b64 v[90:91], v67 offset:24576
	ds_read_b64 v[92:93], v68 offset:24576
	s_waitcnt lgkmcnt(0)
	v_mfma_f32_16x16x16_bf16 a[0:3], v[32:33], v[34:35], a[0:3]
	v_mov_b32_e32 v86, 0
	v_mov_b32_e32 v26, 0
	v_mov_b32_e32 v27, 0
	v_mfma_f32_16x16x16_bf16 a[0:3], v[88:89], v[36:37], a[0:3]
	v_mov_b32_e32 v28, 0
	v_mov_b32_e32 v29, 0
	v_mov_b32_e32 v30, 0
	v_mfma_f32_16x16x16_bf16 a[0:3], v[90:91], v[38:39], a[0:3]
	v_mov_b32_e32 v31, 0
	v_mov_b32_e32 v32, 0
	v_mov_b32_e32 v33, 0
	v_mfma_f32_16x16x16_bf16 a[0:3], v[92:93], v[40:41], a[0:3]
	v_mov_b32_e32 v34, 0
	v_mov_b32_e32 v35, 0
	v_mov_b32_e32 v36, 0
	v_mov_b32_e32 v37, 0
	v_mov_b32_e32 v38, 0
	;; [unrolled: 1-line block ×3, first 2 shown]
	s_and_b64 vcc, exec, s[0:1]
	v_accvgpr_read_b32 v89, a1
	v_accvgpr_read_b32 v41, a3
	;; [unrolled: 1-line block ×4, first 2 shown]
	s_waitcnt vmcnt(7)
	v_sub_f32_e32 v87, s24, v87
	s_waitcnt vmcnt(6)
	v_lshlrev_b32_e32 v90, 16, v94
	v_exp_f32_e32 v94, v87
	s_waitcnt vmcnt(4)
	v_lshlrev_b32_e32 v92, 16, v96
	s_waitcnt vmcnt(3)
	v_lshlrev_b32_e32 v93, 16, v97
	s_waitcnt vmcnt(2)
	v_sub_f32_e32 v87, s24, v98
	s_waitcnt vmcnt(1)
	v_sub_f32_e32 v96, s24, v99
	;; [unrolled: 2-line block ×3, first 2 shown]
	v_lshlrev_b32_e32 v91, 16, v95
	v_exp_f32_e32 v95, v87
	v_exp_f32_e32 v96, v96
	;; [unrolled: 1-line block ×3, first 2 shown]
	v_pk_add_f32 v[88:89], v[90:91], v[88:89] neg_lo:[0,1] neg_hi:[0,1]
	v_pk_add_f32 v[40:41], v[92:93], v[40:41] neg_lo:[0,1] neg_hi:[0,1]
	v_pk_mul_f32 v[88:89], v[94:95], v[88:89]
	v_pk_mul_f32 v[40:41], v[96:97], v[40:41]
	s_nop 0
	v_perm_b32 v41, v41, v40, s3
	v_perm_b32 v40, v89, v88, s3
	ds_write_b64 v61, v[40:41]
	v_mov_b32_e32 v40, 0
	v_mov_b32_e32 v41, 0
	s_cbranch_vccnz .LBB550_14
; %bb.13:                               ;   in Loop: Header=BB550_6 Depth=1
	s_and_b32 s29, s29, 0xffff
	s_mov_b32 s31, s27
	buffer_load_dwordx4 v[38:41], v76, s[28:31], 0 offen
	buffer_load_dwordx4 v[30:33], v76, s[28:31], s58 offen
	;; [unrolled: 1-line block ×4, first 2 shown]
	v_mov_b32_e32 v85, v55
	v_mov_b32_e32 v86, v54
.LBB550_14:                             ;   in Loop: Header=BB550_6 Depth=1
	s_waitcnt lgkmcnt(0)
	s_barrier
	ds_read_b64 v[96:97], v79
	ds_read2st64_b64 v[88:91], v69 offset1:1
	ds_read2st64_b64 v[92:95], v69 offset0:2 offset1:3
	ds_read_b64 v[98:99], v80
	ds_read_b64 v[100:101], v81
	;; [unrolled: 1-line block ×3, first 2 shown]
	s_waitcnt lgkmcnt(4)
	v_mfma_f32_16x16x16_bf16 a[0:3], v[96:97], v[88:89], 0
	ds_read_b64 v[96:97], v72 offset:8192
	ds_read_b64 v[104:105], v73 offset:8192
	s_add_i32 s25, s51, s61
	s_mul_hi_i32 s29, s25, s45
	s_waitcnt lgkmcnt(1)
	v_mfma_f32_16x16x16_bf16 a[4:7], v[96:97], v[88:89], 0
	s_mul_i32 s25, s25, s45
	s_add_u32 s28, s25, s44
	s_addc_u32 s29, s29, s56
	v_mfma_f32_16x16x16_bf16 a[0:3], v[98:99], v[90:91], a[0:3]
	ds_read_b64 v[96:97], v70
	ds_read_b64 v[98:99], v71
	ds_read_b64 v[88:89], v74 offset:8192
	s_lshl_b64 s[28:29], s[28:29], 15
	v_mfma_f32_16x16x16_bf16 a[0:3], v[100:101], v[92:93], a[0:3]
	ds_read_b64 v[100:101], v75 offset:8192
	s_and_b64 vcc, exec, s[0:1]
	s_waitcnt lgkmcnt(4)
	v_mfma_f32_16x16x16_bf16 a[4:7], v[104:105], v[90:91], a[4:7]
	s_waitcnt lgkmcnt(1)
	v_mfma_f32_16x16x16_bf16 a[4:7], v[88:89], v[92:93], a[4:7]
	v_lshl_add_u64 v[88:89], v[42:43], 0, s[28:29]
	global_store_dwordx4 v[88:89], v[96:99], off
	v_mfma_f32_16x16x16_bf16 a[0:3], v[102:103], v[94:95], a[0:3]
	s_waitcnt lgkmcnt(0)
	v_mfma_f32_16x16x16_bf16 a[4:7], v[100:101], v[94:95], a[4:7]
	s_cbranch_vccnz .LBB550_16
; %bb.15:                               ;   in Loop: Header=BB550_6 Depth=1
	v_lshrrev_b32_e32 v87, 3, v85
	v_and_b32_e32 v87, 6, v87
	v_xor_b32_e32 v86, v87, v86
	v_lshlrev_b32_e32 v86, 2, v86
	v_and_b32_e32 v85, 8, v85
	v_xor_b32_e32 v88, 0x440, v86
	v_cmp_eq_u32_e32 vcc, 0, v85
	s_barrier
	s_nop 0
	v_cndmask_b32_e32 v85, v88, v86, vcc
	v_lshl_or_b32 v85, v87, 10, v85
	s_waitcnt vmcnt(2)
	v_perm_b32 v86, v38, v34, s59
	s_waitcnt vmcnt(1)
	v_perm_b32 v87, v30, v26, s59
	ds_write2st64_b32 v85, v86, v87 offset1:32
	v_xor_b32_e32 v86, 8, v85
	v_perm_b32 v34, v38, v34, s60
	v_perm_b32 v26, v30, v26, s60
	v_add_u32_e32 v30, 0x80, v86
	ds_write2st64_b32 v30, v34, v26 offset1:32
	v_xor_b32_e32 v26, 16, v85
	v_perm_b32 v30, v39, v35, s59
	v_perm_b32 v34, v31, v27, s59
	ds_write2st64_b32 v26, v30, v34 offset0:1 offset1:33
	v_xor_b32_e32 v26, 24, v85
	v_perm_b32 v30, v39, v35, s60
	v_perm_b32 v27, v31, v27, s60
	v_add_u32_e32 v26, 0x80, v26
	ds_write2st64_b32 v26, v30, v27 offset0:1 offset1:33
	v_xor_b32_e32 v26, 32, v85
	v_perm_b32 v27, v40, v36, s59
	v_perm_b32 v30, v32, v28, s59
	ds_write2st64_b32 v26, v27, v30 offset0:2 offset1:34
	v_xor_b32_e32 v26, 40, v85
	v_perm_b32 v27, v40, v36, s60
	v_perm_b32 v28, v32, v28, s60
	v_add_u32_e32 v26, 0x80, v26
	ds_write2st64_b32 v26, v27, v28 offset0:2 offset1:34
	;; [unrolled: 9-line block ×3, first 2 shown]
	ds_write_b64 v9, v[22:23] offset:16384
	v_xor_b32_e32 v22, 8, v9
	ds_write_b64 v22, v[24:25] offset:16384
	ds_write_b64 v9, v[18:19] offset:24576
	;; [unrolled: 1-line block ×4, first 2 shown]
	v_xor_b32_e32 v9, 8, v5
	ds_write_b64 v9, v[16:17] offset:16384
	ds_write_b64 v5, v[10:11] offset:24576
	;; [unrolled: 1-line block ×3, first 2 shown]
.LBB550_16:                             ;   in Loop: Header=BB550_6 Depth=1
	v_exp_f32_e32 v10, s24
	s_nop 2
	v_accvgpr_read_b32 v9, a1
	v_accvgpr_read_b32 v5, a0
	s_add_i32 s55, s55, 64
	v_fma_f32 v3, v3, v10, v9
	v_accvgpr_read_b32 v9, a4
	v_fma_f32 v6, v6, v10, v9
	v_accvgpr_read_b32 v9, a5
	;; [unrolled: 2-line block ×6, first 2 shown]
	v_fmac_f32_e32 v5, v84, v10
	s_cmp_eq_u32 s50, s39
	v_fmac_f32_e32 v9, v83, v10
	s_cbranch_scc1 .LBB550_18
; %bb.17:                               ;   in Loop: Header=BB550_6 Depth=1
	s_mov_b32 s61, s39
	v_mov_b32_e32 v84, v5
	v_mov_b32_e32 v83, v9
	s_branch .LBB550_6
.LBB550_18:
	s_lshl_b32 s3, s50, 6
	s_sub_i32 s49, s49, s3
	s_cmp_gt_i32 s49, 0
	s_waitcnt vmcnt(2)
	v_or_b32_e32 v34, s2, v50
	s_cbranch_scc1 .LBB550_20
; %bb.19:
	s_ashr_i32 s21, s44, 31
	v_or_b32_e32 v10, s2, v50
	s_cbranch_execz .LBB550_21
	s_branch .LBB550_77
.LBB550_20:
                                        ; implicit-def: $vgpr10
                                        ; implicit-def: $sgpr20_sgpr21
.LBB550_21:
	s_add_i32 s20, s3, s36
	s_ashr_i32 s3, s20, 31
	s_cmpk_lg_i32 s19, 0x80
	s_cselect_b64 s[30:31], -1, 0
	s_and_b64 vcc, exec, s[30:31]
	s_cbranch_vccz .LBB550_23
; %bb.22:
	s_mul_hi_i32 s0, s20, s18
	s_mul_i32 s1, s20, s18
	s_ashr_i32 s18, s54, 31
	s_add_u32 s42, s1, s54
	s_addc_u32 s43, s0, s18
	s_cbranch_execz .LBB550_24
	s_branch .LBB550_25
.LBB550_23:
                                        ; implicit-def: $sgpr42_sgpr43
.LBB550_24:
	s_mul_i32 s1, s54, s16
	s_mul_hi_i32 s0, s54, s16
	s_add_u32 s42, s1, s20
	s_addc_u32 s43, s0, s3
.LBB550_25:
	s_add_i32 s16, s50, s51
	s_ashr_i32 s21, s44, 31
	s_add_u32 s0, s53, s20
	s_addc_u32 s1, s52, s3
	s_mov_b32 s3, 0x7060302
	v_lshlrev_b32_e32 v14, 3, v50
	s_lshl_b64 s[28:29], s[0:1], 8
	v_perm_b32 v11, v5, v4, s3
	v_perm_b32 v10, v3, v2, s3
	;; [unrolled: 1-line block ×4, first 2 shown]
	v_lshlrev_b32_e32 v44, 2, v50
	v_lshl_or_b32 v14, v1, 5, v14
	s_add_u32 s0, s6, s28
	ds_write2st64_b64 v14, v[10:11], v[12:13] offset0:72 offset1:76
	v_xor_b32_e32 v14, v1, v44
	v_lshlrev_b32_e32 v15, 8, v50
	s_addc_u32 s1, s7, s29
	v_lshl_or_b32 v14, v14, 1, v15
	s_mul_hi_i32 s3, s16, s17
	s_mul_i32 s16, s16, s17
	ds_write_b64 v14, v[10:11] offset:32768
	v_xor_b32_e32 v10, v53, v44
	s_add_u32 s6, s16, s44
	v_lshl_or_b32 v10, v10, 1, v15
	s_addc_u32 s7, s3, s21
	v_lshlrev_b32_e32 v11, 1, v50
	ds_write_b64 v10, v[12:13] offset:32768
	v_lshrrev_b32_e32 v10, 4, v0
	s_ashr_i32 s3, s2, 31
	s_lshl_b64 s[6:7], s[6:7], 15
	v_or_b32_e32 v12, 1, v11
	s_add_u32 s6, s40, s6
	v_xor_b32_e32 v11, v10, v11
	v_xor_b32_e32 v12, v12, v10
	v_lshlrev_b32_e32 v14, 8, v10
	s_addc_u32 s7, s41, s7
	s_lshl_b64 s[2:3], s[2:3], 8
	v_lshl_or_b32 v10, v11, 3, v14
	v_lshl_or_b32 v12, v12, 3, v14
	s_waitcnt lgkmcnt(0)
	s_barrier
	s_add_u32 s2, s6, s2
	ds_read_b64 v[10:11], v10 offset:32768
	ds_read_b64 v[12:13], v12 offset:32768
	s_addc_u32 s3, s7, s3
	v_mov_b32_e32 v15, 0
	s_cmp_lg_u32 s49, 64
	v_lshl_add_u64 v[16:17], s[2:3], 0, v[14:15]
	v_lshlrev_b32_e32 v14, 4, v50
	s_cselect_b64 s[6:7], -1, 0
	v_lshl_or_b32 v35, v46, 3, v52
	s_mov_b32 s24, 0
	v_lshl_add_u64 v[14:15], v[16:17], 0, v[14:15]
	s_waitcnt vmcnt(1)
	v_or_b32_e32 v27, 32, v35
	v_and_b32_e32 v26, 56, v51
	s_and_b64 vcc, exec, s[6:7]
	s_waitcnt lgkmcnt(0)
	global_store_dwordx4 v[14:15], v[10:13], off
	s_cbranch_vccz .LBB550_31
; %bb.26:
	s_mov_b32 s25, s24
	s_mov_b32 s26, s24
	;; [unrolled: 1-line block ×3, first 2 shown]
	v_mov_b64_e32 v[14:15], s[24:25]
	v_mov_b64_e32 v[16:17], s[26:27]
	;; [unrolled: 1-line block ×3, first 2 shown]
	v_cmp_gt_i32_e32 vcc, s49, v35
	v_mov_b64_e32 v[12:13], v[16:17]
	s_and_saveexec_b64 s[2:3], vcc
	s_cbranch_execz .LBB550_28
; %bb.27:
	v_lshlrev_b32_e32 v10, 8, v35
	v_mov_b32_e32 v11, 0
	v_lshl_add_u64 v[12:13], s[0:1], 0, v[10:11]
	v_lshlrev_b32_e32 v10, 1, v26
	v_lshl_add_u64 v[18:19], v[12:13], 0, v[10:11]
	global_load_dwordx4 v[14:17], v[18:19], off
	global_load_dwordx4 v[10:13], v[18:19], off offset:128
.LBB550_28:
	s_or_b64 exec, exec, s[2:3]
	s_mov_b32 s25, s24
	s_mov_b32 s26, s24
	;; [unrolled: 1-line block ×3, first 2 shown]
	v_mov_b64_e32 v[22:23], s[24:25]
	v_mov_b64_e32 v[24:25], s[26:27]
	;; [unrolled: 1-line block ×3, first 2 shown]
	v_cmp_gt_i32_e32 vcc, s49, v27
	v_lshlrev_b32_e32 v28, 7, v27
	v_mov_b64_e32 v[20:21], v[24:25]
	s_and_saveexec_b64 s[2:3], vcc
	s_cbranch_execz .LBB550_30
; %bb.29:
	v_lshlrev_b32_e32 v18, 1, v28
	v_mov_b32_e32 v19, 0
	v_lshl_add_u64 v[20:21], s[0:1], 0, v[18:19]
	v_lshlrev_b32_e32 v18, 1, v26
	v_lshl_add_u64 v[30:31], v[20:21], 0, v[18:19]
	global_load_dwordx4 v[22:25], v[30:31], off
	global_load_dwordx4 v[18:21], v[30:31], off offset:128
.LBB550_30:
	s_or_b64 exec, exec, s[2:3]
	v_lshrrev_b32_e32 v29, 3, v26
	v_lshlrev_b32_e32 v30, 3, v35
	v_or_b32_e32 v29, v30, v29
	v_lshlrev_b32_e32 v29, 4, v29
	v_and_b32_e32 v30, 0x78, v30
	v_xor_b32_e32 v29, v29, v30
	s_branch .LBB550_33
.LBB550_31:
                                        ; implicit-def: $vgpr29
                                        ; implicit-def: $vgpr28
                                        ; implicit-def: $vgpr14_vgpr15_vgpr16_vgpr17
                                        ; implicit-def: $vgpr10_vgpr11_vgpr12_vgpr13
                                        ; implicit-def: $vgpr22_vgpr23_vgpr24_vgpr25
                                        ; implicit-def: $vgpr18_vgpr19_vgpr20_vgpr21
	s_cbranch_execz .LBB550_33
; %bb.32:
	s_waitcnt vmcnt(0)
	v_lshlrev_b32_e32 v10, 1, v26
	v_lshl_or_b32 v28, v35, 8, v10
	s_and_b32 s1, s1, 0xffff
	s_mov_b32 s3, 0x20000
	s_movk_i32 s2, 0x4000
	v_lshl_or_b32 v29, v27, 8, v10
	s_movk_i32 s16, 0x80
	buffer_load_dwordx4 v[14:17], v28, s[0:3], 0 offen
	buffer_load_dwordx4 v[10:13], v28, s[0:3], s16 offen
	;; [unrolled: 1-line block ×4, first 2 shown]
	v_lshrrev_b32_e32 v28, 3, v26
	v_lshlrev_b32_e32 v29, 3, v35
	v_or_b32_e32 v28, v29, v28
	v_lshlrev_b32_e32 v28, 4, v28
	v_and_b32_e32 v29, 0x78, v29
	v_xor_b32_e32 v29, v28, v29
	v_lshlrev_b32_e32 v28, 7, v27
.LBB550_33:
	s_lshl_b64 s[0:1], s[42:43], 8
	s_add_u32 s4, s4, s0
	s_movk_i32 s0, 0x1000
	v_and_or_b32 v27, v28, s0, v29
	s_waitcnt vmcnt(1)
	ds_write_b64 v29, v[14:15] offset:16384
	v_xor_b32_e32 v14, 8, v29
	ds_write_b64 v14, v[16:17] offset:16384
	s_waitcnt vmcnt(0)
	ds_write_b64 v29, v[10:11] offset:24576
	ds_write_b64 v14, v[12:13] offset:24576
	;; [unrolled: 1-line block ×3, first 2 shown]
	v_xor_b32_e32 v10, 8, v27
	ds_write_b64 v10, v[24:25] offset:16384
	ds_write_b64 v27, v[18:19] offset:24576
	;; [unrolled: 1-line block ×3, first 2 shown]
	v_or_b32_e32 v10, v47, v50
	v_lshlrev_b32_e32 v10, 3, v10
	v_lshrrev_b32_e32 v12, 5, v48
	s_movk_i32 s18, 0xf8
	v_and_or_b32 v12, v10, s18, v12
	v_lshlrev_b32_e32 v45, 11, v46
	v_lshlrev_b32_e32 v20, 4, v12
	v_and_b32_e32 v21, 0x78, v10
	v_and_b32_e32 v22, 0x1000, v45
	v_lshlrev_b32_e32 v11, 2, v0
	v_xor_b32_e32 v10, v20, v21
	v_lshrrev_b32_e32 v12, 1, v48
	v_and_b32_e32 v11, 60, v11
	v_or_b32_e32 v10, v10, v22
	v_and_b32_e32 v23, 8, v12
	v_xor_b32_e32 v36, v10, v23
	v_lshl_or_b32 v10, v49, 6, v11
	v_lshlrev_b32_e32 v49, 1, v10
	v_or_b32_e32 v10, 32, v20
	v_xor_b32_e32 v10, v10, v21
	s_waitcnt lgkmcnt(0)
	s_barrier
	ds_read_b64 v[18:19], v36 offset:16384
	v_or_b32_e32 v10, v10, v22
	v_xor_b32_e32 v37, v10, v23
	v_or_b32_e32 v10, 64, v20
	v_xor_b32_e32 v10, v10, v21
	v_or_b32_e32 v10, v10, v22
	v_or_b32_e32 v20, 0x60, v20
	v_xor_b32_e32 v38, v10, v23
	ds_read2st64_b64 v[10:13], v49 offset0:72 offset1:73
	ds_read2st64_b64 v[14:17], v49 offset0:74 offset1:75
	v_xor_b32_e32 v24, v20, v21
	ds_read_b64 v[20:21], v37 offset:16384
	s_waitcnt lgkmcnt(2)
	v_mfma_f32_16x16x16_bf16 a[0:3], v[18:19], v[10:11], 0
	s_addc_u32 s5, s5, s1
	s_add_i32 s2, s37, -1
	s_add_i32 s0, s47, s46
	s_add_i32 s39, s0, s48
	s_mul_i32 s0, s44, s23
	s_mul_hi_u32 s1, s44, s22
	s_ashr_i32 s3, s2, 31
	s_mul_i32 s16, s2, s15
	s_mul_hi_u32 s17, s2, s14
	s_add_i32 s0, s1, s0
	s_mul_i32 s1, s21, s22
	s_add_i32 s16, s17, s16
	s_mul_i32 s3, s3, s14
	v_or_b32_e32 v22, v24, v22
	s_add_i32 s1, s0, s1
	s_add_i32 s3, s16, s3
	s_lshl_b64 s[16:17], s[38:39], 2
	v_xor_b32_e32 v50, v22, v23
	ds_read_b64 v[22:23], v38 offset:16384
	ds_read_b64 v[24:25], v50 offset:16384
	s_waitcnt lgkmcnt(2)
	v_mfma_f32_16x16x16_bf16 a[0:3], v[20:21], v[12:13], a[0:3]
	s_mul_i32 s0, s44, s22
	s_add_u32 s10, s10, s16
	s_addc_u32 s11, s11, s17
	s_lshl_b64 s[0:1], s[0:1], 2
	s_mul_i32 s2, s2, s14
	s_add_u32 s10, s10, s0
	s_addc_u32 s11, s11, s1
	s_lshl_b64 s[0:1], s[2:3], 2
	s_waitcnt lgkmcnt(1)
	v_mfma_f32_16x16x16_bf16 a[0:3], v[22:23], v[14:15], a[0:3]
	s_add_u32 s0, s10, s0
	s_addc_u32 s1, s11, s1
	s_load_dword s16, s[0:1], 0x0
	s_waitcnt lgkmcnt(0)
	v_mfma_f32_16x16x16_bf16 a[0:3], v[24:25], v[16:17], a[0:3]
	s_and_b64 vcc, exec, s[30:31]
	s_cbranch_vccz .LBB550_44
; %bb.34:
	v_lshlrev_b32_e32 v27, 1, v35
	s_and_b64 vcc, exec, s[6:7]
	s_cbranch_vccz .LBB550_45
; %bb.35:
	v_cmp_gt_i32_e32 vcc, s49, v27
	v_mov_b32_e32 v14, 0
	v_mov_b32_e32 v10, 0
	;; [unrolled: 1-line block ×5, first 2 shown]
	s_and_saveexec_b64 s[0:1], vcc
	s_cbranch_execz .LBB550_37
; %bb.36:
	v_mad_i64_i32 v[10:11], s[2:3], s19, v27, 0
	v_lshl_add_u64 v[10:11], v[10:11], 1, s[4:5]
	v_lshlrev_b32_e32 v12, 1, v26
	v_mov_b32_e32 v13, 0
	v_lshl_add_u64 v[10:11], v[10:11], 0, v[12:13]
	global_load_dwordx4 v[10:13], v[10:11], off
.LBB550_37:
	s_or_b64 exec, exec, s[0:1]
	v_or_b32_e32 v28, 1, v27
	v_cmp_gt_i32_e64 s[0:1], s49, v28
	v_mov_b32_e32 v15, 0
	v_mov_b32_e32 v16, 0
	;; [unrolled: 1-line block ×3, first 2 shown]
	s_and_saveexec_b64 s[2:3], s[0:1]
	s_cbranch_execz .LBB550_39
; %bb.38:
	v_mad_i64_i32 v[14:15], s[22:23], s19, v28, 0
	v_lshl_add_u64 v[14:15], v[14:15], 1, s[4:5]
	v_lshlrev_b32_e32 v16, 1, v26
	v_mov_b32_e32 v17, 0
	v_lshl_add_u64 v[14:15], v[14:15], 0, v[16:17]
	global_load_dwordx4 v[14:17], v[14:15], off
.LBB550_39:
	s_or_b64 exec, exec, s[2:3]
	v_mov_b32_e32 v25, 0
	v_mov_b32_e32 v18, 0
	;; [unrolled: 1-line block ×5, first 2 shown]
	s_and_saveexec_b64 s[2:3], vcc
	s_cbranch_execz .LBB550_41
; %bb.40:
	v_mad_i64_i32 v[18:19], s[22:23], s19, v27, 0
	v_lshl_add_u64 v[18:19], v[18:19], 1, s[4:5]
	v_lshlrev_b32_e32 v20, 1, v26
	v_mov_b32_e32 v21, 0
	v_lshl_add_u64 v[18:19], v[18:19], 0, v[20:21]
	global_load_dwordx4 v[18:21], v[18:19], off offset:128
.LBB550_41:
	s_or_b64 exec, exec, s[2:3]
	v_mov_b32_e32 v24, 0
	v_mov_b32_e32 v23, 0
	;; [unrolled: 1-line block ×3, first 2 shown]
	s_and_saveexec_b64 s[2:3], s[0:1]
	s_cbranch_execz .LBB550_43
; %bb.42:
	v_mad_i64_i32 v[22:23], s[0:1], s19, v28, 0
	v_lshl_add_u64 v[22:23], v[22:23], 1, s[4:5]
	v_lshlrev_b32_e32 v24, 1, v26
	v_mov_b32_e32 v25, 0
	v_lshl_add_u64 v[22:23], v[22:23], 0, v[24:25]
	global_load_dwordx4 v[22:25], v[22:23], off offset:128
.LBB550_43:
	s_or_b64 exec, exec, s[2:3]
	s_branch .LBB550_47
.LBB550_44:
                                        ; implicit-def: $vgpr13
                                        ; implicit-def: $vgpr17
                                        ; implicit-def: $vgpr21
                                        ; implicit-def: $vgpr25
	v_lshrrev_b32_e32 v48, 2, v48
	s_branch .LBB550_48
.LBB550_45:
                                        ; implicit-def: $vgpr13
                                        ; implicit-def: $vgpr17
                                        ; implicit-def: $vgpr21
                                        ; implicit-def: $vgpr25
	s_cbranch_execz .LBB550_47
; %bb.46:
	s_waitcnt vmcnt(0)
	v_mad_u64_u32 v[10:11], s[0:1], v27, s19, v[26:27]
	v_lshlrev_b32_e32 v27, 1, v10
	s_lshl_b32 s2, s19, 7
	s_and_b32 s1, s5, 0xffff
	s_mov_b32 s3, 0x20000
	s_mov_b32 s0, s4
	v_add_lshl_u32 v28, v10, s19, 1
	s_movk_i32 s17, 0x80
	buffer_load_dwordx4 v[10:13], v27, s[0:3], 0 offen
	buffer_load_dwordx4 v[18:21], v27, s[0:3], s17 offen
	;; [unrolled: 1-line block ×4, first 2 shown]
.LBB550_47:
	v_lshrrev_b32_e32 v48, 2, v48
	s_cbranch_execnz .LBB550_60
.LBB550_48:
	s_and_b64 vcc, exec, s[6:7]
	s_cbranch_vccz .LBB550_58
; %bb.49:
	s_waitcnt vmcnt(0)
	v_lshlrev_b32_e32 v15, 1, v35
	v_cmp_gt_i32_e32 vcc, s49, v15
	v_mov_b32_e32 v14, 0
	v_lshlrev_b32_e32 v22, 9, v35
	v_mov_b32_e32 v10, 0
	v_mov_b32_e32 v11, 0
	;; [unrolled: 1-line block ×4, first 2 shown]
	s_and_saveexec_b64 s[0:1], vcc
	s_cbranch_execz .LBB550_51
; %bb.50:
	v_mov_b32_e32 v23, 0
	v_lshl_add_u64 v[10:11], s[4:5], 0, v[22:23]
	v_lshlrev_b32_e32 v12, 1, v26
	v_mov_b32_e32 v13, v23
	v_lshl_add_u64 v[10:11], v[10:11], 0, v[12:13]
	global_load_dwordx4 v[10:13], v[10:11], off
.LBB550_51:
	s_or_b64 exec, exec, s[0:1]
	v_or_b32_e32 v15, 1, v15
	v_cmp_gt_i32_e64 s[0:1], s49, v15
	v_lshlrev_b32_e32 v28, 8, v15
	v_mov_b32_e32 v15, 0
	v_mov_b32_e32 v16, 0
	v_mov_b32_e32 v17, 0
	s_and_saveexec_b64 s[2:3], s[0:1]
	s_cbranch_execz .LBB550_53
; %bb.52:
	v_mov_b32_e32 v29, 0
	v_lshl_add_u64 v[14:15], s[4:5], 0, v[28:29]
	v_lshlrev_b32_e32 v16, 1, v26
	v_mov_b32_e32 v17, v29
	v_lshl_add_u64 v[14:15], v[14:15], 0, v[16:17]
	global_load_dwordx4 v[14:17], v[14:15], off
.LBB550_53:
	s_or_b64 exec, exec, s[2:3]
	v_mov_b32_e32 v25, 0
	v_mov_b32_e32 v18, 0
	;; [unrolled: 1-line block ×5, first 2 shown]
	s_and_saveexec_b64 s[2:3], vcc
	s_cbranch_execz .LBB550_55
; %bb.54:
	v_mov_b32_e32 v23, 0
	v_lshl_add_u64 v[18:19], s[4:5], 0, v[22:23]
	v_lshlrev_b32_e32 v22, 1, v26
	v_lshl_add_u64 v[18:19], v[18:19], 0, v[22:23]
	global_load_dwordx4 v[18:21], v[18:19], off offset:128
.LBB550_55:
	s_or_b64 exec, exec, s[2:3]
	v_mov_b32_e32 v24, 0
	v_mov_b32_e32 v23, 0
	;; [unrolled: 1-line block ×3, first 2 shown]
	s_and_saveexec_b64 s[2:3], s[0:1]
	s_cbranch_execz .LBB550_57
; %bb.56:
	v_mov_b32_e32 v29, 0
	v_lshl_add_u64 v[22:23], s[4:5], 0, v[28:29]
	v_lshlrev_b32_e32 v28, 1, v26
	v_lshl_add_u64 v[22:23], v[22:23], 0, v[28:29]
	global_load_dwordx4 v[22:25], v[22:23], off offset:128
.LBB550_57:
	s_or_b64 exec, exec, s[2:3]
	s_branch .LBB550_60
.LBB550_58:
                                        ; implicit-def: $vgpr13
                                        ; implicit-def: $vgpr17
                                        ; implicit-def: $vgpr21
                                        ; implicit-def: $vgpr25
	s_cbranch_execz .LBB550_60
; %bb.59:
	s_waitcnt vmcnt(0)
	v_lshlrev_b32_e32 v10, 1, v26
	v_lshl_or_b32 v26, v35, 9, v10
	s_and_b32 s5, s5, 0xffff
	s_mov_b32 s7, 0x20000
	s_movk_i32 s6, 0x4000
	s_movk_i32 s0, 0x80
	buffer_load_dwordx4 v[10:13], v26, s[4:7], 0 offen
	buffer_load_dwordx4 v[14:17], v26, s[4:7], 0 offen offset:256
	buffer_load_dwordx4 v[18:21], v26, s[4:7], s0 offen
	buffer_load_dwordx4 v[22:25], v26, s[4:7], s0 offen offset:256
.LBB550_60:
	ds_read2st64_b64 v[30:33], v49 offset0:76 offset1:77
	ds_read2st64_b64 v[26:29], v49 offset0:78 offset1:79
	ds_read_b64 v[40:41], v36 offset:24576
	ds_read_b64 v[42:43], v37 offset:24576
	;; [unrolled: 1-line block ×4, first 2 shown]
	v_and_b32_e32 v50, 6, v0
	v_xor_b32_e32 v35, v35, v50
	v_lshlrev_b32_e32 v35, 2, v35
	v_and_b32_e32 v51, 1, v0
	v_xor_b32_e32 v52, 0x440, v35
	v_cmp_eq_u32_e32 vcc, 0, v51
	s_mov_b32 s0, 0x1000504
	s_waitcnt vmcnt(0)
	v_perm_b32 v51, v18, v22, s0
	v_cndmask_b32_e32 v35, v52, v35, vcc
	v_lshl_or_b32 v35, v50, 10, v35
	v_perm_b32 v50, v10, v14, s0
	ds_write2st64_b32 v35, v50, v51 offset1:32
	v_xor_b32_e32 v50, 8, v35
	s_mov_b32 s1, 0x3020706
	v_perm_b32 v10, v10, v14, s1
	v_perm_b32 v14, v18, v22, s1
	v_add_u32_e32 v18, 0x80, v50
	ds_write2st64_b32 v18, v10, v14 offset1:32
	v_xor_b32_e32 v10, 16, v35
	v_perm_b32 v14, v11, v15, s0
	v_perm_b32 v18, v19, v23, s0
	ds_write2st64_b32 v10, v14, v18 offset0:1 offset1:33
	v_xor_b32_e32 v10, 24, v35
	v_perm_b32 v11, v11, v15, s1
	v_perm_b32 v14, v19, v23, s1
	v_add_u32_e32 v10, 0x80, v10
	ds_write2st64_b32 v10, v11, v14 offset0:1 offset1:33
	v_xor_b32_e32 v10, 32, v35
	v_perm_b32 v11, v12, v16, s0
	v_perm_b32 v14, v20, v24, s0
	ds_write2st64_b32 v10, v11, v14 offset0:2 offset1:34
	v_xor_b32_e32 v10, 40, v35
	v_perm_b32 v11, v12, v16, s1
	v_perm_b32 v12, v20, v24, s1
	v_add_u32_e32 v10, 0x80, v10
	ds_write2st64_b32 v10, v11, v12 offset0:2 offset1:34
	v_xor_b32_e32 v10, 48, v35
	v_perm_b32 v11, v13, v17, s0
	v_perm_b32 v12, v21, v25, s0
	ds_write2st64_b32 v10, v11, v12 offset0:3 offset1:35
	v_xor_b32_e32 v10, 56, v35
	v_and_or_b32 v16, v48, 12, v47
	v_perm_b32 v11, v13, v17, s1
	v_perm_b32 v12, v21, v25, s1
	v_add_u32_e32 v10, 0x80, v10
	v_cmp_gt_i32_e32 vcc, s49, v16
	v_mov_b32_e32 v17, 0
	v_mov_b32_e32 v21, 0
	ds_write2st64_b32 v10, v11, v12 offset0:3 offset1:35
	s_and_saveexec_b64 s[0:1], vcc
	s_cbranch_execz .LBB550_62
; %bb.61:
	v_add_u32_e32 v10, s20, v16
	v_ashrrev_i32_e32 v11, 31, v10
	v_mul_lo_u32 v12, v11, s14
	v_mul_lo_u32 v13, v10, s15
	v_mad_u64_u32 v[10:11], s[2:3], v10, s14, 0
	v_add3_u32 v11, v11, v13, v12
	v_lshl_add_u64 v[10:11], v[10:11], 2, s[10:11]
	global_load_dword v10, v[10:11], off
	s_waitcnt vmcnt(0)
	v_sub_f32_e32 v10, s16, v10
	v_exp_f32_e32 v21, v10
.LBB550_62:
	s_or_b64 exec, exec, s[0:1]
	v_or_b32_e32 v19, 1, v16
	v_cmp_gt_i32_e64 s[0:1], s49, v19
	s_and_saveexec_b64 s[2:3], s[0:1]
	s_cbranch_execz .LBB550_64
; %bb.63:
	v_add_u32_e32 v10, s20, v19
	v_ashrrev_i32_e32 v11, 31, v10
	v_mul_lo_u32 v12, v11, s14
	v_mul_lo_u32 v13, v10, s15
	v_mad_u64_u32 v[10:11], s[4:5], v10, s14, 0
	v_add3_u32 v11, v11, v13, v12
	v_lshl_add_u64 v[10:11], v[10:11], 2, s[10:11]
	global_load_dword v10, v[10:11], off
	s_waitcnt vmcnt(0)
	v_sub_f32_e32 v10, s16, v10
	v_exp_f32_e32 v17, v10
.LBB550_64:
	s_or_b64 exec, exec, s[2:3]
	v_or_b32_e32 v20, 2, v16
	v_cmp_gt_i32_e64 s[2:3], s49, v20
	v_mov_b32_e32 v18, 0
	v_mov_b32_e32 v23, 0
	s_and_saveexec_b64 s[4:5], s[2:3]
	s_cbranch_execz .LBB550_66
; %bb.65:
	v_add_u32_e32 v10, s20, v20
	v_ashrrev_i32_e32 v11, 31, v10
	v_mul_lo_u32 v12, v11, s14
	v_mul_lo_u32 v13, v10, s15
	v_mad_u64_u32 v[10:11], s[6:7], v10, s14, 0
	v_add3_u32 v11, v11, v13, v12
	v_lshl_add_u64 v[10:11], v[10:11], 2, s[10:11]
	global_load_dword v10, v[10:11], off
	s_waitcnt vmcnt(0)
	v_sub_f32_e32 v10, s16, v10
	v_exp_f32_e32 v23, v10
.LBB550_66:
	s_or_b64 exec, exec, s[4:5]
	v_or_b32_e32 v22, 3, v16
	v_cmp_gt_i32_e64 s[4:5], s49, v22
	s_and_saveexec_b64 s[6:7], s[4:5]
	s_cbranch_execz .LBB550_68
; %bb.67:
	v_add_u32_e32 v10, s20, v22
	v_ashrrev_i32_e32 v11, 31, v10
	v_mul_lo_u32 v12, v11, s14
	v_mul_lo_u32 v13, v10, s15
	v_mad_u64_u32 v[10:11], s[14:15], v10, s14, 0
	v_add3_u32 v11, v11, v13, v12
	v_lshl_add_u64 v[10:11], v[10:11], 2, s[10:11]
	global_load_dword v10, v[10:11], off
	s_waitcnt vmcnt(0)
	v_sub_f32_e32 v10, s16, v10
	v_exp_f32_e32 v18, v10
.LBB550_68:
	s_or_b64 exec, exec, s[6:7]
	s_waitcnt lgkmcnt(11)
	v_mfma_f32_16x16x16_bf16 a[0:3], v[40:41], v[30:31], a[0:3]
	s_add_u32 s6, s8, s28
	v_ashrrev_i32_e32 v35, 31, v34
	s_addc_u32 s7, s9, s29
	s_waitcnt lgkmcnt(10)
	v_mfma_f32_16x16x16_bf16 a[0:3], v[42:43], v[32:33], a[0:3]
	v_mov_b32_e32 v24, 0
	v_lshl_add_u64 v[14:15], v[34:35], 1, s[6:7]
	v_mov_b32_e32 v25, 0
	s_waitcnt lgkmcnt(9)
	v_mfma_f32_16x16x16_bf16 a[0:3], v[38:39], v[26:27], a[0:3]
	s_waitcnt lgkmcnt(8)
	v_mfma_f32_16x16x16_bf16 a[0:3], v[36:37], v[28:29], a[0:3]
	s_nop 6
	v_accvgpr_read_b32 v13, a3
	v_accvgpr_read_b32 v12, a2
	;; [unrolled: 1-line block ×4, first 2 shown]
	s_and_saveexec_b64 s[6:7], vcc
	s_cbranch_execz .LBB550_70
; %bb.69:
	v_lshlrev_b32_e32 v26, 8, v16
	v_mov_b32_e32 v27, 0
	v_lshl_add_u64 v[26:27], v[14:15], 0, v[26:27]
	global_load_ushort v25, v[26:27], off
	s_waitcnt vmcnt(0)
	v_lshlrev_b32_e32 v25, 16, v25
	v_sub_f32_e32 v10, v25, v10
	v_mul_f32_e32 v10, v21, v10
	v_lshrrev_b32_e32 v25, 16, v10
.LBB550_70:
	s_or_b64 exec, exec, s[6:7]
	s_and_saveexec_b64 s[6:7], s[0:1]
	s_cbranch_execz .LBB550_72
; %bb.71:
	v_lshlrev_b32_e32 v26, 8, v19
	v_mov_b32_e32 v27, 0
	v_lshl_add_u64 v[26:27], v[14:15], 0, v[26:27]
	global_load_ushort v10, v[26:27], off
	s_waitcnt vmcnt(0)
	v_lshlrev_b32_e32 v10, 16, v10
	v_sub_f32_e32 v10, v10, v11
	v_mul_f32_e32 v10, v17, v10
	v_lshrrev_b32_e32 v24, 16, v10
.LBB550_72:
	s_or_b64 exec, exec, s[6:7]
	v_mov_b32_e32 v11, 0
	v_mov_b32_e32 v17, 0
	s_and_saveexec_b64 s[0:1], s[2:3]
	s_cbranch_execz .LBB550_74
; %bb.73:
	v_lshlrev_b32_e32 v20, 8, v20
	v_mov_b32_e32 v21, 0
	v_lshl_add_u64 v[20:21], v[14:15], 0, v[20:21]
	global_load_ushort v10, v[20:21], off
	s_waitcnt vmcnt(0)
	v_lshlrev_b32_e32 v10, 16, v10
	v_sub_f32_e32 v10, v10, v12
	v_mul_f32_e32 v10, v23, v10
	v_lshrrev_b32_e32 v17, 16, v10
.LBB550_74:
	s_or_b64 exec, exec, s[0:1]
	v_or_b32_e32 v10, 0x9800, v49
	s_and_saveexec_b64 s[0:1], s[4:5]
	s_cbranch_execz .LBB550_76
; %bb.75:
	v_lshlrev_b32_e32 v20, 8, v22
	v_mov_b32_e32 v21, 0
	v_lshl_add_u64 v[14:15], v[14:15], 0, v[20:21]
	global_load_ushort v11, v[14:15], off
	s_waitcnt vmcnt(0)
	v_lshlrev_b32_e32 v11, 16, v11
	v_sub_f32_e32 v11, v11, v13
	v_mul_f32_e32 v11, v18, v11
	v_lshrrev_b32_e32 v11, 16, v11
.LBB550_76:
	s_or_b64 exec, exec, s[0:1]
	s_mov_b32 s0, 0x5040100
	v_perm_b32 v13, v11, v17, s0
	v_lshlrev_b32_e32 v11, 1, v44
	v_perm_b32 v12, v24, v25, s0
	v_lshl_or_b32 v11, v16, 5, v11
	s_movk_i32 s0, 0xff
	ds_write_b64 v11, v[12:13] offset:38912
	v_and_b32_e32 v11, 7, v0
	v_and_b32_e32 v12, 8, v0
	v_cmp_lt_u32_e32 vcc, s0, v0
	v_lshrrev_b32_e32 v0, 1, v0
	v_lshlrev_b32_e32 v22, 3, v11
	v_lshlrev_b32_e32 v23, 7, v11
	v_cndmask_b32_e64 v11, 0, 1, vcc
	v_lshlrev_b32_e32 v25, 3, v46
	v_and_b32_e32 v0, 24, v0
	v_lshlrev_b32_e32 v24, 13, v11
	v_xor_b32_e32 v11, v25, v0
	v_or_b32_e32 v13, 0x440, v11
	v_cmp_eq_u32_e32 vcc, 0, v12
	s_waitcnt lgkmcnt(0)
	s_barrier
	v_cndmask_b32_e32 v11, v13, v11, vcc
	v_or_b32_e32 v11, v11, v45
	v_xad_u32 v26, v11, v22, v23
	v_add_u32_e32 v11, v24, v26
	ds_read_b64 v[20:21], v11
	ds_read2st64_b64 v[12:15], v10 offset1:1
	ds_read2st64_b64 v[16:19], v10 offset0:2 offset1:3
	v_or_b32_e32 v10, 32, v0
	v_xor_b32_e32 v10, v25, v10
	v_or_b32_e32 v11, 0x440, v10
	v_cndmask_b32_e32 v10, v11, v10, vcc
	v_or_b32_e32 v10, v10, v45
	v_xad_u32 v27, v10, v22, v23
	v_add_u32_e32 v10, v24, v27
	ds_read_b64 v[10:11], v10
	s_waitcnt lgkmcnt(2)
	v_mfma_f32_16x16x16_bf16 a[0:3], v[20:21], v[12:13], 0
	s_waitcnt lgkmcnt(0)
	v_mfma_f32_16x16x16_bf16 a[0:3], v[10:11], v[14:15], a[0:3]
	v_or_b32_e32 v10, 64, v0
	v_xor_b32_e32 v10, v25, v10
	v_xor_b32_e32 v11, 0x440, v10
	v_cndmask_b32_e32 v10, v11, v10, vcc
	v_or_b32_e32 v10, v10, v45
	v_or_b32_e32 v0, 0x60, v0
	v_xad_u32 v28, v10, v22, v23
	v_xor_b32_e32 v0, v25, v0
	v_add_u32_e32 v10, v24, v28
	v_xor_b32_e32 v20, 0x440, v0
	ds_read_b64 v[10:11], v10
	v_cndmask_b32_e32 v0, v20, v0, vcc
	v_or_b32_e32 v0, v0, v45
	v_xad_u32 v0, v0, v22, v23
	v_add_u32_e32 v20, v24, v0
	ds_read_b64 v[20:21], v20
	s_waitcnt lgkmcnt(1)
	v_mfma_f32_16x16x16_bf16 a[0:3], v[10:11], v[16:17], a[0:3]
	ds_read_b64 v[10:11], v26 offset:8192
	ds_read_b64 v[22:23], v28 offset:8192
	v_exp_f32_e32 v24, s16
	s_waitcnt lgkmcnt(2)
	v_mfma_f32_16x16x16_bf16 a[0:3], v[20:21], v[18:19], a[0:3]
	ds_read_b64 v[20:21], v27 offset:8192
	s_waitcnt lgkmcnt(2)
	v_mfma_f32_16x16x16_bf16 a[4:7], v[10:11], v[12:13], 0
	s_nop 3
	v_accvgpr_read_b32 v10, a0
	v_fma_f32 v12, v2, v24, v10
	ds_read_b64 v[10:11], v0 offset:8192
	s_waitcnt lgkmcnt(1)
	v_mfma_f32_16x16x16_bf16 a[4:7], v[20:21], v[14:15], a[4:7]
	v_accvgpr_read_b32 v0, a1
	v_fma_f32 v13, v3, v24, v0
	v_accvgpr_read_b32 v0, a2
	v_mfma_f32_16x16x16_bf16 a[4:7], v[22:23], v[16:17], a[4:7]
	v_accvgpr_read_b32 v15, a3
	v_fma_f32 v14, v4, v24, v0
	v_fmac_f32_e32 v15, v5, v24
	s_waitcnt lgkmcnt(0)
	v_mfma_f32_16x16x16_bf16 a[0:3], v[10:11], v[18:19], a[4:7]
	v_mov_b32_e32 v10, v34
	s_nop 5
	v_accvgpr_read_b32 v0, a0
	v_fma_f32 v16, v6, v24, v0
	v_accvgpr_read_b32 v0, a1
	v_fma_f32 v17, v7, v24, v0
	v_accvgpr_read_b32 v0, a2
	v_accvgpr_read_b32 v19, a3
	v_fma_f32 v18, v8, v24, v0
	v_fmac_f32_e32 v19, v9, v24
	v_mov_b64_e32 v[2:3], v[12:13]
	v_mov_b64_e32 v[4:5], v[14:15]
	;; [unrolled: 1-line block ×4, first 2 shown]
.LBB550_77:
	s_mul_i32 s0, s45, s35
	s_mul_hi_u32 s1, s45, s34
	s_add_i32 s0, s1, s0
	s_mul_i32 s1, s33, s34
	s_add_i32 s1, s0, s1
	s_mul_i32 s0, s45, s34
	s_add_u32 s0, s0, s44
	s_addc_u32 s1, s1, s21
	s_lshl_b64 s[0:1], s[0:1], 15
	s_add_u32 s0, s12, s0
	v_lshlrev_b32_e32 v10, 7, v10
	s_addc_u32 s1, s13, s1
	v_ashrrev_i32_e32 v11, 31, v10
	v_lshl_add_u64 v[10:11], v[10:11], 1, s[0:1]
	v_lshlrev_b32_e32 v0, 1, v1
	v_mov_b32_e32 v1, 0
	s_mov_b32 s0, 0x7060302
	v_lshl_add_u64 v[0:1], v[10:11], 0, v[0:1]
	v_perm_b32 v5, v5, v4, s0
	v_perm_b32 v4, v3, v2, s0
	;; [unrolled: 1-line block ×4, first 2 shown]
	global_store_dwordx2 v[0:1], v[4:5], off
	global_store_dwordx2 v[0:1], v[2:3], off offset:128
	s_endpgm
	.section	.rodata,"a",@progbits
	.p2align	6, 0x0
	.amdhsa_kernel _ZN12_GLOBAL__N_139chunk_gated_delta_rule_fwd_h_hip_kernelILi16ELb0ELb1ELb0ELb1ELb1ELb0ELb1ELb1EEEvPK12hip_bfloat16S3_S3_PKfS5_PKvPS1_S8_PvPKiSB_iiiiilll
		.amdhsa_group_segment_fixed_size 40960
		.amdhsa_private_segment_fixed_size 0
		.amdhsa_kernarg_size 136
		.amdhsa_user_sgpr_count 2
		.amdhsa_user_sgpr_dispatch_ptr 0
		.amdhsa_user_sgpr_queue_ptr 0
		.amdhsa_user_sgpr_kernarg_segment_ptr 1
		.amdhsa_user_sgpr_dispatch_id 0
		.amdhsa_user_sgpr_kernarg_preload_length 0
		.amdhsa_user_sgpr_kernarg_preload_offset 0
		.amdhsa_user_sgpr_private_segment_size 0
		.amdhsa_uses_dynamic_stack 0
		.amdhsa_enable_private_segment 0
		.amdhsa_system_sgpr_workgroup_id_x 1
		.amdhsa_system_sgpr_workgroup_id_y 1
		.amdhsa_system_sgpr_workgroup_id_z 0
		.amdhsa_system_sgpr_workgroup_info 0
		.amdhsa_system_vgpr_workitem_id 0
		.amdhsa_next_free_vgpr 116
		.amdhsa_next_free_sgpr 63
		.amdhsa_accum_offset 108
		.amdhsa_reserve_vcc 1
		.amdhsa_float_round_mode_32 0
		.amdhsa_float_round_mode_16_64 0
		.amdhsa_float_denorm_mode_32 3
		.amdhsa_float_denorm_mode_16_64 3
		.amdhsa_dx10_clamp 1
		.amdhsa_ieee_mode 1
		.amdhsa_fp16_overflow 0
		.amdhsa_tg_split 0
		.amdhsa_exception_fp_ieee_invalid_op 0
		.amdhsa_exception_fp_denorm_src 0
		.amdhsa_exception_fp_ieee_div_zero 0
		.amdhsa_exception_fp_ieee_overflow 0
		.amdhsa_exception_fp_ieee_underflow 0
		.amdhsa_exception_fp_ieee_inexact 0
		.amdhsa_exception_int_div_zero 0
	.end_amdhsa_kernel
	.section	.text._ZN12_GLOBAL__N_139chunk_gated_delta_rule_fwd_h_hip_kernelILi16ELb0ELb1ELb0ELb1ELb1ELb0ELb1ELb1EEEvPK12hip_bfloat16S3_S3_PKfS5_PKvPS1_S8_PvPKiSB_iiiiilll,"axG",@progbits,_ZN12_GLOBAL__N_139chunk_gated_delta_rule_fwd_h_hip_kernelILi16ELb0ELb1ELb0ELb1ELb1ELb0ELb1ELb1EEEvPK12hip_bfloat16S3_S3_PKfS5_PKvPS1_S8_PvPKiSB_iiiiilll,comdat
.Lfunc_end550:
	.size	_ZN12_GLOBAL__N_139chunk_gated_delta_rule_fwd_h_hip_kernelILi16ELb0ELb1ELb0ELb1ELb1ELb0ELb1ELb1EEEvPK12hip_bfloat16S3_S3_PKfS5_PKvPS1_S8_PvPKiSB_iiiiilll, .Lfunc_end550-_ZN12_GLOBAL__N_139chunk_gated_delta_rule_fwd_h_hip_kernelILi16ELb0ELb1ELb0ELb1ELb1ELb0ELb1ELb1EEEvPK12hip_bfloat16S3_S3_PKfS5_PKvPS1_S8_PvPKiSB_iiiiilll
                                        ; -- End function
	.section	.AMDGPU.csdata,"",@progbits
; Kernel info:
; codeLenInByte = 7692
; NumSgprs: 69
; NumVgprs: 106
; NumAgprs: 8
; TotalNumVgprs: 116
; ScratchSize: 0
; MemoryBound: 0
; FloatMode: 240
; IeeeMode: 1
; LDSByteSize: 40960 bytes/workgroup (compile time only)
; SGPRBlocks: 8
; VGPRBlocks: 14
; NumSGPRsForWavesPerEU: 69
; NumVGPRsForWavesPerEU: 116
; AccumOffset: 108
; Occupancy: 1
; WaveLimiterHint : 1
; COMPUTE_PGM_RSRC2:SCRATCH_EN: 0
; COMPUTE_PGM_RSRC2:USER_SGPR: 2
; COMPUTE_PGM_RSRC2:TRAP_HANDLER: 0
; COMPUTE_PGM_RSRC2:TGID_X_EN: 1
; COMPUTE_PGM_RSRC2:TGID_Y_EN: 1
; COMPUTE_PGM_RSRC2:TGID_Z_EN: 0
; COMPUTE_PGM_RSRC2:TIDIG_COMP_CNT: 0
; COMPUTE_PGM_RSRC3_GFX90A:ACCUM_OFFSET: 26
; COMPUTE_PGM_RSRC3_GFX90A:TG_SPLIT: 0
	.section	.text._ZN12_GLOBAL__N_139chunk_gated_delta_rule_fwd_h_hip_kernelILi16ELb0ELb0ELb1ELb1ELb1ELb0ELb1ELb1EEEvPK12hip_bfloat16S3_S3_PKfS5_PKvPS1_S8_PvPKiSB_iiiiilll,"axG",@progbits,_ZN12_GLOBAL__N_139chunk_gated_delta_rule_fwd_h_hip_kernelILi16ELb0ELb0ELb1ELb1ELb1ELb0ELb1ELb1EEEvPK12hip_bfloat16S3_S3_PKfS5_PKvPS1_S8_PvPKiSB_iiiiilll,comdat
	.globl	_ZN12_GLOBAL__N_139chunk_gated_delta_rule_fwd_h_hip_kernelILi16ELb0ELb0ELb1ELb1ELb1ELb0ELb1ELb1EEEvPK12hip_bfloat16S3_S3_PKfS5_PKvPS1_S8_PvPKiSB_iiiiilll ; -- Begin function _ZN12_GLOBAL__N_139chunk_gated_delta_rule_fwd_h_hip_kernelILi16ELb0ELb0ELb1ELb1ELb1ELb0ELb1ELb1EEEvPK12hip_bfloat16S3_S3_PKfS5_PKvPS1_S8_PvPKiSB_iiiiilll
	.p2align	8
	.type	_ZN12_GLOBAL__N_139chunk_gated_delta_rule_fwd_h_hip_kernelILi16ELb0ELb0ELb1ELb1ELb1ELb0ELb1ELb1EEEvPK12hip_bfloat16S3_S3_PKfS5_PKvPS1_S8_PvPKiSB_iiiiilll,@function
_ZN12_GLOBAL__N_139chunk_gated_delta_rule_fwd_h_hip_kernelILi16ELb0ELb0ELb1ELb1ELb1ELb0ELb1ELb1EEEvPK12hip_bfloat16S3_S3_PKfS5_PKvPS1_S8_PvPKiSB_iiiiilll: ; @_ZN12_GLOBAL__N_139chunk_gated_delta_rule_fwd_h_hip_kernelILi16ELb0ELb0ELb1ELb1ELb1ELb0ELb1ELb1EEEvPK12hip_bfloat16S3_S3_PKfS5_PKvPS1_S8_PvPKiSB_iiiiilll
; %bb.0:
	s_load_dwordx4 s[16:19], s[0:1], 0x5c
	s_load_dwordx4 s[20:23], s[0:1], 0x70
	s_abs_i32 s25, s3
	s_ashr_i32 s24, s3, 31
	s_load_dwordx4 s[12:15], s[0:1], 0x30
	s_load_dwordx4 s[28:31], s[0:1], 0x48
	s_waitcnt lgkmcnt(0)
	s_abs_i32 s34, s17
	v_cvt_f32_u32_e32 v1, s34
	s_sub_i32 s26, 0, s34
	s_ashr_i32 s35, s17, 31
	s_xor_b32 s24, s24, s35
	v_rcp_iflag_f32_e32 v1, v1
	s_load_dwordx8 s[4:11], s[0:1], 0x0
	v_lshrrev_b32_e32 v44, 6, v0
	v_bfe_u32 v45, v0, 4, 2
	v_mul_f32_e32 v1, 0x4f7ffffe, v1
	v_cvt_u32_f32_e32 v1, v1
	v_lshlrev_b32_e32 v42, 4, v44
	v_lshlrev_b32_e32 v2, 2, v45
	v_and_b32_e32 v43, 63, v0
	v_readfirstlane_b32 s27, v1
	s_mul_i32 s26, s26, s27
	s_mul_hi_u32 s26, s27, s26
	s_add_i32 s27, s27, s26
	s_mul_hi_u32 s26, s25, s27
	s_mul_i32 s27, s26, s34
	s_sub_i32 s25, s25, s27
	s_add_i32 s33, s26, 1
	s_sub_i32 s27, s25, s34
	s_cmp_ge_u32 s25, s34
	s_cselect_b32 s26, s33, s26
	s_cselect_b32 s25, s27, s25
	s_add_i32 s27, s26, 1
	s_cmp_ge_u32 s25, s34
	s_cselect_b32 s25, s27, s26
	s_xor_b32 s25, s25, s24
	s_sub_i32 s24, s25, s24
	s_mul_i32 s25, s24, s17
	s_sub_i32 s33, s3, s25
	s_ashr_i32 s25, s24, 31
	s_lshl_b64 s[26:27], s[24:25], 2
	s_add_u32 s28, s28, s26
	s_addc_u32 s29, s29, s27
	s_add_u32 s26, s30, s26
	s_addc_u32 s27, s31, s27
	s_abs_i32 s3, s18
	v_cvt_f32_u32_e32 v1, s3
	s_load_dwordx2 s[38:39], s[28:29], 0x0
	s_sub_i32 s29, 0, s3
	s_load_dword s47, s[26:27], 0x0
	v_rcp_iflag_f32_e32 v1, v1
	v_or_b32_e32 v49, v2, v42
	s_waitcnt lgkmcnt(0)
	s_sub_i32 s45, s39, s38
	s_ashr_i32 s28, s45, 31
	v_mul_f32_e32 v1, 0x4f7ffffe, v1
	v_cvt_u32_f32_e32 v1, v1
	s_lshr_b32 s28, s28, 26
	s_add_i32 s28, s45, s28
	s_ashr_i32 s46, s28, 6
	v_readfirstlane_b32 s30, v1
	s_mul_i32 s29, s29, s30
	s_mul_hi_u32 s29, s30, s29
	s_add_i32 s30, s30, s29
	s_mul_hi_u32 s29, s34, s30
	s_mul_i32 s30, s29, s3
	s_ashr_i32 s28, s18, 31
	s_sub_i32 s30, s34, s30
	s_xor_b32 s28, s35, s28
	s_add_i32 s31, s29, 1
	s_sub_i32 s34, s30, s3
	s_cmp_ge_u32 s30, s3
	s_cselect_b32 s29, s31, s29
	s_cselect_b32 s30, s34, s30
	s_add_i32 s31, s29, 1
	s_cmp_ge_u32 s30, s3
	s_cselect_b32 s3, s31, s29
	s_xor_b32 s3, s3, s28
	s_sub_i32 s3, s3, s28
	s_abs_i32 s28, s3
	v_cvt_f32_u32_e32 v1, s28
	s_load_dwordx2 s[34:35], s[0:1], 0x80
	s_xor_b32 s0, s33, s3
	s_sub_i32 s3, 0, s28
	v_rcp_iflag_f32_e32 v1, v1
	s_abs_i32 s1, s33
	s_ashr_i32 s0, s0, 31
	v_or_b32_e32 v48, 64, v49
	v_mul_f32_e32 v1, 0x4f7ffffe, v1
	v_cvt_u32_f32_e32 v1, v1
	v_mov_b32_e32 v3, 0
	s_mul_hi_i32 s48, s33, s16
	s_mul_i32 s49, s33, s16
	v_readfirstlane_b32 s26, v1
	s_mul_i32 s3, s3, s26
	s_mul_hi_u32 s3, s26, s3
	s_add_i32 s26, s26, s3
	s_mul_hi_u32 s3, s1, s26
	s_mul_i32 s26, s3, s28
	s_sub_i32 s1, s1, s26
	s_add_i32 s26, s3, 1
	s_sub_i32 s27, s1, s28
	s_cmp_ge_u32 s1, s28
	s_cselect_b32 s3, s26, s3
	s_cselect_b32 s1, s27, s1
	s_add_i32 s26, s3, 1
	s_cmp_ge_u32 s1, s28
	s_cselect_b32 s1, s26, s3
	s_xor_b32 s1, s1, s0
	s_sub_i32 s51, s1, s0
	s_lshl_b32 s36, s2, 4
	v_and_b32_e32 v1, 15, v0
	s_cmp_lt_i32 s45, 64
	v_lshrrev_b32_e32 v47, 3, v43
	v_lshlrev_b32_e32 v46, 3, v0
	s_mul_i32 s42, s24, s21
	s_mul_hi_u32 s43, s24, s20
	s_mul_i32 s44, s25, s20
	s_mul_i32 s20, s24, s20
	v_mov_b32_e32 v65, 0
	v_mov_b32_e32 v34, 0
	;; [unrolled: 1-line block ×7, first 2 shown]
	s_cbranch_scc1 .LBB551_18
; %bb.1:
	s_ashr_i32 s53, s33, 31
	s_ashr_i32 s1, s38, 31
	s_add_u32 s0, s49, s38
	s_addc_u32 s1, s48, s1
	s_lshl_b64 s[0:1], s[0:1], 8
	v_and_b32_e32 v51, 56, v46
	s_add_u32 s0, s6, s0
	v_lshl_or_b32 v50, v44, 3, v47
	v_lshlrev_b32_e32 v3, 1, v51
	s_addc_u32 s1, s7, s1
	v_lshl_or_b32 v52, v50, 8, v3
	s_and_b32 s1, s1, 0xffff
	s_mov_b32 s3, 0x20000
	s_movk_i32 s2, 0x4000
	s_movk_i32 s21, 0x80
	v_or_b32_e32 v53, 0x2000, v52
	buffer_load_dwordx4 v[4:7], v52, s[0:3], 0 offen
	buffer_load_dwordx4 v[8:11], v52, s[0:3], s21 offen
	;; [unrolled: 1-line block ×4, first 2 shown]
	v_lshlrev_b32_e32 v20, 3, v50
	v_and_or_b32 v22, v0, 7, v20
	v_and_b32_e32 v20, 0x78, v20
	v_lshlrev_b32_e32 v22, 4, v22
	v_xor_b32_e32 v54, v22, v20
	v_mul_lo_u32 v21, v50, s19
	v_or_b32_e32 v55, 0x1000, v54
	s_cmpk_eq_i32 s19, 0x80
	s_mov_b32 s50, s17
	s_mov_b32 s52, s38
	v_xor_b32_e32 v20, 8, v54
	v_xor_b32_e32 v22, 8, v55
	s_cselect_b64 s[0:1], -1, 0
	s_cmpk_lg_i32 s19, 0x80
	s_waitcnt vmcnt(3)
	ds_write_b64 v54, v[4:5] offset:16384
	ds_write_b64 v20, v[6:7] offset:16384
	s_waitcnt vmcnt(2)
	ds_write_b64 v54, v[8:9] offset:24576
	ds_write_b64 v20, v[10:11] offset:24576
	;; [unrolled: 3-line block ×4, first 2 shown]
	v_lshl_add_u32 v4, v21, 1, v51
	s_cbranch_scc0 .LBB551_3
; %bb.2:
	v_lshlrev_b32_e32 v6, 1, v4
	v_add_lshl_u32 v5, v4, s19, 1
	s_lshl_b32 s26, s19, 7
	v_lshl_or_b32 v3, v50, 9, v3
	s_cbranch_execz .LBB551_4
	s_branch .LBB551_5
.LBB551_3:
                                        ; implicit-def: $vgpr5
                                        ; implicit-def: $vgpr6
                                        ; implicit-def: $sgpr26
	v_lshl_or_b32 v3, v50, 9, v3
.LBB551_4:
	v_or_b32_e32 v5, 0x100, v3
	s_movk_i32 s26, 0x4000
	v_mov_b32_e32 v6, v3
.LBB551_5:
	s_mul_i32 s2, s38, s18
	s_ashr_i32 s54, s51, 31
	s_mul_hi_i32 s3, s38, s18
	s_add_u32 s2, s2, s51
	s_addc_u32 s3, s3, s54
	s_lshl_b64 s[2:3], s[2:3], 8
	s_add_u32 s24, s4, s2
	s_addc_u32 s2, s5, s3
	s_and_b32 s25, s2, 0xffff
	s_mov_b32 s27, 0x20000
	s_movk_i32 s55, 0x80
	buffer_load_dwordx4 v[8:11], v6, s[24:27], 0 offen
	buffer_load_dwordx4 v[12:15], v6, s[24:27], s55 offen
	;; [unrolled: 1-line block ×4, first 2 shown]
	v_and_b32_e32 v5, 6, v0
	v_lshlrev_b32_e32 v7, 2, v1
	v_lshlrev_b32_e32 v24, 3, v1
	v_xor_b32_e32 v26, v50, v5
	v_and_b32_e32 v6, 1, v0
	v_lshl_or_b32 v24, v49, 5, v24
	v_xor_b32_e32 v27, v49, v7
	v_lshlrev_b32_e32 v26, 2, v26
	s_mul_i32 s3, s33, s23
	s_mul_hi_u32 s21, s33, s22
	v_or_b32_e32 v56, 0x9000, v24
	v_or_b32_e32 v57, 0x9800, v24
	v_lshlrev_b32_e32 v24, 1, v27
	v_xor_b32_e32 v27, 0x440, v26
	v_cmp_eq_u32_e32 vcc, 0, v6
	s_add_i32 s25, s43, s42
	s_mul_i32 s24, s53, s22
	v_cndmask_b32_e32 v6, v27, v26, vcc
	s_add_i32 s3, s21, s3
	s_add_i32 s21, s25, s44
	s_mov_b32 s56, 0x1000504
	v_lshlrev_b32_e32 v25, 8, v1
	s_mov_b32 s26, 0x8000
	v_xor_b32_e32 v7, v48, v7
	v_lshl_or_b32 v5, v5, 10, v6
	s_add_i32 s3, s3, s24
	s_lshl_b64 s[24:25], s[20:21], 2
	s_mov_b32 s57, 0x3020706
	s_mul_i32 s2, s33, s22
	v_lshlrev_b32_e32 v7, 1, v7
	v_or3_b32 v58, v24, v25, s26
	v_xor_b32_e32 v6, 8, v5
	v_xor_b32_e32 v24, 24, v5
	;; [unrolled: 1-line block ×4, first 2 shown]
	s_add_u32 s21, s10, s24
	v_or3_b32 v59, v7, v25, s26
	v_xor_b32_e32 v7, 16, v5
	v_xor_b32_e32 v25, 32, v5
	;; [unrolled: 1-line block ×3, first 2 shown]
	v_add_u32_e32 v6, 0x80, v6
	v_add_u32_e32 v24, 0x80, v24
	v_add_u32_e32 v26, 0x80, v26
	v_add_u32_e32 v28, 0x80, v28
	s_addc_u32 s24, s11, s25
	s_lshl_b64 s[2:3], s[2:3], 2
	s_add_u32 s2, s21, s2
	s_movk_i32 s21, 0xf8
	s_addc_u32 s3, s24, s3
	s_ashr_i32 s37, s36, 31
	s_lshl_b32 s30, s19, 7
	s_lshl_b64 s[24:25], s[36:37], 8
	s_add_u32 s24, s12, s24
	s_addc_u32 s25, s13, s25
	v_mov_b32_e32 v35, 0
	s_mov_b32 s58, 0
	v_add_u32_e32 v78, v42, v2
	v_mov_b32_e32 v68, v35
	v_mov_b32_e32 v69, v35
	v_mov_b32_e32 v84, v35
	v_mov_b32_e32 v64, v35
	v_mov_b32_e32 v65, v35
	v_mov_b32_e32 v83, v35
	s_waitcnt vmcnt(1)
	v_perm_b32 v29, v8, v16, s56
	s_waitcnt vmcnt(0)
	v_perm_b32 v30, v12, v20, s56
	v_perm_b32 v8, v8, v16, s57
	;; [unrolled: 1-line block ×15, first 2 shown]
	ds_write2st64_b32 v5, v29, v30 offset1:32
	ds_write2st64_b32 v6, v8, v12 offset1:32
	ds_write2st64_b32 v7, v16, v20 offset0:1 offset1:33
	ds_write2st64_b32 v24, v9, v13 offset0:1 offset1:33
	;; [unrolled: 1-line block ×6, first 2 shown]
	v_or_b32_e32 v5, v42, v1
	v_lshlrev_b32_e32 v5, 3, v5
	v_lshrrev_b32_e32 v7, 5, v43
	v_and_or_b32 v7, v5, s21, v7
	v_lshlrev_b32_e32 v7, 4, v7
	v_lshlrev_b32_e32 v10, 11, v44
	v_and_b32_e32 v5, 0x78, v5
	v_or_b32_e32 v12, 32, v7
	v_and_b32_e32 v6, 0x1000, v10
	v_lshrrev_b32_e32 v11, 1, v0
	v_xor_b32_e32 v12, v12, v5
	v_and_b32_e32 v9, 8, v11
	v_or_b32_e32 v12, v12, v6
	v_xor_b32_e32 v8, v7, v5
	v_xor_b32_e32 v62, v12, v9
	v_or_b32_e32 v12, 64, v7
	v_or_b32_e32 v7, 0x60, v7
	v_xor_b32_e32 v12, v12, v5
	v_xor_b32_e32 v5, v7, v5
	v_or_b32_e32 v5, v5, v6
	v_or_b32_e32 v12, v12, v6
	v_xor_b32_e32 v66, v5, v9
	v_lshlrev_b32_e32 v5, 1, v1
	v_xor_b32_e32 v63, v12, v9
	v_lshlrev_b32_e32 v12, 1, v4
	v_add_lshl_u32 v13, v4, s19, 1
	v_lshrrev_b32_e32 v4, 4, v0
	v_or_b32_e32 v15, 1, v5
	v_xor_b32_e32 v5, v4, v5
	v_xor_b32_e32 v15, v15, v4
	v_lshlrev_b32_e32 v5, 3, v5
	v_lshlrev_b32_e32 v34, 8, v4
	v_lshlrev_b32_e32 v4, 3, v15
	v_or3_b32 v70, v5, v34, s26
	v_or3_b32 v71, v4, v34, s26
	v_lshl_add_u64 v[4:5], s[24:25], 0, v[34:35]
	v_lshlrev_b32_e32 v34, 4, v1
	s_movk_i32 s21, 0xff
	v_lshlrev_b32_e32 v17, 3, v44
	v_and_b32_e32 v11, 24, v11
	v_lshl_add_u64 v[36:37], v[4:5], 0, v[34:35]
	v_and_b32_e32 v5, 8, v0
	v_cmp_lt_u32_e32 vcc, s21, v0
	v_xor_b32_e32 v18, v17, v11
	v_or_b32_e32 v19, 0x440, v18
	v_cndmask_b32_e64 v16, 0, 1, vcc
	v_cmp_eq_u32_e32 vcc, 0, v5
	v_and_b32_e32 v4, 7, v0
	v_lshlrev_b32_e32 v15, 3, v4
	v_cndmask_b32_e32 v5, v19, v18, vcc
	v_lshlrev_b32_e32 v4, 7, v4
	v_or_b32_e32 v5, v5, v10
	v_xad_u32 v72, v5, v15, v4
	v_or_b32_e32 v5, 32, v11
	v_xor_b32_e32 v5, v17, v5
	v_or_b32_e32 v18, 0x440, v5
	v_cndmask_b32_e32 v5, v18, v5, vcc
	v_or_b32_e32 v5, v5, v10
	v_xad_u32 v73, v5, v15, v4
	v_or_b32_e32 v5, 64, v11
	v_xor_b32_e32 v5, v17, v5
	v_xor_b32_e32 v18, 0x440, v5
	v_cndmask_b32_e32 v5, v18, v5, vcc
	v_or_b32_e32 v5, v5, v10
	v_xad_u32 v74, v5, v15, v4
	v_or_b32_e32 v5, 0x60, v11
	v_xor_b32_e32 v5, v17, v5
	v_or_b32_e32 v8, v8, v6
	v_or_b32_e32 v6, s36, v1
	v_xor_b32_e32 v11, 0x440, v5
	v_xor_b32_e32 v60, v8, v9
	v_and_b32_e32 v8, 0x78, v46
	v_ashrrev_i32_e32 v7, 31, v6
	v_cndmask_b32_e32 v5, v11, v5, vcc
	v_lshl_or_b32 v8, v45, 7, v8
	v_lshlrev_b64 v[6:7], 1, v[6:7]
	v_or_b32_e32 v5, v5, v10
	v_or_b32_e32 v61, 0x9000, v8
	;; [unrolled: 1-line block ×3, first 2 shown]
	v_lshl_add_u64 v[8:9], s[8:9], 0, v[6:7]
	v_lshl_add_u64 v[6:7], s[14:15], 0, v[6:7]
	v_or_b32_e32 v14, 0x100, v3
	v_lshlrev_b32_e32 v16, 13, v16
	v_xad_u32 v75, v5, v15, v4
	v_lshlrev_b32_e32 v34, 8, v49
	v_cndmask_b32_e64 v76, v12, v3, s[0:1]
	v_cndmask_b32_e64 v77, v13, v14, s[0:1]
	v_lshl_add_u64 v[38:39], v[8:9], 0, v[34:35]
	v_lshl_add_u64 v[40:41], v[6:7], 0, v[34:35]
	s_mov_b32 s21, 0x7060302
	s_movk_i32 s26, 0x4000
	v_add_u32_e32 v79, v16, v72
	v_add_u32_e32 v80, v16, v73
	v_add_u32_e32 v81, v16, v74
	v_add_u32_e32 v82, v16, v75
	v_mov_b32_e32 v34, v35
	s_waitcnt lgkmcnt(0)
	s_barrier
.LBB551_6:                              ; =>This Inner Loop Header: Depth=1
	s_add_i32 s37, s58, 1
	s_cmp_lt_i32 s37, s46
	s_mov_b64 s[28:29], 0
	s_cselect_b64 s[40:41], -1, 0
	s_cmp_ge_i32 s37, s46
	s_mov_b64 s[24:25], 0
	s_cbranch_scc1 .LBB551_8
; %bb.7:                                ;   in Loop: Header=BB551_6 Depth=1
	s_add_i32 s0, s52, 64
	s_ashr_i32 s1, s0, 31
	s_add_u32 s0, s49, s0
	s_addc_u32 s1, s48, s1
	s_lshl_b64 s[0:1], s[0:1], 8
	s_add_u32 s24, s6, s0
	s_addc_u32 s25, s7, s1
.LBB551_8:                              ;   in Loop: Header=BB551_6 Depth=1
	v_cndmask_b32_e64 v2, 0, 1, s[40:41]
	v_cmp_ne_u32_e64 s[0:1], 1, v2
	s_andn2_b64 vcc, exec, s[40:41]
	s_cbranch_vccnz .LBB551_10
; %bb.9:                                ;   in Loop: Header=BB551_6 Depth=1
	s_add_i32 s28, s52, 64
	s_mul_hi_i32 s29, s28, s18
	s_mul_i32 s28, s28, s18
	s_add_u32 s28, s28, s51
	s_addc_u32 s29, s29, s54
	s_lshl_b64 s[28:29], s[28:29], 8
	s_add_u32 s28, s4, s28
	s_addc_u32 s29, s5, s29
.LBB551_10:                             ;   in Loop: Header=BB551_6 Depth=1
	v_perm_b32 v3, v84, v69, s21
	v_perm_b32 v2, v68, v35, s21
	;; [unrolled: 1-line block ×4, first 2 shown]
	ds_write_b64 v56, v[2:3]
	ds_write_b64 v57, v[4:5]
	;; [unrolled: 1-line block ×4, first 2 shown]
	s_waitcnt lgkmcnt(0)
	s_barrier
	ds_read_b64 v[10:11], v60 offset:16384
	ds_read_b64 v[12:13], v62 offset:16384
	ds_read2st64_b64 v[2:5], v61 offset1:1
	s_waitcnt lgkmcnt(0)
	v_mfma_f32_16x16x16_bf16 a[0:3], v[10:11], v[2:3], 0
	ds_read2st64_b64 v[6:9], v61 offset0:2 offset1:3
	ds_read_b64 v[14:15], v63 offset:16384
	ds_read_b64 v[2:3], v66 offset:16384
	s_add_i32 s31, s52, 63
	v_mfma_f32_16x16x16_bf16 a[0:3], v[12:13], v[4:5], a[0:3]
	s_ashr_i32 s40, s31, 31
	s_mul_i32 s41, s31, s35
	s_mul_hi_u32 s59, s31, s34
	s_waitcnt lgkmcnt(1)
	v_mfma_f32_16x16x16_bf16 a[0:3], v[14:15], v[6:7], a[0:3]
	s_add_i32 s41, s59, s41
	s_mul_i32 s40, s40, s34
	s_add_i32 s41, s41, s40
	s_mul_i32 s40, s31, s34
	s_waitcnt lgkmcnt(0)
	v_mfma_f32_16x16x16_bf16 a[0:3], v[2:3], v[8:9], a[0:3]
	s_lshl_b64 s[40:41], s[40:41], 2
	s_add_u32 s40, s2, s40
	s_addc_u32 s41, s3, s41
	s_and_b64 vcc, exec, s[0:1]
	v_mov_b32_e32 v87, 0
	v_mov_b32_e32 v86, 0
	;; [unrolled: 1-line block ×19, first 2 shown]
	s_cbranch_vccnz .LBB551_12
; %bb.11:                               ;   in Loop: Header=BB551_6 Depth=1
	s_and_b32 s25, s25, 0xffff
	buffer_load_dwordx4 v[14:17], v52, s[24:27], 0 offen
	buffer_load_dwordx4 v[10:13], v52, s[24:27], s55 offen
	;; [unrolled: 1-line block ×4, first 2 shown]
	v_mov_b32_e32 v86, v54
	v_mov_b32_e32 v85, v55
.LBB551_12:                             ;   in Loop: Header=BB551_6 Depth=1
	s_waitcnt vmcnt(3)
	v_add_u32_e32 v22, s52, v78
	s_waitcnt vmcnt(1)
	v_ashrrev_i32_e32 v18, 31, v22
	v_mul_lo_u32 v20, v18, s34
	v_mul_lo_u32 v21, v22, s35
	v_mad_u64_u32 v[18:19], s[24:25], v22, s34, 0
	v_add3_u32 v19, v19, v21, v20
	v_lshl_add_u64 v[18:19], v[18:19], 2, s[2:3]
	global_load_dword v89, v[18:19], off
	v_add_u32_e32 v18, 1, v22
	v_ashrrev_i32_e32 v19, 31, v18
	v_mul_lo_u32 v20, v19, s34
	v_mul_lo_u32 v21, v18, s35
	v_mad_u64_u32 v[18:19], s[24:25], v18, s34, 0
	v_add3_u32 v19, v19, v21, v20
	v_add_u32_e32 v20, 2, v22
	v_ashrrev_i32_e32 v21, 31, v20
	v_mul_lo_u32 v23, v21, s34
	v_mul_lo_u32 v24, v20, s35
	v_mad_u64_u32 v[20:21], s[24:25], v20, s34, 0
	v_add_u32_e32 v22, 3, v22
	v_add3_u32 v21, v21, v24, v23
	v_ashrrev_i32_e32 v23, 31, v22
	v_mul_lo_u32 v26, v23, s34
	v_mul_lo_u32 v27, v22, s35
	v_mad_u64_u32 v[22:23], s[24:25], v22, s34, 0
	s_ashr_i32 s25, s52, 31
	s_add_u32 s24, s49, s52
	s_addc_u32 s25, s48, s25
	s_lshl_b64 s[60:61], s[24:25], 8
	v_lshl_add_u64 v[18:19], v[18:19], 2, s[2:3]
	v_lshl_add_u64 v[24:25], v[38:39], 0, s[60:61]
	v_add3_u32 v23, v23, v27, v26
	v_lshl_add_u64 v[20:21], v[20:21], 2, s[2:3]
	global_load_ushort v92, v[24:25], off
	global_load_ushort v93, v[24:25], off offset:256
	global_load_ushort v94, v[24:25], off offset:512
	global_load_ushort v95, v[24:25], off offset:768
	v_lshl_add_u64 v[22:23], v[22:23], 2, s[2:3]
	global_load_dword v96, v[18:19], off
	global_load_dword v97, v[20:21], off
	;; [unrolled: 1-line block ×3, first 2 shown]
	s_load_dword s24, s[40:41], 0x0
	ds_read_b64 v[20:21], v60 offset:24576
	ds_read2st64_b64 v[22:25], v67 offset1:1
	ds_read2st64_b64 v[26:29], v67 offset0:2 offset1:3
	ds_read_b64 v[30:31], v62 offset:24576
	ds_read_b64 v[32:33], v63 offset:24576
	;; [unrolled: 1-line block ×3, first 2 shown]
	s_waitcnt lgkmcnt(0)
	v_mfma_f32_16x16x16_bf16 a[0:3], v[20:21], v[22:23], a[0:3]
	v_mov_b32_e32 v88, 0
	v_mov_b32_e32 v18, 0
	;; [unrolled: 1-line block ×3, first 2 shown]
	v_mfma_f32_16x16x16_bf16 a[0:3], v[30:31], v[24:25], a[0:3]
	v_lshl_add_u64 v[30:31], v[40:41], 0, s[60:61]
	v_mov_b32_e32 v20, 0
	v_mov_b32_e32 v21, 0
	v_mfma_f32_16x16x16_bf16 a[0:3], v[32:33], v[26:27], a[0:3]
	v_mov_b32_e32 v22, 0
	v_mov_b32_e32 v23, 0
	;; [unrolled: 1-line block ×3, first 2 shown]
	v_mfma_f32_16x16x16_bf16 a[0:3], v[90:91], v[28:29], a[0:3]
	v_mov_b32_e32 v25, 0
	v_mov_b32_e32 v26, 0
	s_and_b64 vcc, exec, s[0:1]
	s_waitcnt vmcnt(7)
	v_sub_f32_e32 v27, s24, v89
	s_nop 1
	v_accvgpr_read_b32 v33, a1
	v_accvgpr_read_b32 v32, a0
	;; [unrolled: 1-line block ×4, first 2 shown]
	s_waitcnt vmcnt(6)
	v_lshlrev_b32_e32 v90, 16, v92
	s_waitcnt vmcnt(5)
	v_lshlrev_b32_e32 v91, 16, v93
	s_waitcnt vmcnt(4)
	v_lshlrev_b32_e32 v92, 16, v94
	v_exp_f32_e32 v94, v27
	s_waitcnt vmcnt(2)
	v_sub_f32_e32 v27, s24, v96
	s_waitcnt vmcnt(1)
	v_sub_f32_e32 v89, s24, v97
	;; [unrolled: 2-line block ×3, first 2 shown]
	v_lshlrev_b32_e32 v93, 16, v95
	v_pk_add_f32 v[32:33], v[90:91], v[32:33] neg_lo:[0,1] neg_hi:[0,1]
	v_exp_f32_e32 v95, v27
	v_exp_f32_e32 v90, v89
	;; [unrolled: 1-line block ×3, first 2 shown]
	v_pk_add_f32 v[28:29], v[92:93], v[28:29] neg_lo:[0,1] neg_hi:[0,1]
	global_store_short_d16_hi v[30:31], v32, off
	global_store_short_d16_hi v[30:31], v33, off offset:256
	global_store_short_d16_hi v[30:31], v28, off offset:512
	;; [unrolled: 1-line block ×3, first 2 shown]
	v_pk_mul_f32 v[30:31], v[94:95], v[32:33]
	v_pk_mul_f32 v[28:29], v[90:91], v[28:29]
	v_perm_b32 v30, v31, v30, s21
	v_perm_b32 v31, v29, v28, s21
	ds_write_b64 v57, v[30:31]
	v_mov_b32_e32 v27, 0
	v_mov_b32_e32 v28, 0
	;; [unrolled: 1-line block ×7, first 2 shown]
	s_cbranch_vccnz .LBB551_14
; %bb.13:                               ;   in Loop: Header=BB551_6 Depth=1
	s_and_b32 s29, s29, 0xffff
	s_mov_b32 s31, s27
	buffer_load_dwordx4 v[30:33], v76, s[28:31], 0 offen
	buffer_load_dwordx4 v[22:25], v76, s[28:31], s55 offen
	;; [unrolled: 1-line block ×4, first 2 shown]
	v_mov_b32_e32 v87, v51
	v_mov_b32_e32 v88, v50
.LBB551_14:                             ;   in Loop: Header=BB551_6 Depth=1
	s_waitcnt lgkmcnt(0)
	s_barrier
	ds_read_b64 v[98:99], v79
	ds_read2st64_b64 v[90:93], v67 offset1:1
	ds_read2st64_b64 v[94:97], v67 offset0:2 offset1:3
	ds_read_b64 v[100:101], v80
	ds_read_b64 v[102:103], v81
	;; [unrolled: 1-line block ×3, first 2 shown]
	s_waitcnt lgkmcnt(4)
	v_mfma_f32_16x16x16_bf16 a[0:3], v[98:99], v[90:91], 0
	ds_read_b64 v[98:99], v72 offset:8192
	ds_read_b64 v[106:107], v73 offset:8192
	s_add_i32 s25, s47, s58
	s_mul_hi_i32 s29, s25, s50
	s_waitcnt lgkmcnt(1)
	v_mfma_f32_16x16x16_bf16 a[4:7], v[98:99], v[90:91], 0
	s_mul_i32 s25, s25, s50
	s_add_u32 s28, s25, s33
	s_addc_u32 s29, s29, s53
	v_mfma_f32_16x16x16_bf16 a[0:3], v[100:101], v[92:93], a[0:3]
	ds_read_b64 v[98:99], v70
	ds_read_b64 v[100:101], v71
	ds_read_b64 v[90:91], v74 offset:8192
	s_lshl_b64 s[28:29], s[28:29], 15
	v_mfma_f32_16x16x16_bf16 a[0:3], v[102:103], v[94:95], a[0:3]
	ds_read_b64 v[102:103], v75 offset:8192
	s_and_b64 vcc, exec, s[0:1]
	s_waitcnt lgkmcnt(4)
	v_mfma_f32_16x16x16_bf16 a[4:7], v[106:107], v[92:93], a[4:7]
	s_waitcnt lgkmcnt(1)
	v_mfma_f32_16x16x16_bf16 a[4:7], v[90:91], v[94:95], a[4:7]
	v_lshl_add_u64 v[90:91], v[36:37], 0, s[28:29]
	global_store_dwordx4 v[90:91], v[98:101], off
	v_mfma_f32_16x16x16_bf16 a[0:3], v[104:105], v[96:97], a[0:3]
	s_waitcnt lgkmcnt(0)
	v_mfma_f32_16x16x16_bf16 a[4:7], v[102:103], v[96:97], a[4:7]
	s_cbranch_vccnz .LBB551_16
; %bb.15:                               ;   in Loop: Header=BB551_6 Depth=1
	v_lshrrev_b32_e32 v89, 3, v87
	v_and_b32_e32 v89, 6, v89
	v_xor_b32_e32 v88, v89, v88
	v_lshlrev_b32_e32 v88, 2, v88
	v_and_b32_e32 v87, 8, v87
	v_xor_b32_e32 v90, 0x440, v88
	v_cmp_eq_u32_e32 vcc, 0, v87
	s_barrier
	s_nop 0
	v_cndmask_b32_e32 v87, v90, v88, vcc
	v_lshl_or_b32 v87, v89, 10, v87
	s_waitcnt vmcnt(2)
	v_perm_b32 v88, v30, v26, s56
	s_waitcnt vmcnt(1)
	v_perm_b32 v89, v22, v18, s56
	ds_write2st64_b32 v87, v88, v89 offset1:32
	v_xor_b32_e32 v88, 8, v87
	v_perm_b32 v26, v30, v26, s57
	v_perm_b32 v18, v22, v18, s57
	v_add_u32_e32 v22, 0x80, v88
	ds_write2st64_b32 v22, v26, v18 offset1:32
	v_xor_b32_e32 v18, 16, v87
	v_perm_b32 v22, v31, v27, s56
	v_perm_b32 v26, v23, v19, s56
	ds_write2st64_b32 v18, v22, v26 offset0:1 offset1:33
	v_xor_b32_e32 v18, 24, v87
	v_perm_b32 v22, v31, v27, s57
	v_perm_b32 v19, v23, v19, s57
	v_add_u32_e32 v18, 0x80, v18
	ds_write2st64_b32 v18, v22, v19 offset0:1 offset1:33
	v_xor_b32_e32 v18, 32, v87
	v_perm_b32 v19, v32, v28, s56
	v_perm_b32 v22, v24, v20, s56
	ds_write2st64_b32 v18, v19, v22 offset0:2 offset1:34
	v_xor_b32_e32 v18, 40, v87
	v_perm_b32 v19, v32, v28, s57
	v_perm_b32 v20, v24, v20, s57
	v_add_u32_e32 v18, 0x80, v18
	ds_write2st64_b32 v18, v19, v20 offset0:2 offset1:34
	;; [unrolled: 9-line block ×3, first 2 shown]
	ds_write_b64 v86, v[14:15] offset:16384
	v_xor_b32_e32 v14, 8, v86
	ds_write_b64 v14, v[16:17] offset:16384
	ds_write_b64 v86, v[10:11] offset:24576
	;; [unrolled: 1-line block ×4, first 2 shown]
	v_xor_b32_e32 v6, 8, v85
	ds_write_b64 v6, v[8:9] offset:16384
	ds_write_b64 v85, v[2:3] offset:24576
	ds_write_b64 v6, v[4:5] offset:24576
.LBB551_16:                             ;   in Loop: Header=BB551_6 Depth=1
	v_exp_f32_e32 v2, s24
	s_nop 2
	v_accvgpr_read_b32 v3, a0
	v_accvgpr_read_b32 v4, a1
	s_add_i32 s52, s52, 64
	v_fma_f32 v35, v35, v2, v3
	v_accvgpr_read_b32 v3, a2
	v_fma_f32 v69, v69, v2, v3
	v_accvgpr_read_b32 v3, a4
	;; [unrolled: 2-line block ×6, first 2 shown]
	v_fmac_f32_e32 v4, v84, v2
	s_cmp_eq_u32 s46, s37
	v_fmac_f32_e32 v3, v83, v2
	s_cbranch_scc1 .LBB551_18
; %bb.17:                               ;   in Loop: Header=BB551_6 Depth=1
	s_mov_b32 s58, s37
	v_mov_b32_e32 v84, v4
	v_mov_b32_e32 v83, v3
	s_branch .LBB551_6
.LBB551_18:
	s_lshl_b32 s0, s46, 6
	s_sub_i32 s45, s45, s0
	s_cmp_gt_i32 s45, 0
	s_cbranch_scc0 .LBB551_75
; %bb.19:
	s_add_i32 s38, s0, s38
	s_ashr_i32 s2, s38, 31
	s_cmpk_lg_i32 s19, 0x80
	s_cselect_b64 s[30:31], -1, 0
	s_and_b64 vcc, exec, s[30:31]
	s_cbranch_vccz .LBB551_21
; %bb.20:
	s_mul_i32 s1, s38, s18
	s_ashr_i32 s3, s51, 31
	s_mul_hi_i32 s0, s38, s18
	s_add_u32 s40, s1, s51
	s_addc_u32 s41, s0, s3
	s_cbranch_execz .LBB551_22
	s_branch .LBB551_23
.LBB551_21:
                                        ; implicit-def: $sgpr40_sgpr41
.LBB551_22:
	s_mul_i32 s1, s51, s16
	s_mul_hi_i32 s0, s51, s16
	s_add_u32 s40, s1, s38
	s_addc_u32 s41, s0, s2
.LBB551_23:
	s_add_i32 s3, s46, s47
	s_ashr_i32 s16, s33, 31
	s_add_u32 s0, s49, s38
	s_addc_u32 s1, s48, s2
	s_mov_b32 s2, 0x7060302
	v_lshlrev_b32_e32 v6, 3, v1
	v_perm_b32 v5, v4, v69, s2
	v_perm_b32 v4, v68, v35, s2
	;; [unrolled: 1-line block ×4, first 2 shown]
	v_lshlrev_b32_e32 v34, 2, v1
	v_lshl_or_b32 v6, v49, 5, v6
	s_lshl_b64 s[28:29], s[0:1], 8
	ds_write2st64_b64 v6, v[4:5], v[2:3] offset0:72 offset1:76
	v_xor_b32_e32 v6, v49, v34
	v_lshlrev_b32_e32 v7, 8, v1
	s_add_u32 s0, s6, s28
	v_lshl_or_b32 v6, v6, 1, v7
	s_addc_u32 s1, s7, s29
	ds_write_b64 v6, v[4:5] offset:32768
	v_xor_b32_e32 v4, v48, v34
	s_mul_hi_i32 s6, s3, s17
	s_mul_i32 s3, s3, s17
	v_lshl_or_b32 v4, v4, 1, v7
	s_add_u32 s2, s3, s33
	ds_write_b64 v4, v[2:3] offset:32768
	s_addc_u32 s3, s6, s16
	v_lshlrev_b32_e32 v3, 1, v1
	v_lshrrev_b32_e32 v2, 4, v0
	s_ashr_i32 s37, s36, 31
	s_lshl_b64 s[2:3], s[2:3], 15
	v_or_b32_e32 v4, 1, v3
	s_add_u32 s6, s12, s2
	v_xor_b32_e32 v3, v2, v3
	v_xor_b32_e32 v4, v4, v2
	v_lshlrev_b32_e32 v6, 8, v2
	s_addc_u32 s7, s13, s3
	s_lshl_b64 s[2:3], s[36:37], 8
	v_lshl_or_b32 v2, v3, 3, v6
	v_lshl_or_b32 v4, v4, 3, v6
	s_waitcnt lgkmcnt(0)
	s_barrier
	s_add_u32 s2, s6, s2
	ds_read_b64 v[2:3], v2 offset:32768
	ds_read_b64 v[4:5], v4 offset:32768
	s_addc_u32 s3, s7, s3
	v_mov_b32_e32 v7, 0
	s_cmp_lg_u32 s45, 64
	v_lshl_add_u64 v[8:9], s[2:3], 0, v[6:7]
	v_lshlrev_b32_e32 v6, 4, v1
	s_cselect_b64 s[6:7], -1, 0
	v_lshl_or_b32 v35, v44, 3, v47
	s_mov_b32 s24, 0
	v_lshl_add_u64 v[6:7], v[8:9], 0, v[6:7]
	s_waitcnt vmcnt(1)
	v_or_b32_e32 v19, 32, v35
	v_and_b32_e32 v18, 56, v46
	s_and_b64 vcc, exec, s[6:7]
	s_waitcnt lgkmcnt(0)
	global_store_dwordx4 v[6:7], v[2:5], off
	s_cbranch_vccz .LBB551_29
; %bb.24:
	s_mov_b32 s25, s24
	s_mov_b32 s26, s24
	;; [unrolled: 1-line block ×3, first 2 shown]
	v_mov_b64_e32 v[6:7], s[24:25]
	v_mov_b64_e32 v[8:9], s[26:27]
	;; [unrolled: 1-line block ×3, first 2 shown]
	v_cmp_gt_i32_e32 vcc, s45, v35
	v_mov_b64_e32 v[4:5], v[8:9]
	s_and_saveexec_b64 s[2:3], vcc
	s_cbranch_execz .LBB551_26
; %bb.25:
	v_lshlrev_b32_e32 v2, 8, v35
	v_mov_b32_e32 v3, 0
	v_lshl_add_u64 v[4:5], s[0:1], 0, v[2:3]
	v_lshlrev_b32_e32 v2, 1, v18
	v_lshl_add_u64 v[10:11], v[4:5], 0, v[2:3]
	global_load_dwordx4 v[6:9], v[10:11], off
	global_load_dwordx4 v[2:5], v[10:11], off offset:128
.LBB551_26:
	s_or_b64 exec, exec, s[2:3]
	s_mov_b32 s25, s24
	s_mov_b32 s26, s24
	;; [unrolled: 1-line block ×3, first 2 shown]
	v_mov_b64_e32 v[14:15], s[24:25]
	v_mov_b64_e32 v[16:17], s[26:27]
	;; [unrolled: 1-line block ×3, first 2 shown]
	v_cmp_gt_i32_e32 vcc, s45, v19
	v_lshlrev_b32_e32 v20, 7, v19
	v_mov_b64_e32 v[12:13], v[16:17]
	s_and_saveexec_b64 s[2:3], vcc
	s_cbranch_execz .LBB551_28
; %bb.27:
	v_lshlrev_b32_e32 v10, 1, v20
	v_mov_b32_e32 v11, 0
	v_lshl_add_u64 v[12:13], s[0:1], 0, v[10:11]
	v_lshlrev_b32_e32 v10, 1, v18
	v_lshl_add_u64 v[22:23], v[12:13], 0, v[10:11]
	global_load_dwordx4 v[14:17], v[22:23], off
	global_load_dwordx4 v[10:13], v[22:23], off offset:128
.LBB551_28:
	s_or_b64 exec, exec, s[2:3]
	v_lshrrev_b32_e32 v21, 3, v18
	v_lshlrev_b32_e32 v22, 3, v35
	v_or_b32_e32 v21, v22, v21
	v_lshlrev_b32_e32 v21, 4, v21
	v_and_b32_e32 v22, 0x78, v22
	v_xor_b32_e32 v21, v21, v22
	s_branch .LBB551_31
.LBB551_29:
                                        ; implicit-def: $vgpr21
                                        ; implicit-def: $vgpr20
                                        ; implicit-def: $vgpr6_vgpr7_vgpr8_vgpr9
                                        ; implicit-def: $vgpr2_vgpr3_vgpr4_vgpr5
                                        ; implicit-def: $vgpr14_vgpr15_vgpr16_vgpr17
                                        ; implicit-def: $vgpr10_vgpr11_vgpr12_vgpr13
	s_cbranch_execz .LBB551_31
; %bb.30:
	s_waitcnt vmcnt(0)
	v_lshlrev_b32_e32 v2, 1, v18
	v_lshl_or_b32 v20, v35, 8, v2
	s_and_b32 s1, s1, 0xffff
	s_mov_b32 s3, 0x20000
	s_movk_i32 s2, 0x4000
	v_lshl_or_b32 v21, v19, 8, v2
	s_movk_i32 s12, 0x80
	buffer_load_dwordx4 v[6:9], v20, s[0:3], 0 offen
	buffer_load_dwordx4 v[2:5], v20, s[0:3], s12 offen
	;; [unrolled: 1-line block ×4, first 2 shown]
	v_lshrrev_b32_e32 v20, 3, v18
	v_lshlrev_b32_e32 v21, 3, v35
	v_or_b32_e32 v20, v21, v20
	v_lshlrev_b32_e32 v20, 4, v20
	v_and_b32_e32 v21, 0x78, v21
	v_xor_b32_e32 v21, v20, v21
	v_lshlrev_b32_e32 v20, 7, v19
.LBB551_31:
	s_lshl_b64 s[0:1], s[40:41], 8
	s_add_u32 s4, s4, s0
	s_movk_i32 s0, 0x1000
	v_and_or_b32 v19, v20, s0, v21
	s_waitcnt vmcnt(1)
	ds_write_b64 v21, v[6:7] offset:16384
	v_xor_b32_e32 v6, 8, v21
	s_addc_u32 s5, s5, s1
	ds_write_b64 v6, v[8:9] offset:16384
	s_waitcnt vmcnt(0)
	ds_write_b64 v21, v[2:3] offset:24576
	ds_write_b64 v6, v[4:5] offset:24576
	;; [unrolled: 1-line block ×3, first 2 shown]
	v_xor_b32_e32 v2, 8, v19
	s_add_i32 s0, s43, s42
	ds_write_b64 v2, v[16:17] offset:16384
	ds_write_b64 v19, v[10:11] offset:24576
	;; [unrolled: 1-line block ×3, first 2 shown]
	s_add_i32 s21, s0, s44
	s_mul_i32 s0, s33, s23
	s_mul_hi_u32 s1, s33, s22
	v_or_b32_e32 v2, v42, v1
	s_add_i32 s0, s1, s0
	s_mul_i32 s1, s16, s22
	v_lshlrev_b32_e32 v2, 3, v2
	v_lshrrev_b32_e32 v4, 5, v43
	s_movk_i32 s16, 0xf8
	v_and_or_b32 v4, v2, s16, v4
	v_lshlrev_b32_e32 v3, 11, v44
	v_lshlrev_b32_e32 v12, 4, v4
	v_and_b32_e32 v13, 0x78, v2
	v_and_b32_e32 v14, 0x1000, v3
	v_lshlrev_b32_e32 v3, 2, v0
	v_xor_b32_e32 v2, v12, v13
	v_lshrrev_b32_e32 v4, 1, v43
	v_and_b32_e32 v3, 60, v3
	v_or_b32_e32 v2, v2, v14
	v_and_b32_e32 v15, 8, v4
	v_xor_b32_e32 v26, v2, v15
	v_lshl_or_b32 v2, v45, 6, v3
	v_lshlrev_b32_e32 v19, 1, v2
	v_or_b32_e32 v2, 32, v12
	v_xor_b32_e32 v2, v2, v13
	s_waitcnt lgkmcnt(0)
	s_barrier
	ds_read_b64 v[10:11], v26 offset:16384
	v_or_b32_e32 v2, v2, v14
	v_xor_b32_e32 v27, v2, v15
	v_or_b32_e32 v2, 64, v12
	v_xor_b32_e32 v2, v2, v13
	v_or_b32_e32 v2, v2, v14
	v_or_b32_e32 v12, 0x60, v12
	v_xor_b32_e32 v28, v2, v15
	ds_read2st64_b64 v[2:5], v19 offset0:72 offset1:73
	ds_read2st64_b64 v[6:9], v19 offset0:74 offset1:75
	v_xor_b32_e32 v16, v12, v13
	ds_read_b64 v[12:13], v27 offset:16384
	s_waitcnt lgkmcnt(2)
	v_mfma_f32_16x16x16_bf16 a[0:3], v[10:11], v[2:3], 0
	s_add_i32 s2, s39, -1
	s_ashr_i32 s3, s2, 31
	s_mul_i32 s12, s2, s35
	s_mul_hi_u32 s13, s2, s34
	s_add_i32 s12, s13, s12
	s_mul_i32 s3, s3, s34
	v_or_b32_e32 v14, v16, v14
	s_add_i32 s1, s0, s1
	s_add_i32 s3, s12, s3
	s_lshl_b64 s[12:13], s[20:21], 2
	v_xor_b32_e32 v36, v14, v15
	ds_read_b64 v[14:15], v28 offset:16384
	ds_read_b64 v[16:17], v36 offset:16384
	s_waitcnt lgkmcnt(2)
	v_mfma_f32_16x16x16_bf16 a[0:3], v[12:13], v[4:5], a[0:3]
	s_mul_i32 s0, s33, s22
	s_add_u32 s10, s10, s12
	s_addc_u32 s11, s11, s13
	s_lshl_b64 s[0:1], s[0:1], 2
	s_mul_i32 s2, s2, s34
	s_add_u32 s10, s10, s0
	s_addc_u32 s11, s11, s1
	s_lshl_b64 s[0:1], s[2:3], 2
	s_waitcnt lgkmcnt(1)
	v_mfma_f32_16x16x16_bf16 a[0:3], v[14:15], v[6:7], a[0:3]
	s_add_u32 s0, s10, s0
	s_addc_u32 s1, s11, s1
	s_load_dword s12, s[0:1], 0x0
	s_waitcnt lgkmcnt(0)
	v_mfma_f32_16x16x16_bf16 a[0:3], v[16:17], v[8:9], a[0:3]
	s_and_b64 vcc, exec, s[30:31]
	s_cbranch_vccz .LBB551_42
; %bb.32:
	v_lshlrev_b32_e32 v20, 1, v35
	s_and_b64 vcc, exec, s[6:7]
	s_cbranch_vccz .LBB551_43
; %bb.33:
	v_cmp_gt_i32_e32 vcc, s45, v20
	v_mov_b32_e32 v6, 0
	v_mov_b32_e32 v2, 0
	;; [unrolled: 1-line block ×5, first 2 shown]
	s_and_saveexec_b64 s[0:1], vcc
	s_cbranch_execz .LBB551_35
; %bb.34:
	v_mad_i64_i32 v[2:3], s[2:3], s19, v20, 0
	v_lshl_add_u64 v[2:3], v[2:3], 1, s[4:5]
	v_lshlrev_b32_e32 v4, 1, v18
	v_mov_b32_e32 v5, 0
	v_lshl_add_u64 v[2:3], v[2:3], 0, v[4:5]
	global_load_dwordx4 v[2:5], v[2:3], off
.LBB551_35:
	s_or_b64 exec, exec, s[0:1]
	v_or_b32_e32 v21, 1, v20
	v_cmp_gt_i32_e64 s[0:1], s45, v21
	v_mov_b32_e32 v7, 0
	v_mov_b32_e32 v8, 0
	v_mov_b32_e32 v9, 0
	s_and_saveexec_b64 s[2:3], s[0:1]
	s_cbranch_execz .LBB551_37
; %bb.36:
	v_mad_i64_i32 v[6:7], s[16:17], s19, v21, 0
	v_lshl_add_u64 v[6:7], v[6:7], 1, s[4:5]
	v_lshlrev_b32_e32 v8, 1, v18
	v_mov_b32_e32 v9, 0
	v_lshl_add_u64 v[6:7], v[6:7], 0, v[8:9]
	global_load_dwordx4 v[6:9], v[6:7], off
.LBB551_37:
	s_or_b64 exec, exec, s[2:3]
	v_mov_b32_e32 v17, 0
	v_mov_b32_e32 v10, 0
	;; [unrolled: 1-line block ×5, first 2 shown]
	s_and_saveexec_b64 s[2:3], vcc
	s_cbranch_execz .LBB551_39
; %bb.38:
	v_mad_i64_i32 v[10:11], s[16:17], s19, v20, 0
	v_lshl_add_u64 v[10:11], v[10:11], 1, s[4:5]
	v_lshlrev_b32_e32 v12, 1, v18
	v_mov_b32_e32 v13, 0
	v_lshl_add_u64 v[10:11], v[10:11], 0, v[12:13]
	global_load_dwordx4 v[10:13], v[10:11], off offset:128
.LBB551_39:
	s_or_b64 exec, exec, s[2:3]
	v_mov_b32_e32 v16, 0
	v_mov_b32_e32 v15, 0
	;; [unrolled: 1-line block ×3, first 2 shown]
	s_and_saveexec_b64 s[2:3], s[0:1]
	s_cbranch_execz .LBB551_41
; %bb.40:
	v_mad_i64_i32 v[14:15], s[0:1], s19, v21, 0
	v_lshl_add_u64 v[14:15], v[14:15], 1, s[4:5]
	v_lshlrev_b32_e32 v16, 1, v18
	v_mov_b32_e32 v17, 0
	v_lshl_add_u64 v[14:15], v[14:15], 0, v[16:17]
	global_load_dwordx4 v[14:17], v[14:15], off offset:128
.LBB551_41:
	s_or_b64 exec, exec, s[2:3]
	s_branch .LBB551_45
.LBB551_42:
                                        ; implicit-def: $vgpr5
                                        ; implicit-def: $vgpr9
                                        ; implicit-def: $vgpr13
                                        ; implicit-def: $vgpr17
	v_lshrrev_b32_e32 v37, 2, v43
	s_branch .LBB551_46
.LBB551_43:
                                        ; implicit-def: $vgpr5
                                        ; implicit-def: $vgpr9
                                        ; implicit-def: $vgpr13
                                        ; implicit-def: $vgpr17
	s_cbranch_execz .LBB551_45
; %bb.44:
	s_waitcnt vmcnt(0)
	v_mad_u64_u32 v[2:3], s[0:1], v20, s19, v[18:19]
	v_lshlrev_b32_e32 v20, 1, v2
	s_lshl_b32 s2, s19, 7
	s_and_b32 s1, s5, 0xffff
	s_mov_b32 s3, 0x20000
	s_mov_b32 s0, s4
	v_add_lshl_u32 v21, v2, s19, 1
	s_movk_i32 s13, 0x80
	buffer_load_dwordx4 v[2:5], v20, s[0:3], 0 offen
	buffer_load_dwordx4 v[10:13], v20, s[0:3], s13 offen
	;; [unrolled: 1-line block ×4, first 2 shown]
.LBB551_45:
	v_lshrrev_b32_e32 v37, 2, v43
	s_cbranch_execnz .LBB551_58
.LBB551_46:
	s_and_b64 vcc, exec, s[6:7]
	s_cbranch_vccz .LBB551_56
; %bb.47:
	s_waitcnt vmcnt(0)
	v_lshlrev_b32_e32 v7, 1, v35
	v_cmp_gt_i32_e32 vcc, s45, v7
	v_mov_b32_e32 v6, 0
	v_lshlrev_b32_e32 v14, 9, v35
	v_mov_b32_e32 v2, 0
	v_mov_b32_e32 v3, 0
	;; [unrolled: 1-line block ×4, first 2 shown]
	s_and_saveexec_b64 s[0:1], vcc
	s_cbranch_execz .LBB551_49
; %bb.48:
	v_mov_b32_e32 v15, 0
	v_lshl_add_u64 v[2:3], s[4:5], 0, v[14:15]
	v_lshlrev_b32_e32 v4, 1, v18
	v_mov_b32_e32 v5, v15
	v_lshl_add_u64 v[2:3], v[2:3], 0, v[4:5]
	global_load_dwordx4 v[2:5], v[2:3], off
.LBB551_49:
	s_or_b64 exec, exec, s[0:1]
	v_or_b32_e32 v7, 1, v7
	v_cmp_gt_i32_e64 s[0:1], s45, v7
	v_lshlrev_b32_e32 v20, 8, v7
	v_mov_b32_e32 v7, 0
	v_mov_b32_e32 v8, 0
	;; [unrolled: 1-line block ×3, first 2 shown]
	s_and_saveexec_b64 s[2:3], s[0:1]
	s_cbranch_execz .LBB551_51
; %bb.50:
	v_mov_b32_e32 v21, 0
	v_lshl_add_u64 v[6:7], s[4:5], 0, v[20:21]
	v_lshlrev_b32_e32 v8, 1, v18
	v_mov_b32_e32 v9, v21
	v_lshl_add_u64 v[6:7], v[6:7], 0, v[8:9]
	global_load_dwordx4 v[6:9], v[6:7], off
.LBB551_51:
	s_or_b64 exec, exec, s[2:3]
	v_mov_b32_e32 v17, 0
	v_mov_b32_e32 v10, 0
	;; [unrolled: 1-line block ×5, first 2 shown]
	s_and_saveexec_b64 s[2:3], vcc
	s_cbranch_execz .LBB551_53
; %bb.52:
	v_mov_b32_e32 v15, 0
	v_lshl_add_u64 v[10:11], s[4:5], 0, v[14:15]
	v_lshlrev_b32_e32 v14, 1, v18
	v_lshl_add_u64 v[10:11], v[10:11], 0, v[14:15]
	global_load_dwordx4 v[10:13], v[10:11], off offset:128
.LBB551_53:
	s_or_b64 exec, exec, s[2:3]
	v_mov_b32_e32 v16, 0
	v_mov_b32_e32 v15, 0
	;; [unrolled: 1-line block ×3, first 2 shown]
	s_and_saveexec_b64 s[2:3], s[0:1]
	s_cbranch_execz .LBB551_55
; %bb.54:
	v_mov_b32_e32 v21, 0
	v_lshl_add_u64 v[14:15], s[4:5], 0, v[20:21]
	v_lshlrev_b32_e32 v20, 1, v18
	v_lshl_add_u64 v[14:15], v[14:15], 0, v[20:21]
	global_load_dwordx4 v[14:17], v[14:15], off offset:128
.LBB551_55:
	s_or_b64 exec, exec, s[2:3]
	s_branch .LBB551_58
.LBB551_56:
                                        ; implicit-def: $vgpr5
                                        ; implicit-def: $vgpr9
                                        ; implicit-def: $vgpr13
                                        ; implicit-def: $vgpr17
	s_cbranch_execz .LBB551_58
; %bb.57:
	s_waitcnt vmcnt(0)
	v_lshlrev_b32_e32 v2, 1, v18
	v_lshl_or_b32 v18, v35, 9, v2
	s_and_b32 s5, s5, 0xffff
	s_mov_b32 s7, 0x20000
	s_movk_i32 s6, 0x4000
	s_movk_i32 s0, 0x80
	buffer_load_dwordx4 v[2:5], v18, s[4:7], 0 offen
	buffer_load_dwordx4 v[6:9], v18, s[4:7], 0 offen offset:256
	buffer_load_dwordx4 v[10:13], v18, s[4:7], s0 offen
	buffer_load_dwordx4 v[14:17], v18, s[4:7], s0 offen offset:256
.LBB551_58:
	ds_read2st64_b64 v[22:25], v19 offset0:76 offset1:77
	ds_read2st64_b64 v[18:21], v19 offset0:78 offset1:79
	ds_read_b64 v[32:33], v26 offset:24576
	ds_read_b64 v[30:31], v27 offset:24576
	;; [unrolled: 1-line block ×4, first 2 shown]
	v_and_b32_e32 v36, 6, v0
	v_xor_b32_e32 v35, v35, v36
	v_lshlrev_b32_e32 v35, 2, v35
	v_and_b32_e32 v0, 1, v0
	v_xor_b32_e32 v38, 0x440, v35
	v_cmp_eq_u32_e32 vcc, 0, v0
	s_mov_b32 s0, 0x1000504
	s_mov_b32 s1, 0x3020706
	v_cndmask_b32_e32 v0, v38, v35, vcc
	v_lshl_or_b32 v0, v36, 10, v0
	s_waitcnt vmcnt(0)
	v_perm_b32 v35, v2, v6, s0
	v_perm_b32 v36, v10, v14, s0
	ds_write2st64_b32 v0, v35, v36 offset1:32
	v_xor_b32_e32 v35, 8, v0
	v_perm_b32 v2, v2, v6, s1
	v_perm_b32 v6, v10, v14, s1
	v_add_u32_e32 v10, 0x80, v35
	ds_write2st64_b32 v10, v2, v6 offset1:32
	v_xor_b32_e32 v2, 16, v0
	v_perm_b32 v6, v3, v7, s0
	v_perm_b32 v10, v11, v15, s0
	ds_write2st64_b32 v2, v6, v10 offset0:1 offset1:33
	v_xor_b32_e32 v2, 24, v0
	v_perm_b32 v3, v3, v7, s1
	v_perm_b32 v6, v11, v15, s1
	v_add_u32_e32 v2, 0x80, v2
	ds_write2st64_b32 v2, v3, v6 offset0:1 offset1:33
	v_xor_b32_e32 v2, 32, v0
	v_perm_b32 v3, v4, v8, s0
	v_perm_b32 v6, v12, v16, s0
	ds_write2st64_b32 v2, v3, v6 offset0:2 offset1:34
	v_xor_b32_e32 v2, 40, v0
	v_perm_b32 v3, v4, v8, s1
	v_perm_b32 v4, v12, v16, s1
	v_add_u32_e32 v2, 0x80, v2
	ds_write2st64_b32 v2, v3, v4 offset0:2 offset1:34
	v_xor_b32_e32 v2, 48, v0
	v_perm_b32 v3, v5, v9, s0
	v_perm_b32 v4, v13, v17, s0
	v_xor_b32_e32 v0, 56, v0
	v_and_or_b32 v8, v37, 12, v42
	ds_write2st64_b32 v2, v3, v4 offset0:3 offset1:35
	v_perm_b32 v2, v5, v9, s1
	v_perm_b32 v3, v13, v17, s1
	v_add_u32_e32 v0, 0x80, v0
	v_cmp_gt_i32_e64 s[2:3], s45, v8
	v_mov_b32_e32 v10, 0
	v_mov_b32_e32 v15, 0
	ds_write2st64_b32 v0, v2, v3 offset0:3 offset1:35
	s_and_saveexec_b64 s[0:1], s[2:3]
	s_cbranch_execz .LBB551_60
; %bb.59:
	v_add_u32_e32 v0, s38, v8
	v_ashrrev_i32_e32 v2, 31, v0
	v_mul_lo_u32 v4, v2, s34
	v_mul_lo_u32 v5, v0, s35
	v_mad_u64_u32 v[2:3], s[4:5], v0, s34, 0
	v_add3_u32 v3, v3, v5, v4
	v_lshl_add_u64 v[2:3], v[2:3], 2, s[10:11]
	global_load_dword v0, v[2:3], off
	s_waitcnt vmcnt(0)
	v_sub_f32_e32 v0, s12, v0
	v_exp_f32_e32 v15, v0
.LBB551_60:
	s_or_b64 exec, exec, s[0:1]
	v_or_b32_e32 v13, 1, v8
	v_cmp_gt_i32_e64 s[4:5], s45, v13
	s_and_saveexec_b64 s[0:1], s[4:5]
	s_cbranch_execz .LBB551_62
; %bb.61:
	v_add_u32_e32 v0, s38, v13
	v_ashrrev_i32_e32 v2, 31, v0
	v_mul_lo_u32 v4, v2, s34
	v_mul_lo_u32 v5, v0, s35
	v_mad_u64_u32 v[2:3], s[6:7], v0, s34, 0
	v_add3_u32 v3, v3, v5, v4
	v_lshl_add_u64 v[2:3], v[2:3], 2, s[10:11]
	global_load_dword v0, v[2:3], off
	s_waitcnt vmcnt(0)
	v_sub_f32_e32 v0, s12, v0
	v_exp_f32_e32 v10, v0
.LBB551_62:
	s_or_b64 exec, exec, s[0:1]
	v_or_b32_e32 v11, 2, v8
	v_cmp_gt_i32_e32 vcc, s45, v11
	v_mov_b32_e32 v9, 0
	v_mov_b32_e32 v14, 0
	s_and_saveexec_b64 s[0:1], vcc
	s_cbranch_execz .LBB551_64
; %bb.63:
	v_add_u32_e32 v0, s38, v11
	v_ashrrev_i32_e32 v2, 31, v0
	v_mul_lo_u32 v4, v2, s34
	v_mul_lo_u32 v5, v0, s35
	v_mad_u64_u32 v[2:3], s[6:7], v0, s34, 0
	v_add3_u32 v3, v3, v5, v4
	v_lshl_add_u64 v[2:3], v[2:3], 2, s[10:11]
	global_load_dword v0, v[2:3], off
	s_waitcnt vmcnt(0)
	v_sub_f32_e32 v0, s12, v0
	v_exp_f32_e32 v14, v0
.LBB551_64:
	s_or_b64 exec, exec, s[0:1]
	v_or_b32_e32 v12, 3, v8
	v_cmp_gt_i32_e64 s[0:1], s45, v12
	s_and_saveexec_b64 s[6:7], s[0:1]
	s_cbranch_execz .LBB551_66
; %bb.65:
	v_add_u32_e32 v0, s38, v12
	v_ashrrev_i32_e32 v2, 31, v0
	v_mul_lo_u32 v4, v2, s34
	v_mul_lo_u32 v5, v0, s35
	v_mad_u64_u32 v[2:3], s[16:17], v0, s34, 0
	v_add3_u32 v3, v3, v5, v4
	v_lshl_add_u64 v[2:3], v[2:3], 2, s[10:11]
	global_load_dword v0, v[2:3], off
	s_waitcnt vmcnt(0)
	v_sub_f32_e32 v0, s12, v0
	v_exp_f32_e32 v9, v0
.LBB551_66:
	s_or_b64 exec, exec, s[6:7]
	s_waitcnt lgkmcnt(11)
	v_mfma_f32_16x16x16_bf16 a[0:3], v[32:33], v[22:23], a[0:3]
	v_or_b32_e32 v0, s36, v1
	s_add_u32 s6, s8, s28
	v_ashrrev_i32_e32 v1, 31, v0
	s_waitcnt lgkmcnt(10)
	v_mfma_f32_16x16x16_bf16 a[0:3], v[30:31], v[24:25], a[0:3]
	s_addc_u32 s7, s9, s29
	v_lshlrev_b64 v[0:1], 1, v[0:1]
	v_lshl_add_u64 v[4:5], s[6:7], 0, v[0:1]
	s_waitcnt lgkmcnt(9)
	v_mfma_f32_16x16x16_bf16 a[0:3], v[28:29], v[18:19], a[0:3]
	s_add_u32 s6, s14, s28
	s_addc_u32 s7, s15, s29
	v_lshl_add_u64 v[6:7], s[6:7], 0, v[0:1]
	s_waitcnt lgkmcnt(8)
	v_mfma_f32_16x16x16_bf16 a[0:3], v[26:27], v[20:21], a[0:3]
	v_mov_b32_e32 v16, 0
	v_mov_b32_e32 v17, 0
	s_nop 4
	v_accvgpr_read_b32 v0, a0
	v_accvgpr_read_b32 v1, a1
	;; [unrolled: 1-line block ×4, first 2 shown]
	s_and_saveexec_b64 s[6:7], s[2:3]
	s_cbranch_execz .LBB551_68
; %bb.67:
	v_lshlrev_b32_e32 v18, 8, v8
	v_mov_b32_e32 v19, 0
	v_lshl_add_u64 v[20:21], v[4:5], 0, v[18:19]
	global_load_ushort v17, v[20:21], off
	v_lshl_add_u64 v[18:19], v[6:7], 0, v[18:19]
	s_waitcnt vmcnt(0)
	v_lshlrev_b32_e32 v17, 16, v17
	v_sub_f32_e32 v0, v17, v0
	global_store_short_d16_hi v[18:19], v0, off
	v_mul_f32_e32 v0, v15, v0
	v_lshrrev_b32_e32 v17, 16, v0
.LBB551_68:
	s_or_b64 exec, exec, s[6:7]
	s_and_saveexec_b64 s[2:3], s[4:5]
	s_cbranch_execz .LBB551_70
; %bb.69:
	v_lshlrev_b32_e32 v18, 8, v13
	v_mov_b32_e32 v19, 0
	v_lshl_add_u64 v[20:21], v[4:5], 0, v[18:19]
	global_load_ushort v0, v[20:21], off
	v_lshl_add_u64 v[18:19], v[6:7], 0, v[18:19]
	s_waitcnt vmcnt(0)
	v_lshlrev_b32_e32 v0, 16, v0
	v_sub_f32_e32 v0, v0, v1
	global_store_short_d16_hi v[18:19], v0, off
	v_mul_f32_e32 v0, v10, v0
	v_lshrrev_b32_e32 v16, 16, v0
.LBB551_70:
	s_or_b64 exec, exec, s[2:3]
	v_mov_b32_e32 v0, 0
	v_mov_b32_e32 v1, 0
	s_and_saveexec_b64 s[2:3], vcc
	s_cbranch_execz .LBB551_72
; %bb.71:
	v_lshlrev_b32_e32 v10, 8, v11
	v_mov_b32_e32 v11, 0
	v_lshl_add_u64 v[18:19], v[4:5], 0, v[10:11]
	global_load_ushort v1, v[18:19], off
	v_lshl_add_u64 v[10:11], v[6:7], 0, v[10:11]
	s_waitcnt vmcnt(0)
	v_lshlrev_b32_e32 v1, 16, v1
	v_sub_f32_e32 v1, v1, v2
	global_store_short_d16_hi v[10:11], v1, off
	v_mul_f32_e32 v1, v14, v1
	v_lshrrev_b32_e32 v1, 16, v1
.LBB551_72:
	s_or_b64 exec, exec, s[2:3]
	s_and_saveexec_b64 s[2:3], s[0:1]
	s_cbranch_execz .LBB551_74
; %bb.73:
	v_lshlrev_b32_e32 v10, 8, v12
	v_mov_b32_e32 v11, 0
	v_lshl_add_u64 v[4:5], v[4:5], 0, v[10:11]
	global_load_ushort v0, v[4:5], off
	v_lshl_add_u64 v[4:5], v[6:7], 0, v[10:11]
	s_waitcnt vmcnt(0)
	v_lshlrev_b32_e32 v0, 16, v0
	v_sub_f32_e32 v0, v0, v3
	global_store_short_d16_hi v[4:5], v0, off
	v_mul_f32_e32 v0, v9, v0
	v_lshrrev_b32_e32 v0, 16, v0
.LBB551_74:
	s_or_b64 exec, exec, s[2:3]
	s_mov_b32 s0, 0x5040100
	v_lshlrev_b32_e32 v2, 1, v34
	v_perm_b32 v1, v0, v1, s0
	v_perm_b32 v0, v16, v17, s0
	v_lshl_or_b32 v2, v8, 5, v2
	ds_write_b64 v2, v[0:1] offset:38912
	s_waitcnt lgkmcnt(0)
	s_barrier
.LBB551_75:
	s_endpgm
	.section	.rodata,"a",@progbits
	.p2align	6, 0x0
	.amdhsa_kernel _ZN12_GLOBAL__N_139chunk_gated_delta_rule_fwd_h_hip_kernelILi16ELb0ELb0ELb1ELb1ELb1ELb0ELb1ELb1EEEvPK12hip_bfloat16S3_S3_PKfS5_PKvPS1_S8_PvPKiSB_iiiiilll
		.amdhsa_group_segment_fixed_size 40960
		.amdhsa_private_segment_fixed_size 0
		.amdhsa_kernarg_size 136
		.amdhsa_user_sgpr_count 2
		.amdhsa_user_sgpr_dispatch_ptr 0
		.amdhsa_user_sgpr_queue_ptr 0
		.amdhsa_user_sgpr_kernarg_segment_ptr 1
		.amdhsa_user_sgpr_dispatch_id 0
		.amdhsa_user_sgpr_kernarg_preload_length 0
		.amdhsa_user_sgpr_kernarg_preload_offset 0
		.amdhsa_user_sgpr_private_segment_size 0
		.amdhsa_uses_dynamic_stack 0
		.amdhsa_enable_private_segment 0
		.amdhsa_system_sgpr_workgroup_id_x 1
		.amdhsa_system_sgpr_workgroup_id_y 1
		.amdhsa_system_sgpr_workgroup_id_z 0
		.amdhsa_system_sgpr_workgroup_info 0
		.amdhsa_system_vgpr_workitem_id 0
		.amdhsa_next_free_vgpr 116
		.amdhsa_next_free_sgpr 62
		.amdhsa_accum_offset 108
		.amdhsa_reserve_vcc 1
		.amdhsa_float_round_mode_32 0
		.amdhsa_float_round_mode_16_64 0
		.amdhsa_float_denorm_mode_32 3
		.amdhsa_float_denorm_mode_16_64 3
		.amdhsa_dx10_clamp 1
		.amdhsa_ieee_mode 1
		.amdhsa_fp16_overflow 0
		.amdhsa_tg_split 0
		.amdhsa_exception_fp_ieee_invalid_op 0
		.amdhsa_exception_fp_denorm_src 0
		.amdhsa_exception_fp_ieee_div_zero 0
		.amdhsa_exception_fp_ieee_overflow 0
		.amdhsa_exception_fp_ieee_underflow 0
		.amdhsa_exception_fp_ieee_inexact 0
		.amdhsa_exception_int_div_zero 0
	.end_amdhsa_kernel
	.section	.text._ZN12_GLOBAL__N_139chunk_gated_delta_rule_fwd_h_hip_kernelILi16ELb0ELb0ELb1ELb1ELb1ELb0ELb1ELb1EEEvPK12hip_bfloat16S3_S3_PKfS5_PKvPS1_S8_PvPKiSB_iiiiilll,"axG",@progbits,_ZN12_GLOBAL__N_139chunk_gated_delta_rule_fwd_h_hip_kernelILi16ELb0ELb0ELb1ELb1ELb1ELb0ELb1ELb1EEEvPK12hip_bfloat16S3_S3_PKfS5_PKvPS1_S8_PvPKiSB_iiiiilll,comdat
.Lfunc_end551:
	.size	_ZN12_GLOBAL__N_139chunk_gated_delta_rule_fwd_h_hip_kernelILi16ELb0ELb0ELb1ELb1ELb1ELb0ELb1ELb1EEEvPK12hip_bfloat16S3_S3_PKfS5_PKvPS1_S8_PvPKiSB_iiiiilll, .Lfunc_end551-_ZN12_GLOBAL__N_139chunk_gated_delta_rule_fwd_h_hip_kernelILi16ELb0ELb0ELb1ELb1ELb1ELb0ELb1ELb1EEEvPK12hip_bfloat16S3_S3_PKfS5_PKvPS1_S8_PvPKiSB_iiiiilll
                                        ; -- End function
	.section	.AMDGPU.csdata,"",@progbits
; Kernel info:
; codeLenInByte = 7160
; NumSgprs: 68
; NumVgprs: 108
; NumAgprs: 8
; TotalNumVgprs: 116
; ScratchSize: 0
; MemoryBound: 0
; FloatMode: 240
; IeeeMode: 1
; LDSByteSize: 40960 bytes/workgroup (compile time only)
; SGPRBlocks: 8
; VGPRBlocks: 14
; NumSGPRsForWavesPerEU: 68
; NumVGPRsForWavesPerEU: 116
; AccumOffset: 108
; Occupancy: 1
; WaveLimiterHint : 1
; COMPUTE_PGM_RSRC2:SCRATCH_EN: 0
; COMPUTE_PGM_RSRC2:USER_SGPR: 2
; COMPUTE_PGM_RSRC2:TRAP_HANDLER: 0
; COMPUTE_PGM_RSRC2:TGID_X_EN: 1
; COMPUTE_PGM_RSRC2:TGID_Y_EN: 1
; COMPUTE_PGM_RSRC2:TGID_Z_EN: 0
; COMPUTE_PGM_RSRC2:TIDIG_COMP_CNT: 0
; COMPUTE_PGM_RSRC3_GFX90A:ACCUM_OFFSET: 26
; COMPUTE_PGM_RSRC3_GFX90A:TG_SPLIT: 0
	.section	.text._ZN12_GLOBAL__N_139chunk_gated_delta_rule_fwd_h_hip_kernelILi16ELb0ELb0ELb0ELb1ELb1ELb0ELb1ELb1EEEvPK12hip_bfloat16S3_S3_PKfS5_PKvPS1_S8_PvPKiSB_iiiiilll,"axG",@progbits,_ZN12_GLOBAL__N_139chunk_gated_delta_rule_fwd_h_hip_kernelILi16ELb0ELb0ELb0ELb1ELb1ELb0ELb1ELb1EEEvPK12hip_bfloat16S3_S3_PKfS5_PKvPS1_S8_PvPKiSB_iiiiilll,comdat
	.globl	_ZN12_GLOBAL__N_139chunk_gated_delta_rule_fwd_h_hip_kernelILi16ELb0ELb0ELb0ELb1ELb1ELb0ELb1ELb1EEEvPK12hip_bfloat16S3_S3_PKfS5_PKvPS1_S8_PvPKiSB_iiiiilll ; -- Begin function _ZN12_GLOBAL__N_139chunk_gated_delta_rule_fwd_h_hip_kernelILi16ELb0ELb0ELb0ELb1ELb1ELb0ELb1ELb1EEEvPK12hip_bfloat16S3_S3_PKfS5_PKvPS1_S8_PvPKiSB_iiiiilll
	.p2align	8
	.type	_ZN12_GLOBAL__N_139chunk_gated_delta_rule_fwd_h_hip_kernelILi16ELb0ELb0ELb0ELb1ELb1ELb0ELb1ELb1EEEvPK12hip_bfloat16S3_S3_PKfS5_PKvPS1_S8_PvPKiSB_iiiiilll,@function
_ZN12_GLOBAL__N_139chunk_gated_delta_rule_fwd_h_hip_kernelILi16ELb0ELb0ELb0ELb1ELb1ELb0ELb1ELb1EEEvPK12hip_bfloat16S3_S3_PKfS5_PKvPS1_S8_PvPKiSB_iiiiilll: ; @_ZN12_GLOBAL__N_139chunk_gated_delta_rule_fwd_h_hip_kernelILi16ELb0ELb0ELb0ELb1ELb1ELb0ELb1ELb1EEEvPK12hip_bfloat16S3_S3_PKfS5_PKvPS1_S8_PvPKiSB_iiiiilll
; %bb.0:
	s_load_dwordx4 s[12:15], s[0:1], 0x5c
	s_load_dwordx4 s[16:19], s[0:1], 0x70
	s_abs_i32 s21, s3
	s_ashr_i32 s20, s3, 31
	s_load_dwordx2 s[36:37], s[0:1], 0x30
	s_load_dwordx4 s[24:27], s[0:1], 0x48
	s_waitcnt lgkmcnt(0)
	s_abs_i32 s28, s13
	v_cvt_f32_u32_e32 v1, s28
	s_sub_i32 s22, 0, s28
	s_ashr_i32 s29, s13, 31
	s_xor_b32 s20, s20, s29
	v_rcp_iflag_f32_e32 v1, v1
	s_load_dwordx8 s[4:11], s[0:1], 0x0
	v_lshrrev_b32_e32 v42, 6, v0
	v_bfe_u32 v43, v0, 4, 2
	v_mul_f32_e32 v1, 0x4f7ffffe, v1
	v_cvt_u32_f32_e32 v1, v1
	v_lshlrev_b32_e32 v40, 4, v42
	v_lshlrev_b32_e32 v2, 2, v43
	v_and_b32_e32 v41, 63, v0
	v_readfirstlane_b32 s23, v1
	s_mul_i32 s22, s22, s23
	s_mul_hi_u32 s22, s23, s22
	s_add_i32 s23, s23, s22
	s_mul_hi_u32 s22, s21, s23
	s_mul_i32 s23, s22, s28
	s_sub_i32 s21, s21, s23
	s_add_i32 s30, s22, 1
	s_sub_i32 s23, s21, s28
	s_cmp_ge_u32 s21, s28
	s_cselect_b32 s22, s30, s22
	s_cselect_b32 s21, s23, s21
	s_add_i32 s23, s22, 1
	s_cmp_ge_u32 s21, s28
	s_cselect_b32 s21, s23, s22
	s_xor_b32 s21, s21, s20
	s_sub_i32 s20, s21, s20
	s_mul_i32 s21, s20, s13
	s_sub_i32 s33, s3, s21
	s_ashr_i32 s21, s20, 31
	s_lshl_b64 s[22:23], s[20:21], 2
	s_add_u32 s24, s24, s22
	s_addc_u32 s25, s25, s23
	s_add_u32 s22, s26, s22
	s_addc_u32 s23, s27, s23
	s_abs_i32 s3, s14
	v_cvt_f32_u32_e32 v1, s3
	s_load_dwordx2 s[34:35], s[24:25], 0x0
	s_sub_i32 s25, 0, s3
	s_load_dword s45, s[22:23], 0x0
	v_rcp_iflag_f32_e32 v1, v1
	v_or_b32_e32 v47, v2, v40
	s_waitcnt lgkmcnt(0)
	s_sub_i32 s43, s35, s34
	s_ashr_i32 s24, s43, 31
	v_mul_f32_e32 v1, 0x4f7ffffe, v1
	v_cvt_u32_f32_e32 v1, v1
	s_lshr_b32 s24, s24, 26
	s_add_i32 s24, s43, s24
	s_ashr_i32 s44, s24, 6
	v_readfirstlane_b32 s26, v1
	s_mul_i32 s25, s25, s26
	s_mul_hi_u32 s25, s26, s25
	s_add_i32 s26, s26, s25
	s_mul_hi_u32 s25, s28, s26
	s_mul_i32 s26, s25, s3
	s_ashr_i32 s24, s14, 31
	s_sub_i32 s26, s28, s26
	s_xor_b32 s24, s29, s24
	s_add_i32 s27, s25, 1
	s_sub_i32 s28, s26, s3
	s_cmp_ge_u32 s26, s3
	s_cselect_b32 s25, s27, s25
	s_cselect_b32 s26, s28, s26
	s_add_i32 s27, s25, 1
	s_cmp_ge_u32 s26, s3
	s_cselect_b32 s3, s27, s25
	s_xor_b32 s3, s3, s24
	s_sub_i32 s3, s3, s24
	s_abs_i32 s24, s3
	v_cvt_f32_u32_e32 v1, s24
	s_load_dwordx2 s[28:29], s[0:1], 0x80
	s_xor_b32 s0, s33, s3
	s_sub_i32 s3, 0, s24
	v_rcp_iflag_f32_e32 v1, v1
	s_abs_i32 s1, s33
	s_ashr_i32 s0, s0, 31
	v_or_b32_e32 v46, 64, v47
	v_mul_f32_e32 v1, 0x4f7ffffe, v1
	v_cvt_u32_f32_e32 v1, v1
	v_mov_b32_e32 v3, 0
	s_mul_hi_i32 s46, s33, s12
	s_mul_i32 s47, s33, s12
	v_readfirstlane_b32 s22, v1
	s_mul_i32 s3, s3, s22
	s_mul_hi_u32 s3, s22, s3
	s_add_i32 s22, s22, s3
	s_mul_hi_u32 s3, s1, s22
	s_mul_i32 s22, s3, s24
	s_sub_i32 s1, s1, s22
	s_add_i32 s22, s3, 1
	s_sub_i32 s23, s1, s24
	s_cmp_ge_u32 s1, s24
	s_cselect_b32 s3, s22, s3
	s_cselect_b32 s1, s23, s1
	s_add_i32 s22, s3, 1
	s_cmp_ge_u32 s1, s24
	s_cselect_b32 s1, s22, s3
	s_xor_b32 s1, s1, s0
	s_sub_i32 s49, s1, s0
	s_lshl_b32 s30, s2, 4
	v_and_b32_e32 v1, 15, v0
	s_cmp_lt_i32 s43, 64
	v_lshrrev_b32_e32 v45, 3, v41
	v_lshlrev_b32_e32 v44, 3, v0
	s_mul_i32 s40, s20, s17
	s_mul_hi_u32 s41, s20, s16
	s_mul_i32 s42, s21, s16
	s_mul_i32 s16, s20, s16
	v_mov_b32_e32 v63, 0
	v_mov_b32_e32 v34, 0
	v_mov_b32_e32 v61, 0
	v_mov_b32_e32 v4, 0
	v_mov_b32_e32 v66, 0
	v_mov_b32_e32 v64, 0
	v_mov_b32_e32 v35, 0
	s_cbranch_scc1 .LBB552_18
; %bb.1:
	s_ashr_i32 s51, s33, 31
	s_ashr_i32 s1, s34, 31
	s_add_u32 s0, s47, s34
	s_addc_u32 s1, s46, s1
	s_lshl_b64 s[0:1], s[0:1], 8
	v_and_b32_e32 v49, 56, v44
	s_add_u32 s0, s6, s0
	v_lshl_or_b32 v48, v42, 3, v45
	v_lshlrev_b32_e32 v3, 1, v49
	s_addc_u32 s1, s7, s1
	v_lshl_or_b32 v50, v48, 8, v3
	s_and_b32 s1, s1, 0xffff
	s_mov_b32 s3, 0x20000
	s_movk_i32 s2, 0x4000
	s_movk_i32 s17, 0x80
	v_or_b32_e32 v51, 0x2000, v50
	buffer_load_dwordx4 v[4:7], v50, s[0:3], 0 offen
	buffer_load_dwordx4 v[8:11], v50, s[0:3], s17 offen
	;; [unrolled: 1-line block ×4, first 2 shown]
	v_lshlrev_b32_e32 v20, 3, v48
	v_and_or_b32 v22, v0, 7, v20
	v_and_b32_e32 v20, 0x78, v20
	v_lshlrev_b32_e32 v22, 4, v22
	v_xor_b32_e32 v52, v22, v20
	v_mul_lo_u32 v21, v48, s15
	v_or_b32_e32 v53, 0x1000, v52
	s_cmpk_eq_i32 s15, 0x80
	s_mov_b32 s48, s13
	s_mov_b32 s50, s34
	v_xor_b32_e32 v20, 8, v52
	v_xor_b32_e32 v22, 8, v53
	s_cselect_b64 s[0:1], -1, 0
	s_cmpk_lg_i32 s15, 0x80
	s_waitcnt vmcnt(3)
	ds_write_b64 v52, v[4:5] offset:16384
	ds_write_b64 v20, v[6:7] offset:16384
	s_waitcnt vmcnt(2)
	ds_write_b64 v52, v[8:9] offset:24576
	ds_write_b64 v20, v[10:11] offset:24576
	;; [unrolled: 3-line block ×4, first 2 shown]
	v_lshl_add_u32 v4, v21, 1, v49
	s_cbranch_scc0 .LBB552_3
; %bb.2:
	v_lshlrev_b32_e32 v6, 1, v4
	v_add_lshl_u32 v5, v4, s15, 1
	s_lshl_b32 s22, s15, 7
	v_lshl_or_b32 v3, v48, 9, v3
	s_cbranch_execz .LBB552_4
	s_branch .LBB552_5
.LBB552_3:
                                        ; implicit-def: $vgpr5
                                        ; implicit-def: $vgpr6
                                        ; implicit-def: $sgpr22
	v_lshl_or_b32 v3, v48, 9, v3
.LBB552_4:
	v_or_b32_e32 v5, 0x100, v3
	s_movk_i32 s22, 0x4000
	v_mov_b32_e32 v6, v3
.LBB552_5:
	s_mul_i32 s2, s34, s14
	s_ashr_i32 s52, s49, 31
	s_mul_hi_i32 s3, s34, s14
	s_add_u32 s2, s2, s49
	s_addc_u32 s3, s3, s52
	s_lshl_b64 s[2:3], s[2:3], 8
	s_add_u32 s20, s4, s2
	s_addc_u32 s2, s5, s3
	s_and_b32 s21, s2, 0xffff
	s_mov_b32 s23, 0x20000
	s_movk_i32 s53, 0x80
	buffer_load_dwordx4 v[8:11], v6, s[20:23], 0 offen
	buffer_load_dwordx4 v[12:15], v6, s[20:23], s53 offen
	;; [unrolled: 1-line block ×4, first 2 shown]
	v_and_b32_e32 v5, 6, v0
	v_lshlrev_b32_e32 v7, 2, v1
	v_lshlrev_b32_e32 v24, 3, v1
	v_xor_b32_e32 v26, v48, v5
	v_and_b32_e32 v6, 1, v0
	v_lshl_or_b32 v24, v47, 5, v24
	v_xor_b32_e32 v27, v47, v7
	v_lshlrev_b32_e32 v26, 2, v26
	s_mul_i32 s3, s33, s19
	s_mul_hi_u32 s17, s33, s18
	v_or_b32_e32 v54, 0x9000, v24
	v_or_b32_e32 v55, 0x9800, v24
	v_lshlrev_b32_e32 v24, 1, v27
	v_xor_b32_e32 v27, 0x440, v26
	v_cmp_eq_u32_e32 vcc, 0, v6
	s_add_i32 s21, s41, s40
	s_mul_i32 s20, s51, s18
	v_cndmask_b32_e32 v6, v27, v26, vcc
	s_add_i32 s3, s17, s3
	s_add_i32 s17, s21, s42
	s_mov_b32 s54, 0x1000504
	v_lshlrev_b32_e32 v25, 8, v1
	s_mov_b32 s22, 0x8000
	v_xor_b32_e32 v7, v46, v7
	v_lshl_or_b32 v5, v5, 10, v6
	s_add_i32 s3, s3, s20
	s_lshl_b64 s[20:21], s[16:17], 2
	s_mov_b32 s55, 0x3020706
	s_mul_i32 s2, s33, s18
	v_lshlrev_b32_e32 v7, 1, v7
	v_or3_b32 v56, v24, v25, s22
	v_xor_b32_e32 v6, 8, v5
	v_xor_b32_e32 v24, 24, v5
	;; [unrolled: 1-line block ×4, first 2 shown]
	s_add_u32 s17, s10, s20
	v_or3_b32 v57, v7, v25, s22
	v_xor_b32_e32 v7, 16, v5
	v_xor_b32_e32 v25, 32, v5
	;; [unrolled: 1-line block ×3, first 2 shown]
	v_add_u32_e32 v6, 0x80, v6
	v_add_u32_e32 v24, 0x80, v24
	;; [unrolled: 1-line block ×4, first 2 shown]
	s_addc_u32 s20, s11, s21
	s_lshl_b64 s[2:3], s[2:3], 2
	s_add_u32 s2, s17, s2
	s_movk_i32 s17, 0xf8
	s_addc_u32 s3, s20, s3
	s_ashr_i32 s31, s30, 31
	s_lshl_b32 s26, s15, 7
	s_lshl_b64 s[20:21], s[30:31], 8
	s_add_u32 s20, s36, s20
	s_addc_u32 s21, s37, s21
	v_mov_b32_e32 v35, 0
	s_mov_b32 s56, 0
	v_add_u32_e32 v76, v40, v2
	v_mov_b32_e32 v64, v35
	v_mov_b32_e32 v66, v35
	;; [unrolled: 1-line block ×6, first 2 shown]
	s_waitcnt vmcnt(1)
	v_perm_b32 v29, v8, v16, s54
	s_waitcnt vmcnt(0)
	v_perm_b32 v30, v12, v20, s54
	v_perm_b32 v8, v8, v16, s55
	;; [unrolled: 1-line block ×15, first 2 shown]
	ds_write2st64_b32 v5, v29, v30 offset1:32
	ds_write2st64_b32 v6, v8, v12 offset1:32
	ds_write2st64_b32 v7, v16, v20 offset0:1 offset1:33
	ds_write2st64_b32 v24, v9, v13 offset0:1 offset1:33
	;; [unrolled: 1-line block ×6, first 2 shown]
	v_or_b32_e32 v5, v40, v1
	v_lshlrev_b32_e32 v5, 3, v5
	v_lshrrev_b32_e32 v7, 5, v41
	v_and_or_b32 v7, v5, s17, v7
	v_lshlrev_b32_e32 v7, 4, v7
	v_lshlrev_b32_e32 v8, 11, v42
	v_and_b32_e32 v5, 0x78, v5
	v_or_b32_e32 v12, 32, v7
	v_and_b32_e32 v6, 0x1000, v8
	v_lshrrev_b32_e32 v10, 1, v0
	v_xor_b32_e32 v12, v12, v5
	v_and_b32_e32 v11, 8, v10
	v_or_b32_e32 v12, v12, v6
	v_xor_b32_e32 v9, v7, v5
	v_xor_b32_e32 v60, v12, v11
	v_or_b32_e32 v12, 64, v7
	v_or_b32_e32 v7, 0x60, v7
	;; [unrolled: 1-line block ×3, first 2 shown]
	v_xor_b32_e32 v12, v12, v5
	v_xor_b32_e32 v5, v7, v5
	;; [unrolled: 1-line block ×3, first 2 shown]
	v_and_b32_e32 v9, 0x78, v44
	v_or_b32_e32 v5, v5, v6
	v_lshl_or_b32 v9, v43, 7, v9
	v_or_b32_e32 v12, v12, v6
	v_xor_b32_e32 v65, v5, v11
	v_lshlrev_b32_e32 v5, 1, v1
	v_or_b32_e32 v59, 0x9000, v9
	v_xor_b32_e32 v62, v12, v11
	v_or_b32_e32 v67, 0x9800, v9
	v_lshlrev_b32_e32 v9, 1, v4
	v_add_lshl_u32 v11, v4, s15, 1
	v_lshrrev_b32_e32 v4, 4, v0
	v_or_b32_e32 v13, 1, v5
	v_xor_b32_e32 v5, v4, v5
	v_xor_b32_e32 v13, v13, v4
	v_lshlrev_b32_e32 v5, 3, v5
	v_lshlrev_b32_e32 v34, 8, v4
	v_lshlrev_b32_e32 v4, 3, v13
	v_or3_b32 v68, v5, v34, s22
	v_or3_b32 v69, v4, v34, s22
	v_lshl_add_u64 v[4:5], s[20:21], 0, v[34:35]
	v_lshlrev_b32_e32 v34, 4, v1
	s_movk_i32 s17, 0xff
	v_lshlrev_b32_e32 v15, 3, v42
	v_and_b32_e32 v10, 24, v10
	v_lshl_add_u64 v[36:37], v[4:5], 0, v[34:35]
	v_and_b32_e32 v5, 8, v0
	v_cmp_lt_u32_e32 vcc, s17, v0
	v_xor_b32_e32 v16, v15, v10
	v_or_b32_e32 v17, 0x440, v16
	v_cndmask_b32_e64 v14, 0, 1, vcc
	v_cmp_eq_u32_e32 vcc, 0, v5
	v_and_b32_e32 v4, 7, v0
	v_lshlrev_b32_e32 v13, 3, v4
	v_cndmask_b32_e32 v5, v17, v16, vcc
	v_lshlrev_b32_e32 v4, 7, v4
	v_or_b32_e32 v5, v5, v8
	v_xad_u32 v70, v5, v13, v4
	v_or_b32_e32 v5, 32, v10
	v_xor_b32_e32 v5, v15, v5
	v_or_b32_e32 v16, 0x440, v5
	v_cndmask_b32_e32 v5, v16, v5, vcc
	v_or_b32_e32 v5, v5, v8
	v_xad_u32 v71, v5, v13, v4
	v_or_b32_e32 v5, 64, v10
	v_xor_b32_e32 v5, v15, v5
	v_xor_b32_e32 v16, 0x440, v5
	v_cndmask_b32_e32 v5, v16, v5, vcc
	v_or_b32_e32 v5, v5, v8
	v_xad_u32 v72, v5, v13, v4
	v_or_b32_e32 v5, 0x60, v10
	v_xor_b32_e32 v5, v15, v5
	v_xor_b32_e32 v10, 0x440, v5
	v_or_b32_e32 v6, s30, v1
	v_cndmask_b32_e32 v5, v10, v5, vcc
	v_ashrrev_i32_e32 v7, 31, v6
	v_or_b32_e32 v5, v5, v8
	v_lshl_add_u64 v[6:7], v[6:7], 1, s[8:9]
	v_or_b32_e32 v12, 0x100, v3
	v_lshlrev_b32_e32 v14, 13, v14
	v_xad_u32 v73, v5, v13, v4
	v_lshlrev_b32_e32 v34, 8, v47
	v_cndmask_b32_e64 v74, v9, v3, s[0:1]
	v_cndmask_b32_e64 v75, v11, v12, s[0:1]
	v_lshl_add_u64 v[38:39], v[6:7], 0, v[34:35]
	s_mov_b32 s17, 0x7060302
	s_movk_i32 s22, 0x4000
	v_add_u32_e32 v77, v14, v70
	v_add_u32_e32 v78, v14, v71
	;; [unrolled: 1-line block ×4, first 2 shown]
	v_mov_b32_e32 v34, v35
	s_waitcnt lgkmcnt(0)
	s_barrier
.LBB552_6:                              ; =>This Inner Loop Header: Depth=1
	s_add_i32 s31, s56, 1
	s_cmp_lt_i32 s31, s44
	s_mov_b64 s[24:25], 0
	s_cselect_b64 s[38:39], -1, 0
	s_cmp_ge_i32 s31, s44
	s_mov_b64 s[20:21], 0
	s_cbranch_scc1 .LBB552_8
; %bb.7:                                ;   in Loop: Header=BB552_6 Depth=1
	s_add_i32 s0, s50, 64
	s_ashr_i32 s1, s0, 31
	s_add_u32 s0, s47, s0
	s_addc_u32 s1, s46, s1
	s_lshl_b64 s[0:1], s[0:1], 8
	s_add_u32 s20, s6, s0
	s_addc_u32 s21, s7, s1
.LBB552_8:                              ;   in Loop: Header=BB552_6 Depth=1
	v_cndmask_b32_e64 v2, 0, 1, s[38:39]
	v_cmp_ne_u32_e64 s[0:1], 1, v2
	s_andn2_b64 vcc, exec, s[38:39]
	s_cbranch_vccnz .LBB552_10
; %bb.9:                                ;   in Loop: Header=BB552_6 Depth=1
	s_add_i32 s24, s50, 64
	s_mul_hi_i32 s25, s24, s14
	s_mul_i32 s24, s24, s14
	s_add_u32 s24, s24, s49
	s_addc_u32 s25, s25, s52
	s_lshl_b64 s[24:25], s[24:25], 8
	s_add_u32 s24, s4, s24
	s_addc_u32 s25, s5, s25
.LBB552_10:                             ;   in Loop: Header=BB552_6 Depth=1
	v_perm_b32 v3, v82, v66, s17
	v_perm_b32 v2, v64, v35, s17
	;; [unrolled: 1-line block ×4, first 2 shown]
	ds_write_b64 v54, v[2:3]
	ds_write_b64 v55, v[4:5]
	;; [unrolled: 1-line block ×4, first 2 shown]
	s_waitcnt lgkmcnt(0)
	s_barrier
	ds_read_b64 v[10:11], v58 offset:16384
	ds_read_b64 v[12:13], v60 offset:16384
	ds_read2st64_b64 v[2:5], v59 offset1:1
	s_waitcnt lgkmcnt(0)
	v_mfma_f32_16x16x16_bf16 a[0:3], v[10:11], v[2:3], 0
	ds_read2st64_b64 v[6:9], v59 offset0:2 offset1:3
	ds_read_b64 v[14:15], v62 offset:16384
	ds_read_b64 v[2:3], v65 offset:16384
	s_add_i32 s27, s50, 63
	v_mfma_f32_16x16x16_bf16 a[0:3], v[12:13], v[4:5], a[0:3]
	s_ashr_i32 s38, s27, 31
	s_mul_i32 s39, s27, s29
	s_mul_hi_u32 s57, s27, s28
	s_waitcnt lgkmcnt(1)
	v_mfma_f32_16x16x16_bf16 a[0:3], v[14:15], v[6:7], a[0:3]
	s_add_i32 s39, s57, s39
	s_mul_i32 s38, s38, s28
	s_add_i32 s39, s39, s38
	s_mul_i32 s38, s27, s28
	s_waitcnt lgkmcnt(0)
	v_mfma_f32_16x16x16_bf16 a[0:3], v[2:3], v[8:9], a[0:3]
	s_lshl_b64 s[38:39], s[38:39], 2
	s_add_u32 s38, s2, s38
	s_addc_u32 s39, s3, s39
	s_and_b64 vcc, exec, s[0:1]
	v_mov_b32_e32 v85, 0
	v_mov_b32_e32 v84, 0
	v_mov_b32_e32 v83, 0
	v_mov_b32_e32 v2, 0
	v_mov_b32_e32 v3, 0
	v_mov_b32_e32 v4, 0
	v_mov_b32_e32 v5, 0
	v_mov_b32_e32 v6, 0
	v_mov_b32_e32 v7, 0
	v_mov_b32_e32 v8, 0
	v_mov_b32_e32 v9, 0
	v_mov_b32_e32 v10, 0
	v_mov_b32_e32 v11, 0
	v_mov_b32_e32 v12, 0
	v_mov_b32_e32 v13, 0
	v_mov_b32_e32 v14, 0
	v_mov_b32_e32 v15, 0
	v_mov_b32_e32 v16, 0
	v_mov_b32_e32 v17, 0
	s_cbranch_vccnz .LBB552_12
; %bb.11:                               ;   in Loop: Header=BB552_6 Depth=1
	s_and_b32 s21, s21, 0xffff
	buffer_load_dwordx4 v[14:17], v50, s[20:23], 0 offen
	buffer_load_dwordx4 v[10:13], v50, s[20:23], s53 offen
	;; [unrolled: 1-line block ×4, first 2 shown]
	v_mov_b32_e32 v84, v52
	v_mov_b32_e32 v83, v53
.LBB552_12:                             ;   in Loop: Header=BB552_6 Depth=1
	s_waitcnt vmcnt(3)
	v_add_u32_e32 v22, s50, v76
	s_waitcnt vmcnt(1)
	v_ashrrev_i32_e32 v18, 31, v22
	v_mul_lo_u32 v20, v18, s28
	v_mul_lo_u32 v21, v22, s29
	v_mad_u64_u32 v[18:19], s[20:21], v22, s28, 0
	v_add3_u32 v19, v19, v21, v20
	v_lshl_add_u64 v[18:19], v[18:19], 2, s[2:3]
	global_load_dword v87, v[18:19], off
	v_add_u32_e32 v18, 1, v22
	v_ashrrev_i32_e32 v19, 31, v18
	v_mul_lo_u32 v20, v19, s28
	v_mul_lo_u32 v21, v18, s29
	v_mad_u64_u32 v[18:19], s[20:21], v18, s28, 0
	v_add3_u32 v19, v19, v21, v20
	v_add_u32_e32 v20, 2, v22
	v_ashrrev_i32_e32 v21, 31, v20
	v_mul_lo_u32 v23, v21, s28
	v_mul_lo_u32 v24, v20, s29
	v_mad_u64_u32 v[20:21], s[20:21], v20, s28, 0
	v_add_u32_e32 v22, 3, v22
	v_add3_u32 v21, v21, v24, v23
	v_ashrrev_i32_e32 v23, 31, v22
	v_mul_lo_u32 v26, v23, s28
	v_mul_lo_u32 v27, v22, s29
	v_mad_u64_u32 v[22:23], s[20:21], v22, s28, 0
	s_ashr_i32 s21, s50, 31
	s_add_u32 s20, s47, s50
	s_addc_u32 s21, s46, s21
	s_lshl_b64 s[20:21], s[20:21], 8
	v_lshl_add_u64 v[18:19], v[18:19], 2, s[2:3]
	v_lshl_add_u64 v[24:25], v[38:39], 0, s[20:21]
	v_add3_u32 v23, v23, v27, v26
	v_lshl_add_u64 v[20:21], v[20:21], 2, s[2:3]
	global_load_ushort v94, v[24:25], off
	global_load_ushort v95, v[24:25], off offset:256
	global_load_ushort v96, v[24:25], off offset:512
	global_load_ushort v97, v[24:25], off offset:768
	v_lshl_add_u64 v[22:23], v[22:23], 2, s[2:3]
	global_load_dword v98, v[18:19], off
	global_load_dword v99, v[20:21], off
	global_load_dword v100, v[22:23], off
	s_load_dword s20, s[38:39], 0x0
	ds_read2st64_b64 v[26:29], v67 offset1:1
	ds_read2st64_b64 v[30:33], v67 offset0:2 offset1:3
	ds_read_b64 v[24:25], v58 offset:24576
	ds_read_b64 v[88:89], v60 offset:24576
	;; [unrolled: 1-line block ×4, first 2 shown]
	s_waitcnt lgkmcnt(0)
	v_mfma_f32_16x16x16_bf16 a[0:3], v[24:25], v[26:27], a[0:3]
	v_mov_b32_e32 v86, 0
	v_mov_b32_e32 v18, 0
	v_mov_b32_e32 v19, 0
	v_mfma_f32_16x16x16_bf16 a[0:3], v[88:89], v[28:29], a[0:3]
	v_mov_b32_e32 v20, 0
	v_mov_b32_e32 v21, 0
	v_mov_b32_e32 v22, 0
	;; [unrolled: 4-line block ×4, first 2 shown]
	v_mov_b32_e32 v29, 0
	v_mov_b32_e32 v30, 0
	;; [unrolled: 1-line block ×3, first 2 shown]
	s_and_b64 vcc, exec, s[0:1]
	v_accvgpr_read_b32 v89, a1
	v_accvgpr_read_b32 v33, a3
	v_accvgpr_read_b32 v32, a2
	v_accvgpr_read_b32 v88, a0
	s_waitcnt vmcnt(7)
	v_sub_f32_e32 v87, s20, v87
	s_waitcnt vmcnt(6)
	v_lshlrev_b32_e32 v90, 16, v94
	v_exp_f32_e32 v94, v87
	s_waitcnt vmcnt(4)
	v_lshlrev_b32_e32 v92, 16, v96
	s_waitcnt vmcnt(3)
	v_lshlrev_b32_e32 v93, 16, v97
	s_waitcnt vmcnt(2)
	v_sub_f32_e32 v87, s20, v98
	s_waitcnt vmcnt(1)
	v_sub_f32_e32 v96, s20, v99
	;; [unrolled: 2-line block ×3, first 2 shown]
	v_lshlrev_b32_e32 v91, 16, v95
	v_exp_f32_e32 v95, v87
	v_exp_f32_e32 v96, v96
	;; [unrolled: 1-line block ×3, first 2 shown]
	v_pk_add_f32 v[88:89], v[90:91], v[88:89] neg_lo:[0,1] neg_hi:[0,1]
	v_pk_add_f32 v[32:33], v[92:93], v[32:33] neg_lo:[0,1] neg_hi:[0,1]
	v_pk_mul_f32 v[88:89], v[94:95], v[88:89]
	v_pk_mul_f32 v[32:33], v[96:97], v[32:33]
	s_nop 0
	v_perm_b32 v33, v33, v32, s17
	v_perm_b32 v32, v89, v88, s17
	ds_write_b64 v55, v[32:33]
	v_mov_b32_e32 v32, 0
	v_mov_b32_e32 v33, 0
	s_cbranch_vccnz .LBB552_14
; %bb.13:                               ;   in Loop: Header=BB552_6 Depth=1
	s_and_b32 s25, s25, 0xffff
	s_mov_b32 s27, s23
	buffer_load_dwordx4 v[30:33], v74, s[24:27], 0 offen
	buffer_load_dwordx4 v[22:25], v74, s[24:27], s53 offen
	;; [unrolled: 1-line block ×4, first 2 shown]
	v_mov_b32_e32 v85, v49
	v_mov_b32_e32 v86, v48
.LBB552_14:                             ;   in Loop: Header=BB552_6 Depth=1
	s_waitcnt lgkmcnt(0)
	s_barrier
	ds_read_b64 v[96:97], v77
	ds_read2st64_b64 v[88:91], v67 offset1:1
	ds_read2st64_b64 v[92:95], v67 offset0:2 offset1:3
	ds_read_b64 v[98:99], v78
	ds_read_b64 v[100:101], v79
	ds_read_b64 v[102:103], v80
	s_waitcnt lgkmcnt(4)
	v_mfma_f32_16x16x16_bf16 a[0:3], v[96:97], v[88:89], 0
	ds_read_b64 v[96:97], v70 offset:8192
	ds_read_b64 v[104:105], v71 offset:8192
	s_add_i32 s21, s45, s56
	s_mul_hi_i32 s25, s21, s48
	s_waitcnt lgkmcnt(1)
	v_mfma_f32_16x16x16_bf16 a[4:7], v[96:97], v[88:89], 0
	s_mul_i32 s21, s21, s48
	s_add_u32 s24, s21, s33
	s_addc_u32 s25, s25, s51
	v_mfma_f32_16x16x16_bf16 a[0:3], v[98:99], v[90:91], a[0:3]
	ds_read_b64 v[96:97], v68
	ds_read_b64 v[98:99], v69
	ds_read_b64 v[88:89], v72 offset:8192
	s_lshl_b64 s[24:25], s[24:25], 15
	v_mfma_f32_16x16x16_bf16 a[0:3], v[100:101], v[92:93], a[0:3]
	ds_read_b64 v[100:101], v73 offset:8192
	s_and_b64 vcc, exec, s[0:1]
	s_waitcnt lgkmcnt(4)
	v_mfma_f32_16x16x16_bf16 a[4:7], v[104:105], v[90:91], a[4:7]
	s_waitcnt lgkmcnt(1)
	v_mfma_f32_16x16x16_bf16 a[4:7], v[88:89], v[92:93], a[4:7]
	v_lshl_add_u64 v[88:89], v[36:37], 0, s[24:25]
	global_store_dwordx4 v[88:89], v[96:99], off
	v_mfma_f32_16x16x16_bf16 a[0:3], v[102:103], v[94:95], a[0:3]
	s_waitcnt lgkmcnt(0)
	v_mfma_f32_16x16x16_bf16 a[4:7], v[100:101], v[94:95], a[4:7]
	s_cbranch_vccnz .LBB552_16
; %bb.15:                               ;   in Loop: Header=BB552_6 Depth=1
	v_lshrrev_b32_e32 v87, 3, v85
	v_and_b32_e32 v87, 6, v87
	v_xor_b32_e32 v86, v87, v86
	v_lshlrev_b32_e32 v86, 2, v86
	v_and_b32_e32 v85, 8, v85
	v_xor_b32_e32 v88, 0x440, v86
	v_cmp_eq_u32_e32 vcc, 0, v85
	s_barrier
	s_nop 0
	v_cndmask_b32_e32 v85, v88, v86, vcc
	v_lshl_or_b32 v85, v87, 10, v85
	s_waitcnt vmcnt(2)
	v_perm_b32 v86, v30, v26, s54
	s_waitcnt vmcnt(1)
	v_perm_b32 v87, v22, v18, s54
	ds_write2st64_b32 v85, v86, v87 offset1:32
	v_xor_b32_e32 v86, 8, v85
	v_perm_b32 v26, v30, v26, s55
	v_perm_b32 v18, v22, v18, s55
	v_add_u32_e32 v22, 0x80, v86
	ds_write2st64_b32 v22, v26, v18 offset1:32
	v_xor_b32_e32 v18, 16, v85
	v_perm_b32 v22, v31, v27, s54
	v_perm_b32 v26, v23, v19, s54
	ds_write2st64_b32 v18, v22, v26 offset0:1 offset1:33
	v_xor_b32_e32 v18, 24, v85
	v_perm_b32 v22, v31, v27, s55
	v_perm_b32 v19, v23, v19, s55
	v_add_u32_e32 v18, 0x80, v18
	ds_write2st64_b32 v18, v22, v19 offset0:1 offset1:33
	v_xor_b32_e32 v18, 32, v85
	v_perm_b32 v19, v32, v28, s54
	v_perm_b32 v22, v24, v20, s54
	ds_write2st64_b32 v18, v19, v22 offset0:2 offset1:34
	v_xor_b32_e32 v18, 40, v85
	v_perm_b32 v19, v32, v28, s55
	v_perm_b32 v20, v24, v20, s55
	v_add_u32_e32 v18, 0x80, v18
	ds_write2st64_b32 v18, v19, v20 offset0:2 offset1:34
	;; [unrolled: 9-line block ×3, first 2 shown]
	ds_write_b64 v84, v[14:15] offset:16384
	v_xor_b32_e32 v14, 8, v84
	ds_write_b64 v14, v[16:17] offset:16384
	ds_write_b64 v84, v[10:11] offset:24576
	;; [unrolled: 1-line block ×4, first 2 shown]
	v_xor_b32_e32 v6, 8, v83
	ds_write_b64 v6, v[8:9] offset:16384
	ds_write_b64 v83, v[2:3] offset:24576
	;; [unrolled: 1-line block ×3, first 2 shown]
.LBB552_16:                             ;   in Loop: Header=BB552_6 Depth=1
	v_exp_f32_e32 v2, s20
	s_nop 2
	v_accvgpr_read_b32 v3, a0
	v_accvgpr_read_b32 v4, a1
	s_add_i32 s50, s50, 64
	v_fma_f32 v35, v35, v2, v3
	v_accvgpr_read_b32 v3, a2
	v_fma_f32 v66, v66, v2, v3
	v_accvgpr_read_b32 v3, a4
	;; [unrolled: 2-line block ×6, first 2 shown]
	v_fmac_f32_e32 v4, v82, v2
	s_cmp_eq_u32 s44, s31
	v_fmac_f32_e32 v3, v81, v2
	s_cbranch_scc1 .LBB552_18
; %bb.17:                               ;   in Loop: Header=BB552_6 Depth=1
	s_mov_b32 s56, s31
	v_mov_b32_e32 v82, v4
	v_mov_b32_e32 v81, v3
	s_branch .LBB552_6
.LBB552_18:
	s_lshl_b32 s0, s44, 6
	s_sub_i32 s43, s43, s0
	s_cmp_gt_i32 s43, 0
	s_cbranch_scc0 .LBB552_75
; %bb.19:
	s_add_i32 s34, s0, s34
	s_ashr_i32 s2, s34, 31
	s_cmpk_lg_i32 s15, 0x80
	s_cselect_b64 s[26:27], -1, 0
	s_and_b64 vcc, exec, s[26:27]
	s_cbranch_vccz .LBB552_21
; %bb.20:
	s_mul_i32 s1, s34, s14
	s_ashr_i32 s3, s49, 31
	s_mul_hi_i32 s0, s34, s14
	s_add_u32 s38, s1, s49
	s_addc_u32 s39, s0, s3
	s_cbranch_execz .LBB552_22
	s_branch .LBB552_23
.LBB552_21:
                                        ; implicit-def: $sgpr38_sgpr39
.LBB552_22:
	s_mul_i32 s1, s49, s12
	s_mul_hi_i32 s0, s49, s12
	s_add_u32 s38, s1, s34
	s_addc_u32 s39, s0, s2
.LBB552_23:
	s_add_i32 s3, s44, s45
	s_ashr_i32 s12, s33, 31
	s_add_u32 s0, s47, s34
	s_addc_u32 s1, s46, s2
	s_mov_b32 s2, 0x7060302
	v_lshlrev_b32_e32 v6, 3, v1
	v_perm_b32 v5, v4, v66, s2
	v_perm_b32 v4, v64, v35, s2
	v_perm_b32 v3, v3, v63, s2
	v_perm_b32 v2, v34, v61, s2
	v_lshlrev_b32_e32 v34, 2, v1
	v_lshl_or_b32 v6, v47, 5, v6
	s_lshl_b64 s[24:25], s[0:1], 8
	ds_write2st64_b64 v6, v[4:5], v[2:3] offset0:72 offset1:76
	v_xor_b32_e32 v6, v47, v34
	v_lshlrev_b32_e32 v7, 8, v1
	s_add_u32 s0, s6, s24
	v_lshl_or_b32 v6, v6, 1, v7
	s_addc_u32 s1, s7, s25
	ds_write_b64 v6, v[4:5] offset:32768
	v_xor_b32_e32 v4, v46, v34
	s_mul_hi_i32 s6, s3, s13
	s_mul_i32 s3, s3, s13
	v_lshl_or_b32 v4, v4, 1, v7
	s_add_u32 s2, s3, s33
	ds_write_b64 v4, v[2:3] offset:32768
	s_addc_u32 s3, s6, s12
	v_lshlrev_b32_e32 v3, 1, v1
	v_lshrrev_b32_e32 v2, 4, v0
	s_ashr_i32 s31, s30, 31
	s_lshl_b64 s[2:3], s[2:3], 15
	v_or_b32_e32 v4, 1, v3
	s_add_u32 s6, s36, s2
	v_xor_b32_e32 v3, v2, v3
	v_xor_b32_e32 v4, v4, v2
	v_lshlrev_b32_e32 v6, 8, v2
	s_addc_u32 s7, s37, s3
	s_lshl_b64 s[2:3], s[30:31], 8
	v_lshl_or_b32 v2, v3, 3, v6
	v_lshl_or_b32 v4, v4, 3, v6
	s_waitcnt lgkmcnt(0)
	s_barrier
	s_add_u32 s2, s6, s2
	ds_read_b64 v[2:3], v2 offset:32768
	ds_read_b64 v[4:5], v4 offset:32768
	s_addc_u32 s3, s7, s3
	v_mov_b32_e32 v7, 0
	s_cmp_lg_u32 s43, 64
	v_lshl_add_u64 v[8:9], s[2:3], 0, v[6:7]
	v_lshlrev_b32_e32 v6, 4, v1
	s_cselect_b64 s[6:7], -1, 0
	v_lshl_or_b32 v35, v42, 3, v45
	s_mov_b32 s20, 0
	v_lshl_add_u64 v[6:7], v[8:9], 0, v[6:7]
	s_waitcnt vmcnt(1)
	v_or_b32_e32 v19, 32, v35
	v_and_b32_e32 v18, 56, v44
	s_and_b64 vcc, exec, s[6:7]
	s_waitcnt lgkmcnt(0)
	global_store_dwordx4 v[6:7], v[2:5], off
	s_cbranch_vccz .LBB552_29
; %bb.24:
	s_mov_b32 s21, s20
	s_mov_b32 s22, s20
	;; [unrolled: 1-line block ×3, first 2 shown]
	v_mov_b64_e32 v[6:7], s[20:21]
	v_mov_b64_e32 v[8:9], s[22:23]
	;; [unrolled: 1-line block ×3, first 2 shown]
	v_cmp_gt_i32_e32 vcc, s43, v35
	v_mov_b64_e32 v[4:5], v[8:9]
	s_and_saveexec_b64 s[2:3], vcc
	s_cbranch_execz .LBB552_26
; %bb.25:
	v_lshlrev_b32_e32 v2, 8, v35
	v_mov_b32_e32 v3, 0
	v_lshl_add_u64 v[4:5], s[0:1], 0, v[2:3]
	v_lshlrev_b32_e32 v2, 1, v18
	v_lshl_add_u64 v[10:11], v[4:5], 0, v[2:3]
	global_load_dwordx4 v[6:9], v[10:11], off
	global_load_dwordx4 v[2:5], v[10:11], off offset:128
.LBB552_26:
	s_or_b64 exec, exec, s[2:3]
	s_mov_b32 s21, s20
	s_mov_b32 s22, s20
	;; [unrolled: 1-line block ×3, first 2 shown]
	v_mov_b64_e32 v[14:15], s[20:21]
	v_mov_b64_e32 v[16:17], s[22:23]
	;; [unrolled: 1-line block ×3, first 2 shown]
	v_cmp_gt_i32_e32 vcc, s43, v19
	v_lshlrev_b32_e32 v20, 7, v19
	v_mov_b64_e32 v[12:13], v[16:17]
	s_and_saveexec_b64 s[2:3], vcc
	s_cbranch_execz .LBB552_28
; %bb.27:
	v_lshlrev_b32_e32 v10, 1, v20
	v_mov_b32_e32 v11, 0
	v_lshl_add_u64 v[12:13], s[0:1], 0, v[10:11]
	v_lshlrev_b32_e32 v10, 1, v18
	v_lshl_add_u64 v[22:23], v[12:13], 0, v[10:11]
	global_load_dwordx4 v[14:17], v[22:23], off
	global_load_dwordx4 v[10:13], v[22:23], off offset:128
.LBB552_28:
	s_or_b64 exec, exec, s[2:3]
	v_lshrrev_b32_e32 v21, 3, v18
	v_lshlrev_b32_e32 v22, 3, v35
	v_or_b32_e32 v21, v22, v21
	v_lshlrev_b32_e32 v21, 4, v21
	v_and_b32_e32 v22, 0x78, v22
	v_xor_b32_e32 v21, v21, v22
	s_branch .LBB552_31
.LBB552_29:
                                        ; implicit-def: $vgpr21
                                        ; implicit-def: $vgpr20
                                        ; implicit-def: $vgpr6_vgpr7_vgpr8_vgpr9
                                        ; implicit-def: $vgpr2_vgpr3_vgpr4_vgpr5
                                        ; implicit-def: $vgpr14_vgpr15_vgpr16_vgpr17
                                        ; implicit-def: $vgpr10_vgpr11_vgpr12_vgpr13
	s_cbranch_execz .LBB552_31
; %bb.30:
	s_waitcnt vmcnt(0)
	v_lshlrev_b32_e32 v2, 1, v18
	v_lshl_or_b32 v20, v35, 8, v2
	s_and_b32 s1, s1, 0xffff
	s_mov_b32 s3, 0x20000
	s_movk_i32 s2, 0x4000
	v_lshl_or_b32 v21, v19, 8, v2
	s_movk_i32 s13, 0x80
	buffer_load_dwordx4 v[6:9], v20, s[0:3], 0 offen
	buffer_load_dwordx4 v[2:5], v20, s[0:3], s13 offen
	;; [unrolled: 1-line block ×4, first 2 shown]
	v_lshrrev_b32_e32 v20, 3, v18
	v_lshlrev_b32_e32 v21, 3, v35
	v_or_b32_e32 v20, v21, v20
	v_lshlrev_b32_e32 v20, 4, v20
	v_and_b32_e32 v21, 0x78, v21
	v_xor_b32_e32 v21, v20, v21
	v_lshlrev_b32_e32 v20, 7, v19
.LBB552_31:
	s_lshl_b64 s[0:1], s[38:39], 8
	s_add_u32 s4, s4, s0
	s_movk_i32 s0, 0x1000
	v_and_or_b32 v19, v20, s0, v21
	s_waitcnt vmcnt(1)
	ds_write_b64 v21, v[6:7] offset:16384
	v_xor_b32_e32 v6, 8, v21
	ds_write_b64 v6, v[8:9] offset:16384
	s_waitcnt vmcnt(0)
	ds_write_b64 v21, v[2:3] offset:24576
	ds_write_b64 v6, v[4:5] offset:24576
	;; [unrolled: 1-line block ×3, first 2 shown]
	v_xor_b32_e32 v2, 8, v19
	ds_write_b64 v2, v[16:17] offset:16384
	ds_write_b64 v19, v[10:11] offset:24576
	;; [unrolled: 1-line block ×3, first 2 shown]
	v_or_b32_e32 v2, v40, v1
	v_lshlrev_b32_e32 v2, 3, v2
	v_lshrrev_b32_e32 v4, 5, v41
	s_movk_i32 s14, 0xf8
	v_and_or_b32 v4, v2, s14, v4
	v_lshlrev_b32_e32 v3, 11, v42
	v_lshlrev_b32_e32 v12, 4, v4
	v_and_b32_e32 v13, 0x78, v2
	v_and_b32_e32 v14, 0x1000, v3
	v_lshlrev_b32_e32 v3, 2, v0
	v_xor_b32_e32 v2, v12, v13
	v_lshrrev_b32_e32 v4, 1, v41
	v_and_b32_e32 v3, 60, v3
	v_or_b32_e32 v2, v2, v14
	v_and_b32_e32 v15, 8, v4
	v_xor_b32_e32 v26, v2, v15
	v_lshl_or_b32 v2, v43, 6, v3
	v_lshlrev_b32_e32 v19, 1, v2
	v_or_b32_e32 v2, 32, v12
	v_xor_b32_e32 v2, v2, v13
	s_waitcnt lgkmcnt(0)
	s_barrier
	ds_read_b64 v[10:11], v26 offset:16384
	v_or_b32_e32 v2, v2, v14
	v_xor_b32_e32 v27, v2, v15
	v_or_b32_e32 v2, 64, v12
	v_xor_b32_e32 v2, v2, v13
	v_or_b32_e32 v2, v2, v14
	v_or_b32_e32 v12, 0x60, v12
	v_xor_b32_e32 v28, v2, v15
	ds_read2st64_b64 v[2:5], v19 offset0:72 offset1:73
	ds_read2st64_b64 v[6:9], v19 offset0:74 offset1:75
	v_xor_b32_e32 v16, v12, v13
	ds_read_b64 v[12:13], v27 offset:16384
	s_addc_u32 s5, s5, s1
	s_add_i32 s0, s41, s40
	s_waitcnt lgkmcnt(2)
	v_mfma_f32_16x16x16_bf16 a[0:3], v[10:11], v[2:3], 0
	s_add_i32 s2, s35, -1
	s_add_i32 s17, s0, s42
	s_mul_i32 s0, s33, s19
	s_mul_hi_u32 s1, s33, s18
	s_add_i32 s0, s1, s0
	s_mul_i32 s1, s12, s18
	s_ashr_i32 s3, s2, 31
	s_mul_i32 s12, s2, s29
	s_mul_hi_u32 s13, s2, s28
	s_add_i32 s12, s13, s12
	s_mul_i32 s3, s3, s28
	v_or_b32_e32 v14, v16, v14
	s_add_i32 s1, s0, s1
	s_add_i32 s3, s12, s3
	s_lshl_b64 s[12:13], s[16:17], 2
	v_xor_b32_e32 v36, v14, v15
	ds_read_b64 v[14:15], v28 offset:16384
	ds_read_b64 v[16:17], v36 offset:16384
	s_waitcnt lgkmcnt(2)
	v_mfma_f32_16x16x16_bf16 a[0:3], v[12:13], v[4:5], a[0:3]
	s_mul_i32 s0, s33, s18
	s_add_u32 s10, s10, s12
	s_addc_u32 s11, s11, s13
	s_lshl_b64 s[0:1], s[0:1], 2
	s_mul_i32 s2, s2, s28
	s_add_u32 s10, s10, s0
	s_addc_u32 s11, s11, s1
	s_lshl_b64 s[0:1], s[2:3], 2
	s_waitcnt lgkmcnt(1)
	v_mfma_f32_16x16x16_bf16 a[0:3], v[14:15], v[6:7], a[0:3]
	s_add_u32 s0, s10, s0
	s_addc_u32 s1, s11, s1
	s_load_dword s12, s[0:1], 0x0
	s_waitcnt lgkmcnt(0)
	v_mfma_f32_16x16x16_bf16 a[0:3], v[16:17], v[8:9], a[0:3]
	s_and_b64 vcc, exec, s[26:27]
	s_cbranch_vccz .LBB552_42
; %bb.32:
	v_lshlrev_b32_e32 v20, 1, v35
	s_and_b64 vcc, exec, s[6:7]
	s_cbranch_vccz .LBB552_43
; %bb.33:
	v_cmp_gt_i32_e32 vcc, s43, v20
	v_mov_b32_e32 v6, 0
	v_mov_b32_e32 v2, 0
	;; [unrolled: 1-line block ×5, first 2 shown]
	s_and_saveexec_b64 s[0:1], vcc
	s_cbranch_execz .LBB552_35
; %bb.34:
	v_mad_i64_i32 v[2:3], s[2:3], s15, v20, 0
	v_lshl_add_u64 v[2:3], v[2:3], 1, s[4:5]
	v_lshlrev_b32_e32 v4, 1, v18
	v_mov_b32_e32 v5, 0
	v_lshl_add_u64 v[2:3], v[2:3], 0, v[4:5]
	global_load_dwordx4 v[2:5], v[2:3], off
.LBB552_35:
	s_or_b64 exec, exec, s[0:1]
	v_or_b32_e32 v21, 1, v20
	v_cmp_gt_i32_e64 s[0:1], s43, v21
	v_mov_b32_e32 v7, 0
	v_mov_b32_e32 v8, 0
	;; [unrolled: 1-line block ×3, first 2 shown]
	s_and_saveexec_b64 s[2:3], s[0:1]
	s_cbranch_execz .LBB552_37
; %bb.36:
	v_mad_i64_i32 v[6:7], s[16:17], s15, v21, 0
	v_lshl_add_u64 v[6:7], v[6:7], 1, s[4:5]
	v_lshlrev_b32_e32 v8, 1, v18
	v_mov_b32_e32 v9, 0
	v_lshl_add_u64 v[6:7], v[6:7], 0, v[8:9]
	global_load_dwordx4 v[6:9], v[6:7], off
.LBB552_37:
	s_or_b64 exec, exec, s[2:3]
	v_mov_b32_e32 v17, 0
	v_mov_b32_e32 v10, 0
	;; [unrolled: 1-line block ×5, first 2 shown]
	s_and_saveexec_b64 s[2:3], vcc
	s_cbranch_execz .LBB552_39
; %bb.38:
	v_mad_i64_i32 v[10:11], s[16:17], s15, v20, 0
	v_lshl_add_u64 v[10:11], v[10:11], 1, s[4:5]
	v_lshlrev_b32_e32 v12, 1, v18
	v_mov_b32_e32 v13, 0
	v_lshl_add_u64 v[10:11], v[10:11], 0, v[12:13]
	global_load_dwordx4 v[10:13], v[10:11], off offset:128
.LBB552_39:
	s_or_b64 exec, exec, s[2:3]
	v_mov_b32_e32 v16, 0
	v_mov_b32_e32 v15, 0
	;; [unrolled: 1-line block ×3, first 2 shown]
	s_and_saveexec_b64 s[2:3], s[0:1]
	s_cbranch_execz .LBB552_41
; %bb.40:
	v_mad_i64_i32 v[14:15], s[0:1], s15, v21, 0
	v_lshl_add_u64 v[14:15], v[14:15], 1, s[4:5]
	v_lshlrev_b32_e32 v16, 1, v18
	v_mov_b32_e32 v17, 0
	v_lshl_add_u64 v[14:15], v[14:15], 0, v[16:17]
	global_load_dwordx4 v[14:17], v[14:15], off offset:128
.LBB552_41:
	s_or_b64 exec, exec, s[2:3]
	s_branch .LBB552_45
.LBB552_42:
                                        ; implicit-def: $vgpr5
                                        ; implicit-def: $vgpr9
                                        ; implicit-def: $vgpr13
                                        ; implicit-def: $vgpr17
	v_lshrrev_b32_e32 v37, 2, v41
	s_branch .LBB552_46
.LBB552_43:
                                        ; implicit-def: $vgpr5
                                        ; implicit-def: $vgpr9
                                        ; implicit-def: $vgpr13
                                        ; implicit-def: $vgpr17
	s_cbranch_execz .LBB552_45
; %bb.44:
	s_waitcnt vmcnt(0)
	v_mad_u64_u32 v[2:3], s[0:1], v20, s15, v[18:19]
	v_lshlrev_b32_e32 v20, 1, v2
	s_lshl_b32 s2, s15, 7
	s_and_b32 s1, s5, 0xffff
	s_mov_b32 s3, 0x20000
	s_mov_b32 s0, s4
	v_add_lshl_u32 v21, v2, s15, 1
	s_movk_i32 s13, 0x80
	buffer_load_dwordx4 v[2:5], v20, s[0:3], 0 offen
	buffer_load_dwordx4 v[10:13], v20, s[0:3], s13 offen
	;; [unrolled: 1-line block ×4, first 2 shown]
.LBB552_45:
	v_lshrrev_b32_e32 v37, 2, v41
	s_cbranch_execnz .LBB552_58
.LBB552_46:
	s_and_b64 vcc, exec, s[6:7]
	s_cbranch_vccz .LBB552_56
; %bb.47:
	s_waitcnt vmcnt(0)
	v_lshlrev_b32_e32 v7, 1, v35
	v_cmp_gt_i32_e32 vcc, s43, v7
	v_mov_b32_e32 v6, 0
	v_lshlrev_b32_e32 v14, 9, v35
	v_mov_b32_e32 v2, 0
	v_mov_b32_e32 v3, 0
	;; [unrolled: 1-line block ×4, first 2 shown]
	s_and_saveexec_b64 s[0:1], vcc
	s_cbranch_execz .LBB552_49
; %bb.48:
	v_mov_b32_e32 v15, 0
	v_lshl_add_u64 v[2:3], s[4:5], 0, v[14:15]
	v_lshlrev_b32_e32 v4, 1, v18
	v_mov_b32_e32 v5, v15
	v_lshl_add_u64 v[2:3], v[2:3], 0, v[4:5]
	global_load_dwordx4 v[2:5], v[2:3], off
.LBB552_49:
	s_or_b64 exec, exec, s[0:1]
	v_or_b32_e32 v7, 1, v7
	v_cmp_gt_i32_e64 s[0:1], s43, v7
	v_lshlrev_b32_e32 v20, 8, v7
	v_mov_b32_e32 v7, 0
	v_mov_b32_e32 v8, 0
	;; [unrolled: 1-line block ×3, first 2 shown]
	s_and_saveexec_b64 s[2:3], s[0:1]
	s_cbranch_execz .LBB552_51
; %bb.50:
	v_mov_b32_e32 v21, 0
	v_lshl_add_u64 v[6:7], s[4:5], 0, v[20:21]
	v_lshlrev_b32_e32 v8, 1, v18
	v_mov_b32_e32 v9, v21
	v_lshl_add_u64 v[6:7], v[6:7], 0, v[8:9]
	global_load_dwordx4 v[6:9], v[6:7], off
.LBB552_51:
	s_or_b64 exec, exec, s[2:3]
	v_mov_b32_e32 v17, 0
	v_mov_b32_e32 v10, 0
	;; [unrolled: 1-line block ×5, first 2 shown]
	s_and_saveexec_b64 s[2:3], vcc
	s_cbranch_execz .LBB552_53
; %bb.52:
	v_mov_b32_e32 v15, 0
	v_lshl_add_u64 v[10:11], s[4:5], 0, v[14:15]
	v_lshlrev_b32_e32 v14, 1, v18
	v_lshl_add_u64 v[10:11], v[10:11], 0, v[14:15]
	global_load_dwordx4 v[10:13], v[10:11], off offset:128
.LBB552_53:
	s_or_b64 exec, exec, s[2:3]
	v_mov_b32_e32 v16, 0
	v_mov_b32_e32 v15, 0
	;; [unrolled: 1-line block ×3, first 2 shown]
	s_and_saveexec_b64 s[2:3], s[0:1]
	s_cbranch_execz .LBB552_55
; %bb.54:
	v_mov_b32_e32 v21, 0
	v_lshl_add_u64 v[14:15], s[4:5], 0, v[20:21]
	v_lshlrev_b32_e32 v20, 1, v18
	v_lshl_add_u64 v[14:15], v[14:15], 0, v[20:21]
	global_load_dwordx4 v[14:17], v[14:15], off offset:128
.LBB552_55:
	s_or_b64 exec, exec, s[2:3]
	s_branch .LBB552_58
.LBB552_56:
                                        ; implicit-def: $vgpr5
                                        ; implicit-def: $vgpr9
                                        ; implicit-def: $vgpr13
                                        ; implicit-def: $vgpr17
	s_cbranch_execz .LBB552_58
; %bb.57:
	s_waitcnt vmcnt(0)
	v_lshlrev_b32_e32 v2, 1, v18
	v_lshl_or_b32 v18, v35, 9, v2
	s_and_b32 s5, s5, 0xffff
	s_mov_b32 s7, 0x20000
	s_movk_i32 s6, 0x4000
	s_movk_i32 s0, 0x80
	buffer_load_dwordx4 v[2:5], v18, s[4:7], 0 offen
	buffer_load_dwordx4 v[6:9], v18, s[4:7], 0 offen offset:256
	buffer_load_dwordx4 v[10:13], v18, s[4:7], s0 offen
	buffer_load_dwordx4 v[14:17], v18, s[4:7], s0 offen offset:256
.LBB552_58:
	ds_read2st64_b64 v[22:25], v19 offset0:76 offset1:77
	ds_read2st64_b64 v[18:21], v19 offset0:78 offset1:79
	ds_read_b64 v[30:31], v26 offset:24576
	ds_read_b64 v[32:33], v27 offset:24576
	ds_read_b64 v[28:29], v28 offset:24576
	ds_read_b64 v[26:27], v36 offset:24576
	v_and_b32_e32 v36, 6, v0
	v_xor_b32_e32 v35, v35, v36
	v_lshlrev_b32_e32 v35, 2, v35
	v_and_b32_e32 v0, 1, v0
	v_xor_b32_e32 v38, 0x440, v35
	v_cmp_eq_u32_e32 vcc, 0, v0
	s_mov_b32 s0, 0x1000504
	s_mov_b32 s1, 0x3020706
	v_cndmask_b32_e32 v0, v38, v35, vcc
	v_lshl_or_b32 v0, v36, 10, v0
	s_waitcnt vmcnt(0)
	v_perm_b32 v35, v2, v6, s0
	v_perm_b32 v36, v10, v14, s0
	ds_write2st64_b32 v0, v35, v36 offset1:32
	v_xor_b32_e32 v35, 8, v0
	v_perm_b32 v2, v2, v6, s1
	v_perm_b32 v6, v10, v14, s1
	v_add_u32_e32 v10, 0x80, v35
	ds_write2st64_b32 v10, v2, v6 offset1:32
	v_xor_b32_e32 v2, 16, v0
	v_perm_b32 v6, v3, v7, s0
	v_perm_b32 v10, v11, v15, s0
	ds_write2st64_b32 v2, v6, v10 offset0:1 offset1:33
	v_xor_b32_e32 v2, 24, v0
	v_perm_b32 v3, v3, v7, s1
	v_perm_b32 v6, v11, v15, s1
	v_add_u32_e32 v2, 0x80, v2
	ds_write2st64_b32 v2, v3, v6 offset0:1 offset1:33
	v_xor_b32_e32 v2, 32, v0
	v_perm_b32 v3, v4, v8, s0
	v_perm_b32 v6, v12, v16, s0
	ds_write2st64_b32 v2, v3, v6 offset0:2 offset1:34
	v_xor_b32_e32 v2, 40, v0
	v_perm_b32 v3, v4, v8, s1
	v_perm_b32 v4, v12, v16, s1
	v_add_u32_e32 v2, 0x80, v2
	ds_write2st64_b32 v2, v3, v4 offset0:2 offset1:34
	v_xor_b32_e32 v2, 48, v0
	v_perm_b32 v3, v5, v9, s0
	v_perm_b32 v4, v13, v17, s0
	v_xor_b32_e32 v0, 56, v0
	v_and_or_b32 v6, v37, 12, v40
	ds_write2st64_b32 v2, v3, v4 offset0:3 offset1:35
	v_perm_b32 v2, v5, v9, s1
	v_perm_b32 v3, v13, v17, s1
	v_add_u32_e32 v0, 0x80, v0
	v_cmp_gt_i32_e32 vcc, s43, v6
	v_mov_b32_e32 v7, 0
	v_mov_b32_e32 v11, 0
	ds_write2st64_b32 v0, v2, v3 offset0:3 offset1:35
	s_and_saveexec_b64 s[0:1], vcc
	s_cbranch_execz .LBB552_60
; %bb.59:
	v_add_u32_e32 v0, s34, v6
	v_ashrrev_i32_e32 v2, 31, v0
	v_mul_lo_u32 v4, v2, s28
	v_mul_lo_u32 v5, v0, s29
	v_mad_u64_u32 v[2:3], s[2:3], v0, s28, 0
	v_add3_u32 v3, v3, v5, v4
	v_lshl_add_u64 v[2:3], v[2:3], 2, s[10:11]
	global_load_dword v0, v[2:3], off
	s_waitcnt vmcnt(0)
	v_sub_f32_e32 v0, s12, v0
	v_exp_f32_e32 v11, v0
.LBB552_60:
	s_or_b64 exec, exec, s[0:1]
	v_or_b32_e32 v9, 1, v6
	v_cmp_gt_i32_e64 s[0:1], s43, v9
	s_and_saveexec_b64 s[2:3], s[0:1]
	s_cbranch_execz .LBB552_62
; %bb.61:
	v_add_u32_e32 v0, s34, v9
	v_ashrrev_i32_e32 v2, 31, v0
	v_mul_lo_u32 v4, v2, s28
	v_mul_lo_u32 v5, v0, s29
	v_mad_u64_u32 v[2:3], s[4:5], v0, s28, 0
	v_add3_u32 v3, v3, v5, v4
	v_lshl_add_u64 v[2:3], v[2:3], 2, s[10:11]
	global_load_dword v0, v[2:3], off
	s_waitcnt vmcnt(0)
	v_sub_f32_e32 v0, s12, v0
	v_exp_f32_e32 v7, v0
.LBB552_62:
	s_or_b64 exec, exec, s[2:3]
	v_or_b32_e32 v10, 2, v6
	v_cmp_gt_i32_e64 s[2:3], s43, v10
	v_mov_b32_e32 v8, 0
	v_mov_b32_e32 v13, 0
	s_and_saveexec_b64 s[4:5], s[2:3]
	s_cbranch_execz .LBB552_64
; %bb.63:
	v_add_u32_e32 v0, s34, v10
	v_ashrrev_i32_e32 v2, 31, v0
	v_mul_lo_u32 v4, v2, s28
	v_mul_lo_u32 v5, v0, s29
	v_mad_u64_u32 v[2:3], s[6:7], v0, s28, 0
	v_add3_u32 v3, v3, v5, v4
	v_lshl_add_u64 v[2:3], v[2:3], 2, s[10:11]
	global_load_dword v0, v[2:3], off
	s_waitcnt vmcnt(0)
	v_sub_f32_e32 v0, s12, v0
	v_exp_f32_e32 v13, v0
.LBB552_64:
	s_or_b64 exec, exec, s[4:5]
	v_or_b32_e32 v12, 3, v6
	v_cmp_gt_i32_e64 s[4:5], s43, v12
	s_and_saveexec_b64 s[6:7], s[4:5]
	s_cbranch_execz .LBB552_66
; %bb.65:
	v_add_u32_e32 v0, s34, v12
	v_ashrrev_i32_e32 v2, 31, v0
	v_mul_lo_u32 v4, v2, s28
	v_mul_lo_u32 v5, v0, s29
	v_mad_u64_u32 v[2:3], s[14:15], v0, s28, 0
	v_add3_u32 v3, v3, v5, v4
	v_lshl_add_u64 v[2:3], v[2:3], 2, s[10:11]
	global_load_dword v0, v[2:3], off
	s_waitcnt vmcnt(0)
	v_sub_f32_e32 v0, s12, v0
	v_exp_f32_e32 v8, v0
.LBB552_66:
	s_or_b64 exec, exec, s[6:7]
	s_waitcnt lgkmcnt(11)
	v_mfma_f32_16x16x16_bf16 a[0:3], v[30:31], v[22:23], a[0:3]
	v_or_b32_e32 v0, s30, v1
	s_add_u32 s6, s8, s24
	s_addc_u32 s7, s9, s25
	s_waitcnt lgkmcnt(10)
	v_mfma_f32_16x16x16_bf16 a[0:3], v[32:33], v[24:25], a[0:3]
	v_ashrrev_i32_e32 v1, 31, v0
	v_lshl_add_u64 v[4:5], v[0:1], 1, s[6:7]
	v_mov_b32_e32 v14, 0
	s_waitcnt lgkmcnt(9)
	v_mfma_f32_16x16x16_bf16 a[0:3], v[28:29], v[18:19], a[0:3]
	v_mov_b32_e32 v15, 0
	s_waitcnt lgkmcnt(8)
	v_mfma_f32_16x16x16_bf16 a[0:3], v[26:27], v[20:21], a[0:3]
	s_nop 6
	v_accvgpr_read_b32 v0, a0
	v_accvgpr_read_b32 v1, a1
	;; [unrolled: 1-line block ×4, first 2 shown]
	s_and_saveexec_b64 s[6:7], vcc
	s_cbranch_execz .LBB552_68
; %bb.67:
	v_lshlrev_b32_e32 v16, 8, v6
	v_mov_b32_e32 v17, 0
	v_lshl_add_u64 v[16:17], v[4:5], 0, v[16:17]
	global_load_ushort v15, v[16:17], off
	s_waitcnt vmcnt(0)
	v_lshlrev_b32_e32 v15, 16, v15
	v_sub_f32_e32 v0, v15, v0
	v_mul_f32_e32 v0, v11, v0
	v_lshrrev_b32_e32 v15, 16, v0
.LBB552_68:
	s_or_b64 exec, exec, s[6:7]
	s_and_saveexec_b64 s[6:7], s[0:1]
	s_cbranch_execz .LBB552_70
; %bb.69:
	v_lshlrev_b32_e32 v16, 8, v9
	v_mov_b32_e32 v17, 0
	v_lshl_add_u64 v[16:17], v[4:5], 0, v[16:17]
	global_load_ushort v0, v[16:17], off
	s_waitcnt vmcnt(0)
	v_lshlrev_b32_e32 v0, 16, v0
	v_sub_f32_e32 v0, v0, v1
	v_mul_f32_e32 v0, v7, v0
	v_lshrrev_b32_e32 v14, 16, v0
.LBB552_70:
	s_or_b64 exec, exec, s[6:7]
	v_mov_b32_e32 v0, 0
	v_mov_b32_e32 v1, 0
	s_and_saveexec_b64 s[0:1], s[2:3]
	s_cbranch_execz .LBB552_72
; %bb.71:
	v_lshlrev_b32_e32 v10, 8, v10
	v_mov_b32_e32 v11, 0
	v_lshl_add_u64 v[10:11], v[4:5], 0, v[10:11]
	global_load_ushort v1, v[10:11], off
	s_waitcnt vmcnt(0)
	v_lshlrev_b32_e32 v1, 16, v1
	v_sub_f32_e32 v1, v1, v2
	v_mul_f32_e32 v1, v13, v1
	v_lshrrev_b32_e32 v1, 16, v1
.LBB552_72:
	s_or_b64 exec, exec, s[0:1]
	s_and_saveexec_b64 s[0:1], s[4:5]
	s_cbranch_execz .LBB552_74
; %bb.73:
	v_lshlrev_b32_e32 v10, 8, v12
	v_mov_b32_e32 v11, 0
	v_lshl_add_u64 v[4:5], v[4:5], 0, v[10:11]
	global_load_ushort v0, v[4:5], off
	s_waitcnt vmcnt(0)
	v_lshlrev_b32_e32 v0, 16, v0
	v_sub_f32_e32 v0, v0, v3
	v_mul_f32_e32 v0, v8, v0
	v_lshrrev_b32_e32 v0, 16, v0
.LBB552_74:
	s_or_b64 exec, exec, s[0:1]
	s_mov_b32 s0, 0x5040100
	v_lshlrev_b32_e32 v2, 1, v34
	v_perm_b32 v1, v0, v1, s0
	v_perm_b32 v0, v14, v15, s0
	v_lshl_or_b32 v2, v6, 5, v2
	ds_write_b64 v2, v[0:1] offset:38912
	s_waitcnt lgkmcnt(0)
	s_barrier
.LBB552_75:
	s_endpgm
	.section	.rodata,"a",@progbits
	.p2align	6, 0x0
	.amdhsa_kernel _ZN12_GLOBAL__N_139chunk_gated_delta_rule_fwd_h_hip_kernelILi16ELb0ELb0ELb0ELb1ELb1ELb0ELb1ELb1EEEvPK12hip_bfloat16S3_S3_PKfS5_PKvPS1_S8_PvPKiSB_iiiiilll
		.amdhsa_group_segment_fixed_size 40960
		.amdhsa_private_segment_fixed_size 0
		.amdhsa_kernarg_size 136
		.amdhsa_user_sgpr_count 2
		.amdhsa_user_sgpr_dispatch_ptr 0
		.amdhsa_user_sgpr_queue_ptr 0
		.amdhsa_user_sgpr_kernarg_segment_ptr 1
		.amdhsa_user_sgpr_dispatch_id 0
		.amdhsa_user_sgpr_kernarg_preload_length 0
		.amdhsa_user_sgpr_kernarg_preload_offset 0
		.amdhsa_user_sgpr_private_segment_size 0
		.amdhsa_uses_dynamic_stack 0
		.amdhsa_enable_private_segment 0
		.amdhsa_system_sgpr_workgroup_id_x 1
		.amdhsa_system_sgpr_workgroup_id_y 1
		.amdhsa_system_sgpr_workgroup_id_z 0
		.amdhsa_system_sgpr_workgroup_info 0
		.amdhsa_system_vgpr_workitem_id 0
		.amdhsa_next_free_vgpr 116
		.amdhsa_next_free_sgpr 58
		.amdhsa_accum_offset 108
		.amdhsa_reserve_vcc 1
		.amdhsa_float_round_mode_32 0
		.amdhsa_float_round_mode_16_64 0
		.amdhsa_float_denorm_mode_32 3
		.amdhsa_float_denorm_mode_16_64 3
		.amdhsa_dx10_clamp 1
		.amdhsa_ieee_mode 1
		.amdhsa_fp16_overflow 0
		.amdhsa_tg_split 0
		.amdhsa_exception_fp_ieee_invalid_op 0
		.amdhsa_exception_fp_denorm_src 0
		.amdhsa_exception_fp_ieee_div_zero 0
		.amdhsa_exception_fp_ieee_overflow 0
		.amdhsa_exception_fp_ieee_underflow 0
		.amdhsa_exception_fp_ieee_inexact 0
		.amdhsa_exception_int_div_zero 0
	.end_amdhsa_kernel
	.section	.text._ZN12_GLOBAL__N_139chunk_gated_delta_rule_fwd_h_hip_kernelILi16ELb0ELb0ELb0ELb1ELb1ELb0ELb1ELb1EEEvPK12hip_bfloat16S3_S3_PKfS5_PKvPS1_S8_PvPKiSB_iiiiilll,"axG",@progbits,_ZN12_GLOBAL__N_139chunk_gated_delta_rule_fwd_h_hip_kernelILi16ELb0ELb0ELb0ELb1ELb1ELb0ELb1ELb1EEEvPK12hip_bfloat16S3_S3_PKfS5_PKvPS1_S8_PvPKiSB_iiiiilll,comdat
.Lfunc_end552:
	.size	_ZN12_GLOBAL__N_139chunk_gated_delta_rule_fwd_h_hip_kernelILi16ELb0ELb0ELb0ELb1ELb1ELb0ELb1ELb1EEEvPK12hip_bfloat16S3_S3_PKfS5_PKvPS1_S8_PvPKiSB_iiiiilll, .Lfunc_end552-_ZN12_GLOBAL__N_139chunk_gated_delta_rule_fwd_h_hip_kernelILi16ELb0ELb0ELb0ELb1ELb1ELb0ELb1ELb1EEEvPK12hip_bfloat16S3_S3_PKfS5_PKvPS1_S8_PvPKiSB_iiiiilll
                                        ; -- End function
	.section	.AMDGPU.csdata,"",@progbits
; Kernel info:
; codeLenInByte = 7008
; NumSgprs: 64
; NumVgprs: 106
; NumAgprs: 8
; TotalNumVgprs: 116
; ScratchSize: 0
; MemoryBound: 0
; FloatMode: 240
; IeeeMode: 1
; LDSByteSize: 40960 bytes/workgroup (compile time only)
; SGPRBlocks: 7
; VGPRBlocks: 14
; NumSGPRsForWavesPerEU: 64
; NumVGPRsForWavesPerEU: 116
; AccumOffset: 108
; Occupancy: 1
; WaveLimiterHint : 1
; COMPUTE_PGM_RSRC2:SCRATCH_EN: 0
; COMPUTE_PGM_RSRC2:USER_SGPR: 2
; COMPUTE_PGM_RSRC2:TRAP_HANDLER: 0
; COMPUTE_PGM_RSRC2:TGID_X_EN: 1
; COMPUTE_PGM_RSRC2:TGID_Y_EN: 1
; COMPUTE_PGM_RSRC2:TGID_Z_EN: 0
; COMPUTE_PGM_RSRC2:TIDIG_COMP_CNT: 0
; COMPUTE_PGM_RSRC3_GFX90A:ACCUM_OFFSET: 26
; COMPUTE_PGM_RSRC3_GFX90A:TG_SPLIT: 0
	.section	.text._ZN12_GLOBAL__N_139chunk_gated_delta_rule_fwd_h_hip_kernelILi16ELb1ELb1ELb1ELb0ELb1ELb0ELb1ELb1EEEvPK12hip_bfloat16S3_S3_PKfS5_PKvPS1_S8_PvPKiSB_iiiiilll,"axG",@progbits,_ZN12_GLOBAL__N_139chunk_gated_delta_rule_fwd_h_hip_kernelILi16ELb1ELb1ELb1ELb0ELb1ELb0ELb1ELb1EEEvPK12hip_bfloat16S3_S3_PKfS5_PKvPS1_S8_PvPKiSB_iiiiilll,comdat
	.globl	_ZN12_GLOBAL__N_139chunk_gated_delta_rule_fwd_h_hip_kernelILi16ELb1ELb1ELb1ELb0ELb1ELb0ELb1ELb1EEEvPK12hip_bfloat16S3_S3_PKfS5_PKvPS1_S8_PvPKiSB_iiiiilll ; -- Begin function _ZN12_GLOBAL__N_139chunk_gated_delta_rule_fwd_h_hip_kernelILi16ELb1ELb1ELb1ELb0ELb1ELb0ELb1ELb1EEEvPK12hip_bfloat16S3_S3_PKfS5_PKvPS1_S8_PvPKiSB_iiiiilll
	.p2align	8
	.type	_ZN12_GLOBAL__N_139chunk_gated_delta_rule_fwd_h_hip_kernelILi16ELb1ELb1ELb1ELb0ELb1ELb0ELb1ELb1EEEvPK12hip_bfloat16S3_S3_PKfS5_PKvPS1_S8_PvPKiSB_iiiiilll,@function
_ZN12_GLOBAL__N_139chunk_gated_delta_rule_fwd_h_hip_kernelILi16ELb1ELb1ELb1ELb0ELb1ELb0ELb1ELb1EEEvPK12hip_bfloat16S3_S3_PKfS5_PKvPS1_S8_PvPKiSB_iiiiilll: ; @_ZN12_GLOBAL__N_139chunk_gated_delta_rule_fwd_h_hip_kernelILi16ELb1ELb1ELb1ELb0ELb1ELb0ELb1ELb1EEEvPK12hip_bfloat16S3_S3_PKfS5_PKvPS1_S8_PvPKiSB_iiiiilll
; %bb.0:
	s_load_dwordx4 s[20:23], s[0:1], 0x5c
	s_load_dwordx4 s[24:27], s[0:1], 0x70
	s_abs_i32 s6, s3
	s_ashr_i32 s5, s3, 31
	v_and_b32_e32 v56, 15, v0
	s_waitcnt lgkmcnt(0)
	s_abs_i32 s4, s21
	v_cvt_f32_u32_e32 v1, s4
	s_sub_i32 s8, 0, s4
	s_ashr_i32 s7, s21, 31
	s_xor_b32 s5, s5, s7
	v_rcp_iflag_f32_e32 v1, v1
	v_bfe_u32 v55, v0, 4, 2
	v_mov_b32_e32 v45, 0
	v_lshlrev_b32_e32 v57, 3, v0
	v_mul_f32_e32 v1, 0x4f7ffffe, v1
	v_cvt_u32_f32_e32 v1, v1
	s_nop 0
	v_readfirstlane_b32 s9, v1
	s_mul_i32 s8, s8, s9
	s_mul_hi_u32 s8, s9, s8
	s_add_i32 s9, s9, s8
	s_mul_hi_u32 s8, s6, s9
	s_mul_i32 s9, s8, s4
	s_sub_i32 s6, s6, s9
	s_add_i32 s10, s8, 1
	s_sub_i32 s9, s6, s4
	s_cmp_ge_u32 s6, s4
	s_cselect_b32 s8, s10, s8
	s_cselect_b32 s6, s9, s6
	s_add_i32 s9, s8, 1
	s_cmp_ge_u32 s6, s4
	s_cselect_b32 s6, s9, s8
	s_xor_b32 s6, s6, s5
	s_add_i32 s8, s20, 63
	s_sub_i32 s55, s6, s5
	s_ashr_i32 s9, s8, 31
	s_mul_i32 s12, s55, s21
	s_sub_i32 s53, s3, s12
	s_lshr_b32 s3, s9, 26
	s_add_i32 s8, s8, s3
	s_abs_i32 s3, s22
	v_cvt_f32_u32_e32 v1, s3
	s_ashr_i32 s54, s20, 31
	s_lshr_b32 s5, s54, 26
	s_add_i32 s5, s20, s5
	v_rcp_iflag_f32_e32 v1, v1
	s_ashr_i32 s58, s22, 31
	s_ashr_i32 s56, s5, 6
	s_xor_b32 s5, s7, s58
	v_mul_f32_e32 v1, 0x4f7ffffe, v1
	v_cvt_u32_f32_e32 v1, v1
	s_sub_i32 s6, 0, s3
	s_ashr_i32 s28, s8, 6
	s_lshl_b32 s2, s2, 4
	v_readfirstlane_b32 s7, v1
	s_mul_i32 s6, s6, s7
	s_mul_hi_u32 s6, s7, s6
	s_add_i32 s7, s7, s6
	s_mul_hi_u32 s6, s4, s7
	s_mul_i32 s7, s6, s3
	s_sub_i32 s4, s4, s7
	s_add_i32 s7, s6, 1
	s_sub_i32 s8, s4, s3
	s_cmp_ge_u32 s4, s3
	s_cselect_b32 s6, s7, s6
	s_cselect_b32 s4, s8, s4
	s_add_i32 s7, s6, 1
	s_cmp_ge_u32 s4, s3
	s_cselect_b32 s3, s7, s6
	s_xor_b32 s3, s3, s5
	s_sub_i32 s3, s3, s5
	s_abs_i32 s13, s3
	v_cvt_f32_u32_e32 v1, s13
	s_sub_i32 s15, 0, s13
	s_abs_i32 s14, s53
	s_xor_b32 s3, s53, s3
	v_rcp_iflag_f32_e32 v2, v1
	s_ashr_i32 s3, s3, 31
	s_load_dwordx8 s[4:11], s[0:1], 0x28
	v_lshrrev_b32_e32 v1, 6, v0
	v_mul_f32_e32 v2, 0x4f7ffffe, v2
	v_cvt_u32_f32_e32 v2, v2
	v_or_b32_e32 v46, s2, v56
	v_lshlrev_b32_e32 v54, 4, v1
	v_lshlrev_b32_e32 v42, 7, v46
	v_readfirstlane_b32 s16, v2
	s_mul_i32 s15, s15, s16
	s_mul_hi_u32 s15, s16, s15
	s_add_i32 s16, s16, s15
	s_mul_hi_u32 s15, s14, s16
	s_mul_i32 s16, s15, s13
	s_sub_i32 s14, s14, s16
	s_add_i32 s16, s15, 1
	s_sub_i32 s17, s14, s13
	s_cmp_ge_u32 s14, s13
	s_cselect_b32 s15, s16, s15
	s_cselect_b32 s14, s17, s14
	s_add_i32 s16, s15, 1
	s_cmp_ge_u32 s14, s13
	s_cselect_b32 s13, s16, s15
	s_xor_b32 s13, s13, s3
	s_sub_i32 s59, s13, s3
	s_ashr_i32 s3, s55, 31
	s_ashr_i32 s57, s53, 31
	s_mul_hi_i32 s13, s55, s21
	s_add_u32 s42, s12, s53
	s_addc_u32 s43, s13, s57
	s_lshl_b64 s[34:35], s[42:43], 15
	s_waitcnt lgkmcnt(0)
	s_add_u32 s4, s4, s34
	v_lshl_or_b32 v59, v55, 2, v54
	s_addc_u32 s5, s5, s35
	v_ashrrev_i32_e32 v43, 31, v42
	v_lshl_add_u64 v[2:3], v[42:43], 1, s[4:5]
	v_lshlrev_b32_e32 v44, 1, v59
	v_lshl_add_u64 v[2:3], v[2:3], 0, v[44:45]
	global_load_dwordx2 v[4:5], v[2:3], off
	global_load_dwordx2 v[8:9], v[2:3], off offset:128
	s_load_dwordx8 s[12:19], s[0:1], 0x0
	s_load_dwordx2 s[36:37], s[0:1], 0x80
	v_and_b32_e32 v45, 63, v0
	v_lshrrev_b32_e32 v58, 3, v45
	v_or_b32_e32 v60, 64, v59
	s_mul_i32 s33, s55, s25
	s_mul_hi_u32 s48, s55, s24
	s_mul_i32 s40, s55, s24
	s_mul_i32 s60, s55, s28
	;; [unrolled: 1-line block ×3, first 2 shown]
	s_mul_hi_u32 s50, s53, s26
	s_mul_i32 s52, s3, s24
	s_mul_i32 s51, s57, s26
	s_mul_hi_u32 s61, s42, s20
	s_mul_i32 s4, s42, s20
	s_mul_i32 s43, s43, s20
	s_cmp_lt_i32 s20, 64
	s_mul_i32 s38, s53, s26
	s_waitcnt vmcnt(1)
	v_and_b32_e32 v3, 0xffff0000, v4
	v_lshlrev_b32_e32 v2, 16, v4
	v_and_b32_e32 v61, 0xffff0000, v5
	v_lshlrev_b32_e32 v4, 16, v5
	s_waitcnt vmcnt(0)
	v_and_b32_e32 v7, 0xffff0000, v8
	v_lshlrev_b32_e32 v6, 16, v8
	v_and_b32_e32 v62, 0xffff0000, v9
	v_lshlrev_b32_e32 v8, 16, v9
	s_cbranch_scc1 .LBB553_3
; %bb.1:
	s_add_i32 s5, s61, s43
	s_lshl_b64 s[0:1], s[4:5], 8
	v_and_b32_e32 v64, 56, v57
	s_waitcnt lgkmcnt(0)
	s_add_u32 s24, s14, s0
	v_lshl_or_b32 v63, v1, 3, v58
	v_lshlrev_b32_e32 v5, 1, v64
	s_addc_u32 s0, s15, s1
	v_lshl_or_b32 v65, v63, 8, v5
	s_and_b32 s25, s0, 0xffff
	s_mov_b32 s27, 0x20000
	s_movk_i32 s26, 0x4000
	s_movk_i32 s0, 0x80
	v_or_b32_e32 v66, 0x2000, v65
	buffer_load_dwordx4 v[10:13], v65, s[24:27], 0 offen
	buffer_load_dwordx4 v[14:17], v65, s[24:27], s0 offen
	;; [unrolled: 1-line block ×4, first 2 shown]
	v_lshlrev_b32_e32 v9, 3, v63
	v_and_or_b32 v27, v0, 7, v9
	v_and_b32_e32 v9, 0x78, v9
	v_lshlrev_b32_e32 v27, 4, v27
	v_xor_b32_e32 v67, v27, v9
	v_mul_lo_u32 v26, v63, s23
	v_or_b32_e32 v68, 0x1000, v67
	v_xor_b32_e32 v9, 8, v67
	s_cmpk_eq_i32 s23, 0x80
	s_mov_b32 s62, s22
	v_xor_b32_e32 v27, 8, v68
	s_cselect_b64 s[0:1], -1, 0
	s_cmpk_lg_i32 s23, 0x80
	s_waitcnt vmcnt(3)
	ds_write_b64 v67, v[10:11] offset:16384
	ds_write_b64 v9, v[12:13] offset:16384
	s_waitcnt vmcnt(2)
	ds_write_b64 v67, v[14:15] offset:24576
	ds_write_b64 v9, v[16:17] offset:24576
	s_waitcnt vmcnt(1)
	ds_write_b64 v67, v[18:19] offset:20480
	ds_write_b64 v27, v[20:21] offset:16384
	s_waitcnt vmcnt(0)
	ds_write_b64 v67, v[22:23] offset:28672
	ds_write_b64 v27, v[24:25] offset:24576
	v_lshl_add_u32 v9, v26, 1, v64
	s_cbranch_scc0 .LBB553_29
; %bb.2:
	v_lshlrev_b32_e32 v11, 1, v9
	v_add_lshl_u32 v10, v9, s23, 1
	s_lshl_b32 s26, s23, 7
	v_lshl_or_b32 v5, v63, 9, v5
	s_cbranch_execz .LBB553_30
	s_branch .LBB553_31
.LBB553_3:
	v_mov_b32_e32 v9, v62
	v_mov_b32_e32 v5, v61
.LBB553_4:
	s_lshl_b32 s30, s56, 6
	s_sub_i32 s31, s20, s30
	s_cmp_gt_i32 s31, 0
	s_cbranch_scc0 .LBB553_76
; %bb.5:
	s_ashr_i32 s3, s30, 31
	s_cmpk_lg_i32 s23, 0x80
	s_cselect_b64 s[26:27], -1, 0
	s_and_b64 vcc, exec, s[26:27]
	s_cbranch_vccz .LBB553_7
; %bb.6:
	s_mul_i32 s1, s55, s20
	s_mul_hi_i32 s0, s55, s20
	s_add_u32 s1, s1, s30
	s_addc_u32 s0, s0, s3
	s_mul_i32 s5, s1, s58
	s_mul_hi_u32 s24, s1, s22
	s_add_i32 s5, s24, s5
	s_mul_i32 s0, s0, s22
	s_add_i32 s5, s5, s0
	s_mul_i32 s1, s1, s22
	s_ashr_i32 s0, s59, 31
	s_add_u32 s28, s1, s59
	s_addc_u32 s29, s5, s0
	s_cbranch_execz .LBB553_8
	s_branch .LBB553_9
.LBB553_7:
                                        ; implicit-def: $sgpr28_sgpr29
.LBB553_8:
	s_mul_hi_i32 s0, s55, s22
	s_mul_i32 s55, s55, s22
	s_ashr_i32 s1, s59, 31
	s_add_u32 s5, s55, s59
	s_addc_u32 s0, s0, s1
	s_mul_i32 s1, s5, s54
	s_mul_hi_u32 s22, s5, s20
	s_add_i32 s1, s22, s1
	s_mul_i32 s0, s0, s20
	s_add_i32 s1, s1, s0
	s_mul_i32 s5, s5, s20
	s_add_u32 s28, s5, s30
	s_addc_u32 s29, s1, s3
.LBB553_9:
	s_mul_i32 s0, s42, s54
	s_add_i32 s0, s61, s0
	s_add_i32 s5, s60, s56
	;; [unrolled: 1-line block ×3, first 2 shown]
	s_add_u32 s0, s4, s30
	s_addc_u32 s1, s1, s3
	s_mov_b32 s3, 0x7060302
	v_lshlrev_b32_e32 v14, 3, v56
	s_lshl_b64 s[24:25], s[0:1], 8
	v_perm_b32 v11, v5, v4, s3
	v_perm_b32 v10, v3, v2, s3
	;; [unrolled: 1-line block ×4, first 2 shown]
	v_lshlrev_b32_e32 v48, 2, v56
	v_lshl_or_b32 v14, v59, 5, v14
	s_waitcnt lgkmcnt(0)
	s_add_u32 s0, s14, s24
	ds_write2st64_b64 v14, v[10:11], v[12:13] offset0:72 offset1:76
	v_xor_b32_e32 v14, v59, v48
	v_lshlrev_b32_e32 v15, 8, v56
	s_addc_u32 s1, s15, s25
	v_lshl_or_b32 v14, v14, 1, v15
	s_mul_hi_i32 s3, s5, s21
	s_mul_i32 s5, s5, s21
	ds_write_b64 v14, v[10:11] offset:32768
	v_xor_b32_e32 v10, v60, v48
	s_add_u32 s4, s5, s53
	v_lshl_or_b32 v10, v10, 1, v15
	s_addc_u32 s5, s3, s57
	v_lshlrev_b32_e32 v11, 1, v56
	ds_write_b64 v10, v[12:13] offset:32768
	v_lshrrev_b32_e32 v10, 4, v0
	s_ashr_i32 s3, s2, 31
	s_lshl_b64 s[4:5], s[4:5], 15
	v_or_b32_e32 v12, 1, v11
	s_add_u32 s4, s6, s4
	v_xor_b32_e32 v11, v10, v11
	v_xor_b32_e32 v12, v12, v10
	v_lshlrev_b32_e32 v14, 8, v10
	s_addc_u32 s5, s7, s5
	s_lshl_b64 s[2:3], s[2:3], 8
	v_lshl_or_b32 v10, v11, 3, v14
	v_lshl_or_b32 v12, v12, 3, v14
	s_waitcnt lgkmcnt(0)
	s_barrier
	s_add_u32 s2, s4, s2
	ds_read_b64 v[10:11], v10 offset:32768
	ds_read_b64 v[12:13], v12 offset:32768
	s_addc_u32 s3, s5, s3
	v_mov_b32_e32 v15, 0
	s_cmp_lg_u32 s31, 64
	v_lshl_add_u64 v[16:17], s[2:3], 0, v[14:15]
	v_lshlrev_b32_e32 v14, 4, v56
	s_cselect_b64 s[14:15], -1, 0
	v_lshl_or_b32 v47, v1, 3, v58
	s_mov_b32 s4, 0
	v_lshl_add_u64 v[14:15], v[16:17], 0, v[14:15]
	s_waitcnt vmcnt(1)
	v_or_b32_e32 v27, 32, v47
	v_and_b32_e32 v26, 56, v57
	s_and_b64 vcc, exec, s[14:15]
	s_waitcnt lgkmcnt(0)
	global_store_dwordx4 v[14:15], v[10:13], off
	s_cbranch_vccz .LBB553_15
; %bb.10:
	s_mov_b32 s6, s4
	s_mov_b32 s7, s4
	;; [unrolled: 1-line block ×3, first 2 shown]
	v_mov_b64_e32 v[16:17], s[6:7]
	v_mov_b64_e32 v[14:15], s[4:5]
	;; [unrolled: 1-line block ×3, first 2 shown]
	v_cmp_gt_i32_e32 vcc, s31, v47
	v_mov_b64_e32 v[12:13], v[16:17]
	s_and_saveexec_b64 s[2:3], vcc
	s_cbranch_execz .LBB553_12
; %bb.11:
	v_lshlrev_b32_e32 v10, 8, v47
	v_mov_b32_e32 v11, 0
	v_lshl_add_u64 v[12:13], s[0:1], 0, v[10:11]
	v_lshlrev_b32_e32 v10, 1, v26
	v_lshl_add_u64 v[18:19], v[12:13], 0, v[10:11]
	global_load_dwordx4 v[14:17], v[18:19], off
	global_load_dwordx4 v[10:13], v[18:19], off offset:128
.LBB553_12:
	s_or_b64 exec, exec, s[2:3]
	s_mov_b32 s6, s4
	s_mov_b32 s7, s4
	;; [unrolled: 1-line block ×3, first 2 shown]
	v_mov_b64_e32 v[24:25], s[6:7]
	v_mov_b64_e32 v[22:23], s[4:5]
	;; [unrolled: 1-line block ×3, first 2 shown]
	v_cmp_gt_i32_e32 vcc, s31, v27
	v_lshlrev_b32_e32 v28, 7, v27
	v_mov_b64_e32 v[20:21], v[24:25]
	s_and_saveexec_b64 s[2:3], vcc
	s_cbranch_execz .LBB553_14
; %bb.13:
	v_lshlrev_b32_e32 v18, 1, v28
	v_mov_b32_e32 v19, 0
	v_lshl_add_u64 v[20:21], s[0:1], 0, v[18:19]
	v_lshlrev_b32_e32 v18, 1, v26
	v_lshl_add_u64 v[30:31], v[20:21], 0, v[18:19]
	global_load_dwordx4 v[22:25], v[30:31], off
	global_load_dwordx4 v[18:21], v[30:31], off offset:128
.LBB553_14:
	s_or_b64 exec, exec, s[2:3]
	v_lshrrev_b32_e32 v29, 3, v26
	v_lshlrev_b32_e32 v30, 3, v47
	v_or_b32_e32 v29, v30, v29
	v_lshlrev_b32_e32 v29, 4, v29
	v_and_b32_e32 v30, 0x78, v30
	v_xor_b32_e32 v29, v29, v30
	s_branch .LBB553_17
.LBB553_15:
                                        ; implicit-def: $vgpr29
                                        ; implicit-def: $vgpr28
                                        ; implicit-def: $vgpr14_vgpr15_vgpr16_vgpr17
                                        ; implicit-def: $vgpr10_vgpr11_vgpr12_vgpr13
                                        ; implicit-def: $vgpr22_vgpr23_vgpr24_vgpr25
                                        ; implicit-def: $vgpr18_vgpr19_vgpr20_vgpr21
	s_cbranch_execz .LBB553_17
; %bb.16:
	s_waitcnt vmcnt(0)
	v_lshlrev_b32_e32 v10, 1, v26
	v_lshl_or_b32 v28, v47, 8, v10
	s_and_b32 s1, s1, 0xffff
	s_mov_b32 s3, 0x20000
	s_movk_i32 s2, 0x4000
	v_lshl_or_b32 v29, v27, 8, v10
	s_movk_i32 s4, 0x80
	buffer_load_dwordx4 v[14:17], v28, s[0:3], 0 offen
	buffer_load_dwordx4 v[10:13], v28, s[0:3], s4 offen
	;; [unrolled: 1-line block ×4, first 2 shown]
	v_lshrrev_b32_e32 v28, 3, v26
	v_lshlrev_b32_e32 v29, 3, v47
	v_or_b32_e32 v28, v29, v28
	v_lshlrev_b32_e32 v28, 4, v28
	v_and_b32_e32 v29, 0x78, v29
	v_xor_b32_e32 v29, v28, v29
	v_lshlrev_b32_e32 v28, 7, v27
.LBB553_17:
	s_lshl_b64 s[0:1], s[28:29], 8
	s_add_u32 s4, s12, s0
	s_movk_i32 s0, 0x1000
	v_and_or_b32 v27, v28, s0, v29
	s_waitcnt vmcnt(1)
	ds_write_b64 v29, v[14:15] offset:16384
	v_xor_b32_e32 v14, 8, v29
	ds_write_b64 v14, v[16:17] offset:16384
	s_waitcnt vmcnt(0)
	ds_write_b64 v29, v[10:11] offset:24576
	ds_write_b64 v14, v[12:13] offset:24576
	;; [unrolled: 1-line block ×3, first 2 shown]
	v_xor_b32_e32 v10, 8, v27
	ds_write_b64 v10, v[24:25] offset:16384
	ds_write_b64 v27, v[18:19] offset:24576
	;; [unrolled: 1-line block ×3, first 2 shown]
	v_or_b32_e32 v10, v54, v56
	v_lshlrev_b32_e32 v10, 3, v10
	v_lshrrev_b32_e32 v12, 5, v45
	s_movk_i32 s6, 0xf8
	v_and_or_b32 v12, v10, s6, v12
	v_lshlrev_b32_e32 v49, 11, v1
	v_lshlrev_b32_e32 v20, 4, v12
	v_and_b32_e32 v21, 0x78, v10
	v_and_b32_e32 v22, 0x1000, v49
	v_lshlrev_b32_e32 v11, 2, v0
	v_xor_b32_e32 v10, v20, v21
	v_lshrrev_b32_e32 v12, 1, v45
	v_and_b32_e32 v11, 60, v11
	v_or_b32_e32 v10, v10, v22
	v_and_b32_e32 v23, 8, v12
	v_xor_b32_e32 v34, v10, v23
	v_lshl_or_b32 v10, v55, 6, v11
	v_lshlrev_b32_e32 v50, 1, v10
	v_or_b32_e32 v10, 32, v20
	v_xor_b32_e32 v10, v10, v21
	s_waitcnt lgkmcnt(0)
	s_barrier
	ds_read_b64 v[18:19], v34 offset:16384
	v_or_b32_e32 v10, v10, v22
	v_xor_b32_e32 v35, v10, v23
	v_or_b32_e32 v10, 64, v20
	v_xor_b32_e32 v10, v10, v21
	v_or_b32_e32 v10, v10, v22
	v_or_b32_e32 v20, 0x60, v20
	v_xor_b32_e32 v36, v10, v23
	ds_read2st64_b64 v[10:13], v50 offset0:72 offset1:73
	ds_read2st64_b64 v[14:17], v50 offset0:74 offset1:75
	v_xor_b32_e32 v24, v20, v21
	ds_read_b64 v[20:21], v35 offset:16384
	s_addc_u32 s5, s13, s1
	s_add_i32 s1, s48, s33
	s_waitcnt lgkmcnt(2)
	v_mfma_f32_16x16x16_bf16 a[0:3], v[18:19], v[10:11], 0
	s_add_i32 s0, s20, -1
	s_add_i32 s41, s1, s52
	s_add_i32 s1, s50, s49
	;; [unrolled: 1-line block ×3, first 2 shown]
	s_ashr_i32 s1, s0, 31
	s_mul_i32 s2, s0, s37
	s_mul_hi_u32 s3, s0, s36
	s_add_i32 s2, s3, s2
	s_mul_i32 s1, s1, s36
	v_or_b32_e32 v22, v24, v22
	s_add_i32 s1, s2, s1
	s_lshl_b64 s[2:3], s[40:41], 2
	v_xor_b32_e32 v51, v22, v23
	ds_read_b64 v[22:23], v36 offset:16384
	ds_read_b64 v[24:25], v51 offset:16384
	s_waitcnt lgkmcnt(2)
	v_mfma_f32_16x16x16_bf16 a[0:3], v[20:21], v[12:13], a[0:3]
	s_add_u32 s6, s18, s2
	s_addc_u32 s7, s19, s3
	s_lshl_b64 s[2:3], s[38:39], 2
	s_mul_i32 s0, s0, s36
	s_add_u32 s12, s6, s2
	s_addc_u32 s13, s7, s3
	s_lshl_b64 s[0:1], s[0:1], 2
	s_waitcnt lgkmcnt(1)
	v_mfma_f32_16x16x16_bf16 a[0:3], v[22:23], v[14:15], a[0:3]
	s_add_u32 s0, s12, s0
	s_addc_u32 s1, s13, s1
	s_load_dword s18, s[0:1], 0x0
	s_waitcnt lgkmcnt(0)
	v_mfma_f32_16x16x16_bf16 a[0:3], v[24:25], v[16:17], a[0:3]
	s_and_b64 vcc, exec, s[26:27]
	s_cbranch_vccz .LBB553_28
; %bb.18:
	v_lshlrev_b32_e32 v27, 1, v47
	s_and_b64 vcc, exec, s[14:15]
	s_cbranch_vccz .LBB553_44
; %bb.19:
	v_cmp_gt_i32_e32 vcc, s31, v27
	v_mov_b32_e32 v14, 0
	v_mov_b32_e32 v10, 0
	;; [unrolled: 1-line block ×5, first 2 shown]
	s_and_saveexec_b64 s[0:1], vcc
	s_cbranch_execz .LBB553_21
; %bb.20:
	v_mad_i64_i32 v[10:11], s[2:3], s23, v27, 0
	v_lshl_add_u64 v[10:11], v[10:11], 1, s[4:5]
	v_lshlrev_b32_e32 v12, 1, v26
	v_mov_b32_e32 v13, 0
	v_lshl_add_u64 v[10:11], v[10:11], 0, v[12:13]
	global_load_dwordx4 v[10:13], v[10:11], off
.LBB553_21:
	s_or_b64 exec, exec, s[0:1]
	v_or_b32_e32 v28, 1, v27
	v_cmp_gt_i32_e64 s[0:1], s31, v28
	v_mov_b32_e32 v15, 0
	v_mov_b32_e32 v16, 0
	;; [unrolled: 1-line block ×3, first 2 shown]
	s_and_saveexec_b64 s[2:3], s[0:1]
	s_cbranch_execz .LBB553_23
; %bb.22:
	v_mad_i64_i32 v[14:15], s[6:7], s23, v28, 0
	v_lshl_add_u64 v[14:15], v[14:15], 1, s[4:5]
	v_lshlrev_b32_e32 v16, 1, v26
	v_mov_b32_e32 v17, 0
	v_lshl_add_u64 v[14:15], v[14:15], 0, v[16:17]
	global_load_dwordx4 v[14:17], v[14:15], off
.LBB553_23:
	s_or_b64 exec, exec, s[2:3]
	v_mov_b32_e32 v25, 0
	v_mov_b32_e32 v18, 0
	;; [unrolled: 1-line block ×5, first 2 shown]
	s_and_saveexec_b64 s[2:3], vcc
	s_cbranch_execz .LBB553_25
; %bb.24:
	v_mad_i64_i32 v[18:19], s[6:7], s23, v27, 0
	v_lshl_add_u64 v[18:19], v[18:19], 1, s[4:5]
	v_lshlrev_b32_e32 v20, 1, v26
	v_mov_b32_e32 v21, 0
	v_lshl_add_u64 v[18:19], v[18:19], 0, v[20:21]
	global_load_dwordx4 v[18:21], v[18:19], off offset:128
.LBB553_25:
	s_or_b64 exec, exec, s[2:3]
	v_mov_b32_e32 v24, 0
	v_mov_b32_e32 v23, 0
	v_mov_b32_e32 v22, 0
	s_and_saveexec_b64 s[2:3], s[0:1]
	s_cbranch_execz .LBB553_27
; %bb.26:
	v_mad_i64_i32 v[22:23], s[0:1], s23, v28, 0
	v_lshl_add_u64 v[22:23], v[22:23], 1, s[4:5]
	v_lshlrev_b32_e32 v24, 1, v26
	v_mov_b32_e32 v25, 0
	v_lshl_add_u64 v[22:23], v[22:23], 0, v[24:25]
	global_load_dwordx4 v[22:25], v[22:23], off offset:128
.LBB553_27:
	s_or_b64 exec, exec, s[2:3]
	s_branch .LBB553_46
.LBB553_28:
                                        ; implicit-def: $vgpr13
                                        ; implicit-def: $vgpr17
                                        ; implicit-def: $vgpr21
                                        ; implicit-def: $vgpr25
	v_lshrrev_b32_e32 v45, 2, v45
	s_branch .LBB553_47
.LBB553_29:
                                        ; implicit-def: $vgpr10
                                        ; implicit-def: $vgpr11
                                        ; implicit-def: $sgpr26
	v_lshl_or_b32 v5, v63, 9, v5
.LBB553_30:
	v_or_b32_e32 v10, 0x100, v5
	s_movk_i32 s26, 0x4000
	v_mov_b32_e32 v11, v5
.LBB553_31:
	s_mul_hi_u32 s24, s22, s20
	s_mul_i32 s25, s58, s20
	s_add_i32 s24, s24, s25
	s_mul_i32 s25, s22, s20
	s_mul_i32 s27, s25, s3
	s_mul_hi_u32 s28, s25, s55
	s_add_i32 s27, s28, s27
	s_mul_i32 s24, s24, s55
	s_add_i32 s27, s27, s24
	s_mul_i32 s25, s25, s55
	s_ashr_i32 s63, s59, 31
	s_add_u32 s24, s25, s59
	s_addc_u32 s25, s27, s63
	s_lshl_b64 s[24:25], s[24:25], 8
	s_add_u32 s24, s12, s24
	s_addc_u32 s25, s13, s25
	s_and_b32 s25, s25, 0xffff
	s_mov_b32 s27, 0x20000
	s_movk_i32 s64, 0x80
	buffer_load_dwordx4 v[12:15], v11, s[24:27], 0 offen
	buffer_load_dwordx4 v[16:19], v11, s[24:27], s64 offen
	;; [unrolled: 1-line block ×4, first 2 shown]
	v_and_b32_e32 v10, 6, v0
	v_lshlrev_b32_e32 v28, 2, v56
	v_lshlrev_b32_e32 v29, 3, v56
	v_xor_b32_e32 v31, v63, v10
	v_and_b32_e32 v11, 1, v0
	s_mul_i32 s3, s3, s20
	s_mul_hi_u32 s24, s55, s20
	v_lshl_or_b32 v29, v59, 5, v29
	v_xor_b32_e32 v32, v59, v28
	v_lshlrev_b32_e32 v31, 2, v31
	v_or_b32_e32 v69, 0x9000, v29
	v_or_b32_e32 v70, 0x9800, v29
	v_lshlrev_b32_e32 v29, 1, v32
	v_xor_b32_e32 v32, 0x440, v31
	v_cmp_eq_u32_e32 vcc, 0, v11
	s_add_i32 s69, s24, s3
	s_add_i32 s3, s48, s33
	v_cndmask_b32_e32 v11, v32, v31, vcc
	s_add_i32 s24, s50, s49
	s_add_i32 s41, s3, s52
	s_mov_b32 s66, 0x1000504
	v_lshlrev_b32_e32 v30, 8, v56
	s_mov_b32 s26, 0x8000
	v_xor_b32_e32 v28, v60, v28
	v_lshl_or_b32 v10, v10, 10, v11
	s_add_i32 s39, s24, s51
	s_lshl_b64 s[24:25], s[40:41], 2
	s_mov_b32 s67, 0x3020706
	v_lshlrev_b32_e32 v28, 1, v28
	v_or3_b32 v71, v29, v30, s26
	v_xor_b32_e32 v11, 8, v10
	v_xor_b32_e32 v29, 24, v10
	;; [unrolled: 1-line block ×4, first 2 shown]
	s_add_u32 s3, s18, s24
	v_or3_b32 v72, v28, v30, s26
	v_xor_b32_e32 v28, 16, v10
	v_xor_b32_e32 v30, 32, v10
	;; [unrolled: 1-line block ×3, first 2 shown]
	v_add_u32_e32 v11, 0x80, v11
	v_add_u32_e32 v29, 0x80, v29
	;; [unrolled: 1-line block ×4, first 2 shown]
	s_addc_u32 s28, s19, s25
	s_lshl_b64 s[24:25], s[38:39], 2
	s_add_u32 s44, s3, s24
	s_movk_i32 s3, 0xf8
	s_addc_u32 s45, s28, s25
	v_ashrrev_i32_e32 v47, 31, v46
	s_lshl_b32 s30, s23, 7
	s_mov_b32 s65, 0
	s_mul_i32 s68, s55, s20
	s_mov_b32 s41, 0
	s_waitcnt vmcnt(1)
	v_perm_b32 v34, v12, v20, s66
	s_waitcnt vmcnt(0)
	v_perm_b32 v35, v16, v24, s66
	v_perm_b32 v12, v12, v20, s67
	;; [unrolled: 1-line block ×15, first 2 shown]
	ds_write2st64_b32 v10, v34, v35 offset1:32
	ds_write2st64_b32 v11, v12, v16 offset1:32
	ds_write2st64_b32 v28, v20, v24 offset0:1 offset1:33
	ds_write2st64_b32 v29, v13, v17 offset0:1 offset1:33
	;; [unrolled: 1-line block ×6, first 2 shown]
	v_or_b32_e32 v10, v54, v56
	v_lshlrev_b32_e32 v10, 3, v10
	v_lshrrev_b32_e32 v12, 5, v45
	v_and_or_b32 v12, v10, s3, v12
	v_lshlrev_b32_e32 v12, 4, v12
	v_lshlrev_b32_e32 v18, 11, v1
	v_and_b32_e32 v10, 0x78, v10
	v_or_b32_e32 v15, 32, v12
	v_and_b32_e32 v11, 0x1000, v18
	v_lshrrev_b32_e32 v19, 1, v0
	v_xor_b32_e32 v15, v15, v10
	v_and_b32_e32 v14, 8, v19
	v_or_b32_e32 v15, v15, v11
	v_xor_b32_e32 v13, v12, v10
	v_xor_b32_e32 v75, v15, v14
	v_or_b32_e32 v15, 64, v12
	v_or_b32_e32 v12, 0x60, v12
	v_xor_b32_e32 v15, v15, v10
	v_xor_b32_e32 v10, v12, v10
	v_or_b32_e32 v13, v13, v11
	v_or_b32_e32 v15, v15, v11
	;; [unrolled: 1-line block ×3, first 2 shown]
	v_xor_b32_e32 v73, v13, v14
	v_xor_b32_e32 v76, v15, v14
	;; [unrolled: 1-line block ×3, first 2 shown]
	v_lshrrev_b32_e32 v14, 4, v0
	v_lshlrev_b32_e32 v15, 1, v56
	s_ashr_i32 s3, s2, 31
	v_or_b32_e32 v16, 1, v15
	v_xor_b32_e32 v15, v14, v15
	s_lshl_b64 s[24:25], s[2:3], 8
	v_xor_b32_e32 v16, v16, v14
	v_lshlrev_b32_e32 v15, 3, v15
	v_lshlrev_b32_e32 v14, 8, v14
	v_lshlrev_b64 v[10:11], 1, v[46:47]
	s_add_u32 s24, s6, s24
	v_or3_b32 v47, v15, v14, s26
	v_lshlrev_b32_e32 v15, 3, v16
	s_addc_u32 s25, s7, s25
	v_or3_b32 v79, v15, v14, s26
	v_mov_b32_e32 v15, 0
	v_lshl_add_u64 v[16:17], s[24:25], 0, v[14:15]
	v_lshlrev_b32_e32 v14, 4, v56
	s_movk_i32 s3, 0xff
	v_lshlrev_b32_e32 v23, 3, v1
	v_and_b32_e32 v19, 24, v19
	v_lshl_add_u64 v[48:49], v[16:17], 0, v[14:15]
	v_and_b32_e32 v16, 8, v0
	v_cmp_lt_u32_e32 vcc, s3, v0
	v_xor_b32_e32 v24, v23, v19
	v_or_b32_e32 v25, 0x440, v24
	v_cndmask_b32_e64 v22, 0, 1, vcc
	v_cmp_eq_u32_e32 vcc, 0, v16
	v_and_b32_e32 v14, 7, v0
	v_lshlrev_b32_e32 v17, 3, v14
	v_cndmask_b32_e32 v16, v25, v24, vcc
	v_lshlrev_b32_e32 v14, 7, v14
	v_or_b32_e32 v16, v16, v18
	v_xad_u32 v80, v16, v17, v14
	v_or_b32_e32 v16, 32, v19
	v_xor_b32_e32 v16, v23, v16
	v_or_b32_e32 v24, 0x440, v16
	v_cndmask_b32_e32 v16, v24, v16, vcc
	v_or_b32_e32 v16, v16, v18
	v_xad_u32 v81, v16, v17, v14
	v_or_b32_e32 v16, 64, v19
	v_xor_b32_e32 v16, v23, v16
	v_xor_b32_e32 v24, 0x440, v16
	v_cndmask_b32_e32 v16, v24, v16, vcc
	v_or_b32_e32 v16, v16, v18
	v_xad_u32 v82, v16, v17, v14
	v_or_b32_e32 v16, 0x60, v19
	v_xor_b32_e32 v16, v23, v16
	v_xor_b32_e32 v19, 0x440, v16
	v_and_b32_e32 v13, 0x78, v57
	v_cndmask_b32_e32 v16, v19, v16, vcc
	v_lshl_or_b32 v13, v55, 7, v13
	v_or_b32_e32 v16, v16, v18
	v_or_b32_e32 v74, 0x9000, v13
	;; [unrolled: 1-line block ×3, first 2 shown]
	v_lshl_add_u64 v[12:13], s[16:17], 0, v[10:11]
	v_lshl_add_u64 v[10:11], s[8:9], 0, v[10:11]
	v_lshlrev_b32_e32 v20, 1, v9
	v_add_lshl_u32 v9, v9, s23, 1
	v_or_b32_e32 v21, 0x100, v5
	v_lshlrev_b32_e32 v22, 13, v22
	v_xad_u32 v83, v16, v17, v14
	v_lshlrev_b32_e32 v14, 8, v59
	v_cndmask_b32_e64 v84, v20, v5, s[0:1]
	v_cndmask_b32_e64 v85, v9, v21, s[0:1]
	v_lshl_add_u64 v[50:51], v[12:13], 0, v[14:15]
	v_lshl_add_u64 v[52:53], v[10:11], 0, v[14:15]
	s_mov_b32 s3, 0x7060302
	s_movk_i32 s26, 0x4000
	v_add_u32_e32 v86, v22, v80
	v_add_u32_e32 v87, v22, v81
	;; [unrolled: 1-line block ×4, first 2 shown]
	s_waitcnt lgkmcnt(0)
	s_barrier
.LBB553_32:                             ; =>This Inner Loop Header: Depth=1
	s_add_i32 s39, s41, 1
	s_cmp_lt_i32 s39, s56
	s_mov_b64 s[28:29], 0
	s_cselect_b64 s[46:47], -1, 0
	s_cmp_ge_i32 s39, s56
	s_mov_b64 s[24:25], 0
	s_cbranch_scc1 .LBB553_34
; %bb.33:                               ;   in Loop: Header=BB553_32 Depth=1
	s_add_i32 s0, s65, 64
	s_add_u32 s0, s4, s0
	s_addc_u32 s1, s5, 0
	s_lshl_b64 s[0:1], s[0:1], 8
	s_add_u32 s24, s14, s0
	s_addc_u32 s25, s15, s1
.LBB553_34:                             ;   in Loop: Header=BB553_32 Depth=1
	v_cndmask_b32_e64 v5, 0, 1, s[46:47]
	v_cmp_ne_u32_e64 s[0:1], 1, v5
	s_andn2_b64 vcc, exec, s[46:47]
	s_cbranch_vccnz .LBB553_36
; %bb.35:                               ;   in Loop: Header=BB553_32 Depth=1
	s_add_i32 s28, s65, 64
	s_add_u32 s28, s68, s28
	s_addc_u32 s29, s69, 0
	s_mul_i32 s31, s28, s58
	s_mul_hi_u32 s46, s28, s62
	s_add_i32 s31, s46, s31
	s_mul_i32 s29, s29, s62
	s_add_i32 s31, s31, s29
	s_mul_i32 s28, s28, s62
	s_add_u32 s28, s28, s59
	s_addc_u32 s29, s31, s63
	s_lshl_b64 s[28:29], s[28:29], 8
	s_add_u32 s28, s12, s28
	s_addc_u32 s29, s13, s29
.LBB553_36:                             ;   in Loop: Header=BB553_32 Depth=1
	v_perm_b32 v11, v61, v4, s3
	v_perm_b32 v10, v3, v2, s3
	;; [unrolled: 1-line block ×4, first 2 shown]
	ds_write_b64 v69, v[10:11]
	ds_write_b64 v70, v[12:13]
	;; [unrolled: 1-line block ×4, first 2 shown]
	s_waitcnt lgkmcnt(0)
	s_barrier
	ds_read_b64 v[18:19], v73 offset:16384
	ds_read_b64 v[20:21], v75 offset:16384
	ds_read2st64_b64 v[10:13], v74 offset1:1
	ds_read2st64_b64 v[14:17], v74 offset0:2 offset1:3
	ds_read_b64 v[22:23], v76 offset:16384
	s_waitcnt lgkmcnt(2)
	v_mfma_f32_16x16x16_bf16 a[0:3], v[18:19], v[10:11], 0
	ds_read_b64 v[10:11], v77 offset:16384
	s_add_i32 s31, s65, 63
	s_mul_i32 s46, s31, s37
	v_mfma_f32_16x16x16_bf16 a[0:3], v[20:21], v[12:13], a[0:3]
	s_mul_hi_u32 s47, s31, s36
	s_add_i32 s47, s47, s46
	s_mul_i32 s46, s31, s36
	s_waitcnt lgkmcnt(1)
	v_mfma_f32_16x16x16_bf16 a[0:3], v[22:23], v[14:15], a[0:3]
	s_lshl_b64 s[46:47], s[46:47], 2
	s_add_u32 s46, s44, s46
	s_addc_u32 s47, s45, s47
	s_waitcnt lgkmcnt(0)
	v_mfma_f32_16x16x16_bf16 a[0:3], v[10:11], v[16:17], a[0:3]
	s_and_b64 vcc, exec, s[0:1]
	v_mov_b32_e32 v90, 0
	v_mov_b32_e32 v9, 0
	;; [unrolled: 1-line block ×19, first 2 shown]
	s_cbranch_vccnz .LBB553_38
; %bb.37:                               ;   in Loop: Header=BB553_32 Depth=1
	s_and_b32 s25, s25, 0xffff
	buffer_load_dwordx4 v[22:25], v65, s[24:27], 0 offen
	buffer_load_dwordx4 v[18:21], v65, s[24:27], s64 offen
	;; [unrolled: 1-line block ×4, first 2 shown]
	v_mov_b32_e32 v9, v67
	v_mov_b32_e32 v5, v68
.LBB553_38:                             ;   in Loop: Header=BB553_32 Depth=1
	s_waitcnt vmcnt(3)
	v_add_u32_e32 v32, s65, v59
	s_waitcnt vmcnt(1)
	v_ashrrev_i32_e32 v26, 31, v32
	v_mul_lo_u32 v28, v26, s36
	v_mul_lo_u32 v29, v32, s37
	v_mad_u64_u32 v[26:27], s[24:25], v32, s36, 0
	v_add3_u32 v27, v27, v29, v28
	v_add_u32_e32 v28, 1, v32
	v_ashrrev_i32_e32 v29, 31, v28
	v_mul_lo_u32 v30, v29, s36
	v_mul_lo_u32 v31, v28, s37
	v_mad_u64_u32 v[28:29], s[24:25], v28, s36, 0
	v_add3_u32 v29, v29, v31, v30
	v_add_u32_e32 v30, 2, v32
	v_ashrrev_i32_e32 v31, 31, v30
	v_mul_lo_u32 v33, v31, s36
	v_mul_lo_u32 v34, v30, s37
	v_mad_u64_u32 v[30:31], s[24:25], v30, s36, 0
	s_add_u32 s24, s4, s65
	v_add3_u32 v31, v31, v34, v33
	v_add_u32_e32 v34, 3, v32
	s_addc_u32 s25, s5, 0
	v_ashrrev_i32_e32 v32, 31, v34
	s_lshl_b64 s[70:71], s[24:25], 8
	v_lshl_add_u64 v[26:27], v[26:27], 2, s[44:45]
	v_mul_lo_u32 v35, v32, s36
	v_lshl_add_u64 v[32:33], v[50:51], 0, s[70:71]
	v_mul_lo_u32 v36, v34, s37
	global_load_ushort v96, v[32:33], off
	global_load_ushort v97, v[32:33], off offset:256
	global_load_ushort v98, v[32:33], off offset:512
	;; [unrolled: 1-line block ×3, first 2 shown]
	global_load_dword v100, v[26:27], off
	v_mad_u64_u32 v[26:27], s[24:25], v34, s36, 0
	v_lshl_add_u64 v[28:29], v[28:29], 2, s[44:45]
	v_add3_u32 v27, v27, v36, v35
	v_lshl_add_u64 v[30:31], v[30:31], 2, s[44:45]
	v_lshl_add_u64 v[26:27], v[26:27], 2, s[44:45]
	global_load_dword v101, v[28:29], off
	global_load_dword v102, v[30:31], off
	;; [unrolled: 1-line block ×3, first 2 shown]
	s_load_dword s24, s[46:47], 0x0
	ds_read_b64 v[34:35], v73 offset:24576
	ds_read2st64_b64 v[30:33], v78 offset1:1
	ds_read2st64_b64 v[36:39], v78 offset0:2 offset1:3
	ds_read_b64 v[40:41], v75 offset:24576
	ds_read_b64 v[92:93], v76 offset:24576
	;; [unrolled: 1-line block ×3, first 2 shown]
	s_waitcnt lgkmcnt(0)
	v_mfma_f32_16x16x16_bf16 a[0:3], v[34:35], v[30:31], a[0:3]
	v_mov_b32_e32 v91, 0
	v_mov_b32_e32 v26, 0
	;; [unrolled: 1-line block ×3, first 2 shown]
	v_mfma_f32_16x16x16_bf16 a[0:3], v[40:41], v[32:33], a[0:3]
	v_mov_b32_e32 v28, 0
	v_mov_b32_e32 v29, 0
	;; [unrolled: 1-line block ×3, first 2 shown]
	v_mfma_f32_16x16x16_bf16 a[0:3], v[92:93], v[36:37], a[0:3]
	v_lshl_add_u64 v[36:37], v[52:53], 0, s[70:71]
	v_mov_b32_e32 v31, 0
	v_mov_b32_e32 v32, 0
	v_mfma_f32_16x16x16_bf16 a[0:3], v[94:95], v[38:39], a[0:3]
	v_mov_b32_e32 v33, 0
	v_mov_b32_e32 v34, 0
	;; [unrolled: 1-line block ×3, first 2 shown]
	s_and_b64 vcc, exec, s[0:1]
	s_waitcnt vmcnt(7)
	v_lshlrev_b32_e32 v92, 16, v96
	s_nop 0
	v_accvgpr_read_b32 v41, a1
	v_accvgpr_read_b32 v39, a3
	;; [unrolled: 1-line block ×4, first 2 shown]
	s_waitcnt vmcnt(6)
	v_lshlrev_b32_e32 v93, 16, v97
	s_waitcnt vmcnt(4)
	v_lshlrev_b32_e32 v95, 16, v99
	v_lshlrev_b32_e32 v94, 16, v98
	s_waitcnt vmcnt(3)
	v_sub_f32_e32 v96, s24, v100
	v_pk_add_f32 v[40:41], v[92:93], v[40:41] neg_lo:[0,1] neg_hi:[0,1]
	v_pk_add_f32 v[38:39], v[94:95], v[38:39] neg_lo:[0,1] neg_hi:[0,1]
	s_waitcnt vmcnt(2)
	v_sub_f32_e32 v93, s24, v101
	s_waitcnt vmcnt(1)
	v_sub_f32_e32 v94, s24, v102
	;; [unrolled: 2-line block ×3, first 2 shown]
	v_exp_f32_e32 v92, v96
	v_exp_f32_e32 v93, v93
	;; [unrolled: 1-line block ×4, first 2 shown]
	global_store_short_d16_hi v[36:37], v40, off
	global_store_short_d16_hi v[36:37], v41, off offset:256
	global_store_short_d16_hi v[36:37], v38, off offset:512
	;; [unrolled: 1-line block ×3, first 2 shown]
	v_pk_mul_f32 v[36:37], v[92:93], v[40:41]
	v_pk_mul_f32 v[38:39], v[94:95], v[38:39]
	v_perm_b32 v36, v37, v36, s3
	v_perm_b32 v37, v39, v38, s3
	ds_write_b64 v70, v[36:37]
	v_mov_b32_e32 v36, 0
	v_mov_b32_e32 v37, 0
	;; [unrolled: 1-line block ×6, first 2 shown]
	s_cbranch_vccnz .LBB553_40
; %bb.39:                               ;   in Loop: Header=BB553_32 Depth=1
	s_and_b32 s29, s29, 0xffff
	s_mov_b32 s31, s27
	buffer_load_dwordx4 v[38:41], v84, s[28:31], 0 offen
	buffer_load_dwordx4 v[30:33], v84, s[28:31], s64 offen
	;; [unrolled: 1-line block ×4, first 2 shown]
	v_mov_b32_e32 v90, v64
	v_mov_b32_e32 v91, v63
.LBB553_40:                             ;   in Loop: Header=BB553_32 Depth=1
	s_waitcnt lgkmcnt(0)
	s_barrier
	ds_read_b64 v[100:101], v86
	ds_read2st64_b64 v[92:95], v78 offset1:1
	ds_read2st64_b64 v[96:99], v78 offset0:2 offset1:3
	ds_read_b64 v[102:103], v87
	ds_read_b64 v[104:105], v88
	;; [unrolled: 1-line block ×3, first 2 shown]
	s_waitcnt lgkmcnt(4)
	v_mfma_f32_16x16x16_bf16 a[0:3], v[100:101], v[92:93], 0
	ds_read_b64 v[100:101], v80 offset:8192
	ds_read_b64 v[108:109], v81 offset:8192
	s_add_i32 s25, s60, s41
	s_mul_hi_i32 s29, s25, s21
	s_waitcnt lgkmcnt(1)
	v_mfma_f32_16x16x16_bf16 a[4:7], v[100:101], v[92:93], 0
	s_mul_i32 s25, s25, s21
	s_add_u32 s28, s25, s53
	s_addc_u32 s29, s29, s57
	v_mfma_f32_16x16x16_bf16 a[0:3], v[102:103], v[94:95], a[0:3]
	ds_read_b64 v[100:101], v47
	ds_read_b64 v[102:103], v79
	ds_read_b64 v[92:93], v82 offset:8192
	s_lshl_b64 s[28:29], s[28:29], 15
	v_mfma_f32_16x16x16_bf16 a[0:3], v[104:105], v[96:97], a[0:3]
	ds_read_b64 v[104:105], v83 offset:8192
	s_and_b64 vcc, exec, s[0:1]
	s_waitcnt lgkmcnt(4)
	v_mfma_f32_16x16x16_bf16 a[4:7], v[108:109], v[94:95], a[4:7]
	s_waitcnt lgkmcnt(1)
	v_mfma_f32_16x16x16_bf16 a[4:7], v[92:93], v[96:97], a[4:7]
	v_lshl_add_u64 v[92:93], v[48:49], 0, s[28:29]
	global_store_dwordx4 v[92:93], v[100:103], off
	v_mfma_f32_16x16x16_bf16 a[0:3], v[106:107], v[98:99], a[0:3]
	s_waitcnt lgkmcnt(0)
	v_mfma_f32_16x16x16_bf16 a[4:7], v[104:105], v[98:99], a[4:7]
	s_cbranch_vccnz .LBB553_42
; %bb.41:                               ;   in Loop: Header=BB553_32 Depth=1
	v_lshrrev_b32_e32 v92, 3, v90
	v_and_b32_e32 v92, 6, v92
	v_xor_b32_e32 v91, v92, v91
	v_lshlrev_b32_e32 v91, 2, v91
	v_and_b32_e32 v90, 8, v90
	v_xor_b32_e32 v93, 0x440, v91
	v_cmp_eq_u32_e32 vcc, 0, v90
	s_barrier
	s_nop 0
	v_cndmask_b32_e32 v90, v93, v91, vcc
	v_lshl_or_b32 v90, v92, 10, v90
	s_waitcnt vmcnt(2)
	v_perm_b32 v91, v38, v34, s66
	s_waitcnt vmcnt(1)
	v_perm_b32 v92, v30, v26, s66
	ds_write2st64_b32 v90, v91, v92 offset1:32
	v_xor_b32_e32 v91, 8, v90
	v_perm_b32 v34, v38, v34, s67
	v_perm_b32 v26, v30, v26, s67
	v_add_u32_e32 v30, 0x80, v91
	ds_write2st64_b32 v30, v34, v26 offset1:32
	v_xor_b32_e32 v26, 16, v90
	v_perm_b32 v30, v39, v35, s66
	v_perm_b32 v34, v31, v27, s66
	ds_write2st64_b32 v26, v30, v34 offset0:1 offset1:33
	v_xor_b32_e32 v26, 24, v90
	v_perm_b32 v30, v39, v35, s67
	v_perm_b32 v27, v31, v27, s67
	v_add_u32_e32 v26, 0x80, v26
	ds_write2st64_b32 v26, v30, v27 offset0:1 offset1:33
	v_xor_b32_e32 v26, 32, v90
	v_perm_b32 v27, v40, v36, s66
	v_perm_b32 v30, v32, v28, s66
	ds_write2st64_b32 v26, v27, v30 offset0:2 offset1:34
	v_xor_b32_e32 v26, 40, v90
	v_perm_b32 v27, v40, v36, s67
	v_perm_b32 v28, v32, v28, s67
	v_add_u32_e32 v26, 0x80, v26
	ds_write2st64_b32 v26, v27, v28 offset0:2 offset1:34
	v_xor_b32_e32 v26, 48, v90
	v_perm_b32 v27, v41, v37, s66
	v_perm_b32 v28, v33, v29, s66
	ds_write2st64_b32 v26, v27, v28 offset0:3 offset1:35
	v_xor_b32_e32 v26, 56, v90
	v_perm_b32 v27, v41, v37, s67
	v_perm_b32 v28, v33, v29, s67
	v_add_u32_e32 v26, 0x80, v26
	ds_write2st64_b32 v26, v27, v28 offset0:3 offset1:35
	ds_write_b64 v9, v[22:23] offset:16384
	v_xor_b32_e32 v22, 8, v9
	ds_write_b64 v22, v[24:25] offset:16384
	ds_write_b64 v9, v[18:19] offset:24576
	;; [unrolled: 1-line block ×4, first 2 shown]
	v_xor_b32_e32 v9, 8, v5
	ds_write_b64 v9, v[16:17] offset:16384
	ds_write_b64 v5, v[10:11] offset:24576
	;; [unrolled: 1-line block ×3, first 2 shown]
.LBB553_42:                             ;   in Loop: Header=BB553_32 Depth=1
	v_exp_f32_e32 v10, s24
	s_nop 2
	v_accvgpr_read_b32 v9, a1
	v_accvgpr_read_b32 v5, a0
	s_add_i32 s65, s65, 64
	v_fma_f32 v3, v3, v10, v9
	v_accvgpr_read_b32 v9, a4
	v_fma_f32 v6, v6, v10, v9
	v_accvgpr_read_b32 v9, a5
	;; [unrolled: 2-line block ×6, first 2 shown]
	v_fmac_f32_e32 v5, v61, v10
	s_cmp_eq_u32 s56, s39
	v_fmac_f32_e32 v9, v62, v10
	s_cbranch_scc1 .LBB553_4
; %bb.43:                               ;   in Loop: Header=BB553_32 Depth=1
	s_mov_b32 s41, s39
	v_mov_b32_e32 v61, v5
	v_mov_b32_e32 v62, v9
	s_branch .LBB553_32
.LBB553_44:
                                        ; implicit-def: $vgpr13
                                        ; implicit-def: $vgpr17
                                        ; implicit-def: $vgpr21
                                        ; implicit-def: $vgpr25
	s_cbranch_execz .LBB553_46
; %bb.45:
	s_waitcnt vmcnt(0)
	v_mad_u64_u32 v[10:11], s[0:1], v27, s23, v[26:27]
	v_lshlrev_b32_e32 v27, 1, v10
	s_lshl_b32 s2, s23, 7
	s_and_b32 s1, s5, 0xffff
	s_mov_b32 s3, 0x20000
	s_mov_b32 s0, s4
	v_add_lshl_u32 v28, v10, s23, 1
	s_movk_i32 s6, 0x80
	buffer_load_dwordx4 v[10:13], v27, s[0:3], 0 offen
	buffer_load_dwordx4 v[18:21], v27, s[0:3], s6 offen
	;; [unrolled: 1-line block ×4, first 2 shown]
.LBB553_46:
	v_lshrrev_b32_e32 v45, 2, v45
	s_cbranch_execnz .LBB553_59
.LBB553_47:
	s_and_b64 vcc, exec, s[14:15]
	s_cbranch_vccz .LBB553_57
; %bb.48:
	s_waitcnt vmcnt(0)
	v_lshlrev_b32_e32 v15, 1, v47
	v_cmp_gt_i32_e32 vcc, s31, v15
	v_mov_b32_e32 v14, 0
	v_lshlrev_b32_e32 v22, 9, v47
	v_mov_b32_e32 v10, 0
	v_mov_b32_e32 v11, 0
	v_mov_b32_e32 v12, 0
	v_mov_b32_e32 v13, 0
	s_and_saveexec_b64 s[0:1], vcc
	s_cbranch_execz .LBB553_50
; %bb.49:
	v_mov_b32_e32 v23, 0
	v_lshl_add_u64 v[10:11], s[4:5], 0, v[22:23]
	v_lshlrev_b32_e32 v12, 1, v26
	v_mov_b32_e32 v13, v23
	v_lshl_add_u64 v[10:11], v[10:11], 0, v[12:13]
	global_load_dwordx4 v[10:13], v[10:11], off
.LBB553_50:
	s_or_b64 exec, exec, s[0:1]
	v_or_b32_e32 v15, 1, v15
	v_cmp_gt_i32_e64 s[0:1], s31, v15
	v_lshlrev_b32_e32 v28, 8, v15
	v_mov_b32_e32 v15, 0
	v_mov_b32_e32 v16, 0
	;; [unrolled: 1-line block ×3, first 2 shown]
	s_and_saveexec_b64 s[2:3], s[0:1]
	s_cbranch_execz .LBB553_52
; %bb.51:
	v_mov_b32_e32 v29, 0
	v_lshl_add_u64 v[14:15], s[4:5], 0, v[28:29]
	v_lshlrev_b32_e32 v16, 1, v26
	v_mov_b32_e32 v17, v29
	v_lshl_add_u64 v[14:15], v[14:15], 0, v[16:17]
	global_load_dwordx4 v[14:17], v[14:15], off
.LBB553_52:
	s_or_b64 exec, exec, s[2:3]
	v_mov_b32_e32 v25, 0
	v_mov_b32_e32 v18, 0
	;; [unrolled: 1-line block ×5, first 2 shown]
	s_and_saveexec_b64 s[2:3], vcc
	s_cbranch_execz .LBB553_54
; %bb.53:
	v_mov_b32_e32 v23, 0
	v_lshl_add_u64 v[18:19], s[4:5], 0, v[22:23]
	v_lshlrev_b32_e32 v22, 1, v26
	v_lshl_add_u64 v[18:19], v[18:19], 0, v[22:23]
	global_load_dwordx4 v[18:21], v[18:19], off offset:128
.LBB553_54:
	s_or_b64 exec, exec, s[2:3]
	v_mov_b32_e32 v24, 0
	v_mov_b32_e32 v23, 0
	;; [unrolled: 1-line block ×3, first 2 shown]
	s_and_saveexec_b64 s[2:3], s[0:1]
	s_cbranch_execz .LBB553_56
; %bb.55:
	v_mov_b32_e32 v29, 0
	v_lshl_add_u64 v[22:23], s[4:5], 0, v[28:29]
	v_lshlrev_b32_e32 v28, 1, v26
	v_lshl_add_u64 v[22:23], v[22:23], 0, v[28:29]
	global_load_dwordx4 v[22:25], v[22:23], off offset:128
.LBB553_56:
	s_or_b64 exec, exec, s[2:3]
	s_branch .LBB553_59
.LBB553_57:
                                        ; implicit-def: $vgpr13
                                        ; implicit-def: $vgpr17
                                        ; implicit-def: $vgpr21
                                        ; implicit-def: $vgpr25
	s_cbranch_execz .LBB553_59
; %bb.58:
	s_waitcnt vmcnt(0)
	v_lshlrev_b32_e32 v10, 1, v26
	v_lshl_or_b32 v26, v47, 9, v10
	s_and_b32 s5, s5, 0xffff
	s_mov_b32 s7, 0x20000
	s_movk_i32 s6, 0x4000
	s_movk_i32 s0, 0x80
	buffer_load_dwordx4 v[10:13], v26, s[4:7], 0 offen
	buffer_load_dwordx4 v[14:17], v26, s[4:7], 0 offen offset:256
	buffer_load_dwordx4 v[18:21], v26, s[4:7], s0 offen
	buffer_load_dwordx4 v[22:25], v26, s[4:7], s0 offen offset:256
.LBB553_59:
	ds_read2st64_b64 v[30:33], v50 offset0:76 offset1:77
	ds_read2st64_b64 v[26:29], v50 offset0:78 offset1:79
	ds_read_b64 v[40:41], v34 offset:24576
	ds_read_b64 v[38:39], v35 offset:24576
	;; [unrolled: 1-line block ×4, first 2 shown]
	v_and_b32_e32 v51, 6, v0
	v_xor_b32_e32 v47, v47, v51
	v_lshlrev_b32_e32 v47, 2, v47
	v_and_b32_e32 v52, 1, v0
	v_xor_b32_e32 v53, 0x440, v47
	v_cmp_eq_u32_e32 vcc, 0, v52
	s_mov_b32 s0, 0x1000504
	s_waitcnt vmcnt(0)
	v_perm_b32 v52, v18, v22, s0
	v_cndmask_b32_e32 v47, v53, v47, vcc
	v_lshl_or_b32 v47, v51, 10, v47
	v_perm_b32 v51, v10, v14, s0
	ds_write2st64_b32 v47, v51, v52 offset1:32
	v_xor_b32_e32 v51, 8, v47
	s_mov_b32 s1, 0x3020706
	v_perm_b32 v10, v10, v14, s1
	v_perm_b32 v14, v18, v22, s1
	v_add_u32_e32 v18, 0x80, v51
	ds_write2st64_b32 v18, v10, v14 offset1:32
	v_xor_b32_e32 v10, 16, v47
	v_perm_b32 v14, v11, v15, s0
	v_perm_b32 v18, v19, v23, s0
	ds_write2st64_b32 v10, v14, v18 offset0:1 offset1:33
	v_xor_b32_e32 v10, 24, v47
	v_perm_b32 v11, v11, v15, s1
	v_perm_b32 v14, v19, v23, s1
	v_add_u32_e32 v10, 0x80, v10
	ds_write2st64_b32 v10, v11, v14 offset0:1 offset1:33
	v_xor_b32_e32 v10, 32, v47
	v_perm_b32 v11, v12, v16, s0
	v_perm_b32 v14, v20, v24, s0
	ds_write2st64_b32 v10, v11, v14 offset0:2 offset1:34
	v_xor_b32_e32 v10, 40, v47
	v_perm_b32 v11, v12, v16, s1
	v_perm_b32 v12, v20, v24, s1
	v_add_u32_e32 v10, 0x80, v10
	ds_write2st64_b32 v10, v11, v12 offset0:2 offset1:34
	v_xor_b32_e32 v10, 48, v47
	v_perm_b32 v11, v13, v17, s0
	v_perm_b32 v12, v21, v25, s0
	ds_write2st64_b32 v10, v11, v12 offset0:3 offset1:35
	v_xor_b32_e32 v10, 56, v47
	v_and_or_b32 v18, v45, 12, v54
	v_perm_b32 v11, v13, v17, s1
	v_perm_b32 v12, v21, v25, s1
	v_add_u32_e32 v10, 0x80, v10
	v_cmp_gt_i32_e64 s[2:3], s31, v18
	v_mov_b32_e32 v20, 0
	v_mov_b32_e32 v25, 0
	ds_write2st64_b32 v10, v11, v12 offset0:3 offset1:35
	s_and_saveexec_b64 s[0:1], s[2:3]
	s_cbranch_execz .LBB553_61
; %bb.60:
	v_add_u32_e32 v10, s30, v18
	v_ashrrev_i32_e32 v11, 31, v10
	v_mul_lo_u32 v12, v11, s36
	v_mul_lo_u32 v13, v10, s37
	v_mad_u64_u32 v[10:11], s[4:5], v10, s36, 0
	v_add3_u32 v11, v11, v13, v12
	v_lshl_add_u64 v[10:11], v[10:11], 2, s[12:13]
	global_load_dword v10, v[10:11], off
	s_waitcnt vmcnt(0)
	v_sub_f32_e32 v10, s18, v10
	v_exp_f32_e32 v25, v10
.LBB553_61:
	s_or_b64 exec, exec, s[0:1]
	v_or_b32_e32 v23, 1, v18
	v_cmp_gt_i32_e64 s[4:5], s31, v23
	s_and_saveexec_b64 s[0:1], s[4:5]
	s_cbranch_execz .LBB553_63
; %bb.62:
	v_add_u32_e32 v10, s30, v23
	v_ashrrev_i32_e32 v11, 31, v10
	v_mul_lo_u32 v12, v11, s36
	v_mul_lo_u32 v13, v10, s37
	v_mad_u64_u32 v[10:11], s[6:7], v10, s36, 0
	v_add3_u32 v11, v11, v13, v12
	v_lshl_add_u64 v[10:11], v[10:11], 2, s[12:13]
	global_load_dword v10, v[10:11], off
	s_waitcnt vmcnt(0)
	v_sub_f32_e32 v10, s18, v10
	v_exp_f32_e32 v20, v10
.LBB553_63:
	s_or_b64 exec, exec, s[0:1]
	v_or_b32_e32 v22, 2, v18
	v_cmp_gt_i32_e64 s[0:1], s31, v22
	v_mov_b32_e32 v19, 0
	v_mov_b32_e32 v24, 0
	s_and_saveexec_b64 s[6:7], s[0:1]
	s_cbranch_execz .LBB553_65
; %bb.64:
	v_add_u32_e32 v10, s30, v22
	v_ashrrev_i32_e32 v11, 31, v10
	v_mul_lo_u32 v12, v11, s36
	v_mul_lo_u32 v13, v10, s37
	v_mad_u64_u32 v[10:11], s[14:15], v10, s36, 0
	v_add3_u32 v11, v11, v13, v12
	v_lshl_add_u64 v[10:11], v[10:11], 2, s[12:13]
	global_load_dword v10, v[10:11], off
	s_waitcnt vmcnt(0)
	v_sub_f32_e32 v10, s18, v10
	v_exp_f32_e32 v24, v10
.LBB553_65:
	s_or_b64 exec, exec, s[6:7]
	v_or_b32_e32 v21, 3, v18
	v_cmp_gt_i32_e32 vcc, s31, v21
	s_and_saveexec_b64 s[6:7], vcc
	s_cbranch_execz .LBB553_67
; %bb.66:
	v_add_u32_e32 v10, s30, v21
	v_ashrrev_i32_e32 v11, 31, v10
	v_mul_lo_u32 v12, v11, s36
	v_mul_lo_u32 v13, v10, s37
	v_mad_u64_u32 v[10:11], s[14:15], v10, s36, 0
	v_add3_u32 v11, v11, v13, v12
	v_lshl_add_u64 v[10:11], v[10:11], 2, s[12:13]
	global_load_dword v10, v[10:11], off
	s_waitcnt vmcnt(0)
	v_sub_f32_e32 v10, s18, v10
	v_exp_f32_e32 v19, v10
.LBB553_67:
	s_or_b64 exec, exec, s[6:7]
	s_waitcnt lgkmcnt(11)
	v_mfma_f32_16x16x16_bf16 a[0:3], v[40:41], v[30:31], a[0:3]
	s_add_u32 s6, s16, s24
	v_ashrrev_i32_e32 v47, 31, v46
	s_addc_u32 s7, s17, s25
	s_waitcnt lgkmcnt(10)
	v_mfma_f32_16x16x16_bf16 a[0:3], v[38:39], v[32:33], a[0:3]
	v_lshlrev_b64 v[10:11], 1, v[46:47]
	v_lshl_add_u64 v[14:15], s[6:7], 0, v[10:11]
	s_add_u32 s6, s8, s24
	s_waitcnt lgkmcnt(9)
	v_mfma_f32_16x16x16_bf16 a[0:3], v[36:37], v[26:27], a[0:3]
	s_addc_u32 s7, s9, s25
	v_lshl_add_u64 v[16:17], s[6:7], 0, v[10:11]
	v_mov_b32_e32 v26, 0
	s_waitcnt lgkmcnt(8)
	v_mfma_f32_16x16x16_bf16 a[0:3], v[34:35], v[28:29], a[0:3]
	v_mov_b32_e32 v27, 0
	s_nop 5
	v_accvgpr_read_b32 v13, a3
	v_accvgpr_read_b32 v12, a2
	;; [unrolled: 1-line block ×4, first 2 shown]
	s_and_saveexec_b64 s[6:7], s[2:3]
	s_cbranch_execz .LBB553_69
; %bb.68:
	v_lshlrev_b32_e32 v28, 8, v18
	v_mov_b32_e32 v29, 0
	v_lshl_add_u64 v[30:31], v[14:15], 0, v[28:29]
	global_load_ushort v27, v[30:31], off
	v_lshl_add_u64 v[28:29], v[16:17], 0, v[28:29]
	s_waitcnt vmcnt(0)
	v_lshlrev_b32_e32 v27, 16, v27
	v_sub_f32_e32 v10, v27, v10
	global_store_short_d16_hi v[28:29], v10, off
	v_mul_f32_e32 v10, v25, v10
	v_lshrrev_b32_e32 v27, 16, v10
.LBB553_69:
	s_or_b64 exec, exec, s[6:7]
	s_and_saveexec_b64 s[2:3], s[4:5]
	s_cbranch_execz .LBB553_71
; %bb.70:
	v_lshlrev_b32_e32 v28, 8, v23
	v_mov_b32_e32 v29, 0
	v_lshl_add_u64 v[30:31], v[14:15], 0, v[28:29]
	global_load_ushort v10, v[30:31], off
	v_lshl_add_u64 v[28:29], v[16:17], 0, v[28:29]
	s_waitcnt vmcnt(0)
	v_lshlrev_b32_e32 v10, 16, v10
	v_sub_f32_e32 v10, v10, v11
	global_store_short_d16_hi v[28:29], v10, off
	v_mul_f32_e32 v10, v20, v10
	v_lshrrev_b32_e32 v26, 16, v10
.LBB553_71:
	s_or_b64 exec, exec, s[2:3]
	v_mov_b32_e32 v11, 0
	v_mov_b32_e32 v20, 0
	s_and_saveexec_b64 s[2:3], s[0:1]
	s_cbranch_execz .LBB553_73
; %bb.72:
	v_lshlrev_b32_e32 v22, 8, v22
	v_mov_b32_e32 v23, 0
	v_lshl_add_u64 v[28:29], v[14:15], 0, v[22:23]
	global_load_ushort v10, v[28:29], off
	v_lshl_add_u64 v[22:23], v[16:17], 0, v[22:23]
	s_waitcnt vmcnt(0)
	v_lshlrev_b32_e32 v10, 16, v10
	v_sub_f32_e32 v10, v10, v12
	global_store_short_d16_hi v[22:23], v10, off
	v_mul_f32_e32 v10, v24, v10
	v_lshrrev_b32_e32 v20, 16, v10
.LBB553_73:
	s_or_b64 exec, exec, s[2:3]
	v_or_b32_e32 v10, 0x9800, v50
	s_and_saveexec_b64 s[0:1], vcc
	s_cbranch_execz .LBB553_75
; %bb.74:
	v_lshlrev_b32_e32 v22, 8, v21
	v_mov_b32_e32 v23, 0
	v_lshl_add_u64 v[14:15], v[14:15], 0, v[22:23]
	global_load_ushort v11, v[14:15], off
	v_lshl_add_u64 v[14:15], v[16:17], 0, v[22:23]
	s_waitcnt vmcnt(0)
	v_lshlrev_b32_e32 v11, 16, v11
	v_sub_f32_e32 v11, v11, v13
	global_store_short_d16_hi v[14:15], v11, off
	v_mul_f32_e32 v11, v19, v11
	v_lshrrev_b32_e32 v11, 16, v11
.LBB553_75:
	s_or_b64 exec, exec, s[0:1]
	s_mov_b32 s0, 0x5040100
	v_perm_b32 v13, v11, v20, s0
	v_lshlrev_b32_e32 v11, 1, v48
	v_perm_b32 v12, v26, v27, s0
	v_lshl_or_b32 v11, v18, 5, v11
	s_movk_i32 s0, 0xff
	ds_write_b64 v11, v[12:13] offset:38912
	v_and_b32_e32 v11, 7, v0
	v_and_b32_e32 v12, 8, v0
	v_cmp_lt_u32_e32 vcc, s0, v0
	v_lshrrev_b32_e32 v0, 1, v0
	v_lshlrev_b32_e32 v22, 3, v1
	v_and_b32_e32 v23, 24, v0
	v_xor_b32_e32 v0, v22, v23
	v_cndmask_b32_e64 v13, 0, 1, vcc
	v_or_b32_e32 v1, 0x440, v0
	v_cmp_eq_u32_e32 vcc, 0, v12
	v_lshlrev_b32_e32 v20, 3, v11
	v_lshlrev_b32_e32 v11, 7, v11
	v_cndmask_b32_e32 v0, v1, v0, vcc
	v_or_b32_e32 v0, v0, v49
	v_lshlrev_b32_e32 v21, 13, v13
	v_xad_u32 v24, v0, v20, v11
	v_add_u32_e32 v0, v21, v24
	s_waitcnt lgkmcnt(0)
	s_barrier
	ds_read_b64 v[0:1], v0
	ds_read2st64_b64 v[12:15], v10 offset1:1
	ds_read2st64_b64 v[16:19], v10 offset0:2 offset1:3
	s_waitcnt lgkmcnt(1)
	v_mfma_f32_16x16x16_bf16 a[0:3], v[0:1], v[12:13], 0
	v_or_b32_e32 v0, 32, v23
	v_xor_b32_e32 v0, v22, v0
	v_or_b32_e32 v1, 0x440, v0
	v_cndmask_b32_e32 v0, v1, v0, vcc
	v_or_b32_e32 v0, v0, v49
	v_xad_u32 v25, v0, v20, v11
	v_add_u32_e32 v0, v21, v25
	ds_read_b64 v[0:1], v0
	v_or_b32_e32 v10, 0x60, v23
	s_waitcnt lgkmcnt(0)
	v_mfma_f32_16x16x16_bf16 a[0:3], v[0:1], v[14:15], a[0:3]
	v_or_b32_e32 v0, 64, v23
	v_xor_b32_e32 v0, v22, v0
	v_xor_b32_e32 v1, 0x440, v0
	v_cndmask_b32_e32 v0, v1, v0, vcc
	v_or_b32_e32 v0, v0, v49
	v_xad_u32 v26, v0, v20, v11
	v_xor_b32_e32 v10, v22, v10
	v_add_u32_e32 v0, v21, v26
	v_xor_b32_e32 v22, 0x440, v10
	ds_read_b64 v[0:1], v0
	v_cndmask_b32_e32 v10, v22, v10, vcc
	v_or_b32_e32 v10, v10, v49
	v_xad_u32 v22, v10, v20, v11
	v_add_u32_e32 v10, v21, v22
	ds_read_b64 v[10:11], v10
	s_waitcnt lgkmcnt(1)
	v_mfma_f32_16x16x16_bf16 a[0:3], v[0:1], v[16:17], a[0:3]
	ds_read_b64 v[0:1], v24 offset:8192
	ds_read_b64 v[20:21], v26 offset:8192
	v_exp_f32_e32 v23, s18
	s_waitcnt lgkmcnt(2)
	v_mfma_f32_16x16x16_bf16 a[0:3], v[10:11], v[18:19], a[0:3]
	ds_read_b64 v[10:11], v25 offset:8192
	s_waitcnt lgkmcnt(2)
	v_mfma_f32_16x16x16_bf16 a[4:7], v[0:1], v[12:13], 0
	ds_read_b64 v[12:13], v22 offset:8192
	s_nop 2
	v_accvgpr_read_b32 v0, a0
	v_accvgpr_read_b32 v1, a1
	s_waitcnt lgkmcnt(1)
	v_mfma_f32_16x16x16_bf16 a[4:7], v[10:11], v[14:15], a[4:7]
	v_fma_f32 v0, v2, v23, v0
	v_fma_f32 v1, v3, v23, v1
	v_accvgpr_read_b32 v2, a2
	v_mfma_f32_16x16x16_bf16 a[4:7], v[20:21], v[16:17], a[4:7]
	v_accvgpr_read_b32 v3, a3
	v_fma_f32 v2, v4, v23, v2
	v_fmac_f32_e32 v3, v5, v23
	s_waitcnt lgkmcnt(0)
	v_mfma_f32_16x16x16_bf16 a[0:3], v[12:13], v[18:19], a[4:7]
	s_nop 6
	v_accvgpr_read_b32 v4, a0
	v_accvgpr_read_b32 v5, a1
	v_fma_f32 v4, v6, v23, v4
	v_fma_f32 v5, v7, v23, v5
	v_accvgpr_read_b32 v6, a2
	v_accvgpr_read_b32 v7, a3
	v_fma_f32 v6, v8, v23, v6
	v_fmac_f32_e32 v7, v9, v23
	v_mov_b64_e32 v[8:9], v[6:7]
	v_mov_b64_e32 v[6:7], v[4:5]
	;; [unrolled: 1-line block ×4, first 2 shown]
.LBB553_76:
	s_add_u32 s0, s10, s34
	s_addc_u32 s1, s11, s35
	v_lshl_add_u64 v[0:1], v[42:43], 1, s[0:1]
	v_mov_b32_e32 v45, 0
	s_mov_b32 s0, 0x7060302
	v_lshl_add_u64 v[0:1], v[0:1], 0, v[44:45]
	v_perm_b32 v5, v5, v4, s0
	v_perm_b32 v4, v3, v2, s0
	;; [unrolled: 1-line block ×4, first 2 shown]
	global_store_dwordx2 v[0:1], v[4:5], off
	global_store_dwordx2 v[0:1], v[2:3], off offset:128
	s_endpgm
	.section	.rodata,"a",@progbits
	.p2align	6, 0x0
	.amdhsa_kernel _ZN12_GLOBAL__N_139chunk_gated_delta_rule_fwd_h_hip_kernelILi16ELb1ELb1ELb1ELb0ELb1ELb0ELb1ELb1EEEvPK12hip_bfloat16S3_S3_PKfS5_PKvPS1_S8_PvPKiSB_iiiiilll
		.amdhsa_group_segment_fixed_size 40960
		.amdhsa_private_segment_fixed_size 0
		.amdhsa_kernarg_size 136
		.amdhsa_user_sgpr_count 2
		.amdhsa_user_sgpr_dispatch_ptr 0
		.amdhsa_user_sgpr_queue_ptr 0
		.amdhsa_user_sgpr_kernarg_segment_ptr 1
		.amdhsa_user_sgpr_dispatch_id 0
		.amdhsa_user_sgpr_kernarg_preload_length 0
		.amdhsa_user_sgpr_kernarg_preload_offset 0
		.amdhsa_user_sgpr_private_segment_size 0
		.amdhsa_uses_dynamic_stack 0
		.amdhsa_enable_private_segment 0
		.amdhsa_system_sgpr_workgroup_id_x 1
		.amdhsa_system_sgpr_workgroup_id_y 1
		.amdhsa_system_sgpr_workgroup_id_z 0
		.amdhsa_system_sgpr_workgroup_info 0
		.amdhsa_system_vgpr_workitem_id 0
		.amdhsa_next_free_vgpr 120
		.amdhsa_next_free_sgpr 72
		.amdhsa_accum_offset 112
		.amdhsa_reserve_vcc 1
		.amdhsa_float_round_mode_32 0
		.amdhsa_float_round_mode_16_64 0
		.amdhsa_float_denorm_mode_32 3
		.amdhsa_float_denorm_mode_16_64 3
		.amdhsa_dx10_clamp 1
		.amdhsa_ieee_mode 1
		.amdhsa_fp16_overflow 0
		.amdhsa_tg_split 0
		.amdhsa_exception_fp_ieee_invalid_op 0
		.amdhsa_exception_fp_denorm_src 0
		.amdhsa_exception_fp_ieee_div_zero 0
		.amdhsa_exception_fp_ieee_overflow 0
		.amdhsa_exception_fp_ieee_underflow 0
		.amdhsa_exception_fp_ieee_inexact 0
		.amdhsa_exception_int_div_zero 0
	.end_amdhsa_kernel
	.section	.text._ZN12_GLOBAL__N_139chunk_gated_delta_rule_fwd_h_hip_kernelILi16ELb1ELb1ELb1ELb0ELb1ELb0ELb1ELb1EEEvPK12hip_bfloat16S3_S3_PKfS5_PKvPS1_S8_PvPKiSB_iiiiilll,"axG",@progbits,_ZN12_GLOBAL__N_139chunk_gated_delta_rule_fwd_h_hip_kernelILi16ELb1ELb1ELb1ELb0ELb1ELb0ELb1ELb1EEEvPK12hip_bfloat16S3_S3_PKfS5_PKvPS1_S8_PvPKiSB_iiiiilll,comdat
.Lfunc_end553:
	.size	_ZN12_GLOBAL__N_139chunk_gated_delta_rule_fwd_h_hip_kernelILi16ELb1ELb1ELb1ELb0ELb1ELb0ELb1ELb1EEEvPK12hip_bfloat16S3_S3_PKfS5_PKvPS1_S8_PvPKiSB_iiiiilll, .Lfunc_end553-_ZN12_GLOBAL__N_139chunk_gated_delta_rule_fwd_h_hip_kernelILi16ELb1ELb1ELb1ELb0ELb1ELb0ELb1ELb1EEEvPK12hip_bfloat16S3_S3_PKfS5_PKvPS1_S8_PvPKiSB_iiiiilll
                                        ; -- End function
	.section	.AMDGPU.csdata,"",@progbits
; Kernel info:
; codeLenInByte = 7928
; NumSgprs: 78
; NumVgprs: 110
; NumAgprs: 8
; TotalNumVgprs: 120
; ScratchSize: 0
; MemoryBound: 0
; FloatMode: 240
; IeeeMode: 1
; LDSByteSize: 40960 bytes/workgroup (compile time only)
; SGPRBlocks: 9
; VGPRBlocks: 14
; NumSGPRsForWavesPerEU: 78
; NumVGPRsForWavesPerEU: 120
; AccumOffset: 112
; Occupancy: 1
; WaveLimiterHint : 1
; COMPUTE_PGM_RSRC2:SCRATCH_EN: 0
; COMPUTE_PGM_RSRC2:USER_SGPR: 2
; COMPUTE_PGM_RSRC2:TRAP_HANDLER: 0
; COMPUTE_PGM_RSRC2:TGID_X_EN: 1
; COMPUTE_PGM_RSRC2:TGID_Y_EN: 1
; COMPUTE_PGM_RSRC2:TGID_Z_EN: 0
; COMPUTE_PGM_RSRC2:TIDIG_COMP_CNT: 0
; COMPUTE_PGM_RSRC3_GFX90A:ACCUM_OFFSET: 27
; COMPUTE_PGM_RSRC3_GFX90A:TG_SPLIT: 0
	.section	.text._ZN12_GLOBAL__N_139chunk_gated_delta_rule_fwd_h_hip_kernelILi16ELb1ELb1ELb0ELb0ELb1ELb0ELb1ELb1EEEvPK12hip_bfloat16S3_S3_PKfS5_PKvPS1_S8_PvPKiSB_iiiiilll,"axG",@progbits,_ZN12_GLOBAL__N_139chunk_gated_delta_rule_fwd_h_hip_kernelILi16ELb1ELb1ELb0ELb0ELb1ELb0ELb1ELb1EEEvPK12hip_bfloat16S3_S3_PKfS5_PKvPS1_S8_PvPKiSB_iiiiilll,comdat
	.globl	_ZN12_GLOBAL__N_139chunk_gated_delta_rule_fwd_h_hip_kernelILi16ELb1ELb1ELb0ELb0ELb1ELb0ELb1ELb1EEEvPK12hip_bfloat16S3_S3_PKfS5_PKvPS1_S8_PvPKiSB_iiiiilll ; -- Begin function _ZN12_GLOBAL__N_139chunk_gated_delta_rule_fwd_h_hip_kernelILi16ELb1ELb1ELb0ELb0ELb1ELb0ELb1ELb1EEEvPK12hip_bfloat16S3_S3_PKfS5_PKvPS1_S8_PvPKiSB_iiiiilll
	.p2align	8
	.type	_ZN12_GLOBAL__N_139chunk_gated_delta_rule_fwd_h_hip_kernelILi16ELb1ELb1ELb0ELb0ELb1ELb0ELb1ELb1EEEvPK12hip_bfloat16S3_S3_PKfS5_PKvPS1_S8_PvPKiSB_iiiiilll,@function
_ZN12_GLOBAL__N_139chunk_gated_delta_rule_fwd_h_hip_kernelILi16ELb1ELb1ELb0ELb0ELb1ELb0ELb1ELb1EEEvPK12hip_bfloat16S3_S3_PKfS5_PKvPS1_S8_PvPKiSB_iiiiilll: ; @_ZN12_GLOBAL__N_139chunk_gated_delta_rule_fwd_h_hip_kernelILi16ELb1ELb1ELb0ELb0ELb1ELb0ELb1ELb1EEEvPK12hip_bfloat16S3_S3_PKfS5_PKvPS1_S8_PvPKiSB_iiiiilll
; %bb.0:
	s_load_dwordx4 s[12:15], s[0:1], 0x5c
	s_load_dwordx4 s[20:23], s[0:1], 0x70
	s_abs_i32 s6, s3
	s_ashr_i32 s5, s3, 31
	s_load_dwordx4 s[16:19], s[0:1], 0x28
	s_waitcnt lgkmcnt(0)
	s_abs_i32 s4, s13
	v_cvt_f32_u32_e32 v1, s4
	s_sub_i32 s8, 0, s4
	s_ashr_i32 s7, s13, 31
	s_xor_b32 s5, s5, s7
	v_rcp_iflag_f32_e32 v1, v1
	v_and_b32_e32 v54, 15, v0
	v_bfe_u32 v53, v0, 4, 2
	v_mov_b32_e32 v45, 0
	v_mul_f32_e32 v1, 0x4f7ffffe, v1
	v_cvt_u32_f32_e32 v1, v1
	v_lshlrev_b32_e32 v55, 3, v0
	v_readfirstlane_b32 s9, v1
	s_mul_i32 s8, s8, s9
	s_mul_hi_u32 s8, s9, s8
	s_add_i32 s9, s9, s8
	s_mul_hi_u32 s8, s6, s9
	s_mul_i32 s9, s8, s4
	s_sub_i32 s6, s6, s9
	s_add_i32 s10, s8, 1
	s_sub_i32 s9, s6, s4
	s_cmp_ge_u32 s6, s4
	s_cselect_b32 s8, s10, s8
	s_cselect_b32 s6, s9, s6
	s_add_i32 s9, s8, 1
	s_cmp_ge_u32 s6, s4
	s_cselect_b32 s6, s9, s8
	s_xor_b32 s6, s6, s5
	s_add_i32 s8, s12, 63
	s_sub_i32 s53, s6, s5
	s_ashr_i32 s9, s8, 31
	s_mul_i32 s5, s53, s13
	s_sub_i32 s51, s3, s5
	s_lshr_b32 s3, s9, 26
	s_add_i32 s8, s8, s3
	s_abs_i32 s3, s14
	v_cvt_f32_u32_e32 v1, s3
	s_ashr_i32 s52, s12, 31
	s_lshr_b32 s6, s52, 26
	s_add_i32 s6, s12, s6
	v_rcp_iflag_f32_e32 v1, v1
	s_ashr_i32 s56, s14, 31
	s_ashr_i32 s24, s8, 6
	;; [unrolled: 1-line block ×3, first 2 shown]
	v_mul_f32_e32 v1, 0x4f7ffffe, v1
	v_cvt_u32_f32_e32 v1, v1
	s_xor_b32 s6, s7, s56
	s_sub_i32 s7, 0, s3
	s_lshl_b32 s2, s2, 4
	v_readfirstlane_b32 s8, v1
	s_mul_i32 s7, s7, s8
	s_mul_hi_u32 s7, s8, s7
	s_add_i32 s8, s8, s7
	s_mul_hi_u32 s7, s4, s8
	s_mul_i32 s8, s7, s3
	s_sub_i32 s4, s4, s8
	s_add_i32 s8, s7, 1
	s_sub_i32 s9, s4, s3
	s_cmp_ge_u32 s4, s3
	s_cselect_b32 s7, s8, s7
	s_cselect_b32 s4, s9, s4
	s_add_i32 s8, s7, 1
	s_cmp_ge_u32 s4, s3
	s_cselect_b32 s3, s8, s7
	s_xor_b32 s3, s3, s6
	s_sub_i32 s3, s3, s6
	s_abs_i32 s4, s3
	v_cvt_f32_u32_e32 v1, s4
	s_sub_i32 s7, 0, s4
	s_abs_i32 s6, s51
	s_xor_b32 s3, s51, s3
	v_rcp_iflag_f32_e32 v2, v1
	s_ashr_i32 s3, s3, 31
	v_lshrrev_b32_e32 v1, 6, v0
	v_or_b32_e32 v46, s2, v54
	v_mul_f32_e32 v2, 0x4f7ffffe, v2
	v_cvt_u32_f32_e32 v2, v2
	v_lshlrev_b32_e32 v52, 4, v1
	v_lshlrev_b32_e32 v42, 7, v46
	v_lshl_or_b32 v57, v53, 2, v52
	v_readfirstlane_b32 s8, v2
	s_mul_i32 s7, s7, s8
	s_mul_hi_u32 s7, s8, s7
	s_add_i32 s8, s8, s7
	s_mul_hi_u32 s7, s6, s8
	s_mul_i32 s8, s7, s4
	s_sub_i32 s6, s6, s8
	s_add_i32 s8, s7, 1
	s_sub_i32 s9, s6, s4
	s_cmp_ge_u32 s6, s4
	s_cselect_b32 s7, s8, s7
	s_cselect_b32 s6, s9, s6
	s_add_i32 s8, s7, 1
	s_cmp_ge_u32 s6, s4
	s_cselect_b32 s4, s8, s7
	s_xor_b32 s4, s4, s3
	s_sub_i32 s57, s4, s3
	s_ashr_i32 s3, s53, 31
	s_ashr_i32 s55, s51, 31
	s_mul_hi_i32 s4, s53, s13
	s_add_u32 s40, s5, s51
	s_addc_u32 s41, s4, s55
	s_lshl_b64 s[28:29], s[40:41], 15
	s_add_u32 s4, s16, s28
	s_addc_u32 s5, s17, s29
	v_ashrrev_i32_e32 v43, 31, v42
	v_lshl_add_u64 v[2:3], v[42:43], 1, s[4:5]
	v_lshlrev_b32_e32 v44, 1, v57
	v_lshl_add_u64 v[2:3], v[2:3], 0, v[44:45]
	global_load_dwordx2 v[4:5], v[2:3], off
	global_load_dwordx2 v[8:9], v[2:3], off offset:128
	s_load_dwordx2 s[30:31], s[0:1], 0x40
	s_load_dwordx8 s[4:11], s[0:1], 0x0
	s_load_dwordx2 s[34:35], s[0:1], 0x80
	v_and_b32_e32 v45, 63, v0
	v_lshrrev_b32_e32 v56, 3, v45
	v_or_b32_e32 v58, 64, v57
	s_mul_i32 s33, s53, s21
	s_mul_hi_u32 s46, s53, s20
	s_mul_i32 s38, s53, s20
	s_mul_i32 s58, s53, s24
	;; [unrolled: 1-line block ×3, first 2 shown]
	s_mul_hi_u32 s48, s51, s22
	s_mul_i32 s50, s3, s20
	s_mul_i32 s49, s55, s22
	s_mul_hi_u32 s59, s40, s12
	s_mul_i32 s16, s40, s12
	s_mul_i32 s41, s41, s12
	s_cmp_lt_i32 s12, 64
	s_mul_i32 s36, s51, s22
	s_waitcnt vmcnt(1)
	v_and_b32_e32 v3, 0xffff0000, v4
	v_lshlrev_b32_e32 v2, 16, v4
	v_and_b32_e32 v59, 0xffff0000, v5
	v_lshlrev_b32_e32 v4, 16, v5
	s_waitcnt vmcnt(0)
	v_and_b32_e32 v7, 0xffff0000, v8
	v_lshlrev_b32_e32 v6, 16, v8
	v_and_b32_e32 v60, 0xffff0000, v9
	v_lshlrev_b32_e32 v8, 16, v9
	s_cbranch_scc1 .LBB554_3
; %bb.1:
	s_add_i32 s17, s59, s41
	s_lshl_b64 s[0:1], s[16:17], 8
	v_and_b32_e32 v62, 56, v55
	s_waitcnt lgkmcnt(0)
	s_add_u32 s20, s6, s0
	v_lshl_or_b32 v61, v1, 3, v56
	v_lshlrev_b32_e32 v5, 1, v62
	s_addc_u32 s0, s7, s1
	v_lshl_or_b32 v63, v61, 8, v5
	s_and_b32 s21, s0, 0xffff
	s_mov_b32 s23, 0x20000
	s_movk_i32 s22, 0x4000
	s_movk_i32 s0, 0x80
	v_or_b32_e32 v64, 0x2000, v63
	buffer_load_dwordx4 v[10:13], v63, s[20:23], 0 offen
	buffer_load_dwordx4 v[14:17], v63, s[20:23], s0 offen
	;; [unrolled: 1-line block ×4, first 2 shown]
	v_lshlrev_b32_e32 v9, 3, v61
	v_and_or_b32 v27, v0, 7, v9
	v_and_b32_e32 v9, 0x78, v9
	v_lshlrev_b32_e32 v27, 4, v27
	v_xor_b32_e32 v65, v27, v9
	v_mul_lo_u32 v26, v61, s15
	v_or_b32_e32 v66, 0x1000, v65
	v_xor_b32_e32 v9, 8, v65
	s_cmpk_eq_i32 s15, 0x80
	s_mov_b32 s60, s14
	v_xor_b32_e32 v27, 8, v66
	s_cselect_b64 s[0:1], -1, 0
	s_cmpk_lg_i32 s15, 0x80
	s_waitcnt vmcnt(3)
	ds_write_b64 v65, v[10:11] offset:16384
	ds_write_b64 v9, v[12:13] offset:16384
	s_waitcnt vmcnt(2)
	ds_write_b64 v65, v[14:15] offset:24576
	ds_write_b64 v9, v[16:17] offset:24576
	;; [unrolled: 3-line block ×4, first 2 shown]
	v_lshl_add_u32 v9, v26, 1, v62
	s_cbranch_scc0 .LBB554_29
; %bb.2:
	v_lshlrev_b32_e32 v11, 1, v9
	v_add_lshl_u32 v10, v9, s15, 1
	s_lshl_b32 s22, s15, 7
	v_lshl_or_b32 v5, v61, 9, v5
	s_cbranch_execz .LBB554_30
	s_branch .LBB554_31
.LBB554_3:
	v_mov_b32_e32 v9, v60
	v_mov_b32_e32 v5, v59
.LBB554_4:
	s_lshl_b32 s26, s54, 6
	s_sub_i32 s27, s12, s26
	s_cmp_gt_i32 s27, 0
	s_cbranch_scc0 .LBB554_76
; %bb.5:
	s_ashr_i32 s3, s26, 31
	s_cmpk_lg_i32 s15, 0x80
	s_cselect_b64 s[22:23], -1, 0
	s_and_b64 vcc, exec, s[22:23]
	s_cbranch_vccz .LBB554_7
; %bb.6:
	s_mul_i32 s1, s53, s12
	s_mul_hi_i32 s0, s53, s12
	s_add_u32 s1, s1, s26
	s_addc_u32 s0, s0, s3
	s_mul_i32 s17, s1, s56
	s_mul_hi_u32 s20, s1, s14
	s_add_i32 s17, s20, s17
	s_mul_i32 s0, s0, s14
	s_add_i32 s17, s17, s0
	s_mul_i32 s1, s1, s14
	s_ashr_i32 s0, s57, 31
	s_add_u32 s24, s1, s57
	s_addc_u32 s25, s17, s0
	s_cbranch_execz .LBB554_8
	s_branch .LBB554_9
.LBB554_7:
                                        ; implicit-def: $sgpr24_sgpr25
.LBB554_8:
	s_mul_hi_i32 s0, s53, s14
	s_mul_i32 s53, s53, s14
	s_ashr_i32 s1, s57, 31
	s_add_u32 s14, s53, s57
	s_addc_u32 s0, s0, s1
	s_mul_i32 s1, s14, s52
	s_mul_hi_u32 s17, s14, s12
	s_add_i32 s1, s17, s1
	s_mul_i32 s0, s0, s12
	s_add_i32 s1, s1, s0
	s_mul_i32 s14, s14, s12
	s_add_u32 s24, s14, s26
	s_addc_u32 s25, s1, s3
.LBB554_9:
	s_mul_i32 s0, s40, s52
	s_add_i32 s0, s59, s0
	s_add_i32 s14, s58, s54
	;; [unrolled: 1-line block ×3, first 2 shown]
	s_add_u32 s0, s16, s26
	s_addc_u32 s1, s1, s3
	s_mov_b32 s3, 0x7060302
	v_lshlrev_b32_e32 v14, 3, v54
	s_lshl_b64 s[20:21], s[0:1], 8
	v_perm_b32 v11, v5, v4, s3
	v_perm_b32 v10, v3, v2, s3
	v_perm_b32 v13, v9, v8, s3
	v_perm_b32 v12, v7, v6, s3
	v_lshlrev_b32_e32 v48, 2, v54
	v_lshl_or_b32 v14, v57, 5, v14
	s_waitcnt lgkmcnt(0)
	s_add_u32 s0, s6, s20
	ds_write2st64_b64 v14, v[10:11], v[12:13] offset0:72 offset1:76
	v_xor_b32_e32 v14, v57, v48
	v_lshlrev_b32_e32 v15, 8, v54
	s_addc_u32 s1, s7, s21
	v_lshl_or_b32 v14, v14, 1, v15
	s_mul_hi_i32 s3, s14, s13
	s_mul_i32 s14, s14, s13
	ds_write_b64 v14, v[10:11] offset:32768
	v_xor_b32_e32 v10, v58, v48
	s_add_u32 s6, s14, s51
	v_lshl_or_b32 v10, v10, 1, v15
	s_addc_u32 s7, s3, s55
	v_lshlrev_b32_e32 v11, 1, v54
	ds_write_b64 v10, v[12:13] offset:32768
	v_lshrrev_b32_e32 v10, 4, v0
	s_ashr_i32 s3, s2, 31
	s_lshl_b64 s[6:7], s[6:7], 15
	v_or_b32_e32 v12, 1, v11
	s_add_u32 s6, s18, s6
	v_xor_b32_e32 v11, v10, v11
	v_xor_b32_e32 v12, v12, v10
	v_lshlrev_b32_e32 v14, 8, v10
	s_addc_u32 s7, s19, s7
	s_lshl_b64 s[2:3], s[2:3], 8
	v_lshl_or_b32 v10, v11, 3, v14
	v_lshl_or_b32 v12, v12, 3, v14
	s_waitcnt lgkmcnt(0)
	s_barrier
	s_add_u32 s2, s6, s2
	ds_read_b64 v[10:11], v10 offset:32768
	ds_read_b64 v[12:13], v12 offset:32768
	s_addc_u32 s3, s7, s3
	v_mov_b32_e32 v15, 0
	s_cmp_lg_u32 s27, 64
	v_lshl_add_u64 v[16:17], s[2:3], 0, v[14:15]
	v_lshlrev_b32_e32 v14, 4, v54
	s_cselect_b64 s[6:7], -1, 0
	v_lshl_or_b32 v47, v1, 3, v56
	s_mov_b32 s16, 0
	v_lshl_add_u64 v[14:15], v[16:17], 0, v[14:15]
	s_waitcnt vmcnt(1)
	v_or_b32_e32 v27, 32, v47
	v_and_b32_e32 v26, 56, v55
	s_and_b64 vcc, exec, s[6:7]
	s_waitcnt lgkmcnt(0)
	global_store_dwordx4 v[14:15], v[10:13], off
	s_cbranch_vccz .LBB554_15
; %bb.10:
	s_mov_b32 s17, s16
	s_mov_b32 s18, s16
	;; [unrolled: 1-line block ×3, first 2 shown]
	v_mov_b64_e32 v[14:15], s[16:17]
	v_mov_b64_e32 v[16:17], s[18:19]
	;; [unrolled: 1-line block ×3, first 2 shown]
	v_cmp_gt_i32_e32 vcc, s27, v47
	v_mov_b64_e32 v[12:13], v[16:17]
	s_and_saveexec_b64 s[2:3], vcc
	s_cbranch_execz .LBB554_12
; %bb.11:
	v_lshlrev_b32_e32 v10, 8, v47
	v_mov_b32_e32 v11, 0
	v_lshl_add_u64 v[12:13], s[0:1], 0, v[10:11]
	v_lshlrev_b32_e32 v10, 1, v26
	v_lshl_add_u64 v[18:19], v[12:13], 0, v[10:11]
	global_load_dwordx4 v[14:17], v[18:19], off
	global_load_dwordx4 v[10:13], v[18:19], off offset:128
.LBB554_12:
	s_or_b64 exec, exec, s[2:3]
	s_mov_b32 s18, s16
	s_mov_b32 s19, s16
	;; [unrolled: 1-line block ×3, first 2 shown]
	v_mov_b64_e32 v[24:25], s[18:19]
	v_mov_b64_e32 v[22:23], s[16:17]
	;; [unrolled: 1-line block ×3, first 2 shown]
	v_cmp_gt_i32_e32 vcc, s27, v27
	v_lshlrev_b32_e32 v28, 7, v27
	v_mov_b64_e32 v[20:21], v[24:25]
	s_and_saveexec_b64 s[2:3], vcc
	s_cbranch_execz .LBB554_14
; %bb.13:
	v_lshlrev_b32_e32 v18, 1, v28
	v_mov_b32_e32 v19, 0
	v_lshl_add_u64 v[20:21], s[0:1], 0, v[18:19]
	v_lshlrev_b32_e32 v18, 1, v26
	v_lshl_add_u64 v[30:31], v[20:21], 0, v[18:19]
	global_load_dwordx4 v[22:25], v[30:31], off
	global_load_dwordx4 v[18:21], v[30:31], off offset:128
.LBB554_14:
	s_or_b64 exec, exec, s[2:3]
	v_lshrrev_b32_e32 v29, 3, v26
	v_lshlrev_b32_e32 v30, 3, v47
	v_or_b32_e32 v29, v30, v29
	v_lshlrev_b32_e32 v29, 4, v29
	v_and_b32_e32 v30, 0x78, v30
	v_xor_b32_e32 v29, v29, v30
	s_branch .LBB554_17
.LBB554_15:
                                        ; implicit-def: $vgpr29
                                        ; implicit-def: $vgpr28
                                        ; implicit-def: $vgpr14_vgpr15_vgpr16_vgpr17
                                        ; implicit-def: $vgpr10_vgpr11_vgpr12_vgpr13
                                        ; implicit-def: $vgpr22_vgpr23_vgpr24_vgpr25
                                        ; implicit-def: $vgpr18_vgpr19_vgpr20_vgpr21
	s_cbranch_execz .LBB554_17
; %bb.16:
	s_waitcnt vmcnt(0)
	v_lshlrev_b32_e32 v10, 1, v26
	v_lshl_or_b32 v28, v47, 8, v10
	s_and_b32 s1, s1, 0xffff
	s_mov_b32 s3, 0x20000
	s_movk_i32 s2, 0x4000
	v_lshl_or_b32 v29, v27, 8, v10
	s_movk_i32 s13, 0x80
	buffer_load_dwordx4 v[14:17], v28, s[0:3], 0 offen
	buffer_load_dwordx4 v[10:13], v28, s[0:3], s13 offen
	;; [unrolled: 1-line block ×4, first 2 shown]
	v_lshrrev_b32_e32 v28, 3, v26
	v_lshlrev_b32_e32 v29, 3, v47
	v_or_b32_e32 v28, v29, v28
	v_lshlrev_b32_e32 v28, 4, v28
	v_and_b32_e32 v29, 0x78, v29
	v_xor_b32_e32 v29, v28, v29
	v_lshlrev_b32_e32 v28, 7, v27
.LBB554_17:
	s_lshl_b64 s[0:1], s[24:25], 8
	s_add_u32 s4, s4, s0
	s_movk_i32 s0, 0x1000
	v_and_or_b32 v27, v28, s0, v29
	s_waitcnt vmcnt(1)
	ds_write_b64 v29, v[14:15] offset:16384
	v_xor_b32_e32 v14, 8, v29
	ds_write_b64 v14, v[16:17] offset:16384
	s_waitcnt vmcnt(0)
	ds_write_b64 v29, v[10:11] offset:24576
	ds_write_b64 v14, v[12:13] offset:24576
	;; [unrolled: 1-line block ×3, first 2 shown]
	v_xor_b32_e32 v10, 8, v27
	ds_write_b64 v10, v[24:25] offset:16384
	ds_write_b64 v27, v[18:19] offset:24576
	;; [unrolled: 1-line block ×3, first 2 shown]
	v_or_b32_e32 v10, v52, v54
	s_addc_u32 s5, s5, s1
	s_add_i32 s0, s12, -1
	v_lshlrev_b32_e32 v10, 3, v10
	v_lshrrev_b32_e32 v12, 5, v45
	s_movk_i32 s12, 0xf8
	v_and_or_b32 v12, v10, s12, v12
	v_lshlrev_b32_e32 v49, 11, v1
	v_lshlrev_b32_e32 v20, 4, v12
	v_and_b32_e32 v21, 0x78, v10
	v_and_b32_e32 v22, 0x1000, v49
	v_lshlrev_b32_e32 v11, 2, v0
	v_xor_b32_e32 v10, v20, v21
	v_lshrrev_b32_e32 v12, 1, v45
	v_and_b32_e32 v11, 60, v11
	v_or_b32_e32 v10, v10, v22
	v_and_b32_e32 v23, 8, v12
	v_xor_b32_e32 v34, v10, v23
	v_lshl_or_b32 v10, v53, 6, v11
	v_lshlrev_b32_e32 v50, 1, v10
	v_or_b32_e32 v10, 32, v20
	v_xor_b32_e32 v10, v10, v21
	s_waitcnt lgkmcnt(0)
	s_barrier
	ds_read_b64 v[18:19], v34 offset:16384
	v_or_b32_e32 v10, v10, v22
	v_xor_b32_e32 v35, v10, v23
	v_or_b32_e32 v10, 64, v20
	v_xor_b32_e32 v10, v10, v21
	v_or_b32_e32 v10, v10, v22
	v_or_b32_e32 v20, 0x60, v20
	v_xor_b32_e32 v36, v10, v23
	ds_read2st64_b64 v[10:13], v50 offset0:72 offset1:73
	ds_read2st64_b64 v[14:17], v50 offset0:74 offset1:75
	v_xor_b32_e32 v24, v20, v21
	ds_read_b64 v[20:21], v35 offset:16384
	s_add_i32 s1, s46, s33
	s_waitcnt lgkmcnt(2)
	v_mfma_f32_16x16x16_bf16 a[0:3], v[18:19], v[10:11], 0
	s_add_i32 s39, s1, s50
	s_add_i32 s1, s48, s47
	;; [unrolled: 1-line block ×3, first 2 shown]
	s_ashr_i32 s1, s0, 31
	s_mul_i32 s2, s0, s35
	s_mul_hi_u32 s3, s0, s34
	s_add_i32 s2, s3, s2
	s_mul_i32 s1, s1, s34
	v_or_b32_e32 v22, v24, v22
	s_add_i32 s1, s2, s1
	s_lshl_b64 s[2:3], s[38:39], 2
	v_xor_b32_e32 v51, v22, v23
	ds_read_b64 v[22:23], v36 offset:16384
	ds_read_b64 v[24:25], v51 offset:16384
	s_waitcnt lgkmcnt(2)
	v_mfma_f32_16x16x16_bf16 a[0:3], v[20:21], v[12:13], a[0:3]
	s_add_u32 s10, s10, s2
	s_addc_u32 s11, s11, s3
	s_lshl_b64 s[2:3], s[36:37], 2
	s_mul_i32 s0, s0, s34
	s_add_u32 s10, s10, s2
	s_addc_u32 s11, s11, s3
	s_lshl_b64 s[0:1], s[0:1], 2
	s_waitcnt lgkmcnt(1)
	v_mfma_f32_16x16x16_bf16 a[0:3], v[22:23], v[14:15], a[0:3]
	s_add_u32 s0, s10, s0
	s_addc_u32 s1, s11, s1
	s_load_dword s12, s[0:1], 0x0
	s_waitcnt lgkmcnt(0)
	v_mfma_f32_16x16x16_bf16 a[0:3], v[24:25], v[16:17], a[0:3]
	s_and_b64 vcc, exec, s[22:23]
	s_cbranch_vccz .LBB554_28
; %bb.18:
	v_lshlrev_b32_e32 v27, 1, v47
	s_and_b64 vcc, exec, s[6:7]
	s_cbranch_vccz .LBB554_44
; %bb.19:
	v_cmp_gt_i32_e32 vcc, s27, v27
	v_mov_b32_e32 v14, 0
	v_mov_b32_e32 v10, 0
	;; [unrolled: 1-line block ×5, first 2 shown]
	s_and_saveexec_b64 s[0:1], vcc
	s_cbranch_execz .LBB554_21
; %bb.20:
	v_mad_i64_i32 v[10:11], s[2:3], s15, v27, 0
	v_lshl_add_u64 v[10:11], v[10:11], 1, s[4:5]
	v_lshlrev_b32_e32 v12, 1, v26
	v_mov_b32_e32 v13, 0
	v_lshl_add_u64 v[10:11], v[10:11], 0, v[12:13]
	global_load_dwordx4 v[10:13], v[10:11], off
.LBB554_21:
	s_or_b64 exec, exec, s[0:1]
	v_or_b32_e32 v28, 1, v27
	v_cmp_gt_i32_e64 s[0:1], s27, v28
	v_mov_b32_e32 v15, 0
	v_mov_b32_e32 v16, 0
	;; [unrolled: 1-line block ×3, first 2 shown]
	s_and_saveexec_b64 s[2:3], s[0:1]
	s_cbranch_execz .LBB554_23
; %bb.22:
	v_mad_i64_i32 v[14:15], s[16:17], s15, v28, 0
	v_lshl_add_u64 v[14:15], v[14:15], 1, s[4:5]
	v_lshlrev_b32_e32 v16, 1, v26
	v_mov_b32_e32 v17, 0
	v_lshl_add_u64 v[14:15], v[14:15], 0, v[16:17]
	global_load_dwordx4 v[14:17], v[14:15], off
.LBB554_23:
	s_or_b64 exec, exec, s[2:3]
	v_mov_b32_e32 v25, 0
	v_mov_b32_e32 v18, 0
	;; [unrolled: 1-line block ×5, first 2 shown]
	s_and_saveexec_b64 s[2:3], vcc
	s_cbranch_execz .LBB554_25
; %bb.24:
	v_mad_i64_i32 v[18:19], s[16:17], s15, v27, 0
	v_lshl_add_u64 v[18:19], v[18:19], 1, s[4:5]
	v_lshlrev_b32_e32 v20, 1, v26
	v_mov_b32_e32 v21, 0
	v_lshl_add_u64 v[18:19], v[18:19], 0, v[20:21]
	global_load_dwordx4 v[18:21], v[18:19], off offset:128
.LBB554_25:
	s_or_b64 exec, exec, s[2:3]
	v_mov_b32_e32 v24, 0
	v_mov_b32_e32 v23, 0
	;; [unrolled: 1-line block ×3, first 2 shown]
	s_and_saveexec_b64 s[2:3], s[0:1]
	s_cbranch_execz .LBB554_27
; %bb.26:
	v_mad_i64_i32 v[22:23], s[0:1], s15, v28, 0
	v_lshl_add_u64 v[22:23], v[22:23], 1, s[4:5]
	v_lshlrev_b32_e32 v24, 1, v26
	v_mov_b32_e32 v25, 0
	v_lshl_add_u64 v[22:23], v[22:23], 0, v[24:25]
	global_load_dwordx4 v[22:25], v[22:23], off offset:128
.LBB554_27:
	s_or_b64 exec, exec, s[2:3]
	s_branch .LBB554_46
.LBB554_28:
                                        ; implicit-def: $vgpr13
                                        ; implicit-def: $vgpr17
                                        ; implicit-def: $vgpr21
                                        ; implicit-def: $vgpr25
	v_lshrrev_b32_e32 v45, 2, v45
	s_branch .LBB554_47
.LBB554_29:
                                        ; implicit-def: $vgpr10
                                        ; implicit-def: $vgpr11
                                        ; implicit-def: $sgpr22
	v_lshl_or_b32 v5, v61, 9, v5
.LBB554_30:
	v_or_b32_e32 v10, 0x100, v5
	s_movk_i32 s22, 0x4000
	v_mov_b32_e32 v11, v5
.LBB554_31:
	s_mul_hi_u32 s20, s14, s12
	s_mul_i32 s21, s56, s12
	s_add_i32 s20, s20, s21
	s_mul_i32 s21, s14, s12
	s_mul_i32 s23, s21, s3
	s_mul_hi_u32 s24, s21, s53
	s_add_i32 s23, s24, s23
	s_mul_i32 s20, s20, s53
	s_add_i32 s23, s23, s20
	s_mul_i32 s21, s21, s53
	s_ashr_i32 s61, s57, 31
	s_add_u32 s20, s21, s57
	s_addc_u32 s21, s23, s61
	s_lshl_b64 s[20:21], s[20:21], 8
	s_add_u32 s20, s4, s20
	s_addc_u32 s21, s5, s21
	s_and_b32 s21, s21, 0xffff
	s_mov_b32 s23, 0x20000
	s_movk_i32 s62, 0x80
	buffer_load_dwordx4 v[12:15], v11, s[20:23], 0 offen
	buffer_load_dwordx4 v[16:19], v11, s[20:23], s62 offen
	;; [unrolled: 1-line block ×4, first 2 shown]
	v_and_b32_e32 v10, 6, v0
	v_lshlrev_b32_e32 v28, 2, v54
	v_lshlrev_b32_e32 v29, 3, v54
	v_xor_b32_e32 v31, v61, v10
	v_and_b32_e32 v11, 1, v0
	s_mul_i32 s3, s3, s12
	s_mul_hi_u32 s20, s53, s12
	v_lshl_or_b32 v29, v57, 5, v29
	v_xor_b32_e32 v32, v57, v28
	v_lshlrev_b32_e32 v31, 2, v31
	v_or_b32_e32 v67, 0x9000, v29
	v_or_b32_e32 v68, 0x9800, v29
	v_lshlrev_b32_e32 v29, 1, v32
	v_xor_b32_e32 v32, 0x440, v31
	v_cmp_eq_u32_e32 vcc, 0, v11
	s_add_i32 s67, s20, s3
	s_add_i32 s3, s46, s33
	v_cndmask_b32_e32 v11, v32, v31, vcc
	s_add_i32 s20, s48, s47
	s_add_i32 s39, s3, s50
	s_mov_b32 s64, 0x1000504
	v_lshlrev_b32_e32 v30, 8, v54
	s_mov_b32 s22, 0x8000
	v_xor_b32_e32 v28, v58, v28
	v_lshl_or_b32 v10, v10, 10, v11
	s_add_i32 s37, s20, s49
	s_lshl_b64 s[20:21], s[38:39], 2
	s_mov_b32 s65, 0x3020706
	v_lshlrev_b32_e32 v28, 1, v28
	v_or3_b32 v69, v29, v30, s22
	v_xor_b32_e32 v11, 8, v10
	v_xor_b32_e32 v29, 24, v10
	;; [unrolled: 1-line block ×4, first 2 shown]
	s_add_u32 s3, s10, s20
	v_or3_b32 v70, v28, v30, s22
	v_xor_b32_e32 v28, 16, v10
	v_xor_b32_e32 v30, 32, v10
	;; [unrolled: 1-line block ×3, first 2 shown]
	v_add_u32_e32 v11, 0x80, v11
	v_add_u32_e32 v29, 0x80, v29
	;; [unrolled: 1-line block ×4, first 2 shown]
	s_addc_u32 s24, s11, s21
	s_lshl_b64 s[20:21], s[36:37], 2
	s_add_u32 s42, s3, s20
	s_movk_i32 s3, 0xf8
	s_addc_u32 s43, s24, s21
	v_ashrrev_i32_e32 v47, 31, v46
	s_lshl_b32 s26, s15, 7
	s_mov_b32 s63, 0
	s_mul_i32 s66, s53, s12
	s_mov_b32 s39, 0
	s_waitcnt vmcnt(1)
	v_perm_b32 v34, v12, v20, s64
	s_waitcnt vmcnt(0)
	v_perm_b32 v35, v16, v24, s64
	v_perm_b32 v12, v12, v20, s65
	;; [unrolled: 1-line block ×15, first 2 shown]
	ds_write2st64_b32 v10, v34, v35 offset1:32
	ds_write2st64_b32 v11, v12, v16 offset1:32
	ds_write2st64_b32 v28, v20, v24 offset0:1 offset1:33
	ds_write2st64_b32 v29, v13, v17 offset0:1 offset1:33
	;; [unrolled: 1-line block ×6, first 2 shown]
	v_or_b32_e32 v10, v52, v54
	v_lshlrev_b32_e32 v10, 3, v10
	v_lshrrev_b32_e32 v12, 5, v45
	v_and_or_b32 v12, v10, s3, v12
	v_lshlrev_b32_e32 v12, 4, v12
	v_lshlrev_b32_e32 v16, 11, v1
	v_and_b32_e32 v10, 0x78, v10
	v_or_b32_e32 v15, 32, v12
	v_and_b32_e32 v11, 0x1000, v16
	v_xor_b32_e32 v13, v12, v10
	v_lshrrev_b32_e32 v17, 1, v0
	v_xor_b32_e32 v15, v15, v10
	v_or_b32_e32 v13, v13, v11
	v_and_b32_e32 v14, 8, v17
	v_or_b32_e32 v15, v15, v11
	v_xor_b32_e32 v71, v13, v14
	v_and_b32_e32 v13, 0x78, v55
	v_xor_b32_e32 v73, v15, v14
	v_or_b32_e32 v15, 64, v12
	v_or_b32_e32 v12, 0x60, v12
	v_lshl_or_b32 v13, v53, 7, v13
	v_xor_b32_e32 v15, v15, v10
	v_xor_b32_e32 v10, v12, v10
	v_or_b32_e32 v72, 0x9000, v13
	v_or_b32_e32 v15, v15, v11
	;; [unrolled: 1-line block ×4, first 2 shown]
	v_lshrrev_b32_e32 v12, 4, v0
	v_lshlrev_b32_e32 v13, 1, v54
	v_xor_b32_e32 v74, v15, v14
	v_xor_b32_e32 v75, v10, v14
	s_ashr_i32 s3, s2, 31
	v_or_b32_e32 v14, 1, v13
	v_xor_b32_e32 v13, v12, v13
	s_lshl_b64 s[20:21], s[2:3], 8
	v_xor_b32_e32 v14, v14, v12
	v_lshlrev_b32_e32 v13, 3, v13
	v_lshlrev_b32_e32 v12, 8, v12
	v_lshl_add_u64 v[10:11], v[46:47], 1, s[8:9]
	s_add_u32 s20, s18, s20
	v_or3_b32 v47, v13, v12, s22
	v_lshlrev_b32_e32 v13, 3, v14
	s_addc_u32 s21, s19, s21
	v_or3_b32 v77, v13, v12, s22
	v_mov_b32_e32 v13, 0
	v_lshl_add_u64 v[14:15], s[20:21], 0, v[12:13]
	v_lshlrev_b32_e32 v12, 4, v54
	s_movk_i32 s3, 0xff
	v_lshlrev_b32_e32 v21, 3, v1
	v_and_b32_e32 v17, 24, v17
	v_lshl_add_u64 v[48:49], v[14:15], 0, v[12:13]
	v_and_b32_e32 v14, 8, v0
	v_cmp_lt_u32_e32 vcc, s3, v0
	v_xor_b32_e32 v22, v21, v17
	v_or_b32_e32 v23, 0x440, v22
	v_cndmask_b32_e64 v20, 0, 1, vcc
	v_cmp_eq_u32_e32 vcc, 0, v14
	v_and_b32_e32 v12, 7, v0
	v_lshlrev_b32_e32 v15, 3, v12
	v_cndmask_b32_e32 v14, v23, v22, vcc
	v_lshlrev_b32_e32 v12, 7, v12
	v_or_b32_e32 v14, v14, v16
	v_xad_u32 v78, v14, v15, v12
	v_or_b32_e32 v14, 32, v17
	v_xor_b32_e32 v14, v21, v14
	v_or_b32_e32 v22, 0x440, v14
	v_cndmask_b32_e32 v14, v22, v14, vcc
	v_or_b32_e32 v14, v14, v16
	v_xad_u32 v79, v14, v15, v12
	v_or_b32_e32 v14, 64, v17
	v_xor_b32_e32 v14, v21, v14
	v_xor_b32_e32 v22, 0x440, v14
	v_cndmask_b32_e32 v14, v22, v14, vcc
	v_or_b32_e32 v14, v14, v16
	v_xad_u32 v80, v14, v15, v12
	v_or_b32_e32 v14, 0x60, v17
	v_xor_b32_e32 v14, v21, v14
	v_xor_b32_e32 v17, 0x440, v14
	v_cndmask_b32_e32 v14, v17, v14, vcc
	v_or_b32_e32 v14, v14, v16
	v_lshlrev_b32_e32 v18, 1, v9
	v_add_lshl_u32 v9, v9, s15, 1
	v_or_b32_e32 v19, 0x100, v5
	v_lshlrev_b32_e32 v20, 13, v20
	v_xad_u32 v81, v14, v15, v12
	v_lshlrev_b32_e32 v12, 8, v57
	v_cndmask_b32_e64 v82, v18, v5, s[0:1]
	v_cndmask_b32_e64 v83, v9, v19, s[0:1]
	v_lshl_add_u64 v[50:51], v[10:11], 0, v[12:13]
	s_mov_b32 s3, 0x7060302
	s_movk_i32 s22, 0x4000
	v_add_u32_e32 v84, v20, v78
	v_add_u32_e32 v85, v20, v79
	;; [unrolled: 1-line block ×4, first 2 shown]
	s_waitcnt lgkmcnt(0)
	s_barrier
.LBB554_32:                             ; =>This Inner Loop Header: Depth=1
	s_add_i32 s37, s39, 1
	s_cmp_lt_i32 s37, s54
	s_mov_b64 s[24:25], 0
	s_cselect_b64 s[44:45], -1, 0
	s_cmp_ge_i32 s37, s54
	s_mov_b64 s[20:21], 0
	s_cbranch_scc1 .LBB554_34
; %bb.33:                               ;   in Loop: Header=BB554_32 Depth=1
	s_add_i32 s0, s63, 64
	s_add_u32 s0, s16, s0
	s_addc_u32 s1, s17, 0
	s_lshl_b64 s[0:1], s[0:1], 8
	s_add_u32 s20, s6, s0
	s_addc_u32 s21, s7, s1
.LBB554_34:                             ;   in Loop: Header=BB554_32 Depth=1
	v_cndmask_b32_e64 v5, 0, 1, s[44:45]
	v_cmp_ne_u32_e64 s[0:1], 1, v5
	s_andn2_b64 vcc, exec, s[44:45]
	s_cbranch_vccnz .LBB554_36
; %bb.35:                               ;   in Loop: Header=BB554_32 Depth=1
	s_add_i32 s24, s63, 64
	s_add_u32 s24, s66, s24
	s_addc_u32 s25, s67, 0
	s_mul_i32 s27, s24, s56
	s_mul_hi_u32 s44, s24, s60
	s_add_i32 s27, s44, s27
	s_mul_i32 s25, s25, s60
	s_add_i32 s27, s27, s25
	s_mul_i32 s24, s24, s60
	s_add_u32 s24, s24, s57
	s_addc_u32 s25, s27, s61
	s_lshl_b64 s[24:25], s[24:25], 8
	s_add_u32 s24, s4, s24
	s_addc_u32 s25, s5, s25
.LBB554_36:                             ;   in Loop: Header=BB554_32 Depth=1
	v_perm_b32 v11, v59, v4, s3
	v_perm_b32 v10, v3, v2, s3
	;; [unrolled: 1-line block ×4, first 2 shown]
	ds_write_b64 v67, v[10:11]
	ds_write_b64 v68, v[12:13]
	;; [unrolled: 1-line block ×4, first 2 shown]
	s_waitcnt lgkmcnt(0)
	s_barrier
	ds_read_b64 v[18:19], v71 offset:16384
	ds_read_b64 v[20:21], v73 offset:16384
	ds_read2st64_b64 v[10:13], v72 offset1:1
	ds_read2st64_b64 v[14:17], v72 offset0:2 offset1:3
	ds_read_b64 v[22:23], v74 offset:16384
	s_waitcnt lgkmcnt(2)
	v_mfma_f32_16x16x16_bf16 a[0:3], v[18:19], v[10:11], 0
	ds_read_b64 v[10:11], v75 offset:16384
	s_add_i32 s27, s63, 63
	s_mul_i32 s44, s27, s35
	v_mfma_f32_16x16x16_bf16 a[0:3], v[20:21], v[12:13], a[0:3]
	s_mul_hi_u32 s45, s27, s34
	s_add_i32 s45, s45, s44
	s_mul_i32 s44, s27, s34
	s_waitcnt lgkmcnt(1)
	v_mfma_f32_16x16x16_bf16 a[0:3], v[22:23], v[14:15], a[0:3]
	s_lshl_b64 s[44:45], s[44:45], 2
	s_add_u32 s44, s42, s44
	s_addc_u32 s45, s43, s45
	s_waitcnt lgkmcnt(0)
	v_mfma_f32_16x16x16_bf16 a[0:3], v[10:11], v[16:17], a[0:3]
	s_and_b64 vcc, exec, s[0:1]
	v_mov_b32_e32 v88, 0
	v_mov_b32_e32 v9, 0
	;; [unrolled: 1-line block ×19, first 2 shown]
	s_cbranch_vccnz .LBB554_38
; %bb.37:                               ;   in Loop: Header=BB554_32 Depth=1
	s_and_b32 s21, s21, 0xffff
	buffer_load_dwordx4 v[22:25], v63, s[20:23], 0 offen
	buffer_load_dwordx4 v[18:21], v63, s[20:23], s62 offen
	;; [unrolled: 1-line block ×4, first 2 shown]
	v_mov_b32_e32 v9, v65
	v_mov_b32_e32 v5, v66
.LBB554_38:                             ;   in Loop: Header=BB554_32 Depth=1
	s_waitcnt vmcnt(3)
	v_add_u32_e32 v32, s63, v57
	s_waitcnt vmcnt(1)
	v_ashrrev_i32_e32 v26, 31, v32
	v_mul_lo_u32 v28, v26, s34
	v_mul_lo_u32 v29, v32, s35
	v_mad_u64_u32 v[26:27], s[20:21], v32, s34, 0
	v_add3_u32 v27, v27, v29, v28
	v_add_u32_e32 v28, 1, v32
	v_ashrrev_i32_e32 v29, 31, v28
	v_mul_lo_u32 v30, v29, s34
	v_mul_lo_u32 v31, v28, s35
	v_mad_u64_u32 v[28:29], s[20:21], v28, s34, 0
	v_add3_u32 v29, v29, v31, v30
	v_add_u32_e32 v30, 2, v32
	v_ashrrev_i32_e32 v31, 31, v30
	v_mul_lo_u32 v33, v31, s34
	v_mul_lo_u32 v34, v30, s35
	v_mad_u64_u32 v[30:31], s[20:21], v30, s34, 0
	v_add_u32_e32 v32, 3, v32
	v_add3_u32 v31, v31, v34, v33
	v_ashrrev_i32_e32 v33, 31, v32
	v_mul_lo_u32 v36, v33, s34
	v_mul_lo_u32 v37, v32, s35
	v_mad_u64_u32 v[32:33], s[20:21], v32, s34, 0
	s_add_u32 s20, s16, s63
	s_addc_u32 s21, s17, 0
	s_lshl_b64 s[20:21], s[20:21], 8
	v_lshl_add_u64 v[26:27], v[26:27], 2, s[42:43]
	v_lshl_add_u64 v[34:35], v[50:51], 0, s[20:21]
	;; [unrolled: 1-line block ×3, first 2 shown]
	global_load_ushort v98, v[34:35], off
	global_load_ushort v99, v[34:35], off offset:256
	global_load_ushort v100, v[34:35], off offset:512
	;; [unrolled: 1-line block ×3, first 2 shown]
	v_add3_u32 v33, v33, v37, v36
	global_load_dword v102, v[26:27], off
	v_lshl_add_u64 v[30:31], v[30:31], 2, s[42:43]
	v_lshl_add_u64 v[26:27], v[32:33], 2, s[42:43]
	global_load_dword v103, v[28:29], off
	global_load_dword v104, v[30:31], off
	;; [unrolled: 1-line block ×3, first 2 shown]
	s_load_dword s20, s[44:45], 0x0
	ds_read2st64_b64 v[34:37], v76 offset1:1
	ds_read2st64_b64 v[90:93], v76 offset0:2 offset1:3
	ds_read_b64 v[38:39], v71 offset:24576
	ds_read_b64 v[40:41], v73 offset:24576
	;; [unrolled: 1-line block ×4, first 2 shown]
	s_waitcnt lgkmcnt(0)
	v_mfma_f32_16x16x16_bf16 a[0:3], v[38:39], v[34:35], a[0:3]
	v_mov_b32_e32 v89, 0
	v_mov_b32_e32 v26, 0
	v_mov_b32_e32 v27, 0
	v_mfma_f32_16x16x16_bf16 a[0:3], v[40:41], v[36:37], a[0:3]
	v_mov_b32_e32 v28, 0
	v_mov_b32_e32 v29, 0
	v_mov_b32_e32 v30, 0
	;; [unrolled: 4-line block ×4, first 2 shown]
	v_mov_b32_e32 v37, 0
	v_mov_b32_e32 v38, 0
	;; [unrolled: 1-line block ×4, first 2 shown]
	v_accvgpr_read_b32 v93, a1
	v_accvgpr_read_b32 v91, a3
	;; [unrolled: 1-line block ×4, first 2 shown]
	s_and_b64 vcc, exec, s[0:1]
	s_waitcnt vmcnt(7)
	v_lshlrev_b32_e32 v94, 16, v98
	s_waitcnt vmcnt(6)
	v_lshlrev_b32_e32 v95, 16, v99
	;; [unrolled: 2-line block ×4, first 2 shown]
	v_pk_add_f32 v[92:93], v[94:95], v[92:93] neg_lo:[0,1] neg_hi:[0,1]
	s_waitcnt vmcnt(3)
	v_sub_f32_e32 v41, s20, v102
	v_exp_f32_e32 v98, v41
	s_waitcnt vmcnt(2)
	v_sub_f32_e32 v41, s20, v103
	s_waitcnt vmcnt(1)
	v_sub_f32_e32 v100, s20, v104
	;; [unrolled: 2-line block ×3, first 2 shown]
	v_exp_f32_e32 v99, v41
	v_exp_f32_e32 v100, v100
	;; [unrolled: 1-line block ×3, first 2 shown]
	v_pk_add_f32 v[90:91], v[96:97], v[90:91] neg_lo:[0,1] neg_hi:[0,1]
	v_pk_mul_f32 v[92:93], v[98:99], v[92:93]
	v_mov_b32_e32 v41, 0
	v_pk_mul_f32 v[90:91], v[100:101], v[90:91]
	s_nop 0
	v_perm_b32 v91, v91, v90, s3
	v_perm_b32 v90, v93, v92, s3
	ds_write_b64 v68, v[90:91]
	s_cbranch_vccnz .LBB554_40
; %bb.39:                               ;   in Loop: Header=BB554_32 Depth=1
	s_and_b32 s25, s25, 0xffff
	s_mov_b32 s27, s23
	buffer_load_dwordx4 v[38:41], v82, s[24:27], 0 offen
	buffer_load_dwordx4 v[30:33], v82, s[24:27], s62 offen
	buffer_load_dwordx4 v[34:37], v83, s[24:27], 0 offen
	buffer_load_dwordx4 v[26:29], v83, s[24:27], s62 offen
	v_mov_b32_e32 v88, v62
	v_mov_b32_e32 v89, v61
.LBB554_40:                             ;   in Loop: Header=BB554_32 Depth=1
	s_waitcnt lgkmcnt(0)
	s_barrier
	ds_read_b64 v[98:99], v84
	ds_read2st64_b64 v[90:93], v76 offset1:1
	ds_read2st64_b64 v[94:97], v76 offset0:2 offset1:3
	ds_read_b64 v[100:101], v85
	ds_read_b64 v[102:103], v86
	;; [unrolled: 1-line block ×3, first 2 shown]
	s_waitcnt lgkmcnt(4)
	v_mfma_f32_16x16x16_bf16 a[0:3], v[98:99], v[90:91], 0
	ds_read_b64 v[98:99], v78 offset:8192
	ds_read_b64 v[106:107], v79 offset:8192
	s_add_i32 s21, s58, s39
	s_mul_hi_i32 s25, s21, s13
	s_waitcnt lgkmcnt(1)
	v_mfma_f32_16x16x16_bf16 a[4:7], v[98:99], v[90:91], 0
	s_mul_i32 s21, s21, s13
	s_add_u32 s24, s21, s51
	s_addc_u32 s25, s25, s55
	v_mfma_f32_16x16x16_bf16 a[0:3], v[100:101], v[92:93], a[0:3]
	ds_read_b64 v[98:99], v47
	ds_read_b64 v[100:101], v77
	ds_read_b64 v[90:91], v80 offset:8192
	s_lshl_b64 s[24:25], s[24:25], 15
	v_mfma_f32_16x16x16_bf16 a[0:3], v[102:103], v[94:95], a[0:3]
	ds_read_b64 v[102:103], v81 offset:8192
	s_and_b64 vcc, exec, s[0:1]
	s_waitcnt lgkmcnt(4)
	v_mfma_f32_16x16x16_bf16 a[4:7], v[106:107], v[92:93], a[4:7]
	s_waitcnt lgkmcnt(1)
	v_mfma_f32_16x16x16_bf16 a[4:7], v[90:91], v[94:95], a[4:7]
	v_lshl_add_u64 v[90:91], v[48:49], 0, s[24:25]
	global_store_dwordx4 v[90:91], v[98:101], off
	v_mfma_f32_16x16x16_bf16 a[0:3], v[104:105], v[96:97], a[0:3]
	s_waitcnt lgkmcnt(0)
	v_mfma_f32_16x16x16_bf16 a[4:7], v[102:103], v[96:97], a[4:7]
	s_cbranch_vccnz .LBB554_42
; %bb.41:                               ;   in Loop: Header=BB554_32 Depth=1
	v_lshrrev_b32_e32 v90, 3, v88
	v_and_b32_e32 v90, 6, v90
	v_xor_b32_e32 v89, v90, v89
	v_lshlrev_b32_e32 v89, 2, v89
	v_and_b32_e32 v88, 8, v88
	v_xor_b32_e32 v91, 0x440, v89
	v_cmp_eq_u32_e32 vcc, 0, v88
	s_barrier
	s_nop 0
	v_cndmask_b32_e32 v88, v91, v89, vcc
	v_lshl_or_b32 v88, v90, 10, v88
	s_waitcnt vmcnt(2)
	v_perm_b32 v89, v38, v34, s64
	s_waitcnt vmcnt(1)
	v_perm_b32 v90, v30, v26, s64
	ds_write2st64_b32 v88, v89, v90 offset1:32
	v_xor_b32_e32 v89, 8, v88
	v_perm_b32 v34, v38, v34, s65
	v_perm_b32 v26, v30, v26, s65
	v_add_u32_e32 v30, 0x80, v89
	ds_write2st64_b32 v30, v34, v26 offset1:32
	v_xor_b32_e32 v26, 16, v88
	v_perm_b32 v30, v39, v35, s64
	v_perm_b32 v34, v31, v27, s64
	ds_write2st64_b32 v26, v30, v34 offset0:1 offset1:33
	v_xor_b32_e32 v26, 24, v88
	v_perm_b32 v30, v39, v35, s65
	v_perm_b32 v27, v31, v27, s65
	v_add_u32_e32 v26, 0x80, v26
	ds_write2st64_b32 v26, v30, v27 offset0:1 offset1:33
	v_xor_b32_e32 v26, 32, v88
	v_perm_b32 v27, v40, v36, s64
	v_perm_b32 v30, v32, v28, s64
	ds_write2st64_b32 v26, v27, v30 offset0:2 offset1:34
	v_xor_b32_e32 v26, 40, v88
	v_perm_b32 v27, v40, v36, s65
	v_perm_b32 v28, v32, v28, s65
	v_add_u32_e32 v26, 0x80, v26
	ds_write2st64_b32 v26, v27, v28 offset0:2 offset1:34
	v_xor_b32_e32 v26, 48, v88
	v_perm_b32 v27, v41, v37, s64
	v_perm_b32 v28, v33, v29, s64
	ds_write2st64_b32 v26, v27, v28 offset0:3 offset1:35
	v_xor_b32_e32 v26, 56, v88
	v_perm_b32 v27, v41, v37, s65
	v_perm_b32 v28, v33, v29, s65
	v_add_u32_e32 v26, 0x80, v26
	ds_write2st64_b32 v26, v27, v28 offset0:3 offset1:35
	ds_write_b64 v9, v[22:23] offset:16384
	v_xor_b32_e32 v22, 8, v9
	ds_write_b64 v22, v[24:25] offset:16384
	ds_write_b64 v9, v[18:19] offset:24576
	;; [unrolled: 1-line block ×4, first 2 shown]
	v_xor_b32_e32 v9, 8, v5
	ds_write_b64 v9, v[16:17] offset:16384
	ds_write_b64 v5, v[10:11] offset:24576
	;; [unrolled: 1-line block ×3, first 2 shown]
.LBB554_42:                             ;   in Loop: Header=BB554_32 Depth=1
	v_exp_f32_e32 v10, s20
	s_nop 2
	v_accvgpr_read_b32 v9, a1
	v_accvgpr_read_b32 v5, a0
	s_add_i32 s63, s63, 64
	v_fma_f32 v3, v3, v10, v9
	v_accvgpr_read_b32 v9, a4
	v_fma_f32 v6, v6, v10, v9
	v_accvgpr_read_b32 v9, a5
	;; [unrolled: 2-line block ×6, first 2 shown]
	v_fmac_f32_e32 v5, v59, v10
	s_cmp_eq_u32 s54, s37
	v_fmac_f32_e32 v9, v60, v10
	s_cbranch_scc1 .LBB554_4
; %bb.43:                               ;   in Loop: Header=BB554_32 Depth=1
	s_mov_b32 s39, s37
	v_mov_b32_e32 v59, v5
	v_mov_b32_e32 v60, v9
	s_branch .LBB554_32
.LBB554_44:
                                        ; implicit-def: $vgpr13
                                        ; implicit-def: $vgpr17
                                        ; implicit-def: $vgpr21
                                        ; implicit-def: $vgpr25
	s_cbranch_execz .LBB554_46
; %bb.45:
	s_waitcnt vmcnt(0)
	v_mad_u64_u32 v[10:11], s[0:1], v27, s15, v[26:27]
	v_lshlrev_b32_e32 v27, 1, v10
	s_lshl_b32 s2, s15, 7
	s_and_b32 s1, s5, 0xffff
	s_mov_b32 s3, 0x20000
	s_mov_b32 s0, s4
	v_add_lshl_u32 v28, v10, s15, 1
	s_movk_i32 s13, 0x80
	buffer_load_dwordx4 v[10:13], v27, s[0:3], 0 offen
	buffer_load_dwordx4 v[18:21], v27, s[0:3], s13 offen
	;; [unrolled: 1-line block ×4, first 2 shown]
.LBB554_46:
	v_lshrrev_b32_e32 v45, 2, v45
	s_cbranch_execnz .LBB554_59
.LBB554_47:
	s_and_b64 vcc, exec, s[6:7]
	s_cbranch_vccz .LBB554_57
; %bb.48:
	s_waitcnt vmcnt(0)
	v_lshlrev_b32_e32 v15, 1, v47
	v_cmp_gt_i32_e32 vcc, s27, v15
	v_mov_b32_e32 v14, 0
	v_lshlrev_b32_e32 v22, 9, v47
	v_mov_b32_e32 v10, 0
	v_mov_b32_e32 v11, 0
	;; [unrolled: 1-line block ×4, first 2 shown]
	s_and_saveexec_b64 s[0:1], vcc
	s_cbranch_execz .LBB554_50
; %bb.49:
	v_mov_b32_e32 v23, 0
	v_lshl_add_u64 v[10:11], s[4:5], 0, v[22:23]
	v_lshlrev_b32_e32 v12, 1, v26
	v_mov_b32_e32 v13, v23
	v_lshl_add_u64 v[10:11], v[10:11], 0, v[12:13]
	global_load_dwordx4 v[10:13], v[10:11], off
.LBB554_50:
	s_or_b64 exec, exec, s[0:1]
	v_or_b32_e32 v15, 1, v15
	v_cmp_gt_i32_e64 s[0:1], s27, v15
	v_lshlrev_b32_e32 v28, 8, v15
	v_mov_b32_e32 v15, 0
	v_mov_b32_e32 v16, 0
	;; [unrolled: 1-line block ×3, first 2 shown]
	s_and_saveexec_b64 s[2:3], s[0:1]
	s_cbranch_execz .LBB554_52
; %bb.51:
	v_mov_b32_e32 v29, 0
	v_lshl_add_u64 v[14:15], s[4:5], 0, v[28:29]
	v_lshlrev_b32_e32 v16, 1, v26
	v_mov_b32_e32 v17, v29
	v_lshl_add_u64 v[14:15], v[14:15], 0, v[16:17]
	global_load_dwordx4 v[14:17], v[14:15], off
.LBB554_52:
	s_or_b64 exec, exec, s[2:3]
	v_mov_b32_e32 v25, 0
	v_mov_b32_e32 v18, 0
	;; [unrolled: 1-line block ×5, first 2 shown]
	s_and_saveexec_b64 s[2:3], vcc
	s_cbranch_execz .LBB554_54
; %bb.53:
	v_mov_b32_e32 v23, 0
	v_lshl_add_u64 v[18:19], s[4:5], 0, v[22:23]
	v_lshlrev_b32_e32 v22, 1, v26
	v_lshl_add_u64 v[18:19], v[18:19], 0, v[22:23]
	global_load_dwordx4 v[18:21], v[18:19], off offset:128
.LBB554_54:
	s_or_b64 exec, exec, s[2:3]
	v_mov_b32_e32 v24, 0
	v_mov_b32_e32 v23, 0
	;; [unrolled: 1-line block ×3, first 2 shown]
	s_and_saveexec_b64 s[2:3], s[0:1]
	s_cbranch_execz .LBB554_56
; %bb.55:
	v_mov_b32_e32 v29, 0
	v_lshl_add_u64 v[22:23], s[4:5], 0, v[28:29]
	v_lshlrev_b32_e32 v28, 1, v26
	v_lshl_add_u64 v[22:23], v[22:23], 0, v[28:29]
	global_load_dwordx4 v[22:25], v[22:23], off offset:128
.LBB554_56:
	s_or_b64 exec, exec, s[2:3]
	s_branch .LBB554_59
.LBB554_57:
                                        ; implicit-def: $vgpr13
                                        ; implicit-def: $vgpr17
                                        ; implicit-def: $vgpr21
                                        ; implicit-def: $vgpr25
	s_cbranch_execz .LBB554_59
; %bb.58:
	s_waitcnt vmcnt(0)
	v_lshlrev_b32_e32 v10, 1, v26
	v_lshl_or_b32 v26, v47, 9, v10
	s_and_b32 s5, s5, 0xffff
	s_mov_b32 s7, 0x20000
	s_movk_i32 s6, 0x4000
	s_movk_i32 s0, 0x80
	buffer_load_dwordx4 v[10:13], v26, s[4:7], 0 offen
	buffer_load_dwordx4 v[14:17], v26, s[4:7], 0 offen offset:256
	buffer_load_dwordx4 v[18:21], v26, s[4:7], s0 offen
	buffer_load_dwordx4 v[22:25], v26, s[4:7], s0 offen offset:256
.LBB554_59:
	ds_read2st64_b64 v[30:33], v50 offset0:76 offset1:77
	ds_read2st64_b64 v[26:29], v50 offset0:78 offset1:79
	ds_read_b64 v[38:39], v34 offset:24576
	ds_read_b64 v[40:41], v35 offset:24576
	;; [unrolled: 1-line block ×4, first 2 shown]
	v_and_b32_e32 v51, 6, v0
	v_xor_b32_e32 v47, v47, v51
	v_lshlrev_b32_e32 v47, 2, v47
	v_and_b32_e32 v53, 1, v0
	v_xor_b32_e32 v54, 0x440, v47
	v_cmp_eq_u32_e32 vcc, 0, v53
	s_mov_b32 s0, 0x1000504
	s_waitcnt vmcnt(0)
	v_perm_b32 v53, v18, v22, s0
	v_cndmask_b32_e32 v47, v54, v47, vcc
	v_lshl_or_b32 v47, v51, 10, v47
	v_perm_b32 v51, v10, v14, s0
	ds_write2st64_b32 v47, v51, v53 offset1:32
	v_xor_b32_e32 v51, 8, v47
	s_mov_b32 s1, 0x3020706
	v_perm_b32 v10, v10, v14, s1
	v_perm_b32 v14, v18, v22, s1
	v_add_u32_e32 v18, 0x80, v51
	ds_write2st64_b32 v18, v10, v14 offset1:32
	v_xor_b32_e32 v10, 16, v47
	v_perm_b32 v14, v11, v15, s0
	v_perm_b32 v18, v19, v23, s0
	ds_write2st64_b32 v10, v14, v18 offset0:1 offset1:33
	v_xor_b32_e32 v10, 24, v47
	v_perm_b32 v11, v11, v15, s1
	v_perm_b32 v14, v19, v23, s1
	v_add_u32_e32 v10, 0x80, v10
	ds_write2st64_b32 v10, v11, v14 offset0:1 offset1:33
	v_xor_b32_e32 v10, 32, v47
	v_perm_b32 v11, v12, v16, s0
	v_perm_b32 v14, v20, v24, s0
	ds_write2st64_b32 v10, v11, v14 offset0:2 offset1:34
	v_xor_b32_e32 v10, 40, v47
	v_perm_b32 v11, v12, v16, s1
	v_perm_b32 v12, v20, v24, s1
	v_add_u32_e32 v10, 0x80, v10
	ds_write2st64_b32 v10, v11, v12 offset0:2 offset1:34
	v_xor_b32_e32 v10, 48, v47
	v_perm_b32 v11, v13, v17, s0
	v_perm_b32 v12, v21, v25, s0
	ds_write2st64_b32 v10, v11, v12 offset0:3 offset1:35
	v_xor_b32_e32 v10, 56, v47
	v_and_or_b32 v16, v45, 12, v52
	v_perm_b32 v11, v13, v17, s1
	v_perm_b32 v12, v21, v25, s1
	v_add_u32_e32 v10, 0x80, v10
	v_cmp_gt_i32_e32 vcc, s27, v16
	v_mov_b32_e32 v17, 0
	v_mov_b32_e32 v21, 0
	ds_write2st64_b32 v10, v11, v12 offset0:3 offset1:35
	s_and_saveexec_b64 s[0:1], vcc
	s_cbranch_execz .LBB554_61
; %bb.60:
	v_add_u32_e32 v10, s26, v16
	v_ashrrev_i32_e32 v11, 31, v10
	v_mul_lo_u32 v12, v11, s34
	v_mul_lo_u32 v13, v10, s35
	v_mad_u64_u32 v[10:11], s[2:3], v10, s34, 0
	v_add3_u32 v11, v11, v13, v12
	v_lshl_add_u64 v[10:11], v[10:11], 2, s[10:11]
	global_load_dword v10, v[10:11], off
	s_waitcnt vmcnt(0)
	v_sub_f32_e32 v10, s12, v10
	v_exp_f32_e32 v21, v10
.LBB554_61:
	s_or_b64 exec, exec, s[0:1]
	v_or_b32_e32 v19, 1, v16
	v_cmp_gt_i32_e64 s[0:1], s27, v19
	s_and_saveexec_b64 s[2:3], s[0:1]
	s_cbranch_execz .LBB554_63
; %bb.62:
	v_add_u32_e32 v10, s26, v19
	v_ashrrev_i32_e32 v11, 31, v10
	v_mul_lo_u32 v12, v11, s34
	v_mul_lo_u32 v13, v10, s35
	v_mad_u64_u32 v[10:11], s[4:5], v10, s34, 0
	v_add3_u32 v11, v11, v13, v12
	v_lshl_add_u64 v[10:11], v[10:11], 2, s[10:11]
	global_load_dword v10, v[10:11], off
	s_waitcnt vmcnt(0)
	v_sub_f32_e32 v10, s12, v10
	v_exp_f32_e32 v17, v10
.LBB554_63:
	s_or_b64 exec, exec, s[2:3]
	v_or_b32_e32 v20, 2, v16
	v_cmp_gt_i32_e64 s[2:3], s27, v20
	v_mov_b32_e32 v18, 0
	v_mov_b32_e32 v23, 0
	s_and_saveexec_b64 s[4:5], s[2:3]
	s_cbranch_execz .LBB554_65
; %bb.64:
	v_add_u32_e32 v10, s26, v20
	v_ashrrev_i32_e32 v11, 31, v10
	v_mul_lo_u32 v12, v11, s34
	v_mul_lo_u32 v13, v10, s35
	v_mad_u64_u32 v[10:11], s[6:7], v10, s34, 0
	v_add3_u32 v11, v11, v13, v12
	v_lshl_add_u64 v[10:11], v[10:11], 2, s[10:11]
	global_load_dword v10, v[10:11], off
	s_waitcnt vmcnt(0)
	v_sub_f32_e32 v10, s12, v10
	v_exp_f32_e32 v23, v10
.LBB554_65:
	s_or_b64 exec, exec, s[4:5]
	v_or_b32_e32 v22, 3, v16
	v_cmp_gt_i32_e64 s[4:5], s27, v22
	s_and_saveexec_b64 s[6:7], s[4:5]
	s_cbranch_execz .LBB554_67
; %bb.66:
	v_add_u32_e32 v10, s26, v22
	v_ashrrev_i32_e32 v11, 31, v10
	v_mul_lo_u32 v12, v11, s34
	v_mul_lo_u32 v13, v10, s35
	v_mad_u64_u32 v[10:11], s[14:15], v10, s34, 0
	v_add3_u32 v11, v11, v13, v12
	v_lshl_add_u64 v[10:11], v[10:11], 2, s[10:11]
	global_load_dword v10, v[10:11], off
	s_waitcnt vmcnt(0)
	v_sub_f32_e32 v10, s12, v10
	v_exp_f32_e32 v18, v10
.LBB554_67:
	s_or_b64 exec, exec, s[6:7]
	s_waitcnt lgkmcnt(11)
	v_mfma_f32_16x16x16_bf16 a[0:3], v[38:39], v[30:31], a[0:3]
	s_add_u32 s6, s8, s20
	v_ashrrev_i32_e32 v47, 31, v46
	s_addc_u32 s7, s9, s21
	s_waitcnt lgkmcnt(10)
	v_mfma_f32_16x16x16_bf16 a[0:3], v[40:41], v[32:33], a[0:3]
	v_mov_b32_e32 v24, 0
	v_lshl_add_u64 v[14:15], v[46:47], 1, s[6:7]
	v_mov_b32_e32 v25, 0
	s_waitcnt lgkmcnt(9)
	v_mfma_f32_16x16x16_bf16 a[0:3], v[36:37], v[26:27], a[0:3]
	s_waitcnt lgkmcnt(8)
	v_mfma_f32_16x16x16_bf16 a[0:3], v[34:35], v[28:29], a[0:3]
	s_nop 6
	v_accvgpr_read_b32 v13, a3
	v_accvgpr_read_b32 v12, a2
	;; [unrolled: 1-line block ×4, first 2 shown]
	s_and_saveexec_b64 s[6:7], vcc
	s_cbranch_execz .LBB554_69
; %bb.68:
	v_lshlrev_b32_e32 v26, 8, v16
	v_mov_b32_e32 v27, 0
	v_lshl_add_u64 v[26:27], v[14:15], 0, v[26:27]
	global_load_ushort v25, v[26:27], off
	s_waitcnt vmcnt(0)
	v_lshlrev_b32_e32 v25, 16, v25
	v_sub_f32_e32 v10, v25, v10
	v_mul_f32_e32 v10, v21, v10
	v_lshrrev_b32_e32 v25, 16, v10
.LBB554_69:
	s_or_b64 exec, exec, s[6:7]
	s_and_saveexec_b64 s[6:7], s[0:1]
	s_cbranch_execz .LBB554_71
; %bb.70:
	v_lshlrev_b32_e32 v26, 8, v19
	v_mov_b32_e32 v27, 0
	v_lshl_add_u64 v[26:27], v[14:15], 0, v[26:27]
	global_load_ushort v10, v[26:27], off
	s_waitcnt vmcnt(0)
	v_lshlrev_b32_e32 v10, 16, v10
	v_sub_f32_e32 v10, v10, v11
	v_mul_f32_e32 v10, v17, v10
	v_lshrrev_b32_e32 v24, 16, v10
.LBB554_71:
	s_or_b64 exec, exec, s[6:7]
	v_mov_b32_e32 v11, 0
	v_mov_b32_e32 v17, 0
	s_and_saveexec_b64 s[0:1], s[2:3]
	s_cbranch_execz .LBB554_73
; %bb.72:
	v_lshlrev_b32_e32 v20, 8, v20
	v_mov_b32_e32 v21, 0
	v_lshl_add_u64 v[20:21], v[14:15], 0, v[20:21]
	global_load_ushort v10, v[20:21], off
	s_waitcnt vmcnt(0)
	v_lshlrev_b32_e32 v10, 16, v10
	v_sub_f32_e32 v10, v10, v12
	v_mul_f32_e32 v10, v23, v10
	v_lshrrev_b32_e32 v17, 16, v10
.LBB554_73:
	s_or_b64 exec, exec, s[0:1]
	v_or_b32_e32 v10, 0x9800, v50
	s_and_saveexec_b64 s[0:1], s[4:5]
	s_cbranch_execz .LBB554_75
; %bb.74:
	v_lshlrev_b32_e32 v20, 8, v22
	v_mov_b32_e32 v21, 0
	v_lshl_add_u64 v[14:15], v[14:15], 0, v[20:21]
	global_load_ushort v11, v[14:15], off
	s_waitcnt vmcnt(0)
	v_lshlrev_b32_e32 v11, 16, v11
	v_sub_f32_e32 v11, v11, v13
	v_mul_f32_e32 v11, v18, v11
	v_lshrrev_b32_e32 v11, 16, v11
.LBB554_75:
	s_or_b64 exec, exec, s[0:1]
	s_mov_b32 s0, 0x5040100
	v_perm_b32 v13, v11, v17, s0
	v_lshlrev_b32_e32 v11, 1, v48
	v_perm_b32 v12, v24, v25, s0
	v_lshl_or_b32 v11, v16, 5, v11
	s_movk_i32 s0, 0xff
	ds_write_b64 v11, v[12:13] offset:38912
	v_and_b32_e32 v11, 7, v0
	v_and_b32_e32 v12, 8, v0
	v_cmp_lt_u32_e32 vcc, s0, v0
	v_lshrrev_b32_e32 v0, 1, v0
	v_lshlrev_b32_e32 v22, 3, v1
	v_and_b32_e32 v23, 24, v0
	v_xor_b32_e32 v0, v22, v23
	v_cndmask_b32_e64 v13, 0, 1, vcc
	v_or_b32_e32 v1, 0x440, v0
	v_cmp_eq_u32_e32 vcc, 0, v12
	v_lshlrev_b32_e32 v20, 3, v11
	v_lshlrev_b32_e32 v11, 7, v11
	v_cndmask_b32_e32 v0, v1, v0, vcc
	v_or_b32_e32 v0, v0, v49
	v_lshlrev_b32_e32 v21, 13, v13
	v_xad_u32 v24, v0, v20, v11
	v_add_u32_e32 v0, v21, v24
	s_waitcnt lgkmcnt(0)
	s_barrier
	ds_read_b64 v[0:1], v0
	ds_read2st64_b64 v[12:15], v10 offset1:1
	ds_read2st64_b64 v[16:19], v10 offset0:2 offset1:3
	s_waitcnt lgkmcnt(1)
	v_mfma_f32_16x16x16_bf16 a[0:3], v[0:1], v[12:13], 0
	v_or_b32_e32 v0, 32, v23
	v_xor_b32_e32 v0, v22, v0
	v_or_b32_e32 v1, 0x440, v0
	v_cndmask_b32_e32 v0, v1, v0, vcc
	v_or_b32_e32 v0, v0, v49
	v_xad_u32 v25, v0, v20, v11
	v_add_u32_e32 v0, v21, v25
	ds_read_b64 v[0:1], v0
	v_or_b32_e32 v10, 0x60, v23
	s_waitcnt lgkmcnt(0)
	v_mfma_f32_16x16x16_bf16 a[0:3], v[0:1], v[14:15], a[0:3]
	v_or_b32_e32 v0, 64, v23
	v_xor_b32_e32 v0, v22, v0
	v_xor_b32_e32 v1, 0x440, v0
	v_cndmask_b32_e32 v0, v1, v0, vcc
	v_or_b32_e32 v0, v0, v49
	v_xad_u32 v26, v0, v20, v11
	v_xor_b32_e32 v10, v22, v10
	v_add_u32_e32 v0, v21, v26
	v_xor_b32_e32 v22, 0x440, v10
	ds_read_b64 v[0:1], v0
	v_cndmask_b32_e32 v10, v22, v10, vcc
	v_or_b32_e32 v10, v10, v49
	v_xad_u32 v22, v10, v20, v11
	v_add_u32_e32 v10, v21, v22
	ds_read_b64 v[10:11], v10
	s_waitcnt lgkmcnt(1)
	v_mfma_f32_16x16x16_bf16 a[0:3], v[0:1], v[16:17], a[0:3]
	ds_read_b64 v[0:1], v24 offset:8192
	ds_read_b64 v[20:21], v26 offset:8192
	v_exp_f32_e32 v23, s12
	s_waitcnt lgkmcnt(2)
	v_mfma_f32_16x16x16_bf16 a[0:3], v[10:11], v[18:19], a[0:3]
	ds_read_b64 v[10:11], v25 offset:8192
	s_waitcnt lgkmcnt(2)
	v_mfma_f32_16x16x16_bf16 a[4:7], v[0:1], v[12:13], 0
	ds_read_b64 v[12:13], v22 offset:8192
	s_nop 2
	v_accvgpr_read_b32 v0, a0
	v_accvgpr_read_b32 v1, a1
	s_waitcnt lgkmcnt(1)
	v_mfma_f32_16x16x16_bf16 a[4:7], v[10:11], v[14:15], a[4:7]
	v_fma_f32 v0, v2, v23, v0
	v_fma_f32 v1, v3, v23, v1
	v_accvgpr_read_b32 v2, a2
	v_mfma_f32_16x16x16_bf16 a[4:7], v[20:21], v[16:17], a[4:7]
	v_accvgpr_read_b32 v3, a3
	v_fma_f32 v2, v4, v23, v2
	v_fmac_f32_e32 v3, v5, v23
	s_waitcnt lgkmcnt(0)
	v_mfma_f32_16x16x16_bf16 a[0:3], v[12:13], v[18:19], a[4:7]
	s_nop 6
	v_accvgpr_read_b32 v4, a0
	v_accvgpr_read_b32 v5, a1
	v_fma_f32 v4, v6, v23, v4
	v_fma_f32 v5, v7, v23, v5
	v_accvgpr_read_b32 v6, a2
	v_accvgpr_read_b32 v7, a3
	v_fma_f32 v6, v8, v23, v6
	v_fmac_f32_e32 v7, v9, v23
	v_mov_b64_e32 v[8:9], v[6:7]
	v_mov_b64_e32 v[6:7], v[4:5]
	;; [unrolled: 1-line block ×4, first 2 shown]
.LBB554_76:
	s_waitcnt lgkmcnt(0)
	s_add_u32 s0, s30, s28
	s_addc_u32 s1, s31, s29
	v_lshl_add_u64 v[0:1], v[42:43], 1, s[0:1]
	v_mov_b32_e32 v45, 0
	s_mov_b32 s0, 0x7060302
	v_lshl_add_u64 v[0:1], v[0:1], 0, v[44:45]
	v_perm_b32 v5, v5, v4, s0
	v_perm_b32 v4, v3, v2, s0
	;; [unrolled: 1-line block ×4, first 2 shown]
	global_store_dwordx2 v[0:1], v[4:5], off
	global_store_dwordx2 v[0:1], v[2:3], off offset:128
	s_endpgm
	.section	.rodata,"a",@progbits
	.p2align	6, 0x0
	.amdhsa_kernel _ZN12_GLOBAL__N_139chunk_gated_delta_rule_fwd_h_hip_kernelILi16ELb1ELb1ELb0ELb0ELb1ELb0ELb1ELb1EEEvPK12hip_bfloat16S3_S3_PKfS5_PKvPS1_S8_PvPKiSB_iiiiilll
		.amdhsa_group_segment_fixed_size 40960
		.amdhsa_private_segment_fixed_size 0
		.amdhsa_kernarg_size 136
		.amdhsa_user_sgpr_count 2
		.amdhsa_user_sgpr_dispatch_ptr 0
		.amdhsa_user_sgpr_queue_ptr 0
		.amdhsa_user_sgpr_kernarg_segment_ptr 1
		.amdhsa_user_sgpr_dispatch_id 0
		.amdhsa_user_sgpr_kernarg_preload_length 0
		.amdhsa_user_sgpr_kernarg_preload_offset 0
		.amdhsa_user_sgpr_private_segment_size 0
		.amdhsa_uses_dynamic_stack 0
		.amdhsa_enable_private_segment 0
		.amdhsa_system_sgpr_workgroup_id_x 1
		.amdhsa_system_sgpr_workgroup_id_y 1
		.amdhsa_system_sgpr_workgroup_id_z 0
		.amdhsa_system_sgpr_workgroup_info 0
		.amdhsa_system_vgpr_workitem_id 0
		.amdhsa_next_free_vgpr 116
		.amdhsa_next_free_sgpr 68
		.amdhsa_accum_offset 108
		.amdhsa_reserve_vcc 1
		.amdhsa_float_round_mode_32 0
		.amdhsa_float_round_mode_16_64 0
		.amdhsa_float_denorm_mode_32 3
		.amdhsa_float_denorm_mode_16_64 3
		.amdhsa_dx10_clamp 1
		.amdhsa_ieee_mode 1
		.amdhsa_fp16_overflow 0
		.amdhsa_tg_split 0
		.amdhsa_exception_fp_ieee_invalid_op 0
		.amdhsa_exception_fp_denorm_src 0
		.amdhsa_exception_fp_ieee_div_zero 0
		.amdhsa_exception_fp_ieee_overflow 0
		.amdhsa_exception_fp_ieee_underflow 0
		.amdhsa_exception_fp_ieee_inexact 0
		.amdhsa_exception_int_div_zero 0
	.end_amdhsa_kernel
	.section	.text._ZN12_GLOBAL__N_139chunk_gated_delta_rule_fwd_h_hip_kernelILi16ELb1ELb1ELb0ELb0ELb1ELb0ELb1ELb1EEEvPK12hip_bfloat16S3_S3_PKfS5_PKvPS1_S8_PvPKiSB_iiiiilll,"axG",@progbits,_ZN12_GLOBAL__N_139chunk_gated_delta_rule_fwd_h_hip_kernelILi16ELb1ELb1ELb0ELb0ELb1ELb0ELb1ELb1EEEvPK12hip_bfloat16S3_S3_PKfS5_PKvPS1_S8_PvPKiSB_iiiiilll,comdat
.Lfunc_end554:
	.size	_ZN12_GLOBAL__N_139chunk_gated_delta_rule_fwd_h_hip_kernelILi16ELb1ELb1ELb0ELb0ELb1ELb0ELb1ELb1EEEvPK12hip_bfloat16S3_S3_PKfS5_PKvPS1_S8_PvPKiSB_iiiiilll, .Lfunc_end554-_ZN12_GLOBAL__N_139chunk_gated_delta_rule_fwd_h_hip_kernelILi16ELb1ELb1ELb0ELb0ELb1ELb0ELb1ELb1EEEvPK12hip_bfloat16S3_S3_PKfS5_PKvPS1_S8_PvPKiSB_iiiiilll
                                        ; -- End function
	.section	.AMDGPU.csdata,"",@progbits
; Kernel info:
; codeLenInByte = 7784
; NumSgprs: 74
; NumVgprs: 108
; NumAgprs: 8
; TotalNumVgprs: 116
; ScratchSize: 0
; MemoryBound: 0
; FloatMode: 240
; IeeeMode: 1
; LDSByteSize: 40960 bytes/workgroup (compile time only)
; SGPRBlocks: 9
; VGPRBlocks: 14
; NumSGPRsForWavesPerEU: 74
; NumVGPRsForWavesPerEU: 116
; AccumOffset: 108
; Occupancy: 1
; WaveLimiterHint : 1
; COMPUTE_PGM_RSRC2:SCRATCH_EN: 0
; COMPUTE_PGM_RSRC2:USER_SGPR: 2
; COMPUTE_PGM_RSRC2:TRAP_HANDLER: 0
; COMPUTE_PGM_RSRC2:TGID_X_EN: 1
; COMPUTE_PGM_RSRC2:TGID_Y_EN: 1
; COMPUTE_PGM_RSRC2:TGID_Z_EN: 0
; COMPUTE_PGM_RSRC2:TIDIG_COMP_CNT: 0
; COMPUTE_PGM_RSRC3_GFX90A:ACCUM_OFFSET: 26
; COMPUTE_PGM_RSRC3_GFX90A:TG_SPLIT: 0
	.section	.text._ZN12_GLOBAL__N_139chunk_gated_delta_rule_fwd_h_hip_kernelILi16ELb1ELb0ELb1ELb0ELb1ELb0ELb1ELb1EEEvPK12hip_bfloat16S3_S3_PKfS5_PKvPS1_S8_PvPKiSB_iiiiilll,"axG",@progbits,_ZN12_GLOBAL__N_139chunk_gated_delta_rule_fwd_h_hip_kernelILi16ELb1ELb0ELb1ELb0ELb1ELb0ELb1ELb1EEEvPK12hip_bfloat16S3_S3_PKfS5_PKvPS1_S8_PvPKiSB_iiiiilll,comdat
	.globl	_ZN12_GLOBAL__N_139chunk_gated_delta_rule_fwd_h_hip_kernelILi16ELb1ELb0ELb1ELb0ELb1ELb0ELb1ELb1EEEvPK12hip_bfloat16S3_S3_PKfS5_PKvPS1_S8_PvPKiSB_iiiiilll ; -- Begin function _ZN12_GLOBAL__N_139chunk_gated_delta_rule_fwd_h_hip_kernelILi16ELb1ELb0ELb1ELb0ELb1ELb0ELb1ELb1EEEvPK12hip_bfloat16S3_S3_PKfS5_PKvPS1_S8_PvPKiSB_iiiiilll
	.p2align	8
	.type	_ZN12_GLOBAL__N_139chunk_gated_delta_rule_fwd_h_hip_kernelILi16ELb1ELb0ELb1ELb0ELb1ELb0ELb1ELb1EEEvPK12hip_bfloat16S3_S3_PKfS5_PKvPS1_S8_PvPKiSB_iiiiilll,@function
_ZN12_GLOBAL__N_139chunk_gated_delta_rule_fwd_h_hip_kernelILi16ELb1ELb0ELb1ELb0ELb1ELb0ELb1ELb1EEEvPK12hip_bfloat16S3_S3_PKfS5_PKvPS1_S8_PvPKiSB_iiiiilll: ; @_ZN12_GLOBAL__N_139chunk_gated_delta_rule_fwd_h_hip_kernelILi16ELb1ELb0ELb1ELb0ELb1ELb0ELb1ELb1EEEvPK12hip_bfloat16S3_S3_PKfS5_PKvPS1_S8_PvPKiSB_iiiiilll
; %bb.0:
	s_load_dwordx4 s[12:15], s[0:1], 0x5c
	s_load_dwordx4 s[20:23], s[0:1], 0x70
	s_abs_i32 s6, s3
	s_ashr_i32 s5, s3, 31
	s_load_dwordx4 s[16:19], s[0:1], 0x28
	s_load_dwordx2 s[28:29], s[0:1], 0x38
	s_waitcnt lgkmcnt(0)
	s_abs_i32 s4, s13
	v_cvt_f32_u32_e32 v1, s4
	s_sub_i32 s8, 0, s4
	s_ashr_i32 s7, s13, 31
	s_xor_b32 s5, s5, s7
	v_rcp_iflag_f32_e32 v1, v1
	v_and_b32_e32 v45, 15, v0
	v_lshrrev_b32_e32 v43, 6, v0
	v_bfe_u32 v44, v0, 4, 2
	v_mul_f32_e32 v1, 0x4f7ffffe, v1
	v_cvt_u32_f32_e32 v1, v1
	v_mov_b32_e32 v5, 0
	v_and_b32_e32 v42, 63, v0
	v_lshlrev_b32_e32 v46, 3, v0
	v_readfirstlane_b32 s9, v1
	s_mul_i32 s8, s8, s9
	s_mul_hi_u32 s8, s9, s8
	s_add_i32 s9, s9, s8
	s_mul_hi_u32 s8, s6, s9
	s_mul_i32 s9, s8, s4
	s_sub_i32 s6, s6, s9
	s_add_i32 s10, s8, 1
	s_sub_i32 s9, s6, s4
	s_cmp_ge_u32 s6, s4
	s_cselect_b32 s8, s10, s8
	s_cselect_b32 s6, s9, s6
	s_add_i32 s9, s8, 1
	s_cmp_ge_u32 s6, s4
	s_cselect_b32 s6, s9, s8
	s_xor_b32 s6, s6, s5
	s_add_i32 s8, s12, 63
	s_sub_i32 s51, s6, s5
	s_ashr_i32 s9, s8, 31
	s_mul_i32 s5, s51, s13
	s_sub_i32 s49, s3, s5
	s_lshr_b32 s3, s9, 26
	s_add_i32 s8, s8, s3
	s_abs_i32 s3, s14
	v_cvt_f32_u32_e32 v1, s3
	s_ashr_i32 s50, s12, 31
	s_lshr_b32 s6, s50, 26
	s_add_i32 s6, s12, s6
	v_rcp_iflag_f32_e32 v1, v1
	s_ashr_i32 s54, s14, 31
	s_ashr_i32 s24, s8, 6
	;; [unrolled: 1-line block ×3, first 2 shown]
	v_mul_f32_e32 v1, 0x4f7ffffe, v1
	v_cvt_u32_f32_e32 v1, v1
	s_xor_b32 s6, s7, s54
	s_sub_i32 s7, 0, s3
	s_lshl_b32 s2, s2, 4
	v_readfirstlane_b32 s8, v1
	s_mul_i32 s7, s7, s8
	s_mul_hi_u32 s7, s8, s7
	s_add_i32 s8, s8, s7
	s_mul_hi_u32 s7, s4, s8
	s_mul_i32 s8, s7, s3
	s_sub_i32 s4, s4, s8
	s_add_i32 s8, s7, 1
	s_sub_i32 s9, s4, s3
	s_cmp_ge_u32 s4, s3
	s_cselect_b32 s7, s8, s7
	s_cselect_b32 s4, s9, s4
	s_add_i32 s8, s7, 1
	s_cmp_ge_u32 s4, s3
	s_cselect_b32 s3, s8, s7
	s_xor_b32 s3, s3, s6
	s_sub_i32 s3, s3, s6
	s_abs_i32 s4, s3
	v_cvt_f32_u32_e32 v1, s4
	s_sub_i32 s7, 0, s4
	s_abs_i32 s6, s49
	s_xor_b32 s3, s49, s3
	v_rcp_iflag_f32_e32 v1, v1
	s_ashr_i32 s3, s3, 31
	v_or_b32_e32 v34, s2, v45
	v_lshlrev_b32_e32 v2, 7, v34
	v_mul_f32_e32 v1, 0x4f7ffffe, v1
	v_cvt_u32_f32_e32 v1, v1
	v_ashrrev_i32_e32 v3, 31, v2
	v_lshrrev_b32_e32 v47, 3, v42
	s_mul_i32 s33, s51, s21
	v_readfirstlane_b32 s8, v1
	s_mul_i32 s7, s7, s8
	s_mul_hi_u32 s7, s8, s7
	s_add_i32 s8, s8, s7
	s_mul_hi_u32 s7, s6, s8
	s_mul_i32 s8, s7, s4
	s_sub_i32 s6, s6, s8
	s_add_i32 s8, s7, 1
	s_sub_i32 s9, s6, s4
	s_cmp_ge_u32 s6, s4
	s_cselect_b32 s7, s8, s7
	s_cselect_b32 s6, s9, s6
	s_add_i32 s8, s7, 1
	s_cmp_ge_u32 s6, s4
	s_cselect_b32 s4, s8, s7
	s_xor_b32 s4, s4, s3
	s_sub_i32 s55, s4, s3
	s_ashr_i32 s3, s51, 31
	s_ashr_i32 s53, s49, 31
	s_mul_hi_i32 s4, s51, s13
	s_add_u32 s38, s5, s49
	s_addc_u32 s39, s4, s53
	s_lshl_b64 s[4:5], s[38:39], 15
	v_lshlrev_b32_e32 v1, 4, v43
	s_add_u32 s4, s16, s4
	v_lshl_or_b32 v48, v44, 2, v1
	s_addc_u32 s5, s17, s5
	v_lshl_add_u64 v[2:3], v[2:3], 1, s[4:5]
	v_lshlrev_b32_e32 v4, 1, v48
	v_lshl_add_u64 v[2:3], v[2:3], 0, v[4:5]
	global_load_dwordx2 v[4:5], v[2:3], off
	global_load_dwordx2 v[6:7], v[2:3], off offset:128
	s_load_dwordx8 s[4:11], s[0:1], 0x0
	s_load_dwordx2 s[30:31], s[0:1], 0x80
	v_or_b32_e32 v49, 64, v48
	s_mul_hi_u32 s44, s51, s20
	s_mul_i32 s36, s51, s20
	s_mul_i32 s56, s51, s24
	s_mul_i32 s45, s49, s23
	s_mul_hi_u32 s46, s49, s22
	s_mul_i32 s48, s3, s20
	s_mul_i32 s47, s53, s22
	s_mul_hi_u32 s57, s38, s12
	s_mul_i32 s16, s38, s12
	s_mul_i32 s39, s39, s12
	s_cmp_lt_i32 s12, 64
	s_mul_i32 s34, s49, s22
	s_waitcnt vmcnt(1)
	v_and_b32_e32 v50, 0xffff0000, v4
	v_lshlrev_b32_e32 v52, 16, v4
	v_and_b32_e32 v56, 0xffff0000, v5
	v_lshlrev_b32_e32 v54, 16, v5
	s_waitcnt vmcnt(0)
	v_and_b32_e32 v51, 0xffff0000, v6
	v_lshlrev_b32_e32 v53, 16, v6
	v_and_b32_e32 v57, 0xffff0000, v7
	v_lshlrev_b32_e32 v55, 16, v7
	s_cbranch_scc1 .LBB555_3
; %bb.1:
	s_add_i32 s17, s57, s39
	s_lshl_b64 s[0:1], s[16:17], 8
	v_and_b32_e32 v59, 56, v46
	s_waitcnt lgkmcnt(0)
	s_add_u32 s20, s6, s0
	v_lshl_or_b32 v58, v43, 3, v47
	v_lshlrev_b32_e32 v2, 1, v59
	s_addc_u32 s0, s7, s1
	v_lshl_or_b32 v60, v58, 8, v2
	s_and_b32 s21, s0, 0xffff
	s_mov_b32 s23, 0x20000
	s_movk_i32 s22, 0x4000
	s_movk_i32 s0, 0x80
	v_or_b32_e32 v61, 0x2000, v60
	buffer_load_dwordx4 v[4:7], v60, s[20:23], 0 offen
	buffer_load_dwordx4 v[8:11], v60, s[20:23], s0 offen
	;; [unrolled: 1-line block ×4, first 2 shown]
	v_lshlrev_b32_e32 v3, 3, v58
	v_and_or_b32 v21, v0, 7, v3
	v_and_b32_e32 v3, 0x78, v3
	v_lshlrev_b32_e32 v21, 4, v21
	v_xor_b32_e32 v62, v21, v3
	v_mul_lo_u32 v20, v58, s15
	v_or_b32_e32 v63, 0x1000, v62
	v_xor_b32_e32 v3, 8, v62
	s_cmpk_eq_i32 s15, 0x80
	s_mov_b32 s58, s14
	v_xor_b32_e32 v21, 8, v63
	s_cselect_b64 s[0:1], -1, 0
	s_cmpk_lg_i32 s15, 0x80
	s_waitcnt vmcnt(3)
	ds_write_b64 v62, v[4:5] offset:16384
	ds_write_b64 v3, v[6:7] offset:16384
	s_waitcnt vmcnt(2)
	ds_write_b64 v62, v[8:9] offset:24576
	ds_write_b64 v3, v[10:11] offset:24576
	;; [unrolled: 3-line block ×4, first 2 shown]
	v_lshl_add_u32 v3, v20, 1, v59
	s_cbranch_scc0 .LBB555_29
; %bb.2:
	v_lshlrev_b32_e32 v5, 1, v3
	v_add_lshl_u32 v4, v3, s15, 1
	s_lshl_b32 s22, s15, 7
	v_lshl_or_b32 v2, v58, 9, v2
	s_cbranch_execz .LBB555_30
	s_branch .LBB555_31
.LBB555_3:
	v_mov_b32_e32 v2, v57
	v_mov_b32_e32 v3, v56
.LBB555_4:
	s_lshl_b32 s26, s52, 6
	s_sub_i32 s27, s12, s26
	s_cmp_gt_i32 s27, 0
	s_cbranch_scc0 .LBB555_76
; %bb.5:
	s_ashr_i32 s3, s26, 31
	s_cmpk_lg_i32 s15, 0x80
	s_cselect_b64 s[22:23], -1, 0
	s_and_b64 vcc, exec, s[22:23]
	s_cbranch_vccz .LBB555_7
; %bb.6:
	s_mul_i32 s1, s51, s12
	s_mul_hi_i32 s0, s51, s12
	s_add_u32 s1, s1, s26
	s_addc_u32 s0, s0, s3
	s_mul_i32 s17, s1, s54
	s_mul_hi_u32 s20, s1, s14
	s_add_i32 s17, s20, s17
	s_mul_i32 s0, s0, s14
	s_add_i32 s17, s17, s0
	s_mul_i32 s1, s1, s14
	s_ashr_i32 s0, s55, 31
	s_add_u32 s24, s1, s55
	s_addc_u32 s25, s17, s0
	s_cbranch_execz .LBB555_8
	s_branch .LBB555_9
.LBB555_7:
                                        ; implicit-def: $sgpr24_sgpr25
.LBB555_8:
	s_mul_hi_i32 s0, s51, s14
	s_mul_i32 s51, s51, s14
	s_ashr_i32 s1, s55, 31
	s_add_u32 s14, s51, s55
	s_addc_u32 s0, s0, s1
	s_mul_i32 s1, s14, s50
	s_mul_hi_u32 s17, s14, s12
	s_add_i32 s1, s17, s1
	s_mul_i32 s0, s0, s12
	s_add_i32 s1, s1, s0
	s_mul_i32 s14, s14, s12
	s_add_u32 s24, s14, s26
	s_addc_u32 s25, s1, s3
.LBB555_9:
	s_mul_i32 s0, s38, s50
	s_add_i32 s0, s57, s0
	s_add_i32 s14, s56, s52
	;; [unrolled: 1-line block ×3, first 2 shown]
	s_add_u32 s0, s16, s26
	s_addc_u32 s1, s1, s3
	s_mov_b32 s3, 0x7060302
	v_lshlrev_b32_e32 v6, 3, v45
	v_perm_b32 v5, v3, v54, s3
	v_perm_b32 v4, v50, v52, s3
	v_perm_b32 v3, v2, v55, s3
	v_perm_b32 v2, v51, v53, s3
	v_lshlrev_b32_e32 v36, 2, v45
	v_lshl_or_b32 v6, v48, 5, v6
	s_lshl_b64 s[20:21], s[0:1], 8
	ds_write2st64_b64 v6, v[4:5], v[2:3] offset0:72 offset1:76
	v_xor_b32_e32 v6, v48, v36
	v_lshlrev_b32_e32 v7, 8, v45
	s_waitcnt lgkmcnt(0)
	s_add_u32 s0, s6, s20
	v_lshl_or_b32 v6, v6, 1, v7
	s_addc_u32 s1, s7, s21
	ds_write_b64 v6, v[4:5] offset:32768
	v_xor_b32_e32 v4, v49, v36
	s_mul_hi_i32 s3, s14, s13
	s_mul_i32 s14, s14, s13
	v_lshl_or_b32 v4, v4, 1, v7
	s_add_u32 s6, s14, s49
	ds_write_b64 v4, v[2:3] offset:32768
	s_addc_u32 s7, s3, s53
	v_lshlrev_b32_e32 v3, 1, v45
	v_lshrrev_b32_e32 v2, 4, v0
	s_ashr_i32 s3, s2, 31
	s_lshl_b64 s[6:7], s[6:7], 15
	v_or_b32_e32 v4, 1, v3
	s_add_u32 s6, s18, s6
	v_xor_b32_e32 v3, v2, v3
	v_xor_b32_e32 v4, v4, v2
	v_lshlrev_b32_e32 v6, 8, v2
	s_addc_u32 s7, s19, s7
	s_lshl_b64 s[2:3], s[2:3], 8
	v_lshl_or_b32 v2, v3, 3, v6
	v_lshl_or_b32 v4, v4, 3, v6
	s_waitcnt lgkmcnt(0)
	s_barrier
	s_add_u32 s2, s6, s2
	ds_read_b64 v[2:3], v2 offset:32768
	ds_read_b64 v[4:5], v4 offset:32768
	s_addc_u32 s3, s7, s3
	v_mov_b32_e32 v7, 0
	s_cmp_lg_u32 s27, 64
	v_lshl_add_u64 v[8:9], s[2:3], 0, v[6:7]
	v_lshlrev_b32_e32 v6, 4, v45
	s_cselect_b64 s[6:7], -1, 0
	v_lshl_or_b32 v35, v43, 3, v47
	s_mov_b32 s16, 0
	v_lshl_add_u64 v[6:7], v[8:9], 0, v[6:7]
	s_waitcnt vmcnt(1)
	v_or_b32_e32 v19, 32, v35
	v_and_b32_e32 v18, 56, v46
	s_and_b64 vcc, exec, s[6:7]
	s_waitcnt lgkmcnt(0)
	global_store_dwordx4 v[6:7], v[2:5], off
	s_cbranch_vccz .LBB555_15
; %bb.10:
	s_mov_b32 s17, s16
	s_mov_b32 s18, s16
	;; [unrolled: 1-line block ×3, first 2 shown]
	v_mov_b64_e32 v[6:7], s[16:17]
	v_mov_b64_e32 v[8:9], s[18:19]
	;; [unrolled: 1-line block ×3, first 2 shown]
	v_cmp_gt_i32_e32 vcc, s27, v35
	v_mov_b64_e32 v[4:5], v[8:9]
	s_and_saveexec_b64 s[2:3], vcc
	s_cbranch_execz .LBB555_12
; %bb.11:
	v_lshlrev_b32_e32 v2, 8, v35
	v_mov_b32_e32 v3, 0
	v_lshl_add_u64 v[4:5], s[0:1], 0, v[2:3]
	v_lshlrev_b32_e32 v2, 1, v18
	v_lshl_add_u64 v[10:11], v[4:5], 0, v[2:3]
	global_load_dwordx4 v[6:9], v[10:11], off
	global_load_dwordx4 v[2:5], v[10:11], off offset:128
.LBB555_12:
	s_or_b64 exec, exec, s[2:3]
	s_mov_b32 s17, s16
	s_mov_b32 s18, s16
	;; [unrolled: 1-line block ×3, first 2 shown]
	v_mov_b64_e32 v[14:15], s[16:17]
	v_mov_b64_e32 v[16:17], s[18:19]
	;; [unrolled: 1-line block ×3, first 2 shown]
	v_cmp_gt_i32_e32 vcc, s27, v19
	v_lshlrev_b32_e32 v20, 7, v19
	v_mov_b64_e32 v[12:13], v[16:17]
	s_and_saveexec_b64 s[2:3], vcc
	s_cbranch_execz .LBB555_14
; %bb.13:
	v_lshlrev_b32_e32 v10, 1, v20
	v_mov_b32_e32 v11, 0
	v_lshl_add_u64 v[12:13], s[0:1], 0, v[10:11]
	v_lshlrev_b32_e32 v10, 1, v18
	v_lshl_add_u64 v[22:23], v[12:13], 0, v[10:11]
	global_load_dwordx4 v[14:17], v[22:23], off
	global_load_dwordx4 v[10:13], v[22:23], off offset:128
.LBB555_14:
	s_or_b64 exec, exec, s[2:3]
	v_lshrrev_b32_e32 v21, 3, v18
	v_lshlrev_b32_e32 v22, 3, v35
	v_or_b32_e32 v21, v22, v21
	v_lshlrev_b32_e32 v21, 4, v21
	v_and_b32_e32 v22, 0x78, v22
	v_xor_b32_e32 v21, v21, v22
	s_branch .LBB555_17
.LBB555_15:
                                        ; implicit-def: $vgpr21
                                        ; implicit-def: $vgpr20
                                        ; implicit-def: $vgpr6_vgpr7_vgpr8_vgpr9
                                        ; implicit-def: $vgpr2_vgpr3_vgpr4_vgpr5
                                        ; implicit-def: $vgpr14_vgpr15_vgpr16_vgpr17
                                        ; implicit-def: $vgpr10_vgpr11_vgpr12_vgpr13
	s_cbranch_execz .LBB555_17
; %bb.16:
	s_waitcnt vmcnt(0)
	v_lshlrev_b32_e32 v2, 1, v18
	v_lshl_or_b32 v20, v35, 8, v2
	s_and_b32 s1, s1, 0xffff
	s_mov_b32 s3, 0x20000
	s_movk_i32 s2, 0x4000
	v_lshl_or_b32 v21, v19, 8, v2
	s_movk_i32 s13, 0x80
	buffer_load_dwordx4 v[6:9], v20, s[0:3], 0 offen
	buffer_load_dwordx4 v[2:5], v20, s[0:3], s13 offen
	;; [unrolled: 1-line block ×4, first 2 shown]
	v_lshrrev_b32_e32 v20, 3, v18
	v_lshlrev_b32_e32 v21, 3, v35
	v_or_b32_e32 v20, v21, v20
	v_lshlrev_b32_e32 v20, 4, v20
	v_and_b32_e32 v21, 0x78, v21
	v_xor_b32_e32 v21, v20, v21
	v_lshlrev_b32_e32 v20, 7, v19
.LBB555_17:
	s_lshl_b64 s[0:1], s[24:25], 8
	s_add_u32 s4, s4, s0
	s_movk_i32 s0, 0x1000
	v_and_or_b32 v19, v20, s0, v21
	s_waitcnt vmcnt(1)
	ds_write_b64 v21, v[6:7] offset:16384
	v_xor_b32_e32 v6, 8, v21
	ds_write_b64 v6, v[8:9] offset:16384
	s_waitcnt vmcnt(0)
	ds_write_b64 v21, v[2:3] offset:24576
	ds_write_b64 v6, v[4:5] offset:24576
	;; [unrolled: 1-line block ×3, first 2 shown]
	v_xor_b32_e32 v2, 8, v19
	ds_write_b64 v2, v[16:17] offset:16384
	ds_write_b64 v19, v[10:11] offset:24576
	;; [unrolled: 1-line block ×3, first 2 shown]
	v_or_b32_e32 v2, v1, v45
	s_addc_u32 s5, s5, s1
	s_add_i32 s0, s12, -1
	v_lshlrev_b32_e32 v2, 3, v2
	v_lshrrev_b32_e32 v4, 5, v42
	s_movk_i32 s12, 0xf8
	v_and_or_b32 v4, v2, s12, v4
	v_lshlrev_b32_e32 v3, 11, v43
	v_lshlrev_b32_e32 v12, 4, v4
	v_and_b32_e32 v13, 0x78, v2
	v_and_b32_e32 v14, 0x1000, v3
	v_lshlrev_b32_e32 v3, 2, v0
	v_xor_b32_e32 v2, v12, v13
	v_lshrrev_b32_e32 v4, 1, v42
	v_and_b32_e32 v3, 60, v3
	v_or_b32_e32 v2, v2, v14
	v_and_b32_e32 v15, 8, v4
	v_xor_b32_e32 v26, v2, v15
	v_lshl_or_b32 v2, v44, 6, v3
	v_lshlrev_b32_e32 v19, 1, v2
	v_or_b32_e32 v2, 32, v12
	v_xor_b32_e32 v2, v2, v13
	s_waitcnt lgkmcnt(0)
	s_barrier
	ds_read_b64 v[10:11], v26 offset:16384
	v_or_b32_e32 v2, v2, v14
	v_xor_b32_e32 v27, v2, v15
	v_or_b32_e32 v2, 64, v12
	v_xor_b32_e32 v2, v2, v13
	v_or_b32_e32 v2, v2, v14
	v_or_b32_e32 v12, 0x60, v12
	v_xor_b32_e32 v28, v2, v15
	ds_read2st64_b64 v[2:5], v19 offset0:72 offset1:73
	ds_read2st64_b64 v[6:9], v19 offset0:74 offset1:75
	v_xor_b32_e32 v16, v12, v13
	ds_read_b64 v[12:13], v27 offset:16384
	s_add_i32 s1, s44, s33
	s_waitcnt lgkmcnt(2)
	v_mfma_f32_16x16x16_bf16 a[0:3], v[10:11], v[2:3], 0
	s_add_i32 s37, s1, s48
	s_add_i32 s1, s46, s45
	;; [unrolled: 1-line block ×3, first 2 shown]
	s_ashr_i32 s1, s0, 31
	s_mul_i32 s2, s0, s31
	s_mul_hi_u32 s3, s0, s30
	s_add_i32 s2, s3, s2
	s_mul_i32 s1, s1, s30
	v_or_b32_e32 v14, v16, v14
	s_add_i32 s1, s2, s1
	s_lshl_b64 s[2:3], s[36:37], 2
	v_xor_b32_e32 v37, v14, v15
	ds_read_b64 v[14:15], v28 offset:16384
	ds_read_b64 v[16:17], v37 offset:16384
	s_waitcnt lgkmcnt(2)
	v_mfma_f32_16x16x16_bf16 a[0:3], v[12:13], v[4:5], a[0:3]
	s_add_u32 s10, s10, s2
	s_addc_u32 s11, s11, s3
	s_lshl_b64 s[2:3], s[34:35], 2
	s_mul_i32 s0, s0, s30
	s_add_u32 s10, s10, s2
	s_addc_u32 s11, s11, s3
	s_lshl_b64 s[0:1], s[0:1], 2
	s_waitcnt lgkmcnt(1)
	v_mfma_f32_16x16x16_bf16 a[0:3], v[14:15], v[6:7], a[0:3]
	s_add_u32 s0, s10, s0
	s_addc_u32 s1, s11, s1
	s_load_dword s12, s[0:1], 0x0
	s_waitcnt lgkmcnt(0)
	v_mfma_f32_16x16x16_bf16 a[0:3], v[16:17], v[8:9], a[0:3]
	s_and_b64 vcc, exec, s[22:23]
	s_cbranch_vccz .LBB555_28
; %bb.18:
	v_lshlrev_b32_e32 v20, 1, v35
	s_and_b64 vcc, exec, s[6:7]
	s_cbranch_vccz .LBB555_44
; %bb.19:
	v_cmp_gt_i32_e32 vcc, s27, v20
	v_mov_b32_e32 v6, 0
	v_mov_b32_e32 v2, 0
	;; [unrolled: 1-line block ×5, first 2 shown]
	s_and_saveexec_b64 s[0:1], vcc
	s_cbranch_execz .LBB555_21
; %bb.20:
	v_mad_i64_i32 v[2:3], s[2:3], s15, v20, 0
	v_lshl_add_u64 v[2:3], v[2:3], 1, s[4:5]
	v_lshlrev_b32_e32 v4, 1, v18
	v_mov_b32_e32 v5, 0
	v_lshl_add_u64 v[2:3], v[2:3], 0, v[4:5]
	global_load_dwordx4 v[2:5], v[2:3], off
.LBB555_21:
	s_or_b64 exec, exec, s[0:1]
	v_or_b32_e32 v21, 1, v20
	v_cmp_gt_i32_e64 s[0:1], s27, v21
	v_mov_b32_e32 v7, 0
	v_mov_b32_e32 v8, 0
	;; [unrolled: 1-line block ×3, first 2 shown]
	s_and_saveexec_b64 s[2:3], s[0:1]
	s_cbranch_execz .LBB555_23
; %bb.22:
	v_mad_i64_i32 v[6:7], s[16:17], s15, v21, 0
	v_lshl_add_u64 v[6:7], v[6:7], 1, s[4:5]
	v_lshlrev_b32_e32 v8, 1, v18
	v_mov_b32_e32 v9, 0
	v_lshl_add_u64 v[6:7], v[6:7], 0, v[8:9]
	global_load_dwordx4 v[6:9], v[6:7], off
.LBB555_23:
	s_or_b64 exec, exec, s[2:3]
	v_mov_b32_e32 v17, 0
	v_mov_b32_e32 v10, 0
	;; [unrolled: 1-line block ×5, first 2 shown]
	s_and_saveexec_b64 s[2:3], vcc
	s_cbranch_execz .LBB555_25
; %bb.24:
	v_mad_i64_i32 v[10:11], s[16:17], s15, v20, 0
	v_lshl_add_u64 v[10:11], v[10:11], 1, s[4:5]
	v_lshlrev_b32_e32 v12, 1, v18
	v_mov_b32_e32 v13, 0
	v_lshl_add_u64 v[10:11], v[10:11], 0, v[12:13]
	global_load_dwordx4 v[10:13], v[10:11], off offset:128
.LBB555_25:
	s_or_b64 exec, exec, s[2:3]
	v_mov_b32_e32 v16, 0
	v_mov_b32_e32 v15, 0
	;; [unrolled: 1-line block ×3, first 2 shown]
	s_and_saveexec_b64 s[2:3], s[0:1]
	s_cbranch_execz .LBB555_27
; %bb.26:
	v_mad_i64_i32 v[14:15], s[0:1], s15, v21, 0
	v_lshl_add_u64 v[14:15], v[14:15], 1, s[4:5]
	v_lshlrev_b32_e32 v16, 1, v18
	v_mov_b32_e32 v17, 0
	v_lshl_add_u64 v[14:15], v[14:15], 0, v[16:17]
	global_load_dwordx4 v[14:17], v[14:15], off offset:128
.LBB555_27:
	s_or_b64 exec, exec, s[2:3]
	s_branch .LBB555_46
.LBB555_28:
                                        ; implicit-def: $vgpr5
                                        ; implicit-def: $vgpr9
                                        ; implicit-def: $vgpr13
                                        ; implicit-def: $vgpr17
	v_lshrrev_b32_e32 v38, 2, v42
	s_branch .LBB555_47
.LBB555_29:
                                        ; implicit-def: $vgpr4
                                        ; implicit-def: $vgpr5
                                        ; implicit-def: $sgpr22
	v_lshl_or_b32 v2, v58, 9, v2
.LBB555_30:
	v_or_b32_e32 v4, 0x100, v2
	s_movk_i32 s22, 0x4000
	v_mov_b32_e32 v5, v2
.LBB555_31:
	s_mul_hi_u32 s20, s14, s12
	s_mul_i32 s21, s54, s12
	s_add_i32 s20, s20, s21
	s_mul_i32 s21, s14, s12
	s_mul_i32 s23, s21, s3
	s_mul_hi_u32 s24, s21, s51
	s_add_i32 s23, s24, s23
	s_mul_i32 s20, s20, s51
	s_add_i32 s23, s23, s20
	s_mul_i32 s21, s21, s51
	s_ashr_i32 s59, s55, 31
	s_add_u32 s20, s21, s55
	s_addc_u32 s21, s23, s59
	s_lshl_b64 s[20:21], s[20:21], 8
	s_add_u32 s20, s4, s20
	s_addc_u32 s21, s5, s21
	s_and_b32 s21, s21, 0xffff
	s_mov_b32 s23, 0x20000
	s_movk_i32 s60, 0x80
	buffer_load_dwordx4 v[6:9], v5, s[20:23], 0 offen
	buffer_load_dwordx4 v[10:13], v5, s[20:23], s60 offen
	;; [unrolled: 1-line block ×4, first 2 shown]
	v_and_b32_e32 v4, 6, v0
	v_lshlrev_b32_e32 v22, 2, v45
	v_lshlrev_b32_e32 v23, 3, v45
	v_xor_b32_e32 v25, v58, v4
	v_and_b32_e32 v5, 1, v0
	s_mul_i32 s3, s3, s12
	s_mul_hi_u32 s20, s51, s12
	v_lshl_or_b32 v23, v48, 5, v23
	v_xor_b32_e32 v26, v48, v22
	v_lshlrev_b32_e32 v25, 2, v25
	v_or_b32_e32 v64, 0x9000, v23
	v_or_b32_e32 v65, 0x9800, v23
	v_lshlrev_b32_e32 v23, 1, v26
	v_xor_b32_e32 v26, 0x440, v25
	v_cmp_eq_u32_e32 vcc, 0, v5
	s_add_i32 s65, s20, s3
	s_add_i32 s3, s44, s33
	v_cndmask_b32_e32 v5, v26, v25, vcc
	s_add_i32 s20, s46, s45
	s_add_i32 s37, s3, s48
	s_mov_b32 s62, 0x1000504
	v_lshlrev_b32_e32 v24, 8, v45
	s_mov_b32 s22, 0x8000
	v_xor_b32_e32 v22, v49, v22
	v_lshl_or_b32 v4, v4, 10, v5
	s_add_i32 s35, s20, s47
	s_lshl_b64 s[20:21], s[36:37], 2
	s_mov_b32 s63, 0x3020706
	v_lshlrev_b32_e32 v22, 1, v22
	v_or3_b32 v66, v23, v24, s22
	v_xor_b32_e32 v5, 8, v4
	v_xor_b32_e32 v23, 24, v4
	;; [unrolled: 1-line block ×4, first 2 shown]
	s_add_u32 s3, s10, s20
	v_or3_b32 v67, v22, v24, s22
	v_xor_b32_e32 v22, 16, v4
	v_xor_b32_e32 v24, 32, v4
	;; [unrolled: 1-line block ×3, first 2 shown]
	v_add_u32_e32 v5, 0x80, v5
	v_add_u32_e32 v23, 0x80, v23
	;; [unrolled: 1-line block ×4, first 2 shown]
	s_addc_u32 s24, s11, s21
	s_lshl_b64 s[20:21], s[34:35], 2
	s_add_u32 s40, s3, s20
	s_movk_i32 s3, 0xf8
	s_addc_u32 s41, s24, s21
	v_ashrrev_i32_e32 v35, 31, v34
	s_lshl_b32 s26, s15, 7
	s_mov_b32 s61, 0
	s_mul_i32 s64, s51, s12
	s_mov_b32 s37, 0
	s_waitcnt vmcnt(1)
	v_perm_b32 v28, v6, v14, s62
	s_waitcnt vmcnt(0)
	v_perm_b32 v29, v10, v18, s62
	v_perm_b32 v6, v6, v14, s63
	;; [unrolled: 1-line block ×15, first 2 shown]
	ds_write2st64_b32 v4, v28, v29 offset1:32
	ds_write2st64_b32 v5, v6, v10 offset1:32
	ds_write2st64_b32 v22, v14, v18 offset0:1 offset1:33
	ds_write2st64_b32 v23, v7, v11 offset0:1 offset1:33
	;; [unrolled: 1-line block ×6, first 2 shown]
	v_or_b32_e32 v4, v1, v45
	v_lshlrev_b32_e32 v4, 3, v4
	v_lshrrev_b32_e32 v6, 5, v42
	v_and_or_b32 v6, v4, s3, v6
	v_lshlrev_b32_e32 v6, 4, v6
	v_lshlrev_b32_e32 v12, 11, v43
	v_and_b32_e32 v4, 0x78, v4
	v_or_b32_e32 v9, 32, v6
	v_and_b32_e32 v5, 0x1000, v12
	v_lshrrev_b32_e32 v13, 1, v0
	v_xor_b32_e32 v9, v9, v4
	v_and_b32_e32 v8, 8, v13
	v_or_b32_e32 v9, v9, v5
	v_xor_b32_e32 v7, v6, v4
	v_xor_b32_e32 v70, v9, v8
	v_or_b32_e32 v9, 64, v6
	v_or_b32_e32 v6, 0x60, v6
	v_xor_b32_e32 v9, v9, v4
	v_xor_b32_e32 v4, v6, v4
	v_or_b32_e32 v7, v7, v5
	v_or_b32_e32 v9, v9, v5
	;; [unrolled: 1-line block ×3, first 2 shown]
	v_xor_b32_e32 v68, v7, v8
	v_xor_b32_e32 v71, v9, v8
	;; [unrolled: 1-line block ×3, first 2 shown]
	v_lshrrev_b32_e32 v8, 4, v0
	v_lshlrev_b32_e32 v9, 1, v45
	s_ashr_i32 s3, s2, 31
	v_or_b32_e32 v10, 1, v9
	v_xor_b32_e32 v9, v8, v9
	s_lshl_b64 s[20:21], s[2:3], 8
	v_xor_b32_e32 v10, v10, v8
	v_lshlrev_b32_e32 v9, 3, v9
	v_lshlrev_b32_e32 v8, 8, v8
	v_lshlrev_b64 v[4:5], 1, v[34:35]
	s_add_u32 s20, s18, s20
	v_or3_b32 v35, v9, v8, s22
	v_lshlrev_b32_e32 v9, 3, v10
	s_addc_u32 s21, s19, s21
	v_or3_b32 v74, v9, v8, s22
	v_mov_b32_e32 v9, 0
	v_lshl_add_u64 v[10:11], s[20:21], 0, v[8:9]
	v_lshlrev_b32_e32 v8, 4, v45
	s_movk_i32 s3, 0xff
	v_lshlrev_b32_e32 v17, 3, v43
	v_and_b32_e32 v13, 24, v13
	v_lshl_add_u64 v[36:37], v[10:11], 0, v[8:9]
	v_and_b32_e32 v10, 8, v0
	v_cmp_lt_u32_e32 vcc, s3, v0
	v_xor_b32_e32 v18, v17, v13
	v_or_b32_e32 v19, 0x440, v18
	v_cndmask_b32_e64 v16, 0, 1, vcc
	v_cmp_eq_u32_e32 vcc, 0, v10
	v_and_b32_e32 v8, 7, v0
	v_lshlrev_b32_e32 v11, 3, v8
	v_cndmask_b32_e32 v10, v19, v18, vcc
	v_lshlrev_b32_e32 v8, 7, v8
	v_or_b32_e32 v10, v10, v12
	v_xad_u32 v75, v10, v11, v8
	v_or_b32_e32 v10, 32, v13
	v_xor_b32_e32 v10, v17, v10
	v_or_b32_e32 v18, 0x440, v10
	v_cndmask_b32_e32 v10, v18, v10, vcc
	v_or_b32_e32 v10, v10, v12
	v_xad_u32 v76, v10, v11, v8
	v_or_b32_e32 v10, 64, v13
	v_xor_b32_e32 v10, v17, v10
	v_xor_b32_e32 v18, 0x440, v10
	v_cndmask_b32_e32 v10, v18, v10, vcc
	v_or_b32_e32 v10, v10, v12
	v_xad_u32 v77, v10, v11, v8
	v_or_b32_e32 v10, 0x60, v13
	v_xor_b32_e32 v10, v17, v10
	v_xor_b32_e32 v13, 0x440, v10
	v_and_b32_e32 v7, 0x78, v46
	v_cndmask_b32_e32 v10, v13, v10, vcc
	v_lshl_or_b32 v7, v44, 7, v7
	v_or_b32_e32 v10, v10, v12
	v_or_b32_e32 v69, 0x9000, v7
	;; [unrolled: 1-line block ×3, first 2 shown]
	v_lshl_add_u64 v[6:7], s[8:9], 0, v[4:5]
	v_lshl_add_u64 v[4:5], s[28:29], 0, v[4:5]
	v_lshlrev_b32_e32 v14, 1, v3
	v_add_lshl_u32 v3, v3, s15, 1
	v_or_b32_e32 v15, 0x100, v2
	v_lshlrev_b32_e32 v16, 13, v16
	v_xad_u32 v78, v10, v11, v8
	v_lshlrev_b32_e32 v8, 8, v48
	v_cndmask_b32_e64 v79, v14, v2, s[0:1]
	v_cndmask_b32_e64 v80, v3, v15, s[0:1]
	v_lshl_add_u64 v[38:39], v[6:7], 0, v[8:9]
	v_lshl_add_u64 v[40:41], v[4:5], 0, v[8:9]
	s_mov_b32 s3, 0x7060302
	s_movk_i32 s22, 0x4000
	v_add_u32_e32 v81, v16, v75
	v_add_u32_e32 v82, v16, v76
	;; [unrolled: 1-line block ×4, first 2 shown]
	s_waitcnt lgkmcnt(0)
	s_barrier
.LBB555_32:                             ; =>This Inner Loop Header: Depth=1
	s_add_i32 s35, s37, 1
	s_cmp_lt_i32 s35, s52
	s_mov_b64 s[24:25], 0
	s_cselect_b64 s[42:43], -1, 0
	s_cmp_ge_i32 s35, s52
	s_mov_b64 s[20:21], 0
	s_cbranch_scc1 .LBB555_34
; %bb.33:                               ;   in Loop: Header=BB555_32 Depth=1
	s_add_i32 s0, s61, 64
	s_add_u32 s0, s16, s0
	s_addc_u32 s1, s17, 0
	s_lshl_b64 s[0:1], s[0:1], 8
	s_add_u32 s20, s6, s0
	s_addc_u32 s21, s7, s1
.LBB555_34:                             ;   in Loop: Header=BB555_32 Depth=1
	v_cndmask_b32_e64 v2, 0, 1, s[42:43]
	v_cmp_ne_u32_e64 s[0:1], 1, v2
	s_andn2_b64 vcc, exec, s[42:43]
	s_cbranch_vccnz .LBB555_36
; %bb.35:                               ;   in Loop: Header=BB555_32 Depth=1
	s_add_i32 s24, s61, 64
	s_add_u32 s24, s64, s24
	s_addc_u32 s25, s65, 0
	s_mul_i32 s27, s24, s54
	s_mul_hi_u32 s42, s24, s58
	s_add_i32 s27, s42, s27
	s_mul_i32 s25, s25, s58
	s_add_i32 s27, s27, s25
	s_mul_i32 s24, s24, s58
	s_add_u32 s24, s24, s55
	s_addc_u32 s25, s27, s59
	s_lshl_b64 s[24:25], s[24:25], 8
	s_add_u32 s24, s4, s24
	s_addc_u32 s25, s5, s25
.LBB555_36:                             ;   in Loop: Header=BB555_32 Depth=1
	v_perm_b32 v3, v56, v54, s3
	v_perm_b32 v2, v50, v52, s3
	;; [unrolled: 1-line block ×4, first 2 shown]
	ds_write_b64 v64, v[2:3]
	ds_write_b64 v65, v[4:5]
	;; [unrolled: 1-line block ×4, first 2 shown]
	s_waitcnt lgkmcnt(0)
	s_barrier
	ds_read_b64 v[10:11], v68 offset:16384
	ds_read_b64 v[12:13], v70 offset:16384
	ds_read2st64_b64 v[2:5], v69 offset1:1
	ds_read2st64_b64 v[6:9], v69 offset0:2 offset1:3
	ds_read_b64 v[14:15], v71 offset:16384
	s_waitcnt lgkmcnt(2)
	v_mfma_f32_16x16x16_bf16 a[0:3], v[10:11], v[2:3], 0
	ds_read_b64 v[2:3], v72 offset:16384
	s_add_i32 s27, s61, 63
	s_mul_i32 s42, s27, s31
	v_mfma_f32_16x16x16_bf16 a[0:3], v[12:13], v[4:5], a[0:3]
	s_mul_hi_u32 s43, s27, s30
	s_add_i32 s43, s43, s42
	s_mul_i32 s42, s27, s30
	s_waitcnt lgkmcnt(1)
	v_mfma_f32_16x16x16_bf16 a[0:3], v[14:15], v[6:7], a[0:3]
	s_lshl_b64 s[42:43], s[42:43], 2
	s_add_u32 s42, s40, s42
	s_addc_u32 s43, s41, s43
	s_waitcnt lgkmcnt(0)
	v_mfma_f32_16x16x16_bf16 a[0:3], v[2:3], v[8:9], a[0:3]
	s_and_b64 vcc, exec, s[0:1]
	v_mov_b32_e32 v87, 0
	v_mov_b32_e32 v86, 0
	;; [unrolled: 1-line block ×19, first 2 shown]
	s_cbranch_vccnz .LBB555_38
; %bb.37:                               ;   in Loop: Header=BB555_32 Depth=1
	s_and_b32 s21, s21, 0xffff
	buffer_load_dwordx4 v[14:17], v60, s[20:23], 0 offen
	buffer_load_dwordx4 v[10:13], v60, s[20:23], s60 offen
	;; [unrolled: 1-line block ×4, first 2 shown]
	v_mov_b32_e32 v86, v62
	v_mov_b32_e32 v85, v63
.LBB555_38:                             ;   in Loop: Header=BB555_32 Depth=1
	s_waitcnt vmcnt(3)
	v_add_u32_e32 v24, s61, v48
	s_waitcnt vmcnt(1)
	v_ashrrev_i32_e32 v18, 31, v24
	v_mul_lo_u32 v20, v18, s30
	v_mul_lo_u32 v21, v24, s31
	v_mad_u64_u32 v[18:19], s[20:21], v24, s30, 0
	v_add3_u32 v19, v19, v21, v20
	v_add_u32_e32 v20, 1, v24
	v_ashrrev_i32_e32 v21, 31, v20
	v_mul_lo_u32 v22, v21, s30
	v_mul_lo_u32 v23, v20, s31
	v_mad_u64_u32 v[20:21], s[20:21], v20, s30, 0
	v_add3_u32 v21, v21, v23, v22
	v_add_u32_e32 v22, 2, v24
	v_ashrrev_i32_e32 v23, 31, v22
	v_mul_lo_u32 v25, v23, s30
	v_mul_lo_u32 v26, v22, s31
	v_mad_u64_u32 v[22:23], s[20:21], v22, s30, 0
	s_add_u32 s20, s16, s61
	v_add3_u32 v23, v23, v26, v25
	v_add_u32_e32 v26, 3, v24
	s_addc_u32 s21, s17, 0
	v_ashrrev_i32_e32 v24, 31, v26
	s_lshl_b64 s[66:67], s[20:21], 8
	v_lshl_add_u64 v[18:19], v[18:19], 2, s[40:41]
	v_mul_lo_u32 v27, v24, s30
	v_lshl_add_u64 v[24:25], v[38:39], 0, s[66:67]
	v_mul_lo_u32 v28, v26, s31
	global_load_ushort v89, v[24:25], off
	global_load_ushort v94, v[24:25], off offset:256
	global_load_ushort v95, v[24:25], off offset:512
	;; [unrolled: 1-line block ×3, first 2 shown]
	global_load_dword v97, v[18:19], off
	v_mad_u64_u32 v[18:19], s[20:21], v26, s30, 0
	v_lshl_add_u64 v[20:21], v[20:21], 2, s[40:41]
	v_add3_u32 v19, v19, v28, v27
	v_lshl_add_u64 v[22:23], v[22:23], 2, s[40:41]
	v_lshl_add_u64 v[18:19], v[18:19], 2, s[40:41]
	global_load_dword v98, v[20:21], off
	global_load_dword v99, v[22:23], off
	;; [unrolled: 1-line block ×3, first 2 shown]
	s_load_dword s20, s[42:43], 0x0
	ds_read_b64 v[26:27], v68 offset:24576
	ds_read2st64_b64 v[22:25], v73 offset1:1
	ds_read2st64_b64 v[28:31], v73 offset0:2 offset1:3
	ds_read_b64 v[32:33], v70 offset:24576
	ds_read_b64 v[90:91], v71 offset:24576
	;; [unrolled: 1-line block ×3, first 2 shown]
	s_waitcnt lgkmcnt(0)
	v_mfma_f32_16x16x16_bf16 a[0:3], v[26:27], v[22:23], a[0:3]
	v_mov_b32_e32 v88, 0
	v_mov_b32_e32 v18, 0
	;; [unrolled: 1-line block ×3, first 2 shown]
	v_mfma_f32_16x16x16_bf16 a[0:3], v[32:33], v[24:25], a[0:3]
	v_mov_b32_e32 v20, 0
	v_mov_b32_e32 v21, 0
	v_mov_b32_e32 v22, 0
	v_mfma_f32_16x16x16_bf16 a[0:3], v[90:91], v[28:29], a[0:3]
	v_lshl_add_u64 v[28:29], v[40:41], 0, s[66:67]
	v_mov_b32_e32 v23, 0
	v_mov_b32_e32 v24, 0
	v_mfma_f32_16x16x16_bf16 a[0:3], v[92:93], v[30:31], a[0:3]
	v_mov_b32_e32 v25, 0
	v_mov_b32_e32 v26, 0
	;; [unrolled: 1-line block ×3, first 2 shown]
	s_and_b64 vcc, exec, s[0:1]
	s_waitcnt vmcnt(7)
	v_lshlrev_b32_e32 v90, 16, v89
	s_nop 0
	v_accvgpr_read_b32 v33, a1
	v_accvgpr_read_b32 v31, a3
	;; [unrolled: 1-line block ×4, first 2 shown]
	s_waitcnt vmcnt(6)
	v_lshlrev_b32_e32 v91, 16, v94
	s_waitcnt vmcnt(4)
	v_lshlrev_b32_e32 v93, 16, v96
	v_lshlrev_b32_e32 v92, 16, v95
	s_waitcnt vmcnt(3)
	v_sub_f32_e32 v89, s20, v97
	v_pk_add_f32 v[32:33], v[90:91], v[32:33] neg_lo:[0,1] neg_hi:[0,1]
	v_pk_add_f32 v[30:31], v[92:93], v[30:31] neg_lo:[0,1] neg_hi:[0,1]
	v_exp_f32_e32 v90, v89
	s_waitcnt vmcnt(2)
	v_sub_f32_e32 v89, s20, v98
	s_waitcnt vmcnt(1)
	v_sub_f32_e32 v92, s20, v99
	;; [unrolled: 2-line block ×3, first 2 shown]
	v_exp_f32_e32 v91, v89
	v_exp_f32_e32 v92, v92
	;; [unrolled: 1-line block ×3, first 2 shown]
	global_store_short_d16_hi v[28:29], v32, off
	global_store_short_d16_hi v[28:29], v33, off offset:256
	global_store_short_d16_hi v[28:29], v30, off offset:512
	;; [unrolled: 1-line block ×3, first 2 shown]
	v_pk_mul_f32 v[28:29], v[90:91], v[32:33]
	v_pk_mul_f32 v[30:31], v[92:93], v[30:31]
	v_perm_b32 v28, v29, v28, s3
	v_perm_b32 v29, v31, v30, s3
	ds_write_b64 v65, v[28:29]
	v_mov_b32_e32 v28, 0
	v_mov_b32_e32 v29, 0
	;; [unrolled: 1-line block ×6, first 2 shown]
	s_cbranch_vccnz .LBB555_40
; %bb.39:                               ;   in Loop: Header=BB555_32 Depth=1
	s_and_b32 s25, s25, 0xffff
	s_mov_b32 s27, s23
	buffer_load_dwordx4 v[30:33], v79, s[24:27], 0 offen
	buffer_load_dwordx4 v[22:25], v79, s[24:27], s60 offen
	;; [unrolled: 1-line block ×4, first 2 shown]
	v_mov_b32_e32 v87, v59
	v_mov_b32_e32 v88, v58
.LBB555_40:                             ;   in Loop: Header=BB555_32 Depth=1
	s_waitcnt lgkmcnt(0)
	s_barrier
	ds_read_b64 v[98:99], v81
	ds_read2st64_b64 v[90:93], v73 offset1:1
	ds_read2st64_b64 v[94:97], v73 offset0:2 offset1:3
	ds_read_b64 v[100:101], v82
	ds_read_b64 v[102:103], v83
	;; [unrolled: 1-line block ×3, first 2 shown]
	s_waitcnt lgkmcnt(4)
	v_mfma_f32_16x16x16_bf16 a[0:3], v[98:99], v[90:91], 0
	ds_read_b64 v[98:99], v75 offset:8192
	ds_read_b64 v[106:107], v76 offset:8192
	s_add_i32 s21, s56, s37
	s_mul_hi_i32 s25, s21, s13
	s_waitcnt lgkmcnt(1)
	v_mfma_f32_16x16x16_bf16 a[4:7], v[98:99], v[90:91], 0
	s_mul_i32 s21, s21, s13
	s_add_u32 s24, s21, s49
	s_addc_u32 s25, s25, s53
	v_mfma_f32_16x16x16_bf16 a[0:3], v[100:101], v[92:93], a[0:3]
	ds_read_b64 v[98:99], v35
	ds_read_b64 v[100:101], v74
	ds_read_b64 v[90:91], v77 offset:8192
	s_lshl_b64 s[24:25], s[24:25], 15
	v_mfma_f32_16x16x16_bf16 a[0:3], v[102:103], v[94:95], a[0:3]
	ds_read_b64 v[102:103], v78 offset:8192
	s_and_b64 vcc, exec, s[0:1]
	s_waitcnt lgkmcnt(4)
	v_mfma_f32_16x16x16_bf16 a[4:7], v[106:107], v[92:93], a[4:7]
	s_waitcnt lgkmcnt(1)
	v_mfma_f32_16x16x16_bf16 a[4:7], v[90:91], v[94:95], a[4:7]
	v_lshl_add_u64 v[90:91], v[36:37], 0, s[24:25]
	global_store_dwordx4 v[90:91], v[98:101], off
	v_mfma_f32_16x16x16_bf16 a[0:3], v[104:105], v[96:97], a[0:3]
	s_waitcnt lgkmcnt(0)
	v_mfma_f32_16x16x16_bf16 a[4:7], v[102:103], v[96:97], a[4:7]
	s_cbranch_vccnz .LBB555_42
; %bb.41:                               ;   in Loop: Header=BB555_32 Depth=1
	v_lshrrev_b32_e32 v89, 3, v87
	v_and_b32_e32 v89, 6, v89
	v_xor_b32_e32 v88, v89, v88
	v_lshlrev_b32_e32 v88, 2, v88
	v_and_b32_e32 v87, 8, v87
	v_xor_b32_e32 v90, 0x440, v88
	v_cmp_eq_u32_e32 vcc, 0, v87
	s_barrier
	s_nop 0
	v_cndmask_b32_e32 v87, v90, v88, vcc
	v_lshl_or_b32 v87, v89, 10, v87
	s_waitcnt vmcnt(2)
	v_perm_b32 v88, v30, v26, s62
	s_waitcnt vmcnt(1)
	v_perm_b32 v89, v22, v18, s62
	ds_write2st64_b32 v87, v88, v89 offset1:32
	v_xor_b32_e32 v88, 8, v87
	v_perm_b32 v26, v30, v26, s63
	v_perm_b32 v18, v22, v18, s63
	v_add_u32_e32 v22, 0x80, v88
	ds_write2st64_b32 v22, v26, v18 offset1:32
	v_xor_b32_e32 v18, 16, v87
	v_perm_b32 v22, v31, v27, s62
	v_perm_b32 v26, v23, v19, s62
	ds_write2st64_b32 v18, v22, v26 offset0:1 offset1:33
	v_xor_b32_e32 v18, 24, v87
	v_perm_b32 v22, v31, v27, s63
	v_perm_b32 v19, v23, v19, s63
	v_add_u32_e32 v18, 0x80, v18
	ds_write2st64_b32 v18, v22, v19 offset0:1 offset1:33
	v_xor_b32_e32 v18, 32, v87
	v_perm_b32 v19, v32, v28, s62
	v_perm_b32 v22, v24, v20, s62
	ds_write2st64_b32 v18, v19, v22 offset0:2 offset1:34
	v_xor_b32_e32 v18, 40, v87
	v_perm_b32 v19, v32, v28, s63
	v_perm_b32 v20, v24, v20, s63
	v_add_u32_e32 v18, 0x80, v18
	ds_write2st64_b32 v18, v19, v20 offset0:2 offset1:34
	v_xor_b32_e32 v18, 48, v87
	v_perm_b32 v19, v33, v29, s62
	v_perm_b32 v20, v25, v21, s62
	ds_write2st64_b32 v18, v19, v20 offset0:3 offset1:35
	v_xor_b32_e32 v18, 56, v87
	v_perm_b32 v19, v33, v29, s63
	v_perm_b32 v20, v25, v21, s63
	v_add_u32_e32 v18, 0x80, v18
	ds_write2st64_b32 v18, v19, v20 offset0:3 offset1:35
	ds_write_b64 v86, v[14:15] offset:16384
	v_xor_b32_e32 v14, 8, v86
	ds_write_b64 v14, v[16:17] offset:16384
	ds_write_b64 v86, v[10:11] offset:24576
	ds_write_b64 v14, v[12:13] offset:24576
	ds_write_b64 v85, v[6:7] offset:16384
	v_xor_b32_e32 v6, 8, v85
	ds_write_b64 v6, v[8:9] offset:16384
	ds_write_b64 v85, v[2:3] offset:24576
	;; [unrolled: 1-line block ×3, first 2 shown]
.LBB555_42:                             ;   in Loop: Header=BB555_32 Depth=1
	v_exp_f32_e32 v4, s20
	s_nop 2
	v_accvgpr_read_b32 v2, a0
	v_accvgpr_read_b32 v3, a1
	s_add_i32 s61, s61, 64
	v_fma_f32 v52, v52, v4, v2
	v_accvgpr_read_b32 v2, a2
	v_fma_f32 v54, v54, v4, v2
	v_accvgpr_read_b32 v2, a4
	;; [unrolled: 2-line block ×6, first 2 shown]
	v_fmac_f32_e32 v3, v56, v4
	s_cmp_eq_u32 s52, s35
	v_fmac_f32_e32 v2, v57, v4
	s_cbranch_scc1 .LBB555_4
; %bb.43:                               ;   in Loop: Header=BB555_32 Depth=1
	s_mov_b32 s37, s35
	v_mov_b32_e32 v56, v3
	v_mov_b32_e32 v57, v2
	s_branch .LBB555_32
.LBB555_44:
                                        ; implicit-def: $vgpr5
                                        ; implicit-def: $vgpr9
                                        ; implicit-def: $vgpr13
                                        ; implicit-def: $vgpr17
	s_cbranch_execz .LBB555_46
; %bb.45:
	s_waitcnt vmcnt(0)
	v_mad_u64_u32 v[2:3], s[0:1], v20, s15, v[18:19]
	v_lshlrev_b32_e32 v20, 1, v2
	s_lshl_b32 s2, s15, 7
	s_and_b32 s1, s5, 0xffff
	s_mov_b32 s3, 0x20000
	s_mov_b32 s0, s4
	v_add_lshl_u32 v21, v2, s15, 1
	s_movk_i32 s13, 0x80
	buffer_load_dwordx4 v[2:5], v20, s[0:3], 0 offen
	buffer_load_dwordx4 v[10:13], v20, s[0:3], s13 offen
	;; [unrolled: 1-line block ×4, first 2 shown]
.LBB555_46:
	v_lshrrev_b32_e32 v38, 2, v42
	s_cbranch_execnz .LBB555_59
.LBB555_47:
	s_and_b64 vcc, exec, s[6:7]
	s_cbranch_vccz .LBB555_57
; %bb.48:
	s_waitcnt vmcnt(0)
	v_lshlrev_b32_e32 v7, 1, v35
	v_cmp_gt_i32_e32 vcc, s27, v7
	v_mov_b32_e32 v6, 0
	v_lshlrev_b32_e32 v14, 9, v35
	v_mov_b32_e32 v2, 0
	v_mov_b32_e32 v3, 0
	v_mov_b32_e32 v4, 0
	v_mov_b32_e32 v5, 0
	s_and_saveexec_b64 s[0:1], vcc
	s_cbranch_execz .LBB555_50
; %bb.49:
	v_mov_b32_e32 v15, 0
	v_lshl_add_u64 v[2:3], s[4:5], 0, v[14:15]
	v_lshlrev_b32_e32 v4, 1, v18
	v_mov_b32_e32 v5, v15
	v_lshl_add_u64 v[2:3], v[2:3], 0, v[4:5]
	global_load_dwordx4 v[2:5], v[2:3], off
.LBB555_50:
	s_or_b64 exec, exec, s[0:1]
	v_or_b32_e32 v7, 1, v7
	v_cmp_gt_i32_e64 s[0:1], s27, v7
	v_lshlrev_b32_e32 v20, 8, v7
	v_mov_b32_e32 v7, 0
	v_mov_b32_e32 v8, 0
	;; [unrolled: 1-line block ×3, first 2 shown]
	s_and_saveexec_b64 s[2:3], s[0:1]
	s_cbranch_execz .LBB555_52
; %bb.51:
	v_mov_b32_e32 v21, 0
	v_lshl_add_u64 v[6:7], s[4:5], 0, v[20:21]
	v_lshlrev_b32_e32 v8, 1, v18
	v_mov_b32_e32 v9, v21
	v_lshl_add_u64 v[6:7], v[6:7], 0, v[8:9]
	global_load_dwordx4 v[6:9], v[6:7], off
.LBB555_52:
	s_or_b64 exec, exec, s[2:3]
	v_mov_b32_e32 v17, 0
	v_mov_b32_e32 v10, 0
	;; [unrolled: 1-line block ×5, first 2 shown]
	s_and_saveexec_b64 s[2:3], vcc
	s_cbranch_execz .LBB555_54
; %bb.53:
	v_mov_b32_e32 v15, 0
	v_lshl_add_u64 v[10:11], s[4:5], 0, v[14:15]
	v_lshlrev_b32_e32 v14, 1, v18
	v_lshl_add_u64 v[10:11], v[10:11], 0, v[14:15]
	global_load_dwordx4 v[10:13], v[10:11], off offset:128
.LBB555_54:
	s_or_b64 exec, exec, s[2:3]
	v_mov_b32_e32 v16, 0
	v_mov_b32_e32 v15, 0
	;; [unrolled: 1-line block ×3, first 2 shown]
	s_and_saveexec_b64 s[2:3], s[0:1]
	s_cbranch_execz .LBB555_56
; %bb.55:
	v_mov_b32_e32 v21, 0
	v_lshl_add_u64 v[14:15], s[4:5], 0, v[20:21]
	v_lshlrev_b32_e32 v20, 1, v18
	v_lshl_add_u64 v[14:15], v[14:15], 0, v[20:21]
	global_load_dwordx4 v[14:17], v[14:15], off offset:128
.LBB555_56:
	s_or_b64 exec, exec, s[2:3]
	s_branch .LBB555_59
.LBB555_57:
                                        ; implicit-def: $vgpr5
                                        ; implicit-def: $vgpr9
                                        ; implicit-def: $vgpr13
                                        ; implicit-def: $vgpr17
	s_cbranch_execz .LBB555_59
; %bb.58:
	s_waitcnt vmcnt(0)
	v_lshlrev_b32_e32 v2, 1, v18
	v_lshl_or_b32 v18, v35, 9, v2
	s_and_b32 s5, s5, 0xffff
	s_mov_b32 s7, 0x20000
	s_movk_i32 s6, 0x4000
	s_movk_i32 s0, 0x80
	buffer_load_dwordx4 v[2:5], v18, s[4:7], 0 offen
	buffer_load_dwordx4 v[6:9], v18, s[4:7], 0 offen offset:256
	buffer_load_dwordx4 v[10:13], v18, s[4:7], s0 offen
	buffer_load_dwordx4 v[14:17], v18, s[4:7], s0 offen offset:256
.LBB555_59:
	ds_read2st64_b64 v[22:25], v19 offset0:76 offset1:77
	ds_read2st64_b64 v[18:21], v19 offset0:78 offset1:79
	ds_read_b64 v[32:33], v26 offset:24576
	ds_read_b64 v[30:31], v27 offset:24576
	;; [unrolled: 1-line block ×4, first 2 shown]
	v_and_b32_e32 v37, 6, v0
	v_xor_b32_e32 v35, v35, v37
	v_lshlrev_b32_e32 v35, 2, v35
	v_and_b32_e32 v0, 1, v0
	v_xor_b32_e32 v39, 0x440, v35
	v_cmp_eq_u32_e32 vcc, 0, v0
	s_mov_b32 s0, 0x1000504
	s_mov_b32 s1, 0x3020706
	v_cndmask_b32_e32 v0, v39, v35, vcc
	v_lshl_or_b32 v0, v37, 10, v0
	s_waitcnt vmcnt(0)
	v_perm_b32 v35, v2, v6, s0
	v_perm_b32 v37, v10, v14, s0
	ds_write2st64_b32 v0, v35, v37 offset1:32
	v_xor_b32_e32 v35, 8, v0
	v_perm_b32 v2, v2, v6, s1
	v_perm_b32 v6, v10, v14, s1
	v_add_u32_e32 v10, 0x80, v35
	ds_write2st64_b32 v10, v2, v6 offset1:32
	v_xor_b32_e32 v2, 16, v0
	v_perm_b32 v6, v3, v7, s0
	v_perm_b32 v10, v11, v15, s0
	ds_write2st64_b32 v2, v6, v10 offset0:1 offset1:33
	v_xor_b32_e32 v2, 24, v0
	v_perm_b32 v3, v3, v7, s1
	v_perm_b32 v6, v11, v15, s1
	v_add_u32_e32 v2, 0x80, v2
	ds_write2st64_b32 v2, v3, v6 offset0:1 offset1:33
	v_xor_b32_e32 v2, 32, v0
	v_perm_b32 v3, v4, v8, s0
	v_perm_b32 v6, v12, v16, s0
	ds_write2st64_b32 v2, v3, v6 offset0:2 offset1:34
	v_xor_b32_e32 v2, 40, v0
	v_perm_b32 v3, v4, v8, s1
	v_perm_b32 v4, v12, v16, s1
	v_add_u32_e32 v2, 0x80, v2
	ds_write2st64_b32 v2, v3, v4 offset0:2 offset1:34
	v_xor_b32_e32 v2, 48, v0
	v_perm_b32 v3, v5, v9, s0
	v_perm_b32 v4, v13, v17, s0
	v_xor_b32_e32 v0, 56, v0
	v_and_or_b32 v8, v38, 12, v1
	ds_write2st64_b32 v2, v3, v4 offset0:3 offset1:35
	v_perm_b32 v2, v5, v9, s1
	v_perm_b32 v3, v13, v17, s1
	v_add_u32_e32 v0, 0x80, v0
	v_cmp_gt_i32_e64 s[2:3], s27, v8
	v_mov_b32_e32 v10, 0
	v_mov_b32_e32 v15, 0
	ds_write2st64_b32 v0, v2, v3 offset0:3 offset1:35
	s_and_saveexec_b64 s[0:1], s[2:3]
	s_cbranch_execz .LBB555_61
; %bb.60:
	v_add_u32_e32 v0, s26, v8
	v_ashrrev_i32_e32 v1, 31, v0
	v_mul_lo_u32 v2, v1, s30
	v_mul_lo_u32 v3, v0, s31
	v_mad_u64_u32 v[0:1], s[4:5], v0, s30, 0
	v_add3_u32 v1, v1, v3, v2
	v_lshl_add_u64 v[0:1], v[0:1], 2, s[10:11]
	global_load_dword v0, v[0:1], off
	s_waitcnt vmcnt(0)
	v_sub_f32_e32 v0, s12, v0
	v_exp_f32_e32 v15, v0
.LBB555_61:
	s_or_b64 exec, exec, s[0:1]
	v_or_b32_e32 v13, 1, v8
	v_cmp_gt_i32_e64 s[4:5], s27, v13
	s_and_saveexec_b64 s[0:1], s[4:5]
	s_cbranch_execz .LBB555_63
; %bb.62:
	v_add_u32_e32 v0, s26, v13
	v_ashrrev_i32_e32 v1, 31, v0
	v_mul_lo_u32 v2, v1, s30
	v_mul_lo_u32 v3, v0, s31
	v_mad_u64_u32 v[0:1], s[6:7], v0, s30, 0
	v_add3_u32 v1, v1, v3, v2
	v_lshl_add_u64 v[0:1], v[0:1], 2, s[10:11]
	global_load_dword v0, v[0:1], off
	s_waitcnt vmcnt(0)
	v_sub_f32_e32 v0, s12, v0
	v_exp_f32_e32 v10, v0
.LBB555_63:
	s_or_b64 exec, exec, s[0:1]
	v_or_b32_e32 v11, 2, v8
	v_cmp_gt_i32_e32 vcc, s27, v11
	v_mov_b32_e32 v9, 0
	v_mov_b32_e32 v14, 0
	s_and_saveexec_b64 s[0:1], vcc
	s_cbranch_execz .LBB555_65
; %bb.64:
	v_add_u32_e32 v0, s26, v11
	v_ashrrev_i32_e32 v1, 31, v0
	v_mul_lo_u32 v2, v1, s30
	v_mul_lo_u32 v3, v0, s31
	v_mad_u64_u32 v[0:1], s[6:7], v0, s30, 0
	v_add3_u32 v1, v1, v3, v2
	v_lshl_add_u64 v[0:1], v[0:1], 2, s[10:11]
	global_load_dword v0, v[0:1], off
	s_waitcnt vmcnt(0)
	v_sub_f32_e32 v0, s12, v0
	v_exp_f32_e32 v14, v0
.LBB555_65:
	s_or_b64 exec, exec, s[0:1]
	v_or_b32_e32 v12, 3, v8
	v_cmp_gt_i32_e64 s[0:1], s27, v12
	s_and_saveexec_b64 s[6:7], s[0:1]
	s_cbranch_execz .LBB555_67
; %bb.66:
	v_add_u32_e32 v0, s26, v12
	v_ashrrev_i32_e32 v1, 31, v0
	v_mul_lo_u32 v2, v1, s30
	v_mul_lo_u32 v3, v0, s31
	v_mad_u64_u32 v[0:1], s[14:15], v0, s30, 0
	v_add3_u32 v1, v1, v3, v2
	v_lshl_add_u64 v[0:1], v[0:1], 2, s[10:11]
	global_load_dword v0, v[0:1], off
	s_waitcnt vmcnt(0)
	v_sub_f32_e32 v0, s12, v0
	v_exp_f32_e32 v9, v0
.LBB555_67:
	s_or_b64 exec, exec, s[6:7]
	s_waitcnt lgkmcnt(11)
	v_mfma_f32_16x16x16_bf16 a[0:3], v[32:33], v[22:23], a[0:3]
	s_add_u32 s6, s8, s20
	v_ashrrev_i32_e32 v35, 31, v34
	s_addc_u32 s7, s9, s21
	s_waitcnt lgkmcnt(10)
	v_mfma_f32_16x16x16_bf16 a[0:3], v[30:31], v[24:25], a[0:3]
	v_lshlrev_b64 v[0:1], 1, v[34:35]
	v_lshl_add_u64 v[4:5], s[6:7], 0, v[0:1]
	s_add_u32 s6, s28, s20
	s_waitcnt lgkmcnt(9)
	v_mfma_f32_16x16x16_bf16 a[0:3], v[28:29], v[18:19], a[0:3]
	s_addc_u32 s7, s29, s21
	v_lshl_add_u64 v[6:7], s[6:7], 0, v[0:1]
	v_mov_b32_e32 v16, 0
	s_waitcnt lgkmcnt(8)
	v_mfma_f32_16x16x16_bf16 a[0:3], v[26:27], v[20:21], a[0:3]
	v_mov_b32_e32 v17, 0
	s_nop 5
	v_accvgpr_read_b32 v0, a0
	v_accvgpr_read_b32 v1, a1
	;; [unrolled: 1-line block ×4, first 2 shown]
	s_and_saveexec_b64 s[6:7], s[2:3]
	s_cbranch_execz .LBB555_69
; %bb.68:
	v_lshlrev_b32_e32 v18, 8, v8
	v_mov_b32_e32 v19, 0
	v_lshl_add_u64 v[20:21], v[4:5], 0, v[18:19]
	global_load_ushort v17, v[20:21], off
	v_lshl_add_u64 v[18:19], v[6:7], 0, v[18:19]
	s_waitcnt vmcnt(0)
	v_lshlrev_b32_e32 v17, 16, v17
	v_sub_f32_e32 v0, v17, v0
	global_store_short_d16_hi v[18:19], v0, off
	v_mul_f32_e32 v0, v15, v0
	v_lshrrev_b32_e32 v17, 16, v0
.LBB555_69:
	s_or_b64 exec, exec, s[6:7]
	s_and_saveexec_b64 s[2:3], s[4:5]
	s_cbranch_execz .LBB555_71
; %bb.70:
	v_lshlrev_b32_e32 v18, 8, v13
	v_mov_b32_e32 v19, 0
	v_lshl_add_u64 v[20:21], v[4:5], 0, v[18:19]
	global_load_ushort v0, v[20:21], off
	v_lshl_add_u64 v[18:19], v[6:7], 0, v[18:19]
	s_waitcnt vmcnt(0)
	v_lshlrev_b32_e32 v0, 16, v0
	v_sub_f32_e32 v0, v0, v1
	global_store_short_d16_hi v[18:19], v0, off
	v_mul_f32_e32 v0, v10, v0
	v_lshrrev_b32_e32 v16, 16, v0
.LBB555_71:
	s_or_b64 exec, exec, s[2:3]
	v_mov_b32_e32 v0, 0
	v_mov_b32_e32 v1, 0
	s_and_saveexec_b64 s[2:3], vcc
	s_cbranch_execz .LBB555_73
; %bb.72:
	v_lshlrev_b32_e32 v10, 8, v11
	v_mov_b32_e32 v11, 0
	v_lshl_add_u64 v[18:19], v[4:5], 0, v[10:11]
	global_load_ushort v1, v[18:19], off
	v_lshl_add_u64 v[10:11], v[6:7], 0, v[10:11]
	s_waitcnt vmcnt(0)
	v_lshlrev_b32_e32 v1, 16, v1
	v_sub_f32_e32 v1, v1, v2
	global_store_short_d16_hi v[10:11], v1, off
	v_mul_f32_e32 v1, v14, v1
	v_lshrrev_b32_e32 v1, 16, v1
.LBB555_73:
	s_or_b64 exec, exec, s[2:3]
	s_and_saveexec_b64 s[2:3], s[0:1]
	s_cbranch_execz .LBB555_75
; %bb.74:
	v_lshlrev_b32_e32 v10, 8, v12
	v_mov_b32_e32 v11, 0
	v_lshl_add_u64 v[4:5], v[4:5], 0, v[10:11]
	global_load_ushort v0, v[4:5], off
	v_lshl_add_u64 v[4:5], v[6:7], 0, v[10:11]
	s_waitcnt vmcnt(0)
	v_lshlrev_b32_e32 v0, 16, v0
	v_sub_f32_e32 v0, v0, v3
	global_store_short_d16_hi v[4:5], v0, off
	v_mul_f32_e32 v0, v9, v0
	v_lshrrev_b32_e32 v0, 16, v0
.LBB555_75:
	s_or_b64 exec, exec, s[2:3]
	s_mov_b32 s0, 0x5040100
	v_lshlrev_b32_e32 v2, 1, v36
	v_perm_b32 v1, v0, v1, s0
	v_perm_b32 v0, v16, v17, s0
	v_lshl_or_b32 v2, v8, 5, v2
	ds_write_b64 v2, v[0:1] offset:38912
	s_waitcnt lgkmcnt(0)
	s_barrier
.LBB555_76:
	s_endpgm
	.section	.rodata,"a",@progbits
	.p2align	6, 0x0
	.amdhsa_kernel _ZN12_GLOBAL__N_139chunk_gated_delta_rule_fwd_h_hip_kernelILi16ELb1ELb0ELb1ELb0ELb1ELb0ELb1ELb1EEEvPK12hip_bfloat16S3_S3_PKfS5_PKvPS1_S8_PvPKiSB_iiiiilll
		.amdhsa_group_segment_fixed_size 40960
		.amdhsa_private_segment_fixed_size 0
		.amdhsa_kernarg_size 136
		.amdhsa_user_sgpr_count 2
		.amdhsa_user_sgpr_dispatch_ptr 0
		.amdhsa_user_sgpr_queue_ptr 0
		.amdhsa_user_sgpr_kernarg_segment_ptr 1
		.amdhsa_user_sgpr_dispatch_id 0
		.amdhsa_user_sgpr_kernarg_preload_length 0
		.amdhsa_user_sgpr_kernarg_preload_offset 0
		.amdhsa_user_sgpr_private_segment_size 0
		.amdhsa_uses_dynamic_stack 0
		.amdhsa_enable_private_segment 0
		.amdhsa_system_sgpr_workgroup_id_x 1
		.amdhsa_system_sgpr_workgroup_id_y 1
		.amdhsa_system_sgpr_workgroup_id_z 0
		.amdhsa_system_sgpr_workgroup_info 0
		.amdhsa_system_vgpr_workitem_id 0
		.amdhsa_next_free_vgpr 116
		.amdhsa_next_free_sgpr 68
		.amdhsa_accum_offset 108
		.amdhsa_reserve_vcc 1
		.amdhsa_float_round_mode_32 0
		.amdhsa_float_round_mode_16_64 0
		.amdhsa_float_denorm_mode_32 3
		.amdhsa_float_denorm_mode_16_64 3
		.amdhsa_dx10_clamp 1
		.amdhsa_ieee_mode 1
		.amdhsa_fp16_overflow 0
		.amdhsa_tg_split 0
		.amdhsa_exception_fp_ieee_invalid_op 0
		.amdhsa_exception_fp_denorm_src 0
		.amdhsa_exception_fp_ieee_div_zero 0
		.amdhsa_exception_fp_ieee_overflow 0
		.amdhsa_exception_fp_ieee_underflow 0
		.amdhsa_exception_fp_ieee_inexact 0
		.amdhsa_exception_int_div_zero 0
	.end_amdhsa_kernel
	.section	.text._ZN12_GLOBAL__N_139chunk_gated_delta_rule_fwd_h_hip_kernelILi16ELb1ELb0ELb1ELb0ELb1ELb0ELb1ELb1EEEvPK12hip_bfloat16S3_S3_PKfS5_PKvPS1_S8_PvPKiSB_iiiiilll,"axG",@progbits,_ZN12_GLOBAL__N_139chunk_gated_delta_rule_fwd_h_hip_kernelILi16ELb1ELb0ELb1ELb0ELb1ELb0ELb1ELb1EEEvPK12hip_bfloat16S3_S3_PKfS5_PKvPS1_S8_PvPKiSB_iiiiilll,comdat
.Lfunc_end555:
	.size	_ZN12_GLOBAL__N_139chunk_gated_delta_rule_fwd_h_hip_kernelILi16ELb1ELb0ELb1ELb0ELb1ELb0ELb1ELb1EEEvPK12hip_bfloat16S3_S3_PKfS5_PKvPS1_S8_PvPKiSB_iiiiilll, .Lfunc_end555-_ZN12_GLOBAL__N_139chunk_gated_delta_rule_fwd_h_hip_kernelILi16ELb1ELb0ELb1ELb0ELb1ELb0ELb1ELb1EEEvPK12hip_bfloat16S3_S3_PKfS5_PKvPS1_S8_PvPKiSB_iiiiilll
                                        ; -- End function
	.section	.AMDGPU.csdata,"",@progbits
; Kernel info:
; codeLenInByte = 7320
; NumSgprs: 74
; NumVgprs: 108
; NumAgprs: 8
; TotalNumVgprs: 116
; ScratchSize: 0
; MemoryBound: 0
; FloatMode: 240
; IeeeMode: 1
; LDSByteSize: 40960 bytes/workgroup (compile time only)
; SGPRBlocks: 9
; VGPRBlocks: 14
; NumSGPRsForWavesPerEU: 74
; NumVGPRsForWavesPerEU: 116
; AccumOffset: 108
; Occupancy: 1
; WaveLimiterHint : 1
; COMPUTE_PGM_RSRC2:SCRATCH_EN: 0
; COMPUTE_PGM_RSRC2:USER_SGPR: 2
; COMPUTE_PGM_RSRC2:TRAP_HANDLER: 0
; COMPUTE_PGM_RSRC2:TGID_X_EN: 1
; COMPUTE_PGM_RSRC2:TGID_Y_EN: 1
; COMPUTE_PGM_RSRC2:TGID_Z_EN: 0
; COMPUTE_PGM_RSRC2:TIDIG_COMP_CNT: 0
; COMPUTE_PGM_RSRC3_GFX90A:ACCUM_OFFSET: 26
; COMPUTE_PGM_RSRC3_GFX90A:TG_SPLIT: 0
	.section	.text._ZN12_GLOBAL__N_139chunk_gated_delta_rule_fwd_h_hip_kernelILi16ELb1ELb0ELb0ELb0ELb1ELb0ELb1ELb1EEEvPK12hip_bfloat16S3_S3_PKfS5_PKvPS1_S8_PvPKiSB_iiiiilll,"axG",@progbits,_ZN12_GLOBAL__N_139chunk_gated_delta_rule_fwd_h_hip_kernelILi16ELb1ELb0ELb0ELb0ELb1ELb0ELb1ELb1EEEvPK12hip_bfloat16S3_S3_PKfS5_PKvPS1_S8_PvPKiSB_iiiiilll,comdat
	.globl	_ZN12_GLOBAL__N_139chunk_gated_delta_rule_fwd_h_hip_kernelILi16ELb1ELb0ELb0ELb0ELb1ELb0ELb1ELb1EEEvPK12hip_bfloat16S3_S3_PKfS5_PKvPS1_S8_PvPKiSB_iiiiilll ; -- Begin function _ZN12_GLOBAL__N_139chunk_gated_delta_rule_fwd_h_hip_kernelILi16ELb1ELb0ELb0ELb0ELb1ELb0ELb1ELb1EEEvPK12hip_bfloat16S3_S3_PKfS5_PKvPS1_S8_PvPKiSB_iiiiilll
	.p2align	8
	.type	_ZN12_GLOBAL__N_139chunk_gated_delta_rule_fwd_h_hip_kernelILi16ELb1ELb0ELb0ELb0ELb1ELb0ELb1ELb1EEEvPK12hip_bfloat16S3_S3_PKfS5_PKvPS1_S8_PvPKiSB_iiiiilll,@function
_ZN12_GLOBAL__N_139chunk_gated_delta_rule_fwd_h_hip_kernelILi16ELb1ELb0ELb0ELb0ELb1ELb0ELb1ELb1EEEvPK12hip_bfloat16S3_S3_PKfS5_PKvPS1_S8_PvPKiSB_iiiiilll: ; @_ZN12_GLOBAL__N_139chunk_gated_delta_rule_fwd_h_hip_kernelILi16ELb1ELb0ELb0ELb0ELb1ELb0ELb1ELb1EEEvPK12hip_bfloat16S3_S3_PKfS5_PKvPS1_S8_PvPKiSB_iiiiilll
; %bb.0:
	s_load_dwordx4 s[12:15], s[0:1], 0x5c
	s_load_dwordx4 s[16:19], s[0:1], 0x28
	s_abs_i32 s6, s3
	s_ashr_i32 s5, s3, 31
	v_and_b32_e32 v43, 15, v0
	s_waitcnt lgkmcnt(0)
	s_abs_i32 s4, s13
	v_cvt_f32_u32_e32 v1, s4
	s_sub_i32 s8, 0, s4
	s_ashr_i32 s7, s13, 31
	s_xor_b32 s5, s5, s7
	v_rcp_iflag_f32_e32 v1, v1
	v_lshrrev_b32_e32 v41, 6, v0
	v_bfe_u32 v42, v0, 4, 2
	v_mov_b32_e32 v5, 0
	v_mul_f32_e32 v1, 0x4f7ffffe, v1
	v_cvt_u32_f32_e32 v1, v1
	v_and_b32_e32 v40, 63, v0
	v_lshlrev_b32_e32 v44, 3, v0
	v_lshrrev_b32_e32 v45, 3, v40
	v_readfirstlane_b32 s9, v1
	s_mul_i32 s8, s8, s9
	s_mul_hi_u32 s8, s9, s8
	s_add_i32 s9, s9, s8
	s_mul_hi_u32 s8, s6, s9
	s_mul_i32 s9, s8, s4
	s_sub_i32 s6, s6, s9
	s_add_i32 s10, s8, 1
	s_sub_i32 s9, s6, s4
	s_cmp_ge_u32 s6, s4
	s_cselect_b32 s8, s10, s8
	s_cselect_b32 s6, s9, s6
	s_add_i32 s9, s8, 1
	s_cmp_ge_u32 s6, s4
	s_cselect_b32 s6, s9, s8
	s_xor_b32 s6, s6, s5
	s_sub_i32 s49, s6, s5
	s_mul_i32 s6, s49, s13
	s_sub_i32 s47, s3, s6
	s_abs_i32 s3, s14
	v_cvt_f32_u32_e32 v1, s3
	s_add_i32 s8, s12, 63
	s_ashr_i32 s9, s8, 31
	s_lshr_b32 s5, s9, 26
	v_rcp_iflag_f32_e32 v1, v1
	s_ashr_i32 s48, s12, 31
	s_add_i32 s8, s8, s5
	s_lshr_b32 s5, s48, 26
	v_mul_f32_e32 v1, 0x4f7ffffe, v1
	v_cvt_u32_f32_e32 v1, v1
	s_add_i32 s5, s12, s5
	s_ashr_i32 s52, s14, 31
	s_ashr_i32 s24, s8, 6
	;; [unrolled: 1-line block ×3, first 2 shown]
	s_xor_b32 s5, s7, s52
	s_sub_i32 s7, 0, s3
	v_readfirstlane_b32 s8, v1
	s_mul_i32 s7, s7, s8
	s_mul_hi_u32 s7, s8, s7
	s_add_i32 s8, s8, s7
	s_mul_hi_u32 s7, s4, s8
	s_mul_i32 s8, s7, s3
	s_sub_i32 s4, s4, s8
	s_lshl_b32 s2, s2, 4
	s_add_i32 s8, s7, 1
	s_sub_i32 s9, s4, s3
	s_cmp_ge_u32 s4, s3
	s_cselect_b32 s7, s8, s7
	s_cselect_b32 s4, s9, s4
	s_add_i32 s8, s7, 1
	s_cmp_ge_u32 s4, s3
	s_cselect_b32 s3, s8, s7
	s_xor_b32 s3, s3, s5
	s_sub_i32 s3, s3, s5
	s_abs_i32 s4, s3
	v_cvt_f32_u32_e32 v1, s4
	s_sub_i32 s7, 0, s4
	s_abs_i32 s5, s47
	s_xor_b32 s3, s47, s3
	v_rcp_iflag_f32_e32 v1, v1
	s_ashr_i32 s3, s3, 31
	v_or_b32_e32 v34, s2, v43
	v_lshlrev_b32_e32 v2, 7, v34
	v_mul_f32_e32 v1, 0x4f7ffffe, v1
	v_cvt_u32_f32_e32 v1, v1
	v_ashrrev_i32_e32 v3, 31, v2
	s_mul_i32 s54, s49, s24
	v_readfirstlane_b32 s8, v1
	s_mul_i32 s7, s7, s8
	s_mul_hi_u32 s7, s8, s7
	s_add_i32 s8, s8, s7
	s_mul_hi_u32 s7, s5, s8
	s_mul_i32 s8, s7, s4
	s_sub_i32 s5, s5, s8
	s_add_i32 s8, s7, 1
	s_sub_i32 s9, s5, s4
	s_cmp_ge_u32 s5, s4
	s_cselect_b32 s7, s8, s7
	s_cselect_b32 s5, s9, s5
	s_add_i32 s8, s7, 1
	s_cmp_ge_u32 s5, s4
	s_cselect_b32 s4, s8, s7
	s_xor_b32 s4, s4, s3
	s_sub_i32 s53, s4, s3
	s_ashr_i32 s3, s49, 31
	s_ashr_i32 s51, s47, 31
	s_mul_hi_i32 s4, s49, s13
	s_add_u32 s36, s6, s47
	s_addc_u32 s37, s4, s51
	s_lshl_b64 s[4:5], s[36:37], 15
	v_lshlrev_b32_e32 v1, 4, v41
	s_add_u32 s4, s16, s4
	v_lshl_or_b32 v46, v42, 2, v1
	s_addc_u32 s5, s17, s5
	v_lshl_add_u64 v[2:3], v[2:3], 1, s[4:5]
	v_lshlrev_b32_e32 v4, 1, v46
	v_lshl_add_u64 v[2:3], v[2:3], 0, v[4:5]
	global_load_dwordx2 v[4:5], v[2:3], off
	global_load_dwordx2 v[6:7], v[2:3], off offset:128
	s_load_dwordx8 s[4:11], s[0:1], 0x0
	s_load_dwordx2 s[28:29], s[0:1], 0x80
	s_load_dwordx4 s[20:23], s[0:1], 0x70
	v_or_b32_e32 v47, 64, v46
	s_mul_hi_u32 s55, s36, s12
	s_mul_i32 s16, s36, s12
	s_mul_i32 s37, s37, s12
	s_waitcnt lgkmcnt(0)
	s_mul_i32 s33, s49, s21
	s_mul_hi_u32 s42, s49, s20
	s_mul_i32 s34, s49, s20
	s_mul_i32 s43, s47, s23
	s_mul_hi_u32 s44, s47, s22
	s_mul_i32 s46, s3, s20
	s_mul_i32 s45, s51, s22
	s_cmp_lt_i32 s12, 64
	s_mul_i32 s30, s47, s22
	s_waitcnt vmcnt(1)
	v_and_b32_e32 v48, 0xffff0000, v4
	v_lshlrev_b32_e32 v50, 16, v4
	v_and_b32_e32 v54, 0xffff0000, v5
	v_lshlrev_b32_e32 v52, 16, v5
	s_waitcnt vmcnt(0)
	v_and_b32_e32 v49, 0xffff0000, v6
	v_lshlrev_b32_e32 v51, 16, v6
	v_and_b32_e32 v55, 0xffff0000, v7
	v_lshlrev_b32_e32 v53, 16, v7
	s_cbranch_scc1 .LBB556_3
; %bb.1:
	s_add_i32 s17, s55, s37
	s_lshl_b64 s[0:1], s[16:17], 8
	v_and_b32_e32 v57, 56, v44
	s_add_u32 s20, s6, s0
	v_lshl_or_b32 v56, v41, 3, v45
	v_lshlrev_b32_e32 v2, 1, v57
	s_addc_u32 s0, s7, s1
	v_lshl_or_b32 v58, v56, 8, v2
	s_and_b32 s21, s0, 0xffff
	s_mov_b32 s23, 0x20000
	s_movk_i32 s22, 0x4000
	s_movk_i32 s0, 0x80
	v_or_b32_e32 v59, 0x2000, v58
	buffer_load_dwordx4 v[4:7], v58, s[20:23], 0 offen
	buffer_load_dwordx4 v[8:11], v58, s[20:23], s0 offen
	;; [unrolled: 1-line block ×4, first 2 shown]
	v_lshlrev_b32_e32 v3, 3, v56
	v_and_or_b32 v21, v0, 7, v3
	v_and_b32_e32 v3, 0x78, v3
	v_lshlrev_b32_e32 v21, 4, v21
	v_xor_b32_e32 v60, v21, v3
	v_mul_lo_u32 v20, v56, s15
	v_or_b32_e32 v61, 0x1000, v60
	v_xor_b32_e32 v3, 8, v60
	s_cmpk_eq_i32 s15, 0x80
	s_mov_b32 s56, s14
	v_xor_b32_e32 v21, 8, v61
	s_cselect_b64 s[0:1], -1, 0
	s_cmpk_lg_i32 s15, 0x80
	s_waitcnt vmcnt(3)
	ds_write_b64 v60, v[4:5] offset:16384
	ds_write_b64 v3, v[6:7] offset:16384
	s_waitcnt vmcnt(2)
	ds_write_b64 v60, v[8:9] offset:24576
	ds_write_b64 v3, v[10:11] offset:24576
	;; [unrolled: 3-line block ×4, first 2 shown]
	v_lshl_add_u32 v3, v20, 1, v57
	s_cbranch_scc0 .LBB556_29
; %bb.2:
	v_lshlrev_b32_e32 v5, 1, v3
	v_add_lshl_u32 v4, v3, s15, 1
	s_lshl_b32 s22, s15, 7
	v_lshl_or_b32 v2, v56, 9, v2
	s_cbranch_execz .LBB556_30
	s_branch .LBB556_31
.LBB556_3:
	v_mov_b32_e32 v2, v55
	v_mov_b32_e32 v3, v54
.LBB556_4:
	s_lshl_b32 s26, s50, 6
	s_sub_i32 s27, s12, s26
	s_cmp_gt_i32 s27, 0
	s_cbranch_scc0 .LBB556_76
; %bb.5:
	s_ashr_i32 s3, s26, 31
	s_cmpk_lg_i32 s15, 0x80
	s_cselect_b64 s[22:23], -1, 0
	s_and_b64 vcc, exec, s[22:23]
	s_cbranch_vccz .LBB556_7
; %bb.6:
	s_mul_i32 s1, s49, s12
	s_mul_hi_i32 s0, s49, s12
	s_add_u32 s1, s1, s26
	s_addc_u32 s0, s0, s3
	s_mul_i32 s17, s1, s52
	s_mul_hi_u32 s20, s1, s14
	s_add_i32 s17, s20, s17
	s_mul_i32 s0, s0, s14
	s_add_i32 s17, s17, s0
	s_mul_i32 s1, s1, s14
	s_ashr_i32 s0, s53, 31
	s_add_u32 s24, s1, s53
	s_addc_u32 s25, s17, s0
	s_cbranch_execz .LBB556_8
	s_branch .LBB556_9
.LBB556_7:
                                        ; implicit-def: $sgpr24_sgpr25
.LBB556_8:
	s_mul_hi_i32 s0, s49, s14
	s_mul_i32 s49, s49, s14
	s_ashr_i32 s1, s53, 31
	s_add_u32 s14, s49, s53
	s_addc_u32 s0, s0, s1
	s_mul_i32 s1, s14, s48
	s_mul_hi_u32 s17, s14, s12
	s_add_i32 s1, s17, s1
	s_mul_i32 s0, s0, s12
	s_add_i32 s1, s1, s0
	s_mul_i32 s14, s14, s12
	s_add_u32 s24, s14, s26
	s_addc_u32 s25, s1, s3
.LBB556_9:
	s_mul_i32 s0, s36, s48
	s_add_i32 s0, s55, s0
	s_add_i32 s14, s54, s50
	;; [unrolled: 1-line block ×3, first 2 shown]
	s_add_u32 s0, s16, s26
	s_addc_u32 s1, s1, s3
	s_mov_b32 s3, 0x7060302
	v_lshlrev_b32_e32 v6, 3, v43
	v_perm_b32 v5, v3, v52, s3
	v_perm_b32 v4, v48, v50, s3
	;; [unrolled: 1-line block ×4, first 2 shown]
	v_lshlrev_b32_e32 v36, 2, v43
	v_lshl_or_b32 v6, v46, 5, v6
	s_lshl_b64 s[20:21], s[0:1], 8
	ds_write2st64_b64 v6, v[4:5], v[2:3] offset0:72 offset1:76
	v_xor_b32_e32 v6, v46, v36
	v_lshlrev_b32_e32 v7, 8, v43
	s_add_u32 s0, s6, s20
	v_lshl_or_b32 v6, v6, 1, v7
	s_addc_u32 s1, s7, s21
	ds_write_b64 v6, v[4:5] offset:32768
	v_xor_b32_e32 v4, v47, v36
	s_mul_hi_i32 s3, s14, s13
	s_mul_i32 s14, s14, s13
	v_lshl_or_b32 v4, v4, 1, v7
	s_add_u32 s6, s14, s47
	ds_write_b64 v4, v[2:3] offset:32768
	s_addc_u32 s7, s3, s51
	v_lshlrev_b32_e32 v3, 1, v43
	v_lshrrev_b32_e32 v2, 4, v0
	s_ashr_i32 s3, s2, 31
	s_lshl_b64 s[6:7], s[6:7], 15
	v_or_b32_e32 v4, 1, v3
	s_add_u32 s6, s18, s6
	v_xor_b32_e32 v3, v2, v3
	v_xor_b32_e32 v4, v4, v2
	v_lshlrev_b32_e32 v6, 8, v2
	s_addc_u32 s7, s19, s7
	s_lshl_b64 s[2:3], s[2:3], 8
	v_lshl_or_b32 v2, v3, 3, v6
	v_lshl_or_b32 v4, v4, 3, v6
	s_waitcnt lgkmcnt(0)
	s_barrier
	s_add_u32 s2, s6, s2
	ds_read_b64 v[2:3], v2 offset:32768
	ds_read_b64 v[4:5], v4 offset:32768
	s_addc_u32 s3, s7, s3
	v_mov_b32_e32 v7, 0
	s_cmp_lg_u32 s27, 64
	v_lshl_add_u64 v[8:9], s[2:3], 0, v[6:7]
	v_lshlrev_b32_e32 v6, 4, v43
	s_cselect_b64 s[6:7], -1, 0
	v_lshl_or_b32 v35, v41, 3, v45
	s_mov_b32 s16, 0
	v_lshl_add_u64 v[6:7], v[8:9], 0, v[6:7]
	s_waitcnt vmcnt(1)
	v_or_b32_e32 v19, 32, v35
	v_and_b32_e32 v18, 56, v44
	s_and_b64 vcc, exec, s[6:7]
	s_waitcnt lgkmcnt(0)
	global_store_dwordx4 v[6:7], v[2:5], off
	s_cbranch_vccz .LBB556_15
; %bb.10:
	s_mov_b32 s17, s16
	s_mov_b32 s18, s16
	;; [unrolled: 1-line block ×3, first 2 shown]
	v_mov_b64_e32 v[6:7], s[16:17]
	v_mov_b64_e32 v[8:9], s[18:19]
	;; [unrolled: 1-line block ×3, first 2 shown]
	v_cmp_gt_i32_e32 vcc, s27, v35
	v_mov_b64_e32 v[4:5], v[8:9]
	s_and_saveexec_b64 s[2:3], vcc
	s_cbranch_execz .LBB556_12
; %bb.11:
	v_lshlrev_b32_e32 v2, 8, v35
	v_mov_b32_e32 v3, 0
	v_lshl_add_u64 v[4:5], s[0:1], 0, v[2:3]
	v_lshlrev_b32_e32 v2, 1, v18
	v_lshl_add_u64 v[10:11], v[4:5], 0, v[2:3]
	global_load_dwordx4 v[6:9], v[10:11], off
	global_load_dwordx4 v[2:5], v[10:11], off offset:128
.LBB556_12:
	s_or_b64 exec, exec, s[2:3]
	s_mov_b32 s17, s16
	s_mov_b32 s18, s16
	;; [unrolled: 1-line block ×3, first 2 shown]
	v_mov_b64_e32 v[14:15], s[16:17]
	v_mov_b64_e32 v[16:17], s[18:19]
	;; [unrolled: 1-line block ×3, first 2 shown]
	v_cmp_gt_i32_e32 vcc, s27, v19
	v_lshlrev_b32_e32 v20, 7, v19
	v_mov_b64_e32 v[12:13], v[16:17]
	s_and_saveexec_b64 s[2:3], vcc
	s_cbranch_execz .LBB556_14
; %bb.13:
	v_lshlrev_b32_e32 v10, 1, v20
	v_mov_b32_e32 v11, 0
	v_lshl_add_u64 v[12:13], s[0:1], 0, v[10:11]
	v_lshlrev_b32_e32 v10, 1, v18
	v_lshl_add_u64 v[22:23], v[12:13], 0, v[10:11]
	global_load_dwordx4 v[14:17], v[22:23], off
	global_load_dwordx4 v[10:13], v[22:23], off offset:128
.LBB556_14:
	s_or_b64 exec, exec, s[2:3]
	v_lshrrev_b32_e32 v21, 3, v18
	v_lshlrev_b32_e32 v22, 3, v35
	v_or_b32_e32 v21, v22, v21
	v_lshlrev_b32_e32 v21, 4, v21
	v_and_b32_e32 v22, 0x78, v22
	v_xor_b32_e32 v21, v21, v22
	s_branch .LBB556_17
.LBB556_15:
                                        ; implicit-def: $vgpr21
                                        ; implicit-def: $vgpr20
                                        ; implicit-def: $vgpr6_vgpr7_vgpr8_vgpr9
                                        ; implicit-def: $vgpr2_vgpr3_vgpr4_vgpr5
                                        ; implicit-def: $vgpr14_vgpr15_vgpr16_vgpr17
                                        ; implicit-def: $vgpr10_vgpr11_vgpr12_vgpr13
	s_cbranch_execz .LBB556_17
; %bb.16:
	s_waitcnt vmcnt(0)
	v_lshlrev_b32_e32 v2, 1, v18
	v_lshl_or_b32 v20, v35, 8, v2
	s_and_b32 s1, s1, 0xffff
	s_mov_b32 s3, 0x20000
	s_movk_i32 s2, 0x4000
	v_lshl_or_b32 v21, v19, 8, v2
	s_movk_i32 s13, 0x80
	buffer_load_dwordx4 v[6:9], v20, s[0:3], 0 offen
	buffer_load_dwordx4 v[2:5], v20, s[0:3], s13 offen
	;; [unrolled: 1-line block ×4, first 2 shown]
	v_lshrrev_b32_e32 v20, 3, v18
	v_lshlrev_b32_e32 v21, 3, v35
	v_or_b32_e32 v20, v21, v20
	v_lshlrev_b32_e32 v20, 4, v20
	v_and_b32_e32 v21, 0x78, v21
	v_xor_b32_e32 v21, v20, v21
	v_lshlrev_b32_e32 v20, 7, v19
.LBB556_17:
	s_lshl_b64 s[0:1], s[24:25], 8
	s_add_u32 s4, s4, s0
	s_movk_i32 s0, 0x1000
	v_and_or_b32 v19, v20, s0, v21
	s_waitcnt vmcnt(1)
	ds_write_b64 v21, v[6:7] offset:16384
	v_xor_b32_e32 v6, 8, v21
	ds_write_b64 v6, v[8:9] offset:16384
	s_waitcnt vmcnt(0)
	ds_write_b64 v21, v[2:3] offset:24576
	ds_write_b64 v6, v[4:5] offset:24576
	;; [unrolled: 1-line block ×3, first 2 shown]
	v_xor_b32_e32 v2, 8, v19
	ds_write_b64 v2, v[16:17] offset:16384
	ds_write_b64 v19, v[10:11] offset:24576
	;; [unrolled: 1-line block ×3, first 2 shown]
	v_or_b32_e32 v2, v1, v43
	s_addc_u32 s5, s5, s1
	s_add_i32 s0, s12, -1
	v_lshlrev_b32_e32 v2, 3, v2
	v_lshrrev_b32_e32 v4, 5, v40
	s_movk_i32 s12, 0xf8
	v_and_or_b32 v4, v2, s12, v4
	v_lshlrev_b32_e32 v3, 11, v41
	v_lshlrev_b32_e32 v12, 4, v4
	v_and_b32_e32 v13, 0x78, v2
	v_and_b32_e32 v14, 0x1000, v3
	v_lshlrev_b32_e32 v3, 2, v0
	v_xor_b32_e32 v2, v12, v13
	v_lshrrev_b32_e32 v4, 1, v40
	v_and_b32_e32 v3, 60, v3
	v_or_b32_e32 v2, v2, v14
	v_and_b32_e32 v15, 8, v4
	v_xor_b32_e32 v26, v2, v15
	v_lshl_or_b32 v2, v42, 6, v3
	v_lshlrev_b32_e32 v19, 1, v2
	v_or_b32_e32 v2, 32, v12
	v_xor_b32_e32 v2, v2, v13
	s_waitcnt lgkmcnt(0)
	s_barrier
	ds_read_b64 v[10:11], v26 offset:16384
	v_or_b32_e32 v2, v2, v14
	v_xor_b32_e32 v27, v2, v15
	v_or_b32_e32 v2, 64, v12
	v_xor_b32_e32 v2, v2, v13
	v_or_b32_e32 v2, v2, v14
	v_or_b32_e32 v12, 0x60, v12
	v_xor_b32_e32 v28, v2, v15
	ds_read2st64_b64 v[2:5], v19 offset0:72 offset1:73
	ds_read2st64_b64 v[6:9], v19 offset0:74 offset1:75
	v_xor_b32_e32 v16, v12, v13
	ds_read_b64 v[12:13], v27 offset:16384
	s_add_i32 s1, s42, s33
	s_waitcnt lgkmcnt(2)
	v_mfma_f32_16x16x16_bf16 a[0:3], v[10:11], v[2:3], 0
	s_add_i32 s35, s1, s46
	s_add_i32 s1, s44, s43
	;; [unrolled: 1-line block ×3, first 2 shown]
	s_ashr_i32 s1, s0, 31
	s_mul_i32 s2, s0, s29
	s_mul_hi_u32 s3, s0, s28
	s_add_i32 s2, s3, s2
	s_mul_i32 s1, s1, s28
	v_or_b32_e32 v14, v16, v14
	s_add_i32 s1, s2, s1
	s_lshl_b64 s[2:3], s[34:35], 2
	v_xor_b32_e32 v37, v14, v15
	ds_read_b64 v[14:15], v28 offset:16384
	ds_read_b64 v[16:17], v37 offset:16384
	s_waitcnt lgkmcnt(2)
	v_mfma_f32_16x16x16_bf16 a[0:3], v[12:13], v[4:5], a[0:3]
	s_add_u32 s10, s10, s2
	s_addc_u32 s11, s11, s3
	s_lshl_b64 s[2:3], s[30:31], 2
	s_mul_i32 s0, s0, s28
	s_add_u32 s10, s10, s2
	s_addc_u32 s11, s11, s3
	s_lshl_b64 s[0:1], s[0:1], 2
	s_waitcnt lgkmcnt(1)
	v_mfma_f32_16x16x16_bf16 a[0:3], v[14:15], v[6:7], a[0:3]
	s_add_u32 s0, s10, s0
	s_addc_u32 s1, s11, s1
	s_load_dword s12, s[0:1], 0x0
	s_waitcnt lgkmcnt(0)
	v_mfma_f32_16x16x16_bf16 a[0:3], v[16:17], v[8:9], a[0:3]
	s_and_b64 vcc, exec, s[22:23]
	s_cbranch_vccz .LBB556_28
; %bb.18:
	v_lshlrev_b32_e32 v20, 1, v35
	s_and_b64 vcc, exec, s[6:7]
	s_cbranch_vccz .LBB556_44
; %bb.19:
	v_cmp_gt_i32_e32 vcc, s27, v20
	v_mov_b32_e32 v6, 0
	v_mov_b32_e32 v2, 0
	v_mov_b32_e32 v3, 0
	v_mov_b32_e32 v4, 0
	v_mov_b32_e32 v5, 0
	s_and_saveexec_b64 s[0:1], vcc
	s_cbranch_execz .LBB556_21
; %bb.20:
	v_mad_i64_i32 v[2:3], s[2:3], s15, v20, 0
	v_lshl_add_u64 v[2:3], v[2:3], 1, s[4:5]
	v_lshlrev_b32_e32 v4, 1, v18
	v_mov_b32_e32 v5, 0
	v_lshl_add_u64 v[2:3], v[2:3], 0, v[4:5]
	global_load_dwordx4 v[2:5], v[2:3], off
.LBB556_21:
	s_or_b64 exec, exec, s[0:1]
	v_or_b32_e32 v21, 1, v20
	v_cmp_gt_i32_e64 s[0:1], s27, v21
	v_mov_b32_e32 v7, 0
	v_mov_b32_e32 v8, 0
	;; [unrolled: 1-line block ×3, first 2 shown]
	s_and_saveexec_b64 s[2:3], s[0:1]
	s_cbranch_execz .LBB556_23
; %bb.22:
	v_mad_i64_i32 v[6:7], s[16:17], s15, v21, 0
	v_lshl_add_u64 v[6:7], v[6:7], 1, s[4:5]
	v_lshlrev_b32_e32 v8, 1, v18
	v_mov_b32_e32 v9, 0
	v_lshl_add_u64 v[6:7], v[6:7], 0, v[8:9]
	global_load_dwordx4 v[6:9], v[6:7], off
.LBB556_23:
	s_or_b64 exec, exec, s[2:3]
	v_mov_b32_e32 v17, 0
	v_mov_b32_e32 v10, 0
	;; [unrolled: 1-line block ×5, first 2 shown]
	s_and_saveexec_b64 s[2:3], vcc
	s_cbranch_execz .LBB556_25
; %bb.24:
	v_mad_i64_i32 v[10:11], s[16:17], s15, v20, 0
	v_lshl_add_u64 v[10:11], v[10:11], 1, s[4:5]
	v_lshlrev_b32_e32 v12, 1, v18
	v_mov_b32_e32 v13, 0
	v_lshl_add_u64 v[10:11], v[10:11], 0, v[12:13]
	global_load_dwordx4 v[10:13], v[10:11], off offset:128
.LBB556_25:
	s_or_b64 exec, exec, s[2:3]
	v_mov_b32_e32 v16, 0
	v_mov_b32_e32 v15, 0
	;; [unrolled: 1-line block ×3, first 2 shown]
	s_and_saveexec_b64 s[2:3], s[0:1]
	s_cbranch_execz .LBB556_27
; %bb.26:
	v_mad_i64_i32 v[14:15], s[0:1], s15, v21, 0
	v_lshl_add_u64 v[14:15], v[14:15], 1, s[4:5]
	v_lshlrev_b32_e32 v16, 1, v18
	v_mov_b32_e32 v17, 0
	v_lshl_add_u64 v[14:15], v[14:15], 0, v[16:17]
	global_load_dwordx4 v[14:17], v[14:15], off offset:128
.LBB556_27:
	s_or_b64 exec, exec, s[2:3]
	s_branch .LBB556_46
.LBB556_28:
                                        ; implicit-def: $vgpr5
                                        ; implicit-def: $vgpr9
                                        ; implicit-def: $vgpr13
                                        ; implicit-def: $vgpr17
	v_lshrrev_b32_e32 v38, 2, v40
	s_branch .LBB556_47
.LBB556_29:
                                        ; implicit-def: $vgpr4
                                        ; implicit-def: $vgpr5
                                        ; implicit-def: $sgpr22
	v_lshl_or_b32 v2, v56, 9, v2
.LBB556_30:
	v_or_b32_e32 v4, 0x100, v2
	s_movk_i32 s22, 0x4000
	v_mov_b32_e32 v5, v2
.LBB556_31:
	s_mul_hi_u32 s20, s14, s12
	s_mul_i32 s21, s52, s12
	s_add_i32 s20, s20, s21
	s_mul_i32 s21, s14, s12
	s_mul_i32 s23, s21, s3
	s_mul_hi_u32 s24, s21, s49
	s_add_i32 s23, s24, s23
	s_mul_i32 s20, s20, s49
	s_add_i32 s23, s23, s20
	s_mul_i32 s21, s21, s49
	s_ashr_i32 s57, s53, 31
	s_add_u32 s20, s21, s53
	s_addc_u32 s21, s23, s57
	s_lshl_b64 s[20:21], s[20:21], 8
	s_add_u32 s20, s4, s20
	s_addc_u32 s21, s5, s21
	s_and_b32 s21, s21, 0xffff
	s_mov_b32 s23, 0x20000
	s_movk_i32 s58, 0x80
	buffer_load_dwordx4 v[6:9], v5, s[20:23], 0 offen
	buffer_load_dwordx4 v[10:13], v5, s[20:23], s58 offen
	;; [unrolled: 1-line block ×4, first 2 shown]
	v_and_b32_e32 v4, 6, v0
	v_lshlrev_b32_e32 v22, 2, v43
	v_lshlrev_b32_e32 v23, 3, v43
	v_xor_b32_e32 v25, v56, v4
	v_and_b32_e32 v5, 1, v0
	s_mul_i32 s3, s3, s12
	s_mul_hi_u32 s20, s49, s12
	v_lshl_or_b32 v23, v46, 5, v23
	v_xor_b32_e32 v26, v46, v22
	v_lshlrev_b32_e32 v25, 2, v25
	v_or_b32_e32 v62, 0x9000, v23
	v_or_b32_e32 v63, 0x9800, v23
	v_lshlrev_b32_e32 v23, 1, v26
	v_xor_b32_e32 v26, 0x440, v25
	v_cmp_eq_u32_e32 vcc, 0, v5
	s_add_i32 s63, s20, s3
	s_add_i32 s3, s42, s33
	v_cndmask_b32_e32 v5, v26, v25, vcc
	s_add_i32 s20, s44, s43
	s_add_i32 s35, s3, s46
	s_mov_b32 s60, 0x1000504
	v_lshlrev_b32_e32 v24, 8, v43
	s_mov_b32 s22, 0x8000
	v_xor_b32_e32 v22, v47, v22
	v_lshl_or_b32 v4, v4, 10, v5
	s_add_i32 s31, s20, s45
	s_lshl_b64 s[20:21], s[34:35], 2
	s_mov_b32 s61, 0x3020706
	v_lshlrev_b32_e32 v22, 1, v22
	v_or3_b32 v64, v23, v24, s22
	v_xor_b32_e32 v5, 8, v4
	v_xor_b32_e32 v23, 24, v4
	;; [unrolled: 1-line block ×4, first 2 shown]
	s_add_u32 s3, s10, s20
	v_or3_b32 v65, v22, v24, s22
	v_xor_b32_e32 v22, 16, v4
	v_xor_b32_e32 v24, 32, v4
	;; [unrolled: 1-line block ×3, first 2 shown]
	v_add_u32_e32 v5, 0x80, v5
	v_add_u32_e32 v23, 0x80, v23
	v_add_u32_e32 v25, 0x80, v25
	v_add_u32_e32 v27, 0x80, v27
	s_addc_u32 s24, s11, s21
	s_lshl_b64 s[20:21], s[30:31], 2
	s_add_u32 s38, s3, s20
	s_movk_i32 s3, 0xf8
	s_addc_u32 s39, s24, s21
	v_ashrrev_i32_e32 v35, 31, v34
	s_lshl_b32 s26, s15, 7
	s_mov_b32 s59, 0
	s_mul_i32 s62, s49, s12
	s_mov_b32 s35, 0
	s_waitcnt vmcnt(1)
	v_perm_b32 v28, v6, v14, s60
	s_waitcnt vmcnt(0)
	v_perm_b32 v29, v10, v18, s60
	v_perm_b32 v6, v6, v14, s61
	;; [unrolled: 1-line block ×15, first 2 shown]
	ds_write2st64_b32 v4, v28, v29 offset1:32
	ds_write2st64_b32 v5, v6, v10 offset1:32
	ds_write2st64_b32 v22, v14, v18 offset0:1 offset1:33
	ds_write2st64_b32 v23, v7, v11 offset0:1 offset1:33
	;; [unrolled: 1-line block ×6, first 2 shown]
	v_or_b32_e32 v4, v1, v43
	v_lshlrev_b32_e32 v4, 3, v4
	v_lshrrev_b32_e32 v6, 5, v40
	v_and_or_b32 v6, v4, s3, v6
	v_lshlrev_b32_e32 v6, 4, v6
	v_lshlrev_b32_e32 v10, 11, v41
	v_and_b32_e32 v4, 0x78, v4
	v_or_b32_e32 v9, 32, v6
	v_and_b32_e32 v5, 0x1000, v10
	v_xor_b32_e32 v7, v6, v4
	v_lshrrev_b32_e32 v11, 1, v0
	v_xor_b32_e32 v9, v9, v4
	v_or_b32_e32 v7, v7, v5
	v_and_b32_e32 v8, 8, v11
	v_or_b32_e32 v9, v9, v5
	v_xor_b32_e32 v66, v7, v8
	v_and_b32_e32 v7, 0x78, v44
	v_xor_b32_e32 v68, v9, v8
	v_or_b32_e32 v9, 64, v6
	v_or_b32_e32 v6, 0x60, v6
	v_lshl_or_b32 v7, v42, 7, v7
	v_xor_b32_e32 v9, v9, v4
	v_xor_b32_e32 v4, v6, v4
	v_or_b32_e32 v67, 0x9000, v7
	v_or_b32_e32 v9, v9, v5
	;; [unrolled: 1-line block ×4, first 2 shown]
	v_lshrrev_b32_e32 v6, 4, v0
	v_lshlrev_b32_e32 v7, 1, v43
	v_xor_b32_e32 v69, v9, v8
	v_xor_b32_e32 v70, v4, v8
	s_ashr_i32 s3, s2, 31
	v_or_b32_e32 v8, 1, v7
	v_xor_b32_e32 v7, v6, v7
	s_lshl_b64 s[20:21], s[2:3], 8
	v_xor_b32_e32 v8, v8, v6
	v_lshlrev_b32_e32 v7, 3, v7
	v_lshlrev_b32_e32 v6, 8, v6
	v_lshl_add_u64 v[4:5], v[34:35], 1, s[8:9]
	s_add_u32 s20, s18, s20
	v_or3_b32 v35, v7, v6, s22
	v_lshlrev_b32_e32 v7, 3, v8
	s_addc_u32 s21, s19, s21
	v_or3_b32 v72, v7, v6, s22
	v_mov_b32_e32 v7, 0
	v_lshl_add_u64 v[8:9], s[20:21], 0, v[6:7]
	v_lshlrev_b32_e32 v6, 4, v43
	s_movk_i32 s3, 0xff
	v_lshlrev_b32_e32 v15, 3, v41
	v_and_b32_e32 v11, 24, v11
	v_lshl_add_u64 v[36:37], v[8:9], 0, v[6:7]
	v_and_b32_e32 v8, 8, v0
	v_cmp_lt_u32_e32 vcc, s3, v0
	v_xor_b32_e32 v16, v15, v11
	v_or_b32_e32 v17, 0x440, v16
	v_cndmask_b32_e64 v14, 0, 1, vcc
	v_cmp_eq_u32_e32 vcc, 0, v8
	v_and_b32_e32 v6, 7, v0
	v_lshlrev_b32_e32 v9, 3, v6
	v_cndmask_b32_e32 v8, v17, v16, vcc
	v_lshlrev_b32_e32 v6, 7, v6
	v_or_b32_e32 v8, v8, v10
	v_xad_u32 v73, v8, v9, v6
	v_or_b32_e32 v8, 32, v11
	v_xor_b32_e32 v8, v15, v8
	v_or_b32_e32 v16, 0x440, v8
	v_cndmask_b32_e32 v8, v16, v8, vcc
	v_or_b32_e32 v8, v8, v10
	v_xad_u32 v74, v8, v9, v6
	v_or_b32_e32 v8, 64, v11
	v_xor_b32_e32 v8, v15, v8
	v_xor_b32_e32 v16, 0x440, v8
	v_cndmask_b32_e32 v8, v16, v8, vcc
	v_or_b32_e32 v8, v8, v10
	v_xad_u32 v75, v8, v9, v6
	v_or_b32_e32 v8, 0x60, v11
	v_xor_b32_e32 v8, v15, v8
	v_xor_b32_e32 v11, 0x440, v8
	v_cndmask_b32_e32 v8, v11, v8, vcc
	v_or_b32_e32 v8, v8, v10
	v_lshlrev_b32_e32 v12, 1, v3
	v_add_lshl_u32 v3, v3, s15, 1
	v_or_b32_e32 v13, 0x100, v2
	v_lshlrev_b32_e32 v14, 13, v14
	v_xad_u32 v76, v8, v9, v6
	v_lshlrev_b32_e32 v6, 8, v46
	v_cndmask_b32_e64 v77, v12, v2, s[0:1]
	v_cndmask_b32_e64 v78, v3, v13, s[0:1]
	v_lshl_add_u64 v[38:39], v[4:5], 0, v[6:7]
	s_mov_b32 s3, 0x7060302
	s_movk_i32 s22, 0x4000
	v_add_u32_e32 v79, v14, v73
	v_add_u32_e32 v80, v14, v74
	;; [unrolled: 1-line block ×4, first 2 shown]
	s_waitcnt lgkmcnt(0)
	s_barrier
.LBB556_32:                             ; =>This Inner Loop Header: Depth=1
	s_add_i32 s31, s35, 1
	s_cmp_lt_i32 s31, s50
	s_mov_b64 s[24:25], 0
	s_cselect_b64 s[40:41], -1, 0
	s_cmp_ge_i32 s31, s50
	s_mov_b64 s[20:21], 0
	s_cbranch_scc1 .LBB556_34
; %bb.33:                               ;   in Loop: Header=BB556_32 Depth=1
	s_add_i32 s0, s59, 64
	s_add_u32 s0, s16, s0
	s_addc_u32 s1, s17, 0
	s_lshl_b64 s[0:1], s[0:1], 8
	s_add_u32 s20, s6, s0
	s_addc_u32 s21, s7, s1
.LBB556_34:                             ;   in Loop: Header=BB556_32 Depth=1
	v_cndmask_b32_e64 v2, 0, 1, s[40:41]
	v_cmp_ne_u32_e64 s[0:1], 1, v2
	s_andn2_b64 vcc, exec, s[40:41]
	s_cbranch_vccnz .LBB556_36
; %bb.35:                               ;   in Loop: Header=BB556_32 Depth=1
	s_add_i32 s24, s59, 64
	s_add_u32 s24, s62, s24
	s_addc_u32 s25, s63, 0
	s_mul_i32 s27, s24, s52
	s_mul_hi_u32 s40, s24, s56
	s_add_i32 s27, s40, s27
	s_mul_i32 s25, s25, s56
	s_add_i32 s27, s27, s25
	s_mul_i32 s24, s24, s56
	s_add_u32 s24, s24, s53
	s_addc_u32 s25, s27, s57
	s_lshl_b64 s[24:25], s[24:25], 8
	s_add_u32 s24, s4, s24
	s_addc_u32 s25, s5, s25
.LBB556_36:                             ;   in Loop: Header=BB556_32 Depth=1
	v_perm_b32 v3, v54, v52, s3
	v_perm_b32 v2, v48, v50, s3
	;; [unrolled: 1-line block ×4, first 2 shown]
	ds_write_b64 v62, v[2:3]
	ds_write_b64 v63, v[4:5]
	;; [unrolled: 1-line block ×4, first 2 shown]
	s_waitcnt lgkmcnt(0)
	s_barrier
	ds_read_b64 v[10:11], v66 offset:16384
	ds_read_b64 v[12:13], v68 offset:16384
	ds_read2st64_b64 v[2:5], v67 offset1:1
	ds_read2st64_b64 v[6:9], v67 offset0:2 offset1:3
	ds_read_b64 v[14:15], v69 offset:16384
	s_waitcnt lgkmcnt(2)
	v_mfma_f32_16x16x16_bf16 a[0:3], v[10:11], v[2:3], 0
	ds_read_b64 v[2:3], v70 offset:16384
	s_add_i32 s27, s59, 63
	s_mul_i32 s40, s27, s29
	v_mfma_f32_16x16x16_bf16 a[0:3], v[12:13], v[4:5], a[0:3]
	s_mul_hi_u32 s41, s27, s28
	s_add_i32 s41, s41, s40
	s_mul_i32 s40, s27, s28
	s_waitcnt lgkmcnt(1)
	v_mfma_f32_16x16x16_bf16 a[0:3], v[14:15], v[6:7], a[0:3]
	s_lshl_b64 s[40:41], s[40:41], 2
	s_add_u32 s40, s38, s40
	s_addc_u32 s41, s39, s41
	s_waitcnt lgkmcnt(0)
	v_mfma_f32_16x16x16_bf16 a[0:3], v[2:3], v[8:9], a[0:3]
	s_and_b64 vcc, exec, s[0:1]
	v_mov_b32_e32 v85, 0
	v_mov_b32_e32 v84, 0
	;; [unrolled: 1-line block ×19, first 2 shown]
	s_cbranch_vccnz .LBB556_38
; %bb.37:                               ;   in Loop: Header=BB556_32 Depth=1
	s_and_b32 s21, s21, 0xffff
	buffer_load_dwordx4 v[14:17], v58, s[20:23], 0 offen
	buffer_load_dwordx4 v[10:13], v58, s[20:23], s58 offen
	;; [unrolled: 1-line block ×4, first 2 shown]
	v_mov_b32_e32 v84, v60
	v_mov_b32_e32 v83, v61
.LBB556_38:                             ;   in Loop: Header=BB556_32 Depth=1
	s_waitcnt vmcnt(3)
	v_add_u32_e32 v24, s59, v46
	s_waitcnt vmcnt(1)
	v_ashrrev_i32_e32 v18, 31, v24
	v_mul_lo_u32 v20, v18, s28
	v_mul_lo_u32 v21, v24, s29
	v_mad_u64_u32 v[18:19], s[20:21], v24, s28, 0
	v_add3_u32 v19, v19, v21, v20
	v_add_u32_e32 v20, 1, v24
	v_ashrrev_i32_e32 v21, 31, v20
	v_mul_lo_u32 v22, v21, s28
	v_mul_lo_u32 v23, v20, s29
	v_mad_u64_u32 v[20:21], s[20:21], v20, s28, 0
	v_add3_u32 v21, v21, v23, v22
	v_add_u32_e32 v22, 2, v24
	v_ashrrev_i32_e32 v23, 31, v22
	v_mul_lo_u32 v25, v23, s28
	v_mul_lo_u32 v26, v22, s29
	v_mad_u64_u32 v[22:23], s[20:21], v22, s28, 0
	v_add_u32_e32 v24, 3, v24
	v_add3_u32 v23, v23, v26, v25
	v_ashrrev_i32_e32 v25, 31, v24
	v_mul_lo_u32 v28, v25, s28
	v_mul_lo_u32 v29, v24, s29
	v_mad_u64_u32 v[24:25], s[20:21], v24, s28, 0
	s_add_u32 s20, s16, s59
	s_addc_u32 s21, s17, 0
	s_lshl_b64 s[20:21], s[20:21], 8
	v_lshl_add_u64 v[18:19], v[18:19], 2, s[38:39]
	v_lshl_add_u64 v[26:27], v[38:39], 0, s[20:21]
	;; [unrolled: 1-line block ×3, first 2 shown]
	global_load_ushort v87, v[26:27], off
	global_load_ushort v96, v[26:27], off offset:256
	global_load_ushort v97, v[26:27], off offset:512
	;; [unrolled: 1-line block ×3, first 2 shown]
	v_add3_u32 v25, v25, v29, v28
	global_load_dword v99, v[18:19], off
	v_lshl_add_u64 v[22:23], v[22:23], 2, s[38:39]
	v_lshl_add_u64 v[18:19], v[24:25], 2, s[38:39]
	global_load_dword v100, v[20:21], off
	global_load_dword v101, v[22:23], off
	global_load_dword v102, v[18:19], off
	s_load_dword s20, s[40:41], 0x0
	ds_read2st64_b64 v[26:29], v71 offset1:1
	ds_read2st64_b64 v[88:91], v71 offset0:2 offset1:3
	ds_read_b64 v[30:31], v66 offset:24576
	ds_read_b64 v[32:33], v68 offset:24576
	;; [unrolled: 1-line block ×4, first 2 shown]
	s_waitcnt lgkmcnt(0)
	v_mfma_f32_16x16x16_bf16 a[0:3], v[30:31], v[26:27], a[0:3]
	v_mov_b32_e32 v86, 0
	v_mov_b32_e32 v18, 0
	v_mov_b32_e32 v19, 0
	v_mfma_f32_16x16x16_bf16 a[0:3], v[32:33], v[28:29], a[0:3]
	v_mov_b32_e32 v20, 0
	v_mov_b32_e32 v21, 0
	v_mov_b32_e32 v22, 0
	;; [unrolled: 4-line block ×4, first 2 shown]
	v_mov_b32_e32 v29, 0
	v_mov_b32_e32 v30, 0
	;; [unrolled: 1-line block ×4, first 2 shown]
	v_accvgpr_read_b32 v91, a1
	v_accvgpr_read_b32 v89, a3
	;; [unrolled: 1-line block ×4, first 2 shown]
	s_and_b64 vcc, exec, s[0:1]
	s_waitcnt vmcnt(7)
	v_lshlrev_b32_e32 v92, 16, v87
	s_waitcnt vmcnt(6)
	v_lshlrev_b32_e32 v93, 16, v96
	s_waitcnt vmcnt(5)
	v_lshlrev_b32_e32 v94, 16, v97
	s_waitcnt vmcnt(4)
	v_lshlrev_b32_e32 v95, 16, v98
	v_pk_add_f32 v[90:91], v[92:93], v[90:91] neg_lo:[0,1] neg_hi:[0,1]
	s_waitcnt vmcnt(3)
	v_sub_f32_e32 v33, s20, v99
	v_exp_f32_e32 v96, v33
	s_waitcnt vmcnt(2)
	v_sub_f32_e32 v33, s20, v100
	s_waitcnt vmcnt(1)
	v_sub_f32_e32 v87, s20, v101
	;; [unrolled: 2-line block ×3, first 2 shown]
	v_exp_f32_e32 v97, v33
	v_exp_f32_e32 v98, v87
	;; [unrolled: 1-line block ×3, first 2 shown]
	v_pk_add_f32 v[88:89], v[94:95], v[88:89] neg_lo:[0,1] neg_hi:[0,1]
	v_pk_mul_f32 v[90:91], v[96:97], v[90:91]
	v_mov_b32_e32 v33, 0
	v_pk_mul_f32 v[88:89], v[98:99], v[88:89]
	s_nop 0
	v_perm_b32 v89, v89, v88, s3
	v_perm_b32 v88, v91, v90, s3
	ds_write_b64 v63, v[88:89]
	s_cbranch_vccnz .LBB556_40
; %bb.39:                               ;   in Loop: Header=BB556_32 Depth=1
	s_and_b32 s25, s25, 0xffff
	s_mov_b32 s27, s23
	buffer_load_dwordx4 v[30:33], v77, s[24:27], 0 offen
	buffer_load_dwordx4 v[22:25], v77, s[24:27], s58 offen
	;; [unrolled: 1-line block ×4, first 2 shown]
	v_mov_b32_e32 v85, v57
	v_mov_b32_e32 v86, v56
.LBB556_40:                             ;   in Loop: Header=BB556_32 Depth=1
	s_waitcnt lgkmcnt(0)
	s_barrier
	ds_read_b64 v[96:97], v79
	ds_read2st64_b64 v[88:91], v71 offset1:1
	ds_read2st64_b64 v[92:95], v71 offset0:2 offset1:3
	ds_read_b64 v[98:99], v80
	ds_read_b64 v[100:101], v81
	;; [unrolled: 1-line block ×3, first 2 shown]
	s_waitcnt lgkmcnt(4)
	v_mfma_f32_16x16x16_bf16 a[0:3], v[96:97], v[88:89], 0
	ds_read_b64 v[96:97], v73 offset:8192
	ds_read_b64 v[104:105], v74 offset:8192
	s_add_i32 s21, s54, s35
	s_mul_hi_i32 s25, s21, s13
	s_waitcnt lgkmcnt(1)
	v_mfma_f32_16x16x16_bf16 a[4:7], v[96:97], v[88:89], 0
	s_mul_i32 s21, s21, s13
	s_add_u32 s24, s21, s47
	s_addc_u32 s25, s25, s51
	v_mfma_f32_16x16x16_bf16 a[0:3], v[98:99], v[90:91], a[0:3]
	ds_read_b64 v[96:97], v35
	ds_read_b64 v[98:99], v72
	ds_read_b64 v[88:89], v75 offset:8192
	s_lshl_b64 s[24:25], s[24:25], 15
	v_mfma_f32_16x16x16_bf16 a[0:3], v[100:101], v[92:93], a[0:3]
	ds_read_b64 v[100:101], v76 offset:8192
	s_and_b64 vcc, exec, s[0:1]
	s_waitcnt lgkmcnt(4)
	v_mfma_f32_16x16x16_bf16 a[4:7], v[104:105], v[90:91], a[4:7]
	s_waitcnt lgkmcnt(1)
	v_mfma_f32_16x16x16_bf16 a[4:7], v[88:89], v[92:93], a[4:7]
	v_lshl_add_u64 v[88:89], v[36:37], 0, s[24:25]
	global_store_dwordx4 v[88:89], v[96:99], off
	v_mfma_f32_16x16x16_bf16 a[0:3], v[102:103], v[94:95], a[0:3]
	s_waitcnt lgkmcnt(0)
	v_mfma_f32_16x16x16_bf16 a[4:7], v[100:101], v[94:95], a[4:7]
	s_cbranch_vccnz .LBB556_42
; %bb.41:                               ;   in Loop: Header=BB556_32 Depth=1
	v_lshrrev_b32_e32 v87, 3, v85
	v_and_b32_e32 v87, 6, v87
	v_xor_b32_e32 v86, v87, v86
	v_lshlrev_b32_e32 v86, 2, v86
	v_and_b32_e32 v85, 8, v85
	v_xor_b32_e32 v88, 0x440, v86
	v_cmp_eq_u32_e32 vcc, 0, v85
	s_barrier
	s_nop 0
	v_cndmask_b32_e32 v85, v88, v86, vcc
	v_lshl_or_b32 v85, v87, 10, v85
	s_waitcnt vmcnt(2)
	v_perm_b32 v86, v30, v26, s60
	s_waitcnt vmcnt(1)
	v_perm_b32 v87, v22, v18, s60
	ds_write2st64_b32 v85, v86, v87 offset1:32
	v_xor_b32_e32 v86, 8, v85
	v_perm_b32 v26, v30, v26, s61
	v_perm_b32 v18, v22, v18, s61
	v_add_u32_e32 v22, 0x80, v86
	ds_write2st64_b32 v22, v26, v18 offset1:32
	v_xor_b32_e32 v18, 16, v85
	v_perm_b32 v22, v31, v27, s60
	v_perm_b32 v26, v23, v19, s60
	ds_write2st64_b32 v18, v22, v26 offset0:1 offset1:33
	v_xor_b32_e32 v18, 24, v85
	v_perm_b32 v22, v31, v27, s61
	v_perm_b32 v19, v23, v19, s61
	v_add_u32_e32 v18, 0x80, v18
	ds_write2st64_b32 v18, v22, v19 offset0:1 offset1:33
	v_xor_b32_e32 v18, 32, v85
	v_perm_b32 v19, v32, v28, s60
	v_perm_b32 v22, v24, v20, s60
	ds_write2st64_b32 v18, v19, v22 offset0:2 offset1:34
	v_xor_b32_e32 v18, 40, v85
	v_perm_b32 v19, v32, v28, s61
	v_perm_b32 v20, v24, v20, s61
	v_add_u32_e32 v18, 0x80, v18
	ds_write2st64_b32 v18, v19, v20 offset0:2 offset1:34
	;; [unrolled: 9-line block ×3, first 2 shown]
	ds_write_b64 v84, v[14:15] offset:16384
	v_xor_b32_e32 v14, 8, v84
	ds_write_b64 v14, v[16:17] offset:16384
	ds_write_b64 v84, v[10:11] offset:24576
	;; [unrolled: 1-line block ×4, first 2 shown]
	v_xor_b32_e32 v6, 8, v83
	ds_write_b64 v6, v[8:9] offset:16384
	ds_write_b64 v83, v[2:3] offset:24576
	;; [unrolled: 1-line block ×3, first 2 shown]
.LBB556_42:                             ;   in Loop: Header=BB556_32 Depth=1
	v_exp_f32_e32 v4, s20
	s_nop 2
	v_accvgpr_read_b32 v2, a0
	v_accvgpr_read_b32 v3, a1
	s_add_i32 s59, s59, 64
	v_fma_f32 v50, v50, v4, v2
	v_accvgpr_read_b32 v2, a2
	v_fma_f32 v52, v52, v4, v2
	v_accvgpr_read_b32 v2, a4
	;; [unrolled: 2-line block ×6, first 2 shown]
	v_fmac_f32_e32 v3, v54, v4
	s_cmp_eq_u32 s50, s31
	v_fmac_f32_e32 v2, v55, v4
	s_cbranch_scc1 .LBB556_4
; %bb.43:                               ;   in Loop: Header=BB556_32 Depth=1
	s_mov_b32 s35, s31
	v_mov_b32_e32 v54, v3
	v_mov_b32_e32 v55, v2
	s_branch .LBB556_32
.LBB556_44:
                                        ; implicit-def: $vgpr5
                                        ; implicit-def: $vgpr9
                                        ; implicit-def: $vgpr13
                                        ; implicit-def: $vgpr17
	s_cbranch_execz .LBB556_46
; %bb.45:
	s_waitcnt vmcnt(0)
	v_mad_u64_u32 v[2:3], s[0:1], v20, s15, v[18:19]
	v_lshlrev_b32_e32 v20, 1, v2
	s_lshl_b32 s2, s15, 7
	s_and_b32 s1, s5, 0xffff
	s_mov_b32 s3, 0x20000
	s_mov_b32 s0, s4
	v_add_lshl_u32 v21, v2, s15, 1
	s_movk_i32 s13, 0x80
	buffer_load_dwordx4 v[2:5], v20, s[0:3], 0 offen
	buffer_load_dwordx4 v[10:13], v20, s[0:3], s13 offen
	;; [unrolled: 1-line block ×4, first 2 shown]
.LBB556_46:
	v_lshrrev_b32_e32 v38, 2, v40
	s_cbranch_execnz .LBB556_59
.LBB556_47:
	s_and_b64 vcc, exec, s[6:7]
	s_cbranch_vccz .LBB556_57
; %bb.48:
	s_waitcnt vmcnt(0)
	v_lshlrev_b32_e32 v7, 1, v35
	v_cmp_gt_i32_e32 vcc, s27, v7
	v_mov_b32_e32 v6, 0
	v_lshlrev_b32_e32 v14, 9, v35
	v_mov_b32_e32 v2, 0
	v_mov_b32_e32 v3, 0
	;; [unrolled: 1-line block ×4, first 2 shown]
	s_and_saveexec_b64 s[0:1], vcc
	s_cbranch_execz .LBB556_50
; %bb.49:
	v_mov_b32_e32 v15, 0
	v_lshl_add_u64 v[2:3], s[4:5], 0, v[14:15]
	v_lshlrev_b32_e32 v4, 1, v18
	v_mov_b32_e32 v5, v15
	v_lshl_add_u64 v[2:3], v[2:3], 0, v[4:5]
	global_load_dwordx4 v[2:5], v[2:3], off
.LBB556_50:
	s_or_b64 exec, exec, s[0:1]
	v_or_b32_e32 v7, 1, v7
	v_cmp_gt_i32_e64 s[0:1], s27, v7
	v_lshlrev_b32_e32 v20, 8, v7
	v_mov_b32_e32 v7, 0
	v_mov_b32_e32 v8, 0
	;; [unrolled: 1-line block ×3, first 2 shown]
	s_and_saveexec_b64 s[2:3], s[0:1]
	s_cbranch_execz .LBB556_52
; %bb.51:
	v_mov_b32_e32 v21, 0
	v_lshl_add_u64 v[6:7], s[4:5], 0, v[20:21]
	v_lshlrev_b32_e32 v8, 1, v18
	v_mov_b32_e32 v9, v21
	v_lshl_add_u64 v[6:7], v[6:7], 0, v[8:9]
	global_load_dwordx4 v[6:9], v[6:7], off
.LBB556_52:
	s_or_b64 exec, exec, s[2:3]
	v_mov_b32_e32 v17, 0
	v_mov_b32_e32 v10, 0
	;; [unrolled: 1-line block ×5, first 2 shown]
	s_and_saveexec_b64 s[2:3], vcc
	s_cbranch_execz .LBB556_54
; %bb.53:
	v_mov_b32_e32 v15, 0
	v_lshl_add_u64 v[10:11], s[4:5], 0, v[14:15]
	v_lshlrev_b32_e32 v14, 1, v18
	v_lshl_add_u64 v[10:11], v[10:11], 0, v[14:15]
	global_load_dwordx4 v[10:13], v[10:11], off offset:128
.LBB556_54:
	s_or_b64 exec, exec, s[2:3]
	v_mov_b32_e32 v16, 0
	v_mov_b32_e32 v15, 0
	;; [unrolled: 1-line block ×3, first 2 shown]
	s_and_saveexec_b64 s[2:3], s[0:1]
	s_cbranch_execz .LBB556_56
; %bb.55:
	v_mov_b32_e32 v21, 0
	v_lshl_add_u64 v[14:15], s[4:5], 0, v[20:21]
	v_lshlrev_b32_e32 v20, 1, v18
	v_lshl_add_u64 v[14:15], v[14:15], 0, v[20:21]
	global_load_dwordx4 v[14:17], v[14:15], off offset:128
.LBB556_56:
	s_or_b64 exec, exec, s[2:3]
	s_branch .LBB556_59
.LBB556_57:
                                        ; implicit-def: $vgpr5
                                        ; implicit-def: $vgpr9
                                        ; implicit-def: $vgpr13
                                        ; implicit-def: $vgpr17
	s_cbranch_execz .LBB556_59
; %bb.58:
	s_waitcnt vmcnt(0)
	v_lshlrev_b32_e32 v2, 1, v18
	v_lshl_or_b32 v18, v35, 9, v2
	s_and_b32 s5, s5, 0xffff
	s_mov_b32 s7, 0x20000
	s_movk_i32 s6, 0x4000
	s_movk_i32 s0, 0x80
	buffer_load_dwordx4 v[2:5], v18, s[4:7], 0 offen
	buffer_load_dwordx4 v[6:9], v18, s[4:7], 0 offen offset:256
	buffer_load_dwordx4 v[10:13], v18, s[4:7], s0 offen
	buffer_load_dwordx4 v[14:17], v18, s[4:7], s0 offen offset:256
.LBB556_59:
	ds_read2st64_b64 v[22:25], v19 offset0:76 offset1:77
	ds_read2st64_b64 v[18:21], v19 offset0:78 offset1:79
	ds_read_b64 v[30:31], v26 offset:24576
	ds_read_b64 v[32:33], v27 offset:24576
	;; [unrolled: 1-line block ×4, first 2 shown]
	v_and_b32_e32 v37, 6, v0
	v_xor_b32_e32 v35, v35, v37
	v_lshlrev_b32_e32 v35, 2, v35
	v_and_b32_e32 v0, 1, v0
	v_xor_b32_e32 v39, 0x440, v35
	v_cmp_eq_u32_e32 vcc, 0, v0
	s_mov_b32 s0, 0x1000504
	s_mov_b32 s1, 0x3020706
	v_cndmask_b32_e32 v0, v39, v35, vcc
	v_lshl_or_b32 v0, v37, 10, v0
	s_waitcnt vmcnt(0)
	v_perm_b32 v35, v2, v6, s0
	v_perm_b32 v37, v10, v14, s0
	ds_write2st64_b32 v0, v35, v37 offset1:32
	v_xor_b32_e32 v35, 8, v0
	v_perm_b32 v2, v2, v6, s1
	v_perm_b32 v6, v10, v14, s1
	v_add_u32_e32 v10, 0x80, v35
	ds_write2st64_b32 v10, v2, v6 offset1:32
	v_xor_b32_e32 v2, 16, v0
	v_perm_b32 v6, v3, v7, s0
	v_perm_b32 v10, v11, v15, s0
	ds_write2st64_b32 v2, v6, v10 offset0:1 offset1:33
	v_xor_b32_e32 v2, 24, v0
	v_perm_b32 v3, v3, v7, s1
	v_perm_b32 v6, v11, v15, s1
	v_add_u32_e32 v2, 0x80, v2
	ds_write2st64_b32 v2, v3, v6 offset0:1 offset1:33
	v_xor_b32_e32 v2, 32, v0
	v_perm_b32 v3, v4, v8, s0
	v_perm_b32 v6, v12, v16, s0
	ds_write2st64_b32 v2, v3, v6 offset0:2 offset1:34
	v_xor_b32_e32 v2, 40, v0
	v_perm_b32 v3, v4, v8, s1
	v_perm_b32 v4, v12, v16, s1
	v_add_u32_e32 v2, 0x80, v2
	ds_write2st64_b32 v2, v3, v4 offset0:2 offset1:34
	v_xor_b32_e32 v2, 48, v0
	v_perm_b32 v3, v5, v9, s0
	v_perm_b32 v4, v13, v17, s0
	v_xor_b32_e32 v0, 56, v0
	v_and_or_b32 v6, v38, 12, v1
	ds_write2st64_b32 v2, v3, v4 offset0:3 offset1:35
	v_perm_b32 v2, v5, v9, s1
	v_perm_b32 v3, v13, v17, s1
	v_add_u32_e32 v0, 0x80, v0
	v_cmp_gt_i32_e32 vcc, s27, v6
	v_mov_b32_e32 v7, 0
	v_mov_b32_e32 v11, 0
	ds_write2st64_b32 v0, v2, v3 offset0:3 offset1:35
	s_and_saveexec_b64 s[0:1], vcc
	s_cbranch_execz .LBB556_61
; %bb.60:
	v_add_u32_e32 v0, s26, v6
	v_ashrrev_i32_e32 v1, 31, v0
	v_mul_lo_u32 v2, v1, s28
	v_mul_lo_u32 v3, v0, s29
	v_mad_u64_u32 v[0:1], s[2:3], v0, s28, 0
	v_add3_u32 v1, v1, v3, v2
	v_lshl_add_u64 v[0:1], v[0:1], 2, s[10:11]
	global_load_dword v0, v[0:1], off
	s_waitcnt vmcnt(0)
	v_sub_f32_e32 v0, s12, v0
	v_exp_f32_e32 v11, v0
.LBB556_61:
	s_or_b64 exec, exec, s[0:1]
	v_or_b32_e32 v9, 1, v6
	v_cmp_gt_i32_e64 s[0:1], s27, v9
	s_and_saveexec_b64 s[2:3], s[0:1]
	s_cbranch_execz .LBB556_63
; %bb.62:
	v_add_u32_e32 v0, s26, v9
	v_ashrrev_i32_e32 v1, 31, v0
	v_mul_lo_u32 v2, v1, s28
	v_mul_lo_u32 v3, v0, s29
	v_mad_u64_u32 v[0:1], s[4:5], v0, s28, 0
	v_add3_u32 v1, v1, v3, v2
	v_lshl_add_u64 v[0:1], v[0:1], 2, s[10:11]
	global_load_dword v0, v[0:1], off
	s_waitcnt vmcnt(0)
	v_sub_f32_e32 v0, s12, v0
	v_exp_f32_e32 v7, v0
.LBB556_63:
	s_or_b64 exec, exec, s[2:3]
	v_or_b32_e32 v10, 2, v6
	v_cmp_gt_i32_e64 s[2:3], s27, v10
	v_mov_b32_e32 v8, 0
	v_mov_b32_e32 v13, 0
	s_and_saveexec_b64 s[4:5], s[2:3]
	s_cbranch_execz .LBB556_65
; %bb.64:
	v_add_u32_e32 v0, s26, v10
	v_ashrrev_i32_e32 v1, 31, v0
	v_mul_lo_u32 v2, v1, s28
	v_mul_lo_u32 v3, v0, s29
	v_mad_u64_u32 v[0:1], s[6:7], v0, s28, 0
	v_add3_u32 v1, v1, v3, v2
	v_lshl_add_u64 v[0:1], v[0:1], 2, s[10:11]
	global_load_dword v0, v[0:1], off
	s_waitcnt vmcnt(0)
	v_sub_f32_e32 v0, s12, v0
	v_exp_f32_e32 v13, v0
.LBB556_65:
	s_or_b64 exec, exec, s[4:5]
	v_or_b32_e32 v12, 3, v6
	v_cmp_gt_i32_e64 s[4:5], s27, v12
	s_and_saveexec_b64 s[6:7], s[4:5]
	s_cbranch_execz .LBB556_67
; %bb.66:
	v_add_u32_e32 v0, s26, v12
	v_ashrrev_i32_e32 v1, 31, v0
	v_mul_lo_u32 v2, v1, s28
	v_mul_lo_u32 v3, v0, s29
	v_mad_u64_u32 v[0:1], s[14:15], v0, s28, 0
	v_add3_u32 v1, v1, v3, v2
	v_lshl_add_u64 v[0:1], v[0:1], 2, s[10:11]
	global_load_dword v0, v[0:1], off
	s_waitcnt vmcnt(0)
	v_sub_f32_e32 v0, s12, v0
	v_exp_f32_e32 v8, v0
.LBB556_67:
	s_or_b64 exec, exec, s[6:7]
	s_waitcnt lgkmcnt(11)
	v_mfma_f32_16x16x16_bf16 a[0:3], v[30:31], v[22:23], a[0:3]
	s_add_u32 s6, s8, s20
	v_ashrrev_i32_e32 v35, 31, v34
	s_addc_u32 s7, s9, s21
	s_waitcnt lgkmcnt(10)
	v_mfma_f32_16x16x16_bf16 a[0:3], v[32:33], v[24:25], a[0:3]
	v_mov_b32_e32 v14, 0
	v_lshl_add_u64 v[4:5], v[34:35], 1, s[6:7]
	v_mov_b32_e32 v15, 0
	s_waitcnt lgkmcnt(9)
	v_mfma_f32_16x16x16_bf16 a[0:3], v[28:29], v[18:19], a[0:3]
	s_waitcnt lgkmcnt(8)
	v_mfma_f32_16x16x16_bf16 a[0:3], v[26:27], v[20:21], a[0:3]
	s_nop 6
	v_accvgpr_read_b32 v0, a0
	v_accvgpr_read_b32 v1, a1
	;; [unrolled: 1-line block ×4, first 2 shown]
	s_and_saveexec_b64 s[6:7], vcc
	s_cbranch_execz .LBB556_69
; %bb.68:
	v_lshlrev_b32_e32 v16, 8, v6
	v_mov_b32_e32 v17, 0
	v_lshl_add_u64 v[16:17], v[4:5], 0, v[16:17]
	global_load_ushort v15, v[16:17], off
	s_waitcnt vmcnt(0)
	v_lshlrev_b32_e32 v15, 16, v15
	v_sub_f32_e32 v0, v15, v0
	v_mul_f32_e32 v0, v11, v0
	v_lshrrev_b32_e32 v15, 16, v0
.LBB556_69:
	s_or_b64 exec, exec, s[6:7]
	s_and_saveexec_b64 s[6:7], s[0:1]
	s_cbranch_execz .LBB556_71
; %bb.70:
	v_lshlrev_b32_e32 v16, 8, v9
	v_mov_b32_e32 v17, 0
	v_lshl_add_u64 v[16:17], v[4:5], 0, v[16:17]
	global_load_ushort v0, v[16:17], off
	s_waitcnt vmcnt(0)
	v_lshlrev_b32_e32 v0, 16, v0
	v_sub_f32_e32 v0, v0, v1
	v_mul_f32_e32 v0, v7, v0
	v_lshrrev_b32_e32 v14, 16, v0
.LBB556_71:
	s_or_b64 exec, exec, s[6:7]
	v_mov_b32_e32 v0, 0
	v_mov_b32_e32 v1, 0
	s_and_saveexec_b64 s[0:1], s[2:3]
	s_cbranch_execz .LBB556_73
; %bb.72:
	v_lshlrev_b32_e32 v10, 8, v10
	v_mov_b32_e32 v11, 0
	v_lshl_add_u64 v[10:11], v[4:5], 0, v[10:11]
	global_load_ushort v1, v[10:11], off
	s_waitcnt vmcnt(0)
	v_lshlrev_b32_e32 v1, 16, v1
	v_sub_f32_e32 v1, v1, v2
	v_mul_f32_e32 v1, v13, v1
	v_lshrrev_b32_e32 v1, 16, v1
.LBB556_73:
	s_or_b64 exec, exec, s[0:1]
	s_and_saveexec_b64 s[0:1], s[4:5]
	s_cbranch_execz .LBB556_75
; %bb.74:
	v_lshlrev_b32_e32 v10, 8, v12
	v_mov_b32_e32 v11, 0
	v_lshl_add_u64 v[4:5], v[4:5], 0, v[10:11]
	global_load_ushort v0, v[4:5], off
	s_waitcnt vmcnt(0)
	v_lshlrev_b32_e32 v0, 16, v0
	v_sub_f32_e32 v0, v0, v3
	v_mul_f32_e32 v0, v8, v0
	v_lshrrev_b32_e32 v0, 16, v0
.LBB556_75:
	s_or_b64 exec, exec, s[0:1]
	s_mov_b32 s0, 0x5040100
	v_lshlrev_b32_e32 v2, 1, v36
	v_perm_b32 v1, v0, v1, s0
	v_perm_b32 v0, v14, v15, s0
	v_lshl_or_b32 v2, v6, 5, v2
	ds_write_b64 v2, v[0:1] offset:38912
	s_waitcnt lgkmcnt(0)
	s_barrier
.LBB556_76:
	s_endpgm
	.section	.rodata,"a",@progbits
	.p2align	6, 0x0
	.amdhsa_kernel _ZN12_GLOBAL__N_139chunk_gated_delta_rule_fwd_h_hip_kernelILi16ELb1ELb0ELb0ELb0ELb1ELb0ELb1ELb1EEEvPK12hip_bfloat16S3_S3_PKfS5_PKvPS1_S8_PvPKiSB_iiiiilll
		.amdhsa_group_segment_fixed_size 40960
		.amdhsa_private_segment_fixed_size 0
		.amdhsa_kernarg_size 136
		.amdhsa_user_sgpr_count 2
		.amdhsa_user_sgpr_dispatch_ptr 0
		.amdhsa_user_sgpr_queue_ptr 0
		.amdhsa_user_sgpr_kernarg_segment_ptr 1
		.amdhsa_user_sgpr_dispatch_id 0
		.amdhsa_user_sgpr_kernarg_preload_length 0
		.amdhsa_user_sgpr_kernarg_preload_offset 0
		.amdhsa_user_sgpr_private_segment_size 0
		.amdhsa_uses_dynamic_stack 0
		.amdhsa_enable_private_segment 0
		.amdhsa_system_sgpr_workgroup_id_x 1
		.amdhsa_system_sgpr_workgroup_id_y 1
		.amdhsa_system_sgpr_workgroup_id_z 0
		.amdhsa_system_sgpr_workgroup_info 0
		.amdhsa_system_vgpr_workitem_id 0
		.amdhsa_next_free_vgpr 116
		.amdhsa_next_free_sgpr 64
		.amdhsa_accum_offset 108
		.amdhsa_reserve_vcc 1
		.amdhsa_float_round_mode_32 0
		.amdhsa_float_round_mode_16_64 0
		.amdhsa_float_denorm_mode_32 3
		.amdhsa_float_denorm_mode_16_64 3
		.amdhsa_dx10_clamp 1
		.amdhsa_ieee_mode 1
		.amdhsa_fp16_overflow 0
		.amdhsa_tg_split 0
		.amdhsa_exception_fp_ieee_invalid_op 0
		.amdhsa_exception_fp_denorm_src 0
		.amdhsa_exception_fp_ieee_div_zero 0
		.amdhsa_exception_fp_ieee_overflow 0
		.amdhsa_exception_fp_ieee_underflow 0
		.amdhsa_exception_fp_ieee_inexact 0
		.amdhsa_exception_int_div_zero 0
	.end_amdhsa_kernel
	.section	.text._ZN12_GLOBAL__N_139chunk_gated_delta_rule_fwd_h_hip_kernelILi16ELb1ELb0ELb0ELb0ELb1ELb0ELb1ELb1EEEvPK12hip_bfloat16S3_S3_PKfS5_PKvPS1_S8_PvPKiSB_iiiiilll,"axG",@progbits,_ZN12_GLOBAL__N_139chunk_gated_delta_rule_fwd_h_hip_kernelILi16ELb1ELb0ELb0ELb0ELb1ELb0ELb1ELb1EEEvPK12hip_bfloat16S3_S3_PKfS5_PKvPS1_S8_PvPKiSB_iiiiilll,comdat
.Lfunc_end556:
	.size	_ZN12_GLOBAL__N_139chunk_gated_delta_rule_fwd_h_hip_kernelILi16ELb1ELb0ELb0ELb0ELb1ELb0ELb1ELb1EEEvPK12hip_bfloat16S3_S3_PKfS5_PKvPS1_S8_PvPKiSB_iiiiilll, .Lfunc_end556-_ZN12_GLOBAL__N_139chunk_gated_delta_rule_fwd_h_hip_kernelILi16ELb1ELb0ELb0ELb0ELb1ELb0ELb1ELb1EEEvPK12hip_bfloat16S3_S3_PKfS5_PKvPS1_S8_PvPKiSB_iiiiilll
                                        ; -- End function
	.section	.AMDGPU.csdata,"",@progbits
; Kernel info:
; codeLenInByte = 7160
; NumSgprs: 70
; NumVgprs: 106
; NumAgprs: 8
; TotalNumVgprs: 116
; ScratchSize: 0
; MemoryBound: 0
; FloatMode: 240
; IeeeMode: 1
; LDSByteSize: 40960 bytes/workgroup (compile time only)
; SGPRBlocks: 8
; VGPRBlocks: 14
; NumSGPRsForWavesPerEU: 70
; NumVGPRsForWavesPerEU: 116
; AccumOffset: 108
; Occupancy: 1
; WaveLimiterHint : 1
; COMPUTE_PGM_RSRC2:SCRATCH_EN: 0
; COMPUTE_PGM_RSRC2:USER_SGPR: 2
; COMPUTE_PGM_RSRC2:TRAP_HANDLER: 0
; COMPUTE_PGM_RSRC2:TGID_X_EN: 1
; COMPUTE_PGM_RSRC2:TGID_Y_EN: 1
; COMPUTE_PGM_RSRC2:TGID_Z_EN: 0
; COMPUTE_PGM_RSRC2:TIDIG_COMP_CNT: 0
; COMPUTE_PGM_RSRC3_GFX90A:ACCUM_OFFSET: 26
; COMPUTE_PGM_RSRC3_GFX90A:TG_SPLIT: 0
	.section	.text._ZN12_GLOBAL__N_139chunk_gated_delta_rule_fwd_h_hip_kernelILi16ELb0ELb1ELb1ELb0ELb1ELb0ELb1ELb1EEEvPK12hip_bfloat16S3_S3_PKfS5_PKvPS1_S8_PvPKiSB_iiiiilll,"axG",@progbits,_ZN12_GLOBAL__N_139chunk_gated_delta_rule_fwd_h_hip_kernelILi16ELb0ELb1ELb1ELb0ELb1ELb0ELb1ELb1EEEvPK12hip_bfloat16S3_S3_PKfS5_PKvPS1_S8_PvPKiSB_iiiiilll,comdat
	.globl	_ZN12_GLOBAL__N_139chunk_gated_delta_rule_fwd_h_hip_kernelILi16ELb0ELb1ELb1ELb0ELb1ELb0ELb1ELb1EEEvPK12hip_bfloat16S3_S3_PKfS5_PKvPS1_S8_PvPKiSB_iiiiilll ; -- Begin function _ZN12_GLOBAL__N_139chunk_gated_delta_rule_fwd_h_hip_kernelILi16ELb0ELb1ELb1ELb0ELb1ELb0ELb1ELb1EEEvPK12hip_bfloat16S3_S3_PKfS5_PKvPS1_S8_PvPKiSB_iiiiilll
	.p2align	8
	.type	_ZN12_GLOBAL__N_139chunk_gated_delta_rule_fwd_h_hip_kernelILi16ELb0ELb1ELb1ELb0ELb1ELb0ELb1ELb1EEEvPK12hip_bfloat16S3_S3_PKfS5_PKvPS1_S8_PvPKiSB_iiiiilll,@function
_ZN12_GLOBAL__N_139chunk_gated_delta_rule_fwd_h_hip_kernelILi16ELb0ELb1ELb1ELb0ELb1ELb0ELb1ELb1EEEvPK12hip_bfloat16S3_S3_PKfS5_PKvPS1_S8_PvPKiSB_iiiiilll: ; @_ZN12_GLOBAL__N_139chunk_gated_delta_rule_fwd_h_hip_kernelILi16ELb0ELb1ELb1ELb0ELb1ELb0ELb1ELb1EEEvPK12hip_bfloat16S3_S3_PKfS5_PKvPS1_S8_PvPKiSB_iiiiilll
; %bb.0:
	s_load_dwordx4 s[16:19], s[0:1], 0x5c
	s_load_dwordx4 s[20:23], s[0:1], 0x70
	s_abs_i32 s14, s3
	s_ashr_i32 s13, s3, 31
	s_load_dwordx8 s[4:11], s[0:1], 0x0
	s_waitcnt lgkmcnt(0)
	s_abs_i32 s12, s17
	v_cvt_f32_u32_e32 v1, s12
	s_sub_i32 s24, 0, s12
	s_ashr_i32 s15, s17, 31
	s_xor_b32 s13, s13, s15
	v_rcp_iflag_f32_e32 v1, v1
	v_lshrrev_b32_e32 v48, 6, v0
	v_bfe_u32 v51, v0, 4, 2
	v_lshlrev_b32_e32 v49, 4, v48
	v_mul_f32_e32 v1, 0x4f7ffffe, v1
	v_cvt_u32_f32_e32 v1, v1
	v_lshlrev_b32_e32 v10, 2, v51
	v_and_b32_e32 v50, 63, v0
	v_mov_b32_e32 v9, 0
	v_readfirstlane_b32 s25, v1
	s_mul_i32 s24, s24, s25
	s_mul_hi_u32 s24, s25, s24
	s_add_i32 s25, s25, s24
	s_mul_hi_u32 s24, s14, s25
	s_mul_i32 s25, s24, s12
	s_sub_i32 s14, s14, s25
	s_add_i32 s26, s24, 1
	s_sub_i32 s25, s14, s12
	s_cmp_ge_u32 s14, s12
	s_cselect_b32 s24, s26, s24
	s_cselect_b32 s14, s25, s14
	s_add_i32 s25, s24, 1
	s_cmp_ge_u32 s14, s12
	s_cselect_b32 s14, s25, s24
	s_xor_b32 s14, s14, s13
	s_sub_i32 s49, s14, s13
	s_abs_i32 s13, s18
	v_cvt_f32_u32_e32 v1, s13
	s_add_i32 s24, s16, 63
	s_mul_i32 s47, s49, s17
	s_sub_i32 s33, s3, s47
	v_rcp_iflag_f32_e32 v1, v1
	s_ashr_i32 s3, s24, 31
	s_ashr_i32 s48, s16, 31
	s_lshr_b32 s3, s3, 26
	v_mul_f32_e32 v1, 0x4f7ffffe, v1
	v_cvt_u32_f32_e32 v1, v1
	s_lshr_b32 s14, s48, 26
	s_add_i32 s24, s24, s3
	s_add_i32 s14, s16, s14
	s_ashr_i32 s51, s18, 31
	s_ashr_i32 s3, s24, 6
	;; [unrolled: 1-line block ×3, first 2 shown]
	s_xor_b32 s14, s15, s51
	s_sub_i32 s15, 0, s13
	v_readfirstlane_b32 s24, v1
	s_mul_i32 s15, s15, s24
	s_mul_hi_u32 s15, s24, s15
	s_add_i32 s24, s24, s15
	s_mul_hi_u32 s15, s12, s24
	s_mul_i32 s24, s15, s13
	s_sub_i32 s12, s12, s24
	s_add_i32 s24, s15, 1
	s_sub_i32 s25, s12, s13
	s_cmp_ge_u32 s12, s13
	s_cselect_b32 s15, s24, s15
	s_cselect_b32 s12, s25, s12
	s_add_i32 s24, s15, 1
	s_cmp_ge_u32 s12, s13
	s_cselect_b32 s12, s24, s15
	s_xor_b32 s12, s12, s14
	s_sub_i32 s24, s12, s14
	s_abs_i32 s25, s24
	v_cvt_f32_u32_e32 v1, s25
	s_load_dwordx2 s[34:35], s[0:1], 0x40
	s_load_dwordx4 s[12:15], s[0:1], 0x30
	s_load_dwordx2 s[36:37], s[0:1], 0x80
	s_xor_b32 s0, s33, s24
	s_sub_i32 s24, 0, s25
	v_rcp_iflag_f32_e32 v1, v1
	s_abs_i32 s1, s33
	s_ashr_i32 s0, s0, 31
	s_mul_i32 s52, s49, s3
	v_mul_f32_e32 v1, 0x4f7ffffe, v1
	v_cvt_u32_f32_e32 v1, v1
	v_and_b32_e32 v52, 15, v0
	s_mul_hi_i32 s53, s49, s17
	v_lshrrev_b32_e32 v54, 3, v50
	v_readfirstlane_b32 s26, v1
	s_mul_i32 s24, s24, s26
	s_mul_hi_u32 s24, s26, s24
	s_add_i32 s26, s26, s24
	s_mul_hi_u32 s24, s1, s26
	s_mul_i32 s26, s24, s25
	s_sub_i32 s1, s1, s26
	s_add_i32 s26, s24, 1
	s_sub_i32 s27, s1, s25
	s_cmp_ge_u32 s1, s25
	s_cselect_b32 s24, s26, s24
	s_cselect_b32 s1, s27, s1
	s_add_i32 s26, s24, 1
	s_cmp_ge_u32 s1, s25
	s_cselect_b32 s1, s26, s24
	s_xor_b32 s1, s1, s0
	s_sub_i32 s54, s1, s0
	v_or_b32_e32 v1, v10, v49
	s_lshl_b32 s2, s2, 4
	v_or_b32_e32 v55, 64, v1
	s_cmp_lt_i32 s16, 64
	v_lshlrev_b32_e32 v53, 3, v0
	s_mul_i32 s21, s49, s21
	s_mul_hi_u32 s46, s49, s20
	s_mul_i32 s38, s49, s20
	v_mov_b32_e32 v8, v9
	v_mov_b32_e32 v7, v9
	;; [unrolled: 1-line block ×7, first 2 shown]
	s_cbranch_scc1 .LBB557_18
; %bb.1:
	s_ashr_i32 s3, s49, 31
	s_ashr_i32 s56, s33, 31
	s_add_u32 s0, s47, s33
	s_addc_u32 s1, s53, s56
	s_mul_i32 s1, s16, s1
	s_mul_hi_u32 s24, s16, s0
	s_add_i32 s41, s24, s1
	s_mul_i32 s40, s16, s0
	s_lshl_b64 s[0:1], s[40:41], 8
	v_and_b32_e32 v57, 56, v53
	s_add_u32 s24, s6, s0
	v_lshl_or_b32 v56, v48, 3, v54
	v_lshlrev_b32_e32 v3, 1, v57
	s_addc_u32 s0, s7, s1
	v_lshl_or_b32 v58, v56, 8, v3
	s_and_b32 s25, s0, 0xffff
	s_mov_b32 s27, 0x20000
	s_movk_i32 s26, 0x4000
	s_movk_i32 s0, 0x80
	v_or_b32_e32 v59, 0x2000, v58
	buffer_load_dwordx4 v[4:7], v58, s[24:27], 0 offen
	buffer_load_dwordx4 v[12:15], v58, s[24:27], s0 offen
	;; [unrolled: 1-line block ×4, first 2 shown]
	v_lshlrev_b32_e32 v2, 3, v56
	v_and_or_b32 v9, v0, 7, v2
	v_and_b32_e32 v2, 0x78, v2
	v_lshlrev_b32_e32 v9, 4, v9
	v_xor_b32_e32 v60, v9, v2
	v_mul_lo_u32 v8, v56, s19
	v_or_b32_e32 v61, 0x1000, v60
	v_xor_b32_e32 v2, 8, v60
	s_cmpk_eq_i32 s19, 0x80
	s_mov_b32 s55, s18
	v_xor_b32_e32 v9, 8, v61
	s_cselect_b64 s[0:1], -1, 0
	s_cmpk_lg_i32 s19, 0x80
	s_waitcnt vmcnt(3)
	ds_write_b64 v60, v[4:5] offset:16384
	ds_write_b64 v2, v[6:7] offset:16384
	s_waitcnt vmcnt(2)
	ds_write_b64 v60, v[12:13] offset:24576
	ds_write_b64 v2, v[14:15] offset:24576
	;; [unrolled: 3-line block ×4, first 2 shown]
	v_lshl_add_u32 v2, v8, 1, v57
	s_cbranch_scc0 .LBB557_3
; %bb.2:
	v_lshlrev_b32_e32 v6, 1, v2
	v_add_lshl_u32 v5, v2, s19, 1
	s_lshl_b32 s26, s19, 7
	v_lshl_or_b32 v4, v56, 9, v3
	s_cbranch_execz .LBB557_4
	s_branch .LBB557_5
.LBB557_3:
                                        ; implicit-def: $vgpr5
                                        ; implicit-def: $vgpr6
                                        ; implicit-def: $sgpr26
	v_lshl_or_b32 v4, v56, 9, v3
.LBB557_4:
	v_or_b32_e32 v5, 0x100, v4
	s_movk_i32 s26, 0x4000
	v_mov_b32_e32 v6, v4
.LBB557_5:
	s_mul_hi_u32 s24, s18, s16
	s_mul_i32 s25, s51, s16
	s_add_i32 s24, s24, s25
	s_mul_i32 s25, s18, s16
	s_mul_i32 s27, s25, s3
	s_mul_hi_u32 s28, s25, s49
	s_add_i32 s27, s28, s27
	s_mul_i32 s24, s24, s49
	s_add_i32 s27, s27, s24
	s_mul_i32 s25, s25, s49
	s_ashr_i32 s57, s54, 31
	s_add_u32 s24, s25, s54
	s_addc_u32 s25, s27, s57
	s_lshl_b64 s[24:25], s[24:25], 8
	s_add_u32 s24, s4, s24
	s_addc_u32 s25, s5, s25
	s_and_b32 s25, s25, 0xffff
	s_mov_b32 s27, 0x20000
	s_movk_i32 s58, 0x80
	buffer_load_dwordx4 v[12:15], v6, s[24:27], 0 offen
	buffer_load_dwordx4 v[16:19], v6, s[24:27], s58 offen
	;; [unrolled: 1-line block ×4, first 2 shown]
	v_and_b32_e32 v3, 6, v0
	s_mul_i32 s24, s3, s16
	s_mul_hi_u32 s25, s49, s16
	v_lshlrev_b32_e32 v6, 2, v52
	v_lshlrev_b32_e32 v7, 3, v52
	v_xor_b32_e32 v9, v56, v3
	v_and_b32_e32 v5, 1, v0
	s_mul_i32 s3, s3, s20
	v_lshl_or_b32 v7, v1, 5, v7
	v_xor_b32_e32 v11, v1, v6
	v_lshlrev_b32_e32 v9, 2, v9
	s_add_i32 s63, s25, s24
	s_add_i32 s24, s46, s21
	v_or_b32_e32 v62, 0x9000, v7
	v_or_b32_e32 v63, 0x9800, v7
	v_lshlrev_b32_e32 v7, 1, v11
	v_xor_b32_e32 v11, 0x440, v9
	v_cmp_eq_u32_e32 vcc, 0, v5
	s_add_i32 s39, s24, s3
	s_mul_i32 s3, s33, s23
	s_mul_hi_u32 s24, s33, s22
	v_cndmask_b32_e32 v5, v11, v9, vcc
	s_add_i32 s3, s24, s3
	s_mul_i32 s24, s56, s22
	s_mov_b32 s60, 0x1000504
	v_lshlrev_b32_e32 v8, 8, v52
	s_mov_b32 s26, 0x8000
	v_xor_b32_e32 v6, v55, v6
	v_lshl_or_b32 v3, v3, 10, v5
	s_add_i32 s25, s3, s24
	s_lshl_b64 s[28:29], s[38:39], 2
	s_mov_b32 s61, 0x3020706
	v_lshlrev_b32_e32 v6, 1, v6
	v_or3_b32 v64, v7, v8, s26
	v_xor_b32_e32 v5, 8, v3
	v_xor_b32_e32 v7, 24, v3
	;; [unrolled: 1-line block ×4, first 2 shown]
	s_mul_i32 s24, s33, s22
	s_add_u32 s3, s10, s28
	v_or3_b32 v65, v6, v8, s26
	v_xor_b32_e32 v6, 16, v3
	v_xor_b32_e32 v8, 32, v3
	;; [unrolled: 1-line block ×3, first 2 shown]
	v_add_u32_e32 v5, 0x80, v5
	v_add_u32_e32 v7, 0x80, v7
	;; [unrolled: 1-line block ×4, first 2 shown]
	s_addc_u32 s28, s11, s29
	s_lshl_b64 s[24:25], s[24:25], 2
	s_add_u32 s42, s3, s24
	s_movk_i32 s3, 0xf8
	s_addc_u32 s43, s28, s25
	s_lshl_b32 s30, s19, 7
	s_mov_b32 s59, 0
	s_mul_i32 s62, s49, s16
	v_add_u32_e32 v80, v49, v10
	s_mov_b32 s64, 0
	s_waitcnt vmcnt(1)
	v_perm_b32 v29, v12, v20, s60
	s_waitcnt vmcnt(0)
	v_perm_b32 v30, v16, v24, s60
	v_perm_b32 v12, v12, v20, s61
	;; [unrolled: 1-line block ×15, first 2 shown]
	ds_write2st64_b32 v3, v29, v30 offset1:32
	ds_write2st64_b32 v5, v12, v16 offset1:32
	ds_write2st64_b32 v6, v20, v24 offset0:1 offset1:33
	ds_write2st64_b32 v7, v13, v17 offset0:1 offset1:33
	;; [unrolled: 1-line block ×6, first 2 shown]
	v_or_b32_e32 v3, v49, v52
	v_lshlrev_b32_e32 v3, 3, v3
	v_lshrrev_b32_e32 v7, 5, v50
	v_and_or_b32 v7, v3, s3, v7
	v_lshlrev_b32_e32 v7, 4, v7
	v_lshlrev_b32_e32 v5, 11, v48
	v_and_b32_e32 v3, 0x78, v3
	v_or_b32_e32 v12, 32, v7
	v_and_b32_e32 v6, 0x1000, v5
	v_lshrrev_b32_e32 v11, 1, v0
	v_xor_b32_e32 v12, v12, v3
	v_and_b32_e32 v9, 8, v11
	v_or_b32_e32 v12, v12, v6
	v_xor_b32_e32 v8, v7, v3
	v_xor_b32_e32 v68, v12, v9
	v_or_b32_e32 v12, 64, v7
	v_or_b32_e32 v7, 0x60, v7
	v_xor_b32_e32 v12, v12, v3
	v_xor_b32_e32 v3, v7, v3
	v_or_b32_e32 v3, v3, v6
	v_or_b32_e32 v12, v12, v6
	v_xor_b32_e32 v70, v3, v9
	v_lshlrev_b32_e32 v14, 1, v2
	v_add_lshl_u32 v15, v2, s19, 1
	v_lshrrev_b32_e32 v2, 4, v0
	v_lshlrev_b32_e32 v3, 1, v52
	v_xor_b32_e32 v69, v12, v9
	s_ashr_i32 s3, s2, 31
	v_or_b32_e32 v12, 1, v3
	v_xor_b32_e32 v3, v2, v3
	s_lshl_b64 s[24:25], s[2:3], 8
	v_xor_b32_e32 v12, v12, v2
	v_lshlrev_b32_e32 v3, 3, v3
	v_lshlrev_b32_e32 v2, 8, v2
	s_waitcnt lgkmcnt(0)
	s_add_u32 s24, s12, s24
	v_or3_b32 v72, v3, v2, s26
	v_lshlrev_b32_e32 v3, 3, v12
	s_addc_u32 s25, s13, s25
	v_or3_b32 v73, v3, v2, s26
	v_mov_b32_e32 v3, 0
	v_lshl_add_u64 v[12:13], s[24:25], 0, v[2:3]
	v_lshlrev_b32_e32 v2, 4, v52
	s_movk_i32 s3, 0xff
	v_lshlrev_b32_e32 v18, 3, v48
	v_and_b32_e32 v11, 24, v11
	v_lshl_add_u64 v[42:43], v[12:13], 0, v[2:3]
	v_and_b32_e32 v12, 8, v0
	v_cmp_lt_u32_e32 vcc, s3, v0
	v_xor_b32_e32 v19, v18, v11
	v_or_b32_e32 v20, 0x440, v19
	v_cndmask_b32_e64 v17, 0, 1, vcc
	v_cmp_eq_u32_e32 vcc, 0, v12
	v_and_b32_e32 v2, 7, v0
	v_lshlrev_b32_e32 v13, 3, v2
	v_cndmask_b32_e32 v12, v20, v19, vcc
	v_lshlrev_b32_e32 v2, 7, v2
	v_or_b32_e32 v12, v12, v5
	v_xad_u32 v74, v12, v13, v2
	v_or_b32_e32 v12, 32, v11
	v_xor_b32_e32 v12, v18, v12
	v_or_b32_e32 v19, 0x440, v12
	v_cndmask_b32_e32 v12, v19, v12, vcc
	v_or_b32_e32 v12, v12, v5
	v_xad_u32 v75, v12, v13, v2
	v_or_b32_e32 v12, 64, v11
	v_xor_b32_e32 v12, v18, v12
	v_xor_b32_e32 v19, 0x440, v12
	v_cndmask_b32_e32 v12, v19, v12, vcc
	v_or_b32_e32 v11, 0x60, v11
	v_or_b32_e32 v12, v12, v5
	v_xor_b32_e32 v11, v18, v11
	v_or_b32_e32 v8, v8, v6
	v_or_b32_e32 v6, s2, v52
	v_xad_u32 v76, v12, v13, v2
	v_xor_b32_e32 v12, 0x440, v11
	v_xor_b32_e32 v66, v8, v9
	v_and_b32_e32 v8, 0x78, v53
	v_ashrrev_i32_e32 v7, 31, v6
	v_cndmask_b32_e32 v11, v12, v11, vcc
	v_lshl_or_b32 v8, v51, 7, v8
	v_lshlrev_b64 v[6:7], 1, v[6:7]
	v_or_b32_e32 v5, v11, v5
	v_or_b32_e32 v67, 0x9000, v8
	;; [unrolled: 1-line block ×3, first 2 shown]
	v_lshl_add_u64 v[8:9], s[8:9], 0, v[6:7]
	v_lshl_add_u64 v[6:7], s[14:15], 0, v[6:7]
	v_or_b32_e32 v16, 0x100, v4
	v_lshlrev_b32_e32 v17, 13, v17
	v_xad_u32 v77, v5, v13, v2
	v_lshlrev_b32_e32 v2, 8, v1
	v_cndmask_b32_e64 v78, v14, v4, s[0:1]
	v_cndmask_b32_e64 v79, v15, v16, s[0:1]
	v_lshl_add_u64 v[44:45], v[8:9], 0, v[2:3]
	v_lshl_add_u64 v[46:47], v[6:7], 0, v[2:3]
	s_mov_b32 s3, 0x7060302
	s_movk_i32 s26, 0x4000
	v_add_u32_e32 v81, v17, v74
	v_add_u32_e32 v82, v17, v75
	;; [unrolled: 1-line block ×4, first 2 shown]
	v_mov_b32_e32 v2, v3
	v_mov_b32_e32 v4, v3
	;; [unrolled: 1-line block ×7, first 2 shown]
	s_barrier
.LBB557_6:                              ; =>This Inner Loop Header: Depth=1
	s_add_i32 s39, s64, 1
	s_cmp_lt_i32 s39, s50
	s_mov_b64 s[28:29], 0
	s_cselect_b64 s[44:45], -1, 0
	s_cmp_ge_i32 s39, s50
	s_mov_b64 s[24:25], 0
	s_cbranch_scc1 .LBB557_8
; %bb.7:                                ;   in Loop: Header=BB557_6 Depth=1
	s_add_i32 s0, s59, 64
	s_add_u32 s0, s40, s0
	s_addc_u32 s1, s41, 0
	s_lshl_b64 s[0:1], s[0:1], 8
	s_add_u32 s24, s6, s0
	s_addc_u32 s25, s7, s1
.LBB557_8:                              ;   in Loop: Header=BB557_6 Depth=1
	v_cndmask_b32_e64 v5, 0, 1, s[44:45]
	v_cmp_ne_u32_e64 s[0:1], 1, v5
	s_andn2_b64 vcc, exec, s[44:45]
	s_cbranch_vccnz .LBB557_10
; %bb.9:                                ;   in Loop: Header=BB557_6 Depth=1
	s_add_i32 s28, s59, 64
	s_add_u32 s28, s62, s28
	s_addc_u32 s29, s63, 0
	s_mul_i32 s31, s28, s51
	s_mul_hi_u32 s44, s28, s55
	s_add_i32 s31, s44, s31
	s_mul_i32 s29, s29, s55
	s_add_i32 s31, s31, s29
	s_mul_i32 s28, s28, s55
	s_add_u32 s28, s28, s54
	s_addc_u32 s29, s31, s57
	s_lshl_b64 s[28:29], s[28:29], 8
	s_add_u32 s28, s4, s28
	s_addc_u32 s29, s5, s29
.LBB557_10:                             ;   in Loop: Header=BB557_6 Depth=1
	v_perm_b32 v11, v86, v4, s3
	v_perm_b32 v10, v3, v2, s3
	;; [unrolled: 1-line block ×4, first 2 shown]
	ds_write_b64 v62, v[10:11]
	ds_write_b64 v63, v[12:13]
	;; [unrolled: 1-line block ×4, first 2 shown]
	s_waitcnt lgkmcnt(0)
	s_barrier
	ds_read_b64 v[18:19], v66 offset:16384
	ds_read_b64 v[20:21], v68 offset:16384
	ds_read2st64_b64 v[10:13], v67 offset1:1
	ds_read2st64_b64 v[14:17], v67 offset0:2 offset1:3
	ds_read_b64 v[22:23], v69 offset:16384
	s_waitcnt lgkmcnt(2)
	v_mfma_f32_16x16x16_bf16 a[0:3], v[18:19], v[10:11], 0
	ds_read_b64 v[10:11], v70 offset:16384
	s_add_i32 s31, s59, 63
	s_mul_i32 s44, s31, s37
	v_mfma_f32_16x16x16_bf16 a[0:3], v[20:21], v[12:13], a[0:3]
	s_mul_hi_u32 s45, s31, s36
	s_add_i32 s45, s45, s44
	s_mul_i32 s44, s31, s36
	s_waitcnt lgkmcnt(1)
	v_mfma_f32_16x16x16_bf16 a[0:3], v[22:23], v[14:15], a[0:3]
	s_lshl_b64 s[44:45], s[44:45], 2
	s_add_u32 s44, s42, s44
	s_addc_u32 s45, s43, s45
	s_waitcnt lgkmcnt(0)
	v_mfma_f32_16x16x16_bf16 a[0:3], v[10:11], v[16:17], a[0:3]
	s_and_b64 vcc, exec, s[0:1]
	v_mov_b32_e32 v87, 0
	v_mov_b32_e32 v9, 0
	;; [unrolled: 1-line block ×19, first 2 shown]
	s_cbranch_vccnz .LBB557_12
; %bb.11:                               ;   in Loop: Header=BB557_6 Depth=1
	s_and_b32 s25, s25, 0xffff
	buffer_load_dwordx4 v[22:25], v58, s[24:27], 0 offen
	buffer_load_dwordx4 v[18:21], v58, s[24:27], s58 offen
	;; [unrolled: 1-line block ×4, first 2 shown]
	v_mov_b32_e32 v9, v60
	v_mov_b32_e32 v5, v61
.LBB557_12:                             ;   in Loop: Header=BB557_6 Depth=1
	s_waitcnt vmcnt(3)
	v_add_u32_e32 v32, s59, v80
	s_waitcnt vmcnt(1)
	v_ashrrev_i32_e32 v26, 31, v32
	v_mul_lo_u32 v28, v26, s36
	v_mul_lo_u32 v29, v32, s37
	v_mad_u64_u32 v[26:27], s[24:25], v32, s36, 0
	v_add3_u32 v27, v27, v29, v28
	v_add_u32_e32 v28, 1, v32
	v_ashrrev_i32_e32 v29, 31, v28
	v_mul_lo_u32 v30, v29, s36
	v_mul_lo_u32 v31, v28, s37
	v_mad_u64_u32 v[28:29], s[24:25], v28, s36, 0
	v_add3_u32 v29, v29, v31, v30
	v_add_u32_e32 v30, 2, v32
	v_ashrrev_i32_e32 v31, 31, v30
	v_mul_lo_u32 v33, v31, s36
	v_mul_lo_u32 v34, v30, s37
	v_mad_u64_u32 v[30:31], s[24:25], v30, s36, 0
	s_add_u32 s24, s40, s59
	v_add3_u32 v31, v31, v34, v33
	v_add_u32_e32 v34, 3, v32
	s_addc_u32 s25, s41, 0
	v_ashrrev_i32_e32 v32, 31, v34
	s_lshl_b64 s[66:67], s[24:25], 8
	v_lshl_add_u64 v[26:27], v[26:27], 2, s[42:43]
	v_mul_lo_u32 v35, v32, s36
	v_lshl_add_u64 v[32:33], v[44:45], 0, s[66:67]
	v_mul_lo_u32 v36, v34, s37
	global_load_ushort v89, v[32:33], off
	global_load_ushort v94, v[32:33], off offset:256
	global_load_ushort v95, v[32:33], off offset:512
	;; [unrolled: 1-line block ×3, first 2 shown]
	global_load_dword v97, v[26:27], off
	v_mad_u64_u32 v[26:27], s[24:25], v34, s36, 0
	v_lshl_add_u64 v[28:29], v[28:29], 2, s[42:43]
	v_add3_u32 v27, v27, v36, v35
	v_lshl_add_u64 v[30:31], v[30:31], 2, s[42:43]
	v_lshl_add_u64 v[26:27], v[26:27], 2, s[42:43]
	global_load_dword v98, v[28:29], off
	global_load_dword v99, v[30:31], off
	;; [unrolled: 1-line block ×3, first 2 shown]
	s_load_dword s24, s[44:45], 0x0
	ds_read_b64 v[34:35], v66 offset:24576
	ds_read2st64_b64 v[30:33], v71 offset1:1
	ds_read2st64_b64 v[36:39], v71 offset0:2 offset1:3
	ds_read_b64 v[40:41], v68 offset:24576
	ds_read_b64 v[90:91], v69 offset:24576
	;; [unrolled: 1-line block ×3, first 2 shown]
	s_waitcnt lgkmcnt(0)
	v_mfma_f32_16x16x16_bf16 a[0:3], v[34:35], v[30:31], a[0:3]
	v_mov_b32_e32 v88, 0
	v_mov_b32_e32 v26, 0
	;; [unrolled: 1-line block ×3, first 2 shown]
	v_mfma_f32_16x16x16_bf16 a[0:3], v[40:41], v[32:33], a[0:3]
	v_mov_b32_e32 v28, 0
	v_mov_b32_e32 v29, 0
	;; [unrolled: 1-line block ×3, first 2 shown]
	v_mfma_f32_16x16x16_bf16 a[0:3], v[90:91], v[36:37], a[0:3]
	v_lshl_add_u64 v[36:37], v[46:47], 0, s[66:67]
	v_mov_b32_e32 v31, 0
	v_mov_b32_e32 v32, 0
	v_mfma_f32_16x16x16_bf16 a[0:3], v[92:93], v[38:39], a[0:3]
	v_mov_b32_e32 v33, 0
	v_mov_b32_e32 v34, 0
	;; [unrolled: 1-line block ×3, first 2 shown]
	s_and_b64 vcc, exec, s[0:1]
	s_waitcnt vmcnt(7)
	v_lshlrev_b32_e32 v90, 16, v89
	s_nop 0
	v_accvgpr_read_b32 v41, a1
	v_accvgpr_read_b32 v39, a3
	;; [unrolled: 1-line block ×4, first 2 shown]
	s_waitcnt vmcnt(6)
	v_lshlrev_b32_e32 v91, 16, v94
	s_waitcnt vmcnt(4)
	v_lshlrev_b32_e32 v93, 16, v96
	v_lshlrev_b32_e32 v92, 16, v95
	s_waitcnt vmcnt(3)
	v_sub_f32_e32 v89, s24, v97
	v_pk_add_f32 v[40:41], v[90:91], v[40:41] neg_lo:[0,1] neg_hi:[0,1]
	v_pk_add_f32 v[38:39], v[92:93], v[38:39] neg_lo:[0,1] neg_hi:[0,1]
	v_exp_f32_e32 v90, v89
	s_waitcnt vmcnt(2)
	v_sub_f32_e32 v89, s24, v98
	s_waitcnt vmcnt(1)
	v_sub_f32_e32 v92, s24, v99
	;; [unrolled: 2-line block ×3, first 2 shown]
	v_exp_f32_e32 v91, v89
	v_exp_f32_e32 v92, v92
	;; [unrolled: 1-line block ×3, first 2 shown]
	global_store_short_d16_hi v[36:37], v40, off
	global_store_short_d16_hi v[36:37], v41, off offset:256
	global_store_short_d16_hi v[36:37], v38, off offset:512
	;; [unrolled: 1-line block ×3, first 2 shown]
	v_pk_mul_f32 v[36:37], v[90:91], v[40:41]
	v_pk_mul_f32 v[38:39], v[92:93], v[38:39]
	v_perm_b32 v36, v37, v36, s3
	v_perm_b32 v37, v39, v38, s3
	ds_write_b64 v63, v[36:37]
	v_mov_b32_e32 v36, 0
	v_mov_b32_e32 v37, 0
	;; [unrolled: 1-line block ×6, first 2 shown]
	s_cbranch_vccnz .LBB557_14
; %bb.13:                               ;   in Loop: Header=BB557_6 Depth=1
	s_and_b32 s29, s29, 0xffff
	s_mov_b32 s31, s27
	buffer_load_dwordx4 v[38:41], v78, s[28:31], 0 offen
	buffer_load_dwordx4 v[30:33], v78, s[28:31], s58 offen
	;; [unrolled: 1-line block ×4, first 2 shown]
	v_mov_b32_e32 v87, v57
	v_mov_b32_e32 v88, v56
.LBB557_14:                             ;   in Loop: Header=BB557_6 Depth=1
	s_waitcnt lgkmcnt(0)
	s_barrier
	ds_read_b64 v[98:99], v81
	ds_read2st64_b64 v[90:93], v71 offset1:1
	ds_read2st64_b64 v[94:97], v71 offset0:2 offset1:3
	ds_read_b64 v[100:101], v82
	ds_read_b64 v[102:103], v83
	;; [unrolled: 1-line block ×3, first 2 shown]
	s_waitcnt lgkmcnt(4)
	v_mfma_f32_16x16x16_bf16 a[0:3], v[98:99], v[90:91], 0
	ds_read_b64 v[98:99], v74 offset:8192
	ds_read_b64 v[106:107], v75 offset:8192
	s_add_i32 s25, s52, s64
	s_mul_hi_i32 s29, s25, s17
	s_waitcnt lgkmcnt(1)
	v_mfma_f32_16x16x16_bf16 a[4:7], v[98:99], v[90:91], 0
	s_mul_i32 s25, s25, s17
	s_add_u32 s28, s25, s33
	s_addc_u32 s29, s29, s56
	v_mfma_f32_16x16x16_bf16 a[0:3], v[100:101], v[92:93], a[0:3]
	ds_read_b64 v[98:99], v72
	ds_read_b64 v[100:101], v73
	ds_read_b64 v[90:91], v76 offset:8192
	s_lshl_b64 s[28:29], s[28:29], 15
	v_mfma_f32_16x16x16_bf16 a[0:3], v[102:103], v[94:95], a[0:3]
	ds_read_b64 v[102:103], v77 offset:8192
	s_and_b64 vcc, exec, s[0:1]
	s_waitcnt lgkmcnt(4)
	v_mfma_f32_16x16x16_bf16 a[4:7], v[106:107], v[92:93], a[4:7]
	s_waitcnt lgkmcnt(1)
	v_mfma_f32_16x16x16_bf16 a[4:7], v[90:91], v[94:95], a[4:7]
	v_lshl_add_u64 v[90:91], v[42:43], 0, s[28:29]
	global_store_dwordx4 v[90:91], v[98:101], off
	v_mfma_f32_16x16x16_bf16 a[0:3], v[104:105], v[96:97], a[0:3]
	s_waitcnt lgkmcnt(0)
	v_mfma_f32_16x16x16_bf16 a[4:7], v[102:103], v[96:97], a[4:7]
	s_cbranch_vccnz .LBB557_16
; %bb.15:                               ;   in Loop: Header=BB557_6 Depth=1
	v_lshrrev_b32_e32 v89, 3, v87
	v_and_b32_e32 v89, 6, v89
	v_xor_b32_e32 v88, v89, v88
	v_lshlrev_b32_e32 v88, 2, v88
	v_and_b32_e32 v87, 8, v87
	v_xor_b32_e32 v90, 0x440, v88
	v_cmp_eq_u32_e32 vcc, 0, v87
	s_barrier
	s_nop 0
	v_cndmask_b32_e32 v87, v90, v88, vcc
	v_lshl_or_b32 v87, v89, 10, v87
	s_waitcnt vmcnt(2)
	v_perm_b32 v88, v38, v34, s60
	s_waitcnt vmcnt(1)
	v_perm_b32 v89, v30, v26, s60
	ds_write2st64_b32 v87, v88, v89 offset1:32
	v_xor_b32_e32 v88, 8, v87
	v_perm_b32 v34, v38, v34, s61
	v_perm_b32 v26, v30, v26, s61
	v_add_u32_e32 v30, 0x80, v88
	ds_write2st64_b32 v30, v34, v26 offset1:32
	v_xor_b32_e32 v26, 16, v87
	v_perm_b32 v30, v39, v35, s60
	v_perm_b32 v34, v31, v27, s60
	ds_write2st64_b32 v26, v30, v34 offset0:1 offset1:33
	v_xor_b32_e32 v26, 24, v87
	v_perm_b32 v30, v39, v35, s61
	v_perm_b32 v27, v31, v27, s61
	v_add_u32_e32 v26, 0x80, v26
	ds_write2st64_b32 v26, v30, v27 offset0:1 offset1:33
	v_xor_b32_e32 v26, 32, v87
	v_perm_b32 v27, v40, v36, s60
	v_perm_b32 v30, v32, v28, s60
	ds_write2st64_b32 v26, v27, v30 offset0:2 offset1:34
	v_xor_b32_e32 v26, 40, v87
	v_perm_b32 v27, v40, v36, s61
	v_perm_b32 v28, v32, v28, s61
	v_add_u32_e32 v26, 0x80, v26
	ds_write2st64_b32 v26, v27, v28 offset0:2 offset1:34
	;; [unrolled: 9-line block ×3, first 2 shown]
	ds_write_b64 v9, v[22:23] offset:16384
	v_xor_b32_e32 v22, 8, v9
	ds_write_b64 v22, v[24:25] offset:16384
	ds_write_b64 v9, v[18:19] offset:24576
	;; [unrolled: 1-line block ×4, first 2 shown]
	v_xor_b32_e32 v9, 8, v5
	ds_write_b64 v9, v[16:17] offset:16384
	ds_write_b64 v5, v[10:11] offset:24576
	;; [unrolled: 1-line block ×3, first 2 shown]
.LBB557_16:                             ;   in Loop: Header=BB557_6 Depth=1
	v_exp_f32_e32 v10, s24
	s_nop 2
	v_accvgpr_read_b32 v9, a1
	v_accvgpr_read_b32 v5, a0
	s_add_i32 s59, s59, 64
	v_fma_f32 v3, v3, v10, v9
	v_accvgpr_read_b32 v9, a4
	v_fma_f32 v6, v6, v10, v9
	v_accvgpr_read_b32 v9, a5
	;; [unrolled: 2-line block ×6, first 2 shown]
	v_fmac_f32_e32 v5, v86, v10
	s_cmp_eq_u32 s50, s39
	v_fmac_f32_e32 v9, v85, v10
	s_cbranch_scc1 .LBB557_18
; %bb.17:                               ;   in Loop: Header=BB557_6 Depth=1
	s_mov_b32 s64, s39
	v_mov_b32_e32 v86, v5
	v_mov_b32_e32 v85, v9
	s_branch .LBB557_6
.LBB557_18:
	s_lshl_b32 s44, s50, 6
	s_sub_i32 s45, s16, s44
	s_cmp_gt_i32 s45, 0
	s_waitcnt vmcnt(2)
	v_or_b32_e32 v34, s2, v52
	s_cbranch_scc1 .LBB557_20
; %bb.19:
	s_ashr_i32 s0, s33, 31
	s_add_u32 s28, s47, s33
	s_addc_u32 s29, s53, s0
	v_or_b32_e32 v10, s2, v52
	s_cbranch_execz .LBB557_21
	s_branch .LBB557_77
.LBB557_20:
                                        ; implicit-def: $sgpr28_sgpr29
                                        ; implicit-def: $vgpr10
.LBB557_21:
	s_ashr_i32 s39, s49, 31
	s_ashr_i32 s3, s44, 31
	s_cmpk_lg_i32 s19, 0x80
	s_cselect_b64 s[40:41], -1, 0
	s_and_b64 vcc, exec, s[40:41]
	s_cbranch_vccz .LBB557_23
; %bb.22:
	s_mul_i32 s1, s49, s16
	s_mul_hi_i32 s0, s49, s16
	s_add_u32 s1, s1, s44
	s_addc_u32 s0, s0, s3
	s_mul_i32 s24, s1, s51
	s_mul_hi_u32 s25, s1, s18
	s_add_i32 s24, s25, s24
	s_mul_i32 s0, s0, s18
	s_add_i32 s24, s24, s0
	s_mul_i32 s1, s1, s18
	s_ashr_i32 s0, s54, 31
	s_add_u32 s42, s1, s54
	s_addc_u32 s43, s24, s0
	s_cbranch_execz .LBB557_24
	s_branch .LBB557_25
.LBB557_23:
                                        ; implicit-def: $sgpr42_sgpr43
.LBB557_24:
	s_mul_hi_i32 s0, s49, s18
	s_mul_i32 s49, s49, s18
	s_ashr_i32 s1, s54, 31
	s_add_u32 s18, s49, s54
	s_addc_u32 s0, s0, s1
	s_mul_i32 s1, s18, s48
	s_mul_hi_u32 s24, s18, s16
	s_add_i32 s1, s24, s1
	s_mul_i32 s0, s0, s16
	s_add_i32 s1, s1, s0
	s_mul_i32 s18, s18, s16
	s_add_u32 s42, s18, s44
	s_addc_u32 s43, s1, s3
.LBB557_25:
	s_add_i32 s24, s52, s50
	s_ashr_i32 s18, s33, 31
	s_add_u32 s28, s47, s33
	s_addc_u32 s29, s53, s18
	s_mul_i32 s0, s28, s48
	s_mul_hi_u32 s1, s28, s16
	s_add_i32 s0, s1, s0
	s_mul_i32 s1, s29, s16
	s_add_i32 s1, s0, s1
	s_mul_i32 s0, s28, s16
	s_add_u32 s0, s0, s44
	s_addc_u32 s1, s1, s3
	s_mov_b32 s3, 0x7060302
	v_lshlrev_b32_e32 v14, 3, v52
	s_lshl_b64 s[30:31], s[0:1], 8
	v_perm_b32 v11, v5, v4, s3
	v_perm_b32 v10, v3, v2, s3
	;; [unrolled: 1-line block ×4, first 2 shown]
	v_lshlrev_b32_e32 v44, 2, v52
	v_lshl_or_b32 v14, v1, 5, v14
	s_add_u32 s0, s6, s30
	ds_write2st64_b64 v14, v[10:11], v[12:13] offset0:72 offset1:76
	v_xor_b32_e32 v14, v1, v44
	v_lshlrev_b32_e32 v15, 8, v52
	s_addc_u32 s1, s7, s31
	v_lshl_or_b32 v14, v14, 1, v15
	s_mul_hi_i32 s3, s24, s17
	s_mul_i32 s24, s24, s17
	ds_write_b64 v14, v[10:11] offset:32768
	v_xor_b32_e32 v10, v55, v44
	s_add_u32 s6, s24, s33
	v_lshl_or_b32 v10, v10, 1, v15
	s_addc_u32 s7, s3, s18
	v_lshlrev_b32_e32 v11, 1, v52
	ds_write_b64 v10, v[12:13] offset:32768
	v_lshrrev_b32_e32 v10, 4, v0
	s_ashr_i32 s3, s2, 31
	s_lshl_b64 s[6:7], s[6:7], 15
	v_or_b32_e32 v12, 1, v11
	s_waitcnt lgkmcnt(0)
	s_add_u32 s6, s12, s6
	v_xor_b32_e32 v11, v10, v11
	v_xor_b32_e32 v12, v12, v10
	v_lshlrev_b32_e32 v14, 8, v10
	s_addc_u32 s7, s13, s7
	s_lshl_b64 s[2:3], s[2:3], 8
	v_lshl_or_b32 v10, v11, 3, v14
	v_lshl_or_b32 v12, v12, 3, v14
	s_barrier
	s_add_u32 s2, s6, s2
	ds_read_b64 v[10:11], v10 offset:32768
	ds_read_b64 v[12:13], v12 offset:32768
	s_addc_u32 s3, s7, s3
	v_mov_b32_e32 v15, 0
	s_cmp_lg_u32 s45, 64
	v_lshl_add_u64 v[16:17], s[2:3], 0, v[14:15]
	v_lshlrev_b32_e32 v14, 4, v52
	s_cselect_b64 s[6:7], -1, 0
	v_lshl_or_b32 v35, v48, 3, v54
	s_mov_b32 s24, 0
	v_lshl_add_u64 v[14:15], v[16:17], 0, v[14:15]
	s_waitcnt vmcnt(1)
	v_or_b32_e32 v27, 32, v35
	v_and_b32_e32 v26, 56, v53
	s_and_b64 vcc, exec, s[6:7]
	s_waitcnt lgkmcnt(0)
	global_store_dwordx4 v[14:15], v[10:13], off
	s_cbranch_vccz .LBB557_31
; %bb.26:
	s_mov_b32 s25, s24
	s_mov_b32 s26, s24
	;; [unrolled: 1-line block ×3, first 2 shown]
	v_mov_b64_e32 v[14:15], s[24:25]
	v_mov_b64_e32 v[16:17], s[26:27]
	;; [unrolled: 1-line block ×3, first 2 shown]
	v_cmp_gt_i32_e32 vcc, s45, v35
	v_mov_b64_e32 v[12:13], v[16:17]
	s_and_saveexec_b64 s[2:3], vcc
	s_cbranch_execz .LBB557_28
; %bb.27:
	v_lshlrev_b32_e32 v10, 8, v35
	v_mov_b32_e32 v11, 0
	v_lshl_add_u64 v[12:13], s[0:1], 0, v[10:11]
	v_lshlrev_b32_e32 v10, 1, v26
	v_lshl_add_u64 v[18:19], v[12:13], 0, v[10:11]
	global_load_dwordx4 v[14:17], v[18:19], off
	global_load_dwordx4 v[10:13], v[18:19], off offset:128
.LBB557_28:
	s_or_b64 exec, exec, s[2:3]
	s_mov_b32 s25, s24
	s_mov_b32 s26, s24
	;; [unrolled: 1-line block ×3, first 2 shown]
	v_mov_b64_e32 v[22:23], s[24:25]
	v_mov_b64_e32 v[24:25], s[26:27]
	;; [unrolled: 1-line block ×3, first 2 shown]
	v_cmp_gt_i32_e32 vcc, s45, v27
	v_lshlrev_b32_e32 v28, 7, v27
	v_mov_b64_e32 v[20:21], v[24:25]
	s_and_saveexec_b64 s[2:3], vcc
	s_cbranch_execz .LBB557_30
; %bb.29:
	v_lshlrev_b32_e32 v18, 1, v28
	v_mov_b32_e32 v19, 0
	v_lshl_add_u64 v[20:21], s[0:1], 0, v[18:19]
	v_lshlrev_b32_e32 v18, 1, v26
	v_lshl_add_u64 v[30:31], v[20:21], 0, v[18:19]
	global_load_dwordx4 v[22:25], v[30:31], off
	global_load_dwordx4 v[18:21], v[30:31], off offset:128
.LBB557_30:
	s_or_b64 exec, exec, s[2:3]
	v_lshrrev_b32_e32 v29, 3, v26
	v_lshlrev_b32_e32 v30, 3, v35
	v_or_b32_e32 v29, v30, v29
	v_lshlrev_b32_e32 v29, 4, v29
	v_and_b32_e32 v30, 0x78, v30
	v_xor_b32_e32 v29, v29, v30
	s_branch .LBB557_33
.LBB557_31:
                                        ; implicit-def: $vgpr29
                                        ; implicit-def: $vgpr28
                                        ; implicit-def: $vgpr14_vgpr15_vgpr16_vgpr17
                                        ; implicit-def: $vgpr10_vgpr11_vgpr12_vgpr13
                                        ; implicit-def: $vgpr22_vgpr23_vgpr24_vgpr25
                                        ; implicit-def: $vgpr18_vgpr19_vgpr20_vgpr21
	s_cbranch_execz .LBB557_33
; %bb.32:
	s_waitcnt vmcnt(0)
	v_lshlrev_b32_e32 v10, 1, v26
	v_lshl_or_b32 v28, v35, 8, v10
	s_and_b32 s1, s1, 0xffff
	s_mov_b32 s3, 0x20000
	s_movk_i32 s2, 0x4000
	v_lshl_or_b32 v29, v27, 8, v10
	s_movk_i32 s12, 0x80
	buffer_load_dwordx4 v[14:17], v28, s[0:3], 0 offen
	buffer_load_dwordx4 v[10:13], v28, s[0:3], s12 offen
	;; [unrolled: 1-line block ×4, first 2 shown]
	v_lshrrev_b32_e32 v28, 3, v26
	v_lshlrev_b32_e32 v29, 3, v35
	v_or_b32_e32 v28, v29, v28
	v_lshlrev_b32_e32 v28, 4, v28
	v_and_b32_e32 v29, 0x78, v29
	v_xor_b32_e32 v29, v28, v29
	v_lshlrev_b32_e32 v28, 7, v27
.LBB557_33:
	s_lshl_b64 s[0:1], s[42:43], 8
	s_add_u32 s4, s4, s0
	s_movk_i32 s0, 0x1000
	v_and_or_b32 v27, v28, s0, v29
	s_waitcnt vmcnt(1)
	ds_write_b64 v29, v[14:15] offset:16384
	v_xor_b32_e32 v14, 8, v29
	ds_write_b64 v14, v[16:17] offset:16384
	s_waitcnt vmcnt(0)
	ds_write_b64 v29, v[10:11] offset:24576
	ds_write_b64 v14, v[12:13] offset:24576
	;; [unrolled: 1-line block ×3, first 2 shown]
	v_xor_b32_e32 v10, 8, v27
	ds_write_b64 v10, v[24:25] offset:16384
	ds_write_b64 v27, v[18:19] offset:24576
	;; [unrolled: 1-line block ×3, first 2 shown]
	v_or_b32_e32 v10, v49, v52
	s_addc_u32 s5, s5, s1
	s_add_i32 s2, s16, -1
	v_lshlrev_b32_e32 v10, 3, v10
	v_lshrrev_b32_e32 v12, 5, v50
	s_movk_i32 s16, 0xf8
	v_and_or_b32 v12, v10, s16, v12
	v_lshlrev_b32_e32 v45, 11, v48
	v_lshlrev_b32_e32 v20, 4, v12
	v_and_b32_e32 v21, 0x78, v10
	v_and_b32_e32 v22, 0x1000, v45
	v_lshlrev_b32_e32 v11, 2, v0
	v_xor_b32_e32 v10, v20, v21
	v_lshrrev_b32_e32 v12, 1, v50
	v_and_b32_e32 v11, 60, v11
	v_or_b32_e32 v10, v10, v22
	v_and_b32_e32 v23, 8, v12
	v_xor_b32_e32 v36, v10, v23
	v_lshl_or_b32 v10, v51, 6, v11
	v_lshlrev_b32_e32 v46, 1, v10
	v_or_b32_e32 v10, 32, v20
	v_xor_b32_e32 v10, v10, v21
	s_waitcnt lgkmcnt(0)
	s_barrier
	ds_read_b64 v[18:19], v36 offset:16384
	v_or_b32_e32 v10, v10, v22
	v_xor_b32_e32 v37, v10, v23
	v_or_b32_e32 v10, 64, v20
	v_xor_b32_e32 v10, v10, v21
	v_or_b32_e32 v10, v10, v22
	v_or_b32_e32 v20, 0x60, v20
	v_xor_b32_e32 v38, v10, v23
	ds_read2st64_b64 v[10:13], v46 offset0:72 offset1:73
	ds_read2st64_b64 v[14:17], v46 offset0:74 offset1:75
	v_xor_b32_e32 v24, v20, v21
	ds_read_b64 v[20:21], v37 offset:16384
	s_waitcnt lgkmcnt(2)
	v_mfma_f32_16x16x16_bf16 a[0:3], v[18:19], v[10:11], 0
	s_add_i32 s0, s46, s21
	s_mul_i32 s39, s39, s20
	s_add_i32 s39, s0, s39
	s_mul_i32 s0, s33, s23
	s_mul_hi_u32 s1, s33, s22
	s_ashr_i32 s3, s2, 31
	s_mul_i32 s12, s2, s37
	s_mul_hi_u32 s13, s2, s36
	s_add_i32 s0, s1, s0
	s_mul_i32 s1, s18, s22
	s_add_i32 s12, s13, s12
	s_mul_i32 s3, s3, s36
	v_or_b32_e32 v22, v24, v22
	s_add_i32 s1, s0, s1
	s_add_i32 s3, s12, s3
	s_lshl_b64 s[12:13], s[38:39], 2
	v_xor_b32_e32 v47, v22, v23
	ds_read_b64 v[22:23], v38 offset:16384
	ds_read_b64 v[24:25], v47 offset:16384
	s_waitcnt lgkmcnt(2)
	v_mfma_f32_16x16x16_bf16 a[0:3], v[20:21], v[12:13], a[0:3]
	s_mul_i32 s0, s33, s22
	s_add_u32 s10, s10, s12
	s_addc_u32 s11, s11, s13
	s_lshl_b64 s[0:1], s[0:1], 2
	s_mul_i32 s2, s2, s36
	s_add_u32 s10, s10, s0
	s_addc_u32 s11, s11, s1
	s_lshl_b64 s[0:1], s[2:3], 2
	s_waitcnt lgkmcnt(1)
	v_mfma_f32_16x16x16_bf16 a[0:3], v[22:23], v[14:15], a[0:3]
	s_add_u32 s0, s10, s0
	s_addc_u32 s1, s11, s1
	s_load_dword s12, s[0:1], 0x0
	s_waitcnt lgkmcnt(0)
	v_mfma_f32_16x16x16_bf16 a[0:3], v[24:25], v[16:17], a[0:3]
	s_and_b64 vcc, exec, s[40:41]
	s_cbranch_vccz .LBB557_44
; %bb.34:
	v_lshlrev_b32_e32 v27, 1, v35
	s_and_b64 vcc, exec, s[6:7]
	s_cbranch_vccz .LBB557_45
; %bb.35:
	v_cmp_gt_i32_e32 vcc, s45, v27
	v_mov_b32_e32 v14, 0
	v_mov_b32_e32 v10, 0
	;; [unrolled: 1-line block ×5, first 2 shown]
	s_and_saveexec_b64 s[0:1], vcc
	s_cbranch_execz .LBB557_37
; %bb.36:
	v_mad_i64_i32 v[10:11], s[2:3], s19, v27, 0
	v_lshl_add_u64 v[10:11], v[10:11], 1, s[4:5]
	v_lshlrev_b32_e32 v12, 1, v26
	v_mov_b32_e32 v13, 0
	v_lshl_add_u64 v[10:11], v[10:11], 0, v[12:13]
	global_load_dwordx4 v[10:13], v[10:11], off
.LBB557_37:
	s_or_b64 exec, exec, s[0:1]
	v_or_b32_e32 v28, 1, v27
	v_cmp_gt_i32_e64 s[0:1], s45, v28
	v_mov_b32_e32 v15, 0
	v_mov_b32_e32 v16, 0
	;; [unrolled: 1-line block ×3, first 2 shown]
	s_and_saveexec_b64 s[2:3], s[0:1]
	s_cbranch_execz .LBB557_39
; %bb.38:
	v_mad_i64_i32 v[14:15], s[16:17], s19, v28, 0
	v_lshl_add_u64 v[14:15], v[14:15], 1, s[4:5]
	v_lshlrev_b32_e32 v16, 1, v26
	v_mov_b32_e32 v17, 0
	v_lshl_add_u64 v[14:15], v[14:15], 0, v[16:17]
	global_load_dwordx4 v[14:17], v[14:15], off
.LBB557_39:
	s_or_b64 exec, exec, s[2:3]
	v_mov_b32_e32 v25, 0
	v_mov_b32_e32 v18, 0
	;; [unrolled: 1-line block ×5, first 2 shown]
	s_and_saveexec_b64 s[2:3], vcc
	s_cbranch_execz .LBB557_41
; %bb.40:
	v_mad_i64_i32 v[18:19], s[16:17], s19, v27, 0
	v_lshl_add_u64 v[18:19], v[18:19], 1, s[4:5]
	v_lshlrev_b32_e32 v20, 1, v26
	v_mov_b32_e32 v21, 0
	v_lshl_add_u64 v[18:19], v[18:19], 0, v[20:21]
	global_load_dwordx4 v[18:21], v[18:19], off offset:128
.LBB557_41:
	s_or_b64 exec, exec, s[2:3]
	v_mov_b32_e32 v24, 0
	v_mov_b32_e32 v23, 0
	;; [unrolled: 1-line block ×3, first 2 shown]
	s_and_saveexec_b64 s[2:3], s[0:1]
	s_cbranch_execz .LBB557_43
; %bb.42:
	v_mad_i64_i32 v[22:23], s[0:1], s19, v28, 0
	v_lshl_add_u64 v[22:23], v[22:23], 1, s[4:5]
	v_lshlrev_b32_e32 v24, 1, v26
	v_mov_b32_e32 v25, 0
	v_lshl_add_u64 v[22:23], v[22:23], 0, v[24:25]
	global_load_dwordx4 v[22:25], v[22:23], off offset:128
.LBB557_43:
	s_or_b64 exec, exec, s[2:3]
	s_branch .LBB557_47
.LBB557_44:
                                        ; implicit-def: $vgpr13
                                        ; implicit-def: $vgpr17
                                        ; implicit-def: $vgpr21
                                        ; implicit-def: $vgpr25
	v_lshrrev_b32_e32 v50, 2, v50
	s_branch .LBB557_48
.LBB557_45:
                                        ; implicit-def: $vgpr13
                                        ; implicit-def: $vgpr17
                                        ; implicit-def: $vgpr21
                                        ; implicit-def: $vgpr25
	s_cbranch_execz .LBB557_47
; %bb.46:
	s_waitcnt vmcnt(0)
	v_mad_u64_u32 v[10:11], s[0:1], v27, s19, v[26:27]
	v_lshlrev_b32_e32 v27, 1, v10
	s_lshl_b32 s2, s19, 7
	s_and_b32 s1, s5, 0xffff
	s_mov_b32 s3, 0x20000
	s_mov_b32 s0, s4
	v_add_lshl_u32 v28, v10, s19, 1
	s_movk_i32 s13, 0x80
	buffer_load_dwordx4 v[10:13], v27, s[0:3], 0 offen
	buffer_load_dwordx4 v[18:21], v27, s[0:3], s13 offen
	buffer_load_dwordx4 v[14:17], v28, s[0:3], 0 offen
	buffer_load_dwordx4 v[22:25], v28, s[0:3], s13 offen
.LBB557_47:
	v_lshrrev_b32_e32 v50, 2, v50
	s_cbranch_execnz .LBB557_60
.LBB557_48:
	s_and_b64 vcc, exec, s[6:7]
	s_cbranch_vccz .LBB557_58
; %bb.49:
	s_waitcnt vmcnt(0)
	v_lshlrev_b32_e32 v15, 1, v35
	v_cmp_gt_i32_e32 vcc, s45, v15
	v_mov_b32_e32 v14, 0
	v_lshlrev_b32_e32 v22, 9, v35
	v_mov_b32_e32 v10, 0
	v_mov_b32_e32 v11, 0
	;; [unrolled: 1-line block ×4, first 2 shown]
	s_and_saveexec_b64 s[0:1], vcc
	s_cbranch_execz .LBB557_51
; %bb.50:
	v_mov_b32_e32 v23, 0
	v_lshl_add_u64 v[10:11], s[4:5], 0, v[22:23]
	v_lshlrev_b32_e32 v12, 1, v26
	v_mov_b32_e32 v13, v23
	v_lshl_add_u64 v[10:11], v[10:11], 0, v[12:13]
	global_load_dwordx4 v[10:13], v[10:11], off
.LBB557_51:
	s_or_b64 exec, exec, s[0:1]
	v_or_b32_e32 v15, 1, v15
	v_cmp_gt_i32_e64 s[0:1], s45, v15
	v_lshlrev_b32_e32 v28, 8, v15
	v_mov_b32_e32 v15, 0
	v_mov_b32_e32 v16, 0
	;; [unrolled: 1-line block ×3, first 2 shown]
	s_and_saveexec_b64 s[2:3], s[0:1]
	s_cbranch_execz .LBB557_53
; %bb.52:
	v_mov_b32_e32 v29, 0
	v_lshl_add_u64 v[14:15], s[4:5], 0, v[28:29]
	v_lshlrev_b32_e32 v16, 1, v26
	v_mov_b32_e32 v17, v29
	v_lshl_add_u64 v[14:15], v[14:15], 0, v[16:17]
	global_load_dwordx4 v[14:17], v[14:15], off
.LBB557_53:
	s_or_b64 exec, exec, s[2:3]
	v_mov_b32_e32 v25, 0
	v_mov_b32_e32 v18, 0
	;; [unrolled: 1-line block ×5, first 2 shown]
	s_and_saveexec_b64 s[2:3], vcc
	s_cbranch_execz .LBB557_55
; %bb.54:
	v_mov_b32_e32 v23, 0
	v_lshl_add_u64 v[18:19], s[4:5], 0, v[22:23]
	v_lshlrev_b32_e32 v22, 1, v26
	v_lshl_add_u64 v[18:19], v[18:19], 0, v[22:23]
	global_load_dwordx4 v[18:21], v[18:19], off offset:128
.LBB557_55:
	s_or_b64 exec, exec, s[2:3]
	v_mov_b32_e32 v24, 0
	v_mov_b32_e32 v23, 0
	;; [unrolled: 1-line block ×3, first 2 shown]
	s_and_saveexec_b64 s[2:3], s[0:1]
	s_cbranch_execz .LBB557_57
; %bb.56:
	v_mov_b32_e32 v29, 0
	v_lshl_add_u64 v[22:23], s[4:5], 0, v[28:29]
	v_lshlrev_b32_e32 v28, 1, v26
	v_lshl_add_u64 v[22:23], v[22:23], 0, v[28:29]
	global_load_dwordx4 v[22:25], v[22:23], off offset:128
.LBB557_57:
	s_or_b64 exec, exec, s[2:3]
	s_branch .LBB557_60
.LBB557_58:
                                        ; implicit-def: $vgpr13
                                        ; implicit-def: $vgpr17
                                        ; implicit-def: $vgpr21
                                        ; implicit-def: $vgpr25
	s_cbranch_execz .LBB557_60
; %bb.59:
	s_waitcnt vmcnt(0)
	v_lshlrev_b32_e32 v10, 1, v26
	v_lshl_or_b32 v26, v35, 9, v10
	s_and_b32 s5, s5, 0xffff
	s_mov_b32 s7, 0x20000
	s_movk_i32 s6, 0x4000
	s_movk_i32 s0, 0x80
	buffer_load_dwordx4 v[10:13], v26, s[4:7], 0 offen
	buffer_load_dwordx4 v[14:17], v26, s[4:7], 0 offen offset:256
	buffer_load_dwordx4 v[18:21], v26, s[4:7], s0 offen
	buffer_load_dwordx4 v[22:25], v26, s[4:7], s0 offen offset:256
.LBB557_60:
	ds_read2st64_b64 v[30:33], v46 offset0:76 offset1:77
	ds_read2st64_b64 v[26:29], v46 offset0:78 offset1:79
	ds_read_b64 v[42:43], v36 offset:24576
	ds_read_b64 v[40:41], v37 offset:24576
	;; [unrolled: 1-line block ×4, first 2 shown]
	v_and_b32_e32 v47, 6, v0
	v_xor_b32_e32 v35, v35, v47
	v_lshlrev_b32_e32 v35, 2, v35
	v_and_b32_e32 v51, 1, v0
	v_xor_b32_e32 v52, 0x440, v35
	v_cmp_eq_u32_e32 vcc, 0, v51
	s_mov_b32 s0, 0x1000504
	s_waitcnt vmcnt(0)
	v_perm_b32 v51, v18, v22, s0
	v_cndmask_b32_e32 v35, v52, v35, vcc
	v_lshl_or_b32 v35, v47, 10, v35
	v_perm_b32 v47, v10, v14, s0
	ds_write2st64_b32 v35, v47, v51 offset1:32
	v_xor_b32_e32 v47, 8, v35
	s_mov_b32 s1, 0x3020706
	v_perm_b32 v10, v10, v14, s1
	v_perm_b32 v14, v18, v22, s1
	v_add_u32_e32 v18, 0x80, v47
	ds_write2st64_b32 v18, v10, v14 offset1:32
	v_xor_b32_e32 v10, 16, v35
	v_perm_b32 v14, v11, v15, s0
	v_perm_b32 v18, v19, v23, s0
	ds_write2st64_b32 v10, v14, v18 offset0:1 offset1:33
	v_xor_b32_e32 v10, 24, v35
	v_perm_b32 v11, v11, v15, s1
	v_perm_b32 v14, v19, v23, s1
	v_add_u32_e32 v10, 0x80, v10
	ds_write2st64_b32 v10, v11, v14 offset0:1 offset1:33
	v_xor_b32_e32 v10, 32, v35
	v_perm_b32 v11, v12, v16, s0
	v_perm_b32 v14, v20, v24, s0
	ds_write2st64_b32 v10, v11, v14 offset0:2 offset1:34
	v_xor_b32_e32 v10, 40, v35
	v_perm_b32 v11, v12, v16, s1
	v_perm_b32 v12, v20, v24, s1
	v_add_u32_e32 v10, 0x80, v10
	ds_write2st64_b32 v10, v11, v12 offset0:2 offset1:34
	v_xor_b32_e32 v10, 48, v35
	v_perm_b32 v11, v13, v17, s0
	v_perm_b32 v12, v21, v25, s0
	ds_write2st64_b32 v10, v11, v12 offset0:3 offset1:35
	v_xor_b32_e32 v10, 56, v35
	v_and_or_b32 v18, v50, 12, v49
	v_perm_b32 v11, v13, v17, s1
	v_perm_b32 v12, v21, v25, s1
	v_add_u32_e32 v10, 0x80, v10
	v_cmp_gt_i32_e64 s[2:3], s45, v18
	v_mov_b32_e32 v20, 0
	v_mov_b32_e32 v25, 0
	ds_write2st64_b32 v10, v11, v12 offset0:3 offset1:35
	s_and_saveexec_b64 s[0:1], s[2:3]
	s_cbranch_execz .LBB557_62
; %bb.61:
	v_add_u32_e32 v10, s44, v18
	v_ashrrev_i32_e32 v11, 31, v10
	v_mul_lo_u32 v12, v11, s36
	v_mul_lo_u32 v13, v10, s37
	v_mad_u64_u32 v[10:11], s[4:5], v10, s36, 0
	v_add3_u32 v11, v11, v13, v12
	v_lshl_add_u64 v[10:11], v[10:11], 2, s[10:11]
	global_load_dword v10, v[10:11], off
	s_waitcnt vmcnt(0)
	v_sub_f32_e32 v10, s12, v10
	v_exp_f32_e32 v25, v10
.LBB557_62:
	s_or_b64 exec, exec, s[0:1]
	v_or_b32_e32 v23, 1, v18
	v_cmp_gt_i32_e64 s[4:5], s45, v23
	s_and_saveexec_b64 s[0:1], s[4:5]
	s_cbranch_execz .LBB557_64
; %bb.63:
	v_add_u32_e32 v10, s44, v23
	v_ashrrev_i32_e32 v11, 31, v10
	v_mul_lo_u32 v12, v11, s36
	v_mul_lo_u32 v13, v10, s37
	v_mad_u64_u32 v[10:11], s[6:7], v10, s36, 0
	v_add3_u32 v11, v11, v13, v12
	v_lshl_add_u64 v[10:11], v[10:11], 2, s[10:11]
	global_load_dword v10, v[10:11], off
	s_waitcnt vmcnt(0)
	v_sub_f32_e32 v10, s12, v10
	v_exp_f32_e32 v20, v10
.LBB557_64:
	s_or_b64 exec, exec, s[0:1]
	v_or_b32_e32 v22, 2, v18
	v_cmp_gt_i32_e64 s[0:1], s45, v22
	v_mov_b32_e32 v19, 0
	v_mov_b32_e32 v24, 0
	s_and_saveexec_b64 s[6:7], s[0:1]
	s_cbranch_execz .LBB557_66
; %bb.65:
	v_add_u32_e32 v10, s44, v22
	v_ashrrev_i32_e32 v11, 31, v10
	v_mul_lo_u32 v12, v11, s36
	v_mul_lo_u32 v13, v10, s37
	v_mad_u64_u32 v[10:11], s[16:17], v10, s36, 0
	v_add3_u32 v11, v11, v13, v12
	v_lshl_add_u64 v[10:11], v[10:11], 2, s[10:11]
	global_load_dword v10, v[10:11], off
	s_waitcnt vmcnt(0)
	v_sub_f32_e32 v10, s12, v10
	v_exp_f32_e32 v24, v10
.LBB557_66:
	s_or_b64 exec, exec, s[6:7]
	v_or_b32_e32 v21, 3, v18
	v_cmp_gt_i32_e32 vcc, s45, v21
	s_and_saveexec_b64 s[6:7], vcc
	s_cbranch_execz .LBB557_68
; %bb.67:
	v_add_u32_e32 v10, s44, v21
	v_ashrrev_i32_e32 v11, 31, v10
	v_mul_lo_u32 v12, v11, s36
	v_mul_lo_u32 v13, v10, s37
	v_mad_u64_u32 v[10:11], s[16:17], v10, s36, 0
	v_add3_u32 v11, v11, v13, v12
	v_lshl_add_u64 v[10:11], v[10:11], 2, s[10:11]
	global_load_dword v10, v[10:11], off
	s_waitcnt vmcnt(0)
	v_sub_f32_e32 v10, s12, v10
	v_exp_f32_e32 v19, v10
.LBB557_68:
	s_or_b64 exec, exec, s[6:7]
	s_waitcnt lgkmcnt(11)
	v_mfma_f32_16x16x16_bf16 a[0:3], v[42:43], v[30:31], a[0:3]
	s_add_u32 s6, s8, s30
	v_ashrrev_i32_e32 v35, 31, v34
	s_addc_u32 s7, s9, s31
	s_waitcnt lgkmcnt(10)
	v_mfma_f32_16x16x16_bf16 a[0:3], v[40:41], v[32:33], a[0:3]
	v_lshlrev_b64 v[10:11], 1, v[34:35]
	v_lshl_add_u64 v[14:15], s[6:7], 0, v[10:11]
	s_add_u32 s6, s14, s30
	s_waitcnt lgkmcnt(9)
	v_mfma_f32_16x16x16_bf16 a[0:3], v[38:39], v[26:27], a[0:3]
	s_addc_u32 s7, s15, s31
	v_lshl_add_u64 v[16:17], s[6:7], 0, v[10:11]
	v_mov_b32_e32 v26, 0
	s_waitcnt lgkmcnt(8)
	v_mfma_f32_16x16x16_bf16 a[0:3], v[36:37], v[28:29], a[0:3]
	v_mov_b32_e32 v27, 0
	s_nop 5
	v_accvgpr_read_b32 v13, a3
	v_accvgpr_read_b32 v12, a2
	;; [unrolled: 1-line block ×4, first 2 shown]
	s_and_saveexec_b64 s[6:7], s[2:3]
	s_cbranch_execz .LBB557_70
; %bb.69:
	v_lshlrev_b32_e32 v28, 8, v18
	v_mov_b32_e32 v29, 0
	v_lshl_add_u64 v[30:31], v[14:15], 0, v[28:29]
	global_load_ushort v27, v[30:31], off
	v_lshl_add_u64 v[28:29], v[16:17], 0, v[28:29]
	s_waitcnt vmcnt(0)
	v_lshlrev_b32_e32 v27, 16, v27
	v_sub_f32_e32 v10, v27, v10
	global_store_short_d16_hi v[28:29], v10, off
	v_mul_f32_e32 v10, v25, v10
	v_lshrrev_b32_e32 v27, 16, v10
.LBB557_70:
	s_or_b64 exec, exec, s[6:7]
	s_and_saveexec_b64 s[2:3], s[4:5]
	s_cbranch_execz .LBB557_72
; %bb.71:
	v_lshlrev_b32_e32 v28, 8, v23
	v_mov_b32_e32 v29, 0
	v_lshl_add_u64 v[30:31], v[14:15], 0, v[28:29]
	global_load_ushort v10, v[30:31], off
	v_lshl_add_u64 v[28:29], v[16:17], 0, v[28:29]
	s_waitcnt vmcnt(0)
	v_lshlrev_b32_e32 v10, 16, v10
	v_sub_f32_e32 v10, v10, v11
	global_store_short_d16_hi v[28:29], v10, off
	v_mul_f32_e32 v10, v20, v10
	v_lshrrev_b32_e32 v26, 16, v10
.LBB557_72:
	s_or_b64 exec, exec, s[2:3]
	v_mov_b32_e32 v11, 0
	v_mov_b32_e32 v20, 0
	s_and_saveexec_b64 s[2:3], s[0:1]
	s_cbranch_execz .LBB557_74
; %bb.73:
	v_lshlrev_b32_e32 v22, 8, v22
	v_mov_b32_e32 v23, 0
	v_lshl_add_u64 v[28:29], v[14:15], 0, v[22:23]
	global_load_ushort v10, v[28:29], off
	v_lshl_add_u64 v[22:23], v[16:17], 0, v[22:23]
	s_waitcnt vmcnt(0)
	v_lshlrev_b32_e32 v10, 16, v10
	v_sub_f32_e32 v10, v10, v12
	global_store_short_d16_hi v[22:23], v10, off
	v_mul_f32_e32 v10, v24, v10
	v_lshrrev_b32_e32 v20, 16, v10
.LBB557_74:
	s_or_b64 exec, exec, s[2:3]
	v_or_b32_e32 v10, 0x9800, v46
	s_and_saveexec_b64 s[0:1], vcc
	s_cbranch_execz .LBB557_76
; %bb.75:
	v_lshlrev_b32_e32 v22, 8, v21
	v_mov_b32_e32 v23, 0
	v_lshl_add_u64 v[14:15], v[14:15], 0, v[22:23]
	global_load_ushort v11, v[14:15], off
	v_lshl_add_u64 v[14:15], v[16:17], 0, v[22:23]
	s_waitcnt vmcnt(0)
	v_lshlrev_b32_e32 v11, 16, v11
	v_sub_f32_e32 v11, v11, v13
	global_store_short_d16_hi v[14:15], v11, off
	v_mul_f32_e32 v11, v19, v11
	v_lshrrev_b32_e32 v11, 16, v11
.LBB557_76:
	s_or_b64 exec, exec, s[0:1]
	s_mov_b32 s0, 0x5040100
	v_perm_b32 v13, v11, v20, s0
	v_lshlrev_b32_e32 v11, 1, v44
	v_perm_b32 v12, v26, v27, s0
	v_lshl_or_b32 v11, v18, 5, v11
	s_movk_i32 s0, 0xff
	ds_write_b64 v11, v[12:13] offset:38912
	v_and_b32_e32 v11, 7, v0
	v_and_b32_e32 v12, 8, v0
	v_cmp_lt_u32_e32 vcc, s0, v0
	v_lshrrev_b32_e32 v0, 1, v0
	v_lshlrev_b32_e32 v22, 3, v11
	v_lshlrev_b32_e32 v23, 7, v11
	v_cndmask_b32_e64 v11, 0, 1, vcc
	v_lshlrev_b32_e32 v25, 3, v48
	v_and_b32_e32 v0, 24, v0
	v_lshlrev_b32_e32 v24, 13, v11
	v_xor_b32_e32 v11, v25, v0
	v_or_b32_e32 v13, 0x440, v11
	v_cmp_eq_u32_e32 vcc, 0, v12
	s_waitcnt lgkmcnt(0)
	s_barrier
	v_cndmask_b32_e32 v11, v13, v11, vcc
	v_or_b32_e32 v11, v11, v45
	v_xad_u32 v26, v11, v22, v23
	v_add_u32_e32 v11, v24, v26
	ds_read_b64 v[20:21], v11
	ds_read2st64_b64 v[12:15], v10 offset1:1
	ds_read2st64_b64 v[16:19], v10 offset0:2 offset1:3
	v_or_b32_e32 v10, 32, v0
	v_xor_b32_e32 v10, v25, v10
	v_or_b32_e32 v11, 0x440, v10
	v_cndmask_b32_e32 v10, v11, v10, vcc
	v_or_b32_e32 v10, v10, v45
	v_xad_u32 v27, v10, v22, v23
	v_add_u32_e32 v10, v24, v27
	ds_read_b64 v[10:11], v10
	s_waitcnt lgkmcnt(2)
	v_mfma_f32_16x16x16_bf16 a[0:3], v[20:21], v[12:13], 0
	s_waitcnt lgkmcnt(0)
	v_mfma_f32_16x16x16_bf16 a[0:3], v[10:11], v[14:15], a[0:3]
	v_or_b32_e32 v10, 64, v0
	v_xor_b32_e32 v10, v25, v10
	v_xor_b32_e32 v11, 0x440, v10
	v_cndmask_b32_e32 v10, v11, v10, vcc
	v_or_b32_e32 v10, v10, v45
	v_or_b32_e32 v0, 0x60, v0
	v_xad_u32 v28, v10, v22, v23
	v_xor_b32_e32 v0, v25, v0
	v_add_u32_e32 v10, v24, v28
	v_xor_b32_e32 v20, 0x440, v0
	ds_read_b64 v[10:11], v10
	v_cndmask_b32_e32 v0, v20, v0, vcc
	v_or_b32_e32 v0, v0, v45
	v_xad_u32 v0, v0, v22, v23
	v_add_u32_e32 v20, v24, v0
	ds_read_b64 v[20:21], v20
	s_waitcnt lgkmcnt(1)
	v_mfma_f32_16x16x16_bf16 a[0:3], v[10:11], v[16:17], a[0:3]
	ds_read_b64 v[10:11], v26 offset:8192
	ds_read_b64 v[22:23], v28 offset:8192
	v_exp_f32_e32 v24, s12
	s_waitcnt lgkmcnt(2)
	v_mfma_f32_16x16x16_bf16 a[0:3], v[20:21], v[18:19], a[0:3]
	ds_read_b64 v[20:21], v27 offset:8192
	s_waitcnt lgkmcnt(2)
	v_mfma_f32_16x16x16_bf16 a[4:7], v[10:11], v[12:13], 0
	s_nop 3
	v_accvgpr_read_b32 v10, a0
	v_fma_f32 v12, v2, v24, v10
	ds_read_b64 v[10:11], v0 offset:8192
	s_waitcnt lgkmcnt(1)
	v_mfma_f32_16x16x16_bf16 a[4:7], v[20:21], v[14:15], a[4:7]
	v_accvgpr_read_b32 v0, a1
	v_fma_f32 v13, v3, v24, v0
	v_accvgpr_read_b32 v0, a2
	v_mfma_f32_16x16x16_bf16 a[4:7], v[22:23], v[16:17], a[4:7]
	v_accvgpr_read_b32 v15, a3
	v_fma_f32 v14, v4, v24, v0
	v_fmac_f32_e32 v15, v5, v24
	s_waitcnt lgkmcnt(0)
	v_mfma_f32_16x16x16_bf16 a[0:3], v[10:11], v[18:19], a[4:7]
	v_mov_b32_e32 v10, v34
	s_nop 5
	v_accvgpr_read_b32 v0, a0
	v_fma_f32 v16, v6, v24, v0
	v_accvgpr_read_b32 v0, a1
	v_fma_f32 v17, v7, v24, v0
	v_accvgpr_read_b32 v0, a2
	v_accvgpr_read_b32 v19, a3
	v_fma_f32 v18, v8, v24, v0
	v_fmac_f32_e32 v19, v9, v24
	v_mov_b64_e32 v[2:3], v[12:13]
	v_mov_b64_e32 v[4:5], v[14:15]
	;; [unrolled: 1-line block ×4, first 2 shown]
.LBB557_77:
	s_lshl_b64 s[0:1], s[28:29], 15
	s_waitcnt lgkmcnt(0)
	s_add_u32 s0, s34, s0
	v_lshlrev_b32_e32 v10, 7, v10
	s_addc_u32 s1, s35, s1
	v_ashrrev_i32_e32 v11, 31, v10
	v_lshl_add_u64 v[10:11], v[10:11], 1, s[0:1]
	v_lshlrev_b32_e32 v0, 1, v1
	v_mov_b32_e32 v1, 0
	s_mov_b32 s0, 0x7060302
	v_lshl_add_u64 v[0:1], v[10:11], 0, v[0:1]
	v_perm_b32 v5, v5, v4, s0
	v_perm_b32 v4, v3, v2, s0
	;; [unrolled: 1-line block ×4, first 2 shown]
	global_store_dwordx2 v[0:1], v[4:5], off
	global_store_dwordx2 v[0:1], v[2:3], off offset:128
	s_endpgm
	.section	.rodata,"a",@progbits
	.p2align	6, 0x0
	.amdhsa_kernel _ZN12_GLOBAL__N_139chunk_gated_delta_rule_fwd_h_hip_kernelILi16ELb0ELb1ELb1ELb0ELb1ELb0ELb1ELb1EEEvPK12hip_bfloat16S3_S3_PKfS5_PKvPS1_S8_PvPKiSB_iiiiilll
		.amdhsa_group_segment_fixed_size 40960
		.amdhsa_private_segment_fixed_size 0
		.amdhsa_kernarg_size 136
		.amdhsa_user_sgpr_count 2
		.amdhsa_user_sgpr_dispatch_ptr 0
		.amdhsa_user_sgpr_queue_ptr 0
		.amdhsa_user_sgpr_kernarg_segment_ptr 1
		.amdhsa_user_sgpr_dispatch_id 0
		.amdhsa_user_sgpr_kernarg_preload_length 0
		.amdhsa_user_sgpr_kernarg_preload_offset 0
		.amdhsa_user_sgpr_private_segment_size 0
		.amdhsa_uses_dynamic_stack 0
		.amdhsa_enable_private_segment 0
		.amdhsa_system_sgpr_workgroup_id_x 1
		.amdhsa_system_sgpr_workgroup_id_y 1
		.amdhsa_system_sgpr_workgroup_id_z 0
		.amdhsa_system_sgpr_workgroup_info 0
		.amdhsa_system_vgpr_workitem_id 0
		.amdhsa_next_free_vgpr 116
		.amdhsa_next_free_sgpr 68
		.amdhsa_accum_offset 108
		.amdhsa_reserve_vcc 1
		.amdhsa_float_round_mode_32 0
		.amdhsa_float_round_mode_16_64 0
		.amdhsa_float_denorm_mode_32 3
		.amdhsa_float_denorm_mode_16_64 3
		.amdhsa_dx10_clamp 1
		.amdhsa_ieee_mode 1
		.amdhsa_fp16_overflow 0
		.amdhsa_tg_split 0
		.amdhsa_exception_fp_ieee_invalid_op 0
		.amdhsa_exception_fp_denorm_src 0
		.amdhsa_exception_fp_ieee_div_zero 0
		.amdhsa_exception_fp_ieee_overflow 0
		.amdhsa_exception_fp_ieee_underflow 0
		.amdhsa_exception_fp_ieee_inexact 0
		.amdhsa_exception_int_div_zero 0
	.end_amdhsa_kernel
	.section	.text._ZN12_GLOBAL__N_139chunk_gated_delta_rule_fwd_h_hip_kernelILi16ELb0ELb1ELb1ELb0ELb1ELb0ELb1ELb1EEEvPK12hip_bfloat16S3_S3_PKfS5_PKvPS1_S8_PvPKiSB_iiiiilll,"axG",@progbits,_ZN12_GLOBAL__N_139chunk_gated_delta_rule_fwd_h_hip_kernelILi16ELb0ELb1ELb1ELb0ELb1ELb0ELb1ELb1EEEvPK12hip_bfloat16S3_S3_PKfS5_PKvPS1_S8_PvPKiSB_iiiiilll,comdat
.Lfunc_end557:
	.size	_ZN12_GLOBAL__N_139chunk_gated_delta_rule_fwd_h_hip_kernelILi16ELb0ELb1ELb1ELb0ELb1ELb0ELb1ELb1EEEvPK12hip_bfloat16S3_S3_PKfS5_PKvPS1_S8_PvPKiSB_iiiiilll, .Lfunc_end557-_ZN12_GLOBAL__N_139chunk_gated_delta_rule_fwd_h_hip_kernelILi16ELb0ELb1ELb1ELb0ELb1ELb0ELb1ELb1EEEvPK12hip_bfloat16S3_S3_PKfS5_PKvPS1_S8_PvPKiSB_iiiiilll
                                        ; -- End function
	.section	.AMDGPU.csdata,"",@progbits
; Kernel info:
; codeLenInByte = 7964
; NumSgprs: 74
; NumVgprs: 108
; NumAgprs: 8
; TotalNumVgprs: 116
; ScratchSize: 0
; MemoryBound: 0
; FloatMode: 240
; IeeeMode: 1
; LDSByteSize: 40960 bytes/workgroup (compile time only)
; SGPRBlocks: 9
; VGPRBlocks: 14
; NumSGPRsForWavesPerEU: 74
; NumVGPRsForWavesPerEU: 116
; AccumOffset: 108
; Occupancy: 1
; WaveLimiterHint : 1
; COMPUTE_PGM_RSRC2:SCRATCH_EN: 0
; COMPUTE_PGM_RSRC2:USER_SGPR: 2
; COMPUTE_PGM_RSRC2:TRAP_HANDLER: 0
; COMPUTE_PGM_RSRC2:TGID_X_EN: 1
; COMPUTE_PGM_RSRC2:TGID_Y_EN: 1
; COMPUTE_PGM_RSRC2:TGID_Z_EN: 0
; COMPUTE_PGM_RSRC2:TIDIG_COMP_CNT: 0
; COMPUTE_PGM_RSRC3_GFX90A:ACCUM_OFFSET: 26
; COMPUTE_PGM_RSRC3_GFX90A:TG_SPLIT: 0
	.section	.text._ZN12_GLOBAL__N_139chunk_gated_delta_rule_fwd_h_hip_kernelILi16ELb0ELb1ELb0ELb0ELb1ELb0ELb1ELb1EEEvPK12hip_bfloat16S3_S3_PKfS5_PKvPS1_S8_PvPKiSB_iiiiilll,"axG",@progbits,_ZN12_GLOBAL__N_139chunk_gated_delta_rule_fwd_h_hip_kernelILi16ELb0ELb1ELb0ELb0ELb1ELb0ELb1ELb1EEEvPK12hip_bfloat16S3_S3_PKfS5_PKvPS1_S8_PvPKiSB_iiiiilll,comdat
	.globl	_ZN12_GLOBAL__N_139chunk_gated_delta_rule_fwd_h_hip_kernelILi16ELb0ELb1ELb0ELb0ELb1ELb0ELb1ELb1EEEvPK12hip_bfloat16S3_S3_PKfS5_PKvPS1_S8_PvPKiSB_iiiiilll ; -- Begin function _ZN12_GLOBAL__N_139chunk_gated_delta_rule_fwd_h_hip_kernelILi16ELb0ELb1ELb0ELb0ELb1ELb0ELb1ELb1EEEvPK12hip_bfloat16S3_S3_PKfS5_PKvPS1_S8_PvPKiSB_iiiiilll
	.p2align	8
	.type	_ZN12_GLOBAL__N_139chunk_gated_delta_rule_fwd_h_hip_kernelILi16ELb0ELb1ELb0ELb0ELb1ELb0ELb1ELb1EEEvPK12hip_bfloat16S3_S3_PKfS5_PKvPS1_S8_PvPKiSB_iiiiilll,@function
_ZN12_GLOBAL__N_139chunk_gated_delta_rule_fwd_h_hip_kernelILi16ELb0ELb1ELb0ELb0ELb1ELb0ELb1ELb1EEEvPK12hip_bfloat16S3_S3_PKfS5_PKvPS1_S8_PvPKiSB_iiiiilll: ; @_ZN12_GLOBAL__N_139chunk_gated_delta_rule_fwd_h_hip_kernelILi16ELb0ELb1ELb0ELb0ELb1ELb0ELb1ELb1EEEvPK12hip_bfloat16S3_S3_PKfS5_PKvPS1_S8_PvPKiSB_iiiiilll
; %bb.0:
	s_load_dwordx4 s[12:15], s[0:1], 0x5c
	s_load_dwordx4 s[16:19], s[0:1], 0x70
	s_abs_i32 s22, s3
	s_ashr_i32 s21, s3, 31
	s_load_dwordx8 s[4:11], s[0:1], 0x0
	s_waitcnt lgkmcnt(0)
	s_abs_i32 s20, s13
	v_cvt_f32_u32_e32 v1, s20
	s_sub_i32 s24, 0, s20
	s_ashr_i32 s23, s13, 31
	s_xor_b32 s21, s21, s23
	v_rcp_iflag_f32_e32 v1, v1
	s_load_dwordx2 s[28:29], s[0:1], 0x40
	s_load_dwordx2 s[36:37], s[0:1], 0x30
	;; [unrolled: 1-line block ×3, first 2 shown]
	v_lshrrev_b32_e32 v46, 6, v0
	v_bfe_u32 v49, v0, 4, 2
	v_mul_f32_e32 v1, 0x4f7ffffe, v1
	v_cvt_u32_f32_e32 v1, v1
	v_lshlrev_b32_e32 v47, 4, v46
	v_lshlrev_b32_e32 v10, 2, v49
	v_and_b32_e32 v48, 63, v0
	v_readfirstlane_b32 s25, v1
	s_mul_i32 s24, s24, s25
	s_mul_hi_u32 s24, s25, s24
	s_add_i32 s25, s25, s24
	s_mul_hi_u32 s24, s22, s25
	s_mul_i32 s25, s24, s20
	s_sub_i32 s22, s22, s25
	s_add_i32 s26, s24, 1
	s_sub_i32 s25, s22, s20
	s_cmp_ge_u32 s22, s20
	s_cselect_b32 s24, s26, s24
	s_cselect_b32 s22, s25, s22
	s_add_i32 s25, s24, 1
	s_cmp_ge_u32 s22, s20
	s_cselect_b32 s22, s25, s24
	s_xor_b32 s22, s22, s21
	s_sub_i32 s47, s22, s21
	s_abs_i32 s21, s14
	v_cvt_f32_u32_e32 v1, s21
	s_add_i32 s24, s12, 63
	s_mul_i32 s45, s47, s13
	s_sub_i32 s33, s3, s45
	v_rcp_iflag_f32_e32 v1, v1
	s_ashr_i32 s3, s24, 31
	s_ashr_i32 s46, s12, 31
	s_lshr_b32 s3, s3, 26
	v_mul_f32_e32 v1, 0x4f7ffffe, v1
	v_cvt_u32_f32_e32 v1, v1
	s_lshr_b32 s22, s46, 26
	s_add_i32 s24, s24, s3
	s_add_i32 s22, s12, s22
	s_ashr_i32 s49, s14, 31
	s_ashr_i32 s3, s24, 6
	;; [unrolled: 1-line block ×3, first 2 shown]
	s_xor_b32 s22, s23, s49
	s_sub_i32 s23, 0, s21
	v_readfirstlane_b32 s24, v1
	s_mul_i32 s23, s23, s24
	s_mul_hi_u32 s23, s24, s23
	s_add_i32 s24, s24, s23
	s_mul_hi_u32 s23, s20, s24
	s_mul_i32 s24, s23, s21
	s_sub_i32 s20, s20, s24
	s_add_i32 s24, s23, 1
	s_sub_i32 s25, s20, s21
	s_cmp_ge_u32 s20, s21
	s_cselect_b32 s23, s24, s23
	s_cselect_b32 s20, s25, s20
	s_add_i32 s24, s23, 1
	s_cmp_ge_u32 s20, s21
	s_cselect_b32 s20, s24, s23
	s_xor_b32 s20, s20, s22
	s_sub_i32 s20, s20, s22
	s_abs_i32 s21, s20
	v_cvt_f32_u32_e32 v1, s21
	s_xor_b32 s0, s33, s20
	s_sub_i32 s20, 0, s21
	s_abs_i32 s1, s33
	v_rcp_iflag_f32_e32 v1, v1
	s_ashr_i32 s0, s0, 31
	v_mov_b32_e32 v9, 0
	s_mul_i32 s50, s47, s3
	v_mul_f32_e32 v1, 0x4f7ffffe, v1
	v_cvt_u32_f32_e32 v1, v1
	v_and_b32_e32 v50, 15, v0
	s_mul_hi_i32 s51, s47, s13
	v_lshrrev_b32_e32 v52, 3, v48
	v_readfirstlane_b32 s22, v1
	s_mul_i32 s20, s20, s22
	s_mul_hi_u32 s20, s22, s20
	s_add_i32 s22, s22, s20
	s_mul_hi_u32 s20, s1, s22
	s_mul_i32 s22, s20, s21
	s_sub_i32 s1, s1, s22
	s_add_i32 s22, s20, 1
	s_sub_i32 s23, s1, s21
	s_cmp_ge_u32 s1, s21
	s_cselect_b32 s20, s22, s20
	s_cselect_b32 s1, s23, s1
	s_add_i32 s22, s20, 1
	s_cmp_ge_u32 s1, s21
	s_cselect_b32 s1, s22, s20
	s_xor_b32 s1, s1, s0
	s_sub_i32 s52, s1, s0
	v_or_b32_e32 v1, v10, v47
	s_lshl_b32 s2, s2, 4
	v_or_b32_e32 v53, 64, v1
	s_cmp_lt_i32 s12, 64
	v_lshlrev_b32_e32 v51, 3, v0
	s_mul_i32 s17, s47, s17
	s_mul_hi_u32 s44, s47, s16
	s_mul_i32 s34, s47, s16
	v_mov_b32_e32 v8, v9
	v_mov_b32_e32 v7, v9
	;; [unrolled: 1-line block ×7, first 2 shown]
	s_cbranch_scc1 .LBB558_18
; %bb.1:
	s_ashr_i32 s3, s47, 31
	s_ashr_i32 s54, s33, 31
	s_add_u32 s0, s45, s33
	s_addc_u32 s1, s51, s54
	s_mul_i32 s1, s12, s1
	s_mul_hi_u32 s20, s12, s0
	s_add_i32 s39, s20, s1
	s_mul_i32 s38, s12, s0
	s_lshl_b64 s[0:1], s[38:39], 8
	v_and_b32_e32 v55, 56, v51
	s_add_u32 s20, s6, s0
	v_lshl_or_b32 v54, v46, 3, v52
	v_lshlrev_b32_e32 v3, 1, v55
	s_addc_u32 s0, s7, s1
	v_lshl_or_b32 v56, v54, 8, v3
	s_and_b32 s21, s0, 0xffff
	s_mov_b32 s23, 0x20000
	s_movk_i32 s22, 0x4000
	s_movk_i32 s0, 0x80
	v_or_b32_e32 v57, 0x2000, v56
	buffer_load_dwordx4 v[4:7], v56, s[20:23], 0 offen
	buffer_load_dwordx4 v[12:15], v56, s[20:23], s0 offen
	;; [unrolled: 1-line block ×4, first 2 shown]
	v_lshlrev_b32_e32 v2, 3, v54
	v_and_or_b32 v9, v0, 7, v2
	v_and_b32_e32 v2, 0x78, v2
	v_lshlrev_b32_e32 v9, 4, v9
	v_xor_b32_e32 v58, v9, v2
	v_mul_lo_u32 v8, v54, s15
	v_or_b32_e32 v59, 0x1000, v58
	v_xor_b32_e32 v2, 8, v58
	s_cmpk_eq_i32 s15, 0x80
	s_mov_b32 s53, s14
	v_xor_b32_e32 v9, 8, v59
	s_cselect_b64 s[0:1], -1, 0
	s_cmpk_lg_i32 s15, 0x80
	s_waitcnt vmcnt(3)
	ds_write_b64 v58, v[4:5] offset:16384
	ds_write_b64 v2, v[6:7] offset:16384
	s_waitcnt vmcnt(2)
	ds_write_b64 v58, v[12:13] offset:24576
	ds_write_b64 v2, v[14:15] offset:24576
	;; [unrolled: 3-line block ×4, first 2 shown]
	v_lshl_add_u32 v2, v8, 1, v55
	s_cbranch_scc0 .LBB558_3
; %bb.2:
	v_lshlrev_b32_e32 v6, 1, v2
	v_add_lshl_u32 v5, v2, s15, 1
	s_lshl_b32 s22, s15, 7
	v_lshl_or_b32 v4, v54, 9, v3
	s_cbranch_execz .LBB558_4
	s_branch .LBB558_5
.LBB558_3:
                                        ; implicit-def: $vgpr5
                                        ; implicit-def: $vgpr6
                                        ; implicit-def: $sgpr22
	v_lshl_or_b32 v4, v54, 9, v3
.LBB558_4:
	v_or_b32_e32 v5, 0x100, v4
	s_movk_i32 s22, 0x4000
	v_mov_b32_e32 v6, v4
.LBB558_5:
	s_mul_hi_u32 s20, s14, s12
	s_mul_i32 s21, s49, s12
	s_add_i32 s20, s20, s21
	s_mul_i32 s21, s14, s12
	s_mul_i32 s23, s21, s3
	s_mul_hi_u32 s24, s21, s47
	s_add_i32 s23, s24, s23
	s_mul_i32 s20, s20, s47
	s_add_i32 s23, s23, s20
	s_mul_i32 s21, s21, s47
	s_ashr_i32 s55, s52, 31
	s_add_u32 s20, s21, s52
	s_addc_u32 s21, s23, s55
	s_lshl_b64 s[20:21], s[20:21], 8
	s_add_u32 s20, s4, s20
	s_addc_u32 s21, s5, s21
	s_and_b32 s21, s21, 0xffff
	s_mov_b32 s23, 0x20000
	s_movk_i32 s56, 0x80
	buffer_load_dwordx4 v[12:15], v6, s[20:23], 0 offen
	buffer_load_dwordx4 v[16:19], v6, s[20:23], s56 offen
	;; [unrolled: 1-line block ×4, first 2 shown]
	v_and_b32_e32 v3, 6, v0
	s_mul_i32 s20, s3, s12
	s_mul_hi_u32 s21, s47, s12
	v_lshlrev_b32_e32 v6, 2, v50
	v_lshlrev_b32_e32 v7, 3, v50
	v_xor_b32_e32 v9, v54, v3
	v_and_b32_e32 v5, 1, v0
	s_mul_i32 s3, s3, s16
	v_lshl_or_b32 v7, v1, 5, v7
	v_xor_b32_e32 v11, v1, v6
	v_lshlrev_b32_e32 v9, 2, v9
	s_add_i32 s61, s21, s20
	s_add_i32 s20, s44, s17
	v_or_b32_e32 v60, 0x9000, v7
	v_or_b32_e32 v61, 0x9800, v7
	v_lshlrev_b32_e32 v7, 1, v11
	v_xor_b32_e32 v11, 0x440, v9
	v_cmp_eq_u32_e32 vcc, 0, v5
	s_add_i32 s35, s20, s3
	s_mul_i32 s3, s33, s19
	s_mul_hi_u32 s20, s33, s18
	v_cndmask_b32_e32 v5, v11, v9, vcc
	s_add_i32 s3, s20, s3
	s_mul_i32 s20, s54, s18
	s_mov_b32 s58, 0x1000504
	v_lshlrev_b32_e32 v8, 8, v50
	s_mov_b32 s22, 0x8000
	v_xor_b32_e32 v6, v53, v6
	v_lshl_or_b32 v3, v3, 10, v5
	s_add_i32 s21, s3, s20
	s_lshl_b64 s[24:25], s[34:35], 2
	s_mov_b32 s59, 0x3020706
	v_lshlrev_b32_e32 v6, 1, v6
	v_or3_b32 v62, v7, v8, s22
	v_xor_b32_e32 v5, 8, v3
	v_xor_b32_e32 v7, 24, v3
	;; [unrolled: 1-line block ×4, first 2 shown]
	s_mul_i32 s20, s33, s18
	s_add_u32 s3, s10, s24
	v_or3_b32 v63, v6, v8, s22
	v_xor_b32_e32 v6, 16, v3
	v_xor_b32_e32 v8, 32, v3
	;; [unrolled: 1-line block ×3, first 2 shown]
	v_add_u32_e32 v5, 0x80, v5
	v_add_u32_e32 v7, 0x80, v7
	;; [unrolled: 1-line block ×4, first 2 shown]
	s_addc_u32 s24, s11, s25
	s_lshl_b64 s[20:21], s[20:21], 2
	s_add_u32 s40, s3, s20
	s_movk_i32 s3, 0xf8
	s_addc_u32 s41, s24, s21
	s_lshl_b32 s26, s15, 7
	s_mov_b32 s57, 0
	s_mul_i32 s60, s47, s12
	v_add_u32_e32 v78, v47, v10
	s_mov_b32 s62, 0
	s_waitcnt vmcnt(1)
	v_perm_b32 v29, v12, v20, s58
	s_waitcnt vmcnt(0)
	v_perm_b32 v30, v16, v24, s58
	v_perm_b32 v12, v12, v20, s59
	;; [unrolled: 1-line block ×15, first 2 shown]
	ds_write2st64_b32 v3, v29, v30 offset1:32
	ds_write2st64_b32 v5, v12, v16 offset1:32
	ds_write2st64_b32 v6, v20, v24 offset0:1 offset1:33
	ds_write2st64_b32 v7, v13, v17 offset0:1 offset1:33
	;; [unrolled: 1-line block ×6, first 2 shown]
	v_or_b32_e32 v3, v47, v50
	v_lshlrev_b32_e32 v3, 3, v3
	v_lshrrev_b32_e32 v7, 5, v48
	v_and_or_b32 v7, v3, s3, v7
	v_lshlrev_b32_e32 v7, 4, v7
	v_lshlrev_b32_e32 v5, 11, v46
	v_and_b32_e32 v3, 0x78, v3
	v_or_b32_e32 v12, 32, v7
	v_and_b32_e32 v6, 0x1000, v5
	v_lshrrev_b32_e32 v11, 1, v0
	v_xor_b32_e32 v12, v12, v3
	v_and_b32_e32 v9, 8, v11
	v_or_b32_e32 v12, v12, v6
	v_xor_b32_e32 v8, v7, v3
	v_xor_b32_e32 v66, v12, v9
	v_or_b32_e32 v12, 64, v7
	v_or_b32_e32 v7, 0x60, v7
	;; [unrolled: 1-line block ×3, first 2 shown]
	v_xor_b32_e32 v12, v12, v3
	v_xor_b32_e32 v3, v7, v3
	;; [unrolled: 1-line block ×3, first 2 shown]
	v_and_b32_e32 v8, 0x78, v51
	v_or_b32_e32 v12, v12, v6
	v_or_b32_e32 v3, v3, v6
	v_lshl_or_b32 v8, v49, 7, v8
	v_xor_b32_e32 v67, v12, v9
	v_xor_b32_e32 v68, v3, v9
	v_lshlrev_b32_e32 v12, 1, v2
	v_add_lshl_u32 v13, v2, s15, 1
	v_lshrrev_b32_e32 v2, 4, v0
	v_lshlrev_b32_e32 v3, 1, v50
	v_or_b32_e32 v65, 0x9000, v8
	v_or_b32_e32 v69, 0x9800, v8
	s_ashr_i32 s3, s2, 31
	v_or_b32_e32 v8, 1, v3
	v_xor_b32_e32 v3, v2, v3
	s_lshl_b64 s[20:21], s[2:3], 8
	v_xor_b32_e32 v8, v8, v2
	v_lshlrev_b32_e32 v3, 3, v3
	v_lshlrev_b32_e32 v2, 8, v2
	s_waitcnt lgkmcnt(0)
	s_add_u32 s20, s36, s20
	v_or3_b32 v70, v3, v2, s22
	v_lshlrev_b32_e32 v3, 3, v8
	s_addc_u32 s21, s37, s21
	v_or3_b32 v71, v3, v2, s22
	v_mov_b32_e32 v3, 0
	v_lshl_add_u64 v[8:9], s[20:21], 0, v[2:3]
	v_lshlrev_b32_e32 v2, 4, v50
	s_movk_i32 s3, 0xff
	v_lshlrev_b32_e32 v16, 3, v46
	v_and_b32_e32 v11, 24, v11
	v_lshl_add_u64 v[42:43], v[8:9], 0, v[2:3]
	v_and_b32_e32 v8, 8, v0
	v_cmp_lt_u32_e32 vcc, s3, v0
	v_xor_b32_e32 v17, v16, v11
	v_or_b32_e32 v18, 0x440, v17
	v_cndmask_b32_e64 v15, 0, 1, vcc
	v_cmp_eq_u32_e32 vcc, 0, v8
	v_and_b32_e32 v2, 7, v0
	v_lshlrev_b32_e32 v9, 3, v2
	v_cndmask_b32_e32 v8, v18, v17, vcc
	v_lshlrev_b32_e32 v2, 7, v2
	v_or_b32_e32 v8, v8, v5
	v_xad_u32 v72, v8, v9, v2
	v_or_b32_e32 v8, 32, v11
	v_xor_b32_e32 v8, v16, v8
	v_or_b32_e32 v17, 0x440, v8
	v_cndmask_b32_e32 v8, v17, v8, vcc
	v_or_b32_e32 v8, v8, v5
	v_xad_u32 v73, v8, v9, v2
	v_or_b32_e32 v8, 64, v11
	v_xor_b32_e32 v8, v16, v8
	v_xor_b32_e32 v17, 0x440, v8
	v_cndmask_b32_e32 v8, v17, v8, vcc
	v_or_b32_e32 v8, v8, v5
	v_xad_u32 v74, v8, v9, v2
	v_or_b32_e32 v8, 0x60, v11
	v_xor_b32_e32 v8, v16, v8
	v_xor_b32_e32 v11, 0x440, v8
	v_or_b32_e32 v6, s2, v50
	v_cndmask_b32_e32 v8, v11, v8, vcc
	v_ashrrev_i32_e32 v7, 31, v6
	v_or_b32_e32 v5, v8, v5
	v_lshl_add_u64 v[6:7], v[6:7], 1, s[8:9]
	v_or_b32_e32 v14, 0x100, v4
	v_lshlrev_b32_e32 v15, 13, v15
	v_xad_u32 v75, v5, v9, v2
	v_lshlrev_b32_e32 v2, 8, v1
	v_cndmask_b32_e64 v76, v12, v4, s[0:1]
	v_cndmask_b32_e64 v77, v13, v14, s[0:1]
	v_lshl_add_u64 v[44:45], v[6:7], 0, v[2:3]
	s_mov_b32 s3, 0x7060302
	s_movk_i32 s22, 0x4000
	v_add_u32_e32 v79, v15, v72
	v_add_u32_e32 v80, v15, v73
	;; [unrolled: 1-line block ×4, first 2 shown]
	v_mov_b32_e32 v2, v3
	v_mov_b32_e32 v4, v3
	;; [unrolled: 1-line block ×7, first 2 shown]
	s_barrier
.LBB558_6:                              ; =>This Inner Loop Header: Depth=1
	s_add_i32 s35, s62, 1
	s_cmp_lt_i32 s35, s48
	s_mov_b64 s[24:25], 0
	s_cselect_b64 s[42:43], -1, 0
	s_cmp_ge_i32 s35, s48
	s_mov_b64 s[20:21], 0
	s_cbranch_scc1 .LBB558_8
; %bb.7:                                ;   in Loop: Header=BB558_6 Depth=1
	s_add_i32 s0, s57, 64
	s_add_u32 s0, s38, s0
	s_addc_u32 s1, s39, 0
	s_lshl_b64 s[0:1], s[0:1], 8
	s_add_u32 s20, s6, s0
	s_addc_u32 s21, s7, s1
.LBB558_8:                              ;   in Loop: Header=BB558_6 Depth=1
	v_cndmask_b32_e64 v5, 0, 1, s[42:43]
	v_cmp_ne_u32_e64 s[0:1], 1, v5
	s_andn2_b64 vcc, exec, s[42:43]
	s_cbranch_vccnz .LBB558_10
; %bb.9:                                ;   in Loop: Header=BB558_6 Depth=1
	s_add_i32 s24, s57, 64
	s_add_u32 s24, s60, s24
	s_addc_u32 s25, s61, 0
	s_mul_i32 s27, s24, s49
	s_mul_hi_u32 s42, s24, s53
	s_add_i32 s27, s42, s27
	s_mul_i32 s25, s25, s53
	s_add_i32 s27, s27, s25
	s_mul_i32 s24, s24, s53
	s_add_u32 s24, s24, s52
	s_addc_u32 s25, s27, s55
	s_lshl_b64 s[24:25], s[24:25], 8
	s_add_u32 s24, s4, s24
	s_addc_u32 s25, s5, s25
.LBB558_10:                             ;   in Loop: Header=BB558_6 Depth=1
	v_perm_b32 v11, v84, v4, s3
	v_perm_b32 v10, v3, v2, s3
	;; [unrolled: 1-line block ×4, first 2 shown]
	ds_write_b64 v60, v[10:11]
	ds_write_b64 v61, v[12:13]
	;; [unrolled: 1-line block ×4, first 2 shown]
	s_waitcnt lgkmcnt(0)
	s_barrier
	ds_read_b64 v[18:19], v64 offset:16384
	ds_read_b64 v[20:21], v66 offset:16384
	ds_read2st64_b64 v[10:13], v65 offset1:1
	ds_read2st64_b64 v[14:17], v65 offset0:2 offset1:3
	ds_read_b64 v[22:23], v67 offset:16384
	s_waitcnt lgkmcnt(2)
	v_mfma_f32_16x16x16_bf16 a[0:3], v[18:19], v[10:11], 0
	ds_read_b64 v[10:11], v68 offset:16384
	s_add_i32 s27, s57, 63
	s_mul_i32 s42, s27, s31
	v_mfma_f32_16x16x16_bf16 a[0:3], v[20:21], v[12:13], a[0:3]
	s_mul_hi_u32 s43, s27, s30
	s_add_i32 s43, s43, s42
	s_mul_i32 s42, s27, s30
	s_waitcnt lgkmcnt(1)
	v_mfma_f32_16x16x16_bf16 a[0:3], v[22:23], v[14:15], a[0:3]
	s_lshl_b64 s[42:43], s[42:43], 2
	s_add_u32 s42, s40, s42
	s_addc_u32 s43, s41, s43
	s_waitcnt lgkmcnt(0)
	v_mfma_f32_16x16x16_bf16 a[0:3], v[10:11], v[16:17], a[0:3]
	s_and_b64 vcc, exec, s[0:1]
	v_mov_b32_e32 v85, 0
	v_mov_b32_e32 v9, 0
	;; [unrolled: 1-line block ×19, first 2 shown]
	s_cbranch_vccnz .LBB558_12
; %bb.11:                               ;   in Loop: Header=BB558_6 Depth=1
	s_and_b32 s21, s21, 0xffff
	buffer_load_dwordx4 v[22:25], v56, s[20:23], 0 offen
	buffer_load_dwordx4 v[18:21], v56, s[20:23], s56 offen
	;; [unrolled: 1-line block ×4, first 2 shown]
	v_mov_b32_e32 v9, v58
	v_mov_b32_e32 v5, v59
.LBB558_12:                             ;   in Loop: Header=BB558_6 Depth=1
	s_waitcnt vmcnt(3)
	v_add_u32_e32 v32, s57, v78
	s_waitcnt vmcnt(1)
	v_ashrrev_i32_e32 v26, 31, v32
	v_mul_lo_u32 v28, v26, s30
	v_mul_lo_u32 v29, v32, s31
	v_mad_u64_u32 v[26:27], s[20:21], v32, s30, 0
	v_add3_u32 v27, v27, v29, v28
	v_add_u32_e32 v28, 1, v32
	v_ashrrev_i32_e32 v29, 31, v28
	v_mul_lo_u32 v30, v29, s30
	v_mul_lo_u32 v31, v28, s31
	v_mad_u64_u32 v[28:29], s[20:21], v28, s30, 0
	v_add3_u32 v29, v29, v31, v30
	v_add_u32_e32 v30, 2, v32
	v_ashrrev_i32_e32 v31, 31, v30
	v_mul_lo_u32 v33, v31, s30
	v_mul_lo_u32 v34, v30, s31
	v_mad_u64_u32 v[30:31], s[20:21], v30, s30, 0
	v_add_u32_e32 v32, 3, v32
	v_add3_u32 v31, v31, v34, v33
	v_ashrrev_i32_e32 v33, 31, v32
	v_mul_lo_u32 v36, v33, s30
	v_mul_lo_u32 v37, v32, s31
	v_mad_u64_u32 v[32:33], s[20:21], v32, s30, 0
	s_add_u32 s20, s38, s57
	s_addc_u32 s21, s39, 0
	s_lshl_b64 s[20:21], s[20:21], 8
	v_lshl_add_u64 v[26:27], v[26:27], 2, s[40:41]
	v_lshl_add_u64 v[34:35], v[44:45], 0, s[20:21]
	;; [unrolled: 1-line block ×3, first 2 shown]
	global_load_ushort v87, v[34:35], off
	global_load_ushort v96, v[34:35], off offset:256
	global_load_ushort v97, v[34:35], off offset:512
	;; [unrolled: 1-line block ×3, first 2 shown]
	v_add3_u32 v33, v33, v37, v36
	global_load_dword v99, v[26:27], off
	v_lshl_add_u64 v[30:31], v[30:31], 2, s[40:41]
	v_lshl_add_u64 v[26:27], v[32:33], 2, s[40:41]
	global_load_dword v100, v[28:29], off
	global_load_dword v101, v[30:31], off
	;; [unrolled: 1-line block ×3, first 2 shown]
	s_load_dword s20, s[42:43], 0x0
	ds_read2st64_b64 v[34:37], v69 offset1:1
	ds_read2st64_b64 v[88:91], v69 offset0:2 offset1:3
	ds_read_b64 v[38:39], v64 offset:24576
	ds_read_b64 v[40:41], v66 offset:24576
	ds_read_b64 v[92:93], v67 offset:24576
	ds_read_b64 v[94:95], v68 offset:24576
	s_waitcnt lgkmcnt(0)
	v_mfma_f32_16x16x16_bf16 a[0:3], v[38:39], v[34:35], a[0:3]
	v_mov_b32_e32 v86, 0
	v_mov_b32_e32 v26, 0
	v_mov_b32_e32 v27, 0
	v_mfma_f32_16x16x16_bf16 a[0:3], v[40:41], v[36:37], a[0:3]
	v_mov_b32_e32 v28, 0
	v_mov_b32_e32 v29, 0
	v_mov_b32_e32 v30, 0
	;; [unrolled: 4-line block ×4, first 2 shown]
	v_mov_b32_e32 v37, 0
	v_mov_b32_e32 v38, 0
	;; [unrolled: 1-line block ×4, first 2 shown]
	v_accvgpr_read_b32 v91, a1
	v_accvgpr_read_b32 v89, a3
	;; [unrolled: 1-line block ×4, first 2 shown]
	s_and_b64 vcc, exec, s[0:1]
	s_waitcnt vmcnt(7)
	v_lshlrev_b32_e32 v92, 16, v87
	s_waitcnt vmcnt(6)
	v_lshlrev_b32_e32 v93, 16, v96
	;; [unrolled: 2-line block ×4, first 2 shown]
	v_pk_add_f32 v[90:91], v[92:93], v[90:91] neg_lo:[0,1] neg_hi:[0,1]
	s_waitcnt vmcnt(3)
	v_sub_f32_e32 v41, s20, v99
	v_exp_f32_e32 v96, v41
	s_waitcnt vmcnt(2)
	v_sub_f32_e32 v41, s20, v100
	s_waitcnt vmcnt(1)
	v_sub_f32_e32 v87, s20, v101
	;; [unrolled: 2-line block ×3, first 2 shown]
	v_exp_f32_e32 v97, v41
	v_exp_f32_e32 v98, v87
	;; [unrolled: 1-line block ×3, first 2 shown]
	v_pk_add_f32 v[88:89], v[94:95], v[88:89] neg_lo:[0,1] neg_hi:[0,1]
	v_pk_mul_f32 v[90:91], v[96:97], v[90:91]
	v_mov_b32_e32 v41, 0
	v_pk_mul_f32 v[88:89], v[98:99], v[88:89]
	s_nop 0
	v_perm_b32 v89, v89, v88, s3
	v_perm_b32 v88, v91, v90, s3
	ds_write_b64 v61, v[88:89]
	s_cbranch_vccnz .LBB558_14
; %bb.13:                               ;   in Loop: Header=BB558_6 Depth=1
	s_and_b32 s25, s25, 0xffff
	s_mov_b32 s27, s23
	buffer_load_dwordx4 v[38:41], v76, s[24:27], 0 offen
	buffer_load_dwordx4 v[30:33], v76, s[24:27], s56 offen
	;; [unrolled: 1-line block ×4, first 2 shown]
	v_mov_b32_e32 v85, v55
	v_mov_b32_e32 v86, v54
.LBB558_14:                             ;   in Loop: Header=BB558_6 Depth=1
	s_waitcnt lgkmcnt(0)
	s_barrier
	ds_read_b64 v[96:97], v79
	ds_read2st64_b64 v[88:91], v69 offset1:1
	ds_read2st64_b64 v[92:95], v69 offset0:2 offset1:3
	ds_read_b64 v[98:99], v80
	ds_read_b64 v[100:101], v81
	;; [unrolled: 1-line block ×3, first 2 shown]
	s_waitcnt lgkmcnt(4)
	v_mfma_f32_16x16x16_bf16 a[0:3], v[96:97], v[88:89], 0
	ds_read_b64 v[96:97], v72 offset:8192
	ds_read_b64 v[104:105], v73 offset:8192
	s_add_i32 s21, s50, s62
	s_mul_hi_i32 s25, s21, s13
	s_waitcnt lgkmcnt(1)
	v_mfma_f32_16x16x16_bf16 a[4:7], v[96:97], v[88:89], 0
	s_mul_i32 s21, s21, s13
	s_add_u32 s24, s21, s33
	s_addc_u32 s25, s25, s54
	v_mfma_f32_16x16x16_bf16 a[0:3], v[98:99], v[90:91], a[0:3]
	ds_read_b64 v[96:97], v70
	ds_read_b64 v[98:99], v71
	ds_read_b64 v[88:89], v74 offset:8192
	s_lshl_b64 s[24:25], s[24:25], 15
	v_mfma_f32_16x16x16_bf16 a[0:3], v[100:101], v[92:93], a[0:3]
	ds_read_b64 v[100:101], v75 offset:8192
	s_and_b64 vcc, exec, s[0:1]
	s_waitcnt lgkmcnt(4)
	v_mfma_f32_16x16x16_bf16 a[4:7], v[104:105], v[90:91], a[4:7]
	s_waitcnt lgkmcnt(1)
	v_mfma_f32_16x16x16_bf16 a[4:7], v[88:89], v[92:93], a[4:7]
	v_lshl_add_u64 v[88:89], v[42:43], 0, s[24:25]
	global_store_dwordx4 v[88:89], v[96:99], off
	v_mfma_f32_16x16x16_bf16 a[0:3], v[102:103], v[94:95], a[0:3]
	s_waitcnt lgkmcnt(0)
	v_mfma_f32_16x16x16_bf16 a[4:7], v[100:101], v[94:95], a[4:7]
	s_cbranch_vccnz .LBB558_16
; %bb.15:                               ;   in Loop: Header=BB558_6 Depth=1
	v_lshrrev_b32_e32 v87, 3, v85
	v_and_b32_e32 v87, 6, v87
	v_xor_b32_e32 v86, v87, v86
	v_lshlrev_b32_e32 v86, 2, v86
	v_and_b32_e32 v85, 8, v85
	v_xor_b32_e32 v88, 0x440, v86
	v_cmp_eq_u32_e32 vcc, 0, v85
	s_barrier
	s_nop 0
	v_cndmask_b32_e32 v85, v88, v86, vcc
	v_lshl_or_b32 v85, v87, 10, v85
	s_waitcnt vmcnt(2)
	v_perm_b32 v86, v38, v34, s58
	s_waitcnt vmcnt(1)
	v_perm_b32 v87, v30, v26, s58
	ds_write2st64_b32 v85, v86, v87 offset1:32
	v_xor_b32_e32 v86, 8, v85
	v_perm_b32 v34, v38, v34, s59
	v_perm_b32 v26, v30, v26, s59
	v_add_u32_e32 v30, 0x80, v86
	ds_write2st64_b32 v30, v34, v26 offset1:32
	v_xor_b32_e32 v26, 16, v85
	v_perm_b32 v30, v39, v35, s58
	v_perm_b32 v34, v31, v27, s58
	ds_write2st64_b32 v26, v30, v34 offset0:1 offset1:33
	v_xor_b32_e32 v26, 24, v85
	v_perm_b32 v30, v39, v35, s59
	v_perm_b32 v27, v31, v27, s59
	v_add_u32_e32 v26, 0x80, v26
	ds_write2st64_b32 v26, v30, v27 offset0:1 offset1:33
	v_xor_b32_e32 v26, 32, v85
	v_perm_b32 v27, v40, v36, s58
	v_perm_b32 v30, v32, v28, s58
	ds_write2st64_b32 v26, v27, v30 offset0:2 offset1:34
	v_xor_b32_e32 v26, 40, v85
	v_perm_b32 v27, v40, v36, s59
	v_perm_b32 v28, v32, v28, s59
	v_add_u32_e32 v26, 0x80, v26
	ds_write2st64_b32 v26, v27, v28 offset0:2 offset1:34
	;; [unrolled: 9-line block ×3, first 2 shown]
	ds_write_b64 v9, v[22:23] offset:16384
	v_xor_b32_e32 v22, 8, v9
	ds_write_b64 v22, v[24:25] offset:16384
	ds_write_b64 v9, v[18:19] offset:24576
	;; [unrolled: 1-line block ×4, first 2 shown]
	v_xor_b32_e32 v9, 8, v5
	ds_write_b64 v9, v[16:17] offset:16384
	ds_write_b64 v5, v[10:11] offset:24576
	;; [unrolled: 1-line block ×3, first 2 shown]
.LBB558_16:                             ;   in Loop: Header=BB558_6 Depth=1
	v_exp_f32_e32 v10, s20
	s_nop 2
	v_accvgpr_read_b32 v9, a1
	v_accvgpr_read_b32 v5, a0
	s_add_i32 s57, s57, 64
	v_fma_f32 v3, v3, v10, v9
	v_accvgpr_read_b32 v9, a4
	v_fma_f32 v6, v6, v10, v9
	v_accvgpr_read_b32 v9, a5
	;; [unrolled: 2-line block ×6, first 2 shown]
	v_fmac_f32_e32 v5, v84, v10
	s_cmp_eq_u32 s48, s35
	v_fmac_f32_e32 v9, v83, v10
	s_cbranch_scc1 .LBB558_18
; %bb.17:                               ;   in Loop: Header=BB558_6 Depth=1
	s_mov_b32 s62, s35
	v_mov_b32_e32 v84, v5
	v_mov_b32_e32 v83, v9
	s_branch .LBB558_6
.LBB558_18:
	s_lshl_b32 s42, s48, 6
	s_sub_i32 s43, s12, s42
	s_cmp_gt_i32 s43, 0
	s_waitcnt vmcnt(2)
	v_or_b32_e32 v34, s2, v50
	s_cbranch_scc1 .LBB558_20
; %bb.19:
	s_ashr_i32 s0, s33, 31
	s_add_u32 s24, s45, s33
	s_addc_u32 s25, s51, s0
	v_or_b32_e32 v10, s2, v50
	s_cbranch_execz .LBB558_21
	s_branch .LBB558_77
.LBB558_20:
                                        ; implicit-def: $sgpr24_sgpr25
                                        ; implicit-def: $vgpr10
.LBB558_21:
	s_ashr_i32 s35, s47, 31
	s_ashr_i32 s3, s42, 31
	s_cmpk_lg_i32 s15, 0x80
	s_cselect_b64 s[38:39], -1, 0
	s_and_b64 vcc, exec, s[38:39]
	s_cbranch_vccz .LBB558_23
; %bb.22:
	s_mul_i32 s1, s47, s12
	s_mul_hi_i32 s0, s47, s12
	s_add_u32 s1, s1, s42
	s_addc_u32 s0, s0, s3
	s_mul_i32 s20, s1, s49
	s_mul_hi_u32 s21, s1, s14
	s_add_i32 s20, s21, s20
	s_mul_i32 s0, s0, s14
	s_add_i32 s20, s20, s0
	s_mul_i32 s1, s1, s14
	s_ashr_i32 s0, s52, 31
	s_add_u32 s40, s1, s52
	s_addc_u32 s41, s20, s0
	s_cbranch_execz .LBB558_24
	s_branch .LBB558_25
.LBB558_23:
                                        ; implicit-def: $sgpr40_sgpr41
.LBB558_24:
	s_mul_hi_i32 s0, s47, s14
	s_mul_i32 s47, s47, s14
	s_ashr_i32 s1, s52, 31
	s_add_u32 s14, s47, s52
	s_addc_u32 s0, s0, s1
	s_mul_i32 s1, s14, s46
	s_mul_hi_u32 s20, s14, s12
	s_add_i32 s1, s20, s1
	s_mul_i32 s0, s0, s12
	s_add_i32 s1, s1, s0
	s_mul_i32 s14, s14, s12
	s_add_u32 s40, s14, s42
	s_addc_u32 s41, s1, s3
.LBB558_25:
	s_add_i32 s20, s50, s48
	s_ashr_i32 s14, s33, 31
	s_add_u32 s24, s45, s33
	s_addc_u32 s25, s51, s14
	s_mul_i32 s0, s24, s46
	s_mul_hi_u32 s1, s24, s12
	s_add_i32 s0, s1, s0
	s_mul_i32 s1, s25, s12
	s_add_i32 s1, s0, s1
	s_mul_i32 s0, s24, s12
	s_add_u32 s0, s0, s42
	s_addc_u32 s1, s1, s3
	s_mov_b32 s3, 0x7060302
	v_lshlrev_b32_e32 v14, 3, v50
	s_lshl_b64 s[26:27], s[0:1], 8
	v_perm_b32 v11, v5, v4, s3
	v_perm_b32 v10, v3, v2, s3
	v_perm_b32 v13, v9, v8, s3
	v_perm_b32 v12, v7, v6, s3
	v_lshlrev_b32_e32 v44, 2, v50
	v_lshl_or_b32 v14, v1, 5, v14
	s_add_u32 s0, s6, s26
	ds_write2st64_b64 v14, v[10:11], v[12:13] offset0:72 offset1:76
	v_xor_b32_e32 v14, v1, v44
	v_lshlrev_b32_e32 v15, 8, v50
	s_addc_u32 s1, s7, s27
	v_lshl_or_b32 v14, v14, 1, v15
	s_mul_hi_i32 s3, s20, s13
	s_mul_i32 s20, s20, s13
	ds_write_b64 v14, v[10:11] offset:32768
	v_xor_b32_e32 v10, v53, v44
	s_add_u32 s6, s20, s33
	v_lshl_or_b32 v10, v10, 1, v15
	s_addc_u32 s7, s3, s14
	v_lshlrev_b32_e32 v11, 1, v50
	ds_write_b64 v10, v[12:13] offset:32768
	v_lshrrev_b32_e32 v10, 4, v0
	s_ashr_i32 s3, s2, 31
	s_lshl_b64 s[6:7], s[6:7], 15
	v_or_b32_e32 v12, 1, v11
	s_waitcnt lgkmcnt(0)
	s_add_u32 s6, s36, s6
	v_xor_b32_e32 v11, v10, v11
	v_xor_b32_e32 v12, v12, v10
	v_lshlrev_b32_e32 v14, 8, v10
	s_addc_u32 s7, s37, s7
	s_lshl_b64 s[2:3], s[2:3], 8
	v_lshl_or_b32 v10, v11, 3, v14
	v_lshl_or_b32 v12, v12, 3, v14
	s_barrier
	s_add_u32 s2, s6, s2
	ds_read_b64 v[10:11], v10 offset:32768
	ds_read_b64 v[12:13], v12 offset:32768
	s_addc_u32 s3, s7, s3
	v_mov_b32_e32 v15, 0
	s_cmp_lg_u32 s43, 64
	v_lshl_add_u64 v[16:17], s[2:3], 0, v[14:15]
	v_lshlrev_b32_e32 v14, 4, v50
	s_cselect_b64 s[6:7], -1, 0
	v_lshl_or_b32 v35, v46, 3, v52
	s_mov_b32 s20, 0
	v_lshl_add_u64 v[14:15], v[16:17], 0, v[14:15]
	s_waitcnt vmcnt(1)
	v_or_b32_e32 v27, 32, v35
	v_and_b32_e32 v26, 56, v51
	s_and_b64 vcc, exec, s[6:7]
	s_waitcnt lgkmcnt(0)
	global_store_dwordx4 v[14:15], v[10:13], off
	s_cbranch_vccz .LBB558_31
; %bb.26:
	s_mov_b32 s21, s20
	s_mov_b32 s22, s20
	;; [unrolled: 1-line block ×3, first 2 shown]
	v_mov_b64_e32 v[14:15], s[20:21]
	v_mov_b64_e32 v[16:17], s[22:23]
	;; [unrolled: 1-line block ×3, first 2 shown]
	v_cmp_gt_i32_e32 vcc, s43, v35
	v_mov_b64_e32 v[12:13], v[16:17]
	s_and_saveexec_b64 s[2:3], vcc
	s_cbranch_execz .LBB558_28
; %bb.27:
	v_lshlrev_b32_e32 v10, 8, v35
	v_mov_b32_e32 v11, 0
	v_lshl_add_u64 v[12:13], s[0:1], 0, v[10:11]
	v_lshlrev_b32_e32 v10, 1, v26
	v_lshl_add_u64 v[18:19], v[12:13], 0, v[10:11]
	global_load_dwordx4 v[14:17], v[18:19], off
	global_load_dwordx4 v[10:13], v[18:19], off offset:128
.LBB558_28:
	s_or_b64 exec, exec, s[2:3]
	s_mov_b32 s22, s20
	s_mov_b32 s23, s20
	;; [unrolled: 1-line block ×3, first 2 shown]
	v_mov_b64_e32 v[24:25], s[22:23]
	v_mov_b64_e32 v[22:23], s[20:21]
	;; [unrolled: 1-line block ×3, first 2 shown]
	v_cmp_gt_i32_e32 vcc, s43, v27
	v_lshlrev_b32_e32 v28, 7, v27
	v_mov_b64_e32 v[20:21], v[24:25]
	s_and_saveexec_b64 s[2:3], vcc
	s_cbranch_execz .LBB558_30
; %bb.29:
	v_lshlrev_b32_e32 v18, 1, v28
	v_mov_b32_e32 v19, 0
	v_lshl_add_u64 v[20:21], s[0:1], 0, v[18:19]
	v_lshlrev_b32_e32 v18, 1, v26
	v_lshl_add_u64 v[30:31], v[20:21], 0, v[18:19]
	global_load_dwordx4 v[22:25], v[30:31], off
	global_load_dwordx4 v[18:21], v[30:31], off offset:128
.LBB558_30:
	s_or_b64 exec, exec, s[2:3]
	v_lshrrev_b32_e32 v29, 3, v26
	v_lshlrev_b32_e32 v30, 3, v35
	v_or_b32_e32 v29, v30, v29
	v_lshlrev_b32_e32 v29, 4, v29
	v_and_b32_e32 v30, 0x78, v30
	v_xor_b32_e32 v29, v29, v30
	s_branch .LBB558_33
.LBB558_31:
                                        ; implicit-def: $vgpr29
                                        ; implicit-def: $vgpr28
                                        ; implicit-def: $vgpr14_vgpr15_vgpr16_vgpr17
                                        ; implicit-def: $vgpr10_vgpr11_vgpr12_vgpr13
                                        ; implicit-def: $vgpr22_vgpr23_vgpr24_vgpr25
                                        ; implicit-def: $vgpr18_vgpr19_vgpr20_vgpr21
	s_cbranch_execz .LBB558_33
; %bb.32:
	s_waitcnt vmcnt(0)
	v_lshlrev_b32_e32 v10, 1, v26
	v_lshl_or_b32 v28, v35, 8, v10
	s_and_b32 s1, s1, 0xffff
	s_mov_b32 s3, 0x20000
	s_movk_i32 s2, 0x4000
	v_lshl_or_b32 v29, v27, 8, v10
	s_movk_i32 s13, 0x80
	buffer_load_dwordx4 v[14:17], v28, s[0:3], 0 offen
	buffer_load_dwordx4 v[10:13], v28, s[0:3], s13 offen
	;; [unrolled: 1-line block ×4, first 2 shown]
	v_lshrrev_b32_e32 v28, 3, v26
	v_lshlrev_b32_e32 v29, 3, v35
	v_or_b32_e32 v28, v29, v28
	v_lshlrev_b32_e32 v28, 4, v28
	v_and_b32_e32 v29, 0x78, v29
	v_xor_b32_e32 v29, v28, v29
	v_lshlrev_b32_e32 v28, 7, v27
.LBB558_33:
	s_lshl_b64 s[0:1], s[40:41], 8
	s_add_u32 s4, s4, s0
	s_movk_i32 s0, 0x1000
	v_and_or_b32 v27, v28, s0, v29
	s_waitcnt vmcnt(1)
	ds_write_b64 v29, v[14:15] offset:16384
	v_xor_b32_e32 v14, 8, v29
	s_addc_u32 s5, s5, s1
	ds_write_b64 v14, v[16:17] offset:16384
	s_waitcnt vmcnt(0)
	ds_write_b64 v29, v[10:11] offset:24576
	ds_write_b64 v14, v[12:13] offset:24576
	;; [unrolled: 1-line block ×3, first 2 shown]
	v_xor_b32_e32 v10, 8, v27
	s_add_i32 s0, s44, s17
	s_mul_i32 s35, s35, s16
	ds_write_b64 v10, v[24:25] offset:16384
	ds_write_b64 v27, v[18:19] offset:24576
	;; [unrolled: 1-line block ×3, first 2 shown]
	s_add_i32 s35, s0, s35
	s_mul_i32 s0, s33, s19
	s_mul_hi_u32 s1, s33, s18
	v_or_b32_e32 v10, v47, v50
	s_add_i32 s0, s1, s0
	s_mul_i32 s1, s14, s18
	v_lshlrev_b32_e32 v10, 3, v10
	v_lshrrev_b32_e32 v12, 5, v48
	s_movk_i32 s14, 0xf8
	v_and_or_b32 v12, v10, s14, v12
	v_lshlrev_b32_e32 v45, 11, v46
	v_lshlrev_b32_e32 v20, 4, v12
	v_and_b32_e32 v21, 0x78, v10
	v_and_b32_e32 v22, 0x1000, v45
	v_lshlrev_b32_e32 v11, 2, v0
	v_xor_b32_e32 v10, v20, v21
	v_lshrrev_b32_e32 v12, 1, v48
	v_and_b32_e32 v11, 60, v11
	v_or_b32_e32 v10, v10, v22
	v_and_b32_e32 v23, 8, v12
	v_xor_b32_e32 v36, v10, v23
	v_lshl_or_b32 v10, v49, 6, v11
	v_lshlrev_b32_e32 v49, 1, v10
	v_or_b32_e32 v10, 32, v20
	v_xor_b32_e32 v10, v10, v21
	s_waitcnt lgkmcnt(0)
	s_barrier
	ds_read_b64 v[18:19], v36 offset:16384
	v_or_b32_e32 v10, v10, v22
	v_xor_b32_e32 v37, v10, v23
	v_or_b32_e32 v10, 64, v20
	v_xor_b32_e32 v10, v10, v21
	v_or_b32_e32 v10, v10, v22
	v_or_b32_e32 v20, 0x60, v20
	v_xor_b32_e32 v38, v10, v23
	ds_read2st64_b64 v[10:13], v49 offset0:72 offset1:73
	ds_read2st64_b64 v[14:17], v49 offset0:74 offset1:75
	v_xor_b32_e32 v24, v20, v21
	ds_read_b64 v[20:21], v37 offset:16384
	s_waitcnt lgkmcnt(2)
	v_mfma_f32_16x16x16_bf16 a[0:3], v[18:19], v[10:11], 0
	s_add_i32 s2, s12, -1
	s_ashr_i32 s3, s2, 31
	s_mul_i32 s12, s2, s31
	s_mul_hi_u32 s13, s2, s30
	s_add_i32 s12, s13, s12
	s_mul_i32 s3, s3, s30
	v_or_b32_e32 v22, v24, v22
	s_add_i32 s1, s0, s1
	s_add_i32 s3, s12, s3
	s_lshl_b64 s[12:13], s[34:35], 2
	v_xor_b32_e32 v50, v22, v23
	ds_read_b64 v[22:23], v38 offset:16384
	ds_read_b64 v[24:25], v50 offset:16384
	s_waitcnt lgkmcnt(2)
	v_mfma_f32_16x16x16_bf16 a[0:3], v[20:21], v[12:13], a[0:3]
	s_mul_i32 s0, s33, s18
	s_add_u32 s10, s10, s12
	s_addc_u32 s11, s11, s13
	s_lshl_b64 s[0:1], s[0:1], 2
	s_mul_i32 s2, s2, s30
	s_add_u32 s10, s10, s0
	s_addc_u32 s11, s11, s1
	s_lshl_b64 s[0:1], s[2:3], 2
	s_waitcnt lgkmcnt(1)
	v_mfma_f32_16x16x16_bf16 a[0:3], v[22:23], v[14:15], a[0:3]
	s_add_u32 s0, s10, s0
	s_addc_u32 s1, s11, s1
	s_load_dword s12, s[0:1], 0x0
	s_waitcnt lgkmcnt(0)
	v_mfma_f32_16x16x16_bf16 a[0:3], v[24:25], v[16:17], a[0:3]
	s_and_b64 vcc, exec, s[38:39]
	s_cbranch_vccz .LBB558_44
; %bb.34:
	v_lshlrev_b32_e32 v27, 1, v35
	s_and_b64 vcc, exec, s[6:7]
	s_cbranch_vccz .LBB558_45
; %bb.35:
	v_cmp_gt_i32_e32 vcc, s43, v27
	v_mov_b32_e32 v14, 0
	v_mov_b32_e32 v10, 0
	;; [unrolled: 1-line block ×5, first 2 shown]
	s_and_saveexec_b64 s[0:1], vcc
	s_cbranch_execz .LBB558_37
; %bb.36:
	v_mad_i64_i32 v[10:11], s[2:3], s15, v27, 0
	v_lshl_add_u64 v[10:11], v[10:11], 1, s[4:5]
	v_lshlrev_b32_e32 v12, 1, v26
	v_mov_b32_e32 v13, 0
	v_lshl_add_u64 v[10:11], v[10:11], 0, v[12:13]
	global_load_dwordx4 v[10:13], v[10:11], off
.LBB558_37:
	s_or_b64 exec, exec, s[0:1]
	v_or_b32_e32 v28, 1, v27
	v_cmp_gt_i32_e64 s[0:1], s43, v28
	v_mov_b32_e32 v15, 0
	v_mov_b32_e32 v16, 0
	;; [unrolled: 1-line block ×3, first 2 shown]
	s_and_saveexec_b64 s[2:3], s[0:1]
	s_cbranch_execz .LBB558_39
; %bb.38:
	v_mad_i64_i32 v[14:15], s[16:17], s15, v28, 0
	v_lshl_add_u64 v[14:15], v[14:15], 1, s[4:5]
	v_lshlrev_b32_e32 v16, 1, v26
	v_mov_b32_e32 v17, 0
	v_lshl_add_u64 v[14:15], v[14:15], 0, v[16:17]
	global_load_dwordx4 v[14:17], v[14:15], off
.LBB558_39:
	s_or_b64 exec, exec, s[2:3]
	v_mov_b32_e32 v25, 0
	v_mov_b32_e32 v18, 0
	;; [unrolled: 1-line block ×5, first 2 shown]
	s_and_saveexec_b64 s[2:3], vcc
	s_cbranch_execz .LBB558_41
; %bb.40:
	v_mad_i64_i32 v[18:19], s[16:17], s15, v27, 0
	v_lshl_add_u64 v[18:19], v[18:19], 1, s[4:5]
	v_lshlrev_b32_e32 v20, 1, v26
	v_mov_b32_e32 v21, 0
	v_lshl_add_u64 v[18:19], v[18:19], 0, v[20:21]
	global_load_dwordx4 v[18:21], v[18:19], off offset:128
.LBB558_41:
	s_or_b64 exec, exec, s[2:3]
	v_mov_b32_e32 v24, 0
	v_mov_b32_e32 v23, 0
	;; [unrolled: 1-line block ×3, first 2 shown]
	s_and_saveexec_b64 s[2:3], s[0:1]
	s_cbranch_execz .LBB558_43
; %bb.42:
	v_mad_i64_i32 v[22:23], s[0:1], s15, v28, 0
	v_lshl_add_u64 v[22:23], v[22:23], 1, s[4:5]
	v_lshlrev_b32_e32 v24, 1, v26
	v_mov_b32_e32 v25, 0
	v_lshl_add_u64 v[22:23], v[22:23], 0, v[24:25]
	global_load_dwordx4 v[22:25], v[22:23], off offset:128
.LBB558_43:
	s_or_b64 exec, exec, s[2:3]
	s_branch .LBB558_47
.LBB558_44:
                                        ; implicit-def: $vgpr13
                                        ; implicit-def: $vgpr17
                                        ; implicit-def: $vgpr21
                                        ; implicit-def: $vgpr25
	v_lshrrev_b32_e32 v48, 2, v48
	s_branch .LBB558_48
.LBB558_45:
                                        ; implicit-def: $vgpr13
                                        ; implicit-def: $vgpr17
                                        ; implicit-def: $vgpr21
                                        ; implicit-def: $vgpr25
	s_cbranch_execz .LBB558_47
; %bb.46:
	s_waitcnt vmcnt(0)
	v_mad_u64_u32 v[10:11], s[0:1], v27, s15, v[26:27]
	v_lshlrev_b32_e32 v27, 1, v10
	s_lshl_b32 s2, s15, 7
	s_and_b32 s1, s5, 0xffff
	s_mov_b32 s3, 0x20000
	s_mov_b32 s0, s4
	v_add_lshl_u32 v28, v10, s15, 1
	s_movk_i32 s13, 0x80
	buffer_load_dwordx4 v[10:13], v27, s[0:3], 0 offen
	buffer_load_dwordx4 v[18:21], v27, s[0:3], s13 offen
	;; [unrolled: 1-line block ×4, first 2 shown]
.LBB558_47:
	v_lshrrev_b32_e32 v48, 2, v48
	s_cbranch_execnz .LBB558_60
.LBB558_48:
	s_and_b64 vcc, exec, s[6:7]
	s_cbranch_vccz .LBB558_58
; %bb.49:
	s_waitcnt vmcnt(0)
	v_lshlrev_b32_e32 v15, 1, v35
	v_cmp_gt_i32_e32 vcc, s43, v15
	v_mov_b32_e32 v14, 0
	v_lshlrev_b32_e32 v22, 9, v35
	v_mov_b32_e32 v10, 0
	v_mov_b32_e32 v11, 0
	;; [unrolled: 1-line block ×4, first 2 shown]
	s_and_saveexec_b64 s[0:1], vcc
	s_cbranch_execz .LBB558_51
; %bb.50:
	v_mov_b32_e32 v23, 0
	v_lshl_add_u64 v[10:11], s[4:5], 0, v[22:23]
	v_lshlrev_b32_e32 v12, 1, v26
	v_mov_b32_e32 v13, v23
	v_lshl_add_u64 v[10:11], v[10:11], 0, v[12:13]
	global_load_dwordx4 v[10:13], v[10:11], off
.LBB558_51:
	s_or_b64 exec, exec, s[0:1]
	v_or_b32_e32 v15, 1, v15
	v_cmp_gt_i32_e64 s[0:1], s43, v15
	v_lshlrev_b32_e32 v28, 8, v15
	v_mov_b32_e32 v15, 0
	v_mov_b32_e32 v16, 0
	;; [unrolled: 1-line block ×3, first 2 shown]
	s_and_saveexec_b64 s[2:3], s[0:1]
	s_cbranch_execz .LBB558_53
; %bb.52:
	v_mov_b32_e32 v29, 0
	v_lshl_add_u64 v[14:15], s[4:5], 0, v[28:29]
	v_lshlrev_b32_e32 v16, 1, v26
	v_mov_b32_e32 v17, v29
	v_lshl_add_u64 v[14:15], v[14:15], 0, v[16:17]
	global_load_dwordx4 v[14:17], v[14:15], off
.LBB558_53:
	s_or_b64 exec, exec, s[2:3]
	v_mov_b32_e32 v25, 0
	v_mov_b32_e32 v18, 0
	;; [unrolled: 1-line block ×5, first 2 shown]
	s_and_saveexec_b64 s[2:3], vcc
	s_cbranch_execz .LBB558_55
; %bb.54:
	v_mov_b32_e32 v23, 0
	v_lshl_add_u64 v[18:19], s[4:5], 0, v[22:23]
	v_lshlrev_b32_e32 v22, 1, v26
	v_lshl_add_u64 v[18:19], v[18:19], 0, v[22:23]
	global_load_dwordx4 v[18:21], v[18:19], off offset:128
.LBB558_55:
	s_or_b64 exec, exec, s[2:3]
	v_mov_b32_e32 v24, 0
	v_mov_b32_e32 v23, 0
	;; [unrolled: 1-line block ×3, first 2 shown]
	s_and_saveexec_b64 s[2:3], s[0:1]
	s_cbranch_execz .LBB558_57
; %bb.56:
	v_mov_b32_e32 v29, 0
	v_lshl_add_u64 v[22:23], s[4:5], 0, v[28:29]
	v_lshlrev_b32_e32 v28, 1, v26
	v_lshl_add_u64 v[22:23], v[22:23], 0, v[28:29]
	global_load_dwordx4 v[22:25], v[22:23], off offset:128
.LBB558_57:
	s_or_b64 exec, exec, s[2:3]
	s_branch .LBB558_60
.LBB558_58:
                                        ; implicit-def: $vgpr13
                                        ; implicit-def: $vgpr17
                                        ; implicit-def: $vgpr21
                                        ; implicit-def: $vgpr25
	s_cbranch_execz .LBB558_60
; %bb.59:
	s_waitcnt vmcnt(0)
	v_lshlrev_b32_e32 v10, 1, v26
	v_lshl_or_b32 v26, v35, 9, v10
	s_and_b32 s5, s5, 0xffff
	s_mov_b32 s7, 0x20000
	s_movk_i32 s6, 0x4000
	s_movk_i32 s0, 0x80
	buffer_load_dwordx4 v[10:13], v26, s[4:7], 0 offen
	buffer_load_dwordx4 v[14:17], v26, s[4:7], 0 offen offset:256
	buffer_load_dwordx4 v[18:21], v26, s[4:7], s0 offen
	buffer_load_dwordx4 v[22:25], v26, s[4:7], s0 offen offset:256
.LBB558_60:
	ds_read2st64_b64 v[30:33], v49 offset0:76 offset1:77
	ds_read2st64_b64 v[26:29], v49 offset0:78 offset1:79
	ds_read_b64 v[40:41], v36 offset:24576
	ds_read_b64 v[42:43], v37 offset:24576
	;; [unrolled: 1-line block ×4, first 2 shown]
	v_and_b32_e32 v50, 6, v0
	v_xor_b32_e32 v35, v35, v50
	v_lshlrev_b32_e32 v35, 2, v35
	v_and_b32_e32 v51, 1, v0
	v_xor_b32_e32 v52, 0x440, v35
	v_cmp_eq_u32_e32 vcc, 0, v51
	s_mov_b32 s0, 0x1000504
	s_waitcnt vmcnt(0)
	v_perm_b32 v51, v18, v22, s0
	v_cndmask_b32_e32 v35, v52, v35, vcc
	v_lshl_or_b32 v35, v50, 10, v35
	v_perm_b32 v50, v10, v14, s0
	ds_write2st64_b32 v35, v50, v51 offset1:32
	v_xor_b32_e32 v50, 8, v35
	s_mov_b32 s1, 0x3020706
	v_perm_b32 v10, v10, v14, s1
	v_perm_b32 v14, v18, v22, s1
	v_add_u32_e32 v18, 0x80, v50
	ds_write2st64_b32 v18, v10, v14 offset1:32
	v_xor_b32_e32 v10, 16, v35
	v_perm_b32 v14, v11, v15, s0
	v_perm_b32 v18, v19, v23, s0
	ds_write2st64_b32 v10, v14, v18 offset0:1 offset1:33
	v_xor_b32_e32 v10, 24, v35
	v_perm_b32 v11, v11, v15, s1
	v_perm_b32 v14, v19, v23, s1
	v_add_u32_e32 v10, 0x80, v10
	ds_write2st64_b32 v10, v11, v14 offset0:1 offset1:33
	v_xor_b32_e32 v10, 32, v35
	v_perm_b32 v11, v12, v16, s0
	v_perm_b32 v14, v20, v24, s0
	ds_write2st64_b32 v10, v11, v14 offset0:2 offset1:34
	v_xor_b32_e32 v10, 40, v35
	v_perm_b32 v11, v12, v16, s1
	v_perm_b32 v12, v20, v24, s1
	v_add_u32_e32 v10, 0x80, v10
	ds_write2st64_b32 v10, v11, v12 offset0:2 offset1:34
	v_xor_b32_e32 v10, 48, v35
	v_perm_b32 v11, v13, v17, s0
	v_perm_b32 v12, v21, v25, s0
	ds_write2st64_b32 v10, v11, v12 offset0:3 offset1:35
	v_xor_b32_e32 v10, 56, v35
	v_and_or_b32 v16, v48, 12, v47
	v_perm_b32 v11, v13, v17, s1
	v_perm_b32 v12, v21, v25, s1
	v_add_u32_e32 v10, 0x80, v10
	v_cmp_gt_i32_e32 vcc, s43, v16
	v_mov_b32_e32 v17, 0
	v_mov_b32_e32 v21, 0
	ds_write2st64_b32 v10, v11, v12 offset0:3 offset1:35
	s_and_saveexec_b64 s[0:1], vcc
	s_cbranch_execz .LBB558_62
; %bb.61:
	v_add_u32_e32 v10, s42, v16
	v_ashrrev_i32_e32 v11, 31, v10
	v_mul_lo_u32 v12, v11, s30
	v_mul_lo_u32 v13, v10, s31
	v_mad_u64_u32 v[10:11], s[2:3], v10, s30, 0
	v_add3_u32 v11, v11, v13, v12
	v_lshl_add_u64 v[10:11], v[10:11], 2, s[10:11]
	global_load_dword v10, v[10:11], off
	s_waitcnt vmcnt(0)
	v_sub_f32_e32 v10, s12, v10
	v_exp_f32_e32 v21, v10
.LBB558_62:
	s_or_b64 exec, exec, s[0:1]
	v_or_b32_e32 v19, 1, v16
	v_cmp_gt_i32_e64 s[0:1], s43, v19
	s_and_saveexec_b64 s[2:3], s[0:1]
	s_cbranch_execz .LBB558_64
; %bb.63:
	v_add_u32_e32 v10, s42, v19
	v_ashrrev_i32_e32 v11, 31, v10
	v_mul_lo_u32 v12, v11, s30
	v_mul_lo_u32 v13, v10, s31
	v_mad_u64_u32 v[10:11], s[4:5], v10, s30, 0
	v_add3_u32 v11, v11, v13, v12
	v_lshl_add_u64 v[10:11], v[10:11], 2, s[10:11]
	global_load_dword v10, v[10:11], off
	s_waitcnt vmcnt(0)
	v_sub_f32_e32 v10, s12, v10
	v_exp_f32_e32 v17, v10
.LBB558_64:
	s_or_b64 exec, exec, s[2:3]
	v_or_b32_e32 v20, 2, v16
	v_cmp_gt_i32_e64 s[2:3], s43, v20
	v_mov_b32_e32 v18, 0
	v_mov_b32_e32 v23, 0
	s_and_saveexec_b64 s[4:5], s[2:3]
	s_cbranch_execz .LBB558_66
; %bb.65:
	v_add_u32_e32 v10, s42, v20
	v_ashrrev_i32_e32 v11, 31, v10
	v_mul_lo_u32 v12, v11, s30
	v_mul_lo_u32 v13, v10, s31
	v_mad_u64_u32 v[10:11], s[6:7], v10, s30, 0
	v_add3_u32 v11, v11, v13, v12
	v_lshl_add_u64 v[10:11], v[10:11], 2, s[10:11]
	global_load_dword v10, v[10:11], off
	s_waitcnt vmcnt(0)
	v_sub_f32_e32 v10, s12, v10
	v_exp_f32_e32 v23, v10
.LBB558_66:
	s_or_b64 exec, exec, s[4:5]
	v_or_b32_e32 v22, 3, v16
	v_cmp_gt_i32_e64 s[4:5], s43, v22
	s_and_saveexec_b64 s[6:7], s[4:5]
	s_cbranch_execz .LBB558_68
; %bb.67:
	v_add_u32_e32 v10, s42, v22
	v_ashrrev_i32_e32 v11, 31, v10
	v_mul_lo_u32 v12, v11, s30
	v_mul_lo_u32 v13, v10, s31
	v_mad_u64_u32 v[10:11], s[14:15], v10, s30, 0
	v_add3_u32 v11, v11, v13, v12
	v_lshl_add_u64 v[10:11], v[10:11], 2, s[10:11]
	global_load_dword v10, v[10:11], off
	s_waitcnt vmcnt(0)
	v_sub_f32_e32 v10, s12, v10
	v_exp_f32_e32 v18, v10
.LBB558_68:
	s_or_b64 exec, exec, s[6:7]
	s_waitcnt lgkmcnt(11)
	v_mfma_f32_16x16x16_bf16 a[0:3], v[40:41], v[30:31], a[0:3]
	s_add_u32 s6, s8, s26
	v_ashrrev_i32_e32 v35, 31, v34
	s_addc_u32 s7, s9, s27
	s_waitcnt lgkmcnt(10)
	v_mfma_f32_16x16x16_bf16 a[0:3], v[42:43], v[32:33], a[0:3]
	v_mov_b32_e32 v24, 0
	v_lshl_add_u64 v[14:15], v[34:35], 1, s[6:7]
	v_mov_b32_e32 v25, 0
	s_waitcnt lgkmcnt(9)
	v_mfma_f32_16x16x16_bf16 a[0:3], v[38:39], v[26:27], a[0:3]
	s_waitcnt lgkmcnt(8)
	v_mfma_f32_16x16x16_bf16 a[0:3], v[36:37], v[28:29], a[0:3]
	s_nop 6
	v_accvgpr_read_b32 v13, a3
	v_accvgpr_read_b32 v12, a2
	;; [unrolled: 1-line block ×4, first 2 shown]
	s_and_saveexec_b64 s[6:7], vcc
	s_cbranch_execz .LBB558_70
; %bb.69:
	v_lshlrev_b32_e32 v26, 8, v16
	v_mov_b32_e32 v27, 0
	v_lshl_add_u64 v[26:27], v[14:15], 0, v[26:27]
	global_load_ushort v25, v[26:27], off
	s_waitcnt vmcnt(0)
	v_lshlrev_b32_e32 v25, 16, v25
	v_sub_f32_e32 v10, v25, v10
	v_mul_f32_e32 v10, v21, v10
	v_lshrrev_b32_e32 v25, 16, v10
.LBB558_70:
	s_or_b64 exec, exec, s[6:7]
	s_and_saveexec_b64 s[6:7], s[0:1]
	s_cbranch_execz .LBB558_72
; %bb.71:
	v_lshlrev_b32_e32 v26, 8, v19
	v_mov_b32_e32 v27, 0
	v_lshl_add_u64 v[26:27], v[14:15], 0, v[26:27]
	global_load_ushort v10, v[26:27], off
	s_waitcnt vmcnt(0)
	v_lshlrev_b32_e32 v10, 16, v10
	v_sub_f32_e32 v10, v10, v11
	v_mul_f32_e32 v10, v17, v10
	v_lshrrev_b32_e32 v24, 16, v10
.LBB558_72:
	s_or_b64 exec, exec, s[6:7]
	v_mov_b32_e32 v11, 0
	v_mov_b32_e32 v17, 0
	s_and_saveexec_b64 s[0:1], s[2:3]
	s_cbranch_execz .LBB558_74
; %bb.73:
	v_lshlrev_b32_e32 v20, 8, v20
	v_mov_b32_e32 v21, 0
	v_lshl_add_u64 v[20:21], v[14:15], 0, v[20:21]
	global_load_ushort v10, v[20:21], off
	s_waitcnt vmcnt(0)
	v_lshlrev_b32_e32 v10, 16, v10
	v_sub_f32_e32 v10, v10, v12
	v_mul_f32_e32 v10, v23, v10
	v_lshrrev_b32_e32 v17, 16, v10
.LBB558_74:
	s_or_b64 exec, exec, s[0:1]
	v_or_b32_e32 v10, 0x9800, v49
	s_and_saveexec_b64 s[0:1], s[4:5]
	s_cbranch_execz .LBB558_76
; %bb.75:
	v_lshlrev_b32_e32 v20, 8, v22
	v_mov_b32_e32 v21, 0
	v_lshl_add_u64 v[14:15], v[14:15], 0, v[20:21]
	global_load_ushort v11, v[14:15], off
	s_waitcnt vmcnt(0)
	v_lshlrev_b32_e32 v11, 16, v11
	v_sub_f32_e32 v11, v11, v13
	v_mul_f32_e32 v11, v18, v11
	v_lshrrev_b32_e32 v11, 16, v11
.LBB558_76:
	s_or_b64 exec, exec, s[0:1]
	s_mov_b32 s0, 0x5040100
	v_perm_b32 v13, v11, v17, s0
	v_lshlrev_b32_e32 v11, 1, v44
	v_perm_b32 v12, v24, v25, s0
	v_lshl_or_b32 v11, v16, 5, v11
	s_movk_i32 s0, 0xff
	ds_write_b64 v11, v[12:13] offset:38912
	v_and_b32_e32 v11, 7, v0
	v_and_b32_e32 v12, 8, v0
	v_cmp_lt_u32_e32 vcc, s0, v0
	v_lshrrev_b32_e32 v0, 1, v0
	v_lshlrev_b32_e32 v22, 3, v11
	v_lshlrev_b32_e32 v23, 7, v11
	v_cndmask_b32_e64 v11, 0, 1, vcc
	v_lshlrev_b32_e32 v25, 3, v46
	v_and_b32_e32 v0, 24, v0
	v_lshlrev_b32_e32 v24, 13, v11
	v_xor_b32_e32 v11, v25, v0
	v_or_b32_e32 v13, 0x440, v11
	v_cmp_eq_u32_e32 vcc, 0, v12
	s_waitcnt lgkmcnt(0)
	s_barrier
	v_cndmask_b32_e32 v11, v13, v11, vcc
	v_or_b32_e32 v11, v11, v45
	v_xad_u32 v26, v11, v22, v23
	v_add_u32_e32 v11, v24, v26
	ds_read_b64 v[20:21], v11
	ds_read2st64_b64 v[12:15], v10 offset1:1
	ds_read2st64_b64 v[16:19], v10 offset0:2 offset1:3
	v_or_b32_e32 v10, 32, v0
	v_xor_b32_e32 v10, v25, v10
	v_or_b32_e32 v11, 0x440, v10
	v_cndmask_b32_e32 v10, v11, v10, vcc
	v_or_b32_e32 v10, v10, v45
	v_xad_u32 v27, v10, v22, v23
	v_add_u32_e32 v10, v24, v27
	ds_read_b64 v[10:11], v10
	s_waitcnt lgkmcnt(2)
	v_mfma_f32_16x16x16_bf16 a[0:3], v[20:21], v[12:13], 0
	s_waitcnt lgkmcnt(0)
	v_mfma_f32_16x16x16_bf16 a[0:3], v[10:11], v[14:15], a[0:3]
	v_or_b32_e32 v10, 64, v0
	v_xor_b32_e32 v10, v25, v10
	v_xor_b32_e32 v11, 0x440, v10
	v_cndmask_b32_e32 v10, v11, v10, vcc
	v_or_b32_e32 v10, v10, v45
	v_or_b32_e32 v0, 0x60, v0
	v_xad_u32 v28, v10, v22, v23
	v_xor_b32_e32 v0, v25, v0
	v_add_u32_e32 v10, v24, v28
	v_xor_b32_e32 v20, 0x440, v0
	ds_read_b64 v[10:11], v10
	v_cndmask_b32_e32 v0, v20, v0, vcc
	v_or_b32_e32 v0, v0, v45
	v_xad_u32 v0, v0, v22, v23
	v_add_u32_e32 v20, v24, v0
	ds_read_b64 v[20:21], v20
	s_waitcnt lgkmcnt(1)
	v_mfma_f32_16x16x16_bf16 a[0:3], v[10:11], v[16:17], a[0:3]
	ds_read_b64 v[10:11], v26 offset:8192
	ds_read_b64 v[22:23], v28 offset:8192
	v_exp_f32_e32 v24, s12
	s_waitcnt lgkmcnt(2)
	v_mfma_f32_16x16x16_bf16 a[0:3], v[20:21], v[18:19], a[0:3]
	ds_read_b64 v[20:21], v27 offset:8192
	s_waitcnt lgkmcnt(2)
	v_mfma_f32_16x16x16_bf16 a[4:7], v[10:11], v[12:13], 0
	s_nop 3
	v_accvgpr_read_b32 v10, a0
	v_fma_f32 v12, v2, v24, v10
	ds_read_b64 v[10:11], v0 offset:8192
	s_waitcnt lgkmcnt(1)
	v_mfma_f32_16x16x16_bf16 a[4:7], v[20:21], v[14:15], a[4:7]
	v_accvgpr_read_b32 v0, a1
	v_fma_f32 v13, v3, v24, v0
	v_accvgpr_read_b32 v0, a2
	v_mfma_f32_16x16x16_bf16 a[4:7], v[22:23], v[16:17], a[4:7]
	v_accvgpr_read_b32 v15, a3
	v_fma_f32 v14, v4, v24, v0
	v_fmac_f32_e32 v15, v5, v24
	s_waitcnt lgkmcnt(0)
	v_mfma_f32_16x16x16_bf16 a[0:3], v[10:11], v[18:19], a[4:7]
	v_mov_b32_e32 v10, v34
	s_nop 5
	v_accvgpr_read_b32 v0, a0
	v_fma_f32 v16, v6, v24, v0
	v_accvgpr_read_b32 v0, a1
	v_fma_f32 v17, v7, v24, v0
	v_accvgpr_read_b32 v0, a2
	v_accvgpr_read_b32 v19, a3
	v_fma_f32 v18, v8, v24, v0
	v_fmac_f32_e32 v19, v9, v24
	v_mov_b64_e32 v[2:3], v[12:13]
	v_mov_b64_e32 v[4:5], v[14:15]
	v_mov_b64_e32 v[6:7], v[16:17]
	v_mov_b64_e32 v[8:9], v[18:19]
.LBB558_77:
	s_lshl_b64 s[0:1], s[24:25], 15
	s_waitcnt lgkmcnt(0)
	s_add_u32 s0, s28, s0
	v_lshlrev_b32_e32 v10, 7, v10
	s_addc_u32 s1, s29, s1
	v_ashrrev_i32_e32 v11, 31, v10
	v_lshl_add_u64 v[10:11], v[10:11], 1, s[0:1]
	v_lshlrev_b32_e32 v0, 1, v1
	v_mov_b32_e32 v1, 0
	s_mov_b32 s0, 0x7060302
	v_lshl_add_u64 v[0:1], v[10:11], 0, v[0:1]
	v_perm_b32 v5, v5, v4, s0
	v_perm_b32 v4, v3, v2, s0
	;; [unrolled: 1-line block ×4, first 2 shown]
	global_store_dwordx2 v[0:1], v[4:5], off
	global_store_dwordx2 v[0:1], v[2:3], off offset:128
	s_endpgm
	.section	.rodata,"a",@progbits
	.p2align	6, 0x0
	.amdhsa_kernel _ZN12_GLOBAL__N_139chunk_gated_delta_rule_fwd_h_hip_kernelILi16ELb0ELb1ELb0ELb0ELb1ELb0ELb1ELb1EEEvPK12hip_bfloat16S3_S3_PKfS5_PKvPS1_S8_PvPKiSB_iiiiilll
		.amdhsa_group_segment_fixed_size 40960
		.amdhsa_private_segment_fixed_size 0
		.amdhsa_kernarg_size 136
		.amdhsa_user_sgpr_count 2
		.amdhsa_user_sgpr_dispatch_ptr 0
		.amdhsa_user_sgpr_queue_ptr 0
		.amdhsa_user_sgpr_kernarg_segment_ptr 1
		.amdhsa_user_sgpr_dispatch_id 0
		.amdhsa_user_sgpr_kernarg_preload_length 0
		.amdhsa_user_sgpr_kernarg_preload_offset 0
		.amdhsa_user_sgpr_private_segment_size 0
		.amdhsa_uses_dynamic_stack 0
		.amdhsa_enable_private_segment 0
		.amdhsa_system_sgpr_workgroup_id_x 1
		.amdhsa_system_sgpr_workgroup_id_y 1
		.amdhsa_system_sgpr_workgroup_id_z 0
		.amdhsa_system_sgpr_workgroup_info 0
		.amdhsa_system_vgpr_workitem_id 0
		.amdhsa_next_free_vgpr 116
		.amdhsa_next_free_sgpr 63
		.amdhsa_accum_offset 108
		.amdhsa_reserve_vcc 1
		.amdhsa_float_round_mode_32 0
		.amdhsa_float_round_mode_16_64 0
		.amdhsa_float_denorm_mode_32 3
		.amdhsa_float_denorm_mode_16_64 3
		.amdhsa_dx10_clamp 1
		.amdhsa_ieee_mode 1
		.amdhsa_fp16_overflow 0
		.amdhsa_tg_split 0
		.amdhsa_exception_fp_ieee_invalid_op 0
		.amdhsa_exception_fp_denorm_src 0
		.amdhsa_exception_fp_ieee_div_zero 0
		.amdhsa_exception_fp_ieee_overflow 0
		.amdhsa_exception_fp_ieee_underflow 0
		.amdhsa_exception_fp_ieee_inexact 0
		.amdhsa_exception_int_div_zero 0
	.end_amdhsa_kernel
	.section	.text._ZN12_GLOBAL__N_139chunk_gated_delta_rule_fwd_h_hip_kernelILi16ELb0ELb1ELb0ELb0ELb1ELb0ELb1ELb1EEEvPK12hip_bfloat16S3_S3_PKfS5_PKvPS1_S8_PvPKiSB_iiiiilll,"axG",@progbits,_ZN12_GLOBAL__N_139chunk_gated_delta_rule_fwd_h_hip_kernelILi16ELb0ELb1ELb0ELb0ELb1ELb0ELb1ELb1EEEvPK12hip_bfloat16S3_S3_PKfS5_PKvPS1_S8_PvPKiSB_iiiiilll,comdat
.Lfunc_end558:
	.size	_ZN12_GLOBAL__N_139chunk_gated_delta_rule_fwd_h_hip_kernelILi16ELb0ELb1ELb0ELb0ELb1ELb0ELb1ELb1EEEvPK12hip_bfloat16S3_S3_PKfS5_PKvPS1_S8_PvPKiSB_iiiiilll, .Lfunc_end558-_ZN12_GLOBAL__N_139chunk_gated_delta_rule_fwd_h_hip_kernelILi16ELb0ELb1ELb0ELb0ELb1ELb0ELb1ELb1EEEvPK12hip_bfloat16S3_S3_PKfS5_PKvPS1_S8_PvPKiSB_iiiiilll
                                        ; -- End function
	.section	.AMDGPU.csdata,"",@progbits
; Kernel info:
; codeLenInByte = 7816
; NumSgprs: 69
; NumVgprs: 106
; NumAgprs: 8
; TotalNumVgprs: 116
; ScratchSize: 0
; MemoryBound: 0
; FloatMode: 240
; IeeeMode: 1
; LDSByteSize: 40960 bytes/workgroup (compile time only)
; SGPRBlocks: 8
; VGPRBlocks: 14
; NumSGPRsForWavesPerEU: 69
; NumVGPRsForWavesPerEU: 116
; AccumOffset: 108
; Occupancy: 1
; WaveLimiterHint : 1
; COMPUTE_PGM_RSRC2:SCRATCH_EN: 0
; COMPUTE_PGM_RSRC2:USER_SGPR: 2
; COMPUTE_PGM_RSRC2:TRAP_HANDLER: 0
; COMPUTE_PGM_RSRC2:TGID_X_EN: 1
; COMPUTE_PGM_RSRC2:TGID_Y_EN: 1
; COMPUTE_PGM_RSRC2:TGID_Z_EN: 0
; COMPUTE_PGM_RSRC2:TIDIG_COMP_CNT: 0
; COMPUTE_PGM_RSRC3_GFX90A:ACCUM_OFFSET: 26
; COMPUTE_PGM_RSRC3_GFX90A:TG_SPLIT: 0
	.section	.text._ZN12_GLOBAL__N_139chunk_gated_delta_rule_fwd_h_hip_kernelILi16ELb0ELb0ELb1ELb0ELb1ELb0ELb1ELb1EEEvPK12hip_bfloat16S3_S3_PKfS5_PKvPS1_S8_PvPKiSB_iiiiilll,"axG",@progbits,_ZN12_GLOBAL__N_139chunk_gated_delta_rule_fwd_h_hip_kernelILi16ELb0ELb0ELb1ELb0ELb1ELb0ELb1ELb1EEEvPK12hip_bfloat16S3_S3_PKfS5_PKvPS1_S8_PvPKiSB_iiiiilll,comdat
	.globl	_ZN12_GLOBAL__N_139chunk_gated_delta_rule_fwd_h_hip_kernelILi16ELb0ELb0ELb1ELb0ELb1ELb0ELb1ELb1EEEvPK12hip_bfloat16S3_S3_PKfS5_PKvPS1_S8_PvPKiSB_iiiiilll ; -- Begin function _ZN12_GLOBAL__N_139chunk_gated_delta_rule_fwd_h_hip_kernelILi16ELb0ELb0ELb1ELb0ELb1ELb0ELb1ELb1EEEvPK12hip_bfloat16S3_S3_PKfS5_PKvPS1_S8_PvPKiSB_iiiiilll
	.p2align	8
	.type	_ZN12_GLOBAL__N_139chunk_gated_delta_rule_fwd_h_hip_kernelILi16ELb0ELb0ELb1ELb0ELb1ELb0ELb1ELb1EEEvPK12hip_bfloat16S3_S3_PKfS5_PKvPS1_S8_PvPKiSB_iiiiilll,@function
_ZN12_GLOBAL__N_139chunk_gated_delta_rule_fwd_h_hip_kernelILi16ELb0ELb0ELb1ELb0ELb1ELb0ELb1ELb1EEEvPK12hip_bfloat16S3_S3_PKfS5_PKvPS1_S8_PvPKiSB_iiiiilll: ; @_ZN12_GLOBAL__N_139chunk_gated_delta_rule_fwd_h_hip_kernelILi16ELb0ELb0ELb1ELb0ELb1ELb0ELb1ELb1EEEvPK12hip_bfloat16S3_S3_PKfS5_PKvPS1_S8_PvPKiSB_iiiiilll
; %bb.0:
	s_load_dwordx4 s[16:19], s[0:1], 0x5c
	s_load_dwordx4 s[12:15], s[0:1], 0x30
	s_abs_i32 s22, s3
	s_ashr_i32 s21, s3, 31
	s_load_dwordx8 s[4:11], s[0:1], 0x0
	s_waitcnt lgkmcnt(0)
	s_abs_i32 s20, s17
	v_cvt_f32_u32_e32 v1, s20
	s_sub_i32 s24, 0, s20
	s_ashr_i32 s23, s17, 31
	s_xor_b32 s21, s21, s23
	v_rcp_iflag_f32_e32 v1, v1
	v_lshrrev_b32_e32 v44, 6, v0
	v_bfe_u32 v45, v0, 4, 2
	v_lshlrev_b32_e32 v42, 4, v44
	v_mul_f32_e32 v1, 0x4f7ffffe, v1
	v_cvt_u32_f32_e32 v1, v1
	v_lshlrev_b32_e32 v2, 2, v45
	v_and_b32_e32 v43, 63, v0
	v_or_b32_e32 v48, v2, v42
	v_readfirstlane_b32 s25, v1
	s_mul_i32 s24, s24, s25
	s_mul_hi_u32 s24, s25, s24
	s_add_i32 s25, s25, s24
	s_mul_hi_u32 s24, s22, s25
	s_mul_i32 s25, s24, s20
	s_sub_i32 s22, s22, s25
	s_add_i32 s26, s24, 1
	s_sub_i32 s25, s22, s20
	s_cmp_ge_u32 s22, s20
	s_cselect_b32 s24, s26, s24
	s_cselect_b32 s22, s25, s22
	s_add_i32 s25, s24, 1
	s_cmp_ge_u32 s22, s20
	s_cselect_b32 s22, s25, s24
	s_xor_b32 s22, s22, s21
	s_sub_i32 s47, s22, s21
	s_abs_i32 s21, s18
	v_cvt_f32_u32_e32 v1, s21
	s_add_i32 s24, s16, 63
	s_mul_i32 s45, s47, s17
	s_sub_i32 s33, s3, s45
	v_rcp_iflag_f32_e32 v1, v1
	s_ashr_i32 s3, s24, 31
	s_ashr_i32 s46, s16, 31
	s_lshr_b32 s3, s3, 26
	v_mul_f32_e32 v1, 0x4f7ffffe, v1
	v_cvt_u32_f32_e32 v1, v1
	s_lshr_b32 s22, s46, 26
	s_add_i32 s24, s24, s3
	s_add_i32 s22, s16, s22
	s_ashr_i32 s49, s18, 31
	s_ashr_i32 s3, s24, 6
	;; [unrolled: 1-line block ×3, first 2 shown]
	s_xor_b32 s22, s23, s49
	s_sub_i32 s23, 0, s21
	v_readfirstlane_b32 s24, v1
	s_mul_i32 s23, s23, s24
	s_mul_hi_u32 s23, s24, s23
	s_add_i32 s24, s24, s23
	s_mul_hi_u32 s23, s20, s24
	s_mul_i32 s24, s23, s21
	s_sub_i32 s20, s20, s24
	s_add_i32 s24, s23, 1
	s_sub_i32 s25, s20, s21
	s_cmp_ge_u32 s20, s21
	s_cselect_b32 s23, s24, s23
	s_cselect_b32 s20, s25, s20
	s_add_i32 s24, s23, 1
	s_cmp_ge_u32 s20, s21
	s_cselect_b32 s20, s24, s23
	s_xor_b32 s20, s20, s22
	s_sub_i32 s24, s20, s22
	s_abs_i32 s25, s24
	v_cvt_f32_u32_e32 v1, s25
	s_load_dwordx2 s[34:35], s[0:1], 0x80
	s_load_dwordx4 s[20:23], s[0:1], 0x70
	s_xor_b32 s0, s33, s24
	s_sub_i32 s24, 0, s25
	v_rcp_iflag_f32_e32 v1, v1
	s_abs_i32 s1, s33
	s_ashr_i32 s0, s0, 31
	s_mul_i32 s50, s47, s3
	v_mul_f32_e32 v1, 0x4f7ffffe, v1
	v_cvt_u32_f32_e32 v1, v1
	v_or_b32_e32 v49, 64, v48
	v_mov_b32_e32 v3, 0
	s_mul_hi_i32 s51, s47, s17
	v_readfirstlane_b32 s26, v1
	s_mul_i32 s24, s24, s26
	s_mul_hi_u32 s24, s26, s24
	s_add_i32 s26, s26, s24
	s_mul_hi_u32 s24, s1, s26
	s_mul_i32 s26, s24, s25
	s_sub_i32 s1, s1, s26
	s_add_i32 s26, s24, 1
	s_sub_i32 s27, s1, s25
	s_cmp_ge_u32 s1, s25
	s_cselect_b32 s24, s26, s24
	s_cselect_b32 s1, s27, s1
	s_add_i32 s26, s24, 1
	s_cmp_ge_u32 s1, s25
	s_cselect_b32 s1, s26, s24
	s_xor_b32 s1, s1, s0
	s_sub_i32 s52, s1, s0
	s_lshl_b32 s36, s2, 4
	v_and_b32_e32 v1, 15, v0
	s_cmp_lt_i32 s16, 64
	v_lshrrev_b32_e32 v47, 3, v43
	v_lshlrev_b32_e32 v46, 3, v0
	s_waitcnt lgkmcnt(0)
	s_mul_i32 s21, s47, s21
	s_mul_hi_u32 s44, s47, s20
	s_mul_i32 s38, s47, s20
	v_mov_b32_e32 v61, 0
	v_mov_b32_e32 v34, 0
	;; [unrolled: 1-line block ×7, first 2 shown]
	s_cbranch_scc1 .LBB559_18
; %bb.1:
	s_ashr_i32 s28, s47, 31
	s_ashr_i32 s54, s33, 31
	s_add_u32 s0, s45, s33
	s_addc_u32 s1, s51, s54
	s_mul_i32 s1, s16, s1
	s_mul_hi_u32 s2, s16, s0
	s_add_i32 s3, s2, s1
	s_mul_i32 s2, s16, s0
	s_lshl_b64 s[0:1], s[2:3], 8
	v_and_b32_e32 v51, 56, v46
	s_add_u32 s24, s6, s0
	v_lshl_or_b32 v50, v44, 3, v47
	v_lshlrev_b32_e32 v3, 1, v51
	s_addc_u32 s0, s7, s1
	v_lshl_or_b32 v52, v50, 8, v3
	s_and_b32 s25, s0, 0xffff
	s_mov_b32 s27, 0x20000
	s_movk_i32 s26, 0x4000
	s_movk_i32 s0, 0x80
	v_or_b32_e32 v53, 0x2000, v52
	buffer_load_dwordx4 v[4:7], v52, s[24:27], 0 offen
	buffer_load_dwordx4 v[8:11], v52, s[24:27], s0 offen
	;; [unrolled: 1-line block ×4, first 2 shown]
	v_lshlrev_b32_e32 v20, 3, v50
	v_and_or_b32 v22, v0, 7, v20
	v_and_b32_e32 v20, 0x78, v20
	v_lshlrev_b32_e32 v22, 4, v22
	v_xor_b32_e32 v54, v22, v20
	v_mul_lo_u32 v21, v50, s19
	v_or_b32_e32 v55, 0x1000, v54
	s_cmpk_eq_i32 s19, 0x80
	s_mov_b32 s53, s18
	v_xor_b32_e32 v20, 8, v54
	v_xor_b32_e32 v22, 8, v55
	s_cselect_b64 s[0:1], -1, 0
	s_cmpk_lg_i32 s19, 0x80
	s_waitcnt vmcnt(3)
	ds_write_b64 v54, v[4:5] offset:16384
	ds_write_b64 v20, v[6:7] offset:16384
	s_waitcnt vmcnt(2)
	ds_write_b64 v54, v[8:9] offset:24576
	ds_write_b64 v20, v[10:11] offset:24576
	;; [unrolled: 3-line block ×4, first 2 shown]
	v_lshl_add_u32 v4, v21, 1, v51
	s_cbranch_scc0 .LBB559_3
; %bb.2:
	v_lshlrev_b32_e32 v6, 1, v4
	v_add_lshl_u32 v5, v4, s19, 1
	s_lshl_b32 s26, s19, 7
	v_lshl_or_b32 v3, v50, 9, v3
	s_cbranch_execz .LBB559_4
	s_branch .LBB559_5
.LBB559_3:
                                        ; implicit-def: $vgpr5
                                        ; implicit-def: $vgpr6
                                        ; implicit-def: $sgpr26
	v_lshl_or_b32 v3, v50, 9, v3
.LBB559_4:
	v_or_b32_e32 v5, 0x100, v3
	s_movk_i32 s26, 0x4000
	v_mov_b32_e32 v6, v3
.LBB559_5:
	s_mul_hi_u32 s24, s18, s16
	s_mul_i32 s25, s49, s16
	s_add_i32 s24, s24, s25
	s_mul_i32 s25, s18, s16
	s_mul_i32 s27, s25, s28
	s_mul_hi_u32 s29, s25, s47
	s_add_i32 s27, s29, s27
	s_mul_i32 s24, s24, s47
	s_add_i32 s27, s27, s24
	s_mul_i32 s25, s25, s47
	s_ashr_i32 s55, s52, 31
	s_add_u32 s24, s25, s52
	s_addc_u32 s25, s27, s55
	s_lshl_b64 s[24:25], s[24:25], 8
	s_add_u32 s24, s4, s24
	s_addc_u32 s25, s5, s25
	s_and_b32 s25, s25, 0xffff
	s_mov_b32 s27, 0x20000
	s_movk_i32 s56, 0x80
	buffer_load_dwordx4 v[8:11], v6, s[24:27], 0 offen
	buffer_load_dwordx4 v[12:15], v6, s[24:27], s56 offen
	buffer_load_dwordx4 v[16:19], v5, s[24:27], 0 offen
	buffer_load_dwordx4 v[20:23], v5, s[24:27], s56 offen
	v_and_b32_e32 v5, 6, v0
	s_mul_i32 s24, s28, s16
	s_mul_hi_u32 s25, s47, s16
	v_lshlrev_b32_e32 v7, 2, v1
	v_lshlrev_b32_e32 v24, 3, v1
	v_xor_b32_e32 v26, v50, v5
	v_and_b32_e32 v6, 1, v0
	s_mul_i32 s28, s28, s20
	v_lshl_or_b32 v24, v48, 5, v24
	v_xor_b32_e32 v27, v48, v7
	v_lshlrev_b32_e32 v26, 2, v26
	s_add_i32 s61, s25, s24
	s_add_i32 s24, s44, s21
	v_or_b32_e32 v56, 0x9000, v24
	v_or_b32_e32 v57, 0x9800, v24
	v_lshlrev_b32_e32 v24, 1, v27
	v_xor_b32_e32 v27, 0x440, v26
	v_cmp_eq_u32_e32 vcc, 0, v6
	s_add_i32 s39, s24, s28
	s_mul_i32 s24, s33, s23
	s_mul_hi_u32 s25, s33, s22
	v_cndmask_b32_e32 v6, v27, v26, vcc
	s_add_i32 s24, s25, s24
	s_mul_i32 s25, s54, s22
	s_mov_b32 s58, 0x1000504
	v_lshlrev_b32_e32 v25, 8, v1
	s_mov_b32 s26, 0x8000
	v_xor_b32_e32 v7, v49, v7
	v_lshl_or_b32 v5, v5, 10, v6
	s_add_i32 s25, s24, s25
	s_lshl_b64 s[28:29], s[38:39], 2
	s_mov_b32 s59, 0x3020706
	v_lshlrev_b32_e32 v7, 1, v7
	v_or3_b32 v58, v24, v25, s26
	v_xor_b32_e32 v6, 8, v5
	v_xor_b32_e32 v24, 24, v5
	;; [unrolled: 1-line block ×4, first 2 shown]
	s_mul_i32 s24, s33, s22
	s_add_u32 s28, s10, s28
	v_or3_b32 v59, v7, v25, s26
	v_xor_b32_e32 v7, 16, v5
	v_xor_b32_e32 v25, 32, v5
	;; [unrolled: 1-line block ×3, first 2 shown]
	v_add_u32_e32 v6, 0x80, v6
	v_add_u32_e32 v24, 0x80, v24
	;; [unrolled: 1-line block ×4, first 2 shown]
	s_addc_u32 s29, s11, s29
	s_lshl_b64 s[24:25], s[24:25], 2
	s_add_u32 s40, s28, s24
	s_movk_i32 s24, 0xf8
	s_addc_u32 s41, s29, s25
	s_ashr_i32 s37, s36, 31
	s_lshl_b32 s30, s19, 7
	v_mov_b32_e32 v35, 0
	s_mov_b32 s57, 0
	s_mul_i32 s60, s47, s16
	v_add_u32_e32 v78, v42, v2
	s_mov_b32 s62, 0
	v_mov_b32_e32 v62, v35
	v_mov_b32_e32 v63, v35
	;; [unrolled: 1-line block ×6, first 2 shown]
	s_waitcnt vmcnt(1)
	v_perm_b32 v29, v8, v16, s58
	s_waitcnt vmcnt(0)
	v_perm_b32 v30, v12, v20, s58
	v_perm_b32 v8, v8, v16, s59
	;; [unrolled: 1-line block ×15, first 2 shown]
	ds_write2st64_b32 v5, v29, v30 offset1:32
	ds_write2st64_b32 v6, v8, v12 offset1:32
	ds_write2st64_b32 v7, v16, v20 offset0:1 offset1:33
	ds_write2st64_b32 v24, v9, v13 offset0:1 offset1:33
	;; [unrolled: 1-line block ×6, first 2 shown]
	v_or_b32_e32 v5, v42, v1
	v_lshlrev_b32_e32 v5, 3, v5
	v_lshrrev_b32_e32 v7, 5, v43
	v_and_or_b32 v7, v5, s24, v7
	v_lshlrev_b32_e32 v7, 4, v7
	v_lshlrev_b32_e32 v10, 11, v44
	v_and_b32_e32 v5, 0x78, v5
	v_or_b32_e32 v12, 32, v7
	v_and_b32_e32 v6, 0x1000, v10
	v_lshrrev_b32_e32 v11, 1, v0
	v_xor_b32_e32 v12, v12, v5
	v_and_b32_e32 v9, 8, v11
	v_or_b32_e32 v12, v12, v6
	v_xor_b32_e32 v8, v7, v5
	v_xor_b32_e32 v66, v12, v9
	v_or_b32_e32 v12, 64, v7
	v_or_b32_e32 v7, 0x60, v7
	v_xor_b32_e32 v12, v12, v5
	v_xor_b32_e32 v5, v7, v5
	v_or_b32_e32 v5, v5, v6
	v_or_b32_e32 v12, v12, v6
	v_xor_b32_e32 v68, v5, v9
	v_lshlrev_b32_e32 v5, 1, v1
	v_xor_b32_e32 v67, v12, v9
	v_lshlrev_b32_e32 v12, 1, v4
	v_add_lshl_u32 v13, v4, s19, 1
	v_lshrrev_b32_e32 v4, 4, v0
	s_lshl_b64 s[24:25], s[36:37], 8
	v_or_b32_e32 v15, 1, v5
	s_add_u32 s24, s12, s24
	v_xor_b32_e32 v5, v4, v5
	v_xor_b32_e32 v15, v15, v4
	s_addc_u32 s25, s13, s25
	v_lshlrev_b32_e32 v5, 3, v5
	v_lshlrev_b32_e32 v34, 8, v4
	;; [unrolled: 1-line block ×3, first 2 shown]
	v_or3_b32 v70, v5, v34, s26
	v_or3_b32 v71, v4, v34, s26
	v_lshl_add_u64 v[4:5], s[24:25], 0, v[34:35]
	v_lshlrev_b32_e32 v34, 4, v1
	s_movk_i32 s24, 0xff
	v_lshlrev_b32_e32 v17, 3, v44
	v_and_b32_e32 v11, 24, v11
	v_lshl_add_u64 v[36:37], v[4:5], 0, v[34:35]
	v_and_b32_e32 v5, 8, v0
	v_cmp_lt_u32_e32 vcc, s24, v0
	v_xor_b32_e32 v18, v17, v11
	v_or_b32_e32 v19, 0x440, v18
	v_cndmask_b32_e64 v16, 0, 1, vcc
	v_cmp_eq_u32_e32 vcc, 0, v5
	v_and_b32_e32 v4, 7, v0
	v_lshlrev_b32_e32 v15, 3, v4
	v_cndmask_b32_e32 v5, v19, v18, vcc
	v_lshlrev_b32_e32 v4, 7, v4
	v_or_b32_e32 v5, v5, v10
	v_xad_u32 v72, v5, v15, v4
	v_or_b32_e32 v5, 32, v11
	v_xor_b32_e32 v5, v17, v5
	v_or_b32_e32 v18, 0x440, v5
	v_cndmask_b32_e32 v5, v18, v5, vcc
	v_or_b32_e32 v5, v5, v10
	v_xad_u32 v73, v5, v15, v4
	v_or_b32_e32 v5, 64, v11
	v_xor_b32_e32 v5, v17, v5
	v_xor_b32_e32 v18, 0x440, v5
	v_cndmask_b32_e32 v5, v18, v5, vcc
	v_or_b32_e32 v5, v5, v10
	v_xad_u32 v74, v5, v15, v4
	v_or_b32_e32 v5, 0x60, v11
	v_xor_b32_e32 v5, v17, v5
	v_or_b32_e32 v8, v8, v6
	v_or_b32_e32 v6, s36, v1
	v_xor_b32_e32 v11, 0x440, v5
	v_xor_b32_e32 v64, v8, v9
	v_and_b32_e32 v8, 0x78, v46
	v_ashrrev_i32_e32 v7, 31, v6
	v_cndmask_b32_e32 v5, v11, v5, vcc
	v_lshl_or_b32 v8, v45, 7, v8
	v_lshlrev_b64 v[6:7], 1, v[6:7]
	v_or_b32_e32 v5, v5, v10
	v_or_b32_e32 v65, 0x9000, v8
	;; [unrolled: 1-line block ×3, first 2 shown]
	v_lshl_add_u64 v[8:9], s[8:9], 0, v[6:7]
	v_lshl_add_u64 v[6:7], s[14:15], 0, v[6:7]
	v_or_b32_e32 v14, 0x100, v3
	v_lshlrev_b32_e32 v16, 13, v16
	v_xad_u32 v75, v5, v15, v4
	v_lshlrev_b32_e32 v34, 8, v48
	v_cndmask_b32_e64 v76, v12, v3, s[0:1]
	v_cndmask_b32_e64 v77, v13, v14, s[0:1]
	v_lshl_add_u64 v[38:39], v[8:9], 0, v[34:35]
	v_lshl_add_u64 v[40:41], v[6:7], 0, v[34:35]
	s_mov_b32 s37, 0x7060302
	s_movk_i32 s26, 0x4000
	v_add_u32_e32 v79, v16, v72
	v_add_u32_e32 v80, v16, v73
	;; [unrolled: 1-line block ×4, first 2 shown]
	v_mov_b32_e32 v34, v35
	s_waitcnt lgkmcnt(0)
	s_barrier
.LBB559_6:                              ; =>This Inner Loop Header: Depth=1
	s_add_i32 s39, s62, 1
	s_cmp_lt_i32 s39, s48
	s_mov_b64 s[28:29], 0
	s_cselect_b64 s[42:43], -1, 0
	s_cmp_ge_i32 s39, s48
	s_mov_b64 s[24:25], 0
	s_cbranch_scc1 .LBB559_8
; %bb.7:                                ;   in Loop: Header=BB559_6 Depth=1
	s_add_i32 s0, s57, 64
	s_add_u32 s0, s2, s0
	s_addc_u32 s1, s3, 0
	s_lshl_b64 s[0:1], s[0:1], 8
	s_add_u32 s24, s6, s0
	s_addc_u32 s25, s7, s1
.LBB559_8:                              ;   in Loop: Header=BB559_6 Depth=1
	v_cndmask_b32_e64 v2, 0, 1, s[42:43]
	v_cmp_ne_u32_e64 s[0:1], 1, v2
	s_andn2_b64 vcc, exec, s[42:43]
	s_cbranch_vccnz .LBB559_10
; %bb.9:                                ;   in Loop: Header=BB559_6 Depth=1
	s_add_i32 s28, s57, 64
	s_add_u32 s28, s60, s28
	s_addc_u32 s29, s61, 0
	s_mul_i32 s31, s28, s49
	s_mul_hi_u32 s42, s28, s53
	s_add_i32 s31, s42, s31
	s_mul_i32 s29, s29, s53
	s_add_i32 s31, s31, s29
	s_mul_i32 s28, s28, s53
	s_add_u32 s28, s28, s52
	s_addc_u32 s29, s31, s55
	s_lshl_b64 s[28:29], s[28:29], 8
	s_add_u32 s28, s4, s28
	s_addc_u32 s29, s5, s29
.LBB559_10:                             ;   in Loop: Header=BB559_6 Depth=1
	v_perm_b32 v3, v84, v63, s37
	v_perm_b32 v2, v62, v35, s37
	;; [unrolled: 1-line block ×4, first 2 shown]
	ds_write_b64 v56, v[2:3]
	ds_write_b64 v57, v[4:5]
	;; [unrolled: 1-line block ×4, first 2 shown]
	s_waitcnt lgkmcnt(0)
	s_barrier
	ds_read_b64 v[10:11], v64 offset:16384
	ds_read_b64 v[12:13], v66 offset:16384
	ds_read2st64_b64 v[2:5], v65 offset1:1
	ds_read2st64_b64 v[6:9], v65 offset0:2 offset1:3
	ds_read_b64 v[14:15], v67 offset:16384
	s_waitcnt lgkmcnt(2)
	v_mfma_f32_16x16x16_bf16 a[0:3], v[10:11], v[2:3], 0
	ds_read_b64 v[2:3], v68 offset:16384
	s_add_i32 s31, s57, 63
	s_mul_i32 s42, s31, s35
	v_mfma_f32_16x16x16_bf16 a[0:3], v[12:13], v[4:5], a[0:3]
	s_mul_hi_u32 s43, s31, s34
	s_add_i32 s43, s43, s42
	s_mul_i32 s42, s31, s34
	s_waitcnt lgkmcnt(1)
	v_mfma_f32_16x16x16_bf16 a[0:3], v[14:15], v[6:7], a[0:3]
	s_lshl_b64 s[42:43], s[42:43], 2
	s_add_u32 s42, s40, s42
	s_addc_u32 s43, s41, s43
	s_waitcnt lgkmcnt(0)
	v_mfma_f32_16x16x16_bf16 a[0:3], v[2:3], v[8:9], a[0:3]
	s_and_b64 vcc, exec, s[0:1]
	v_mov_b32_e32 v87, 0
	v_mov_b32_e32 v86, 0
	;; [unrolled: 1-line block ×19, first 2 shown]
	s_cbranch_vccnz .LBB559_12
; %bb.11:                               ;   in Loop: Header=BB559_6 Depth=1
	s_and_b32 s25, s25, 0xffff
	buffer_load_dwordx4 v[14:17], v52, s[24:27], 0 offen
	buffer_load_dwordx4 v[10:13], v52, s[24:27], s56 offen
	;; [unrolled: 1-line block ×4, first 2 shown]
	v_mov_b32_e32 v86, v54
	v_mov_b32_e32 v85, v55
.LBB559_12:                             ;   in Loop: Header=BB559_6 Depth=1
	s_waitcnt vmcnt(3)
	v_add_u32_e32 v24, s57, v78
	s_waitcnt vmcnt(1)
	v_ashrrev_i32_e32 v18, 31, v24
	v_mul_lo_u32 v20, v18, s34
	v_mul_lo_u32 v21, v24, s35
	v_mad_u64_u32 v[18:19], s[24:25], v24, s34, 0
	v_add3_u32 v19, v19, v21, v20
	v_add_u32_e32 v20, 1, v24
	v_ashrrev_i32_e32 v21, 31, v20
	v_mul_lo_u32 v22, v21, s34
	v_mul_lo_u32 v23, v20, s35
	v_mad_u64_u32 v[20:21], s[24:25], v20, s34, 0
	v_add3_u32 v21, v21, v23, v22
	v_add_u32_e32 v22, 2, v24
	v_ashrrev_i32_e32 v23, 31, v22
	v_mul_lo_u32 v25, v23, s34
	v_mul_lo_u32 v26, v22, s35
	v_mad_u64_u32 v[22:23], s[24:25], v22, s34, 0
	s_add_u32 s24, s2, s57
	v_add3_u32 v23, v23, v26, v25
	v_add_u32_e32 v26, 3, v24
	s_addc_u32 s25, s3, 0
	v_ashrrev_i32_e32 v24, 31, v26
	s_lshl_b64 s[64:65], s[24:25], 8
	v_lshl_add_u64 v[18:19], v[18:19], 2, s[40:41]
	v_mul_lo_u32 v27, v24, s34
	v_lshl_add_u64 v[24:25], v[38:39], 0, s[64:65]
	v_mul_lo_u32 v28, v26, s35
	global_load_ushort v89, v[24:25], off
	global_load_ushort v94, v[24:25], off offset:256
	global_load_ushort v95, v[24:25], off offset:512
	;; [unrolled: 1-line block ×3, first 2 shown]
	global_load_dword v97, v[18:19], off
	v_mad_u64_u32 v[18:19], s[24:25], v26, s34, 0
	v_lshl_add_u64 v[20:21], v[20:21], 2, s[40:41]
	v_add3_u32 v19, v19, v28, v27
	v_lshl_add_u64 v[22:23], v[22:23], 2, s[40:41]
	v_lshl_add_u64 v[18:19], v[18:19], 2, s[40:41]
	global_load_dword v98, v[20:21], off
	global_load_dword v99, v[22:23], off
	;; [unrolled: 1-line block ×3, first 2 shown]
	s_load_dword s24, s[42:43], 0x0
	ds_read_b64 v[26:27], v64 offset:24576
	ds_read2st64_b64 v[22:25], v69 offset1:1
	ds_read2st64_b64 v[28:31], v69 offset0:2 offset1:3
	ds_read_b64 v[32:33], v66 offset:24576
	ds_read_b64 v[90:91], v67 offset:24576
	;; [unrolled: 1-line block ×3, first 2 shown]
	s_waitcnt lgkmcnt(0)
	v_mfma_f32_16x16x16_bf16 a[0:3], v[26:27], v[22:23], a[0:3]
	v_mov_b32_e32 v88, 0
	v_mov_b32_e32 v18, 0
	;; [unrolled: 1-line block ×3, first 2 shown]
	v_mfma_f32_16x16x16_bf16 a[0:3], v[32:33], v[24:25], a[0:3]
	v_mov_b32_e32 v20, 0
	v_mov_b32_e32 v21, 0
	;; [unrolled: 1-line block ×3, first 2 shown]
	v_mfma_f32_16x16x16_bf16 a[0:3], v[90:91], v[28:29], a[0:3]
	v_lshl_add_u64 v[28:29], v[40:41], 0, s[64:65]
	v_mov_b32_e32 v23, 0
	v_mov_b32_e32 v24, 0
	v_mfma_f32_16x16x16_bf16 a[0:3], v[92:93], v[30:31], a[0:3]
	v_mov_b32_e32 v25, 0
	v_mov_b32_e32 v26, 0
	;; [unrolled: 1-line block ×3, first 2 shown]
	s_and_b64 vcc, exec, s[0:1]
	s_waitcnt vmcnt(7)
	v_lshlrev_b32_e32 v90, 16, v89
	s_nop 0
	v_accvgpr_read_b32 v33, a1
	v_accvgpr_read_b32 v31, a3
	;; [unrolled: 1-line block ×4, first 2 shown]
	s_waitcnt vmcnt(6)
	v_lshlrev_b32_e32 v91, 16, v94
	s_waitcnt vmcnt(4)
	v_lshlrev_b32_e32 v93, 16, v96
	v_lshlrev_b32_e32 v92, 16, v95
	s_waitcnt vmcnt(3)
	v_sub_f32_e32 v89, s24, v97
	v_pk_add_f32 v[32:33], v[90:91], v[32:33] neg_lo:[0,1] neg_hi:[0,1]
	v_pk_add_f32 v[30:31], v[92:93], v[30:31] neg_lo:[0,1] neg_hi:[0,1]
	v_exp_f32_e32 v90, v89
	s_waitcnt vmcnt(2)
	v_sub_f32_e32 v89, s24, v98
	s_waitcnt vmcnt(1)
	v_sub_f32_e32 v92, s24, v99
	;; [unrolled: 2-line block ×3, first 2 shown]
	v_exp_f32_e32 v91, v89
	v_exp_f32_e32 v92, v92
	;; [unrolled: 1-line block ×3, first 2 shown]
	global_store_short_d16_hi v[28:29], v32, off
	global_store_short_d16_hi v[28:29], v33, off offset:256
	global_store_short_d16_hi v[28:29], v30, off offset:512
	;; [unrolled: 1-line block ×3, first 2 shown]
	v_pk_mul_f32 v[28:29], v[90:91], v[32:33]
	v_pk_mul_f32 v[30:31], v[92:93], v[30:31]
	v_perm_b32 v28, v29, v28, s37
	v_perm_b32 v29, v31, v30, s37
	ds_write_b64 v57, v[28:29]
	v_mov_b32_e32 v28, 0
	v_mov_b32_e32 v29, 0
	;; [unrolled: 1-line block ×6, first 2 shown]
	s_cbranch_vccnz .LBB559_14
; %bb.13:                               ;   in Loop: Header=BB559_6 Depth=1
	s_and_b32 s29, s29, 0xffff
	s_mov_b32 s31, s27
	buffer_load_dwordx4 v[30:33], v76, s[28:31], 0 offen
	buffer_load_dwordx4 v[22:25], v76, s[28:31], s56 offen
	;; [unrolled: 1-line block ×4, first 2 shown]
	v_mov_b32_e32 v87, v51
	v_mov_b32_e32 v88, v50
.LBB559_14:                             ;   in Loop: Header=BB559_6 Depth=1
	s_waitcnt lgkmcnt(0)
	s_barrier
	ds_read_b64 v[98:99], v79
	ds_read2st64_b64 v[90:93], v69 offset1:1
	ds_read2st64_b64 v[94:97], v69 offset0:2 offset1:3
	ds_read_b64 v[100:101], v80
	ds_read_b64 v[102:103], v81
	;; [unrolled: 1-line block ×3, first 2 shown]
	s_waitcnt lgkmcnt(4)
	v_mfma_f32_16x16x16_bf16 a[0:3], v[98:99], v[90:91], 0
	ds_read_b64 v[98:99], v72 offset:8192
	ds_read_b64 v[106:107], v73 offset:8192
	s_add_i32 s25, s50, s62
	s_mul_hi_i32 s29, s25, s17
	s_waitcnt lgkmcnt(1)
	v_mfma_f32_16x16x16_bf16 a[4:7], v[98:99], v[90:91], 0
	s_mul_i32 s25, s25, s17
	s_add_u32 s28, s25, s33
	s_addc_u32 s29, s29, s54
	v_mfma_f32_16x16x16_bf16 a[0:3], v[100:101], v[92:93], a[0:3]
	ds_read_b64 v[98:99], v70
	ds_read_b64 v[100:101], v71
	ds_read_b64 v[90:91], v74 offset:8192
	s_lshl_b64 s[28:29], s[28:29], 15
	v_mfma_f32_16x16x16_bf16 a[0:3], v[102:103], v[94:95], a[0:3]
	ds_read_b64 v[102:103], v75 offset:8192
	s_and_b64 vcc, exec, s[0:1]
	s_waitcnt lgkmcnt(4)
	v_mfma_f32_16x16x16_bf16 a[4:7], v[106:107], v[92:93], a[4:7]
	s_waitcnt lgkmcnt(1)
	v_mfma_f32_16x16x16_bf16 a[4:7], v[90:91], v[94:95], a[4:7]
	v_lshl_add_u64 v[90:91], v[36:37], 0, s[28:29]
	global_store_dwordx4 v[90:91], v[98:101], off
	v_mfma_f32_16x16x16_bf16 a[0:3], v[104:105], v[96:97], a[0:3]
	s_waitcnt lgkmcnt(0)
	v_mfma_f32_16x16x16_bf16 a[4:7], v[102:103], v[96:97], a[4:7]
	s_cbranch_vccnz .LBB559_16
; %bb.15:                               ;   in Loop: Header=BB559_6 Depth=1
	v_lshrrev_b32_e32 v89, 3, v87
	v_and_b32_e32 v89, 6, v89
	v_xor_b32_e32 v88, v89, v88
	v_lshlrev_b32_e32 v88, 2, v88
	v_and_b32_e32 v87, 8, v87
	v_xor_b32_e32 v90, 0x440, v88
	v_cmp_eq_u32_e32 vcc, 0, v87
	s_barrier
	s_nop 0
	v_cndmask_b32_e32 v87, v90, v88, vcc
	v_lshl_or_b32 v87, v89, 10, v87
	s_waitcnt vmcnt(2)
	v_perm_b32 v88, v30, v26, s58
	s_waitcnt vmcnt(1)
	v_perm_b32 v89, v22, v18, s58
	ds_write2st64_b32 v87, v88, v89 offset1:32
	v_xor_b32_e32 v88, 8, v87
	v_perm_b32 v26, v30, v26, s59
	v_perm_b32 v18, v22, v18, s59
	v_add_u32_e32 v22, 0x80, v88
	ds_write2st64_b32 v22, v26, v18 offset1:32
	v_xor_b32_e32 v18, 16, v87
	v_perm_b32 v22, v31, v27, s58
	v_perm_b32 v26, v23, v19, s58
	ds_write2st64_b32 v18, v22, v26 offset0:1 offset1:33
	v_xor_b32_e32 v18, 24, v87
	v_perm_b32 v22, v31, v27, s59
	v_perm_b32 v19, v23, v19, s59
	v_add_u32_e32 v18, 0x80, v18
	ds_write2st64_b32 v18, v22, v19 offset0:1 offset1:33
	v_xor_b32_e32 v18, 32, v87
	v_perm_b32 v19, v32, v28, s58
	v_perm_b32 v22, v24, v20, s58
	ds_write2st64_b32 v18, v19, v22 offset0:2 offset1:34
	v_xor_b32_e32 v18, 40, v87
	v_perm_b32 v19, v32, v28, s59
	v_perm_b32 v20, v24, v20, s59
	v_add_u32_e32 v18, 0x80, v18
	ds_write2st64_b32 v18, v19, v20 offset0:2 offset1:34
	;; [unrolled: 9-line block ×3, first 2 shown]
	ds_write_b64 v86, v[14:15] offset:16384
	v_xor_b32_e32 v14, 8, v86
	ds_write_b64 v14, v[16:17] offset:16384
	ds_write_b64 v86, v[10:11] offset:24576
	;; [unrolled: 1-line block ×4, first 2 shown]
	v_xor_b32_e32 v6, 8, v85
	ds_write_b64 v6, v[8:9] offset:16384
	ds_write_b64 v85, v[2:3] offset:24576
	;; [unrolled: 1-line block ×3, first 2 shown]
.LBB559_16:                             ;   in Loop: Header=BB559_6 Depth=1
	v_exp_f32_e32 v2, s24
	s_nop 2
	v_accvgpr_read_b32 v3, a0
	v_accvgpr_read_b32 v4, a1
	s_add_i32 s57, s57, 64
	v_fma_f32 v35, v35, v2, v3
	v_accvgpr_read_b32 v3, a2
	v_fma_f32 v63, v63, v2, v3
	v_accvgpr_read_b32 v3, a4
	v_fma_f32 v60, v60, v2, v3
	v_accvgpr_read_b32 v3, a5
	v_fma_f32 v34, v34, v2, v3
	v_accvgpr_read_b32 v3, a6
	v_fma_f32 v62, v62, v2, v4
	v_accvgpr_read_b32 v4, a3
	v_fma_f32 v61, v61, v2, v3
	v_accvgpr_read_b32 v3, a7
	v_fmac_f32_e32 v4, v84, v2
	s_cmp_eq_u32 s48, s39
	v_fmac_f32_e32 v3, v83, v2
	s_cbranch_scc1 .LBB559_18
; %bb.17:                               ;   in Loop: Header=BB559_6 Depth=1
	s_mov_b32 s62, s39
	v_mov_b32_e32 v84, v4
	v_mov_b32_e32 v83, v3
	s_branch .LBB559_6
.LBB559_18:
	s_lshl_b32 s42, s48, 6
	s_sub_i32 s43, s16, s42
	s_cmp_gt_i32 s43, 0
	s_cbranch_scc0 .LBB559_75
; %bb.19:
	s_ashr_i32 s39, s47, 31
	s_ashr_i32 s2, s42, 31
	s_cmpk_lg_i32 s19, 0x80
	s_cselect_b64 s[30:31], -1, 0
	s_and_b64 vcc, exec, s[30:31]
	s_cbranch_vccz .LBB559_21
; %bb.20:
	s_mul_i32 s1, s47, s16
	s_mul_hi_i32 s0, s47, s16
	s_add_u32 s1, s1, s42
	s_addc_u32 s0, s0, s2
	s_mul_i32 s3, s1, s49
	s_mul_hi_u32 s24, s1, s18
	s_add_i32 s3, s24, s3
	s_mul_i32 s0, s0, s18
	s_add_i32 s3, s3, s0
	s_mul_i32 s1, s1, s18
	s_ashr_i32 s0, s52, 31
	s_add_u32 s40, s1, s52
	s_addc_u32 s41, s3, s0
	s_cbranch_execz .LBB559_22
	s_branch .LBB559_23
.LBB559_21:
                                        ; implicit-def: $sgpr40_sgpr41
.LBB559_22:
	s_mul_hi_i32 s0, s47, s18
	s_mul_i32 s47, s47, s18
	s_ashr_i32 s1, s52, 31
	s_add_u32 s3, s47, s52
	s_addc_u32 s0, s0, s1
	s_mul_i32 s1, s3, s46
	s_mul_hi_u32 s18, s3, s16
	s_add_i32 s1, s18, s1
	s_mul_i32 s0, s0, s16
	s_add_i32 s1, s1, s0
	s_mul_i32 s3, s3, s16
	s_add_u32 s40, s3, s42
	s_addc_u32 s41, s1, s2
.LBB559_23:
	s_add_i32 s3, s50, s48
	s_ashr_i32 s18, s33, 31
	s_add_u32 s0, s45, s33
	s_addc_u32 s1, s51, s18
	s_mul_i32 s24, s0, s46
	s_mul_hi_u32 s25, s0, s16
	s_add_i32 s24, s25, s24
	s_mul_i32 s1, s1, s16
	s_add_i32 s24, s24, s1
	s_mul_i32 s0, s0, s16
	s_add_u32 s0, s0, s42
	s_addc_u32 s1, s24, s2
	s_mov_b32 s2, 0x7060302
	v_lshlrev_b32_e32 v6, 3, v1
	v_perm_b32 v5, v4, v63, s2
	v_perm_b32 v4, v62, v35, s2
	;; [unrolled: 1-line block ×4, first 2 shown]
	v_lshlrev_b32_e32 v34, 2, v1
	v_lshl_or_b32 v6, v48, 5, v6
	s_lshl_b64 s[28:29], s[0:1], 8
	ds_write2st64_b64 v6, v[4:5], v[2:3] offset0:72 offset1:76
	v_xor_b32_e32 v6, v48, v34
	v_lshlrev_b32_e32 v7, 8, v1
	s_add_u32 s0, s6, s28
	v_lshl_or_b32 v6, v6, 1, v7
	s_addc_u32 s1, s7, s29
	ds_write_b64 v6, v[4:5] offset:32768
	v_xor_b32_e32 v4, v49, v34
	s_mul_hi_i32 s6, s3, s17
	s_mul_i32 s3, s3, s17
	v_lshl_or_b32 v4, v4, 1, v7
	s_add_u32 s2, s3, s33
	ds_write_b64 v4, v[2:3] offset:32768
	s_addc_u32 s3, s6, s18
	v_lshlrev_b32_e32 v3, 1, v1
	v_lshrrev_b32_e32 v2, 4, v0
	s_ashr_i32 s37, s36, 31
	s_lshl_b64 s[2:3], s[2:3], 15
	v_or_b32_e32 v4, 1, v3
	s_add_u32 s6, s12, s2
	v_xor_b32_e32 v3, v2, v3
	v_xor_b32_e32 v4, v4, v2
	v_lshlrev_b32_e32 v6, 8, v2
	s_addc_u32 s7, s13, s3
	s_lshl_b64 s[2:3], s[36:37], 8
	v_lshl_or_b32 v2, v3, 3, v6
	v_lshl_or_b32 v4, v4, 3, v6
	s_waitcnt lgkmcnt(0)
	s_barrier
	s_add_u32 s2, s6, s2
	ds_read_b64 v[2:3], v2 offset:32768
	ds_read_b64 v[4:5], v4 offset:32768
	s_addc_u32 s3, s7, s3
	v_mov_b32_e32 v7, 0
	s_cmp_lg_u32 s43, 64
	v_lshl_add_u64 v[8:9], s[2:3], 0, v[6:7]
	v_lshlrev_b32_e32 v6, 4, v1
	s_cselect_b64 s[6:7], -1, 0
	v_lshl_or_b32 v35, v44, 3, v47
	s_mov_b32 s24, 0
	v_lshl_add_u64 v[6:7], v[8:9], 0, v[6:7]
	s_waitcnt vmcnt(1)
	v_or_b32_e32 v19, 32, v35
	v_and_b32_e32 v18, 56, v46
	s_and_b64 vcc, exec, s[6:7]
	s_waitcnt lgkmcnt(0)
	global_store_dwordx4 v[6:7], v[2:5], off
	s_cbranch_vccz .LBB559_29
; %bb.24:
	s_mov_b32 s25, s24
	s_mov_b32 s26, s24
	;; [unrolled: 1-line block ×3, first 2 shown]
	v_mov_b64_e32 v[6:7], s[24:25]
	v_mov_b64_e32 v[8:9], s[26:27]
	;; [unrolled: 1-line block ×3, first 2 shown]
	v_cmp_gt_i32_e32 vcc, s43, v35
	v_mov_b64_e32 v[4:5], v[8:9]
	s_and_saveexec_b64 s[2:3], vcc
	s_cbranch_execz .LBB559_26
; %bb.25:
	v_lshlrev_b32_e32 v2, 8, v35
	v_mov_b32_e32 v3, 0
	v_lshl_add_u64 v[4:5], s[0:1], 0, v[2:3]
	v_lshlrev_b32_e32 v2, 1, v18
	v_lshl_add_u64 v[10:11], v[4:5], 0, v[2:3]
	global_load_dwordx4 v[6:9], v[10:11], off
	global_load_dwordx4 v[2:5], v[10:11], off offset:128
.LBB559_26:
	s_or_b64 exec, exec, s[2:3]
	s_mov_b32 s25, s24
	s_mov_b32 s26, s24
	;; [unrolled: 1-line block ×3, first 2 shown]
	v_mov_b64_e32 v[14:15], s[24:25]
	v_mov_b64_e32 v[16:17], s[26:27]
	;; [unrolled: 1-line block ×3, first 2 shown]
	v_cmp_gt_i32_e32 vcc, s43, v19
	v_lshlrev_b32_e32 v20, 7, v19
	v_mov_b64_e32 v[12:13], v[16:17]
	s_and_saveexec_b64 s[2:3], vcc
	s_cbranch_execz .LBB559_28
; %bb.27:
	v_lshlrev_b32_e32 v10, 1, v20
	v_mov_b32_e32 v11, 0
	v_lshl_add_u64 v[12:13], s[0:1], 0, v[10:11]
	v_lshlrev_b32_e32 v10, 1, v18
	v_lshl_add_u64 v[22:23], v[12:13], 0, v[10:11]
	global_load_dwordx4 v[14:17], v[22:23], off
	global_load_dwordx4 v[10:13], v[22:23], off offset:128
.LBB559_28:
	s_or_b64 exec, exec, s[2:3]
	v_lshrrev_b32_e32 v21, 3, v18
	v_lshlrev_b32_e32 v22, 3, v35
	v_or_b32_e32 v21, v22, v21
	v_lshlrev_b32_e32 v21, 4, v21
	v_and_b32_e32 v22, 0x78, v22
	v_xor_b32_e32 v21, v21, v22
	s_branch .LBB559_31
.LBB559_29:
                                        ; implicit-def: $vgpr21
                                        ; implicit-def: $vgpr20
                                        ; implicit-def: $vgpr6_vgpr7_vgpr8_vgpr9
                                        ; implicit-def: $vgpr2_vgpr3_vgpr4_vgpr5
                                        ; implicit-def: $vgpr14_vgpr15_vgpr16_vgpr17
                                        ; implicit-def: $vgpr10_vgpr11_vgpr12_vgpr13
	s_cbranch_execz .LBB559_31
; %bb.30:
	s_waitcnt vmcnt(0)
	v_lshlrev_b32_e32 v2, 1, v18
	v_lshl_or_b32 v20, v35, 8, v2
	s_and_b32 s1, s1, 0xffff
	s_mov_b32 s3, 0x20000
	s_movk_i32 s2, 0x4000
	v_lshl_or_b32 v21, v19, 8, v2
	s_movk_i32 s12, 0x80
	buffer_load_dwordx4 v[6:9], v20, s[0:3], 0 offen
	buffer_load_dwordx4 v[2:5], v20, s[0:3], s12 offen
	;; [unrolled: 1-line block ×4, first 2 shown]
	v_lshrrev_b32_e32 v20, 3, v18
	v_lshlrev_b32_e32 v21, 3, v35
	v_or_b32_e32 v20, v21, v20
	v_lshlrev_b32_e32 v20, 4, v20
	v_and_b32_e32 v21, 0x78, v21
	v_xor_b32_e32 v21, v20, v21
	v_lshlrev_b32_e32 v20, 7, v19
.LBB559_31:
	s_lshl_b64 s[0:1], s[40:41], 8
	s_add_u32 s4, s4, s0
	s_movk_i32 s0, 0x1000
	v_and_or_b32 v19, v20, s0, v21
	s_waitcnt vmcnt(1)
	ds_write_b64 v21, v[6:7] offset:16384
	v_xor_b32_e32 v6, 8, v21
	ds_write_b64 v6, v[8:9] offset:16384
	s_waitcnt vmcnt(0)
	ds_write_b64 v21, v[2:3] offset:24576
	ds_write_b64 v6, v[4:5] offset:24576
	;; [unrolled: 1-line block ×3, first 2 shown]
	v_xor_b32_e32 v2, 8, v19
	ds_write_b64 v2, v[16:17] offset:16384
	ds_write_b64 v19, v[10:11] offset:24576
	;; [unrolled: 1-line block ×3, first 2 shown]
	v_or_b32_e32 v2, v42, v1
	s_addc_u32 s5, s5, s1
	s_add_i32 s2, s16, -1
	v_lshlrev_b32_e32 v2, 3, v2
	v_lshrrev_b32_e32 v4, 5, v43
	s_movk_i32 s16, 0xf8
	v_and_or_b32 v4, v2, s16, v4
	v_lshlrev_b32_e32 v3, 11, v44
	v_lshlrev_b32_e32 v12, 4, v4
	v_and_b32_e32 v13, 0x78, v2
	v_and_b32_e32 v14, 0x1000, v3
	v_lshlrev_b32_e32 v3, 2, v0
	v_xor_b32_e32 v2, v12, v13
	v_lshrrev_b32_e32 v4, 1, v43
	v_and_b32_e32 v3, 60, v3
	v_or_b32_e32 v2, v2, v14
	v_and_b32_e32 v15, 8, v4
	v_xor_b32_e32 v26, v2, v15
	v_lshl_or_b32 v2, v45, 6, v3
	v_lshlrev_b32_e32 v19, 1, v2
	v_or_b32_e32 v2, 32, v12
	v_xor_b32_e32 v2, v2, v13
	s_waitcnt lgkmcnt(0)
	s_barrier
	ds_read_b64 v[10:11], v26 offset:16384
	v_or_b32_e32 v2, v2, v14
	v_xor_b32_e32 v27, v2, v15
	v_or_b32_e32 v2, 64, v12
	v_xor_b32_e32 v2, v2, v13
	v_or_b32_e32 v2, v2, v14
	v_or_b32_e32 v12, 0x60, v12
	v_xor_b32_e32 v28, v2, v15
	ds_read2st64_b64 v[2:5], v19 offset0:72 offset1:73
	ds_read2st64_b64 v[6:9], v19 offset0:74 offset1:75
	v_xor_b32_e32 v16, v12, v13
	ds_read_b64 v[12:13], v27 offset:16384
	s_waitcnt lgkmcnt(2)
	v_mfma_f32_16x16x16_bf16 a[0:3], v[10:11], v[2:3], 0
	s_add_i32 s0, s44, s21
	s_mul_i32 s39, s39, s20
	s_add_i32 s39, s0, s39
	s_mul_i32 s0, s33, s23
	s_mul_hi_u32 s1, s33, s22
	s_ashr_i32 s3, s2, 31
	s_mul_i32 s12, s2, s35
	s_mul_hi_u32 s13, s2, s34
	s_add_i32 s0, s1, s0
	s_mul_i32 s1, s18, s22
	s_add_i32 s12, s13, s12
	s_mul_i32 s3, s3, s34
	v_or_b32_e32 v14, v16, v14
	s_add_i32 s1, s0, s1
	s_add_i32 s3, s12, s3
	s_lshl_b64 s[12:13], s[38:39], 2
	v_xor_b32_e32 v36, v14, v15
	ds_read_b64 v[14:15], v28 offset:16384
	ds_read_b64 v[16:17], v36 offset:16384
	s_waitcnt lgkmcnt(2)
	v_mfma_f32_16x16x16_bf16 a[0:3], v[12:13], v[4:5], a[0:3]
	s_mul_i32 s0, s33, s22
	s_add_u32 s10, s10, s12
	s_addc_u32 s11, s11, s13
	s_lshl_b64 s[0:1], s[0:1], 2
	s_mul_i32 s2, s2, s34
	s_add_u32 s10, s10, s0
	s_addc_u32 s11, s11, s1
	s_lshl_b64 s[0:1], s[2:3], 2
	s_waitcnt lgkmcnt(1)
	v_mfma_f32_16x16x16_bf16 a[0:3], v[14:15], v[6:7], a[0:3]
	s_add_u32 s0, s10, s0
	s_addc_u32 s1, s11, s1
	s_load_dword s12, s[0:1], 0x0
	s_waitcnt lgkmcnt(0)
	v_mfma_f32_16x16x16_bf16 a[0:3], v[16:17], v[8:9], a[0:3]
	s_and_b64 vcc, exec, s[30:31]
	s_cbranch_vccz .LBB559_42
; %bb.32:
	v_lshlrev_b32_e32 v20, 1, v35
	s_and_b64 vcc, exec, s[6:7]
	s_cbranch_vccz .LBB559_43
; %bb.33:
	v_cmp_gt_i32_e32 vcc, s43, v20
	v_mov_b32_e32 v6, 0
	v_mov_b32_e32 v2, 0
	;; [unrolled: 1-line block ×5, first 2 shown]
	s_and_saveexec_b64 s[0:1], vcc
	s_cbranch_execz .LBB559_35
; %bb.34:
	v_mad_i64_i32 v[2:3], s[2:3], s19, v20, 0
	v_lshl_add_u64 v[2:3], v[2:3], 1, s[4:5]
	v_lshlrev_b32_e32 v4, 1, v18
	v_mov_b32_e32 v5, 0
	v_lshl_add_u64 v[2:3], v[2:3], 0, v[4:5]
	global_load_dwordx4 v[2:5], v[2:3], off
.LBB559_35:
	s_or_b64 exec, exec, s[0:1]
	v_or_b32_e32 v21, 1, v20
	v_cmp_gt_i32_e64 s[0:1], s43, v21
	v_mov_b32_e32 v7, 0
	v_mov_b32_e32 v8, 0
	;; [unrolled: 1-line block ×3, first 2 shown]
	s_and_saveexec_b64 s[2:3], s[0:1]
	s_cbranch_execz .LBB559_37
; %bb.36:
	v_mad_i64_i32 v[6:7], s[16:17], s19, v21, 0
	v_lshl_add_u64 v[6:7], v[6:7], 1, s[4:5]
	v_lshlrev_b32_e32 v8, 1, v18
	v_mov_b32_e32 v9, 0
	v_lshl_add_u64 v[6:7], v[6:7], 0, v[8:9]
	global_load_dwordx4 v[6:9], v[6:7], off
.LBB559_37:
	s_or_b64 exec, exec, s[2:3]
	v_mov_b32_e32 v17, 0
	v_mov_b32_e32 v10, 0
	;; [unrolled: 1-line block ×5, first 2 shown]
	s_and_saveexec_b64 s[2:3], vcc
	s_cbranch_execz .LBB559_39
; %bb.38:
	v_mad_i64_i32 v[10:11], s[16:17], s19, v20, 0
	v_lshl_add_u64 v[10:11], v[10:11], 1, s[4:5]
	v_lshlrev_b32_e32 v12, 1, v18
	v_mov_b32_e32 v13, 0
	v_lshl_add_u64 v[10:11], v[10:11], 0, v[12:13]
	global_load_dwordx4 v[10:13], v[10:11], off offset:128
.LBB559_39:
	s_or_b64 exec, exec, s[2:3]
	v_mov_b32_e32 v16, 0
	v_mov_b32_e32 v15, 0
	;; [unrolled: 1-line block ×3, first 2 shown]
	s_and_saveexec_b64 s[2:3], s[0:1]
	s_cbranch_execz .LBB559_41
; %bb.40:
	v_mad_i64_i32 v[14:15], s[0:1], s19, v21, 0
	v_lshl_add_u64 v[14:15], v[14:15], 1, s[4:5]
	v_lshlrev_b32_e32 v16, 1, v18
	v_mov_b32_e32 v17, 0
	v_lshl_add_u64 v[14:15], v[14:15], 0, v[16:17]
	global_load_dwordx4 v[14:17], v[14:15], off offset:128
.LBB559_41:
	s_or_b64 exec, exec, s[2:3]
	s_branch .LBB559_45
.LBB559_42:
                                        ; implicit-def: $vgpr5
                                        ; implicit-def: $vgpr9
                                        ; implicit-def: $vgpr13
                                        ; implicit-def: $vgpr17
	v_lshrrev_b32_e32 v37, 2, v43
	s_branch .LBB559_46
.LBB559_43:
                                        ; implicit-def: $vgpr5
                                        ; implicit-def: $vgpr9
                                        ; implicit-def: $vgpr13
                                        ; implicit-def: $vgpr17
	s_cbranch_execz .LBB559_45
; %bb.44:
	s_waitcnt vmcnt(0)
	v_mad_u64_u32 v[2:3], s[0:1], v20, s19, v[18:19]
	v_lshlrev_b32_e32 v20, 1, v2
	s_lshl_b32 s2, s19, 7
	s_and_b32 s1, s5, 0xffff
	s_mov_b32 s3, 0x20000
	s_mov_b32 s0, s4
	v_add_lshl_u32 v21, v2, s19, 1
	s_movk_i32 s13, 0x80
	buffer_load_dwordx4 v[2:5], v20, s[0:3], 0 offen
	buffer_load_dwordx4 v[10:13], v20, s[0:3], s13 offen
	;; [unrolled: 1-line block ×4, first 2 shown]
.LBB559_45:
	v_lshrrev_b32_e32 v37, 2, v43
	s_cbranch_execnz .LBB559_58
.LBB559_46:
	s_and_b64 vcc, exec, s[6:7]
	s_cbranch_vccz .LBB559_56
; %bb.47:
	s_waitcnt vmcnt(0)
	v_lshlrev_b32_e32 v7, 1, v35
	v_cmp_gt_i32_e32 vcc, s43, v7
	v_mov_b32_e32 v6, 0
	v_lshlrev_b32_e32 v14, 9, v35
	v_mov_b32_e32 v2, 0
	v_mov_b32_e32 v3, 0
	;; [unrolled: 1-line block ×4, first 2 shown]
	s_and_saveexec_b64 s[0:1], vcc
	s_cbranch_execz .LBB559_49
; %bb.48:
	v_mov_b32_e32 v15, 0
	v_lshl_add_u64 v[2:3], s[4:5], 0, v[14:15]
	v_lshlrev_b32_e32 v4, 1, v18
	v_mov_b32_e32 v5, v15
	v_lshl_add_u64 v[2:3], v[2:3], 0, v[4:5]
	global_load_dwordx4 v[2:5], v[2:3], off
.LBB559_49:
	s_or_b64 exec, exec, s[0:1]
	v_or_b32_e32 v7, 1, v7
	v_cmp_gt_i32_e64 s[0:1], s43, v7
	v_lshlrev_b32_e32 v20, 8, v7
	v_mov_b32_e32 v7, 0
	v_mov_b32_e32 v8, 0
	;; [unrolled: 1-line block ×3, first 2 shown]
	s_and_saveexec_b64 s[2:3], s[0:1]
	s_cbranch_execz .LBB559_51
; %bb.50:
	v_mov_b32_e32 v21, 0
	v_lshl_add_u64 v[6:7], s[4:5], 0, v[20:21]
	v_lshlrev_b32_e32 v8, 1, v18
	v_mov_b32_e32 v9, v21
	v_lshl_add_u64 v[6:7], v[6:7], 0, v[8:9]
	global_load_dwordx4 v[6:9], v[6:7], off
.LBB559_51:
	s_or_b64 exec, exec, s[2:3]
	v_mov_b32_e32 v17, 0
	v_mov_b32_e32 v10, 0
	;; [unrolled: 1-line block ×5, first 2 shown]
	s_and_saveexec_b64 s[2:3], vcc
	s_cbranch_execz .LBB559_53
; %bb.52:
	v_mov_b32_e32 v15, 0
	v_lshl_add_u64 v[10:11], s[4:5], 0, v[14:15]
	v_lshlrev_b32_e32 v14, 1, v18
	v_lshl_add_u64 v[10:11], v[10:11], 0, v[14:15]
	global_load_dwordx4 v[10:13], v[10:11], off offset:128
.LBB559_53:
	s_or_b64 exec, exec, s[2:3]
	v_mov_b32_e32 v16, 0
	v_mov_b32_e32 v15, 0
	;; [unrolled: 1-line block ×3, first 2 shown]
	s_and_saveexec_b64 s[2:3], s[0:1]
	s_cbranch_execz .LBB559_55
; %bb.54:
	v_mov_b32_e32 v21, 0
	v_lshl_add_u64 v[14:15], s[4:5], 0, v[20:21]
	v_lshlrev_b32_e32 v20, 1, v18
	v_lshl_add_u64 v[14:15], v[14:15], 0, v[20:21]
	global_load_dwordx4 v[14:17], v[14:15], off offset:128
.LBB559_55:
	s_or_b64 exec, exec, s[2:3]
	s_branch .LBB559_58
.LBB559_56:
                                        ; implicit-def: $vgpr5
                                        ; implicit-def: $vgpr9
                                        ; implicit-def: $vgpr13
                                        ; implicit-def: $vgpr17
	s_cbranch_execz .LBB559_58
; %bb.57:
	s_waitcnt vmcnt(0)
	v_lshlrev_b32_e32 v2, 1, v18
	v_lshl_or_b32 v18, v35, 9, v2
	s_and_b32 s5, s5, 0xffff
	s_mov_b32 s7, 0x20000
	s_movk_i32 s6, 0x4000
	s_movk_i32 s0, 0x80
	buffer_load_dwordx4 v[2:5], v18, s[4:7], 0 offen
	buffer_load_dwordx4 v[6:9], v18, s[4:7], 0 offen offset:256
	buffer_load_dwordx4 v[10:13], v18, s[4:7], s0 offen
	buffer_load_dwordx4 v[14:17], v18, s[4:7], s0 offen offset:256
.LBB559_58:
	ds_read2st64_b64 v[22:25], v19 offset0:76 offset1:77
	ds_read2st64_b64 v[18:21], v19 offset0:78 offset1:79
	ds_read_b64 v[32:33], v26 offset:24576
	ds_read_b64 v[30:31], v27 offset:24576
	;; [unrolled: 1-line block ×4, first 2 shown]
	v_and_b32_e32 v36, 6, v0
	v_xor_b32_e32 v35, v35, v36
	v_lshlrev_b32_e32 v35, 2, v35
	v_and_b32_e32 v0, 1, v0
	v_xor_b32_e32 v38, 0x440, v35
	v_cmp_eq_u32_e32 vcc, 0, v0
	s_mov_b32 s0, 0x1000504
	s_mov_b32 s1, 0x3020706
	v_cndmask_b32_e32 v0, v38, v35, vcc
	v_lshl_or_b32 v0, v36, 10, v0
	s_waitcnt vmcnt(0)
	v_perm_b32 v35, v2, v6, s0
	v_perm_b32 v36, v10, v14, s0
	ds_write2st64_b32 v0, v35, v36 offset1:32
	v_xor_b32_e32 v35, 8, v0
	v_perm_b32 v2, v2, v6, s1
	v_perm_b32 v6, v10, v14, s1
	v_add_u32_e32 v10, 0x80, v35
	ds_write2st64_b32 v10, v2, v6 offset1:32
	v_xor_b32_e32 v2, 16, v0
	v_perm_b32 v6, v3, v7, s0
	v_perm_b32 v10, v11, v15, s0
	ds_write2st64_b32 v2, v6, v10 offset0:1 offset1:33
	v_xor_b32_e32 v2, 24, v0
	v_perm_b32 v3, v3, v7, s1
	v_perm_b32 v6, v11, v15, s1
	v_add_u32_e32 v2, 0x80, v2
	ds_write2st64_b32 v2, v3, v6 offset0:1 offset1:33
	v_xor_b32_e32 v2, 32, v0
	v_perm_b32 v3, v4, v8, s0
	v_perm_b32 v6, v12, v16, s0
	ds_write2st64_b32 v2, v3, v6 offset0:2 offset1:34
	v_xor_b32_e32 v2, 40, v0
	v_perm_b32 v3, v4, v8, s1
	v_perm_b32 v4, v12, v16, s1
	v_add_u32_e32 v2, 0x80, v2
	ds_write2st64_b32 v2, v3, v4 offset0:2 offset1:34
	v_xor_b32_e32 v2, 48, v0
	v_perm_b32 v3, v5, v9, s0
	v_perm_b32 v4, v13, v17, s0
	v_xor_b32_e32 v0, 56, v0
	v_and_or_b32 v8, v37, 12, v42
	ds_write2st64_b32 v2, v3, v4 offset0:3 offset1:35
	v_perm_b32 v2, v5, v9, s1
	v_perm_b32 v3, v13, v17, s1
	v_add_u32_e32 v0, 0x80, v0
	v_cmp_gt_i32_e64 s[2:3], s43, v8
	v_mov_b32_e32 v10, 0
	v_mov_b32_e32 v15, 0
	ds_write2st64_b32 v0, v2, v3 offset0:3 offset1:35
	s_and_saveexec_b64 s[0:1], s[2:3]
	s_cbranch_execz .LBB559_60
; %bb.59:
	v_add_u32_e32 v0, s42, v8
	v_ashrrev_i32_e32 v2, 31, v0
	v_mul_lo_u32 v4, v2, s34
	v_mul_lo_u32 v5, v0, s35
	v_mad_u64_u32 v[2:3], s[4:5], v0, s34, 0
	v_add3_u32 v3, v3, v5, v4
	v_lshl_add_u64 v[2:3], v[2:3], 2, s[10:11]
	global_load_dword v0, v[2:3], off
	s_waitcnt vmcnt(0)
	v_sub_f32_e32 v0, s12, v0
	v_exp_f32_e32 v15, v0
.LBB559_60:
	s_or_b64 exec, exec, s[0:1]
	v_or_b32_e32 v13, 1, v8
	v_cmp_gt_i32_e64 s[4:5], s43, v13
	s_and_saveexec_b64 s[0:1], s[4:5]
	s_cbranch_execz .LBB559_62
; %bb.61:
	v_add_u32_e32 v0, s42, v13
	v_ashrrev_i32_e32 v2, 31, v0
	v_mul_lo_u32 v4, v2, s34
	v_mul_lo_u32 v5, v0, s35
	v_mad_u64_u32 v[2:3], s[6:7], v0, s34, 0
	v_add3_u32 v3, v3, v5, v4
	v_lshl_add_u64 v[2:3], v[2:3], 2, s[10:11]
	global_load_dword v0, v[2:3], off
	s_waitcnt vmcnt(0)
	v_sub_f32_e32 v0, s12, v0
	v_exp_f32_e32 v10, v0
.LBB559_62:
	s_or_b64 exec, exec, s[0:1]
	v_or_b32_e32 v11, 2, v8
	v_cmp_gt_i32_e32 vcc, s43, v11
	v_mov_b32_e32 v9, 0
	v_mov_b32_e32 v14, 0
	s_and_saveexec_b64 s[0:1], vcc
	s_cbranch_execz .LBB559_64
; %bb.63:
	v_add_u32_e32 v0, s42, v11
	v_ashrrev_i32_e32 v2, 31, v0
	v_mul_lo_u32 v4, v2, s34
	v_mul_lo_u32 v5, v0, s35
	v_mad_u64_u32 v[2:3], s[6:7], v0, s34, 0
	v_add3_u32 v3, v3, v5, v4
	v_lshl_add_u64 v[2:3], v[2:3], 2, s[10:11]
	global_load_dword v0, v[2:3], off
	s_waitcnt vmcnt(0)
	v_sub_f32_e32 v0, s12, v0
	v_exp_f32_e32 v14, v0
.LBB559_64:
	s_or_b64 exec, exec, s[0:1]
	v_or_b32_e32 v12, 3, v8
	v_cmp_gt_i32_e64 s[0:1], s43, v12
	s_and_saveexec_b64 s[6:7], s[0:1]
	s_cbranch_execz .LBB559_66
; %bb.65:
	v_add_u32_e32 v0, s42, v12
	v_ashrrev_i32_e32 v2, 31, v0
	v_mul_lo_u32 v4, v2, s34
	v_mul_lo_u32 v5, v0, s35
	v_mad_u64_u32 v[2:3], s[16:17], v0, s34, 0
	v_add3_u32 v3, v3, v5, v4
	v_lshl_add_u64 v[2:3], v[2:3], 2, s[10:11]
	global_load_dword v0, v[2:3], off
	s_waitcnt vmcnt(0)
	v_sub_f32_e32 v0, s12, v0
	v_exp_f32_e32 v9, v0
.LBB559_66:
	s_or_b64 exec, exec, s[6:7]
	s_waitcnt lgkmcnt(11)
	v_mfma_f32_16x16x16_bf16 a[0:3], v[32:33], v[22:23], a[0:3]
	v_or_b32_e32 v0, s36, v1
	s_add_u32 s6, s8, s28
	v_ashrrev_i32_e32 v1, 31, v0
	s_waitcnt lgkmcnt(10)
	v_mfma_f32_16x16x16_bf16 a[0:3], v[30:31], v[24:25], a[0:3]
	s_addc_u32 s7, s9, s29
	v_lshlrev_b64 v[0:1], 1, v[0:1]
	v_lshl_add_u64 v[4:5], s[6:7], 0, v[0:1]
	s_waitcnt lgkmcnt(9)
	v_mfma_f32_16x16x16_bf16 a[0:3], v[28:29], v[18:19], a[0:3]
	s_add_u32 s6, s14, s28
	s_addc_u32 s7, s15, s29
	v_lshl_add_u64 v[6:7], s[6:7], 0, v[0:1]
	s_waitcnt lgkmcnt(8)
	v_mfma_f32_16x16x16_bf16 a[0:3], v[26:27], v[20:21], a[0:3]
	v_mov_b32_e32 v16, 0
	v_mov_b32_e32 v17, 0
	s_nop 4
	v_accvgpr_read_b32 v0, a0
	v_accvgpr_read_b32 v1, a1
	;; [unrolled: 1-line block ×4, first 2 shown]
	s_and_saveexec_b64 s[6:7], s[2:3]
	s_cbranch_execz .LBB559_68
; %bb.67:
	v_lshlrev_b32_e32 v18, 8, v8
	v_mov_b32_e32 v19, 0
	v_lshl_add_u64 v[20:21], v[4:5], 0, v[18:19]
	global_load_ushort v17, v[20:21], off
	v_lshl_add_u64 v[18:19], v[6:7], 0, v[18:19]
	s_waitcnt vmcnt(0)
	v_lshlrev_b32_e32 v17, 16, v17
	v_sub_f32_e32 v0, v17, v0
	global_store_short_d16_hi v[18:19], v0, off
	v_mul_f32_e32 v0, v15, v0
	v_lshrrev_b32_e32 v17, 16, v0
.LBB559_68:
	s_or_b64 exec, exec, s[6:7]
	s_and_saveexec_b64 s[2:3], s[4:5]
	s_cbranch_execz .LBB559_70
; %bb.69:
	v_lshlrev_b32_e32 v18, 8, v13
	v_mov_b32_e32 v19, 0
	v_lshl_add_u64 v[20:21], v[4:5], 0, v[18:19]
	global_load_ushort v0, v[20:21], off
	v_lshl_add_u64 v[18:19], v[6:7], 0, v[18:19]
	s_waitcnt vmcnt(0)
	v_lshlrev_b32_e32 v0, 16, v0
	v_sub_f32_e32 v0, v0, v1
	global_store_short_d16_hi v[18:19], v0, off
	v_mul_f32_e32 v0, v10, v0
	v_lshrrev_b32_e32 v16, 16, v0
.LBB559_70:
	s_or_b64 exec, exec, s[2:3]
	v_mov_b32_e32 v0, 0
	v_mov_b32_e32 v1, 0
	s_and_saveexec_b64 s[2:3], vcc
	s_cbranch_execz .LBB559_72
; %bb.71:
	v_lshlrev_b32_e32 v10, 8, v11
	v_mov_b32_e32 v11, 0
	v_lshl_add_u64 v[18:19], v[4:5], 0, v[10:11]
	global_load_ushort v1, v[18:19], off
	v_lshl_add_u64 v[10:11], v[6:7], 0, v[10:11]
	s_waitcnt vmcnt(0)
	v_lshlrev_b32_e32 v1, 16, v1
	v_sub_f32_e32 v1, v1, v2
	global_store_short_d16_hi v[10:11], v1, off
	v_mul_f32_e32 v1, v14, v1
	v_lshrrev_b32_e32 v1, 16, v1
.LBB559_72:
	s_or_b64 exec, exec, s[2:3]
	s_and_saveexec_b64 s[2:3], s[0:1]
	s_cbranch_execz .LBB559_74
; %bb.73:
	v_lshlrev_b32_e32 v10, 8, v12
	v_mov_b32_e32 v11, 0
	v_lshl_add_u64 v[4:5], v[4:5], 0, v[10:11]
	global_load_ushort v0, v[4:5], off
	v_lshl_add_u64 v[4:5], v[6:7], 0, v[10:11]
	s_waitcnt vmcnt(0)
	v_lshlrev_b32_e32 v0, 16, v0
	v_sub_f32_e32 v0, v0, v3
	global_store_short_d16_hi v[4:5], v0, off
	v_mul_f32_e32 v0, v9, v0
	v_lshrrev_b32_e32 v0, 16, v0
.LBB559_74:
	s_or_b64 exec, exec, s[2:3]
	s_mov_b32 s0, 0x5040100
	v_lshlrev_b32_e32 v2, 1, v34
	v_perm_b32 v1, v0, v1, s0
	v_perm_b32 v0, v16, v17, s0
	v_lshl_or_b32 v2, v8, 5, v2
	ds_write_b64 v2, v[0:1] offset:38912
	s_waitcnt lgkmcnt(0)
	s_barrier
.LBB559_75:
	s_endpgm
	.section	.rodata,"a",@progbits
	.p2align	6, 0x0
	.amdhsa_kernel _ZN12_GLOBAL__N_139chunk_gated_delta_rule_fwd_h_hip_kernelILi16ELb0ELb0ELb1ELb0ELb1ELb0ELb1ELb1EEEvPK12hip_bfloat16S3_S3_PKfS5_PKvPS1_S8_PvPKiSB_iiiiilll
		.amdhsa_group_segment_fixed_size 40960
		.amdhsa_private_segment_fixed_size 0
		.amdhsa_kernarg_size 136
		.amdhsa_user_sgpr_count 2
		.amdhsa_user_sgpr_dispatch_ptr 0
		.amdhsa_user_sgpr_queue_ptr 0
		.amdhsa_user_sgpr_kernarg_segment_ptr 1
		.amdhsa_user_sgpr_dispatch_id 0
		.amdhsa_user_sgpr_kernarg_preload_length 0
		.amdhsa_user_sgpr_kernarg_preload_offset 0
		.amdhsa_user_sgpr_private_segment_size 0
		.amdhsa_uses_dynamic_stack 0
		.amdhsa_enable_private_segment 0
		.amdhsa_system_sgpr_workgroup_id_x 1
		.amdhsa_system_sgpr_workgroup_id_y 1
		.amdhsa_system_sgpr_workgroup_id_z 0
		.amdhsa_system_sgpr_workgroup_info 0
		.amdhsa_system_vgpr_workitem_id 0
		.amdhsa_next_free_vgpr 116
		.amdhsa_next_free_sgpr 66
		.amdhsa_accum_offset 108
		.amdhsa_reserve_vcc 1
		.amdhsa_float_round_mode_32 0
		.amdhsa_float_round_mode_16_64 0
		.amdhsa_float_denorm_mode_32 3
		.amdhsa_float_denorm_mode_16_64 3
		.amdhsa_dx10_clamp 1
		.amdhsa_ieee_mode 1
		.amdhsa_fp16_overflow 0
		.amdhsa_tg_split 0
		.amdhsa_exception_fp_ieee_invalid_op 0
		.amdhsa_exception_fp_denorm_src 0
		.amdhsa_exception_fp_ieee_div_zero 0
		.amdhsa_exception_fp_ieee_overflow 0
		.amdhsa_exception_fp_ieee_underflow 0
		.amdhsa_exception_fp_ieee_inexact 0
		.amdhsa_exception_int_div_zero 0
	.end_amdhsa_kernel
	.section	.text._ZN12_GLOBAL__N_139chunk_gated_delta_rule_fwd_h_hip_kernelILi16ELb0ELb0ELb1ELb0ELb1ELb0ELb1ELb1EEEvPK12hip_bfloat16S3_S3_PKfS5_PKvPS1_S8_PvPKiSB_iiiiilll,"axG",@progbits,_ZN12_GLOBAL__N_139chunk_gated_delta_rule_fwd_h_hip_kernelILi16ELb0ELb0ELb1ELb0ELb1ELb0ELb1ELb1EEEvPK12hip_bfloat16S3_S3_PKfS5_PKvPS1_S8_PvPKiSB_iiiiilll,comdat
.Lfunc_end559:
	.size	_ZN12_GLOBAL__N_139chunk_gated_delta_rule_fwd_h_hip_kernelILi16ELb0ELb0ELb1ELb0ELb1ELb0ELb1ELb1EEEvPK12hip_bfloat16S3_S3_PKfS5_PKvPS1_S8_PvPKiSB_iiiiilll, .Lfunc_end559-_ZN12_GLOBAL__N_139chunk_gated_delta_rule_fwd_h_hip_kernelILi16ELb0ELb0ELb1ELb0ELb1ELb0ELb1ELb1EEEvPK12hip_bfloat16S3_S3_PKfS5_PKvPS1_S8_PvPKiSB_iiiiilll
                                        ; -- End function
	.section	.AMDGPU.csdata,"",@progbits
; Kernel info:
; codeLenInByte = 7300
; NumSgprs: 72
; NumVgprs: 108
; NumAgprs: 8
; TotalNumVgprs: 116
; ScratchSize: 0
; MemoryBound: 0
; FloatMode: 240
; IeeeMode: 1
; LDSByteSize: 40960 bytes/workgroup (compile time only)
; SGPRBlocks: 8
; VGPRBlocks: 14
; NumSGPRsForWavesPerEU: 72
; NumVGPRsForWavesPerEU: 116
; AccumOffset: 108
; Occupancy: 1
; WaveLimiterHint : 1
; COMPUTE_PGM_RSRC2:SCRATCH_EN: 0
; COMPUTE_PGM_RSRC2:USER_SGPR: 2
; COMPUTE_PGM_RSRC2:TRAP_HANDLER: 0
; COMPUTE_PGM_RSRC2:TGID_X_EN: 1
; COMPUTE_PGM_RSRC2:TGID_Y_EN: 1
; COMPUTE_PGM_RSRC2:TGID_Z_EN: 0
; COMPUTE_PGM_RSRC2:TIDIG_COMP_CNT: 0
; COMPUTE_PGM_RSRC3_GFX90A:ACCUM_OFFSET: 26
; COMPUTE_PGM_RSRC3_GFX90A:TG_SPLIT: 0
	.section	.text._ZN12_GLOBAL__N_139chunk_gated_delta_rule_fwd_h_hip_kernelILi16ELb0ELb0ELb0ELb0ELb1ELb0ELb1ELb1EEEvPK12hip_bfloat16S3_S3_PKfS5_PKvPS1_S8_PvPKiSB_iiiiilll,"axG",@progbits,_ZN12_GLOBAL__N_139chunk_gated_delta_rule_fwd_h_hip_kernelILi16ELb0ELb0ELb0ELb0ELb1ELb0ELb1ELb1EEEvPK12hip_bfloat16S3_S3_PKfS5_PKvPS1_S8_PvPKiSB_iiiiilll,comdat
	.globl	_ZN12_GLOBAL__N_139chunk_gated_delta_rule_fwd_h_hip_kernelILi16ELb0ELb0ELb0ELb0ELb1ELb0ELb1ELb1EEEvPK12hip_bfloat16S3_S3_PKfS5_PKvPS1_S8_PvPKiSB_iiiiilll ; -- Begin function _ZN12_GLOBAL__N_139chunk_gated_delta_rule_fwd_h_hip_kernelILi16ELb0ELb0ELb0ELb0ELb1ELb0ELb1ELb1EEEvPK12hip_bfloat16S3_S3_PKfS5_PKvPS1_S8_PvPKiSB_iiiiilll
	.p2align	8
	.type	_ZN12_GLOBAL__N_139chunk_gated_delta_rule_fwd_h_hip_kernelILi16ELb0ELb0ELb0ELb0ELb1ELb0ELb1ELb1EEEvPK12hip_bfloat16S3_S3_PKfS5_PKvPS1_S8_PvPKiSB_iiiiilll,@function
_ZN12_GLOBAL__N_139chunk_gated_delta_rule_fwd_h_hip_kernelILi16ELb0ELb0ELb0ELb0ELb1ELb0ELb1ELb1EEEvPK12hip_bfloat16S3_S3_PKfS5_PKvPS1_S8_PvPKiSB_iiiiilll: ; @_ZN12_GLOBAL__N_139chunk_gated_delta_rule_fwd_h_hip_kernelILi16ELb0ELb0ELb0ELb0ELb1ELb0ELb1ELb1EEEvPK12hip_bfloat16S3_S3_PKfS5_PKvPS1_S8_PvPKiSB_iiiiilll
; %bb.0:
	s_load_dwordx4 s[12:15], s[0:1], 0x5c
	s_load_dwordx2 s[36:37], s[0:1], 0x30
	s_abs_i32 s18, s3
	s_ashr_i32 s17, s3, 31
	s_load_dwordx8 s[4:11], s[0:1], 0x0
	s_waitcnt lgkmcnt(0)
	s_abs_i32 s16, s13
	v_cvt_f32_u32_e32 v1, s16
	s_sub_i32 s20, 0, s16
	s_ashr_i32 s19, s13, 31
	s_xor_b32 s17, s17, s19
	v_rcp_iflag_f32_e32 v1, v1
	v_lshrrev_b32_e32 v42, 6, v0
	v_bfe_u32 v43, v0, 4, 2
	v_lshlrev_b32_e32 v40, 4, v42
	v_mul_f32_e32 v1, 0x4f7ffffe, v1
	v_cvt_u32_f32_e32 v1, v1
	v_lshlrev_b32_e32 v2, 2, v43
	v_and_b32_e32 v41, 63, v0
	v_or_b32_e32 v46, v2, v40
	v_readfirstlane_b32 s21, v1
	s_mul_i32 s20, s20, s21
	s_mul_hi_u32 s20, s21, s20
	s_add_i32 s21, s21, s20
	s_mul_hi_u32 s20, s18, s21
	s_mul_i32 s21, s20, s16
	s_sub_i32 s18, s18, s21
	s_add_i32 s22, s20, 1
	s_sub_i32 s21, s18, s16
	s_cmp_ge_u32 s18, s16
	s_cselect_b32 s20, s22, s20
	s_cselect_b32 s18, s21, s18
	s_add_i32 s21, s20, 1
	s_cmp_ge_u32 s18, s16
	s_cselect_b32 s18, s21, s20
	s_xor_b32 s18, s18, s17
	s_sub_i32 s45, s18, s17
	s_abs_i32 s17, s14
	v_cvt_f32_u32_e32 v1, s17
	s_add_i32 s20, s12, 63
	s_mul_i32 s43, s45, s13
	s_sub_i32 s33, s3, s43
	v_rcp_iflag_f32_e32 v1, v1
	s_ashr_i32 s3, s20, 31
	s_ashr_i32 s44, s12, 31
	s_lshr_b32 s3, s3, 26
	v_mul_f32_e32 v1, 0x4f7ffffe, v1
	v_cvt_u32_f32_e32 v1, v1
	s_lshr_b32 s18, s44, 26
	s_add_i32 s20, s20, s3
	s_add_i32 s18, s12, s18
	s_ashr_i32 s47, s14, 31
	s_ashr_i32 s3, s20, 6
	;; [unrolled: 1-line block ×3, first 2 shown]
	s_xor_b32 s18, s19, s47
	s_sub_i32 s19, 0, s17
	v_readfirstlane_b32 s20, v1
	s_mul_i32 s19, s19, s20
	s_mul_hi_u32 s19, s20, s19
	s_add_i32 s20, s20, s19
	s_mul_hi_u32 s19, s16, s20
	s_mul_i32 s20, s19, s17
	s_sub_i32 s16, s16, s20
	s_add_i32 s20, s19, 1
	s_sub_i32 s21, s16, s17
	s_cmp_ge_u32 s16, s17
	s_cselect_b32 s19, s20, s19
	s_cselect_b32 s16, s21, s16
	s_add_i32 s20, s19, 1
	s_cmp_ge_u32 s16, s17
	s_cselect_b32 s16, s20, s19
	s_xor_b32 s16, s16, s18
	s_sub_i32 s20, s16, s18
	s_abs_i32 s21, s20
	v_cvt_f32_u32_e32 v1, s21
	s_load_dwordx2 s[28:29], s[0:1], 0x80
	s_load_dwordx4 s[16:19], s[0:1], 0x70
	s_xor_b32 s0, s33, s20
	s_sub_i32 s20, 0, s21
	v_rcp_iflag_f32_e32 v1, v1
	s_abs_i32 s1, s33
	s_ashr_i32 s0, s0, 31
	s_mul_i32 s48, s45, s3
	v_mul_f32_e32 v1, 0x4f7ffffe, v1
	v_cvt_u32_f32_e32 v1, v1
	v_or_b32_e32 v47, 64, v46
	v_mov_b32_e32 v3, 0
	s_mul_hi_i32 s49, s45, s13
	v_readfirstlane_b32 s22, v1
	s_mul_i32 s20, s20, s22
	s_mul_hi_u32 s20, s22, s20
	s_add_i32 s22, s22, s20
	s_mul_hi_u32 s20, s1, s22
	s_mul_i32 s22, s20, s21
	s_sub_i32 s1, s1, s22
	s_add_i32 s22, s20, 1
	s_sub_i32 s23, s1, s21
	s_cmp_ge_u32 s1, s21
	s_cselect_b32 s20, s22, s20
	s_cselect_b32 s1, s23, s1
	s_add_i32 s22, s20, 1
	s_cmp_ge_u32 s1, s21
	s_cselect_b32 s1, s22, s20
	s_xor_b32 s1, s1, s0
	s_sub_i32 s50, s1, s0
	s_lshl_b32 s30, s2, 4
	v_and_b32_e32 v1, 15, v0
	s_cmp_lt_i32 s12, 64
	v_lshrrev_b32_e32 v45, 3, v41
	v_lshlrev_b32_e32 v44, 3, v0
	s_waitcnt lgkmcnt(0)
	s_mul_i32 s17, s45, s17
	s_mul_hi_u32 s42, s45, s16
	s_mul_i32 s34, s45, s16
	v_mov_b32_e32 v59, 0
	v_mov_b32_e32 v34, 0
	;; [unrolled: 1-line block ×7, first 2 shown]
	s_cbranch_scc1 .LBB560_18
; %bb.1:
	s_ashr_i32 s24, s45, 31
	s_ashr_i32 s52, s33, 31
	s_add_u32 s0, s43, s33
	s_addc_u32 s1, s49, s52
	s_mul_i32 s1, s12, s1
	s_mul_hi_u32 s2, s12, s0
	s_add_i32 s3, s2, s1
	s_mul_i32 s2, s12, s0
	s_lshl_b64 s[0:1], s[2:3], 8
	v_and_b32_e32 v49, 56, v44
	s_add_u32 s20, s6, s0
	v_lshl_or_b32 v48, v42, 3, v45
	v_lshlrev_b32_e32 v3, 1, v49
	s_addc_u32 s0, s7, s1
	v_lshl_or_b32 v50, v48, 8, v3
	s_and_b32 s21, s0, 0xffff
	s_mov_b32 s23, 0x20000
	s_movk_i32 s22, 0x4000
	s_movk_i32 s0, 0x80
	v_or_b32_e32 v51, 0x2000, v50
	buffer_load_dwordx4 v[4:7], v50, s[20:23], 0 offen
	buffer_load_dwordx4 v[8:11], v50, s[20:23], s0 offen
	;; [unrolled: 1-line block ×4, first 2 shown]
	v_lshlrev_b32_e32 v20, 3, v48
	v_and_or_b32 v22, v0, 7, v20
	v_and_b32_e32 v20, 0x78, v20
	v_lshlrev_b32_e32 v22, 4, v22
	v_xor_b32_e32 v52, v22, v20
	v_mul_lo_u32 v21, v48, s15
	v_or_b32_e32 v53, 0x1000, v52
	s_cmpk_eq_i32 s15, 0x80
	s_mov_b32 s51, s14
	v_xor_b32_e32 v20, 8, v52
	v_xor_b32_e32 v22, 8, v53
	s_cselect_b64 s[0:1], -1, 0
	s_cmpk_lg_i32 s15, 0x80
	s_waitcnt vmcnt(3)
	ds_write_b64 v52, v[4:5] offset:16384
	ds_write_b64 v20, v[6:7] offset:16384
	s_waitcnt vmcnt(2)
	ds_write_b64 v52, v[8:9] offset:24576
	ds_write_b64 v20, v[10:11] offset:24576
	;; [unrolled: 3-line block ×4, first 2 shown]
	v_lshl_add_u32 v4, v21, 1, v49
	s_cbranch_scc0 .LBB560_3
; %bb.2:
	v_lshlrev_b32_e32 v6, 1, v4
	v_add_lshl_u32 v5, v4, s15, 1
	s_lshl_b32 s22, s15, 7
	v_lshl_or_b32 v3, v48, 9, v3
	s_cbranch_execz .LBB560_4
	s_branch .LBB560_5
.LBB560_3:
                                        ; implicit-def: $vgpr5
                                        ; implicit-def: $vgpr6
                                        ; implicit-def: $sgpr22
	v_lshl_or_b32 v3, v48, 9, v3
.LBB560_4:
	v_or_b32_e32 v5, 0x100, v3
	s_movk_i32 s22, 0x4000
	v_mov_b32_e32 v6, v3
.LBB560_5:
	s_mul_hi_u32 s20, s14, s12
	s_mul_i32 s21, s47, s12
	s_add_i32 s20, s20, s21
	s_mul_i32 s21, s14, s12
	s_mul_i32 s23, s21, s24
	s_mul_hi_u32 s25, s21, s45
	s_add_i32 s23, s25, s23
	s_mul_i32 s20, s20, s45
	s_add_i32 s23, s23, s20
	s_mul_i32 s21, s21, s45
	s_ashr_i32 s53, s50, 31
	s_add_u32 s20, s21, s50
	s_addc_u32 s21, s23, s53
	s_lshl_b64 s[20:21], s[20:21], 8
	s_add_u32 s20, s4, s20
	s_addc_u32 s21, s5, s21
	s_and_b32 s21, s21, 0xffff
	s_mov_b32 s23, 0x20000
	s_movk_i32 s54, 0x80
	buffer_load_dwordx4 v[8:11], v6, s[20:23], 0 offen
	buffer_load_dwordx4 v[12:15], v6, s[20:23], s54 offen
	;; [unrolled: 1-line block ×4, first 2 shown]
	v_and_b32_e32 v5, 6, v0
	s_mul_i32 s20, s24, s12
	s_mul_hi_u32 s21, s45, s12
	v_lshlrev_b32_e32 v7, 2, v1
	v_lshlrev_b32_e32 v24, 3, v1
	v_xor_b32_e32 v26, v48, v5
	v_and_b32_e32 v6, 1, v0
	s_mul_i32 s24, s24, s16
	v_lshl_or_b32 v24, v46, 5, v24
	v_xor_b32_e32 v27, v46, v7
	v_lshlrev_b32_e32 v26, 2, v26
	s_add_i32 s59, s21, s20
	s_add_i32 s20, s42, s17
	v_or_b32_e32 v54, 0x9000, v24
	v_or_b32_e32 v55, 0x9800, v24
	v_lshlrev_b32_e32 v24, 1, v27
	v_xor_b32_e32 v27, 0x440, v26
	v_cmp_eq_u32_e32 vcc, 0, v6
	s_add_i32 s35, s20, s24
	s_mul_i32 s20, s33, s19
	s_mul_hi_u32 s21, s33, s18
	v_cndmask_b32_e32 v6, v27, v26, vcc
	s_add_i32 s20, s21, s20
	s_mul_i32 s21, s52, s18
	s_mov_b32 s56, 0x1000504
	v_lshlrev_b32_e32 v25, 8, v1
	s_mov_b32 s22, 0x8000
	v_xor_b32_e32 v7, v47, v7
	v_lshl_or_b32 v5, v5, 10, v6
	s_add_i32 s21, s20, s21
	s_lshl_b64 s[24:25], s[34:35], 2
	s_mov_b32 s57, 0x3020706
	v_lshlrev_b32_e32 v7, 1, v7
	v_or3_b32 v56, v24, v25, s22
	v_xor_b32_e32 v6, 8, v5
	v_xor_b32_e32 v24, 24, v5
	;; [unrolled: 1-line block ×4, first 2 shown]
	s_mul_i32 s20, s33, s18
	s_add_u32 s24, s10, s24
	v_or3_b32 v57, v7, v25, s22
	v_xor_b32_e32 v7, 16, v5
	v_xor_b32_e32 v25, 32, v5
	;; [unrolled: 1-line block ×3, first 2 shown]
	v_add_u32_e32 v6, 0x80, v6
	v_add_u32_e32 v24, 0x80, v24
	;; [unrolled: 1-line block ×4, first 2 shown]
	s_addc_u32 s25, s11, s25
	s_lshl_b64 s[20:21], s[20:21], 2
	s_add_u32 s38, s24, s20
	s_movk_i32 s20, 0xf8
	s_addc_u32 s39, s25, s21
	s_ashr_i32 s31, s30, 31
	s_lshl_b32 s26, s15, 7
	v_mov_b32_e32 v35, 0
	s_mov_b32 s55, 0
	s_mul_i32 s58, s45, s12
	v_add_u32_e32 v76, v40, v2
	s_mov_b32 s60, 0
	v_mov_b32_e32 v60, v35
	v_mov_b32_e32 v61, v35
	;; [unrolled: 1-line block ×6, first 2 shown]
	s_waitcnt vmcnt(1)
	v_perm_b32 v29, v8, v16, s56
	s_waitcnt vmcnt(0)
	v_perm_b32 v30, v12, v20, s56
	v_perm_b32 v8, v8, v16, s57
	;; [unrolled: 1-line block ×15, first 2 shown]
	ds_write2st64_b32 v5, v29, v30 offset1:32
	ds_write2st64_b32 v6, v8, v12 offset1:32
	ds_write2st64_b32 v7, v16, v20 offset0:1 offset1:33
	ds_write2st64_b32 v24, v9, v13 offset0:1 offset1:33
	;; [unrolled: 1-line block ×6, first 2 shown]
	v_or_b32_e32 v5, v40, v1
	v_lshlrev_b32_e32 v5, 3, v5
	v_lshrrev_b32_e32 v7, 5, v41
	v_and_or_b32 v7, v5, s20, v7
	v_lshlrev_b32_e32 v7, 4, v7
	v_lshlrev_b32_e32 v8, 11, v42
	v_and_b32_e32 v5, 0x78, v5
	v_or_b32_e32 v12, 32, v7
	v_and_b32_e32 v6, 0x1000, v8
	v_lshrrev_b32_e32 v10, 1, v0
	v_xor_b32_e32 v12, v12, v5
	v_and_b32_e32 v11, 8, v10
	v_or_b32_e32 v12, v12, v6
	v_xor_b32_e32 v9, v7, v5
	v_xor_b32_e32 v64, v12, v11
	v_or_b32_e32 v12, 64, v7
	v_or_b32_e32 v7, 0x60, v7
	v_or_b32_e32 v9, v9, v6
	v_xor_b32_e32 v12, v12, v5
	v_xor_b32_e32 v5, v7, v5
	;; [unrolled: 1-line block ×3, first 2 shown]
	v_and_b32_e32 v9, 0x78, v44
	v_or_b32_e32 v5, v5, v6
	v_lshl_or_b32 v9, v43, 7, v9
	v_or_b32_e32 v12, v12, v6
	v_xor_b32_e32 v66, v5, v11
	v_lshlrev_b32_e32 v5, 1, v1
	v_or_b32_e32 v63, 0x9000, v9
	v_xor_b32_e32 v65, v12, v11
	v_or_b32_e32 v67, 0x9800, v9
	v_lshlrev_b32_e32 v9, 1, v4
	v_add_lshl_u32 v11, v4, s15, 1
	v_lshrrev_b32_e32 v4, 4, v0
	s_lshl_b64 s[20:21], s[30:31], 8
	v_or_b32_e32 v13, 1, v5
	s_add_u32 s20, s36, s20
	v_xor_b32_e32 v5, v4, v5
	v_xor_b32_e32 v13, v13, v4
	s_addc_u32 s21, s37, s21
	v_lshlrev_b32_e32 v5, 3, v5
	v_lshlrev_b32_e32 v34, 8, v4
	;; [unrolled: 1-line block ×3, first 2 shown]
	v_or3_b32 v68, v5, v34, s22
	v_or3_b32 v69, v4, v34, s22
	v_lshl_add_u64 v[4:5], s[20:21], 0, v[34:35]
	v_lshlrev_b32_e32 v34, 4, v1
	s_movk_i32 s20, 0xff
	v_lshlrev_b32_e32 v15, 3, v42
	v_and_b32_e32 v10, 24, v10
	v_lshl_add_u64 v[36:37], v[4:5], 0, v[34:35]
	v_and_b32_e32 v5, 8, v0
	v_cmp_lt_u32_e32 vcc, s20, v0
	v_xor_b32_e32 v16, v15, v10
	v_or_b32_e32 v17, 0x440, v16
	v_cndmask_b32_e64 v14, 0, 1, vcc
	v_cmp_eq_u32_e32 vcc, 0, v5
	v_and_b32_e32 v4, 7, v0
	v_lshlrev_b32_e32 v13, 3, v4
	v_cndmask_b32_e32 v5, v17, v16, vcc
	v_lshlrev_b32_e32 v4, 7, v4
	v_or_b32_e32 v5, v5, v8
	v_xad_u32 v70, v5, v13, v4
	v_or_b32_e32 v5, 32, v10
	v_xor_b32_e32 v5, v15, v5
	v_or_b32_e32 v16, 0x440, v5
	v_cndmask_b32_e32 v5, v16, v5, vcc
	v_or_b32_e32 v5, v5, v8
	v_xad_u32 v71, v5, v13, v4
	v_or_b32_e32 v5, 64, v10
	v_xor_b32_e32 v5, v15, v5
	v_xor_b32_e32 v16, 0x440, v5
	v_cndmask_b32_e32 v5, v16, v5, vcc
	v_or_b32_e32 v5, v5, v8
	v_xad_u32 v72, v5, v13, v4
	v_or_b32_e32 v5, 0x60, v10
	v_xor_b32_e32 v5, v15, v5
	v_xor_b32_e32 v10, 0x440, v5
	v_or_b32_e32 v6, s30, v1
	v_cndmask_b32_e32 v5, v10, v5, vcc
	v_ashrrev_i32_e32 v7, 31, v6
	v_or_b32_e32 v5, v5, v8
	v_lshl_add_u64 v[6:7], v[6:7], 1, s[8:9]
	v_or_b32_e32 v12, 0x100, v3
	v_lshlrev_b32_e32 v14, 13, v14
	v_xad_u32 v73, v5, v13, v4
	v_lshlrev_b32_e32 v34, 8, v46
	v_cndmask_b32_e64 v74, v9, v3, s[0:1]
	v_cndmask_b32_e64 v75, v11, v12, s[0:1]
	v_lshl_add_u64 v[38:39], v[6:7], 0, v[34:35]
	s_mov_b32 s31, 0x7060302
	s_movk_i32 s22, 0x4000
	v_add_u32_e32 v77, v14, v70
	v_add_u32_e32 v78, v14, v71
	;; [unrolled: 1-line block ×4, first 2 shown]
	v_mov_b32_e32 v34, v35
	s_waitcnt lgkmcnt(0)
	s_barrier
.LBB560_6:                              ; =>This Inner Loop Header: Depth=1
	s_add_i32 s35, s60, 1
	s_cmp_lt_i32 s35, s46
	s_mov_b64 s[24:25], 0
	s_cselect_b64 s[40:41], -1, 0
	s_cmp_ge_i32 s35, s46
	s_mov_b64 s[20:21], 0
	s_cbranch_scc1 .LBB560_8
; %bb.7:                                ;   in Loop: Header=BB560_6 Depth=1
	s_add_i32 s0, s55, 64
	s_add_u32 s0, s2, s0
	s_addc_u32 s1, s3, 0
	s_lshl_b64 s[0:1], s[0:1], 8
	s_add_u32 s20, s6, s0
	s_addc_u32 s21, s7, s1
.LBB560_8:                              ;   in Loop: Header=BB560_6 Depth=1
	v_cndmask_b32_e64 v2, 0, 1, s[40:41]
	v_cmp_ne_u32_e64 s[0:1], 1, v2
	s_andn2_b64 vcc, exec, s[40:41]
	s_cbranch_vccnz .LBB560_10
; %bb.9:                                ;   in Loop: Header=BB560_6 Depth=1
	s_add_i32 s24, s55, 64
	s_add_u32 s24, s58, s24
	s_addc_u32 s25, s59, 0
	s_mul_i32 s27, s24, s47
	s_mul_hi_u32 s40, s24, s51
	s_add_i32 s27, s40, s27
	s_mul_i32 s25, s25, s51
	s_add_i32 s27, s27, s25
	s_mul_i32 s24, s24, s51
	s_add_u32 s24, s24, s50
	s_addc_u32 s25, s27, s53
	s_lshl_b64 s[24:25], s[24:25], 8
	s_add_u32 s24, s4, s24
	s_addc_u32 s25, s5, s25
.LBB560_10:                             ;   in Loop: Header=BB560_6 Depth=1
	v_perm_b32 v3, v82, v61, s31
	v_perm_b32 v2, v60, v35, s31
	;; [unrolled: 1-line block ×4, first 2 shown]
	ds_write_b64 v54, v[2:3]
	ds_write_b64 v55, v[4:5]
	;; [unrolled: 1-line block ×4, first 2 shown]
	s_waitcnt lgkmcnt(0)
	s_barrier
	ds_read_b64 v[10:11], v62 offset:16384
	ds_read_b64 v[12:13], v64 offset:16384
	ds_read2st64_b64 v[2:5], v63 offset1:1
	ds_read2st64_b64 v[6:9], v63 offset0:2 offset1:3
	ds_read_b64 v[14:15], v65 offset:16384
	s_waitcnt lgkmcnt(2)
	v_mfma_f32_16x16x16_bf16 a[0:3], v[10:11], v[2:3], 0
	ds_read_b64 v[2:3], v66 offset:16384
	s_add_i32 s27, s55, 63
	s_mul_i32 s40, s27, s29
	v_mfma_f32_16x16x16_bf16 a[0:3], v[12:13], v[4:5], a[0:3]
	s_mul_hi_u32 s41, s27, s28
	s_add_i32 s41, s41, s40
	s_mul_i32 s40, s27, s28
	s_waitcnt lgkmcnt(1)
	v_mfma_f32_16x16x16_bf16 a[0:3], v[14:15], v[6:7], a[0:3]
	s_lshl_b64 s[40:41], s[40:41], 2
	s_add_u32 s40, s38, s40
	s_addc_u32 s41, s39, s41
	s_waitcnt lgkmcnt(0)
	v_mfma_f32_16x16x16_bf16 a[0:3], v[2:3], v[8:9], a[0:3]
	s_and_b64 vcc, exec, s[0:1]
	v_mov_b32_e32 v85, 0
	v_mov_b32_e32 v84, 0
	v_mov_b32_e32 v83, 0
	v_mov_b32_e32 v2, 0
	v_mov_b32_e32 v3, 0
	v_mov_b32_e32 v4, 0
	v_mov_b32_e32 v5, 0
	v_mov_b32_e32 v6, 0
	v_mov_b32_e32 v7, 0
	v_mov_b32_e32 v8, 0
	v_mov_b32_e32 v9, 0
	v_mov_b32_e32 v10, 0
	v_mov_b32_e32 v11, 0
	v_mov_b32_e32 v12, 0
	v_mov_b32_e32 v13, 0
	v_mov_b32_e32 v14, 0
	v_mov_b32_e32 v15, 0
	v_mov_b32_e32 v16, 0
	v_mov_b32_e32 v17, 0
	s_cbranch_vccnz .LBB560_12
; %bb.11:                               ;   in Loop: Header=BB560_6 Depth=1
	s_and_b32 s21, s21, 0xffff
	buffer_load_dwordx4 v[14:17], v50, s[20:23], 0 offen
	buffer_load_dwordx4 v[10:13], v50, s[20:23], s54 offen
	;; [unrolled: 1-line block ×4, first 2 shown]
	v_mov_b32_e32 v84, v52
	v_mov_b32_e32 v83, v53
.LBB560_12:                             ;   in Loop: Header=BB560_6 Depth=1
	s_waitcnt vmcnt(3)
	v_add_u32_e32 v24, s55, v76
	s_waitcnt vmcnt(1)
	v_ashrrev_i32_e32 v18, 31, v24
	v_mul_lo_u32 v20, v18, s28
	v_mul_lo_u32 v21, v24, s29
	v_mad_u64_u32 v[18:19], s[20:21], v24, s28, 0
	v_add3_u32 v19, v19, v21, v20
	v_add_u32_e32 v20, 1, v24
	v_ashrrev_i32_e32 v21, 31, v20
	v_mul_lo_u32 v22, v21, s28
	v_mul_lo_u32 v23, v20, s29
	v_mad_u64_u32 v[20:21], s[20:21], v20, s28, 0
	v_add3_u32 v21, v21, v23, v22
	v_add_u32_e32 v22, 2, v24
	v_ashrrev_i32_e32 v23, 31, v22
	v_mul_lo_u32 v25, v23, s28
	v_mul_lo_u32 v26, v22, s29
	v_mad_u64_u32 v[22:23], s[20:21], v22, s28, 0
	v_add_u32_e32 v24, 3, v24
	v_add3_u32 v23, v23, v26, v25
	v_ashrrev_i32_e32 v25, 31, v24
	v_mul_lo_u32 v28, v25, s28
	v_mul_lo_u32 v29, v24, s29
	v_mad_u64_u32 v[24:25], s[20:21], v24, s28, 0
	s_add_u32 s20, s2, s55
	s_addc_u32 s21, s3, 0
	s_lshl_b64 s[20:21], s[20:21], 8
	v_lshl_add_u64 v[18:19], v[18:19], 2, s[38:39]
	v_lshl_add_u64 v[26:27], v[38:39], 0, s[20:21]
	;; [unrolled: 1-line block ×3, first 2 shown]
	global_load_ushort v87, v[26:27], off
	global_load_ushort v96, v[26:27], off offset:256
	global_load_ushort v97, v[26:27], off offset:512
	;; [unrolled: 1-line block ×3, first 2 shown]
	v_add3_u32 v25, v25, v29, v28
	global_load_dword v99, v[18:19], off
	v_lshl_add_u64 v[22:23], v[22:23], 2, s[38:39]
	v_lshl_add_u64 v[18:19], v[24:25], 2, s[38:39]
	global_load_dword v100, v[20:21], off
	global_load_dword v101, v[22:23], off
	;; [unrolled: 1-line block ×3, first 2 shown]
	s_load_dword s20, s[40:41], 0x0
	ds_read2st64_b64 v[26:29], v67 offset1:1
	ds_read2st64_b64 v[88:91], v67 offset0:2 offset1:3
	ds_read_b64 v[30:31], v62 offset:24576
	ds_read_b64 v[32:33], v64 offset:24576
	;; [unrolled: 1-line block ×4, first 2 shown]
	s_waitcnt lgkmcnt(0)
	v_mfma_f32_16x16x16_bf16 a[0:3], v[30:31], v[26:27], a[0:3]
	v_mov_b32_e32 v86, 0
	v_mov_b32_e32 v18, 0
	v_mov_b32_e32 v19, 0
	v_mfma_f32_16x16x16_bf16 a[0:3], v[32:33], v[28:29], a[0:3]
	v_mov_b32_e32 v20, 0
	v_mov_b32_e32 v21, 0
	v_mov_b32_e32 v22, 0
	;; [unrolled: 4-line block ×4, first 2 shown]
	v_mov_b32_e32 v29, 0
	v_mov_b32_e32 v30, 0
	;; [unrolled: 1-line block ×4, first 2 shown]
	v_accvgpr_read_b32 v91, a1
	v_accvgpr_read_b32 v89, a3
	;; [unrolled: 1-line block ×4, first 2 shown]
	s_and_b64 vcc, exec, s[0:1]
	s_waitcnt vmcnt(7)
	v_lshlrev_b32_e32 v92, 16, v87
	s_waitcnt vmcnt(6)
	v_lshlrev_b32_e32 v93, 16, v96
	;; [unrolled: 2-line block ×4, first 2 shown]
	v_pk_add_f32 v[90:91], v[92:93], v[90:91] neg_lo:[0,1] neg_hi:[0,1]
	s_waitcnt vmcnt(3)
	v_sub_f32_e32 v33, s20, v99
	v_exp_f32_e32 v96, v33
	s_waitcnt vmcnt(2)
	v_sub_f32_e32 v33, s20, v100
	s_waitcnt vmcnt(1)
	v_sub_f32_e32 v87, s20, v101
	;; [unrolled: 2-line block ×3, first 2 shown]
	v_exp_f32_e32 v97, v33
	v_exp_f32_e32 v98, v87
	v_exp_f32_e32 v99, v99
	v_pk_add_f32 v[88:89], v[94:95], v[88:89] neg_lo:[0,1] neg_hi:[0,1]
	v_pk_mul_f32 v[90:91], v[96:97], v[90:91]
	v_mov_b32_e32 v33, 0
	v_pk_mul_f32 v[88:89], v[98:99], v[88:89]
	s_nop 0
	v_perm_b32 v89, v89, v88, s31
	v_perm_b32 v88, v91, v90, s31
	ds_write_b64 v55, v[88:89]
	s_cbranch_vccnz .LBB560_14
; %bb.13:                               ;   in Loop: Header=BB560_6 Depth=1
	s_and_b32 s25, s25, 0xffff
	s_mov_b32 s27, s23
	buffer_load_dwordx4 v[30:33], v74, s[24:27], 0 offen
	buffer_load_dwordx4 v[22:25], v74, s[24:27], s54 offen
	;; [unrolled: 1-line block ×4, first 2 shown]
	v_mov_b32_e32 v85, v49
	v_mov_b32_e32 v86, v48
.LBB560_14:                             ;   in Loop: Header=BB560_6 Depth=1
	s_waitcnt lgkmcnt(0)
	s_barrier
	ds_read_b64 v[96:97], v77
	ds_read2st64_b64 v[88:91], v67 offset1:1
	ds_read2st64_b64 v[92:95], v67 offset0:2 offset1:3
	ds_read_b64 v[98:99], v78
	ds_read_b64 v[100:101], v79
	;; [unrolled: 1-line block ×3, first 2 shown]
	s_waitcnt lgkmcnt(4)
	v_mfma_f32_16x16x16_bf16 a[0:3], v[96:97], v[88:89], 0
	ds_read_b64 v[96:97], v70 offset:8192
	ds_read_b64 v[104:105], v71 offset:8192
	s_add_i32 s21, s48, s60
	s_mul_hi_i32 s25, s21, s13
	s_waitcnt lgkmcnt(1)
	v_mfma_f32_16x16x16_bf16 a[4:7], v[96:97], v[88:89], 0
	s_mul_i32 s21, s21, s13
	s_add_u32 s24, s21, s33
	s_addc_u32 s25, s25, s52
	v_mfma_f32_16x16x16_bf16 a[0:3], v[98:99], v[90:91], a[0:3]
	ds_read_b64 v[96:97], v68
	ds_read_b64 v[98:99], v69
	ds_read_b64 v[88:89], v72 offset:8192
	s_lshl_b64 s[24:25], s[24:25], 15
	v_mfma_f32_16x16x16_bf16 a[0:3], v[100:101], v[92:93], a[0:3]
	ds_read_b64 v[100:101], v73 offset:8192
	s_and_b64 vcc, exec, s[0:1]
	s_waitcnt lgkmcnt(4)
	v_mfma_f32_16x16x16_bf16 a[4:7], v[104:105], v[90:91], a[4:7]
	s_waitcnt lgkmcnt(1)
	v_mfma_f32_16x16x16_bf16 a[4:7], v[88:89], v[92:93], a[4:7]
	v_lshl_add_u64 v[88:89], v[36:37], 0, s[24:25]
	global_store_dwordx4 v[88:89], v[96:99], off
	v_mfma_f32_16x16x16_bf16 a[0:3], v[102:103], v[94:95], a[0:3]
	s_waitcnt lgkmcnt(0)
	v_mfma_f32_16x16x16_bf16 a[4:7], v[100:101], v[94:95], a[4:7]
	s_cbranch_vccnz .LBB560_16
; %bb.15:                               ;   in Loop: Header=BB560_6 Depth=1
	v_lshrrev_b32_e32 v87, 3, v85
	v_and_b32_e32 v87, 6, v87
	v_xor_b32_e32 v86, v87, v86
	v_lshlrev_b32_e32 v86, 2, v86
	v_and_b32_e32 v85, 8, v85
	v_xor_b32_e32 v88, 0x440, v86
	v_cmp_eq_u32_e32 vcc, 0, v85
	s_barrier
	s_nop 0
	v_cndmask_b32_e32 v85, v88, v86, vcc
	v_lshl_or_b32 v85, v87, 10, v85
	s_waitcnt vmcnt(2)
	v_perm_b32 v86, v30, v26, s56
	s_waitcnt vmcnt(1)
	v_perm_b32 v87, v22, v18, s56
	ds_write2st64_b32 v85, v86, v87 offset1:32
	v_xor_b32_e32 v86, 8, v85
	v_perm_b32 v26, v30, v26, s57
	v_perm_b32 v18, v22, v18, s57
	v_add_u32_e32 v22, 0x80, v86
	ds_write2st64_b32 v22, v26, v18 offset1:32
	v_xor_b32_e32 v18, 16, v85
	v_perm_b32 v22, v31, v27, s56
	v_perm_b32 v26, v23, v19, s56
	ds_write2st64_b32 v18, v22, v26 offset0:1 offset1:33
	v_xor_b32_e32 v18, 24, v85
	v_perm_b32 v22, v31, v27, s57
	v_perm_b32 v19, v23, v19, s57
	v_add_u32_e32 v18, 0x80, v18
	ds_write2st64_b32 v18, v22, v19 offset0:1 offset1:33
	v_xor_b32_e32 v18, 32, v85
	v_perm_b32 v19, v32, v28, s56
	v_perm_b32 v22, v24, v20, s56
	ds_write2st64_b32 v18, v19, v22 offset0:2 offset1:34
	v_xor_b32_e32 v18, 40, v85
	v_perm_b32 v19, v32, v28, s57
	v_perm_b32 v20, v24, v20, s57
	v_add_u32_e32 v18, 0x80, v18
	ds_write2st64_b32 v18, v19, v20 offset0:2 offset1:34
	;; [unrolled: 9-line block ×3, first 2 shown]
	ds_write_b64 v84, v[14:15] offset:16384
	v_xor_b32_e32 v14, 8, v84
	ds_write_b64 v14, v[16:17] offset:16384
	ds_write_b64 v84, v[10:11] offset:24576
	;; [unrolled: 1-line block ×4, first 2 shown]
	v_xor_b32_e32 v6, 8, v83
	ds_write_b64 v6, v[8:9] offset:16384
	ds_write_b64 v83, v[2:3] offset:24576
	;; [unrolled: 1-line block ×3, first 2 shown]
.LBB560_16:                             ;   in Loop: Header=BB560_6 Depth=1
	v_exp_f32_e32 v2, s20
	s_nop 2
	v_accvgpr_read_b32 v3, a0
	v_accvgpr_read_b32 v4, a1
	s_add_i32 s55, s55, 64
	v_fma_f32 v35, v35, v2, v3
	v_accvgpr_read_b32 v3, a2
	v_fma_f32 v61, v61, v2, v3
	v_accvgpr_read_b32 v3, a4
	;; [unrolled: 2-line block ×6, first 2 shown]
	v_fmac_f32_e32 v4, v82, v2
	s_cmp_eq_u32 s46, s35
	v_fmac_f32_e32 v3, v81, v2
	s_cbranch_scc1 .LBB560_18
; %bb.17:                               ;   in Loop: Header=BB560_6 Depth=1
	s_mov_b32 s60, s35
	v_mov_b32_e32 v82, v4
	v_mov_b32_e32 v81, v3
	s_branch .LBB560_6
.LBB560_18:
	s_lshl_b32 s40, s46, 6
	s_sub_i32 s41, s12, s40
	s_cmp_gt_i32 s41, 0
	s_cbranch_scc0 .LBB560_75
; %bb.19:
	s_ashr_i32 s35, s45, 31
	s_ashr_i32 s2, s40, 31
	s_cmpk_lg_i32 s15, 0x80
	s_cselect_b64 s[26:27], -1, 0
	s_and_b64 vcc, exec, s[26:27]
	s_cbranch_vccz .LBB560_21
; %bb.20:
	s_mul_i32 s1, s45, s12
	s_mul_hi_i32 s0, s45, s12
	s_add_u32 s1, s1, s40
	s_addc_u32 s0, s0, s2
	s_mul_i32 s3, s1, s47
	s_mul_hi_u32 s20, s1, s14
	s_add_i32 s3, s20, s3
	s_mul_i32 s0, s0, s14
	s_add_i32 s3, s3, s0
	s_mul_i32 s1, s1, s14
	s_ashr_i32 s0, s50, 31
	s_add_u32 s38, s1, s50
	s_addc_u32 s39, s3, s0
	s_cbranch_execz .LBB560_22
	s_branch .LBB560_23
.LBB560_21:
                                        ; implicit-def: $sgpr38_sgpr39
.LBB560_22:
	s_mul_hi_i32 s0, s45, s14
	s_mul_i32 s45, s45, s14
	s_ashr_i32 s1, s50, 31
	s_add_u32 s3, s45, s50
	s_addc_u32 s0, s0, s1
	s_mul_i32 s1, s3, s44
	s_mul_hi_u32 s14, s3, s12
	s_add_i32 s1, s14, s1
	s_mul_i32 s0, s0, s12
	s_add_i32 s1, s1, s0
	s_mul_i32 s3, s3, s12
	s_add_u32 s38, s3, s40
	s_addc_u32 s39, s1, s2
.LBB560_23:
	s_add_i32 s3, s48, s46
	s_ashr_i32 s14, s33, 31
	s_add_u32 s0, s43, s33
	s_addc_u32 s1, s49, s14
	s_mul_i32 s20, s0, s44
	s_mul_hi_u32 s21, s0, s12
	s_add_i32 s20, s21, s20
	s_mul_i32 s1, s1, s12
	s_add_i32 s20, s20, s1
	s_mul_i32 s0, s0, s12
	s_add_u32 s0, s0, s40
	s_addc_u32 s1, s20, s2
	s_mov_b32 s2, 0x7060302
	v_lshlrev_b32_e32 v6, 3, v1
	v_perm_b32 v5, v4, v61, s2
	v_perm_b32 v4, v60, v35, s2
	;; [unrolled: 1-line block ×4, first 2 shown]
	v_lshlrev_b32_e32 v34, 2, v1
	v_lshl_or_b32 v6, v46, 5, v6
	s_lshl_b64 s[24:25], s[0:1], 8
	ds_write2st64_b64 v6, v[4:5], v[2:3] offset0:72 offset1:76
	v_xor_b32_e32 v6, v46, v34
	v_lshlrev_b32_e32 v7, 8, v1
	s_add_u32 s0, s6, s24
	v_lshl_or_b32 v6, v6, 1, v7
	s_addc_u32 s1, s7, s25
	ds_write_b64 v6, v[4:5] offset:32768
	v_xor_b32_e32 v4, v47, v34
	s_mul_hi_i32 s6, s3, s13
	s_mul_i32 s3, s3, s13
	v_lshl_or_b32 v4, v4, 1, v7
	s_add_u32 s2, s3, s33
	ds_write_b64 v4, v[2:3] offset:32768
	s_addc_u32 s3, s6, s14
	v_lshlrev_b32_e32 v3, 1, v1
	v_lshrrev_b32_e32 v2, 4, v0
	s_ashr_i32 s31, s30, 31
	s_lshl_b64 s[2:3], s[2:3], 15
	v_or_b32_e32 v4, 1, v3
	s_add_u32 s6, s36, s2
	v_xor_b32_e32 v3, v2, v3
	v_xor_b32_e32 v4, v4, v2
	v_lshlrev_b32_e32 v6, 8, v2
	s_addc_u32 s7, s37, s3
	s_lshl_b64 s[2:3], s[30:31], 8
	v_lshl_or_b32 v2, v3, 3, v6
	v_lshl_or_b32 v4, v4, 3, v6
	s_waitcnt lgkmcnt(0)
	s_barrier
	s_add_u32 s2, s6, s2
	ds_read_b64 v[2:3], v2 offset:32768
	ds_read_b64 v[4:5], v4 offset:32768
	s_addc_u32 s3, s7, s3
	v_mov_b32_e32 v7, 0
	s_cmp_lg_u32 s41, 64
	v_lshl_add_u64 v[8:9], s[2:3], 0, v[6:7]
	v_lshlrev_b32_e32 v6, 4, v1
	s_cselect_b64 s[6:7], -1, 0
	v_lshl_or_b32 v35, v42, 3, v45
	s_mov_b32 s20, 0
	v_lshl_add_u64 v[6:7], v[8:9], 0, v[6:7]
	s_waitcnt vmcnt(1)
	v_or_b32_e32 v19, 32, v35
	v_and_b32_e32 v18, 56, v44
	s_and_b64 vcc, exec, s[6:7]
	s_waitcnt lgkmcnt(0)
	global_store_dwordx4 v[6:7], v[2:5], off
	s_cbranch_vccz .LBB560_29
; %bb.24:
	s_mov_b32 s21, s20
	s_mov_b32 s22, s20
	;; [unrolled: 1-line block ×3, first 2 shown]
	v_mov_b64_e32 v[6:7], s[20:21]
	v_mov_b64_e32 v[8:9], s[22:23]
	;; [unrolled: 1-line block ×3, first 2 shown]
	v_cmp_gt_i32_e32 vcc, s41, v35
	v_mov_b64_e32 v[4:5], v[8:9]
	s_and_saveexec_b64 s[2:3], vcc
	s_cbranch_execz .LBB560_26
; %bb.25:
	v_lshlrev_b32_e32 v2, 8, v35
	v_mov_b32_e32 v3, 0
	v_lshl_add_u64 v[4:5], s[0:1], 0, v[2:3]
	v_lshlrev_b32_e32 v2, 1, v18
	v_lshl_add_u64 v[10:11], v[4:5], 0, v[2:3]
	global_load_dwordx4 v[6:9], v[10:11], off
	global_load_dwordx4 v[2:5], v[10:11], off offset:128
.LBB560_26:
	s_or_b64 exec, exec, s[2:3]
	s_mov_b32 s21, s20
	s_mov_b32 s22, s20
	;; [unrolled: 1-line block ×3, first 2 shown]
	v_mov_b64_e32 v[14:15], s[20:21]
	v_mov_b64_e32 v[16:17], s[22:23]
	v_mov_b64_e32 v[10:11], v[14:15]
	v_cmp_gt_i32_e32 vcc, s41, v19
	v_lshlrev_b32_e32 v20, 7, v19
	v_mov_b64_e32 v[12:13], v[16:17]
	s_and_saveexec_b64 s[2:3], vcc
	s_cbranch_execz .LBB560_28
; %bb.27:
	v_lshlrev_b32_e32 v10, 1, v20
	v_mov_b32_e32 v11, 0
	v_lshl_add_u64 v[12:13], s[0:1], 0, v[10:11]
	v_lshlrev_b32_e32 v10, 1, v18
	v_lshl_add_u64 v[22:23], v[12:13], 0, v[10:11]
	global_load_dwordx4 v[14:17], v[22:23], off
	global_load_dwordx4 v[10:13], v[22:23], off offset:128
.LBB560_28:
	s_or_b64 exec, exec, s[2:3]
	v_lshrrev_b32_e32 v21, 3, v18
	v_lshlrev_b32_e32 v22, 3, v35
	v_or_b32_e32 v21, v22, v21
	v_lshlrev_b32_e32 v21, 4, v21
	v_and_b32_e32 v22, 0x78, v22
	v_xor_b32_e32 v21, v21, v22
	s_branch .LBB560_31
.LBB560_29:
                                        ; implicit-def: $vgpr21
                                        ; implicit-def: $vgpr20
                                        ; implicit-def: $vgpr6_vgpr7_vgpr8_vgpr9
                                        ; implicit-def: $vgpr2_vgpr3_vgpr4_vgpr5
                                        ; implicit-def: $vgpr14_vgpr15_vgpr16_vgpr17
                                        ; implicit-def: $vgpr10_vgpr11_vgpr12_vgpr13
	s_cbranch_execz .LBB560_31
; %bb.30:
	s_waitcnt vmcnt(0)
	v_lshlrev_b32_e32 v2, 1, v18
	v_lshl_or_b32 v20, v35, 8, v2
	s_and_b32 s1, s1, 0xffff
	s_mov_b32 s3, 0x20000
	s_movk_i32 s2, 0x4000
	v_lshl_or_b32 v21, v19, 8, v2
	s_movk_i32 s13, 0x80
	buffer_load_dwordx4 v[6:9], v20, s[0:3], 0 offen
	buffer_load_dwordx4 v[2:5], v20, s[0:3], s13 offen
	;; [unrolled: 1-line block ×4, first 2 shown]
	v_lshrrev_b32_e32 v20, 3, v18
	v_lshlrev_b32_e32 v21, 3, v35
	v_or_b32_e32 v20, v21, v20
	v_lshlrev_b32_e32 v20, 4, v20
	v_and_b32_e32 v21, 0x78, v21
	v_xor_b32_e32 v21, v20, v21
	v_lshlrev_b32_e32 v20, 7, v19
.LBB560_31:
	s_lshl_b64 s[0:1], s[38:39], 8
	s_add_u32 s4, s4, s0
	s_movk_i32 s0, 0x1000
	v_and_or_b32 v19, v20, s0, v21
	s_waitcnt vmcnt(1)
	ds_write_b64 v21, v[6:7] offset:16384
	v_xor_b32_e32 v6, 8, v21
	s_addc_u32 s5, s5, s1
	ds_write_b64 v6, v[8:9] offset:16384
	s_waitcnt vmcnt(0)
	ds_write_b64 v21, v[2:3] offset:24576
	ds_write_b64 v6, v[4:5] offset:24576
	;; [unrolled: 1-line block ×3, first 2 shown]
	v_xor_b32_e32 v2, 8, v19
	s_add_i32 s0, s42, s17
	s_mul_i32 s35, s35, s16
	ds_write_b64 v2, v[16:17] offset:16384
	ds_write_b64 v19, v[10:11] offset:24576
	;; [unrolled: 1-line block ×3, first 2 shown]
	s_add_i32 s35, s0, s35
	s_mul_i32 s0, s33, s19
	s_mul_hi_u32 s1, s33, s18
	v_or_b32_e32 v2, v40, v1
	s_add_i32 s0, s1, s0
	s_mul_i32 s1, s14, s18
	v_lshlrev_b32_e32 v2, 3, v2
	v_lshrrev_b32_e32 v4, 5, v41
	s_movk_i32 s14, 0xf8
	v_and_or_b32 v4, v2, s14, v4
	v_lshlrev_b32_e32 v3, 11, v42
	v_lshlrev_b32_e32 v12, 4, v4
	v_and_b32_e32 v13, 0x78, v2
	v_and_b32_e32 v14, 0x1000, v3
	v_lshlrev_b32_e32 v3, 2, v0
	v_xor_b32_e32 v2, v12, v13
	v_lshrrev_b32_e32 v4, 1, v41
	v_and_b32_e32 v3, 60, v3
	v_or_b32_e32 v2, v2, v14
	v_and_b32_e32 v15, 8, v4
	v_xor_b32_e32 v26, v2, v15
	v_lshl_or_b32 v2, v43, 6, v3
	v_lshlrev_b32_e32 v19, 1, v2
	v_or_b32_e32 v2, 32, v12
	v_xor_b32_e32 v2, v2, v13
	s_waitcnt lgkmcnt(0)
	s_barrier
	ds_read_b64 v[10:11], v26 offset:16384
	v_or_b32_e32 v2, v2, v14
	v_xor_b32_e32 v27, v2, v15
	v_or_b32_e32 v2, 64, v12
	v_xor_b32_e32 v2, v2, v13
	v_or_b32_e32 v2, v2, v14
	v_or_b32_e32 v12, 0x60, v12
	v_xor_b32_e32 v28, v2, v15
	ds_read2st64_b64 v[2:5], v19 offset0:72 offset1:73
	ds_read2st64_b64 v[6:9], v19 offset0:74 offset1:75
	v_xor_b32_e32 v16, v12, v13
	ds_read_b64 v[12:13], v27 offset:16384
	s_waitcnt lgkmcnt(2)
	v_mfma_f32_16x16x16_bf16 a[0:3], v[10:11], v[2:3], 0
	s_add_i32 s2, s12, -1
	s_ashr_i32 s3, s2, 31
	s_mul_i32 s12, s2, s29
	s_mul_hi_u32 s13, s2, s28
	s_add_i32 s12, s13, s12
	s_mul_i32 s3, s3, s28
	v_or_b32_e32 v14, v16, v14
	s_add_i32 s1, s0, s1
	s_add_i32 s3, s12, s3
	s_lshl_b64 s[12:13], s[34:35], 2
	v_xor_b32_e32 v36, v14, v15
	ds_read_b64 v[14:15], v28 offset:16384
	ds_read_b64 v[16:17], v36 offset:16384
	s_waitcnt lgkmcnt(2)
	v_mfma_f32_16x16x16_bf16 a[0:3], v[12:13], v[4:5], a[0:3]
	s_mul_i32 s0, s33, s18
	s_add_u32 s10, s10, s12
	s_addc_u32 s11, s11, s13
	s_lshl_b64 s[0:1], s[0:1], 2
	s_mul_i32 s2, s2, s28
	s_add_u32 s10, s10, s0
	s_addc_u32 s11, s11, s1
	s_lshl_b64 s[0:1], s[2:3], 2
	s_waitcnt lgkmcnt(1)
	v_mfma_f32_16x16x16_bf16 a[0:3], v[14:15], v[6:7], a[0:3]
	s_add_u32 s0, s10, s0
	s_addc_u32 s1, s11, s1
	s_load_dword s12, s[0:1], 0x0
	s_waitcnt lgkmcnt(0)
	v_mfma_f32_16x16x16_bf16 a[0:3], v[16:17], v[8:9], a[0:3]
	s_and_b64 vcc, exec, s[26:27]
	s_cbranch_vccz .LBB560_42
; %bb.32:
	v_lshlrev_b32_e32 v20, 1, v35
	s_and_b64 vcc, exec, s[6:7]
	s_cbranch_vccz .LBB560_43
; %bb.33:
	v_cmp_gt_i32_e32 vcc, s41, v20
	v_mov_b32_e32 v6, 0
	v_mov_b32_e32 v2, 0
	;; [unrolled: 1-line block ×5, first 2 shown]
	s_and_saveexec_b64 s[0:1], vcc
	s_cbranch_execz .LBB560_35
; %bb.34:
	v_mad_i64_i32 v[2:3], s[2:3], s15, v20, 0
	v_lshl_add_u64 v[2:3], v[2:3], 1, s[4:5]
	v_lshlrev_b32_e32 v4, 1, v18
	v_mov_b32_e32 v5, 0
	v_lshl_add_u64 v[2:3], v[2:3], 0, v[4:5]
	global_load_dwordx4 v[2:5], v[2:3], off
.LBB560_35:
	s_or_b64 exec, exec, s[0:1]
	v_or_b32_e32 v21, 1, v20
	v_cmp_gt_i32_e64 s[0:1], s41, v21
	v_mov_b32_e32 v7, 0
	v_mov_b32_e32 v8, 0
	;; [unrolled: 1-line block ×3, first 2 shown]
	s_and_saveexec_b64 s[2:3], s[0:1]
	s_cbranch_execz .LBB560_37
; %bb.36:
	v_mad_i64_i32 v[6:7], s[16:17], s15, v21, 0
	v_lshl_add_u64 v[6:7], v[6:7], 1, s[4:5]
	v_lshlrev_b32_e32 v8, 1, v18
	v_mov_b32_e32 v9, 0
	v_lshl_add_u64 v[6:7], v[6:7], 0, v[8:9]
	global_load_dwordx4 v[6:9], v[6:7], off
.LBB560_37:
	s_or_b64 exec, exec, s[2:3]
	v_mov_b32_e32 v17, 0
	v_mov_b32_e32 v10, 0
	;; [unrolled: 1-line block ×5, first 2 shown]
	s_and_saveexec_b64 s[2:3], vcc
	s_cbranch_execz .LBB560_39
; %bb.38:
	v_mad_i64_i32 v[10:11], s[16:17], s15, v20, 0
	v_lshl_add_u64 v[10:11], v[10:11], 1, s[4:5]
	v_lshlrev_b32_e32 v12, 1, v18
	v_mov_b32_e32 v13, 0
	v_lshl_add_u64 v[10:11], v[10:11], 0, v[12:13]
	global_load_dwordx4 v[10:13], v[10:11], off offset:128
.LBB560_39:
	s_or_b64 exec, exec, s[2:3]
	v_mov_b32_e32 v16, 0
	v_mov_b32_e32 v15, 0
	;; [unrolled: 1-line block ×3, first 2 shown]
	s_and_saveexec_b64 s[2:3], s[0:1]
	s_cbranch_execz .LBB560_41
; %bb.40:
	v_mad_i64_i32 v[14:15], s[0:1], s15, v21, 0
	v_lshl_add_u64 v[14:15], v[14:15], 1, s[4:5]
	v_lshlrev_b32_e32 v16, 1, v18
	v_mov_b32_e32 v17, 0
	v_lshl_add_u64 v[14:15], v[14:15], 0, v[16:17]
	global_load_dwordx4 v[14:17], v[14:15], off offset:128
.LBB560_41:
	s_or_b64 exec, exec, s[2:3]
	s_branch .LBB560_45
.LBB560_42:
                                        ; implicit-def: $vgpr5
                                        ; implicit-def: $vgpr9
                                        ; implicit-def: $vgpr13
                                        ; implicit-def: $vgpr17
	v_lshrrev_b32_e32 v37, 2, v41
	s_branch .LBB560_46
.LBB560_43:
                                        ; implicit-def: $vgpr5
                                        ; implicit-def: $vgpr9
                                        ; implicit-def: $vgpr13
                                        ; implicit-def: $vgpr17
	s_cbranch_execz .LBB560_45
; %bb.44:
	s_waitcnt vmcnt(0)
	v_mad_u64_u32 v[2:3], s[0:1], v20, s15, v[18:19]
	v_lshlrev_b32_e32 v20, 1, v2
	s_lshl_b32 s2, s15, 7
	s_and_b32 s1, s5, 0xffff
	s_mov_b32 s3, 0x20000
	s_mov_b32 s0, s4
	v_add_lshl_u32 v21, v2, s15, 1
	s_movk_i32 s13, 0x80
	buffer_load_dwordx4 v[2:5], v20, s[0:3], 0 offen
	buffer_load_dwordx4 v[10:13], v20, s[0:3], s13 offen
	;; [unrolled: 1-line block ×4, first 2 shown]
.LBB560_45:
	v_lshrrev_b32_e32 v37, 2, v41
	s_cbranch_execnz .LBB560_58
.LBB560_46:
	s_and_b64 vcc, exec, s[6:7]
	s_cbranch_vccz .LBB560_56
; %bb.47:
	s_waitcnt vmcnt(0)
	v_lshlrev_b32_e32 v7, 1, v35
	v_cmp_gt_i32_e32 vcc, s41, v7
	v_mov_b32_e32 v6, 0
	v_lshlrev_b32_e32 v14, 9, v35
	v_mov_b32_e32 v2, 0
	v_mov_b32_e32 v3, 0
	;; [unrolled: 1-line block ×4, first 2 shown]
	s_and_saveexec_b64 s[0:1], vcc
	s_cbranch_execz .LBB560_49
; %bb.48:
	v_mov_b32_e32 v15, 0
	v_lshl_add_u64 v[2:3], s[4:5], 0, v[14:15]
	v_lshlrev_b32_e32 v4, 1, v18
	v_mov_b32_e32 v5, v15
	v_lshl_add_u64 v[2:3], v[2:3], 0, v[4:5]
	global_load_dwordx4 v[2:5], v[2:3], off
.LBB560_49:
	s_or_b64 exec, exec, s[0:1]
	v_or_b32_e32 v7, 1, v7
	v_cmp_gt_i32_e64 s[0:1], s41, v7
	v_lshlrev_b32_e32 v20, 8, v7
	v_mov_b32_e32 v7, 0
	v_mov_b32_e32 v8, 0
	;; [unrolled: 1-line block ×3, first 2 shown]
	s_and_saveexec_b64 s[2:3], s[0:1]
	s_cbranch_execz .LBB560_51
; %bb.50:
	v_mov_b32_e32 v21, 0
	v_lshl_add_u64 v[6:7], s[4:5], 0, v[20:21]
	v_lshlrev_b32_e32 v8, 1, v18
	v_mov_b32_e32 v9, v21
	v_lshl_add_u64 v[6:7], v[6:7], 0, v[8:9]
	global_load_dwordx4 v[6:9], v[6:7], off
.LBB560_51:
	s_or_b64 exec, exec, s[2:3]
	v_mov_b32_e32 v17, 0
	v_mov_b32_e32 v10, 0
	;; [unrolled: 1-line block ×5, first 2 shown]
	s_and_saveexec_b64 s[2:3], vcc
	s_cbranch_execz .LBB560_53
; %bb.52:
	v_mov_b32_e32 v15, 0
	v_lshl_add_u64 v[10:11], s[4:5], 0, v[14:15]
	v_lshlrev_b32_e32 v14, 1, v18
	v_lshl_add_u64 v[10:11], v[10:11], 0, v[14:15]
	global_load_dwordx4 v[10:13], v[10:11], off offset:128
.LBB560_53:
	s_or_b64 exec, exec, s[2:3]
	v_mov_b32_e32 v16, 0
	v_mov_b32_e32 v15, 0
	;; [unrolled: 1-line block ×3, first 2 shown]
	s_and_saveexec_b64 s[2:3], s[0:1]
	s_cbranch_execz .LBB560_55
; %bb.54:
	v_mov_b32_e32 v21, 0
	v_lshl_add_u64 v[14:15], s[4:5], 0, v[20:21]
	v_lshlrev_b32_e32 v20, 1, v18
	v_lshl_add_u64 v[14:15], v[14:15], 0, v[20:21]
	global_load_dwordx4 v[14:17], v[14:15], off offset:128
.LBB560_55:
	s_or_b64 exec, exec, s[2:3]
	s_branch .LBB560_58
.LBB560_56:
                                        ; implicit-def: $vgpr5
                                        ; implicit-def: $vgpr9
                                        ; implicit-def: $vgpr13
                                        ; implicit-def: $vgpr17
	s_cbranch_execz .LBB560_58
; %bb.57:
	s_waitcnt vmcnt(0)
	v_lshlrev_b32_e32 v2, 1, v18
	v_lshl_or_b32 v18, v35, 9, v2
	s_and_b32 s5, s5, 0xffff
	s_mov_b32 s7, 0x20000
	s_movk_i32 s6, 0x4000
	s_movk_i32 s0, 0x80
	buffer_load_dwordx4 v[2:5], v18, s[4:7], 0 offen
	buffer_load_dwordx4 v[6:9], v18, s[4:7], 0 offen offset:256
	buffer_load_dwordx4 v[10:13], v18, s[4:7], s0 offen
	buffer_load_dwordx4 v[14:17], v18, s[4:7], s0 offen offset:256
.LBB560_58:
	ds_read2st64_b64 v[22:25], v19 offset0:76 offset1:77
	ds_read2st64_b64 v[18:21], v19 offset0:78 offset1:79
	ds_read_b64 v[30:31], v26 offset:24576
	ds_read_b64 v[32:33], v27 offset:24576
	;; [unrolled: 1-line block ×4, first 2 shown]
	v_and_b32_e32 v36, 6, v0
	v_xor_b32_e32 v35, v35, v36
	v_lshlrev_b32_e32 v35, 2, v35
	v_and_b32_e32 v0, 1, v0
	v_xor_b32_e32 v38, 0x440, v35
	v_cmp_eq_u32_e32 vcc, 0, v0
	s_mov_b32 s0, 0x1000504
	s_mov_b32 s1, 0x3020706
	v_cndmask_b32_e32 v0, v38, v35, vcc
	v_lshl_or_b32 v0, v36, 10, v0
	s_waitcnt vmcnt(0)
	v_perm_b32 v35, v2, v6, s0
	v_perm_b32 v36, v10, v14, s0
	ds_write2st64_b32 v0, v35, v36 offset1:32
	v_xor_b32_e32 v35, 8, v0
	v_perm_b32 v2, v2, v6, s1
	v_perm_b32 v6, v10, v14, s1
	v_add_u32_e32 v10, 0x80, v35
	ds_write2st64_b32 v10, v2, v6 offset1:32
	v_xor_b32_e32 v2, 16, v0
	v_perm_b32 v6, v3, v7, s0
	v_perm_b32 v10, v11, v15, s0
	ds_write2st64_b32 v2, v6, v10 offset0:1 offset1:33
	v_xor_b32_e32 v2, 24, v0
	v_perm_b32 v3, v3, v7, s1
	v_perm_b32 v6, v11, v15, s1
	v_add_u32_e32 v2, 0x80, v2
	ds_write2st64_b32 v2, v3, v6 offset0:1 offset1:33
	v_xor_b32_e32 v2, 32, v0
	v_perm_b32 v3, v4, v8, s0
	v_perm_b32 v6, v12, v16, s0
	ds_write2st64_b32 v2, v3, v6 offset0:2 offset1:34
	v_xor_b32_e32 v2, 40, v0
	v_perm_b32 v3, v4, v8, s1
	v_perm_b32 v4, v12, v16, s1
	v_add_u32_e32 v2, 0x80, v2
	ds_write2st64_b32 v2, v3, v4 offset0:2 offset1:34
	v_xor_b32_e32 v2, 48, v0
	v_perm_b32 v3, v5, v9, s0
	v_perm_b32 v4, v13, v17, s0
	v_xor_b32_e32 v0, 56, v0
	v_and_or_b32 v6, v37, 12, v40
	ds_write2st64_b32 v2, v3, v4 offset0:3 offset1:35
	v_perm_b32 v2, v5, v9, s1
	v_perm_b32 v3, v13, v17, s1
	v_add_u32_e32 v0, 0x80, v0
	v_cmp_gt_i32_e32 vcc, s41, v6
	v_mov_b32_e32 v7, 0
	v_mov_b32_e32 v11, 0
	ds_write2st64_b32 v0, v2, v3 offset0:3 offset1:35
	s_and_saveexec_b64 s[0:1], vcc
	s_cbranch_execz .LBB560_60
; %bb.59:
	v_add_u32_e32 v0, s40, v6
	v_ashrrev_i32_e32 v2, 31, v0
	v_mul_lo_u32 v4, v2, s28
	v_mul_lo_u32 v5, v0, s29
	v_mad_u64_u32 v[2:3], s[2:3], v0, s28, 0
	v_add3_u32 v3, v3, v5, v4
	v_lshl_add_u64 v[2:3], v[2:3], 2, s[10:11]
	global_load_dword v0, v[2:3], off
	s_waitcnt vmcnt(0)
	v_sub_f32_e32 v0, s12, v0
	v_exp_f32_e32 v11, v0
.LBB560_60:
	s_or_b64 exec, exec, s[0:1]
	v_or_b32_e32 v9, 1, v6
	v_cmp_gt_i32_e64 s[0:1], s41, v9
	s_and_saveexec_b64 s[2:3], s[0:1]
	s_cbranch_execz .LBB560_62
; %bb.61:
	v_add_u32_e32 v0, s40, v9
	v_ashrrev_i32_e32 v2, 31, v0
	v_mul_lo_u32 v4, v2, s28
	v_mul_lo_u32 v5, v0, s29
	v_mad_u64_u32 v[2:3], s[4:5], v0, s28, 0
	v_add3_u32 v3, v3, v5, v4
	v_lshl_add_u64 v[2:3], v[2:3], 2, s[10:11]
	global_load_dword v0, v[2:3], off
	s_waitcnt vmcnt(0)
	v_sub_f32_e32 v0, s12, v0
	v_exp_f32_e32 v7, v0
.LBB560_62:
	s_or_b64 exec, exec, s[2:3]
	v_or_b32_e32 v10, 2, v6
	v_cmp_gt_i32_e64 s[2:3], s41, v10
	v_mov_b32_e32 v8, 0
	v_mov_b32_e32 v13, 0
	s_and_saveexec_b64 s[4:5], s[2:3]
	s_cbranch_execz .LBB560_64
; %bb.63:
	v_add_u32_e32 v0, s40, v10
	v_ashrrev_i32_e32 v2, 31, v0
	v_mul_lo_u32 v4, v2, s28
	v_mul_lo_u32 v5, v0, s29
	v_mad_u64_u32 v[2:3], s[6:7], v0, s28, 0
	v_add3_u32 v3, v3, v5, v4
	v_lshl_add_u64 v[2:3], v[2:3], 2, s[10:11]
	global_load_dword v0, v[2:3], off
	s_waitcnt vmcnt(0)
	v_sub_f32_e32 v0, s12, v0
	v_exp_f32_e32 v13, v0
.LBB560_64:
	s_or_b64 exec, exec, s[4:5]
	v_or_b32_e32 v12, 3, v6
	v_cmp_gt_i32_e64 s[4:5], s41, v12
	s_and_saveexec_b64 s[6:7], s[4:5]
	s_cbranch_execz .LBB560_66
; %bb.65:
	v_add_u32_e32 v0, s40, v12
	v_ashrrev_i32_e32 v2, 31, v0
	v_mul_lo_u32 v4, v2, s28
	v_mul_lo_u32 v5, v0, s29
	v_mad_u64_u32 v[2:3], s[14:15], v0, s28, 0
	v_add3_u32 v3, v3, v5, v4
	v_lshl_add_u64 v[2:3], v[2:3], 2, s[10:11]
	global_load_dword v0, v[2:3], off
	s_waitcnt vmcnt(0)
	v_sub_f32_e32 v0, s12, v0
	v_exp_f32_e32 v8, v0
.LBB560_66:
	s_or_b64 exec, exec, s[6:7]
	s_waitcnt lgkmcnt(11)
	v_mfma_f32_16x16x16_bf16 a[0:3], v[30:31], v[22:23], a[0:3]
	v_or_b32_e32 v0, s30, v1
	s_add_u32 s6, s8, s24
	s_addc_u32 s7, s9, s25
	s_waitcnt lgkmcnt(10)
	v_mfma_f32_16x16x16_bf16 a[0:3], v[32:33], v[24:25], a[0:3]
	v_ashrrev_i32_e32 v1, 31, v0
	v_lshl_add_u64 v[4:5], v[0:1], 1, s[6:7]
	v_mov_b32_e32 v14, 0
	s_waitcnt lgkmcnt(9)
	v_mfma_f32_16x16x16_bf16 a[0:3], v[28:29], v[18:19], a[0:3]
	v_mov_b32_e32 v15, 0
	s_waitcnt lgkmcnt(8)
	v_mfma_f32_16x16x16_bf16 a[0:3], v[26:27], v[20:21], a[0:3]
	s_nop 6
	v_accvgpr_read_b32 v0, a0
	v_accvgpr_read_b32 v1, a1
	;; [unrolled: 1-line block ×4, first 2 shown]
	s_and_saveexec_b64 s[6:7], vcc
	s_cbranch_execz .LBB560_68
; %bb.67:
	v_lshlrev_b32_e32 v16, 8, v6
	v_mov_b32_e32 v17, 0
	v_lshl_add_u64 v[16:17], v[4:5], 0, v[16:17]
	global_load_ushort v15, v[16:17], off
	s_waitcnt vmcnt(0)
	v_lshlrev_b32_e32 v15, 16, v15
	v_sub_f32_e32 v0, v15, v0
	v_mul_f32_e32 v0, v11, v0
	v_lshrrev_b32_e32 v15, 16, v0
.LBB560_68:
	s_or_b64 exec, exec, s[6:7]
	s_and_saveexec_b64 s[6:7], s[0:1]
	s_cbranch_execz .LBB560_70
; %bb.69:
	v_lshlrev_b32_e32 v16, 8, v9
	v_mov_b32_e32 v17, 0
	v_lshl_add_u64 v[16:17], v[4:5], 0, v[16:17]
	global_load_ushort v0, v[16:17], off
	s_waitcnt vmcnt(0)
	v_lshlrev_b32_e32 v0, 16, v0
	v_sub_f32_e32 v0, v0, v1
	v_mul_f32_e32 v0, v7, v0
	v_lshrrev_b32_e32 v14, 16, v0
.LBB560_70:
	s_or_b64 exec, exec, s[6:7]
	v_mov_b32_e32 v0, 0
	v_mov_b32_e32 v1, 0
	s_and_saveexec_b64 s[0:1], s[2:3]
	s_cbranch_execz .LBB560_72
; %bb.71:
	v_lshlrev_b32_e32 v10, 8, v10
	v_mov_b32_e32 v11, 0
	v_lshl_add_u64 v[10:11], v[4:5], 0, v[10:11]
	global_load_ushort v1, v[10:11], off
	s_waitcnt vmcnt(0)
	v_lshlrev_b32_e32 v1, 16, v1
	v_sub_f32_e32 v1, v1, v2
	v_mul_f32_e32 v1, v13, v1
	v_lshrrev_b32_e32 v1, 16, v1
.LBB560_72:
	s_or_b64 exec, exec, s[0:1]
	s_and_saveexec_b64 s[0:1], s[4:5]
	s_cbranch_execz .LBB560_74
; %bb.73:
	v_lshlrev_b32_e32 v10, 8, v12
	v_mov_b32_e32 v11, 0
	v_lshl_add_u64 v[4:5], v[4:5], 0, v[10:11]
	global_load_ushort v0, v[4:5], off
	s_waitcnt vmcnt(0)
	v_lshlrev_b32_e32 v0, 16, v0
	v_sub_f32_e32 v0, v0, v3
	v_mul_f32_e32 v0, v8, v0
	v_lshrrev_b32_e32 v0, 16, v0
.LBB560_74:
	s_or_b64 exec, exec, s[0:1]
	s_mov_b32 s0, 0x5040100
	v_lshlrev_b32_e32 v2, 1, v34
	v_perm_b32 v1, v0, v1, s0
	v_perm_b32 v0, v14, v15, s0
	v_lshl_or_b32 v2, v6, 5, v2
	ds_write_b64 v2, v[0:1] offset:38912
	s_waitcnt lgkmcnt(0)
	s_barrier
.LBB560_75:
	s_endpgm
	.section	.rodata,"a",@progbits
	.p2align	6, 0x0
	.amdhsa_kernel _ZN12_GLOBAL__N_139chunk_gated_delta_rule_fwd_h_hip_kernelILi16ELb0ELb0ELb0ELb0ELb1ELb0ELb1ELb1EEEvPK12hip_bfloat16S3_S3_PKfS5_PKvPS1_S8_PvPKiSB_iiiiilll
		.amdhsa_group_segment_fixed_size 40960
		.amdhsa_private_segment_fixed_size 0
		.amdhsa_kernarg_size 136
		.amdhsa_user_sgpr_count 2
		.amdhsa_user_sgpr_dispatch_ptr 0
		.amdhsa_user_sgpr_queue_ptr 0
		.amdhsa_user_sgpr_kernarg_segment_ptr 1
		.amdhsa_user_sgpr_dispatch_id 0
		.amdhsa_user_sgpr_kernarg_preload_length 0
		.amdhsa_user_sgpr_kernarg_preload_offset 0
		.amdhsa_user_sgpr_private_segment_size 0
		.amdhsa_uses_dynamic_stack 0
		.amdhsa_enable_private_segment 0
		.amdhsa_system_sgpr_workgroup_id_x 1
		.amdhsa_system_sgpr_workgroup_id_y 1
		.amdhsa_system_sgpr_workgroup_id_z 0
		.amdhsa_system_sgpr_workgroup_info 0
		.amdhsa_system_vgpr_workitem_id 0
		.amdhsa_next_free_vgpr 116
		.amdhsa_next_free_sgpr 61
		.amdhsa_accum_offset 108
		.amdhsa_reserve_vcc 1
		.amdhsa_float_round_mode_32 0
		.amdhsa_float_round_mode_16_64 0
		.amdhsa_float_denorm_mode_32 3
		.amdhsa_float_denorm_mode_16_64 3
		.amdhsa_dx10_clamp 1
		.amdhsa_ieee_mode 1
		.amdhsa_fp16_overflow 0
		.amdhsa_tg_split 0
		.amdhsa_exception_fp_ieee_invalid_op 0
		.amdhsa_exception_fp_denorm_src 0
		.amdhsa_exception_fp_ieee_div_zero 0
		.amdhsa_exception_fp_ieee_overflow 0
		.amdhsa_exception_fp_ieee_underflow 0
		.amdhsa_exception_fp_ieee_inexact 0
		.amdhsa_exception_int_div_zero 0
	.end_amdhsa_kernel
	.section	.text._ZN12_GLOBAL__N_139chunk_gated_delta_rule_fwd_h_hip_kernelILi16ELb0ELb0ELb0ELb0ELb1ELb0ELb1ELb1EEEvPK12hip_bfloat16S3_S3_PKfS5_PKvPS1_S8_PvPKiSB_iiiiilll,"axG",@progbits,_ZN12_GLOBAL__N_139chunk_gated_delta_rule_fwd_h_hip_kernelILi16ELb0ELb0ELb0ELb0ELb1ELb0ELb1ELb1EEEvPK12hip_bfloat16S3_S3_PKfS5_PKvPS1_S8_PvPKiSB_iiiiilll,comdat
.Lfunc_end560:
	.size	_ZN12_GLOBAL__N_139chunk_gated_delta_rule_fwd_h_hip_kernelILi16ELb0ELb0ELb0ELb0ELb1ELb0ELb1ELb1EEEvPK12hip_bfloat16S3_S3_PKfS5_PKvPS1_S8_PvPKiSB_iiiiilll, .Lfunc_end560-_ZN12_GLOBAL__N_139chunk_gated_delta_rule_fwd_h_hip_kernelILi16ELb0ELb0ELb0ELb0ELb1ELb0ELb1ELb1EEEvPK12hip_bfloat16S3_S3_PKfS5_PKvPS1_S8_PvPKiSB_iiiiilll
                                        ; -- End function
	.section	.AMDGPU.csdata,"",@progbits
; Kernel info:
; codeLenInByte = 7152
; NumSgprs: 67
; NumVgprs: 106
; NumAgprs: 8
; TotalNumVgprs: 116
; ScratchSize: 0
; MemoryBound: 0
; FloatMode: 240
; IeeeMode: 1
; LDSByteSize: 40960 bytes/workgroup (compile time only)
; SGPRBlocks: 8
; VGPRBlocks: 14
; NumSGPRsForWavesPerEU: 67
; NumVGPRsForWavesPerEU: 116
; AccumOffset: 108
; Occupancy: 1
; WaveLimiterHint : 1
; COMPUTE_PGM_RSRC2:SCRATCH_EN: 0
; COMPUTE_PGM_RSRC2:USER_SGPR: 2
; COMPUTE_PGM_RSRC2:TRAP_HANDLER: 0
; COMPUTE_PGM_RSRC2:TGID_X_EN: 1
; COMPUTE_PGM_RSRC2:TGID_Y_EN: 1
; COMPUTE_PGM_RSRC2:TGID_Z_EN: 0
; COMPUTE_PGM_RSRC2:TIDIG_COMP_CNT: 0
; COMPUTE_PGM_RSRC3_GFX90A:ACCUM_OFFSET: 26
; COMPUTE_PGM_RSRC3_GFX90A:TG_SPLIT: 0
	.section	.text._ZN12_GLOBAL__N_139chunk_gated_delta_rule_fwd_h_hip_kernelILi16ELb1ELb1ELb1ELb1ELb1ELb0ELb0ELb1EEEvPK12hip_bfloat16S3_S3_PKfS5_PKvPS1_S8_PvPKiSB_iiiiilll,"axG",@progbits,_ZN12_GLOBAL__N_139chunk_gated_delta_rule_fwd_h_hip_kernelILi16ELb1ELb1ELb1ELb1ELb1ELb0ELb0ELb1EEEvPK12hip_bfloat16S3_S3_PKfS5_PKvPS1_S8_PvPKiSB_iiiiilll,comdat
	.globl	_ZN12_GLOBAL__N_139chunk_gated_delta_rule_fwd_h_hip_kernelILi16ELb1ELb1ELb1ELb1ELb1ELb0ELb0ELb1EEEvPK12hip_bfloat16S3_S3_PKfS5_PKvPS1_S8_PvPKiSB_iiiiilll ; -- Begin function _ZN12_GLOBAL__N_139chunk_gated_delta_rule_fwd_h_hip_kernelILi16ELb1ELb1ELb1ELb1ELb1ELb0ELb0ELb1EEEvPK12hip_bfloat16S3_S3_PKfS5_PKvPS1_S8_PvPKiSB_iiiiilll
	.p2align	8
	.type	_ZN12_GLOBAL__N_139chunk_gated_delta_rule_fwd_h_hip_kernelILi16ELb1ELb1ELb1ELb1ELb1ELb0ELb0ELb1EEEvPK12hip_bfloat16S3_S3_PKfS5_PKvPS1_S8_PvPKiSB_iiiiilll,@function
_ZN12_GLOBAL__N_139chunk_gated_delta_rule_fwd_h_hip_kernelILi16ELb1ELb1ELb1ELb1ELb1ELb0ELb0ELb1EEEvPK12hip_bfloat16S3_S3_PKfS5_PKvPS1_S8_PvPKiSB_iiiiilll: ; @_ZN12_GLOBAL__N_139chunk_gated_delta_rule_fwd_h_hip_kernelILi16ELb1ELb1ELb1ELb1ELb1ELb0ELb0ELb1EEEvPK12hip_bfloat16S3_S3_PKfS5_PKvPS1_S8_PvPKiSB_iiiiilll
; %bb.0:
	s_load_dwordx4 s[20:23], s[0:1], 0x5c
	s_load_dwordx4 s[4:7], s[0:1], 0x48
	s_abs_i32 s9, s3
	s_ashr_i32 s8, s3, 31
	v_and_b32_e32 v56, 15, v0
	s_waitcnt lgkmcnt(0)
	s_abs_i32 s10, s21
	v_cvt_f32_u32_e32 v1, s10
	s_sub_i32 s12, 0, s10
	s_ashr_i32 s11, s21, 31
	s_xor_b32 s8, s8, s11
	v_rcp_iflag_f32_e32 v1, v1
	v_bfe_u32 v55, v0, 4, 2
	v_mov_b32_e32 v45, 0
	v_lshlrev_b32_e32 v57, 3, v0
	v_mul_f32_e32 v1, 0x4f7ffffe, v1
	v_cvt_u32_f32_e32 v1, v1
	s_nop 0
	v_readfirstlane_b32 s13, v1
	s_mul_i32 s12, s12, s13
	s_mul_hi_u32 s12, s13, s12
	s_add_i32 s13, s13, s12
	s_mul_hi_u32 s12, s9, s13
	s_mul_i32 s13, s12, s10
	s_sub_i32 s9, s9, s13
	s_add_i32 s14, s12, 1
	s_sub_i32 s13, s9, s10
	s_cmp_ge_u32 s9, s10
	s_cselect_b32 s12, s14, s12
	s_cselect_b32 s9, s13, s9
	s_add_i32 s13, s12, 1
	s_cmp_ge_u32 s9, s10
	s_cselect_b32 s9, s13, s12
	s_xor_b32 s9, s9, s8
	s_sub_i32 s24, s9, s8
	s_mul_i32 s12, s24, s21
	s_ashr_i32 s25, s24, 31
	s_sub_i32 s51, s3, s12
	s_lshl_b64 s[8:9], s[24:25], 2
	s_add_u32 s4, s4, s8
	s_addc_u32 s5, s5, s9
	s_add_u32 s26, s6, s8
	s_addc_u32 s27, s7, s9
	s_abs_i32 s3, s22
	v_cvt_f32_u32_e32 v1, s3
	s_load_dwordx2 s[38:39], s[4:5], 0x0
	s_sub_i32 s5, 0, s3
	s_lshl_b32 s2, s2, 4
	v_rcp_iflag_f32_e32 v1, v1
	v_or_b32_e32 v46, s2, v56
	s_waitcnt lgkmcnt(0)
	s_sub_i32 s54, s39, s38
	s_ashr_i32 s4, s54, 31
	v_mul_f32_e32 v1, 0x4f7ffffe, v1
	v_cvt_u32_f32_e32 v1, v1
	s_lshr_b32 s4, s4, 26
	s_add_i32 s4, s54, s4
	s_ashr_i32 s52, s4, 6
	v_readfirstlane_b32 s6, v1
	s_mul_i32 s5, s5, s6
	s_mul_hi_u32 s5, s6, s5
	s_add_i32 s6, s6, s5
	s_mul_hi_u32 s5, s10, s6
	s_mul_i32 s6, s5, s3
	s_ashr_i32 s4, s22, 31
	s_sub_i32 s6, s10, s6
	s_xor_b32 s4, s11, s4
	s_add_i32 s7, s5, 1
	s_sub_i32 s8, s6, s3
	s_cmp_ge_u32 s6, s3
	s_cselect_b32 s5, s7, s5
	s_cselect_b32 s6, s8, s6
	s_add_i32 s7, s5, 1
	s_cmp_ge_u32 s6, s3
	s_cselect_b32 s3, s7, s5
	s_xor_b32 s3, s3, s4
	s_sub_i32 s3, s3, s4
	s_abs_i32 s13, s3
	v_cvt_f32_u32_e32 v1, s13
	s_sub_i32 s15, 0, s13
	s_abs_i32 s14, s51
	s_xor_b32 s3, s51, s3
	v_rcp_iflag_f32_e32 v2, v1
	s_ashr_i32 s3, s3, 31
	s_load_dwordx8 s[4:11], s[0:1], 0x28
	v_lshrrev_b32_e32 v1, 6, v0
	v_mul_f32_e32 v2, 0x4f7ffffe, v2
	v_cvt_u32_f32_e32 v2, v2
	v_lshlrev_b32_e32 v54, 4, v1
	v_lshlrev_b32_e32 v42, 7, v46
	v_lshl_or_b32 v59, v55, 2, v54
	v_readfirstlane_b32 s16, v2
	s_mul_i32 s15, s15, s16
	s_mul_hi_u32 s15, s16, s15
	s_add_i32 s16, s16, s15
	s_mul_hi_u32 s15, s14, s16
	s_mul_i32 s16, s15, s13
	s_sub_i32 s14, s14, s16
	s_add_i32 s16, s15, 1
	s_sub_i32 s17, s14, s13
	s_cmp_ge_u32 s14, s13
	s_cselect_b32 s15, s16, s15
	s_cselect_b32 s14, s17, s14
	s_add_i32 s16, s15, 1
	s_cmp_ge_u32 s14, s13
	s_cselect_b32 s13, s16, s15
	s_xor_b32 s13, s13, s3
	s_sub_i32 s55, s13, s3
	s_ashr_i32 s53, s51, 31
	s_mul_hi_i32 s3, s24, s21
	s_add_u32 s12, s12, s51
	s_addc_u32 s13, s3, s53
	s_lshl_b64 s[34:35], s[12:13], 15
	s_waitcnt lgkmcnt(0)
	s_add_u32 s4, s4, s34
	s_addc_u32 s5, s5, s35
	v_ashrrev_i32_e32 v43, 31, v42
	v_lshl_add_u64 v[2:3], v[42:43], 1, s[4:5]
	v_lshlrev_b32_e32 v44, 1, v59
	v_lshl_add_u64 v[2:3], v[2:3], 0, v[44:45]
	global_load_dwordx2 v[4:5], v[2:3], off
	global_load_dwordx2 v[8:9], v[2:3], off offset:128
	s_load_dwordx8 s[12:19], s[0:1], 0x0
	s_load_dwordx2 s[36:37], s[0:1], 0x80
	s_load_dwordx4 s[28:31], s[0:1], 0x70
	s_load_dword s58, s[26:27], 0x0
	v_and_b32_e32 v45, 63, v0
	v_lshrrev_b32_e32 v58, 3, v45
	v_or_b32_e32 v60, 64, v59
	s_waitcnt lgkmcnt(0)
	s_mul_i32 s33, s24, s29
	s_mul_hi_u32 s46, s24, s28
	s_mul_i32 s42, s24, s28
	s_mul_i32 s47, s25, s28
	s_mul_hi_i32 s56, s51, s20
	s_mul_i32 s57, s51, s20
	s_mul_i32 s48, s51, s31
	s_mul_hi_u32 s49, s51, s30
	s_mul_i32 s50, s53, s30
	s_cmp_lt_i32 s54, 64
	s_mul_i32 s40, s51, s30
	s_waitcnt vmcnt(1)
	v_and_b32_e32 v3, 0xffff0000, v4
	v_lshlrev_b32_e32 v2, 16, v4
	v_and_b32_e32 v61, 0xffff0000, v5
	v_lshlrev_b32_e32 v4, 16, v5
	s_waitcnt vmcnt(0)
	v_and_b32_e32 v7, 0xffff0000, v8
	v_lshlrev_b32_e32 v6, 16, v8
	v_and_b32_e32 v62, 0xffff0000, v9
	v_lshlrev_b32_e32 v8, 16, v9
	s_cbranch_scc1 .LBB561_3
; %bb.1:
	s_ashr_i32 s1, s38, 31
	s_add_u32 s0, s57, s38
	s_addc_u32 s1, s56, s1
	s_lshl_b64 s[0:1], s[0:1], 8
	v_and_b32_e32 v64, 56, v57
	s_add_u32 s24, s14, s0
	v_lshl_or_b32 v63, v1, 3, v58
	v_lshlrev_b32_e32 v5, 1, v64
	s_addc_u32 s0, s15, s1
	v_lshl_or_b32 v65, v63, 8, v5
	s_and_b32 s25, s0, 0xffff
	s_mov_b32 s27, 0x20000
	s_movk_i32 s26, 0x4000
	s_movk_i32 s0, 0x80
	v_or_b32_e32 v66, 0x2000, v65
	buffer_load_dwordx4 v[10:13], v65, s[24:27], 0 offen
	buffer_load_dwordx4 v[14:17], v65, s[24:27], s0 offen
	;; [unrolled: 1-line block ×4, first 2 shown]
	v_lshlrev_b32_e32 v9, 3, v63
	v_and_or_b32 v27, v0, 7, v9
	v_and_b32_e32 v9, 0x78, v9
	v_lshlrev_b32_e32 v27, 4, v27
	v_xor_b32_e32 v67, v27, v9
	v_mul_lo_u32 v26, v63, s23
	v_or_b32_e32 v68, 0x1000, v67
	v_xor_b32_e32 v9, 8, v67
	s_cmpk_eq_i32 s23, 0x80
	s_mov_b32 s59, s38
	v_xor_b32_e32 v27, 8, v68
	s_cselect_b64 s[0:1], -1, 0
	s_cmpk_lg_i32 s23, 0x80
	s_waitcnt vmcnt(3)
	ds_write_b64 v67, v[10:11] offset:16384
	ds_write_b64 v9, v[12:13] offset:16384
	s_waitcnt vmcnt(2)
	ds_write_b64 v67, v[14:15] offset:24576
	ds_write_b64 v9, v[16:17] offset:24576
	;; [unrolled: 3-line block ×4, first 2 shown]
	v_lshl_add_u32 v9, v26, 1, v64
	s_cbranch_scc0 .LBB561_29
; %bb.2:
	v_lshlrev_b32_e32 v11, 1, v9
	v_add_lshl_u32 v10, v9, s23, 1
	s_lshl_b32 s26, s23, 7
	v_lshl_or_b32 v5, v63, 9, v5
	s_cbranch_execz .LBB561_30
	s_branch .LBB561_31
.LBB561_3:
	v_mov_b32_e32 v9, v62
	v_mov_b32_e32 v5, v61
.LBB561_4:
	s_lshl_b32 s31, s52, 6
	s_sub_i32 s30, s54, s31
	s_cmp_gt_i32 s30, 0
	s_cbranch_scc0 .LBB561_76
; %bb.5:
	s_add_i32 s31, s31, s38
	s_ashr_i32 s3, s31, 31
	s_cmpk_lg_i32 s23, 0x80
	s_cselect_b64 s[26:27], -1, 0
	s_and_b64 vcc, exec, s[26:27]
	s_cbranch_vccz .LBB561_7
; %bb.6:
	s_mul_i32 s1, s31, s22
	s_ashr_i32 s4, s55, 31
	s_mul_hi_i32 s0, s31, s22
	s_add_u32 s28, s1, s55
	s_addc_u32 s29, s0, s4
	s_cbranch_execz .LBB561_8
	s_branch .LBB561_9
.LBB561_7:
                                        ; implicit-def: $sgpr28_sgpr29
.LBB561_8:
	s_mul_i32 s1, s55, s20
	s_mul_hi_i32 s0, s55, s20
	s_add_u32 s28, s1, s31
	s_addc_u32 s29, s0, s3
.LBB561_9:
	s_add_i32 s4, s52, s58
	s_add_u32 s0, s57, s31
	s_addc_u32 s1, s56, s3
	s_mov_b32 s3, 0x7060302
	v_lshlrev_b32_e32 v14, 3, v56
	s_lshl_b64 s[24:25], s[0:1], 8
	v_perm_b32 v11, v5, v4, s3
	v_perm_b32 v10, v3, v2, s3
	;; [unrolled: 1-line block ×4, first 2 shown]
	v_lshlrev_b32_e32 v48, 2, v56
	v_lshl_or_b32 v14, v59, 5, v14
	s_add_u32 s0, s14, s24
	ds_write2st64_b64 v14, v[10:11], v[12:13] offset0:72 offset1:76
	v_xor_b32_e32 v14, v59, v48
	v_lshlrev_b32_e32 v15, 8, v56
	s_addc_u32 s1, s15, s25
	v_lshl_or_b32 v14, v14, 1, v15
	s_mul_hi_i32 s3, s4, s21
	s_mul_i32 s4, s4, s21
	ds_write_b64 v14, v[10:11] offset:32768
	v_xor_b32_e32 v10, v60, v48
	s_add_u32 s4, s4, s51
	v_lshl_or_b32 v10, v10, 1, v15
	s_addc_u32 s5, s3, s53
	v_lshlrev_b32_e32 v11, 1, v56
	ds_write_b64 v10, v[12:13] offset:32768
	v_lshrrev_b32_e32 v10, 4, v0
	s_ashr_i32 s3, s2, 31
	s_lshl_b64 s[4:5], s[4:5], 15
	v_or_b32_e32 v12, 1, v11
	s_add_u32 s4, s6, s4
	v_xor_b32_e32 v11, v10, v11
	v_xor_b32_e32 v12, v12, v10
	v_lshlrev_b32_e32 v14, 8, v10
	s_addc_u32 s5, s7, s5
	s_lshl_b64 s[2:3], s[2:3], 8
	v_lshl_or_b32 v10, v11, 3, v14
	v_lshl_or_b32 v12, v12, 3, v14
	s_waitcnt lgkmcnt(0)
	s_barrier
	s_add_u32 s2, s4, s2
	ds_read_b64 v[10:11], v10 offset:32768
	ds_read_b64 v[12:13], v12 offset:32768
	s_addc_u32 s3, s5, s3
	v_mov_b32_e32 v15, 0
	s_cmp_lg_u32 s30, 64
	v_lshl_add_u64 v[16:17], s[2:3], 0, v[14:15]
	v_lshlrev_b32_e32 v14, 4, v56
	s_cselect_b64 s[14:15], -1, 0
	v_lshl_or_b32 v47, v1, 3, v58
	s_mov_b32 s4, 0
	v_lshl_add_u64 v[14:15], v[16:17], 0, v[14:15]
	s_waitcnt vmcnt(1)
	v_or_b32_e32 v27, 32, v47
	v_and_b32_e32 v26, 56, v57
	s_and_b64 vcc, exec, s[14:15]
	s_waitcnt lgkmcnt(0)
	global_store_dwordx4 v[14:15], v[10:13], off
	s_cbranch_vccz .LBB561_15
; %bb.10:
	s_mov_b32 s6, s4
	s_mov_b32 s7, s4
	s_mov_b32 s5, s4
	v_mov_b64_e32 v[16:17], s[6:7]
	v_mov_b64_e32 v[14:15], s[4:5]
	;; [unrolled: 1-line block ×3, first 2 shown]
	v_cmp_gt_i32_e32 vcc, s30, v47
	v_mov_b64_e32 v[12:13], v[16:17]
	s_and_saveexec_b64 s[2:3], vcc
	s_cbranch_execz .LBB561_12
; %bb.11:
	v_lshlrev_b32_e32 v10, 8, v47
	v_mov_b32_e32 v11, 0
	v_lshl_add_u64 v[12:13], s[0:1], 0, v[10:11]
	v_lshlrev_b32_e32 v10, 1, v26
	v_lshl_add_u64 v[18:19], v[12:13], 0, v[10:11]
	global_load_dwordx4 v[14:17], v[18:19], off
	global_load_dwordx4 v[10:13], v[18:19], off offset:128
.LBB561_12:
	s_or_b64 exec, exec, s[2:3]
	s_mov_b32 s6, s4
	s_mov_b32 s7, s4
	;; [unrolled: 1-line block ×3, first 2 shown]
	v_mov_b64_e32 v[24:25], s[6:7]
	v_mov_b64_e32 v[22:23], s[4:5]
	;; [unrolled: 1-line block ×3, first 2 shown]
	v_cmp_gt_i32_e32 vcc, s30, v27
	v_lshlrev_b32_e32 v28, 7, v27
	v_mov_b64_e32 v[20:21], v[24:25]
	s_and_saveexec_b64 s[2:3], vcc
	s_cbranch_execz .LBB561_14
; %bb.13:
	v_lshlrev_b32_e32 v18, 1, v28
	v_mov_b32_e32 v19, 0
	v_lshl_add_u64 v[20:21], s[0:1], 0, v[18:19]
	v_lshlrev_b32_e32 v18, 1, v26
	v_lshl_add_u64 v[30:31], v[20:21], 0, v[18:19]
	global_load_dwordx4 v[22:25], v[30:31], off
	global_load_dwordx4 v[18:21], v[30:31], off offset:128
.LBB561_14:
	s_or_b64 exec, exec, s[2:3]
	v_lshrrev_b32_e32 v29, 3, v26
	v_lshlrev_b32_e32 v30, 3, v47
	v_or_b32_e32 v29, v30, v29
	v_lshlrev_b32_e32 v29, 4, v29
	v_and_b32_e32 v30, 0x78, v30
	v_xor_b32_e32 v29, v29, v30
	s_branch .LBB561_17
.LBB561_15:
                                        ; implicit-def: $vgpr29
                                        ; implicit-def: $vgpr28
                                        ; implicit-def: $vgpr14_vgpr15_vgpr16_vgpr17
                                        ; implicit-def: $vgpr10_vgpr11_vgpr12_vgpr13
                                        ; implicit-def: $vgpr22_vgpr23_vgpr24_vgpr25
                                        ; implicit-def: $vgpr18_vgpr19_vgpr20_vgpr21
	s_cbranch_execz .LBB561_17
; %bb.16:
	s_waitcnt vmcnt(0)
	v_lshlrev_b32_e32 v10, 1, v26
	v_lshl_or_b32 v28, v47, 8, v10
	s_and_b32 s1, s1, 0xffff
	s_mov_b32 s3, 0x20000
	s_movk_i32 s2, 0x4000
	v_lshl_or_b32 v29, v27, 8, v10
	s_movk_i32 s4, 0x80
	buffer_load_dwordx4 v[14:17], v28, s[0:3], 0 offen
	buffer_load_dwordx4 v[10:13], v28, s[0:3], s4 offen
	;; [unrolled: 1-line block ×4, first 2 shown]
	v_lshrrev_b32_e32 v28, 3, v26
	v_lshlrev_b32_e32 v29, 3, v47
	v_or_b32_e32 v28, v29, v28
	v_lshlrev_b32_e32 v28, 4, v28
	v_and_b32_e32 v29, 0x78, v29
	v_xor_b32_e32 v29, v28, v29
	v_lshlrev_b32_e32 v28, 7, v27
.LBB561_17:
	s_lshl_b64 s[0:1], s[28:29], 8
	s_add_u32 s4, s12, s0
	s_movk_i32 s0, 0x1000
	v_and_or_b32 v27, v28, s0, v29
	s_waitcnt vmcnt(1)
	ds_write_b64 v29, v[14:15] offset:16384
	v_xor_b32_e32 v14, 8, v29
	ds_write_b64 v14, v[16:17] offset:16384
	s_waitcnt vmcnt(0)
	ds_write_b64 v29, v[10:11] offset:24576
	ds_write_b64 v14, v[12:13] offset:24576
	;; [unrolled: 1-line block ×3, first 2 shown]
	v_xor_b32_e32 v10, 8, v27
	ds_write_b64 v10, v[24:25] offset:16384
	ds_write_b64 v27, v[18:19] offset:24576
	;; [unrolled: 1-line block ×3, first 2 shown]
	v_or_b32_e32 v10, v54, v56
	v_lshlrev_b32_e32 v10, 3, v10
	v_lshrrev_b32_e32 v12, 5, v45
	s_movk_i32 s6, 0xf8
	v_and_or_b32 v12, v10, s6, v12
	v_lshlrev_b32_e32 v49, 11, v1
	v_lshlrev_b32_e32 v20, 4, v12
	v_and_b32_e32 v21, 0x78, v10
	v_and_b32_e32 v22, 0x1000, v49
	v_lshlrev_b32_e32 v11, 2, v0
	v_xor_b32_e32 v10, v20, v21
	v_lshrrev_b32_e32 v12, 1, v45
	v_and_b32_e32 v11, 60, v11
	v_or_b32_e32 v10, v10, v22
	v_and_b32_e32 v23, 8, v12
	v_xor_b32_e32 v34, v10, v23
	v_lshl_or_b32 v10, v55, 6, v11
	v_lshlrev_b32_e32 v50, 1, v10
	v_or_b32_e32 v10, 32, v20
	v_xor_b32_e32 v10, v10, v21
	s_waitcnt lgkmcnt(0)
	s_barrier
	ds_read_b64 v[18:19], v34 offset:16384
	v_or_b32_e32 v10, v10, v22
	v_xor_b32_e32 v35, v10, v23
	v_or_b32_e32 v10, 64, v20
	v_xor_b32_e32 v10, v10, v21
	v_or_b32_e32 v10, v10, v22
	v_or_b32_e32 v20, 0x60, v20
	v_xor_b32_e32 v36, v10, v23
	ds_read2st64_b64 v[10:13], v50 offset0:72 offset1:73
	ds_read2st64_b64 v[14:17], v50 offset0:74 offset1:75
	v_xor_b32_e32 v24, v20, v21
	ds_read_b64 v[20:21], v35 offset:16384
	s_addc_u32 s5, s13, s1
	s_add_i32 s1, s46, s33
	s_waitcnt lgkmcnt(2)
	v_mfma_f32_16x16x16_bf16 a[0:3], v[18:19], v[10:11], 0
	s_add_i32 s0, s39, -1
	s_add_i32 s43, s1, s47
	s_add_i32 s1, s49, s48
	;; [unrolled: 1-line block ×3, first 2 shown]
	s_ashr_i32 s1, s0, 31
	s_mul_i32 s2, s0, s37
	s_mul_hi_u32 s3, s0, s36
	s_add_i32 s2, s3, s2
	s_mul_i32 s1, s1, s36
	v_or_b32_e32 v22, v24, v22
	s_add_i32 s1, s2, s1
	s_lshl_b64 s[2:3], s[42:43], 2
	v_xor_b32_e32 v51, v22, v23
	ds_read_b64 v[22:23], v36 offset:16384
	ds_read_b64 v[24:25], v51 offset:16384
	s_waitcnt lgkmcnt(2)
	v_mfma_f32_16x16x16_bf16 a[0:3], v[20:21], v[12:13], a[0:3]
	s_add_u32 s6, s18, s2
	s_addc_u32 s7, s19, s3
	s_lshl_b64 s[2:3], s[40:41], 2
	s_mul_i32 s0, s0, s36
	s_add_u32 s12, s6, s2
	s_addc_u32 s13, s7, s3
	s_lshl_b64 s[0:1], s[0:1], 2
	s_waitcnt lgkmcnt(1)
	v_mfma_f32_16x16x16_bf16 a[0:3], v[22:23], v[14:15], a[0:3]
	s_add_u32 s0, s12, s0
	s_addc_u32 s1, s13, s1
	s_load_dword s18, s[0:1], 0x0
	s_waitcnt lgkmcnt(0)
	v_mfma_f32_16x16x16_bf16 a[0:3], v[24:25], v[16:17], a[0:3]
	s_and_b64 vcc, exec, s[26:27]
	s_cbranch_vccz .LBB561_28
; %bb.18:
	v_lshlrev_b32_e32 v27, 1, v47
	s_and_b64 vcc, exec, s[14:15]
	s_cbranch_vccz .LBB561_44
; %bb.19:
	v_cmp_gt_i32_e32 vcc, s30, v27
	v_mov_b32_e32 v14, 0
	v_mov_b32_e32 v10, 0
	;; [unrolled: 1-line block ×5, first 2 shown]
	s_and_saveexec_b64 s[0:1], vcc
	s_cbranch_execz .LBB561_21
; %bb.20:
	v_mad_i64_i32 v[10:11], s[2:3], s23, v27, 0
	v_lshl_add_u64 v[10:11], v[10:11], 1, s[4:5]
	v_lshlrev_b32_e32 v12, 1, v26
	v_mov_b32_e32 v13, 0
	v_lshl_add_u64 v[10:11], v[10:11], 0, v[12:13]
	global_load_dwordx4 v[10:13], v[10:11], off
.LBB561_21:
	s_or_b64 exec, exec, s[0:1]
	v_or_b32_e32 v28, 1, v27
	v_cmp_gt_i32_e64 s[0:1], s30, v28
	v_mov_b32_e32 v15, 0
	v_mov_b32_e32 v16, 0
	;; [unrolled: 1-line block ×3, first 2 shown]
	s_and_saveexec_b64 s[2:3], s[0:1]
	s_cbranch_execz .LBB561_23
; %bb.22:
	v_mad_i64_i32 v[14:15], s[6:7], s23, v28, 0
	v_lshl_add_u64 v[14:15], v[14:15], 1, s[4:5]
	v_lshlrev_b32_e32 v16, 1, v26
	v_mov_b32_e32 v17, 0
	v_lshl_add_u64 v[14:15], v[14:15], 0, v[16:17]
	global_load_dwordx4 v[14:17], v[14:15], off
.LBB561_23:
	s_or_b64 exec, exec, s[2:3]
	v_mov_b32_e32 v25, 0
	v_mov_b32_e32 v18, 0
	;; [unrolled: 1-line block ×5, first 2 shown]
	s_and_saveexec_b64 s[2:3], vcc
	s_cbranch_execz .LBB561_25
; %bb.24:
	v_mad_i64_i32 v[18:19], s[6:7], s23, v27, 0
	v_lshl_add_u64 v[18:19], v[18:19], 1, s[4:5]
	v_lshlrev_b32_e32 v20, 1, v26
	v_mov_b32_e32 v21, 0
	v_lshl_add_u64 v[18:19], v[18:19], 0, v[20:21]
	global_load_dwordx4 v[18:21], v[18:19], off offset:128
.LBB561_25:
	s_or_b64 exec, exec, s[2:3]
	v_mov_b32_e32 v24, 0
	v_mov_b32_e32 v23, 0
	;; [unrolled: 1-line block ×3, first 2 shown]
	s_and_saveexec_b64 s[2:3], s[0:1]
	s_cbranch_execz .LBB561_27
; %bb.26:
	v_mad_i64_i32 v[22:23], s[0:1], s23, v28, 0
	v_lshl_add_u64 v[22:23], v[22:23], 1, s[4:5]
	v_lshlrev_b32_e32 v24, 1, v26
	v_mov_b32_e32 v25, 0
	v_lshl_add_u64 v[22:23], v[22:23], 0, v[24:25]
	global_load_dwordx4 v[22:25], v[22:23], off offset:128
.LBB561_27:
	s_or_b64 exec, exec, s[2:3]
	s_branch .LBB561_46
.LBB561_28:
                                        ; implicit-def: $vgpr13
                                        ; implicit-def: $vgpr17
                                        ; implicit-def: $vgpr21
                                        ; implicit-def: $vgpr25
	v_lshrrev_b32_e32 v45, 2, v45
	s_branch .LBB561_47
.LBB561_29:
                                        ; implicit-def: $vgpr10
                                        ; implicit-def: $vgpr11
                                        ; implicit-def: $sgpr26
	v_lshl_or_b32 v5, v63, 9, v5
.LBB561_30:
	v_or_b32_e32 v10, 0x100, v5
	s_movk_i32 s26, 0x4000
	v_mov_b32_e32 v11, v5
.LBB561_31:
	s_mul_i32 s4, s38, s22
	s_ashr_i32 s60, s55, 31
	s_mul_hi_i32 s3, s38, s22
	s_add_u32 s4, s4, s55
	s_addc_u32 s5, s3, s60
	s_lshl_b64 s[4:5], s[4:5], 8
	s_add_u32 s24, s12, s4
	s_addc_u32 s3, s13, s5
	s_and_b32 s25, s3, 0xffff
	s_movk_i32 s61, 0x80
	buffer_load_dwordx4 v[12:15], v11, s[24:27], 0 offen
	buffer_load_dwordx4 v[16:19], v11, s[24:27], s61 offen
	;; [unrolled: 1-line block ×4, first 2 shown]
	v_and_b32_e32 v10, 6, v0
	v_lshlrev_b32_e32 v28, 2, v56
	v_lshlrev_b32_e32 v29, 3, v56
	v_xor_b32_e32 v32, v63, v10
	v_and_b32_e32 v11, 1, v0
	v_lshl_or_b32 v29, v59, 5, v29
	v_xor_b32_e32 v33, v59, v28
	v_lshlrev_b32_e32 v32, 2, v32
	v_or_b32_e32 v69, 0x9000, v29
	v_or_b32_e32 v70, 0x9800, v29
	v_lshlrev_b32_e32 v29, 1, v33
	v_xor_b32_e32 v33, 0x440, v32
	v_cmp_eq_u32_e32 vcc, 0, v11
	s_add_i32 s3, s46, s33
	s_add_i32 s4, s49, s48
	v_cndmask_b32_e32 v11, v33, v32, vcc
	s_add_i32 s43, s3, s47
	v_lshl_or_b32 v10, v10, 10, v11
	s_add_i32 s41, s4, s50
	s_lshl_b64 s[4:5], s[42:43], 2
	s_mov_b32 s62, 0x1000504
	v_lshlrev_b32_e32 v30, 8, v56
	s_mov_b32 s26, 0x8000
	v_xor_b32_e32 v28, v60, v28
	v_xor_b32_e32 v11, 8, v10
	s_add_u32 s3, s18, s4
	s_mov_b32 s63, 0x3020706
	v_or_b32_e32 v31, v54, v56
	v_lshlrev_b32_e32 v28, 1, v28
	v_or3_b32 v71, v29, v30, s26
	v_xor_b32_e32 v29, 24, v10
	v_xor_b32_e32 v32, 40, v10
	;; [unrolled: 1-line block ×3, first 2 shown]
	v_add_u32_e32 v11, 0x80, v11
	s_addc_u32 s24, s19, s5
	s_lshl_b64 s[4:5], s[40:41], 2
	v_lshlrev_b32_e32 v31, 3, v31
	v_or3_b32 v72, v28, v30, s26
	v_xor_b32_e32 v28, 16, v10
	v_xor_b32_e32 v30, 32, v10
	;; [unrolled: 1-line block ×3, first 2 shown]
	v_add_u32_e32 v29, 0x80, v29
	v_add_u32_e32 v32, 0x80, v32
	;; [unrolled: 1-line block ×3, first 2 shown]
	s_add_u32 s4, s3, s4
	s_movk_i32 s3, 0xf8
	s_addc_u32 s5, s24, s5
	v_ashrrev_i32_e32 v47, 31, v46
	s_lshl_b32 s30, s23, 7
	s_mov_b32 s64, 0
	s_waitcnt vmcnt(1)
	v_perm_b32 v35, v12, v20, s62
	s_waitcnt vmcnt(0)
	v_perm_b32 v36, v16, v24, s62
	v_perm_b32 v12, v12, v20, s63
	;; [unrolled: 1-line block ×15, first 2 shown]
	ds_write2st64_b32 v10, v35, v36 offset1:32
	ds_write2st64_b32 v11, v12, v16 offset1:32
	ds_write2st64_b32 v28, v20, v24 offset0:1 offset1:33
	ds_write2st64_b32 v29, v13, v17 offset0:1 offset1:33
	;; [unrolled: 1-line block ×6, first 2 shown]
	v_lshrrev_b32_e32 v11, 5, v45
	v_and_or_b32 v11, v31, s3, v11
	v_lshlrev_b32_e32 v11, 4, v11
	v_lshlrev_b32_e32 v18, 11, v1
	v_and_b32_e32 v12, 0x78, v31
	v_or_b32_e32 v15, 32, v11
	v_and_b32_e32 v10, 0x1000, v18
	v_lshrrev_b32_e32 v19, 1, v0
	v_xor_b32_e32 v15, v15, v12
	v_and_b32_e32 v14, 8, v19
	v_or_b32_e32 v15, v15, v10
	v_xor_b32_e32 v13, v11, v12
	v_xor_b32_e32 v75, v15, v14
	v_or_b32_e32 v15, 64, v11
	v_or_b32_e32 v11, 0x60, v11
	v_xor_b32_e32 v15, v15, v12
	v_xor_b32_e32 v11, v11, v12
	v_or_b32_e32 v13, v13, v10
	v_or_b32_e32 v15, v15, v10
	;; [unrolled: 1-line block ×3, first 2 shown]
	v_xor_b32_e32 v73, v13, v14
	v_xor_b32_e32 v76, v15, v14
	;; [unrolled: 1-line block ×3, first 2 shown]
	v_lshrrev_b32_e32 v14, 4, v0
	v_lshlrev_b32_e32 v15, 1, v56
	s_ashr_i32 s3, s2, 31
	v_or_b32_e32 v16, 1, v15
	v_xor_b32_e32 v15, v14, v15
	s_lshl_b64 s[24:25], s[2:3], 8
	v_xor_b32_e32 v16, v16, v14
	v_lshlrev_b32_e32 v15, 3, v15
	v_lshlrev_b32_e32 v14, 8, v14
	v_lshlrev_b64 v[10:11], 1, v[46:47]
	s_add_u32 s24, s6, s24
	v_or3_b32 v47, v15, v14, s26
	v_lshlrev_b32_e32 v15, 3, v16
	s_addc_u32 s25, s7, s25
	v_or3_b32 v79, v15, v14, s26
	v_mov_b32_e32 v15, 0
	v_lshl_add_u64 v[16:17], s[24:25], 0, v[14:15]
	v_lshlrev_b32_e32 v14, 4, v56
	s_movk_i32 s3, 0xff
	v_lshlrev_b32_e32 v23, 3, v1
	v_and_b32_e32 v19, 24, v19
	v_lshl_add_u64 v[48:49], v[16:17], 0, v[14:15]
	v_and_b32_e32 v16, 8, v0
	v_cmp_lt_u32_e32 vcc, s3, v0
	v_xor_b32_e32 v24, v23, v19
	v_or_b32_e32 v25, 0x440, v24
	v_cndmask_b32_e64 v22, 0, 1, vcc
	v_cmp_eq_u32_e32 vcc, 0, v16
	v_and_b32_e32 v14, 7, v0
	v_lshlrev_b32_e32 v17, 3, v14
	v_cndmask_b32_e32 v16, v25, v24, vcc
	v_lshlrev_b32_e32 v14, 7, v14
	v_or_b32_e32 v16, v16, v18
	v_xad_u32 v80, v16, v17, v14
	v_or_b32_e32 v16, 32, v19
	v_xor_b32_e32 v16, v23, v16
	v_or_b32_e32 v24, 0x440, v16
	v_cndmask_b32_e32 v16, v24, v16, vcc
	v_or_b32_e32 v16, v16, v18
	v_xad_u32 v81, v16, v17, v14
	v_or_b32_e32 v16, 64, v19
	v_xor_b32_e32 v16, v23, v16
	v_xor_b32_e32 v24, 0x440, v16
	v_cndmask_b32_e32 v16, v24, v16, vcc
	v_or_b32_e32 v16, v16, v18
	v_xad_u32 v82, v16, v17, v14
	v_or_b32_e32 v16, 0x60, v19
	v_xor_b32_e32 v16, v23, v16
	v_xor_b32_e32 v19, 0x440, v16
	v_and_b32_e32 v13, 0x78, v57
	v_cndmask_b32_e32 v16, v19, v16, vcc
	v_lshl_or_b32 v13, v55, 7, v13
	v_or_b32_e32 v16, v16, v18
	v_or_b32_e32 v74, 0x9000, v13
	;; [unrolled: 1-line block ×3, first 2 shown]
	v_lshl_add_u64 v[12:13], s[16:17], 0, v[10:11]
	v_lshl_add_u64 v[10:11], s[8:9], 0, v[10:11]
	v_lshlrev_b32_e32 v20, 1, v9
	v_add_lshl_u32 v9, v9, s23, 1
	v_or_b32_e32 v21, 0x100, v5
	v_lshlrev_b32_e32 v22, 13, v22
	v_xad_u32 v83, v16, v17, v14
	v_lshlrev_b32_e32 v14, 8, v59
	v_cndmask_b32_e64 v84, v20, v5, s[0:1]
	v_cndmask_b32_e64 v85, v9, v21, s[0:1]
	v_lshl_add_u64 v[50:51], v[12:13], 0, v[14:15]
	v_lshl_add_u64 v[52:53], v[10:11], 0, v[14:15]
	s_mov_b32 s3, 0x7060302
	s_movk_i32 s26, 0x4000
	v_add_u32_e32 v86, v22, v80
	v_add_u32_e32 v87, v22, v81
	;; [unrolled: 1-line block ×4, first 2 shown]
	s_waitcnt lgkmcnt(0)
	s_barrier
.LBB561_32:                             ; =>This Inner Loop Header: Depth=1
	s_add_i32 s41, s64, 1
	s_cmp_lt_i32 s41, s52
	s_mov_b64 s[28:29], 0
	s_cselect_b64 s[44:45], -1, 0
	s_cmp_ge_i32 s41, s52
	s_mov_b64 s[24:25], 0
	s_cbranch_scc1 .LBB561_34
; %bb.33:                               ;   in Loop: Header=BB561_32 Depth=1
	s_add_i32 s0, s59, 64
	s_ashr_i32 s1, s0, 31
	s_add_u32 s0, s57, s0
	s_addc_u32 s1, s56, s1
	s_lshl_b64 s[0:1], s[0:1], 8
	s_add_u32 s24, s14, s0
	s_addc_u32 s25, s15, s1
.LBB561_34:                             ;   in Loop: Header=BB561_32 Depth=1
	v_cndmask_b32_e64 v5, 0, 1, s[44:45]
	v_cmp_ne_u32_e64 s[0:1], 1, v5
	s_andn2_b64 vcc, exec, s[44:45]
	s_cbranch_vccnz .LBB561_36
; %bb.35:                               ;   in Loop: Header=BB561_32 Depth=1
	s_add_i32 s28, s59, 64
	s_mul_hi_i32 s29, s28, s22
	s_mul_i32 s28, s28, s22
	s_add_u32 s28, s28, s55
	s_addc_u32 s29, s29, s60
	s_lshl_b64 s[28:29], s[28:29], 8
	s_add_u32 s28, s12, s28
	s_addc_u32 s29, s13, s29
.LBB561_36:                             ;   in Loop: Header=BB561_32 Depth=1
	v_perm_b32 v11, v61, v4, s3
	v_perm_b32 v10, v3, v2, s3
	;; [unrolled: 1-line block ×4, first 2 shown]
	ds_write_b64 v69, v[10:11]
	ds_write_b64 v70, v[12:13]
	;; [unrolled: 1-line block ×4, first 2 shown]
	s_waitcnt lgkmcnt(0)
	s_barrier
	ds_read_b64 v[18:19], v73 offset:16384
	ds_read_b64 v[20:21], v75 offset:16384
	ds_read2st64_b64 v[10:13], v74 offset1:1
	s_waitcnt lgkmcnt(0)
	v_mfma_f32_16x16x16_bf16 a[0:3], v[18:19], v[10:11], 0
	ds_read2st64_b64 v[14:17], v74 offset0:2 offset1:3
	ds_read_b64 v[22:23], v76 offset:16384
	ds_read_b64 v[10:11], v77 offset:16384
	s_add_i32 s31, s59, 63
	v_mfma_f32_16x16x16_bf16 a[0:3], v[20:21], v[12:13], a[0:3]
	s_ashr_i32 s43, s31, 31
	s_mul_i32 s44, s31, s37
	s_mul_hi_u32 s45, s31, s36
	s_waitcnt lgkmcnt(1)
	v_mfma_f32_16x16x16_bf16 a[0:3], v[22:23], v[14:15], a[0:3]
	s_add_i32 s44, s45, s44
	s_mul_i32 s43, s43, s36
	s_add_i32 s45, s44, s43
	s_mul_i32 s44, s31, s36
	s_waitcnt lgkmcnt(0)
	v_mfma_f32_16x16x16_bf16 a[0:3], v[10:11], v[16:17], a[0:3]
	s_lshl_b64 s[44:45], s[44:45], 2
	s_add_u32 s44, s4, s44
	s_addc_u32 s45, s5, s45
	s_and_b64 vcc, exec, s[0:1]
	v_mov_b32_e32 v90, 0
	v_mov_b32_e32 v9, 0
	v_mov_b32_e32 v5, 0
	v_mov_b32_e32 v10, 0
	v_mov_b32_e32 v11, 0
	v_mov_b32_e32 v12, 0
	v_mov_b32_e32 v13, 0
	v_mov_b32_e32 v14, 0
	v_mov_b32_e32 v15, 0
	v_mov_b32_e32 v16, 0
	v_mov_b32_e32 v17, 0
	v_mov_b32_e32 v18, 0
	v_mov_b32_e32 v19, 0
	v_mov_b32_e32 v20, 0
	v_mov_b32_e32 v21, 0
	v_mov_b32_e32 v22, 0
	v_mov_b32_e32 v23, 0
	v_mov_b32_e32 v24, 0
	v_mov_b32_e32 v25, 0
	s_cbranch_vccnz .LBB561_38
; %bb.37:                               ;   in Loop: Header=BB561_32 Depth=1
	s_and_b32 s25, s25, 0xffff
	buffer_load_dwordx4 v[22:25], v65, s[24:27], 0 offen
	buffer_load_dwordx4 v[18:21], v65, s[24:27], s61 offen
	buffer_load_dwordx4 v[14:17], v66, s[24:27], 0 offen
	buffer_load_dwordx4 v[10:13], v66, s[24:27], s61 offen
	v_mov_b32_e32 v9, v67
	v_mov_b32_e32 v5, v68
.LBB561_38:                             ;   in Loop: Header=BB561_32 Depth=1
	s_waitcnt vmcnt(3)
	v_add_u32_e32 v30, s59, v59
	s_waitcnt vmcnt(1)
	v_ashrrev_i32_e32 v26, 31, v30
	v_mul_lo_u32 v28, v26, s36
	v_mul_lo_u32 v29, v30, s37
	v_mad_u64_u32 v[26:27], s[24:25], v30, s36, 0
	v_add3_u32 v27, v27, v29, v28
	v_lshl_add_u64 v[26:27], v[26:27], 2, s[4:5]
	global_load_dword v94, v[26:27], off
	v_add_u32_e32 v26, 1, v30
	v_ashrrev_i32_e32 v27, 31, v26
	v_mul_lo_u32 v28, v27, s36
	v_mul_lo_u32 v29, v26, s37
	v_mad_u64_u32 v[26:27], s[24:25], v26, s36, 0
	v_add3_u32 v27, v27, v29, v28
	v_add_u32_e32 v28, 2, v30
	v_ashrrev_i32_e32 v29, 31, v28
	v_mul_lo_u32 v31, v29, s36
	v_mul_lo_u32 v32, v28, s37
	v_mad_u64_u32 v[28:29], s[24:25], v28, s36, 0
	v_add_u32_e32 v30, 3, v30
	v_add3_u32 v29, v29, v32, v31
	v_ashrrev_i32_e32 v31, 31, v30
	v_mul_lo_u32 v34, v31, s36
	v_mul_lo_u32 v35, v30, s37
	v_mad_u64_u32 v[30:31], s[24:25], v30, s36, 0
	s_ashr_i32 s25, s59, 31
	s_add_u32 s24, s57, s59
	s_addc_u32 s25, s56, s25
	s_lshl_b64 s[66:67], s[24:25], 8
	v_lshl_add_u64 v[26:27], v[26:27], 2, s[4:5]
	v_lshl_add_u64 v[32:33], v[50:51], 0, s[66:67]
	v_add3_u32 v31, v31, v35, v34
	v_lshl_add_u64 v[28:29], v[28:29], 2, s[4:5]
	global_load_ushort v95, v[32:33], off
	global_load_ushort v96, v[32:33], off offset:256
	global_load_ushort v97, v[32:33], off offset:512
	global_load_ushort v98, v[32:33], off offset:768
	v_lshl_add_u64 v[30:31], v[30:31], 2, s[4:5]
	global_load_dword v99, v[26:27], off
	global_load_dword v100, v[28:29], off
	;; [unrolled: 1-line block ×3, first 2 shown]
	s_load_dword s24, s[44:45], 0x0
	ds_read_b64 v[28:29], v73 offset:24576
	ds_read2st64_b64 v[30:33], v78 offset1:1
	ds_read2st64_b64 v[34:37], v78 offset0:2 offset1:3
	ds_read_b64 v[38:39], v75 offset:24576
	ds_read_b64 v[40:41], v76 offset:24576
	;; [unrolled: 1-line block ×3, first 2 shown]
	s_waitcnt lgkmcnt(0)
	v_mfma_f32_16x16x16_bf16 a[0:3], v[28:29], v[30:31], a[0:3]
	v_mov_b32_e32 v91, 0
	v_mov_b32_e32 v26, 0
	;; [unrolled: 1-line block ×3, first 2 shown]
	v_mfma_f32_16x16x16_bf16 a[0:3], v[38:39], v[32:33], a[0:3]
	v_lshl_add_u64 v[38:39], v[52:53], 0, s[66:67]
	v_mov_b32_e32 v28, 0
	v_mov_b32_e32 v29, 0
	v_mfma_f32_16x16x16_bf16 a[0:3], v[40:41], v[34:35], a[0:3]
	v_mov_b32_e32 v30, 0
	v_mov_b32_e32 v31, 0
	;; [unrolled: 1-line block ×3, first 2 shown]
	v_mfma_f32_16x16x16_bf16 a[0:3], v[92:93], v[36:37], a[0:3]
	v_mov_b32_e32 v33, 0
	v_mov_b32_e32 v34, 0
	s_and_b64 vcc, exec, s[0:1]
	s_waitcnt vmcnt(7)
	v_sub_f32_e32 v35, s24, v94
	s_nop 1
	v_accvgpr_read_b32 v41, a1
	v_accvgpr_read_b32 v40, a0
	;; [unrolled: 1-line block ×4, first 2 shown]
	s_waitcnt vmcnt(6)
	v_lshlrev_b32_e32 v92, 16, v95
	s_waitcnt vmcnt(5)
	v_lshlrev_b32_e32 v93, 16, v96
	v_exp_f32_e32 v96, v35
	s_waitcnt vmcnt(3)
	v_lshlrev_b32_e32 v95, 16, v98
	s_waitcnt vmcnt(2)
	v_sub_f32_e32 v35, s24, v99
	s_waitcnt vmcnt(1)
	v_sub_f32_e32 v98, s24, v100
	;; [unrolled: 2-line block ×3, first 2 shown]
	v_lshlrev_b32_e32 v94, 16, v97
	v_pk_add_f32 v[40:41], v[92:93], v[40:41] neg_lo:[0,1] neg_hi:[0,1]
	v_exp_f32_e32 v97, v35
	v_exp_f32_e32 v92, v98
	;; [unrolled: 1-line block ×3, first 2 shown]
	v_pk_add_f32 v[36:37], v[94:95], v[36:37] neg_lo:[0,1] neg_hi:[0,1]
	global_store_short_d16_hi v[38:39], v40, off
	global_store_short_d16_hi v[38:39], v41, off offset:256
	global_store_short_d16_hi v[38:39], v36, off offset:512
	;; [unrolled: 1-line block ×3, first 2 shown]
	v_pk_mul_f32 v[38:39], v[96:97], v[40:41]
	v_pk_mul_f32 v[36:37], v[92:93], v[36:37]
	v_perm_b32 v38, v39, v38, s3
	v_perm_b32 v39, v37, v36, s3
	ds_write_b64 v70, v[38:39]
	v_mov_b32_e32 v35, 0
	v_mov_b32_e32 v36, 0
	;; [unrolled: 1-line block ×7, first 2 shown]
	s_cbranch_vccnz .LBB561_40
; %bb.39:                               ;   in Loop: Header=BB561_32 Depth=1
	s_and_b32 s29, s29, 0xffff
	s_mov_b32 s31, s27
	buffer_load_dwordx4 v[38:41], v84, s[28:31], 0 offen
	buffer_load_dwordx4 v[30:33], v84, s[28:31], s61 offen
	;; [unrolled: 1-line block ×4, first 2 shown]
	v_mov_b32_e32 v90, v64
	v_mov_b32_e32 v91, v63
.LBB561_40:                             ;   in Loop: Header=BB561_32 Depth=1
	s_waitcnt lgkmcnt(0)
	s_barrier
	ds_read_b64 v[100:101], v86
	ds_read2st64_b64 v[92:95], v78 offset1:1
	ds_read2st64_b64 v[96:99], v78 offset0:2 offset1:3
	ds_read_b64 v[102:103], v87
	ds_read_b64 v[104:105], v88
	ds_read_b64 v[106:107], v89
	s_waitcnt lgkmcnt(4)
	v_mfma_f32_16x16x16_bf16 a[0:3], v[100:101], v[92:93], 0
	ds_read_b64 v[100:101], v80 offset:8192
	ds_read_b64 v[108:109], v81 offset:8192
	s_add_i32 s25, s58, s64
	s_mul_hi_i32 s29, s25, s21
	s_waitcnt lgkmcnt(1)
	v_mfma_f32_16x16x16_bf16 a[4:7], v[100:101], v[92:93], 0
	s_mul_i32 s25, s25, s21
	s_add_u32 s28, s25, s51
	s_addc_u32 s29, s29, s53
	v_mfma_f32_16x16x16_bf16 a[0:3], v[102:103], v[94:95], a[0:3]
	ds_read_b64 v[100:101], v47
	ds_read_b64 v[102:103], v79
	ds_read_b64 v[92:93], v82 offset:8192
	s_lshl_b64 s[28:29], s[28:29], 15
	v_mfma_f32_16x16x16_bf16 a[0:3], v[104:105], v[96:97], a[0:3]
	ds_read_b64 v[104:105], v83 offset:8192
	s_and_b64 vcc, exec, s[0:1]
	s_waitcnt lgkmcnt(4)
	v_mfma_f32_16x16x16_bf16 a[4:7], v[108:109], v[94:95], a[4:7]
	s_waitcnt lgkmcnt(1)
	v_mfma_f32_16x16x16_bf16 a[4:7], v[92:93], v[96:97], a[4:7]
	v_lshl_add_u64 v[92:93], v[48:49], 0, s[28:29]
	global_store_dwordx4 v[92:93], v[100:103], off
	v_mfma_f32_16x16x16_bf16 a[0:3], v[106:107], v[98:99], a[0:3]
	s_waitcnt lgkmcnt(0)
	v_mfma_f32_16x16x16_bf16 a[4:7], v[104:105], v[98:99], a[4:7]
	s_cbranch_vccnz .LBB561_42
; %bb.41:                               ;   in Loop: Header=BB561_32 Depth=1
	v_lshrrev_b32_e32 v92, 3, v90
	v_and_b32_e32 v92, 6, v92
	v_xor_b32_e32 v91, v92, v91
	v_lshlrev_b32_e32 v91, 2, v91
	v_and_b32_e32 v90, 8, v90
	v_xor_b32_e32 v93, 0x440, v91
	v_cmp_eq_u32_e32 vcc, 0, v90
	s_barrier
	s_nop 0
	v_cndmask_b32_e32 v90, v93, v91, vcc
	v_lshl_or_b32 v90, v92, 10, v90
	s_waitcnt vmcnt(2)
	v_perm_b32 v91, v38, v34, s62
	s_waitcnt vmcnt(1)
	v_perm_b32 v92, v30, v26, s62
	ds_write2st64_b32 v90, v91, v92 offset1:32
	v_xor_b32_e32 v91, 8, v90
	v_perm_b32 v34, v38, v34, s63
	v_perm_b32 v26, v30, v26, s63
	v_add_u32_e32 v30, 0x80, v91
	ds_write2st64_b32 v30, v34, v26 offset1:32
	v_xor_b32_e32 v26, 16, v90
	v_perm_b32 v30, v39, v35, s62
	v_perm_b32 v34, v31, v27, s62
	ds_write2st64_b32 v26, v30, v34 offset0:1 offset1:33
	v_xor_b32_e32 v26, 24, v90
	v_perm_b32 v30, v39, v35, s63
	v_perm_b32 v27, v31, v27, s63
	v_add_u32_e32 v26, 0x80, v26
	ds_write2st64_b32 v26, v30, v27 offset0:1 offset1:33
	v_xor_b32_e32 v26, 32, v90
	v_perm_b32 v27, v40, v36, s62
	v_perm_b32 v30, v32, v28, s62
	ds_write2st64_b32 v26, v27, v30 offset0:2 offset1:34
	v_xor_b32_e32 v26, 40, v90
	v_perm_b32 v27, v40, v36, s63
	v_perm_b32 v28, v32, v28, s63
	v_add_u32_e32 v26, 0x80, v26
	ds_write2st64_b32 v26, v27, v28 offset0:2 offset1:34
	;; [unrolled: 9-line block ×3, first 2 shown]
	ds_write_b64 v9, v[22:23] offset:16384
	v_xor_b32_e32 v22, 8, v9
	ds_write_b64 v22, v[24:25] offset:16384
	ds_write_b64 v9, v[18:19] offset:24576
	;; [unrolled: 1-line block ×4, first 2 shown]
	v_xor_b32_e32 v9, 8, v5
	ds_write_b64 v9, v[16:17] offset:16384
	ds_write_b64 v5, v[10:11] offset:24576
	;; [unrolled: 1-line block ×3, first 2 shown]
.LBB561_42:                             ;   in Loop: Header=BB561_32 Depth=1
	v_exp_f32_e32 v10, s24
	s_nop 2
	v_accvgpr_read_b32 v9, a1
	v_accvgpr_read_b32 v5, a0
	s_add_i32 s59, s59, 64
	v_fma_f32 v3, v3, v10, v9
	v_accvgpr_read_b32 v9, a4
	v_fma_f32 v6, v6, v10, v9
	v_accvgpr_read_b32 v9, a5
	;; [unrolled: 2-line block ×6, first 2 shown]
	v_fmac_f32_e32 v5, v61, v10
	s_cmp_eq_u32 s52, s41
	v_fmac_f32_e32 v9, v62, v10
	s_cbranch_scc1 .LBB561_4
; %bb.43:                               ;   in Loop: Header=BB561_32 Depth=1
	s_mov_b32 s64, s41
	v_mov_b32_e32 v61, v5
	v_mov_b32_e32 v62, v9
	s_branch .LBB561_32
.LBB561_44:
                                        ; implicit-def: $vgpr13
                                        ; implicit-def: $vgpr17
                                        ; implicit-def: $vgpr21
                                        ; implicit-def: $vgpr25
	s_cbranch_execz .LBB561_46
; %bb.45:
	s_waitcnt vmcnt(0)
	v_mad_u64_u32 v[10:11], s[0:1], v27, s23, v[26:27]
	v_lshlrev_b32_e32 v27, 1, v10
	s_lshl_b32 s2, s23, 7
	s_and_b32 s1, s5, 0xffff
	s_mov_b32 s3, 0x20000
	s_mov_b32 s0, s4
	v_add_lshl_u32 v28, v10, s23, 1
	s_movk_i32 s6, 0x80
	buffer_load_dwordx4 v[10:13], v27, s[0:3], 0 offen
	buffer_load_dwordx4 v[18:21], v27, s[0:3], s6 offen
	buffer_load_dwordx4 v[14:17], v28, s[0:3], 0 offen
	buffer_load_dwordx4 v[22:25], v28, s[0:3], s6 offen
.LBB561_46:
	v_lshrrev_b32_e32 v45, 2, v45
	s_cbranch_execnz .LBB561_59
.LBB561_47:
	s_and_b64 vcc, exec, s[14:15]
	s_cbranch_vccz .LBB561_57
; %bb.48:
	s_waitcnt vmcnt(0)
	v_lshlrev_b32_e32 v15, 1, v47
	v_cmp_gt_i32_e32 vcc, s30, v15
	v_mov_b32_e32 v14, 0
	v_lshlrev_b32_e32 v22, 9, v47
	v_mov_b32_e32 v10, 0
	v_mov_b32_e32 v11, 0
	;; [unrolled: 1-line block ×4, first 2 shown]
	s_and_saveexec_b64 s[0:1], vcc
	s_cbranch_execz .LBB561_50
; %bb.49:
	v_mov_b32_e32 v23, 0
	v_lshl_add_u64 v[10:11], s[4:5], 0, v[22:23]
	v_lshlrev_b32_e32 v12, 1, v26
	v_mov_b32_e32 v13, v23
	v_lshl_add_u64 v[10:11], v[10:11], 0, v[12:13]
	global_load_dwordx4 v[10:13], v[10:11], off
.LBB561_50:
	s_or_b64 exec, exec, s[0:1]
	v_or_b32_e32 v15, 1, v15
	v_cmp_gt_i32_e64 s[0:1], s30, v15
	v_lshlrev_b32_e32 v28, 8, v15
	v_mov_b32_e32 v15, 0
	v_mov_b32_e32 v16, 0
	;; [unrolled: 1-line block ×3, first 2 shown]
	s_and_saveexec_b64 s[2:3], s[0:1]
	s_cbranch_execz .LBB561_52
; %bb.51:
	v_mov_b32_e32 v29, 0
	v_lshl_add_u64 v[14:15], s[4:5], 0, v[28:29]
	v_lshlrev_b32_e32 v16, 1, v26
	v_mov_b32_e32 v17, v29
	v_lshl_add_u64 v[14:15], v[14:15], 0, v[16:17]
	global_load_dwordx4 v[14:17], v[14:15], off
.LBB561_52:
	s_or_b64 exec, exec, s[2:3]
	v_mov_b32_e32 v25, 0
	v_mov_b32_e32 v18, 0
	;; [unrolled: 1-line block ×5, first 2 shown]
	s_and_saveexec_b64 s[2:3], vcc
	s_cbranch_execz .LBB561_54
; %bb.53:
	v_mov_b32_e32 v23, 0
	v_lshl_add_u64 v[18:19], s[4:5], 0, v[22:23]
	v_lshlrev_b32_e32 v22, 1, v26
	v_lshl_add_u64 v[18:19], v[18:19], 0, v[22:23]
	global_load_dwordx4 v[18:21], v[18:19], off offset:128
.LBB561_54:
	s_or_b64 exec, exec, s[2:3]
	v_mov_b32_e32 v24, 0
	v_mov_b32_e32 v23, 0
	;; [unrolled: 1-line block ×3, first 2 shown]
	s_and_saveexec_b64 s[2:3], s[0:1]
	s_cbranch_execz .LBB561_56
; %bb.55:
	v_mov_b32_e32 v29, 0
	v_lshl_add_u64 v[22:23], s[4:5], 0, v[28:29]
	v_lshlrev_b32_e32 v28, 1, v26
	v_lshl_add_u64 v[22:23], v[22:23], 0, v[28:29]
	global_load_dwordx4 v[22:25], v[22:23], off offset:128
.LBB561_56:
	s_or_b64 exec, exec, s[2:3]
	s_branch .LBB561_59
.LBB561_57:
                                        ; implicit-def: $vgpr13
                                        ; implicit-def: $vgpr17
                                        ; implicit-def: $vgpr21
                                        ; implicit-def: $vgpr25
	s_cbranch_execz .LBB561_59
; %bb.58:
	s_waitcnt vmcnt(0)
	v_lshlrev_b32_e32 v10, 1, v26
	v_lshl_or_b32 v26, v47, 9, v10
	s_and_b32 s5, s5, 0xffff
	s_mov_b32 s7, 0x20000
	s_movk_i32 s6, 0x4000
	s_movk_i32 s0, 0x80
	buffer_load_dwordx4 v[10:13], v26, s[4:7], 0 offen
	buffer_load_dwordx4 v[14:17], v26, s[4:7], 0 offen offset:256
	buffer_load_dwordx4 v[18:21], v26, s[4:7], s0 offen
	buffer_load_dwordx4 v[22:25], v26, s[4:7], s0 offen offset:256
.LBB561_59:
	ds_read2st64_b64 v[30:33], v50 offset0:76 offset1:77
	ds_read2st64_b64 v[26:29], v50 offset0:78 offset1:79
	ds_read_b64 v[40:41], v34 offset:24576
	ds_read_b64 v[38:39], v35 offset:24576
	;; [unrolled: 1-line block ×4, first 2 shown]
	v_and_b32_e32 v51, 6, v0
	v_xor_b32_e32 v47, v47, v51
	v_lshlrev_b32_e32 v47, 2, v47
	v_and_b32_e32 v52, 1, v0
	v_xor_b32_e32 v53, 0x440, v47
	v_cmp_eq_u32_e32 vcc, 0, v52
	s_mov_b32 s0, 0x1000504
	s_waitcnt vmcnt(0)
	v_perm_b32 v52, v18, v22, s0
	v_cndmask_b32_e32 v47, v53, v47, vcc
	v_lshl_or_b32 v47, v51, 10, v47
	v_perm_b32 v51, v10, v14, s0
	ds_write2st64_b32 v47, v51, v52 offset1:32
	v_xor_b32_e32 v51, 8, v47
	s_mov_b32 s1, 0x3020706
	v_perm_b32 v10, v10, v14, s1
	v_perm_b32 v14, v18, v22, s1
	v_add_u32_e32 v18, 0x80, v51
	ds_write2st64_b32 v18, v10, v14 offset1:32
	v_xor_b32_e32 v10, 16, v47
	v_perm_b32 v14, v11, v15, s0
	v_perm_b32 v18, v19, v23, s0
	ds_write2st64_b32 v10, v14, v18 offset0:1 offset1:33
	v_xor_b32_e32 v10, 24, v47
	v_perm_b32 v11, v11, v15, s1
	v_perm_b32 v14, v19, v23, s1
	v_add_u32_e32 v10, 0x80, v10
	ds_write2st64_b32 v10, v11, v14 offset0:1 offset1:33
	v_xor_b32_e32 v10, 32, v47
	v_perm_b32 v11, v12, v16, s0
	v_perm_b32 v14, v20, v24, s0
	ds_write2st64_b32 v10, v11, v14 offset0:2 offset1:34
	v_xor_b32_e32 v10, 40, v47
	v_perm_b32 v11, v12, v16, s1
	v_perm_b32 v12, v20, v24, s1
	v_add_u32_e32 v10, 0x80, v10
	ds_write2st64_b32 v10, v11, v12 offset0:2 offset1:34
	v_xor_b32_e32 v10, 48, v47
	v_perm_b32 v11, v13, v17, s0
	v_perm_b32 v12, v21, v25, s0
	ds_write2st64_b32 v10, v11, v12 offset0:3 offset1:35
	v_xor_b32_e32 v10, 56, v47
	v_and_or_b32 v18, v45, 12, v54
	v_perm_b32 v11, v13, v17, s1
	v_perm_b32 v12, v21, v25, s1
	v_add_u32_e32 v10, 0x80, v10
	v_cmp_gt_i32_e64 s[2:3], s30, v18
	v_mov_b32_e32 v20, 0
	v_mov_b32_e32 v25, 0
	ds_write2st64_b32 v10, v11, v12 offset0:3 offset1:35
	s_and_saveexec_b64 s[0:1], s[2:3]
	s_cbranch_execz .LBB561_61
; %bb.60:
	v_add_u32_e32 v10, s31, v18
	v_ashrrev_i32_e32 v11, 31, v10
	v_mul_lo_u32 v12, v11, s36
	v_mul_lo_u32 v13, v10, s37
	v_mad_u64_u32 v[10:11], s[4:5], v10, s36, 0
	v_add3_u32 v11, v11, v13, v12
	v_lshl_add_u64 v[10:11], v[10:11], 2, s[12:13]
	global_load_dword v10, v[10:11], off
	s_waitcnt vmcnt(0)
	v_sub_f32_e32 v10, s18, v10
	v_exp_f32_e32 v25, v10
.LBB561_61:
	s_or_b64 exec, exec, s[0:1]
	v_or_b32_e32 v23, 1, v18
	v_cmp_gt_i32_e64 s[4:5], s30, v23
	s_and_saveexec_b64 s[0:1], s[4:5]
	s_cbranch_execz .LBB561_63
; %bb.62:
	v_add_u32_e32 v10, s31, v23
	v_ashrrev_i32_e32 v11, 31, v10
	v_mul_lo_u32 v12, v11, s36
	v_mul_lo_u32 v13, v10, s37
	v_mad_u64_u32 v[10:11], s[6:7], v10, s36, 0
	v_add3_u32 v11, v11, v13, v12
	v_lshl_add_u64 v[10:11], v[10:11], 2, s[12:13]
	global_load_dword v10, v[10:11], off
	s_waitcnt vmcnt(0)
	v_sub_f32_e32 v10, s18, v10
	v_exp_f32_e32 v20, v10
.LBB561_63:
	s_or_b64 exec, exec, s[0:1]
	v_or_b32_e32 v22, 2, v18
	v_cmp_gt_i32_e64 s[0:1], s30, v22
	v_mov_b32_e32 v19, 0
	v_mov_b32_e32 v24, 0
	s_and_saveexec_b64 s[6:7], s[0:1]
	s_cbranch_execz .LBB561_65
; %bb.64:
	v_add_u32_e32 v10, s31, v22
	v_ashrrev_i32_e32 v11, 31, v10
	v_mul_lo_u32 v12, v11, s36
	v_mul_lo_u32 v13, v10, s37
	v_mad_u64_u32 v[10:11], s[14:15], v10, s36, 0
	v_add3_u32 v11, v11, v13, v12
	v_lshl_add_u64 v[10:11], v[10:11], 2, s[12:13]
	global_load_dword v10, v[10:11], off
	s_waitcnt vmcnt(0)
	v_sub_f32_e32 v10, s18, v10
	v_exp_f32_e32 v24, v10
.LBB561_65:
	s_or_b64 exec, exec, s[6:7]
	v_or_b32_e32 v21, 3, v18
	v_cmp_gt_i32_e32 vcc, s30, v21
	s_and_saveexec_b64 s[6:7], vcc
	s_cbranch_execz .LBB561_67
; %bb.66:
	v_add_u32_e32 v10, s31, v21
	v_ashrrev_i32_e32 v11, 31, v10
	v_mul_lo_u32 v12, v11, s36
	v_mul_lo_u32 v13, v10, s37
	v_mad_u64_u32 v[10:11], s[14:15], v10, s36, 0
	v_add3_u32 v11, v11, v13, v12
	v_lshl_add_u64 v[10:11], v[10:11], 2, s[12:13]
	global_load_dword v10, v[10:11], off
	s_waitcnt vmcnt(0)
	v_sub_f32_e32 v10, s18, v10
	v_exp_f32_e32 v19, v10
.LBB561_67:
	s_or_b64 exec, exec, s[6:7]
	s_waitcnt lgkmcnt(11)
	v_mfma_f32_16x16x16_bf16 a[0:3], v[40:41], v[30:31], a[0:3]
	s_add_u32 s6, s16, s24
	v_ashrrev_i32_e32 v47, 31, v46
	s_addc_u32 s7, s17, s25
	s_waitcnt lgkmcnt(10)
	v_mfma_f32_16x16x16_bf16 a[0:3], v[38:39], v[32:33], a[0:3]
	v_lshlrev_b64 v[10:11], 1, v[46:47]
	v_lshl_add_u64 v[14:15], s[6:7], 0, v[10:11]
	s_add_u32 s6, s8, s24
	s_waitcnt lgkmcnt(9)
	v_mfma_f32_16x16x16_bf16 a[0:3], v[36:37], v[26:27], a[0:3]
	s_addc_u32 s7, s9, s25
	v_lshl_add_u64 v[16:17], s[6:7], 0, v[10:11]
	v_mov_b32_e32 v26, 0
	s_waitcnt lgkmcnt(8)
	v_mfma_f32_16x16x16_bf16 a[0:3], v[34:35], v[28:29], a[0:3]
	v_mov_b32_e32 v27, 0
	s_nop 5
	v_accvgpr_read_b32 v13, a3
	v_accvgpr_read_b32 v12, a2
	;; [unrolled: 1-line block ×4, first 2 shown]
	s_and_saveexec_b64 s[6:7], s[2:3]
	s_cbranch_execz .LBB561_69
; %bb.68:
	v_lshlrev_b32_e32 v28, 8, v18
	v_mov_b32_e32 v29, 0
	v_lshl_add_u64 v[30:31], v[14:15], 0, v[28:29]
	global_load_ushort v27, v[30:31], off
	v_lshl_add_u64 v[28:29], v[16:17], 0, v[28:29]
	s_waitcnt vmcnt(0)
	v_lshlrev_b32_e32 v27, 16, v27
	v_sub_f32_e32 v10, v27, v10
	global_store_short_d16_hi v[28:29], v10, off
	v_mul_f32_e32 v10, v25, v10
	v_lshrrev_b32_e32 v27, 16, v10
.LBB561_69:
	s_or_b64 exec, exec, s[6:7]
	s_and_saveexec_b64 s[2:3], s[4:5]
	s_cbranch_execz .LBB561_71
; %bb.70:
	v_lshlrev_b32_e32 v28, 8, v23
	v_mov_b32_e32 v29, 0
	v_lshl_add_u64 v[30:31], v[14:15], 0, v[28:29]
	global_load_ushort v10, v[30:31], off
	v_lshl_add_u64 v[28:29], v[16:17], 0, v[28:29]
	s_waitcnt vmcnt(0)
	v_lshlrev_b32_e32 v10, 16, v10
	v_sub_f32_e32 v10, v10, v11
	global_store_short_d16_hi v[28:29], v10, off
	v_mul_f32_e32 v10, v20, v10
	v_lshrrev_b32_e32 v26, 16, v10
.LBB561_71:
	s_or_b64 exec, exec, s[2:3]
	v_mov_b32_e32 v11, 0
	v_mov_b32_e32 v20, 0
	s_and_saveexec_b64 s[2:3], s[0:1]
	s_cbranch_execz .LBB561_73
; %bb.72:
	v_lshlrev_b32_e32 v22, 8, v22
	v_mov_b32_e32 v23, 0
	v_lshl_add_u64 v[28:29], v[14:15], 0, v[22:23]
	global_load_ushort v10, v[28:29], off
	v_lshl_add_u64 v[22:23], v[16:17], 0, v[22:23]
	s_waitcnt vmcnt(0)
	v_lshlrev_b32_e32 v10, 16, v10
	v_sub_f32_e32 v10, v10, v12
	global_store_short_d16_hi v[22:23], v10, off
	v_mul_f32_e32 v10, v24, v10
	v_lshrrev_b32_e32 v20, 16, v10
.LBB561_73:
	s_or_b64 exec, exec, s[2:3]
	v_or_b32_e32 v10, 0x9800, v50
	s_and_saveexec_b64 s[0:1], vcc
	s_cbranch_execz .LBB561_75
; %bb.74:
	v_lshlrev_b32_e32 v22, 8, v21
	v_mov_b32_e32 v23, 0
	v_lshl_add_u64 v[14:15], v[14:15], 0, v[22:23]
	global_load_ushort v11, v[14:15], off
	v_lshl_add_u64 v[14:15], v[16:17], 0, v[22:23]
	s_waitcnt vmcnt(0)
	v_lshlrev_b32_e32 v11, 16, v11
	v_sub_f32_e32 v11, v11, v13
	global_store_short_d16_hi v[14:15], v11, off
	v_mul_f32_e32 v11, v19, v11
	v_lshrrev_b32_e32 v11, 16, v11
.LBB561_75:
	s_or_b64 exec, exec, s[0:1]
	s_mov_b32 s0, 0x5040100
	v_perm_b32 v13, v11, v20, s0
	v_lshlrev_b32_e32 v11, 1, v48
	v_perm_b32 v12, v26, v27, s0
	v_lshl_or_b32 v11, v18, 5, v11
	s_movk_i32 s0, 0xff
	ds_write_b64 v11, v[12:13] offset:38912
	v_and_b32_e32 v11, 7, v0
	v_and_b32_e32 v12, 8, v0
	v_cmp_lt_u32_e32 vcc, s0, v0
	v_lshrrev_b32_e32 v0, 1, v0
	v_lshlrev_b32_e32 v22, 3, v1
	v_and_b32_e32 v23, 24, v0
	v_xor_b32_e32 v0, v22, v23
	v_cndmask_b32_e64 v13, 0, 1, vcc
	v_or_b32_e32 v1, 0x440, v0
	v_cmp_eq_u32_e32 vcc, 0, v12
	v_lshlrev_b32_e32 v20, 3, v11
	v_lshlrev_b32_e32 v11, 7, v11
	v_cndmask_b32_e32 v0, v1, v0, vcc
	v_or_b32_e32 v0, v0, v49
	v_lshlrev_b32_e32 v21, 13, v13
	v_xad_u32 v24, v0, v20, v11
	v_add_u32_e32 v0, v21, v24
	s_waitcnt lgkmcnt(0)
	s_barrier
	ds_read_b64 v[0:1], v0
	ds_read2st64_b64 v[12:15], v10 offset1:1
	ds_read2st64_b64 v[16:19], v10 offset0:2 offset1:3
	s_waitcnt lgkmcnt(1)
	v_mfma_f32_16x16x16_bf16 a[0:3], v[0:1], v[12:13], 0
	v_or_b32_e32 v0, 32, v23
	v_xor_b32_e32 v0, v22, v0
	v_or_b32_e32 v1, 0x440, v0
	v_cndmask_b32_e32 v0, v1, v0, vcc
	v_or_b32_e32 v0, v0, v49
	v_xad_u32 v25, v0, v20, v11
	v_add_u32_e32 v0, v21, v25
	ds_read_b64 v[0:1], v0
	v_or_b32_e32 v10, 0x60, v23
	s_waitcnt lgkmcnt(0)
	v_mfma_f32_16x16x16_bf16 a[0:3], v[0:1], v[14:15], a[0:3]
	v_or_b32_e32 v0, 64, v23
	v_xor_b32_e32 v0, v22, v0
	v_xor_b32_e32 v1, 0x440, v0
	v_cndmask_b32_e32 v0, v1, v0, vcc
	v_or_b32_e32 v0, v0, v49
	v_xad_u32 v26, v0, v20, v11
	v_xor_b32_e32 v10, v22, v10
	v_add_u32_e32 v0, v21, v26
	v_xor_b32_e32 v22, 0x440, v10
	ds_read_b64 v[0:1], v0
	v_cndmask_b32_e32 v10, v22, v10, vcc
	v_or_b32_e32 v10, v10, v49
	v_xad_u32 v22, v10, v20, v11
	v_add_u32_e32 v10, v21, v22
	ds_read_b64 v[10:11], v10
	s_waitcnt lgkmcnt(1)
	v_mfma_f32_16x16x16_bf16 a[0:3], v[0:1], v[16:17], a[0:3]
	ds_read_b64 v[0:1], v24 offset:8192
	ds_read_b64 v[20:21], v26 offset:8192
	v_exp_f32_e32 v23, s18
	s_waitcnt lgkmcnt(2)
	v_mfma_f32_16x16x16_bf16 a[0:3], v[10:11], v[18:19], a[0:3]
	ds_read_b64 v[10:11], v25 offset:8192
	s_waitcnt lgkmcnt(2)
	v_mfma_f32_16x16x16_bf16 a[4:7], v[0:1], v[12:13], 0
	ds_read_b64 v[12:13], v22 offset:8192
	s_nop 2
	v_accvgpr_read_b32 v0, a0
	v_accvgpr_read_b32 v1, a1
	s_waitcnt lgkmcnt(1)
	v_mfma_f32_16x16x16_bf16 a[4:7], v[10:11], v[14:15], a[4:7]
	v_fma_f32 v0, v2, v23, v0
	v_fma_f32 v1, v3, v23, v1
	v_accvgpr_read_b32 v2, a2
	v_mfma_f32_16x16x16_bf16 a[4:7], v[20:21], v[16:17], a[4:7]
	v_accvgpr_read_b32 v3, a3
	v_fma_f32 v2, v4, v23, v2
	v_fmac_f32_e32 v3, v5, v23
	s_waitcnt lgkmcnt(0)
	v_mfma_f32_16x16x16_bf16 a[0:3], v[12:13], v[18:19], a[4:7]
	s_nop 6
	v_accvgpr_read_b32 v4, a0
	v_accvgpr_read_b32 v5, a1
	v_fma_f32 v4, v6, v23, v4
	v_fma_f32 v5, v7, v23, v5
	v_accvgpr_read_b32 v6, a2
	v_accvgpr_read_b32 v7, a3
	v_fma_f32 v6, v8, v23, v6
	v_fmac_f32_e32 v7, v9, v23
	v_mov_b64_e32 v[8:9], v[6:7]
	v_mov_b64_e32 v[6:7], v[4:5]
	;; [unrolled: 1-line block ×4, first 2 shown]
.LBB561_76:
	s_add_u32 s0, s10, s34
	s_addc_u32 s1, s11, s35
	v_lshl_add_u64 v[0:1], v[42:43], 1, s[0:1]
	v_mov_b32_e32 v45, 0
	s_mov_b32 s0, 0x7060302
	v_lshl_add_u64 v[0:1], v[0:1], 0, v[44:45]
	v_perm_b32 v5, v5, v4, s0
	v_perm_b32 v4, v3, v2, s0
	;; [unrolled: 1-line block ×4, first 2 shown]
	global_store_dwordx2 v[0:1], v[4:5], off
	global_store_dwordx2 v[0:1], v[2:3], off offset:128
	s_endpgm
	.section	.rodata,"a",@progbits
	.p2align	6, 0x0
	.amdhsa_kernel _ZN12_GLOBAL__N_139chunk_gated_delta_rule_fwd_h_hip_kernelILi16ELb1ELb1ELb1ELb1ELb1ELb0ELb0ELb1EEEvPK12hip_bfloat16S3_S3_PKfS5_PKvPS1_S8_PvPKiSB_iiiiilll
		.amdhsa_group_segment_fixed_size 40960
		.amdhsa_private_segment_fixed_size 0
		.amdhsa_kernarg_size 136
		.amdhsa_user_sgpr_count 2
		.amdhsa_user_sgpr_dispatch_ptr 0
		.amdhsa_user_sgpr_queue_ptr 0
		.amdhsa_user_sgpr_kernarg_segment_ptr 1
		.amdhsa_user_sgpr_dispatch_id 0
		.amdhsa_user_sgpr_kernarg_preload_length 0
		.amdhsa_user_sgpr_kernarg_preload_offset 0
		.amdhsa_user_sgpr_private_segment_size 0
		.amdhsa_uses_dynamic_stack 0
		.amdhsa_enable_private_segment 0
		.amdhsa_system_sgpr_workgroup_id_x 1
		.amdhsa_system_sgpr_workgroup_id_y 1
		.amdhsa_system_sgpr_workgroup_id_z 0
		.amdhsa_system_sgpr_workgroup_info 0
		.amdhsa_system_vgpr_workitem_id 0
		.amdhsa_next_free_vgpr 120
		.amdhsa_next_free_sgpr 68
		.amdhsa_accum_offset 112
		.amdhsa_reserve_vcc 1
		.amdhsa_float_round_mode_32 0
		.amdhsa_float_round_mode_16_64 0
		.amdhsa_float_denorm_mode_32 3
		.amdhsa_float_denorm_mode_16_64 3
		.amdhsa_dx10_clamp 1
		.amdhsa_ieee_mode 1
		.amdhsa_fp16_overflow 0
		.amdhsa_tg_split 0
		.amdhsa_exception_fp_ieee_invalid_op 0
		.amdhsa_exception_fp_denorm_src 0
		.amdhsa_exception_fp_ieee_div_zero 0
		.amdhsa_exception_fp_ieee_overflow 0
		.amdhsa_exception_fp_ieee_underflow 0
		.amdhsa_exception_fp_ieee_inexact 0
		.amdhsa_exception_int_div_zero 0
	.end_amdhsa_kernel
	.section	.text._ZN12_GLOBAL__N_139chunk_gated_delta_rule_fwd_h_hip_kernelILi16ELb1ELb1ELb1ELb1ELb1ELb0ELb0ELb1EEEvPK12hip_bfloat16S3_S3_PKfS5_PKvPS1_S8_PvPKiSB_iiiiilll,"axG",@progbits,_ZN12_GLOBAL__N_139chunk_gated_delta_rule_fwd_h_hip_kernelILi16ELb1ELb1ELb1ELb1ELb1ELb0ELb0ELb1EEEvPK12hip_bfloat16S3_S3_PKfS5_PKvPS1_S8_PvPKiSB_iiiiilll,comdat
.Lfunc_end561:
	.size	_ZN12_GLOBAL__N_139chunk_gated_delta_rule_fwd_h_hip_kernelILi16ELb1ELb1ELb1ELb1ELb1ELb0ELb0ELb1EEEvPK12hip_bfloat16S3_S3_PKfS5_PKvPS1_S8_PvPKiSB_iiiiilll, .Lfunc_end561-_ZN12_GLOBAL__N_139chunk_gated_delta_rule_fwd_h_hip_kernelILi16ELb1ELb1ELb1ELb1ELb1ELb0ELb0ELb1EEEvPK12hip_bfloat16S3_S3_PKfS5_PKvPS1_S8_PvPKiSB_iiiiilll
                                        ; -- End function
	.section	.AMDGPU.csdata,"",@progbits
; Kernel info:
; codeLenInByte = 7816
; NumSgprs: 74
; NumVgprs: 110
; NumAgprs: 8
; TotalNumVgprs: 120
; ScratchSize: 0
; MemoryBound: 0
; FloatMode: 240
; IeeeMode: 1
; LDSByteSize: 40960 bytes/workgroup (compile time only)
; SGPRBlocks: 9
; VGPRBlocks: 14
; NumSGPRsForWavesPerEU: 74
; NumVGPRsForWavesPerEU: 120
; AccumOffset: 112
; Occupancy: 1
; WaveLimiterHint : 1
; COMPUTE_PGM_RSRC2:SCRATCH_EN: 0
; COMPUTE_PGM_RSRC2:USER_SGPR: 2
; COMPUTE_PGM_RSRC2:TRAP_HANDLER: 0
; COMPUTE_PGM_RSRC2:TGID_X_EN: 1
; COMPUTE_PGM_RSRC2:TGID_Y_EN: 1
; COMPUTE_PGM_RSRC2:TGID_Z_EN: 0
; COMPUTE_PGM_RSRC2:TIDIG_COMP_CNT: 0
; COMPUTE_PGM_RSRC3_GFX90A:ACCUM_OFFSET: 27
; COMPUTE_PGM_RSRC3_GFX90A:TG_SPLIT: 0
	.section	.text._ZN12_GLOBAL__N_139chunk_gated_delta_rule_fwd_h_hip_kernelILi16ELb1ELb1ELb0ELb1ELb1ELb0ELb0ELb1EEEvPK12hip_bfloat16S3_S3_PKfS5_PKvPS1_S8_PvPKiSB_iiiiilll,"axG",@progbits,_ZN12_GLOBAL__N_139chunk_gated_delta_rule_fwd_h_hip_kernelILi16ELb1ELb1ELb0ELb1ELb1ELb0ELb0ELb1EEEvPK12hip_bfloat16S3_S3_PKfS5_PKvPS1_S8_PvPKiSB_iiiiilll,comdat
	.globl	_ZN12_GLOBAL__N_139chunk_gated_delta_rule_fwd_h_hip_kernelILi16ELb1ELb1ELb0ELb1ELb1ELb0ELb0ELb1EEEvPK12hip_bfloat16S3_S3_PKfS5_PKvPS1_S8_PvPKiSB_iiiiilll ; -- Begin function _ZN12_GLOBAL__N_139chunk_gated_delta_rule_fwd_h_hip_kernelILi16ELb1ELb1ELb0ELb1ELb1ELb0ELb0ELb1EEEvPK12hip_bfloat16S3_S3_PKfS5_PKvPS1_S8_PvPKiSB_iiiiilll
	.p2align	8
	.type	_ZN12_GLOBAL__N_139chunk_gated_delta_rule_fwd_h_hip_kernelILi16ELb1ELb1ELb0ELb1ELb1ELb0ELb0ELb1EEEvPK12hip_bfloat16S3_S3_PKfS5_PKvPS1_S8_PvPKiSB_iiiiilll,@function
_ZN12_GLOBAL__N_139chunk_gated_delta_rule_fwd_h_hip_kernelILi16ELb1ELb1ELb0ELb1ELb1ELb0ELb0ELb1EEEvPK12hip_bfloat16S3_S3_PKfS5_PKvPS1_S8_PvPKiSB_iiiiilll: ; @_ZN12_GLOBAL__N_139chunk_gated_delta_rule_fwd_h_hip_kernelILi16ELb1ELb1ELb0ELb1ELb1ELb0ELb0ELb1EEEvPK12hip_bfloat16S3_S3_PKfS5_PKvPS1_S8_PvPKiSB_iiiiilll
; %bb.0:
	s_load_dwordx4 s[16:19], s[0:1], 0x5c
	s_load_dwordx2 s[4:5], s[0:1], 0x50
	s_abs_i32 s7, s3
	s_ashr_i32 s6, s3, 31
	s_load_dwordx4 s[12:15], s[0:1], 0x40
	s_load_dwordx4 s[20:23], s[0:1], 0x28
	s_waitcnt lgkmcnt(0)
	s_abs_i32 s10, s17
	v_cvt_f32_u32_e32 v1, s10
	s_sub_i32 s8, 0, s10
	s_ashr_i32 s11, s17, 31
	s_xor_b32 s6, s6, s11
	v_rcp_iflag_f32_e32 v1, v1
	v_and_b32_e32 v54, 15, v0
	v_bfe_u32 v53, v0, 4, 2
	v_mov_b32_e32 v45, 0
	v_mul_f32_e32 v1, 0x4f7ffffe, v1
	v_cvt_u32_f32_e32 v1, v1
	v_lshlrev_b32_e32 v55, 3, v0
	v_readfirstlane_b32 s9, v1
	s_mul_i32 s8, s8, s9
	s_mul_hi_u32 s8, s9, s8
	s_add_i32 s9, s9, s8
	s_mul_hi_u32 s8, s7, s9
	s_mul_i32 s9, s8, s10
	s_sub_i32 s7, s7, s9
	s_add_i32 s24, s8, 1
	s_sub_i32 s9, s7, s10
	s_cmp_ge_u32 s7, s10
	s_cselect_b32 s8, s24, s8
	s_cselect_b32 s7, s9, s7
	s_add_i32 s9, s8, 1
	s_cmp_ge_u32 s7, s10
	s_cselect_b32 s7, s9, s8
	s_xor_b32 s7, s7, s6
	s_sub_i32 s24, s7, s6
	s_mul_i32 s28, s24, s17
	s_ashr_i32 s25, s24, 31
	s_sub_i32 s49, s3, s28
	s_lshl_b64 s[6:7], s[24:25], 2
	s_add_u32 s8, s14, s6
	s_addc_u32 s9, s15, s7
	s_add_u32 s26, s4, s6
	s_addc_u32 s27, s5, s7
	s_abs_i32 s3, s18
	v_cvt_f32_u32_e32 v1, s3
	s_load_dwordx2 s[36:37], s[8:9], 0x0
	s_sub_i32 s5, 0, s3
	s_lshl_b32 s2, s2, 4
	v_rcp_iflag_f32_e32 v1, v1
	v_or_b32_e32 v46, s2, v54
	s_waitcnt lgkmcnt(0)
	s_sub_i32 s52, s37, s36
	s_ashr_i32 s4, s52, 31
	v_mul_f32_e32 v1, 0x4f7ffffe, v1
	v_cvt_u32_f32_e32 v1, v1
	s_lshr_b32 s4, s4, 26
	s_add_i32 s4, s52, s4
	s_ashr_i32 s50, s4, 6
	v_readfirstlane_b32 s6, v1
	s_mul_i32 s5, s5, s6
	s_mul_hi_u32 s5, s6, s5
	s_add_i32 s6, s6, s5
	s_mul_hi_u32 s5, s10, s6
	s_mul_i32 s6, s5, s3
	s_ashr_i32 s4, s18, 31
	s_sub_i32 s6, s10, s6
	s_xor_b32 s4, s11, s4
	s_add_i32 s7, s5, 1
	s_sub_i32 s8, s6, s3
	s_cmp_ge_u32 s6, s3
	s_cselect_b32 s5, s7, s5
	s_cselect_b32 s6, s8, s6
	s_add_i32 s7, s5, 1
	s_cmp_ge_u32 s6, s3
	s_cselect_b32 s3, s7, s5
	s_xor_b32 s3, s3, s4
	s_sub_i32 s3, s3, s4
	s_abs_i32 s4, s3
	v_cvt_f32_u32_e32 v1, s4
	s_sub_i32 s6, 0, s4
	s_abs_i32 s5, s49
	s_xor_b32 s3, s49, s3
	v_rcp_iflag_f32_e32 v2, v1
	s_ashr_i32 s3, s3, 31
	v_lshrrev_b32_e32 v1, 6, v0
	v_lshlrev_b32_e32 v52, 4, v1
	v_mul_f32_e32 v2, 0x4f7ffffe, v2
	v_cvt_u32_f32_e32 v2, v2
	v_lshlrev_b32_e32 v42, 7, v46
	v_lshl_or_b32 v57, v53, 2, v52
	v_ashrrev_i32_e32 v43, 31, v42
	v_readfirstlane_b32 s7, v2
	s_mul_i32 s6, s6, s7
	s_mul_hi_u32 s6, s7, s6
	s_add_i32 s7, s7, s6
	s_mul_hi_u32 s6, s5, s7
	s_mul_i32 s7, s6, s4
	s_sub_i32 s5, s5, s7
	s_add_i32 s7, s6, 1
	s_sub_i32 s8, s5, s4
	s_cmp_ge_u32 s5, s4
	s_cselect_b32 s6, s7, s6
	s_cselect_b32 s5, s8, s5
	s_add_i32 s7, s6, 1
	s_cmp_ge_u32 s5, s4
	s_cselect_b32 s4, s7, s6
	s_xor_b32 s4, s4, s3
	s_sub_i32 s53, s4, s3
	s_ashr_i32 s51, s49, 31
	s_mul_hi_i32 s3, s24, s17
	s_add_u32 s4, s28, s49
	s_addc_u32 s5, s3, s51
	s_lshl_b64 s[14:15], s[4:5], 15
	s_add_u32 s4, s20, s14
	s_addc_u32 s5, s21, s15
	v_lshl_add_u64 v[2:3], v[42:43], 1, s[4:5]
	v_lshlrev_b32_e32 v44, 1, v57
	v_lshl_add_u64 v[2:3], v[2:3], 0, v[44:45]
	global_load_dwordx2 v[4:5], v[2:3], off
	global_load_dwordx2 v[8:9], v[2:3], off offset:128
	s_load_dwordx8 s[4:11], s[0:1], 0x0
	s_load_dwordx2 s[34:35], s[0:1], 0x80
	s_load_dwordx4 s[28:31], s[0:1], 0x70
	s_load_dword s56, s[26:27], 0x0
	v_and_b32_e32 v45, 63, v0
	v_lshrrev_b32_e32 v56, 3, v45
	v_or_b32_e32 v58, 64, v57
	s_waitcnt lgkmcnt(0)
	s_mul_i32 s33, s24, s29
	s_mul_hi_u32 s44, s24, s28
	s_mul_i32 s40, s24, s28
	s_mul_i32 s45, s25, s28
	s_mul_hi_i32 s54, s49, s16
	s_mul_i32 s55, s49, s16
	s_mul_i32 s46, s49, s31
	s_mul_hi_u32 s47, s49, s30
	s_mul_i32 s48, s51, s30
	s_cmp_lt_i32 s52, 64
	s_mul_i32 s38, s49, s30
	s_waitcnt vmcnt(1)
	v_and_b32_e32 v3, 0xffff0000, v4
	v_lshlrev_b32_e32 v2, 16, v4
	v_and_b32_e32 v59, 0xffff0000, v5
	v_lshlrev_b32_e32 v4, 16, v5
	s_waitcnt vmcnt(0)
	v_and_b32_e32 v7, 0xffff0000, v8
	v_lshlrev_b32_e32 v6, 16, v8
	v_and_b32_e32 v60, 0xffff0000, v9
	v_lshlrev_b32_e32 v8, 16, v9
	s_cbranch_scc1 .LBB562_3
; %bb.1:
	s_ashr_i32 s1, s36, 31
	s_add_u32 s0, s55, s36
	s_addc_u32 s1, s54, s1
	s_lshl_b64 s[0:1], s[0:1], 8
	v_and_b32_e32 v62, 56, v55
	s_add_u32 s24, s6, s0
	v_lshl_or_b32 v61, v1, 3, v56
	v_lshlrev_b32_e32 v5, 1, v62
	s_addc_u32 s0, s7, s1
	v_lshl_or_b32 v63, v61, 8, v5
	s_and_b32 s25, s0, 0xffff
	s_mov_b32 s27, 0x20000
	s_movk_i32 s26, 0x4000
	s_movk_i32 s0, 0x80
	v_or_b32_e32 v64, 0x2000, v63
	buffer_load_dwordx4 v[10:13], v63, s[24:27], 0 offen
	buffer_load_dwordx4 v[14:17], v63, s[24:27], s0 offen
	buffer_load_dwordx4 v[18:21], v64, s[24:27], 0 offen
	buffer_load_dwordx4 v[22:25], v64, s[24:27], s0 offen
	v_lshlrev_b32_e32 v9, 3, v61
	v_and_or_b32 v27, v0, 7, v9
	v_and_b32_e32 v9, 0x78, v9
	v_lshlrev_b32_e32 v27, 4, v27
	v_xor_b32_e32 v65, v27, v9
	v_mul_lo_u32 v26, v61, s19
	v_or_b32_e32 v66, 0x1000, v65
	v_xor_b32_e32 v9, 8, v65
	s_cmpk_eq_i32 s19, 0x80
	s_mov_b32 s57, s36
	v_xor_b32_e32 v27, 8, v66
	s_cselect_b64 s[0:1], -1, 0
	s_cmpk_lg_i32 s19, 0x80
	s_waitcnt vmcnt(3)
	ds_write_b64 v65, v[10:11] offset:16384
	ds_write_b64 v9, v[12:13] offset:16384
	s_waitcnt vmcnt(2)
	ds_write_b64 v65, v[14:15] offset:24576
	ds_write_b64 v9, v[16:17] offset:24576
	s_waitcnt vmcnt(1)
	ds_write_b64 v65, v[18:19] offset:20480
	ds_write_b64 v27, v[20:21] offset:16384
	s_waitcnt vmcnt(0)
	ds_write_b64 v65, v[22:23] offset:28672
	ds_write_b64 v27, v[24:25] offset:24576
	v_lshl_add_u32 v9, v26, 1, v62
	s_cbranch_scc0 .LBB562_29
; %bb.2:
	v_lshlrev_b32_e32 v11, 1, v9
	v_add_lshl_u32 v10, v9, s19, 1
	s_lshl_b32 s26, s19, 7
	v_lshl_or_b32 v5, v61, 9, v5
	s_cbranch_execz .LBB562_30
	s_branch .LBB562_31
.LBB562_3:
	v_mov_b32_e32 v9, v60
	v_mov_b32_e32 v5, v59
.LBB562_4:
	s_lshl_b32 s31, s50, 6
	s_sub_i32 s30, s52, s31
	s_cmp_gt_i32 s30, 0
	s_cbranch_scc0 .LBB562_76
; %bb.5:
	s_add_i32 s31, s31, s36
	s_ashr_i32 s3, s31, 31
	s_cmpk_lg_i32 s19, 0x80
	s_cselect_b64 s[26:27], -1, 0
	s_and_b64 vcc, exec, s[26:27]
	s_cbranch_vccz .LBB562_7
; %bb.6:
	s_mul_hi_i32 s0, s31, s18
	s_mul_i32 s1, s31, s18
	s_ashr_i32 s18, s53, 31
	s_add_u32 s28, s1, s53
	s_addc_u32 s29, s0, s18
	s_cbranch_execz .LBB562_8
	s_branch .LBB562_9
.LBB562_7:
                                        ; implicit-def: $sgpr28_sgpr29
.LBB562_8:
	s_mul_i32 s1, s53, s16
	s_mul_hi_i32 s0, s53, s16
	s_add_u32 s28, s1, s31
	s_addc_u32 s29, s0, s3
.LBB562_9:
	s_add_i32 s16, s50, s56
	s_add_u32 s0, s55, s31
	s_addc_u32 s1, s54, s3
	s_mov_b32 s3, 0x7060302
	v_lshlrev_b32_e32 v14, 3, v54
	s_lshl_b64 s[24:25], s[0:1], 8
	v_perm_b32 v11, v5, v4, s3
	v_perm_b32 v10, v3, v2, s3
	;; [unrolled: 1-line block ×4, first 2 shown]
	v_lshlrev_b32_e32 v48, 2, v54
	v_lshl_or_b32 v14, v57, 5, v14
	s_add_u32 s0, s6, s24
	ds_write2st64_b64 v14, v[10:11], v[12:13] offset0:72 offset1:76
	v_xor_b32_e32 v14, v57, v48
	v_lshlrev_b32_e32 v15, 8, v54
	s_addc_u32 s1, s7, s25
	v_lshl_or_b32 v14, v14, 1, v15
	s_mul_hi_i32 s3, s16, s17
	s_mul_i32 s16, s16, s17
	ds_write_b64 v14, v[10:11] offset:32768
	v_xor_b32_e32 v10, v58, v48
	s_add_u32 s6, s16, s49
	v_lshl_or_b32 v10, v10, 1, v15
	s_addc_u32 s7, s3, s51
	v_lshlrev_b32_e32 v11, 1, v54
	ds_write_b64 v10, v[12:13] offset:32768
	v_lshrrev_b32_e32 v10, 4, v0
	s_ashr_i32 s3, s2, 31
	s_lshl_b64 s[6:7], s[6:7], 15
	v_or_b32_e32 v12, 1, v11
	s_add_u32 s6, s22, s6
	v_xor_b32_e32 v11, v10, v11
	v_xor_b32_e32 v12, v12, v10
	v_lshlrev_b32_e32 v14, 8, v10
	s_addc_u32 s7, s23, s7
	s_lshl_b64 s[2:3], s[2:3], 8
	v_lshl_or_b32 v10, v11, 3, v14
	v_lshl_or_b32 v12, v12, 3, v14
	s_waitcnt lgkmcnt(0)
	s_barrier
	s_add_u32 s2, s6, s2
	ds_read_b64 v[10:11], v10 offset:32768
	ds_read_b64 v[12:13], v12 offset:32768
	s_addc_u32 s3, s7, s3
	v_mov_b32_e32 v15, 0
	s_cmp_lg_u32 s30, 64
	v_lshl_add_u64 v[16:17], s[2:3], 0, v[14:15]
	v_lshlrev_b32_e32 v14, 4, v54
	s_cselect_b64 s[6:7], -1, 0
	v_lshl_or_b32 v47, v1, 3, v56
	s_mov_b32 s20, 0
	v_lshl_add_u64 v[14:15], v[16:17], 0, v[14:15]
	s_waitcnt vmcnt(1)
	v_or_b32_e32 v27, 32, v47
	v_and_b32_e32 v26, 56, v55
	s_and_b64 vcc, exec, s[6:7]
	s_waitcnt lgkmcnt(0)
	global_store_dwordx4 v[14:15], v[10:13], off
	s_cbranch_vccz .LBB562_15
; %bb.10:
	s_mov_b32 s21, s20
	s_mov_b32 s22, s20
	;; [unrolled: 1-line block ×3, first 2 shown]
	v_mov_b64_e32 v[14:15], s[20:21]
	v_mov_b64_e32 v[16:17], s[22:23]
	v_mov_b64_e32 v[10:11], v[14:15]
	v_cmp_gt_i32_e32 vcc, s30, v47
	v_mov_b64_e32 v[12:13], v[16:17]
	s_and_saveexec_b64 s[2:3], vcc
	s_cbranch_execz .LBB562_12
; %bb.11:
	v_lshlrev_b32_e32 v10, 8, v47
	v_mov_b32_e32 v11, 0
	v_lshl_add_u64 v[12:13], s[0:1], 0, v[10:11]
	v_lshlrev_b32_e32 v10, 1, v26
	v_lshl_add_u64 v[18:19], v[12:13], 0, v[10:11]
	global_load_dwordx4 v[14:17], v[18:19], off
	global_load_dwordx4 v[10:13], v[18:19], off offset:128
.LBB562_12:
	s_or_b64 exec, exec, s[2:3]
	s_mov_b32 s22, s20
	s_mov_b32 s23, s20
	;; [unrolled: 1-line block ×3, first 2 shown]
	v_mov_b64_e32 v[24:25], s[22:23]
	v_mov_b64_e32 v[22:23], s[20:21]
	;; [unrolled: 1-line block ×3, first 2 shown]
	v_cmp_gt_i32_e32 vcc, s30, v27
	v_lshlrev_b32_e32 v28, 7, v27
	v_mov_b64_e32 v[20:21], v[24:25]
	s_and_saveexec_b64 s[2:3], vcc
	s_cbranch_execz .LBB562_14
; %bb.13:
	v_lshlrev_b32_e32 v18, 1, v28
	v_mov_b32_e32 v19, 0
	v_lshl_add_u64 v[20:21], s[0:1], 0, v[18:19]
	v_lshlrev_b32_e32 v18, 1, v26
	v_lshl_add_u64 v[30:31], v[20:21], 0, v[18:19]
	global_load_dwordx4 v[22:25], v[30:31], off
	global_load_dwordx4 v[18:21], v[30:31], off offset:128
.LBB562_14:
	s_or_b64 exec, exec, s[2:3]
	v_lshrrev_b32_e32 v29, 3, v26
	v_lshlrev_b32_e32 v30, 3, v47
	v_or_b32_e32 v29, v30, v29
	v_lshlrev_b32_e32 v29, 4, v29
	v_and_b32_e32 v30, 0x78, v30
	v_xor_b32_e32 v29, v29, v30
	s_branch .LBB562_17
.LBB562_15:
                                        ; implicit-def: $vgpr29
                                        ; implicit-def: $vgpr28
                                        ; implicit-def: $vgpr14_vgpr15_vgpr16_vgpr17
                                        ; implicit-def: $vgpr10_vgpr11_vgpr12_vgpr13
                                        ; implicit-def: $vgpr22_vgpr23_vgpr24_vgpr25
                                        ; implicit-def: $vgpr18_vgpr19_vgpr20_vgpr21
	s_cbranch_execz .LBB562_17
; %bb.16:
	s_waitcnt vmcnt(0)
	v_lshlrev_b32_e32 v10, 1, v26
	v_lshl_or_b32 v28, v47, 8, v10
	s_and_b32 s1, s1, 0xffff
	s_mov_b32 s3, 0x20000
	s_movk_i32 s2, 0x4000
	v_lshl_or_b32 v29, v27, 8, v10
	s_movk_i32 s16, 0x80
	buffer_load_dwordx4 v[14:17], v28, s[0:3], 0 offen
	buffer_load_dwordx4 v[10:13], v28, s[0:3], s16 offen
	;; [unrolled: 1-line block ×4, first 2 shown]
	v_lshrrev_b32_e32 v28, 3, v26
	v_lshlrev_b32_e32 v29, 3, v47
	v_or_b32_e32 v28, v29, v28
	v_lshlrev_b32_e32 v28, 4, v28
	v_and_b32_e32 v29, 0x78, v29
	v_xor_b32_e32 v29, v28, v29
	v_lshlrev_b32_e32 v28, 7, v27
.LBB562_17:
	s_lshl_b64 s[0:1], s[28:29], 8
	s_add_u32 s4, s4, s0
	s_movk_i32 s0, 0x1000
	v_and_or_b32 v27, v28, s0, v29
	s_waitcnt vmcnt(1)
	ds_write_b64 v29, v[14:15] offset:16384
	v_xor_b32_e32 v14, 8, v29
	ds_write_b64 v14, v[16:17] offset:16384
	s_waitcnt vmcnt(0)
	ds_write_b64 v29, v[10:11] offset:24576
	ds_write_b64 v14, v[12:13] offset:24576
	;; [unrolled: 1-line block ×3, first 2 shown]
	v_xor_b32_e32 v10, 8, v27
	ds_write_b64 v10, v[24:25] offset:16384
	ds_write_b64 v27, v[18:19] offset:24576
	;; [unrolled: 1-line block ×3, first 2 shown]
	v_or_b32_e32 v10, v52, v54
	v_lshlrev_b32_e32 v10, 3, v10
	v_lshrrev_b32_e32 v12, 5, v45
	s_movk_i32 s16, 0xf8
	v_and_or_b32 v12, v10, s16, v12
	v_lshlrev_b32_e32 v49, 11, v1
	v_lshlrev_b32_e32 v20, 4, v12
	v_and_b32_e32 v21, 0x78, v10
	v_and_b32_e32 v22, 0x1000, v49
	v_lshlrev_b32_e32 v11, 2, v0
	v_xor_b32_e32 v10, v20, v21
	v_lshrrev_b32_e32 v12, 1, v45
	v_and_b32_e32 v11, 60, v11
	v_or_b32_e32 v10, v10, v22
	v_and_b32_e32 v23, 8, v12
	v_xor_b32_e32 v34, v10, v23
	v_lshl_or_b32 v10, v53, 6, v11
	v_lshlrev_b32_e32 v50, 1, v10
	v_or_b32_e32 v10, 32, v20
	v_xor_b32_e32 v10, v10, v21
	s_waitcnt lgkmcnt(0)
	s_barrier
	ds_read_b64 v[18:19], v34 offset:16384
	v_or_b32_e32 v10, v10, v22
	v_xor_b32_e32 v35, v10, v23
	v_or_b32_e32 v10, 64, v20
	v_xor_b32_e32 v10, v10, v21
	v_or_b32_e32 v10, v10, v22
	v_or_b32_e32 v20, 0x60, v20
	v_xor_b32_e32 v36, v10, v23
	ds_read2st64_b64 v[10:13], v50 offset0:72 offset1:73
	ds_read2st64_b64 v[14:17], v50 offset0:74 offset1:75
	v_xor_b32_e32 v24, v20, v21
	ds_read_b64 v[20:21], v35 offset:16384
	s_addc_u32 s5, s5, s1
	s_add_i32 s1, s44, s33
	s_waitcnt lgkmcnt(2)
	v_mfma_f32_16x16x16_bf16 a[0:3], v[18:19], v[10:11], 0
	s_add_i32 s0, s37, -1
	s_add_i32 s41, s1, s45
	s_add_i32 s1, s47, s46
	;; [unrolled: 1-line block ×3, first 2 shown]
	s_ashr_i32 s1, s0, 31
	s_mul_i32 s2, s0, s35
	s_mul_hi_u32 s3, s0, s34
	s_add_i32 s2, s3, s2
	s_mul_i32 s1, s1, s34
	v_or_b32_e32 v22, v24, v22
	s_add_i32 s1, s2, s1
	s_lshl_b64 s[2:3], s[40:41], 2
	v_xor_b32_e32 v51, v22, v23
	ds_read_b64 v[22:23], v36 offset:16384
	ds_read_b64 v[24:25], v51 offset:16384
	s_waitcnt lgkmcnt(2)
	v_mfma_f32_16x16x16_bf16 a[0:3], v[20:21], v[12:13], a[0:3]
	s_add_u32 s10, s10, s2
	s_addc_u32 s11, s11, s3
	s_lshl_b64 s[2:3], s[38:39], 2
	s_mul_i32 s0, s0, s34
	s_add_u32 s10, s10, s2
	s_addc_u32 s11, s11, s3
	s_lshl_b64 s[0:1], s[0:1], 2
	s_waitcnt lgkmcnt(1)
	v_mfma_f32_16x16x16_bf16 a[0:3], v[22:23], v[14:15], a[0:3]
	s_add_u32 s0, s10, s0
	s_addc_u32 s1, s11, s1
	s_load_dword s16, s[0:1], 0x0
	s_waitcnt lgkmcnt(0)
	v_mfma_f32_16x16x16_bf16 a[0:3], v[24:25], v[16:17], a[0:3]
	s_and_b64 vcc, exec, s[26:27]
	s_cbranch_vccz .LBB562_28
; %bb.18:
	v_lshlrev_b32_e32 v27, 1, v47
	s_and_b64 vcc, exec, s[6:7]
	s_cbranch_vccz .LBB562_44
; %bb.19:
	v_cmp_gt_i32_e32 vcc, s30, v27
	v_mov_b32_e32 v14, 0
	v_mov_b32_e32 v10, 0
	;; [unrolled: 1-line block ×5, first 2 shown]
	s_and_saveexec_b64 s[0:1], vcc
	s_cbranch_execz .LBB562_21
; %bb.20:
	v_mad_i64_i32 v[10:11], s[2:3], s19, v27, 0
	v_lshl_add_u64 v[10:11], v[10:11], 1, s[4:5]
	v_lshlrev_b32_e32 v12, 1, v26
	v_mov_b32_e32 v13, 0
	v_lshl_add_u64 v[10:11], v[10:11], 0, v[12:13]
	global_load_dwordx4 v[10:13], v[10:11], off
.LBB562_21:
	s_or_b64 exec, exec, s[0:1]
	v_or_b32_e32 v28, 1, v27
	v_cmp_gt_i32_e64 s[0:1], s30, v28
	v_mov_b32_e32 v15, 0
	v_mov_b32_e32 v16, 0
	;; [unrolled: 1-line block ×3, first 2 shown]
	s_and_saveexec_b64 s[2:3], s[0:1]
	s_cbranch_execz .LBB562_23
; %bb.22:
	v_mad_i64_i32 v[14:15], s[20:21], s19, v28, 0
	v_lshl_add_u64 v[14:15], v[14:15], 1, s[4:5]
	v_lshlrev_b32_e32 v16, 1, v26
	v_mov_b32_e32 v17, 0
	v_lshl_add_u64 v[14:15], v[14:15], 0, v[16:17]
	global_load_dwordx4 v[14:17], v[14:15], off
.LBB562_23:
	s_or_b64 exec, exec, s[2:3]
	v_mov_b32_e32 v25, 0
	v_mov_b32_e32 v18, 0
	;; [unrolled: 1-line block ×5, first 2 shown]
	s_and_saveexec_b64 s[2:3], vcc
	s_cbranch_execz .LBB562_25
; %bb.24:
	v_mad_i64_i32 v[18:19], s[20:21], s19, v27, 0
	v_lshl_add_u64 v[18:19], v[18:19], 1, s[4:5]
	v_lshlrev_b32_e32 v20, 1, v26
	v_mov_b32_e32 v21, 0
	v_lshl_add_u64 v[18:19], v[18:19], 0, v[20:21]
	global_load_dwordx4 v[18:21], v[18:19], off offset:128
.LBB562_25:
	s_or_b64 exec, exec, s[2:3]
	v_mov_b32_e32 v24, 0
	v_mov_b32_e32 v23, 0
	;; [unrolled: 1-line block ×3, first 2 shown]
	s_and_saveexec_b64 s[2:3], s[0:1]
	s_cbranch_execz .LBB562_27
; %bb.26:
	v_mad_i64_i32 v[22:23], s[0:1], s19, v28, 0
	v_lshl_add_u64 v[22:23], v[22:23], 1, s[4:5]
	v_lshlrev_b32_e32 v24, 1, v26
	v_mov_b32_e32 v25, 0
	v_lshl_add_u64 v[22:23], v[22:23], 0, v[24:25]
	global_load_dwordx4 v[22:25], v[22:23], off offset:128
.LBB562_27:
	s_or_b64 exec, exec, s[2:3]
	s_branch .LBB562_46
.LBB562_28:
                                        ; implicit-def: $vgpr13
                                        ; implicit-def: $vgpr17
                                        ; implicit-def: $vgpr21
                                        ; implicit-def: $vgpr25
	v_lshrrev_b32_e32 v45, 2, v45
	s_branch .LBB562_47
.LBB562_29:
                                        ; implicit-def: $vgpr10
                                        ; implicit-def: $vgpr11
                                        ; implicit-def: $sgpr26
	v_lshl_or_b32 v5, v61, 9, v5
.LBB562_30:
	v_or_b32_e32 v10, 0x100, v5
	s_movk_i32 s26, 0x4000
	v_mov_b32_e32 v11, v5
.LBB562_31:
	s_mul_i32 s20, s36, s18
	s_ashr_i32 s58, s53, 31
	s_mul_hi_i32 s3, s36, s18
	s_add_u32 s20, s20, s53
	s_addc_u32 s21, s3, s58
	s_lshl_b64 s[20:21], s[20:21], 8
	s_add_u32 s24, s4, s20
	s_addc_u32 s3, s5, s21
	s_and_b32 s25, s3, 0xffff
	s_movk_i32 s59, 0x80
	buffer_load_dwordx4 v[12:15], v11, s[24:27], 0 offen
	buffer_load_dwordx4 v[16:19], v11, s[24:27], s59 offen
	;; [unrolled: 1-line block ×4, first 2 shown]
	v_and_b32_e32 v10, 6, v0
	v_lshlrev_b32_e32 v28, 2, v54
	v_lshlrev_b32_e32 v29, 3, v54
	v_xor_b32_e32 v32, v61, v10
	v_and_b32_e32 v11, 1, v0
	v_lshl_or_b32 v29, v57, 5, v29
	v_xor_b32_e32 v33, v57, v28
	v_lshlrev_b32_e32 v32, 2, v32
	v_or_b32_e32 v67, 0x9000, v29
	v_or_b32_e32 v68, 0x9800, v29
	v_lshlrev_b32_e32 v29, 1, v33
	v_xor_b32_e32 v33, 0x440, v32
	v_cmp_eq_u32_e32 vcc, 0, v11
	s_add_i32 s3, s44, s33
	s_add_i32 s20, s47, s46
	v_cndmask_b32_e32 v11, v33, v32, vcc
	s_add_i32 s41, s3, s45
	v_lshl_or_b32 v10, v10, 10, v11
	s_add_i32 s39, s20, s48
	s_lshl_b64 s[20:21], s[40:41], 2
	s_mov_b32 s60, 0x1000504
	v_lshlrev_b32_e32 v30, 8, v54
	s_mov_b32 s26, 0x8000
	v_xor_b32_e32 v28, v58, v28
	v_xor_b32_e32 v11, 8, v10
	s_add_u32 s3, s10, s20
	s_mov_b32 s61, 0x3020706
	v_or_b32_e32 v31, v52, v54
	v_lshlrev_b32_e32 v28, 1, v28
	v_or3_b32 v69, v29, v30, s26
	v_xor_b32_e32 v29, 24, v10
	v_xor_b32_e32 v32, 40, v10
	v_xor_b32_e32 v34, 56, v10
	v_add_u32_e32 v11, 0x80, v11
	s_addc_u32 s24, s11, s21
	s_lshl_b64 s[20:21], s[38:39], 2
	v_lshlrev_b32_e32 v31, 3, v31
	v_or3_b32 v70, v28, v30, s26
	v_xor_b32_e32 v28, 16, v10
	v_xor_b32_e32 v30, 32, v10
	v_xor_b32_e32 v33, 48, v10
	v_add_u32_e32 v29, 0x80, v29
	v_add_u32_e32 v32, 0x80, v32
	;; [unrolled: 1-line block ×3, first 2 shown]
	s_add_u32 s20, s3, s20
	s_movk_i32 s3, 0xf8
	s_addc_u32 s21, s24, s21
	v_ashrrev_i32_e32 v47, 31, v46
	s_lshl_b32 s30, s19, 7
	s_mov_b32 s62, 0
	s_waitcnt vmcnt(1)
	v_perm_b32 v35, v12, v20, s60
	s_waitcnt vmcnt(0)
	v_perm_b32 v36, v16, v24, s60
	v_perm_b32 v12, v12, v20, s61
	;; [unrolled: 1-line block ×15, first 2 shown]
	ds_write2st64_b32 v10, v35, v36 offset1:32
	ds_write2st64_b32 v11, v12, v16 offset1:32
	ds_write2st64_b32 v28, v20, v24 offset0:1 offset1:33
	ds_write2st64_b32 v29, v13, v17 offset0:1 offset1:33
	;; [unrolled: 1-line block ×6, first 2 shown]
	v_lshrrev_b32_e32 v11, 5, v45
	v_and_or_b32 v11, v31, s3, v11
	v_lshlrev_b32_e32 v11, 4, v11
	v_lshlrev_b32_e32 v16, 11, v1
	v_and_b32_e32 v12, 0x78, v31
	v_or_b32_e32 v15, 32, v11
	v_and_b32_e32 v10, 0x1000, v16
	v_xor_b32_e32 v13, v11, v12
	v_lshrrev_b32_e32 v17, 1, v0
	v_xor_b32_e32 v15, v15, v12
	v_or_b32_e32 v13, v13, v10
	v_and_b32_e32 v14, 8, v17
	v_or_b32_e32 v15, v15, v10
	v_xor_b32_e32 v71, v13, v14
	v_and_b32_e32 v13, 0x78, v55
	v_xor_b32_e32 v73, v15, v14
	v_or_b32_e32 v15, 64, v11
	v_or_b32_e32 v11, 0x60, v11
	v_lshl_or_b32 v13, v53, 7, v13
	v_xor_b32_e32 v15, v15, v12
	v_xor_b32_e32 v11, v11, v12
	v_or_b32_e32 v72, 0x9000, v13
	v_or_b32_e32 v15, v15, v10
	;; [unrolled: 1-line block ×4, first 2 shown]
	v_lshrrev_b32_e32 v12, 4, v0
	v_lshlrev_b32_e32 v13, 1, v54
	v_xor_b32_e32 v74, v15, v14
	v_xor_b32_e32 v75, v10, v14
	s_ashr_i32 s3, s2, 31
	v_or_b32_e32 v14, 1, v13
	v_xor_b32_e32 v13, v12, v13
	s_lshl_b64 s[24:25], s[2:3], 8
	v_xor_b32_e32 v14, v14, v12
	v_lshlrev_b32_e32 v13, 3, v13
	v_lshlrev_b32_e32 v12, 8, v12
	v_lshl_add_u64 v[10:11], v[46:47], 1, s[8:9]
	s_add_u32 s24, s22, s24
	v_or3_b32 v47, v13, v12, s26
	v_lshlrev_b32_e32 v13, 3, v14
	s_addc_u32 s25, s23, s25
	v_or3_b32 v77, v13, v12, s26
	v_mov_b32_e32 v13, 0
	v_lshl_add_u64 v[14:15], s[24:25], 0, v[12:13]
	v_lshlrev_b32_e32 v12, 4, v54
	s_movk_i32 s3, 0xff
	v_lshlrev_b32_e32 v21, 3, v1
	v_and_b32_e32 v17, 24, v17
	v_lshl_add_u64 v[48:49], v[14:15], 0, v[12:13]
	v_and_b32_e32 v14, 8, v0
	v_cmp_lt_u32_e32 vcc, s3, v0
	v_xor_b32_e32 v22, v21, v17
	v_or_b32_e32 v23, 0x440, v22
	v_cndmask_b32_e64 v20, 0, 1, vcc
	v_cmp_eq_u32_e32 vcc, 0, v14
	v_and_b32_e32 v12, 7, v0
	v_lshlrev_b32_e32 v15, 3, v12
	v_cndmask_b32_e32 v14, v23, v22, vcc
	v_lshlrev_b32_e32 v12, 7, v12
	v_or_b32_e32 v14, v14, v16
	v_xad_u32 v78, v14, v15, v12
	v_or_b32_e32 v14, 32, v17
	v_xor_b32_e32 v14, v21, v14
	v_or_b32_e32 v22, 0x440, v14
	v_cndmask_b32_e32 v14, v22, v14, vcc
	v_or_b32_e32 v14, v14, v16
	v_xad_u32 v79, v14, v15, v12
	v_or_b32_e32 v14, 64, v17
	v_xor_b32_e32 v14, v21, v14
	v_xor_b32_e32 v22, 0x440, v14
	v_cndmask_b32_e32 v14, v22, v14, vcc
	v_or_b32_e32 v14, v14, v16
	v_xad_u32 v80, v14, v15, v12
	v_or_b32_e32 v14, 0x60, v17
	v_xor_b32_e32 v14, v21, v14
	v_xor_b32_e32 v17, 0x440, v14
	v_cndmask_b32_e32 v14, v17, v14, vcc
	v_or_b32_e32 v14, v14, v16
	v_lshlrev_b32_e32 v18, 1, v9
	v_add_lshl_u32 v9, v9, s19, 1
	v_or_b32_e32 v19, 0x100, v5
	v_lshlrev_b32_e32 v20, 13, v20
	v_xad_u32 v81, v14, v15, v12
	v_lshlrev_b32_e32 v12, 8, v57
	v_cndmask_b32_e64 v82, v18, v5, s[0:1]
	v_cndmask_b32_e64 v83, v9, v19, s[0:1]
	v_lshl_add_u64 v[50:51], v[10:11], 0, v[12:13]
	s_mov_b32 s3, 0x7060302
	s_movk_i32 s26, 0x4000
	v_add_u32_e32 v84, v20, v78
	v_add_u32_e32 v85, v20, v79
	;; [unrolled: 1-line block ×4, first 2 shown]
	s_waitcnt lgkmcnt(0)
	s_barrier
.LBB562_32:                             ; =>This Inner Loop Header: Depth=1
	s_add_i32 s39, s62, 1
	s_cmp_lt_i32 s39, s50
	s_mov_b64 s[28:29], 0
	s_cselect_b64 s[42:43], -1, 0
	s_cmp_ge_i32 s39, s50
	s_mov_b64 s[24:25], 0
	s_cbranch_scc1 .LBB562_34
; %bb.33:                               ;   in Loop: Header=BB562_32 Depth=1
	s_add_i32 s0, s57, 64
	s_ashr_i32 s1, s0, 31
	s_add_u32 s0, s55, s0
	s_addc_u32 s1, s54, s1
	s_lshl_b64 s[0:1], s[0:1], 8
	s_add_u32 s24, s6, s0
	s_addc_u32 s25, s7, s1
.LBB562_34:                             ;   in Loop: Header=BB562_32 Depth=1
	v_cndmask_b32_e64 v5, 0, 1, s[42:43]
	v_cmp_ne_u32_e64 s[0:1], 1, v5
	s_andn2_b64 vcc, exec, s[42:43]
	s_cbranch_vccnz .LBB562_36
; %bb.35:                               ;   in Loop: Header=BB562_32 Depth=1
	s_add_i32 s28, s57, 64
	s_mul_hi_i32 s29, s28, s18
	s_mul_i32 s28, s28, s18
	s_add_u32 s28, s28, s53
	s_addc_u32 s29, s29, s58
	s_lshl_b64 s[28:29], s[28:29], 8
	s_add_u32 s28, s4, s28
	s_addc_u32 s29, s5, s29
.LBB562_36:                             ;   in Loop: Header=BB562_32 Depth=1
	v_perm_b32 v11, v59, v4, s3
	v_perm_b32 v10, v3, v2, s3
	;; [unrolled: 1-line block ×4, first 2 shown]
	ds_write_b64 v67, v[10:11]
	ds_write_b64 v68, v[12:13]
	;; [unrolled: 1-line block ×4, first 2 shown]
	s_waitcnt lgkmcnt(0)
	s_barrier
	ds_read_b64 v[18:19], v71 offset:16384
	ds_read_b64 v[20:21], v73 offset:16384
	ds_read2st64_b64 v[10:13], v72 offset1:1
	s_waitcnt lgkmcnt(0)
	v_mfma_f32_16x16x16_bf16 a[0:3], v[18:19], v[10:11], 0
	ds_read2st64_b64 v[14:17], v72 offset0:2 offset1:3
	ds_read_b64 v[22:23], v74 offset:16384
	ds_read_b64 v[10:11], v75 offset:16384
	s_add_i32 s31, s57, 63
	v_mfma_f32_16x16x16_bf16 a[0:3], v[20:21], v[12:13], a[0:3]
	s_ashr_i32 s41, s31, 31
	s_mul_i32 s42, s31, s35
	s_mul_hi_u32 s43, s31, s34
	s_waitcnt lgkmcnt(1)
	v_mfma_f32_16x16x16_bf16 a[0:3], v[22:23], v[14:15], a[0:3]
	s_add_i32 s42, s43, s42
	s_mul_i32 s41, s41, s34
	s_add_i32 s43, s42, s41
	s_mul_i32 s42, s31, s34
	s_waitcnt lgkmcnt(0)
	v_mfma_f32_16x16x16_bf16 a[0:3], v[10:11], v[16:17], a[0:3]
	s_lshl_b64 s[42:43], s[42:43], 2
	s_add_u32 s42, s20, s42
	s_addc_u32 s43, s21, s43
	s_and_b64 vcc, exec, s[0:1]
	v_mov_b32_e32 v88, 0
	v_mov_b32_e32 v9, 0
	;; [unrolled: 1-line block ×19, first 2 shown]
	s_cbranch_vccnz .LBB562_38
; %bb.37:                               ;   in Loop: Header=BB562_32 Depth=1
	s_and_b32 s25, s25, 0xffff
	buffer_load_dwordx4 v[22:25], v63, s[24:27], 0 offen
	buffer_load_dwordx4 v[18:21], v63, s[24:27], s59 offen
	;; [unrolled: 1-line block ×4, first 2 shown]
	v_mov_b32_e32 v9, v65
	v_mov_b32_e32 v5, v66
.LBB562_38:                             ;   in Loop: Header=BB562_32 Depth=1
	s_waitcnt vmcnt(3)
	v_add_u32_e32 v30, s57, v57
	s_waitcnt vmcnt(1)
	v_ashrrev_i32_e32 v26, 31, v30
	v_mul_lo_u32 v28, v26, s34
	v_mul_lo_u32 v29, v30, s35
	v_mad_u64_u32 v[26:27], s[24:25], v30, s34, 0
	v_add3_u32 v27, v27, v29, v28
	v_lshl_add_u64 v[26:27], v[26:27], 2, s[20:21]
	global_load_dword v96, v[26:27], off
	v_add_u32_e32 v26, 1, v30
	v_ashrrev_i32_e32 v27, 31, v26
	v_mul_lo_u32 v28, v27, s34
	v_mul_lo_u32 v29, v26, s35
	v_mad_u64_u32 v[26:27], s[24:25], v26, s34, 0
	v_add3_u32 v27, v27, v29, v28
	v_add_u32_e32 v28, 2, v30
	v_ashrrev_i32_e32 v29, 31, v28
	v_mul_lo_u32 v31, v29, s34
	v_mul_lo_u32 v32, v28, s35
	v_mad_u64_u32 v[28:29], s[24:25], v28, s34, 0
	v_add_u32_e32 v30, 3, v30
	v_add3_u32 v29, v29, v32, v31
	v_ashrrev_i32_e32 v31, 31, v30
	v_mul_lo_u32 v34, v31, s34
	v_mul_lo_u32 v35, v30, s35
	v_mad_u64_u32 v[30:31], s[24:25], v30, s34, 0
	s_ashr_i32 s25, s57, 31
	s_add_u32 s24, s55, s57
	s_addc_u32 s25, s54, s25
	s_lshl_b64 s[24:25], s[24:25], 8
	v_lshl_add_u64 v[26:27], v[26:27], 2, s[20:21]
	v_lshl_add_u64 v[32:33], v[50:51], 0, s[24:25]
	v_add3_u32 v31, v31, v35, v34
	v_lshl_add_u64 v[28:29], v[28:29], 2, s[20:21]
	global_load_ushort v97, v[32:33], off
	global_load_ushort v98, v[32:33], off offset:256
	global_load_ushort v99, v[32:33], off offset:512
	;; [unrolled: 1-line block ×3, first 2 shown]
	v_lshl_add_u64 v[30:31], v[30:31], 2, s[20:21]
	global_load_dword v101, v[26:27], off
	global_load_dword v102, v[28:29], off
	;; [unrolled: 1-line block ×3, first 2 shown]
	s_load_dword s24, s[42:43], 0x0
	ds_read2st64_b64 v[34:37], v76 offset1:1
	ds_read2st64_b64 v[38:41], v76 offset0:2 offset1:3
	ds_read_b64 v[32:33], v71 offset:24576
	ds_read_b64 v[90:91], v73 offset:24576
	;; [unrolled: 1-line block ×4, first 2 shown]
	s_waitcnt lgkmcnt(0)
	v_mfma_f32_16x16x16_bf16 a[0:3], v[32:33], v[34:35], a[0:3]
	v_mov_b32_e32 v89, 0
	v_mov_b32_e32 v26, 0
	v_mov_b32_e32 v27, 0
	v_mfma_f32_16x16x16_bf16 a[0:3], v[90:91], v[36:37], a[0:3]
	v_mov_b32_e32 v28, 0
	v_mov_b32_e32 v29, 0
	v_mov_b32_e32 v30, 0
	;; [unrolled: 4-line block ×4, first 2 shown]
	v_mov_b32_e32 v37, 0
	v_mov_b32_e32 v38, 0
	;; [unrolled: 1-line block ×3, first 2 shown]
	s_and_b64 vcc, exec, s[0:1]
	v_accvgpr_read_b32 v91, a1
	v_accvgpr_read_b32 v41, a3
	;; [unrolled: 1-line block ×4, first 2 shown]
	s_waitcnt vmcnt(7)
	v_sub_f32_e32 v96, s24, v96
	v_exp_f32_e32 v96, v96
	s_waitcnt vmcnt(6)
	v_lshlrev_b32_e32 v92, 16, v97
	s_waitcnt vmcnt(5)
	v_lshlrev_b32_e32 v93, 16, v98
	;; [unrolled: 2-line block ×3, first 2 shown]
	s_waitcnt vmcnt(2)
	v_sub_f32_e32 v97, s24, v101
	s_waitcnt vmcnt(1)
	v_sub_f32_e32 v98, s24, v102
	;; [unrolled: 2-line block ×3, first 2 shown]
	v_exp_f32_e32 v97, v97
	v_exp_f32_e32 v98, v98
	;; [unrolled: 1-line block ×3, first 2 shown]
	v_lshlrev_b32_e32 v95, 16, v100
	v_pk_add_f32 v[90:91], v[92:93], v[90:91] neg_lo:[0,1] neg_hi:[0,1]
	v_pk_add_f32 v[40:41], v[94:95], v[40:41] neg_lo:[0,1] neg_hi:[0,1]
	v_pk_mul_f32 v[90:91], v[96:97], v[90:91]
	v_pk_mul_f32 v[40:41], v[98:99], v[40:41]
	s_nop 0
	v_perm_b32 v41, v41, v40, s3
	v_perm_b32 v40, v91, v90, s3
	ds_write_b64 v68, v[40:41]
	v_mov_b32_e32 v40, 0
	v_mov_b32_e32 v41, 0
	s_cbranch_vccnz .LBB562_40
; %bb.39:                               ;   in Loop: Header=BB562_32 Depth=1
	s_and_b32 s29, s29, 0xffff
	s_mov_b32 s31, s27
	buffer_load_dwordx4 v[38:41], v82, s[28:31], 0 offen
	buffer_load_dwordx4 v[30:33], v82, s[28:31], s59 offen
	;; [unrolled: 1-line block ×4, first 2 shown]
	v_mov_b32_e32 v88, v62
	v_mov_b32_e32 v89, v61
.LBB562_40:                             ;   in Loop: Header=BB562_32 Depth=1
	s_waitcnt lgkmcnt(0)
	s_barrier
	ds_read_b64 v[98:99], v84
	ds_read2st64_b64 v[90:93], v76 offset1:1
	ds_read2st64_b64 v[94:97], v76 offset0:2 offset1:3
	ds_read_b64 v[100:101], v85
	ds_read_b64 v[102:103], v86
	;; [unrolled: 1-line block ×3, first 2 shown]
	s_waitcnt lgkmcnt(4)
	v_mfma_f32_16x16x16_bf16 a[0:3], v[98:99], v[90:91], 0
	ds_read_b64 v[98:99], v78 offset:8192
	ds_read_b64 v[106:107], v79 offset:8192
	s_add_i32 s25, s56, s62
	s_mul_hi_i32 s29, s25, s17
	s_waitcnt lgkmcnt(1)
	v_mfma_f32_16x16x16_bf16 a[4:7], v[98:99], v[90:91], 0
	s_mul_i32 s25, s25, s17
	s_add_u32 s28, s25, s49
	s_addc_u32 s29, s29, s51
	v_mfma_f32_16x16x16_bf16 a[0:3], v[100:101], v[92:93], a[0:3]
	ds_read_b64 v[98:99], v47
	ds_read_b64 v[100:101], v77
	ds_read_b64 v[90:91], v80 offset:8192
	s_lshl_b64 s[28:29], s[28:29], 15
	v_mfma_f32_16x16x16_bf16 a[0:3], v[102:103], v[94:95], a[0:3]
	ds_read_b64 v[102:103], v81 offset:8192
	s_and_b64 vcc, exec, s[0:1]
	s_waitcnt lgkmcnt(4)
	v_mfma_f32_16x16x16_bf16 a[4:7], v[106:107], v[92:93], a[4:7]
	s_waitcnt lgkmcnt(1)
	v_mfma_f32_16x16x16_bf16 a[4:7], v[90:91], v[94:95], a[4:7]
	v_lshl_add_u64 v[90:91], v[48:49], 0, s[28:29]
	global_store_dwordx4 v[90:91], v[98:101], off
	v_mfma_f32_16x16x16_bf16 a[0:3], v[104:105], v[96:97], a[0:3]
	s_waitcnt lgkmcnt(0)
	v_mfma_f32_16x16x16_bf16 a[4:7], v[102:103], v[96:97], a[4:7]
	s_cbranch_vccnz .LBB562_42
; %bb.41:                               ;   in Loop: Header=BB562_32 Depth=1
	v_lshrrev_b32_e32 v90, 3, v88
	v_and_b32_e32 v90, 6, v90
	v_xor_b32_e32 v89, v90, v89
	v_lshlrev_b32_e32 v89, 2, v89
	v_and_b32_e32 v88, 8, v88
	v_xor_b32_e32 v91, 0x440, v89
	v_cmp_eq_u32_e32 vcc, 0, v88
	s_barrier
	s_nop 0
	v_cndmask_b32_e32 v88, v91, v89, vcc
	v_lshl_or_b32 v88, v90, 10, v88
	s_waitcnt vmcnt(2)
	v_perm_b32 v89, v38, v34, s60
	s_waitcnt vmcnt(1)
	v_perm_b32 v90, v30, v26, s60
	ds_write2st64_b32 v88, v89, v90 offset1:32
	v_xor_b32_e32 v89, 8, v88
	v_perm_b32 v34, v38, v34, s61
	v_perm_b32 v26, v30, v26, s61
	v_add_u32_e32 v30, 0x80, v89
	ds_write2st64_b32 v30, v34, v26 offset1:32
	v_xor_b32_e32 v26, 16, v88
	v_perm_b32 v30, v39, v35, s60
	v_perm_b32 v34, v31, v27, s60
	ds_write2st64_b32 v26, v30, v34 offset0:1 offset1:33
	v_xor_b32_e32 v26, 24, v88
	v_perm_b32 v30, v39, v35, s61
	v_perm_b32 v27, v31, v27, s61
	v_add_u32_e32 v26, 0x80, v26
	ds_write2st64_b32 v26, v30, v27 offset0:1 offset1:33
	v_xor_b32_e32 v26, 32, v88
	v_perm_b32 v27, v40, v36, s60
	v_perm_b32 v30, v32, v28, s60
	ds_write2st64_b32 v26, v27, v30 offset0:2 offset1:34
	v_xor_b32_e32 v26, 40, v88
	v_perm_b32 v27, v40, v36, s61
	v_perm_b32 v28, v32, v28, s61
	v_add_u32_e32 v26, 0x80, v26
	ds_write2st64_b32 v26, v27, v28 offset0:2 offset1:34
	;; [unrolled: 9-line block ×3, first 2 shown]
	ds_write_b64 v9, v[22:23] offset:16384
	v_xor_b32_e32 v22, 8, v9
	ds_write_b64 v22, v[24:25] offset:16384
	ds_write_b64 v9, v[18:19] offset:24576
	;; [unrolled: 1-line block ×4, first 2 shown]
	v_xor_b32_e32 v9, 8, v5
	ds_write_b64 v9, v[16:17] offset:16384
	ds_write_b64 v5, v[10:11] offset:24576
	;; [unrolled: 1-line block ×3, first 2 shown]
.LBB562_42:                             ;   in Loop: Header=BB562_32 Depth=1
	v_exp_f32_e32 v10, s24
	s_nop 2
	v_accvgpr_read_b32 v9, a1
	v_accvgpr_read_b32 v5, a0
	s_add_i32 s57, s57, 64
	v_fma_f32 v3, v3, v10, v9
	v_accvgpr_read_b32 v9, a4
	v_fma_f32 v6, v6, v10, v9
	v_accvgpr_read_b32 v9, a5
	;; [unrolled: 2-line block ×6, first 2 shown]
	v_fmac_f32_e32 v5, v59, v10
	s_cmp_eq_u32 s50, s39
	v_fmac_f32_e32 v9, v60, v10
	s_cbranch_scc1 .LBB562_4
; %bb.43:                               ;   in Loop: Header=BB562_32 Depth=1
	s_mov_b32 s62, s39
	v_mov_b32_e32 v59, v5
	v_mov_b32_e32 v60, v9
	s_branch .LBB562_32
.LBB562_44:
                                        ; implicit-def: $vgpr13
                                        ; implicit-def: $vgpr17
                                        ; implicit-def: $vgpr21
                                        ; implicit-def: $vgpr25
	s_cbranch_execz .LBB562_46
; %bb.45:
	s_waitcnt vmcnt(0)
	v_mad_u64_u32 v[10:11], s[0:1], v27, s19, v[26:27]
	v_lshlrev_b32_e32 v27, 1, v10
	s_lshl_b32 s2, s19, 7
	s_and_b32 s1, s5, 0xffff
	s_mov_b32 s3, 0x20000
	s_mov_b32 s0, s4
	v_add_lshl_u32 v28, v10, s19, 1
	s_movk_i32 s17, 0x80
	buffer_load_dwordx4 v[10:13], v27, s[0:3], 0 offen
	buffer_load_dwordx4 v[18:21], v27, s[0:3], s17 offen
	;; [unrolled: 1-line block ×4, first 2 shown]
.LBB562_46:
	v_lshrrev_b32_e32 v45, 2, v45
	s_cbranch_execnz .LBB562_59
.LBB562_47:
	s_and_b64 vcc, exec, s[6:7]
	s_cbranch_vccz .LBB562_57
; %bb.48:
	s_waitcnt vmcnt(0)
	v_lshlrev_b32_e32 v15, 1, v47
	v_cmp_gt_i32_e32 vcc, s30, v15
	v_mov_b32_e32 v14, 0
	v_lshlrev_b32_e32 v22, 9, v47
	v_mov_b32_e32 v10, 0
	v_mov_b32_e32 v11, 0
	;; [unrolled: 1-line block ×4, first 2 shown]
	s_and_saveexec_b64 s[0:1], vcc
	s_cbranch_execz .LBB562_50
; %bb.49:
	v_mov_b32_e32 v23, 0
	v_lshl_add_u64 v[10:11], s[4:5], 0, v[22:23]
	v_lshlrev_b32_e32 v12, 1, v26
	v_mov_b32_e32 v13, v23
	v_lshl_add_u64 v[10:11], v[10:11], 0, v[12:13]
	global_load_dwordx4 v[10:13], v[10:11], off
.LBB562_50:
	s_or_b64 exec, exec, s[0:1]
	v_or_b32_e32 v15, 1, v15
	v_cmp_gt_i32_e64 s[0:1], s30, v15
	v_lshlrev_b32_e32 v28, 8, v15
	v_mov_b32_e32 v15, 0
	v_mov_b32_e32 v16, 0
	;; [unrolled: 1-line block ×3, first 2 shown]
	s_and_saveexec_b64 s[2:3], s[0:1]
	s_cbranch_execz .LBB562_52
; %bb.51:
	v_mov_b32_e32 v29, 0
	v_lshl_add_u64 v[14:15], s[4:5], 0, v[28:29]
	v_lshlrev_b32_e32 v16, 1, v26
	v_mov_b32_e32 v17, v29
	v_lshl_add_u64 v[14:15], v[14:15], 0, v[16:17]
	global_load_dwordx4 v[14:17], v[14:15], off
.LBB562_52:
	s_or_b64 exec, exec, s[2:3]
	v_mov_b32_e32 v25, 0
	v_mov_b32_e32 v18, 0
	;; [unrolled: 1-line block ×5, first 2 shown]
	s_and_saveexec_b64 s[2:3], vcc
	s_cbranch_execz .LBB562_54
; %bb.53:
	v_mov_b32_e32 v23, 0
	v_lshl_add_u64 v[18:19], s[4:5], 0, v[22:23]
	v_lshlrev_b32_e32 v22, 1, v26
	v_lshl_add_u64 v[18:19], v[18:19], 0, v[22:23]
	global_load_dwordx4 v[18:21], v[18:19], off offset:128
.LBB562_54:
	s_or_b64 exec, exec, s[2:3]
	v_mov_b32_e32 v24, 0
	v_mov_b32_e32 v23, 0
	;; [unrolled: 1-line block ×3, first 2 shown]
	s_and_saveexec_b64 s[2:3], s[0:1]
	s_cbranch_execz .LBB562_56
; %bb.55:
	v_mov_b32_e32 v29, 0
	v_lshl_add_u64 v[22:23], s[4:5], 0, v[28:29]
	v_lshlrev_b32_e32 v28, 1, v26
	v_lshl_add_u64 v[22:23], v[22:23], 0, v[28:29]
	global_load_dwordx4 v[22:25], v[22:23], off offset:128
.LBB562_56:
	s_or_b64 exec, exec, s[2:3]
	s_branch .LBB562_59
.LBB562_57:
                                        ; implicit-def: $vgpr13
                                        ; implicit-def: $vgpr17
                                        ; implicit-def: $vgpr21
                                        ; implicit-def: $vgpr25
	s_cbranch_execz .LBB562_59
; %bb.58:
	s_waitcnt vmcnt(0)
	v_lshlrev_b32_e32 v10, 1, v26
	v_lshl_or_b32 v26, v47, 9, v10
	s_and_b32 s5, s5, 0xffff
	s_mov_b32 s7, 0x20000
	s_movk_i32 s6, 0x4000
	s_movk_i32 s0, 0x80
	buffer_load_dwordx4 v[10:13], v26, s[4:7], 0 offen
	buffer_load_dwordx4 v[14:17], v26, s[4:7], 0 offen offset:256
	buffer_load_dwordx4 v[18:21], v26, s[4:7], s0 offen
	buffer_load_dwordx4 v[22:25], v26, s[4:7], s0 offen offset:256
.LBB562_59:
	ds_read2st64_b64 v[30:33], v50 offset0:76 offset1:77
	ds_read2st64_b64 v[26:29], v50 offset0:78 offset1:79
	ds_read_b64 v[38:39], v34 offset:24576
	ds_read_b64 v[40:41], v35 offset:24576
	;; [unrolled: 1-line block ×4, first 2 shown]
	v_and_b32_e32 v51, 6, v0
	v_xor_b32_e32 v47, v47, v51
	v_lshlrev_b32_e32 v47, 2, v47
	v_and_b32_e32 v53, 1, v0
	v_xor_b32_e32 v54, 0x440, v47
	v_cmp_eq_u32_e32 vcc, 0, v53
	s_mov_b32 s0, 0x1000504
	s_waitcnt vmcnt(0)
	v_perm_b32 v53, v18, v22, s0
	v_cndmask_b32_e32 v47, v54, v47, vcc
	v_lshl_or_b32 v47, v51, 10, v47
	v_perm_b32 v51, v10, v14, s0
	ds_write2st64_b32 v47, v51, v53 offset1:32
	v_xor_b32_e32 v51, 8, v47
	s_mov_b32 s1, 0x3020706
	v_perm_b32 v10, v10, v14, s1
	v_perm_b32 v14, v18, v22, s1
	v_add_u32_e32 v18, 0x80, v51
	ds_write2st64_b32 v18, v10, v14 offset1:32
	v_xor_b32_e32 v10, 16, v47
	v_perm_b32 v14, v11, v15, s0
	v_perm_b32 v18, v19, v23, s0
	ds_write2st64_b32 v10, v14, v18 offset0:1 offset1:33
	v_xor_b32_e32 v10, 24, v47
	v_perm_b32 v11, v11, v15, s1
	v_perm_b32 v14, v19, v23, s1
	v_add_u32_e32 v10, 0x80, v10
	ds_write2st64_b32 v10, v11, v14 offset0:1 offset1:33
	v_xor_b32_e32 v10, 32, v47
	v_perm_b32 v11, v12, v16, s0
	v_perm_b32 v14, v20, v24, s0
	ds_write2st64_b32 v10, v11, v14 offset0:2 offset1:34
	v_xor_b32_e32 v10, 40, v47
	v_perm_b32 v11, v12, v16, s1
	v_perm_b32 v12, v20, v24, s1
	v_add_u32_e32 v10, 0x80, v10
	ds_write2st64_b32 v10, v11, v12 offset0:2 offset1:34
	v_xor_b32_e32 v10, 48, v47
	v_perm_b32 v11, v13, v17, s0
	v_perm_b32 v12, v21, v25, s0
	ds_write2st64_b32 v10, v11, v12 offset0:3 offset1:35
	v_xor_b32_e32 v10, 56, v47
	v_and_or_b32 v16, v45, 12, v52
	v_perm_b32 v11, v13, v17, s1
	v_perm_b32 v12, v21, v25, s1
	v_add_u32_e32 v10, 0x80, v10
	v_cmp_gt_i32_e32 vcc, s30, v16
	v_mov_b32_e32 v17, 0
	v_mov_b32_e32 v21, 0
	ds_write2st64_b32 v10, v11, v12 offset0:3 offset1:35
	s_and_saveexec_b64 s[0:1], vcc
	s_cbranch_execz .LBB562_61
; %bb.60:
	v_add_u32_e32 v10, s31, v16
	v_ashrrev_i32_e32 v11, 31, v10
	v_mul_lo_u32 v12, v11, s34
	v_mul_lo_u32 v13, v10, s35
	v_mad_u64_u32 v[10:11], s[2:3], v10, s34, 0
	v_add3_u32 v11, v11, v13, v12
	v_lshl_add_u64 v[10:11], v[10:11], 2, s[10:11]
	global_load_dword v10, v[10:11], off
	s_waitcnt vmcnt(0)
	v_sub_f32_e32 v10, s16, v10
	v_exp_f32_e32 v21, v10
.LBB562_61:
	s_or_b64 exec, exec, s[0:1]
	v_or_b32_e32 v19, 1, v16
	v_cmp_gt_i32_e64 s[0:1], s30, v19
	s_and_saveexec_b64 s[2:3], s[0:1]
	s_cbranch_execz .LBB562_63
; %bb.62:
	v_add_u32_e32 v10, s31, v19
	v_ashrrev_i32_e32 v11, 31, v10
	v_mul_lo_u32 v12, v11, s34
	v_mul_lo_u32 v13, v10, s35
	v_mad_u64_u32 v[10:11], s[4:5], v10, s34, 0
	v_add3_u32 v11, v11, v13, v12
	v_lshl_add_u64 v[10:11], v[10:11], 2, s[10:11]
	global_load_dword v10, v[10:11], off
	s_waitcnt vmcnt(0)
	v_sub_f32_e32 v10, s16, v10
	v_exp_f32_e32 v17, v10
.LBB562_63:
	s_or_b64 exec, exec, s[2:3]
	v_or_b32_e32 v20, 2, v16
	v_cmp_gt_i32_e64 s[2:3], s30, v20
	v_mov_b32_e32 v18, 0
	v_mov_b32_e32 v23, 0
	s_and_saveexec_b64 s[4:5], s[2:3]
	s_cbranch_execz .LBB562_65
; %bb.64:
	v_add_u32_e32 v10, s31, v20
	v_ashrrev_i32_e32 v11, 31, v10
	v_mul_lo_u32 v12, v11, s34
	v_mul_lo_u32 v13, v10, s35
	v_mad_u64_u32 v[10:11], s[6:7], v10, s34, 0
	v_add3_u32 v11, v11, v13, v12
	v_lshl_add_u64 v[10:11], v[10:11], 2, s[10:11]
	global_load_dword v10, v[10:11], off
	s_waitcnt vmcnt(0)
	v_sub_f32_e32 v10, s16, v10
	v_exp_f32_e32 v23, v10
.LBB562_65:
	s_or_b64 exec, exec, s[4:5]
	v_or_b32_e32 v22, 3, v16
	v_cmp_gt_i32_e64 s[4:5], s30, v22
	s_and_saveexec_b64 s[6:7], s[4:5]
	s_cbranch_execz .LBB562_67
; %bb.66:
	v_add_u32_e32 v10, s31, v22
	v_ashrrev_i32_e32 v11, 31, v10
	v_mul_lo_u32 v12, v11, s34
	v_mul_lo_u32 v13, v10, s35
	v_mad_u64_u32 v[10:11], s[18:19], v10, s34, 0
	v_add3_u32 v11, v11, v13, v12
	v_lshl_add_u64 v[10:11], v[10:11], 2, s[10:11]
	global_load_dword v10, v[10:11], off
	s_waitcnt vmcnt(0)
	v_sub_f32_e32 v10, s16, v10
	v_exp_f32_e32 v18, v10
.LBB562_67:
	s_or_b64 exec, exec, s[6:7]
	s_waitcnt lgkmcnt(11)
	v_mfma_f32_16x16x16_bf16 a[0:3], v[38:39], v[30:31], a[0:3]
	s_add_u32 s6, s8, s24
	v_ashrrev_i32_e32 v47, 31, v46
	s_addc_u32 s7, s9, s25
	s_waitcnt lgkmcnt(10)
	v_mfma_f32_16x16x16_bf16 a[0:3], v[40:41], v[32:33], a[0:3]
	v_mov_b32_e32 v24, 0
	v_lshl_add_u64 v[14:15], v[46:47], 1, s[6:7]
	v_mov_b32_e32 v25, 0
	s_waitcnt lgkmcnt(9)
	v_mfma_f32_16x16x16_bf16 a[0:3], v[36:37], v[26:27], a[0:3]
	s_waitcnt lgkmcnt(8)
	v_mfma_f32_16x16x16_bf16 a[0:3], v[34:35], v[28:29], a[0:3]
	s_nop 6
	v_accvgpr_read_b32 v13, a3
	v_accvgpr_read_b32 v12, a2
	;; [unrolled: 1-line block ×4, first 2 shown]
	s_and_saveexec_b64 s[6:7], vcc
	s_cbranch_execz .LBB562_69
; %bb.68:
	v_lshlrev_b32_e32 v26, 8, v16
	v_mov_b32_e32 v27, 0
	v_lshl_add_u64 v[26:27], v[14:15], 0, v[26:27]
	global_load_ushort v25, v[26:27], off
	s_waitcnt vmcnt(0)
	v_lshlrev_b32_e32 v25, 16, v25
	v_sub_f32_e32 v10, v25, v10
	v_mul_f32_e32 v10, v21, v10
	v_lshrrev_b32_e32 v25, 16, v10
.LBB562_69:
	s_or_b64 exec, exec, s[6:7]
	s_and_saveexec_b64 s[6:7], s[0:1]
	s_cbranch_execz .LBB562_71
; %bb.70:
	v_lshlrev_b32_e32 v26, 8, v19
	v_mov_b32_e32 v27, 0
	v_lshl_add_u64 v[26:27], v[14:15], 0, v[26:27]
	global_load_ushort v10, v[26:27], off
	s_waitcnt vmcnt(0)
	v_lshlrev_b32_e32 v10, 16, v10
	v_sub_f32_e32 v10, v10, v11
	v_mul_f32_e32 v10, v17, v10
	v_lshrrev_b32_e32 v24, 16, v10
.LBB562_71:
	s_or_b64 exec, exec, s[6:7]
	v_mov_b32_e32 v11, 0
	v_mov_b32_e32 v17, 0
	s_and_saveexec_b64 s[0:1], s[2:3]
	s_cbranch_execz .LBB562_73
; %bb.72:
	v_lshlrev_b32_e32 v20, 8, v20
	v_mov_b32_e32 v21, 0
	v_lshl_add_u64 v[20:21], v[14:15], 0, v[20:21]
	global_load_ushort v10, v[20:21], off
	s_waitcnt vmcnt(0)
	v_lshlrev_b32_e32 v10, 16, v10
	v_sub_f32_e32 v10, v10, v12
	v_mul_f32_e32 v10, v23, v10
	v_lshrrev_b32_e32 v17, 16, v10
.LBB562_73:
	s_or_b64 exec, exec, s[0:1]
	v_or_b32_e32 v10, 0x9800, v50
	s_and_saveexec_b64 s[0:1], s[4:5]
	s_cbranch_execz .LBB562_75
; %bb.74:
	v_lshlrev_b32_e32 v20, 8, v22
	v_mov_b32_e32 v21, 0
	v_lshl_add_u64 v[14:15], v[14:15], 0, v[20:21]
	global_load_ushort v11, v[14:15], off
	s_waitcnt vmcnt(0)
	v_lshlrev_b32_e32 v11, 16, v11
	v_sub_f32_e32 v11, v11, v13
	v_mul_f32_e32 v11, v18, v11
	v_lshrrev_b32_e32 v11, 16, v11
.LBB562_75:
	s_or_b64 exec, exec, s[0:1]
	s_mov_b32 s0, 0x5040100
	v_perm_b32 v13, v11, v17, s0
	v_lshlrev_b32_e32 v11, 1, v48
	v_perm_b32 v12, v24, v25, s0
	v_lshl_or_b32 v11, v16, 5, v11
	s_movk_i32 s0, 0xff
	ds_write_b64 v11, v[12:13] offset:38912
	v_and_b32_e32 v11, 7, v0
	v_and_b32_e32 v12, 8, v0
	v_cmp_lt_u32_e32 vcc, s0, v0
	v_lshrrev_b32_e32 v0, 1, v0
	v_lshlrev_b32_e32 v22, 3, v1
	v_and_b32_e32 v23, 24, v0
	v_xor_b32_e32 v0, v22, v23
	v_cndmask_b32_e64 v13, 0, 1, vcc
	v_or_b32_e32 v1, 0x440, v0
	v_cmp_eq_u32_e32 vcc, 0, v12
	v_lshlrev_b32_e32 v20, 3, v11
	v_lshlrev_b32_e32 v11, 7, v11
	v_cndmask_b32_e32 v0, v1, v0, vcc
	v_or_b32_e32 v0, v0, v49
	v_lshlrev_b32_e32 v21, 13, v13
	v_xad_u32 v24, v0, v20, v11
	v_add_u32_e32 v0, v21, v24
	s_waitcnt lgkmcnt(0)
	s_barrier
	ds_read_b64 v[0:1], v0
	ds_read2st64_b64 v[12:15], v10 offset1:1
	ds_read2st64_b64 v[16:19], v10 offset0:2 offset1:3
	s_waitcnt lgkmcnt(1)
	v_mfma_f32_16x16x16_bf16 a[0:3], v[0:1], v[12:13], 0
	v_or_b32_e32 v0, 32, v23
	v_xor_b32_e32 v0, v22, v0
	v_or_b32_e32 v1, 0x440, v0
	v_cndmask_b32_e32 v0, v1, v0, vcc
	v_or_b32_e32 v0, v0, v49
	v_xad_u32 v25, v0, v20, v11
	v_add_u32_e32 v0, v21, v25
	ds_read_b64 v[0:1], v0
	v_or_b32_e32 v10, 0x60, v23
	s_waitcnt lgkmcnt(0)
	v_mfma_f32_16x16x16_bf16 a[0:3], v[0:1], v[14:15], a[0:3]
	v_or_b32_e32 v0, 64, v23
	v_xor_b32_e32 v0, v22, v0
	v_xor_b32_e32 v1, 0x440, v0
	v_cndmask_b32_e32 v0, v1, v0, vcc
	v_or_b32_e32 v0, v0, v49
	v_xad_u32 v26, v0, v20, v11
	v_xor_b32_e32 v10, v22, v10
	v_add_u32_e32 v0, v21, v26
	v_xor_b32_e32 v22, 0x440, v10
	ds_read_b64 v[0:1], v0
	v_cndmask_b32_e32 v10, v22, v10, vcc
	v_or_b32_e32 v10, v10, v49
	v_xad_u32 v22, v10, v20, v11
	v_add_u32_e32 v10, v21, v22
	ds_read_b64 v[10:11], v10
	s_waitcnt lgkmcnt(1)
	v_mfma_f32_16x16x16_bf16 a[0:3], v[0:1], v[16:17], a[0:3]
	ds_read_b64 v[0:1], v24 offset:8192
	ds_read_b64 v[20:21], v26 offset:8192
	v_exp_f32_e32 v23, s16
	s_waitcnt lgkmcnt(2)
	v_mfma_f32_16x16x16_bf16 a[0:3], v[10:11], v[18:19], a[0:3]
	ds_read_b64 v[10:11], v25 offset:8192
	s_waitcnt lgkmcnt(2)
	v_mfma_f32_16x16x16_bf16 a[4:7], v[0:1], v[12:13], 0
	ds_read_b64 v[12:13], v22 offset:8192
	s_nop 2
	v_accvgpr_read_b32 v0, a0
	v_accvgpr_read_b32 v1, a1
	s_waitcnt lgkmcnt(1)
	v_mfma_f32_16x16x16_bf16 a[4:7], v[10:11], v[14:15], a[4:7]
	v_fma_f32 v0, v2, v23, v0
	v_fma_f32 v1, v3, v23, v1
	v_accvgpr_read_b32 v2, a2
	v_mfma_f32_16x16x16_bf16 a[4:7], v[20:21], v[16:17], a[4:7]
	v_accvgpr_read_b32 v3, a3
	v_fma_f32 v2, v4, v23, v2
	v_fmac_f32_e32 v3, v5, v23
	s_waitcnt lgkmcnt(0)
	v_mfma_f32_16x16x16_bf16 a[0:3], v[12:13], v[18:19], a[4:7]
	s_nop 6
	v_accvgpr_read_b32 v4, a0
	v_accvgpr_read_b32 v5, a1
	v_fma_f32 v4, v6, v23, v4
	v_fma_f32 v5, v7, v23, v5
	v_accvgpr_read_b32 v6, a2
	v_accvgpr_read_b32 v7, a3
	v_fma_f32 v6, v8, v23, v6
	v_fmac_f32_e32 v7, v9, v23
	v_mov_b64_e32 v[8:9], v[6:7]
	v_mov_b64_e32 v[6:7], v[4:5]
	;; [unrolled: 1-line block ×4, first 2 shown]
.LBB562_76:
	s_add_u32 s0, s12, s14
	s_addc_u32 s1, s13, s15
	v_lshl_add_u64 v[0:1], v[42:43], 1, s[0:1]
	v_mov_b32_e32 v45, 0
	s_mov_b32 s0, 0x7060302
	v_lshl_add_u64 v[0:1], v[0:1], 0, v[44:45]
	v_perm_b32 v5, v5, v4, s0
	v_perm_b32 v4, v3, v2, s0
	;; [unrolled: 1-line block ×4, first 2 shown]
	global_store_dwordx2 v[0:1], v[4:5], off
	global_store_dwordx2 v[0:1], v[2:3], off offset:128
	s_endpgm
	.section	.rodata,"a",@progbits
	.p2align	6, 0x0
	.amdhsa_kernel _ZN12_GLOBAL__N_139chunk_gated_delta_rule_fwd_h_hip_kernelILi16ELb1ELb1ELb0ELb1ELb1ELb0ELb0ELb1EEEvPK12hip_bfloat16S3_S3_PKfS5_PKvPS1_S8_PvPKiSB_iiiiilll
		.amdhsa_group_segment_fixed_size 40960
		.amdhsa_private_segment_fixed_size 0
		.amdhsa_kernarg_size 136
		.amdhsa_user_sgpr_count 2
		.amdhsa_user_sgpr_dispatch_ptr 0
		.amdhsa_user_sgpr_queue_ptr 0
		.amdhsa_user_sgpr_kernarg_segment_ptr 1
		.amdhsa_user_sgpr_dispatch_id 0
		.amdhsa_user_sgpr_kernarg_preload_length 0
		.amdhsa_user_sgpr_kernarg_preload_offset 0
		.amdhsa_user_sgpr_private_segment_size 0
		.amdhsa_uses_dynamic_stack 0
		.amdhsa_enable_private_segment 0
		.amdhsa_system_sgpr_workgroup_id_x 1
		.amdhsa_system_sgpr_workgroup_id_y 1
		.amdhsa_system_sgpr_workgroup_id_z 0
		.amdhsa_system_sgpr_workgroup_info 0
		.amdhsa_system_vgpr_workitem_id 0
		.amdhsa_next_free_vgpr 116
		.amdhsa_next_free_sgpr 63
		.amdhsa_accum_offset 108
		.amdhsa_reserve_vcc 1
		.amdhsa_float_round_mode_32 0
		.amdhsa_float_round_mode_16_64 0
		.amdhsa_float_denorm_mode_32 3
		.amdhsa_float_denorm_mode_16_64 3
		.amdhsa_dx10_clamp 1
		.amdhsa_ieee_mode 1
		.amdhsa_fp16_overflow 0
		.amdhsa_tg_split 0
		.amdhsa_exception_fp_ieee_invalid_op 0
		.amdhsa_exception_fp_denorm_src 0
		.amdhsa_exception_fp_ieee_div_zero 0
		.amdhsa_exception_fp_ieee_overflow 0
		.amdhsa_exception_fp_ieee_underflow 0
		.amdhsa_exception_fp_ieee_inexact 0
		.amdhsa_exception_int_div_zero 0
	.end_amdhsa_kernel
	.section	.text._ZN12_GLOBAL__N_139chunk_gated_delta_rule_fwd_h_hip_kernelILi16ELb1ELb1ELb0ELb1ELb1ELb0ELb0ELb1EEEvPK12hip_bfloat16S3_S3_PKfS5_PKvPS1_S8_PvPKiSB_iiiiilll,"axG",@progbits,_ZN12_GLOBAL__N_139chunk_gated_delta_rule_fwd_h_hip_kernelILi16ELb1ELb1ELb0ELb1ELb1ELb0ELb0ELb1EEEvPK12hip_bfloat16S3_S3_PKfS5_PKvPS1_S8_PvPKiSB_iiiiilll,comdat
.Lfunc_end562:
	.size	_ZN12_GLOBAL__N_139chunk_gated_delta_rule_fwd_h_hip_kernelILi16ELb1ELb1ELb0ELb1ELb1ELb0ELb0ELb1EEEvPK12hip_bfloat16S3_S3_PKfS5_PKvPS1_S8_PvPKiSB_iiiiilll, .Lfunc_end562-_ZN12_GLOBAL__N_139chunk_gated_delta_rule_fwd_h_hip_kernelILi16ELb1ELb1ELb0ELb1ELb1ELb0ELb0ELb1EEEvPK12hip_bfloat16S3_S3_PKfS5_PKvPS1_S8_PvPKiSB_iiiiilll
                                        ; -- End function
	.section	.AMDGPU.csdata,"",@progbits
; Kernel info:
; codeLenInByte = 7664
; NumSgprs: 69
; NumVgprs: 108
; NumAgprs: 8
; TotalNumVgprs: 116
; ScratchSize: 0
; MemoryBound: 0
; FloatMode: 240
; IeeeMode: 1
; LDSByteSize: 40960 bytes/workgroup (compile time only)
; SGPRBlocks: 8
; VGPRBlocks: 14
; NumSGPRsForWavesPerEU: 69
; NumVGPRsForWavesPerEU: 116
; AccumOffset: 108
; Occupancy: 1
; WaveLimiterHint : 1
; COMPUTE_PGM_RSRC2:SCRATCH_EN: 0
; COMPUTE_PGM_RSRC2:USER_SGPR: 2
; COMPUTE_PGM_RSRC2:TRAP_HANDLER: 0
; COMPUTE_PGM_RSRC2:TGID_X_EN: 1
; COMPUTE_PGM_RSRC2:TGID_Y_EN: 1
; COMPUTE_PGM_RSRC2:TGID_Z_EN: 0
; COMPUTE_PGM_RSRC2:TIDIG_COMP_CNT: 0
; COMPUTE_PGM_RSRC3_GFX90A:ACCUM_OFFSET: 26
; COMPUTE_PGM_RSRC3_GFX90A:TG_SPLIT: 0
	.section	.text._ZN12_GLOBAL__N_139chunk_gated_delta_rule_fwd_h_hip_kernelILi16ELb1ELb0ELb1ELb1ELb1ELb0ELb0ELb1EEEvPK12hip_bfloat16S3_S3_PKfS5_PKvPS1_S8_PvPKiSB_iiiiilll,"axG",@progbits,_ZN12_GLOBAL__N_139chunk_gated_delta_rule_fwd_h_hip_kernelILi16ELb1ELb0ELb1ELb1ELb1ELb0ELb0ELb1EEEvPK12hip_bfloat16S3_S3_PKfS5_PKvPS1_S8_PvPKiSB_iiiiilll,comdat
	.globl	_ZN12_GLOBAL__N_139chunk_gated_delta_rule_fwd_h_hip_kernelILi16ELb1ELb0ELb1ELb1ELb1ELb0ELb0ELb1EEEvPK12hip_bfloat16S3_S3_PKfS5_PKvPS1_S8_PvPKiSB_iiiiilll ; -- Begin function _ZN12_GLOBAL__N_139chunk_gated_delta_rule_fwd_h_hip_kernelILi16ELb1ELb0ELb1ELb1ELb1ELb0ELb0ELb1EEEvPK12hip_bfloat16S3_S3_PKfS5_PKvPS1_S8_PvPKiSB_iiiiilll
	.p2align	8
	.type	_ZN12_GLOBAL__N_139chunk_gated_delta_rule_fwd_h_hip_kernelILi16ELb1ELb0ELb1ELb1ELb1ELb0ELb0ELb1EEEvPK12hip_bfloat16S3_S3_PKfS5_PKvPS1_S8_PvPKiSB_iiiiilll,@function
_ZN12_GLOBAL__N_139chunk_gated_delta_rule_fwd_h_hip_kernelILi16ELb1ELb0ELb1ELb1ELb1ELb0ELb0ELb1EEEvPK12hip_bfloat16S3_S3_PKfS5_PKvPS1_S8_PvPKiSB_iiiiilll: ; @_ZN12_GLOBAL__N_139chunk_gated_delta_rule_fwd_h_hip_kernelILi16ELb1ELb0ELb1ELb1ELb1ELb0ELb0ELb1EEEvPK12hip_bfloat16S3_S3_PKfS5_PKvPS1_S8_PvPKiSB_iiiiilll
; %bb.0:
	s_load_dwordx4 s[12:15], s[0:1], 0x5c
	s_load_dwordx4 s[4:7], s[0:1], 0x48
	s_abs_i32 s9, s3
	s_ashr_i32 s8, s3, 31
	v_and_b32_e32 v45, 15, v0
	s_waitcnt lgkmcnt(0)
	s_abs_i32 s10, s13
	v_cvt_f32_u32_e32 v1, s10
	s_sub_i32 s16, 0, s10
	s_ashr_i32 s11, s13, 31
	s_xor_b32 s8, s8, s11
	v_rcp_iflag_f32_e32 v1, v1
	v_lshrrev_b32_e32 v43, 6, v0
	v_bfe_u32 v44, v0, 4, 2
	v_mov_b32_e32 v5, 0
	v_mul_f32_e32 v1, 0x4f7ffffe, v1
	v_cvt_u32_f32_e32 v1, v1
	v_and_b32_e32 v42, 63, v0
	v_lshlrev_b32_e32 v46, 3, v0
	v_lshrrev_b32_e32 v47, 3, v42
	v_readfirstlane_b32 s17, v1
	s_mul_i32 s16, s16, s17
	s_mul_hi_u32 s16, s17, s16
	s_add_i32 s17, s17, s16
	s_mul_hi_u32 s16, s9, s17
	s_mul_i32 s17, s16, s10
	s_sub_i32 s9, s9, s17
	s_add_i32 s18, s16, 1
	s_sub_i32 s17, s9, s10
	s_cmp_ge_u32 s9, s10
	s_cselect_b32 s16, s18, s16
	s_cselect_b32 s9, s17, s9
	s_add_i32 s17, s16, 1
	s_cmp_ge_u32 s9, s10
	s_cselect_b32 s9, s17, s16
	s_xor_b32 s9, s9, s8
	s_sub_i32 s20, s9, s8
	s_mul_i32 s24, s20, s13
	s_ashr_i32 s21, s20, 31
	s_sub_i32 s47, s3, s24
	s_lshl_b64 s[8:9], s[20:21], 2
	s_add_u32 s4, s4, s8
	s_addc_u32 s5, s5, s9
	s_add_u32 s22, s6, s8
	s_addc_u32 s23, s7, s9
	s_abs_i32 s3, s14
	v_cvt_f32_u32_e32 v1, s3
	s_load_dwordx2 s[34:35], s[4:5], 0x0
	s_sub_i32 s5, 0, s3
	s_lshl_b32 s2, s2, 4
	v_rcp_iflag_f32_e32 v1, v1
	s_load_dwordx4 s[16:19], s[0:1], 0x28
	s_load_dwordx2 s[28:29], s[0:1], 0x38
	s_waitcnt lgkmcnt(0)
	s_sub_i32 s50, s35, s34
	s_ashr_i32 s4, s50, 31
	v_mul_f32_e32 v1, 0x4f7ffffe, v1
	v_cvt_u32_f32_e32 v1, v1
	s_lshr_b32 s4, s4, 26
	s_add_i32 s4, s50, s4
	s_ashr_i32 s48, s4, 6
	v_readfirstlane_b32 s6, v1
	s_mul_i32 s5, s5, s6
	s_mul_hi_u32 s5, s6, s5
	s_add_i32 s6, s6, s5
	s_mul_hi_u32 s5, s10, s6
	s_mul_i32 s6, s5, s3
	s_ashr_i32 s4, s14, 31
	s_sub_i32 s6, s10, s6
	s_xor_b32 s4, s11, s4
	s_add_i32 s7, s5, 1
	s_sub_i32 s8, s6, s3
	s_cmp_ge_u32 s6, s3
	s_cselect_b32 s5, s7, s5
	s_cselect_b32 s6, s8, s6
	s_add_i32 s7, s5, 1
	s_cmp_ge_u32 s6, s3
	s_cselect_b32 s3, s7, s5
	s_xor_b32 s3, s3, s4
	s_sub_i32 s3, s3, s4
	s_abs_i32 s4, s3
	v_cvt_f32_u32_e32 v1, s4
	s_sub_i32 s6, 0, s4
	s_abs_i32 s5, s47
	s_xor_b32 s3, s47, s3
	v_rcp_iflag_f32_e32 v1, v1
	s_ashr_i32 s3, s3, 31
	v_or_b32_e32 v34, s2, v45
	v_lshlrev_b32_e32 v2, 7, v34
	v_mul_f32_e32 v1, 0x4f7ffffe, v1
	v_cvt_u32_f32_e32 v1, v1
	v_ashrrev_i32_e32 v3, 31, v2
	s_mul_hi_i32 s52, s47, s12
	s_mul_i32 s53, s47, s12
	v_readfirstlane_b32 s7, v1
	s_mul_i32 s6, s6, s7
	s_mul_hi_u32 s6, s7, s6
	s_add_i32 s7, s7, s6
	s_mul_hi_u32 s6, s5, s7
	s_mul_i32 s7, s6, s4
	s_sub_i32 s5, s5, s7
	s_add_i32 s7, s6, 1
	s_sub_i32 s8, s5, s4
	s_cmp_ge_u32 s5, s4
	s_cselect_b32 s6, s7, s6
	s_cselect_b32 s5, s8, s5
	s_add_i32 s7, s6, 1
	s_cmp_ge_u32 s5, s4
	s_cselect_b32 s4, s7, s6
	s_xor_b32 s4, s4, s3
	s_sub_i32 s51, s4, s3
	s_ashr_i32 s49, s47, 31
	s_mul_hi_i32 s3, s20, s13
	s_add_u32 s4, s24, s47
	s_addc_u32 s5, s3, s49
	s_lshl_b64 s[4:5], s[4:5], 15
	v_lshlrev_b32_e32 v1, 4, v43
	s_add_u32 s4, s16, s4
	v_lshl_or_b32 v48, v44, 2, v1
	s_addc_u32 s5, s17, s5
	v_lshl_add_u64 v[2:3], v[2:3], 1, s[4:5]
	v_lshlrev_b32_e32 v4, 1, v48
	v_lshl_add_u64 v[2:3], v[2:3], 0, v[4:5]
	global_load_dwordx2 v[4:5], v[2:3], off
	global_load_dwordx2 v[6:7], v[2:3], off offset:128
	s_load_dwordx8 s[4:11], s[0:1], 0x0
	s_load_dwordx2 s[30:31], s[0:1], 0x80
	s_load_dwordx4 s[24:27], s[0:1], 0x70
	s_load_dword s54, s[22:23], 0x0
	v_or_b32_e32 v49, 64, v48
	s_cmp_lt_i32 s50, 64
	s_waitcnt lgkmcnt(0)
	s_mul_i32 s33, s20, s25
	s_mul_hi_u32 s42, s20, s24
	s_mul_i32 s38, s20, s24
	s_mul_i32 s43, s21, s24
	;; [unrolled: 1-line block ×3, first 2 shown]
	s_mul_hi_u32 s45, s47, s26
	s_mul_i32 s46, s49, s26
	s_mul_i32 s36, s47, s26
	s_waitcnt vmcnt(1)
	v_and_b32_e32 v50, 0xffff0000, v4
	v_lshlrev_b32_e32 v52, 16, v4
	v_and_b32_e32 v56, 0xffff0000, v5
	v_lshlrev_b32_e32 v54, 16, v5
	s_waitcnt vmcnt(0)
	v_and_b32_e32 v51, 0xffff0000, v6
	v_lshlrev_b32_e32 v53, 16, v6
	v_and_b32_e32 v57, 0xffff0000, v7
	v_lshlrev_b32_e32 v55, 16, v7
	s_cbranch_scc1 .LBB563_3
; %bb.1:
	s_ashr_i32 s1, s34, 31
	s_add_u32 s0, s53, s34
	s_addc_u32 s1, s52, s1
	s_lshl_b64 s[0:1], s[0:1], 8
	v_and_b32_e32 v59, 56, v46
	s_add_u32 s20, s6, s0
	v_lshl_or_b32 v58, v43, 3, v47
	v_lshlrev_b32_e32 v2, 1, v59
	s_addc_u32 s0, s7, s1
	v_lshl_or_b32 v60, v58, 8, v2
	s_and_b32 s21, s0, 0xffff
	s_mov_b32 s23, 0x20000
	s_movk_i32 s22, 0x4000
	s_movk_i32 s0, 0x80
	v_or_b32_e32 v61, 0x2000, v60
	buffer_load_dwordx4 v[4:7], v60, s[20:23], 0 offen
	buffer_load_dwordx4 v[8:11], v60, s[20:23], s0 offen
	;; [unrolled: 1-line block ×4, first 2 shown]
	v_lshlrev_b32_e32 v3, 3, v58
	v_and_or_b32 v21, v0, 7, v3
	v_and_b32_e32 v3, 0x78, v3
	v_lshlrev_b32_e32 v21, 4, v21
	v_xor_b32_e32 v62, v21, v3
	v_mul_lo_u32 v20, v58, s15
	v_or_b32_e32 v63, 0x1000, v62
	v_xor_b32_e32 v3, 8, v62
	s_cmpk_eq_i32 s15, 0x80
	s_mov_b32 s55, s34
	v_xor_b32_e32 v21, 8, v63
	s_cselect_b64 s[0:1], -1, 0
	s_cmpk_lg_i32 s15, 0x80
	s_waitcnt vmcnt(3)
	ds_write_b64 v62, v[4:5] offset:16384
	ds_write_b64 v3, v[6:7] offset:16384
	s_waitcnt vmcnt(2)
	ds_write_b64 v62, v[8:9] offset:24576
	ds_write_b64 v3, v[10:11] offset:24576
	;; [unrolled: 3-line block ×4, first 2 shown]
	v_lshl_add_u32 v3, v20, 1, v59
	s_cbranch_scc0 .LBB563_29
; %bb.2:
	v_lshlrev_b32_e32 v5, 1, v3
	v_add_lshl_u32 v4, v3, s15, 1
	s_lshl_b32 s22, s15, 7
	v_lshl_or_b32 v2, v58, 9, v2
	s_cbranch_execz .LBB563_30
	s_branch .LBB563_31
.LBB563_3:
	v_mov_b32_e32 v2, v57
	v_mov_b32_e32 v3, v56
.LBB563_4:
	s_lshl_b32 s26, s48, 6
	s_sub_i32 s27, s50, s26
	s_cmp_gt_i32 s27, 0
	s_cbranch_scc0 .LBB563_76
; %bb.5:
	s_add_i32 s26, s26, s34
	s_ashr_i32 s3, s26, 31
	s_cmpk_lg_i32 s15, 0x80
	s_cselect_b64 s[22:23], -1, 0
	s_and_b64 vcc, exec, s[22:23]
	s_cbranch_vccz .LBB563_7
; %bb.6:
	s_mul_hi_i32 s0, s26, s14
	s_mul_i32 s1, s26, s14
	s_ashr_i32 s14, s51, 31
	s_add_u32 s24, s1, s51
	s_addc_u32 s25, s0, s14
	s_cbranch_execz .LBB563_8
	s_branch .LBB563_9
.LBB563_7:
                                        ; implicit-def: $sgpr24_sgpr25
.LBB563_8:
	s_mul_i32 s1, s51, s12
	s_mul_hi_i32 s0, s51, s12
	s_add_u32 s24, s1, s26
	s_addc_u32 s25, s0, s3
.LBB563_9:
	s_add_i32 s12, s48, s54
	s_add_u32 s0, s53, s26
	s_addc_u32 s1, s52, s3
	s_mov_b32 s3, 0x7060302
	v_lshlrev_b32_e32 v6, 3, v45
	v_perm_b32 v5, v3, v54, s3
	v_perm_b32 v4, v50, v52, s3
	;; [unrolled: 1-line block ×4, first 2 shown]
	v_lshlrev_b32_e32 v36, 2, v45
	v_lshl_or_b32 v6, v48, 5, v6
	s_lshl_b64 s[20:21], s[0:1], 8
	ds_write2st64_b64 v6, v[4:5], v[2:3] offset0:72 offset1:76
	v_xor_b32_e32 v6, v48, v36
	v_lshlrev_b32_e32 v7, 8, v45
	s_add_u32 s0, s6, s20
	v_lshl_or_b32 v6, v6, 1, v7
	s_addc_u32 s1, s7, s21
	ds_write_b64 v6, v[4:5] offset:32768
	v_xor_b32_e32 v4, v49, v36
	s_mul_hi_i32 s3, s12, s13
	s_mul_i32 s12, s12, s13
	v_lshl_or_b32 v4, v4, 1, v7
	s_add_u32 s6, s12, s47
	ds_write_b64 v4, v[2:3] offset:32768
	s_addc_u32 s7, s3, s49
	v_lshlrev_b32_e32 v3, 1, v45
	v_lshrrev_b32_e32 v2, 4, v0
	s_ashr_i32 s3, s2, 31
	s_lshl_b64 s[6:7], s[6:7], 15
	v_or_b32_e32 v4, 1, v3
	s_add_u32 s6, s18, s6
	v_xor_b32_e32 v3, v2, v3
	v_xor_b32_e32 v4, v4, v2
	v_lshlrev_b32_e32 v6, 8, v2
	s_addc_u32 s7, s19, s7
	s_lshl_b64 s[2:3], s[2:3], 8
	v_lshl_or_b32 v2, v3, 3, v6
	v_lshl_or_b32 v4, v4, 3, v6
	s_waitcnt lgkmcnt(0)
	s_barrier
	s_add_u32 s2, s6, s2
	ds_read_b64 v[2:3], v2 offset:32768
	ds_read_b64 v[4:5], v4 offset:32768
	s_addc_u32 s3, s7, s3
	v_mov_b32_e32 v7, 0
	s_cmp_lg_u32 s27, 64
	v_lshl_add_u64 v[8:9], s[2:3], 0, v[6:7]
	v_lshlrev_b32_e32 v6, 4, v45
	s_cselect_b64 s[6:7], -1, 0
	v_lshl_or_b32 v35, v43, 3, v47
	s_mov_b32 s16, 0
	v_lshl_add_u64 v[6:7], v[8:9], 0, v[6:7]
	s_waitcnt vmcnt(1)
	v_or_b32_e32 v19, 32, v35
	v_and_b32_e32 v18, 56, v46
	s_and_b64 vcc, exec, s[6:7]
	s_waitcnt lgkmcnt(0)
	global_store_dwordx4 v[6:7], v[2:5], off
	s_cbranch_vccz .LBB563_15
; %bb.10:
	s_mov_b32 s17, s16
	s_mov_b32 s18, s16
	;; [unrolled: 1-line block ×3, first 2 shown]
	v_mov_b64_e32 v[6:7], s[16:17]
	v_mov_b64_e32 v[8:9], s[18:19]
	;; [unrolled: 1-line block ×3, first 2 shown]
	v_cmp_gt_i32_e32 vcc, s27, v35
	v_mov_b64_e32 v[4:5], v[8:9]
	s_and_saveexec_b64 s[2:3], vcc
	s_cbranch_execz .LBB563_12
; %bb.11:
	v_lshlrev_b32_e32 v2, 8, v35
	v_mov_b32_e32 v3, 0
	v_lshl_add_u64 v[4:5], s[0:1], 0, v[2:3]
	v_lshlrev_b32_e32 v2, 1, v18
	v_lshl_add_u64 v[10:11], v[4:5], 0, v[2:3]
	global_load_dwordx4 v[6:9], v[10:11], off
	global_load_dwordx4 v[2:5], v[10:11], off offset:128
.LBB563_12:
	s_or_b64 exec, exec, s[2:3]
	s_mov_b32 s17, s16
	s_mov_b32 s18, s16
	;; [unrolled: 1-line block ×3, first 2 shown]
	v_mov_b64_e32 v[14:15], s[16:17]
	v_mov_b64_e32 v[16:17], s[18:19]
	;; [unrolled: 1-line block ×3, first 2 shown]
	v_cmp_gt_i32_e32 vcc, s27, v19
	v_lshlrev_b32_e32 v20, 7, v19
	v_mov_b64_e32 v[12:13], v[16:17]
	s_and_saveexec_b64 s[2:3], vcc
	s_cbranch_execz .LBB563_14
; %bb.13:
	v_lshlrev_b32_e32 v10, 1, v20
	v_mov_b32_e32 v11, 0
	v_lshl_add_u64 v[12:13], s[0:1], 0, v[10:11]
	v_lshlrev_b32_e32 v10, 1, v18
	v_lshl_add_u64 v[22:23], v[12:13], 0, v[10:11]
	global_load_dwordx4 v[14:17], v[22:23], off
	global_load_dwordx4 v[10:13], v[22:23], off offset:128
.LBB563_14:
	s_or_b64 exec, exec, s[2:3]
	v_lshrrev_b32_e32 v21, 3, v18
	v_lshlrev_b32_e32 v22, 3, v35
	v_or_b32_e32 v21, v22, v21
	v_lshlrev_b32_e32 v21, 4, v21
	v_and_b32_e32 v22, 0x78, v22
	v_xor_b32_e32 v21, v21, v22
	s_branch .LBB563_17
.LBB563_15:
                                        ; implicit-def: $vgpr21
                                        ; implicit-def: $vgpr20
                                        ; implicit-def: $vgpr6_vgpr7_vgpr8_vgpr9
                                        ; implicit-def: $vgpr2_vgpr3_vgpr4_vgpr5
                                        ; implicit-def: $vgpr14_vgpr15_vgpr16_vgpr17
                                        ; implicit-def: $vgpr10_vgpr11_vgpr12_vgpr13
	s_cbranch_execz .LBB563_17
; %bb.16:
	s_waitcnt vmcnt(0)
	v_lshlrev_b32_e32 v2, 1, v18
	v_lshl_or_b32 v20, v35, 8, v2
	s_and_b32 s1, s1, 0xffff
	s_mov_b32 s3, 0x20000
	s_movk_i32 s2, 0x4000
	v_lshl_or_b32 v21, v19, 8, v2
	s_movk_i32 s12, 0x80
	buffer_load_dwordx4 v[6:9], v20, s[0:3], 0 offen
	buffer_load_dwordx4 v[2:5], v20, s[0:3], s12 offen
	;; [unrolled: 1-line block ×4, first 2 shown]
	v_lshrrev_b32_e32 v20, 3, v18
	v_lshlrev_b32_e32 v21, 3, v35
	v_or_b32_e32 v20, v21, v20
	v_lshlrev_b32_e32 v20, 4, v20
	v_and_b32_e32 v21, 0x78, v21
	v_xor_b32_e32 v21, v20, v21
	v_lshlrev_b32_e32 v20, 7, v19
.LBB563_17:
	s_lshl_b64 s[0:1], s[24:25], 8
	s_add_u32 s4, s4, s0
	s_movk_i32 s0, 0x1000
	v_and_or_b32 v19, v20, s0, v21
	s_waitcnt vmcnt(1)
	ds_write_b64 v21, v[6:7] offset:16384
	v_xor_b32_e32 v6, 8, v21
	ds_write_b64 v6, v[8:9] offset:16384
	s_waitcnt vmcnt(0)
	ds_write_b64 v21, v[2:3] offset:24576
	ds_write_b64 v6, v[4:5] offset:24576
	;; [unrolled: 1-line block ×3, first 2 shown]
	v_xor_b32_e32 v2, 8, v19
	ds_write_b64 v2, v[16:17] offset:16384
	ds_write_b64 v19, v[10:11] offset:24576
	;; [unrolled: 1-line block ×3, first 2 shown]
	v_or_b32_e32 v2, v1, v45
	v_lshlrev_b32_e32 v2, 3, v2
	v_lshrrev_b32_e32 v4, 5, v42
	s_movk_i32 s12, 0xf8
	v_and_or_b32 v4, v2, s12, v4
	v_lshlrev_b32_e32 v3, 11, v43
	v_lshlrev_b32_e32 v12, 4, v4
	v_and_b32_e32 v13, 0x78, v2
	v_and_b32_e32 v14, 0x1000, v3
	v_lshlrev_b32_e32 v3, 2, v0
	v_xor_b32_e32 v2, v12, v13
	v_lshrrev_b32_e32 v4, 1, v42
	v_and_b32_e32 v3, 60, v3
	v_or_b32_e32 v2, v2, v14
	v_and_b32_e32 v15, 8, v4
	v_xor_b32_e32 v26, v2, v15
	v_lshl_or_b32 v2, v44, 6, v3
	v_lshlrev_b32_e32 v19, 1, v2
	v_or_b32_e32 v2, 32, v12
	v_xor_b32_e32 v2, v2, v13
	s_waitcnt lgkmcnt(0)
	s_barrier
	ds_read_b64 v[10:11], v26 offset:16384
	v_or_b32_e32 v2, v2, v14
	v_xor_b32_e32 v27, v2, v15
	v_or_b32_e32 v2, 64, v12
	v_xor_b32_e32 v2, v2, v13
	v_or_b32_e32 v2, v2, v14
	v_or_b32_e32 v12, 0x60, v12
	v_xor_b32_e32 v28, v2, v15
	ds_read2st64_b64 v[2:5], v19 offset0:72 offset1:73
	ds_read2st64_b64 v[6:9], v19 offset0:74 offset1:75
	v_xor_b32_e32 v16, v12, v13
	ds_read_b64 v[12:13], v27 offset:16384
	s_addc_u32 s5, s5, s1
	s_add_i32 s1, s42, s33
	s_waitcnt lgkmcnt(2)
	v_mfma_f32_16x16x16_bf16 a[0:3], v[10:11], v[2:3], 0
	s_add_i32 s0, s35, -1
	s_add_i32 s39, s1, s43
	s_add_i32 s1, s45, s44
	s_add_i32 s37, s1, s46
	s_ashr_i32 s1, s0, 31
	s_mul_i32 s2, s0, s31
	s_mul_hi_u32 s3, s0, s30
	s_add_i32 s2, s3, s2
	s_mul_i32 s1, s1, s30
	v_or_b32_e32 v14, v16, v14
	s_add_i32 s1, s2, s1
	s_lshl_b64 s[2:3], s[38:39], 2
	v_xor_b32_e32 v37, v14, v15
	ds_read_b64 v[14:15], v28 offset:16384
	ds_read_b64 v[16:17], v37 offset:16384
	s_waitcnt lgkmcnt(2)
	v_mfma_f32_16x16x16_bf16 a[0:3], v[12:13], v[4:5], a[0:3]
	s_add_u32 s10, s10, s2
	s_addc_u32 s11, s11, s3
	s_lshl_b64 s[2:3], s[36:37], 2
	s_mul_i32 s0, s0, s30
	s_add_u32 s10, s10, s2
	s_addc_u32 s11, s11, s3
	s_lshl_b64 s[0:1], s[0:1], 2
	s_waitcnt lgkmcnt(1)
	v_mfma_f32_16x16x16_bf16 a[0:3], v[14:15], v[6:7], a[0:3]
	s_add_u32 s0, s10, s0
	s_addc_u32 s1, s11, s1
	s_load_dword s12, s[0:1], 0x0
	s_waitcnt lgkmcnt(0)
	v_mfma_f32_16x16x16_bf16 a[0:3], v[16:17], v[8:9], a[0:3]
	s_and_b64 vcc, exec, s[22:23]
	s_cbranch_vccz .LBB563_28
; %bb.18:
	v_lshlrev_b32_e32 v20, 1, v35
	s_and_b64 vcc, exec, s[6:7]
	s_cbranch_vccz .LBB563_44
; %bb.19:
	v_cmp_gt_i32_e32 vcc, s27, v20
	v_mov_b32_e32 v6, 0
	v_mov_b32_e32 v2, 0
	;; [unrolled: 1-line block ×5, first 2 shown]
	s_and_saveexec_b64 s[0:1], vcc
	s_cbranch_execz .LBB563_21
; %bb.20:
	v_mad_i64_i32 v[2:3], s[2:3], s15, v20, 0
	v_lshl_add_u64 v[2:3], v[2:3], 1, s[4:5]
	v_lshlrev_b32_e32 v4, 1, v18
	v_mov_b32_e32 v5, 0
	v_lshl_add_u64 v[2:3], v[2:3], 0, v[4:5]
	global_load_dwordx4 v[2:5], v[2:3], off
.LBB563_21:
	s_or_b64 exec, exec, s[0:1]
	v_or_b32_e32 v21, 1, v20
	v_cmp_gt_i32_e64 s[0:1], s27, v21
	v_mov_b32_e32 v7, 0
	v_mov_b32_e32 v8, 0
	;; [unrolled: 1-line block ×3, first 2 shown]
	s_and_saveexec_b64 s[2:3], s[0:1]
	s_cbranch_execz .LBB563_23
; %bb.22:
	v_mad_i64_i32 v[6:7], s[16:17], s15, v21, 0
	v_lshl_add_u64 v[6:7], v[6:7], 1, s[4:5]
	v_lshlrev_b32_e32 v8, 1, v18
	v_mov_b32_e32 v9, 0
	v_lshl_add_u64 v[6:7], v[6:7], 0, v[8:9]
	global_load_dwordx4 v[6:9], v[6:7], off
.LBB563_23:
	s_or_b64 exec, exec, s[2:3]
	v_mov_b32_e32 v17, 0
	v_mov_b32_e32 v10, 0
	;; [unrolled: 1-line block ×5, first 2 shown]
	s_and_saveexec_b64 s[2:3], vcc
	s_cbranch_execz .LBB563_25
; %bb.24:
	v_mad_i64_i32 v[10:11], s[16:17], s15, v20, 0
	v_lshl_add_u64 v[10:11], v[10:11], 1, s[4:5]
	v_lshlrev_b32_e32 v12, 1, v18
	v_mov_b32_e32 v13, 0
	v_lshl_add_u64 v[10:11], v[10:11], 0, v[12:13]
	global_load_dwordx4 v[10:13], v[10:11], off offset:128
.LBB563_25:
	s_or_b64 exec, exec, s[2:3]
	v_mov_b32_e32 v16, 0
	v_mov_b32_e32 v15, 0
	;; [unrolled: 1-line block ×3, first 2 shown]
	s_and_saveexec_b64 s[2:3], s[0:1]
	s_cbranch_execz .LBB563_27
; %bb.26:
	v_mad_i64_i32 v[14:15], s[0:1], s15, v21, 0
	v_lshl_add_u64 v[14:15], v[14:15], 1, s[4:5]
	v_lshlrev_b32_e32 v16, 1, v18
	v_mov_b32_e32 v17, 0
	v_lshl_add_u64 v[14:15], v[14:15], 0, v[16:17]
	global_load_dwordx4 v[14:17], v[14:15], off offset:128
.LBB563_27:
	s_or_b64 exec, exec, s[2:3]
	s_branch .LBB563_46
.LBB563_28:
                                        ; implicit-def: $vgpr5
                                        ; implicit-def: $vgpr9
                                        ; implicit-def: $vgpr13
                                        ; implicit-def: $vgpr17
	v_lshrrev_b32_e32 v38, 2, v42
	s_branch .LBB563_47
.LBB563_29:
                                        ; implicit-def: $vgpr4
                                        ; implicit-def: $vgpr5
                                        ; implicit-def: $sgpr22
	v_lshl_or_b32 v2, v58, 9, v2
.LBB563_30:
	v_or_b32_e32 v4, 0x100, v2
	s_movk_i32 s22, 0x4000
	v_mov_b32_e32 v5, v2
.LBB563_31:
	s_mul_i32 s16, s34, s14
	s_ashr_i32 s56, s51, 31
	s_mul_hi_i32 s3, s34, s14
	s_add_u32 s16, s16, s51
	s_addc_u32 s17, s3, s56
	s_lshl_b64 s[16:17], s[16:17], 8
	s_add_u32 s20, s4, s16
	s_addc_u32 s3, s5, s17
	s_and_b32 s21, s3, 0xffff
	s_movk_i32 s57, 0x80
	buffer_load_dwordx4 v[6:9], v5, s[20:23], 0 offen
	buffer_load_dwordx4 v[10:13], v5, s[20:23], s57 offen
	;; [unrolled: 1-line block ×4, first 2 shown]
	v_and_b32_e32 v4, 6, v0
	v_lshlrev_b32_e32 v22, 2, v45
	v_lshlrev_b32_e32 v23, 3, v45
	v_xor_b32_e32 v26, v58, v4
	v_and_b32_e32 v5, 1, v0
	v_lshl_or_b32 v23, v48, 5, v23
	v_xor_b32_e32 v27, v48, v22
	v_lshlrev_b32_e32 v26, 2, v26
	v_or_b32_e32 v64, 0x9000, v23
	v_or_b32_e32 v65, 0x9800, v23
	v_lshlrev_b32_e32 v23, 1, v27
	v_xor_b32_e32 v27, 0x440, v26
	v_cmp_eq_u32_e32 vcc, 0, v5
	s_add_i32 s3, s42, s33
	s_add_i32 s16, s45, s44
	v_cndmask_b32_e32 v5, v27, v26, vcc
	s_add_i32 s39, s3, s43
	v_lshl_or_b32 v4, v4, 10, v5
	s_add_i32 s37, s16, s46
	s_lshl_b64 s[16:17], s[38:39], 2
	s_mov_b32 s58, 0x1000504
	v_lshlrev_b32_e32 v24, 8, v45
	s_mov_b32 s22, 0x8000
	v_xor_b32_e32 v22, v49, v22
	v_xor_b32_e32 v5, 8, v4
	s_add_u32 s3, s10, s16
	s_mov_b32 s59, 0x3020706
	v_or_b32_e32 v25, v1, v45
	v_lshlrev_b32_e32 v22, 1, v22
	v_or3_b32 v66, v23, v24, s22
	v_xor_b32_e32 v23, 24, v4
	v_xor_b32_e32 v26, 40, v4
	;; [unrolled: 1-line block ×3, first 2 shown]
	v_add_u32_e32 v5, 0x80, v5
	s_addc_u32 s20, s11, s17
	s_lshl_b64 s[16:17], s[36:37], 2
	v_lshlrev_b32_e32 v25, 3, v25
	v_or3_b32 v67, v22, v24, s22
	v_xor_b32_e32 v22, 16, v4
	v_xor_b32_e32 v24, 32, v4
	;; [unrolled: 1-line block ×3, first 2 shown]
	v_add_u32_e32 v23, 0x80, v23
	v_add_u32_e32 v26, 0x80, v26
	;; [unrolled: 1-line block ×3, first 2 shown]
	s_add_u32 s16, s3, s16
	s_movk_i32 s3, 0xf8
	s_addc_u32 s17, s20, s17
	v_ashrrev_i32_e32 v35, 31, v34
	s_lshl_b32 s26, s15, 7
	s_mov_b32 s60, 0
	s_waitcnt vmcnt(1)
	v_perm_b32 v29, v6, v14, s58
	s_waitcnt vmcnt(0)
	v_perm_b32 v30, v10, v18, s58
	v_perm_b32 v6, v6, v14, s59
	;; [unrolled: 1-line block ×15, first 2 shown]
	ds_write2st64_b32 v4, v29, v30 offset1:32
	ds_write2st64_b32 v5, v6, v10 offset1:32
	ds_write2st64_b32 v22, v14, v18 offset0:1 offset1:33
	ds_write2st64_b32 v23, v7, v11 offset0:1 offset1:33
	;; [unrolled: 1-line block ×6, first 2 shown]
	v_lshrrev_b32_e32 v5, 5, v42
	v_and_or_b32 v5, v25, s3, v5
	v_lshlrev_b32_e32 v5, 4, v5
	v_lshlrev_b32_e32 v12, 11, v43
	v_and_b32_e32 v6, 0x78, v25
	v_or_b32_e32 v9, 32, v5
	v_and_b32_e32 v4, 0x1000, v12
	v_lshrrev_b32_e32 v13, 1, v0
	v_xor_b32_e32 v9, v9, v6
	v_and_b32_e32 v8, 8, v13
	v_or_b32_e32 v9, v9, v4
	v_xor_b32_e32 v7, v5, v6
	v_xor_b32_e32 v70, v9, v8
	v_or_b32_e32 v9, 64, v5
	v_or_b32_e32 v5, 0x60, v5
	v_xor_b32_e32 v9, v9, v6
	v_xor_b32_e32 v5, v5, v6
	v_or_b32_e32 v7, v7, v4
	v_or_b32_e32 v9, v9, v4
	;; [unrolled: 1-line block ×3, first 2 shown]
	v_xor_b32_e32 v68, v7, v8
	v_xor_b32_e32 v71, v9, v8
	;; [unrolled: 1-line block ×3, first 2 shown]
	v_lshrrev_b32_e32 v8, 4, v0
	v_lshlrev_b32_e32 v9, 1, v45
	s_ashr_i32 s3, s2, 31
	v_or_b32_e32 v10, 1, v9
	v_xor_b32_e32 v9, v8, v9
	s_lshl_b64 s[20:21], s[2:3], 8
	v_xor_b32_e32 v10, v10, v8
	v_lshlrev_b32_e32 v9, 3, v9
	v_lshlrev_b32_e32 v8, 8, v8
	v_lshlrev_b64 v[4:5], 1, v[34:35]
	s_add_u32 s20, s18, s20
	v_or3_b32 v35, v9, v8, s22
	v_lshlrev_b32_e32 v9, 3, v10
	s_addc_u32 s21, s19, s21
	v_or3_b32 v74, v9, v8, s22
	v_mov_b32_e32 v9, 0
	v_lshl_add_u64 v[10:11], s[20:21], 0, v[8:9]
	v_lshlrev_b32_e32 v8, 4, v45
	s_movk_i32 s3, 0xff
	v_lshlrev_b32_e32 v17, 3, v43
	v_and_b32_e32 v13, 24, v13
	v_lshl_add_u64 v[36:37], v[10:11], 0, v[8:9]
	v_and_b32_e32 v10, 8, v0
	v_cmp_lt_u32_e32 vcc, s3, v0
	v_xor_b32_e32 v18, v17, v13
	v_or_b32_e32 v19, 0x440, v18
	v_cndmask_b32_e64 v16, 0, 1, vcc
	v_cmp_eq_u32_e32 vcc, 0, v10
	v_and_b32_e32 v8, 7, v0
	v_lshlrev_b32_e32 v11, 3, v8
	v_cndmask_b32_e32 v10, v19, v18, vcc
	v_lshlrev_b32_e32 v8, 7, v8
	v_or_b32_e32 v10, v10, v12
	v_xad_u32 v75, v10, v11, v8
	v_or_b32_e32 v10, 32, v13
	v_xor_b32_e32 v10, v17, v10
	v_or_b32_e32 v18, 0x440, v10
	v_cndmask_b32_e32 v10, v18, v10, vcc
	v_or_b32_e32 v10, v10, v12
	v_xad_u32 v76, v10, v11, v8
	v_or_b32_e32 v10, 64, v13
	v_xor_b32_e32 v10, v17, v10
	v_xor_b32_e32 v18, 0x440, v10
	v_cndmask_b32_e32 v10, v18, v10, vcc
	v_or_b32_e32 v10, v10, v12
	v_xad_u32 v77, v10, v11, v8
	v_or_b32_e32 v10, 0x60, v13
	v_xor_b32_e32 v10, v17, v10
	v_xor_b32_e32 v13, 0x440, v10
	v_and_b32_e32 v7, 0x78, v46
	v_cndmask_b32_e32 v10, v13, v10, vcc
	v_lshl_or_b32 v7, v44, 7, v7
	v_or_b32_e32 v10, v10, v12
	v_or_b32_e32 v69, 0x9000, v7
	;; [unrolled: 1-line block ×3, first 2 shown]
	v_lshl_add_u64 v[6:7], s[8:9], 0, v[4:5]
	v_lshl_add_u64 v[4:5], s[28:29], 0, v[4:5]
	v_lshlrev_b32_e32 v14, 1, v3
	v_add_lshl_u32 v3, v3, s15, 1
	v_or_b32_e32 v15, 0x100, v2
	v_lshlrev_b32_e32 v16, 13, v16
	v_xad_u32 v78, v10, v11, v8
	v_lshlrev_b32_e32 v8, 8, v48
	v_cndmask_b32_e64 v79, v14, v2, s[0:1]
	v_cndmask_b32_e64 v80, v3, v15, s[0:1]
	v_lshl_add_u64 v[38:39], v[6:7], 0, v[8:9]
	v_lshl_add_u64 v[40:41], v[4:5], 0, v[8:9]
	s_mov_b32 s3, 0x7060302
	s_movk_i32 s22, 0x4000
	v_add_u32_e32 v81, v16, v75
	v_add_u32_e32 v82, v16, v76
	;; [unrolled: 1-line block ×4, first 2 shown]
	s_waitcnt lgkmcnt(0)
	s_barrier
.LBB563_32:                             ; =>This Inner Loop Header: Depth=1
	s_add_i32 s37, s60, 1
	s_cmp_lt_i32 s37, s48
	s_mov_b64 s[24:25], 0
	s_cselect_b64 s[40:41], -1, 0
	s_cmp_ge_i32 s37, s48
	s_mov_b64 s[20:21], 0
	s_cbranch_scc1 .LBB563_34
; %bb.33:                               ;   in Loop: Header=BB563_32 Depth=1
	s_add_i32 s0, s55, 64
	s_ashr_i32 s1, s0, 31
	s_add_u32 s0, s53, s0
	s_addc_u32 s1, s52, s1
	s_lshl_b64 s[0:1], s[0:1], 8
	s_add_u32 s20, s6, s0
	s_addc_u32 s21, s7, s1
.LBB563_34:                             ;   in Loop: Header=BB563_32 Depth=1
	v_cndmask_b32_e64 v2, 0, 1, s[40:41]
	v_cmp_ne_u32_e64 s[0:1], 1, v2
	s_andn2_b64 vcc, exec, s[40:41]
	s_cbranch_vccnz .LBB563_36
; %bb.35:                               ;   in Loop: Header=BB563_32 Depth=1
	s_add_i32 s24, s55, 64
	s_mul_hi_i32 s25, s24, s14
	s_mul_i32 s24, s24, s14
	s_add_u32 s24, s24, s51
	s_addc_u32 s25, s25, s56
	s_lshl_b64 s[24:25], s[24:25], 8
	s_add_u32 s24, s4, s24
	s_addc_u32 s25, s5, s25
.LBB563_36:                             ;   in Loop: Header=BB563_32 Depth=1
	v_perm_b32 v3, v56, v54, s3
	v_perm_b32 v2, v50, v52, s3
	;; [unrolled: 1-line block ×4, first 2 shown]
	ds_write_b64 v64, v[2:3]
	ds_write_b64 v65, v[4:5]
	;; [unrolled: 1-line block ×4, first 2 shown]
	s_waitcnt lgkmcnt(0)
	s_barrier
	ds_read_b64 v[10:11], v68 offset:16384
	ds_read_b64 v[12:13], v70 offset:16384
	ds_read2st64_b64 v[2:5], v69 offset1:1
	s_waitcnt lgkmcnt(0)
	v_mfma_f32_16x16x16_bf16 a[0:3], v[10:11], v[2:3], 0
	ds_read2st64_b64 v[6:9], v69 offset0:2 offset1:3
	ds_read_b64 v[14:15], v71 offset:16384
	ds_read_b64 v[2:3], v72 offset:16384
	s_add_i32 s27, s55, 63
	v_mfma_f32_16x16x16_bf16 a[0:3], v[12:13], v[4:5], a[0:3]
	s_ashr_i32 s39, s27, 31
	s_mul_i32 s40, s27, s31
	s_mul_hi_u32 s41, s27, s30
	s_waitcnt lgkmcnt(1)
	v_mfma_f32_16x16x16_bf16 a[0:3], v[14:15], v[6:7], a[0:3]
	s_add_i32 s40, s41, s40
	s_mul_i32 s39, s39, s30
	s_add_i32 s41, s40, s39
	s_mul_i32 s40, s27, s30
	s_waitcnt lgkmcnt(0)
	v_mfma_f32_16x16x16_bf16 a[0:3], v[2:3], v[8:9], a[0:3]
	s_lshl_b64 s[40:41], s[40:41], 2
	s_add_u32 s40, s16, s40
	s_addc_u32 s41, s17, s41
	s_and_b64 vcc, exec, s[0:1]
	v_mov_b32_e32 v87, 0
	v_mov_b32_e32 v86, 0
	;; [unrolled: 1-line block ×19, first 2 shown]
	s_cbranch_vccnz .LBB563_38
; %bb.37:                               ;   in Loop: Header=BB563_32 Depth=1
	s_and_b32 s21, s21, 0xffff
	buffer_load_dwordx4 v[14:17], v60, s[20:23], 0 offen
	buffer_load_dwordx4 v[10:13], v60, s[20:23], s57 offen
	;; [unrolled: 1-line block ×4, first 2 shown]
	v_mov_b32_e32 v86, v62
	v_mov_b32_e32 v85, v63
.LBB563_38:                             ;   in Loop: Header=BB563_32 Depth=1
	s_waitcnt vmcnt(3)
	v_add_u32_e32 v22, s55, v48
	s_waitcnt vmcnt(1)
	v_ashrrev_i32_e32 v18, 31, v22
	v_mul_lo_u32 v20, v18, s30
	v_mul_lo_u32 v21, v22, s31
	v_mad_u64_u32 v[18:19], s[20:21], v22, s30, 0
	v_add3_u32 v19, v19, v21, v20
	v_lshl_add_u64 v[18:19], v[18:19], 2, s[16:17]
	global_load_dword v89, v[18:19], off
	v_add_u32_e32 v18, 1, v22
	v_ashrrev_i32_e32 v19, 31, v18
	v_mul_lo_u32 v20, v19, s30
	v_mul_lo_u32 v21, v18, s31
	v_mad_u64_u32 v[18:19], s[20:21], v18, s30, 0
	v_add3_u32 v19, v19, v21, v20
	v_add_u32_e32 v20, 2, v22
	v_ashrrev_i32_e32 v21, 31, v20
	v_mul_lo_u32 v23, v21, s30
	v_mul_lo_u32 v24, v20, s31
	v_mad_u64_u32 v[20:21], s[20:21], v20, s30, 0
	v_add_u32_e32 v22, 3, v22
	v_add3_u32 v21, v21, v24, v23
	v_ashrrev_i32_e32 v23, 31, v22
	v_mul_lo_u32 v26, v23, s30
	v_mul_lo_u32 v27, v22, s31
	v_mad_u64_u32 v[22:23], s[20:21], v22, s30, 0
	s_ashr_i32 s21, s55, 31
	s_add_u32 s20, s53, s55
	s_addc_u32 s21, s52, s21
	s_lshl_b64 s[62:63], s[20:21], 8
	v_lshl_add_u64 v[18:19], v[18:19], 2, s[16:17]
	v_lshl_add_u64 v[24:25], v[38:39], 0, s[62:63]
	v_add3_u32 v23, v23, v27, v26
	v_lshl_add_u64 v[20:21], v[20:21], 2, s[16:17]
	global_load_ushort v92, v[24:25], off
	global_load_ushort v93, v[24:25], off offset:256
	global_load_ushort v94, v[24:25], off offset:512
	;; [unrolled: 1-line block ×3, first 2 shown]
	v_lshl_add_u64 v[22:23], v[22:23], 2, s[16:17]
	global_load_dword v96, v[18:19], off
	global_load_dword v97, v[20:21], off
	;; [unrolled: 1-line block ×3, first 2 shown]
	s_load_dword s20, s[40:41], 0x0
	ds_read_b64 v[20:21], v68 offset:24576
	ds_read2st64_b64 v[22:25], v73 offset1:1
	ds_read2st64_b64 v[26:29], v73 offset0:2 offset1:3
	ds_read_b64 v[30:31], v70 offset:24576
	ds_read_b64 v[32:33], v71 offset:24576
	;; [unrolled: 1-line block ×3, first 2 shown]
	s_waitcnt lgkmcnt(0)
	v_mfma_f32_16x16x16_bf16 a[0:3], v[20:21], v[22:23], a[0:3]
	v_mov_b32_e32 v88, 0
	v_mov_b32_e32 v18, 0
	;; [unrolled: 1-line block ×3, first 2 shown]
	v_mfma_f32_16x16x16_bf16 a[0:3], v[30:31], v[24:25], a[0:3]
	v_lshl_add_u64 v[30:31], v[40:41], 0, s[62:63]
	v_mov_b32_e32 v20, 0
	v_mov_b32_e32 v21, 0
	v_mfma_f32_16x16x16_bf16 a[0:3], v[32:33], v[26:27], a[0:3]
	v_mov_b32_e32 v22, 0
	v_mov_b32_e32 v23, 0
	;; [unrolled: 1-line block ×3, first 2 shown]
	v_mfma_f32_16x16x16_bf16 a[0:3], v[90:91], v[28:29], a[0:3]
	v_mov_b32_e32 v25, 0
	v_mov_b32_e32 v26, 0
	s_and_b64 vcc, exec, s[0:1]
	s_waitcnt vmcnt(7)
	v_sub_f32_e32 v27, s20, v89
	s_nop 1
	v_accvgpr_read_b32 v33, a1
	v_accvgpr_read_b32 v32, a0
	;; [unrolled: 1-line block ×4, first 2 shown]
	s_waitcnt vmcnt(6)
	v_lshlrev_b32_e32 v90, 16, v92
	s_waitcnt vmcnt(5)
	v_lshlrev_b32_e32 v91, 16, v93
	;; [unrolled: 2-line block ×3, first 2 shown]
	v_exp_f32_e32 v94, v27
	s_waitcnt vmcnt(2)
	v_sub_f32_e32 v27, s20, v96
	s_waitcnt vmcnt(1)
	v_sub_f32_e32 v89, s20, v97
	;; [unrolled: 2-line block ×3, first 2 shown]
	v_lshlrev_b32_e32 v93, 16, v95
	v_pk_add_f32 v[32:33], v[90:91], v[32:33] neg_lo:[0,1] neg_hi:[0,1]
	v_exp_f32_e32 v95, v27
	v_exp_f32_e32 v90, v89
	;; [unrolled: 1-line block ×3, first 2 shown]
	v_pk_add_f32 v[28:29], v[92:93], v[28:29] neg_lo:[0,1] neg_hi:[0,1]
	global_store_short_d16_hi v[30:31], v32, off
	global_store_short_d16_hi v[30:31], v33, off offset:256
	global_store_short_d16_hi v[30:31], v28, off offset:512
	;; [unrolled: 1-line block ×3, first 2 shown]
	v_pk_mul_f32 v[30:31], v[94:95], v[32:33]
	v_pk_mul_f32 v[28:29], v[90:91], v[28:29]
	v_perm_b32 v30, v31, v30, s3
	v_perm_b32 v31, v29, v28, s3
	ds_write_b64 v65, v[30:31]
	v_mov_b32_e32 v27, 0
	v_mov_b32_e32 v28, 0
	;; [unrolled: 1-line block ×7, first 2 shown]
	s_cbranch_vccnz .LBB563_40
; %bb.39:                               ;   in Loop: Header=BB563_32 Depth=1
	s_and_b32 s25, s25, 0xffff
	s_mov_b32 s27, s23
	buffer_load_dwordx4 v[30:33], v79, s[24:27], 0 offen
	buffer_load_dwordx4 v[22:25], v79, s[24:27], s57 offen
	;; [unrolled: 1-line block ×4, first 2 shown]
	v_mov_b32_e32 v87, v59
	v_mov_b32_e32 v88, v58
.LBB563_40:                             ;   in Loop: Header=BB563_32 Depth=1
	s_waitcnt lgkmcnt(0)
	s_barrier
	ds_read_b64 v[98:99], v81
	ds_read2st64_b64 v[90:93], v73 offset1:1
	ds_read2st64_b64 v[94:97], v73 offset0:2 offset1:3
	ds_read_b64 v[100:101], v82
	ds_read_b64 v[102:103], v83
	ds_read_b64 v[104:105], v84
	s_waitcnt lgkmcnt(4)
	v_mfma_f32_16x16x16_bf16 a[0:3], v[98:99], v[90:91], 0
	ds_read_b64 v[98:99], v75 offset:8192
	ds_read_b64 v[106:107], v76 offset:8192
	s_add_i32 s21, s54, s60
	s_mul_hi_i32 s25, s21, s13
	s_waitcnt lgkmcnt(1)
	v_mfma_f32_16x16x16_bf16 a[4:7], v[98:99], v[90:91], 0
	s_mul_i32 s21, s21, s13
	s_add_u32 s24, s21, s47
	s_addc_u32 s25, s25, s49
	v_mfma_f32_16x16x16_bf16 a[0:3], v[100:101], v[92:93], a[0:3]
	ds_read_b64 v[98:99], v35
	ds_read_b64 v[100:101], v74
	ds_read_b64 v[90:91], v77 offset:8192
	s_lshl_b64 s[24:25], s[24:25], 15
	v_mfma_f32_16x16x16_bf16 a[0:3], v[102:103], v[94:95], a[0:3]
	ds_read_b64 v[102:103], v78 offset:8192
	s_and_b64 vcc, exec, s[0:1]
	s_waitcnt lgkmcnt(4)
	v_mfma_f32_16x16x16_bf16 a[4:7], v[106:107], v[92:93], a[4:7]
	s_waitcnt lgkmcnt(1)
	v_mfma_f32_16x16x16_bf16 a[4:7], v[90:91], v[94:95], a[4:7]
	v_lshl_add_u64 v[90:91], v[36:37], 0, s[24:25]
	global_store_dwordx4 v[90:91], v[98:101], off
	v_mfma_f32_16x16x16_bf16 a[0:3], v[104:105], v[96:97], a[0:3]
	s_waitcnt lgkmcnt(0)
	v_mfma_f32_16x16x16_bf16 a[4:7], v[102:103], v[96:97], a[4:7]
	s_cbranch_vccnz .LBB563_42
; %bb.41:                               ;   in Loop: Header=BB563_32 Depth=1
	v_lshrrev_b32_e32 v89, 3, v87
	v_and_b32_e32 v89, 6, v89
	v_xor_b32_e32 v88, v89, v88
	v_lshlrev_b32_e32 v88, 2, v88
	v_and_b32_e32 v87, 8, v87
	v_xor_b32_e32 v90, 0x440, v88
	v_cmp_eq_u32_e32 vcc, 0, v87
	s_barrier
	s_nop 0
	v_cndmask_b32_e32 v87, v90, v88, vcc
	v_lshl_or_b32 v87, v89, 10, v87
	s_waitcnt vmcnt(2)
	v_perm_b32 v88, v30, v26, s58
	s_waitcnt vmcnt(1)
	v_perm_b32 v89, v22, v18, s58
	ds_write2st64_b32 v87, v88, v89 offset1:32
	v_xor_b32_e32 v88, 8, v87
	v_perm_b32 v26, v30, v26, s59
	v_perm_b32 v18, v22, v18, s59
	v_add_u32_e32 v22, 0x80, v88
	ds_write2st64_b32 v22, v26, v18 offset1:32
	v_xor_b32_e32 v18, 16, v87
	v_perm_b32 v22, v31, v27, s58
	v_perm_b32 v26, v23, v19, s58
	ds_write2st64_b32 v18, v22, v26 offset0:1 offset1:33
	v_xor_b32_e32 v18, 24, v87
	v_perm_b32 v22, v31, v27, s59
	v_perm_b32 v19, v23, v19, s59
	v_add_u32_e32 v18, 0x80, v18
	ds_write2st64_b32 v18, v22, v19 offset0:1 offset1:33
	v_xor_b32_e32 v18, 32, v87
	v_perm_b32 v19, v32, v28, s58
	v_perm_b32 v22, v24, v20, s58
	ds_write2st64_b32 v18, v19, v22 offset0:2 offset1:34
	v_xor_b32_e32 v18, 40, v87
	v_perm_b32 v19, v32, v28, s59
	v_perm_b32 v20, v24, v20, s59
	v_add_u32_e32 v18, 0x80, v18
	ds_write2st64_b32 v18, v19, v20 offset0:2 offset1:34
	;; [unrolled: 9-line block ×3, first 2 shown]
	ds_write_b64 v86, v[14:15] offset:16384
	v_xor_b32_e32 v14, 8, v86
	ds_write_b64 v14, v[16:17] offset:16384
	ds_write_b64 v86, v[10:11] offset:24576
	;; [unrolled: 1-line block ×4, first 2 shown]
	v_xor_b32_e32 v6, 8, v85
	ds_write_b64 v6, v[8:9] offset:16384
	ds_write_b64 v85, v[2:3] offset:24576
	;; [unrolled: 1-line block ×3, first 2 shown]
.LBB563_42:                             ;   in Loop: Header=BB563_32 Depth=1
	v_exp_f32_e32 v4, s20
	s_nop 2
	v_accvgpr_read_b32 v2, a0
	v_accvgpr_read_b32 v3, a1
	s_add_i32 s55, s55, 64
	v_fma_f32 v52, v52, v4, v2
	v_accvgpr_read_b32 v2, a2
	v_fma_f32 v54, v54, v4, v2
	v_accvgpr_read_b32 v2, a4
	;; [unrolled: 2-line block ×6, first 2 shown]
	v_fmac_f32_e32 v3, v56, v4
	s_cmp_eq_u32 s48, s37
	v_fmac_f32_e32 v2, v57, v4
	s_cbranch_scc1 .LBB563_4
; %bb.43:                               ;   in Loop: Header=BB563_32 Depth=1
	s_mov_b32 s60, s37
	v_mov_b32_e32 v56, v3
	v_mov_b32_e32 v57, v2
	s_branch .LBB563_32
.LBB563_44:
                                        ; implicit-def: $vgpr5
                                        ; implicit-def: $vgpr9
                                        ; implicit-def: $vgpr13
                                        ; implicit-def: $vgpr17
	s_cbranch_execz .LBB563_46
; %bb.45:
	s_waitcnt vmcnt(0)
	v_mad_u64_u32 v[2:3], s[0:1], v20, s15, v[18:19]
	v_lshlrev_b32_e32 v20, 1, v2
	s_lshl_b32 s2, s15, 7
	s_and_b32 s1, s5, 0xffff
	s_mov_b32 s3, 0x20000
	s_mov_b32 s0, s4
	v_add_lshl_u32 v21, v2, s15, 1
	s_movk_i32 s13, 0x80
	buffer_load_dwordx4 v[2:5], v20, s[0:3], 0 offen
	buffer_load_dwordx4 v[10:13], v20, s[0:3], s13 offen
	;; [unrolled: 1-line block ×4, first 2 shown]
.LBB563_46:
	v_lshrrev_b32_e32 v38, 2, v42
	s_cbranch_execnz .LBB563_59
.LBB563_47:
	s_and_b64 vcc, exec, s[6:7]
	s_cbranch_vccz .LBB563_57
; %bb.48:
	s_waitcnt vmcnt(0)
	v_lshlrev_b32_e32 v7, 1, v35
	v_cmp_gt_i32_e32 vcc, s27, v7
	v_mov_b32_e32 v6, 0
	v_lshlrev_b32_e32 v14, 9, v35
	v_mov_b32_e32 v2, 0
	v_mov_b32_e32 v3, 0
	;; [unrolled: 1-line block ×4, first 2 shown]
	s_and_saveexec_b64 s[0:1], vcc
	s_cbranch_execz .LBB563_50
; %bb.49:
	v_mov_b32_e32 v15, 0
	v_lshl_add_u64 v[2:3], s[4:5], 0, v[14:15]
	v_lshlrev_b32_e32 v4, 1, v18
	v_mov_b32_e32 v5, v15
	v_lshl_add_u64 v[2:3], v[2:3], 0, v[4:5]
	global_load_dwordx4 v[2:5], v[2:3], off
.LBB563_50:
	s_or_b64 exec, exec, s[0:1]
	v_or_b32_e32 v7, 1, v7
	v_cmp_gt_i32_e64 s[0:1], s27, v7
	v_lshlrev_b32_e32 v20, 8, v7
	v_mov_b32_e32 v7, 0
	v_mov_b32_e32 v8, 0
	;; [unrolled: 1-line block ×3, first 2 shown]
	s_and_saveexec_b64 s[2:3], s[0:1]
	s_cbranch_execz .LBB563_52
; %bb.51:
	v_mov_b32_e32 v21, 0
	v_lshl_add_u64 v[6:7], s[4:5], 0, v[20:21]
	v_lshlrev_b32_e32 v8, 1, v18
	v_mov_b32_e32 v9, v21
	v_lshl_add_u64 v[6:7], v[6:7], 0, v[8:9]
	global_load_dwordx4 v[6:9], v[6:7], off
.LBB563_52:
	s_or_b64 exec, exec, s[2:3]
	v_mov_b32_e32 v17, 0
	v_mov_b32_e32 v10, 0
	;; [unrolled: 1-line block ×5, first 2 shown]
	s_and_saveexec_b64 s[2:3], vcc
	s_cbranch_execz .LBB563_54
; %bb.53:
	v_mov_b32_e32 v15, 0
	v_lshl_add_u64 v[10:11], s[4:5], 0, v[14:15]
	v_lshlrev_b32_e32 v14, 1, v18
	v_lshl_add_u64 v[10:11], v[10:11], 0, v[14:15]
	global_load_dwordx4 v[10:13], v[10:11], off offset:128
.LBB563_54:
	s_or_b64 exec, exec, s[2:3]
	v_mov_b32_e32 v16, 0
	v_mov_b32_e32 v15, 0
	;; [unrolled: 1-line block ×3, first 2 shown]
	s_and_saveexec_b64 s[2:3], s[0:1]
	s_cbranch_execz .LBB563_56
; %bb.55:
	v_mov_b32_e32 v21, 0
	v_lshl_add_u64 v[14:15], s[4:5], 0, v[20:21]
	v_lshlrev_b32_e32 v20, 1, v18
	v_lshl_add_u64 v[14:15], v[14:15], 0, v[20:21]
	global_load_dwordx4 v[14:17], v[14:15], off offset:128
.LBB563_56:
	s_or_b64 exec, exec, s[2:3]
	s_branch .LBB563_59
.LBB563_57:
                                        ; implicit-def: $vgpr5
                                        ; implicit-def: $vgpr9
                                        ; implicit-def: $vgpr13
                                        ; implicit-def: $vgpr17
	s_cbranch_execz .LBB563_59
; %bb.58:
	s_waitcnt vmcnt(0)
	v_lshlrev_b32_e32 v2, 1, v18
	v_lshl_or_b32 v18, v35, 9, v2
	s_and_b32 s5, s5, 0xffff
	s_mov_b32 s7, 0x20000
	s_movk_i32 s6, 0x4000
	s_movk_i32 s0, 0x80
	buffer_load_dwordx4 v[2:5], v18, s[4:7], 0 offen
	buffer_load_dwordx4 v[6:9], v18, s[4:7], 0 offen offset:256
	buffer_load_dwordx4 v[10:13], v18, s[4:7], s0 offen
	buffer_load_dwordx4 v[14:17], v18, s[4:7], s0 offen offset:256
.LBB563_59:
	ds_read2st64_b64 v[22:25], v19 offset0:76 offset1:77
	ds_read2st64_b64 v[18:21], v19 offset0:78 offset1:79
	ds_read_b64 v[32:33], v26 offset:24576
	ds_read_b64 v[30:31], v27 offset:24576
	;; [unrolled: 1-line block ×4, first 2 shown]
	v_and_b32_e32 v37, 6, v0
	v_xor_b32_e32 v35, v35, v37
	v_lshlrev_b32_e32 v35, 2, v35
	v_and_b32_e32 v0, 1, v0
	v_xor_b32_e32 v39, 0x440, v35
	v_cmp_eq_u32_e32 vcc, 0, v0
	s_mov_b32 s0, 0x1000504
	s_mov_b32 s1, 0x3020706
	v_cndmask_b32_e32 v0, v39, v35, vcc
	v_lshl_or_b32 v0, v37, 10, v0
	s_waitcnt vmcnt(0)
	v_perm_b32 v35, v2, v6, s0
	v_perm_b32 v37, v10, v14, s0
	ds_write2st64_b32 v0, v35, v37 offset1:32
	v_xor_b32_e32 v35, 8, v0
	v_perm_b32 v2, v2, v6, s1
	v_perm_b32 v6, v10, v14, s1
	v_add_u32_e32 v10, 0x80, v35
	ds_write2st64_b32 v10, v2, v6 offset1:32
	v_xor_b32_e32 v2, 16, v0
	v_perm_b32 v6, v3, v7, s0
	v_perm_b32 v10, v11, v15, s0
	ds_write2st64_b32 v2, v6, v10 offset0:1 offset1:33
	v_xor_b32_e32 v2, 24, v0
	v_perm_b32 v3, v3, v7, s1
	v_perm_b32 v6, v11, v15, s1
	v_add_u32_e32 v2, 0x80, v2
	ds_write2st64_b32 v2, v3, v6 offset0:1 offset1:33
	v_xor_b32_e32 v2, 32, v0
	v_perm_b32 v3, v4, v8, s0
	v_perm_b32 v6, v12, v16, s0
	ds_write2st64_b32 v2, v3, v6 offset0:2 offset1:34
	v_xor_b32_e32 v2, 40, v0
	v_perm_b32 v3, v4, v8, s1
	v_perm_b32 v4, v12, v16, s1
	v_add_u32_e32 v2, 0x80, v2
	ds_write2st64_b32 v2, v3, v4 offset0:2 offset1:34
	v_xor_b32_e32 v2, 48, v0
	v_perm_b32 v3, v5, v9, s0
	v_perm_b32 v4, v13, v17, s0
	v_xor_b32_e32 v0, 56, v0
	v_and_or_b32 v8, v38, 12, v1
	ds_write2st64_b32 v2, v3, v4 offset0:3 offset1:35
	v_perm_b32 v2, v5, v9, s1
	v_perm_b32 v3, v13, v17, s1
	v_add_u32_e32 v0, 0x80, v0
	v_cmp_gt_i32_e64 s[2:3], s27, v8
	v_mov_b32_e32 v10, 0
	v_mov_b32_e32 v15, 0
	ds_write2st64_b32 v0, v2, v3 offset0:3 offset1:35
	s_and_saveexec_b64 s[0:1], s[2:3]
	s_cbranch_execz .LBB563_61
; %bb.60:
	v_add_u32_e32 v0, s26, v8
	v_ashrrev_i32_e32 v1, 31, v0
	v_mul_lo_u32 v2, v1, s30
	v_mul_lo_u32 v3, v0, s31
	v_mad_u64_u32 v[0:1], s[4:5], v0, s30, 0
	v_add3_u32 v1, v1, v3, v2
	v_lshl_add_u64 v[0:1], v[0:1], 2, s[10:11]
	global_load_dword v0, v[0:1], off
	s_waitcnt vmcnt(0)
	v_sub_f32_e32 v0, s12, v0
	v_exp_f32_e32 v15, v0
.LBB563_61:
	s_or_b64 exec, exec, s[0:1]
	v_or_b32_e32 v13, 1, v8
	v_cmp_gt_i32_e64 s[4:5], s27, v13
	s_and_saveexec_b64 s[0:1], s[4:5]
	s_cbranch_execz .LBB563_63
; %bb.62:
	v_add_u32_e32 v0, s26, v13
	v_ashrrev_i32_e32 v1, 31, v0
	v_mul_lo_u32 v2, v1, s30
	v_mul_lo_u32 v3, v0, s31
	v_mad_u64_u32 v[0:1], s[6:7], v0, s30, 0
	v_add3_u32 v1, v1, v3, v2
	v_lshl_add_u64 v[0:1], v[0:1], 2, s[10:11]
	global_load_dword v0, v[0:1], off
	s_waitcnt vmcnt(0)
	v_sub_f32_e32 v0, s12, v0
	v_exp_f32_e32 v10, v0
.LBB563_63:
	s_or_b64 exec, exec, s[0:1]
	v_or_b32_e32 v11, 2, v8
	v_cmp_gt_i32_e32 vcc, s27, v11
	v_mov_b32_e32 v9, 0
	v_mov_b32_e32 v14, 0
	s_and_saveexec_b64 s[0:1], vcc
	s_cbranch_execz .LBB563_65
; %bb.64:
	v_add_u32_e32 v0, s26, v11
	v_ashrrev_i32_e32 v1, 31, v0
	v_mul_lo_u32 v2, v1, s30
	v_mul_lo_u32 v3, v0, s31
	v_mad_u64_u32 v[0:1], s[6:7], v0, s30, 0
	v_add3_u32 v1, v1, v3, v2
	v_lshl_add_u64 v[0:1], v[0:1], 2, s[10:11]
	global_load_dword v0, v[0:1], off
	s_waitcnt vmcnt(0)
	v_sub_f32_e32 v0, s12, v0
	v_exp_f32_e32 v14, v0
.LBB563_65:
	s_or_b64 exec, exec, s[0:1]
	v_or_b32_e32 v12, 3, v8
	v_cmp_gt_i32_e64 s[0:1], s27, v12
	s_and_saveexec_b64 s[6:7], s[0:1]
	s_cbranch_execz .LBB563_67
; %bb.66:
	v_add_u32_e32 v0, s26, v12
	v_ashrrev_i32_e32 v1, 31, v0
	v_mul_lo_u32 v2, v1, s30
	v_mul_lo_u32 v3, v0, s31
	v_mad_u64_u32 v[0:1], s[14:15], v0, s30, 0
	v_add3_u32 v1, v1, v3, v2
	v_lshl_add_u64 v[0:1], v[0:1], 2, s[10:11]
	global_load_dword v0, v[0:1], off
	s_waitcnt vmcnt(0)
	v_sub_f32_e32 v0, s12, v0
	v_exp_f32_e32 v9, v0
.LBB563_67:
	s_or_b64 exec, exec, s[6:7]
	s_waitcnt lgkmcnt(11)
	v_mfma_f32_16x16x16_bf16 a[0:3], v[32:33], v[22:23], a[0:3]
	s_add_u32 s6, s8, s20
	v_ashrrev_i32_e32 v35, 31, v34
	s_addc_u32 s7, s9, s21
	s_waitcnt lgkmcnt(10)
	v_mfma_f32_16x16x16_bf16 a[0:3], v[30:31], v[24:25], a[0:3]
	v_lshlrev_b64 v[0:1], 1, v[34:35]
	v_lshl_add_u64 v[4:5], s[6:7], 0, v[0:1]
	s_add_u32 s6, s28, s20
	s_waitcnt lgkmcnt(9)
	v_mfma_f32_16x16x16_bf16 a[0:3], v[28:29], v[18:19], a[0:3]
	s_addc_u32 s7, s29, s21
	v_lshl_add_u64 v[6:7], s[6:7], 0, v[0:1]
	v_mov_b32_e32 v16, 0
	s_waitcnt lgkmcnt(8)
	v_mfma_f32_16x16x16_bf16 a[0:3], v[26:27], v[20:21], a[0:3]
	v_mov_b32_e32 v17, 0
	s_nop 5
	v_accvgpr_read_b32 v0, a0
	v_accvgpr_read_b32 v1, a1
	;; [unrolled: 1-line block ×4, first 2 shown]
	s_and_saveexec_b64 s[6:7], s[2:3]
	s_cbranch_execz .LBB563_69
; %bb.68:
	v_lshlrev_b32_e32 v18, 8, v8
	v_mov_b32_e32 v19, 0
	v_lshl_add_u64 v[20:21], v[4:5], 0, v[18:19]
	global_load_ushort v17, v[20:21], off
	v_lshl_add_u64 v[18:19], v[6:7], 0, v[18:19]
	s_waitcnt vmcnt(0)
	v_lshlrev_b32_e32 v17, 16, v17
	v_sub_f32_e32 v0, v17, v0
	global_store_short_d16_hi v[18:19], v0, off
	v_mul_f32_e32 v0, v15, v0
	v_lshrrev_b32_e32 v17, 16, v0
.LBB563_69:
	s_or_b64 exec, exec, s[6:7]
	s_and_saveexec_b64 s[2:3], s[4:5]
	s_cbranch_execz .LBB563_71
; %bb.70:
	v_lshlrev_b32_e32 v18, 8, v13
	v_mov_b32_e32 v19, 0
	v_lshl_add_u64 v[20:21], v[4:5], 0, v[18:19]
	global_load_ushort v0, v[20:21], off
	v_lshl_add_u64 v[18:19], v[6:7], 0, v[18:19]
	s_waitcnt vmcnt(0)
	v_lshlrev_b32_e32 v0, 16, v0
	v_sub_f32_e32 v0, v0, v1
	global_store_short_d16_hi v[18:19], v0, off
	v_mul_f32_e32 v0, v10, v0
	v_lshrrev_b32_e32 v16, 16, v0
.LBB563_71:
	s_or_b64 exec, exec, s[2:3]
	v_mov_b32_e32 v0, 0
	v_mov_b32_e32 v1, 0
	s_and_saveexec_b64 s[2:3], vcc
	s_cbranch_execz .LBB563_73
; %bb.72:
	v_lshlrev_b32_e32 v10, 8, v11
	v_mov_b32_e32 v11, 0
	v_lshl_add_u64 v[18:19], v[4:5], 0, v[10:11]
	global_load_ushort v1, v[18:19], off
	v_lshl_add_u64 v[10:11], v[6:7], 0, v[10:11]
	s_waitcnt vmcnt(0)
	v_lshlrev_b32_e32 v1, 16, v1
	v_sub_f32_e32 v1, v1, v2
	global_store_short_d16_hi v[10:11], v1, off
	v_mul_f32_e32 v1, v14, v1
	v_lshrrev_b32_e32 v1, 16, v1
.LBB563_73:
	s_or_b64 exec, exec, s[2:3]
	s_and_saveexec_b64 s[2:3], s[0:1]
	s_cbranch_execz .LBB563_75
; %bb.74:
	v_lshlrev_b32_e32 v10, 8, v12
	v_mov_b32_e32 v11, 0
	v_lshl_add_u64 v[4:5], v[4:5], 0, v[10:11]
	global_load_ushort v0, v[4:5], off
	v_lshl_add_u64 v[4:5], v[6:7], 0, v[10:11]
	s_waitcnt vmcnt(0)
	v_lshlrev_b32_e32 v0, 16, v0
	v_sub_f32_e32 v0, v0, v3
	global_store_short_d16_hi v[4:5], v0, off
	v_mul_f32_e32 v0, v9, v0
	v_lshrrev_b32_e32 v0, 16, v0
.LBB563_75:
	s_or_b64 exec, exec, s[2:3]
	s_mov_b32 s0, 0x5040100
	v_lshlrev_b32_e32 v2, 1, v36
	v_perm_b32 v1, v0, v1, s0
	v_perm_b32 v0, v16, v17, s0
	v_lshl_or_b32 v2, v8, 5, v2
	ds_write_b64 v2, v[0:1] offset:38912
	s_waitcnt lgkmcnt(0)
	s_barrier
.LBB563_76:
	s_endpgm
	.section	.rodata,"a",@progbits
	.p2align	6, 0x0
	.amdhsa_kernel _ZN12_GLOBAL__N_139chunk_gated_delta_rule_fwd_h_hip_kernelILi16ELb1ELb0ELb1ELb1ELb1ELb0ELb0ELb1EEEvPK12hip_bfloat16S3_S3_PKfS5_PKvPS1_S8_PvPKiSB_iiiiilll
		.amdhsa_group_segment_fixed_size 40960
		.amdhsa_private_segment_fixed_size 0
		.amdhsa_kernarg_size 136
		.amdhsa_user_sgpr_count 2
		.amdhsa_user_sgpr_dispatch_ptr 0
		.amdhsa_user_sgpr_queue_ptr 0
		.amdhsa_user_sgpr_kernarg_segment_ptr 1
		.amdhsa_user_sgpr_dispatch_id 0
		.amdhsa_user_sgpr_kernarg_preload_length 0
		.amdhsa_user_sgpr_kernarg_preload_offset 0
		.amdhsa_user_sgpr_private_segment_size 0
		.amdhsa_uses_dynamic_stack 0
		.amdhsa_enable_private_segment 0
		.amdhsa_system_sgpr_workgroup_id_x 1
		.amdhsa_system_sgpr_workgroup_id_y 1
		.amdhsa_system_sgpr_workgroup_id_z 0
		.amdhsa_system_sgpr_workgroup_info 0
		.amdhsa_system_vgpr_workitem_id 0
		.amdhsa_next_free_vgpr 116
		.amdhsa_next_free_sgpr 64
		.amdhsa_accum_offset 108
		.amdhsa_reserve_vcc 1
		.amdhsa_float_round_mode_32 0
		.amdhsa_float_round_mode_16_64 0
		.amdhsa_float_denorm_mode_32 3
		.amdhsa_float_denorm_mode_16_64 3
		.amdhsa_dx10_clamp 1
		.amdhsa_ieee_mode 1
		.amdhsa_fp16_overflow 0
		.amdhsa_tg_split 0
		.amdhsa_exception_fp_ieee_invalid_op 0
		.amdhsa_exception_fp_denorm_src 0
		.amdhsa_exception_fp_ieee_div_zero 0
		.amdhsa_exception_fp_ieee_overflow 0
		.amdhsa_exception_fp_ieee_underflow 0
		.amdhsa_exception_fp_ieee_inexact 0
		.amdhsa_exception_int_div_zero 0
	.end_amdhsa_kernel
	.section	.text._ZN12_GLOBAL__N_139chunk_gated_delta_rule_fwd_h_hip_kernelILi16ELb1ELb0ELb1ELb1ELb1ELb0ELb0ELb1EEEvPK12hip_bfloat16S3_S3_PKfS5_PKvPS1_S8_PvPKiSB_iiiiilll,"axG",@progbits,_ZN12_GLOBAL__N_139chunk_gated_delta_rule_fwd_h_hip_kernelILi16ELb1ELb0ELb1ELb1ELb1ELb0ELb0ELb1EEEvPK12hip_bfloat16S3_S3_PKfS5_PKvPS1_S8_PvPKiSB_iiiiilll,comdat
.Lfunc_end563:
	.size	_ZN12_GLOBAL__N_139chunk_gated_delta_rule_fwd_h_hip_kernelILi16ELb1ELb0ELb1ELb1ELb1ELb0ELb0ELb1EEEvPK12hip_bfloat16S3_S3_PKfS5_PKvPS1_S8_PvPKiSB_iiiiilll, .Lfunc_end563-_ZN12_GLOBAL__N_139chunk_gated_delta_rule_fwd_h_hip_kernelILi16ELb1ELb0ELb1ELb1ELb1ELb0ELb0ELb1EEEvPK12hip_bfloat16S3_S3_PKfS5_PKvPS1_S8_PvPKiSB_iiiiilll
                                        ; -- End function
	.section	.AMDGPU.csdata,"",@progbits
; Kernel info:
; codeLenInByte = 7208
; NumSgprs: 70
; NumVgprs: 108
; NumAgprs: 8
; TotalNumVgprs: 116
; ScratchSize: 0
; MemoryBound: 0
; FloatMode: 240
; IeeeMode: 1
; LDSByteSize: 40960 bytes/workgroup (compile time only)
; SGPRBlocks: 8
; VGPRBlocks: 14
; NumSGPRsForWavesPerEU: 70
; NumVGPRsForWavesPerEU: 116
; AccumOffset: 108
; Occupancy: 1
; WaveLimiterHint : 1
; COMPUTE_PGM_RSRC2:SCRATCH_EN: 0
; COMPUTE_PGM_RSRC2:USER_SGPR: 2
; COMPUTE_PGM_RSRC2:TRAP_HANDLER: 0
; COMPUTE_PGM_RSRC2:TGID_X_EN: 1
; COMPUTE_PGM_RSRC2:TGID_Y_EN: 1
; COMPUTE_PGM_RSRC2:TGID_Z_EN: 0
; COMPUTE_PGM_RSRC2:TIDIG_COMP_CNT: 0
; COMPUTE_PGM_RSRC3_GFX90A:ACCUM_OFFSET: 26
; COMPUTE_PGM_RSRC3_GFX90A:TG_SPLIT: 0
	.section	.text._ZN12_GLOBAL__N_139chunk_gated_delta_rule_fwd_h_hip_kernelILi16ELb1ELb0ELb0ELb1ELb1ELb0ELb0ELb1EEEvPK12hip_bfloat16S3_S3_PKfS5_PKvPS1_S8_PvPKiSB_iiiiilll,"axG",@progbits,_ZN12_GLOBAL__N_139chunk_gated_delta_rule_fwd_h_hip_kernelILi16ELb1ELb0ELb0ELb1ELb1ELb0ELb0ELb1EEEvPK12hip_bfloat16S3_S3_PKfS5_PKvPS1_S8_PvPKiSB_iiiiilll,comdat
	.globl	_ZN12_GLOBAL__N_139chunk_gated_delta_rule_fwd_h_hip_kernelILi16ELb1ELb0ELb0ELb1ELb1ELb0ELb0ELb1EEEvPK12hip_bfloat16S3_S3_PKfS5_PKvPS1_S8_PvPKiSB_iiiiilll ; -- Begin function _ZN12_GLOBAL__N_139chunk_gated_delta_rule_fwd_h_hip_kernelILi16ELb1ELb0ELb0ELb1ELb1ELb0ELb0ELb1EEEvPK12hip_bfloat16S3_S3_PKfS5_PKvPS1_S8_PvPKiSB_iiiiilll
	.p2align	8
	.type	_ZN12_GLOBAL__N_139chunk_gated_delta_rule_fwd_h_hip_kernelILi16ELb1ELb0ELb0ELb1ELb1ELb0ELb0ELb1EEEvPK12hip_bfloat16S3_S3_PKfS5_PKvPS1_S8_PvPKiSB_iiiiilll,@function
_ZN12_GLOBAL__N_139chunk_gated_delta_rule_fwd_h_hip_kernelILi16ELb1ELb0ELb0ELb1ELb1ELb0ELb0ELb1EEEvPK12hip_bfloat16S3_S3_PKfS5_PKvPS1_S8_PvPKiSB_iiiiilll: ; @_ZN12_GLOBAL__N_139chunk_gated_delta_rule_fwd_h_hip_kernelILi16ELb1ELb0ELb0ELb1ELb1ELb0ELb0ELb1EEEvPK12hip_bfloat16S3_S3_PKfS5_PKvPS1_S8_PvPKiSB_iiiiilll
; %bb.0:
	s_load_dwordx4 s[12:15], s[0:1], 0x5c
	s_load_dwordx4 s[20:23], s[0:1], 0x70
	s_abs_i32 s9, s3
	s_ashr_i32 s8, s3, 31
	s_load_dwordx4 s[4:7], s[0:1], 0x48
	s_waitcnt lgkmcnt(0)
	s_abs_i32 s10, s13
	v_cvt_f32_u32_e32 v1, s10
	s_sub_i32 s16, 0, s10
	s_ashr_i32 s11, s13, 31
	s_xor_b32 s8, s8, s11
	v_rcp_iflag_f32_e32 v1, v1
	v_and_b32_e32 v43, 15, v0
	v_lshrrev_b32_e32 v41, 6, v0
	v_bfe_u32 v42, v0, 4, 2
	v_mul_f32_e32 v1, 0x4f7ffffe, v1
	v_cvt_u32_f32_e32 v1, v1
	v_mov_b32_e32 v5, 0
	v_and_b32_e32 v40, 63, v0
	v_lshlrev_b32_e32 v44, 3, v0
	v_readfirstlane_b32 s17, v1
	s_mul_i32 s16, s16, s17
	s_mul_hi_u32 s16, s17, s16
	s_add_i32 s17, s17, s16
	s_mul_hi_u32 s16, s9, s17
	s_mul_i32 s17, s16, s10
	s_sub_i32 s9, s9, s17
	s_add_i32 s18, s16, 1
	s_sub_i32 s17, s9, s10
	s_cmp_ge_u32 s9, s10
	s_cselect_b32 s16, s18, s16
	s_cselect_b32 s9, s17, s9
	s_add_i32 s17, s16, 1
	s_cmp_ge_u32 s9, s10
	s_cselect_b32 s9, s17, s16
	s_load_dwordx4 s[16:19], s[0:1], 0x28
	s_xor_b32 s9, s9, s8
	s_sub_i32 s24, s9, s8
	s_mul_i32 s28, s24, s13
	s_ashr_i32 s25, s24, 31
	s_sub_i32 s45, s3, s28
	s_lshl_b64 s[8:9], s[24:25], 2
	s_add_u32 s4, s4, s8
	s_addc_u32 s5, s5, s9
	s_add_u32 s26, s6, s8
	s_addc_u32 s27, s7, s9
	s_abs_i32 s3, s14
	v_cvt_f32_u32_e32 v1, s3
	s_load_dwordx2 s[30:31], s[4:5], 0x0
	s_sub_i32 s5, 0, s3
	s_lshl_b32 s2, s2, 4
	v_rcp_iflag_f32_e32 v1, v1
	v_or_b32_e32 v34, s2, v43
	s_waitcnt lgkmcnt(0)
	s_sub_i32 s48, s31, s30
	s_ashr_i32 s4, s48, 31
	v_mul_f32_e32 v1, 0x4f7ffffe, v1
	v_cvt_u32_f32_e32 v1, v1
	s_lshr_b32 s4, s4, 26
	s_add_i32 s4, s48, s4
	s_ashr_i32 s46, s4, 6
	v_readfirstlane_b32 s6, v1
	s_mul_i32 s5, s5, s6
	s_mul_hi_u32 s5, s6, s5
	s_add_i32 s6, s6, s5
	s_mul_hi_u32 s5, s10, s6
	s_mul_i32 s6, s5, s3
	s_ashr_i32 s4, s14, 31
	s_sub_i32 s6, s10, s6
	s_xor_b32 s4, s11, s4
	s_add_i32 s7, s5, 1
	s_sub_i32 s8, s6, s3
	s_cmp_ge_u32 s6, s3
	s_cselect_b32 s5, s7, s5
	s_cselect_b32 s6, s8, s6
	s_add_i32 s7, s5, 1
	s_cmp_ge_u32 s6, s3
	s_cselect_b32 s3, s7, s5
	s_xor_b32 s3, s3, s4
	s_sub_i32 s3, s3, s4
	s_abs_i32 s4, s3
	v_cvt_f32_u32_e32 v1, s4
	s_sub_i32 s6, 0, s4
	s_abs_i32 s5, s45
	s_xor_b32 s3, s45, s3
	v_rcp_iflag_f32_e32 v1, v1
	s_ashr_i32 s3, s3, 31
	v_lshlrev_b32_e32 v2, 7, v34
	v_ashrrev_i32_e32 v3, 31, v2
	v_mul_f32_e32 v1, 0x4f7ffffe, v1
	v_cvt_u32_f32_e32 v1, v1
	v_lshrrev_b32_e32 v45, 3, v40
	s_mul_i32 s33, s24, s21
	s_mul_hi_u32 s40, s24, s20
	v_readfirstlane_b32 s7, v1
	s_mul_i32 s6, s6, s7
	s_mul_hi_u32 s6, s7, s6
	s_add_i32 s7, s7, s6
	s_mul_hi_u32 s6, s5, s7
	s_mul_i32 s7, s6, s4
	s_sub_i32 s5, s5, s7
	s_add_i32 s7, s6, 1
	s_sub_i32 s8, s5, s4
	s_cmp_ge_u32 s5, s4
	s_cselect_b32 s6, s7, s6
	s_cselect_b32 s5, s8, s5
	s_add_i32 s7, s6, 1
	s_cmp_ge_u32 s5, s4
	s_cselect_b32 s4, s7, s6
	s_xor_b32 s4, s4, s3
	s_sub_i32 s49, s4, s3
	s_ashr_i32 s47, s45, 31
	s_mul_hi_i32 s3, s24, s13
	s_add_u32 s4, s28, s45
	s_addc_u32 s5, s3, s47
	s_lshl_b64 s[4:5], s[4:5], 15
	v_lshlrev_b32_e32 v1, 4, v41
	s_add_u32 s4, s16, s4
	v_lshl_or_b32 v46, v42, 2, v1
	s_addc_u32 s5, s17, s5
	v_lshl_add_u64 v[2:3], v[2:3], 1, s[4:5]
	v_lshlrev_b32_e32 v4, 1, v46
	v_lshl_add_u64 v[2:3], v[2:3], 0, v[4:5]
	global_load_dwordx2 v[4:5], v[2:3], off
	global_load_dwordx2 v[6:7], v[2:3], off offset:128
	s_load_dwordx8 s[4:11], s[0:1], 0x0
	s_load_dwordx2 s[28:29], s[0:1], 0x80
	s_load_dword s52, s[26:27], 0x0
	v_or_b32_e32 v47, 64, v46
	s_mul_i32 s36, s24, s20
	s_mul_i32 s41, s25, s20
	s_mul_hi_i32 s50, s45, s12
	s_mul_i32 s51, s45, s12
	s_mul_i32 s42, s45, s23
	s_mul_hi_u32 s43, s45, s22
	s_mul_i32 s44, s47, s22
	s_cmp_lt_i32 s48, 64
	s_mul_i32 s34, s45, s22
	s_waitcnt vmcnt(1)
	v_and_b32_e32 v48, 0xffff0000, v4
	v_lshlrev_b32_e32 v50, 16, v4
	v_and_b32_e32 v54, 0xffff0000, v5
	v_lshlrev_b32_e32 v52, 16, v5
	s_waitcnt vmcnt(0)
	v_and_b32_e32 v49, 0xffff0000, v6
	v_lshlrev_b32_e32 v51, 16, v6
	v_and_b32_e32 v55, 0xffff0000, v7
	v_lshlrev_b32_e32 v53, 16, v7
	s_cbranch_scc1 .LBB564_3
; %bb.1:
	s_ashr_i32 s1, s30, 31
	s_add_u32 s0, s51, s30
	s_addc_u32 s1, s50, s1
	s_lshl_b64 s[0:1], s[0:1], 8
	v_and_b32_e32 v57, 56, v44
	s_waitcnt lgkmcnt(0)
	s_add_u32 s20, s6, s0
	v_lshl_or_b32 v56, v41, 3, v45
	v_lshlrev_b32_e32 v2, 1, v57
	s_addc_u32 s0, s7, s1
	v_lshl_or_b32 v58, v56, 8, v2
	s_and_b32 s21, s0, 0xffff
	s_mov_b32 s23, 0x20000
	s_movk_i32 s22, 0x4000
	s_movk_i32 s0, 0x80
	v_or_b32_e32 v59, 0x2000, v58
	buffer_load_dwordx4 v[4:7], v58, s[20:23], 0 offen
	buffer_load_dwordx4 v[8:11], v58, s[20:23], s0 offen
	;; [unrolled: 1-line block ×4, first 2 shown]
	v_lshlrev_b32_e32 v3, 3, v56
	v_and_or_b32 v21, v0, 7, v3
	v_and_b32_e32 v3, 0x78, v3
	v_lshlrev_b32_e32 v21, 4, v21
	v_xor_b32_e32 v60, v21, v3
	v_mul_lo_u32 v20, v56, s15
	v_or_b32_e32 v61, 0x1000, v60
	v_xor_b32_e32 v3, 8, v60
	s_cmpk_eq_i32 s15, 0x80
	s_mov_b32 s53, s30
	v_xor_b32_e32 v21, 8, v61
	s_cselect_b64 s[0:1], -1, 0
	s_cmpk_lg_i32 s15, 0x80
	s_waitcnt vmcnt(3)
	ds_write_b64 v60, v[4:5] offset:16384
	ds_write_b64 v3, v[6:7] offset:16384
	s_waitcnt vmcnt(2)
	ds_write_b64 v60, v[8:9] offset:24576
	ds_write_b64 v3, v[10:11] offset:24576
	;; [unrolled: 3-line block ×4, first 2 shown]
	v_lshl_add_u32 v3, v20, 1, v57
	s_cbranch_scc0 .LBB564_29
; %bb.2:
	v_lshlrev_b32_e32 v5, 1, v3
	v_add_lshl_u32 v4, v3, s15, 1
	s_lshl_b32 s22, s15, 7
	v_lshl_or_b32 v2, v56, 9, v2
	s_cbranch_execz .LBB564_30
	s_branch .LBB564_31
.LBB564_3:
	v_mov_b32_e32 v2, v55
	v_mov_b32_e32 v3, v54
.LBB564_4:
	s_lshl_b32 s26, s46, 6
	s_sub_i32 s27, s48, s26
	s_cmp_gt_i32 s27, 0
	s_cbranch_scc0 .LBB564_76
; %bb.5:
	s_add_i32 s26, s26, s30
	s_ashr_i32 s3, s26, 31
	s_cmpk_lg_i32 s15, 0x80
	s_cselect_b64 s[22:23], -1, 0
	s_and_b64 vcc, exec, s[22:23]
	s_cbranch_vccz .LBB564_7
; %bb.6:
	s_mul_hi_i32 s0, s26, s14
	s_mul_i32 s1, s26, s14
	s_ashr_i32 s14, s49, 31
	s_add_u32 s24, s1, s49
	s_addc_u32 s25, s0, s14
	s_cbranch_execz .LBB564_8
	s_branch .LBB564_9
.LBB564_7:
                                        ; implicit-def: $sgpr24_sgpr25
.LBB564_8:
	s_mul_i32 s1, s49, s12
	s_mul_hi_i32 s0, s49, s12
	s_add_u32 s24, s1, s26
	s_addc_u32 s25, s0, s3
.LBB564_9:
	s_waitcnt lgkmcnt(0)
	s_add_i32 s12, s46, s52
	s_add_u32 s0, s51, s26
	s_addc_u32 s1, s50, s3
	s_mov_b32 s3, 0x7060302
	v_lshlrev_b32_e32 v6, 3, v43
	v_perm_b32 v5, v3, v52, s3
	v_perm_b32 v4, v48, v50, s3
	;; [unrolled: 1-line block ×4, first 2 shown]
	v_lshlrev_b32_e32 v36, 2, v43
	v_lshl_or_b32 v6, v46, 5, v6
	s_lshl_b64 s[20:21], s[0:1], 8
	ds_write2st64_b64 v6, v[4:5], v[2:3] offset0:72 offset1:76
	v_xor_b32_e32 v6, v46, v36
	v_lshlrev_b32_e32 v7, 8, v43
	s_add_u32 s0, s6, s20
	v_lshl_or_b32 v6, v6, 1, v7
	s_addc_u32 s1, s7, s21
	ds_write_b64 v6, v[4:5] offset:32768
	v_xor_b32_e32 v4, v47, v36
	s_mul_hi_i32 s3, s12, s13
	s_mul_i32 s12, s12, s13
	v_lshl_or_b32 v4, v4, 1, v7
	s_add_u32 s6, s12, s45
	ds_write_b64 v4, v[2:3] offset:32768
	s_addc_u32 s7, s3, s47
	v_lshlrev_b32_e32 v3, 1, v43
	v_lshrrev_b32_e32 v2, 4, v0
	s_ashr_i32 s3, s2, 31
	s_lshl_b64 s[6:7], s[6:7], 15
	v_or_b32_e32 v4, 1, v3
	s_add_u32 s6, s18, s6
	v_xor_b32_e32 v3, v2, v3
	v_xor_b32_e32 v4, v4, v2
	v_lshlrev_b32_e32 v6, 8, v2
	s_addc_u32 s7, s19, s7
	s_lshl_b64 s[2:3], s[2:3], 8
	v_lshl_or_b32 v2, v3, 3, v6
	v_lshl_or_b32 v4, v4, 3, v6
	s_waitcnt lgkmcnt(0)
	s_barrier
	s_add_u32 s2, s6, s2
	ds_read_b64 v[2:3], v2 offset:32768
	ds_read_b64 v[4:5], v4 offset:32768
	s_addc_u32 s3, s7, s3
	v_mov_b32_e32 v7, 0
	s_cmp_lg_u32 s27, 64
	v_lshl_add_u64 v[8:9], s[2:3], 0, v[6:7]
	v_lshlrev_b32_e32 v6, 4, v43
	s_cselect_b64 s[6:7], -1, 0
	v_lshl_or_b32 v35, v41, 3, v45
	s_mov_b32 s16, 0
	v_lshl_add_u64 v[6:7], v[8:9], 0, v[6:7]
	s_waitcnt vmcnt(1)
	v_or_b32_e32 v19, 32, v35
	v_and_b32_e32 v18, 56, v44
	s_and_b64 vcc, exec, s[6:7]
	s_waitcnt lgkmcnt(0)
	global_store_dwordx4 v[6:7], v[2:5], off
	s_cbranch_vccz .LBB564_15
; %bb.10:
	s_mov_b32 s17, s16
	s_mov_b32 s18, s16
	;; [unrolled: 1-line block ×3, first 2 shown]
	v_mov_b64_e32 v[6:7], s[16:17]
	v_mov_b64_e32 v[8:9], s[18:19]
	;; [unrolled: 1-line block ×3, first 2 shown]
	v_cmp_gt_i32_e32 vcc, s27, v35
	v_mov_b64_e32 v[4:5], v[8:9]
	s_and_saveexec_b64 s[2:3], vcc
	s_cbranch_execz .LBB564_12
; %bb.11:
	v_lshlrev_b32_e32 v2, 8, v35
	v_mov_b32_e32 v3, 0
	v_lshl_add_u64 v[4:5], s[0:1], 0, v[2:3]
	v_lshlrev_b32_e32 v2, 1, v18
	v_lshl_add_u64 v[10:11], v[4:5], 0, v[2:3]
	global_load_dwordx4 v[6:9], v[10:11], off
	global_load_dwordx4 v[2:5], v[10:11], off offset:128
.LBB564_12:
	s_or_b64 exec, exec, s[2:3]
	s_mov_b32 s17, s16
	s_mov_b32 s18, s16
	s_mov_b32 s19, s16
	v_mov_b64_e32 v[14:15], s[16:17]
	v_mov_b64_e32 v[16:17], s[18:19]
	;; [unrolled: 1-line block ×3, first 2 shown]
	v_cmp_gt_i32_e32 vcc, s27, v19
	v_lshlrev_b32_e32 v20, 7, v19
	v_mov_b64_e32 v[12:13], v[16:17]
	s_and_saveexec_b64 s[2:3], vcc
	s_cbranch_execz .LBB564_14
; %bb.13:
	v_lshlrev_b32_e32 v10, 1, v20
	v_mov_b32_e32 v11, 0
	v_lshl_add_u64 v[12:13], s[0:1], 0, v[10:11]
	v_lshlrev_b32_e32 v10, 1, v18
	v_lshl_add_u64 v[22:23], v[12:13], 0, v[10:11]
	global_load_dwordx4 v[14:17], v[22:23], off
	global_load_dwordx4 v[10:13], v[22:23], off offset:128
.LBB564_14:
	s_or_b64 exec, exec, s[2:3]
	v_lshrrev_b32_e32 v21, 3, v18
	v_lshlrev_b32_e32 v22, 3, v35
	v_or_b32_e32 v21, v22, v21
	v_lshlrev_b32_e32 v21, 4, v21
	v_and_b32_e32 v22, 0x78, v22
	v_xor_b32_e32 v21, v21, v22
	s_branch .LBB564_17
.LBB564_15:
                                        ; implicit-def: $vgpr21
                                        ; implicit-def: $vgpr20
                                        ; implicit-def: $vgpr6_vgpr7_vgpr8_vgpr9
                                        ; implicit-def: $vgpr2_vgpr3_vgpr4_vgpr5
                                        ; implicit-def: $vgpr14_vgpr15_vgpr16_vgpr17
                                        ; implicit-def: $vgpr10_vgpr11_vgpr12_vgpr13
	s_cbranch_execz .LBB564_17
; %bb.16:
	s_waitcnt vmcnt(0)
	v_lshlrev_b32_e32 v2, 1, v18
	v_lshl_or_b32 v20, v35, 8, v2
	s_and_b32 s1, s1, 0xffff
	s_mov_b32 s3, 0x20000
	s_movk_i32 s2, 0x4000
	v_lshl_or_b32 v21, v19, 8, v2
	s_movk_i32 s12, 0x80
	buffer_load_dwordx4 v[6:9], v20, s[0:3], 0 offen
	buffer_load_dwordx4 v[2:5], v20, s[0:3], s12 offen
	;; [unrolled: 1-line block ×4, first 2 shown]
	v_lshrrev_b32_e32 v20, 3, v18
	v_lshlrev_b32_e32 v21, 3, v35
	v_or_b32_e32 v20, v21, v20
	v_lshlrev_b32_e32 v20, 4, v20
	v_and_b32_e32 v21, 0x78, v21
	v_xor_b32_e32 v21, v20, v21
	v_lshlrev_b32_e32 v20, 7, v19
.LBB564_17:
	s_lshl_b64 s[0:1], s[24:25], 8
	s_add_u32 s4, s4, s0
	s_movk_i32 s0, 0x1000
	v_and_or_b32 v19, v20, s0, v21
	s_waitcnt vmcnt(1)
	ds_write_b64 v21, v[6:7] offset:16384
	v_xor_b32_e32 v6, 8, v21
	ds_write_b64 v6, v[8:9] offset:16384
	s_waitcnt vmcnt(0)
	ds_write_b64 v21, v[2:3] offset:24576
	ds_write_b64 v6, v[4:5] offset:24576
	ds_write_b64 v19, v[14:15] offset:16384
	v_xor_b32_e32 v2, 8, v19
	ds_write_b64 v2, v[16:17] offset:16384
	ds_write_b64 v19, v[10:11] offset:24576
	;; [unrolled: 1-line block ×3, first 2 shown]
	v_or_b32_e32 v2, v1, v43
	v_lshlrev_b32_e32 v2, 3, v2
	v_lshrrev_b32_e32 v4, 5, v40
	s_movk_i32 s12, 0xf8
	v_and_or_b32 v4, v2, s12, v4
	v_lshlrev_b32_e32 v3, 11, v41
	v_lshlrev_b32_e32 v12, 4, v4
	v_and_b32_e32 v13, 0x78, v2
	v_and_b32_e32 v14, 0x1000, v3
	v_lshlrev_b32_e32 v3, 2, v0
	v_xor_b32_e32 v2, v12, v13
	v_lshrrev_b32_e32 v4, 1, v40
	v_and_b32_e32 v3, 60, v3
	v_or_b32_e32 v2, v2, v14
	v_and_b32_e32 v15, 8, v4
	v_xor_b32_e32 v26, v2, v15
	v_lshl_or_b32 v2, v42, 6, v3
	v_lshlrev_b32_e32 v19, 1, v2
	v_or_b32_e32 v2, 32, v12
	v_xor_b32_e32 v2, v2, v13
	s_waitcnt lgkmcnt(0)
	s_barrier
	ds_read_b64 v[10:11], v26 offset:16384
	v_or_b32_e32 v2, v2, v14
	v_xor_b32_e32 v27, v2, v15
	v_or_b32_e32 v2, 64, v12
	v_xor_b32_e32 v2, v2, v13
	v_or_b32_e32 v2, v2, v14
	v_or_b32_e32 v12, 0x60, v12
	v_xor_b32_e32 v28, v2, v15
	ds_read2st64_b64 v[2:5], v19 offset0:72 offset1:73
	ds_read2st64_b64 v[6:9], v19 offset0:74 offset1:75
	v_xor_b32_e32 v16, v12, v13
	ds_read_b64 v[12:13], v27 offset:16384
	s_addc_u32 s5, s5, s1
	s_add_i32 s1, s40, s33
	s_waitcnt lgkmcnt(2)
	v_mfma_f32_16x16x16_bf16 a[0:3], v[10:11], v[2:3], 0
	s_add_i32 s0, s31, -1
	s_add_i32 s37, s1, s41
	s_add_i32 s1, s43, s42
	;; [unrolled: 1-line block ×3, first 2 shown]
	s_ashr_i32 s1, s0, 31
	s_mul_i32 s2, s0, s29
	s_mul_hi_u32 s3, s0, s28
	s_add_i32 s2, s3, s2
	s_mul_i32 s1, s1, s28
	v_or_b32_e32 v14, v16, v14
	s_add_i32 s1, s2, s1
	s_lshl_b64 s[2:3], s[36:37], 2
	v_xor_b32_e32 v37, v14, v15
	ds_read_b64 v[14:15], v28 offset:16384
	ds_read_b64 v[16:17], v37 offset:16384
	s_waitcnt lgkmcnt(2)
	v_mfma_f32_16x16x16_bf16 a[0:3], v[12:13], v[4:5], a[0:3]
	s_add_u32 s10, s10, s2
	s_addc_u32 s11, s11, s3
	s_lshl_b64 s[2:3], s[34:35], 2
	s_mul_i32 s0, s0, s28
	s_add_u32 s10, s10, s2
	s_addc_u32 s11, s11, s3
	s_lshl_b64 s[0:1], s[0:1], 2
	s_waitcnt lgkmcnt(1)
	v_mfma_f32_16x16x16_bf16 a[0:3], v[14:15], v[6:7], a[0:3]
	s_add_u32 s0, s10, s0
	s_addc_u32 s1, s11, s1
	s_load_dword s12, s[0:1], 0x0
	s_waitcnt lgkmcnt(0)
	v_mfma_f32_16x16x16_bf16 a[0:3], v[16:17], v[8:9], a[0:3]
	s_and_b64 vcc, exec, s[22:23]
	s_cbranch_vccz .LBB564_28
; %bb.18:
	v_lshlrev_b32_e32 v20, 1, v35
	s_and_b64 vcc, exec, s[6:7]
	s_cbranch_vccz .LBB564_44
; %bb.19:
	v_cmp_gt_i32_e32 vcc, s27, v20
	v_mov_b32_e32 v6, 0
	v_mov_b32_e32 v2, 0
	;; [unrolled: 1-line block ×5, first 2 shown]
	s_and_saveexec_b64 s[0:1], vcc
	s_cbranch_execz .LBB564_21
; %bb.20:
	v_mad_i64_i32 v[2:3], s[2:3], s15, v20, 0
	v_lshl_add_u64 v[2:3], v[2:3], 1, s[4:5]
	v_lshlrev_b32_e32 v4, 1, v18
	v_mov_b32_e32 v5, 0
	v_lshl_add_u64 v[2:3], v[2:3], 0, v[4:5]
	global_load_dwordx4 v[2:5], v[2:3], off
.LBB564_21:
	s_or_b64 exec, exec, s[0:1]
	v_or_b32_e32 v21, 1, v20
	v_cmp_gt_i32_e64 s[0:1], s27, v21
	v_mov_b32_e32 v7, 0
	v_mov_b32_e32 v8, 0
	v_mov_b32_e32 v9, 0
	s_and_saveexec_b64 s[2:3], s[0:1]
	s_cbranch_execz .LBB564_23
; %bb.22:
	v_mad_i64_i32 v[6:7], s[16:17], s15, v21, 0
	v_lshl_add_u64 v[6:7], v[6:7], 1, s[4:5]
	v_lshlrev_b32_e32 v8, 1, v18
	v_mov_b32_e32 v9, 0
	v_lshl_add_u64 v[6:7], v[6:7], 0, v[8:9]
	global_load_dwordx4 v[6:9], v[6:7], off
.LBB564_23:
	s_or_b64 exec, exec, s[2:3]
	v_mov_b32_e32 v17, 0
	v_mov_b32_e32 v10, 0
	;; [unrolled: 1-line block ×5, first 2 shown]
	s_and_saveexec_b64 s[2:3], vcc
	s_cbranch_execz .LBB564_25
; %bb.24:
	v_mad_i64_i32 v[10:11], s[16:17], s15, v20, 0
	v_lshl_add_u64 v[10:11], v[10:11], 1, s[4:5]
	v_lshlrev_b32_e32 v12, 1, v18
	v_mov_b32_e32 v13, 0
	v_lshl_add_u64 v[10:11], v[10:11], 0, v[12:13]
	global_load_dwordx4 v[10:13], v[10:11], off offset:128
.LBB564_25:
	s_or_b64 exec, exec, s[2:3]
	v_mov_b32_e32 v16, 0
	v_mov_b32_e32 v15, 0
	v_mov_b32_e32 v14, 0
	s_and_saveexec_b64 s[2:3], s[0:1]
	s_cbranch_execz .LBB564_27
; %bb.26:
	v_mad_i64_i32 v[14:15], s[0:1], s15, v21, 0
	v_lshl_add_u64 v[14:15], v[14:15], 1, s[4:5]
	v_lshlrev_b32_e32 v16, 1, v18
	v_mov_b32_e32 v17, 0
	v_lshl_add_u64 v[14:15], v[14:15], 0, v[16:17]
	global_load_dwordx4 v[14:17], v[14:15], off offset:128
.LBB564_27:
	s_or_b64 exec, exec, s[2:3]
	s_branch .LBB564_46
.LBB564_28:
                                        ; implicit-def: $vgpr5
                                        ; implicit-def: $vgpr9
                                        ; implicit-def: $vgpr13
                                        ; implicit-def: $vgpr17
	v_lshrrev_b32_e32 v38, 2, v40
	s_branch .LBB564_47
.LBB564_29:
                                        ; implicit-def: $vgpr4
                                        ; implicit-def: $vgpr5
                                        ; implicit-def: $sgpr22
	v_lshl_or_b32 v2, v56, 9, v2
.LBB564_30:
	v_or_b32_e32 v4, 0x100, v2
	s_movk_i32 s22, 0x4000
	v_mov_b32_e32 v5, v2
.LBB564_31:
	s_mul_i32 s16, s30, s14
	s_ashr_i32 s54, s49, 31
	s_mul_hi_i32 s3, s30, s14
	s_add_u32 s16, s16, s49
	s_addc_u32 s17, s3, s54
	s_lshl_b64 s[16:17], s[16:17], 8
	s_add_u32 s20, s4, s16
	s_addc_u32 s3, s5, s17
	s_and_b32 s21, s3, 0xffff
	s_movk_i32 s55, 0x80
	buffer_load_dwordx4 v[6:9], v5, s[20:23], 0 offen
	buffer_load_dwordx4 v[10:13], v5, s[20:23], s55 offen
	;; [unrolled: 1-line block ×4, first 2 shown]
	v_and_b32_e32 v4, 6, v0
	v_lshlrev_b32_e32 v22, 2, v43
	v_lshlrev_b32_e32 v23, 3, v43
	v_xor_b32_e32 v26, v56, v4
	v_and_b32_e32 v5, 1, v0
	v_lshl_or_b32 v23, v46, 5, v23
	v_xor_b32_e32 v27, v46, v22
	v_lshlrev_b32_e32 v26, 2, v26
	v_or_b32_e32 v62, 0x9000, v23
	v_or_b32_e32 v63, 0x9800, v23
	v_lshlrev_b32_e32 v23, 1, v27
	v_xor_b32_e32 v27, 0x440, v26
	v_cmp_eq_u32_e32 vcc, 0, v5
	s_add_i32 s3, s40, s33
	s_add_i32 s16, s43, s42
	v_cndmask_b32_e32 v5, v27, v26, vcc
	s_add_i32 s37, s3, s41
	v_lshl_or_b32 v4, v4, 10, v5
	s_add_i32 s35, s16, s44
	s_lshl_b64 s[16:17], s[36:37], 2
	s_mov_b32 s56, 0x1000504
	v_lshlrev_b32_e32 v24, 8, v43
	s_mov_b32 s22, 0x8000
	v_xor_b32_e32 v22, v47, v22
	v_xor_b32_e32 v5, 8, v4
	s_add_u32 s3, s10, s16
	s_mov_b32 s57, 0x3020706
	v_or_b32_e32 v25, v1, v43
	v_lshlrev_b32_e32 v22, 1, v22
	v_or3_b32 v64, v23, v24, s22
	v_xor_b32_e32 v23, 24, v4
	v_xor_b32_e32 v26, 40, v4
	v_xor_b32_e32 v28, 56, v4
	v_add_u32_e32 v5, 0x80, v5
	s_addc_u32 s20, s11, s17
	s_lshl_b64 s[16:17], s[34:35], 2
	v_lshlrev_b32_e32 v25, 3, v25
	v_or3_b32 v65, v22, v24, s22
	v_xor_b32_e32 v22, 16, v4
	v_xor_b32_e32 v24, 32, v4
	;; [unrolled: 1-line block ×3, first 2 shown]
	v_add_u32_e32 v23, 0x80, v23
	v_add_u32_e32 v26, 0x80, v26
	;; [unrolled: 1-line block ×3, first 2 shown]
	s_add_u32 s16, s3, s16
	s_movk_i32 s3, 0xf8
	s_addc_u32 s17, s20, s17
	v_ashrrev_i32_e32 v35, 31, v34
	s_lshl_b32 s26, s15, 7
	s_mov_b32 s58, 0
	s_waitcnt vmcnt(1)
	v_perm_b32 v29, v6, v14, s56
	s_waitcnt vmcnt(0)
	v_perm_b32 v30, v10, v18, s56
	v_perm_b32 v6, v6, v14, s57
	;; [unrolled: 1-line block ×15, first 2 shown]
	ds_write2st64_b32 v4, v29, v30 offset1:32
	ds_write2st64_b32 v5, v6, v10 offset1:32
	ds_write2st64_b32 v22, v14, v18 offset0:1 offset1:33
	ds_write2st64_b32 v23, v7, v11 offset0:1 offset1:33
	;; [unrolled: 1-line block ×6, first 2 shown]
	v_lshrrev_b32_e32 v5, 5, v40
	v_and_or_b32 v5, v25, s3, v5
	v_lshlrev_b32_e32 v5, 4, v5
	v_lshlrev_b32_e32 v10, 11, v41
	v_and_b32_e32 v6, 0x78, v25
	v_or_b32_e32 v9, 32, v5
	v_and_b32_e32 v4, 0x1000, v10
	v_xor_b32_e32 v7, v5, v6
	v_lshrrev_b32_e32 v11, 1, v0
	v_xor_b32_e32 v9, v9, v6
	v_or_b32_e32 v7, v7, v4
	v_and_b32_e32 v8, 8, v11
	v_or_b32_e32 v9, v9, v4
	v_xor_b32_e32 v66, v7, v8
	v_and_b32_e32 v7, 0x78, v44
	v_xor_b32_e32 v68, v9, v8
	v_or_b32_e32 v9, 64, v5
	v_or_b32_e32 v5, 0x60, v5
	v_lshl_or_b32 v7, v42, 7, v7
	v_xor_b32_e32 v9, v9, v6
	v_xor_b32_e32 v5, v5, v6
	v_or_b32_e32 v67, 0x9000, v7
	v_or_b32_e32 v9, v9, v4
	v_or_b32_e32 v4, v5, v4
	v_or_b32_e32 v71, 0x9800, v7
	v_lshrrev_b32_e32 v6, 4, v0
	v_lshlrev_b32_e32 v7, 1, v43
	v_xor_b32_e32 v69, v9, v8
	v_xor_b32_e32 v70, v4, v8
	s_ashr_i32 s3, s2, 31
	v_or_b32_e32 v8, 1, v7
	v_xor_b32_e32 v7, v6, v7
	s_lshl_b64 s[20:21], s[2:3], 8
	v_xor_b32_e32 v8, v8, v6
	v_lshlrev_b32_e32 v7, 3, v7
	v_lshlrev_b32_e32 v6, 8, v6
	v_lshl_add_u64 v[4:5], v[34:35], 1, s[8:9]
	s_add_u32 s20, s18, s20
	v_or3_b32 v35, v7, v6, s22
	v_lshlrev_b32_e32 v7, 3, v8
	s_addc_u32 s21, s19, s21
	v_or3_b32 v72, v7, v6, s22
	v_mov_b32_e32 v7, 0
	v_lshl_add_u64 v[8:9], s[20:21], 0, v[6:7]
	v_lshlrev_b32_e32 v6, 4, v43
	s_movk_i32 s3, 0xff
	v_lshlrev_b32_e32 v15, 3, v41
	v_and_b32_e32 v11, 24, v11
	v_lshl_add_u64 v[36:37], v[8:9], 0, v[6:7]
	v_and_b32_e32 v8, 8, v0
	v_cmp_lt_u32_e32 vcc, s3, v0
	v_xor_b32_e32 v16, v15, v11
	v_or_b32_e32 v17, 0x440, v16
	v_cndmask_b32_e64 v14, 0, 1, vcc
	v_cmp_eq_u32_e32 vcc, 0, v8
	v_and_b32_e32 v6, 7, v0
	v_lshlrev_b32_e32 v9, 3, v6
	v_cndmask_b32_e32 v8, v17, v16, vcc
	v_lshlrev_b32_e32 v6, 7, v6
	v_or_b32_e32 v8, v8, v10
	v_xad_u32 v73, v8, v9, v6
	v_or_b32_e32 v8, 32, v11
	v_xor_b32_e32 v8, v15, v8
	v_or_b32_e32 v16, 0x440, v8
	v_cndmask_b32_e32 v8, v16, v8, vcc
	v_or_b32_e32 v8, v8, v10
	v_xad_u32 v74, v8, v9, v6
	v_or_b32_e32 v8, 64, v11
	v_xor_b32_e32 v8, v15, v8
	v_xor_b32_e32 v16, 0x440, v8
	v_cndmask_b32_e32 v8, v16, v8, vcc
	v_or_b32_e32 v8, v8, v10
	v_xad_u32 v75, v8, v9, v6
	v_or_b32_e32 v8, 0x60, v11
	v_xor_b32_e32 v8, v15, v8
	v_xor_b32_e32 v11, 0x440, v8
	v_cndmask_b32_e32 v8, v11, v8, vcc
	v_or_b32_e32 v8, v8, v10
	v_lshlrev_b32_e32 v12, 1, v3
	v_add_lshl_u32 v3, v3, s15, 1
	v_or_b32_e32 v13, 0x100, v2
	v_lshlrev_b32_e32 v14, 13, v14
	v_xad_u32 v76, v8, v9, v6
	v_lshlrev_b32_e32 v6, 8, v46
	v_cndmask_b32_e64 v77, v12, v2, s[0:1]
	v_cndmask_b32_e64 v78, v3, v13, s[0:1]
	v_lshl_add_u64 v[38:39], v[4:5], 0, v[6:7]
	s_mov_b32 s3, 0x7060302
	s_movk_i32 s22, 0x4000
	v_add_u32_e32 v79, v14, v73
	v_add_u32_e32 v80, v14, v74
	;; [unrolled: 1-line block ×4, first 2 shown]
	s_waitcnt lgkmcnt(0)
	s_barrier
.LBB564_32:                             ; =>This Inner Loop Header: Depth=1
	s_add_i32 s35, s58, 1
	s_cmp_lt_i32 s35, s46
	s_mov_b64 s[24:25], 0
	s_cselect_b64 s[38:39], -1, 0
	s_cmp_ge_i32 s35, s46
	s_mov_b64 s[20:21], 0
	s_cbranch_scc1 .LBB564_34
; %bb.33:                               ;   in Loop: Header=BB564_32 Depth=1
	s_add_i32 s0, s53, 64
	s_ashr_i32 s1, s0, 31
	s_add_u32 s0, s51, s0
	s_addc_u32 s1, s50, s1
	s_lshl_b64 s[0:1], s[0:1], 8
	s_add_u32 s20, s6, s0
	s_addc_u32 s21, s7, s1
.LBB564_34:                             ;   in Loop: Header=BB564_32 Depth=1
	v_cndmask_b32_e64 v2, 0, 1, s[38:39]
	v_cmp_ne_u32_e64 s[0:1], 1, v2
	s_andn2_b64 vcc, exec, s[38:39]
	s_cbranch_vccnz .LBB564_36
; %bb.35:                               ;   in Loop: Header=BB564_32 Depth=1
	s_add_i32 s24, s53, 64
	s_mul_hi_i32 s25, s24, s14
	s_mul_i32 s24, s24, s14
	s_add_u32 s24, s24, s49
	s_addc_u32 s25, s25, s54
	s_lshl_b64 s[24:25], s[24:25], 8
	s_add_u32 s24, s4, s24
	s_addc_u32 s25, s5, s25
.LBB564_36:                             ;   in Loop: Header=BB564_32 Depth=1
	v_perm_b32 v3, v54, v52, s3
	v_perm_b32 v2, v48, v50, s3
	;; [unrolled: 1-line block ×4, first 2 shown]
	ds_write_b64 v62, v[2:3]
	ds_write_b64 v63, v[4:5]
	;; [unrolled: 1-line block ×4, first 2 shown]
	s_waitcnt lgkmcnt(0)
	s_barrier
	ds_read_b64 v[10:11], v66 offset:16384
	ds_read_b64 v[12:13], v68 offset:16384
	ds_read2st64_b64 v[2:5], v67 offset1:1
	s_waitcnt lgkmcnt(0)
	v_mfma_f32_16x16x16_bf16 a[0:3], v[10:11], v[2:3], 0
	ds_read2st64_b64 v[6:9], v67 offset0:2 offset1:3
	ds_read_b64 v[14:15], v69 offset:16384
	ds_read_b64 v[2:3], v70 offset:16384
	s_add_i32 s27, s53, 63
	v_mfma_f32_16x16x16_bf16 a[0:3], v[12:13], v[4:5], a[0:3]
	s_ashr_i32 s37, s27, 31
	s_mul_i32 s38, s27, s29
	s_mul_hi_u32 s39, s27, s28
	s_waitcnt lgkmcnt(1)
	v_mfma_f32_16x16x16_bf16 a[0:3], v[14:15], v[6:7], a[0:3]
	s_add_i32 s38, s39, s38
	s_mul_i32 s37, s37, s28
	s_add_i32 s39, s38, s37
	s_mul_i32 s38, s27, s28
	s_waitcnt lgkmcnt(0)
	v_mfma_f32_16x16x16_bf16 a[0:3], v[2:3], v[8:9], a[0:3]
	s_lshl_b64 s[38:39], s[38:39], 2
	s_add_u32 s38, s16, s38
	s_addc_u32 s39, s17, s39
	s_and_b64 vcc, exec, s[0:1]
	v_mov_b32_e32 v85, 0
	v_mov_b32_e32 v84, 0
	;; [unrolled: 1-line block ×19, first 2 shown]
	s_cbranch_vccnz .LBB564_38
; %bb.37:                               ;   in Loop: Header=BB564_32 Depth=1
	s_and_b32 s21, s21, 0xffff
	buffer_load_dwordx4 v[14:17], v58, s[20:23], 0 offen
	buffer_load_dwordx4 v[10:13], v58, s[20:23], s55 offen
	;; [unrolled: 1-line block ×4, first 2 shown]
	v_mov_b32_e32 v84, v60
	v_mov_b32_e32 v83, v61
.LBB564_38:                             ;   in Loop: Header=BB564_32 Depth=1
	s_waitcnt vmcnt(3)
	v_add_u32_e32 v22, s53, v46
	s_waitcnt vmcnt(1)
	v_ashrrev_i32_e32 v18, 31, v22
	v_mul_lo_u32 v20, v18, s28
	v_mul_lo_u32 v21, v22, s29
	v_mad_u64_u32 v[18:19], s[20:21], v22, s28, 0
	v_add3_u32 v19, v19, v21, v20
	v_lshl_add_u64 v[18:19], v[18:19], 2, s[16:17]
	global_load_dword v87, v[18:19], off
	v_add_u32_e32 v18, 1, v22
	v_ashrrev_i32_e32 v19, 31, v18
	v_mul_lo_u32 v20, v19, s28
	v_mul_lo_u32 v21, v18, s29
	v_mad_u64_u32 v[18:19], s[20:21], v18, s28, 0
	v_add3_u32 v19, v19, v21, v20
	v_add_u32_e32 v20, 2, v22
	v_ashrrev_i32_e32 v21, 31, v20
	v_mul_lo_u32 v23, v21, s28
	v_mul_lo_u32 v24, v20, s29
	v_mad_u64_u32 v[20:21], s[20:21], v20, s28, 0
	v_add_u32_e32 v22, 3, v22
	v_add3_u32 v21, v21, v24, v23
	v_ashrrev_i32_e32 v23, 31, v22
	v_mul_lo_u32 v26, v23, s28
	v_mul_lo_u32 v27, v22, s29
	v_mad_u64_u32 v[22:23], s[20:21], v22, s28, 0
	s_ashr_i32 s21, s53, 31
	s_add_u32 s20, s51, s53
	s_addc_u32 s21, s50, s21
	s_lshl_b64 s[20:21], s[20:21], 8
	v_lshl_add_u64 v[18:19], v[18:19], 2, s[16:17]
	v_lshl_add_u64 v[24:25], v[38:39], 0, s[20:21]
	v_add3_u32 v23, v23, v27, v26
	v_lshl_add_u64 v[20:21], v[20:21], 2, s[16:17]
	global_load_ushort v94, v[24:25], off
	global_load_ushort v95, v[24:25], off offset:256
	global_load_ushort v96, v[24:25], off offset:512
	global_load_ushort v97, v[24:25], off offset:768
	v_lshl_add_u64 v[22:23], v[22:23], 2, s[16:17]
	global_load_dword v98, v[18:19], off
	global_load_dword v99, v[20:21], off
	;; [unrolled: 1-line block ×3, first 2 shown]
	s_load_dword s20, s[38:39], 0x0
	ds_read2st64_b64 v[26:29], v71 offset1:1
	ds_read2st64_b64 v[30:33], v71 offset0:2 offset1:3
	ds_read_b64 v[24:25], v66 offset:24576
	ds_read_b64 v[88:89], v68 offset:24576
	;; [unrolled: 1-line block ×4, first 2 shown]
	s_waitcnt lgkmcnt(0)
	v_mfma_f32_16x16x16_bf16 a[0:3], v[24:25], v[26:27], a[0:3]
	v_mov_b32_e32 v86, 0
	v_mov_b32_e32 v18, 0
	v_mov_b32_e32 v19, 0
	v_mfma_f32_16x16x16_bf16 a[0:3], v[88:89], v[28:29], a[0:3]
	v_mov_b32_e32 v20, 0
	v_mov_b32_e32 v21, 0
	v_mov_b32_e32 v22, 0
	v_mfma_f32_16x16x16_bf16 a[0:3], v[90:91], v[30:31], a[0:3]
	v_mov_b32_e32 v23, 0
	v_mov_b32_e32 v24, 0
	v_mov_b32_e32 v25, 0
	v_mfma_f32_16x16x16_bf16 a[0:3], v[92:93], v[32:33], a[0:3]
	v_mov_b32_e32 v26, 0
	v_mov_b32_e32 v27, 0
	v_mov_b32_e32 v28, 0
	v_mov_b32_e32 v29, 0
	v_mov_b32_e32 v30, 0
	;; [unrolled: 1-line block ×3, first 2 shown]
	s_and_b64 vcc, exec, s[0:1]
	v_accvgpr_read_b32 v89, a1
	v_accvgpr_read_b32 v33, a3
	;; [unrolled: 1-line block ×4, first 2 shown]
	s_waitcnt vmcnt(7)
	v_sub_f32_e32 v87, s20, v87
	s_waitcnt vmcnt(6)
	v_lshlrev_b32_e32 v90, 16, v94
	v_exp_f32_e32 v94, v87
	s_waitcnt vmcnt(4)
	v_lshlrev_b32_e32 v92, 16, v96
	s_waitcnt vmcnt(3)
	v_lshlrev_b32_e32 v93, 16, v97
	s_waitcnt vmcnt(2)
	v_sub_f32_e32 v87, s20, v98
	s_waitcnt vmcnt(1)
	v_sub_f32_e32 v96, s20, v99
	;; [unrolled: 2-line block ×3, first 2 shown]
	v_lshlrev_b32_e32 v91, 16, v95
	v_exp_f32_e32 v95, v87
	v_exp_f32_e32 v96, v96
	;; [unrolled: 1-line block ×3, first 2 shown]
	v_pk_add_f32 v[88:89], v[90:91], v[88:89] neg_lo:[0,1] neg_hi:[0,1]
	v_pk_add_f32 v[32:33], v[92:93], v[32:33] neg_lo:[0,1] neg_hi:[0,1]
	v_pk_mul_f32 v[88:89], v[94:95], v[88:89]
	v_pk_mul_f32 v[32:33], v[96:97], v[32:33]
	s_nop 0
	v_perm_b32 v33, v33, v32, s3
	v_perm_b32 v32, v89, v88, s3
	ds_write_b64 v63, v[32:33]
	v_mov_b32_e32 v32, 0
	v_mov_b32_e32 v33, 0
	s_cbranch_vccnz .LBB564_40
; %bb.39:                               ;   in Loop: Header=BB564_32 Depth=1
	s_and_b32 s25, s25, 0xffff
	s_mov_b32 s27, s23
	buffer_load_dwordx4 v[30:33], v77, s[24:27], 0 offen
	buffer_load_dwordx4 v[22:25], v77, s[24:27], s55 offen
	buffer_load_dwordx4 v[26:29], v78, s[24:27], 0 offen
	buffer_load_dwordx4 v[18:21], v78, s[24:27], s55 offen
	v_mov_b32_e32 v85, v57
	v_mov_b32_e32 v86, v56
.LBB564_40:                             ;   in Loop: Header=BB564_32 Depth=1
	s_waitcnt lgkmcnt(0)
	s_barrier
	ds_read_b64 v[96:97], v79
	ds_read2st64_b64 v[88:91], v71 offset1:1
	ds_read2st64_b64 v[92:95], v71 offset0:2 offset1:3
	ds_read_b64 v[98:99], v80
	ds_read_b64 v[100:101], v81
	;; [unrolled: 1-line block ×3, first 2 shown]
	s_waitcnt lgkmcnt(4)
	v_mfma_f32_16x16x16_bf16 a[0:3], v[96:97], v[88:89], 0
	ds_read_b64 v[96:97], v73 offset:8192
	ds_read_b64 v[104:105], v74 offset:8192
	s_add_i32 s21, s52, s58
	s_mul_hi_i32 s25, s21, s13
	s_waitcnt lgkmcnt(1)
	v_mfma_f32_16x16x16_bf16 a[4:7], v[96:97], v[88:89], 0
	s_mul_i32 s21, s21, s13
	s_add_u32 s24, s21, s45
	s_addc_u32 s25, s25, s47
	v_mfma_f32_16x16x16_bf16 a[0:3], v[98:99], v[90:91], a[0:3]
	ds_read_b64 v[96:97], v35
	ds_read_b64 v[98:99], v72
	ds_read_b64 v[88:89], v75 offset:8192
	s_lshl_b64 s[24:25], s[24:25], 15
	v_mfma_f32_16x16x16_bf16 a[0:3], v[100:101], v[92:93], a[0:3]
	ds_read_b64 v[100:101], v76 offset:8192
	s_and_b64 vcc, exec, s[0:1]
	s_waitcnt lgkmcnt(4)
	v_mfma_f32_16x16x16_bf16 a[4:7], v[104:105], v[90:91], a[4:7]
	s_waitcnt lgkmcnt(1)
	v_mfma_f32_16x16x16_bf16 a[4:7], v[88:89], v[92:93], a[4:7]
	v_lshl_add_u64 v[88:89], v[36:37], 0, s[24:25]
	global_store_dwordx4 v[88:89], v[96:99], off
	v_mfma_f32_16x16x16_bf16 a[0:3], v[102:103], v[94:95], a[0:3]
	s_waitcnt lgkmcnt(0)
	v_mfma_f32_16x16x16_bf16 a[4:7], v[100:101], v[94:95], a[4:7]
	s_cbranch_vccnz .LBB564_42
; %bb.41:                               ;   in Loop: Header=BB564_32 Depth=1
	v_lshrrev_b32_e32 v87, 3, v85
	v_and_b32_e32 v87, 6, v87
	v_xor_b32_e32 v86, v87, v86
	v_lshlrev_b32_e32 v86, 2, v86
	v_and_b32_e32 v85, 8, v85
	v_xor_b32_e32 v88, 0x440, v86
	v_cmp_eq_u32_e32 vcc, 0, v85
	s_barrier
	s_nop 0
	v_cndmask_b32_e32 v85, v88, v86, vcc
	v_lshl_or_b32 v85, v87, 10, v85
	s_waitcnt vmcnt(2)
	v_perm_b32 v86, v30, v26, s56
	s_waitcnt vmcnt(1)
	v_perm_b32 v87, v22, v18, s56
	ds_write2st64_b32 v85, v86, v87 offset1:32
	v_xor_b32_e32 v86, 8, v85
	v_perm_b32 v26, v30, v26, s57
	v_perm_b32 v18, v22, v18, s57
	v_add_u32_e32 v22, 0x80, v86
	ds_write2st64_b32 v22, v26, v18 offset1:32
	v_xor_b32_e32 v18, 16, v85
	v_perm_b32 v22, v31, v27, s56
	v_perm_b32 v26, v23, v19, s56
	ds_write2st64_b32 v18, v22, v26 offset0:1 offset1:33
	v_xor_b32_e32 v18, 24, v85
	v_perm_b32 v22, v31, v27, s57
	v_perm_b32 v19, v23, v19, s57
	v_add_u32_e32 v18, 0x80, v18
	ds_write2st64_b32 v18, v22, v19 offset0:1 offset1:33
	v_xor_b32_e32 v18, 32, v85
	v_perm_b32 v19, v32, v28, s56
	v_perm_b32 v22, v24, v20, s56
	ds_write2st64_b32 v18, v19, v22 offset0:2 offset1:34
	v_xor_b32_e32 v18, 40, v85
	v_perm_b32 v19, v32, v28, s57
	v_perm_b32 v20, v24, v20, s57
	v_add_u32_e32 v18, 0x80, v18
	ds_write2st64_b32 v18, v19, v20 offset0:2 offset1:34
	;; [unrolled: 9-line block ×3, first 2 shown]
	ds_write_b64 v84, v[14:15] offset:16384
	v_xor_b32_e32 v14, 8, v84
	ds_write_b64 v14, v[16:17] offset:16384
	ds_write_b64 v84, v[10:11] offset:24576
	;; [unrolled: 1-line block ×4, first 2 shown]
	v_xor_b32_e32 v6, 8, v83
	ds_write_b64 v6, v[8:9] offset:16384
	ds_write_b64 v83, v[2:3] offset:24576
	;; [unrolled: 1-line block ×3, first 2 shown]
.LBB564_42:                             ;   in Loop: Header=BB564_32 Depth=1
	v_exp_f32_e32 v4, s20
	s_nop 2
	v_accvgpr_read_b32 v2, a0
	v_accvgpr_read_b32 v3, a1
	s_add_i32 s53, s53, 64
	v_fma_f32 v50, v50, v4, v2
	v_accvgpr_read_b32 v2, a2
	v_fma_f32 v52, v52, v4, v2
	v_accvgpr_read_b32 v2, a4
	;; [unrolled: 2-line block ×6, first 2 shown]
	v_fmac_f32_e32 v3, v54, v4
	s_cmp_eq_u32 s46, s35
	v_fmac_f32_e32 v2, v55, v4
	s_cbranch_scc1 .LBB564_4
; %bb.43:                               ;   in Loop: Header=BB564_32 Depth=1
	s_mov_b32 s58, s35
	v_mov_b32_e32 v54, v3
	v_mov_b32_e32 v55, v2
	s_branch .LBB564_32
.LBB564_44:
                                        ; implicit-def: $vgpr5
                                        ; implicit-def: $vgpr9
                                        ; implicit-def: $vgpr13
                                        ; implicit-def: $vgpr17
	s_cbranch_execz .LBB564_46
; %bb.45:
	s_waitcnt vmcnt(0)
	v_mad_u64_u32 v[2:3], s[0:1], v20, s15, v[18:19]
	v_lshlrev_b32_e32 v20, 1, v2
	s_lshl_b32 s2, s15, 7
	s_and_b32 s1, s5, 0xffff
	s_mov_b32 s3, 0x20000
	s_mov_b32 s0, s4
	v_add_lshl_u32 v21, v2, s15, 1
	s_movk_i32 s13, 0x80
	buffer_load_dwordx4 v[2:5], v20, s[0:3], 0 offen
	buffer_load_dwordx4 v[10:13], v20, s[0:3], s13 offen
	;; [unrolled: 1-line block ×4, first 2 shown]
.LBB564_46:
	v_lshrrev_b32_e32 v38, 2, v40
	s_cbranch_execnz .LBB564_59
.LBB564_47:
	s_and_b64 vcc, exec, s[6:7]
	s_cbranch_vccz .LBB564_57
; %bb.48:
	s_waitcnt vmcnt(0)
	v_lshlrev_b32_e32 v7, 1, v35
	v_cmp_gt_i32_e32 vcc, s27, v7
	v_mov_b32_e32 v6, 0
	v_lshlrev_b32_e32 v14, 9, v35
	v_mov_b32_e32 v2, 0
	v_mov_b32_e32 v3, 0
	;; [unrolled: 1-line block ×4, first 2 shown]
	s_and_saveexec_b64 s[0:1], vcc
	s_cbranch_execz .LBB564_50
; %bb.49:
	v_mov_b32_e32 v15, 0
	v_lshl_add_u64 v[2:3], s[4:5], 0, v[14:15]
	v_lshlrev_b32_e32 v4, 1, v18
	v_mov_b32_e32 v5, v15
	v_lshl_add_u64 v[2:3], v[2:3], 0, v[4:5]
	global_load_dwordx4 v[2:5], v[2:3], off
.LBB564_50:
	s_or_b64 exec, exec, s[0:1]
	v_or_b32_e32 v7, 1, v7
	v_cmp_gt_i32_e64 s[0:1], s27, v7
	v_lshlrev_b32_e32 v20, 8, v7
	v_mov_b32_e32 v7, 0
	v_mov_b32_e32 v8, 0
	v_mov_b32_e32 v9, 0
	s_and_saveexec_b64 s[2:3], s[0:1]
	s_cbranch_execz .LBB564_52
; %bb.51:
	v_mov_b32_e32 v21, 0
	v_lshl_add_u64 v[6:7], s[4:5], 0, v[20:21]
	v_lshlrev_b32_e32 v8, 1, v18
	v_mov_b32_e32 v9, v21
	v_lshl_add_u64 v[6:7], v[6:7], 0, v[8:9]
	global_load_dwordx4 v[6:9], v[6:7], off
.LBB564_52:
	s_or_b64 exec, exec, s[2:3]
	v_mov_b32_e32 v17, 0
	v_mov_b32_e32 v10, 0
	;; [unrolled: 1-line block ×5, first 2 shown]
	s_and_saveexec_b64 s[2:3], vcc
	s_cbranch_execz .LBB564_54
; %bb.53:
	v_mov_b32_e32 v15, 0
	v_lshl_add_u64 v[10:11], s[4:5], 0, v[14:15]
	v_lshlrev_b32_e32 v14, 1, v18
	v_lshl_add_u64 v[10:11], v[10:11], 0, v[14:15]
	global_load_dwordx4 v[10:13], v[10:11], off offset:128
.LBB564_54:
	s_or_b64 exec, exec, s[2:3]
	v_mov_b32_e32 v16, 0
	v_mov_b32_e32 v15, 0
	;; [unrolled: 1-line block ×3, first 2 shown]
	s_and_saveexec_b64 s[2:3], s[0:1]
	s_cbranch_execz .LBB564_56
; %bb.55:
	v_mov_b32_e32 v21, 0
	v_lshl_add_u64 v[14:15], s[4:5], 0, v[20:21]
	v_lshlrev_b32_e32 v20, 1, v18
	v_lshl_add_u64 v[14:15], v[14:15], 0, v[20:21]
	global_load_dwordx4 v[14:17], v[14:15], off offset:128
.LBB564_56:
	s_or_b64 exec, exec, s[2:3]
	s_branch .LBB564_59
.LBB564_57:
                                        ; implicit-def: $vgpr5
                                        ; implicit-def: $vgpr9
                                        ; implicit-def: $vgpr13
                                        ; implicit-def: $vgpr17
	s_cbranch_execz .LBB564_59
; %bb.58:
	s_waitcnt vmcnt(0)
	v_lshlrev_b32_e32 v2, 1, v18
	v_lshl_or_b32 v18, v35, 9, v2
	s_and_b32 s5, s5, 0xffff
	s_mov_b32 s7, 0x20000
	s_movk_i32 s6, 0x4000
	s_movk_i32 s0, 0x80
	buffer_load_dwordx4 v[2:5], v18, s[4:7], 0 offen
	buffer_load_dwordx4 v[6:9], v18, s[4:7], 0 offen offset:256
	buffer_load_dwordx4 v[10:13], v18, s[4:7], s0 offen
	buffer_load_dwordx4 v[14:17], v18, s[4:7], s0 offen offset:256
.LBB564_59:
	ds_read2st64_b64 v[22:25], v19 offset0:76 offset1:77
	ds_read2st64_b64 v[18:21], v19 offset0:78 offset1:79
	ds_read_b64 v[30:31], v26 offset:24576
	ds_read_b64 v[32:33], v27 offset:24576
	ds_read_b64 v[28:29], v28 offset:24576
	ds_read_b64 v[26:27], v37 offset:24576
	v_and_b32_e32 v37, 6, v0
	v_xor_b32_e32 v35, v35, v37
	v_lshlrev_b32_e32 v35, 2, v35
	v_and_b32_e32 v0, 1, v0
	v_xor_b32_e32 v39, 0x440, v35
	v_cmp_eq_u32_e32 vcc, 0, v0
	s_mov_b32 s0, 0x1000504
	s_mov_b32 s1, 0x3020706
	v_cndmask_b32_e32 v0, v39, v35, vcc
	v_lshl_or_b32 v0, v37, 10, v0
	s_waitcnt vmcnt(0)
	v_perm_b32 v35, v2, v6, s0
	v_perm_b32 v37, v10, v14, s0
	ds_write2st64_b32 v0, v35, v37 offset1:32
	v_xor_b32_e32 v35, 8, v0
	v_perm_b32 v2, v2, v6, s1
	v_perm_b32 v6, v10, v14, s1
	v_add_u32_e32 v10, 0x80, v35
	ds_write2st64_b32 v10, v2, v6 offset1:32
	v_xor_b32_e32 v2, 16, v0
	v_perm_b32 v6, v3, v7, s0
	v_perm_b32 v10, v11, v15, s0
	ds_write2st64_b32 v2, v6, v10 offset0:1 offset1:33
	v_xor_b32_e32 v2, 24, v0
	v_perm_b32 v3, v3, v7, s1
	v_perm_b32 v6, v11, v15, s1
	v_add_u32_e32 v2, 0x80, v2
	ds_write2st64_b32 v2, v3, v6 offset0:1 offset1:33
	v_xor_b32_e32 v2, 32, v0
	v_perm_b32 v3, v4, v8, s0
	v_perm_b32 v6, v12, v16, s0
	ds_write2st64_b32 v2, v3, v6 offset0:2 offset1:34
	v_xor_b32_e32 v2, 40, v0
	v_perm_b32 v3, v4, v8, s1
	v_perm_b32 v4, v12, v16, s1
	v_add_u32_e32 v2, 0x80, v2
	ds_write2st64_b32 v2, v3, v4 offset0:2 offset1:34
	v_xor_b32_e32 v2, 48, v0
	v_perm_b32 v3, v5, v9, s0
	v_perm_b32 v4, v13, v17, s0
	v_xor_b32_e32 v0, 56, v0
	v_and_or_b32 v6, v38, 12, v1
	ds_write2st64_b32 v2, v3, v4 offset0:3 offset1:35
	v_perm_b32 v2, v5, v9, s1
	v_perm_b32 v3, v13, v17, s1
	v_add_u32_e32 v0, 0x80, v0
	v_cmp_gt_i32_e32 vcc, s27, v6
	v_mov_b32_e32 v7, 0
	v_mov_b32_e32 v11, 0
	ds_write2st64_b32 v0, v2, v3 offset0:3 offset1:35
	s_and_saveexec_b64 s[0:1], vcc
	s_cbranch_execz .LBB564_61
; %bb.60:
	v_add_u32_e32 v0, s26, v6
	v_ashrrev_i32_e32 v1, 31, v0
	v_mul_lo_u32 v2, v1, s28
	v_mul_lo_u32 v3, v0, s29
	v_mad_u64_u32 v[0:1], s[2:3], v0, s28, 0
	v_add3_u32 v1, v1, v3, v2
	v_lshl_add_u64 v[0:1], v[0:1], 2, s[10:11]
	global_load_dword v0, v[0:1], off
	s_waitcnt vmcnt(0)
	v_sub_f32_e32 v0, s12, v0
	v_exp_f32_e32 v11, v0
.LBB564_61:
	s_or_b64 exec, exec, s[0:1]
	v_or_b32_e32 v9, 1, v6
	v_cmp_gt_i32_e64 s[0:1], s27, v9
	s_and_saveexec_b64 s[2:3], s[0:1]
	s_cbranch_execz .LBB564_63
; %bb.62:
	v_add_u32_e32 v0, s26, v9
	v_ashrrev_i32_e32 v1, 31, v0
	v_mul_lo_u32 v2, v1, s28
	v_mul_lo_u32 v3, v0, s29
	v_mad_u64_u32 v[0:1], s[4:5], v0, s28, 0
	v_add3_u32 v1, v1, v3, v2
	v_lshl_add_u64 v[0:1], v[0:1], 2, s[10:11]
	global_load_dword v0, v[0:1], off
	s_waitcnt vmcnt(0)
	v_sub_f32_e32 v0, s12, v0
	v_exp_f32_e32 v7, v0
.LBB564_63:
	s_or_b64 exec, exec, s[2:3]
	v_or_b32_e32 v10, 2, v6
	v_cmp_gt_i32_e64 s[2:3], s27, v10
	v_mov_b32_e32 v8, 0
	v_mov_b32_e32 v13, 0
	s_and_saveexec_b64 s[4:5], s[2:3]
	s_cbranch_execz .LBB564_65
; %bb.64:
	v_add_u32_e32 v0, s26, v10
	v_ashrrev_i32_e32 v1, 31, v0
	v_mul_lo_u32 v2, v1, s28
	v_mul_lo_u32 v3, v0, s29
	v_mad_u64_u32 v[0:1], s[6:7], v0, s28, 0
	v_add3_u32 v1, v1, v3, v2
	v_lshl_add_u64 v[0:1], v[0:1], 2, s[10:11]
	global_load_dword v0, v[0:1], off
	s_waitcnt vmcnt(0)
	v_sub_f32_e32 v0, s12, v0
	v_exp_f32_e32 v13, v0
.LBB564_65:
	s_or_b64 exec, exec, s[4:5]
	v_or_b32_e32 v12, 3, v6
	v_cmp_gt_i32_e64 s[4:5], s27, v12
	s_and_saveexec_b64 s[6:7], s[4:5]
	s_cbranch_execz .LBB564_67
; %bb.66:
	v_add_u32_e32 v0, s26, v12
	v_ashrrev_i32_e32 v1, 31, v0
	v_mul_lo_u32 v2, v1, s28
	v_mul_lo_u32 v3, v0, s29
	v_mad_u64_u32 v[0:1], s[14:15], v0, s28, 0
	v_add3_u32 v1, v1, v3, v2
	v_lshl_add_u64 v[0:1], v[0:1], 2, s[10:11]
	global_load_dword v0, v[0:1], off
	s_waitcnt vmcnt(0)
	v_sub_f32_e32 v0, s12, v0
	v_exp_f32_e32 v8, v0
.LBB564_67:
	s_or_b64 exec, exec, s[6:7]
	s_waitcnt lgkmcnt(11)
	v_mfma_f32_16x16x16_bf16 a[0:3], v[30:31], v[22:23], a[0:3]
	s_add_u32 s6, s8, s20
	v_ashrrev_i32_e32 v35, 31, v34
	s_addc_u32 s7, s9, s21
	s_waitcnt lgkmcnt(10)
	v_mfma_f32_16x16x16_bf16 a[0:3], v[32:33], v[24:25], a[0:3]
	v_mov_b32_e32 v14, 0
	v_lshl_add_u64 v[4:5], v[34:35], 1, s[6:7]
	v_mov_b32_e32 v15, 0
	s_waitcnt lgkmcnt(9)
	v_mfma_f32_16x16x16_bf16 a[0:3], v[28:29], v[18:19], a[0:3]
	s_waitcnt lgkmcnt(8)
	v_mfma_f32_16x16x16_bf16 a[0:3], v[26:27], v[20:21], a[0:3]
	s_nop 6
	v_accvgpr_read_b32 v0, a0
	v_accvgpr_read_b32 v1, a1
	;; [unrolled: 1-line block ×4, first 2 shown]
	s_and_saveexec_b64 s[6:7], vcc
	s_cbranch_execz .LBB564_69
; %bb.68:
	v_lshlrev_b32_e32 v16, 8, v6
	v_mov_b32_e32 v17, 0
	v_lshl_add_u64 v[16:17], v[4:5], 0, v[16:17]
	global_load_ushort v15, v[16:17], off
	s_waitcnt vmcnt(0)
	v_lshlrev_b32_e32 v15, 16, v15
	v_sub_f32_e32 v0, v15, v0
	v_mul_f32_e32 v0, v11, v0
	v_lshrrev_b32_e32 v15, 16, v0
.LBB564_69:
	s_or_b64 exec, exec, s[6:7]
	s_and_saveexec_b64 s[6:7], s[0:1]
	s_cbranch_execz .LBB564_71
; %bb.70:
	v_lshlrev_b32_e32 v16, 8, v9
	v_mov_b32_e32 v17, 0
	v_lshl_add_u64 v[16:17], v[4:5], 0, v[16:17]
	global_load_ushort v0, v[16:17], off
	s_waitcnt vmcnt(0)
	v_lshlrev_b32_e32 v0, 16, v0
	v_sub_f32_e32 v0, v0, v1
	v_mul_f32_e32 v0, v7, v0
	v_lshrrev_b32_e32 v14, 16, v0
.LBB564_71:
	s_or_b64 exec, exec, s[6:7]
	v_mov_b32_e32 v0, 0
	v_mov_b32_e32 v1, 0
	s_and_saveexec_b64 s[0:1], s[2:3]
	s_cbranch_execz .LBB564_73
; %bb.72:
	v_lshlrev_b32_e32 v10, 8, v10
	v_mov_b32_e32 v11, 0
	v_lshl_add_u64 v[10:11], v[4:5], 0, v[10:11]
	global_load_ushort v1, v[10:11], off
	s_waitcnt vmcnt(0)
	v_lshlrev_b32_e32 v1, 16, v1
	v_sub_f32_e32 v1, v1, v2
	v_mul_f32_e32 v1, v13, v1
	v_lshrrev_b32_e32 v1, 16, v1
.LBB564_73:
	s_or_b64 exec, exec, s[0:1]
	s_and_saveexec_b64 s[0:1], s[4:5]
	s_cbranch_execz .LBB564_75
; %bb.74:
	v_lshlrev_b32_e32 v10, 8, v12
	v_mov_b32_e32 v11, 0
	v_lshl_add_u64 v[4:5], v[4:5], 0, v[10:11]
	global_load_ushort v0, v[4:5], off
	s_waitcnt vmcnt(0)
	v_lshlrev_b32_e32 v0, 16, v0
	v_sub_f32_e32 v0, v0, v3
	v_mul_f32_e32 v0, v8, v0
	v_lshrrev_b32_e32 v0, 16, v0
.LBB564_75:
	s_or_b64 exec, exec, s[0:1]
	s_mov_b32 s0, 0x5040100
	v_lshlrev_b32_e32 v2, 1, v36
	v_perm_b32 v1, v0, v1, s0
	v_perm_b32 v0, v14, v15, s0
	v_lshl_or_b32 v2, v6, 5, v2
	ds_write_b64 v2, v[0:1] offset:38912
	s_waitcnt lgkmcnt(0)
	s_barrier
.LBB564_76:
	s_endpgm
	.section	.rodata,"a",@progbits
	.p2align	6, 0x0
	.amdhsa_kernel _ZN12_GLOBAL__N_139chunk_gated_delta_rule_fwd_h_hip_kernelILi16ELb1ELb0ELb0ELb1ELb1ELb0ELb0ELb1EEEvPK12hip_bfloat16S3_S3_PKfS5_PKvPS1_S8_PvPKiSB_iiiiilll
		.amdhsa_group_segment_fixed_size 40960
		.amdhsa_private_segment_fixed_size 0
		.amdhsa_kernarg_size 136
		.amdhsa_user_sgpr_count 2
		.amdhsa_user_sgpr_dispatch_ptr 0
		.amdhsa_user_sgpr_queue_ptr 0
		.amdhsa_user_sgpr_kernarg_segment_ptr 1
		.amdhsa_user_sgpr_dispatch_id 0
		.amdhsa_user_sgpr_kernarg_preload_length 0
		.amdhsa_user_sgpr_kernarg_preload_offset 0
		.amdhsa_user_sgpr_private_segment_size 0
		.amdhsa_uses_dynamic_stack 0
		.amdhsa_enable_private_segment 0
		.amdhsa_system_sgpr_workgroup_id_x 1
		.amdhsa_system_sgpr_workgroup_id_y 1
		.amdhsa_system_sgpr_workgroup_id_z 0
		.amdhsa_system_sgpr_workgroup_info 0
		.amdhsa_system_vgpr_workitem_id 0
		.amdhsa_next_free_vgpr 116
		.amdhsa_next_free_sgpr 59
		.amdhsa_accum_offset 108
		.amdhsa_reserve_vcc 1
		.amdhsa_float_round_mode_32 0
		.amdhsa_float_round_mode_16_64 0
		.amdhsa_float_denorm_mode_32 3
		.amdhsa_float_denorm_mode_16_64 3
		.amdhsa_dx10_clamp 1
		.amdhsa_ieee_mode 1
		.amdhsa_fp16_overflow 0
		.amdhsa_tg_split 0
		.amdhsa_exception_fp_ieee_invalid_op 0
		.amdhsa_exception_fp_denorm_src 0
		.amdhsa_exception_fp_ieee_div_zero 0
		.amdhsa_exception_fp_ieee_overflow 0
		.amdhsa_exception_fp_ieee_underflow 0
		.amdhsa_exception_fp_ieee_inexact 0
		.amdhsa_exception_int_div_zero 0
	.end_amdhsa_kernel
	.section	.text._ZN12_GLOBAL__N_139chunk_gated_delta_rule_fwd_h_hip_kernelILi16ELb1ELb0ELb0ELb1ELb1ELb0ELb0ELb1EEEvPK12hip_bfloat16S3_S3_PKfS5_PKvPS1_S8_PvPKiSB_iiiiilll,"axG",@progbits,_ZN12_GLOBAL__N_139chunk_gated_delta_rule_fwd_h_hip_kernelILi16ELb1ELb0ELb0ELb1ELb1ELb0ELb0ELb1EEEvPK12hip_bfloat16S3_S3_PKfS5_PKvPS1_S8_PvPKiSB_iiiiilll,comdat
.Lfunc_end564:
	.size	_ZN12_GLOBAL__N_139chunk_gated_delta_rule_fwd_h_hip_kernelILi16ELb1ELb0ELb0ELb1ELb1ELb0ELb0ELb1EEEvPK12hip_bfloat16S3_S3_PKfS5_PKvPS1_S8_PvPKiSB_iiiiilll, .Lfunc_end564-_ZN12_GLOBAL__N_139chunk_gated_delta_rule_fwd_h_hip_kernelILi16ELb1ELb0ELb0ELb1ELb1ELb0ELb0ELb1EEEvPK12hip_bfloat16S3_S3_PKfS5_PKvPS1_S8_PvPKiSB_iiiiilll
                                        ; -- End function
	.section	.AMDGPU.csdata,"",@progbits
; Kernel info:
; codeLenInByte = 7052
; NumSgprs: 65
; NumVgprs: 106
; NumAgprs: 8
; TotalNumVgprs: 116
; ScratchSize: 0
; MemoryBound: 0
; FloatMode: 240
; IeeeMode: 1
; LDSByteSize: 40960 bytes/workgroup (compile time only)
; SGPRBlocks: 8
; VGPRBlocks: 14
; NumSGPRsForWavesPerEU: 65
; NumVGPRsForWavesPerEU: 116
; AccumOffset: 108
; Occupancy: 1
; WaveLimiterHint : 1
; COMPUTE_PGM_RSRC2:SCRATCH_EN: 0
; COMPUTE_PGM_RSRC2:USER_SGPR: 2
; COMPUTE_PGM_RSRC2:TRAP_HANDLER: 0
; COMPUTE_PGM_RSRC2:TGID_X_EN: 1
; COMPUTE_PGM_RSRC2:TGID_Y_EN: 1
; COMPUTE_PGM_RSRC2:TGID_Z_EN: 0
; COMPUTE_PGM_RSRC2:TIDIG_COMP_CNT: 0
; COMPUTE_PGM_RSRC3_GFX90A:ACCUM_OFFSET: 26
; COMPUTE_PGM_RSRC3_GFX90A:TG_SPLIT: 0
	.section	.text._ZN12_GLOBAL__N_139chunk_gated_delta_rule_fwd_h_hip_kernelILi16ELb0ELb1ELb1ELb1ELb1ELb0ELb0ELb1EEEvPK12hip_bfloat16S3_S3_PKfS5_PKvPS1_S8_PvPKiSB_iiiiilll,"axG",@progbits,_ZN12_GLOBAL__N_139chunk_gated_delta_rule_fwd_h_hip_kernelILi16ELb0ELb1ELb1ELb1ELb1ELb0ELb0ELb1EEEvPK12hip_bfloat16S3_S3_PKfS5_PKvPS1_S8_PvPKiSB_iiiiilll,comdat
	.globl	_ZN12_GLOBAL__N_139chunk_gated_delta_rule_fwd_h_hip_kernelILi16ELb0ELb1ELb1ELb1ELb1ELb0ELb0ELb1EEEvPK12hip_bfloat16S3_S3_PKfS5_PKvPS1_S8_PvPKiSB_iiiiilll ; -- Begin function _ZN12_GLOBAL__N_139chunk_gated_delta_rule_fwd_h_hip_kernelILi16ELb0ELb1ELb1ELb1ELb1ELb0ELb0ELb1EEEvPK12hip_bfloat16S3_S3_PKfS5_PKvPS1_S8_PvPKiSB_iiiiilll
	.p2align	8
	.type	_ZN12_GLOBAL__N_139chunk_gated_delta_rule_fwd_h_hip_kernelILi16ELb0ELb1ELb1ELb1ELb1ELb0ELb0ELb1EEEvPK12hip_bfloat16S3_S3_PKfS5_PKvPS1_S8_PvPKiSB_iiiiilll,@function
_ZN12_GLOBAL__N_139chunk_gated_delta_rule_fwd_h_hip_kernelILi16ELb0ELb1ELb1ELb1ELb1ELb0ELb0ELb1EEEvPK12hip_bfloat16S3_S3_PKfS5_PKvPS1_S8_PvPKiSB_iiiiilll: ; @_ZN12_GLOBAL__N_139chunk_gated_delta_rule_fwd_h_hip_kernelILi16ELb0ELb1ELb1ELb1ELb1ELb0ELb0ELb1EEEvPK12hip_bfloat16S3_S3_PKfS5_PKvPS1_S8_PvPKiSB_iiiiilll
; %bb.0:
	s_load_dwordx4 s[20:23], s[0:1], 0x5c
	s_abs_i32 s27, s3
	s_ashr_i32 s26, s3, 31
	s_load_dwordx2 s[24:25], s[0:1], 0x50
	s_load_dwordx8 s[4:11], s[0:1], 0x30
	s_load_dwordx8 s[12:19], s[0:1], 0x0
	s_waitcnt lgkmcnt(0)
	s_abs_i32 s30, s21
	v_cvt_f32_u32_e32 v1, s30
	s_sub_i32 s28, 0, s30
	s_ashr_i32 s33, s21, 31
	s_xor_b32 s26, s26, s33
	v_rcp_iflag_f32_e32 v1, v1
	v_lshrrev_b32_e32 v48, 6, v0
	v_bfe_u32 v51, v0, 4, 2
	v_lshlrev_b32_e32 v49, 4, v48
	v_mul_f32_e32 v1, 0x4f7ffffe, v1
	v_cvt_u32_f32_e32 v1, v1
	v_lshlrev_b32_e32 v10, 2, v51
	v_and_b32_e32 v50, 63, v0
	v_mov_b32_e32 v9, 0
	v_readfirstlane_b32 s29, v1
	s_mul_i32 s28, s28, s29
	s_mul_hi_u32 s28, s29, s28
	s_add_i32 s29, s29, s28
	s_mul_hi_u32 s28, s27, s29
	s_mul_i32 s29, s28, s30
	s_sub_i32 s27, s27, s29
	s_add_i32 s31, s28, 1
	s_sub_i32 s29, s27, s30
	s_cmp_ge_u32 s27, s30
	s_cselect_b32 s28, s31, s28
	s_cselect_b32 s27, s29, s27
	s_add_i32 s29, s28, 1
	s_cmp_ge_u32 s27, s30
	s_cselect_b32 s27, s29, s28
	s_xor_b32 s27, s27, s26
	s_sub_i32 s34, s27, s26
	s_mul_i32 s26, s34, s21
	s_ashr_i32 s35, s34, 31
	s_sub_i32 s46, s3, s26
	s_lshl_b64 s[26:27], s[34:35], 2
	s_add_u32 s10, s10, s26
	s_addc_u32 s11, s11, s27
	s_add_u32 s28, s24, s26
	s_addc_u32 s29, s25, s27
	s_abs_i32 s3, s22
	v_cvt_f32_u32_e32 v1, s3
	s_load_dwordx2 s[40:41], s[10:11], 0x0
	s_sub_i32 s11, 0, s3
	s_mov_b32 s47, s21
	v_rcp_iflag_f32_e32 v1, v1
	v_and_b32_e32 v52, 15, v0
	s_waitcnt lgkmcnt(0)
	s_sub_i32 s51, s41, s40
	s_ashr_i32 s10, s51, 31
	v_mul_f32_e32 v1, 0x4f7ffffe, v1
	v_cvt_u32_f32_e32 v1, v1
	s_lshr_b32 s10, s10, 26
	s_add_i32 s10, s51, s10
	s_ashr_i32 s52, s10, 6
	v_readfirstlane_b32 s24, v1
	s_mul_i32 s11, s11, s24
	s_mul_hi_u32 s11, s24, s11
	s_add_i32 s24, s24, s11
	s_mul_hi_u32 s11, s30, s24
	s_mul_i32 s24, s11, s3
	s_ashr_i32 s10, s22, 31
	s_sub_i32 s24, s30, s24
	s_xor_b32 s10, s33, s10
	s_add_i32 s25, s11, 1
	s_sub_i32 s26, s24, s3
	s_cmp_ge_u32 s24, s3
	s_cselect_b32 s11, s25, s11
	s_cselect_b32 s24, s26, s24
	s_add_i32 s25, s11, 1
	s_cmp_ge_u32 s24, s3
	s_cselect_b32 s3, s25, s11
	s_xor_b32 s3, s3, s10
	s_sub_i32 s3, s3, s10
	s_abs_i32 s30, s3
	v_cvt_f32_u32_e32 v1, s30
	s_load_dwordx2 s[10:11], s[0:1], 0x80
	s_load_dwordx4 s[24:27], s[0:1], 0x70
	s_load_dword s53, s[28:29], 0x0
	s_xor_b32 s0, s46, s3
	v_rcp_iflag_f32_e32 v1, v1
	s_sub_i32 s3, 0, s30
	s_abs_i32 s1, s46
	s_ashr_i32 s0, s0, 31
	v_mul_f32_e32 v1, 0x4f7ffffe, v1
	v_cvt_u32_f32_e32 v1, v1
	s_mul_hi_i32 s54, s46, s20
	s_mul_i32 s55, s46, s20
	v_lshrrev_b32_e32 v54, 3, v50
	v_readfirstlane_b32 s28, v1
	s_mul_i32 s3, s3, s28
	s_mul_hi_u32 s3, s28, s3
	s_add_i32 s28, s28, s3
	s_mul_hi_u32 s3, s1, s28
	s_mul_i32 s28, s3, s30
	s_sub_i32 s1, s1, s28
	s_add_i32 s28, s3, 1
	s_sub_i32 s29, s1, s30
	s_cmp_ge_u32 s1, s30
	s_cselect_b32 s3, s28, s3
	s_cselect_b32 s1, s29, s1
	s_add_i32 s28, s3, 1
	s_cmp_ge_u32 s1, s30
	s_cselect_b32 s1, s28, s3
	s_xor_b32 s1, s1, s0
	s_sub_i32 s56, s1, s0
	v_or_b32_e32 v1, v10, v49
	s_lshl_b32 s2, s2, 4
	v_or_b32_e32 v55, 64, v1
	s_cmp_lt_i32 s51, 64
	v_lshlrev_b32_e32 v53, 3, v0
	s_waitcnt lgkmcnt(0)
	s_mul_i32 s48, s34, s25
	s_mul_hi_u32 s49, s34, s24
	s_mul_i32 s50, s35, s24
	s_mul_i32 s42, s34, s24
	v_mov_b32_e32 v8, v9
	v_mov_b32_e32 v7, v9
	;; [unrolled: 1-line block ×7, first 2 shown]
	s_cbranch_scc1 .LBB565_18
; %bb.1:
	s_ashr_i32 s58, s46, 31
	s_ashr_i32 s1, s40, 31
	s_add_u32 s0, s55, s40
	s_addc_u32 s1, s54, s1
	s_lshl_b64 s[0:1], s[0:1], 8
	v_and_b32_e32 v57, 56, v53
	s_add_u32 s28, s14, s0
	v_lshl_or_b32 v56, v48, 3, v54
	v_lshlrev_b32_e32 v3, 1, v57
	s_addc_u32 s0, s15, s1
	v_lshl_or_b32 v58, v56, 8, v3
	s_and_b32 s29, s0, 0xffff
	s_mov_b32 s31, 0x20000
	s_movk_i32 s30, 0x4000
	s_movk_i32 s0, 0x80
	v_or_b32_e32 v59, 0x2000, v58
	buffer_load_dwordx4 v[4:7], v58, s[28:31], 0 offen
	buffer_load_dwordx4 v[12:15], v58, s[28:31], s0 offen
	buffer_load_dwordx4 v[16:19], v59, s[28:31], 0 offen
	buffer_load_dwordx4 v[20:23], v59, s[28:31], s0 offen
	v_lshlrev_b32_e32 v2, 3, v56
	v_and_or_b32 v9, v0, 7, v2
	v_and_b32_e32 v2, 0x78, v2
	v_lshlrev_b32_e32 v9, 4, v9
	v_xor_b32_e32 v60, v9, v2
	v_mul_lo_u32 v8, v56, s23
	v_or_b32_e32 v61, 0x1000, v60
	v_xor_b32_e32 v2, 8, v60
	s_cmpk_eq_i32 s23, 0x80
	s_mov_b32 s57, s40
	v_xor_b32_e32 v9, 8, v61
	s_cselect_b64 s[0:1], -1, 0
	s_cmpk_lg_i32 s23, 0x80
	s_waitcnt vmcnt(3)
	ds_write_b64 v60, v[4:5] offset:16384
	ds_write_b64 v2, v[6:7] offset:16384
	s_waitcnt vmcnt(2)
	ds_write_b64 v60, v[12:13] offset:24576
	ds_write_b64 v2, v[14:15] offset:24576
	;; [unrolled: 3-line block ×4, first 2 shown]
	v_lshl_add_u32 v2, v8, 1, v57
	s_cbranch_scc0 .LBB565_3
; %bb.2:
	v_lshlrev_b32_e32 v6, 1, v2
	v_add_lshl_u32 v5, v2, s23, 1
	s_lshl_b32 s30, s23, 7
	v_lshl_or_b32 v4, v56, 9, v3
	s_cbranch_execz .LBB565_4
	s_branch .LBB565_5
.LBB565_3:
                                        ; implicit-def: $vgpr5
                                        ; implicit-def: $vgpr6
                                        ; implicit-def: $sgpr30
	v_lshl_or_b32 v4, v56, 9, v3
.LBB565_4:
	v_or_b32_e32 v5, 0x100, v4
	s_movk_i32 s30, 0x4000
	v_mov_b32_e32 v6, v4
.LBB565_5:
	s_mul_i32 s24, s40, s22
	s_ashr_i32 s59, s56, 31
	s_mul_hi_i32 s3, s40, s22
	s_add_u32 s24, s24, s56
	s_addc_u32 s25, s3, s59
	s_lshl_b64 s[24:25], s[24:25], 8
	s_add_u32 s28, s12, s24
	s_addc_u32 s3, s13, s25
	s_and_b32 s29, s3, 0xffff
	s_movk_i32 s60, 0x80
	buffer_load_dwordx4 v[12:15], v6, s[28:31], 0 offen
	s_nop 0
	buffer_load_dwordx4 v[6:9], v6, s[28:31], s60 offen
	s_nop 0
	buffer_load_dwordx4 v[16:19], v5, s[28:31], 0 offen
	buffer_load_dwordx4 v[20:23], v5, s[28:31], s60 offen
	v_and_b32_e32 v3, 6, v0
	v_lshlrev_b32_e32 v11, 2, v52
	v_lshlrev_b32_e32 v24, 3, v52
	v_xor_b32_e32 v26, v56, v3
	v_and_b32_e32 v5, 1, v0
	v_lshl_or_b32 v24, v1, 5, v24
	v_xor_b32_e32 v27, v1, v11
	v_lshlrev_b32_e32 v26, 2, v26
	s_mul_i32 s3, s46, s27
	s_mul_hi_u32 s25, s46, s26
	v_or_b32_e32 v62, 0x9000, v24
	v_or_b32_e32 v63, 0x9800, v24
	v_lshlrev_b32_e32 v24, 1, v27
	v_xor_b32_e32 v27, 0x440, v26
	v_cmp_eq_u32_e32 vcc, 0, v5
	s_add_i32 s29, s49, s48
	s_mul_i32 s28, s58, s26
	v_cndmask_b32_e32 v5, v27, v26, vcc
	s_add_i32 s3, s25, s3
	s_add_i32 s43, s29, s50
	s_mov_b32 s61, 0x1000504
	v_lshlrev_b32_e32 v25, 8, v52
	s_mov_b32 s30, 0x8000
	v_xor_b32_e32 v11, v55, v11
	v_lshl_or_b32 v3, v3, 10, v5
	s_add_i32 s25, s3, s28
	s_lshl_b64 s[28:29], s[42:43], 2
	s_mov_b32 s62, 0x3020706
	s_mul_i32 s24, s46, s26
	v_lshlrev_b32_e32 v11, 1, v11
	v_or3_b32 v64, v24, v25, s30
	v_xor_b32_e32 v5, 8, v3
	v_xor_b32_e32 v24, 24, v3
	;; [unrolled: 1-line block ×4, first 2 shown]
	s_add_u32 s3, s18, s28
	v_or3_b32 v65, v11, v25, s30
	v_xor_b32_e32 v11, 16, v3
	v_xor_b32_e32 v25, 32, v3
	;; [unrolled: 1-line block ×3, first 2 shown]
	v_add_u32_e32 v5, 0x80, v5
	v_add_u32_e32 v24, 0x80, v24
	;; [unrolled: 1-line block ×4, first 2 shown]
	s_addc_u32 s28, s19, s29
	s_lshl_b64 s[24:25], s[24:25], 2
	s_add_u32 s24, s3, s24
	s_movk_i32 s3, 0xf8
	s_addc_u32 s25, s28, s25
	s_lshl_b32 s38, s23, 7
	s_mov_b32 s63, 0
	v_add_u32_e32 v80, v49, v10
	s_waitcnt vmcnt(1)
	v_perm_b32 v29, v12, v16, s61
	s_waitcnt vmcnt(0)
	v_perm_b32 v30, v6, v20, s61
	v_perm_b32 v12, v12, v16, s62
	;; [unrolled: 1-line block ×15, first 2 shown]
	ds_write2st64_b32 v3, v29, v30 offset1:32
	ds_write2st64_b32 v5, v12, v6 offset1:32
	ds_write2st64_b32 v11, v16, v20 offset0:1 offset1:33
	ds_write2st64_b32 v24, v13, v7 offset0:1 offset1:33
	;; [unrolled: 1-line block ×6, first 2 shown]
	v_or_b32_e32 v3, v49, v52
	v_lshlrev_b32_e32 v3, 3, v3
	v_lshrrev_b32_e32 v7, 5, v50
	v_and_or_b32 v7, v3, s3, v7
	v_lshlrev_b32_e32 v7, 4, v7
	v_lshlrev_b32_e32 v5, 11, v48
	v_and_b32_e32 v3, 0x78, v3
	v_or_b32_e32 v12, 32, v7
	v_and_b32_e32 v6, 0x1000, v5
	v_lshrrev_b32_e32 v11, 1, v0
	v_xor_b32_e32 v12, v12, v3
	v_and_b32_e32 v9, 8, v11
	v_or_b32_e32 v12, v12, v6
	v_xor_b32_e32 v8, v7, v3
	v_xor_b32_e32 v68, v12, v9
	v_or_b32_e32 v12, 64, v7
	v_or_b32_e32 v7, 0x60, v7
	v_xor_b32_e32 v12, v12, v3
	v_xor_b32_e32 v3, v7, v3
	v_or_b32_e32 v3, v3, v6
	v_or_b32_e32 v12, v12, v6
	v_xor_b32_e32 v70, v3, v9
	v_lshlrev_b32_e32 v14, 1, v2
	v_add_lshl_u32 v15, v2, s23, 1
	v_lshrrev_b32_e32 v2, 4, v0
	v_lshlrev_b32_e32 v3, 1, v52
	v_xor_b32_e32 v69, v12, v9
	s_ashr_i32 s3, s2, 31
	v_or_b32_e32 v12, 1, v3
	v_xor_b32_e32 v3, v2, v3
	s_lshl_b64 s[28:29], s[2:3], 8
	v_xor_b32_e32 v12, v12, v2
	v_lshlrev_b32_e32 v3, 3, v3
	v_lshlrev_b32_e32 v2, 8, v2
	s_add_u32 s28, s4, s28
	v_or3_b32 v72, v3, v2, s30
	v_lshlrev_b32_e32 v3, 3, v12
	s_addc_u32 s29, s5, s29
	v_or3_b32 v73, v3, v2, s30
	v_mov_b32_e32 v3, 0
	v_lshl_add_u64 v[12:13], s[28:29], 0, v[2:3]
	v_lshlrev_b32_e32 v2, 4, v52
	s_movk_i32 s3, 0xff
	v_lshlrev_b32_e32 v18, 3, v48
	v_and_b32_e32 v11, 24, v11
	v_lshl_add_u64 v[42:43], v[12:13], 0, v[2:3]
	v_and_b32_e32 v12, 8, v0
	v_cmp_lt_u32_e32 vcc, s3, v0
	v_xor_b32_e32 v19, v18, v11
	v_or_b32_e32 v20, 0x440, v19
	v_cndmask_b32_e64 v17, 0, 1, vcc
	v_cmp_eq_u32_e32 vcc, 0, v12
	v_and_b32_e32 v2, 7, v0
	v_lshlrev_b32_e32 v13, 3, v2
	v_cndmask_b32_e32 v12, v20, v19, vcc
	v_lshlrev_b32_e32 v2, 7, v2
	v_or_b32_e32 v12, v12, v5
	v_xad_u32 v74, v12, v13, v2
	v_or_b32_e32 v12, 32, v11
	v_xor_b32_e32 v12, v18, v12
	v_or_b32_e32 v19, 0x440, v12
	v_cndmask_b32_e32 v12, v19, v12, vcc
	v_or_b32_e32 v12, v12, v5
	v_xad_u32 v75, v12, v13, v2
	v_or_b32_e32 v12, 64, v11
	v_xor_b32_e32 v12, v18, v12
	v_xor_b32_e32 v19, 0x440, v12
	v_cndmask_b32_e32 v12, v19, v12, vcc
	v_or_b32_e32 v11, 0x60, v11
	v_or_b32_e32 v12, v12, v5
	v_xor_b32_e32 v11, v18, v11
	v_or_b32_e32 v8, v8, v6
	v_or_b32_e32 v6, s2, v52
	v_xad_u32 v76, v12, v13, v2
	v_xor_b32_e32 v12, 0x440, v11
	v_xor_b32_e32 v66, v8, v9
	v_and_b32_e32 v8, 0x78, v53
	v_ashrrev_i32_e32 v7, 31, v6
	v_cndmask_b32_e32 v11, v12, v11, vcc
	v_lshl_or_b32 v8, v51, 7, v8
	v_lshlrev_b64 v[6:7], 1, v[6:7]
	v_or_b32_e32 v5, v11, v5
	v_or_b32_e32 v67, 0x9000, v8
	;; [unrolled: 1-line block ×3, first 2 shown]
	v_lshl_add_u64 v[8:9], s[16:17], 0, v[6:7]
	v_lshl_add_u64 v[6:7], s[6:7], 0, v[6:7]
	v_or_b32_e32 v16, 0x100, v4
	v_lshlrev_b32_e32 v17, 13, v17
	v_xad_u32 v77, v5, v13, v2
	v_lshlrev_b32_e32 v2, 8, v1
	v_cndmask_b32_e64 v78, v14, v4, s[0:1]
	v_cndmask_b32_e64 v79, v15, v16, s[0:1]
	v_lshl_add_u64 v[44:45], v[8:9], 0, v[2:3]
	v_lshl_add_u64 v[46:47], v[6:7], 0, v[2:3]
	s_mov_b32 s3, 0x7060302
	s_movk_i32 s30, 0x4000
	v_add_u32_e32 v81, v17, v74
	v_add_u32_e32 v82, v17, v75
	;; [unrolled: 1-line block ×4, first 2 shown]
	v_mov_b32_e32 v2, v3
	v_mov_b32_e32 v4, v3
	;; [unrolled: 1-line block ×7, first 2 shown]
	s_waitcnt lgkmcnt(0)
	s_barrier
.LBB565_6:                              ; =>This Inner Loop Header: Depth=1
	s_add_i32 s43, s63, 1
	s_cmp_lt_i32 s43, s52
	s_mov_b64 s[36:37], 0
	s_cselect_b64 s[44:45], -1, 0
	s_cmp_ge_i32 s43, s52
	s_mov_b64 s[28:29], 0
	s_cbranch_scc1 .LBB565_8
; %bb.7:                                ;   in Loop: Header=BB565_6 Depth=1
	s_add_i32 s0, s57, 64
	s_ashr_i32 s1, s0, 31
	s_add_u32 s0, s55, s0
	s_addc_u32 s1, s54, s1
	s_lshl_b64 s[0:1], s[0:1], 8
	s_add_u32 s28, s14, s0
	s_addc_u32 s29, s15, s1
.LBB565_8:                              ;   in Loop: Header=BB565_6 Depth=1
	v_cndmask_b32_e64 v5, 0, 1, s[44:45]
	v_cmp_ne_u32_e64 s[0:1], 1, v5
	s_andn2_b64 vcc, exec, s[44:45]
	s_cbranch_vccnz .LBB565_10
; %bb.9:                                ;   in Loop: Header=BB565_6 Depth=1
	s_add_i32 s36, s57, 64
	s_mul_hi_i32 s37, s36, s22
	s_mul_i32 s36, s36, s22
	s_add_u32 s36, s36, s56
	s_addc_u32 s37, s37, s59
	s_lshl_b64 s[36:37], s[36:37], 8
	s_add_u32 s36, s12, s36
	s_addc_u32 s37, s13, s37
.LBB565_10:                             ;   in Loop: Header=BB565_6 Depth=1
	v_perm_b32 v11, v86, v4, s3
	v_perm_b32 v10, v3, v2, s3
	;; [unrolled: 1-line block ×4, first 2 shown]
	ds_write_b64 v62, v[10:11]
	ds_write_b64 v63, v[12:13]
	;; [unrolled: 1-line block ×4, first 2 shown]
	s_waitcnt lgkmcnt(0)
	s_barrier
	ds_read_b64 v[18:19], v66 offset:16384
	ds_read_b64 v[20:21], v68 offset:16384
	ds_read2st64_b64 v[10:13], v67 offset1:1
	s_waitcnt lgkmcnt(0)
	v_mfma_f32_16x16x16_bf16 a[0:3], v[18:19], v[10:11], 0
	ds_read2st64_b64 v[14:17], v67 offset0:2 offset1:3
	ds_read_b64 v[22:23], v69 offset:16384
	ds_read_b64 v[10:11], v70 offset:16384
	s_add_i32 s39, s57, 63
	v_mfma_f32_16x16x16_bf16 a[0:3], v[20:21], v[12:13], a[0:3]
	s_ashr_i32 s44, s39, 31
	s_mul_i32 s45, s39, s11
	s_mul_hi_u32 s64, s39, s10
	s_waitcnt lgkmcnt(1)
	v_mfma_f32_16x16x16_bf16 a[0:3], v[22:23], v[14:15], a[0:3]
	s_add_i32 s45, s64, s45
	s_mul_i32 s44, s44, s10
	s_add_i32 s45, s45, s44
	s_mul_i32 s44, s39, s10
	s_waitcnt lgkmcnt(0)
	v_mfma_f32_16x16x16_bf16 a[0:3], v[10:11], v[16:17], a[0:3]
	s_lshl_b64 s[44:45], s[44:45], 2
	s_add_u32 s44, s24, s44
	s_addc_u32 s45, s25, s45
	s_and_b64 vcc, exec, s[0:1]
	v_mov_b32_e32 v87, 0
	v_mov_b32_e32 v9, 0
	;; [unrolled: 1-line block ×19, first 2 shown]
	s_cbranch_vccnz .LBB565_12
; %bb.11:                               ;   in Loop: Header=BB565_6 Depth=1
	s_and_b32 s29, s29, 0xffff
	buffer_load_dwordx4 v[22:25], v58, s[28:31], 0 offen
	buffer_load_dwordx4 v[18:21], v58, s[28:31], s60 offen
	buffer_load_dwordx4 v[14:17], v59, s[28:31], 0 offen
	buffer_load_dwordx4 v[10:13], v59, s[28:31], s60 offen
	v_mov_b32_e32 v9, v60
	v_mov_b32_e32 v5, v61
.LBB565_12:                             ;   in Loop: Header=BB565_6 Depth=1
	s_waitcnt vmcnt(3)
	v_add_u32_e32 v30, s57, v80
	s_waitcnt vmcnt(1)
	v_ashrrev_i32_e32 v26, 31, v30
	v_mul_lo_u32 v28, v26, s10
	v_mul_lo_u32 v29, v30, s11
	v_mad_u64_u32 v[26:27], s[28:29], v30, s10, 0
	v_add3_u32 v27, v27, v29, v28
	v_lshl_add_u64 v[26:27], v[26:27], 2, s[24:25]
	global_load_dword v89, v[26:27], off
	v_add_u32_e32 v26, 1, v30
	v_ashrrev_i32_e32 v27, 31, v26
	v_mul_lo_u32 v28, v27, s10
	v_mul_lo_u32 v29, v26, s11
	v_mad_u64_u32 v[26:27], s[28:29], v26, s10, 0
	v_add3_u32 v27, v27, v29, v28
	v_add_u32_e32 v28, 2, v30
	v_ashrrev_i32_e32 v29, 31, v28
	v_mul_lo_u32 v31, v29, s10
	v_mul_lo_u32 v32, v28, s11
	v_mad_u64_u32 v[28:29], s[28:29], v28, s10, 0
	v_add_u32_e32 v30, 3, v30
	v_add3_u32 v29, v29, v32, v31
	v_ashrrev_i32_e32 v31, 31, v30
	v_mul_lo_u32 v34, v31, s10
	v_mul_lo_u32 v35, v30, s11
	v_mad_u64_u32 v[30:31], s[28:29], v30, s10, 0
	s_ashr_i32 s29, s57, 31
	s_add_u32 s28, s55, s57
	s_addc_u32 s29, s54, s29
	s_lshl_b64 s[64:65], s[28:29], 8
	v_lshl_add_u64 v[26:27], v[26:27], 2, s[24:25]
	v_lshl_add_u64 v[32:33], v[44:45], 0, s[64:65]
	v_add3_u32 v31, v31, v35, v34
	v_lshl_add_u64 v[28:29], v[28:29], 2, s[24:25]
	global_load_ushort v92, v[32:33], off
	global_load_ushort v93, v[32:33], off offset:256
	global_load_ushort v94, v[32:33], off offset:512
	global_load_ushort v95, v[32:33], off offset:768
	v_lshl_add_u64 v[30:31], v[30:31], 2, s[24:25]
	global_load_dword v96, v[26:27], off
	global_load_dword v97, v[28:29], off
	;; [unrolled: 1-line block ×3, first 2 shown]
	s_load_dword s28, s[44:45], 0x0
	ds_read_b64 v[28:29], v66 offset:24576
	ds_read2st64_b64 v[30:33], v71 offset1:1
	ds_read2st64_b64 v[34:37], v71 offset0:2 offset1:3
	ds_read_b64 v[38:39], v68 offset:24576
	ds_read_b64 v[40:41], v69 offset:24576
	;; [unrolled: 1-line block ×3, first 2 shown]
	s_waitcnt lgkmcnt(0)
	v_mfma_f32_16x16x16_bf16 a[0:3], v[28:29], v[30:31], a[0:3]
	v_mov_b32_e32 v88, 0
	v_mov_b32_e32 v26, 0
	;; [unrolled: 1-line block ×3, first 2 shown]
	v_mfma_f32_16x16x16_bf16 a[0:3], v[38:39], v[32:33], a[0:3]
	v_lshl_add_u64 v[38:39], v[46:47], 0, s[64:65]
	v_mov_b32_e32 v28, 0
	v_mov_b32_e32 v29, 0
	v_mfma_f32_16x16x16_bf16 a[0:3], v[40:41], v[34:35], a[0:3]
	v_mov_b32_e32 v30, 0
	v_mov_b32_e32 v31, 0
	;; [unrolled: 1-line block ×3, first 2 shown]
	v_mfma_f32_16x16x16_bf16 a[0:3], v[90:91], v[36:37], a[0:3]
	v_mov_b32_e32 v33, 0
	v_mov_b32_e32 v34, 0
	s_and_b64 vcc, exec, s[0:1]
	s_waitcnt vmcnt(7)
	v_sub_f32_e32 v35, s28, v89
	s_nop 1
	v_accvgpr_read_b32 v41, a1
	v_accvgpr_read_b32 v40, a0
	;; [unrolled: 1-line block ×4, first 2 shown]
	s_waitcnt vmcnt(6)
	v_lshlrev_b32_e32 v90, 16, v92
	s_waitcnt vmcnt(5)
	v_lshlrev_b32_e32 v91, 16, v93
	;; [unrolled: 2-line block ×3, first 2 shown]
	v_exp_f32_e32 v94, v35
	s_waitcnt vmcnt(2)
	v_sub_f32_e32 v35, s28, v96
	s_waitcnt vmcnt(1)
	v_sub_f32_e32 v89, s28, v97
	;; [unrolled: 2-line block ×3, first 2 shown]
	v_lshlrev_b32_e32 v93, 16, v95
	v_pk_add_f32 v[40:41], v[90:91], v[40:41] neg_lo:[0,1] neg_hi:[0,1]
	v_exp_f32_e32 v95, v35
	v_exp_f32_e32 v90, v89
	;; [unrolled: 1-line block ×3, first 2 shown]
	v_pk_add_f32 v[36:37], v[92:93], v[36:37] neg_lo:[0,1] neg_hi:[0,1]
	global_store_short_d16_hi v[38:39], v40, off
	global_store_short_d16_hi v[38:39], v41, off offset:256
	global_store_short_d16_hi v[38:39], v36, off offset:512
	global_store_short_d16_hi v[38:39], v37, off offset:768
	v_pk_mul_f32 v[38:39], v[94:95], v[40:41]
	v_pk_mul_f32 v[36:37], v[90:91], v[36:37]
	v_perm_b32 v38, v39, v38, s3
	v_perm_b32 v39, v37, v36, s3
	ds_write_b64 v63, v[38:39]
	v_mov_b32_e32 v35, 0
	v_mov_b32_e32 v36, 0
	;; [unrolled: 1-line block ×7, first 2 shown]
	s_cbranch_vccnz .LBB565_14
; %bb.13:                               ;   in Loop: Header=BB565_6 Depth=1
	s_and_b32 s37, s37, 0xffff
	s_mov_b32 s39, s31
	buffer_load_dwordx4 v[38:41], v78, s[36:39], 0 offen
	buffer_load_dwordx4 v[30:33], v78, s[36:39], s60 offen
	;; [unrolled: 1-line block ×4, first 2 shown]
	v_mov_b32_e32 v87, v57
	v_mov_b32_e32 v88, v56
.LBB565_14:                             ;   in Loop: Header=BB565_6 Depth=1
	s_waitcnt lgkmcnt(0)
	s_barrier
	ds_read_b64 v[98:99], v81
	ds_read2st64_b64 v[90:93], v71 offset1:1
	ds_read2st64_b64 v[94:97], v71 offset0:2 offset1:3
	ds_read_b64 v[100:101], v82
	ds_read_b64 v[102:103], v83
	;; [unrolled: 1-line block ×3, first 2 shown]
	s_waitcnt lgkmcnt(4)
	v_mfma_f32_16x16x16_bf16 a[0:3], v[98:99], v[90:91], 0
	ds_read_b64 v[98:99], v74 offset:8192
	ds_read_b64 v[106:107], v75 offset:8192
	s_add_i32 s29, s53, s63
	s_mul_hi_i32 s37, s29, s47
	s_waitcnt lgkmcnt(1)
	v_mfma_f32_16x16x16_bf16 a[4:7], v[98:99], v[90:91], 0
	s_mul_i32 s29, s29, s47
	s_add_u32 s36, s29, s46
	s_addc_u32 s37, s37, s58
	v_mfma_f32_16x16x16_bf16 a[0:3], v[100:101], v[92:93], a[0:3]
	ds_read_b64 v[98:99], v72
	ds_read_b64 v[100:101], v73
	ds_read_b64 v[90:91], v76 offset:8192
	s_lshl_b64 s[36:37], s[36:37], 15
	v_mfma_f32_16x16x16_bf16 a[0:3], v[102:103], v[94:95], a[0:3]
	ds_read_b64 v[102:103], v77 offset:8192
	s_and_b64 vcc, exec, s[0:1]
	s_waitcnt lgkmcnt(4)
	v_mfma_f32_16x16x16_bf16 a[4:7], v[106:107], v[92:93], a[4:7]
	s_waitcnt lgkmcnt(1)
	v_mfma_f32_16x16x16_bf16 a[4:7], v[90:91], v[94:95], a[4:7]
	v_lshl_add_u64 v[90:91], v[42:43], 0, s[36:37]
	global_store_dwordx4 v[90:91], v[98:101], off
	v_mfma_f32_16x16x16_bf16 a[0:3], v[104:105], v[96:97], a[0:3]
	s_waitcnt lgkmcnt(0)
	v_mfma_f32_16x16x16_bf16 a[4:7], v[102:103], v[96:97], a[4:7]
	s_cbranch_vccnz .LBB565_16
; %bb.15:                               ;   in Loop: Header=BB565_6 Depth=1
	v_lshrrev_b32_e32 v89, 3, v87
	v_and_b32_e32 v89, 6, v89
	v_xor_b32_e32 v88, v89, v88
	v_lshlrev_b32_e32 v88, 2, v88
	v_and_b32_e32 v87, 8, v87
	v_xor_b32_e32 v90, 0x440, v88
	v_cmp_eq_u32_e32 vcc, 0, v87
	s_barrier
	s_nop 0
	v_cndmask_b32_e32 v87, v90, v88, vcc
	v_lshl_or_b32 v87, v89, 10, v87
	s_waitcnt vmcnt(2)
	v_perm_b32 v88, v38, v34, s61
	s_waitcnt vmcnt(1)
	v_perm_b32 v89, v30, v26, s61
	ds_write2st64_b32 v87, v88, v89 offset1:32
	v_xor_b32_e32 v88, 8, v87
	v_perm_b32 v34, v38, v34, s62
	v_perm_b32 v26, v30, v26, s62
	v_add_u32_e32 v30, 0x80, v88
	ds_write2st64_b32 v30, v34, v26 offset1:32
	v_xor_b32_e32 v26, 16, v87
	v_perm_b32 v30, v39, v35, s61
	v_perm_b32 v34, v31, v27, s61
	ds_write2st64_b32 v26, v30, v34 offset0:1 offset1:33
	v_xor_b32_e32 v26, 24, v87
	v_perm_b32 v30, v39, v35, s62
	v_perm_b32 v27, v31, v27, s62
	v_add_u32_e32 v26, 0x80, v26
	ds_write2st64_b32 v26, v30, v27 offset0:1 offset1:33
	v_xor_b32_e32 v26, 32, v87
	v_perm_b32 v27, v40, v36, s61
	v_perm_b32 v30, v32, v28, s61
	ds_write2st64_b32 v26, v27, v30 offset0:2 offset1:34
	v_xor_b32_e32 v26, 40, v87
	v_perm_b32 v27, v40, v36, s62
	v_perm_b32 v28, v32, v28, s62
	v_add_u32_e32 v26, 0x80, v26
	ds_write2st64_b32 v26, v27, v28 offset0:2 offset1:34
	;; [unrolled: 9-line block ×3, first 2 shown]
	ds_write_b64 v9, v[22:23] offset:16384
	v_xor_b32_e32 v22, 8, v9
	ds_write_b64 v22, v[24:25] offset:16384
	ds_write_b64 v9, v[18:19] offset:24576
	;; [unrolled: 1-line block ×4, first 2 shown]
	v_xor_b32_e32 v9, 8, v5
	ds_write_b64 v9, v[16:17] offset:16384
	ds_write_b64 v5, v[10:11] offset:24576
	ds_write_b64 v9, v[12:13] offset:24576
.LBB565_16:                             ;   in Loop: Header=BB565_6 Depth=1
	v_exp_f32_e32 v10, s28
	s_nop 2
	v_accvgpr_read_b32 v9, a1
	v_accvgpr_read_b32 v5, a0
	s_add_i32 s57, s57, 64
	v_fma_f32 v3, v3, v10, v9
	v_accvgpr_read_b32 v9, a4
	v_fma_f32 v6, v6, v10, v9
	v_accvgpr_read_b32 v9, a5
	;; [unrolled: 2-line block ×6, first 2 shown]
	v_fmac_f32_e32 v5, v86, v10
	s_cmp_eq_u32 s52, s43
	v_fmac_f32_e32 v9, v85, v10
	s_cbranch_scc1 .LBB565_18
; %bb.17:                               ;   in Loop: Header=BB565_6 Depth=1
	s_mov_b32 s63, s43
	v_mov_b32_e32 v86, v5
	v_mov_b32_e32 v85, v9
	s_branch .LBB565_6
.LBB565_18:
	s_lshl_b32 s3, s52, 6
	s_sub_i32 s51, s51, s3
	s_cmp_gt_i32 s51, 0
	s_waitcnt vmcnt(2)
	v_or_b32_e32 v34, s2, v52
	s_cbranch_scc1 .LBB565_20
; %bb.19:
	s_ashr_i32 s25, s46, 31
	v_or_b32_e32 v10, s2, v52
	s_cbranch_execz .LBB565_21
	s_branch .LBB565_77
.LBB565_20:
                                        ; implicit-def: $vgpr10
                                        ; implicit-def: $sgpr24_sgpr25
.LBB565_21:
	s_add_i32 s24, s3, s40
	s_ashr_i32 s3, s24, 31
	s_cmpk_lg_i32 s23, 0x80
	s_cselect_b64 s[38:39], -1, 0
	s_and_b64 vcc, exec, s[38:39]
	s_cbranch_vccz .LBB565_23
; %bb.22:
	s_mul_hi_i32 s0, s24, s22
	s_mul_i32 s1, s24, s22
	s_ashr_i32 s22, s56, 31
	s_add_u32 s44, s1, s56
	s_addc_u32 s45, s0, s22
	s_cbranch_execz .LBB565_24
	s_branch .LBB565_25
.LBB565_23:
                                        ; implicit-def: $sgpr44_sgpr45
.LBB565_24:
	s_mul_i32 s1, s56, s20
	s_mul_hi_i32 s0, s56, s20
	s_add_u32 s44, s1, s24
	s_addc_u32 s45, s0, s3
.LBB565_25:
	s_add_i32 s20, s52, s53
	s_ashr_i32 s25, s46, 31
	s_add_u32 s0, s55, s24
	s_addc_u32 s1, s54, s3
	s_mov_b32 s3, 0x7060302
	v_lshlrev_b32_e32 v14, 3, v52
	s_lshl_b64 s[36:37], s[0:1], 8
	v_perm_b32 v11, v5, v4, s3
	v_perm_b32 v10, v3, v2, s3
	;; [unrolled: 1-line block ×4, first 2 shown]
	v_lshlrev_b32_e32 v44, 2, v52
	v_lshl_or_b32 v14, v1, 5, v14
	s_add_u32 s0, s14, s36
	ds_write2st64_b64 v14, v[10:11], v[12:13] offset0:72 offset1:76
	v_xor_b32_e32 v14, v1, v44
	v_lshlrev_b32_e32 v15, 8, v52
	s_addc_u32 s1, s15, s37
	v_lshl_or_b32 v14, v14, 1, v15
	s_mul_hi_i32 s3, s20, s21
	s_mul_i32 s20, s20, s21
	ds_write_b64 v14, v[10:11] offset:32768
	v_xor_b32_e32 v10, v55, v44
	s_add_u32 s14, s20, s46
	v_lshl_or_b32 v10, v10, 1, v15
	s_addc_u32 s15, s3, s25
	v_lshlrev_b32_e32 v11, 1, v52
	ds_write_b64 v10, v[12:13] offset:32768
	v_lshrrev_b32_e32 v10, 4, v0
	s_ashr_i32 s3, s2, 31
	s_lshl_b64 s[14:15], s[14:15], 15
	v_or_b32_e32 v12, 1, v11
	s_add_u32 s4, s4, s14
	v_xor_b32_e32 v11, v10, v11
	v_xor_b32_e32 v12, v12, v10
	v_lshlrev_b32_e32 v14, 8, v10
	s_addc_u32 s5, s5, s15
	s_lshl_b64 s[2:3], s[2:3], 8
	v_lshl_or_b32 v10, v11, 3, v14
	v_lshl_or_b32 v12, v12, 3, v14
	s_waitcnt lgkmcnt(0)
	s_barrier
	s_add_u32 s2, s4, s2
	ds_read_b64 v[10:11], v10 offset:32768
	ds_read_b64 v[12:13], v12 offset:32768
	s_addc_u32 s3, s5, s3
	v_mov_b32_e32 v15, 0
	s_cmp_lg_u32 s51, 64
	v_lshl_add_u64 v[16:17], s[2:3], 0, v[14:15]
	v_lshlrev_b32_e32 v14, 4, v52
	s_cselect_b64 s[4:5], -1, 0
	v_lshl_or_b32 v35, v48, 3, v54
	s_mov_b32 s28, 0
	v_lshl_add_u64 v[14:15], v[16:17], 0, v[14:15]
	s_waitcnt vmcnt(1)
	v_or_b32_e32 v27, 32, v35
	v_and_b32_e32 v26, 56, v53
	s_and_b64 vcc, exec, s[4:5]
	s_waitcnt lgkmcnt(0)
	global_store_dwordx4 v[14:15], v[10:13], off
	s_cbranch_vccz .LBB565_31
; %bb.26:
	s_mov_b32 s29, s28
	s_mov_b32 s30, s28
	s_mov_b32 s31, s28
	v_mov_b64_e32 v[14:15], s[28:29]
	v_mov_b64_e32 v[16:17], s[30:31]
	;; [unrolled: 1-line block ×3, first 2 shown]
	v_cmp_gt_i32_e32 vcc, s51, v35
	v_mov_b64_e32 v[12:13], v[16:17]
	s_and_saveexec_b64 s[2:3], vcc
	s_cbranch_execz .LBB565_28
; %bb.27:
	v_lshlrev_b32_e32 v10, 8, v35
	v_mov_b32_e32 v11, 0
	v_lshl_add_u64 v[12:13], s[0:1], 0, v[10:11]
	v_lshlrev_b32_e32 v10, 1, v26
	v_lshl_add_u64 v[18:19], v[12:13], 0, v[10:11]
	global_load_dwordx4 v[14:17], v[18:19], off
	global_load_dwordx4 v[10:13], v[18:19], off offset:128
.LBB565_28:
	s_or_b64 exec, exec, s[2:3]
	s_mov_b32 s29, s28
	s_mov_b32 s30, s28
	;; [unrolled: 1-line block ×3, first 2 shown]
	v_mov_b64_e32 v[22:23], s[28:29]
	v_mov_b64_e32 v[24:25], s[30:31]
	;; [unrolled: 1-line block ×3, first 2 shown]
	v_cmp_gt_i32_e32 vcc, s51, v27
	v_lshlrev_b32_e32 v28, 7, v27
	v_mov_b64_e32 v[20:21], v[24:25]
	s_and_saveexec_b64 s[2:3], vcc
	s_cbranch_execz .LBB565_30
; %bb.29:
	v_lshlrev_b32_e32 v18, 1, v28
	v_mov_b32_e32 v19, 0
	v_lshl_add_u64 v[20:21], s[0:1], 0, v[18:19]
	v_lshlrev_b32_e32 v18, 1, v26
	v_lshl_add_u64 v[30:31], v[20:21], 0, v[18:19]
	global_load_dwordx4 v[22:25], v[30:31], off
	global_load_dwordx4 v[18:21], v[30:31], off offset:128
.LBB565_30:
	s_or_b64 exec, exec, s[2:3]
	v_lshrrev_b32_e32 v29, 3, v26
	v_lshlrev_b32_e32 v30, 3, v35
	v_or_b32_e32 v29, v30, v29
	v_lshlrev_b32_e32 v29, 4, v29
	v_and_b32_e32 v30, 0x78, v30
	v_xor_b32_e32 v29, v29, v30
	s_branch .LBB565_33
.LBB565_31:
                                        ; implicit-def: $vgpr29
                                        ; implicit-def: $vgpr28
                                        ; implicit-def: $vgpr14_vgpr15_vgpr16_vgpr17
                                        ; implicit-def: $vgpr10_vgpr11_vgpr12_vgpr13
                                        ; implicit-def: $vgpr22_vgpr23_vgpr24_vgpr25
                                        ; implicit-def: $vgpr18_vgpr19_vgpr20_vgpr21
	s_cbranch_execz .LBB565_33
; %bb.32:
	s_waitcnt vmcnt(0)
	v_lshlrev_b32_e32 v10, 1, v26
	v_lshl_or_b32 v28, v35, 8, v10
	s_and_b32 s1, s1, 0xffff
	s_mov_b32 s3, 0x20000
	s_movk_i32 s2, 0x4000
	v_lshl_or_b32 v29, v27, 8, v10
	s_movk_i32 s14, 0x80
	buffer_load_dwordx4 v[14:17], v28, s[0:3], 0 offen
	buffer_load_dwordx4 v[10:13], v28, s[0:3], s14 offen
	;; [unrolled: 1-line block ×4, first 2 shown]
	v_lshrrev_b32_e32 v28, 3, v26
	v_lshlrev_b32_e32 v29, 3, v35
	v_or_b32_e32 v28, v29, v28
	v_lshlrev_b32_e32 v28, 4, v28
	v_and_b32_e32 v29, 0x78, v29
	v_xor_b32_e32 v29, v28, v29
	v_lshlrev_b32_e32 v28, 7, v27
.LBB565_33:
	s_lshl_b64 s[0:1], s[44:45], 8
	s_add_u32 s12, s12, s0
	s_movk_i32 s0, 0x1000
	v_and_or_b32 v27, v28, s0, v29
	s_waitcnt vmcnt(1)
	ds_write_b64 v29, v[14:15] offset:16384
	v_xor_b32_e32 v14, 8, v29
	ds_write_b64 v14, v[16:17] offset:16384
	s_waitcnt vmcnt(0)
	ds_write_b64 v29, v[10:11] offset:24576
	ds_write_b64 v14, v[12:13] offset:24576
	;; [unrolled: 1-line block ×3, first 2 shown]
	v_xor_b32_e32 v10, 8, v27
	ds_write_b64 v10, v[24:25] offset:16384
	ds_write_b64 v27, v[18:19] offset:24576
	;; [unrolled: 1-line block ×3, first 2 shown]
	v_or_b32_e32 v10, v49, v52
	v_lshlrev_b32_e32 v10, 3, v10
	v_lshrrev_b32_e32 v12, 5, v50
	s_movk_i32 s20, 0xf8
	v_and_or_b32 v12, v10, s20, v12
	v_lshlrev_b32_e32 v45, 11, v48
	v_lshlrev_b32_e32 v20, 4, v12
	v_and_b32_e32 v21, 0x78, v10
	v_and_b32_e32 v22, 0x1000, v45
	v_lshlrev_b32_e32 v11, 2, v0
	v_xor_b32_e32 v10, v20, v21
	v_lshrrev_b32_e32 v12, 1, v50
	v_and_b32_e32 v11, 60, v11
	v_or_b32_e32 v10, v10, v22
	v_and_b32_e32 v23, 8, v12
	v_xor_b32_e32 v36, v10, v23
	v_lshl_or_b32 v10, v51, 6, v11
	v_lshlrev_b32_e32 v46, 1, v10
	v_or_b32_e32 v10, 32, v20
	v_xor_b32_e32 v10, v10, v21
	s_waitcnt lgkmcnt(0)
	s_barrier
	ds_read_b64 v[18:19], v36 offset:16384
	v_or_b32_e32 v10, v10, v22
	v_xor_b32_e32 v37, v10, v23
	v_or_b32_e32 v10, 64, v20
	v_xor_b32_e32 v10, v10, v21
	v_or_b32_e32 v10, v10, v22
	v_or_b32_e32 v20, 0x60, v20
	v_xor_b32_e32 v38, v10, v23
	ds_read2st64_b64 v[10:13], v46 offset0:72 offset1:73
	ds_read2st64_b64 v[14:17], v46 offset0:74 offset1:75
	v_xor_b32_e32 v24, v20, v21
	ds_read_b64 v[20:21], v37 offset:16384
	s_waitcnt lgkmcnt(2)
	v_mfma_f32_16x16x16_bf16 a[0:3], v[18:19], v[10:11], 0
	s_addc_u32 s13, s13, s1
	s_add_i32 s2, s41, -1
	s_add_i32 s0, s49, s48
	s_add_i32 s43, s0, s50
	s_mul_i32 s0, s46, s27
	s_mul_hi_u32 s1, s46, s26
	s_ashr_i32 s3, s2, 31
	s_mul_i32 s14, s2, s11
	s_mul_hi_u32 s15, s2, s10
	s_add_i32 s0, s1, s0
	s_mul_i32 s1, s25, s26
	s_add_i32 s14, s15, s14
	s_mul_i32 s3, s3, s10
	v_or_b32_e32 v22, v24, v22
	s_add_i32 s1, s0, s1
	s_add_i32 s3, s14, s3
	s_lshl_b64 s[14:15], s[42:43], 2
	v_xor_b32_e32 v47, v22, v23
	ds_read_b64 v[22:23], v38 offset:16384
	ds_read_b64 v[24:25], v47 offset:16384
	s_waitcnt lgkmcnt(2)
	v_mfma_f32_16x16x16_bf16 a[0:3], v[20:21], v[12:13], a[0:3]
	s_mul_i32 s0, s46, s26
	s_add_u32 s14, s18, s14
	s_addc_u32 s15, s19, s15
	s_lshl_b64 s[0:1], s[0:1], 2
	s_mul_i32 s2, s2, s10
	s_add_u32 s18, s14, s0
	s_addc_u32 s19, s15, s1
	s_lshl_b64 s[0:1], s[2:3], 2
	s_waitcnt lgkmcnt(1)
	v_mfma_f32_16x16x16_bf16 a[0:3], v[22:23], v[14:15], a[0:3]
	s_add_u32 s0, s18, s0
	s_addc_u32 s1, s19, s1
	s_load_dword s20, s[0:1], 0x0
	s_waitcnt lgkmcnt(0)
	v_mfma_f32_16x16x16_bf16 a[0:3], v[24:25], v[16:17], a[0:3]
	s_and_b64 vcc, exec, s[38:39]
	s_cbranch_vccz .LBB565_44
; %bb.34:
	v_lshlrev_b32_e32 v27, 1, v35
	s_and_b64 vcc, exec, s[4:5]
	s_cbranch_vccz .LBB565_45
; %bb.35:
	v_cmp_gt_i32_e32 vcc, s51, v27
	v_mov_b32_e32 v14, 0
	v_mov_b32_e32 v10, 0
	;; [unrolled: 1-line block ×5, first 2 shown]
	s_and_saveexec_b64 s[0:1], vcc
	s_cbranch_execz .LBB565_37
; %bb.36:
	v_mad_i64_i32 v[10:11], s[2:3], s23, v27, 0
	v_lshl_add_u64 v[10:11], v[10:11], 1, s[12:13]
	v_lshlrev_b32_e32 v12, 1, v26
	v_mov_b32_e32 v13, 0
	v_lshl_add_u64 v[10:11], v[10:11], 0, v[12:13]
	global_load_dwordx4 v[10:13], v[10:11], off
.LBB565_37:
	s_or_b64 exec, exec, s[0:1]
	v_or_b32_e32 v28, 1, v27
	v_cmp_gt_i32_e64 s[0:1], s51, v28
	v_mov_b32_e32 v15, 0
	v_mov_b32_e32 v16, 0
	;; [unrolled: 1-line block ×3, first 2 shown]
	s_and_saveexec_b64 s[2:3], s[0:1]
	s_cbranch_execz .LBB565_39
; %bb.38:
	v_mad_i64_i32 v[14:15], s[14:15], s23, v28, 0
	v_lshl_add_u64 v[14:15], v[14:15], 1, s[12:13]
	v_lshlrev_b32_e32 v16, 1, v26
	v_mov_b32_e32 v17, 0
	v_lshl_add_u64 v[14:15], v[14:15], 0, v[16:17]
	global_load_dwordx4 v[14:17], v[14:15], off
.LBB565_39:
	s_or_b64 exec, exec, s[2:3]
	v_mov_b32_e32 v25, 0
	v_mov_b32_e32 v18, 0
	;; [unrolled: 1-line block ×5, first 2 shown]
	s_and_saveexec_b64 s[2:3], vcc
	s_cbranch_execz .LBB565_41
; %bb.40:
	v_mad_i64_i32 v[18:19], s[14:15], s23, v27, 0
	v_lshl_add_u64 v[18:19], v[18:19], 1, s[12:13]
	v_lshlrev_b32_e32 v20, 1, v26
	v_mov_b32_e32 v21, 0
	v_lshl_add_u64 v[18:19], v[18:19], 0, v[20:21]
	global_load_dwordx4 v[18:21], v[18:19], off offset:128
.LBB565_41:
	s_or_b64 exec, exec, s[2:3]
	v_mov_b32_e32 v24, 0
	v_mov_b32_e32 v23, 0
	;; [unrolled: 1-line block ×3, first 2 shown]
	s_and_saveexec_b64 s[2:3], s[0:1]
	s_cbranch_execz .LBB565_43
; %bb.42:
	v_mad_i64_i32 v[22:23], s[0:1], s23, v28, 0
	v_lshl_add_u64 v[22:23], v[22:23], 1, s[12:13]
	v_lshlrev_b32_e32 v24, 1, v26
	v_mov_b32_e32 v25, 0
	v_lshl_add_u64 v[22:23], v[22:23], 0, v[24:25]
	global_load_dwordx4 v[22:25], v[22:23], off offset:128
.LBB565_43:
	s_or_b64 exec, exec, s[2:3]
	s_branch .LBB565_47
.LBB565_44:
                                        ; implicit-def: $vgpr13
                                        ; implicit-def: $vgpr17
                                        ; implicit-def: $vgpr21
                                        ; implicit-def: $vgpr25
	v_lshrrev_b32_e32 v50, 2, v50
	s_branch .LBB565_48
.LBB565_45:
                                        ; implicit-def: $vgpr13
                                        ; implicit-def: $vgpr17
                                        ; implicit-def: $vgpr21
                                        ; implicit-def: $vgpr25
	s_cbranch_execz .LBB565_47
; %bb.46:
	s_waitcnt vmcnt(0)
	v_mad_u64_u32 v[10:11], s[0:1], v27, s23, v[26:27]
	v_lshlrev_b32_e32 v27, 1, v10
	s_lshl_b32 s2, s23, 7
	s_and_b32 s1, s13, 0xffff
	s_mov_b32 s3, 0x20000
	s_mov_b32 s0, s12
	v_add_lshl_u32 v28, v10, s23, 1
	s_movk_i32 s14, 0x80
	buffer_load_dwordx4 v[10:13], v27, s[0:3], 0 offen
	buffer_load_dwordx4 v[18:21], v27, s[0:3], s14 offen
	;; [unrolled: 1-line block ×4, first 2 shown]
.LBB565_47:
	v_lshrrev_b32_e32 v50, 2, v50
	s_cbranch_execnz .LBB565_60
.LBB565_48:
	s_and_b64 vcc, exec, s[4:5]
	s_cbranch_vccz .LBB565_58
; %bb.49:
	s_waitcnt vmcnt(0)
	v_lshlrev_b32_e32 v15, 1, v35
	v_cmp_gt_i32_e32 vcc, s51, v15
	v_mov_b32_e32 v14, 0
	v_lshlrev_b32_e32 v22, 9, v35
	v_mov_b32_e32 v10, 0
	v_mov_b32_e32 v11, 0
	;; [unrolled: 1-line block ×4, first 2 shown]
	s_and_saveexec_b64 s[0:1], vcc
	s_cbranch_execz .LBB565_51
; %bb.50:
	v_mov_b32_e32 v23, 0
	v_lshl_add_u64 v[10:11], s[12:13], 0, v[22:23]
	v_lshlrev_b32_e32 v12, 1, v26
	v_mov_b32_e32 v13, v23
	v_lshl_add_u64 v[10:11], v[10:11], 0, v[12:13]
	global_load_dwordx4 v[10:13], v[10:11], off
.LBB565_51:
	s_or_b64 exec, exec, s[0:1]
	v_or_b32_e32 v15, 1, v15
	v_cmp_gt_i32_e64 s[0:1], s51, v15
	v_lshlrev_b32_e32 v28, 8, v15
	v_mov_b32_e32 v15, 0
	v_mov_b32_e32 v16, 0
	v_mov_b32_e32 v17, 0
	s_and_saveexec_b64 s[2:3], s[0:1]
	s_cbranch_execz .LBB565_53
; %bb.52:
	v_mov_b32_e32 v29, 0
	v_lshl_add_u64 v[14:15], s[12:13], 0, v[28:29]
	v_lshlrev_b32_e32 v16, 1, v26
	v_mov_b32_e32 v17, v29
	v_lshl_add_u64 v[14:15], v[14:15], 0, v[16:17]
	global_load_dwordx4 v[14:17], v[14:15], off
.LBB565_53:
	s_or_b64 exec, exec, s[2:3]
	v_mov_b32_e32 v25, 0
	v_mov_b32_e32 v18, 0
	;; [unrolled: 1-line block ×5, first 2 shown]
	s_and_saveexec_b64 s[2:3], vcc
	s_cbranch_execz .LBB565_55
; %bb.54:
	v_mov_b32_e32 v23, 0
	v_lshl_add_u64 v[18:19], s[12:13], 0, v[22:23]
	v_lshlrev_b32_e32 v22, 1, v26
	v_lshl_add_u64 v[18:19], v[18:19], 0, v[22:23]
	global_load_dwordx4 v[18:21], v[18:19], off offset:128
.LBB565_55:
	s_or_b64 exec, exec, s[2:3]
	v_mov_b32_e32 v24, 0
	v_mov_b32_e32 v23, 0
	;; [unrolled: 1-line block ×3, first 2 shown]
	s_and_saveexec_b64 s[2:3], s[0:1]
	s_cbranch_execz .LBB565_57
; %bb.56:
	v_mov_b32_e32 v29, 0
	v_lshl_add_u64 v[22:23], s[12:13], 0, v[28:29]
	v_lshlrev_b32_e32 v28, 1, v26
	v_lshl_add_u64 v[22:23], v[22:23], 0, v[28:29]
	global_load_dwordx4 v[22:25], v[22:23], off offset:128
.LBB565_57:
	s_or_b64 exec, exec, s[2:3]
	s_branch .LBB565_60
.LBB565_58:
                                        ; implicit-def: $vgpr13
                                        ; implicit-def: $vgpr17
                                        ; implicit-def: $vgpr21
                                        ; implicit-def: $vgpr25
	s_cbranch_execz .LBB565_60
; %bb.59:
	s_waitcnt vmcnt(0)
	v_lshlrev_b32_e32 v10, 1, v26
	v_lshl_or_b32 v26, v35, 9, v10
	s_and_b32 s13, s13, 0xffff
	s_mov_b32 s15, 0x20000
	s_movk_i32 s14, 0x4000
	s_movk_i32 s0, 0x80
	buffer_load_dwordx4 v[10:13], v26, s[12:15], 0 offen
	buffer_load_dwordx4 v[14:17], v26, s[12:15], 0 offen offset:256
	buffer_load_dwordx4 v[18:21], v26, s[12:15], s0 offen
	buffer_load_dwordx4 v[22:25], v26, s[12:15], s0 offen offset:256
.LBB565_60:
	ds_read2st64_b64 v[30:33], v46 offset0:76 offset1:77
	ds_read2st64_b64 v[26:29], v46 offset0:78 offset1:79
	ds_read_b64 v[42:43], v36 offset:24576
	ds_read_b64 v[40:41], v37 offset:24576
	;; [unrolled: 1-line block ×4, first 2 shown]
	v_and_b32_e32 v47, 6, v0
	v_xor_b32_e32 v35, v35, v47
	v_lshlrev_b32_e32 v35, 2, v35
	v_and_b32_e32 v51, 1, v0
	v_xor_b32_e32 v52, 0x440, v35
	v_cmp_eq_u32_e32 vcc, 0, v51
	s_mov_b32 s0, 0x1000504
	s_waitcnt vmcnt(0)
	v_perm_b32 v51, v18, v22, s0
	v_cndmask_b32_e32 v35, v52, v35, vcc
	v_lshl_or_b32 v35, v47, 10, v35
	v_perm_b32 v47, v10, v14, s0
	ds_write2st64_b32 v35, v47, v51 offset1:32
	v_xor_b32_e32 v47, 8, v35
	s_mov_b32 s1, 0x3020706
	v_perm_b32 v10, v10, v14, s1
	v_perm_b32 v14, v18, v22, s1
	v_add_u32_e32 v18, 0x80, v47
	ds_write2st64_b32 v18, v10, v14 offset1:32
	v_xor_b32_e32 v10, 16, v35
	v_perm_b32 v14, v11, v15, s0
	v_perm_b32 v18, v19, v23, s0
	ds_write2st64_b32 v10, v14, v18 offset0:1 offset1:33
	v_xor_b32_e32 v10, 24, v35
	v_perm_b32 v11, v11, v15, s1
	v_perm_b32 v14, v19, v23, s1
	v_add_u32_e32 v10, 0x80, v10
	ds_write2st64_b32 v10, v11, v14 offset0:1 offset1:33
	v_xor_b32_e32 v10, 32, v35
	v_perm_b32 v11, v12, v16, s0
	v_perm_b32 v14, v20, v24, s0
	ds_write2st64_b32 v10, v11, v14 offset0:2 offset1:34
	v_xor_b32_e32 v10, 40, v35
	v_perm_b32 v11, v12, v16, s1
	v_perm_b32 v12, v20, v24, s1
	v_add_u32_e32 v10, 0x80, v10
	ds_write2st64_b32 v10, v11, v12 offset0:2 offset1:34
	v_xor_b32_e32 v10, 48, v35
	v_perm_b32 v11, v13, v17, s0
	v_perm_b32 v12, v21, v25, s0
	ds_write2st64_b32 v10, v11, v12 offset0:3 offset1:35
	v_xor_b32_e32 v10, 56, v35
	v_and_or_b32 v18, v50, 12, v49
	v_perm_b32 v11, v13, v17, s1
	v_perm_b32 v12, v21, v25, s1
	v_add_u32_e32 v10, 0x80, v10
	v_cmp_gt_i32_e64 s[2:3], s51, v18
	v_mov_b32_e32 v20, 0
	v_mov_b32_e32 v25, 0
	ds_write2st64_b32 v10, v11, v12 offset0:3 offset1:35
	s_and_saveexec_b64 s[0:1], s[2:3]
	s_cbranch_execz .LBB565_62
; %bb.61:
	v_add_u32_e32 v10, s24, v18
	v_ashrrev_i32_e32 v11, 31, v10
	v_mul_lo_u32 v12, v11, s10
	v_mul_lo_u32 v13, v10, s11
	v_mad_u64_u32 v[10:11], s[4:5], v10, s10, 0
	v_add3_u32 v11, v11, v13, v12
	v_lshl_add_u64 v[10:11], v[10:11], 2, s[18:19]
	global_load_dword v10, v[10:11], off
	s_waitcnt vmcnt(0)
	v_sub_f32_e32 v10, s20, v10
	v_exp_f32_e32 v25, v10
.LBB565_62:
	s_or_b64 exec, exec, s[0:1]
	v_or_b32_e32 v23, 1, v18
	v_cmp_gt_i32_e64 s[4:5], s51, v23
	s_and_saveexec_b64 s[0:1], s[4:5]
	s_cbranch_execz .LBB565_64
; %bb.63:
	v_add_u32_e32 v10, s24, v23
	v_ashrrev_i32_e32 v11, 31, v10
	v_mul_lo_u32 v12, v11, s10
	v_mul_lo_u32 v13, v10, s11
	v_mad_u64_u32 v[10:11], s[12:13], v10, s10, 0
	v_add3_u32 v11, v11, v13, v12
	v_lshl_add_u64 v[10:11], v[10:11], 2, s[18:19]
	global_load_dword v10, v[10:11], off
	s_waitcnt vmcnt(0)
	v_sub_f32_e32 v10, s20, v10
	v_exp_f32_e32 v20, v10
.LBB565_64:
	s_or_b64 exec, exec, s[0:1]
	v_or_b32_e32 v22, 2, v18
	v_cmp_gt_i32_e64 s[0:1], s51, v22
	v_mov_b32_e32 v19, 0
	v_mov_b32_e32 v24, 0
	s_and_saveexec_b64 s[12:13], s[0:1]
	s_cbranch_execz .LBB565_66
; %bb.65:
	v_add_u32_e32 v10, s24, v22
	v_ashrrev_i32_e32 v11, 31, v10
	v_mul_lo_u32 v12, v11, s10
	v_mul_lo_u32 v13, v10, s11
	v_mad_u64_u32 v[10:11], s[14:15], v10, s10, 0
	v_add3_u32 v11, v11, v13, v12
	v_lshl_add_u64 v[10:11], v[10:11], 2, s[18:19]
	global_load_dword v10, v[10:11], off
	s_waitcnt vmcnt(0)
	v_sub_f32_e32 v10, s20, v10
	v_exp_f32_e32 v24, v10
.LBB565_66:
	s_or_b64 exec, exec, s[12:13]
	v_or_b32_e32 v21, 3, v18
	v_cmp_gt_i32_e32 vcc, s51, v21
	s_and_saveexec_b64 s[12:13], vcc
	s_cbranch_execz .LBB565_68
; %bb.67:
	v_add_u32_e32 v10, s24, v21
	v_ashrrev_i32_e32 v11, 31, v10
	v_mul_lo_u32 v12, v11, s10
	v_mul_lo_u32 v13, v10, s11
	v_mad_u64_u32 v[10:11], s[10:11], v10, s10, 0
	v_add3_u32 v11, v11, v13, v12
	v_lshl_add_u64 v[10:11], v[10:11], 2, s[18:19]
	global_load_dword v10, v[10:11], off
	s_waitcnt vmcnt(0)
	v_sub_f32_e32 v10, s20, v10
	v_exp_f32_e32 v19, v10
.LBB565_68:
	s_or_b64 exec, exec, s[12:13]
	s_waitcnt lgkmcnt(11)
	v_mfma_f32_16x16x16_bf16 a[0:3], v[42:43], v[30:31], a[0:3]
	s_add_u32 s10, s16, s36
	s_addc_u32 s11, s17, s37
	v_ashrrev_i32_e32 v35, 31, v34
	s_waitcnt lgkmcnt(10)
	v_mfma_f32_16x16x16_bf16 a[0:3], v[40:41], v[32:33], a[0:3]
	s_add_u32 s6, s6, s36
	v_lshlrev_b64 v[10:11], 1, v[34:35]
	s_addc_u32 s7, s7, s37
	s_waitcnt lgkmcnt(9)
	v_mfma_f32_16x16x16_bf16 a[0:3], v[38:39], v[26:27], a[0:3]
	v_lshl_add_u64 v[14:15], s[10:11], 0, v[10:11]
	v_lshl_add_u64 v[16:17], s[6:7], 0, v[10:11]
	v_mov_b32_e32 v26, 0
	s_waitcnt lgkmcnt(8)
	v_mfma_f32_16x16x16_bf16 a[0:3], v[36:37], v[28:29], a[0:3]
	v_mov_b32_e32 v27, 0
	s_nop 5
	v_accvgpr_read_b32 v13, a3
	v_accvgpr_read_b32 v12, a2
	;; [unrolled: 1-line block ×4, first 2 shown]
	s_and_saveexec_b64 s[6:7], s[2:3]
	s_cbranch_execz .LBB565_70
; %bb.69:
	v_lshlrev_b32_e32 v28, 8, v18
	v_mov_b32_e32 v29, 0
	v_lshl_add_u64 v[30:31], v[14:15], 0, v[28:29]
	global_load_ushort v27, v[30:31], off
	v_lshl_add_u64 v[28:29], v[16:17], 0, v[28:29]
	s_waitcnt vmcnt(0)
	v_lshlrev_b32_e32 v27, 16, v27
	v_sub_f32_e32 v10, v27, v10
	global_store_short_d16_hi v[28:29], v10, off
	v_mul_f32_e32 v10, v25, v10
	v_lshrrev_b32_e32 v27, 16, v10
.LBB565_70:
	s_or_b64 exec, exec, s[6:7]
	s_and_saveexec_b64 s[2:3], s[4:5]
	s_cbranch_execz .LBB565_72
; %bb.71:
	v_lshlrev_b32_e32 v28, 8, v23
	v_mov_b32_e32 v29, 0
	v_lshl_add_u64 v[30:31], v[14:15], 0, v[28:29]
	global_load_ushort v10, v[30:31], off
	v_lshl_add_u64 v[28:29], v[16:17], 0, v[28:29]
	s_waitcnt vmcnt(0)
	v_lshlrev_b32_e32 v10, 16, v10
	v_sub_f32_e32 v10, v10, v11
	global_store_short_d16_hi v[28:29], v10, off
	v_mul_f32_e32 v10, v20, v10
	v_lshrrev_b32_e32 v26, 16, v10
.LBB565_72:
	s_or_b64 exec, exec, s[2:3]
	v_mov_b32_e32 v11, 0
	v_mov_b32_e32 v20, 0
	s_and_saveexec_b64 s[2:3], s[0:1]
	s_cbranch_execz .LBB565_74
; %bb.73:
	v_lshlrev_b32_e32 v22, 8, v22
	v_mov_b32_e32 v23, 0
	v_lshl_add_u64 v[28:29], v[14:15], 0, v[22:23]
	global_load_ushort v10, v[28:29], off
	v_lshl_add_u64 v[22:23], v[16:17], 0, v[22:23]
	s_waitcnt vmcnt(0)
	v_lshlrev_b32_e32 v10, 16, v10
	v_sub_f32_e32 v10, v10, v12
	global_store_short_d16_hi v[22:23], v10, off
	v_mul_f32_e32 v10, v24, v10
	v_lshrrev_b32_e32 v20, 16, v10
.LBB565_74:
	s_or_b64 exec, exec, s[2:3]
	v_or_b32_e32 v10, 0x9800, v46
	s_and_saveexec_b64 s[0:1], vcc
	s_cbranch_execz .LBB565_76
; %bb.75:
	v_lshlrev_b32_e32 v22, 8, v21
	v_mov_b32_e32 v23, 0
	v_lshl_add_u64 v[14:15], v[14:15], 0, v[22:23]
	global_load_ushort v11, v[14:15], off
	v_lshl_add_u64 v[14:15], v[16:17], 0, v[22:23]
	s_waitcnt vmcnt(0)
	v_lshlrev_b32_e32 v11, 16, v11
	v_sub_f32_e32 v11, v11, v13
	global_store_short_d16_hi v[14:15], v11, off
	v_mul_f32_e32 v11, v19, v11
	v_lshrrev_b32_e32 v11, 16, v11
.LBB565_76:
	s_or_b64 exec, exec, s[0:1]
	s_mov_b32 s0, 0x5040100
	v_perm_b32 v13, v11, v20, s0
	v_lshlrev_b32_e32 v11, 1, v44
	v_perm_b32 v12, v26, v27, s0
	v_lshl_or_b32 v11, v18, 5, v11
	s_movk_i32 s0, 0xff
	ds_write_b64 v11, v[12:13] offset:38912
	v_and_b32_e32 v11, 7, v0
	v_and_b32_e32 v12, 8, v0
	v_cmp_lt_u32_e32 vcc, s0, v0
	v_lshrrev_b32_e32 v0, 1, v0
	v_lshlrev_b32_e32 v22, 3, v11
	v_lshlrev_b32_e32 v23, 7, v11
	v_cndmask_b32_e64 v11, 0, 1, vcc
	v_lshlrev_b32_e32 v25, 3, v48
	v_and_b32_e32 v0, 24, v0
	v_lshlrev_b32_e32 v24, 13, v11
	v_xor_b32_e32 v11, v25, v0
	v_or_b32_e32 v13, 0x440, v11
	v_cmp_eq_u32_e32 vcc, 0, v12
	s_waitcnt lgkmcnt(0)
	s_barrier
	v_cndmask_b32_e32 v11, v13, v11, vcc
	v_or_b32_e32 v11, v11, v45
	v_xad_u32 v26, v11, v22, v23
	v_add_u32_e32 v11, v24, v26
	ds_read_b64 v[20:21], v11
	ds_read2st64_b64 v[12:15], v10 offset1:1
	ds_read2st64_b64 v[16:19], v10 offset0:2 offset1:3
	v_or_b32_e32 v10, 32, v0
	v_xor_b32_e32 v10, v25, v10
	v_or_b32_e32 v11, 0x440, v10
	v_cndmask_b32_e32 v10, v11, v10, vcc
	v_or_b32_e32 v10, v10, v45
	v_xad_u32 v27, v10, v22, v23
	v_add_u32_e32 v10, v24, v27
	ds_read_b64 v[10:11], v10
	s_waitcnt lgkmcnt(2)
	v_mfma_f32_16x16x16_bf16 a[0:3], v[20:21], v[12:13], 0
	s_waitcnt lgkmcnt(0)
	v_mfma_f32_16x16x16_bf16 a[0:3], v[10:11], v[14:15], a[0:3]
	v_or_b32_e32 v10, 64, v0
	v_xor_b32_e32 v10, v25, v10
	v_xor_b32_e32 v11, 0x440, v10
	v_cndmask_b32_e32 v10, v11, v10, vcc
	v_or_b32_e32 v10, v10, v45
	v_or_b32_e32 v0, 0x60, v0
	v_xad_u32 v28, v10, v22, v23
	v_xor_b32_e32 v0, v25, v0
	v_add_u32_e32 v10, v24, v28
	v_xor_b32_e32 v20, 0x440, v0
	ds_read_b64 v[10:11], v10
	v_cndmask_b32_e32 v0, v20, v0, vcc
	v_or_b32_e32 v0, v0, v45
	v_xad_u32 v0, v0, v22, v23
	v_add_u32_e32 v20, v24, v0
	ds_read_b64 v[20:21], v20
	s_waitcnt lgkmcnt(1)
	v_mfma_f32_16x16x16_bf16 a[0:3], v[10:11], v[16:17], a[0:3]
	ds_read_b64 v[10:11], v26 offset:8192
	ds_read_b64 v[22:23], v28 offset:8192
	v_exp_f32_e32 v24, s20
	s_waitcnt lgkmcnt(2)
	v_mfma_f32_16x16x16_bf16 a[0:3], v[20:21], v[18:19], a[0:3]
	ds_read_b64 v[20:21], v27 offset:8192
	s_waitcnt lgkmcnt(2)
	v_mfma_f32_16x16x16_bf16 a[4:7], v[10:11], v[12:13], 0
	s_nop 3
	v_accvgpr_read_b32 v10, a0
	v_fma_f32 v12, v2, v24, v10
	ds_read_b64 v[10:11], v0 offset:8192
	s_waitcnt lgkmcnt(1)
	v_mfma_f32_16x16x16_bf16 a[4:7], v[20:21], v[14:15], a[4:7]
	v_accvgpr_read_b32 v0, a1
	v_fma_f32 v13, v3, v24, v0
	v_accvgpr_read_b32 v0, a2
	v_mfma_f32_16x16x16_bf16 a[4:7], v[22:23], v[16:17], a[4:7]
	v_accvgpr_read_b32 v15, a3
	v_fma_f32 v14, v4, v24, v0
	v_fmac_f32_e32 v15, v5, v24
	s_waitcnt lgkmcnt(0)
	v_mfma_f32_16x16x16_bf16 a[0:3], v[10:11], v[18:19], a[4:7]
	v_mov_b32_e32 v10, v34
	s_nop 5
	v_accvgpr_read_b32 v0, a0
	v_fma_f32 v16, v6, v24, v0
	v_accvgpr_read_b32 v0, a1
	v_fma_f32 v17, v7, v24, v0
	v_accvgpr_read_b32 v0, a2
	v_accvgpr_read_b32 v19, a3
	v_fma_f32 v18, v8, v24, v0
	v_fmac_f32_e32 v19, v9, v24
	v_mov_b64_e32 v[2:3], v[12:13]
	v_mov_b64_e32 v[4:5], v[14:15]
	;; [unrolled: 1-line block ×4, first 2 shown]
.LBB565_77:
	s_mul_i32 s0, s47, s35
	s_mul_hi_u32 s1, s47, s34
	s_add_i32 s0, s1, s0
	s_mul_i32 s1, s33, s34
	s_add_i32 s1, s0, s1
	s_mul_i32 s0, s47, s34
	s_add_u32 s0, s0, s46
	s_addc_u32 s1, s1, s25
	s_lshl_b64 s[0:1], s[0:1], 15
	s_add_u32 s0, s8, s0
	v_lshlrev_b32_e32 v10, 7, v10
	s_addc_u32 s1, s9, s1
	v_ashrrev_i32_e32 v11, 31, v10
	v_lshl_add_u64 v[10:11], v[10:11], 1, s[0:1]
	v_lshlrev_b32_e32 v0, 1, v1
	v_mov_b32_e32 v1, 0
	s_mov_b32 s0, 0x7060302
	v_lshl_add_u64 v[0:1], v[10:11], 0, v[0:1]
	v_perm_b32 v5, v5, v4, s0
	v_perm_b32 v4, v3, v2, s0
	;; [unrolled: 1-line block ×4, first 2 shown]
	global_store_dwordx2 v[0:1], v[4:5], off
	global_store_dwordx2 v[0:1], v[2:3], off offset:128
	s_endpgm
	.section	.rodata,"a",@progbits
	.p2align	6, 0x0
	.amdhsa_kernel _ZN12_GLOBAL__N_139chunk_gated_delta_rule_fwd_h_hip_kernelILi16ELb0ELb1ELb1ELb1ELb1ELb0ELb0ELb1EEEvPK12hip_bfloat16S3_S3_PKfS5_PKvPS1_S8_PvPKiSB_iiiiilll
		.amdhsa_group_segment_fixed_size 40960
		.amdhsa_private_segment_fixed_size 0
		.amdhsa_kernarg_size 136
		.amdhsa_user_sgpr_count 2
		.amdhsa_user_sgpr_dispatch_ptr 0
		.amdhsa_user_sgpr_queue_ptr 0
		.amdhsa_user_sgpr_kernarg_segment_ptr 1
		.amdhsa_user_sgpr_dispatch_id 0
		.amdhsa_user_sgpr_kernarg_preload_length 0
		.amdhsa_user_sgpr_kernarg_preload_offset 0
		.amdhsa_user_sgpr_private_segment_size 0
		.amdhsa_uses_dynamic_stack 0
		.amdhsa_enable_private_segment 0
		.amdhsa_system_sgpr_workgroup_id_x 1
		.amdhsa_system_sgpr_workgroup_id_y 1
		.amdhsa_system_sgpr_workgroup_id_z 0
		.amdhsa_system_sgpr_workgroup_info 0
		.amdhsa_system_vgpr_workitem_id 0
		.amdhsa_next_free_vgpr 116
		.amdhsa_next_free_sgpr 66
		.amdhsa_accum_offset 108
		.amdhsa_reserve_vcc 1
		.amdhsa_float_round_mode_32 0
		.amdhsa_float_round_mode_16_64 0
		.amdhsa_float_denorm_mode_32 3
		.amdhsa_float_denorm_mode_16_64 3
		.amdhsa_dx10_clamp 1
		.amdhsa_ieee_mode 1
		.amdhsa_fp16_overflow 0
		.amdhsa_tg_split 0
		.amdhsa_exception_fp_ieee_invalid_op 0
		.amdhsa_exception_fp_denorm_src 0
		.amdhsa_exception_fp_ieee_div_zero 0
		.amdhsa_exception_fp_ieee_overflow 0
		.amdhsa_exception_fp_ieee_underflow 0
		.amdhsa_exception_fp_ieee_inexact 0
		.amdhsa_exception_int_div_zero 0
	.end_amdhsa_kernel
	.section	.text._ZN12_GLOBAL__N_139chunk_gated_delta_rule_fwd_h_hip_kernelILi16ELb0ELb1ELb1ELb1ELb1ELb0ELb0ELb1EEEvPK12hip_bfloat16S3_S3_PKfS5_PKvPS1_S8_PvPKiSB_iiiiilll,"axG",@progbits,_ZN12_GLOBAL__N_139chunk_gated_delta_rule_fwd_h_hip_kernelILi16ELb0ELb1ELb1ELb1ELb1ELb0ELb0ELb1EEEvPK12hip_bfloat16S3_S3_PKfS5_PKvPS1_S8_PvPKiSB_iiiiilll,comdat
.Lfunc_end565:
	.size	_ZN12_GLOBAL__N_139chunk_gated_delta_rule_fwd_h_hip_kernelILi16ELb0ELb1ELb1ELb1ELb1ELb0ELb0ELb1EEEvPK12hip_bfloat16S3_S3_PKfS5_PKvPS1_S8_PvPKiSB_iiiiilll, .Lfunc_end565-_ZN12_GLOBAL__N_139chunk_gated_delta_rule_fwd_h_hip_kernelILi16ELb0ELb1ELb1ELb1ELb1ELb0ELb0ELb1EEEvPK12hip_bfloat16S3_S3_PKfS5_PKvPS1_S8_PvPKiSB_iiiiilll
                                        ; -- End function
	.section	.AMDGPU.csdata,"",@progbits
; Kernel info:
; codeLenInByte = 7844
; NumSgprs: 72
; NumVgprs: 108
; NumAgprs: 8
; TotalNumVgprs: 116
; ScratchSize: 0
; MemoryBound: 0
; FloatMode: 240
; IeeeMode: 1
; LDSByteSize: 40960 bytes/workgroup (compile time only)
; SGPRBlocks: 8
; VGPRBlocks: 14
; NumSGPRsForWavesPerEU: 72
; NumVGPRsForWavesPerEU: 116
; AccumOffset: 108
; Occupancy: 1
; WaveLimiterHint : 1
; COMPUTE_PGM_RSRC2:SCRATCH_EN: 0
; COMPUTE_PGM_RSRC2:USER_SGPR: 2
; COMPUTE_PGM_RSRC2:TRAP_HANDLER: 0
; COMPUTE_PGM_RSRC2:TGID_X_EN: 1
; COMPUTE_PGM_RSRC2:TGID_Y_EN: 1
; COMPUTE_PGM_RSRC2:TGID_Z_EN: 0
; COMPUTE_PGM_RSRC2:TIDIG_COMP_CNT: 0
; COMPUTE_PGM_RSRC3_GFX90A:ACCUM_OFFSET: 26
; COMPUTE_PGM_RSRC3_GFX90A:TG_SPLIT: 0
	.section	.text._ZN12_GLOBAL__N_139chunk_gated_delta_rule_fwd_h_hip_kernelILi16ELb0ELb1ELb0ELb1ELb1ELb0ELb0ELb1EEEvPK12hip_bfloat16S3_S3_PKfS5_PKvPS1_S8_PvPKiSB_iiiiilll,"axG",@progbits,_ZN12_GLOBAL__N_139chunk_gated_delta_rule_fwd_h_hip_kernelILi16ELb0ELb1ELb0ELb1ELb1ELb0ELb0ELb1EEEvPK12hip_bfloat16S3_S3_PKfS5_PKvPS1_S8_PvPKiSB_iiiiilll,comdat
	.globl	_ZN12_GLOBAL__N_139chunk_gated_delta_rule_fwd_h_hip_kernelILi16ELb0ELb1ELb0ELb1ELb1ELb0ELb0ELb1EEEvPK12hip_bfloat16S3_S3_PKfS5_PKvPS1_S8_PvPKiSB_iiiiilll ; -- Begin function _ZN12_GLOBAL__N_139chunk_gated_delta_rule_fwd_h_hip_kernelILi16ELb0ELb1ELb0ELb1ELb1ELb0ELb0ELb1EEEvPK12hip_bfloat16S3_S3_PKfS5_PKvPS1_S8_PvPKiSB_iiiiilll
	.p2align	8
	.type	_ZN12_GLOBAL__N_139chunk_gated_delta_rule_fwd_h_hip_kernelILi16ELb0ELb1ELb0ELb1ELb1ELb0ELb0ELb1EEEvPK12hip_bfloat16S3_S3_PKfS5_PKvPS1_S8_PvPKiSB_iiiiilll,@function
_ZN12_GLOBAL__N_139chunk_gated_delta_rule_fwd_h_hip_kernelILi16ELb0ELb1ELb0ELb1ELb1ELb0ELb0ELb1EEEvPK12hip_bfloat16S3_S3_PKfS5_PKvPS1_S8_PvPKiSB_iiiiilll: ; @_ZN12_GLOBAL__N_139chunk_gated_delta_rule_fwd_h_hip_kernelILi16ELb0ELb1ELb0ELb1ELb1ELb0ELb0ELb1EEEvPK12hip_bfloat16S3_S3_PKfS5_PKvPS1_S8_PvPKiSB_iiiiilll
; %bb.0:
	s_load_dwordx4 s[16:19], s[0:1], 0x5c
	s_abs_i32 s23, s3
	s_ashr_i32 s22, s3, 31
	s_load_dwordx2 s[20:21], s[0:1], 0x50
	s_load_dwordx8 s[4:11], s[0:1], 0x0
	s_load_dwordx4 s[12:15], s[0:1], 0x40
	s_load_dwordx2 s[40:41], s[0:1], 0x30
	s_waitcnt lgkmcnt(0)
	s_abs_i32 s26, s17
	v_cvt_f32_u32_e32 v1, s26
	s_sub_i32 s24, 0, s26
	s_ashr_i32 s33, s17, 31
	s_xor_b32 s22, s22, s33
	v_rcp_iflag_f32_e32 v1, v1
	v_lshrrev_b32_e32 v46, 6, v0
	v_bfe_u32 v49, v0, 4, 2
	v_lshlrev_b32_e32 v47, 4, v46
	v_mul_f32_e32 v1, 0x4f7ffffe, v1
	v_cvt_u32_f32_e32 v1, v1
	v_lshlrev_b32_e32 v10, 2, v49
	v_and_b32_e32 v48, 63, v0
	v_mov_b32_e32 v9, 0
	v_readfirstlane_b32 s25, v1
	s_mul_i32 s24, s24, s25
	s_mul_hi_u32 s24, s25, s24
	s_add_i32 s25, s25, s24
	s_mul_hi_u32 s24, s23, s25
	s_mul_i32 s25, s24, s26
	s_sub_i32 s23, s23, s25
	s_add_i32 s27, s24, 1
	s_sub_i32 s25, s23, s26
	s_cmp_ge_u32 s23, s26
	s_cselect_b32 s24, s27, s24
	s_cselect_b32 s23, s25, s23
	s_add_i32 s25, s24, 1
	s_cmp_ge_u32 s23, s26
	s_cselect_b32 s23, s25, s24
	s_xor_b32 s23, s23, s22
	s_sub_i32 s34, s23, s22
	s_mul_i32 s22, s34, s17
	s_ashr_i32 s35, s34, 31
	s_sub_i32 s44, s3, s22
	s_lshl_b64 s[22:23], s[34:35], 2
	s_add_u32 s14, s14, s22
	s_addc_u32 s15, s15, s23
	s_add_u32 s24, s20, s22
	s_addc_u32 s25, s21, s23
	s_abs_i32 s3, s18
	v_cvt_f32_u32_e32 v1, s3
	s_load_dwordx2 s[36:37], s[14:15], 0x0
	s_sub_i32 s15, 0, s3
	s_mov_b32 s45, s17
	v_rcp_iflag_f32_e32 v1, v1
	v_and_b32_e32 v50, 15, v0
	s_waitcnt lgkmcnt(0)
	s_sub_i32 s49, s37, s36
	s_ashr_i32 s14, s49, 31
	v_mul_f32_e32 v1, 0x4f7ffffe, v1
	v_cvt_u32_f32_e32 v1, v1
	s_lshr_b32 s14, s14, 26
	s_add_i32 s14, s49, s14
	s_ashr_i32 s50, s14, 6
	v_readfirstlane_b32 s20, v1
	s_mul_i32 s15, s15, s20
	s_mul_hi_u32 s15, s20, s15
	s_add_i32 s20, s20, s15
	s_mul_hi_u32 s15, s26, s20
	s_mul_i32 s20, s15, s3
	s_ashr_i32 s14, s18, 31
	s_sub_i32 s20, s26, s20
	s_xor_b32 s14, s33, s14
	s_add_i32 s21, s15, 1
	s_sub_i32 s22, s20, s3
	s_cmp_ge_u32 s20, s3
	s_cselect_b32 s15, s21, s15
	s_cselect_b32 s20, s22, s20
	s_add_i32 s21, s15, 1
	s_cmp_ge_u32 s20, s3
	s_cselect_b32 s3, s21, s15
	s_xor_b32 s3, s3, s14
	s_sub_i32 s3, s3, s14
	s_abs_i32 s26, s3
	v_cvt_f32_u32_e32 v1, s26
	s_load_dwordx2 s[14:15], s[0:1], 0x80
	s_load_dwordx4 s[20:23], s[0:1], 0x70
	s_load_dword s51, s[24:25], 0x0
	s_xor_b32 s0, s44, s3
	v_rcp_iflag_f32_e32 v1, v1
	s_sub_i32 s3, 0, s26
	s_abs_i32 s1, s44
	s_ashr_i32 s0, s0, 31
	v_mul_f32_e32 v1, 0x4f7ffffe, v1
	v_cvt_u32_f32_e32 v1, v1
	s_mul_hi_i32 s52, s44, s16
	s_mul_i32 s53, s44, s16
	v_lshrrev_b32_e32 v52, 3, v48
	v_readfirstlane_b32 s24, v1
	s_mul_i32 s3, s3, s24
	s_mul_hi_u32 s3, s24, s3
	s_add_i32 s24, s24, s3
	s_mul_hi_u32 s3, s1, s24
	s_mul_i32 s24, s3, s26
	s_sub_i32 s1, s1, s24
	s_add_i32 s24, s3, 1
	s_sub_i32 s25, s1, s26
	s_cmp_ge_u32 s1, s26
	s_cselect_b32 s3, s24, s3
	s_cselect_b32 s1, s25, s1
	s_add_i32 s24, s3, 1
	s_cmp_ge_u32 s1, s26
	s_cselect_b32 s1, s24, s3
	s_xor_b32 s1, s1, s0
	s_sub_i32 s54, s1, s0
	v_or_b32_e32 v1, v10, v47
	s_lshl_b32 s2, s2, 4
	v_or_b32_e32 v53, 64, v1
	s_cmp_lt_i32 s49, 64
	v_lshlrev_b32_e32 v51, 3, v0
	s_waitcnt lgkmcnt(0)
	s_mul_i32 s46, s34, s21
	s_mul_hi_u32 s47, s34, s20
	s_mul_i32 s48, s35, s20
	s_mul_i32 s38, s34, s20
	v_mov_b32_e32 v8, v9
	v_mov_b32_e32 v7, v9
	v_mov_b32_e32 v6, v9
	v_mov_b32_e32 v5, v9
	v_mov_b32_e32 v4, v9
	v_mov_b32_e32 v3, v9
	v_mov_b32_e32 v2, v9
	s_cbranch_scc1 .LBB566_18
; %bb.1:
	s_ashr_i32 s56, s44, 31
	s_ashr_i32 s1, s36, 31
	s_add_u32 s0, s53, s36
	s_addc_u32 s1, s52, s1
	s_lshl_b64 s[0:1], s[0:1], 8
	v_and_b32_e32 v55, 56, v51
	s_add_u32 s24, s6, s0
	v_lshl_or_b32 v54, v46, 3, v52
	v_lshlrev_b32_e32 v3, 1, v55
	s_addc_u32 s0, s7, s1
	v_lshl_or_b32 v56, v54, 8, v3
	s_and_b32 s25, s0, 0xffff
	s_mov_b32 s27, 0x20000
	s_movk_i32 s26, 0x4000
	s_movk_i32 s0, 0x80
	v_or_b32_e32 v57, 0x2000, v56
	buffer_load_dwordx4 v[4:7], v56, s[24:27], 0 offen
	buffer_load_dwordx4 v[12:15], v56, s[24:27], s0 offen
	;; [unrolled: 1-line block ×4, first 2 shown]
	v_lshlrev_b32_e32 v2, 3, v54
	v_and_or_b32 v9, v0, 7, v2
	v_and_b32_e32 v2, 0x78, v2
	v_lshlrev_b32_e32 v9, 4, v9
	v_xor_b32_e32 v58, v9, v2
	v_mul_lo_u32 v8, v54, s19
	v_or_b32_e32 v59, 0x1000, v58
	v_xor_b32_e32 v2, 8, v58
	s_cmpk_eq_i32 s19, 0x80
	s_mov_b32 s55, s36
	v_xor_b32_e32 v9, 8, v59
	s_cselect_b64 s[0:1], -1, 0
	s_cmpk_lg_i32 s19, 0x80
	s_waitcnt vmcnt(3)
	ds_write_b64 v58, v[4:5] offset:16384
	ds_write_b64 v2, v[6:7] offset:16384
	s_waitcnt vmcnt(2)
	ds_write_b64 v58, v[12:13] offset:24576
	ds_write_b64 v2, v[14:15] offset:24576
	;; [unrolled: 3-line block ×4, first 2 shown]
	v_lshl_add_u32 v2, v8, 1, v55
	s_cbranch_scc0 .LBB566_3
; %bb.2:
	v_lshlrev_b32_e32 v6, 1, v2
	v_add_lshl_u32 v5, v2, s19, 1
	s_lshl_b32 s26, s19, 7
	v_lshl_or_b32 v4, v54, 9, v3
	s_cbranch_execz .LBB566_4
	s_branch .LBB566_5
.LBB566_3:
                                        ; implicit-def: $vgpr5
                                        ; implicit-def: $vgpr6
                                        ; implicit-def: $sgpr26
	v_lshl_or_b32 v4, v54, 9, v3
.LBB566_4:
	v_or_b32_e32 v5, 0x100, v4
	s_movk_i32 s26, 0x4000
	v_mov_b32_e32 v6, v4
.LBB566_5:
	s_mul_i32 s20, s36, s18
	s_ashr_i32 s57, s54, 31
	s_mul_hi_i32 s3, s36, s18
	s_add_u32 s20, s20, s54
	s_addc_u32 s21, s3, s57
	s_lshl_b64 s[20:21], s[20:21], 8
	s_add_u32 s24, s4, s20
	s_addc_u32 s3, s5, s21
	s_and_b32 s25, s3, 0xffff
	s_movk_i32 s58, 0x80
	buffer_load_dwordx4 v[12:15], v6, s[24:27], 0 offen
	buffer_load_dwordx4 v[16:19], v6, s[24:27], s58 offen
	;; [unrolled: 1-line block ×4, first 2 shown]
	v_and_b32_e32 v3, 6, v0
	v_lshlrev_b32_e32 v6, 2, v50
	v_lshlrev_b32_e32 v7, 3, v50
	v_xor_b32_e32 v9, v54, v3
	v_and_b32_e32 v5, 1, v0
	v_lshl_or_b32 v7, v1, 5, v7
	v_xor_b32_e32 v11, v1, v6
	v_lshlrev_b32_e32 v9, 2, v9
	s_mul_i32 s3, s44, s23
	s_mul_hi_u32 s21, s44, s22
	v_or_b32_e32 v60, 0x9000, v7
	v_or_b32_e32 v61, 0x9800, v7
	v_lshlrev_b32_e32 v7, 1, v11
	v_xor_b32_e32 v11, 0x440, v9
	v_cmp_eq_u32_e32 vcc, 0, v5
	s_add_i32 s25, s47, s46
	s_mul_i32 s24, s56, s22
	v_cndmask_b32_e32 v5, v11, v9, vcc
	s_add_i32 s3, s21, s3
	s_add_i32 s39, s25, s48
	s_mov_b32 s59, 0x1000504
	v_lshlrev_b32_e32 v8, 8, v50
	s_mov_b32 s26, 0x8000
	v_xor_b32_e32 v6, v53, v6
	v_lshl_or_b32 v3, v3, 10, v5
	s_add_i32 s21, s3, s24
	s_lshl_b64 s[24:25], s[38:39], 2
	s_mov_b32 s60, 0x3020706
	s_mul_i32 s20, s44, s22
	v_lshlrev_b32_e32 v6, 1, v6
	v_or3_b32 v62, v7, v8, s26
	v_xor_b32_e32 v5, 8, v3
	v_xor_b32_e32 v7, 24, v3
	;; [unrolled: 1-line block ×4, first 2 shown]
	s_add_u32 s3, s10, s24
	v_or3_b32 v63, v6, v8, s26
	v_xor_b32_e32 v6, 16, v3
	v_xor_b32_e32 v8, 32, v3
	;; [unrolled: 1-line block ×3, first 2 shown]
	v_add_u32_e32 v5, 0x80, v5
	v_add_u32_e32 v7, 0x80, v7
	;; [unrolled: 1-line block ×4, first 2 shown]
	s_addc_u32 s24, s11, s25
	s_lshl_b64 s[20:21], s[20:21], 2
	s_add_u32 s20, s3, s20
	s_movk_i32 s3, 0xf8
	s_addc_u32 s21, s24, s21
	s_lshl_b32 s30, s19, 7
	s_mov_b32 s61, 0
	v_add_u32_e32 v78, v47, v10
	s_waitcnt vmcnt(1)
	v_perm_b32 v29, v12, v20, s59
	s_waitcnt vmcnt(0)
	v_perm_b32 v30, v16, v24, s59
	v_perm_b32 v12, v12, v20, s60
	;; [unrolled: 1-line block ×15, first 2 shown]
	ds_write2st64_b32 v3, v29, v30 offset1:32
	ds_write2st64_b32 v5, v12, v16 offset1:32
	ds_write2st64_b32 v6, v20, v24 offset0:1 offset1:33
	ds_write2st64_b32 v7, v13, v17 offset0:1 offset1:33
	;; [unrolled: 1-line block ×6, first 2 shown]
	v_or_b32_e32 v3, v47, v50
	v_lshlrev_b32_e32 v3, 3, v3
	v_lshrrev_b32_e32 v7, 5, v48
	v_and_or_b32 v7, v3, s3, v7
	v_lshlrev_b32_e32 v7, 4, v7
	v_lshlrev_b32_e32 v5, 11, v46
	v_and_b32_e32 v3, 0x78, v3
	v_or_b32_e32 v12, 32, v7
	v_and_b32_e32 v6, 0x1000, v5
	v_lshrrev_b32_e32 v11, 1, v0
	v_xor_b32_e32 v12, v12, v3
	v_and_b32_e32 v9, 8, v11
	v_or_b32_e32 v12, v12, v6
	v_xor_b32_e32 v8, v7, v3
	v_xor_b32_e32 v66, v12, v9
	v_or_b32_e32 v12, 64, v7
	v_or_b32_e32 v7, 0x60, v7
	v_or_b32_e32 v8, v8, v6
	v_xor_b32_e32 v12, v12, v3
	v_xor_b32_e32 v3, v7, v3
	;; [unrolled: 1-line block ×3, first 2 shown]
	v_and_b32_e32 v8, 0x78, v51
	v_or_b32_e32 v12, v12, v6
	v_or_b32_e32 v3, v3, v6
	v_lshl_or_b32 v8, v49, 7, v8
	v_xor_b32_e32 v67, v12, v9
	v_xor_b32_e32 v68, v3, v9
	v_lshlrev_b32_e32 v12, 1, v2
	v_add_lshl_u32 v13, v2, s19, 1
	v_lshrrev_b32_e32 v2, 4, v0
	v_lshlrev_b32_e32 v3, 1, v50
	v_or_b32_e32 v65, 0x9000, v8
	v_or_b32_e32 v69, 0x9800, v8
	s_ashr_i32 s3, s2, 31
	v_or_b32_e32 v8, 1, v3
	v_xor_b32_e32 v3, v2, v3
	s_lshl_b64 s[24:25], s[2:3], 8
	v_xor_b32_e32 v8, v8, v2
	v_lshlrev_b32_e32 v3, 3, v3
	v_lshlrev_b32_e32 v2, 8, v2
	s_add_u32 s24, s40, s24
	v_or3_b32 v70, v3, v2, s26
	v_lshlrev_b32_e32 v3, 3, v8
	s_addc_u32 s25, s41, s25
	v_or3_b32 v71, v3, v2, s26
	v_mov_b32_e32 v3, 0
	v_lshl_add_u64 v[8:9], s[24:25], 0, v[2:3]
	v_lshlrev_b32_e32 v2, 4, v50
	s_movk_i32 s3, 0xff
	v_lshlrev_b32_e32 v16, 3, v46
	v_and_b32_e32 v11, 24, v11
	v_lshl_add_u64 v[42:43], v[8:9], 0, v[2:3]
	v_and_b32_e32 v8, 8, v0
	v_cmp_lt_u32_e32 vcc, s3, v0
	v_xor_b32_e32 v17, v16, v11
	v_or_b32_e32 v18, 0x440, v17
	v_cndmask_b32_e64 v15, 0, 1, vcc
	v_cmp_eq_u32_e32 vcc, 0, v8
	v_and_b32_e32 v2, 7, v0
	v_lshlrev_b32_e32 v9, 3, v2
	v_cndmask_b32_e32 v8, v18, v17, vcc
	v_lshlrev_b32_e32 v2, 7, v2
	v_or_b32_e32 v8, v8, v5
	v_xad_u32 v72, v8, v9, v2
	v_or_b32_e32 v8, 32, v11
	v_xor_b32_e32 v8, v16, v8
	v_or_b32_e32 v17, 0x440, v8
	v_cndmask_b32_e32 v8, v17, v8, vcc
	v_or_b32_e32 v8, v8, v5
	v_xad_u32 v73, v8, v9, v2
	v_or_b32_e32 v8, 64, v11
	v_xor_b32_e32 v8, v16, v8
	v_xor_b32_e32 v17, 0x440, v8
	v_cndmask_b32_e32 v8, v17, v8, vcc
	v_or_b32_e32 v8, v8, v5
	v_xad_u32 v74, v8, v9, v2
	v_or_b32_e32 v8, 0x60, v11
	v_xor_b32_e32 v8, v16, v8
	v_xor_b32_e32 v11, 0x440, v8
	v_or_b32_e32 v6, s2, v50
	v_cndmask_b32_e32 v8, v11, v8, vcc
	v_ashrrev_i32_e32 v7, 31, v6
	v_or_b32_e32 v5, v8, v5
	v_lshl_add_u64 v[6:7], v[6:7], 1, s[8:9]
	v_or_b32_e32 v14, 0x100, v4
	v_lshlrev_b32_e32 v15, 13, v15
	v_xad_u32 v75, v5, v9, v2
	v_lshlrev_b32_e32 v2, 8, v1
	v_cndmask_b32_e64 v76, v12, v4, s[0:1]
	v_cndmask_b32_e64 v77, v13, v14, s[0:1]
	v_lshl_add_u64 v[44:45], v[6:7], 0, v[2:3]
	s_mov_b32 s3, 0x7060302
	s_movk_i32 s26, 0x4000
	v_add_u32_e32 v79, v15, v72
	v_add_u32_e32 v80, v15, v73
	;; [unrolled: 1-line block ×4, first 2 shown]
	v_mov_b32_e32 v2, v3
	v_mov_b32_e32 v4, v3
	;; [unrolled: 1-line block ×7, first 2 shown]
	s_waitcnt lgkmcnt(0)
	s_barrier
.LBB566_6:                              ; =>This Inner Loop Header: Depth=1
	s_add_i32 s39, s61, 1
	s_cmp_lt_i32 s39, s50
	s_mov_b64 s[28:29], 0
	s_cselect_b64 s[42:43], -1, 0
	s_cmp_ge_i32 s39, s50
	s_mov_b64 s[24:25], 0
	s_cbranch_scc1 .LBB566_8
; %bb.7:                                ;   in Loop: Header=BB566_6 Depth=1
	s_add_i32 s0, s55, 64
	s_ashr_i32 s1, s0, 31
	s_add_u32 s0, s53, s0
	s_addc_u32 s1, s52, s1
	s_lshl_b64 s[0:1], s[0:1], 8
	s_add_u32 s24, s6, s0
	s_addc_u32 s25, s7, s1
.LBB566_8:                              ;   in Loop: Header=BB566_6 Depth=1
	v_cndmask_b32_e64 v5, 0, 1, s[42:43]
	v_cmp_ne_u32_e64 s[0:1], 1, v5
	s_andn2_b64 vcc, exec, s[42:43]
	s_cbranch_vccnz .LBB566_10
; %bb.9:                                ;   in Loop: Header=BB566_6 Depth=1
	s_add_i32 s28, s55, 64
	s_mul_hi_i32 s29, s28, s18
	s_mul_i32 s28, s28, s18
	s_add_u32 s28, s28, s54
	s_addc_u32 s29, s29, s57
	s_lshl_b64 s[28:29], s[28:29], 8
	s_add_u32 s28, s4, s28
	s_addc_u32 s29, s5, s29
.LBB566_10:                             ;   in Loop: Header=BB566_6 Depth=1
	v_perm_b32 v11, v84, v4, s3
	v_perm_b32 v10, v3, v2, s3
	;; [unrolled: 1-line block ×4, first 2 shown]
	ds_write_b64 v60, v[10:11]
	ds_write_b64 v61, v[12:13]
	ds_write_b64 v62, v[10:11]
	ds_write_b64 v63, v[12:13]
	s_waitcnt lgkmcnt(0)
	s_barrier
	ds_read_b64 v[18:19], v64 offset:16384
	ds_read_b64 v[20:21], v66 offset:16384
	ds_read2st64_b64 v[10:13], v65 offset1:1
	s_waitcnt lgkmcnt(0)
	v_mfma_f32_16x16x16_bf16 a[0:3], v[18:19], v[10:11], 0
	ds_read2st64_b64 v[14:17], v65 offset0:2 offset1:3
	ds_read_b64 v[22:23], v67 offset:16384
	ds_read_b64 v[10:11], v68 offset:16384
	s_add_i32 s31, s55, 63
	v_mfma_f32_16x16x16_bf16 a[0:3], v[20:21], v[12:13], a[0:3]
	s_ashr_i32 s42, s31, 31
	s_mul_i32 s43, s31, s15
	s_mul_hi_u32 s62, s31, s14
	s_waitcnt lgkmcnt(1)
	v_mfma_f32_16x16x16_bf16 a[0:3], v[22:23], v[14:15], a[0:3]
	s_add_i32 s43, s62, s43
	s_mul_i32 s42, s42, s14
	s_add_i32 s43, s43, s42
	s_mul_i32 s42, s31, s14
	s_waitcnt lgkmcnt(0)
	v_mfma_f32_16x16x16_bf16 a[0:3], v[10:11], v[16:17], a[0:3]
	s_lshl_b64 s[42:43], s[42:43], 2
	s_add_u32 s42, s20, s42
	s_addc_u32 s43, s21, s43
	s_and_b64 vcc, exec, s[0:1]
	v_mov_b32_e32 v85, 0
	v_mov_b32_e32 v9, 0
	;; [unrolled: 1-line block ×19, first 2 shown]
	s_cbranch_vccnz .LBB566_12
; %bb.11:                               ;   in Loop: Header=BB566_6 Depth=1
	s_and_b32 s25, s25, 0xffff
	buffer_load_dwordx4 v[22:25], v56, s[24:27], 0 offen
	buffer_load_dwordx4 v[18:21], v56, s[24:27], s58 offen
	buffer_load_dwordx4 v[14:17], v57, s[24:27], 0 offen
	buffer_load_dwordx4 v[10:13], v57, s[24:27], s58 offen
	v_mov_b32_e32 v9, v58
	v_mov_b32_e32 v5, v59
.LBB566_12:                             ;   in Loop: Header=BB566_6 Depth=1
	s_waitcnt vmcnt(3)
	v_add_u32_e32 v30, s55, v78
	s_waitcnt vmcnt(1)
	v_ashrrev_i32_e32 v26, 31, v30
	v_mul_lo_u32 v28, v26, s14
	v_mul_lo_u32 v29, v30, s15
	v_mad_u64_u32 v[26:27], s[24:25], v30, s14, 0
	v_add3_u32 v27, v27, v29, v28
	v_lshl_add_u64 v[26:27], v[26:27], 2, s[20:21]
	global_load_dword v87, v[26:27], off
	v_add_u32_e32 v26, 1, v30
	v_ashrrev_i32_e32 v27, 31, v26
	v_mul_lo_u32 v28, v27, s14
	v_mul_lo_u32 v29, v26, s15
	v_mad_u64_u32 v[26:27], s[24:25], v26, s14, 0
	v_add3_u32 v27, v27, v29, v28
	v_add_u32_e32 v28, 2, v30
	v_ashrrev_i32_e32 v29, 31, v28
	v_mul_lo_u32 v31, v29, s14
	v_mul_lo_u32 v32, v28, s15
	v_mad_u64_u32 v[28:29], s[24:25], v28, s14, 0
	v_add_u32_e32 v30, 3, v30
	v_add3_u32 v29, v29, v32, v31
	v_ashrrev_i32_e32 v31, 31, v30
	v_mul_lo_u32 v34, v31, s14
	v_mul_lo_u32 v35, v30, s15
	v_mad_u64_u32 v[30:31], s[24:25], v30, s14, 0
	s_ashr_i32 s25, s55, 31
	s_add_u32 s24, s53, s55
	s_addc_u32 s25, s52, s25
	s_lshl_b64 s[24:25], s[24:25], 8
	v_lshl_add_u64 v[26:27], v[26:27], 2, s[20:21]
	v_lshl_add_u64 v[32:33], v[44:45], 0, s[24:25]
	v_add3_u32 v31, v31, v35, v34
	v_lshl_add_u64 v[28:29], v[28:29], 2, s[20:21]
	global_load_ushort v94, v[32:33], off
	global_load_ushort v95, v[32:33], off offset:256
	global_load_ushort v96, v[32:33], off offset:512
	;; [unrolled: 1-line block ×3, first 2 shown]
	v_lshl_add_u64 v[30:31], v[30:31], 2, s[20:21]
	global_load_dword v98, v[26:27], off
	global_load_dword v99, v[28:29], off
	;; [unrolled: 1-line block ×3, first 2 shown]
	s_load_dword s24, s[42:43], 0x0
	ds_read2st64_b64 v[34:37], v69 offset1:1
	ds_read2st64_b64 v[38:41], v69 offset0:2 offset1:3
	ds_read_b64 v[32:33], v64 offset:24576
	ds_read_b64 v[88:89], v66 offset:24576
	;; [unrolled: 1-line block ×4, first 2 shown]
	s_waitcnt lgkmcnt(0)
	v_mfma_f32_16x16x16_bf16 a[0:3], v[32:33], v[34:35], a[0:3]
	v_mov_b32_e32 v86, 0
	v_mov_b32_e32 v26, 0
	v_mov_b32_e32 v27, 0
	v_mfma_f32_16x16x16_bf16 a[0:3], v[88:89], v[36:37], a[0:3]
	v_mov_b32_e32 v28, 0
	v_mov_b32_e32 v29, 0
	v_mov_b32_e32 v30, 0
	;; [unrolled: 4-line block ×4, first 2 shown]
	v_mov_b32_e32 v37, 0
	v_mov_b32_e32 v38, 0
	;; [unrolled: 1-line block ×3, first 2 shown]
	s_and_b64 vcc, exec, s[0:1]
	v_accvgpr_read_b32 v89, a1
	v_accvgpr_read_b32 v41, a3
	;; [unrolled: 1-line block ×4, first 2 shown]
	s_waitcnt vmcnt(7)
	v_sub_f32_e32 v87, s24, v87
	s_waitcnt vmcnt(6)
	v_lshlrev_b32_e32 v90, 16, v94
	v_exp_f32_e32 v94, v87
	s_waitcnt vmcnt(4)
	v_lshlrev_b32_e32 v92, 16, v96
	s_waitcnt vmcnt(3)
	v_lshlrev_b32_e32 v93, 16, v97
	s_waitcnt vmcnt(2)
	v_sub_f32_e32 v87, s24, v98
	s_waitcnt vmcnt(1)
	v_sub_f32_e32 v96, s24, v99
	;; [unrolled: 2-line block ×3, first 2 shown]
	v_lshlrev_b32_e32 v91, 16, v95
	v_exp_f32_e32 v95, v87
	v_exp_f32_e32 v96, v96
	;; [unrolled: 1-line block ×3, first 2 shown]
	v_pk_add_f32 v[88:89], v[90:91], v[88:89] neg_lo:[0,1] neg_hi:[0,1]
	v_pk_add_f32 v[40:41], v[92:93], v[40:41] neg_lo:[0,1] neg_hi:[0,1]
	v_pk_mul_f32 v[88:89], v[94:95], v[88:89]
	v_pk_mul_f32 v[40:41], v[96:97], v[40:41]
	s_nop 0
	v_perm_b32 v41, v41, v40, s3
	v_perm_b32 v40, v89, v88, s3
	ds_write_b64 v61, v[40:41]
	v_mov_b32_e32 v40, 0
	v_mov_b32_e32 v41, 0
	s_cbranch_vccnz .LBB566_14
; %bb.13:                               ;   in Loop: Header=BB566_6 Depth=1
	s_and_b32 s29, s29, 0xffff
	s_mov_b32 s31, s27
	buffer_load_dwordx4 v[38:41], v76, s[28:31], 0 offen
	buffer_load_dwordx4 v[30:33], v76, s[28:31], s58 offen
	;; [unrolled: 1-line block ×4, first 2 shown]
	v_mov_b32_e32 v85, v55
	v_mov_b32_e32 v86, v54
.LBB566_14:                             ;   in Loop: Header=BB566_6 Depth=1
	s_waitcnt lgkmcnt(0)
	s_barrier
	ds_read_b64 v[96:97], v79
	ds_read2st64_b64 v[88:91], v69 offset1:1
	ds_read2st64_b64 v[92:95], v69 offset0:2 offset1:3
	ds_read_b64 v[98:99], v80
	ds_read_b64 v[100:101], v81
	;; [unrolled: 1-line block ×3, first 2 shown]
	s_waitcnt lgkmcnt(4)
	v_mfma_f32_16x16x16_bf16 a[0:3], v[96:97], v[88:89], 0
	ds_read_b64 v[96:97], v72 offset:8192
	ds_read_b64 v[104:105], v73 offset:8192
	s_add_i32 s25, s51, s61
	s_mul_hi_i32 s29, s25, s45
	s_waitcnt lgkmcnt(1)
	v_mfma_f32_16x16x16_bf16 a[4:7], v[96:97], v[88:89], 0
	s_mul_i32 s25, s25, s45
	s_add_u32 s28, s25, s44
	s_addc_u32 s29, s29, s56
	v_mfma_f32_16x16x16_bf16 a[0:3], v[98:99], v[90:91], a[0:3]
	ds_read_b64 v[96:97], v70
	ds_read_b64 v[98:99], v71
	ds_read_b64 v[88:89], v74 offset:8192
	s_lshl_b64 s[28:29], s[28:29], 15
	v_mfma_f32_16x16x16_bf16 a[0:3], v[100:101], v[92:93], a[0:3]
	ds_read_b64 v[100:101], v75 offset:8192
	s_and_b64 vcc, exec, s[0:1]
	s_waitcnt lgkmcnt(4)
	v_mfma_f32_16x16x16_bf16 a[4:7], v[104:105], v[90:91], a[4:7]
	s_waitcnt lgkmcnt(1)
	v_mfma_f32_16x16x16_bf16 a[4:7], v[88:89], v[92:93], a[4:7]
	v_lshl_add_u64 v[88:89], v[42:43], 0, s[28:29]
	global_store_dwordx4 v[88:89], v[96:99], off
	v_mfma_f32_16x16x16_bf16 a[0:3], v[102:103], v[94:95], a[0:3]
	s_waitcnt lgkmcnt(0)
	v_mfma_f32_16x16x16_bf16 a[4:7], v[100:101], v[94:95], a[4:7]
	s_cbranch_vccnz .LBB566_16
; %bb.15:                               ;   in Loop: Header=BB566_6 Depth=1
	v_lshrrev_b32_e32 v87, 3, v85
	v_and_b32_e32 v87, 6, v87
	v_xor_b32_e32 v86, v87, v86
	v_lshlrev_b32_e32 v86, 2, v86
	v_and_b32_e32 v85, 8, v85
	v_xor_b32_e32 v88, 0x440, v86
	v_cmp_eq_u32_e32 vcc, 0, v85
	s_barrier
	s_nop 0
	v_cndmask_b32_e32 v85, v88, v86, vcc
	v_lshl_or_b32 v85, v87, 10, v85
	s_waitcnt vmcnt(2)
	v_perm_b32 v86, v38, v34, s59
	s_waitcnt vmcnt(1)
	v_perm_b32 v87, v30, v26, s59
	ds_write2st64_b32 v85, v86, v87 offset1:32
	v_xor_b32_e32 v86, 8, v85
	v_perm_b32 v34, v38, v34, s60
	v_perm_b32 v26, v30, v26, s60
	v_add_u32_e32 v30, 0x80, v86
	ds_write2st64_b32 v30, v34, v26 offset1:32
	v_xor_b32_e32 v26, 16, v85
	v_perm_b32 v30, v39, v35, s59
	v_perm_b32 v34, v31, v27, s59
	ds_write2st64_b32 v26, v30, v34 offset0:1 offset1:33
	v_xor_b32_e32 v26, 24, v85
	v_perm_b32 v30, v39, v35, s60
	v_perm_b32 v27, v31, v27, s60
	v_add_u32_e32 v26, 0x80, v26
	ds_write2st64_b32 v26, v30, v27 offset0:1 offset1:33
	v_xor_b32_e32 v26, 32, v85
	v_perm_b32 v27, v40, v36, s59
	v_perm_b32 v30, v32, v28, s59
	ds_write2st64_b32 v26, v27, v30 offset0:2 offset1:34
	v_xor_b32_e32 v26, 40, v85
	v_perm_b32 v27, v40, v36, s60
	v_perm_b32 v28, v32, v28, s60
	v_add_u32_e32 v26, 0x80, v26
	ds_write2st64_b32 v26, v27, v28 offset0:2 offset1:34
	;; [unrolled: 9-line block ×3, first 2 shown]
	ds_write_b64 v9, v[22:23] offset:16384
	v_xor_b32_e32 v22, 8, v9
	ds_write_b64 v22, v[24:25] offset:16384
	ds_write_b64 v9, v[18:19] offset:24576
	;; [unrolled: 1-line block ×4, first 2 shown]
	v_xor_b32_e32 v9, 8, v5
	ds_write_b64 v9, v[16:17] offset:16384
	ds_write_b64 v5, v[10:11] offset:24576
	;; [unrolled: 1-line block ×3, first 2 shown]
.LBB566_16:                             ;   in Loop: Header=BB566_6 Depth=1
	v_exp_f32_e32 v10, s24
	s_nop 2
	v_accvgpr_read_b32 v9, a1
	v_accvgpr_read_b32 v5, a0
	s_add_i32 s55, s55, 64
	v_fma_f32 v3, v3, v10, v9
	v_accvgpr_read_b32 v9, a4
	v_fma_f32 v6, v6, v10, v9
	v_accvgpr_read_b32 v9, a5
	;; [unrolled: 2-line block ×6, first 2 shown]
	v_fmac_f32_e32 v5, v84, v10
	s_cmp_eq_u32 s50, s39
	v_fmac_f32_e32 v9, v83, v10
	s_cbranch_scc1 .LBB566_18
; %bb.17:                               ;   in Loop: Header=BB566_6 Depth=1
	s_mov_b32 s61, s39
	v_mov_b32_e32 v84, v5
	v_mov_b32_e32 v83, v9
	s_branch .LBB566_6
.LBB566_18:
	s_lshl_b32 s3, s50, 6
	s_sub_i32 s49, s49, s3
	s_cmp_gt_i32 s49, 0
	s_waitcnt vmcnt(2)
	v_or_b32_e32 v34, s2, v50
	s_cbranch_scc1 .LBB566_20
; %bb.19:
	s_ashr_i32 s21, s44, 31
	v_or_b32_e32 v10, s2, v50
	s_cbranch_execz .LBB566_21
	s_branch .LBB566_77
.LBB566_20:
                                        ; implicit-def: $vgpr10
                                        ; implicit-def: $sgpr20_sgpr21
.LBB566_21:
	s_add_i32 s20, s3, s36
	s_ashr_i32 s3, s20, 31
	s_cmpk_lg_i32 s19, 0x80
	s_cselect_b64 s[30:31], -1, 0
	s_and_b64 vcc, exec, s[30:31]
	s_cbranch_vccz .LBB566_23
; %bb.22:
	s_mul_hi_i32 s0, s20, s18
	s_mul_i32 s1, s20, s18
	s_ashr_i32 s18, s54, 31
	s_add_u32 s42, s1, s54
	s_addc_u32 s43, s0, s18
	s_cbranch_execz .LBB566_24
	s_branch .LBB566_25
.LBB566_23:
                                        ; implicit-def: $sgpr42_sgpr43
.LBB566_24:
	s_mul_i32 s1, s54, s16
	s_mul_hi_i32 s0, s54, s16
	s_add_u32 s42, s1, s20
	s_addc_u32 s43, s0, s3
.LBB566_25:
	s_add_i32 s16, s50, s51
	s_ashr_i32 s21, s44, 31
	s_add_u32 s0, s53, s20
	s_addc_u32 s1, s52, s3
	s_mov_b32 s3, 0x7060302
	v_lshlrev_b32_e32 v14, 3, v50
	s_lshl_b64 s[28:29], s[0:1], 8
	v_perm_b32 v11, v5, v4, s3
	v_perm_b32 v10, v3, v2, s3
	;; [unrolled: 1-line block ×4, first 2 shown]
	v_lshlrev_b32_e32 v44, 2, v50
	v_lshl_or_b32 v14, v1, 5, v14
	s_add_u32 s0, s6, s28
	ds_write2st64_b64 v14, v[10:11], v[12:13] offset0:72 offset1:76
	v_xor_b32_e32 v14, v1, v44
	v_lshlrev_b32_e32 v15, 8, v50
	s_addc_u32 s1, s7, s29
	v_lshl_or_b32 v14, v14, 1, v15
	s_mul_hi_i32 s3, s16, s17
	s_mul_i32 s16, s16, s17
	ds_write_b64 v14, v[10:11] offset:32768
	v_xor_b32_e32 v10, v53, v44
	s_add_u32 s6, s16, s44
	v_lshl_or_b32 v10, v10, 1, v15
	s_addc_u32 s7, s3, s21
	v_lshlrev_b32_e32 v11, 1, v50
	ds_write_b64 v10, v[12:13] offset:32768
	v_lshrrev_b32_e32 v10, 4, v0
	s_ashr_i32 s3, s2, 31
	s_lshl_b64 s[6:7], s[6:7], 15
	v_or_b32_e32 v12, 1, v11
	s_add_u32 s6, s40, s6
	v_xor_b32_e32 v11, v10, v11
	v_xor_b32_e32 v12, v12, v10
	v_lshlrev_b32_e32 v14, 8, v10
	s_addc_u32 s7, s41, s7
	s_lshl_b64 s[2:3], s[2:3], 8
	v_lshl_or_b32 v10, v11, 3, v14
	v_lshl_or_b32 v12, v12, 3, v14
	s_waitcnt lgkmcnt(0)
	s_barrier
	s_add_u32 s2, s6, s2
	ds_read_b64 v[10:11], v10 offset:32768
	ds_read_b64 v[12:13], v12 offset:32768
	s_addc_u32 s3, s7, s3
	v_mov_b32_e32 v15, 0
	s_cmp_lg_u32 s49, 64
	v_lshl_add_u64 v[16:17], s[2:3], 0, v[14:15]
	v_lshlrev_b32_e32 v14, 4, v50
	s_cselect_b64 s[6:7], -1, 0
	v_lshl_or_b32 v35, v46, 3, v52
	s_mov_b32 s24, 0
	v_lshl_add_u64 v[14:15], v[16:17], 0, v[14:15]
	s_waitcnt vmcnt(1)
	v_or_b32_e32 v27, 32, v35
	v_and_b32_e32 v26, 56, v51
	s_and_b64 vcc, exec, s[6:7]
	s_waitcnt lgkmcnt(0)
	global_store_dwordx4 v[14:15], v[10:13], off
	s_cbranch_vccz .LBB566_31
; %bb.26:
	s_mov_b32 s25, s24
	s_mov_b32 s26, s24
	;; [unrolled: 1-line block ×3, first 2 shown]
	v_mov_b64_e32 v[14:15], s[24:25]
	v_mov_b64_e32 v[16:17], s[26:27]
	;; [unrolled: 1-line block ×3, first 2 shown]
	v_cmp_gt_i32_e32 vcc, s49, v35
	v_mov_b64_e32 v[12:13], v[16:17]
	s_and_saveexec_b64 s[2:3], vcc
	s_cbranch_execz .LBB566_28
; %bb.27:
	v_lshlrev_b32_e32 v10, 8, v35
	v_mov_b32_e32 v11, 0
	v_lshl_add_u64 v[12:13], s[0:1], 0, v[10:11]
	v_lshlrev_b32_e32 v10, 1, v26
	v_lshl_add_u64 v[18:19], v[12:13], 0, v[10:11]
	global_load_dwordx4 v[14:17], v[18:19], off
	global_load_dwordx4 v[10:13], v[18:19], off offset:128
.LBB566_28:
	s_or_b64 exec, exec, s[2:3]
	s_mov_b32 s25, s24
	s_mov_b32 s26, s24
	;; [unrolled: 1-line block ×3, first 2 shown]
	v_mov_b64_e32 v[22:23], s[24:25]
	v_mov_b64_e32 v[24:25], s[26:27]
	;; [unrolled: 1-line block ×3, first 2 shown]
	v_cmp_gt_i32_e32 vcc, s49, v27
	v_lshlrev_b32_e32 v28, 7, v27
	v_mov_b64_e32 v[20:21], v[24:25]
	s_and_saveexec_b64 s[2:3], vcc
	s_cbranch_execz .LBB566_30
; %bb.29:
	v_lshlrev_b32_e32 v18, 1, v28
	v_mov_b32_e32 v19, 0
	v_lshl_add_u64 v[20:21], s[0:1], 0, v[18:19]
	v_lshlrev_b32_e32 v18, 1, v26
	v_lshl_add_u64 v[30:31], v[20:21], 0, v[18:19]
	global_load_dwordx4 v[22:25], v[30:31], off
	global_load_dwordx4 v[18:21], v[30:31], off offset:128
.LBB566_30:
	s_or_b64 exec, exec, s[2:3]
	v_lshrrev_b32_e32 v29, 3, v26
	v_lshlrev_b32_e32 v30, 3, v35
	v_or_b32_e32 v29, v30, v29
	v_lshlrev_b32_e32 v29, 4, v29
	v_and_b32_e32 v30, 0x78, v30
	v_xor_b32_e32 v29, v29, v30
	s_branch .LBB566_33
.LBB566_31:
                                        ; implicit-def: $vgpr29
                                        ; implicit-def: $vgpr28
                                        ; implicit-def: $vgpr14_vgpr15_vgpr16_vgpr17
                                        ; implicit-def: $vgpr10_vgpr11_vgpr12_vgpr13
                                        ; implicit-def: $vgpr22_vgpr23_vgpr24_vgpr25
                                        ; implicit-def: $vgpr18_vgpr19_vgpr20_vgpr21
	s_cbranch_execz .LBB566_33
; %bb.32:
	s_waitcnt vmcnt(0)
	v_lshlrev_b32_e32 v10, 1, v26
	v_lshl_or_b32 v28, v35, 8, v10
	s_and_b32 s1, s1, 0xffff
	s_mov_b32 s3, 0x20000
	s_movk_i32 s2, 0x4000
	v_lshl_or_b32 v29, v27, 8, v10
	s_movk_i32 s16, 0x80
	buffer_load_dwordx4 v[14:17], v28, s[0:3], 0 offen
	buffer_load_dwordx4 v[10:13], v28, s[0:3], s16 offen
	;; [unrolled: 1-line block ×4, first 2 shown]
	v_lshrrev_b32_e32 v28, 3, v26
	v_lshlrev_b32_e32 v29, 3, v35
	v_or_b32_e32 v28, v29, v28
	v_lshlrev_b32_e32 v28, 4, v28
	v_and_b32_e32 v29, 0x78, v29
	v_xor_b32_e32 v29, v28, v29
	v_lshlrev_b32_e32 v28, 7, v27
.LBB566_33:
	s_lshl_b64 s[0:1], s[42:43], 8
	s_add_u32 s4, s4, s0
	s_movk_i32 s0, 0x1000
	v_and_or_b32 v27, v28, s0, v29
	s_waitcnt vmcnt(1)
	ds_write_b64 v29, v[14:15] offset:16384
	v_xor_b32_e32 v14, 8, v29
	ds_write_b64 v14, v[16:17] offset:16384
	s_waitcnt vmcnt(0)
	ds_write_b64 v29, v[10:11] offset:24576
	ds_write_b64 v14, v[12:13] offset:24576
	;; [unrolled: 1-line block ×3, first 2 shown]
	v_xor_b32_e32 v10, 8, v27
	ds_write_b64 v10, v[24:25] offset:16384
	ds_write_b64 v27, v[18:19] offset:24576
	;; [unrolled: 1-line block ×3, first 2 shown]
	v_or_b32_e32 v10, v47, v50
	v_lshlrev_b32_e32 v10, 3, v10
	v_lshrrev_b32_e32 v12, 5, v48
	s_movk_i32 s18, 0xf8
	v_and_or_b32 v12, v10, s18, v12
	v_lshlrev_b32_e32 v45, 11, v46
	v_lshlrev_b32_e32 v20, 4, v12
	v_and_b32_e32 v21, 0x78, v10
	v_and_b32_e32 v22, 0x1000, v45
	v_lshlrev_b32_e32 v11, 2, v0
	v_xor_b32_e32 v10, v20, v21
	v_lshrrev_b32_e32 v12, 1, v48
	v_and_b32_e32 v11, 60, v11
	v_or_b32_e32 v10, v10, v22
	v_and_b32_e32 v23, 8, v12
	v_xor_b32_e32 v36, v10, v23
	v_lshl_or_b32 v10, v49, 6, v11
	v_lshlrev_b32_e32 v49, 1, v10
	v_or_b32_e32 v10, 32, v20
	v_xor_b32_e32 v10, v10, v21
	s_waitcnt lgkmcnt(0)
	s_barrier
	ds_read_b64 v[18:19], v36 offset:16384
	v_or_b32_e32 v10, v10, v22
	v_xor_b32_e32 v37, v10, v23
	v_or_b32_e32 v10, 64, v20
	v_xor_b32_e32 v10, v10, v21
	v_or_b32_e32 v10, v10, v22
	v_or_b32_e32 v20, 0x60, v20
	v_xor_b32_e32 v38, v10, v23
	ds_read2st64_b64 v[10:13], v49 offset0:72 offset1:73
	ds_read2st64_b64 v[14:17], v49 offset0:74 offset1:75
	v_xor_b32_e32 v24, v20, v21
	ds_read_b64 v[20:21], v37 offset:16384
	s_waitcnt lgkmcnt(2)
	v_mfma_f32_16x16x16_bf16 a[0:3], v[18:19], v[10:11], 0
	s_addc_u32 s5, s5, s1
	s_add_i32 s2, s37, -1
	s_add_i32 s0, s47, s46
	s_add_i32 s39, s0, s48
	s_mul_i32 s0, s44, s23
	s_mul_hi_u32 s1, s44, s22
	s_ashr_i32 s3, s2, 31
	s_mul_i32 s16, s2, s15
	s_mul_hi_u32 s17, s2, s14
	s_add_i32 s0, s1, s0
	s_mul_i32 s1, s21, s22
	s_add_i32 s16, s17, s16
	s_mul_i32 s3, s3, s14
	v_or_b32_e32 v22, v24, v22
	s_add_i32 s1, s0, s1
	s_add_i32 s3, s16, s3
	s_lshl_b64 s[16:17], s[38:39], 2
	v_xor_b32_e32 v50, v22, v23
	ds_read_b64 v[22:23], v38 offset:16384
	ds_read_b64 v[24:25], v50 offset:16384
	s_waitcnt lgkmcnt(2)
	v_mfma_f32_16x16x16_bf16 a[0:3], v[20:21], v[12:13], a[0:3]
	s_mul_i32 s0, s44, s22
	s_add_u32 s10, s10, s16
	s_addc_u32 s11, s11, s17
	s_lshl_b64 s[0:1], s[0:1], 2
	s_mul_i32 s2, s2, s14
	s_add_u32 s10, s10, s0
	s_addc_u32 s11, s11, s1
	s_lshl_b64 s[0:1], s[2:3], 2
	s_waitcnt lgkmcnt(1)
	v_mfma_f32_16x16x16_bf16 a[0:3], v[22:23], v[14:15], a[0:3]
	s_add_u32 s0, s10, s0
	s_addc_u32 s1, s11, s1
	s_load_dword s16, s[0:1], 0x0
	s_waitcnt lgkmcnt(0)
	v_mfma_f32_16x16x16_bf16 a[0:3], v[24:25], v[16:17], a[0:3]
	s_and_b64 vcc, exec, s[30:31]
	s_cbranch_vccz .LBB566_44
; %bb.34:
	v_lshlrev_b32_e32 v27, 1, v35
	s_and_b64 vcc, exec, s[6:7]
	s_cbranch_vccz .LBB566_45
; %bb.35:
	v_cmp_gt_i32_e32 vcc, s49, v27
	v_mov_b32_e32 v14, 0
	v_mov_b32_e32 v10, 0
	;; [unrolled: 1-line block ×5, first 2 shown]
	s_and_saveexec_b64 s[0:1], vcc
	s_cbranch_execz .LBB566_37
; %bb.36:
	v_mad_i64_i32 v[10:11], s[2:3], s19, v27, 0
	v_lshl_add_u64 v[10:11], v[10:11], 1, s[4:5]
	v_lshlrev_b32_e32 v12, 1, v26
	v_mov_b32_e32 v13, 0
	v_lshl_add_u64 v[10:11], v[10:11], 0, v[12:13]
	global_load_dwordx4 v[10:13], v[10:11], off
.LBB566_37:
	s_or_b64 exec, exec, s[0:1]
	v_or_b32_e32 v28, 1, v27
	v_cmp_gt_i32_e64 s[0:1], s49, v28
	v_mov_b32_e32 v15, 0
	v_mov_b32_e32 v16, 0
	;; [unrolled: 1-line block ×3, first 2 shown]
	s_and_saveexec_b64 s[2:3], s[0:1]
	s_cbranch_execz .LBB566_39
; %bb.38:
	v_mad_i64_i32 v[14:15], s[22:23], s19, v28, 0
	v_lshl_add_u64 v[14:15], v[14:15], 1, s[4:5]
	v_lshlrev_b32_e32 v16, 1, v26
	v_mov_b32_e32 v17, 0
	v_lshl_add_u64 v[14:15], v[14:15], 0, v[16:17]
	global_load_dwordx4 v[14:17], v[14:15], off
.LBB566_39:
	s_or_b64 exec, exec, s[2:3]
	v_mov_b32_e32 v25, 0
	v_mov_b32_e32 v18, 0
	;; [unrolled: 1-line block ×5, first 2 shown]
	s_and_saveexec_b64 s[2:3], vcc
	s_cbranch_execz .LBB566_41
; %bb.40:
	v_mad_i64_i32 v[18:19], s[22:23], s19, v27, 0
	v_lshl_add_u64 v[18:19], v[18:19], 1, s[4:5]
	v_lshlrev_b32_e32 v20, 1, v26
	v_mov_b32_e32 v21, 0
	v_lshl_add_u64 v[18:19], v[18:19], 0, v[20:21]
	global_load_dwordx4 v[18:21], v[18:19], off offset:128
.LBB566_41:
	s_or_b64 exec, exec, s[2:3]
	v_mov_b32_e32 v24, 0
	v_mov_b32_e32 v23, 0
	;; [unrolled: 1-line block ×3, first 2 shown]
	s_and_saveexec_b64 s[2:3], s[0:1]
	s_cbranch_execz .LBB566_43
; %bb.42:
	v_mad_i64_i32 v[22:23], s[0:1], s19, v28, 0
	v_lshl_add_u64 v[22:23], v[22:23], 1, s[4:5]
	v_lshlrev_b32_e32 v24, 1, v26
	v_mov_b32_e32 v25, 0
	v_lshl_add_u64 v[22:23], v[22:23], 0, v[24:25]
	global_load_dwordx4 v[22:25], v[22:23], off offset:128
.LBB566_43:
	s_or_b64 exec, exec, s[2:3]
	s_branch .LBB566_47
.LBB566_44:
                                        ; implicit-def: $vgpr13
                                        ; implicit-def: $vgpr17
                                        ; implicit-def: $vgpr21
                                        ; implicit-def: $vgpr25
	v_lshrrev_b32_e32 v48, 2, v48
	s_branch .LBB566_48
.LBB566_45:
                                        ; implicit-def: $vgpr13
                                        ; implicit-def: $vgpr17
                                        ; implicit-def: $vgpr21
                                        ; implicit-def: $vgpr25
	s_cbranch_execz .LBB566_47
; %bb.46:
	s_waitcnt vmcnt(0)
	v_mad_u64_u32 v[10:11], s[0:1], v27, s19, v[26:27]
	v_lshlrev_b32_e32 v27, 1, v10
	s_lshl_b32 s2, s19, 7
	s_and_b32 s1, s5, 0xffff
	s_mov_b32 s3, 0x20000
	s_mov_b32 s0, s4
	v_add_lshl_u32 v28, v10, s19, 1
	s_movk_i32 s17, 0x80
	buffer_load_dwordx4 v[10:13], v27, s[0:3], 0 offen
	buffer_load_dwordx4 v[18:21], v27, s[0:3], s17 offen
	;; [unrolled: 1-line block ×4, first 2 shown]
.LBB566_47:
	v_lshrrev_b32_e32 v48, 2, v48
	s_cbranch_execnz .LBB566_60
.LBB566_48:
	s_and_b64 vcc, exec, s[6:7]
	s_cbranch_vccz .LBB566_58
; %bb.49:
	s_waitcnt vmcnt(0)
	v_lshlrev_b32_e32 v15, 1, v35
	v_cmp_gt_i32_e32 vcc, s49, v15
	v_mov_b32_e32 v14, 0
	v_lshlrev_b32_e32 v22, 9, v35
	v_mov_b32_e32 v10, 0
	v_mov_b32_e32 v11, 0
	;; [unrolled: 1-line block ×4, first 2 shown]
	s_and_saveexec_b64 s[0:1], vcc
	s_cbranch_execz .LBB566_51
; %bb.50:
	v_mov_b32_e32 v23, 0
	v_lshl_add_u64 v[10:11], s[4:5], 0, v[22:23]
	v_lshlrev_b32_e32 v12, 1, v26
	v_mov_b32_e32 v13, v23
	v_lshl_add_u64 v[10:11], v[10:11], 0, v[12:13]
	global_load_dwordx4 v[10:13], v[10:11], off
.LBB566_51:
	s_or_b64 exec, exec, s[0:1]
	v_or_b32_e32 v15, 1, v15
	v_cmp_gt_i32_e64 s[0:1], s49, v15
	v_lshlrev_b32_e32 v28, 8, v15
	v_mov_b32_e32 v15, 0
	v_mov_b32_e32 v16, 0
	;; [unrolled: 1-line block ×3, first 2 shown]
	s_and_saveexec_b64 s[2:3], s[0:1]
	s_cbranch_execz .LBB566_53
; %bb.52:
	v_mov_b32_e32 v29, 0
	v_lshl_add_u64 v[14:15], s[4:5], 0, v[28:29]
	v_lshlrev_b32_e32 v16, 1, v26
	v_mov_b32_e32 v17, v29
	v_lshl_add_u64 v[14:15], v[14:15], 0, v[16:17]
	global_load_dwordx4 v[14:17], v[14:15], off
.LBB566_53:
	s_or_b64 exec, exec, s[2:3]
	v_mov_b32_e32 v25, 0
	v_mov_b32_e32 v18, 0
	;; [unrolled: 1-line block ×5, first 2 shown]
	s_and_saveexec_b64 s[2:3], vcc
	s_cbranch_execz .LBB566_55
; %bb.54:
	v_mov_b32_e32 v23, 0
	v_lshl_add_u64 v[18:19], s[4:5], 0, v[22:23]
	v_lshlrev_b32_e32 v22, 1, v26
	v_lshl_add_u64 v[18:19], v[18:19], 0, v[22:23]
	global_load_dwordx4 v[18:21], v[18:19], off offset:128
.LBB566_55:
	s_or_b64 exec, exec, s[2:3]
	v_mov_b32_e32 v24, 0
	v_mov_b32_e32 v23, 0
	;; [unrolled: 1-line block ×3, first 2 shown]
	s_and_saveexec_b64 s[2:3], s[0:1]
	s_cbranch_execz .LBB566_57
; %bb.56:
	v_mov_b32_e32 v29, 0
	v_lshl_add_u64 v[22:23], s[4:5], 0, v[28:29]
	v_lshlrev_b32_e32 v28, 1, v26
	v_lshl_add_u64 v[22:23], v[22:23], 0, v[28:29]
	global_load_dwordx4 v[22:25], v[22:23], off offset:128
.LBB566_57:
	s_or_b64 exec, exec, s[2:3]
	s_branch .LBB566_60
.LBB566_58:
                                        ; implicit-def: $vgpr13
                                        ; implicit-def: $vgpr17
                                        ; implicit-def: $vgpr21
                                        ; implicit-def: $vgpr25
	s_cbranch_execz .LBB566_60
; %bb.59:
	s_waitcnt vmcnt(0)
	v_lshlrev_b32_e32 v10, 1, v26
	v_lshl_or_b32 v26, v35, 9, v10
	s_and_b32 s5, s5, 0xffff
	s_mov_b32 s7, 0x20000
	s_movk_i32 s6, 0x4000
	s_movk_i32 s0, 0x80
	buffer_load_dwordx4 v[10:13], v26, s[4:7], 0 offen
	buffer_load_dwordx4 v[14:17], v26, s[4:7], 0 offen offset:256
	buffer_load_dwordx4 v[18:21], v26, s[4:7], s0 offen
	buffer_load_dwordx4 v[22:25], v26, s[4:7], s0 offen offset:256
.LBB566_60:
	ds_read2st64_b64 v[30:33], v49 offset0:76 offset1:77
	ds_read2st64_b64 v[26:29], v49 offset0:78 offset1:79
	ds_read_b64 v[40:41], v36 offset:24576
	ds_read_b64 v[42:43], v37 offset:24576
	;; [unrolled: 1-line block ×4, first 2 shown]
	v_and_b32_e32 v50, 6, v0
	v_xor_b32_e32 v35, v35, v50
	v_lshlrev_b32_e32 v35, 2, v35
	v_and_b32_e32 v51, 1, v0
	v_xor_b32_e32 v52, 0x440, v35
	v_cmp_eq_u32_e32 vcc, 0, v51
	s_mov_b32 s0, 0x1000504
	s_waitcnt vmcnt(0)
	v_perm_b32 v51, v18, v22, s0
	v_cndmask_b32_e32 v35, v52, v35, vcc
	v_lshl_or_b32 v35, v50, 10, v35
	v_perm_b32 v50, v10, v14, s0
	ds_write2st64_b32 v35, v50, v51 offset1:32
	v_xor_b32_e32 v50, 8, v35
	s_mov_b32 s1, 0x3020706
	v_perm_b32 v10, v10, v14, s1
	v_perm_b32 v14, v18, v22, s1
	v_add_u32_e32 v18, 0x80, v50
	ds_write2st64_b32 v18, v10, v14 offset1:32
	v_xor_b32_e32 v10, 16, v35
	v_perm_b32 v14, v11, v15, s0
	v_perm_b32 v18, v19, v23, s0
	ds_write2st64_b32 v10, v14, v18 offset0:1 offset1:33
	v_xor_b32_e32 v10, 24, v35
	v_perm_b32 v11, v11, v15, s1
	v_perm_b32 v14, v19, v23, s1
	v_add_u32_e32 v10, 0x80, v10
	ds_write2st64_b32 v10, v11, v14 offset0:1 offset1:33
	v_xor_b32_e32 v10, 32, v35
	v_perm_b32 v11, v12, v16, s0
	v_perm_b32 v14, v20, v24, s0
	ds_write2st64_b32 v10, v11, v14 offset0:2 offset1:34
	v_xor_b32_e32 v10, 40, v35
	v_perm_b32 v11, v12, v16, s1
	v_perm_b32 v12, v20, v24, s1
	v_add_u32_e32 v10, 0x80, v10
	ds_write2st64_b32 v10, v11, v12 offset0:2 offset1:34
	v_xor_b32_e32 v10, 48, v35
	v_perm_b32 v11, v13, v17, s0
	v_perm_b32 v12, v21, v25, s0
	ds_write2st64_b32 v10, v11, v12 offset0:3 offset1:35
	v_xor_b32_e32 v10, 56, v35
	v_and_or_b32 v16, v48, 12, v47
	v_perm_b32 v11, v13, v17, s1
	v_perm_b32 v12, v21, v25, s1
	v_add_u32_e32 v10, 0x80, v10
	v_cmp_gt_i32_e32 vcc, s49, v16
	v_mov_b32_e32 v17, 0
	v_mov_b32_e32 v21, 0
	ds_write2st64_b32 v10, v11, v12 offset0:3 offset1:35
	s_and_saveexec_b64 s[0:1], vcc
	s_cbranch_execz .LBB566_62
; %bb.61:
	v_add_u32_e32 v10, s20, v16
	v_ashrrev_i32_e32 v11, 31, v10
	v_mul_lo_u32 v12, v11, s14
	v_mul_lo_u32 v13, v10, s15
	v_mad_u64_u32 v[10:11], s[2:3], v10, s14, 0
	v_add3_u32 v11, v11, v13, v12
	v_lshl_add_u64 v[10:11], v[10:11], 2, s[10:11]
	global_load_dword v10, v[10:11], off
	s_waitcnt vmcnt(0)
	v_sub_f32_e32 v10, s16, v10
	v_exp_f32_e32 v21, v10
.LBB566_62:
	s_or_b64 exec, exec, s[0:1]
	v_or_b32_e32 v19, 1, v16
	v_cmp_gt_i32_e64 s[0:1], s49, v19
	s_and_saveexec_b64 s[2:3], s[0:1]
	s_cbranch_execz .LBB566_64
; %bb.63:
	v_add_u32_e32 v10, s20, v19
	v_ashrrev_i32_e32 v11, 31, v10
	v_mul_lo_u32 v12, v11, s14
	v_mul_lo_u32 v13, v10, s15
	v_mad_u64_u32 v[10:11], s[4:5], v10, s14, 0
	v_add3_u32 v11, v11, v13, v12
	v_lshl_add_u64 v[10:11], v[10:11], 2, s[10:11]
	global_load_dword v10, v[10:11], off
	s_waitcnt vmcnt(0)
	v_sub_f32_e32 v10, s16, v10
	v_exp_f32_e32 v17, v10
.LBB566_64:
	s_or_b64 exec, exec, s[2:3]
	v_or_b32_e32 v20, 2, v16
	v_cmp_gt_i32_e64 s[2:3], s49, v20
	v_mov_b32_e32 v18, 0
	v_mov_b32_e32 v23, 0
	s_and_saveexec_b64 s[4:5], s[2:3]
	s_cbranch_execz .LBB566_66
; %bb.65:
	v_add_u32_e32 v10, s20, v20
	v_ashrrev_i32_e32 v11, 31, v10
	v_mul_lo_u32 v12, v11, s14
	v_mul_lo_u32 v13, v10, s15
	v_mad_u64_u32 v[10:11], s[6:7], v10, s14, 0
	v_add3_u32 v11, v11, v13, v12
	v_lshl_add_u64 v[10:11], v[10:11], 2, s[10:11]
	global_load_dword v10, v[10:11], off
	s_waitcnt vmcnt(0)
	v_sub_f32_e32 v10, s16, v10
	v_exp_f32_e32 v23, v10
.LBB566_66:
	s_or_b64 exec, exec, s[4:5]
	v_or_b32_e32 v22, 3, v16
	v_cmp_gt_i32_e64 s[4:5], s49, v22
	s_and_saveexec_b64 s[6:7], s[4:5]
	s_cbranch_execz .LBB566_68
; %bb.67:
	v_add_u32_e32 v10, s20, v22
	v_ashrrev_i32_e32 v11, 31, v10
	v_mul_lo_u32 v12, v11, s14
	v_mul_lo_u32 v13, v10, s15
	v_mad_u64_u32 v[10:11], s[14:15], v10, s14, 0
	v_add3_u32 v11, v11, v13, v12
	v_lshl_add_u64 v[10:11], v[10:11], 2, s[10:11]
	global_load_dword v10, v[10:11], off
	s_waitcnt vmcnt(0)
	v_sub_f32_e32 v10, s16, v10
	v_exp_f32_e32 v18, v10
.LBB566_68:
	s_or_b64 exec, exec, s[6:7]
	s_waitcnt lgkmcnt(11)
	v_mfma_f32_16x16x16_bf16 a[0:3], v[40:41], v[30:31], a[0:3]
	s_add_u32 s6, s8, s28
	v_ashrrev_i32_e32 v35, 31, v34
	s_addc_u32 s7, s9, s29
	s_waitcnt lgkmcnt(10)
	v_mfma_f32_16x16x16_bf16 a[0:3], v[42:43], v[32:33], a[0:3]
	v_mov_b32_e32 v24, 0
	v_lshl_add_u64 v[14:15], v[34:35], 1, s[6:7]
	v_mov_b32_e32 v25, 0
	s_waitcnt lgkmcnt(9)
	v_mfma_f32_16x16x16_bf16 a[0:3], v[38:39], v[26:27], a[0:3]
	s_waitcnt lgkmcnt(8)
	v_mfma_f32_16x16x16_bf16 a[0:3], v[36:37], v[28:29], a[0:3]
	s_nop 6
	v_accvgpr_read_b32 v13, a3
	v_accvgpr_read_b32 v12, a2
	v_accvgpr_read_b32 v11, a1
	v_accvgpr_read_b32 v10, a0
	s_and_saveexec_b64 s[6:7], vcc
	s_cbranch_execz .LBB566_70
; %bb.69:
	v_lshlrev_b32_e32 v26, 8, v16
	v_mov_b32_e32 v27, 0
	v_lshl_add_u64 v[26:27], v[14:15], 0, v[26:27]
	global_load_ushort v25, v[26:27], off
	s_waitcnt vmcnt(0)
	v_lshlrev_b32_e32 v25, 16, v25
	v_sub_f32_e32 v10, v25, v10
	v_mul_f32_e32 v10, v21, v10
	v_lshrrev_b32_e32 v25, 16, v10
.LBB566_70:
	s_or_b64 exec, exec, s[6:7]
	s_and_saveexec_b64 s[6:7], s[0:1]
	s_cbranch_execz .LBB566_72
; %bb.71:
	v_lshlrev_b32_e32 v26, 8, v19
	v_mov_b32_e32 v27, 0
	v_lshl_add_u64 v[26:27], v[14:15], 0, v[26:27]
	global_load_ushort v10, v[26:27], off
	s_waitcnt vmcnt(0)
	v_lshlrev_b32_e32 v10, 16, v10
	v_sub_f32_e32 v10, v10, v11
	v_mul_f32_e32 v10, v17, v10
	v_lshrrev_b32_e32 v24, 16, v10
.LBB566_72:
	s_or_b64 exec, exec, s[6:7]
	v_mov_b32_e32 v11, 0
	v_mov_b32_e32 v17, 0
	s_and_saveexec_b64 s[0:1], s[2:3]
	s_cbranch_execz .LBB566_74
; %bb.73:
	v_lshlrev_b32_e32 v20, 8, v20
	v_mov_b32_e32 v21, 0
	v_lshl_add_u64 v[20:21], v[14:15], 0, v[20:21]
	global_load_ushort v10, v[20:21], off
	s_waitcnt vmcnt(0)
	v_lshlrev_b32_e32 v10, 16, v10
	v_sub_f32_e32 v10, v10, v12
	v_mul_f32_e32 v10, v23, v10
	v_lshrrev_b32_e32 v17, 16, v10
.LBB566_74:
	s_or_b64 exec, exec, s[0:1]
	v_or_b32_e32 v10, 0x9800, v49
	s_and_saveexec_b64 s[0:1], s[4:5]
	s_cbranch_execz .LBB566_76
; %bb.75:
	v_lshlrev_b32_e32 v20, 8, v22
	v_mov_b32_e32 v21, 0
	v_lshl_add_u64 v[14:15], v[14:15], 0, v[20:21]
	global_load_ushort v11, v[14:15], off
	s_waitcnt vmcnt(0)
	v_lshlrev_b32_e32 v11, 16, v11
	v_sub_f32_e32 v11, v11, v13
	v_mul_f32_e32 v11, v18, v11
	v_lshrrev_b32_e32 v11, 16, v11
.LBB566_76:
	s_or_b64 exec, exec, s[0:1]
	s_mov_b32 s0, 0x5040100
	v_perm_b32 v13, v11, v17, s0
	v_lshlrev_b32_e32 v11, 1, v44
	v_perm_b32 v12, v24, v25, s0
	v_lshl_or_b32 v11, v16, 5, v11
	s_movk_i32 s0, 0xff
	ds_write_b64 v11, v[12:13] offset:38912
	v_and_b32_e32 v11, 7, v0
	v_and_b32_e32 v12, 8, v0
	v_cmp_lt_u32_e32 vcc, s0, v0
	v_lshrrev_b32_e32 v0, 1, v0
	v_lshlrev_b32_e32 v22, 3, v11
	v_lshlrev_b32_e32 v23, 7, v11
	v_cndmask_b32_e64 v11, 0, 1, vcc
	v_lshlrev_b32_e32 v25, 3, v46
	v_and_b32_e32 v0, 24, v0
	v_lshlrev_b32_e32 v24, 13, v11
	v_xor_b32_e32 v11, v25, v0
	v_or_b32_e32 v13, 0x440, v11
	v_cmp_eq_u32_e32 vcc, 0, v12
	s_waitcnt lgkmcnt(0)
	s_barrier
	v_cndmask_b32_e32 v11, v13, v11, vcc
	v_or_b32_e32 v11, v11, v45
	v_xad_u32 v26, v11, v22, v23
	v_add_u32_e32 v11, v24, v26
	ds_read_b64 v[20:21], v11
	ds_read2st64_b64 v[12:15], v10 offset1:1
	ds_read2st64_b64 v[16:19], v10 offset0:2 offset1:3
	v_or_b32_e32 v10, 32, v0
	v_xor_b32_e32 v10, v25, v10
	v_or_b32_e32 v11, 0x440, v10
	v_cndmask_b32_e32 v10, v11, v10, vcc
	v_or_b32_e32 v10, v10, v45
	v_xad_u32 v27, v10, v22, v23
	v_add_u32_e32 v10, v24, v27
	ds_read_b64 v[10:11], v10
	s_waitcnt lgkmcnt(2)
	v_mfma_f32_16x16x16_bf16 a[0:3], v[20:21], v[12:13], 0
	s_waitcnt lgkmcnt(0)
	v_mfma_f32_16x16x16_bf16 a[0:3], v[10:11], v[14:15], a[0:3]
	v_or_b32_e32 v10, 64, v0
	v_xor_b32_e32 v10, v25, v10
	v_xor_b32_e32 v11, 0x440, v10
	v_cndmask_b32_e32 v10, v11, v10, vcc
	v_or_b32_e32 v10, v10, v45
	v_or_b32_e32 v0, 0x60, v0
	v_xad_u32 v28, v10, v22, v23
	v_xor_b32_e32 v0, v25, v0
	v_add_u32_e32 v10, v24, v28
	v_xor_b32_e32 v20, 0x440, v0
	ds_read_b64 v[10:11], v10
	v_cndmask_b32_e32 v0, v20, v0, vcc
	v_or_b32_e32 v0, v0, v45
	v_xad_u32 v0, v0, v22, v23
	v_add_u32_e32 v20, v24, v0
	ds_read_b64 v[20:21], v20
	s_waitcnt lgkmcnt(1)
	v_mfma_f32_16x16x16_bf16 a[0:3], v[10:11], v[16:17], a[0:3]
	ds_read_b64 v[10:11], v26 offset:8192
	ds_read_b64 v[22:23], v28 offset:8192
	v_exp_f32_e32 v24, s16
	s_waitcnt lgkmcnt(2)
	v_mfma_f32_16x16x16_bf16 a[0:3], v[20:21], v[18:19], a[0:3]
	ds_read_b64 v[20:21], v27 offset:8192
	s_waitcnt lgkmcnt(2)
	v_mfma_f32_16x16x16_bf16 a[4:7], v[10:11], v[12:13], 0
	s_nop 3
	v_accvgpr_read_b32 v10, a0
	v_fma_f32 v12, v2, v24, v10
	ds_read_b64 v[10:11], v0 offset:8192
	s_waitcnt lgkmcnt(1)
	v_mfma_f32_16x16x16_bf16 a[4:7], v[20:21], v[14:15], a[4:7]
	v_accvgpr_read_b32 v0, a1
	v_fma_f32 v13, v3, v24, v0
	v_accvgpr_read_b32 v0, a2
	v_mfma_f32_16x16x16_bf16 a[4:7], v[22:23], v[16:17], a[4:7]
	v_accvgpr_read_b32 v15, a3
	v_fma_f32 v14, v4, v24, v0
	v_fmac_f32_e32 v15, v5, v24
	s_waitcnt lgkmcnt(0)
	v_mfma_f32_16x16x16_bf16 a[0:3], v[10:11], v[18:19], a[4:7]
	v_mov_b32_e32 v10, v34
	s_nop 5
	v_accvgpr_read_b32 v0, a0
	v_fma_f32 v16, v6, v24, v0
	v_accvgpr_read_b32 v0, a1
	v_fma_f32 v17, v7, v24, v0
	v_accvgpr_read_b32 v0, a2
	v_accvgpr_read_b32 v19, a3
	v_fma_f32 v18, v8, v24, v0
	v_fmac_f32_e32 v19, v9, v24
	v_mov_b64_e32 v[2:3], v[12:13]
	v_mov_b64_e32 v[4:5], v[14:15]
	;; [unrolled: 1-line block ×4, first 2 shown]
.LBB566_77:
	s_mul_i32 s0, s45, s35
	s_mul_hi_u32 s1, s45, s34
	s_add_i32 s0, s1, s0
	s_mul_i32 s1, s33, s34
	s_add_i32 s1, s0, s1
	s_mul_i32 s0, s45, s34
	s_add_u32 s0, s0, s44
	s_addc_u32 s1, s1, s21
	s_lshl_b64 s[0:1], s[0:1], 15
	s_add_u32 s0, s12, s0
	v_lshlrev_b32_e32 v10, 7, v10
	s_addc_u32 s1, s13, s1
	v_ashrrev_i32_e32 v11, 31, v10
	v_lshl_add_u64 v[10:11], v[10:11], 1, s[0:1]
	v_lshlrev_b32_e32 v0, 1, v1
	v_mov_b32_e32 v1, 0
	s_mov_b32 s0, 0x7060302
	v_lshl_add_u64 v[0:1], v[10:11], 0, v[0:1]
	v_perm_b32 v5, v5, v4, s0
	v_perm_b32 v4, v3, v2, s0
	v_perm_b32 v3, v9, v8, s0
	v_perm_b32 v2, v7, v6, s0
	global_store_dwordx2 v[0:1], v[4:5], off
	global_store_dwordx2 v[0:1], v[2:3], off offset:128
	s_endpgm
	.section	.rodata,"a",@progbits
	.p2align	6, 0x0
	.amdhsa_kernel _ZN12_GLOBAL__N_139chunk_gated_delta_rule_fwd_h_hip_kernelILi16ELb0ELb1ELb0ELb1ELb1ELb0ELb0ELb1EEEvPK12hip_bfloat16S3_S3_PKfS5_PKvPS1_S8_PvPKiSB_iiiiilll
		.amdhsa_group_segment_fixed_size 40960
		.amdhsa_private_segment_fixed_size 0
		.amdhsa_kernarg_size 136
		.amdhsa_user_sgpr_count 2
		.amdhsa_user_sgpr_dispatch_ptr 0
		.amdhsa_user_sgpr_queue_ptr 0
		.amdhsa_user_sgpr_kernarg_segment_ptr 1
		.amdhsa_user_sgpr_dispatch_id 0
		.amdhsa_user_sgpr_kernarg_preload_length 0
		.amdhsa_user_sgpr_kernarg_preload_offset 0
		.amdhsa_user_sgpr_private_segment_size 0
		.amdhsa_uses_dynamic_stack 0
		.amdhsa_enable_private_segment 0
		.amdhsa_system_sgpr_workgroup_id_x 1
		.amdhsa_system_sgpr_workgroup_id_y 1
		.amdhsa_system_sgpr_workgroup_id_z 0
		.amdhsa_system_sgpr_workgroup_info 0
		.amdhsa_system_vgpr_workitem_id 0
		.amdhsa_next_free_vgpr 116
		.amdhsa_next_free_sgpr 63
		.amdhsa_accum_offset 108
		.amdhsa_reserve_vcc 1
		.amdhsa_float_round_mode_32 0
		.amdhsa_float_round_mode_16_64 0
		.amdhsa_float_denorm_mode_32 3
		.amdhsa_float_denorm_mode_16_64 3
		.amdhsa_dx10_clamp 1
		.amdhsa_ieee_mode 1
		.amdhsa_fp16_overflow 0
		.amdhsa_tg_split 0
		.amdhsa_exception_fp_ieee_invalid_op 0
		.amdhsa_exception_fp_denorm_src 0
		.amdhsa_exception_fp_ieee_div_zero 0
		.amdhsa_exception_fp_ieee_overflow 0
		.amdhsa_exception_fp_ieee_underflow 0
		.amdhsa_exception_fp_ieee_inexact 0
		.amdhsa_exception_int_div_zero 0
	.end_amdhsa_kernel
	.section	.text._ZN12_GLOBAL__N_139chunk_gated_delta_rule_fwd_h_hip_kernelILi16ELb0ELb1ELb0ELb1ELb1ELb0ELb0ELb1EEEvPK12hip_bfloat16S3_S3_PKfS5_PKvPS1_S8_PvPKiSB_iiiiilll,"axG",@progbits,_ZN12_GLOBAL__N_139chunk_gated_delta_rule_fwd_h_hip_kernelILi16ELb0ELb1ELb0ELb1ELb1ELb0ELb0ELb1EEEvPK12hip_bfloat16S3_S3_PKfS5_PKvPS1_S8_PvPKiSB_iiiiilll,comdat
.Lfunc_end566:
	.size	_ZN12_GLOBAL__N_139chunk_gated_delta_rule_fwd_h_hip_kernelILi16ELb0ELb1ELb0ELb1ELb1ELb0ELb0ELb1EEEvPK12hip_bfloat16S3_S3_PKfS5_PKvPS1_S8_PvPKiSB_iiiiilll, .Lfunc_end566-_ZN12_GLOBAL__N_139chunk_gated_delta_rule_fwd_h_hip_kernelILi16ELb0ELb1ELb0ELb1ELb1ELb0ELb0ELb1EEEvPK12hip_bfloat16S3_S3_PKfS5_PKvPS1_S8_PvPKiSB_iiiiilll
                                        ; -- End function
	.section	.AMDGPU.csdata,"",@progbits
; Kernel info:
; codeLenInByte = 7692
; NumSgprs: 69
; NumVgprs: 106
; NumAgprs: 8
; TotalNumVgprs: 116
; ScratchSize: 0
; MemoryBound: 0
; FloatMode: 240
; IeeeMode: 1
; LDSByteSize: 40960 bytes/workgroup (compile time only)
; SGPRBlocks: 8
; VGPRBlocks: 14
; NumSGPRsForWavesPerEU: 69
; NumVGPRsForWavesPerEU: 116
; AccumOffset: 108
; Occupancy: 1
; WaveLimiterHint : 1
; COMPUTE_PGM_RSRC2:SCRATCH_EN: 0
; COMPUTE_PGM_RSRC2:USER_SGPR: 2
; COMPUTE_PGM_RSRC2:TRAP_HANDLER: 0
; COMPUTE_PGM_RSRC2:TGID_X_EN: 1
; COMPUTE_PGM_RSRC2:TGID_Y_EN: 1
; COMPUTE_PGM_RSRC2:TGID_Z_EN: 0
; COMPUTE_PGM_RSRC2:TIDIG_COMP_CNT: 0
; COMPUTE_PGM_RSRC3_GFX90A:ACCUM_OFFSET: 26
; COMPUTE_PGM_RSRC3_GFX90A:TG_SPLIT: 0
	.section	.text._ZN12_GLOBAL__N_139chunk_gated_delta_rule_fwd_h_hip_kernelILi16ELb0ELb0ELb1ELb1ELb1ELb0ELb0ELb1EEEvPK12hip_bfloat16S3_S3_PKfS5_PKvPS1_S8_PvPKiSB_iiiiilll,"axG",@progbits,_ZN12_GLOBAL__N_139chunk_gated_delta_rule_fwd_h_hip_kernelILi16ELb0ELb0ELb1ELb1ELb1ELb0ELb0ELb1EEEvPK12hip_bfloat16S3_S3_PKfS5_PKvPS1_S8_PvPKiSB_iiiiilll,comdat
	.globl	_ZN12_GLOBAL__N_139chunk_gated_delta_rule_fwd_h_hip_kernelILi16ELb0ELb0ELb1ELb1ELb1ELb0ELb0ELb1EEEvPK12hip_bfloat16S3_S3_PKfS5_PKvPS1_S8_PvPKiSB_iiiiilll ; -- Begin function _ZN12_GLOBAL__N_139chunk_gated_delta_rule_fwd_h_hip_kernelILi16ELb0ELb0ELb1ELb1ELb1ELb0ELb0ELb1EEEvPK12hip_bfloat16S3_S3_PKfS5_PKvPS1_S8_PvPKiSB_iiiiilll
	.p2align	8
	.type	_ZN12_GLOBAL__N_139chunk_gated_delta_rule_fwd_h_hip_kernelILi16ELb0ELb0ELb1ELb1ELb1ELb0ELb0ELb1EEEvPK12hip_bfloat16S3_S3_PKfS5_PKvPS1_S8_PvPKiSB_iiiiilll,@function
_ZN12_GLOBAL__N_139chunk_gated_delta_rule_fwd_h_hip_kernelILi16ELb0ELb0ELb1ELb1ELb1ELb0ELb0ELb1EEEvPK12hip_bfloat16S3_S3_PKfS5_PKvPS1_S8_PvPKiSB_iiiiilll: ; @_ZN12_GLOBAL__N_139chunk_gated_delta_rule_fwd_h_hip_kernelILi16ELb0ELb0ELb1ELb1ELb1ELb0ELb0ELb1EEEvPK12hip_bfloat16S3_S3_PKfS5_PKvPS1_S8_PvPKiSB_iiiiilll
; %bb.0:
	s_load_dwordx4 s[16:19], s[0:1], 0x5c
	s_load_dwordx4 s[20:23], s[0:1], 0x70
	s_abs_i32 s25, s3
	s_ashr_i32 s24, s3, 31
	s_load_dwordx4 s[12:15], s[0:1], 0x30
	s_load_dwordx4 s[28:31], s[0:1], 0x48
	s_waitcnt lgkmcnt(0)
	s_abs_i32 s34, s17
	v_cvt_f32_u32_e32 v1, s34
	s_sub_i32 s26, 0, s34
	s_ashr_i32 s35, s17, 31
	s_xor_b32 s24, s24, s35
	v_rcp_iflag_f32_e32 v1, v1
	s_load_dwordx8 s[4:11], s[0:1], 0x0
	v_lshrrev_b32_e32 v44, 6, v0
	v_bfe_u32 v45, v0, 4, 2
	v_mul_f32_e32 v1, 0x4f7ffffe, v1
	v_cvt_u32_f32_e32 v1, v1
	v_lshlrev_b32_e32 v42, 4, v44
	v_lshlrev_b32_e32 v2, 2, v45
	v_and_b32_e32 v43, 63, v0
	v_readfirstlane_b32 s27, v1
	s_mul_i32 s26, s26, s27
	s_mul_hi_u32 s26, s27, s26
	s_add_i32 s27, s27, s26
	s_mul_hi_u32 s26, s25, s27
	s_mul_i32 s27, s26, s34
	s_sub_i32 s25, s25, s27
	s_add_i32 s33, s26, 1
	s_sub_i32 s27, s25, s34
	s_cmp_ge_u32 s25, s34
	s_cselect_b32 s26, s33, s26
	s_cselect_b32 s25, s27, s25
	s_add_i32 s27, s26, 1
	s_cmp_ge_u32 s25, s34
	s_cselect_b32 s25, s27, s26
	s_xor_b32 s25, s25, s24
	s_sub_i32 s24, s25, s24
	s_mul_i32 s25, s24, s17
	s_sub_i32 s33, s3, s25
	s_ashr_i32 s25, s24, 31
	s_lshl_b64 s[26:27], s[24:25], 2
	s_add_u32 s28, s28, s26
	s_addc_u32 s29, s29, s27
	s_add_u32 s26, s30, s26
	s_addc_u32 s27, s31, s27
	s_abs_i32 s3, s18
	v_cvt_f32_u32_e32 v1, s3
	s_load_dwordx2 s[38:39], s[28:29], 0x0
	s_sub_i32 s29, 0, s3
	s_load_dword s47, s[26:27], 0x0
	v_rcp_iflag_f32_e32 v1, v1
	v_or_b32_e32 v49, v2, v42
	s_waitcnt lgkmcnt(0)
	s_sub_i32 s45, s39, s38
	s_ashr_i32 s28, s45, 31
	v_mul_f32_e32 v1, 0x4f7ffffe, v1
	v_cvt_u32_f32_e32 v1, v1
	s_lshr_b32 s28, s28, 26
	s_add_i32 s28, s45, s28
	s_ashr_i32 s46, s28, 6
	v_readfirstlane_b32 s30, v1
	s_mul_i32 s29, s29, s30
	s_mul_hi_u32 s29, s30, s29
	s_add_i32 s30, s30, s29
	s_mul_hi_u32 s29, s34, s30
	s_mul_i32 s30, s29, s3
	s_ashr_i32 s28, s18, 31
	s_sub_i32 s30, s34, s30
	s_xor_b32 s28, s35, s28
	s_add_i32 s31, s29, 1
	s_sub_i32 s34, s30, s3
	s_cmp_ge_u32 s30, s3
	s_cselect_b32 s29, s31, s29
	s_cselect_b32 s30, s34, s30
	s_add_i32 s31, s29, 1
	s_cmp_ge_u32 s30, s3
	s_cselect_b32 s3, s31, s29
	s_xor_b32 s3, s3, s28
	s_sub_i32 s3, s3, s28
	s_abs_i32 s28, s3
	v_cvt_f32_u32_e32 v1, s28
	s_load_dwordx2 s[34:35], s[0:1], 0x80
	s_xor_b32 s0, s33, s3
	s_sub_i32 s3, 0, s28
	v_rcp_iflag_f32_e32 v1, v1
	s_abs_i32 s1, s33
	s_ashr_i32 s0, s0, 31
	v_or_b32_e32 v48, 64, v49
	v_mul_f32_e32 v1, 0x4f7ffffe, v1
	v_cvt_u32_f32_e32 v1, v1
	v_mov_b32_e32 v3, 0
	s_mul_hi_i32 s48, s33, s16
	s_mul_i32 s49, s33, s16
	v_readfirstlane_b32 s26, v1
	s_mul_i32 s3, s3, s26
	s_mul_hi_u32 s3, s26, s3
	s_add_i32 s26, s26, s3
	s_mul_hi_u32 s3, s1, s26
	s_mul_i32 s26, s3, s28
	s_sub_i32 s1, s1, s26
	s_add_i32 s26, s3, 1
	s_sub_i32 s27, s1, s28
	s_cmp_ge_u32 s1, s28
	s_cselect_b32 s3, s26, s3
	s_cselect_b32 s1, s27, s1
	s_add_i32 s26, s3, 1
	s_cmp_ge_u32 s1, s28
	s_cselect_b32 s1, s26, s3
	s_xor_b32 s1, s1, s0
	s_sub_i32 s51, s1, s0
	s_lshl_b32 s36, s2, 4
	v_and_b32_e32 v1, 15, v0
	s_cmp_lt_i32 s45, 64
	v_lshrrev_b32_e32 v47, 3, v43
	v_lshlrev_b32_e32 v46, 3, v0
	s_mul_i32 s42, s24, s21
	s_mul_hi_u32 s43, s24, s20
	s_mul_i32 s44, s25, s20
	s_mul_i32 s20, s24, s20
	v_mov_b32_e32 v65, 0
	v_mov_b32_e32 v34, 0
	;; [unrolled: 1-line block ×7, first 2 shown]
	s_cbranch_scc1 .LBB567_18
; %bb.1:
	s_ashr_i32 s53, s33, 31
	s_ashr_i32 s1, s38, 31
	s_add_u32 s0, s49, s38
	s_addc_u32 s1, s48, s1
	s_lshl_b64 s[0:1], s[0:1], 8
	v_and_b32_e32 v51, 56, v46
	s_add_u32 s0, s6, s0
	v_lshl_or_b32 v50, v44, 3, v47
	v_lshlrev_b32_e32 v3, 1, v51
	s_addc_u32 s1, s7, s1
	v_lshl_or_b32 v52, v50, 8, v3
	s_and_b32 s1, s1, 0xffff
	s_mov_b32 s3, 0x20000
	s_movk_i32 s2, 0x4000
	s_movk_i32 s21, 0x80
	v_or_b32_e32 v53, 0x2000, v52
	buffer_load_dwordx4 v[4:7], v52, s[0:3], 0 offen
	buffer_load_dwordx4 v[8:11], v52, s[0:3], s21 offen
	;; [unrolled: 1-line block ×4, first 2 shown]
	v_lshlrev_b32_e32 v20, 3, v50
	v_and_or_b32 v22, v0, 7, v20
	v_and_b32_e32 v20, 0x78, v20
	v_lshlrev_b32_e32 v22, 4, v22
	v_xor_b32_e32 v54, v22, v20
	v_mul_lo_u32 v21, v50, s19
	v_or_b32_e32 v55, 0x1000, v54
	s_cmpk_eq_i32 s19, 0x80
	s_mov_b32 s50, s17
	s_mov_b32 s52, s38
	v_xor_b32_e32 v20, 8, v54
	v_xor_b32_e32 v22, 8, v55
	s_cselect_b64 s[0:1], -1, 0
	s_cmpk_lg_i32 s19, 0x80
	s_waitcnt vmcnt(3)
	ds_write_b64 v54, v[4:5] offset:16384
	ds_write_b64 v20, v[6:7] offset:16384
	s_waitcnt vmcnt(2)
	ds_write_b64 v54, v[8:9] offset:24576
	ds_write_b64 v20, v[10:11] offset:24576
	;; [unrolled: 3-line block ×4, first 2 shown]
	v_lshl_add_u32 v4, v21, 1, v51
	s_cbranch_scc0 .LBB567_3
; %bb.2:
	v_lshlrev_b32_e32 v6, 1, v4
	v_add_lshl_u32 v5, v4, s19, 1
	s_lshl_b32 s26, s19, 7
	v_lshl_or_b32 v3, v50, 9, v3
	s_cbranch_execz .LBB567_4
	s_branch .LBB567_5
.LBB567_3:
                                        ; implicit-def: $vgpr5
                                        ; implicit-def: $vgpr6
                                        ; implicit-def: $sgpr26
	v_lshl_or_b32 v3, v50, 9, v3
.LBB567_4:
	v_or_b32_e32 v5, 0x100, v3
	s_movk_i32 s26, 0x4000
	v_mov_b32_e32 v6, v3
.LBB567_5:
	s_mul_i32 s2, s38, s18
	s_ashr_i32 s54, s51, 31
	s_mul_hi_i32 s3, s38, s18
	s_add_u32 s2, s2, s51
	s_addc_u32 s3, s3, s54
	s_lshl_b64 s[2:3], s[2:3], 8
	s_add_u32 s24, s4, s2
	s_addc_u32 s2, s5, s3
	s_and_b32 s25, s2, 0xffff
	s_mov_b32 s27, 0x20000
	s_movk_i32 s55, 0x80
	buffer_load_dwordx4 v[8:11], v6, s[24:27], 0 offen
	buffer_load_dwordx4 v[12:15], v6, s[24:27], s55 offen
	;; [unrolled: 1-line block ×4, first 2 shown]
	v_and_b32_e32 v5, 6, v0
	v_lshlrev_b32_e32 v7, 2, v1
	v_lshlrev_b32_e32 v24, 3, v1
	v_xor_b32_e32 v26, v50, v5
	v_and_b32_e32 v6, 1, v0
	v_lshl_or_b32 v24, v49, 5, v24
	v_xor_b32_e32 v27, v49, v7
	v_lshlrev_b32_e32 v26, 2, v26
	s_mul_i32 s3, s33, s23
	s_mul_hi_u32 s21, s33, s22
	v_or_b32_e32 v56, 0x9000, v24
	v_or_b32_e32 v57, 0x9800, v24
	v_lshlrev_b32_e32 v24, 1, v27
	v_xor_b32_e32 v27, 0x440, v26
	v_cmp_eq_u32_e32 vcc, 0, v6
	s_add_i32 s25, s43, s42
	s_mul_i32 s24, s53, s22
	v_cndmask_b32_e32 v6, v27, v26, vcc
	s_add_i32 s3, s21, s3
	s_add_i32 s21, s25, s44
	s_mov_b32 s56, 0x1000504
	v_lshlrev_b32_e32 v25, 8, v1
	s_mov_b32 s26, 0x8000
	v_xor_b32_e32 v7, v48, v7
	v_lshl_or_b32 v5, v5, 10, v6
	s_add_i32 s3, s3, s24
	s_lshl_b64 s[24:25], s[20:21], 2
	s_mov_b32 s57, 0x3020706
	s_mul_i32 s2, s33, s22
	v_lshlrev_b32_e32 v7, 1, v7
	v_or3_b32 v58, v24, v25, s26
	v_xor_b32_e32 v6, 8, v5
	v_xor_b32_e32 v24, 24, v5
	v_xor_b32_e32 v26, 40, v5
	v_xor_b32_e32 v28, 56, v5
	s_add_u32 s21, s10, s24
	v_or3_b32 v59, v7, v25, s26
	v_xor_b32_e32 v7, 16, v5
	v_xor_b32_e32 v25, 32, v5
	;; [unrolled: 1-line block ×3, first 2 shown]
	v_add_u32_e32 v6, 0x80, v6
	v_add_u32_e32 v24, 0x80, v24
	;; [unrolled: 1-line block ×4, first 2 shown]
	s_addc_u32 s24, s11, s25
	s_lshl_b64 s[2:3], s[2:3], 2
	s_add_u32 s2, s21, s2
	s_movk_i32 s21, 0xf8
	s_addc_u32 s3, s24, s3
	s_ashr_i32 s37, s36, 31
	s_lshl_b32 s30, s19, 7
	s_lshl_b64 s[24:25], s[36:37], 8
	s_add_u32 s24, s12, s24
	s_addc_u32 s25, s13, s25
	v_mov_b32_e32 v35, 0
	s_mov_b32 s58, 0
	v_add_u32_e32 v78, v42, v2
	v_mov_b32_e32 v68, v35
	v_mov_b32_e32 v69, v35
	;; [unrolled: 1-line block ×6, first 2 shown]
	s_waitcnt vmcnt(1)
	v_perm_b32 v29, v8, v16, s56
	s_waitcnt vmcnt(0)
	v_perm_b32 v30, v12, v20, s56
	v_perm_b32 v8, v8, v16, s57
	;; [unrolled: 1-line block ×15, first 2 shown]
	ds_write2st64_b32 v5, v29, v30 offset1:32
	ds_write2st64_b32 v6, v8, v12 offset1:32
	ds_write2st64_b32 v7, v16, v20 offset0:1 offset1:33
	ds_write2st64_b32 v24, v9, v13 offset0:1 offset1:33
	;; [unrolled: 1-line block ×6, first 2 shown]
	v_or_b32_e32 v5, v42, v1
	v_lshlrev_b32_e32 v5, 3, v5
	v_lshrrev_b32_e32 v7, 5, v43
	v_and_or_b32 v7, v5, s21, v7
	v_lshlrev_b32_e32 v7, 4, v7
	v_lshlrev_b32_e32 v10, 11, v44
	v_and_b32_e32 v5, 0x78, v5
	v_or_b32_e32 v12, 32, v7
	v_and_b32_e32 v6, 0x1000, v10
	v_lshrrev_b32_e32 v11, 1, v0
	v_xor_b32_e32 v12, v12, v5
	v_and_b32_e32 v9, 8, v11
	v_or_b32_e32 v12, v12, v6
	v_xor_b32_e32 v8, v7, v5
	v_xor_b32_e32 v62, v12, v9
	v_or_b32_e32 v12, 64, v7
	v_or_b32_e32 v7, 0x60, v7
	v_xor_b32_e32 v12, v12, v5
	v_xor_b32_e32 v5, v7, v5
	v_or_b32_e32 v5, v5, v6
	v_or_b32_e32 v12, v12, v6
	v_xor_b32_e32 v66, v5, v9
	v_lshlrev_b32_e32 v5, 1, v1
	v_xor_b32_e32 v63, v12, v9
	v_lshlrev_b32_e32 v12, 1, v4
	v_add_lshl_u32 v13, v4, s19, 1
	v_lshrrev_b32_e32 v4, 4, v0
	v_or_b32_e32 v15, 1, v5
	v_xor_b32_e32 v5, v4, v5
	v_xor_b32_e32 v15, v15, v4
	v_lshlrev_b32_e32 v5, 3, v5
	v_lshlrev_b32_e32 v34, 8, v4
	;; [unrolled: 1-line block ×3, first 2 shown]
	v_or3_b32 v70, v5, v34, s26
	v_or3_b32 v71, v4, v34, s26
	v_lshl_add_u64 v[4:5], s[24:25], 0, v[34:35]
	v_lshlrev_b32_e32 v34, 4, v1
	s_movk_i32 s21, 0xff
	v_lshlrev_b32_e32 v17, 3, v44
	v_and_b32_e32 v11, 24, v11
	v_lshl_add_u64 v[36:37], v[4:5], 0, v[34:35]
	v_and_b32_e32 v5, 8, v0
	v_cmp_lt_u32_e32 vcc, s21, v0
	v_xor_b32_e32 v18, v17, v11
	v_or_b32_e32 v19, 0x440, v18
	v_cndmask_b32_e64 v16, 0, 1, vcc
	v_cmp_eq_u32_e32 vcc, 0, v5
	v_and_b32_e32 v4, 7, v0
	v_lshlrev_b32_e32 v15, 3, v4
	v_cndmask_b32_e32 v5, v19, v18, vcc
	v_lshlrev_b32_e32 v4, 7, v4
	v_or_b32_e32 v5, v5, v10
	v_xad_u32 v72, v5, v15, v4
	v_or_b32_e32 v5, 32, v11
	v_xor_b32_e32 v5, v17, v5
	v_or_b32_e32 v18, 0x440, v5
	v_cndmask_b32_e32 v5, v18, v5, vcc
	v_or_b32_e32 v5, v5, v10
	v_xad_u32 v73, v5, v15, v4
	v_or_b32_e32 v5, 64, v11
	v_xor_b32_e32 v5, v17, v5
	v_xor_b32_e32 v18, 0x440, v5
	v_cndmask_b32_e32 v5, v18, v5, vcc
	v_or_b32_e32 v5, v5, v10
	v_xad_u32 v74, v5, v15, v4
	v_or_b32_e32 v5, 0x60, v11
	v_xor_b32_e32 v5, v17, v5
	v_or_b32_e32 v8, v8, v6
	v_or_b32_e32 v6, s36, v1
	v_xor_b32_e32 v11, 0x440, v5
	v_xor_b32_e32 v60, v8, v9
	v_and_b32_e32 v8, 0x78, v46
	v_ashrrev_i32_e32 v7, 31, v6
	v_cndmask_b32_e32 v5, v11, v5, vcc
	v_lshl_or_b32 v8, v45, 7, v8
	v_lshlrev_b64 v[6:7], 1, v[6:7]
	v_or_b32_e32 v5, v5, v10
	v_or_b32_e32 v61, 0x9000, v8
	;; [unrolled: 1-line block ×3, first 2 shown]
	v_lshl_add_u64 v[8:9], s[8:9], 0, v[6:7]
	v_lshl_add_u64 v[6:7], s[14:15], 0, v[6:7]
	v_or_b32_e32 v14, 0x100, v3
	v_lshlrev_b32_e32 v16, 13, v16
	v_xad_u32 v75, v5, v15, v4
	v_lshlrev_b32_e32 v34, 8, v49
	v_cndmask_b32_e64 v76, v12, v3, s[0:1]
	v_cndmask_b32_e64 v77, v13, v14, s[0:1]
	v_lshl_add_u64 v[38:39], v[8:9], 0, v[34:35]
	v_lshl_add_u64 v[40:41], v[6:7], 0, v[34:35]
	s_mov_b32 s21, 0x7060302
	s_movk_i32 s26, 0x4000
	v_add_u32_e32 v79, v16, v72
	v_add_u32_e32 v80, v16, v73
	v_add_u32_e32 v81, v16, v74
	v_add_u32_e32 v82, v16, v75
	v_mov_b32_e32 v34, v35
	s_waitcnt lgkmcnt(0)
	s_barrier
.LBB567_6:                              ; =>This Inner Loop Header: Depth=1
	s_add_i32 s37, s58, 1
	s_cmp_lt_i32 s37, s46
	s_mov_b64 s[28:29], 0
	s_cselect_b64 s[40:41], -1, 0
	s_cmp_ge_i32 s37, s46
	s_mov_b64 s[24:25], 0
	s_cbranch_scc1 .LBB567_8
; %bb.7:                                ;   in Loop: Header=BB567_6 Depth=1
	s_add_i32 s0, s52, 64
	s_ashr_i32 s1, s0, 31
	s_add_u32 s0, s49, s0
	s_addc_u32 s1, s48, s1
	s_lshl_b64 s[0:1], s[0:1], 8
	s_add_u32 s24, s6, s0
	s_addc_u32 s25, s7, s1
.LBB567_8:                              ;   in Loop: Header=BB567_6 Depth=1
	v_cndmask_b32_e64 v2, 0, 1, s[40:41]
	v_cmp_ne_u32_e64 s[0:1], 1, v2
	s_andn2_b64 vcc, exec, s[40:41]
	s_cbranch_vccnz .LBB567_10
; %bb.9:                                ;   in Loop: Header=BB567_6 Depth=1
	s_add_i32 s28, s52, 64
	s_mul_hi_i32 s29, s28, s18
	s_mul_i32 s28, s28, s18
	s_add_u32 s28, s28, s51
	s_addc_u32 s29, s29, s54
	s_lshl_b64 s[28:29], s[28:29], 8
	s_add_u32 s28, s4, s28
	s_addc_u32 s29, s5, s29
.LBB567_10:                             ;   in Loop: Header=BB567_6 Depth=1
	v_perm_b32 v3, v84, v69, s21
	v_perm_b32 v2, v68, v35, s21
	;; [unrolled: 1-line block ×4, first 2 shown]
	ds_write_b64 v56, v[2:3]
	ds_write_b64 v57, v[4:5]
	;; [unrolled: 1-line block ×4, first 2 shown]
	s_waitcnt lgkmcnt(0)
	s_barrier
	ds_read_b64 v[10:11], v60 offset:16384
	ds_read_b64 v[12:13], v62 offset:16384
	ds_read2st64_b64 v[2:5], v61 offset1:1
	s_waitcnt lgkmcnt(0)
	v_mfma_f32_16x16x16_bf16 a[0:3], v[10:11], v[2:3], 0
	ds_read2st64_b64 v[6:9], v61 offset0:2 offset1:3
	ds_read_b64 v[14:15], v63 offset:16384
	ds_read_b64 v[2:3], v66 offset:16384
	s_add_i32 s31, s52, 63
	v_mfma_f32_16x16x16_bf16 a[0:3], v[12:13], v[4:5], a[0:3]
	s_ashr_i32 s40, s31, 31
	s_mul_i32 s41, s31, s35
	s_mul_hi_u32 s59, s31, s34
	s_waitcnt lgkmcnt(1)
	v_mfma_f32_16x16x16_bf16 a[0:3], v[14:15], v[6:7], a[0:3]
	s_add_i32 s41, s59, s41
	s_mul_i32 s40, s40, s34
	s_add_i32 s41, s41, s40
	s_mul_i32 s40, s31, s34
	s_waitcnt lgkmcnt(0)
	v_mfma_f32_16x16x16_bf16 a[0:3], v[2:3], v[8:9], a[0:3]
	s_lshl_b64 s[40:41], s[40:41], 2
	s_add_u32 s40, s2, s40
	s_addc_u32 s41, s3, s41
	s_and_b64 vcc, exec, s[0:1]
	v_mov_b32_e32 v87, 0
	v_mov_b32_e32 v86, 0
	;; [unrolled: 1-line block ×19, first 2 shown]
	s_cbranch_vccnz .LBB567_12
; %bb.11:                               ;   in Loop: Header=BB567_6 Depth=1
	s_and_b32 s25, s25, 0xffff
	buffer_load_dwordx4 v[14:17], v52, s[24:27], 0 offen
	buffer_load_dwordx4 v[10:13], v52, s[24:27], s55 offen
	;; [unrolled: 1-line block ×4, first 2 shown]
	v_mov_b32_e32 v86, v54
	v_mov_b32_e32 v85, v55
.LBB567_12:                             ;   in Loop: Header=BB567_6 Depth=1
	s_waitcnt vmcnt(3)
	v_add_u32_e32 v22, s52, v78
	s_waitcnt vmcnt(1)
	v_ashrrev_i32_e32 v18, 31, v22
	v_mul_lo_u32 v20, v18, s34
	v_mul_lo_u32 v21, v22, s35
	v_mad_u64_u32 v[18:19], s[24:25], v22, s34, 0
	v_add3_u32 v19, v19, v21, v20
	v_lshl_add_u64 v[18:19], v[18:19], 2, s[2:3]
	global_load_dword v89, v[18:19], off
	v_add_u32_e32 v18, 1, v22
	v_ashrrev_i32_e32 v19, 31, v18
	v_mul_lo_u32 v20, v19, s34
	v_mul_lo_u32 v21, v18, s35
	v_mad_u64_u32 v[18:19], s[24:25], v18, s34, 0
	v_add3_u32 v19, v19, v21, v20
	v_add_u32_e32 v20, 2, v22
	v_ashrrev_i32_e32 v21, 31, v20
	v_mul_lo_u32 v23, v21, s34
	v_mul_lo_u32 v24, v20, s35
	v_mad_u64_u32 v[20:21], s[24:25], v20, s34, 0
	v_add_u32_e32 v22, 3, v22
	v_add3_u32 v21, v21, v24, v23
	v_ashrrev_i32_e32 v23, 31, v22
	v_mul_lo_u32 v26, v23, s34
	v_mul_lo_u32 v27, v22, s35
	v_mad_u64_u32 v[22:23], s[24:25], v22, s34, 0
	s_ashr_i32 s25, s52, 31
	s_add_u32 s24, s49, s52
	s_addc_u32 s25, s48, s25
	s_lshl_b64 s[60:61], s[24:25], 8
	v_lshl_add_u64 v[18:19], v[18:19], 2, s[2:3]
	v_lshl_add_u64 v[24:25], v[38:39], 0, s[60:61]
	v_add3_u32 v23, v23, v27, v26
	v_lshl_add_u64 v[20:21], v[20:21], 2, s[2:3]
	global_load_ushort v92, v[24:25], off
	global_load_ushort v93, v[24:25], off offset:256
	global_load_ushort v94, v[24:25], off offset:512
	;; [unrolled: 1-line block ×3, first 2 shown]
	v_lshl_add_u64 v[22:23], v[22:23], 2, s[2:3]
	global_load_dword v96, v[18:19], off
	global_load_dword v97, v[20:21], off
	;; [unrolled: 1-line block ×3, first 2 shown]
	s_load_dword s24, s[40:41], 0x0
	ds_read_b64 v[20:21], v60 offset:24576
	ds_read2st64_b64 v[22:25], v67 offset1:1
	ds_read2st64_b64 v[26:29], v67 offset0:2 offset1:3
	ds_read_b64 v[30:31], v62 offset:24576
	ds_read_b64 v[32:33], v63 offset:24576
	;; [unrolled: 1-line block ×3, first 2 shown]
	s_waitcnt lgkmcnt(0)
	v_mfma_f32_16x16x16_bf16 a[0:3], v[20:21], v[22:23], a[0:3]
	v_mov_b32_e32 v88, 0
	v_mov_b32_e32 v18, 0
	;; [unrolled: 1-line block ×3, first 2 shown]
	v_mfma_f32_16x16x16_bf16 a[0:3], v[30:31], v[24:25], a[0:3]
	v_lshl_add_u64 v[30:31], v[40:41], 0, s[60:61]
	v_mov_b32_e32 v20, 0
	v_mov_b32_e32 v21, 0
	v_mfma_f32_16x16x16_bf16 a[0:3], v[32:33], v[26:27], a[0:3]
	v_mov_b32_e32 v22, 0
	v_mov_b32_e32 v23, 0
	v_mov_b32_e32 v24, 0
	v_mfma_f32_16x16x16_bf16 a[0:3], v[90:91], v[28:29], a[0:3]
	v_mov_b32_e32 v25, 0
	v_mov_b32_e32 v26, 0
	s_and_b64 vcc, exec, s[0:1]
	s_waitcnt vmcnt(7)
	v_sub_f32_e32 v27, s24, v89
	s_nop 1
	v_accvgpr_read_b32 v33, a1
	v_accvgpr_read_b32 v32, a0
	;; [unrolled: 1-line block ×4, first 2 shown]
	s_waitcnt vmcnt(6)
	v_lshlrev_b32_e32 v90, 16, v92
	s_waitcnt vmcnt(5)
	v_lshlrev_b32_e32 v91, 16, v93
	;; [unrolled: 2-line block ×3, first 2 shown]
	v_exp_f32_e32 v94, v27
	s_waitcnt vmcnt(2)
	v_sub_f32_e32 v27, s24, v96
	s_waitcnt vmcnt(1)
	v_sub_f32_e32 v89, s24, v97
	s_waitcnt vmcnt(0)
	v_sub_f32_e32 v96, s24, v98
	v_lshlrev_b32_e32 v93, 16, v95
	v_pk_add_f32 v[32:33], v[90:91], v[32:33] neg_lo:[0,1] neg_hi:[0,1]
	v_exp_f32_e32 v95, v27
	v_exp_f32_e32 v90, v89
	;; [unrolled: 1-line block ×3, first 2 shown]
	v_pk_add_f32 v[28:29], v[92:93], v[28:29] neg_lo:[0,1] neg_hi:[0,1]
	global_store_short_d16_hi v[30:31], v32, off
	global_store_short_d16_hi v[30:31], v33, off offset:256
	global_store_short_d16_hi v[30:31], v28, off offset:512
	;; [unrolled: 1-line block ×3, first 2 shown]
	v_pk_mul_f32 v[30:31], v[94:95], v[32:33]
	v_pk_mul_f32 v[28:29], v[90:91], v[28:29]
	v_perm_b32 v30, v31, v30, s21
	v_perm_b32 v31, v29, v28, s21
	ds_write_b64 v57, v[30:31]
	v_mov_b32_e32 v27, 0
	v_mov_b32_e32 v28, 0
	;; [unrolled: 1-line block ×7, first 2 shown]
	s_cbranch_vccnz .LBB567_14
; %bb.13:                               ;   in Loop: Header=BB567_6 Depth=1
	s_and_b32 s29, s29, 0xffff
	s_mov_b32 s31, s27
	buffer_load_dwordx4 v[30:33], v76, s[28:31], 0 offen
	buffer_load_dwordx4 v[22:25], v76, s[28:31], s55 offen
	;; [unrolled: 1-line block ×4, first 2 shown]
	v_mov_b32_e32 v87, v51
	v_mov_b32_e32 v88, v50
.LBB567_14:                             ;   in Loop: Header=BB567_6 Depth=1
	s_waitcnt lgkmcnt(0)
	s_barrier
	ds_read_b64 v[98:99], v79
	ds_read2st64_b64 v[90:93], v67 offset1:1
	ds_read2st64_b64 v[94:97], v67 offset0:2 offset1:3
	ds_read_b64 v[100:101], v80
	ds_read_b64 v[102:103], v81
	;; [unrolled: 1-line block ×3, first 2 shown]
	s_waitcnt lgkmcnt(4)
	v_mfma_f32_16x16x16_bf16 a[0:3], v[98:99], v[90:91], 0
	ds_read_b64 v[98:99], v72 offset:8192
	ds_read_b64 v[106:107], v73 offset:8192
	s_add_i32 s25, s47, s58
	s_mul_hi_i32 s29, s25, s50
	s_waitcnt lgkmcnt(1)
	v_mfma_f32_16x16x16_bf16 a[4:7], v[98:99], v[90:91], 0
	s_mul_i32 s25, s25, s50
	s_add_u32 s28, s25, s33
	s_addc_u32 s29, s29, s53
	v_mfma_f32_16x16x16_bf16 a[0:3], v[100:101], v[92:93], a[0:3]
	ds_read_b64 v[98:99], v70
	ds_read_b64 v[100:101], v71
	ds_read_b64 v[90:91], v74 offset:8192
	s_lshl_b64 s[28:29], s[28:29], 15
	v_mfma_f32_16x16x16_bf16 a[0:3], v[102:103], v[94:95], a[0:3]
	ds_read_b64 v[102:103], v75 offset:8192
	s_and_b64 vcc, exec, s[0:1]
	s_waitcnt lgkmcnt(4)
	v_mfma_f32_16x16x16_bf16 a[4:7], v[106:107], v[92:93], a[4:7]
	s_waitcnt lgkmcnt(1)
	v_mfma_f32_16x16x16_bf16 a[4:7], v[90:91], v[94:95], a[4:7]
	v_lshl_add_u64 v[90:91], v[36:37], 0, s[28:29]
	global_store_dwordx4 v[90:91], v[98:101], off
	v_mfma_f32_16x16x16_bf16 a[0:3], v[104:105], v[96:97], a[0:3]
	s_waitcnt lgkmcnt(0)
	v_mfma_f32_16x16x16_bf16 a[4:7], v[102:103], v[96:97], a[4:7]
	s_cbranch_vccnz .LBB567_16
; %bb.15:                               ;   in Loop: Header=BB567_6 Depth=1
	v_lshrrev_b32_e32 v89, 3, v87
	v_and_b32_e32 v89, 6, v89
	v_xor_b32_e32 v88, v89, v88
	v_lshlrev_b32_e32 v88, 2, v88
	v_and_b32_e32 v87, 8, v87
	v_xor_b32_e32 v90, 0x440, v88
	v_cmp_eq_u32_e32 vcc, 0, v87
	s_barrier
	s_nop 0
	v_cndmask_b32_e32 v87, v90, v88, vcc
	v_lshl_or_b32 v87, v89, 10, v87
	s_waitcnt vmcnt(2)
	v_perm_b32 v88, v30, v26, s56
	s_waitcnt vmcnt(1)
	v_perm_b32 v89, v22, v18, s56
	ds_write2st64_b32 v87, v88, v89 offset1:32
	v_xor_b32_e32 v88, 8, v87
	v_perm_b32 v26, v30, v26, s57
	v_perm_b32 v18, v22, v18, s57
	v_add_u32_e32 v22, 0x80, v88
	ds_write2st64_b32 v22, v26, v18 offset1:32
	v_xor_b32_e32 v18, 16, v87
	v_perm_b32 v22, v31, v27, s56
	v_perm_b32 v26, v23, v19, s56
	ds_write2st64_b32 v18, v22, v26 offset0:1 offset1:33
	v_xor_b32_e32 v18, 24, v87
	v_perm_b32 v22, v31, v27, s57
	v_perm_b32 v19, v23, v19, s57
	v_add_u32_e32 v18, 0x80, v18
	ds_write2st64_b32 v18, v22, v19 offset0:1 offset1:33
	v_xor_b32_e32 v18, 32, v87
	v_perm_b32 v19, v32, v28, s56
	v_perm_b32 v22, v24, v20, s56
	ds_write2st64_b32 v18, v19, v22 offset0:2 offset1:34
	v_xor_b32_e32 v18, 40, v87
	v_perm_b32 v19, v32, v28, s57
	v_perm_b32 v20, v24, v20, s57
	v_add_u32_e32 v18, 0x80, v18
	ds_write2st64_b32 v18, v19, v20 offset0:2 offset1:34
	v_xor_b32_e32 v18, 48, v87
	v_perm_b32 v19, v33, v29, s56
	v_perm_b32 v20, v25, v21, s56
	ds_write2st64_b32 v18, v19, v20 offset0:3 offset1:35
	v_xor_b32_e32 v18, 56, v87
	v_perm_b32 v19, v33, v29, s57
	v_perm_b32 v20, v25, v21, s57
	v_add_u32_e32 v18, 0x80, v18
	ds_write2st64_b32 v18, v19, v20 offset0:3 offset1:35
	ds_write_b64 v86, v[14:15] offset:16384
	v_xor_b32_e32 v14, 8, v86
	ds_write_b64 v14, v[16:17] offset:16384
	ds_write_b64 v86, v[10:11] offset:24576
	;; [unrolled: 1-line block ×4, first 2 shown]
	v_xor_b32_e32 v6, 8, v85
	ds_write_b64 v6, v[8:9] offset:16384
	ds_write_b64 v85, v[2:3] offset:24576
	;; [unrolled: 1-line block ×3, first 2 shown]
.LBB567_16:                             ;   in Loop: Header=BB567_6 Depth=1
	v_exp_f32_e32 v2, s24
	s_nop 2
	v_accvgpr_read_b32 v3, a0
	v_accvgpr_read_b32 v4, a1
	s_add_i32 s52, s52, 64
	v_fma_f32 v35, v35, v2, v3
	v_accvgpr_read_b32 v3, a2
	v_fma_f32 v69, v69, v2, v3
	v_accvgpr_read_b32 v3, a4
	;; [unrolled: 2-line block ×6, first 2 shown]
	v_fmac_f32_e32 v4, v84, v2
	s_cmp_eq_u32 s46, s37
	v_fmac_f32_e32 v3, v83, v2
	s_cbranch_scc1 .LBB567_18
; %bb.17:                               ;   in Loop: Header=BB567_6 Depth=1
	s_mov_b32 s58, s37
	v_mov_b32_e32 v84, v4
	v_mov_b32_e32 v83, v3
	s_branch .LBB567_6
.LBB567_18:
	s_lshl_b32 s0, s46, 6
	s_sub_i32 s45, s45, s0
	s_cmp_gt_i32 s45, 0
	s_cbranch_scc0 .LBB567_75
; %bb.19:
	s_add_i32 s38, s0, s38
	s_ashr_i32 s2, s38, 31
	s_cmpk_lg_i32 s19, 0x80
	s_cselect_b64 s[30:31], -1, 0
	s_and_b64 vcc, exec, s[30:31]
	s_cbranch_vccz .LBB567_21
; %bb.20:
	s_mul_i32 s1, s38, s18
	s_ashr_i32 s3, s51, 31
	s_mul_hi_i32 s0, s38, s18
	s_add_u32 s40, s1, s51
	s_addc_u32 s41, s0, s3
	s_cbranch_execz .LBB567_22
	s_branch .LBB567_23
.LBB567_21:
                                        ; implicit-def: $sgpr40_sgpr41
.LBB567_22:
	s_mul_i32 s1, s51, s16
	s_mul_hi_i32 s0, s51, s16
	s_add_u32 s40, s1, s38
	s_addc_u32 s41, s0, s2
.LBB567_23:
	s_add_i32 s3, s46, s47
	s_ashr_i32 s16, s33, 31
	s_add_u32 s0, s49, s38
	s_addc_u32 s1, s48, s2
	s_mov_b32 s2, 0x7060302
	v_lshlrev_b32_e32 v6, 3, v1
	v_perm_b32 v5, v4, v69, s2
	v_perm_b32 v4, v68, v35, s2
	;; [unrolled: 1-line block ×4, first 2 shown]
	v_lshlrev_b32_e32 v34, 2, v1
	v_lshl_or_b32 v6, v49, 5, v6
	s_lshl_b64 s[28:29], s[0:1], 8
	ds_write2st64_b64 v6, v[4:5], v[2:3] offset0:72 offset1:76
	v_xor_b32_e32 v6, v49, v34
	v_lshlrev_b32_e32 v7, 8, v1
	s_add_u32 s0, s6, s28
	v_lshl_or_b32 v6, v6, 1, v7
	s_addc_u32 s1, s7, s29
	ds_write_b64 v6, v[4:5] offset:32768
	v_xor_b32_e32 v4, v48, v34
	s_mul_hi_i32 s6, s3, s17
	s_mul_i32 s3, s3, s17
	v_lshl_or_b32 v4, v4, 1, v7
	s_add_u32 s2, s3, s33
	ds_write_b64 v4, v[2:3] offset:32768
	s_addc_u32 s3, s6, s16
	v_lshlrev_b32_e32 v3, 1, v1
	v_lshrrev_b32_e32 v2, 4, v0
	s_ashr_i32 s37, s36, 31
	s_lshl_b64 s[2:3], s[2:3], 15
	v_or_b32_e32 v4, 1, v3
	s_add_u32 s6, s12, s2
	v_xor_b32_e32 v3, v2, v3
	v_xor_b32_e32 v4, v4, v2
	v_lshlrev_b32_e32 v6, 8, v2
	s_addc_u32 s7, s13, s3
	s_lshl_b64 s[2:3], s[36:37], 8
	v_lshl_or_b32 v2, v3, 3, v6
	v_lshl_or_b32 v4, v4, 3, v6
	s_waitcnt lgkmcnt(0)
	s_barrier
	s_add_u32 s2, s6, s2
	ds_read_b64 v[2:3], v2 offset:32768
	ds_read_b64 v[4:5], v4 offset:32768
	s_addc_u32 s3, s7, s3
	v_mov_b32_e32 v7, 0
	s_cmp_lg_u32 s45, 64
	v_lshl_add_u64 v[8:9], s[2:3], 0, v[6:7]
	v_lshlrev_b32_e32 v6, 4, v1
	s_cselect_b64 s[6:7], -1, 0
	v_lshl_or_b32 v35, v44, 3, v47
	s_mov_b32 s24, 0
	v_lshl_add_u64 v[6:7], v[8:9], 0, v[6:7]
	s_waitcnt vmcnt(1)
	v_or_b32_e32 v19, 32, v35
	v_and_b32_e32 v18, 56, v46
	s_and_b64 vcc, exec, s[6:7]
	s_waitcnt lgkmcnt(0)
	global_store_dwordx4 v[6:7], v[2:5], off
	s_cbranch_vccz .LBB567_29
; %bb.24:
	s_mov_b32 s25, s24
	s_mov_b32 s26, s24
	;; [unrolled: 1-line block ×3, first 2 shown]
	v_mov_b64_e32 v[6:7], s[24:25]
	v_mov_b64_e32 v[8:9], s[26:27]
	;; [unrolled: 1-line block ×3, first 2 shown]
	v_cmp_gt_i32_e32 vcc, s45, v35
	v_mov_b64_e32 v[4:5], v[8:9]
	s_and_saveexec_b64 s[2:3], vcc
	s_cbranch_execz .LBB567_26
; %bb.25:
	v_lshlrev_b32_e32 v2, 8, v35
	v_mov_b32_e32 v3, 0
	v_lshl_add_u64 v[4:5], s[0:1], 0, v[2:3]
	v_lshlrev_b32_e32 v2, 1, v18
	v_lshl_add_u64 v[10:11], v[4:5], 0, v[2:3]
	global_load_dwordx4 v[6:9], v[10:11], off
	global_load_dwordx4 v[2:5], v[10:11], off offset:128
.LBB567_26:
	s_or_b64 exec, exec, s[2:3]
	s_mov_b32 s25, s24
	s_mov_b32 s26, s24
	;; [unrolled: 1-line block ×3, first 2 shown]
	v_mov_b64_e32 v[14:15], s[24:25]
	v_mov_b64_e32 v[16:17], s[26:27]
	;; [unrolled: 1-line block ×3, first 2 shown]
	v_cmp_gt_i32_e32 vcc, s45, v19
	v_lshlrev_b32_e32 v20, 7, v19
	v_mov_b64_e32 v[12:13], v[16:17]
	s_and_saveexec_b64 s[2:3], vcc
	s_cbranch_execz .LBB567_28
; %bb.27:
	v_lshlrev_b32_e32 v10, 1, v20
	v_mov_b32_e32 v11, 0
	v_lshl_add_u64 v[12:13], s[0:1], 0, v[10:11]
	v_lshlrev_b32_e32 v10, 1, v18
	v_lshl_add_u64 v[22:23], v[12:13], 0, v[10:11]
	global_load_dwordx4 v[14:17], v[22:23], off
	global_load_dwordx4 v[10:13], v[22:23], off offset:128
.LBB567_28:
	s_or_b64 exec, exec, s[2:3]
	v_lshrrev_b32_e32 v21, 3, v18
	v_lshlrev_b32_e32 v22, 3, v35
	v_or_b32_e32 v21, v22, v21
	v_lshlrev_b32_e32 v21, 4, v21
	v_and_b32_e32 v22, 0x78, v22
	v_xor_b32_e32 v21, v21, v22
	s_branch .LBB567_31
.LBB567_29:
                                        ; implicit-def: $vgpr21
                                        ; implicit-def: $vgpr20
                                        ; implicit-def: $vgpr6_vgpr7_vgpr8_vgpr9
                                        ; implicit-def: $vgpr2_vgpr3_vgpr4_vgpr5
                                        ; implicit-def: $vgpr14_vgpr15_vgpr16_vgpr17
                                        ; implicit-def: $vgpr10_vgpr11_vgpr12_vgpr13
	s_cbranch_execz .LBB567_31
; %bb.30:
	s_waitcnt vmcnt(0)
	v_lshlrev_b32_e32 v2, 1, v18
	v_lshl_or_b32 v20, v35, 8, v2
	s_and_b32 s1, s1, 0xffff
	s_mov_b32 s3, 0x20000
	s_movk_i32 s2, 0x4000
	v_lshl_or_b32 v21, v19, 8, v2
	s_movk_i32 s12, 0x80
	buffer_load_dwordx4 v[6:9], v20, s[0:3], 0 offen
	buffer_load_dwordx4 v[2:5], v20, s[0:3], s12 offen
	;; [unrolled: 1-line block ×4, first 2 shown]
	v_lshrrev_b32_e32 v20, 3, v18
	v_lshlrev_b32_e32 v21, 3, v35
	v_or_b32_e32 v20, v21, v20
	v_lshlrev_b32_e32 v20, 4, v20
	v_and_b32_e32 v21, 0x78, v21
	v_xor_b32_e32 v21, v20, v21
	v_lshlrev_b32_e32 v20, 7, v19
.LBB567_31:
	s_lshl_b64 s[0:1], s[40:41], 8
	s_add_u32 s4, s4, s0
	s_movk_i32 s0, 0x1000
	v_and_or_b32 v19, v20, s0, v21
	s_waitcnt vmcnt(1)
	ds_write_b64 v21, v[6:7] offset:16384
	v_xor_b32_e32 v6, 8, v21
	s_addc_u32 s5, s5, s1
	ds_write_b64 v6, v[8:9] offset:16384
	s_waitcnt vmcnt(0)
	ds_write_b64 v21, v[2:3] offset:24576
	ds_write_b64 v6, v[4:5] offset:24576
	;; [unrolled: 1-line block ×3, first 2 shown]
	v_xor_b32_e32 v2, 8, v19
	s_add_i32 s0, s43, s42
	ds_write_b64 v2, v[16:17] offset:16384
	ds_write_b64 v19, v[10:11] offset:24576
	ds_write_b64 v2, v[12:13] offset:24576
	s_add_i32 s21, s0, s44
	s_mul_i32 s0, s33, s23
	s_mul_hi_u32 s1, s33, s22
	v_or_b32_e32 v2, v42, v1
	s_add_i32 s0, s1, s0
	s_mul_i32 s1, s16, s22
	v_lshlrev_b32_e32 v2, 3, v2
	v_lshrrev_b32_e32 v4, 5, v43
	s_movk_i32 s16, 0xf8
	v_and_or_b32 v4, v2, s16, v4
	v_lshlrev_b32_e32 v3, 11, v44
	v_lshlrev_b32_e32 v12, 4, v4
	v_and_b32_e32 v13, 0x78, v2
	v_and_b32_e32 v14, 0x1000, v3
	v_lshlrev_b32_e32 v3, 2, v0
	v_xor_b32_e32 v2, v12, v13
	v_lshrrev_b32_e32 v4, 1, v43
	v_and_b32_e32 v3, 60, v3
	v_or_b32_e32 v2, v2, v14
	v_and_b32_e32 v15, 8, v4
	v_xor_b32_e32 v26, v2, v15
	v_lshl_or_b32 v2, v45, 6, v3
	v_lshlrev_b32_e32 v19, 1, v2
	v_or_b32_e32 v2, 32, v12
	v_xor_b32_e32 v2, v2, v13
	s_waitcnt lgkmcnt(0)
	s_barrier
	ds_read_b64 v[10:11], v26 offset:16384
	v_or_b32_e32 v2, v2, v14
	v_xor_b32_e32 v27, v2, v15
	v_or_b32_e32 v2, 64, v12
	v_xor_b32_e32 v2, v2, v13
	v_or_b32_e32 v2, v2, v14
	v_or_b32_e32 v12, 0x60, v12
	v_xor_b32_e32 v28, v2, v15
	ds_read2st64_b64 v[2:5], v19 offset0:72 offset1:73
	ds_read2st64_b64 v[6:9], v19 offset0:74 offset1:75
	v_xor_b32_e32 v16, v12, v13
	ds_read_b64 v[12:13], v27 offset:16384
	s_waitcnt lgkmcnt(2)
	v_mfma_f32_16x16x16_bf16 a[0:3], v[10:11], v[2:3], 0
	s_add_i32 s2, s39, -1
	s_ashr_i32 s3, s2, 31
	s_mul_i32 s12, s2, s35
	s_mul_hi_u32 s13, s2, s34
	s_add_i32 s12, s13, s12
	s_mul_i32 s3, s3, s34
	v_or_b32_e32 v14, v16, v14
	s_add_i32 s1, s0, s1
	s_add_i32 s3, s12, s3
	s_lshl_b64 s[12:13], s[20:21], 2
	v_xor_b32_e32 v36, v14, v15
	ds_read_b64 v[14:15], v28 offset:16384
	ds_read_b64 v[16:17], v36 offset:16384
	s_waitcnt lgkmcnt(2)
	v_mfma_f32_16x16x16_bf16 a[0:3], v[12:13], v[4:5], a[0:3]
	s_mul_i32 s0, s33, s22
	s_add_u32 s10, s10, s12
	s_addc_u32 s11, s11, s13
	s_lshl_b64 s[0:1], s[0:1], 2
	s_mul_i32 s2, s2, s34
	s_add_u32 s10, s10, s0
	s_addc_u32 s11, s11, s1
	s_lshl_b64 s[0:1], s[2:3], 2
	s_waitcnt lgkmcnt(1)
	v_mfma_f32_16x16x16_bf16 a[0:3], v[14:15], v[6:7], a[0:3]
	s_add_u32 s0, s10, s0
	s_addc_u32 s1, s11, s1
	s_load_dword s12, s[0:1], 0x0
	s_waitcnt lgkmcnt(0)
	v_mfma_f32_16x16x16_bf16 a[0:3], v[16:17], v[8:9], a[0:3]
	s_and_b64 vcc, exec, s[30:31]
	s_cbranch_vccz .LBB567_42
; %bb.32:
	v_lshlrev_b32_e32 v20, 1, v35
	s_and_b64 vcc, exec, s[6:7]
	s_cbranch_vccz .LBB567_43
; %bb.33:
	v_cmp_gt_i32_e32 vcc, s45, v20
	v_mov_b32_e32 v6, 0
	v_mov_b32_e32 v2, 0
	;; [unrolled: 1-line block ×5, first 2 shown]
	s_and_saveexec_b64 s[0:1], vcc
	s_cbranch_execz .LBB567_35
; %bb.34:
	v_mad_i64_i32 v[2:3], s[2:3], s19, v20, 0
	v_lshl_add_u64 v[2:3], v[2:3], 1, s[4:5]
	v_lshlrev_b32_e32 v4, 1, v18
	v_mov_b32_e32 v5, 0
	v_lshl_add_u64 v[2:3], v[2:3], 0, v[4:5]
	global_load_dwordx4 v[2:5], v[2:3], off
.LBB567_35:
	s_or_b64 exec, exec, s[0:1]
	v_or_b32_e32 v21, 1, v20
	v_cmp_gt_i32_e64 s[0:1], s45, v21
	v_mov_b32_e32 v7, 0
	v_mov_b32_e32 v8, 0
	;; [unrolled: 1-line block ×3, first 2 shown]
	s_and_saveexec_b64 s[2:3], s[0:1]
	s_cbranch_execz .LBB567_37
; %bb.36:
	v_mad_i64_i32 v[6:7], s[16:17], s19, v21, 0
	v_lshl_add_u64 v[6:7], v[6:7], 1, s[4:5]
	v_lshlrev_b32_e32 v8, 1, v18
	v_mov_b32_e32 v9, 0
	v_lshl_add_u64 v[6:7], v[6:7], 0, v[8:9]
	global_load_dwordx4 v[6:9], v[6:7], off
.LBB567_37:
	s_or_b64 exec, exec, s[2:3]
	v_mov_b32_e32 v17, 0
	v_mov_b32_e32 v10, 0
	;; [unrolled: 1-line block ×5, first 2 shown]
	s_and_saveexec_b64 s[2:3], vcc
	s_cbranch_execz .LBB567_39
; %bb.38:
	v_mad_i64_i32 v[10:11], s[16:17], s19, v20, 0
	v_lshl_add_u64 v[10:11], v[10:11], 1, s[4:5]
	v_lshlrev_b32_e32 v12, 1, v18
	v_mov_b32_e32 v13, 0
	v_lshl_add_u64 v[10:11], v[10:11], 0, v[12:13]
	global_load_dwordx4 v[10:13], v[10:11], off offset:128
.LBB567_39:
	s_or_b64 exec, exec, s[2:3]
	v_mov_b32_e32 v16, 0
	v_mov_b32_e32 v15, 0
	;; [unrolled: 1-line block ×3, first 2 shown]
	s_and_saveexec_b64 s[2:3], s[0:1]
	s_cbranch_execz .LBB567_41
; %bb.40:
	v_mad_i64_i32 v[14:15], s[0:1], s19, v21, 0
	v_lshl_add_u64 v[14:15], v[14:15], 1, s[4:5]
	v_lshlrev_b32_e32 v16, 1, v18
	v_mov_b32_e32 v17, 0
	v_lshl_add_u64 v[14:15], v[14:15], 0, v[16:17]
	global_load_dwordx4 v[14:17], v[14:15], off offset:128
.LBB567_41:
	s_or_b64 exec, exec, s[2:3]
	s_branch .LBB567_45
.LBB567_42:
                                        ; implicit-def: $vgpr5
                                        ; implicit-def: $vgpr9
                                        ; implicit-def: $vgpr13
                                        ; implicit-def: $vgpr17
	v_lshrrev_b32_e32 v37, 2, v43
	s_branch .LBB567_46
.LBB567_43:
                                        ; implicit-def: $vgpr5
                                        ; implicit-def: $vgpr9
                                        ; implicit-def: $vgpr13
                                        ; implicit-def: $vgpr17
	s_cbranch_execz .LBB567_45
; %bb.44:
	s_waitcnt vmcnt(0)
	v_mad_u64_u32 v[2:3], s[0:1], v20, s19, v[18:19]
	v_lshlrev_b32_e32 v20, 1, v2
	s_lshl_b32 s2, s19, 7
	s_and_b32 s1, s5, 0xffff
	s_mov_b32 s3, 0x20000
	s_mov_b32 s0, s4
	v_add_lshl_u32 v21, v2, s19, 1
	s_movk_i32 s13, 0x80
	buffer_load_dwordx4 v[2:5], v20, s[0:3], 0 offen
	buffer_load_dwordx4 v[10:13], v20, s[0:3], s13 offen
	;; [unrolled: 1-line block ×4, first 2 shown]
.LBB567_45:
	v_lshrrev_b32_e32 v37, 2, v43
	s_cbranch_execnz .LBB567_58
.LBB567_46:
	s_and_b64 vcc, exec, s[6:7]
	s_cbranch_vccz .LBB567_56
; %bb.47:
	s_waitcnt vmcnt(0)
	v_lshlrev_b32_e32 v7, 1, v35
	v_cmp_gt_i32_e32 vcc, s45, v7
	v_mov_b32_e32 v6, 0
	v_lshlrev_b32_e32 v14, 9, v35
	v_mov_b32_e32 v2, 0
	v_mov_b32_e32 v3, 0
	;; [unrolled: 1-line block ×4, first 2 shown]
	s_and_saveexec_b64 s[0:1], vcc
	s_cbranch_execz .LBB567_49
; %bb.48:
	v_mov_b32_e32 v15, 0
	v_lshl_add_u64 v[2:3], s[4:5], 0, v[14:15]
	v_lshlrev_b32_e32 v4, 1, v18
	v_mov_b32_e32 v5, v15
	v_lshl_add_u64 v[2:3], v[2:3], 0, v[4:5]
	global_load_dwordx4 v[2:5], v[2:3], off
.LBB567_49:
	s_or_b64 exec, exec, s[0:1]
	v_or_b32_e32 v7, 1, v7
	v_cmp_gt_i32_e64 s[0:1], s45, v7
	v_lshlrev_b32_e32 v20, 8, v7
	v_mov_b32_e32 v7, 0
	v_mov_b32_e32 v8, 0
	;; [unrolled: 1-line block ×3, first 2 shown]
	s_and_saveexec_b64 s[2:3], s[0:1]
	s_cbranch_execz .LBB567_51
; %bb.50:
	v_mov_b32_e32 v21, 0
	v_lshl_add_u64 v[6:7], s[4:5], 0, v[20:21]
	v_lshlrev_b32_e32 v8, 1, v18
	v_mov_b32_e32 v9, v21
	v_lshl_add_u64 v[6:7], v[6:7], 0, v[8:9]
	global_load_dwordx4 v[6:9], v[6:7], off
.LBB567_51:
	s_or_b64 exec, exec, s[2:3]
	v_mov_b32_e32 v17, 0
	v_mov_b32_e32 v10, 0
	;; [unrolled: 1-line block ×5, first 2 shown]
	s_and_saveexec_b64 s[2:3], vcc
	s_cbranch_execz .LBB567_53
; %bb.52:
	v_mov_b32_e32 v15, 0
	v_lshl_add_u64 v[10:11], s[4:5], 0, v[14:15]
	v_lshlrev_b32_e32 v14, 1, v18
	v_lshl_add_u64 v[10:11], v[10:11], 0, v[14:15]
	global_load_dwordx4 v[10:13], v[10:11], off offset:128
.LBB567_53:
	s_or_b64 exec, exec, s[2:3]
	v_mov_b32_e32 v16, 0
	v_mov_b32_e32 v15, 0
	;; [unrolled: 1-line block ×3, first 2 shown]
	s_and_saveexec_b64 s[2:3], s[0:1]
	s_cbranch_execz .LBB567_55
; %bb.54:
	v_mov_b32_e32 v21, 0
	v_lshl_add_u64 v[14:15], s[4:5], 0, v[20:21]
	v_lshlrev_b32_e32 v20, 1, v18
	v_lshl_add_u64 v[14:15], v[14:15], 0, v[20:21]
	global_load_dwordx4 v[14:17], v[14:15], off offset:128
.LBB567_55:
	s_or_b64 exec, exec, s[2:3]
	s_branch .LBB567_58
.LBB567_56:
                                        ; implicit-def: $vgpr5
                                        ; implicit-def: $vgpr9
                                        ; implicit-def: $vgpr13
                                        ; implicit-def: $vgpr17
	s_cbranch_execz .LBB567_58
; %bb.57:
	s_waitcnt vmcnt(0)
	v_lshlrev_b32_e32 v2, 1, v18
	v_lshl_or_b32 v18, v35, 9, v2
	s_and_b32 s5, s5, 0xffff
	s_mov_b32 s7, 0x20000
	s_movk_i32 s6, 0x4000
	s_movk_i32 s0, 0x80
	buffer_load_dwordx4 v[2:5], v18, s[4:7], 0 offen
	buffer_load_dwordx4 v[6:9], v18, s[4:7], 0 offen offset:256
	buffer_load_dwordx4 v[10:13], v18, s[4:7], s0 offen
	buffer_load_dwordx4 v[14:17], v18, s[4:7], s0 offen offset:256
.LBB567_58:
	ds_read2st64_b64 v[22:25], v19 offset0:76 offset1:77
	ds_read2st64_b64 v[18:21], v19 offset0:78 offset1:79
	ds_read_b64 v[32:33], v26 offset:24576
	ds_read_b64 v[30:31], v27 offset:24576
	;; [unrolled: 1-line block ×4, first 2 shown]
	v_and_b32_e32 v36, 6, v0
	v_xor_b32_e32 v35, v35, v36
	v_lshlrev_b32_e32 v35, 2, v35
	v_and_b32_e32 v0, 1, v0
	v_xor_b32_e32 v38, 0x440, v35
	v_cmp_eq_u32_e32 vcc, 0, v0
	s_mov_b32 s0, 0x1000504
	s_mov_b32 s1, 0x3020706
	v_cndmask_b32_e32 v0, v38, v35, vcc
	v_lshl_or_b32 v0, v36, 10, v0
	s_waitcnt vmcnt(0)
	v_perm_b32 v35, v2, v6, s0
	v_perm_b32 v36, v10, v14, s0
	ds_write2st64_b32 v0, v35, v36 offset1:32
	v_xor_b32_e32 v35, 8, v0
	v_perm_b32 v2, v2, v6, s1
	v_perm_b32 v6, v10, v14, s1
	v_add_u32_e32 v10, 0x80, v35
	ds_write2st64_b32 v10, v2, v6 offset1:32
	v_xor_b32_e32 v2, 16, v0
	v_perm_b32 v6, v3, v7, s0
	v_perm_b32 v10, v11, v15, s0
	ds_write2st64_b32 v2, v6, v10 offset0:1 offset1:33
	v_xor_b32_e32 v2, 24, v0
	v_perm_b32 v3, v3, v7, s1
	v_perm_b32 v6, v11, v15, s1
	v_add_u32_e32 v2, 0x80, v2
	ds_write2st64_b32 v2, v3, v6 offset0:1 offset1:33
	v_xor_b32_e32 v2, 32, v0
	v_perm_b32 v3, v4, v8, s0
	v_perm_b32 v6, v12, v16, s0
	ds_write2st64_b32 v2, v3, v6 offset0:2 offset1:34
	v_xor_b32_e32 v2, 40, v0
	v_perm_b32 v3, v4, v8, s1
	v_perm_b32 v4, v12, v16, s1
	v_add_u32_e32 v2, 0x80, v2
	ds_write2st64_b32 v2, v3, v4 offset0:2 offset1:34
	v_xor_b32_e32 v2, 48, v0
	v_perm_b32 v3, v5, v9, s0
	v_perm_b32 v4, v13, v17, s0
	v_xor_b32_e32 v0, 56, v0
	v_and_or_b32 v8, v37, 12, v42
	ds_write2st64_b32 v2, v3, v4 offset0:3 offset1:35
	v_perm_b32 v2, v5, v9, s1
	v_perm_b32 v3, v13, v17, s1
	v_add_u32_e32 v0, 0x80, v0
	v_cmp_gt_i32_e64 s[2:3], s45, v8
	v_mov_b32_e32 v10, 0
	v_mov_b32_e32 v15, 0
	ds_write2st64_b32 v0, v2, v3 offset0:3 offset1:35
	s_and_saveexec_b64 s[0:1], s[2:3]
	s_cbranch_execz .LBB567_60
; %bb.59:
	v_add_u32_e32 v0, s38, v8
	v_ashrrev_i32_e32 v2, 31, v0
	v_mul_lo_u32 v4, v2, s34
	v_mul_lo_u32 v5, v0, s35
	v_mad_u64_u32 v[2:3], s[4:5], v0, s34, 0
	v_add3_u32 v3, v3, v5, v4
	v_lshl_add_u64 v[2:3], v[2:3], 2, s[10:11]
	global_load_dword v0, v[2:3], off
	s_waitcnt vmcnt(0)
	v_sub_f32_e32 v0, s12, v0
	v_exp_f32_e32 v15, v0
.LBB567_60:
	s_or_b64 exec, exec, s[0:1]
	v_or_b32_e32 v13, 1, v8
	v_cmp_gt_i32_e64 s[4:5], s45, v13
	s_and_saveexec_b64 s[0:1], s[4:5]
	s_cbranch_execz .LBB567_62
; %bb.61:
	v_add_u32_e32 v0, s38, v13
	v_ashrrev_i32_e32 v2, 31, v0
	v_mul_lo_u32 v4, v2, s34
	v_mul_lo_u32 v5, v0, s35
	v_mad_u64_u32 v[2:3], s[6:7], v0, s34, 0
	v_add3_u32 v3, v3, v5, v4
	v_lshl_add_u64 v[2:3], v[2:3], 2, s[10:11]
	global_load_dword v0, v[2:3], off
	s_waitcnt vmcnt(0)
	v_sub_f32_e32 v0, s12, v0
	v_exp_f32_e32 v10, v0
.LBB567_62:
	s_or_b64 exec, exec, s[0:1]
	v_or_b32_e32 v11, 2, v8
	v_cmp_gt_i32_e32 vcc, s45, v11
	v_mov_b32_e32 v9, 0
	v_mov_b32_e32 v14, 0
	s_and_saveexec_b64 s[0:1], vcc
	s_cbranch_execz .LBB567_64
; %bb.63:
	v_add_u32_e32 v0, s38, v11
	v_ashrrev_i32_e32 v2, 31, v0
	v_mul_lo_u32 v4, v2, s34
	v_mul_lo_u32 v5, v0, s35
	v_mad_u64_u32 v[2:3], s[6:7], v0, s34, 0
	v_add3_u32 v3, v3, v5, v4
	v_lshl_add_u64 v[2:3], v[2:3], 2, s[10:11]
	global_load_dword v0, v[2:3], off
	s_waitcnt vmcnt(0)
	v_sub_f32_e32 v0, s12, v0
	v_exp_f32_e32 v14, v0
.LBB567_64:
	s_or_b64 exec, exec, s[0:1]
	v_or_b32_e32 v12, 3, v8
	v_cmp_gt_i32_e64 s[0:1], s45, v12
	s_and_saveexec_b64 s[6:7], s[0:1]
	s_cbranch_execz .LBB567_66
; %bb.65:
	v_add_u32_e32 v0, s38, v12
	v_ashrrev_i32_e32 v2, 31, v0
	v_mul_lo_u32 v4, v2, s34
	v_mul_lo_u32 v5, v0, s35
	v_mad_u64_u32 v[2:3], s[16:17], v0, s34, 0
	v_add3_u32 v3, v3, v5, v4
	v_lshl_add_u64 v[2:3], v[2:3], 2, s[10:11]
	global_load_dword v0, v[2:3], off
	s_waitcnt vmcnt(0)
	v_sub_f32_e32 v0, s12, v0
	v_exp_f32_e32 v9, v0
.LBB567_66:
	s_or_b64 exec, exec, s[6:7]
	s_waitcnt lgkmcnt(11)
	v_mfma_f32_16x16x16_bf16 a[0:3], v[32:33], v[22:23], a[0:3]
	v_or_b32_e32 v0, s36, v1
	s_add_u32 s6, s8, s28
	v_ashrrev_i32_e32 v1, 31, v0
	s_waitcnt lgkmcnt(10)
	v_mfma_f32_16x16x16_bf16 a[0:3], v[30:31], v[24:25], a[0:3]
	s_addc_u32 s7, s9, s29
	v_lshlrev_b64 v[0:1], 1, v[0:1]
	v_lshl_add_u64 v[4:5], s[6:7], 0, v[0:1]
	s_waitcnt lgkmcnt(9)
	v_mfma_f32_16x16x16_bf16 a[0:3], v[28:29], v[18:19], a[0:3]
	s_add_u32 s6, s14, s28
	s_addc_u32 s7, s15, s29
	v_lshl_add_u64 v[6:7], s[6:7], 0, v[0:1]
	s_waitcnt lgkmcnt(8)
	v_mfma_f32_16x16x16_bf16 a[0:3], v[26:27], v[20:21], a[0:3]
	v_mov_b32_e32 v16, 0
	v_mov_b32_e32 v17, 0
	s_nop 4
	v_accvgpr_read_b32 v0, a0
	v_accvgpr_read_b32 v1, a1
	;; [unrolled: 1-line block ×4, first 2 shown]
	s_and_saveexec_b64 s[6:7], s[2:3]
	s_cbranch_execz .LBB567_68
; %bb.67:
	v_lshlrev_b32_e32 v18, 8, v8
	v_mov_b32_e32 v19, 0
	v_lshl_add_u64 v[20:21], v[4:5], 0, v[18:19]
	global_load_ushort v17, v[20:21], off
	v_lshl_add_u64 v[18:19], v[6:7], 0, v[18:19]
	s_waitcnt vmcnt(0)
	v_lshlrev_b32_e32 v17, 16, v17
	v_sub_f32_e32 v0, v17, v0
	global_store_short_d16_hi v[18:19], v0, off
	v_mul_f32_e32 v0, v15, v0
	v_lshrrev_b32_e32 v17, 16, v0
.LBB567_68:
	s_or_b64 exec, exec, s[6:7]
	s_and_saveexec_b64 s[2:3], s[4:5]
	s_cbranch_execz .LBB567_70
; %bb.69:
	v_lshlrev_b32_e32 v18, 8, v13
	v_mov_b32_e32 v19, 0
	v_lshl_add_u64 v[20:21], v[4:5], 0, v[18:19]
	global_load_ushort v0, v[20:21], off
	v_lshl_add_u64 v[18:19], v[6:7], 0, v[18:19]
	s_waitcnt vmcnt(0)
	v_lshlrev_b32_e32 v0, 16, v0
	v_sub_f32_e32 v0, v0, v1
	global_store_short_d16_hi v[18:19], v0, off
	v_mul_f32_e32 v0, v10, v0
	v_lshrrev_b32_e32 v16, 16, v0
.LBB567_70:
	s_or_b64 exec, exec, s[2:3]
	v_mov_b32_e32 v0, 0
	v_mov_b32_e32 v1, 0
	s_and_saveexec_b64 s[2:3], vcc
	s_cbranch_execz .LBB567_72
; %bb.71:
	v_lshlrev_b32_e32 v10, 8, v11
	v_mov_b32_e32 v11, 0
	v_lshl_add_u64 v[18:19], v[4:5], 0, v[10:11]
	global_load_ushort v1, v[18:19], off
	v_lshl_add_u64 v[10:11], v[6:7], 0, v[10:11]
	s_waitcnt vmcnt(0)
	v_lshlrev_b32_e32 v1, 16, v1
	v_sub_f32_e32 v1, v1, v2
	global_store_short_d16_hi v[10:11], v1, off
	v_mul_f32_e32 v1, v14, v1
	v_lshrrev_b32_e32 v1, 16, v1
.LBB567_72:
	s_or_b64 exec, exec, s[2:3]
	s_and_saveexec_b64 s[2:3], s[0:1]
	s_cbranch_execz .LBB567_74
; %bb.73:
	v_lshlrev_b32_e32 v10, 8, v12
	v_mov_b32_e32 v11, 0
	v_lshl_add_u64 v[4:5], v[4:5], 0, v[10:11]
	global_load_ushort v0, v[4:5], off
	v_lshl_add_u64 v[4:5], v[6:7], 0, v[10:11]
	s_waitcnt vmcnt(0)
	v_lshlrev_b32_e32 v0, 16, v0
	v_sub_f32_e32 v0, v0, v3
	global_store_short_d16_hi v[4:5], v0, off
	v_mul_f32_e32 v0, v9, v0
	v_lshrrev_b32_e32 v0, 16, v0
.LBB567_74:
	s_or_b64 exec, exec, s[2:3]
	s_mov_b32 s0, 0x5040100
	v_lshlrev_b32_e32 v2, 1, v34
	v_perm_b32 v1, v0, v1, s0
	v_perm_b32 v0, v16, v17, s0
	v_lshl_or_b32 v2, v8, 5, v2
	ds_write_b64 v2, v[0:1] offset:38912
	s_waitcnt lgkmcnt(0)
	s_barrier
.LBB567_75:
	s_endpgm
	.section	.rodata,"a",@progbits
	.p2align	6, 0x0
	.amdhsa_kernel _ZN12_GLOBAL__N_139chunk_gated_delta_rule_fwd_h_hip_kernelILi16ELb0ELb0ELb1ELb1ELb1ELb0ELb0ELb1EEEvPK12hip_bfloat16S3_S3_PKfS5_PKvPS1_S8_PvPKiSB_iiiiilll
		.amdhsa_group_segment_fixed_size 40960
		.amdhsa_private_segment_fixed_size 0
		.amdhsa_kernarg_size 136
		.amdhsa_user_sgpr_count 2
		.amdhsa_user_sgpr_dispatch_ptr 0
		.amdhsa_user_sgpr_queue_ptr 0
		.amdhsa_user_sgpr_kernarg_segment_ptr 1
		.amdhsa_user_sgpr_dispatch_id 0
		.amdhsa_user_sgpr_kernarg_preload_length 0
		.amdhsa_user_sgpr_kernarg_preload_offset 0
		.amdhsa_user_sgpr_private_segment_size 0
		.amdhsa_uses_dynamic_stack 0
		.amdhsa_enable_private_segment 0
		.amdhsa_system_sgpr_workgroup_id_x 1
		.amdhsa_system_sgpr_workgroup_id_y 1
		.amdhsa_system_sgpr_workgroup_id_z 0
		.amdhsa_system_sgpr_workgroup_info 0
		.amdhsa_system_vgpr_workitem_id 0
		.amdhsa_next_free_vgpr 116
		.amdhsa_next_free_sgpr 62
		.amdhsa_accum_offset 108
		.amdhsa_reserve_vcc 1
		.amdhsa_float_round_mode_32 0
		.amdhsa_float_round_mode_16_64 0
		.amdhsa_float_denorm_mode_32 3
		.amdhsa_float_denorm_mode_16_64 3
		.amdhsa_dx10_clamp 1
		.amdhsa_ieee_mode 1
		.amdhsa_fp16_overflow 0
		.amdhsa_tg_split 0
		.amdhsa_exception_fp_ieee_invalid_op 0
		.amdhsa_exception_fp_denorm_src 0
		.amdhsa_exception_fp_ieee_div_zero 0
		.amdhsa_exception_fp_ieee_overflow 0
		.amdhsa_exception_fp_ieee_underflow 0
		.amdhsa_exception_fp_ieee_inexact 0
		.amdhsa_exception_int_div_zero 0
	.end_amdhsa_kernel
	.section	.text._ZN12_GLOBAL__N_139chunk_gated_delta_rule_fwd_h_hip_kernelILi16ELb0ELb0ELb1ELb1ELb1ELb0ELb0ELb1EEEvPK12hip_bfloat16S3_S3_PKfS5_PKvPS1_S8_PvPKiSB_iiiiilll,"axG",@progbits,_ZN12_GLOBAL__N_139chunk_gated_delta_rule_fwd_h_hip_kernelILi16ELb0ELb0ELb1ELb1ELb1ELb0ELb0ELb1EEEvPK12hip_bfloat16S3_S3_PKfS5_PKvPS1_S8_PvPKiSB_iiiiilll,comdat
.Lfunc_end567:
	.size	_ZN12_GLOBAL__N_139chunk_gated_delta_rule_fwd_h_hip_kernelILi16ELb0ELb0ELb1ELb1ELb1ELb0ELb0ELb1EEEvPK12hip_bfloat16S3_S3_PKfS5_PKvPS1_S8_PvPKiSB_iiiiilll, .Lfunc_end567-_ZN12_GLOBAL__N_139chunk_gated_delta_rule_fwd_h_hip_kernelILi16ELb0ELb0ELb1ELb1ELb1ELb0ELb0ELb1EEEvPK12hip_bfloat16S3_S3_PKfS5_PKvPS1_S8_PvPKiSB_iiiiilll
                                        ; -- End function
	.section	.AMDGPU.csdata,"",@progbits
; Kernel info:
; codeLenInByte = 7160
; NumSgprs: 68
; NumVgprs: 108
; NumAgprs: 8
; TotalNumVgprs: 116
; ScratchSize: 0
; MemoryBound: 0
; FloatMode: 240
; IeeeMode: 1
; LDSByteSize: 40960 bytes/workgroup (compile time only)
; SGPRBlocks: 8
; VGPRBlocks: 14
; NumSGPRsForWavesPerEU: 68
; NumVGPRsForWavesPerEU: 116
; AccumOffset: 108
; Occupancy: 1
; WaveLimiterHint : 1
; COMPUTE_PGM_RSRC2:SCRATCH_EN: 0
; COMPUTE_PGM_RSRC2:USER_SGPR: 2
; COMPUTE_PGM_RSRC2:TRAP_HANDLER: 0
; COMPUTE_PGM_RSRC2:TGID_X_EN: 1
; COMPUTE_PGM_RSRC2:TGID_Y_EN: 1
; COMPUTE_PGM_RSRC2:TGID_Z_EN: 0
; COMPUTE_PGM_RSRC2:TIDIG_COMP_CNT: 0
; COMPUTE_PGM_RSRC3_GFX90A:ACCUM_OFFSET: 26
; COMPUTE_PGM_RSRC3_GFX90A:TG_SPLIT: 0
	.section	.text._ZN12_GLOBAL__N_139chunk_gated_delta_rule_fwd_h_hip_kernelILi16ELb0ELb0ELb0ELb1ELb1ELb0ELb0ELb1EEEvPK12hip_bfloat16S3_S3_PKfS5_PKvPS1_S8_PvPKiSB_iiiiilll,"axG",@progbits,_ZN12_GLOBAL__N_139chunk_gated_delta_rule_fwd_h_hip_kernelILi16ELb0ELb0ELb0ELb1ELb1ELb0ELb0ELb1EEEvPK12hip_bfloat16S3_S3_PKfS5_PKvPS1_S8_PvPKiSB_iiiiilll,comdat
	.globl	_ZN12_GLOBAL__N_139chunk_gated_delta_rule_fwd_h_hip_kernelILi16ELb0ELb0ELb0ELb1ELb1ELb0ELb0ELb1EEEvPK12hip_bfloat16S3_S3_PKfS5_PKvPS1_S8_PvPKiSB_iiiiilll ; -- Begin function _ZN12_GLOBAL__N_139chunk_gated_delta_rule_fwd_h_hip_kernelILi16ELb0ELb0ELb0ELb1ELb1ELb0ELb0ELb1EEEvPK12hip_bfloat16S3_S3_PKfS5_PKvPS1_S8_PvPKiSB_iiiiilll
	.p2align	8
	.type	_ZN12_GLOBAL__N_139chunk_gated_delta_rule_fwd_h_hip_kernelILi16ELb0ELb0ELb0ELb1ELb1ELb0ELb0ELb1EEEvPK12hip_bfloat16S3_S3_PKfS5_PKvPS1_S8_PvPKiSB_iiiiilll,@function
_ZN12_GLOBAL__N_139chunk_gated_delta_rule_fwd_h_hip_kernelILi16ELb0ELb0ELb0ELb1ELb1ELb0ELb0ELb1EEEvPK12hip_bfloat16S3_S3_PKfS5_PKvPS1_S8_PvPKiSB_iiiiilll: ; @_ZN12_GLOBAL__N_139chunk_gated_delta_rule_fwd_h_hip_kernelILi16ELb0ELb0ELb0ELb1ELb1ELb0ELb0ELb1EEEvPK12hip_bfloat16S3_S3_PKfS5_PKvPS1_S8_PvPKiSB_iiiiilll
; %bb.0:
	s_load_dwordx4 s[12:15], s[0:1], 0x5c
	s_load_dwordx4 s[16:19], s[0:1], 0x70
	s_abs_i32 s21, s3
	s_ashr_i32 s20, s3, 31
	s_load_dwordx2 s[36:37], s[0:1], 0x30
	s_load_dwordx4 s[24:27], s[0:1], 0x48
	s_waitcnt lgkmcnt(0)
	s_abs_i32 s28, s13
	v_cvt_f32_u32_e32 v1, s28
	s_sub_i32 s22, 0, s28
	s_ashr_i32 s29, s13, 31
	s_xor_b32 s20, s20, s29
	v_rcp_iflag_f32_e32 v1, v1
	s_load_dwordx8 s[4:11], s[0:1], 0x0
	v_lshrrev_b32_e32 v42, 6, v0
	v_bfe_u32 v43, v0, 4, 2
	v_mul_f32_e32 v1, 0x4f7ffffe, v1
	v_cvt_u32_f32_e32 v1, v1
	v_lshlrev_b32_e32 v40, 4, v42
	v_lshlrev_b32_e32 v2, 2, v43
	v_and_b32_e32 v41, 63, v0
	v_readfirstlane_b32 s23, v1
	s_mul_i32 s22, s22, s23
	s_mul_hi_u32 s22, s23, s22
	s_add_i32 s23, s23, s22
	s_mul_hi_u32 s22, s21, s23
	s_mul_i32 s23, s22, s28
	s_sub_i32 s21, s21, s23
	s_add_i32 s30, s22, 1
	s_sub_i32 s23, s21, s28
	s_cmp_ge_u32 s21, s28
	s_cselect_b32 s22, s30, s22
	s_cselect_b32 s21, s23, s21
	s_add_i32 s23, s22, 1
	s_cmp_ge_u32 s21, s28
	s_cselect_b32 s21, s23, s22
	s_xor_b32 s21, s21, s20
	s_sub_i32 s20, s21, s20
	s_mul_i32 s21, s20, s13
	s_sub_i32 s33, s3, s21
	s_ashr_i32 s21, s20, 31
	s_lshl_b64 s[22:23], s[20:21], 2
	s_add_u32 s24, s24, s22
	s_addc_u32 s25, s25, s23
	s_add_u32 s22, s26, s22
	s_addc_u32 s23, s27, s23
	s_abs_i32 s3, s14
	v_cvt_f32_u32_e32 v1, s3
	s_load_dwordx2 s[34:35], s[24:25], 0x0
	s_sub_i32 s25, 0, s3
	s_load_dword s45, s[22:23], 0x0
	v_rcp_iflag_f32_e32 v1, v1
	v_or_b32_e32 v47, v2, v40
	s_waitcnt lgkmcnt(0)
	s_sub_i32 s43, s35, s34
	s_ashr_i32 s24, s43, 31
	v_mul_f32_e32 v1, 0x4f7ffffe, v1
	v_cvt_u32_f32_e32 v1, v1
	s_lshr_b32 s24, s24, 26
	s_add_i32 s24, s43, s24
	s_ashr_i32 s44, s24, 6
	v_readfirstlane_b32 s26, v1
	s_mul_i32 s25, s25, s26
	s_mul_hi_u32 s25, s26, s25
	s_add_i32 s26, s26, s25
	s_mul_hi_u32 s25, s28, s26
	s_mul_i32 s26, s25, s3
	s_ashr_i32 s24, s14, 31
	s_sub_i32 s26, s28, s26
	s_xor_b32 s24, s29, s24
	s_add_i32 s27, s25, 1
	s_sub_i32 s28, s26, s3
	s_cmp_ge_u32 s26, s3
	s_cselect_b32 s25, s27, s25
	s_cselect_b32 s26, s28, s26
	s_add_i32 s27, s25, 1
	s_cmp_ge_u32 s26, s3
	s_cselect_b32 s3, s27, s25
	s_xor_b32 s3, s3, s24
	s_sub_i32 s3, s3, s24
	s_abs_i32 s24, s3
	v_cvt_f32_u32_e32 v1, s24
	s_load_dwordx2 s[28:29], s[0:1], 0x80
	s_xor_b32 s0, s33, s3
	s_sub_i32 s3, 0, s24
	v_rcp_iflag_f32_e32 v1, v1
	s_abs_i32 s1, s33
	s_ashr_i32 s0, s0, 31
	v_or_b32_e32 v46, 64, v47
	v_mul_f32_e32 v1, 0x4f7ffffe, v1
	v_cvt_u32_f32_e32 v1, v1
	v_mov_b32_e32 v3, 0
	s_mul_hi_i32 s46, s33, s12
	s_mul_i32 s47, s33, s12
	v_readfirstlane_b32 s22, v1
	s_mul_i32 s3, s3, s22
	s_mul_hi_u32 s3, s22, s3
	s_add_i32 s22, s22, s3
	s_mul_hi_u32 s3, s1, s22
	s_mul_i32 s22, s3, s24
	s_sub_i32 s1, s1, s22
	s_add_i32 s22, s3, 1
	s_sub_i32 s23, s1, s24
	s_cmp_ge_u32 s1, s24
	s_cselect_b32 s3, s22, s3
	s_cselect_b32 s1, s23, s1
	s_add_i32 s22, s3, 1
	s_cmp_ge_u32 s1, s24
	s_cselect_b32 s1, s22, s3
	s_xor_b32 s1, s1, s0
	s_sub_i32 s49, s1, s0
	s_lshl_b32 s30, s2, 4
	v_and_b32_e32 v1, 15, v0
	s_cmp_lt_i32 s43, 64
	v_lshrrev_b32_e32 v45, 3, v41
	v_lshlrev_b32_e32 v44, 3, v0
	s_mul_i32 s40, s20, s17
	s_mul_hi_u32 s41, s20, s16
	s_mul_i32 s42, s21, s16
	s_mul_i32 s16, s20, s16
	v_mov_b32_e32 v63, 0
	v_mov_b32_e32 v34, 0
	;; [unrolled: 1-line block ×7, first 2 shown]
	s_cbranch_scc1 .LBB568_18
; %bb.1:
	s_ashr_i32 s51, s33, 31
	s_ashr_i32 s1, s34, 31
	s_add_u32 s0, s47, s34
	s_addc_u32 s1, s46, s1
	s_lshl_b64 s[0:1], s[0:1], 8
	v_and_b32_e32 v49, 56, v44
	s_add_u32 s0, s6, s0
	v_lshl_or_b32 v48, v42, 3, v45
	v_lshlrev_b32_e32 v3, 1, v49
	s_addc_u32 s1, s7, s1
	v_lshl_or_b32 v50, v48, 8, v3
	s_and_b32 s1, s1, 0xffff
	s_mov_b32 s3, 0x20000
	s_movk_i32 s2, 0x4000
	s_movk_i32 s17, 0x80
	v_or_b32_e32 v51, 0x2000, v50
	buffer_load_dwordx4 v[4:7], v50, s[0:3], 0 offen
	buffer_load_dwordx4 v[8:11], v50, s[0:3], s17 offen
	;; [unrolled: 1-line block ×4, first 2 shown]
	v_lshlrev_b32_e32 v20, 3, v48
	v_and_or_b32 v22, v0, 7, v20
	v_and_b32_e32 v20, 0x78, v20
	v_lshlrev_b32_e32 v22, 4, v22
	v_xor_b32_e32 v52, v22, v20
	v_mul_lo_u32 v21, v48, s15
	v_or_b32_e32 v53, 0x1000, v52
	s_cmpk_eq_i32 s15, 0x80
	s_mov_b32 s48, s13
	s_mov_b32 s50, s34
	v_xor_b32_e32 v20, 8, v52
	v_xor_b32_e32 v22, 8, v53
	s_cselect_b64 s[0:1], -1, 0
	s_cmpk_lg_i32 s15, 0x80
	s_waitcnt vmcnt(3)
	ds_write_b64 v52, v[4:5] offset:16384
	ds_write_b64 v20, v[6:7] offset:16384
	s_waitcnt vmcnt(2)
	ds_write_b64 v52, v[8:9] offset:24576
	ds_write_b64 v20, v[10:11] offset:24576
	;; [unrolled: 3-line block ×4, first 2 shown]
	v_lshl_add_u32 v4, v21, 1, v49
	s_cbranch_scc0 .LBB568_3
; %bb.2:
	v_lshlrev_b32_e32 v6, 1, v4
	v_add_lshl_u32 v5, v4, s15, 1
	s_lshl_b32 s22, s15, 7
	v_lshl_or_b32 v3, v48, 9, v3
	s_cbranch_execz .LBB568_4
	s_branch .LBB568_5
.LBB568_3:
                                        ; implicit-def: $vgpr5
                                        ; implicit-def: $vgpr6
                                        ; implicit-def: $sgpr22
	v_lshl_or_b32 v3, v48, 9, v3
.LBB568_4:
	v_or_b32_e32 v5, 0x100, v3
	s_movk_i32 s22, 0x4000
	v_mov_b32_e32 v6, v3
.LBB568_5:
	s_mul_i32 s2, s34, s14
	s_ashr_i32 s52, s49, 31
	s_mul_hi_i32 s3, s34, s14
	s_add_u32 s2, s2, s49
	s_addc_u32 s3, s3, s52
	s_lshl_b64 s[2:3], s[2:3], 8
	s_add_u32 s20, s4, s2
	s_addc_u32 s2, s5, s3
	s_and_b32 s21, s2, 0xffff
	s_mov_b32 s23, 0x20000
	s_movk_i32 s53, 0x80
	buffer_load_dwordx4 v[8:11], v6, s[20:23], 0 offen
	buffer_load_dwordx4 v[12:15], v6, s[20:23], s53 offen
	;; [unrolled: 1-line block ×4, first 2 shown]
	v_and_b32_e32 v5, 6, v0
	v_lshlrev_b32_e32 v7, 2, v1
	v_lshlrev_b32_e32 v24, 3, v1
	v_xor_b32_e32 v26, v48, v5
	v_and_b32_e32 v6, 1, v0
	v_lshl_or_b32 v24, v47, 5, v24
	v_xor_b32_e32 v27, v47, v7
	v_lshlrev_b32_e32 v26, 2, v26
	s_mul_i32 s3, s33, s19
	s_mul_hi_u32 s17, s33, s18
	v_or_b32_e32 v54, 0x9000, v24
	v_or_b32_e32 v55, 0x9800, v24
	v_lshlrev_b32_e32 v24, 1, v27
	v_xor_b32_e32 v27, 0x440, v26
	v_cmp_eq_u32_e32 vcc, 0, v6
	s_add_i32 s21, s41, s40
	s_mul_i32 s20, s51, s18
	v_cndmask_b32_e32 v6, v27, v26, vcc
	s_add_i32 s3, s17, s3
	s_add_i32 s17, s21, s42
	s_mov_b32 s54, 0x1000504
	v_lshlrev_b32_e32 v25, 8, v1
	s_mov_b32 s22, 0x8000
	v_xor_b32_e32 v7, v46, v7
	v_lshl_or_b32 v5, v5, 10, v6
	s_add_i32 s3, s3, s20
	s_lshl_b64 s[20:21], s[16:17], 2
	s_mov_b32 s55, 0x3020706
	s_mul_i32 s2, s33, s18
	v_lshlrev_b32_e32 v7, 1, v7
	v_or3_b32 v56, v24, v25, s22
	v_xor_b32_e32 v6, 8, v5
	v_xor_b32_e32 v24, 24, v5
	;; [unrolled: 1-line block ×4, first 2 shown]
	s_add_u32 s17, s10, s20
	v_or3_b32 v57, v7, v25, s22
	v_xor_b32_e32 v7, 16, v5
	v_xor_b32_e32 v25, 32, v5
	;; [unrolled: 1-line block ×3, first 2 shown]
	v_add_u32_e32 v6, 0x80, v6
	v_add_u32_e32 v24, 0x80, v24
	;; [unrolled: 1-line block ×4, first 2 shown]
	s_addc_u32 s20, s11, s21
	s_lshl_b64 s[2:3], s[2:3], 2
	s_add_u32 s2, s17, s2
	s_movk_i32 s17, 0xf8
	s_addc_u32 s3, s20, s3
	s_ashr_i32 s31, s30, 31
	s_lshl_b32 s26, s15, 7
	s_lshl_b64 s[20:21], s[30:31], 8
	s_add_u32 s20, s36, s20
	s_addc_u32 s21, s37, s21
	v_mov_b32_e32 v35, 0
	s_mov_b32 s56, 0
	v_add_u32_e32 v76, v40, v2
	v_mov_b32_e32 v64, v35
	v_mov_b32_e32 v66, v35
	;; [unrolled: 1-line block ×6, first 2 shown]
	s_waitcnt vmcnt(1)
	v_perm_b32 v29, v8, v16, s54
	s_waitcnt vmcnt(0)
	v_perm_b32 v30, v12, v20, s54
	v_perm_b32 v8, v8, v16, s55
	;; [unrolled: 1-line block ×15, first 2 shown]
	ds_write2st64_b32 v5, v29, v30 offset1:32
	ds_write2st64_b32 v6, v8, v12 offset1:32
	ds_write2st64_b32 v7, v16, v20 offset0:1 offset1:33
	ds_write2st64_b32 v24, v9, v13 offset0:1 offset1:33
	;; [unrolled: 1-line block ×6, first 2 shown]
	v_or_b32_e32 v5, v40, v1
	v_lshlrev_b32_e32 v5, 3, v5
	v_lshrrev_b32_e32 v7, 5, v41
	v_and_or_b32 v7, v5, s17, v7
	v_lshlrev_b32_e32 v7, 4, v7
	v_lshlrev_b32_e32 v8, 11, v42
	v_and_b32_e32 v5, 0x78, v5
	v_or_b32_e32 v12, 32, v7
	v_and_b32_e32 v6, 0x1000, v8
	v_lshrrev_b32_e32 v10, 1, v0
	v_xor_b32_e32 v12, v12, v5
	v_and_b32_e32 v11, 8, v10
	v_or_b32_e32 v12, v12, v6
	v_xor_b32_e32 v9, v7, v5
	v_xor_b32_e32 v60, v12, v11
	v_or_b32_e32 v12, 64, v7
	v_or_b32_e32 v7, 0x60, v7
	;; [unrolled: 1-line block ×3, first 2 shown]
	v_xor_b32_e32 v12, v12, v5
	v_xor_b32_e32 v5, v7, v5
	;; [unrolled: 1-line block ×3, first 2 shown]
	v_and_b32_e32 v9, 0x78, v44
	v_or_b32_e32 v5, v5, v6
	v_lshl_or_b32 v9, v43, 7, v9
	v_or_b32_e32 v12, v12, v6
	v_xor_b32_e32 v65, v5, v11
	v_lshlrev_b32_e32 v5, 1, v1
	v_or_b32_e32 v59, 0x9000, v9
	v_xor_b32_e32 v62, v12, v11
	v_or_b32_e32 v67, 0x9800, v9
	v_lshlrev_b32_e32 v9, 1, v4
	v_add_lshl_u32 v11, v4, s15, 1
	v_lshrrev_b32_e32 v4, 4, v0
	v_or_b32_e32 v13, 1, v5
	v_xor_b32_e32 v5, v4, v5
	v_xor_b32_e32 v13, v13, v4
	v_lshlrev_b32_e32 v5, 3, v5
	v_lshlrev_b32_e32 v34, 8, v4
	;; [unrolled: 1-line block ×3, first 2 shown]
	v_or3_b32 v68, v5, v34, s22
	v_or3_b32 v69, v4, v34, s22
	v_lshl_add_u64 v[4:5], s[20:21], 0, v[34:35]
	v_lshlrev_b32_e32 v34, 4, v1
	s_movk_i32 s17, 0xff
	v_lshlrev_b32_e32 v15, 3, v42
	v_and_b32_e32 v10, 24, v10
	v_lshl_add_u64 v[36:37], v[4:5], 0, v[34:35]
	v_and_b32_e32 v5, 8, v0
	v_cmp_lt_u32_e32 vcc, s17, v0
	v_xor_b32_e32 v16, v15, v10
	v_or_b32_e32 v17, 0x440, v16
	v_cndmask_b32_e64 v14, 0, 1, vcc
	v_cmp_eq_u32_e32 vcc, 0, v5
	v_and_b32_e32 v4, 7, v0
	v_lshlrev_b32_e32 v13, 3, v4
	v_cndmask_b32_e32 v5, v17, v16, vcc
	v_lshlrev_b32_e32 v4, 7, v4
	v_or_b32_e32 v5, v5, v8
	v_xad_u32 v70, v5, v13, v4
	v_or_b32_e32 v5, 32, v10
	v_xor_b32_e32 v5, v15, v5
	v_or_b32_e32 v16, 0x440, v5
	v_cndmask_b32_e32 v5, v16, v5, vcc
	v_or_b32_e32 v5, v5, v8
	v_xad_u32 v71, v5, v13, v4
	v_or_b32_e32 v5, 64, v10
	v_xor_b32_e32 v5, v15, v5
	v_xor_b32_e32 v16, 0x440, v5
	v_cndmask_b32_e32 v5, v16, v5, vcc
	v_or_b32_e32 v5, v5, v8
	v_xad_u32 v72, v5, v13, v4
	v_or_b32_e32 v5, 0x60, v10
	v_xor_b32_e32 v5, v15, v5
	v_xor_b32_e32 v10, 0x440, v5
	v_or_b32_e32 v6, s30, v1
	v_cndmask_b32_e32 v5, v10, v5, vcc
	v_ashrrev_i32_e32 v7, 31, v6
	v_or_b32_e32 v5, v5, v8
	v_lshl_add_u64 v[6:7], v[6:7], 1, s[8:9]
	v_or_b32_e32 v12, 0x100, v3
	v_lshlrev_b32_e32 v14, 13, v14
	v_xad_u32 v73, v5, v13, v4
	v_lshlrev_b32_e32 v34, 8, v47
	v_cndmask_b32_e64 v74, v9, v3, s[0:1]
	v_cndmask_b32_e64 v75, v11, v12, s[0:1]
	v_lshl_add_u64 v[38:39], v[6:7], 0, v[34:35]
	s_mov_b32 s17, 0x7060302
	s_movk_i32 s22, 0x4000
	v_add_u32_e32 v77, v14, v70
	v_add_u32_e32 v78, v14, v71
	;; [unrolled: 1-line block ×4, first 2 shown]
	v_mov_b32_e32 v34, v35
	s_waitcnt lgkmcnt(0)
	s_barrier
.LBB568_6:                              ; =>This Inner Loop Header: Depth=1
	s_add_i32 s31, s56, 1
	s_cmp_lt_i32 s31, s44
	s_mov_b64 s[24:25], 0
	s_cselect_b64 s[38:39], -1, 0
	s_cmp_ge_i32 s31, s44
	s_mov_b64 s[20:21], 0
	s_cbranch_scc1 .LBB568_8
; %bb.7:                                ;   in Loop: Header=BB568_6 Depth=1
	s_add_i32 s0, s50, 64
	s_ashr_i32 s1, s0, 31
	s_add_u32 s0, s47, s0
	s_addc_u32 s1, s46, s1
	s_lshl_b64 s[0:1], s[0:1], 8
	s_add_u32 s20, s6, s0
	s_addc_u32 s21, s7, s1
.LBB568_8:                              ;   in Loop: Header=BB568_6 Depth=1
	v_cndmask_b32_e64 v2, 0, 1, s[38:39]
	v_cmp_ne_u32_e64 s[0:1], 1, v2
	s_andn2_b64 vcc, exec, s[38:39]
	s_cbranch_vccnz .LBB568_10
; %bb.9:                                ;   in Loop: Header=BB568_6 Depth=1
	s_add_i32 s24, s50, 64
	s_mul_hi_i32 s25, s24, s14
	s_mul_i32 s24, s24, s14
	s_add_u32 s24, s24, s49
	s_addc_u32 s25, s25, s52
	s_lshl_b64 s[24:25], s[24:25], 8
	s_add_u32 s24, s4, s24
	s_addc_u32 s25, s5, s25
.LBB568_10:                             ;   in Loop: Header=BB568_6 Depth=1
	v_perm_b32 v3, v82, v66, s17
	v_perm_b32 v2, v64, v35, s17
	v_perm_b32 v5, v81, v63, s17
	v_perm_b32 v4, v34, v61, s17
	ds_write_b64 v54, v[2:3]
	ds_write_b64 v55, v[4:5]
	;; [unrolled: 1-line block ×4, first 2 shown]
	s_waitcnt lgkmcnt(0)
	s_barrier
	ds_read_b64 v[10:11], v58 offset:16384
	ds_read_b64 v[12:13], v60 offset:16384
	ds_read2st64_b64 v[2:5], v59 offset1:1
	s_waitcnt lgkmcnt(0)
	v_mfma_f32_16x16x16_bf16 a[0:3], v[10:11], v[2:3], 0
	ds_read2st64_b64 v[6:9], v59 offset0:2 offset1:3
	ds_read_b64 v[14:15], v62 offset:16384
	ds_read_b64 v[2:3], v65 offset:16384
	s_add_i32 s27, s50, 63
	v_mfma_f32_16x16x16_bf16 a[0:3], v[12:13], v[4:5], a[0:3]
	s_ashr_i32 s38, s27, 31
	s_mul_i32 s39, s27, s29
	s_mul_hi_u32 s57, s27, s28
	s_waitcnt lgkmcnt(1)
	v_mfma_f32_16x16x16_bf16 a[0:3], v[14:15], v[6:7], a[0:3]
	s_add_i32 s39, s57, s39
	s_mul_i32 s38, s38, s28
	s_add_i32 s39, s39, s38
	s_mul_i32 s38, s27, s28
	s_waitcnt lgkmcnt(0)
	v_mfma_f32_16x16x16_bf16 a[0:3], v[2:3], v[8:9], a[0:3]
	s_lshl_b64 s[38:39], s[38:39], 2
	s_add_u32 s38, s2, s38
	s_addc_u32 s39, s3, s39
	s_and_b64 vcc, exec, s[0:1]
	v_mov_b32_e32 v85, 0
	v_mov_b32_e32 v84, 0
	;; [unrolled: 1-line block ×19, first 2 shown]
	s_cbranch_vccnz .LBB568_12
; %bb.11:                               ;   in Loop: Header=BB568_6 Depth=1
	s_and_b32 s21, s21, 0xffff
	buffer_load_dwordx4 v[14:17], v50, s[20:23], 0 offen
	buffer_load_dwordx4 v[10:13], v50, s[20:23], s53 offen
	;; [unrolled: 1-line block ×4, first 2 shown]
	v_mov_b32_e32 v84, v52
	v_mov_b32_e32 v83, v53
.LBB568_12:                             ;   in Loop: Header=BB568_6 Depth=1
	s_waitcnt vmcnt(3)
	v_add_u32_e32 v22, s50, v76
	s_waitcnt vmcnt(1)
	v_ashrrev_i32_e32 v18, 31, v22
	v_mul_lo_u32 v20, v18, s28
	v_mul_lo_u32 v21, v22, s29
	v_mad_u64_u32 v[18:19], s[20:21], v22, s28, 0
	v_add3_u32 v19, v19, v21, v20
	v_lshl_add_u64 v[18:19], v[18:19], 2, s[2:3]
	global_load_dword v87, v[18:19], off
	v_add_u32_e32 v18, 1, v22
	v_ashrrev_i32_e32 v19, 31, v18
	v_mul_lo_u32 v20, v19, s28
	v_mul_lo_u32 v21, v18, s29
	v_mad_u64_u32 v[18:19], s[20:21], v18, s28, 0
	v_add3_u32 v19, v19, v21, v20
	v_add_u32_e32 v20, 2, v22
	v_ashrrev_i32_e32 v21, 31, v20
	v_mul_lo_u32 v23, v21, s28
	v_mul_lo_u32 v24, v20, s29
	v_mad_u64_u32 v[20:21], s[20:21], v20, s28, 0
	v_add_u32_e32 v22, 3, v22
	v_add3_u32 v21, v21, v24, v23
	v_ashrrev_i32_e32 v23, 31, v22
	v_mul_lo_u32 v26, v23, s28
	v_mul_lo_u32 v27, v22, s29
	v_mad_u64_u32 v[22:23], s[20:21], v22, s28, 0
	s_ashr_i32 s21, s50, 31
	s_add_u32 s20, s47, s50
	s_addc_u32 s21, s46, s21
	s_lshl_b64 s[20:21], s[20:21], 8
	v_lshl_add_u64 v[18:19], v[18:19], 2, s[2:3]
	v_lshl_add_u64 v[24:25], v[38:39], 0, s[20:21]
	v_add3_u32 v23, v23, v27, v26
	v_lshl_add_u64 v[20:21], v[20:21], 2, s[2:3]
	global_load_ushort v94, v[24:25], off
	global_load_ushort v95, v[24:25], off offset:256
	global_load_ushort v96, v[24:25], off offset:512
	;; [unrolled: 1-line block ×3, first 2 shown]
	v_lshl_add_u64 v[22:23], v[22:23], 2, s[2:3]
	global_load_dword v98, v[18:19], off
	global_load_dword v99, v[20:21], off
	;; [unrolled: 1-line block ×3, first 2 shown]
	s_load_dword s20, s[38:39], 0x0
	ds_read2st64_b64 v[26:29], v67 offset1:1
	ds_read2st64_b64 v[30:33], v67 offset0:2 offset1:3
	ds_read_b64 v[24:25], v58 offset:24576
	ds_read_b64 v[88:89], v60 offset:24576
	ds_read_b64 v[90:91], v62 offset:24576
	ds_read_b64 v[92:93], v65 offset:24576
	s_waitcnt lgkmcnt(0)
	v_mfma_f32_16x16x16_bf16 a[0:3], v[24:25], v[26:27], a[0:3]
	v_mov_b32_e32 v86, 0
	v_mov_b32_e32 v18, 0
	v_mov_b32_e32 v19, 0
	v_mfma_f32_16x16x16_bf16 a[0:3], v[88:89], v[28:29], a[0:3]
	v_mov_b32_e32 v20, 0
	v_mov_b32_e32 v21, 0
	v_mov_b32_e32 v22, 0
	v_mfma_f32_16x16x16_bf16 a[0:3], v[90:91], v[30:31], a[0:3]
	v_mov_b32_e32 v23, 0
	v_mov_b32_e32 v24, 0
	v_mov_b32_e32 v25, 0
	v_mfma_f32_16x16x16_bf16 a[0:3], v[92:93], v[32:33], a[0:3]
	v_mov_b32_e32 v26, 0
	v_mov_b32_e32 v27, 0
	v_mov_b32_e32 v28, 0
	v_mov_b32_e32 v29, 0
	v_mov_b32_e32 v30, 0
	;; [unrolled: 1-line block ×3, first 2 shown]
	s_and_b64 vcc, exec, s[0:1]
	v_accvgpr_read_b32 v89, a1
	v_accvgpr_read_b32 v33, a3
	;; [unrolled: 1-line block ×4, first 2 shown]
	s_waitcnt vmcnt(7)
	v_sub_f32_e32 v87, s20, v87
	s_waitcnt vmcnt(6)
	v_lshlrev_b32_e32 v90, 16, v94
	v_exp_f32_e32 v94, v87
	s_waitcnt vmcnt(4)
	v_lshlrev_b32_e32 v92, 16, v96
	s_waitcnt vmcnt(3)
	v_lshlrev_b32_e32 v93, 16, v97
	s_waitcnt vmcnt(2)
	v_sub_f32_e32 v87, s20, v98
	s_waitcnt vmcnt(1)
	v_sub_f32_e32 v96, s20, v99
	;; [unrolled: 2-line block ×3, first 2 shown]
	v_lshlrev_b32_e32 v91, 16, v95
	v_exp_f32_e32 v95, v87
	v_exp_f32_e32 v96, v96
	;; [unrolled: 1-line block ×3, first 2 shown]
	v_pk_add_f32 v[88:89], v[90:91], v[88:89] neg_lo:[0,1] neg_hi:[0,1]
	v_pk_add_f32 v[32:33], v[92:93], v[32:33] neg_lo:[0,1] neg_hi:[0,1]
	v_pk_mul_f32 v[88:89], v[94:95], v[88:89]
	v_pk_mul_f32 v[32:33], v[96:97], v[32:33]
	s_nop 0
	v_perm_b32 v33, v33, v32, s17
	v_perm_b32 v32, v89, v88, s17
	ds_write_b64 v55, v[32:33]
	v_mov_b32_e32 v32, 0
	v_mov_b32_e32 v33, 0
	s_cbranch_vccnz .LBB568_14
; %bb.13:                               ;   in Loop: Header=BB568_6 Depth=1
	s_and_b32 s25, s25, 0xffff
	s_mov_b32 s27, s23
	buffer_load_dwordx4 v[30:33], v74, s[24:27], 0 offen
	buffer_load_dwordx4 v[22:25], v74, s[24:27], s53 offen
	;; [unrolled: 1-line block ×4, first 2 shown]
	v_mov_b32_e32 v85, v49
	v_mov_b32_e32 v86, v48
.LBB568_14:                             ;   in Loop: Header=BB568_6 Depth=1
	s_waitcnt lgkmcnt(0)
	s_barrier
	ds_read_b64 v[96:97], v77
	ds_read2st64_b64 v[88:91], v67 offset1:1
	ds_read2st64_b64 v[92:95], v67 offset0:2 offset1:3
	ds_read_b64 v[98:99], v78
	ds_read_b64 v[100:101], v79
	;; [unrolled: 1-line block ×3, first 2 shown]
	s_waitcnt lgkmcnt(4)
	v_mfma_f32_16x16x16_bf16 a[0:3], v[96:97], v[88:89], 0
	ds_read_b64 v[96:97], v70 offset:8192
	ds_read_b64 v[104:105], v71 offset:8192
	s_add_i32 s21, s45, s56
	s_mul_hi_i32 s25, s21, s48
	s_waitcnt lgkmcnt(1)
	v_mfma_f32_16x16x16_bf16 a[4:7], v[96:97], v[88:89], 0
	s_mul_i32 s21, s21, s48
	s_add_u32 s24, s21, s33
	s_addc_u32 s25, s25, s51
	v_mfma_f32_16x16x16_bf16 a[0:3], v[98:99], v[90:91], a[0:3]
	ds_read_b64 v[96:97], v68
	ds_read_b64 v[98:99], v69
	ds_read_b64 v[88:89], v72 offset:8192
	s_lshl_b64 s[24:25], s[24:25], 15
	v_mfma_f32_16x16x16_bf16 a[0:3], v[100:101], v[92:93], a[0:3]
	ds_read_b64 v[100:101], v73 offset:8192
	s_and_b64 vcc, exec, s[0:1]
	s_waitcnt lgkmcnt(4)
	v_mfma_f32_16x16x16_bf16 a[4:7], v[104:105], v[90:91], a[4:7]
	s_waitcnt lgkmcnt(1)
	v_mfma_f32_16x16x16_bf16 a[4:7], v[88:89], v[92:93], a[4:7]
	v_lshl_add_u64 v[88:89], v[36:37], 0, s[24:25]
	global_store_dwordx4 v[88:89], v[96:99], off
	v_mfma_f32_16x16x16_bf16 a[0:3], v[102:103], v[94:95], a[0:3]
	s_waitcnt lgkmcnt(0)
	v_mfma_f32_16x16x16_bf16 a[4:7], v[100:101], v[94:95], a[4:7]
	s_cbranch_vccnz .LBB568_16
; %bb.15:                               ;   in Loop: Header=BB568_6 Depth=1
	v_lshrrev_b32_e32 v87, 3, v85
	v_and_b32_e32 v87, 6, v87
	v_xor_b32_e32 v86, v87, v86
	v_lshlrev_b32_e32 v86, 2, v86
	v_and_b32_e32 v85, 8, v85
	v_xor_b32_e32 v88, 0x440, v86
	v_cmp_eq_u32_e32 vcc, 0, v85
	s_barrier
	s_nop 0
	v_cndmask_b32_e32 v85, v88, v86, vcc
	v_lshl_or_b32 v85, v87, 10, v85
	s_waitcnt vmcnt(2)
	v_perm_b32 v86, v30, v26, s54
	s_waitcnt vmcnt(1)
	v_perm_b32 v87, v22, v18, s54
	ds_write2st64_b32 v85, v86, v87 offset1:32
	v_xor_b32_e32 v86, 8, v85
	v_perm_b32 v26, v30, v26, s55
	v_perm_b32 v18, v22, v18, s55
	v_add_u32_e32 v22, 0x80, v86
	ds_write2st64_b32 v22, v26, v18 offset1:32
	v_xor_b32_e32 v18, 16, v85
	v_perm_b32 v22, v31, v27, s54
	v_perm_b32 v26, v23, v19, s54
	ds_write2st64_b32 v18, v22, v26 offset0:1 offset1:33
	v_xor_b32_e32 v18, 24, v85
	v_perm_b32 v22, v31, v27, s55
	v_perm_b32 v19, v23, v19, s55
	v_add_u32_e32 v18, 0x80, v18
	ds_write2st64_b32 v18, v22, v19 offset0:1 offset1:33
	v_xor_b32_e32 v18, 32, v85
	v_perm_b32 v19, v32, v28, s54
	v_perm_b32 v22, v24, v20, s54
	ds_write2st64_b32 v18, v19, v22 offset0:2 offset1:34
	v_xor_b32_e32 v18, 40, v85
	v_perm_b32 v19, v32, v28, s55
	v_perm_b32 v20, v24, v20, s55
	v_add_u32_e32 v18, 0x80, v18
	ds_write2st64_b32 v18, v19, v20 offset0:2 offset1:34
	;; [unrolled: 9-line block ×3, first 2 shown]
	ds_write_b64 v84, v[14:15] offset:16384
	v_xor_b32_e32 v14, 8, v84
	ds_write_b64 v14, v[16:17] offset:16384
	ds_write_b64 v84, v[10:11] offset:24576
	;; [unrolled: 1-line block ×4, first 2 shown]
	v_xor_b32_e32 v6, 8, v83
	ds_write_b64 v6, v[8:9] offset:16384
	ds_write_b64 v83, v[2:3] offset:24576
	;; [unrolled: 1-line block ×3, first 2 shown]
.LBB568_16:                             ;   in Loop: Header=BB568_6 Depth=1
	v_exp_f32_e32 v2, s20
	s_nop 2
	v_accvgpr_read_b32 v3, a0
	v_accvgpr_read_b32 v4, a1
	s_add_i32 s50, s50, 64
	v_fma_f32 v35, v35, v2, v3
	v_accvgpr_read_b32 v3, a2
	v_fma_f32 v66, v66, v2, v3
	v_accvgpr_read_b32 v3, a4
	;; [unrolled: 2-line block ×6, first 2 shown]
	v_fmac_f32_e32 v4, v82, v2
	s_cmp_eq_u32 s44, s31
	v_fmac_f32_e32 v3, v81, v2
	s_cbranch_scc1 .LBB568_18
; %bb.17:                               ;   in Loop: Header=BB568_6 Depth=1
	s_mov_b32 s56, s31
	v_mov_b32_e32 v82, v4
	v_mov_b32_e32 v81, v3
	s_branch .LBB568_6
.LBB568_18:
	s_lshl_b32 s0, s44, 6
	s_sub_i32 s43, s43, s0
	s_cmp_gt_i32 s43, 0
	s_cbranch_scc0 .LBB568_75
; %bb.19:
	s_add_i32 s34, s0, s34
	s_ashr_i32 s2, s34, 31
	s_cmpk_lg_i32 s15, 0x80
	s_cselect_b64 s[26:27], -1, 0
	s_and_b64 vcc, exec, s[26:27]
	s_cbranch_vccz .LBB568_21
; %bb.20:
	s_mul_i32 s1, s34, s14
	s_ashr_i32 s3, s49, 31
	s_mul_hi_i32 s0, s34, s14
	s_add_u32 s38, s1, s49
	s_addc_u32 s39, s0, s3
	s_cbranch_execz .LBB568_22
	s_branch .LBB568_23
.LBB568_21:
                                        ; implicit-def: $sgpr38_sgpr39
.LBB568_22:
	s_mul_i32 s1, s49, s12
	s_mul_hi_i32 s0, s49, s12
	s_add_u32 s38, s1, s34
	s_addc_u32 s39, s0, s2
.LBB568_23:
	s_add_i32 s3, s44, s45
	s_ashr_i32 s12, s33, 31
	s_add_u32 s0, s47, s34
	s_addc_u32 s1, s46, s2
	s_mov_b32 s2, 0x7060302
	v_lshlrev_b32_e32 v6, 3, v1
	v_perm_b32 v5, v4, v66, s2
	v_perm_b32 v4, v64, v35, s2
	;; [unrolled: 1-line block ×4, first 2 shown]
	v_lshlrev_b32_e32 v34, 2, v1
	v_lshl_or_b32 v6, v47, 5, v6
	s_lshl_b64 s[24:25], s[0:1], 8
	ds_write2st64_b64 v6, v[4:5], v[2:3] offset0:72 offset1:76
	v_xor_b32_e32 v6, v47, v34
	v_lshlrev_b32_e32 v7, 8, v1
	s_add_u32 s0, s6, s24
	v_lshl_or_b32 v6, v6, 1, v7
	s_addc_u32 s1, s7, s25
	ds_write_b64 v6, v[4:5] offset:32768
	v_xor_b32_e32 v4, v46, v34
	s_mul_hi_i32 s6, s3, s13
	s_mul_i32 s3, s3, s13
	v_lshl_or_b32 v4, v4, 1, v7
	s_add_u32 s2, s3, s33
	ds_write_b64 v4, v[2:3] offset:32768
	s_addc_u32 s3, s6, s12
	v_lshlrev_b32_e32 v3, 1, v1
	v_lshrrev_b32_e32 v2, 4, v0
	s_ashr_i32 s31, s30, 31
	s_lshl_b64 s[2:3], s[2:3], 15
	v_or_b32_e32 v4, 1, v3
	s_add_u32 s6, s36, s2
	v_xor_b32_e32 v3, v2, v3
	v_xor_b32_e32 v4, v4, v2
	v_lshlrev_b32_e32 v6, 8, v2
	s_addc_u32 s7, s37, s3
	s_lshl_b64 s[2:3], s[30:31], 8
	v_lshl_or_b32 v2, v3, 3, v6
	v_lshl_or_b32 v4, v4, 3, v6
	s_waitcnt lgkmcnt(0)
	s_barrier
	s_add_u32 s2, s6, s2
	ds_read_b64 v[2:3], v2 offset:32768
	ds_read_b64 v[4:5], v4 offset:32768
	s_addc_u32 s3, s7, s3
	v_mov_b32_e32 v7, 0
	s_cmp_lg_u32 s43, 64
	v_lshl_add_u64 v[8:9], s[2:3], 0, v[6:7]
	v_lshlrev_b32_e32 v6, 4, v1
	s_cselect_b64 s[6:7], -1, 0
	v_lshl_or_b32 v35, v42, 3, v45
	s_mov_b32 s20, 0
	v_lshl_add_u64 v[6:7], v[8:9], 0, v[6:7]
	s_waitcnt vmcnt(1)
	v_or_b32_e32 v19, 32, v35
	v_and_b32_e32 v18, 56, v44
	s_and_b64 vcc, exec, s[6:7]
	s_waitcnt lgkmcnt(0)
	global_store_dwordx4 v[6:7], v[2:5], off
	s_cbranch_vccz .LBB568_29
; %bb.24:
	s_mov_b32 s21, s20
	s_mov_b32 s22, s20
	;; [unrolled: 1-line block ×3, first 2 shown]
	v_mov_b64_e32 v[6:7], s[20:21]
	v_mov_b64_e32 v[8:9], s[22:23]
	;; [unrolled: 1-line block ×3, first 2 shown]
	v_cmp_gt_i32_e32 vcc, s43, v35
	v_mov_b64_e32 v[4:5], v[8:9]
	s_and_saveexec_b64 s[2:3], vcc
	s_cbranch_execz .LBB568_26
; %bb.25:
	v_lshlrev_b32_e32 v2, 8, v35
	v_mov_b32_e32 v3, 0
	v_lshl_add_u64 v[4:5], s[0:1], 0, v[2:3]
	v_lshlrev_b32_e32 v2, 1, v18
	v_lshl_add_u64 v[10:11], v[4:5], 0, v[2:3]
	global_load_dwordx4 v[6:9], v[10:11], off
	global_load_dwordx4 v[2:5], v[10:11], off offset:128
.LBB568_26:
	s_or_b64 exec, exec, s[2:3]
	s_mov_b32 s21, s20
	s_mov_b32 s22, s20
	;; [unrolled: 1-line block ×3, first 2 shown]
	v_mov_b64_e32 v[14:15], s[20:21]
	v_mov_b64_e32 v[16:17], s[22:23]
	;; [unrolled: 1-line block ×3, first 2 shown]
	v_cmp_gt_i32_e32 vcc, s43, v19
	v_lshlrev_b32_e32 v20, 7, v19
	v_mov_b64_e32 v[12:13], v[16:17]
	s_and_saveexec_b64 s[2:3], vcc
	s_cbranch_execz .LBB568_28
; %bb.27:
	v_lshlrev_b32_e32 v10, 1, v20
	v_mov_b32_e32 v11, 0
	v_lshl_add_u64 v[12:13], s[0:1], 0, v[10:11]
	v_lshlrev_b32_e32 v10, 1, v18
	v_lshl_add_u64 v[22:23], v[12:13], 0, v[10:11]
	global_load_dwordx4 v[14:17], v[22:23], off
	global_load_dwordx4 v[10:13], v[22:23], off offset:128
.LBB568_28:
	s_or_b64 exec, exec, s[2:3]
	v_lshrrev_b32_e32 v21, 3, v18
	v_lshlrev_b32_e32 v22, 3, v35
	v_or_b32_e32 v21, v22, v21
	v_lshlrev_b32_e32 v21, 4, v21
	v_and_b32_e32 v22, 0x78, v22
	v_xor_b32_e32 v21, v21, v22
	s_branch .LBB568_31
.LBB568_29:
                                        ; implicit-def: $vgpr21
                                        ; implicit-def: $vgpr20
                                        ; implicit-def: $vgpr6_vgpr7_vgpr8_vgpr9
                                        ; implicit-def: $vgpr2_vgpr3_vgpr4_vgpr5
                                        ; implicit-def: $vgpr14_vgpr15_vgpr16_vgpr17
                                        ; implicit-def: $vgpr10_vgpr11_vgpr12_vgpr13
	s_cbranch_execz .LBB568_31
; %bb.30:
	s_waitcnt vmcnt(0)
	v_lshlrev_b32_e32 v2, 1, v18
	v_lshl_or_b32 v20, v35, 8, v2
	s_and_b32 s1, s1, 0xffff
	s_mov_b32 s3, 0x20000
	s_movk_i32 s2, 0x4000
	v_lshl_or_b32 v21, v19, 8, v2
	s_movk_i32 s13, 0x80
	buffer_load_dwordx4 v[6:9], v20, s[0:3], 0 offen
	buffer_load_dwordx4 v[2:5], v20, s[0:3], s13 offen
	;; [unrolled: 1-line block ×4, first 2 shown]
	v_lshrrev_b32_e32 v20, 3, v18
	v_lshlrev_b32_e32 v21, 3, v35
	v_or_b32_e32 v20, v21, v20
	v_lshlrev_b32_e32 v20, 4, v20
	v_and_b32_e32 v21, 0x78, v21
	v_xor_b32_e32 v21, v20, v21
	v_lshlrev_b32_e32 v20, 7, v19
.LBB568_31:
	s_lshl_b64 s[0:1], s[38:39], 8
	s_add_u32 s4, s4, s0
	s_movk_i32 s0, 0x1000
	v_and_or_b32 v19, v20, s0, v21
	s_waitcnt vmcnt(1)
	ds_write_b64 v21, v[6:7] offset:16384
	v_xor_b32_e32 v6, 8, v21
	ds_write_b64 v6, v[8:9] offset:16384
	s_waitcnt vmcnt(0)
	ds_write_b64 v21, v[2:3] offset:24576
	ds_write_b64 v6, v[4:5] offset:24576
	;; [unrolled: 1-line block ×3, first 2 shown]
	v_xor_b32_e32 v2, 8, v19
	ds_write_b64 v2, v[16:17] offset:16384
	ds_write_b64 v19, v[10:11] offset:24576
	;; [unrolled: 1-line block ×3, first 2 shown]
	v_or_b32_e32 v2, v40, v1
	v_lshlrev_b32_e32 v2, 3, v2
	v_lshrrev_b32_e32 v4, 5, v41
	s_movk_i32 s14, 0xf8
	v_and_or_b32 v4, v2, s14, v4
	v_lshlrev_b32_e32 v3, 11, v42
	v_lshlrev_b32_e32 v12, 4, v4
	v_and_b32_e32 v13, 0x78, v2
	v_and_b32_e32 v14, 0x1000, v3
	v_lshlrev_b32_e32 v3, 2, v0
	v_xor_b32_e32 v2, v12, v13
	v_lshrrev_b32_e32 v4, 1, v41
	v_and_b32_e32 v3, 60, v3
	v_or_b32_e32 v2, v2, v14
	v_and_b32_e32 v15, 8, v4
	v_xor_b32_e32 v26, v2, v15
	v_lshl_or_b32 v2, v43, 6, v3
	v_lshlrev_b32_e32 v19, 1, v2
	v_or_b32_e32 v2, 32, v12
	v_xor_b32_e32 v2, v2, v13
	s_waitcnt lgkmcnt(0)
	s_barrier
	ds_read_b64 v[10:11], v26 offset:16384
	v_or_b32_e32 v2, v2, v14
	v_xor_b32_e32 v27, v2, v15
	v_or_b32_e32 v2, 64, v12
	v_xor_b32_e32 v2, v2, v13
	v_or_b32_e32 v2, v2, v14
	v_or_b32_e32 v12, 0x60, v12
	v_xor_b32_e32 v28, v2, v15
	ds_read2st64_b64 v[2:5], v19 offset0:72 offset1:73
	ds_read2st64_b64 v[6:9], v19 offset0:74 offset1:75
	v_xor_b32_e32 v16, v12, v13
	ds_read_b64 v[12:13], v27 offset:16384
	s_addc_u32 s5, s5, s1
	s_add_i32 s0, s41, s40
	s_waitcnt lgkmcnt(2)
	v_mfma_f32_16x16x16_bf16 a[0:3], v[10:11], v[2:3], 0
	s_add_i32 s2, s35, -1
	s_add_i32 s17, s0, s42
	s_mul_i32 s0, s33, s19
	s_mul_hi_u32 s1, s33, s18
	s_add_i32 s0, s1, s0
	s_mul_i32 s1, s12, s18
	s_ashr_i32 s3, s2, 31
	s_mul_i32 s12, s2, s29
	s_mul_hi_u32 s13, s2, s28
	s_add_i32 s12, s13, s12
	s_mul_i32 s3, s3, s28
	v_or_b32_e32 v14, v16, v14
	s_add_i32 s1, s0, s1
	s_add_i32 s3, s12, s3
	s_lshl_b64 s[12:13], s[16:17], 2
	v_xor_b32_e32 v36, v14, v15
	ds_read_b64 v[14:15], v28 offset:16384
	ds_read_b64 v[16:17], v36 offset:16384
	s_waitcnt lgkmcnt(2)
	v_mfma_f32_16x16x16_bf16 a[0:3], v[12:13], v[4:5], a[0:3]
	s_mul_i32 s0, s33, s18
	s_add_u32 s10, s10, s12
	s_addc_u32 s11, s11, s13
	s_lshl_b64 s[0:1], s[0:1], 2
	s_mul_i32 s2, s2, s28
	s_add_u32 s10, s10, s0
	s_addc_u32 s11, s11, s1
	s_lshl_b64 s[0:1], s[2:3], 2
	s_waitcnt lgkmcnt(1)
	v_mfma_f32_16x16x16_bf16 a[0:3], v[14:15], v[6:7], a[0:3]
	s_add_u32 s0, s10, s0
	s_addc_u32 s1, s11, s1
	s_load_dword s12, s[0:1], 0x0
	s_waitcnt lgkmcnt(0)
	v_mfma_f32_16x16x16_bf16 a[0:3], v[16:17], v[8:9], a[0:3]
	s_and_b64 vcc, exec, s[26:27]
	s_cbranch_vccz .LBB568_42
; %bb.32:
	v_lshlrev_b32_e32 v20, 1, v35
	s_and_b64 vcc, exec, s[6:7]
	s_cbranch_vccz .LBB568_43
; %bb.33:
	v_cmp_gt_i32_e32 vcc, s43, v20
	v_mov_b32_e32 v6, 0
	v_mov_b32_e32 v2, 0
	;; [unrolled: 1-line block ×5, first 2 shown]
	s_and_saveexec_b64 s[0:1], vcc
	s_cbranch_execz .LBB568_35
; %bb.34:
	v_mad_i64_i32 v[2:3], s[2:3], s15, v20, 0
	v_lshl_add_u64 v[2:3], v[2:3], 1, s[4:5]
	v_lshlrev_b32_e32 v4, 1, v18
	v_mov_b32_e32 v5, 0
	v_lshl_add_u64 v[2:3], v[2:3], 0, v[4:5]
	global_load_dwordx4 v[2:5], v[2:3], off
.LBB568_35:
	s_or_b64 exec, exec, s[0:1]
	v_or_b32_e32 v21, 1, v20
	v_cmp_gt_i32_e64 s[0:1], s43, v21
	v_mov_b32_e32 v7, 0
	v_mov_b32_e32 v8, 0
	;; [unrolled: 1-line block ×3, first 2 shown]
	s_and_saveexec_b64 s[2:3], s[0:1]
	s_cbranch_execz .LBB568_37
; %bb.36:
	v_mad_i64_i32 v[6:7], s[16:17], s15, v21, 0
	v_lshl_add_u64 v[6:7], v[6:7], 1, s[4:5]
	v_lshlrev_b32_e32 v8, 1, v18
	v_mov_b32_e32 v9, 0
	v_lshl_add_u64 v[6:7], v[6:7], 0, v[8:9]
	global_load_dwordx4 v[6:9], v[6:7], off
.LBB568_37:
	s_or_b64 exec, exec, s[2:3]
	v_mov_b32_e32 v17, 0
	v_mov_b32_e32 v10, 0
	;; [unrolled: 1-line block ×5, first 2 shown]
	s_and_saveexec_b64 s[2:3], vcc
	s_cbranch_execz .LBB568_39
; %bb.38:
	v_mad_i64_i32 v[10:11], s[16:17], s15, v20, 0
	v_lshl_add_u64 v[10:11], v[10:11], 1, s[4:5]
	v_lshlrev_b32_e32 v12, 1, v18
	v_mov_b32_e32 v13, 0
	v_lshl_add_u64 v[10:11], v[10:11], 0, v[12:13]
	global_load_dwordx4 v[10:13], v[10:11], off offset:128
.LBB568_39:
	s_or_b64 exec, exec, s[2:3]
	v_mov_b32_e32 v16, 0
	v_mov_b32_e32 v15, 0
	v_mov_b32_e32 v14, 0
	s_and_saveexec_b64 s[2:3], s[0:1]
	s_cbranch_execz .LBB568_41
; %bb.40:
	v_mad_i64_i32 v[14:15], s[0:1], s15, v21, 0
	v_lshl_add_u64 v[14:15], v[14:15], 1, s[4:5]
	v_lshlrev_b32_e32 v16, 1, v18
	v_mov_b32_e32 v17, 0
	v_lshl_add_u64 v[14:15], v[14:15], 0, v[16:17]
	global_load_dwordx4 v[14:17], v[14:15], off offset:128
.LBB568_41:
	s_or_b64 exec, exec, s[2:3]
	s_branch .LBB568_45
.LBB568_42:
                                        ; implicit-def: $vgpr5
                                        ; implicit-def: $vgpr9
                                        ; implicit-def: $vgpr13
                                        ; implicit-def: $vgpr17
	v_lshrrev_b32_e32 v37, 2, v41
	s_branch .LBB568_46
.LBB568_43:
                                        ; implicit-def: $vgpr5
                                        ; implicit-def: $vgpr9
                                        ; implicit-def: $vgpr13
                                        ; implicit-def: $vgpr17
	s_cbranch_execz .LBB568_45
; %bb.44:
	s_waitcnt vmcnt(0)
	v_mad_u64_u32 v[2:3], s[0:1], v20, s15, v[18:19]
	v_lshlrev_b32_e32 v20, 1, v2
	s_lshl_b32 s2, s15, 7
	s_and_b32 s1, s5, 0xffff
	s_mov_b32 s3, 0x20000
	s_mov_b32 s0, s4
	v_add_lshl_u32 v21, v2, s15, 1
	s_movk_i32 s13, 0x80
	buffer_load_dwordx4 v[2:5], v20, s[0:3], 0 offen
	buffer_load_dwordx4 v[10:13], v20, s[0:3], s13 offen
	buffer_load_dwordx4 v[6:9], v21, s[0:3], 0 offen
	buffer_load_dwordx4 v[14:17], v21, s[0:3], s13 offen
.LBB568_45:
	v_lshrrev_b32_e32 v37, 2, v41
	s_cbranch_execnz .LBB568_58
.LBB568_46:
	s_and_b64 vcc, exec, s[6:7]
	s_cbranch_vccz .LBB568_56
; %bb.47:
	s_waitcnt vmcnt(0)
	v_lshlrev_b32_e32 v7, 1, v35
	v_cmp_gt_i32_e32 vcc, s43, v7
	v_mov_b32_e32 v6, 0
	v_lshlrev_b32_e32 v14, 9, v35
	v_mov_b32_e32 v2, 0
	v_mov_b32_e32 v3, 0
	;; [unrolled: 1-line block ×4, first 2 shown]
	s_and_saveexec_b64 s[0:1], vcc
	s_cbranch_execz .LBB568_49
; %bb.48:
	v_mov_b32_e32 v15, 0
	v_lshl_add_u64 v[2:3], s[4:5], 0, v[14:15]
	v_lshlrev_b32_e32 v4, 1, v18
	v_mov_b32_e32 v5, v15
	v_lshl_add_u64 v[2:3], v[2:3], 0, v[4:5]
	global_load_dwordx4 v[2:5], v[2:3], off
.LBB568_49:
	s_or_b64 exec, exec, s[0:1]
	v_or_b32_e32 v7, 1, v7
	v_cmp_gt_i32_e64 s[0:1], s43, v7
	v_lshlrev_b32_e32 v20, 8, v7
	v_mov_b32_e32 v7, 0
	v_mov_b32_e32 v8, 0
	;; [unrolled: 1-line block ×3, first 2 shown]
	s_and_saveexec_b64 s[2:3], s[0:1]
	s_cbranch_execz .LBB568_51
; %bb.50:
	v_mov_b32_e32 v21, 0
	v_lshl_add_u64 v[6:7], s[4:5], 0, v[20:21]
	v_lshlrev_b32_e32 v8, 1, v18
	v_mov_b32_e32 v9, v21
	v_lshl_add_u64 v[6:7], v[6:7], 0, v[8:9]
	global_load_dwordx4 v[6:9], v[6:7], off
.LBB568_51:
	s_or_b64 exec, exec, s[2:3]
	v_mov_b32_e32 v17, 0
	v_mov_b32_e32 v10, 0
	;; [unrolled: 1-line block ×5, first 2 shown]
	s_and_saveexec_b64 s[2:3], vcc
	s_cbranch_execz .LBB568_53
; %bb.52:
	v_mov_b32_e32 v15, 0
	v_lshl_add_u64 v[10:11], s[4:5], 0, v[14:15]
	v_lshlrev_b32_e32 v14, 1, v18
	v_lshl_add_u64 v[10:11], v[10:11], 0, v[14:15]
	global_load_dwordx4 v[10:13], v[10:11], off offset:128
.LBB568_53:
	s_or_b64 exec, exec, s[2:3]
	v_mov_b32_e32 v16, 0
	v_mov_b32_e32 v15, 0
	;; [unrolled: 1-line block ×3, first 2 shown]
	s_and_saveexec_b64 s[2:3], s[0:1]
	s_cbranch_execz .LBB568_55
; %bb.54:
	v_mov_b32_e32 v21, 0
	v_lshl_add_u64 v[14:15], s[4:5], 0, v[20:21]
	v_lshlrev_b32_e32 v20, 1, v18
	v_lshl_add_u64 v[14:15], v[14:15], 0, v[20:21]
	global_load_dwordx4 v[14:17], v[14:15], off offset:128
.LBB568_55:
	s_or_b64 exec, exec, s[2:3]
	s_branch .LBB568_58
.LBB568_56:
                                        ; implicit-def: $vgpr5
                                        ; implicit-def: $vgpr9
                                        ; implicit-def: $vgpr13
                                        ; implicit-def: $vgpr17
	s_cbranch_execz .LBB568_58
; %bb.57:
	s_waitcnt vmcnt(0)
	v_lshlrev_b32_e32 v2, 1, v18
	v_lshl_or_b32 v18, v35, 9, v2
	s_and_b32 s5, s5, 0xffff
	s_mov_b32 s7, 0x20000
	s_movk_i32 s6, 0x4000
	s_movk_i32 s0, 0x80
	buffer_load_dwordx4 v[2:5], v18, s[4:7], 0 offen
	buffer_load_dwordx4 v[6:9], v18, s[4:7], 0 offen offset:256
	buffer_load_dwordx4 v[10:13], v18, s[4:7], s0 offen
	buffer_load_dwordx4 v[14:17], v18, s[4:7], s0 offen offset:256
.LBB568_58:
	ds_read2st64_b64 v[22:25], v19 offset0:76 offset1:77
	ds_read2st64_b64 v[18:21], v19 offset0:78 offset1:79
	ds_read_b64 v[30:31], v26 offset:24576
	ds_read_b64 v[32:33], v27 offset:24576
	;; [unrolled: 1-line block ×4, first 2 shown]
	v_and_b32_e32 v36, 6, v0
	v_xor_b32_e32 v35, v35, v36
	v_lshlrev_b32_e32 v35, 2, v35
	v_and_b32_e32 v0, 1, v0
	v_xor_b32_e32 v38, 0x440, v35
	v_cmp_eq_u32_e32 vcc, 0, v0
	s_mov_b32 s0, 0x1000504
	s_mov_b32 s1, 0x3020706
	v_cndmask_b32_e32 v0, v38, v35, vcc
	v_lshl_or_b32 v0, v36, 10, v0
	s_waitcnt vmcnt(0)
	v_perm_b32 v35, v2, v6, s0
	v_perm_b32 v36, v10, v14, s0
	ds_write2st64_b32 v0, v35, v36 offset1:32
	v_xor_b32_e32 v35, 8, v0
	v_perm_b32 v2, v2, v6, s1
	v_perm_b32 v6, v10, v14, s1
	v_add_u32_e32 v10, 0x80, v35
	ds_write2st64_b32 v10, v2, v6 offset1:32
	v_xor_b32_e32 v2, 16, v0
	v_perm_b32 v6, v3, v7, s0
	v_perm_b32 v10, v11, v15, s0
	ds_write2st64_b32 v2, v6, v10 offset0:1 offset1:33
	v_xor_b32_e32 v2, 24, v0
	v_perm_b32 v3, v3, v7, s1
	v_perm_b32 v6, v11, v15, s1
	v_add_u32_e32 v2, 0x80, v2
	ds_write2st64_b32 v2, v3, v6 offset0:1 offset1:33
	v_xor_b32_e32 v2, 32, v0
	v_perm_b32 v3, v4, v8, s0
	v_perm_b32 v6, v12, v16, s0
	ds_write2st64_b32 v2, v3, v6 offset0:2 offset1:34
	v_xor_b32_e32 v2, 40, v0
	v_perm_b32 v3, v4, v8, s1
	v_perm_b32 v4, v12, v16, s1
	v_add_u32_e32 v2, 0x80, v2
	ds_write2st64_b32 v2, v3, v4 offset0:2 offset1:34
	v_xor_b32_e32 v2, 48, v0
	v_perm_b32 v3, v5, v9, s0
	v_perm_b32 v4, v13, v17, s0
	v_xor_b32_e32 v0, 56, v0
	v_and_or_b32 v6, v37, 12, v40
	ds_write2st64_b32 v2, v3, v4 offset0:3 offset1:35
	v_perm_b32 v2, v5, v9, s1
	v_perm_b32 v3, v13, v17, s1
	v_add_u32_e32 v0, 0x80, v0
	v_cmp_gt_i32_e32 vcc, s43, v6
	v_mov_b32_e32 v7, 0
	v_mov_b32_e32 v11, 0
	ds_write2st64_b32 v0, v2, v3 offset0:3 offset1:35
	s_and_saveexec_b64 s[0:1], vcc
	s_cbranch_execz .LBB568_60
; %bb.59:
	v_add_u32_e32 v0, s34, v6
	v_ashrrev_i32_e32 v2, 31, v0
	v_mul_lo_u32 v4, v2, s28
	v_mul_lo_u32 v5, v0, s29
	v_mad_u64_u32 v[2:3], s[2:3], v0, s28, 0
	v_add3_u32 v3, v3, v5, v4
	v_lshl_add_u64 v[2:3], v[2:3], 2, s[10:11]
	global_load_dword v0, v[2:3], off
	s_waitcnt vmcnt(0)
	v_sub_f32_e32 v0, s12, v0
	v_exp_f32_e32 v11, v0
.LBB568_60:
	s_or_b64 exec, exec, s[0:1]
	v_or_b32_e32 v9, 1, v6
	v_cmp_gt_i32_e64 s[0:1], s43, v9
	s_and_saveexec_b64 s[2:3], s[0:1]
	s_cbranch_execz .LBB568_62
; %bb.61:
	v_add_u32_e32 v0, s34, v9
	v_ashrrev_i32_e32 v2, 31, v0
	v_mul_lo_u32 v4, v2, s28
	v_mul_lo_u32 v5, v0, s29
	v_mad_u64_u32 v[2:3], s[4:5], v0, s28, 0
	v_add3_u32 v3, v3, v5, v4
	v_lshl_add_u64 v[2:3], v[2:3], 2, s[10:11]
	global_load_dword v0, v[2:3], off
	s_waitcnt vmcnt(0)
	v_sub_f32_e32 v0, s12, v0
	v_exp_f32_e32 v7, v0
.LBB568_62:
	s_or_b64 exec, exec, s[2:3]
	v_or_b32_e32 v10, 2, v6
	v_cmp_gt_i32_e64 s[2:3], s43, v10
	v_mov_b32_e32 v8, 0
	v_mov_b32_e32 v13, 0
	s_and_saveexec_b64 s[4:5], s[2:3]
	s_cbranch_execz .LBB568_64
; %bb.63:
	v_add_u32_e32 v0, s34, v10
	v_ashrrev_i32_e32 v2, 31, v0
	v_mul_lo_u32 v4, v2, s28
	v_mul_lo_u32 v5, v0, s29
	v_mad_u64_u32 v[2:3], s[6:7], v0, s28, 0
	v_add3_u32 v3, v3, v5, v4
	v_lshl_add_u64 v[2:3], v[2:3], 2, s[10:11]
	global_load_dword v0, v[2:3], off
	s_waitcnt vmcnt(0)
	v_sub_f32_e32 v0, s12, v0
	v_exp_f32_e32 v13, v0
.LBB568_64:
	s_or_b64 exec, exec, s[4:5]
	v_or_b32_e32 v12, 3, v6
	v_cmp_gt_i32_e64 s[4:5], s43, v12
	s_and_saveexec_b64 s[6:7], s[4:5]
	s_cbranch_execz .LBB568_66
; %bb.65:
	v_add_u32_e32 v0, s34, v12
	v_ashrrev_i32_e32 v2, 31, v0
	v_mul_lo_u32 v4, v2, s28
	v_mul_lo_u32 v5, v0, s29
	v_mad_u64_u32 v[2:3], s[14:15], v0, s28, 0
	v_add3_u32 v3, v3, v5, v4
	v_lshl_add_u64 v[2:3], v[2:3], 2, s[10:11]
	global_load_dword v0, v[2:3], off
	s_waitcnt vmcnt(0)
	v_sub_f32_e32 v0, s12, v0
	v_exp_f32_e32 v8, v0
.LBB568_66:
	s_or_b64 exec, exec, s[6:7]
	s_waitcnt lgkmcnt(11)
	v_mfma_f32_16x16x16_bf16 a[0:3], v[30:31], v[22:23], a[0:3]
	v_or_b32_e32 v0, s30, v1
	s_add_u32 s6, s8, s24
	s_addc_u32 s7, s9, s25
	s_waitcnt lgkmcnt(10)
	v_mfma_f32_16x16x16_bf16 a[0:3], v[32:33], v[24:25], a[0:3]
	v_ashrrev_i32_e32 v1, 31, v0
	v_lshl_add_u64 v[4:5], v[0:1], 1, s[6:7]
	v_mov_b32_e32 v14, 0
	s_waitcnt lgkmcnt(9)
	v_mfma_f32_16x16x16_bf16 a[0:3], v[28:29], v[18:19], a[0:3]
	v_mov_b32_e32 v15, 0
	s_waitcnt lgkmcnt(8)
	v_mfma_f32_16x16x16_bf16 a[0:3], v[26:27], v[20:21], a[0:3]
	s_nop 6
	v_accvgpr_read_b32 v0, a0
	v_accvgpr_read_b32 v1, a1
	;; [unrolled: 1-line block ×4, first 2 shown]
	s_and_saveexec_b64 s[6:7], vcc
	s_cbranch_execz .LBB568_68
; %bb.67:
	v_lshlrev_b32_e32 v16, 8, v6
	v_mov_b32_e32 v17, 0
	v_lshl_add_u64 v[16:17], v[4:5], 0, v[16:17]
	global_load_ushort v15, v[16:17], off
	s_waitcnt vmcnt(0)
	v_lshlrev_b32_e32 v15, 16, v15
	v_sub_f32_e32 v0, v15, v0
	v_mul_f32_e32 v0, v11, v0
	v_lshrrev_b32_e32 v15, 16, v0
.LBB568_68:
	s_or_b64 exec, exec, s[6:7]
	s_and_saveexec_b64 s[6:7], s[0:1]
	s_cbranch_execz .LBB568_70
; %bb.69:
	v_lshlrev_b32_e32 v16, 8, v9
	v_mov_b32_e32 v17, 0
	v_lshl_add_u64 v[16:17], v[4:5], 0, v[16:17]
	global_load_ushort v0, v[16:17], off
	s_waitcnt vmcnt(0)
	v_lshlrev_b32_e32 v0, 16, v0
	v_sub_f32_e32 v0, v0, v1
	v_mul_f32_e32 v0, v7, v0
	v_lshrrev_b32_e32 v14, 16, v0
.LBB568_70:
	s_or_b64 exec, exec, s[6:7]
	v_mov_b32_e32 v0, 0
	v_mov_b32_e32 v1, 0
	s_and_saveexec_b64 s[0:1], s[2:3]
	s_cbranch_execz .LBB568_72
; %bb.71:
	v_lshlrev_b32_e32 v10, 8, v10
	v_mov_b32_e32 v11, 0
	v_lshl_add_u64 v[10:11], v[4:5], 0, v[10:11]
	global_load_ushort v1, v[10:11], off
	s_waitcnt vmcnt(0)
	v_lshlrev_b32_e32 v1, 16, v1
	v_sub_f32_e32 v1, v1, v2
	v_mul_f32_e32 v1, v13, v1
	v_lshrrev_b32_e32 v1, 16, v1
.LBB568_72:
	s_or_b64 exec, exec, s[0:1]
	s_and_saveexec_b64 s[0:1], s[4:5]
	s_cbranch_execz .LBB568_74
; %bb.73:
	v_lshlrev_b32_e32 v10, 8, v12
	v_mov_b32_e32 v11, 0
	v_lshl_add_u64 v[4:5], v[4:5], 0, v[10:11]
	global_load_ushort v0, v[4:5], off
	s_waitcnt vmcnt(0)
	v_lshlrev_b32_e32 v0, 16, v0
	v_sub_f32_e32 v0, v0, v3
	v_mul_f32_e32 v0, v8, v0
	v_lshrrev_b32_e32 v0, 16, v0
.LBB568_74:
	s_or_b64 exec, exec, s[0:1]
	s_mov_b32 s0, 0x5040100
	v_lshlrev_b32_e32 v2, 1, v34
	v_perm_b32 v1, v0, v1, s0
	v_perm_b32 v0, v14, v15, s0
	v_lshl_or_b32 v2, v6, 5, v2
	ds_write_b64 v2, v[0:1] offset:38912
	s_waitcnt lgkmcnt(0)
	s_barrier
.LBB568_75:
	s_endpgm
	.section	.rodata,"a",@progbits
	.p2align	6, 0x0
	.amdhsa_kernel _ZN12_GLOBAL__N_139chunk_gated_delta_rule_fwd_h_hip_kernelILi16ELb0ELb0ELb0ELb1ELb1ELb0ELb0ELb1EEEvPK12hip_bfloat16S3_S3_PKfS5_PKvPS1_S8_PvPKiSB_iiiiilll
		.amdhsa_group_segment_fixed_size 40960
		.amdhsa_private_segment_fixed_size 0
		.amdhsa_kernarg_size 136
		.amdhsa_user_sgpr_count 2
		.amdhsa_user_sgpr_dispatch_ptr 0
		.amdhsa_user_sgpr_queue_ptr 0
		.amdhsa_user_sgpr_kernarg_segment_ptr 1
		.amdhsa_user_sgpr_dispatch_id 0
		.amdhsa_user_sgpr_kernarg_preload_length 0
		.amdhsa_user_sgpr_kernarg_preload_offset 0
		.amdhsa_user_sgpr_private_segment_size 0
		.amdhsa_uses_dynamic_stack 0
		.amdhsa_enable_private_segment 0
		.amdhsa_system_sgpr_workgroup_id_x 1
		.amdhsa_system_sgpr_workgroup_id_y 1
		.amdhsa_system_sgpr_workgroup_id_z 0
		.amdhsa_system_sgpr_workgroup_info 0
		.amdhsa_system_vgpr_workitem_id 0
		.amdhsa_next_free_vgpr 116
		.amdhsa_next_free_sgpr 58
		.amdhsa_accum_offset 108
		.amdhsa_reserve_vcc 1
		.amdhsa_float_round_mode_32 0
		.amdhsa_float_round_mode_16_64 0
		.amdhsa_float_denorm_mode_32 3
		.amdhsa_float_denorm_mode_16_64 3
		.amdhsa_dx10_clamp 1
		.amdhsa_ieee_mode 1
		.amdhsa_fp16_overflow 0
		.amdhsa_tg_split 0
		.amdhsa_exception_fp_ieee_invalid_op 0
		.amdhsa_exception_fp_denorm_src 0
		.amdhsa_exception_fp_ieee_div_zero 0
		.amdhsa_exception_fp_ieee_overflow 0
		.amdhsa_exception_fp_ieee_underflow 0
		.amdhsa_exception_fp_ieee_inexact 0
		.amdhsa_exception_int_div_zero 0
	.end_amdhsa_kernel
	.section	.text._ZN12_GLOBAL__N_139chunk_gated_delta_rule_fwd_h_hip_kernelILi16ELb0ELb0ELb0ELb1ELb1ELb0ELb0ELb1EEEvPK12hip_bfloat16S3_S3_PKfS5_PKvPS1_S8_PvPKiSB_iiiiilll,"axG",@progbits,_ZN12_GLOBAL__N_139chunk_gated_delta_rule_fwd_h_hip_kernelILi16ELb0ELb0ELb0ELb1ELb1ELb0ELb0ELb1EEEvPK12hip_bfloat16S3_S3_PKfS5_PKvPS1_S8_PvPKiSB_iiiiilll,comdat
.Lfunc_end568:
	.size	_ZN12_GLOBAL__N_139chunk_gated_delta_rule_fwd_h_hip_kernelILi16ELb0ELb0ELb0ELb1ELb1ELb0ELb0ELb1EEEvPK12hip_bfloat16S3_S3_PKfS5_PKvPS1_S8_PvPKiSB_iiiiilll, .Lfunc_end568-_ZN12_GLOBAL__N_139chunk_gated_delta_rule_fwd_h_hip_kernelILi16ELb0ELb0ELb0ELb1ELb1ELb0ELb0ELb1EEEvPK12hip_bfloat16S3_S3_PKfS5_PKvPS1_S8_PvPKiSB_iiiiilll
                                        ; -- End function
	.section	.AMDGPU.csdata,"",@progbits
; Kernel info:
; codeLenInByte = 7008
; NumSgprs: 64
; NumVgprs: 106
; NumAgprs: 8
; TotalNumVgprs: 116
; ScratchSize: 0
; MemoryBound: 0
; FloatMode: 240
; IeeeMode: 1
; LDSByteSize: 40960 bytes/workgroup (compile time only)
; SGPRBlocks: 7
; VGPRBlocks: 14
; NumSGPRsForWavesPerEU: 64
; NumVGPRsForWavesPerEU: 116
; AccumOffset: 108
; Occupancy: 1
; WaveLimiterHint : 1
; COMPUTE_PGM_RSRC2:SCRATCH_EN: 0
; COMPUTE_PGM_RSRC2:USER_SGPR: 2
; COMPUTE_PGM_RSRC2:TRAP_HANDLER: 0
; COMPUTE_PGM_RSRC2:TGID_X_EN: 1
; COMPUTE_PGM_RSRC2:TGID_Y_EN: 1
; COMPUTE_PGM_RSRC2:TGID_Z_EN: 0
; COMPUTE_PGM_RSRC2:TIDIG_COMP_CNT: 0
; COMPUTE_PGM_RSRC3_GFX90A:ACCUM_OFFSET: 26
; COMPUTE_PGM_RSRC3_GFX90A:TG_SPLIT: 0
	.section	.text._ZN12_GLOBAL__N_139chunk_gated_delta_rule_fwd_h_hip_kernelILi16ELb1ELb1ELb1ELb0ELb1ELb0ELb0ELb1EEEvPK12hip_bfloat16S3_S3_PKfS5_PKvPS1_S8_PvPKiSB_iiiiilll,"axG",@progbits,_ZN12_GLOBAL__N_139chunk_gated_delta_rule_fwd_h_hip_kernelILi16ELb1ELb1ELb1ELb0ELb1ELb0ELb0ELb1EEEvPK12hip_bfloat16S3_S3_PKfS5_PKvPS1_S8_PvPKiSB_iiiiilll,comdat
	.globl	_ZN12_GLOBAL__N_139chunk_gated_delta_rule_fwd_h_hip_kernelILi16ELb1ELb1ELb1ELb0ELb1ELb0ELb0ELb1EEEvPK12hip_bfloat16S3_S3_PKfS5_PKvPS1_S8_PvPKiSB_iiiiilll ; -- Begin function _ZN12_GLOBAL__N_139chunk_gated_delta_rule_fwd_h_hip_kernelILi16ELb1ELb1ELb1ELb0ELb1ELb0ELb0ELb1EEEvPK12hip_bfloat16S3_S3_PKfS5_PKvPS1_S8_PvPKiSB_iiiiilll
	.p2align	8
	.type	_ZN12_GLOBAL__N_139chunk_gated_delta_rule_fwd_h_hip_kernelILi16ELb1ELb1ELb1ELb0ELb1ELb0ELb0ELb1EEEvPK12hip_bfloat16S3_S3_PKfS5_PKvPS1_S8_PvPKiSB_iiiiilll,@function
_ZN12_GLOBAL__N_139chunk_gated_delta_rule_fwd_h_hip_kernelILi16ELb1ELb1ELb1ELb0ELb1ELb0ELb0ELb1EEEvPK12hip_bfloat16S3_S3_PKfS5_PKvPS1_S8_PvPKiSB_iiiiilll: ; @_ZN12_GLOBAL__N_139chunk_gated_delta_rule_fwd_h_hip_kernelILi16ELb1ELb1ELb1ELb0ELb1ELb0ELb0ELb1EEEvPK12hip_bfloat16S3_S3_PKfS5_PKvPS1_S8_PvPKiSB_iiiiilll
; %bb.0:
	s_load_dwordx4 s[20:23], s[0:1], 0x5c
	s_load_dwordx4 s[24:27], s[0:1], 0x70
	s_abs_i32 s6, s3
	s_ashr_i32 s5, s3, 31
	v_and_b32_e32 v56, 15, v0
	s_waitcnt lgkmcnt(0)
	s_abs_i32 s4, s21
	v_cvt_f32_u32_e32 v1, s4
	s_sub_i32 s8, 0, s4
	s_ashr_i32 s7, s21, 31
	s_xor_b32 s5, s5, s7
	v_rcp_iflag_f32_e32 v1, v1
	v_bfe_u32 v55, v0, 4, 2
	v_mov_b32_e32 v45, 0
	v_lshlrev_b32_e32 v57, 3, v0
	v_mul_f32_e32 v1, 0x4f7ffffe, v1
	v_cvt_u32_f32_e32 v1, v1
	s_nop 0
	v_readfirstlane_b32 s9, v1
	s_mul_i32 s8, s8, s9
	s_mul_hi_u32 s8, s9, s8
	s_add_i32 s9, s9, s8
	s_mul_hi_u32 s8, s6, s9
	s_mul_i32 s9, s8, s4
	s_sub_i32 s6, s6, s9
	s_add_i32 s10, s8, 1
	s_sub_i32 s9, s6, s4
	s_cmp_ge_u32 s6, s4
	s_cselect_b32 s8, s10, s8
	s_cselect_b32 s6, s9, s6
	s_add_i32 s9, s8, 1
	s_cmp_ge_u32 s6, s4
	s_cselect_b32 s6, s9, s8
	s_xor_b32 s6, s6, s5
	s_add_i32 s8, s20, 63
	s_sub_i32 s55, s6, s5
	s_ashr_i32 s9, s8, 31
	s_mul_i32 s12, s55, s21
	s_sub_i32 s53, s3, s12
	s_lshr_b32 s3, s9, 26
	s_add_i32 s8, s8, s3
	s_abs_i32 s3, s22
	v_cvt_f32_u32_e32 v1, s3
	s_ashr_i32 s54, s20, 31
	s_lshr_b32 s5, s54, 26
	s_add_i32 s5, s20, s5
	v_rcp_iflag_f32_e32 v1, v1
	s_ashr_i32 s58, s22, 31
	s_ashr_i32 s56, s5, 6
	s_xor_b32 s5, s7, s58
	v_mul_f32_e32 v1, 0x4f7ffffe, v1
	v_cvt_u32_f32_e32 v1, v1
	s_sub_i32 s6, 0, s3
	s_ashr_i32 s28, s8, 6
	s_lshl_b32 s2, s2, 4
	v_readfirstlane_b32 s7, v1
	s_mul_i32 s6, s6, s7
	s_mul_hi_u32 s6, s7, s6
	s_add_i32 s7, s7, s6
	s_mul_hi_u32 s6, s4, s7
	s_mul_i32 s7, s6, s3
	s_sub_i32 s4, s4, s7
	s_add_i32 s7, s6, 1
	s_sub_i32 s8, s4, s3
	s_cmp_ge_u32 s4, s3
	s_cselect_b32 s6, s7, s6
	s_cselect_b32 s4, s8, s4
	s_add_i32 s7, s6, 1
	s_cmp_ge_u32 s4, s3
	s_cselect_b32 s3, s7, s6
	s_xor_b32 s3, s3, s5
	s_sub_i32 s3, s3, s5
	s_abs_i32 s13, s3
	v_cvt_f32_u32_e32 v1, s13
	s_sub_i32 s15, 0, s13
	s_abs_i32 s14, s53
	s_xor_b32 s3, s53, s3
	v_rcp_iflag_f32_e32 v2, v1
	s_ashr_i32 s3, s3, 31
	s_load_dwordx8 s[4:11], s[0:1], 0x28
	v_lshrrev_b32_e32 v1, 6, v0
	v_mul_f32_e32 v2, 0x4f7ffffe, v2
	v_cvt_u32_f32_e32 v2, v2
	v_or_b32_e32 v46, s2, v56
	v_lshlrev_b32_e32 v54, 4, v1
	v_lshlrev_b32_e32 v42, 7, v46
	v_readfirstlane_b32 s16, v2
	s_mul_i32 s15, s15, s16
	s_mul_hi_u32 s15, s16, s15
	s_add_i32 s16, s16, s15
	s_mul_hi_u32 s15, s14, s16
	s_mul_i32 s16, s15, s13
	s_sub_i32 s14, s14, s16
	s_add_i32 s16, s15, 1
	s_sub_i32 s17, s14, s13
	s_cmp_ge_u32 s14, s13
	s_cselect_b32 s15, s16, s15
	s_cselect_b32 s14, s17, s14
	s_add_i32 s16, s15, 1
	s_cmp_ge_u32 s14, s13
	s_cselect_b32 s13, s16, s15
	s_xor_b32 s13, s13, s3
	s_sub_i32 s59, s13, s3
	s_ashr_i32 s3, s55, 31
	s_ashr_i32 s57, s53, 31
	s_mul_hi_i32 s13, s55, s21
	s_add_u32 s42, s12, s53
	s_addc_u32 s43, s13, s57
	s_lshl_b64 s[34:35], s[42:43], 15
	s_waitcnt lgkmcnt(0)
	s_add_u32 s4, s4, s34
	v_lshl_or_b32 v59, v55, 2, v54
	s_addc_u32 s5, s5, s35
	v_ashrrev_i32_e32 v43, 31, v42
	v_lshl_add_u64 v[2:3], v[42:43], 1, s[4:5]
	v_lshlrev_b32_e32 v44, 1, v59
	v_lshl_add_u64 v[2:3], v[2:3], 0, v[44:45]
	global_load_dwordx2 v[4:5], v[2:3], off
	global_load_dwordx2 v[8:9], v[2:3], off offset:128
	s_load_dwordx8 s[12:19], s[0:1], 0x0
	s_load_dwordx2 s[36:37], s[0:1], 0x80
	v_and_b32_e32 v45, 63, v0
	v_lshrrev_b32_e32 v58, 3, v45
	v_or_b32_e32 v60, 64, v59
	s_mul_i32 s33, s55, s25
	s_mul_hi_u32 s48, s55, s24
	s_mul_i32 s40, s55, s24
	s_mul_i32 s60, s55, s28
	;; [unrolled: 1-line block ×3, first 2 shown]
	s_mul_hi_u32 s50, s53, s26
	s_mul_i32 s52, s3, s24
	s_mul_i32 s51, s57, s26
	s_mul_hi_u32 s61, s42, s20
	s_mul_i32 s4, s42, s20
	s_mul_i32 s43, s43, s20
	s_cmp_lt_i32 s20, 64
	s_mul_i32 s38, s53, s26
	s_waitcnt vmcnt(1)
	v_and_b32_e32 v3, 0xffff0000, v4
	v_lshlrev_b32_e32 v2, 16, v4
	v_and_b32_e32 v61, 0xffff0000, v5
	v_lshlrev_b32_e32 v4, 16, v5
	s_waitcnt vmcnt(0)
	v_and_b32_e32 v7, 0xffff0000, v8
	v_lshlrev_b32_e32 v6, 16, v8
	v_and_b32_e32 v62, 0xffff0000, v9
	v_lshlrev_b32_e32 v8, 16, v9
	s_cbranch_scc1 .LBB569_3
; %bb.1:
	s_add_i32 s5, s61, s43
	s_lshl_b64 s[0:1], s[4:5], 8
	v_and_b32_e32 v64, 56, v57
	s_waitcnt lgkmcnt(0)
	s_add_u32 s24, s14, s0
	v_lshl_or_b32 v63, v1, 3, v58
	v_lshlrev_b32_e32 v5, 1, v64
	s_addc_u32 s0, s15, s1
	v_lshl_or_b32 v65, v63, 8, v5
	s_and_b32 s25, s0, 0xffff
	s_mov_b32 s27, 0x20000
	s_movk_i32 s26, 0x4000
	s_movk_i32 s0, 0x80
	v_or_b32_e32 v66, 0x2000, v65
	buffer_load_dwordx4 v[10:13], v65, s[24:27], 0 offen
	buffer_load_dwordx4 v[14:17], v65, s[24:27], s0 offen
	;; [unrolled: 1-line block ×4, first 2 shown]
	v_lshlrev_b32_e32 v9, 3, v63
	v_and_or_b32 v27, v0, 7, v9
	v_and_b32_e32 v9, 0x78, v9
	v_lshlrev_b32_e32 v27, 4, v27
	v_xor_b32_e32 v67, v27, v9
	v_mul_lo_u32 v26, v63, s23
	v_or_b32_e32 v68, 0x1000, v67
	v_xor_b32_e32 v9, 8, v67
	s_cmpk_eq_i32 s23, 0x80
	s_mov_b32 s62, s22
	v_xor_b32_e32 v27, 8, v68
	s_cselect_b64 s[0:1], -1, 0
	s_cmpk_lg_i32 s23, 0x80
	s_waitcnt vmcnt(3)
	ds_write_b64 v67, v[10:11] offset:16384
	ds_write_b64 v9, v[12:13] offset:16384
	s_waitcnt vmcnt(2)
	ds_write_b64 v67, v[14:15] offset:24576
	ds_write_b64 v9, v[16:17] offset:24576
	;; [unrolled: 3-line block ×4, first 2 shown]
	v_lshl_add_u32 v9, v26, 1, v64
	s_cbranch_scc0 .LBB569_29
; %bb.2:
	v_lshlrev_b32_e32 v11, 1, v9
	v_add_lshl_u32 v10, v9, s23, 1
	s_lshl_b32 s26, s23, 7
	v_lshl_or_b32 v5, v63, 9, v5
	s_cbranch_execz .LBB569_30
	s_branch .LBB569_31
.LBB569_3:
	v_mov_b32_e32 v9, v62
	v_mov_b32_e32 v5, v61
.LBB569_4:
	s_lshl_b32 s30, s56, 6
	s_sub_i32 s31, s20, s30
	s_cmp_gt_i32 s31, 0
	s_cbranch_scc0 .LBB569_76
; %bb.5:
	s_ashr_i32 s3, s30, 31
	s_cmpk_lg_i32 s23, 0x80
	s_cselect_b64 s[26:27], -1, 0
	s_and_b64 vcc, exec, s[26:27]
	s_cbranch_vccz .LBB569_7
; %bb.6:
	s_mul_i32 s1, s55, s20
	s_mul_hi_i32 s0, s55, s20
	s_add_u32 s1, s1, s30
	s_addc_u32 s0, s0, s3
	s_mul_i32 s5, s1, s58
	s_mul_hi_u32 s24, s1, s22
	s_add_i32 s5, s24, s5
	s_mul_i32 s0, s0, s22
	s_add_i32 s5, s5, s0
	s_mul_i32 s1, s1, s22
	s_ashr_i32 s0, s59, 31
	s_add_u32 s28, s1, s59
	s_addc_u32 s29, s5, s0
	s_cbranch_execz .LBB569_8
	s_branch .LBB569_9
.LBB569_7:
                                        ; implicit-def: $sgpr28_sgpr29
.LBB569_8:
	s_mul_hi_i32 s0, s55, s22
	s_mul_i32 s55, s55, s22
	s_ashr_i32 s1, s59, 31
	s_add_u32 s5, s55, s59
	s_addc_u32 s0, s0, s1
	s_mul_i32 s1, s5, s54
	s_mul_hi_u32 s22, s5, s20
	s_add_i32 s1, s22, s1
	s_mul_i32 s0, s0, s20
	s_add_i32 s1, s1, s0
	s_mul_i32 s5, s5, s20
	s_add_u32 s28, s5, s30
	s_addc_u32 s29, s1, s3
.LBB569_9:
	s_mul_i32 s0, s42, s54
	s_add_i32 s0, s61, s0
	s_add_i32 s5, s60, s56
	;; [unrolled: 1-line block ×3, first 2 shown]
	s_add_u32 s0, s4, s30
	s_addc_u32 s1, s1, s3
	s_mov_b32 s3, 0x7060302
	v_lshlrev_b32_e32 v14, 3, v56
	s_lshl_b64 s[24:25], s[0:1], 8
	v_perm_b32 v11, v5, v4, s3
	v_perm_b32 v10, v3, v2, s3
	;; [unrolled: 1-line block ×4, first 2 shown]
	v_lshlrev_b32_e32 v48, 2, v56
	v_lshl_or_b32 v14, v59, 5, v14
	s_waitcnt lgkmcnt(0)
	s_add_u32 s0, s14, s24
	ds_write2st64_b64 v14, v[10:11], v[12:13] offset0:72 offset1:76
	v_xor_b32_e32 v14, v59, v48
	v_lshlrev_b32_e32 v15, 8, v56
	s_addc_u32 s1, s15, s25
	v_lshl_or_b32 v14, v14, 1, v15
	s_mul_hi_i32 s3, s5, s21
	s_mul_i32 s5, s5, s21
	ds_write_b64 v14, v[10:11] offset:32768
	v_xor_b32_e32 v10, v60, v48
	s_add_u32 s4, s5, s53
	v_lshl_or_b32 v10, v10, 1, v15
	s_addc_u32 s5, s3, s57
	v_lshlrev_b32_e32 v11, 1, v56
	ds_write_b64 v10, v[12:13] offset:32768
	v_lshrrev_b32_e32 v10, 4, v0
	s_ashr_i32 s3, s2, 31
	s_lshl_b64 s[4:5], s[4:5], 15
	v_or_b32_e32 v12, 1, v11
	s_add_u32 s4, s6, s4
	v_xor_b32_e32 v11, v10, v11
	v_xor_b32_e32 v12, v12, v10
	v_lshlrev_b32_e32 v14, 8, v10
	s_addc_u32 s5, s7, s5
	s_lshl_b64 s[2:3], s[2:3], 8
	v_lshl_or_b32 v10, v11, 3, v14
	v_lshl_or_b32 v12, v12, 3, v14
	s_waitcnt lgkmcnt(0)
	s_barrier
	s_add_u32 s2, s4, s2
	ds_read_b64 v[10:11], v10 offset:32768
	ds_read_b64 v[12:13], v12 offset:32768
	s_addc_u32 s3, s5, s3
	v_mov_b32_e32 v15, 0
	s_cmp_lg_u32 s31, 64
	v_lshl_add_u64 v[16:17], s[2:3], 0, v[14:15]
	v_lshlrev_b32_e32 v14, 4, v56
	s_cselect_b64 s[14:15], -1, 0
	v_lshl_or_b32 v47, v1, 3, v58
	s_mov_b32 s4, 0
	v_lshl_add_u64 v[14:15], v[16:17], 0, v[14:15]
	s_waitcnt vmcnt(1)
	v_or_b32_e32 v27, 32, v47
	v_and_b32_e32 v26, 56, v57
	s_and_b64 vcc, exec, s[14:15]
	s_waitcnt lgkmcnt(0)
	global_store_dwordx4 v[14:15], v[10:13], off
	s_cbranch_vccz .LBB569_15
; %bb.10:
	s_mov_b32 s6, s4
	s_mov_b32 s7, s4
	;; [unrolled: 1-line block ×3, first 2 shown]
	v_mov_b64_e32 v[16:17], s[6:7]
	v_mov_b64_e32 v[14:15], s[4:5]
	;; [unrolled: 1-line block ×3, first 2 shown]
	v_cmp_gt_i32_e32 vcc, s31, v47
	v_mov_b64_e32 v[12:13], v[16:17]
	s_and_saveexec_b64 s[2:3], vcc
	s_cbranch_execz .LBB569_12
; %bb.11:
	v_lshlrev_b32_e32 v10, 8, v47
	v_mov_b32_e32 v11, 0
	v_lshl_add_u64 v[12:13], s[0:1], 0, v[10:11]
	v_lshlrev_b32_e32 v10, 1, v26
	v_lshl_add_u64 v[18:19], v[12:13], 0, v[10:11]
	global_load_dwordx4 v[14:17], v[18:19], off
	global_load_dwordx4 v[10:13], v[18:19], off offset:128
.LBB569_12:
	s_or_b64 exec, exec, s[2:3]
	s_mov_b32 s6, s4
	s_mov_b32 s7, s4
	;; [unrolled: 1-line block ×3, first 2 shown]
	v_mov_b64_e32 v[24:25], s[6:7]
	v_mov_b64_e32 v[22:23], s[4:5]
	;; [unrolled: 1-line block ×3, first 2 shown]
	v_cmp_gt_i32_e32 vcc, s31, v27
	v_lshlrev_b32_e32 v28, 7, v27
	v_mov_b64_e32 v[20:21], v[24:25]
	s_and_saveexec_b64 s[2:3], vcc
	s_cbranch_execz .LBB569_14
; %bb.13:
	v_lshlrev_b32_e32 v18, 1, v28
	v_mov_b32_e32 v19, 0
	v_lshl_add_u64 v[20:21], s[0:1], 0, v[18:19]
	v_lshlrev_b32_e32 v18, 1, v26
	v_lshl_add_u64 v[30:31], v[20:21], 0, v[18:19]
	global_load_dwordx4 v[22:25], v[30:31], off
	global_load_dwordx4 v[18:21], v[30:31], off offset:128
.LBB569_14:
	s_or_b64 exec, exec, s[2:3]
	v_lshrrev_b32_e32 v29, 3, v26
	v_lshlrev_b32_e32 v30, 3, v47
	v_or_b32_e32 v29, v30, v29
	v_lshlrev_b32_e32 v29, 4, v29
	v_and_b32_e32 v30, 0x78, v30
	v_xor_b32_e32 v29, v29, v30
	s_branch .LBB569_17
.LBB569_15:
                                        ; implicit-def: $vgpr29
                                        ; implicit-def: $vgpr28
                                        ; implicit-def: $vgpr14_vgpr15_vgpr16_vgpr17
                                        ; implicit-def: $vgpr10_vgpr11_vgpr12_vgpr13
                                        ; implicit-def: $vgpr22_vgpr23_vgpr24_vgpr25
                                        ; implicit-def: $vgpr18_vgpr19_vgpr20_vgpr21
	s_cbranch_execz .LBB569_17
; %bb.16:
	s_waitcnt vmcnt(0)
	v_lshlrev_b32_e32 v10, 1, v26
	v_lshl_or_b32 v28, v47, 8, v10
	s_and_b32 s1, s1, 0xffff
	s_mov_b32 s3, 0x20000
	s_movk_i32 s2, 0x4000
	v_lshl_or_b32 v29, v27, 8, v10
	s_movk_i32 s4, 0x80
	buffer_load_dwordx4 v[14:17], v28, s[0:3], 0 offen
	buffer_load_dwordx4 v[10:13], v28, s[0:3], s4 offen
	;; [unrolled: 1-line block ×4, first 2 shown]
	v_lshrrev_b32_e32 v28, 3, v26
	v_lshlrev_b32_e32 v29, 3, v47
	v_or_b32_e32 v28, v29, v28
	v_lshlrev_b32_e32 v28, 4, v28
	v_and_b32_e32 v29, 0x78, v29
	v_xor_b32_e32 v29, v28, v29
	v_lshlrev_b32_e32 v28, 7, v27
.LBB569_17:
	s_lshl_b64 s[0:1], s[28:29], 8
	s_add_u32 s4, s12, s0
	s_movk_i32 s0, 0x1000
	v_and_or_b32 v27, v28, s0, v29
	s_waitcnt vmcnt(1)
	ds_write_b64 v29, v[14:15] offset:16384
	v_xor_b32_e32 v14, 8, v29
	ds_write_b64 v14, v[16:17] offset:16384
	s_waitcnt vmcnt(0)
	ds_write_b64 v29, v[10:11] offset:24576
	ds_write_b64 v14, v[12:13] offset:24576
	;; [unrolled: 1-line block ×3, first 2 shown]
	v_xor_b32_e32 v10, 8, v27
	ds_write_b64 v10, v[24:25] offset:16384
	ds_write_b64 v27, v[18:19] offset:24576
	;; [unrolled: 1-line block ×3, first 2 shown]
	v_or_b32_e32 v10, v54, v56
	v_lshlrev_b32_e32 v10, 3, v10
	v_lshrrev_b32_e32 v12, 5, v45
	s_movk_i32 s6, 0xf8
	v_and_or_b32 v12, v10, s6, v12
	v_lshlrev_b32_e32 v49, 11, v1
	v_lshlrev_b32_e32 v20, 4, v12
	v_and_b32_e32 v21, 0x78, v10
	v_and_b32_e32 v22, 0x1000, v49
	v_lshlrev_b32_e32 v11, 2, v0
	v_xor_b32_e32 v10, v20, v21
	v_lshrrev_b32_e32 v12, 1, v45
	v_and_b32_e32 v11, 60, v11
	v_or_b32_e32 v10, v10, v22
	v_and_b32_e32 v23, 8, v12
	v_xor_b32_e32 v34, v10, v23
	v_lshl_or_b32 v10, v55, 6, v11
	v_lshlrev_b32_e32 v50, 1, v10
	v_or_b32_e32 v10, 32, v20
	v_xor_b32_e32 v10, v10, v21
	s_waitcnt lgkmcnt(0)
	s_barrier
	ds_read_b64 v[18:19], v34 offset:16384
	v_or_b32_e32 v10, v10, v22
	v_xor_b32_e32 v35, v10, v23
	v_or_b32_e32 v10, 64, v20
	v_xor_b32_e32 v10, v10, v21
	v_or_b32_e32 v10, v10, v22
	v_or_b32_e32 v20, 0x60, v20
	v_xor_b32_e32 v36, v10, v23
	ds_read2st64_b64 v[10:13], v50 offset0:72 offset1:73
	ds_read2st64_b64 v[14:17], v50 offset0:74 offset1:75
	v_xor_b32_e32 v24, v20, v21
	ds_read_b64 v[20:21], v35 offset:16384
	s_addc_u32 s5, s13, s1
	s_add_i32 s1, s48, s33
	s_waitcnt lgkmcnt(2)
	v_mfma_f32_16x16x16_bf16 a[0:3], v[18:19], v[10:11], 0
	s_add_i32 s0, s20, -1
	s_add_i32 s41, s1, s52
	s_add_i32 s1, s50, s49
	;; [unrolled: 1-line block ×3, first 2 shown]
	s_ashr_i32 s1, s0, 31
	s_mul_i32 s2, s0, s37
	s_mul_hi_u32 s3, s0, s36
	s_add_i32 s2, s3, s2
	s_mul_i32 s1, s1, s36
	v_or_b32_e32 v22, v24, v22
	s_add_i32 s1, s2, s1
	s_lshl_b64 s[2:3], s[40:41], 2
	v_xor_b32_e32 v51, v22, v23
	ds_read_b64 v[22:23], v36 offset:16384
	ds_read_b64 v[24:25], v51 offset:16384
	s_waitcnt lgkmcnt(2)
	v_mfma_f32_16x16x16_bf16 a[0:3], v[20:21], v[12:13], a[0:3]
	s_add_u32 s6, s18, s2
	s_addc_u32 s7, s19, s3
	s_lshl_b64 s[2:3], s[38:39], 2
	s_mul_i32 s0, s0, s36
	s_add_u32 s12, s6, s2
	s_addc_u32 s13, s7, s3
	s_lshl_b64 s[0:1], s[0:1], 2
	s_waitcnt lgkmcnt(1)
	v_mfma_f32_16x16x16_bf16 a[0:3], v[22:23], v[14:15], a[0:3]
	s_add_u32 s0, s12, s0
	s_addc_u32 s1, s13, s1
	s_load_dword s18, s[0:1], 0x0
	s_waitcnt lgkmcnt(0)
	v_mfma_f32_16x16x16_bf16 a[0:3], v[24:25], v[16:17], a[0:3]
	s_and_b64 vcc, exec, s[26:27]
	s_cbranch_vccz .LBB569_28
; %bb.18:
	v_lshlrev_b32_e32 v27, 1, v47
	s_and_b64 vcc, exec, s[14:15]
	s_cbranch_vccz .LBB569_44
; %bb.19:
	v_cmp_gt_i32_e32 vcc, s31, v27
	v_mov_b32_e32 v14, 0
	v_mov_b32_e32 v10, 0
	;; [unrolled: 1-line block ×5, first 2 shown]
	s_and_saveexec_b64 s[0:1], vcc
	s_cbranch_execz .LBB569_21
; %bb.20:
	v_mad_i64_i32 v[10:11], s[2:3], s23, v27, 0
	v_lshl_add_u64 v[10:11], v[10:11], 1, s[4:5]
	v_lshlrev_b32_e32 v12, 1, v26
	v_mov_b32_e32 v13, 0
	v_lshl_add_u64 v[10:11], v[10:11], 0, v[12:13]
	global_load_dwordx4 v[10:13], v[10:11], off
.LBB569_21:
	s_or_b64 exec, exec, s[0:1]
	v_or_b32_e32 v28, 1, v27
	v_cmp_gt_i32_e64 s[0:1], s31, v28
	v_mov_b32_e32 v15, 0
	v_mov_b32_e32 v16, 0
	v_mov_b32_e32 v17, 0
	s_and_saveexec_b64 s[2:3], s[0:1]
	s_cbranch_execz .LBB569_23
; %bb.22:
	v_mad_i64_i32 v[14:15], s[6:7], s23, v28, 0
	v_lshl_add_u64 v[14:15], v[14:15], 1, s[4:5]
	v_lshlrev_b32_e32 v16, 1, v26
	v_mov_b32_e32 v17, 0
	v_lshl_add_u64 v[14:15], v[14:15], 0, v[16:17]
	global_load_dwordx4 v[14:17], v[14:15], off
.LBB569_23:
	s_or_b64 exec, exec, s[2:3]
	v_mov_b32_e32 v25, 0
	v_mov_b32_e32 v18, 0
	v_mov_b32_e32 v19, 0
	v_mov_b32_e32 v20, 0
	v_mov_b32_e32 v21, 0
	s_and_saveexec_b64 s[2:3], vcc
	s_cbranch_execz .LBB569_25
; %bb.24:
	v_mad_i64_i32 v[18:19], s[6:7], s23, v27, 0
	v_lshl_add_u64 v[18:19], v[18:19], 1, s[4:5]
	v_lshlrev_b32_e32 v20, 1, v26
	v_mov_b32_e32 v21, 0
	v_lshl_add_u64 v[18:19], v[18:19], 0, v[20:21]
	global_load_dwordx4 v[18:21], v[18:19], off offset:128
.LBB569_25:
	s_or_b64 exec, exec, s[2:3]
	v_mov_b32_e32 v24, 0
	v_mov_b32_e32 v23, 0
	v_mov_b32_e32 v22, 0
	s_and_saveexec_b64 s[2:3], s[0:1]
	s_cbranch_execz .LBB569_27
; %bb.26:
	v_mad_i64_i32 v[22:23], s[0:1], s23, v28, 0
	v_lshl_add_u64 v[22:23], v[22:23], 1, s[4:5]
	v_lshlrev_b32_e32 v24, 1, v26
	v_mov_b32_e32 v25, 0
	v_lshl_add_u64 v[22:23], v[22:23], 0, v[24:25]
	global_load_dwordx4 v[22:25], v[22:23], off offset:128
.LBB569_27:
	s_or_b64 exec, exec, s[2:3]
	s_branch .LBB569_46
.LBB569_28:
                                        ; implicit-def: $vgpr13
                                        ; implicit-def: $vgpr17
                                        ; implicit-def: $vgpr21
                                        ; implicit-def: $vgpr25
	v_lshrrev_b32_e32 v45, 2, v45
	s_branch .LBB569_47
.LBB569_29:
                                        ; implicit-def: $vgpr10
                                        ; implicit-def: $vgpr11
                                        ; implicit-def: $sgpr26
	v_lshl_or_b32 v5, v63, 9, v5
.LBB569_30:
	v_or_b32_e32 v10, 0x100, v5
	s_movk_i32 s26, 0x4000
	v_mov_b32_e32 v11, v5
.LBB569_31:
	s_mul_hi_u32 s24, s22, s20
	s_mul_i32 s25, s58, s20
	s_add_i32 s24, s24, s25
	s_mul_i32 s25, s22, s20
	s_mul_i32 s27, s25, s3
	s_mul_hi_u32 s28, s25, s55
	s_add_i32 s27, s28, s27
	s_mul_i32 s24, s24, s55
	s_add_i32 s27, s27, s24
	s_mul_i32 s25, s25, s55
	s_ashr_i32 s63, s59, 31
	s_add_u32 s24, s25, s59
	s_addc_u32 s25, s27, s63
	s_lshl_b64 s[24:25], s[24:25], 8
	s_add_u32 s24, s12, s24
	s_addc_u32 s25, s13, s25
	s_and_b32 s25, s25, 0xffff
	s_mov_b32 s27, 0x20000
	s_movk_i32 s64, 0x80
	buffer_load_dwordx4 v[12:15], v11, s[24:27], 0 offen
	buffer_load_dwordx4 v[16:19], v11, s[24:27], s64 offen
	;; [unrolled: 1-line block ×4, first 2 shown]
	v_and_b32_e32 v10, 6, v0
	v_lshlrev_b32_e32 v28, 2, v56
	v_lshlrev_b32_e32 v29, 3, v56
	v_xor_b32_e32 v31, v63, v10
	v_and_b32_e32 v11, 1, v0
	s_mul_i32 s3, s3, s20
	s_mul_hi_u32 s24, s55, s20
	v_lshl_or_b32 v29, v59, 5, v29
	v_xor_b32_e32 v32, v59, v28
	v_lshlrev_b32_e32 v31, 2, v31
	v_or_b32_e32 v69, 0x9000, v29
	v_or_b32_e32 v70, 0x9800, v29
	v_lshlrev_b32_e32 v29, 1, v32
	v_xor_b32_e32 v32, 0x440, v31
	v_cmp_eq_u32_e32 vcc, 0, v11
	s_add_i32 s69, s24, s3
	s_add_i32 s3, s48, s33
	v_cndmask_b32_e32 v11, v32, v31, vcc
	s_add_i32 s24, s50, s49
	s_add_i32 s41, s3, s52
	s_mov_b32 s66, 0x1000504
	v_lshlrev_b32_e32 v30, 8, v56
	s_mov_b32 s26, 0x8000
	v_xor_b32_e32 v28, v60, v28
	v_lshl_or_b32 v10, v10, 10, v11
	s_add_i32 s39, s24, s51
	s_lshl_b64 s[24:25], s[40:41], 2
	s_mov_b32 s67, 0x3020706
	v_lshlrev_b32_e32 v28, 1, v28
	v_or3_b32 v71, v29, v30, s26
	v_xor_b32_e32 v11, 8, v10
	v_xor_b32_e32 v29, 24, v10
	v_xor_b32_e32 v31, 40, v10
	v_xor_b32_e32 v33, 56, v10
	s_add_u32 s3, s18, s24
	v_or3_b32 v72, v28, v30, s26
	v_xor_b32_e32 v28, 16, v10
	v_xor_b32_e32 v30, 32, v10
	;; [unrolled: 1-line block ×3, first 2 shown]
	v_add_u32_e32 v11, 0x80, v11
	v_add_u32_e32 v29, 0x80, v29
	;; [unrolled: 1-line block ×4, first 2 shown]
	s_addc_u32 s28, s19, s25
	s_lshl_b64 s[24:25], s[38:39], 2
	s_add_u32 s44, s3, s24
	s_movk_i32 s3, 0xf8
	s_addc_u32 s45, s28, s25
	v_ashrrev_i32_e32 v47, 31, v46
	s_lshl_b32 s30, s23, 7
	s_mov_b32 s65, 0
	s_mul_i32 s68, s55, s20
	s_mov_b32 s41, 0
	s_waitcnt vmcnt(1)
	v_perm_b32 v34, v12, v20, s66
	s_waitcnt vmcnt(0)
	v_perm_b32 v35, v16, v24, s66
	v_perm_b32 v12, v12, v20, s67
	;; [unrolled: 1-line block ×15, first 2 shown]
	ds_write2st64_b32 v10, v34, v35 offset1:32
	ds_write2st64_b32 v11, v12, v16 offset1:32
	ds_write2st64_b32 v28, v20, v24 offset0:1 offset1:33
	ds_write2st64_b32 v29, v13, v17 offset0:1 offset1:33
	;; [unrolled: 1-line block ×6, first 2 shown]
	v_or_b32_e32 v10, v54, v56
	v_lshlrev_b32_e32 v10, 3, v10
	v_lshrrev_b32_e32 v12, 5, v45
	v_and_or_b32 v12, v10, s3, v12
	v_lshlrev_b32_e32 v12, 4, v12
	v_lshlrev_b32_e32 v18, 11, v1
	v_and_b32_e32 v10, 0x78, v10
	v_or_b32_e32 v15, 32, v12
	v_and_b32_e32 v11, 0x1000, v18
	v_lshrrev_b32_e32 v19, 1, v0
	v_xor_b32_e32 v15, v15, v10
	v_and_b32_e32 v14, 8, v19
	v_or_b32_e32 v15, v15, v11
	v_xor_b32_e32 v13, v12, v10
	v_xor_b32_e32 v75, v15, v14
	v_or_b32_e32 v15, 64, v12
	v_or_b32_e32 v12, 0x60, v12
	v_xor_b32_e32 v15, v15, v10
	v_xor_b32_e32 v10, v12, v10
	v_or_b32_e32 v13, v13, v11
	v_or_b32_e32 v15, v15, v11
	;; [unrolled: 1-line block ×3, first 2 shown]
	v_xor_b32_e32 v73, v13, v14
	v_xor_b32_e32 v76, v15, v14
	;; [unrolled: 1-line block ×3, first 2 shown]
	v_lshrrev_b32_e32 v14, 4, v0
	v_lshlrev_b32_e32 v15, 1, v56
	s_ashr_i32 s3, s2, 31
	v_or_b32_e32 v16, 1, v15
	v_xor_b32_e32 v15, v14, v15
	s_lshl_b64 s[24:25], s[2:3], 8
	v_xor_b32_e32 v16, v16, v14
	v_lshlrev_b32_e32 v15, 3, v15
	v_lshlrev_b32_e32 v14, 8, v14
	v_lshlrev_b64 v[10:11], 1, v[46:47]
	s_add_u32 s24, s6, s24
	v_or3_b32 v47, v15, v14, s26
	v_lshlrev_b32_e32 v15, 3, v16
	s_addc_u32 s25, s7, s25
	v_or3_b32 v79, v15, v14, s26
	v_mov_b32_e32 v15, 0
	v_lshl_add_u64 v[16:17], s[24:25], 0, v[14:15]
	v_lshlrev_b32_e32 v14, 4, v56
	s_movk_i32 s3, 0xff
	v_lshlrev_b32_e32 v23, 3, v1
	v_and_b32_e32 v19, 24, v19
	v_lshl_add_u64 v[48:49], v[16:17], 0, v[14:15]
	v_and_b32_e32 v16, 8, v0
	v_cmp_lt_u32_e32 vcc, s3, v0
	v_xor_b32_e32 v24, v23, v19
	v_or_b32_e32 v25, 0x440, v24
	v_cndmask_b32_e64 v22, 0, 1, vcc
	v_cmp_eq_u32_e32 vcc, 0, v16
	v_and_b32_e32 v14, 7, v0
	v_lshlrev_b32_e32 v17, 3, v14
	v_cndmask_b32_e32 v16, v25, v24, vcc
	v_lshlrev_b32_e32 v14, 7, v14
	v_or_b32_e32 v16, v16, v18
	v_xad_u32 v80, v16, v17, v14
	v_or_b32_e32 v16, 32, v19
	v_xor_b32_e32 v16, v23, v16
	v_or_b32_e32 v24, 0x440, v16
	v_cndmask_b32_e32 v16, v24, v16, vcc
	v_or_b32_e32 v16, v16, v18
	v_xad_u32 v81, v16, v17, v14
	v_or_b32_e32 v16, 64, v19
	v_xor_b32_e32 v16, v23, v16
	v_xor_b32_e32 v24, 0x440, v16
	v_cndmask_b32_e32 v16, v24, v16, vcc
	v_or_b32_e32 v16, v16, v18
	v_xad_u32 v82, v16, v17, v14
	v_or_b32_e32 v16, 0x60, v19
	v_xor_b32_e32 v16, v23, v16
	v_xor_b32_e32 v19, 0x440, v16
	v_and_b32_e32 v13, 0x78, v57
	v_cndmask_b32_e32 v16, v19, v16, vcc
	v_lshl_or_b32 v13, v55, 7, v13
	v_or_b32_e32 v16, v16, v18
	v_or_b32_e32 v74, 0x9000, v13
	v_or_b32_e32 v78, 0x9800, v13
	v_lshl_add_u64 v[12:13], s[16:17], 0, v[10:11]
	v_lshl_add_u64 v[10:11], s[8:9], 0, v[10:11]
	v_lshlrev_b32_e32 v20, 1, v9
	v_add_lshl_u32 v9, v9, s23, 1
	v_or_b32_e32 v21, 0x100, v5
	v_lshlrev_b32_e32 v22, 13, v22
	v_xad_u32 v83, v16, v17, v14
	v_lshlrev_b32_e32 v14, 8, v59
	v_cndmask_b32_e64 v84, v20, v5, s[0:1]
	v_cndmask_b32_e64 v85, v9, v21, s[0:1]
	v_lshl_add_u64 v[50:51], v[12:13], 0, v[14:15]
	v_lshl_add_u64 v[52:53], v[10:11], 0, v[14:15]
	s_mov_b32 s3, 0x7060302
	s_movk_i32 s26, 0x4000
	v_add_u32_e32 v86, v22, v80
	v_add_u32_e32 v87, v22, v81
	;; [unrolled: 1-line block ×4, first 2 shown]
	s_waitcnt lgkmcnt(0)
	s_barrier
.LBB569_32:                             ; =>This Inner Loop Header: Depth=1
	s_add_i32 s39, s41, 1
	s_cmp_lt_i32 s39, s56
	s_mov_b64 s[28:29], 0
	s_cselect_b64 s[46:47], -1, 0
	s_cmp_ge_i32 s39, s56
	s_mov_b64 s[24:25], 0
	s_cbranch_scc1 .LBB569_34
; %bb.33:                               ;   in Loop: Header=BB569_32 Depth=1
	s_add_i32 s0, s65, 64
	s_add_u32 s0, s4, s0
	s_addc_u32 s1, s5, 0
	s_lshl_b64 s[0:1], s[0:1], 8
	s_add_u32 s24, s14, s0
	s_addc_u32 s25, s15, s1
.LBB569_34:                             ;   in Loop: Header=BB569_32 Depth=1
	v_cndmask_b32_e64 v5, 0, 1, s[46:47]
	v_cmp_ne_u32_e64 s[0:1], 1, v5
	s_andn2_b64 vcc, exec, s[46:47]
	s_cbranch_vccnz .LBB569_36
; %bb.35:                               ;   in Loop: Header=BB569_32 Depth=1
	s_add_i32 s28, s65, 64
	s_add_u32 s28, s68, s28
	s_addc_u32 s29, s69, 0
	s_mul_i32 s31, s28, s58
	s_mul_hi_u32 s46, s28, s62
	s_add_i32 s31, s46, s31
	s_mul_i32 s29, s29, s62
	s_add_i32 s31, s31, s29
	s_mul_i32 s28, s28, s62
	s_add_u32 s28, s28, s59
	s_addc_u32 s29, s31, s63
	s_lshl_b64 s[28:29], s[28:29], 8
	s_add_u32 s28, s12, s28
	s_addc_u32 s29, s13, s29
.LBB569_36:                             ;   in Loop: Header=BB569_32 Depth=1
	v_perm_b32 v11, v61, v4, s3
	v_perm_b32 v10, v3, v2, s3
	;; [unrolled: 1-line block ×4, first 2 shown]
	ds_write_b64 v69, v[10:11]
	ds_write_b64 v70, v[12:13]
	;; [unrolled: 1-line block ×4, first 2 shown]
	s_waitcnt lgkmcnt(0)
	s_barrier
	ds_read_b64 v[18:19], v73 offset:16384
	ds_read_b64 v[20:21], v75 offset:16384
	ds_read2st64_b64 v[10:13], v74 offset1:1
	ds_read2st64_b64 v[14:17], v74 offset0:2 offset1:3
	ds_read_b64 v[22:23], v76 offset:16384
	s_waitcnt lgkmcnt(2)
	v_mfma_f32_16x16x16_bf16 a[0:3], v[18:19], v[10:11], 0
	ds_read_b64 v[10:11], v77 offset:16384
	s_add_i32 s31, s65, 63
	s_mul_i32 s46, s31, s37
	v_mfma_f32_16x16x16_bf16 a[0:3], v[20:21], v[12:13], a[0:3]
	s_mul_hi_u32 s47, s31, s36
	s_add_i32 s47, s47, s46
	s_mul_i32 s46, s31, s36
	s_waitcnt lgkmcnt(1)
	v_mfma_f32_16x16x16_bf16 a[0:3], v[22:23], v[14:15], a[0:3]
	s_lshl_b64 s[46:47], s[46:47], 2
	s_add_u32 s46, s44, s46
	s_addc_u32 s47, s45, s47
	s_waitcnt lgkmcnt(0)
	v_mfma_f32_16x16x16_bf16 a[0:3], v[10:11], v[16:17], a[0:3]
	s_and_b64 vcc, exec, s[0:1]
	v_mov_b32_e32 v90, 0
	v_mov_b32_e32 v9, 0
	;; [unrolled: 1-line block ×19, first 2 shown]
	s_cbranch_vccnz .LBB569_38
; %bb.37:                               ;   in Loop: Header=BB569_32 Depth=1
	s_and_b32 s25, s25, 0xffff
	buffer_load_dwordx4 v[22:25], v65, s[24:27], 0 offen
	buffer_load_dwordx4 v[18:21], v65, s[24:27], s64 offen
	;; [unrolled: 1-line block ×4, first 2 shown]
	v_mov_b32_e32 v9, v67
	v_mov_b32_e32 v5, v68
.LBB569_38:                             ;   in Loop: Header=BB569_32 Depth=1
	s_waitcnt vmcnt(3)
	v_add_u32_e32 v32, s65, v59
	s_waitcnt vmcnt(1)
	v_ashrrev_i32_e32 v26, 31, v32
	v_mul_lo_u32 v28, v26, s36
	v_mul_lo_u32 v29, v32, s37
	v_mad_u64_u32 v[26:27], s[24:25], v32, s36, 0
	v_add3_u32 v27, v27, v29, v28
	v_add_u32_e32 v28, 1, v32
	v_ashrrev_i32_e32 v29, 31, v28
	v_mul_lo_u32 v30, v29, s36
	v_mul_lo_u32 v31, v28, s37
	v_mad_u64_u32 v[28:29], s[24:25], v28, s36, 0
	v_add3_u32 v29, v29, v31, v30
	v_add_u32_e32 v30, 2, v32
	v_ashrrev_i32_e32 v31, 31, v30
	v_mul_lo_u32 v33, v31, s36
	v_mul_lo_u32 v34, v30, s37
	v_mad_u64_u32 v[30:31], s[24:25], v30, s36, 0
	s_add_u32 s24, s4, s65
	v_add3_u32 v31, v31, v34, v33
	v_add_u32_e32 v34, 3, v32
	s_addc_u32 s25, s5, 0
	v_ashrrev_i32_e32 v32, 31, v34
	s_lshl_b64 s[70:71], s[24:25], 8
	v_lshl_add_u64 v[26:27], v[26:27], 2, s[44:45]
	v_mul_lo_u32 v35, v32, s36
	v_lshl_add_u64 v[32:33], v[50:51], 0, s[70:71]
	v_mul_lo_u32 v36, v34, s37
	global_load_ushort v96, v[32:33], off
	global_load_ushort v97, v[32:33], off offset:256
	global_load_ushort v98, v[32:33], off offset:512
	;; [unrolled: 1-line block ×3, first 2 shown]
	global_load_dword v100, v[26:27], off
	v_mad_u64_u32 v[26:27], s[24:25], v34, s36, 0
	v_lshl_add_u64 v[28:29], v[28:29], 2, s[44:45]
	v_add3_u32 v27, v27, v36, v35
	v_lshl_add_u64 v[30:31], v[30:31], 2, s[44:45]
	v_lshl_add_u64 v[26:27], v[26:27], 2, s[44:45]
	global_load_dword v101, v[28:29], off
	global_load_dword v102, v[30:31], off
	;; [unrolled: 1-line block ×3, first 2 shown]
	s_load_dword s24, s[46:47], 0x0
	ds_read_b64 v[34:35], v73 offset:24576
	ds_read2st64_b64 v[30:33], v78 offset1:1
	ds_read2st64_b64 v[36:39], v78 offset0:2 offset1:3
	ds_read_b64 v[40:41], v75 offset:24576
	ds_read_b64 v[92:93], v76 offset:24576
	;; [unrolled: 1-line block ×3, first 2 shown]
	s_waitcnt lgkmcnt(0)
	v_mfma_f32_16x16x16_bf16 a[0:3], v[34:35], v[30:31], a[0:3]
	v_mov_b32_e32 v91, 0
	v_mov_b32_e32 v26, 0
	;; [unrolled: 1-line block ×3, first 2 shown]
	v_mfma_f32_16x16x16_bf16 a[0:3], v[40:41], v[32:33], a[0:3]
	v_mov_b32_e32 v28, 0
	v_mov_b32_e32 v29, 0
	;; [unrolled: 1-line block ×3, first 2 shown]
	v_mfma_f32_16x16x16_bf16 a[0:3], v[92:93], v[36:37], a[0:3]
	v_lshl_add_u64 v[36:37], v[52:53], 0, s[70:71]
	v_mov_b32_e32 v31, 0
	v_mov_b32_e32 v32, 0
	v_mfma_f32_16x16x16_bf16 a[0:3], v[94:95], v[38:39], a[0:3]
	v_mov_b32_e32 v33, 0
	v_mov_b32_e32 v34, 0
	;; [unrolled: 1-line block ×3, first 2 shown]
	s_and_b64 vcc, exec, s[0:1]
	s_waitcnt vmcnt(7)
	v_lshlrev_b32_e32 v92, 16, v96
	s_nop 0
	v_accvgpr_read_b32 v41, a1
	v_accvgpr_read_b32 v39, a3
	;; [unrolled: 1-line block ×4, first 2 shown]
	s_waitcnt vmcnt(6)
	v_lshlrev_b32_e32 v93, 16, v97
	s_waitcnt vmcnt(4)
	v_lshlrev_b32_e32 v95, 16, v99
	v_lshlrev_b32_e32 v94, 16, v98
	s_waitcnt vmcnt(3)
	v_sub_f32_e32 v96, s24, v100
	v_pk_add_f32 v[40:41], v[92:93], v[40:41] neg_lo:[0,1] neg_hi:[0,1]
	v_pk_add_f32 v[38:39], v[94:95], v[38:39] neg_lo:[0,1] neg_hi:[0,1]
	s_waitcnt vmcnt(2)
	v_sub_f32_e32 v93, s24, v101
	s_waitcnt vmcnt(1)
	v_sub_f32_e32 v94, s24, v102
	;; [unrolled: 2-line block ×3, first 2 shown]
	v_exp_f32_e32 v92, v96
	v_exp_f32_e32 v93, v93
	;; [unrolled: 1-line block ×4, first 2 shown]
	global_store_short_d16_hi v[36:37], v40, off
	global_store_short_d16_hi v[36:37], v41, off offset:256
	global_store_short_d16_hi v[36:37], v38, off offset:512
	global_store_short_d16_hi v[36:37], v39, off offset:768
	v_pk_mul_f32 v[36:37], v[92:93], v[40:41]
	v_pk_mul_f32 v[38:39], v[94:95], v[38:39]
	v_perm_b32 v36, v37, v36, s3
	v_perm_b32 v37, v39, v38, s3
	ds_write_b64 v70, v[36:37]
	v_mov_b32_e32 v36, 0
	v_mov_b32_e32 v37, 0
	;; [unrolled: 1-line block ×6, first 2 shown]
	s_cbranch_vccnz .LBB569_40
; %bb.39:                               ;   in Loop: Header=BB569_32 Depth=1
	s_and_b32 s29, s29, 0xffff
	s_mov_b32 s31, s27
	buffer_load_dwordx4 v[38:41], v84, s[28:31], 0 offen
	buffer_load_dwordx4 v[30:33], v84, s[28:31], s64 offen
	;; [unrolled: 1-line block ×4, first 2 shown]
	v_mov_b32_e32 v90, v64
	v_mov_b32_e32 v91, v63
.LBB569_40:                             ;   in Loop: Header=BB569_32 Depth=1
	s_waitcnt lgkmcnt(0)
	s_barrier
	ds_read_b64 v[100:101], v86
	ds_read2st64_b64 v[92:95], v78 offset1:1
	ds_read2st64_b64 v[96:99], v78 offset0:2 offset1:3
	ds_read_b64 v[102:103], v87
	ds_read_b64 v[104:105], v88
	;; [unrolled: 1-line block ×3, first 2 shown]
	s_waitcnt lgkmcnt(4)
	v_mfma_f32_16x16x16_bf16 a[0:3], v[100:101], v[92:93], 0
	ds_read_b64 v[100:101], v80 offset:8192
	ds_read_b64 v[108:109], v81 offset:8192
	s_add_i32 s25, s60, s41
	s_mul_hi_i32 s29, s25, s21
	s_waitcnt lgkmcnt(1)
	v_mfma_f32_16x16x16_bf16 a[4:7], v[100:101], v[92:93], 0
	s_mul_i32 s25, s25, s21
	s_add_u32 s28, s25, s53
	s_addc_u32 s29, s29, s57
	v_mfma_f32_16x16x16_bf16 a[0:3], v[102:103], v[94:95], a[0:3]
	ds_read_b64 v[100:101], v47
	ds_read_b64 v[102:103], v79
	ds_read_b64 v[92:93], v82 offset:8192
	s_lshl_b64 s[28:29], s[28:29], 15
	v_mfma_f32_16x16x16_bf16 a[0:3], v[104:105], v[96:97], a[0:3]
	ds_read_b64 v[104:105], v83 offset:8192
	s_and_b64 vcc, exec, s[0:1]
	s_waitcnt lgkmcnt(4)
	v_mfma_f32_16x16x16_bf16 a[4:7], v[108:109], v[94:95], a[4:7]
	s_waitcnt lgkmcnt(1)
	v_mfma_f32_16x16x16_bf16 a[4:7], v[92:93], v[96:97], a[4:7]
	v_lshl_add_u64 v[92:93], v[48:49], 0, s[28:29]
	global_store_dwordx4 v[92:93], v[100:103], off
	v_mfma_f32_16x16x16_bf16 a[0:3], v[106:107], v[98:99], a[0:3]
	s_waitcnt lgkmcnt(0)
	v_mfma_f32_16x16x16_bf16 a[4:7], v[104:105], v[98:99], a[4:7]
	s_cbranch_vccnz .LBB569_42
; %bb.41:                               ;   in Loop: Header=BB569_32 Depth=1
	v_lshrrev_b32_e32 v92, 3, v90
	v_and_b32_e32 v92, 6, v92
	v_xor_b32_e32 v91, v92, v91
	v_lshlrev_b32_e32 v91, 2, v91
	v_and_b32_e32 v90, 8, v90
	v_xor_b32_e32 v93, 0x440, v91
	v_cmp_eq_u32_e32 vcc, 0, v90
	s_barrier
	s_nop 0
	v_cndmask_b32_e32 v90, v93, v91, vcc
	v_lshl_or_b32 v90, v92, 10, v90
	s_waitcnt vmcnt(2)
	v_perm_b32 v91, v38, v34, s66
	s_waitcnt vmcnt(1)
	v_perm_b32 v92, v30, v26, s66
	ds_write2st64_b32 v90, v91, v92 offset1:32
	v_xor_b32_e32 v91, 8, v90
	v_perm_b32 v34, v38, v34, s67
	v_perm_b32 v26, v30, v26, s67
	v_add_u32_e32 v30, 0x80, v91
	ds_write2st64_b32 v30, v34, v26 offset1:32
	v_xor_b32_e32 v26, 16, v90
	v_perm_b32 v30, v39, v35, s66
	v_perm_b32 v34, v31, v27, s66
	ds_write2st64_b32 v26, v30, v34 offset0:1 offset1:33
	v_xor_b32_e32 v26, 24, v90
	v_perm_b32 v30, v39, v35, s67
	v_perm_b32 v27, v31, v27, s67
	v_add_u32_e32 v26, 0x80, v26
	ds_write2st64_b32 v26, v30, v27 offset0:1 offset1:33
	v_xor_b32_e32 v26, 32, v90
	v_perm_b32 v27, v40, v36, s66
	v_perm_b32 v30, v32, v28, s66
	ds_write2st64_b32 v26, v27, v30 offset0:2 offset1:34
	v_xor_b32_e32 v26, 40, v90
	v_perm_b32 v27, v40, v36, s67
	v_perm_b32 v28, v32, v28, s67
	v_add_u32_e32 v26, 0x80, v26
	ds_write2st64_b32 v26, v27, v28 offset0:2 offset1:34
	;; [unrolled: 9-line block ×3, first 2 shown]
	ds_write_b64 v9, v[22:23] offset:16384
	v_xor_b32_e32 v22, 8, v9
	ds_write_b64 v22, v[24:25] offset:16384
	ds_write_b64 v9, v[18:19] offset:24576
	;; [unrolled: 1-line block ×4, first 2 shown]
	v_xor_b32_e32 v9, 8, v5
	ds_write_b64 v9, v[16:17] offset:16384
	ds_write_b64 v5, v[10:11] offset:24576
	;; [unrolled: 1-line block ×3, first 2 shown]
.LBB569_42:                             ;   in Loop: Header=BB569_32 Depth=1
	v_exp_f32_e32 v10, s24
	s_nop 2
	v_accvgpr_read_b32 v9, a1
	v_accvgpr_read_b32 v5, a0
	s_add_i32 s65, s65, 64
	v_fma_f32 v3, v3, v10, v9
	v_accvgpr_read_b32 v9, a4
	v_fma_f32 v6, v6, v10, v9
	v_accvgpr_read_b32 v9, a5
	;; [unrolled: 2-line block ×6, first 2 shown]
	v_fmac_f32_e32 v5, v61, v10
	s_cmp_eq_u32 s56, s39
	v_fmac_f32_e32 v9, v62, v10
	s_cbranch_scc1 .LBB569_4
; %bb.43:                               ;   in Loop: Header=BB569_32 Depth=1
	s_mov_b32 s41, s39
	v_mov_b32_e32 v61, v5
	v_mov_b32_e32 v62, v9
	s_branch .LBB569_32
.LBB569_44:
                                        ; implicit-def: $vgpr13
                                        ; implicit-def: $vgpr17
                                        ; implicit-def: $vgpr21
                                        ; implicit-def: $vgpr25
	s_cbranch_execz .LBB569_46
; %bb.45:
	s_waitcnt vmcnt(0)
	v_mad_u64_u32 v[10:11], s[0:1], v27, s23, v[26:27]
	v_lshlrev_b32_e32 v27, 1, v10
	s_lshl_b32 s2, s23, 7
	s_and_b32 s1, s5, 0xffff
	s_mov_b32 s3, 0x20000
	s_mov_b32 s0, s4
	v_add_lshl_u32 v28, v10, s23, 1
	s_movk_i32 s6, 0x80
	buffer_load_dwordx4 v[10:13], v27, s[0:3], 0 offen
	buffer_load_dwordx4 v[18:21], v27, s[0:3], s6 offen
	;; [unrolled: 1-line block ×4, first 2 shown]
.LBB569_46:
	v_lshrrev_b32_e32 v45, 2, v45
	s_cbranch_execnz .LBB569_59
.LBB569_47:
	s_and_b64 vcc, exec, s[14:15]
	s_cbranch_vccz .LBB569_57
; %bb.48:
	s_waitcnt vmcnt(0)
	v_lshlrev_b32_e32 v15, 1, v47
	v_cmp_gt_i32_e32 vcc, s31, v15
	v_mov_b32_e32 v14, 0
	v_lshlrev_b32_e32 v22, 9, v47
	v_mov_b32_e32 v10, 0
	v_mov_b32_e32 v11, 0
	;; [unrolled: 1-line block ×4, first 2 shown]
	s_and_saveexec_b64 s[0:1], vcc
	s_cbranch_execz .LBB569_50
; %bb.49:
	v_mov_b32_e32 v23, 0
	v_lshl_add_u64 v[10:11], s[4:5], 0, v[22:23]
	v_lshlrev_b32_e32 v12, 1, v26
	v_mov_b32_e32 v13, v23
	v_lshl_add_u64 v[10:11], v[10:11], 0, v[12:13]
	global_load_dwordx4 v[10:13], v[10:11], off
.LBB569_50:
	s_or_b64 exec, exec, s[0:1]
	v_or_b32_e32 v15, 1, v15
	v_cmp_gt_i32_e64 s[0:1], s31, v15
	v_lshlrev_b32_e32 v28, 8, v15
	v_mov_b32_e32 v15, 0
	v_mov_b32_e32 v16, 0
	;; [unrolled: 1-line block ×3, first 2 shown]
	s_and_saveexec_b64 s[2:3], s[0:1]
	s_cbranch_execz .LBB569_52
; %bb.51:
	v_mov_b32_e32 v29, 0
	v_lshl_add_u64 v[14:15], s[4:5], 0, v[28:29]
	v_lshlrev_b32_e32 v16, 1, v26
	v_mov_b32_e32 v17, v29
	v_lshl_add_u64 v[14:15], v[14:15], 0, v[16:17]
	global_load_dwordx4 v[14:17], v[14:15], off
.LBB569_52:
	s_or_b64 exec, exec, s[2:3]
	v_mov_b32_e32 v25, 0
	v_mov_b32_e32 v18, 0
	;; [unrolled: 1-line block ×5, first 2 shown]
	s_and_saveexec_b64 s[2:3], vcc
	s_cbranch_execz .LBB569_54
; %bb.53:
	v_mov_b32_e32 v23, 0
	v_lshl_add_u64 v[18:19], s[4:5], 0, v[22:23]
	v_lshlrev_b32_e32 v22, 1, v26
	v_lshl_add_u64 v[18:19], v[18:19], 0, v[22:23]
	global_load_dwordx4 v[18:21], v[18:19], off offset:128
.LBB569_54:
	s_or_b64 exec, exec, s[2:3]
	v_mov_b32_e32 v24, 0
	v_mov_b32_e32 v23, 0
	;; [unrolled: 1-line block ×3, first 2 shown]
	s_and_saveexec_b64 s[2:3], s[0:1]
	s_cbranch_execz .LBB569_56
; %bb.55:
	v_mov_b32_e32 v29, 0
	v_lshl_add_u64 v[22:23], s[4:5], 0, v[28:29]
	v_lshlrev_b32_e32 v28, 1, v26
	v_lshl_add_u64 v[22:23], v[22:23], 0, v[28:29]
	global_load_dwordx4 v[22:25], v[22:23], off offset:128
.LBB569_56:
	s_or_b64 exec, exec, s[2:3]
	s_branch .LBB569_59
.LBB569_57:
                                        ; implicit-def: $vgpr13
                                        ; implicit-def: $vgpr17
                                        ; implicit-def: $vgpr21
                                        ; implicit-def: $vgpr25
	s_cbranch_execz .LBB569_59
; %bb.58:
	s_waitcnt vmcnt(0)
	v_lshlrev_b32_e32 v10, 1, v26
	v_lshl_or_b32 v26, v47, 9, v10
	s_and_b32 s5, s5, 0xffff
	s_mov_b32 s7, 0x20000
	s_movk_i32 s6, 0x4000
	s_movk_i32 s0, 0x80
	buffer_load_dwordx4 v[10:13], v26, s[4:7], 0 offen
	buffer_load_dwordx4 v[14:17], v26, s[4:7], 0 offen offset:256
	buffer_load_dwordx4 v[18:21], v26, s[4:7], s0 offen
	buffer_load_dwordx4 v[22:25], v26, s[4:7], s0 offen offset:256
.LBB569_59:
	ds_read2st64_b64 v[30:33], v50 offset0:76 offset1:77
	ds_read2st64_b64 v[26:29], v50 offset0:78 offset1:79
	ds_read_b64 v[40:41], v34 offset:24576
	ds_read_b64 v[38:39], v35 offset:24576
	;; [unrolled: 1-line block ×4, first 2 shown]
	v_and_b32_e32 v51, 6, v0
	v_xor_b32_e32 v47, v47, v51
	v_lshlrev_b32_e32 v47, 2, v47
	v_and_b32_e32 v52, 1, v0
	v_xor_b32_e32 v53, 0x440, v47
	v_cmp_eq_u32_e32 vcc, 0, v52
	s_mov_b32 s0, 0x1000504
	s_waitcnt vmcnt(0)
	v_perm_b32 v52, v18, v22, s0
	v_cndmask_b32_e32 v47, v53, v47, vcc
	v_lshl_or_b32 v47, v51, 10, v47
	v_perm_b32 v51, v10, v14, s0
	ds_write2st64_b32 v47, v51, v52 offset1:32
	v_xor_b32_e32 v51, 8, v47
	s_mov_b32 s1, 0x3020706
	v_perm_b32 v10, v10, v14, s1
	v_perm_b32 v14, v18, v22, s1
	v_add_u32_e32 v18, 0x80, v51
	ds_write2st64_b32 v18, v10, v14 offset1:32
	v_xor_b32_e32 v10, 16, v47
	v_perm_b32 v14, v11, v15, s0
	v_perm_b32 v18, v19, v23, s0
	ds_write2st64_b32 v10, v14, v18 offset0:1 offset1:33
	v_xor_b32_e32 v10, 24, v47
	v_perm_b32 v11, v11, v15, s1
	v_perm_b32 v14, v19, v23, s1
	v_add_u32_e32 v10, 0x80, v10
	ds_write2st64_b32 v10, v11, v14 offset0:1 offset1:33
	v_xor_b32_e32 v10, 32, v47
	v_perm_b32 v11, v12, v16, s0
	v_perm_b32 v14, v20, v24, s0
	ds_write2st64_b32 v10, v11, v14 offset0:2 offset1:34
	v_xor_b32_e32 v10, 40, v47
	v_perm_b32 v11, v12, v16, s1
	v_perm_b32 v12, v20, v24, s1
	v_add_u32_e32 v10, 0x80, v10
	ds_write2st64_b32 v10, v11, v12 offset0:2 offset1:34
	v_xor_b32_e32 v10, 48, v47
	v_perm_b32 v11, v13, v17, s0
	v_perm_b32 v12, v21, v25, s0
	ds_write2st64_b32 v10, v11, v12 offset0:3 offset1:35
	v_xor_b32_e32 v10, 56, v47
	v_and_or_b32 v18, v45, 12, v54
	v_perm_b32 v11, v13, v17, s1
	v_perm_b32 v12, v21, v25, s1
	v_add_u32_e32 v10, 0x80, v10
	v_cmp_gt_i32_e64 s[2:3], s31, v18
	v_mov_b32_e32 v20, 0
	v_mov_b32_e32 v25, 0
	ds_write2st64_b32 v10, v11, v12 offset0:3 offset1:35
	s_and_saveexec_b64 s[0:1], s[2:3]
	s_cbranch_execz .LBB569_61
; %bb.60:
	v_add_u32_e32 v10, s30, v18
	v_ashrrev_i32_e32 v11, 31, v10
	v_mul_lo_u32 v12, v11, s36
	v_mul_lo_u32 v13, v10, s37
	v_mad_u64_u32 v[10:11], s[4:5], v10, s36, 0
	v_add3_u32 v11, v11, v13, v12
	v_lshl_add_u64 v[10:11], v[10:11], 2, s[12:13]
	global_load_dword v10, v[10:11], off
	s_waitcnt vmcnt(0)
	v_sub_f32_e32 v10, s18, v10
	v_exp_f32_e32 v25, v10
.LBB569_61:
	s_or_b64 exec, exec, s[0:1]
	v_or_b32_e32 v23, 1, v18
	v_cmp_gt_i32_e64 s[4:5], s31, v23
	s_and_saveexec_b64 s[0:1], s[4:5]
	s_cbranch_execz .LBB569_63
; %bb.62:
	v_add_u32_e32 v10, s30, v23
	v_ashrrev_i32_e32 v11, 31, v10
	v_mul_lo_u32 v12, v11, s36
	v_mul_lo_u32 v13, v10, s37
	v_mad_u64_u32 v[10:11], s[6:7], v10, s36, 0
	v_add3_u32 v11, v11, v13, v12
	v_lshl_add_u64 v[10:11], v[10:11], 2, s[12:13]
	global_load_dword v10, v[10:11], off
	s_waitcnt vmcnt(0)
	v_sub_f32_e32 v10, s18, v10
	v_exp_f32_e32 v20, v10
.LBB569_63:
	s_or_b64 exec, exec, s[0:1]
	v_or_b32_e32 v22, 2, v18
	v_cmp_gt_i32_e64 s[0:1], s31, v22
	v_mov_b32_e32 v19, 0
	v_mov_b32_e32 v24, 0
	s_and_saveexec_b64 s[6:7], s[0:1]
	s_cbranch_execz .LBB569_65
; %bb.64:
	v_add_u32_e32 v10, s30, v22
	v_ashrrev_i32_e32 v11, 31, v10
	v_mul_lo_u32 v12, v11, s36
	v_mul_lo_u32 v13, v10, s37
	v_mad_u64_u32 v[10:11], s[14:15], v10, s36, 0
	v_add3_u32 v11, v11, v13, v12
	v_lshl_add_u64 v[10:11], v[10:11], 2, s[12:13]
	global_load_dword v10, v[10:11], off
	s_waitcnt vmcnt(0)
	v_sub_f32_e32 v10, s18, v10
	v_exp_f32_e32 v24, v10
.LBB569_65:
	s_or_b64 exec, exec, s[6:7]
	v_or_b32_e32 v21, 3, v18
	v_cmp_gt_i32_e32 vcc, s31, v21
	s_and_saveexec_b64 s[6:7], vcc
	s_cbranch_execz .LBB569_67
; %bb.66:
	v_add_u32_e32 v10, s30, v21
	v_ashrrev_i32_e32 v11, 31, v10
	v_mul_lo_u32 v12, v11, s36
	v_mul_lo_u32 v13, v10, s37
	v_mad_u64_u32 v[10:11], s[14:15], v10, s36, 0
	v_add3_u32 v11, v11, v13, v12
	v_lshl_add_u64 v[10:11], v[10:11], 2, s[12:13]
	global_load_dword v10, v[10:11], off
	s_waitcnt vmcnt(0)
	v_sub_f32_e32 v10, s18, v10
	v_exp_f32_e32 v19, v10
.LBB569_67:
	s_or_b64 exec, exec, s[6:7]
	s_waitcnt lgkmcnt(11)
	v_mfma_f32_16x16x16_bf16 a[0:3], v[40:41], v[30:31], a[0:3]
	s_add_u32 s6, s16, s24
	v_ashrrev_i32_e32 v47, 31, v46
	s_addc_u32 s7, s17, s25
	s_waitcnt lgkmcnt(10)
	v_mfma_f32_16x16x16_bf16 a[0:3], v[38:39], v[32:33], a[0:3]
	v_lshlrev_b64 v[10:11], 1, v[46:47]
	v_lshl_add_u64 v[14:15], s[6:7], 0, v[10:11]
	s_add_u32 s6, s8, s24
	s_waitcnt lgkmcnt(9)
	v_mfma_f32_16x16x16_bf16 a[0:3], v[36:37], v[26:27], a[0:3]
	s_addc_u32 s7, s9, s25
	v_lshl_add_u64 v[16:17], s[6:7], 0, v[10:11]
	v_mov_b32_e32 v26, 0
	s_waitcnt lgkmcnt(8)
	v_mfma_f32_16x16x16_bf16 a[0:3], v[34:35], v[28:29], a[0:3]
	v_mov_b32_e32 v27, 0
	s_nop 5
	v_accvgpr_read_b32 v13, a3
	v_accvgpr_read_b32 v12, a2
	;; [unrolled: 1-line block ×4, first 2 shown]
	s_and_saveexec_b64 s[6:7], s[2:3]
	s_cbranch_execz .LBB569_69
; %bb.68:
	v_lshlrev_b32_e32 v28, 8, v18
	v_mov_b32_e32 v29, 0
	v_lshl_add_u64 v[30:31], v[14:15], 0, v[28:29]
	global_load_ushort v27, v[30:31], off
	v_lshl_add_u64 v[28:29], v[16:17], 0, v[28:29]
	s_waitcnt vmcnt(0)
	v_lshlrev_b32_e32 v27, 16, v27
	v_sub_f32_e32 v10, v27, v10
	global_store_short_d16_hi v[28:29], v10, off
	v_mul_f32_e32 v10, v25, v10
	v_lshrrev_b32_e32 v27, 16, v10
.LBB569_69:
	s_or_b64 exec, exec, s[6:7]
	s_and_saveexec_b64 s[2:3], s[4:5]
	s_cbranch_execz .LBB569_71
; %bb.70:
	v_lshlrev_b32_e32 v28, 8, v23
	v_mov_b32_e32 v29, 0
	v_lshl_add_u64 v[30:31], v[14:15], 0, v[28:29]
	global_load_ushort v10, v[30:31], off
	v_lshl_add_u64 v[28:29], v[16:17], 0, v[28:29]
	s_waitcnt vmcnt(0)
	v_lshlrev_b32_e32 v10, 16, v10
	v_sub_f32_e32 v10, v10, v11
	global_store_short_d16_hi v[28:29], v10, off
	v_mul_f32_e32 v10, v20, v10
	v_lshrrev_b32_e32 v26, 16, v10
.LBB569_71:
	s_or_b64 exec, exec, s[2:3]
	v_mov_b32_e32 v11, 0
	v_mov_b32_e32 v20, 0
	s_and_saveexec_b64 s[2:3], s[0:1]
	s_cbranch_execz .LBB569_73
; %bb.72:
	v_lshlrev_b32_e32 v22, 8, v22
	v_mov_b32_e32 v23, 0
	v_lshl_add_u64 v[28:29], v[14:15], 0, v[22:23]
	global_load_ushort v10, v[28:29], off
	v_lshl_add_u64 v[22:23], v[16:17], 0, v[22:23]
	s_waitcnt vmcnt(0)
	v_lshlrev_b32_e32 v10, 16, v10
	v_sub_f32_e32 v10, v10, v12
	global_store_short_d16_hi v[22:23], v10, off
	v_mul_f32_e32 v10, v24, v10
	v_lshrrev_b32_e32 v20, 16, v10
.LBB569_73:
	s_or_b64 exec, exec, s[2:3]
	v_or_b32_e32 v10, 0x9800, v50
	s_and_saveexec_b64 s[0:1], vcc
	s_cbranch_execz .LBB569_75
; %bb.74:
	v_lshlrev_b32_e32 v22, 8, v21
	v_mov_b32_e32 v23, 0
	v_lshl_add_u64 v[14:15], v[14:15], 0, v[22:23]
	global_load_ushort v11, v[14:15], off
	v_lshl_add_u64 v[14:15], v[16:17], 0, v[22:23]
	s_waitcnt vmcnt(0)
	v_lshlrev_b32_e32 v11, 16, v11
	v_sub_f32_e32 v11, v11, v13
	global_store_short_d16_hi v[14:15], v11, off
	v_mul_f32_e32 v11, v19, v11
	v_lshrrev_b32_e32 v11, 16, v11
.LBB569_75:
	s_or_b64 exec, exec, s[0:1]
	s_mov_b32 s0, 0x5040100
	v_perm_b32 v13, v11, v20, s0
	v_lshlrev_b32_e32 v11, 1, v48
	v_perm_b32 v12, v26, v27, s0
	v_lshl_or_b32 v11, v18, 5, v11
	s_movk_i32 s0, 0xff
	ds_write_b64 v11, v[12:13] offset:38912
	v_and_b32_e32 v11, 7, v0
	v_and_b32_e32 v12, 8, v0
	v_cmp_lt_u32_e32 vcc, s0, v0
	v_lshrrev_b32_e32 v0, 1, v0
	v_lshlrev_b32_e32 v22, 3, v1
	v_and_b32_e32 v23, 24, v0
	v_xor_b32_e32 v0, v22, v23
	v_cndmask_b32_e64 v13, 0, 1, vcc
	v_or_b32_e32 v1, 0x440, v0
	v_cmp_eq_u32_e32 vcc, 0, v12
	v_lshlrev_b32_e32 v20, 3, v11
	v_lshlrev_b32_e32 v11, 7, v11
	v_cndmask_b32_e32 v0, v1, v0, vcc
	v_or_b32_e32 v0, v0, v49
	v_lshlrev_b32_e32 v21, 13, v13
	v_xad_u32 v24, v0, v20, v11
	v_add_u32_e32 v0, v21, v24
	s_waitcnt lgkmcnt(0)
	s_barrier
	ds_read_b64 v[0:1], v0
	ds_read2st64_b64 v[12:15], v10 offset1:1
	ds_read2st64_b64 v[16:19], v10 offset0:2 offset1:3
	s_waitcnt lgkmcnt(1)
	v_mfma_f32_16x16x16_bf16 a[0:3], v[0:1], v[12:13], 0
	v_or_b32_e32 v0, 32, v23
	v_xor_b32_e32 v0, v22, v0
	v_or_b32_e32 v1, 0x440, v0
	v_cndmask_b32_e32 v0, v1, v0, vcc
	v_or_b32_e32 v0, v0, v49
	v_xad_u32 v25, v0, v20, v11
	v_add_u32_e32 v0, v21, v25
	ds_read_b64 v[0:1], v0
	v_or_b32_e32 v10, 0x60, v23
	s_waitcnt lgkmcnt(0)
	v_mfma_f32_16x16x16_bf16 a[0:3], v[0:1], v[14:15], a[0:3]
	v_or_b32_e32 v0, 64, v23
	v_xor_b32_e32 v0, v22, v0
	v_xor_b32_e32 v1, 0x440, v0
	v_cndmask_b32_e32 v0, v1, v0, vcc
	v_or_b32_e32 v0, v0, v49
	v_xad_u32 v26, v0, v20, v11
	v_xor_b32_e32 v10, v22, v10
	v_add_u32_e32 v0, v21, v26
	v_xor_b32_e32 v22, 0x440, v10
	ds_read_b64 v[0:1], v0
	v_cndmask_b32_e32 v10, v22, v10, vcc
	v_or_b32_e32 v10, v10, v49
	v_xad_u32 v22, v10, v20, v11
	v_add_u32_e32 v10, v21, v22
	ds_read_b64 v[10:11], v10
	s_waitcnt lgkmcnt(1)
	v_mfma_f32_16x16x16_bf16 a[0:3], v[0:1], v[16:17], a[0:3]
	ds_read_b64 v[0:1], v24 offset:8192
	ds_read_b64 v[20:21], v26 offset:8192
	v_exp_f32_e32 v23, s18
	s_waitcnt lgkmcnt(2)
	v_mfma_f32_16x16x16_bf16 a[0:3], v[10:11], v[18:19], a[0:3]
	ds_read_b64 v[10:11], v25 offset:8192
	s_waitcnt lgkmcnt(2)
	v_mfma_f32_16x16x16_bf16 a[4:7], v[0:1], v[12:13], 0
	ds_read_b64 v[12:13], v22 offset:8192
	s_nop 2
	v_accvgpr_read_b32 v0, a0
	v_accvgpr_read_b32 v1, a1
	s_waitcnt lgkmcnt(1)
	v_mfma_f32_16x16x16_bf16 a[4:7], v[10:11], v[14:15], a[4:7]
	v_fma_f32 v0, v2, v23, v0
	v_fma_f32 v1, v3, v23, v1
	v_accvgpr_read_b32 v2, a2
	v_mfma_f32_16x16x16_bf16 a[4:7], v[20:21], v[16:17], a[4:7]
	v_accvgpr_read_b32 v3, a3
	v_fma_f32 v2, v4, v23, v2
	v_fmac_f32_e32 v3, v5, v23
	s_waitcnt lgkmcnt(0)
	v_mfma_f32_16x16x16_bf16 a[0:3], v[12:13], v[18:19], a[4:7]
	s_nop 6
	v_accvgpr_read_b32 v4, a0
	v_accvgpr_read_b32 v5, a1
	v_fma_f32 v4, v6, v23, v4
	v_fma_f32 v5, v7, v23, v5
	v_accvgpr_read_b32 v6, a2
	v_accvgpr_read_b32 v7, a3
	v_fma_f32 v6, v8, v23, v6
	v_fmac_f32_e32 v7, v9, v23
	v_mov_b64_e32 v[8:9], v[6:7]
	v_mov_b64_e32 v[6:7], v[4:5]
	;; [unrolled: 1-line block ×4, first 2 shown]
.LBB569_76:
	s_add_u32 s0, s10, s34
	s_addc_u32 s1, s11, s35
	v_lshl_add_u64 v[0:1], v[42:43], 1, s[0:1]
	v_mov_b32_e32 v45, 0
	s_mov_b32 s0, 0x7060302
	v_lshl_add_u64 v[0:1], v[0:1], 0, v[44:45]
	v_perm_b32 v5, v5, v4, s0
	v_perm_b32 v4, v3, v2, s0
	;; [unrolled: 1-line block ×4, first 2 shown]
	global_store_dwordx2 v[0:1], v[4:5], off
	global_store_dwordx2 v[0:1], v[2:3], off offset:128
	s_endpgm
	.section	.rodata,"a",@progbits
	.p2align	6, 0x0
	.amdhsa_kernel _ZN12_GLOBAL__N_139chunk_gated_delta_rule_fwd_h_hip_kernelILi16ELb1ELb1ELb1ELb0ELb1ELb0ELb0ELb1EEEvPK12hip_bfloat16S3_S3_PKfS5_PKvPS1_S8_PvPKiSB_iiiiilll
		.amdhsa_group_segment_fixed_size 40960
		.amdhsa_private_segment_fixed_size 0
		.amdhsa_kernarg_size 136
		.amdhsa_user_sgpr_count 2
		.amdhsa_user_sgpr_dispatch_ptr 0
		.amdhsa_user_sgpr_queue_ptr 0
		.amdhsa_user_sgpr_kernarg_segment_ptr 1
		.amdhsa_user_sgpr_dispatch_id 0
		.amdhsa_user_sgpr_kernarg_preload_length 0
		.amdhsa_user_sgpr_kernarg_preload_offset 0
		.amdhsa_user_sgpr_private_segment_size 0
		.amdhsa_uses_dynamic_stack 0
		.amdhsa_enable_private_segment 0
		.amdhsa_system_sgpr_workgroup_id_x 1
		.amdhsa_system_sgpr_workgroup_id_y 1
		.amdhsa_system_sgpr_workgroup_id_z 0
		.amdhsa_system_sgpr_workgroup_info 0
		.amdhsa_system_vgpr_workitem_id 0
		.amdhsa_next_free_vgpr 120
		.amdhsa_next_free_sgpr 72
		.amdhsa_accum_offset 112
		.amdhsa_reserve_vcc 1
		.amdhsa_float_round_mode_32 0
		.amdhsa_float_round_mode_16_64 0
		.amdhsa_float_denorm_mode_32 3
		.amdhsa_float_denorm_mode_16_64 3
		.amdhsa_dx10_clamp 1
		.amdhsa_ieee_mode 1
		.amdhsa_fp16_overflow 0
		.amdhsa_tg_split 0
		.amdhsa_exception_fp_ieee_invalid_op 0
		.amdhsa_exception_fp_denorm_src 0
		.amdhsa_exception_fp_ieee_div_zero 0
		.amdhsa_exception_fp_ieee_overflow 0
		.amdhsa_exception_fp_ieee_underflow 0
		.amdhsa_exception_fp_ieee_inexact 0
		.amdhsa_exception_int_div_zero 0
	.end_amdhsa_kernel
	.section	.text._ZN12_GLOBAL__N_139chunk_gated_delta_rule_fwd_h_hip_kernelILi16ELb1ELb1ELb1ELb0ELb1ELb0ELb0ELb1EEEvPK12hip_bfloat16S3_S3_PKfS5_PKvPS1_S8_PvPKiSB_iiiiilll,"axG",@progbits,_ZN12_GLOBAL__N_139chunk_gated_delta_rule_fwd_h_hip_kernelILi16ELb1ELb1ELb1ELb0ELb1ELb0ELb0ELb1EEEvPK12hip_bfloat16S3_S3_PKfS5_PKvPS1_S8_PvPKiSB_iiiiilll,comdat
.Lfunc_end569:
	.size	_ZN12_GLOBAL__N_139chunk_gated_delta_rule_fwd_h_hip_kernelILi16ELb1ELb1ELb1ELb0ELb1ELb0ELb0ELb1EEEvPK12hip_bfloat16S3_S3_PKfS5_PKvPS1_S8_PvPKiSB_iiiiilll, .Lfunc_end569-_ZN12_GLOBAL__N_139chunk_gated_delta_rule_fwd_h_hip_kernelILi16ELb1ELb1ELb1ELb0ELb1ELb0ELb0ELb1EEEvPK12hip_bfloat16S3_S3_PKfS5_PKvPS1_S8_PvPKiSB_iiiiilll
                                        ; -- End function
	.section	.AMDGPU.csdata,"",@progbits
; Kernel info:
; codeLenInByte = 7928
; NumSgprs: 78
; NumVgprs: 110
; NumAgprs: 8
; TotalNumVgprs: 120
; ScratchSize: 0
; MemoryBound: 0
; FloatMode: 240
; IeeeMode: 1
; LDSByteSize: 40960 bytes/workgroup (compile time only)
; SGPRBlocks: 9
; VGPRBlocks: 14
; NumSGPRsForWavesPerEU: 78
; NumVGPRsForWavesPerEU: 120
; AccumOffset: 112
; Occupancy: 1
; WaveLimiterHint : 1
; COMPUTE_PGM_RSRC2:SCRATCH_EN: 0
; COMPUTE_PGM_RSRC2:USER_SGPR: 2
; COMPUTE_PGM_RSRC2:TRAP_HANDLER: 0
; COMPUTE_PGM_RSRC2:TGID_X_EN: 1
; COMPUTE_PGM_RSRC2:TGID_Y_EN: 1
; COMPUTE_PGM_RSRC2:TGID_Z_EN: 0
; COMPUTE_PGM_RSRC2:TIDIG_COMP_CNT: 0
; COMPUTE_PGM_RSRC3_GFX90A:ACCUM_OFFSET: 27
; COMPUTE_PGM_RSRC3_GFX90A:TG_SPLIT: 0
	.section	.text._ZN12_GLOBAL__N_139chunk_gated_delta_rule_fwd_h_hip_kernelILi16ELb1ELb1ELb0ELb0ELb1ELb0ELb0ELb1EEEvPK12hip_bfloat16S3_S3_PKfS5_PKvPS1_S8_PvPKiSB_iiiiilll,"axG",@progbits,_ZN12_GLOBAL__N_139chunk_gated_delta_rule_fwd_h_hip_kernelILi16ELb1ELb1ELb0ELb0ELb1ELb0ELb0ELb1EEEvPK12hip_bfloat16S3_S3_PKfS5_PKvPS1_S8_PvPKiSB_iiiiilll,comdat
	.globl	_ZN12_GLOBAL__N_139chunk_gated_delta_rule_fwd_h_hip_kernelILi16ELb1ELb1ELb0ELb0ELb1ELb0ELb0ELb1EEEvPK12hip_bfloat16S3_S3_PKfS5_PKvPS1_S8_PvPKiSB_iiiiilll ; -- Begin function _ZN12_GLOBAL__N_139chunk_gated_delta_rule_fwd_h_hip_kernelILi16ELb1ELb1ELb0ELb0ELb1ELb0ELb0ELb1EEEvPK12hip_bfloat16S3_S3_PKfS5_PKvPS1_S8_PvPKiSB_iiiiilll
	.p2align	8
	.type	_ZN12_GLOBAL__N_139chunk_gated_delta_rule_fwd_h_hip_kernelILi16ELb1ELb1ELb0ELb0ELb1ELb0ELb0ELb1EEEvPK12hip_bfloat16S3_S3_PKfS5_PKvPS1_S8_PvPKiSB_iiiiilll,@function
_ZN12_GLOBAL__N_139chunk_gated_delta_rule_fwd_h_hip_kernelILi16ELb1ELb1ELb0ELb0ELb1ELb0ELb0ELb1EEEvPK12hip_bfloat16S3_S3_PKfS5_PKvPS1_S8_PvPKiSB_iiiiilll: ; @_ZN12_GLOBAL__N_139chunk_gated_delta_rule_fwd_h_hip_kernelILi16ELb1ELb1ELb0ELb0ELb1ELb0ELb0ELb1EEEvPK12hip_bfloat16S3_S3_PKfS5_PKvPS1_S8_PvPKiSB_iiiiilll
; %bb.0:
	s_load_dwordx4 s[12:15], s[0:1], 0x5c
	s_load_dwordx4 s[20:23], s[0:1], 0x70
	s_abs_i32 s6, s3
	s_ashr_i32 s5, s3, 31
	s_load_dwordx4 s[16:19], s[0:1], 0x28
	s_waitcnt lgkmcnt(0)
	s_abs_i32 s4, s13
	v_cvt_f32_u32_e32 v1, s4
	s_sub_i32 s8, 0, s4
	s_ashr_i32 s7, s13, 31
	s_xor_b32 s5, s5, s7
	v_rcp_iflag_f32_e32 v1, v1
	v_and_b32_e32 v54, 15, v0
	v_bfe_u32 v53, v0, 4, 2
	v_mov_b32_e32 v45, 0
	v_mul_f32_e32 v1, 0x4f7ffffe, v1
	v_cvt_u32_f32_e32 v1, v1
	v_lshlrev_b32_e32 v55, 3, v0
	v_readfirstlane_b32 s9, v1
	s_mul_i32 s8, s8, s9
	s_mul_hi_u32 s8, s9, s8
	s_add_i32 s9, s9, s8
	s_mul_hi_u32 s8, s6, s9
	s_mul_i32 s9, s8, s4
	s_sub_i32 s6, s6, s9
	s_add_i32 s10, s8, 1
	s_sub_i32 s9, s6, s4
	s_cmp_ge_u32 s6, s4
	s_cselect_b32 s8, s10, s8
	s_cselect_b32 s6, s9, s6
	s_add_i32 s9, s8, 1
	s_cmp_ge_u32 s6, s4
	s_cselect_b32 s6, s9, s8
	s_xor_b32 s6, s6, s5
	s_add_i32 s8, s12, 63
	s_sub_i32 s53, s6, s5
	s_ashr_i32 s9, s8, 31
	s_mul_i32 s5, s53, s13
	s_sub_i32 s51, s3, s5
	s_lshr_b32 s3, s9, 26
	s_add_i32 s8, s8, s3
	s_abs_i32 s3, s14
	v_cvt_f32_u32_e32 v1, s3
	s_ashr_i32 s52, s12, 31
	s_lshr_b32 s6, s52, 26
	s_add_i32 s6, s12, s6
	v_rcp_iflag_f32_e32 v1, v1
	s_ashr_i32 s56, s14, 31
	s_ashr_i32 s24, s8, 6
	;; [unrolled: 1-line block ×3, first 2 shown]
	v_mul_f32_e32 v1, 0x4f7ffffe, v1
	v_cvt_u32_f32_e32 v1, v1
	s_xor_b32 s6, s7, s56
	s_sub_i32 s7, 0, s3
	s_lshl_b32 s2, s2, 4
	v_readfirstlane_b32 s8, v1
	s_mul_i32 s7, s7, s8
	s_mul_hi_u32 s7, s8, s7
	s_add_i32 s8, s8, s7
	s_mul_hi_u32 s7, s4, s8
	s_mul_i32 s8, s7, s3
	s_sub_i32 s4, s4, s8
	s_add_i32 s8, s7, 1
	s_sub_i32 s9, s4, s3
	s_cmp_ge_u32 s4, s3
	s_cselect_b32 s7, s8, s7
	s_cselect_b32 s4, s9, s4
	s_add_i32 s8, s7, 1
	s_cmp_ge_u32 s4, s3
	s_cselect_b32 s3, s8, s7
	s_xor_b32 s3, s3, s6
	s_sub_i32 s3, s3, s6
	s_abs_i32 s4, s3
	v_cvt_f32_u32_e32 v1, s4
	s_sub_i32 s7, 0, s4
	s_abs_i32 s6, s51
	s_xor_b32 s3, s51, s3
	v_rcp_iflag_f32_e32 v2, v1
	s_ashr_i32 s3, s3, 31
	v_lshrrev_b32_e32 v1, 6, v0
	v_or_b32_e32 v46, s2, v54
	v_mul_f32_e32 v2, 0x4f7ffffe, v2
	v_cvt_u32_f32_e32 v2, v2
	v_lshlrev_b32_e32 v52, 4, v1
	v_lshlrev_b32_e32 v42, 7, v46
	v_lshl_or_b32 v57, v53, 2, v52
	v_readfirstlane_b32 s8, v2
	s_mul_i32 s7, s7, s8
	s_mul_hi_u32 s7, s8, s7
	s_add_i32 s8, s8, s7
	s_mul_hi_u32 s7, s6, s8
	s_mul_i32 s8, s7, s4
	s_sub_i32 s6, s6, s8
	s_add_i32 s8, s7, 1
	s_sub_i32 s9, s6, s4
	s_cmp_ge_u32 s6, s4
	s_cselect_b32 s7, s8, s7
	s_cselect_b32 s6, s9, s6
	s_add_i32 s8, s7, 1
	s_cmp_ge_u32 s6, s4
	s_cselect_b32 s4, s8, s7
	s_xor_b32 s4, s4, s3
	s_sub_i32 s57, s4, s3
	s_ashr_i32 s3, s53, 31
	s_ashr_i32 s55, s51, 31
	s_mul_hi_i32 s4, s53, s13
	s_add_u32 s40, s5, s51
	s_addc_u32 s41, s4, s55
	s_lshl_b64 s[28:29], s[40:41], 15
	s_add_u32 s4, s16, s28
	s_addc_u32 s5, s17, s29
	v_ashrrev_i32_e32 v43, 31, v42
	v_lshl_add_u64 v[2:3], v[42:43], 1, s[4:5]
	v_lshlrev_b32_e32 v44, 1, v57
	v_lshl_add_u64 v[2:3], v[2:3], 0, v[44:45]
	global_load_dwordx2 v[4:5], v[2:3], off
	global_load_dwordx2 v[8:9], v[2:3], off offset:128
	s_load_dwordx2 s[30:31], s[0:1], 0x40
	s_load_dwordx8 s[4:11], s[0:1], 0x0
	s_load_dwordx2 s[34:35], s[0:1], 0x80
	v_and_b32_e32 v45, 63, v0
	v_lshrrev_b32_e32 v56, 3, v45
	v_or_b32_e32 v58, 64, v57
	s_mul_i32 s33, s53, s21
	s_mul_hi_u32 s46, s53, s20
	s_mul_i32 s38, s53, s20
	s_mul_i32 s58, s53, s24
	;; [unrolled: 1-line block ×3, first 2 shown]
	s_mul_hi_u32 s48, s51, s22
	s_mul_i32 s50, s3, s20
	s_mul_i32 s49, s55, s22
	s_mul_hi_u32 s59, s40, s12
	s_mul_i32 s16, s40, s12
	s_mul_i32 s41, s41, s12
	s_cmp_lt_i32 s12, 64
	s_mul_i32 s36, s51, s22
	s_waitcnt vmcnt(1)
	v_and_b32_e32 v3, 0xffff0000, v4
	v_lshlrev_b32_e32 v2, 16, v4
	v_and_b32_e32 v59, 0xffff0000, v5
	v_lshlrev_b32_e32 v4, 16, v5
	s_waitcnt vmcnt(0)
	v_and_b32_e32 v7, 0xffff0000, v8
	v_lshlrev_b32_e32 v6, 16, v8
	v_and_b32_e32 v60, 0xffff0000, v9
	v_lshlrev_b32_e32 v8, 16, v9
	s_cbranch_scc1 .LBB570_3
; %bb.1:
	s_add_i32 s17, s59, s41
	s_lshl_b64 s[0:1], s[16:17], 8
	v_and_b32_e32 v62, 56, v55
	s_waitcnt lgkmcnt(0)
	s_add_u32 s20, s6, s0
	v_lshl_or_b32 v61, v1, 3, v56
	v_lshlrev_b32_e32 v5, 1, v62
	s_addc_u32 s0, s7, s1
	v_lshl_or_b32 v63, v61, 8, v5
	s_and_b32 s21, s0, 0xffff
	s_mov_b32 s23, 0x20000
	s_movk_i32 s22, 0x4000
	s_movk_i32 s0, 0x80
	v_or_b32_e32 v64, 0x2000, v63
	buffer_load_dwordx4 v[10:13], v63, s[20:23], 0 offen
	buffer_load_dwordx4 v[14:17], v63, s[20:23], s0 offen
	buffer_load_dwordx4 v[18:21], v64, s[20:23], 0 offen
	buffer_load_dwordx4 v[22:25], v64, s[20:23], s0 offen
	v_lshlrev_b32_e32 v9, 3, v61
	v_and_or_b32 v27, v0, 7, v9
	v_and_b32_e32 v9, 0x78, v9
	v_lshlrev_b32_e32 v27, 4, v27
	v_xor_b32_e32 v65, v27, v9
	v_mul_lo_u32 v26, v61, s15
	v_or_b32_e32 v66, 0x1000, v65
	v_xor_b32_e32 v9, 8, v65
	s_cmpk_eq_i32 s15, 0x80
	s_mov_b32 s60, s14
	v_xor_b32_e32 v27, 8, v66
	s_cselect_b64 s[0:1], -1, 0
	s_cmpk_lg_i32 s15, 0x80
	s_waitcnt vmcnt(3)
	ds_write_b64 v65, v[10:11] offset:16384
	ds_write_b64 v9, v[12:13] offset:16384
	s_waitcnt vmcnt(2)
	ds_write_b64 v65, v[14:15] offset:24576
	ds_write_b64 v9, v[16:17] offset:24576
	;; [unrolled: 3-line block ×4, first 2 shown]
	v_lshl_add_u32 v9, v26, 1, v62
	s_cbranch_scc0 .LBB570_29
; %bb.2:
	v_lshlrev_b32_e32 v11, 1, v9
	v_add_lshl_u32 v10, v9, s15, 1
	s_lshl_b32 s22, s15, 7
	v_lshl_or_b32 v5, v61, 9, v5
	s_cbranch_execz .LBB570_30
	s_branch .LBB570_31
.LBB570_3:
	v_mov_b32_e32 v9, v60
	v_mov_b32_e32 v5, v59
.LBB570_4:
	s_lshl_b32 s26, s54, 6
	s_sub_i32 s27, s12, s26
	s_cmp_gt_i32 s27, 0
	s_cbranch_scc0 .LBB570_76
; %bb.5:
	s_ashr_i32 s3, s26, 31
	s_cmpk_lg_i32 s15, 0x80
	s_cselect_b64 s[22:23], -1, 0
	s_and_b64 vcc, exec, s[22:23]
	s_cbranch_vccz .LBB570_7
; %bb.6:
	s_mul_i32 s1, s53, s12
	s_mul_hi_i32 s0, s53, s12
	s_add_u32 s1, s1, s26
	s_addc_u32 s0, s0, s3
	s_mul_i32 s17, s1, s56
	s_mul_hi_u32 s20, s1, s14
	s_add_i32 s17, s20, s17
	s_mul_i32 s0, s0, s14
	s_add_i32 s17, s17, s0
	s_mul_i32 s1, s1, s14
	s_ashr_i32 s0, s57, 31
	s_add_u32 s24, s1, s57
	s_addc_u32 s25, s17, s0
	s_cbranch_execz .LBB570_8
	s_branch .LBB570_9
.LBB570_7:
                                        ; implicit-def: $sgpr24_sgpr25
.LBB570_8:
	s_mul_hi_i32 s0, s53, s14
	s_mul_i32 s53, s53, s14
	s_ashr_i32 s1, s57, 31
	s_add_u32 s14, s53, s57
	s_addc_u32 s0, s0, s1
	s_mul_i32 s1, s14, s52
	s_mul_hi_u32 s17, s14, s12
	s_add_i32 s1, s17, s1
	s_mul_i32 s0, s0, s12
	s_add_i32 s1, s1, s0
	s_mul_i32 s14, s14, s12
	s_add_u32 s24, s14, s26
	s_addc_u32 s25, s1, s3
.LBB570_9:
	s_mul_i32 s0, s40, s52
	s_add_i32 s0, s59, s0
	s_add_i32 s14, s58, s54
	;; [unrolled: 1-line block ×3, first 2 shown]
	s_add_u32 s0, s16, s26
	s_addc_u32 s1, s1, s3
	s_mov_b32 s3, 0x7060302
	v_lshlrev_b32_e32 v14, 3, v54
	s_lshl_b64 s[20:21], s[0:1], 8
	v_perm_b32 v11, v5, v4, s3
	v_perm_b32 v10, v3, v2, s3
	;; [unrolled: 1-line block ×4, first 2 shown]
	v_lshlrev_b32_e32 v48, 2, v54
	v_lshl_or_b32 v14, v57, 5, v14
	s_waitcnt lgkmcnt(0)
	s_add_u32 s0, s6, s20
	ds_write2st64_b64 v14, v[10:11], v[12:13] offset0:72 offset1:76
	v_xor_b32_e32 v14, v57, v48
	v_lshlrev_b32_e32 v15, 8, v54
	s_addc_u32 s1, s7, s21
	v_lshl_or_b32 v14, v14, 1, v15
	s_mul_hi_i32 s3, s14, s13
	s_mul_i32 s14, s14, s13
	ds_write_b64 v14, v[10:11] offset:32768
	v_xor_b32_e32 v10, v58, v48
	s_add_u32 s6, s14, s51
	v_lshl_or_b32 v10, v10, 1, v15
	s_addc_u32 s7, s3, s55
	v_lshlrev_b32_e32 v11, 1, v54
	ds_write_b64 v10, v[12:13] offset:32768
	v_lshrrev_b32_e32 v10, 4, v0
	s_ashr_i32 s3, s2, 31
	s_lshl_b64 s[6:7], s[6:7], 15
	v_or_b32_e32 v12, 1, v11
	s_add_u32 s6, s18, s6
	v_xor_b32_e32 v11, v10, v11
	v_xor_b32_e32 v12, v12, v10
	v_lshlrev_b32_e32 v14, 8, v10
	s_addc_u32 s7, s19, s7
	s_lshl_b64 s[2:3], s[2:3], 8
	v_lshl_or_b32 v10, v11, 3, v14
	v_lshl_or_b32 v12, v12, 3, v14
	s_waitcnt lgkmcnt(0)
	s_barrier
	s_add_u32 s2, s6, s2
	ds_read_b64 v[10:11], v10 offset:32768
	ds_read_b64 v[12:13], v12 offset:32768
	s_addc_u32 s3, s7, s3
	v_mov_b32_e32 v15, 0
	s_cmp_lg_u32 s27, 64
	v_lshl_add_u64 v[16:17], s[2:3], 0, v[14:15]
	v_lshlrev_b32_e32 v14, 4, v54
	s_cselect_b64 s[6:7], -1, 0
	v_lshl_or_b32 v47, v1, 3, v56
	s_mov_b32 s16, 0
	v_lshl_add_u64 v[14:15], v[16:17], 0, v[14:15]
	s_waitcnt vmcnt(1)
	v_or_b32_e32 v27, 32, v47
	v_and_b32_e32 v26, 56, v55
	s_and_b64 vcc, exec, s[6:7]
	s_waitcnt lgkmcnt(0)
	global_store_dwordx4 v[14:15], v[10:13], off
	s_cbranch_vccz .LBB570_15
; %bb.10:
	s_mov_b32 s17, s16
	s_mov_b32 s18, s16
	;; [unrolled: 1-line block ×3, first 2 shown]
	v_mov_b64_e32 v[14:15], s[16:17]
	v_mov_b64_e32 v[16:17], s[18:19]
	;; [unrolled: 1-line block ×3, first 2 shown]
	v_cmp_gt_i32_e32 vcc, s27, v47
	v_mov_b64_e32 v[12:13], v[16:17]
	s_and_saveexec_b64 s[2:3], vcc
	s_cbranch_execz .LBB570_12
; %bb.11:
	v_lshlrev_b32_e32 v10, 8, v47
	v_mov_b32_e32 v11, 0
	v_lshl_add_u64 v[12:13], s[0:1], 0, v[10:11]
	v_lshlrev_b32_e32 v10, 1, v26
	v_lshl_add_u64 v[18:19], v[12:13], 0, v[10:11]
	global_load_dwordx4 v[14:17], v[18:19], off
	global_load_dwordx4 v[10:13], v[18:19], off offset:128
.LBB570_12:
	s_or_b64 exec, exec, s[2:3]
	s_mov_b32 s18, s16
	s_mov_b32 s19, s16
	;; [unrolled: 1-line block ×3, first 2 shown]
	v_mov_b64_e32 v[24:25], s[18:19]
	v_mov_b64_e32 v[22:23], s[16:17]
	;; [unrolled: 1-line block ×3, first 2 shown]
	v_cmp_gt_i32_e32 vcc, s27, v27
	v_lshlrev_b32_e32 v28, 7, v27
	v_mov_b64_e32 v[20:21], v[24:25]
	s_and_saveexec_b64 s[2:3], vcc
	s_cbranch_execz .LBB570_14
; %bb.13:
	v_lshlrev_b32_e32 v18, 1, v28
	v_mov_b32_e32 v19, 0
	v_lshl_add_u64 v[20:21], s[0:1], 0, v[18:19]
	v_lshlrev_b32_e32 v18, 1, v26
	v_lshl_add_u64 v[30:31], v[20:21], 0, v[18:19]
	global_load_dwordx4 v[22:25], v[30:31], off
	global_load_dwordx4 v[18:21], v[30:31], off offset:128
.LBB570_14:
	s_or_b64 exec, exec, s[2:3]
	v_lshrrev_b32_e32 v29, 3, v26
	v_lshlrev_b32_e32 v30, 3, v47
	v_or_b32_e32 v29, v30, v29
	v_lshlrev_b32_e32 v29, 4, v29
	v_and_b32_e32 v30, 0x78, v30
	v_xor_b32_e32 v29, v29, v30
	s_branch .LBB570_17
.LBB570_15:
                                        ; implicit-def: $vgpr29
                                        ; implicit-def: $vgpr28
                                        ; implicit-def: $vgpr14_vgpr15_vgpr16_vgpr17
                                        ; implicit-def: $vgpr10_vgpr11_vgpr12_vgpr13
                                        ; implicit-def: $vgpr22_vgpr23_vgpr24_vgpr25
                                        ; implicit-def: $vgpr18_vgpr19_vgpr20_vgpr21
	s_cbranch_execz .LBB570_17
; %bb.16:
	s_waitcnt vmcnt(0)
	v_lshlrev_b32_e32 v10, 1, v26
	v_lshl_or_b32 v28, v47, 8, v10
	s_and_b32 s1, s1, 0xffff
	s_mov_b32 s3, 0x20000
	s_movk_i32 s2, 0x4000
	v_lshl_or_b32 v29, v27, 8, v10
	s_movk_i32 s13, 0x80
	buffer_load_dwordx4 v[14:17], v28, s[0:3], 0 offen
	buffer_load_dwordx4 v[10:13], v28, s[0:3], s13 offen
	;; [unrolled: 1-line block ×4, first 2 shown]
	v_lshrrev_b32_e32 v28, 3, v26
	v_lshlrev_b32_e32 v29, 3, v47
	v_or_b32_e32 v28, v29, v28
	v_lshlrev_b32_e32 v28, 4, v28
	v_and_b32_e32 v29, 0x78, v29
	v_xor_b32_e32 v29, v28, v29
	v_lshlrev_b32_e32 v28, 7, v27
.LBB570_17:
	s_lshl_b64 s[0:1], s[24:25], 8
	s_add_u32 s4, s4, s0
	s_movk_i32 s0, 0x1000
	v_and_or_b32 v27, v28, s0, v29
	s_waitcnt vmcnt(1)
	ds_write_b64 v29, v[14:15] offset:16384
	v_xor_b32_e32 v14, 8, v29
	ds_write_b64 v14, v[16:17] offset:16384
	s_waitcnt vmcnt(0)
	ds_write_b64 v29, v[10:11] offset:24576
	ds_write_b64 v14, v[12:13] offset:24576
	;; [unrolled: 1-line block ×3, first 2 shown]
	v_xor_b32_e32 v10, 8, v27
	ds_write_b64 v10, v[24:25] offset:16384
	ds_write_b64 v27, v[18:19] offset:24576
	;; [unrolled: 1-line block ×3, first 2 shown]
	v_or_b32_e32 v10, v52, v54
	s_addc_u32 s5, s5, s1
	s_add_i32 s0, s12, -1
	v_lshlrev_b32_e32 v10, 3, v10
	v_lshrrev_b32_e32 v12, 5, v45
	s_movk_i32 s12, 0xf8
	v_and_or_b32 v12, v10, s12, v12
	v_lshlrev_b32_e32 v49, 11, v1
	v_lshlrev_b32_e32 v20, 4, v12
	v_and_b32_e32 v21, 0x78, v10
	v_and_b32_e32 v22, 0x1000, v49
	v_lshlrev_b32_e32 v11, 2, v0
	v_xor_b32_e32 v10, v20, v21
	v_lshrrev_b32_e32 v12, 1, v45
	v_and_b32_e32 v11, 60, v11
	v_or_b32_e32 v10, v10, v22
	v_and_b32_e32 v23, 8, v12
	v_xor_b32_e32 v34, v10, v23
	v_lshl_or_b32 v10, v53, 6, v11
	v_lshlrev_b32_e32 v50, 1, v10
	v_or_b32_e32 v10, 32, v20
	v_xor_b32_e32 v10, v10, v21
	s_waitcnt lgkmcnt(0)
	s_barrier
	ds_read_b64 v[18:19], v34 offset:16384
	v_or_b32_e32 v10, v10, v22
	v_xor_b32_e32 v35, v10, v23
	v_or_b32_e32 v10, 64, v20
	v_xor_b32_e32 v10, v10, v21
	v_or_b32_e32 v10, v10, v22
	v_or_b32_e32 v20, 0x60, v20
	v_xor_b32_e32 v36, v10, v23
	ds_read2st64_b64 v[10:13], v50 offset0:72 offset1:73
	ds_read2st64_b64 v[14:17], v50 offset0:74 offset1:75
	v_xor_b32_e32 v24, v20, v21
	ds_read_b64 v[20:21], v35 offset:16384
	s_add_i32 s1, s46, s33
	s_waitcnt lgkmcnt(2)
	v_mfma_f32_16x16x16_bf16 a[0:3], v[18:19], v[10:11], 0
	s_add_i32 s39, s1, s50
	s_add_i32 s1, s48, s47
	;; [unrolled: 1-line block ×3, first 2 shown]
	s_ashr_i32 s1, s0, 31
	s_mul_i32 s2, s0, s35
	s_mul_hi_u32 s3, s0, s34
	s_add_i32 s2, s3, s2
	s_mul_i32 s1, s1, s34
	v_or_b32_e32 v22, v24, v22
	s_add_i32 s1, s2, s1
	s_lshl_b64 s[2:3], s[38:39], 2
	v_xor_b32_e32 v51, v22, v23
	ds_read_b64 v[22:23], v36 offset:16384
	ds_read_b64 v[24:25], v51 offset:16384
	s_waitcnt lgkmcnt(2)
	v_mfma_f32_16x16x16_bf16 a[0:3], v[20:21], v[12:13], a[0:3]
	s_add_u32 s10, s10, s2
	s_addc_u32 s11, s11, s3
	s_lshl_b64 s[2:3], s[36:37], 2
	s_mul_i32 s0, s0, s34
	s_add_u32 s10, s10, s2
	s_addc_u32 s11, s11, s3
	s_lshl_b64 s[0:1], s[0:1], 2
	s_waitcnt lgkmcnt(1)
	v_mfma_f32_16x16x16_bf16 a[0:3], v[22:23], v[14:15], a[0:3]
	s_add_u32 s0, s10, s0
	s_addc_u32 s1, s11, s1
	s_load_dword s12, s[0:1], 0x0
	s_waitcnt lgkmcnt(0)
	v_mfma_f32_16x16x16_bf16 a[0:3], v[24:25], v[16:17], a[0:3]
	s_and_b64 vcc, exec, s[22:23]
	s_cbranch_vccz .LBB570_28
; %bb.18:
	v_lshlrev_b32_e32 v27, 1, v47
	s_and_b64 vcc, exec, s[6:7]
	s_cbranch_vccz .LBB570_44
; %bb.19:
	v_cmp_gt_i32_e32 vcc, s27, v27
	v_mov_b32_e32 v14, 0
	v_mov_b32_e32 v10, 0
	;; [unrolled: 1-line block ×5, first 2 shown]
	s_and_saveexec_b64 s[0:1], vcc
	s_cbranch_execz .LBB570_21
; %bb.20:
	v_mad_i64_i32 v[10:11], s[2:3], s15, v27, 0
	v_lshl_add_u64 v[10:11], v[10:11], 1, s[4:5]
	v_lshlrev_b32_e32 v12, 1, v26
	v_mov_b32_e32 v13, 0
	v_lshl_add_u64 v[10:11], v[10:11], 0, v[12:13]
	global_load_dwordx4 v[10:13], v[10:11], off
.LBB570_21:
	s_or_b64 exec, exec, s[0:1]
	v_or_b32_e32 v28, 1, v27
	v_cmp_gt_i32_e64 s[0:1], s27, v28
	v_mov_b32_e32 v15, 0
	v_mov_b32_e32 v16, 0
	;; [unrolled: 1-line block ×3, first 2 shown]
	s_and_saveexec_b64 s[2:3], s[0:1]
	s_cbranch_execz .LBB570_23
; %bb.22:
	v_mad_i64_i32 v[14:15], s[16:17], s15, v28, 0
	v_lshl_add_u64 v[14:15], v[14:15], 1, s[4:5]
	v_lshlrev_b32_e32 v16, 1, v26
	v_mov_b32_e32 v17, 0
	v_lshl_add_u64 v[14:15], v[14:15], 0, v[16:17]
	global_load_dwordx4 v[14:17], v[14:15], off
.LBB570_23:
	s_or_b64 exec, exec, s[2:3]
	v_mov_b32_e32 v25, 0
	v_mov_b32_e32 v18, 0
	;; [unrolled: 1-line block ×5, first 2 shown]
	s_and_saveexec_b64 s[2:3], vcc
	s_cbranch_execz .LBB570_25
; %bb.24:
	v_mad_i64_i32 v[18:19], s[16:17], s15, v27, 0
	v_lshl_add_u64 v[18:19], v[18:19], 1, s[4:5]
	v_lshlrev_b32_e32 v20, 1, v26
	v_mov_b32_e32 v21, 0
	v_lshl_add_u64 v[18:19], v[18:19], 0, v[20:21]
	global_load_dwordx4 v[18:21], v[18:19], off offset:128
.LBB570_25:
	s_or_b64 exec, exec, s[2:3]
	v_mov_b32_e32 v24, 0
	v_mov_b32_e32 v23, 0
	;; [unrolled: 1-line block ×3, first 2 shown]
	s_and_saveexec_b64 s[2:3], s[0:1]
	s_cbranch_execz .LBB570_27
; %bb.26:
	v_mad_i64_i32 v[22:23], s[0:1], s15, v28, 0
	v_lshl_add_u64 v[22:23], v[22:23], 1, s[4:5]
	v_lshlrev_b32_e32 v24, 1, v26
	v_mov_b32_e32 v25, 0
	v_lshl_add_u64 v[22:23], v[22:23], 0, v[24:25]
	global_load_dwordx4 v[22:25], v[22:23], off offset:128
.LBB570_27:
	s_or_b64 exec, exec, s[2:3]
	s_branch .LBB570_46
.LBB570_28:
                                        ; implicit-def: $vgpr13
                                        ; implicit-def: $vgpr17
                                        ; implicit-def: $vgpr21
                                        ; implicit-def: $vgpr25
	v_lshrrev_b32_e32 v45, 2, v45
	s_branch .LBB570_47
.LBB570_29:
                                        ; implicit-def: $vgpr10
                                        ; implicit-def: $vgpr11
                                        ; implicit-def: $sgpr22
	v_lshl_or_b32 v5, v61, 9, v5
.LBB570_30:
	v_or_b32_e32 v10, 0x100, v5
	s_movk_i32 s22, 0x4000
	v_mov_b32_e32 v11, v5
.LBB570_31:
	s_mul_hi_u32 s20, s14, s12
	s_mul_i32 s21, s56, s12
	s_add_i32 s20, s20, s21
	s_mul_i32 s21, s14, s12
	s_mul_i32 s23, s21, s3
	s_mul_hi_u32 s24, s21, s53
	s_add_i32 s23, s24, s23
	s_mul_i32 s20, s20, s53
	s_add_i32 s23, s23, s20
	s_mul_i32 s21, s21, s53
	s_ashr_i32 s61, s57, 31
	s_add_u32 s20, s21, s57
	s_addc_u32 s21, s23, s61
	s_lshl_b64 s[20:21], s[20:21], 8
	s_add_u32 s20, s4, s20
	s_addc_u32 s21, s5, s21
	s_and_b32 s21, s21, 0xffff
	s_mov_b32 s23, 0x20000
	s_movk_i32 s62, 0x80
	buffer_load_dwordx4 v[12:15], v11, s[20:23], 0 offen
	buffer_load_dwordx4 v[16:19], v11, s[20:23], s62 offen
	;; [unrolled: 1-line block ×4, first 2 shown]
	v_and_b32_e32 v10, 6, v0
	v_lshlrev_b32_e32 v28, 2, v54
	v_lshlrev_b32_e32 v29, 3, v54
	v_xor_b32_e32 v31, v61, v10
	v_and_b32_e32 v11, 1, v0
	s_mul_i32 s3, s3, s12
	s_mul_hi_u32 s20, s53, s12
	v_lshl_or_b32 v29, v57, 5, v29
	v_xor_b32_e32 v32, v57, v28
	v_lshlrev_b32_e32 v31, 2, v31
	v_or_b32_e32 v67, 0x9000, v29
	v_or_b32_e32 v68, 0x9800, v29
	v_lshlrev_b32_e32 v29, 1, v32
	v_xor_b32_e32 v32, 0x440, v31
	v_cmp_eq_u32_e32 vcc, 0, v11
	s_add_i32 s67, s20, s3
	s_add_i32 s3, s46, s33
	v_cndmask_b32_e32 v11, v32, v31, vcc
	s_add_i32 s20, s48, s47
	s_add_i32 s39, s3, s50
	s_mov_b32 s64, 0x1000504
	v_lshlrev_b32_e32 v30, 8, v54
	s_mov_b32 s22, 0x8000
	v_xor_b32_e32 v28, v58, v28
	v_lshl_or_b32 v10, v10, 10, v11
	s_add_i32 s37, s20, s49
	s_lshl_b64 s[20:21], s[38:39], 2
	s_mov_b32 s65, 0x3020706
	v_lshlrev_b32_e32 v28, 1, v28
	v_or3_b32 v69, v29, v30, s22
	v_xor_b32_e32 v11, 8, v10
	v_xor_b32_e32 v29, 24, v10
	;; [unrolled: 1-line block ×4, first 2 shown]
	s_add_u32 s3, s10, s20
	v_or3_b32 v70, v28, v30, s22
	v_xor_b32_e32 v28, 16, v10
	v_xor_b32_e32 v30, 32, v10
	;; [unrolled: 1-line block ×3, first 2 shown]
	v_add_u32_e32 v11, 0x80, v11
	v_add_u32_e32 v29, 0x80, v29
	;; [unrolled: 1-line block ×4, first 2 shown]
	s_addc_u32 s24, s11, s21
	s_lshl_b64 s[20:21], s[36:37], 2
	s_add_u32 s42, s3, s20
	s_movk_i32 s3, 0xf8
	s_addc_u32 s43, s24, s21
	v_ashrrev_i32_e32 v47, 31, v46
	s_lshl_b32 s26, s15, 7
	s_mov_b32 s63, 0
	s_mul_i32 s66, s53, s12
	s_mov_b32 s39, 0
	s_waitcnt vmcnt(1)
	v_perm_b32 v34, v12, v20, s64
	s_waitcnt vmcnt(0)
	v_perm_b32 v35, v16, v24, s64
	v_perm_b32 v12, v12, v20, s65
	;; [unrolled: 1-line block ×15, first 2 shown]
	ds_write2st64_b32 v10, v34, v35 offset1:32
	ds_write2st64_b32 v11, v12, v16 offset1:32
	ds_write2st64_b32 v28, v20, v24 offset0:1 offset1:33
	ds_write2st64_b32 v29, v13, v17 offset0:1 offset1:33
	;; [unrolled: 1-line block ×6, first 2 shown]
	v_or_b32_e32 v10, v52, v54
	v_lshlrev_b32_e32 v10, 3, v10
	v_lshrrev_b32_e32 v12, 5, v45
	v_and_or_b32 v12, v10, s3, v12
	v_lshlrev_b32_e32 v12, 4, v12
	v_lshlrev_b32_e32 v16, 11, v1
	v_and_b32_e32 v10, 0x78, v10
	v_or_b32_e32 v15, 32, v12
	v_and_b32_e32 v11, 0x1000, v16
	v_xor_b32_e32 v13, v12, v10
	v_lshrrev_b32_e32 v17, 1, v0
	v_xor_b32_e32 v15, v15, v10
	v_or_b32_e32 v13, v13, v11
	v_and_b32_e32 v14, 8, v17
	v_or_b32_e32 v15, v15, v11
	v_xor_b32_e32 v71, v13, v14
	v_and_b32_e32 v13, 0x78, v55
	v_xor_b32_e32 v73, v15, v14
	v_or_b32_e32 v15, 64, v12
	v_or_b32_e32 v12, 0x60, v12
	v_lshl_or_b32 v13, v53, 7, v13
	v_xor_b32_e32 v15, v15, v10
	v_xor_b32_e32 v10, v12, v10
	v_or_b32_e32 v72, 0x9000, v13
	v_or_b32_e32 v15, v15, v11
	;; [unrolled: 1-line block ×4, first 2 shown]
	v_lshrrev_b32_e32 v12, 4, v0
	v_lshlrev_b32_e32 v13, 1, v54
	v_xor_b32_e32 v74, v15, v14
	v_xor_b32_e32 v75, v10, v14
	s_ashr_i32 s3, s2, 31
	v_or_b32_e32 v14, 1, v13
	v_xor_b32_e32 v13, v12, v13
	s_lshl_b64 s[20:21], s[2:3], 8
	v_xor_b32_e32 v14, v14, v12
	v_lshlrev_b32_e32 v13, 3, v13
	v_lshlrev_b32_e32 v12, 8, v12
	v_lshl_add_u64 v[10:11], v[46:47], 1, s[8:9]
	s_add_u32 s20, s18, s20
	v_or3_b32 v47, v13, v12, s22
	v_lshlrev_b32_e32 v13, 3, v14
	s_addc_u32 s21, s19, s21
	v_or3_b32 v77, v13, v12, s22
	v_mov_b32_e32 v13, 0
	v_lshl_add_u64 v[14:15], s[20:21], 0, v[12:13]
	v_lshlrev_b32_e32 v12, 4, v54
	s_movk_i32 s3, 0xff
	v_lshlrev_b32_e32 v21, 3, v1
	v_and_b32_e32 v17, 24, v17
	v_lshl_add_u64 v[48:49], v[14:15], 0, v[12:13]
	v_and_b32_e32 v14, 8, v0
	v_cmp_lt_u32_e32 vcc, s3, v0
	v_xor_b32_e32 v22, v21, v17
	v_or_b32_e32 v23, 0x440, v22
	v_cndmask_b32_e64 v20, 0, 1, vcc
	v_cmp_eq_u32_e32 vcc, 0, v14
	v_and_b32_e32 v12, 7, v0
	v_lshlrev_b32_e32 v15, 3, v12
	v_cndmask_b32_e32 v14, v23, v22, vcc
	v_lshlrev_b32_e32 v12, 7, v12
	v_or_b32_e32 v14, v14, v16
	v_xad_u32 v78, v14, v15, v12
	v_or_b32_e32 v14, 32, v17
	v_xor_b32_e32 v14, v21, v14
	v_or_b32_e32 v22, 0x440, v14
	v_cndmask_b32_e32 v14, v22, v14, vcc
	v_or_b32_e32 v14, v14, v16
	v_xad_u32 v79, v14, v15, v12
	v_or_b32_e32 v14, 64, v17
	v_xor_b32_e32 v14, v21, v14
	v_xor_b32_e32 v22, 0x440, v14
	v_cndmask_b32_e32 v14, v22, v14, vcc
	v_or_b32_e32 v14, v14, v16
	v_xad_u32 v80, v14, v15, v12
	v_or_b32_e32 v14, 0x60, v17
	v_xor_b32_e32 v14, v21, v14
	v_xor_b32_e32 v17, 0x440, v14
	v_cndmask_b32_e32 v14, v17, v14, vcc
	v_or_b32_e32 v14, v14, v16
	v_lshlrev_b32_e32 v18, 1, v9
	v_add_lshl_u32 v9, v9, s15, 1
	v_or_b32_e32 v19, 0x100, v5
	v_lshlrev_b32_e32 v20, 13, v20
	v_xad_u32 v81, v14, v15, v12
	v_lshlrev_b32_e32 v12, 8, v57
	v_cndmask_b32_e64 v82, v18, v5, s[0:1]
	v_cndmask_b32_e64 v83, v9, v19, s[0:1]
	v_lshl_add_u64 v[50:51], v[10:11], 0, v[12:13]
	s_mov_b32 s3, 0x7060302
	s_movk_i32 s22, 0x4000
	v_add_u32_e32 v84, v20, v78
	v_add_u32_e32 v85, v20, v79
	v_add_u32_e32 v86, v20, v80
	v_add_u32_e32 v87, v20, v81
	s_waitcnt lgkmcnt(0)
	s_barrier
.LBB570_32:                             ; =>This Inner Loop Header: Depth=1
	s_add_i32 s37, s39, 1
	s_cmp_lt_i32 s37, s54
	s_mov_b64 s[24:25], 0
	s_cselect_b64 s[44:45], -1, 0
	s_cmp_ge_i32 s37, s54
	s_mov_b64 s[20:21], 0
	s_cbranch_scc1 .LBB570_34
; %bb.33:                               ;   in Loop: Header=BB570_32 Depth=1
	s_add_i32 s0, s63, 64
	s_add_u32 s0, s16, s0
	s_addc_u32 s1, s17, 0
	s_lshl_b64 s[0:1], s[0:1], 8
	s_add_u32 s20, s6, s0
	s_addc_u32 s21, s7, s1
.LBB570_34:                             ;   in Loop: Header=BB570_32 Depth=1
	v_cndmask_b32_e64 v5, 0, 1, s[44:45]
	v_cmp_ne_u32_e64 s[0:1], 1, v5
	s_andn2_b64 vcc, exec, s[44:45]
	s_cbranch_vccnz .LBB570_36
; %bb.35:                               ;   in Loop: Header=BB570_32 Depth=1
	s_add_i32 s24, s63, 64
	s_add_u32 s24, s66, s24
	s_addc_u32 s25, s67, 0
	s_mul_i32 s27, s24, s56
	s_mul_hi_u32 s44, s24, s60
	s_add_i32 s27, s44, s27
	s_mul_i32 s25, s25, s60
	s_add_i32 s27, s27, s25
	s_mul_i32 s24, s24, s60
	s_add_u32 s24, s24, s57
	s_addc_u32 s25, s27, s61
	s_lshl_b64 s[24:25], s[24:25], 8
	s_add_u32 s24, s4, s24
	s_addc_u32 s25, s5, s25
.LBB570_36:                             ;   in Loop: Header=BB570_32 Depth=1
	v_perm_b32 v11, v59, v4, s3
	v_perm_b32 v10, v3, v2, s3
	;; [unrolled: 1-line block ×4, first 2 shown]
	ds_write_b64 v67, v[10:11]
	ds_write_b64 v68, v[12:13]
	;; [unrolled: 1-line block ×4, first 2 shown]
	s_waitcnt lgkmcnt(0)
	s_barrier
	ds_read_b64 v[18:19], v71 offset:16384
	ds_read_b64 v[20:21], v73 offset:16384
	ds_read2st64_b64 v[10:13], v72 offset1:1
	ds_read2st64_b64 v[14:17], v72 offset0:2 offset1:3
	ds_read_b64 v[22:23], v74 offset:16384
	s_waitcnt lgkmcnt(2)
	v_mfma_f32_16x16x16_bf16 a[0:3], v[18:19], v[10:11], 0
	ds_read_b64 v[10:11], v75 offset:16384
	s_add_i32 s27, s63, 63
	s_mul_i32 s44, s27, s35
	v_mfma_f32_16x16x16_bf16 a[0:3], v[20:21], v[12:13], a[0:3]
	s_mul_hi_u32 s45, s27, s34
	s_add_i32 s45, s45, s44
	s_mul_i32 s44, s27, s34
	s_waitcnt lgkmcnt(1)
	v_mfma_f32_16x16x16_bf16 a[0:3], v[22:23], v[14:15], a[0:3]
	s_lshl_b64 s[44:45], s[44:45], 2
	s_add_u32 s44, s42, s44
	s_addc_u32 s45, s43, s45
	s_waitcnt lgkmcnt(0)
	v_mfma_f32_16x16x16_bf16 a[0:3], v[10:11], v[16:17], a[0:3]
	s_and_b64 vcc, exec, s[0:1]
	v_mov_b32_e32 v88, 0
	v_mov_b32_e32 v9, 0
	;; [unrolled: 1-line block ×19, first 2 shown]
	s_cbranch_vccnz .LBB570_38
; %bb.37:                               ;   in Loop: Header=BB570_32 Depth=1
	s_and_b32 s21, s21, 0xffff
	buffer_load_dwordx4 v[22:25], v63, s[20:23], 0 offen
	buffer_load_dwordx4 v[18:21], v63, s[20:23], s62 offen
	;; [unrolled: 1-line block ×4, first 2 shown]
	v_mov_b32_e32 v9, v65
	v_mov_b32_e32 v5, v66
.LBB570_38:                             ;   in Loop: Header=BB570_32 Depth=1
	s_waitcnt vmcnt(3)
	v_add_u32_e32 v32, s63, v57
	s_waitcnt vmcnt(1)
	v_ashrrev_i32_e32 v26, 31, v32
	v_mul_lo_u32 v28, v26, s34
	v_mul_lo_u32 v29, v32, s35
	v_mad_u64_u32 v[26:27], s[20:21], v32, s34, 0
	v_add3_u32 v27, v27, v29, v28
	v_add_u32_e32 v28, 1, v32
	v_ashrrev_i32_e32 v29, 31, v28
	v_mul_lo_u32 v30, v29, s34
	v_mul_lo_u32 v31, v28, s35
	v_mad_u64_u32 v[28:29], s[20:21], v28, s34, 0
	v_add3_u32 v29, v29, v31, v30
	v_add_u32_e32 v30, 2, v32
	v_ashrrev_i32_e32 v31, 31, v30
	v_mul_lo_u32 v33, v31, s34
	v_mul_lo_u32 v34, v30, s35
	v_mad_u64_u32 v[30:31], s[20:21], v30, s34, 0
	v_add_u32_e32 v32, 3, v32
	v_add3_u32 v31, v31, v34, v33
	v_ashrrev_i32_e32 v33, 31, v32
	v_mul_lo_u32 v36, v33, s34
	v_mul_lo_u32 v37, v32, s35
	v_mad_u64_u32 v[32:33], s[20:21], v32, s34, 0
	s_add_u32 s20, s16, s63
	s_addc_u32 s21, s17, 0
	s_lshl_b64 s[20:21], s[20:21], 8
	v_lshl_add_u64 v[26:27], v[26:27], 2, s[42:43]
	v_lshl_add_u64 v[34:35], v[50:51], 0, s[20:21]
	;; [unrolled: 1-line block ×3, first 2 shown]
	global_load_ushort v98, v[34:35], off
	global_load_ushort v99, v[34:35], off offset:256
	global_load_ushort v100, v[34:35], off offset:512
	;; [unrolled: 1-line block ×3, first 2 shown]
	v_add3_u32 v33, v33, v37, v36
	global_load_dword v102, v[26:27], off
	v_lshl_add_u64 v[30:31], v[30:31], 2, s[42:43]
	v_lshl_add_u64 v[26:27], v[32:33], 2, s[42:43]
	global_load_dword v103, v[28:29], off
	global_load_dword v104, v[30:31], off
	global_load_dword v105, v[26:27], off
	s_load_dword s20, s[44:45], 0x0
	ds_read2st64_b64 v[34:37], v76 offset1:1
	ds_read2st64_b64 v[90:93], v76 offset0:2 offset1:3
	ds_read_b64 v[38:39], v71 offset:24576
	ds_read_b64 v[40:41], v73 offset:24576
	;; [unrolled: 1-line block ×4, first 2 shown]
	s_waitcnt lgkmcnt(0)
	v_mfma_f32_16x16x16_bf16 a[0:3], v[38:39], v[34:35], a[0:3]
	v_mov_b32_e32 v89, 0
	v_mov_b32_e32 v26, 0
	v_mov_b32_e32 v27, 0
	v_mfma_f32_16x16x16_bf16 a[0:3], v[40:41], v[36:37], a[0:3]
	v_mov_b32_e32 v28, 0
	v_mov_b32_e32 v29, 0
	v_mov_b32_e32 v30, 0
	v_mfma_f32_16x16x16_bf16 a[0:3], v[94:95], v[90:91], a[0:3]
	v_mov_b32_e32 v31, 0
	v_mov_b32_e32 v32, 0
	v_mov_b32_e32 v33, 0
	v_mfma_f32_16x16x16_bf16 a[0:3], v[96:97], v[92:93], a[0:3]
	v_mov_b32_e32 v34, 0
	v_mov_b32_e32 v35, 0
	v_mov_b32_e32 v36, 0
	v_mov_b32_e32 v37, 0
	v_mov_b32_e32 v38, 0
	;; [unrolled: 1-line block ×4, first 2 shown]
	v_accvgpr_read_b32 v93, a1
	v_accvgpr_read_b32 v91, a3
	;; [unrolled: 1-line block ×4, first 2 shown]
	s_and_b64 vcc, exec, s[0:1]
	s_waitcnt vmcnt(7)
	v_lshlrev_b32_e32 v94, 16, v98
	s_waitcnt vmcnt(6)
	v_lshlrev_b32_e32 v95, 16, v99
	;; [unrolled: 2-line block ×4, first 2 shown]
	v_pk_add_f32 v[92:93], v[94:95], v[92:93] neg_lo:[0,1] neg_hi:[0,1]
	s_waitcnt vmcnt(3)
	v_sub_f32_e32 v41, s20, v102
	v_exp_f32_e32 v98, v41
	s_waitcnt vmcnt(2)
	v_sub_f32_e32 v41, s20, v103
	s_waitcnt vmcnt(1)
	v_sub_f32_e32 v100, s20, v104
	;; [unrolled: 2-line block ×3, first 2 shown]
	v_exp_f32_e32 v99, v41
	v_exp_f32_e32 v100, v100
	;; [unrolled: 1-line block ×3, first 2 shown]
	v_pk_add_f32 v[90:91], v[96:97], v[90:91] neg_lo:[0,1] neg_hi:[0,1]
	v_pk_mul_f32 v[92:93], v[98:99], v[92:93]
	v_mov_b32_e32 v41, 0
	v_pk_mul_f32 v[90:91], v[100:101], v[90:91]
	s_nop 0
	v_perm_b32 v91, v91, v90, s3
	v_perm_b32 v90, v93, v92, s3
	ds_write_b64 v68, v[90:91]
	s_cbranch_vccnz .LBB570_40
; %bb.39:                               ;   in Loop: Header=BB570_32 Depth=1
	s_and_b32 s25, s25, 0xffff
	s_mov_b32 s27, s23
	buffer_load_dwordx4 v[38:41], v82, s[24:27], 0 offen
	buffer_load_dwordx4 v[30:33], v82, s[24:27], s62 offen
	;; [unrolled: 1-line block ×4, first 2 shown]
	v_mov_b32_e32 v88, v62
	v_mov_b32_e32 v89, v61
.LBB570_40:                             ;   in Loop: Header=BB570_32 Depth=1
	s_waitcnt lgkmcnt(0)
	s_barrier
	ds_read_b64 v[98:99], v84
	ds_read2st64_b64 v[90:93], v76 offset1:1
	ds_read2st64_b64 v[94:97], v76 offset0:2 offset1:3
	ds_read_b64 v[100:101], v85
	ds_read_b64 v[102:103], v86
	;; [unrolled: 1-line block ×3, first 2 shown]
	s_waitcnt lgkmcnt(4)
	v_mfma_f32_16x16x16_bf16 a[0:3], v[98:99], v[90:91], 0
	ds_read_b64 v[98:99], v78 offset:8192
	ds_read_b64 v[106:107], v79 offset:8192
	s_add_i32 s21, s58, s39
	s_mul_hi_i32 s25, s21, s13
	s_waitcnt lgkmcnt(1)
	v_mfma_f32_16x16x16_bf16 a[4:7], v[98:99], v[90:91], 0
	s_mul_i32 s21, s21, s13
	s_add_u32 s24, s21, s51
	s_addc_u32 s25, s25, s55
	v_mfma_f32_16x16x16_bf16 a[0:3], v[100:101], v[92:93], a[0:3]
	ds_read_b64 v[98:99], v47
	ds_read_b64 v[100:101], v77
	ds_read_b64 v[90:91], v80 offset:8192
	s_lshl_b64 s[24:25], s[24:25], 15
	v_mfma_f32_16x16x16_bf16 a[0:3], v[102:103], v[94:95], a[0:3]
	ds_read_b64 v[102:103], v81 offset:8192
	s_and_b64 vcc, exec, s[0:1]
	s_waitcnt lgkmcnt(4)
	v_mfma_f32_16x16x16_bf16 a[4:7], v[106:107], v[92:93], a[4:7]
	s_waitcnt lgkmcnt(1)
	v_mfma_f32_16x16x16_bf16 a[4:7], v[90:91], v[94:95], a[4:7]
	v_lshl_add_u64 v[90:91], v[48:49], 0, s[24:25]
	global_store_dwordx4 v[90:91], v[98:101], off
	v_mfma_f32_16x16x16_bf16 a[0:3], v[104:105], v[96:97], a[0:3]
	s_waitcnt lgkmcnt(0)
	v_mfma_f32_16x16x16_bf16 a[4:7], v[102:103], v[96:97], a[4:7]
	s_cbranch_vccnz .LBB570_42
; %bb.41:                               ;   in Loop: Header=BB570_32 Depth=1
	v_lshrrev_b32_e32 v90, 3, v88
	v_and_b32_e32 v90, 6, v90
	v_xor_b32_e32 v89, v90, v89
	v_lshlrev_b32_e32 v89, 2, v89
	v_and_b32_e32 v88, 8, v88
	v_xor_b32_e32 v91, 0x440, v89
	v_cmp_eq_u32_e32 vcc, 0, v88
	s_barrier
	s_nop 0
	v_cndmask_b32_e32 v88, v91, v89, vcc
	v_lshl_or_b32 v88, v90, 10, v88
	s_waitcnt vmcnt(2)
	v_perm_b32 v89, v38, v34, s64
	s_waitcnt vmcnt(1)
	v_perm_b32 v90, v30, v26, s64
	ds_write2st64_b32 v88, v89, v90 offset1:32
	v_xor_b32_e32 v89, 8, v88
	v_perm_b32 v34, v38, v34, s65
	v_perm_b32 v26, v30, v26, s65
	v_add_u32_e32 v30, 0x80, v89
	ds_write2st64_b32 v30, v34, v26 offset1:32
	v_xor_b32_e32 v26, 16, v88
	v_perm_b32 v30, v39, v35, s64
	v_perm_b32 v34, v31, v27, s64
	ds_write2st64_b32 v26, v30, v34 offset0:1 offset1:33
	v_xor_b32_e32 v26, 24, v88
	v_perm_b32 v30, v39, v35, s65
	v_perm_b32 v27, v31, v27, s65
	v_add_u32_e32 v26, 0x80, v26
	ds_write2st64_b32 v26, v30, v27 offset0:1 offset1:33
	v_xor_b32_e32 v26, 32, v88
	v_perm_b32 v27, v40, v36, s64
	v_perm_b32 v30, v32, v28, s64
	ds_write2st64_b32 v26, v27, v30 offset0:2 offset1:34
	v_xor_b32_e32 v26, 40, v88
	v_perm_b32 v27, v40, v36, s65
	v_perm_b32 v28, v32, v28, s65
	v_add_u32_e32 v26, 0x80, v26
	ds_write2st64_b32 v26, v27, v28 offset0:2 offset1:34
	;; [unrolled: 9-line block ×3, first 2 shown]
	ds_write_b64 v9, v[22:23] offset:16384
	v_xor_b32_e32 v22, 8, v9
	ds_write_b64 v22, v[24:25] offset:16384
	ds_write_b64 v9, v[18:19] offset:24576
	;; [unrolled: 1-line block ×4, first 2 shown]
	v_xor_b32_e32 v9, 8, v5
	ds_write_b64 v9, v[16:17] offset:16384
	ds_write_b64 v5, v[10:11] offset:24576
	;; [unrolled: 1-line block ×3, first 2 shown]
.LBB570_42:                             ;   in Loop: Header=BB570_32 Depth=1
	v_exp_f32_e32 v10, s20
	s_nop 2
	v_accvgpr_read_b32 v9, a1
	v_accvgpr_read_b32 v5, a0
	s_add_i32 s63, s63, 64
	v_fma_f32 v3, v3, v10, v9
	v_accvgpr_read_b32 v9, a4
	v_fma_f32 v6, v6, v10, v9
	v_accvgpr_read_b32 v9, a5
	;; [unrolled: 2-line block ×6, first 2 shown]
	v_fmac_f32_e32 v5, v59, v10
	s_cmp_eq_u32 s54, s37
	v_fmac_f32_e32 v9, v60, v10
	s_cbranch_scc1 .LBB570_4
; %bb.43:                               ;   in Loop: Header=BB570_32 Depth=1
	s_mov_b32 s39, s37
	v_mov_b32_e32 v59, v5
	v_mov_b32_e32 v60, v9
	s_branch .LBB570_32
.LBB570_44:
                                        ; implicit-def: $vgpr13
                                        ; implicit-def: $vgpr17
                                        ; implicit-def: $vgpr21
                                        ; implicit-def: $vgpr25
	s_cbranch_execz .LBB570_46
; %bb.45:
	s_waitcnt vmcnt(0)
	v_mad_u64_u32 v[10:11], s[0:1], v27, s15, v[26:27]
	v_lshlrev_b32_e32 v27, 1, v10
	s_lshl_b32 s2, s15, 7
	s_and_b32 s1, s5, 0xffff
	s_mov_b32 s3, 0x20000
	s_mov_b32 s0, s4
	v_add_lshl_u32 v28, v10, s15, 1
	s_movk_i32 s13, 0x80
	buffer_load_dwordx4 v[10:13], v27, s[0:3], 0 offen
	buffer_load_dwordx4 v[18:21], v27, s[0:3], s13 offen
	;; [unrolled: 1-line block ×4, first 2 shown]
.LBB570_46:
	v_lshrrev_b32_e32 v45, 2, v45
	s_cbranch_execnz .LBB570_59
.LBB570_47:
	s_and_b64 vcc, exec, s[6:7]
	s_cbranch_vccz .LBB570_57
; %bb.48:
	s_waitcnt vmcnt(0)
	v_lshlrev_b32_e32 v15, 1, v47
	v_cmp_gt_i32_e32 vcc, s27, v15
	v_mov_b32_e32 v14, 0
	v_lshlrev_b32_e32 v22, 9, v47
	v_mov_b32_e32 v10, 0
	v_mov_b32_e32 v11, 0
	;; [unrolled: 1-line block ×4, first 2 shown]
	s_and_saveexec_b64 s[0:1], vcc
	s_cbranch_execz .LBB570_50
; %bb.49:
	v_mov_b32_e32 v23, 0
	v_lshl_add_u64 v[10:11], s[4:5], 0, v[22:23]
	v_lshlrev_b32_e32 v12, 1, v26
	v_mov_b32_e32 v13, v23
	v_lshl_add_u64 v[10:11], v[10:11], 0, v[12:13]
	global_load_dwordx4 v[10:13], v[10:11], off
.LBB570_50:
	s_or_b64 exec, exec, s[0:1]
	v_or_b32_e32 v15, 1, v15
	v_cmp_gt_i32_e64 s[0:1], s27, v15
	v_lshlrev_b32_e32 v28, 8, v15
	v_mov_b32_e32 v15, 0
	v_mov_b32_e32 v16, 0
	;; [unrolled: 1-line block ×3, first 2 shown]
	s_and_saveexec_b64 s[2:3], s[0:1]
	s_cbranch_execz .LBB570_52
; %bb.51:
	v_mov_b32_e32 v29, 0
	v_lshl_add_u64 v[14:15], s[4:5], 0, v[28:29]
	v_lshlrev_b32_e32 v16, 1, v26
	v_mov_b32_e32 v17, v29
	v_lshl_add_u64 v[14:15], v[14:15], 0, v[16:17]
	global_load_dwordx4 v[14:17], v[14:15], off
.LBB570_52:
	s_or_b64 exec, exec, s[2:3]
	v_mov_b32_e32 v25, 0
	v_mov_b32_e32 v18, 0
	v_mov_b32_e32 v19, 0
	v_mov_b32_e32 v20, 0
	v_mov_b32_e32 v21, 0
	s_and_saveexec_b64 s[2:3], vcc
	s_cbranch_execz .LBB570_54
; %bb.53:
	v_mov_b32_e32 v23, 0
	v_lshl_add_u64 v[18:19], s[4:5], 0, v[22:23]
	v_lshlrev_b32_e32 v22, 1, v26
	v_lshl_add_u64 v[18:19], v[18:19], 0, v[22:23]
	global_load_dwordx4 v[18:21], v[18:19], off offset:128
.LBB570_54:
	s_or_b64 exec, exec, s[2:3]
	v_mov_b32_e32 v24, 0
	v_mov_b32_e32 v23, 0
	;; [unrolled: 1-line block ×3, first 2 shown]
	s_and_saveexec_b64 s[2:3], s[0:1]
	s_cbranch_execz .LBB570_56
; %bb.55:
	v_mov_b32_e32 v29, 0
	v_lshl_add_u64 v[22:23], s[4:5], 0, v[28:29]
	v_lshlrev_b32_e32 v28, 1, v26
	v_lshl_add_u64 v[22:23], v[22:23], 0, v[28:29]
	global_load_dwordx4 v[22:25], v[22:23], off offset:128
.LBB570_56:
	s_or_b64 exec, exec, s[2:3]
	s_branch .LBB570_59
.LBB570_57:
                                        ; implicit-def: $vgpr13
                                        ; implicit-def: $vgpr17
                                        ; implicit-def: $vgpr21
                                        ; implicit-def: $vgpr25
	s_cbranch_execz .LBB570_59
; %bb.58:
	s_waitcnt vmcnt(0)
	v_lshlrev_b32_e32 v10, 1, v26
	v_lshl_or_b32 v26, v47, 9, v10
	s_and_b32 s5, s5, 0xffff
	s_mov_b32 s7, 0x20000
	s_movk_i32 s6, 0x4000
	s_movk_i32 s0, 0x80
	buffer_load_dwordx4 v[10:13], v26, s[4:7], 0 offen
	buffer_load_dwordx4 v[14:17], v26, s[4:7], 0 offen offset:256
	buffer_load_dwordx4 v[18:21], v26, s[4:7], s0 offen
	buffer_load_dwordx4 v[22:25], v26, s[4:7], s0 offen offset:256
.LBB570_59:
	ds_read2st64_b64 v[30:33], v50 offset0:76 offset1:77
	ds_read2st64_b64 v[26:29], v50 offset0:78 offset1:79
	ds_read_b64 v[38:39], v34 offset:24576
	ds_read_b64 v[40:41], v35 offset:24576
	;; [unrolled: 1-line block ×4, first 2 shown]
	v_and_b32_e32 v51, 6, v0
	v_xor_b32_e32 v47, v47, v51
	v_lshlrev_b32_e32 v47, 2, v47
	v_and_b32_e32 v53, 1, v0
	v_xor_b32_e32 v54, 0x440, v47
	v_cmp_eq_u32_e32 vcc, 0, v53
	s_mov_b32 s0, 0x1000504
	s_waitcnt vmcnt(0)
	v_perm_b32 v53, v18, v22, s0
	v_cndmask_b32_e32 v47, v54, v47, vcc
	v_lshl_or_b32 v47, v51, 10, v47
	v_perm_b32 v51, v10, v14, s0
	ds_write2st64_b32 v47, v51, v53 offset1:32
	v_xor_b32_e32 v51, 8, v47
	s_mov_b32 s1, 0x3020706
	v_perm_b32 v10, v10, v14, s1
	v_perm_b32 v14, v18, v22, s1
	v_add_u32_e32 v18, 0x80, v51
	ds_write2st64_b32 v18, v10, v14 offset1:32
	v_xor_b32_e32 v10, 16, v47
	v_perm_b32 v14, v11, v15, s0
	v_perm_b32 v18, v19, v23, s0
	ds_write2st64_b32 v10, v14, v18 offset0:1 offset1:33
	v_xor_b32_e32 v10, 24, v47
	v_perm_b32 v11, v11, v15, s1
	v_perm_b32 v14, v19, v23, s1
	v_add_u32_e32 v10, 0x80, v10
	ds_write2st64_b32 v10, v11, v14 offset0:1 offset1:33
	v_xor_b32_e32 v10, 32, v47
	v_perm_b32 v11, v12, v16, s0
	v_perm_b32 v14, v20, v24, s0
	ds_write2st64_b32 v10, v11, v14 offset0:2 offset1:34
	v_xor_b32_e32 v10, 40, v47
	v_perm_b32 v11, v12, v16, s1
	v_perm_b32 v12, v20, v24, s1
	v_add_u32_e32 v10, 0x80, v10
	ds_write2st64_b32 v10, v11, v12 offset0:2 offset1:34
	v_xor_b32_e32 v10, 48, v47
	v_perm_b32 v11, v13, v17, s0
	v_perm_b32 v12, v21, v25, s0
	ds_write2st64_b32 v10, v11, v12 offset0:3 offset1:35
	v_xor_b32_e32 v10, 56, v47
	v_and_or_b32 v16, v45, 12, v52
	v_perm_b32 v11, v13, v17, s1
	v_perm_b32 v12, v21, v25, s1
	v_add_u32_e32 v10, 0x80, v10
	v_cmp_gt_i32_e32 vcc, s27, v16
	v_mov_b32_e32 v17, 0
	v_mov_b32_e32 v21, 0
	ds_write2st64_b32 v10, v11, v12 offset0:3 offset1:35
	s_and_saveexec_b64 s[0:1], vcc
	s_cbranch_execz .LBB570_61
; %bb.60:
	v_add_u32_e32 v10, s26, v16
	v_ashrrev_i32_e32 v11, 31, v10
	v_mul_lo_u32 v12, v11, s34
	v_mul_lo_u32 v13, v10, s35
	v_mad_u64_u32 v[10:11], s[2:3], v10, s34, 0
	v_add3_u32 v11, v11, v13, v12
	v_lshl_add_u64 v[10:11], v[10:11], 2, s[10:11]
	global_load_dword v10, v[10:11], off
	s_waitcnt vmcnt(0)
	v_sub_f32_e32 v10, s12, v10
	v_exp_f32_e32 v21, v10
.LBB570_61:
	s_or_b64 exec, exec, s[0:1]
	v_or_b32_e32 v19, 1, v16
	v_cmp_gt_i32_e64 s[0:1], s27, v19
	s_and_saveexec_b64 s[2:3], s[0:1]
	s_cbranch_execz .LBB570_63
; %bb.62:
	v_add_u32_e32 v10, s26, v19
	v_ashrrev_i32_e32 v11, 31, v10
	v_mul_lo_u32 v12, v11, s34
	v_mul_lo_u32 v13, v10, s35
	v_mad_u64_u32 v[10:11], s[4:5], v10, s34, 0
	v_add3_u32 v11, v11, v13, v12
	v_lshl_add_u64 v[10:11], v[10:11], 2, s[10:11]
	global_load_dword v10, v[10:11], off
	s_waitcnt vmcnt(0)
	v_sub_f32_e32 v10, s12, v10
	v_exp_f32_e32 v17, v10
.LBB570_63:
	s_or_b64 exec, exec, s[2:3]
	v_or_b32_e32 v20, 2, v16
	v_cmp_gt_i32_e64 s[2:3], s27, v20
	v_mov_b32_e32 v18, 0
	v_mov_b32_e32 v23, 0
	s_and_saveexec_b64 s[4:5], s[2:3]
	s_cbranch_execz .LBB570_65
; %bb.64:
	v_add_u32_e32 v10, s26, v20
	v_ashrrev_i32_e32 v11, 31, v10
	v_mul_lo_u32 v12, v11, s34
	v_mul_lo_u32 v13, v10, s35
	v_mad_u64_u32 v[10:11], s[6:7], v10, s34, 0
	v_add3_u32 v11, v11, v13, v12
	v_lshl_add_u64 v[10:11], v[10:11], 2, s[10:11]
	global_load_dword v10, v[10:11], off
	s_waitcnt vmcnt(0)
	v_sub_f32_e32 v10, s12, v10
	v_exp_f32_e32 v23, v10
.LBB570_65:
	s_or_b64 exec, exec, s[4:5]
	v_or_b32_e32 v22, 3, v16
	v_cmp_gt_i32_e64 s[4:5], s27, v22
	s_and_saveexec_b64 s[6:7], s[4:5]
	s_cbranch_execz .LBB570_67
; %bb.66:
	v_add_u32_e32 v10, s26, v22
	v_ashrrev_i32_e32 v11, 31, v10
	v_mul_lo_u32 v12, v11, s34
	v_mul_lo_u32 v13, v10, s35
	v_mad_u64_u32 v[10:11], s[14:15], v10, s34, 0
	v_add3_u32 v11, v11, v13, v12
	v_lshl_add_u64 v[10:11], v[10:11], 2, s[10:11]
	global_load_dword v10, v[10:11], off
	s_waitcnt vmcnt(0)
	v_sub_f32_e32 v10, s12, v10
	v_exp_f32_e32 v18, v10
.LBB570_67:
	s_or_b64 exec, exec, s[6:7]
	s_waitcnt lgkmcnt(11)
	v_mfma_f32_16x16x16_bf16 a[0:3], v[38:39], v[30:31], a[0:3]
	s_add_u32 s6, s8, s20
	v_ashrrev_i32_e32 v47, 31, v46
	s_addc_u32 s7, s9, s21
	s_waitcnt lgkmcnt(10)
	v_mfma_f32_16x16x16_bf16 a[0:3], v[40:41], v[32:33], a[0:3]
	v_mov_b32_e32 v24, 0
	v_lshl_add_u64 v[14:15], v[46:47], 1, s[6:7]
	v_mov_b32_e32 v25, 0
	s_waitcnt lgkmcnt(9)
	v_mfma_f32_16x16x16_bf16 a[0:3], v[36:37], v[26:27], a[0:3]
	s_waitcnt lgkmcnt(8)
	v_mfma_f32_16x16x16_bf16 a[0:3], v[34:35], v[28:29], a[0:3]
	s_nop 6
	v_accvgpr_read_b32 v13, a3
	v_accvgpr_read_b32 v12, a2
	;; [unrolled: 1-line block ×4, first 2 shown]
	s_and_saveexec_b64 s[6:7], vcc
	s_cbranch_execz .LBB570_69
; %bb.68:
	v_lshlrev_b32_e32 v26, 8, v16
	v_mov_b32_e32 v27, 0
	v_lshl_add_u64 v[26:27], v[14:15], 0, v[26:27]
	global_load_ushort v25, v[26:27], off
	s_waitcnt vmcnt(0)
	v_lshlrev_b32_e32 v25, 16, v25
	v_sub_f32_e32 v10, v25, v10
	v_mul_f32_e32 v10, v21, v10
	v_lshrrev_b32_e32 v25, 16, v10
.LBB570_69:
	s_or_b64 exec, exec, s[6:7]
	s_and_saveexec_b64 s[6:7], s[0:1]
	s_cbranch_execz .LBB570_71
; %bb.70:
	v_lshlrev_b32_e32 v26, 8, v19
	v_mov_b32_e32 v27, 0
	v_lshl_add_u64 v[26:27], v[14:15], 0, v[26:27]
	global_load_ushort v10, v[26:27], off
	s_waitcnt vmcnt(0)
	v_lshlrev_b32_e32 v10, 16, v10
	v_sub_f32_e32 v10, v10, v11
	v_mul_f32_e32 v10, v17, v10
	v_lshrrev_b32_e32 v24, 16, v10
.LBB570_71:
	s_or_b64 exec, exec, s[6:7]
	v_mov_b32_e32 v11, 0
	v_mov_b32_e32 v17, 0
	s_and_saveexec_b64 s[0:1], s[2:3]
	s_cbranch_execz .LBB570_73
; %bb.72:
	v_lshlrev_b32_e32 v20, 8, v20
	v_mov_b32_e32 v21, 0
	v_lshl_add_u64 v[20:21], v[14:15], 0, v[20:21]
	global_load_ushort v10, v[20:21], off
	s_waitcnt vmcnt(0)
	v_lshlrev_b32_e32 v10, 16, v10
	v_sub_f32_e32 v10, v10, v12
	v_mul_f32_e32 v10, v23, v10
	v_lshrrev_b32_e32 v17, 16, v10
.LBB570_73:
	s_or_b64 exec, exec, s[0:1]
	v_or_b32_e32 v10, 0x9800, v50
	s_and_saveexec_b64 s[0:1], s[4:5]
	s_cbranch_execz .LBB570_75
; %bb.74:
	v_lshlrev_b32_e32 v20, 8, v22
	v_mov_b32_e32 v21, 0
	v_lshl_add_u64 v[14:15], v[14:15], 0, v[20:21]
	global_load_ushort v11, v[14:15], off
	s_waitcnt vmcnt(0)
	v_lshlrev_b32_e32 v11, 16, v11
	v_sub_f32_e32 v11, v11, v13
	v_mul_f32_e32 v11, v18, v11
	v_lshrrev_b32_e32 v11, 16, v11
.LBB570_75:
	s_or_b64 exec, exec, s[0:1]
	s_mov_b32 s0, 0x5040100
	v_perm_b32 v13, v11, v17, s0
	v_lshlrev_b32_e32 v11, 1, v48
	v_perm_b32 v12, v24, v25, s0
	v_lshl_or_b32 v11, v16, 5, v11
	s_movk_i32 s0, 0xff
	ds_write_b64 v11, v[12:13] offset:38912
	v_and_b32_e32 v11, 7, v0
	v_and_b32_e32 v12, 8, v0
	v_cmp_lt_u32_e32 vcc, s0, v0
	v_lshrrev_b32_e32 v0, 1, v0
	v_lshlrev_b32_e32 v22, 3, v1
	v_and_b32_e32 v23, 24, v0
	v_xor_b32_e32 v0, v22, v23
	v_cndmask_b32_e64 v13, 0, 1, vcc
	v_or_b32_e32 v1, 0x440, v0
	v_cmp_eq_u32_e32 vcc, 0, v12
	v_lshlrev_b32_e32 v20, 3, v11
	v_lshlrev_b32_e32 v11, 7, v11
	v_cndmask_b32_e32 v0, v1, v0, vcc
	v_or_b32_e32 v0, v0, v49
	v_lshlrev_b32_e32 v21, 13, v13
	v_xad_u32 v24, v0, v20, v11
	v_add_u32_e32 v0, v21, v24
	s_waitcnt lgkmcnt(0)
	s_barrier
	ds_read_b64 v[0:1], v0
	ds_read2st64_b64 v[12:15], v10 offset1:1
	ds_read2st64_b64 v[16:19], v10 offset0:2 offset1:3
	s_waitcnt lgkmcnt(1)
	v_mfma_f32_16x16x16_bf16 a[0:3], v[0:1], v[12:13], 0
	v_or_b32_e32 v0, 32, v23
	v_xor_b32_e32 v0, v22, v0
	v_or_b32_e32 v1, 0x440, v0
	v_cndmask_b32_e32 v0, v1, v0, vcc
	v_or_b32_e32 v0, v0, v49
	v_xad_u32 v25, v0, v20, v11
	v_add_u32_e32 v0, v21, v25
	ds_read_b64 v[0:1], v0
	v_or_b32_e32 v10, 0x60, v23
	s_waitcnt lgkmcnt(0)
	v_mfma_f32_16x16x16_bf16 a[0:3], v[0:1], v[14:15], a[0:3]
	v_or_b32_e32 v0, 64, v23
	v_xor_b32_e32 v0, v22, v0
	v_xor_b32_e32 v1, 0x440, v0
	v_cndmask_b32_e32 v0, v1, v0, vcc
	v_or_b32_e32 v0, v0, v49
	v_xad_u32 v26, v0, v20, v11
	v_xor_b32_e32 v10, v22, v10
	v_add_u32_e32 v0, v21, v26
	v_xor_b32_e32 v22, 0x440, v10
	ds_read_b64 v[0:1], v0
	v_cndmask_b32_e32 v10, v22, v10, vcc
	v_or_b32_e32 v10, v10, v49
	v_xad_u32 v22, v10, v20, v11
	v_add_u32_e32 v10, v21, v22
	ds_read_b64 v[10:11], v10
	s_waitcnt lgkmcnt(1)
	v_mfma_f32_16x16x16_bf16 a[0:3], v[0:1], v[16:17], a[0:3]
	ds_read_b64 v[0:1], v24 offset:8192
	ds_read_b64 v[20:21], v26 offset:8192
	v_exp_f32_e32 v23, s12
	s_waitcnt lgkmcnt(2)
	v_mfma_f32_16x16x16_bf16 a[0:3], v[10:11], v[18:19], a[0:3]
	ds_read_b64 v[10:11], v25 offset:8192
	s_waitcnt lgkmcnt(2)
	v_mfma_f32_16x16x16_bf16 a[4:7], v[0:1], v[12:13], 0
	ds_read_b64 v[12:13], v22 offset:8192
	s_nop 2
	v_accvgpr_read_b32 v0, a0
	v_accvgpr_read_b32 v1, a1
	s_waitcnt lgkmcnt(1)
	v_mfma_f32_16x16x16_bf16 a[4:7], v[10:11], v[14:15], a[4:7]
	v_fma_f32 v0, v2, v23, v0
	v_fma_f32 v1, v3, v23, v1
	v_accvgpr_read_b32 v2, a2
	v_mfma_f32_16x16x16_bf16 a[4:7], v[20:21], v[16:17], a[4:7]
	v_accvgpr_read_b32 v3, a3
	v_fma_f32 v2, v4, v23, v2
	v_fmac_f32_e32 v3, v5, v23
	s_waitcnt lgkmcnt(0)
	v_mfma_f32_16x16x16_bf16 a[0:3], v[12:13], v[18:19], a[4:7]
	s_nop 6
	v_accvgpr_read_b32 v4, a0
	v_accvgpr_read_b32 v5, a1
	v_fma_f32 v4, v6, v23, v4
	v_fma_f32 v5, v7, v23, v5
	v_accvgpr_read_b32 v6, a2
	v_accvgpr_read_b32 v7, a3
	v_fma_f32 v6, v8, v23, v6
	v_fmac_f32_e32 v7, v9, v23
	v_mov_b64_e32 v[8:9], v[6:7]
	v_mov_b64_e32 v[6:7], v[4:5]
	;; [unrolled: 1-line block ×4, first 2 shown]
.LBB570_76:
	s_waitcnt lgkmcnt(0)
	s_add_u32 s0, s30, s28
	s_addc_u32 s1, s31, s29
	v_lshl_add_u64 v[0:1], v[42:43], 1, s[0:1]
	v_mov_b32_e32 v45, 0
	s_mov_b32 s0, 0x7060302
	v_lshl_add_u64 v[0:1], v[0:1], 0, v[44:45]
	v_perm_b32 v5, v5, v4, s0
	v_perm_b32 v4, v3, v2, s0
	;; [unrolled: 1-line block ×4, first 2 shown]
	global_store_dwordx2 v[0:1], v[4:5], off
	global_store_dwordx2 v[0:1], v[2:3], off offset:128
	s_endpgm
	.section	.rodata,"a",@progbits
	.p2align	6, 0x0
	.amdhsa_kernel _ZN12_GLOBAL__N_139chunk_gated_delta_rule_fwd_h_hip_kernelILi16ELb1ELb1ELb0ELb0ELb1ELb0ELb0ELb1EEEvPK12hip_bfloat16S3_S3_PKfS5_PKvPS1_S8_PvPKiSB_iiiiilll
		.amdhsa_group_segment_fixed_size 40960
		.amdhsa_private_segment_fixed_size 0
		.amdhsa_kernarg_size 136
		.amdhsa_user_sgpr_count 2
		.amdhsa_user_sgpr_dispatch_ptr 0
		.amdhsa_user_sgpr_queue_ptr 0
		.amdhsa_user_sgpr_kernarg_segment_ptr 1
		.amdhsa_user_sgpr_dispatch_id 0
		.amdhsa_user_sgpr_kernarg_preload_length 0
		.amdhsa_user_sgpr_kernarg_preload_offset 0
		.amdhsa_user_sgpr_private_segment_size 0
		.amdhsa_uses_dynamic_stack 0
		.amdhsa_enable_private_segment 0
		.amdhsa_system_sgpr_workgroup_id_x 1
		.amdhsa_system_sgpr_workgroup_id_y 1
		.amdhsa_system_sgpr_workgroup_id_z 0
		.amdhsa_system_sgpr_workgroup_info 0
		.amdhsa_system_vgpr_workitem_id 0
		.amdhsa_next_free_vgpr 116
		.amdhsa_next_free_sgpr 68
		.amdhsa_accum_offset 108
		.amdhsa_reserve_vcc 1
		.amdhsa_float_round_mode_32 0
		.amdhsa_float_round_mode_16_64 0
		.amdhsa_float_denorm_mode_32 3
		.amdhsa_float_denorm_mode_16_64 3
		.amdhsa_dx10_clamp 1
		.amdhsa_ieee_mode 1
		.amdhsa_fp16_overflow 0
		.amdhsa_tg_split 0
		.amdhsa_exception_fp_ieee_invalid_op 0
		.amdhsa_exception_fp_denorm_src 0
		.amdhsa_exception_fp_ieee_div_zero 0
		.amdhsa_exception_fp_ieee_overflow 0
		.amdhsa_exception_fp_ieee_underflow 0
		.amdhsa_exception_fp_ieee_inexact 0
		.amdhsa_exception_int_div_zero 0
	.end_amdhsa_kernel
	.section	.text._ZN12_GLOBAL__N_139chunk_gated_delta_rule_fwd_h_hip_kernelILi16ELb1ELb1ELb0ELb0ELb1ELb0ELb0ELb1EEEvPK12hip_bfloat16S3_S3_PKfS5_PKvPS1_S8_PvPKiSB_iiiiilll,"axG",@progbits,_ZN12_GLOBAL__N_139chunk_gated_delta_rule_fwd_h_hip_kernelILi16ELb1ELb1ELb0ELb0ELb1ELb0ELb0ELb1EEEvPK12hip_bfloat16S3_S3_PKfS5_PKvPS1_S8_PvPKiSB_iiiiilll,comdat
.Lfunc_end570:
	.size	_ZN12_GLOBAL__N_139chunk_gated_delta_rule_fwd_h_hip_kernelILi16ELb1ELb1ELb0ELb0ELb1ELb0ELb0ELb1EEEvPK12hip_bfloat16S3_S3_PKfS5_PKvPS1_S8_PvPKiSB_iiiiilll, .Lfunc_end570-_ZN12_GLOBAL__N_139chunk_gated_delta_rule_fwd_h_hip_kernelILi16ELb1ELb1ELb0ELb0ELb1ELb0ELb0ELb1EEEvPK12hip_bfloat16S3_S3_PKfS5_PKvPS1_S8_PvPKiSB_iiiiilll
                                        ; -- End function
	.section	.AMDGPU.csdata,"",@progbits
; Kernel info:
; codeLenInByte = 7784
; NumSgprs: 74
; NumVgprs: 108
; NumAgprs: 8
; TotalNumVgprs: 116
; ScratchSize: 0
; MemoryBound: 0
; FloatMode: 240
; IeeeMode: 1
; LDSByteSize: 40960 bytes/workgroup (compile time only)
; SGPRBlocks: 9
; VGPRBlocks: 14
; NumSGPRsForWavesPerEU: 74
; NumVGPRsForWavesPerEU: 116
; AccumOffset: 108
; Occupancy: 1
; WaveLimiterHint : 1
; COMPUTE_PGM_RSRC2:SCRATCH_EN: 0
; COMPUTE_PGM_RSRC2:USER_SGPR: 2
; COMPUTE_PGM_RSRC2:TRAP_HANDLER: 0
; COMPUTE_PGM_RSRC2:TGID_X_EN: 1
; COMPUTE_PGM_RSRC2:TGID_Y_EN: 1
; COMPUTE_PGM_RSRC2:TGID_Z_EN: 0
; COMPUTE_PGM_RSRC2:TIDIG_COMP_CNT: 0
; COMPUTE_PGM_RSRC3_GFX90A:ACCUM_OFFSET: 26
; COMPUTE_PGM_RSRC3_GFX90A:TG_SPLIT: 0
	.section	.text._ZN12_GLOBAL__N_139chunk_gated_delta_rule_fwd_h_hip_kernelILi16ELb1ELb0ELb1ELb0ELb1ELb0ELb0ELb1EEEvPK12hip_bfloat16S3_S3_PKfS5_PKvPS1_S8_PvPKiSB_iiiiilll,"axG",@progbits,_ZN12_GLOBAL__N_139chunk_gated_delta_rule_fwd_h_hip_kernelILi16ELb1ELb0ELb1ELb0ELb1ELb0ELb0ELb1EEEvPK12hip_bfloat16S3_S3_PKfS5_PKvPS1_S8_PvPKiSB_iiiiilll,comdat
	.globl	_ZN12_GLOBAL__N_139chunk_gated_delta_rule_fwd_h_hip_kernelILi16ELb1ELb0ELb1ELb0ELb1ELb0ELb0ELb1EEEvPK12hip_bfloat16S3_S3_PKfS5_PKvPS1_S8_PvPKiSB_iiiiilll ; -- Begin function _ZN12_GLOBAL__N_139chunk_gated_delta_rule_fwd_h_hip_kernelILi16ELb1ELb0ELb1ELb0ELb1ELb0ELb0ELb1EEEvPK12hip_bfloat16S3_S3_PKfS5_PKvPS1_S8_PvPKiSB_iiiiilll
	.p2align	8
	.type	_ZN12_GLOBAL__N_139chunk_gated_delta_rule_fwd_h_hip_kernelILi16ELb1ELb0ELb1ELb0ELb1ELb0ELb0ELb1EEEvPK12hip_bfloat16S3_S3_PKfS5_PKvPS1_S8_PvPKiSB_iiiiilll,@function
_ZN12_GLOBAL__N_139chunk_gated_delta_rule_fwd_h_hip_kernelILi16ELb1ELb0ELb1ELb0ELb1ELb0ELb0ELb1EEEvPK12hip_bfloat16S3_S3_PKfS5_PKvPS1_S8_PvPKiSB_iiiiilll: ; @_ZN12_GLOBAL__N_139chunk_gated_delta_rule_fwd_h_hip_kernelILi16ELb1ELb0ELb1ELb0ELb1ELb0ELb0ELb1EEEvPK12hip_bfloat16S3_S3_PKfS5_PKvPS1_S8_PvPKiSB_iiiiilll
; %bb.0:
	s_load_dwordx4 s[12:15], s[0:1], 0x5c
	s_load_dwordx4 s[20:23], s[0:1], 0x70
	s_abs_i32 s6, s3
	s_ashr_i32 s5, s3, 31
	s_load_dwordx4 s[16:19], s[0:1], 0x28
	s_load_dwordx2 s[28:29], s[0:1], 0x38
	s_waitcnt lgkmcnt(0)
	s_abs_i32 s4, s13
	v_cvt_f32_u32_e32 v1, s4
	s_sub_i32 s8, 0, s4
	s_ashr_i32 s7, s13, 31
	s_xor_b32 s5, s5, s7
	v_rcp_iflag_f32_e32 v1, v1
	v_and_b32_e32 v45, 15, v0
	v_lshrrev_b32_e32 v43, 6, v0
	v_bfe_u32 v44, v0, 4, 2
	v_mul_f32_e32 v1, 0x4f7ffffe, v1
	v_cvt_u32_f32_e32 v1, v1
	v_mov_b32_e32 v5, 0
	v_and_b32_e32 v42, 63, v0
	v_lshlrev_b32_e32 v46, 3, v0
	v_readfirstlane_b32 s9, v1
	s_mul_i32 s8, s8, s9
	s_mul_hi_u32 s8, s9, s8
	s_add_i32 s9, s9, s8
	s_mul_hi_u32 s8, s6, s9
	s_mul_i32 s9, s8, s4
	s_sub_i32 s6, s6, s9
	s_add_i32 s10, s8, 1
	s_sub_i32 s9, s6, s4
	s_cmp_ge_u32 s6, s4
	s_cselect_b32 s8, s10, s8
	s_cselect_b32 s6, s9, s6
	s_add_i32 s9, s8, 1
	s_cmp_ge_u32 s6, s4
	s_cselect_b32 s6, s9, s8
	s_xor_b32 s6, s6, s5
	s_add_i32 s8, s12, 63
	s_sub_i32 s51, s6, s5
	s_ashr_i32 s9, s8, 31
	s_mul_i32 s5, s51, s13
	s_sub_i32 s49, s3, s5
	s_lshr_b32 s3, s9, 26
	s_add_i32 s8, s8, s3
	s_abs_i32 s3, s14
	v_cvt_f32_u32_e32 v1, s3
	s_ashr_i32 s50, s12, 31
	s_lshr_b32 s6, s50, 26
	s_add_i32 s6, s12, s6
	v_rcp_iflag_f32_e32 v1, v1
	s_ashr_i32 s54, s14, 31
	s_ashr_i32 s24, s8, 6
	;; [unrolled: 1-line block ×3, first 2 shown]
	v_mul_f32_e32 v1, 0x4f7ffffe, v1
	v_cvt_u32_f32_e32 v1, v1
	s_xor_b32 s6, s7, s54
	s_sub_i32 s7, 0, s3
	s_lshl_b32 s2, s2, 4
	v_readfirstlane_b32 s8, v1
	s_mul_i32 s7, s7, s8
	s_mul_hi_u32 s7, s8, s7
	s_add_i32 s8, s8, s7
	s_mul_hi_u32 s7, s4, s8
	s_mul_i32 s8, s7, s3
	s_sub_i32 s4, s4, s8
	s_add_i32 s8, s7, 1
	s_sub_i32 s9, s4, s3
	s_cmp_ge_u32 s4, s3
	s_cselect_b32 s7, s8, s7
	s_cselect_b32 s4, s9, s4
	s_add_i32 s8, s7, 1
	s_cmp_ge_u32 s4, s3
	s_cselect_b32 s3, s8, s7
	s_xor_b32 s3, s3, s6
	s_sub_i32 s3, s3, s6
	s_abs_i32 s4, s3
	v_cvt_f32_u32_e32 v1, s4
	s_sub_i32 s7, 0, s4
	s_abs_i32 s6, s49
	s_xor_b32 s3, s49, s3
	v_rcp_iflag_f32_e32 v1, v1
	s_ashr_i32 s3, s3, 31
	v_or_b32_e32 v34, s2, v45
	v_lshlrev_b32_e32 v2, 7, v34
	v_mul_f32_e32 v1, 0x4f7ffffe, v1
	v_cvt_u32_f32_e32 v1, v1
	v_ashrrev_i32_e32 v3, 31, v2
	v_lshrrev_b32_e32 v47, 3, v42
	s_mul_i32 s33, s51, s21
	v_readfirstlane_b32 s8, v1
	s_mul_i32 s7, s7, s8
	s_mul_hi_u32 s7, s8, s7
	s_add_i32 s8, s8, s7
	s_mul_hi_u32 s7, s6, s8
	s_mul_i32 s8, s7, s4
	s_sub_i32 s6, s6, s8
	s_add_i32 s8, s7, 1
	s_sub_i32 s9, s6, s4
	s_cmp_ge_u32 s6, s4
	s_cselect_b32 s7, s8, s7
	s_cselect_b32 s6, s9, s6
	s_add_i32 s8, s7, 1
	s_cmp_ge_u32 s6, s4
	s_cselect_b32 s4, s8, s7
	s_xor_b32 s4, s4, s3
	s_sub_i32 s55, s4, s3
	s_ashr_i32 s3, s51, 31
	s_ashr_i32 s53, s49, 31
	s_mul_hi_i32 s4, s51, s13
	s_add_u32 s38, s5, s49
	s_addc_u32 s39, s4, s53
	s_lshl_b64 s[4:5], s[38:39], 15
	v_lshlrev_b32_e32 v1, 4, v43
	s_add_u32 s4, s16, s4
	v_lshl_or_b32 v48, v44, 2, v1
	s_addc_u32 s5, s17, s5
	v_lshl_add_u64 v[2:3], v[2:3], 1, s[4:5]
	v_lshlrev_b32_e32 v4, 1, v48
	v_lshl_add_u64 v[2:3], v[2:3], 0, v[4:5]
	global_load_dwordx2 v[4:5], v[2:3], off
	global_load_dwordx2 v[6:7], v[2:3], off offset:128
	s_load_dwordx8 s[4:11], s[0:1], 0x0
	s_load_dwordx2 s[30:31], s[0:1], 0x80
	v_or_b32_e32 v49, 64, v48
	s_mul_hi_u32 s44, s51, s20
	s_mul_i32 s36, s51, s20
	s_mul_i32 s56, s51, s24
	;; [unrolled: 1-line block ×3, first 2 shown]
	s_mul_hi_u32 s46, s49, s22
	s_mul_i32 s48, s3, s20
	s_mul_i32 s47, s53, s22
	s_mul_hi_u32 s57, s38, s12
	s_mul_i32 s16, s38, s12
	s_mul_i32 s39, s39, s12
	s_cmp_lt_i32 s12, 64
	s_mul_i32 s34, s49, s22
	s_waitcnt vmcnt(1)
	v_and_b32_e32 v50, 0xffff0000, v4
	v_lshlrev_b32_e32 v52, 16, v4
	v_and_b32_e32 v56, 0xffff0000, v5
	v_lshlrev_b32_e32 v54, 16, v5
	s_waitcnt vmcnt(0)
	v_and_b32_e32 v51, 0xffff0000, v6
	v_lshlrev_b32_e32 v53, 16, v6
	v_and_b32_e32 v57, 0xffff0000, v7
	v_lshlrev_b32_e32 v55, 16, v7
	s_cbranch_scc1 .LBB571_3
; %bb.1:
	s_add_i32 s17, s57, s39
	s_lshl_b64 s[0:1], s[16:17], 8
	v_and_b32_e32 v59, 56, v46
	s_waitcnt lgkmcnt(0)
	s_add_u32 s20, s6, s0
	v_lshl_or_b32 v58, v43, 3, v47
	v_lshlrev_b32_e32 v2, 1, v59
	s_addc_u32 s0, s7, s1
	v_lshl_or_b32 v60, v58, 8, v2
	s_and_b32 s21, s0, 0xffff
	s_mov_b32 s23, 0x20000
	s_movk_i32 s22, 0x4000
	s_movk_i32 s0, 0x80
	v_or_b32_e32 v61, 0x2000, v60
	buffer_load_dwordx4 v[4:7], v60, s[20:23], 0 offen
	buffer_load_dwordx4 v[8:11], v60, s[20:23], s0 offen
	;; [unrolled: 1-line block ×4, first 2 shown]
	v_lshlrev_b32_e32 v3, 3, v58
	v_and_or_b32 v21, v0, 7, v3
	v_and_b32_e32 v3, 0x78, v3
	v_lshlrev_b32_e32 v21, 4, v21
	v_xor_b32_e32 v62, v21, v3
	v_mul_lo_u32 v20, v58, s15
	v_or_b32_e32 v63, 0x1000, v62
	v_xor_b32_e32 v3, 8, v62
	s_cmpk_eq_i32 s15, 0x80
	s_mov_b32 s58, s14
	v_xor_b32_e32 v21, 8, v63
	s_cselect_b64 s[0:1], -1, 0
	s_cmpk_lg_i32 s15, 0x80
	s_waitcnt vmcnt(3)
	ds_write_b64 v62, v[4:5] offset:16384
	ds_write_b64 v3, v[6:7] offset:16384
	s_waitcnt vmcnt(2)
	ds_write_b64 v62, v[8:9] offset:24576
	ds_write_b64 v3, v[10:11] offset:24576
	;; [unrolled: 3-line block ×4, first 2 shown]
	v_lshl_add_u32 v3, v20, 1, v59
	s_cbranch_scc0 .LBB571_29
; %bb.2:
	v_lshlrev_b32_e32 v5, 1, v3
	v_add_lshl_u32 v4, v3, s15, 1
	s_lshl_b32 s22, s15, 7
	v_lshl_or_b32 v2, v58, 9, v2
	s_cbranch_execz .LBB571_30
	s_branch .LBB571_31
.LBB571_3:
	v_mov_b32_e32 v2, v57
	v_mov_b32_e32 v3, v56
.LBB571_4:
	s_lshl_b32 s26, s52, 6
	s_sub_i32 s27, s12, s26
	s_cmp_gt_i32 s27, 0
	s_cbranch_scc0 .LBB571_76
; %bb.5:
	s_ashr_i32 s3, s26, 31
	s_cmpk_lg_i32 s15, 0x80
	s_cselect_b64 s[22:23], -1, 0
	s_and_b64 vcc, exec, s[22:23]
	s_cbranch_vccz .LBB571_7
; %bb.6:
	s_mul_i32 s1, s51, s12
	s_mul_hi_i32 s0, s51, s12
	s_add_u32 s1, s1, s26
	s_addc_u32 s0, s0, s3
	s_mul_i32 s17, s1, s54
	s_mul_hi_u32 s20, s1, s14
	s_add_i32 s17, s20, s17
	s_mul_i32 s0, s0, s14
	s_add_i32 s17, s17, s0
	s_mul_i32 s1, s1, s14
	s_ashr_i32 s0, s55, 31
	s_add_u32 s24, s1, s55
	s_addc_u32 s25, s17, s0
	s_cbranch_execz .LBB571_8
	s_branch .LBB571_9
.LBB571_7:
                                        ; implicit-def: $sgpr24_sgpr25
.LBB571_8:
	s_mul_hi_i32 s0, s51, s14
	s_mul_i32 s51, s51, s14
	s_ashr_i32 s1, s55, 31
	s_add_u32 s14, s51, s55
	s_addc_u32 s0, s0, s1
	s_mul_i32 s1, s14, s50
	s_mul_hi_u32 s17, s14, s12
	s_add_i32 s1, s17, s1
	s_mul_i32 s0, s0, s12
	s_add_i32 s1, s1, s0
	s_mul_i32 s14, s14, s12
	s_add_u32 s24, s14, s26
	s_addc_u32 s25, s1, s3
.LBB571_9:
	s_mul_i32 s0, s38, s50
	s_add_i32 s0, s57, s0
	s_add_i32 s14, s56, s52
	;; [unrolled: 1-line block ×3, first 2 shown]
	s_add_u32 s0, s16, s26
	s_addc_u32 s1, s1, s3
	s_mov_b32 s3, 0x7060302
	v_lshlrev_b32_e32 v6, 3, v45
	v_perm_b32 v5, v3, v54, s3
	v_perm_b32 v4, v50, v52, s3
	v_perm_b32 v3, v2, v55, s3
	v_perm_b32 v2, v51, v53, s3
	v_lshlrev_b32_e32 v36, 2, v45
	v_lshl_or_b32 v6, v48, 5, v6
	s_lshl_b64 s[20:21], s[0:1], 8
	ds_write2st64_b64 v6, v[4:5], v[2:3] offset0:72 offset1:76
	v_xor_b32_e32 v6, v48, v36
	v_lshlrev_b32_e32 v7, 8, v45
	s_waitcnt lgkmcnt(0)
	s_add_u32 s0, s6, s20
	v_lshl_or_b32 v6, v6, 1, v7
	s_addc_u32 s1, s7, s21
	ds_write_b64 v6, v[4:5] offset:32768
	v_xor_b32_e32 v4, v49, v36
	s_mul_hi_i32 s3, s14, s13
	s_mul_i32 s14, s14, s13
	v_lshl_or_b32 v4, v4, 1, v7
	s_add_u32 s6, s14, s49
	ds_write_b64 v4, v[2:3] offset:32768
	s_addc_u32 s7, s3, s53
	v_lshlrev_b32_e32 v3, 1, v45
	v_lshrrev_b32_e32 v2, 4, v0
	s_ashr_i32 s3, s2, 31
	s_lshl_b64 s[6:7], s[6:7], 15
	v_or_b32_e32 v4, 1, v3
	s_add_u32 s6, s18, s6
	v_xor_b32_e32 v3, v2, v3
	v_xor_b32_e32 v4, v4, v2
	v_lshlrev_b32_e32 v6, 8, v2
	s_addc_u32 s7, s19, s7
	s_lshl_b64 s[2:3], s[2:3], 8
	v_lshl_or_b32 v2, v3, 3, v6
	v_lshl_or_b32 v4, v4, 3, v6
	s_waitcnt lgkmcnt(0)
	s_barrier
	s_add_u32 s2, s6, s2
	ds_read_b64 v[2:3], v2 offset:32768
	ds_read_b64 v[4:5], v4 offset:32768
	s_addc_u32 s3, s7, s3
	v_mov_b32_e32 v7, 0
	s_cmp_lg_u32 s27, 64
	v_lshl_add_u64 v[8:9], s[2:3], 0, v[6:7]
	v_lshlrev_b32_e32 v6, 4, v45
	s_cselect_b64 s[6:7], -1, 0
	v_lshl_or_b32 v35, v43, 3, v47
	s_mov_b32 s16, 0
	v_lshl_add_u64 v[6:7], v[8:9], 0, v[6:7]
	s_waitcnt vmcnt(1)
	v_or_b32_e32 v19, 32, v35
	v_and_b32_e32 v18, 56, v46
	s_and_b64 vcc, exec, s[6:7]
	s_waitcnt lgkmcnt(0)
	global_store_dwordx4 v[6:7], v[2:5], off
	s_cbranch_vccz .LBB571_15
; %bb.10:
	s_mov_b32 s17, s16
	s_mov_b32 s18, s16
	;; [unrolled: 1-line block ×3, first 2 shown]
	v_mov_b64_e32 v[6:7], s[16:17]
	v_mov_b64_e32 v[8:9], s[18:19]
	;; [unrolled: 1-line block ×3, first 2 shown]
	v_cmp_gt_i32_e32 vcc, s27, v35
	v_mov_b64_e32 v[4:5], v[8:9]
	s_and_saveexec_b64 s[2:3], vcc
	s_cbranch_execz .LBB571_12
; %bb.11:
	v_lshlrev_b32_e32 v2, 8, v35
	v_mov_b32_e32 v3, 0
	v_lshl_add_u64 v[4:5], s[0:1], 0, v[2:3]
	v_lshlrev_b32_e32 v2, 1, v18
	v_lshl_add_u64 v[10:11], v[4:5], 0, v[2:3]
	global_load_dwordx4 v[6:9], v[10:11], off
	global_load_dwordx4 v[2:5], v[10:11], off offset:128
.LBB571_12:
	s_or_b64 exec, exec, s[2:3]
	s_mov_b32 s17, s16
	s_mov_b32 s18, s16
	s_mov_b32 s19, s16
	v_mov_b64_e32 v[14:15], s[16:17]
	v_mov_b64_e32 v[16:17], s[18:19]
	;; [unrolled: 1-line block ×3, first 2 shown]
	v_cmp_gt_i32_e32 vcc, s27, v19
	v_lshlrev_b32_e32 v20, 7, v19
	v_mov_b64_e32 v[12:13], v[16:17]
	s_and_saveexec_b64 s[2:3], vcc
	s_cbranch_execz .LBB571_14
; %bb.13:
	v_lshlrev_b32_e32 v10, 1, v20
	v_mov_b32_e32 v11, 0
	v_lshl_add_u64 v[12:13], s[0:1], 0, v[10:11]
	v_lshlrev_b32_e32 v10, 1, v18
	v_lshl_add_u64 v[22:23], v[12:13], 0, v[10:11]
	global_load_dwordx4 v[14:17], v[22:23], off
	global_load_dwordx4 v[10:13], v[22:23], off offset:128
.LBB571_14:
	s_or_b64 exec, exec, s[2:3]
	v_lshrrev_b32_e32 v21, 3, v18
	v_lshlrev_b32_e32 v22, 3, v35
	v_or_b32_e32 v21, v22, v21
	v_lshlrev_b32_e32 v21, 4, v21
	v_and_b32_e32 v22, 0x78, v22
	v_xor_b32_e32 v21, v21, v22
	s_branch .LBB571_17
.LBB571_15:
                                        ; implicit-def: $vgpr21
                                        ; implicit-def: $vgpr20
                                        ; implicit-def: $vgpr6_vgpr7_vgpr8_vgpr9
                                        ; implicit-def: $vgpr2_vgpr3_vgpr4_vgpr5
                                        ; implicit-def: $vgpr14_vgpr15_vgpr16_vgpr17
                                        ; implicit-def: $vgpr10_vgpr11_vgpr12_vgpr13
	s_cbranch_execz .LBB571_17
; %bb.16:
	s_waitcnt vmcnt(0)
	v_lshlrev_b32_e32 v2, 1, v18
	v_lshl_or_b32 v20, v35, 8, v2
	s_and_b32 s1, s1, 0xffff
	s_mov_b32 s3, 0x20000
	s_movk_i32 s2, 0x4000
	v_lshl_or_b32 v21, v19, 8, v2
	s_movk_i32 s13, 0x80
	buffer_load_dwordx4 v[6:9], v20, s[0:3], 0 offen
	buffer_load_dwordx4 v[2:5], v20, s[0:3], s13 offen
	;; [unrolled: 1-line block ×4, first 2 shown]
	v_lshrrev_b32_e32 v20, 3, v18
	v_lshlrev_b32_e32 v21, 3, v35
	v_or_b32_e32 v20, v21, v20
	v_lshlrev_b32_e32 v20, 4, v20
	v_and_b32_e32 v21, 0x78, v21
	v_xor_b32_e32 v21, v20, v21
	v_lshlrev_b32_e32 v20, 7, v19
.LBB571_17:
	s_lshl_b64 s[0:1], s[24:25], 8
	s_add_u32 s4, s4, s0
	s_movk_i32 s0, 0x1000
	v_and_or_b32 v19, v20, s0, v21
	s_waitcnt vmcnt(1)
	ds_write_b64 v21, v[6:7] offset:16384
	v_xor_b32_e32 v6, 8, v21
	ds_write_b64 v6, v[8:9] offset:16384
	s_waitcnt vmcnt(0)
	ds_write_b64 v21, v[2:3] offset:24576
	ds_write_b64 v6, v[4:5] offset:24576
	;; [unrolled: 1-line block ×3, first 2 shown]
	v_xor_b32_e32 v2, 8, v19
	ds_write_b64 v2, v[16:17] offset:16384
	ds_write_b64 v19, v[10:11] offset:24576
	;; [unrolled: 1-line block ×3, first 2 shown]
	v_or_b32_e32 v2, v1, v45
	s_addc_u32 s5, s5, s1
	s_add_i32 s0, s12, -1
	v_lshlrev_b32_e32 v2, 3, v2
	v_lshrrev_b32_e32 v4, 5, v42
	s_movk_i32 s12, 0xf8
	v_and_or_b32 v4, v2, s12, v4
	v_lshlrev_b32_e32 v3, 11, v43
	v_lshlrev_b32_e32 v12, 4, v4
	v_and_b32_e32 v13, 0x78, v2
	v_and_b32_e32 v14, 0x1000, v3
	v_lshlrev_b32_e32 v3, 2, v0
	v_xor_b32_e32 v2, v12, v13
	v_lshrrev_b32_e32 v4, 1, v42
	v_and_b32_e32 v3, 60, v3
	v_or_b32_e32 v2, v2, v14
	v_and_b32_e32 v15, 8, v4
	v_xor_b32_e32 v26, v2, v15
	v_lshl_or_b32 v2, v44, 6, v3
	v_lshlrev_b32_e32 v19, 1, v2
	v_or_b32_e32 v2, 32, v12
	v_xor_b32_e32 v2, v2, v13
	s_waitcnt lgkmcnt(0)
	s_barrier
	ds_read_b64 v[10:11], v26 offset:16384
	v_or_b32_e32 v2, v2, v14
	v_xor_b32_e32 v27, v2, v15
	v_or_b32_e32 v2, 64, v12
	v_xor_b32_e32 v2, v2, v13
	v_or_b32_e32 v2, v2, v14
	v_or_b32_e32 v12, 0x60, v12
	v_xor_b32_e32 v28, v2, v15
	ds_read2st64_b64 v[2:5], v19 offset0:72 offset1:73
	ds_read2st64_b64 v[6:9], v19 offset0:74 offset1:75
	v_xor_b32_e32 v16, v12, v13
	ds_read_b64 v[12:13], v27 offset:16384
	s_add_i32 s1, s44, s33
	s_waitcnt lgkmcnt(2)
	v_mfma_f32_16x16x16_bf16 a[0:3], v[10:11], v[2:3], 0
	s_add_i32 s37, s1, s48
	s_add_i32 s1, s46, s45
	;; [unrolled: 1-line block ×3, first 2 shown]
	s_ashr_i32 s1, s0, 31
	s_mul_i32 s2, s0, s31
	s_mul_hi_u32 s3, s0, s30
	s_add_i32 s2, s3, s2
	s_mul_i32 s1, s1, s30
	v_or_b32_e32 v14, v16, v14
	s_add_i32 s1, s2, s1
	s_lshl_b64 s[2:3], s[36:37], 2
	v_xor_b32_e32 v37, v14, v15
	ds_read_b64 v[14:15], v28 offset:16384
	ds_read_b64 v[16:17], v37 offset:16384
	s_waitcnt lgkmcnt(2)
	v_mfma_f32_16x16x16_bf16 a[0:3], v[12:13], v[4:5], a[0:3]
	s_add_u32 s10, s10, s2
	s_addc_u32 s11, s11, s3
	s_lshl_b64 s[2:3], s[34:35], 2
	s_mul_i32 s0, s0, s30
	s_add_u32 s10, s10, s2
	s_addc_u32 s11, s11, s3
	s_lshl_b64 s[0:1], s[0:1], 2
	s_waitcnt lgkmcnt(1)
	v_mfma_f32_16x16x16_bf16 a[0:3], v[14:15], v[6:7], a[0:3]
	s_add_u32 s0, s10, s0
	s_addc_u32 s1, s11, s1
	s_load_dword s12, s[0:1], 0x0
	s_waitcnt lgkmcnt(0)
	v_mfma_f32_16x16x16_bf16 a[0:3], v[16:17], v[8:9], a[0:3]
	s_and_b64 vcc, exec, s[22:23]
	s_cbranch_vccz .LBB571_28
; %bb.18:
	v_lshlrev_b32_e32 v20, 1, v35
	s_and_b64 vcc, exec, s[6:7]
	s_cbranch_vccz .LBB571_44
; %bb.19:
	v_cmp_gt_i32_e32 vcc, s27, v20
	v_mov_b32_e32 v6, 0
	v_mov_b32_e32 v2, 0
	;; [unrolled: 1-line block ×5, first 2 shown]
	s_and_saveexec_b64 s[0:1], vcc
	s_cbranch_execz .LBB571_21
; %bb.20:
	v_mad_i64_i32 v[2:3], s[2:3], s15, v20, 0
	v_lshl_add_u64 v[2:3], v[2:3], 1, s[4:5]
	v_lshlrev_b32_e32 v4, 1, v18
	v_mov_b32_e32 v5, 0
	v_lshl_add_u64 v[2:3], v[2:3], 0, v[4:5]
	global_load_dwordx4 v[2:5], v[2:3], off
.LBB571_21:
	s_or_b64 exec, exec, s[0:1]
	v_or_b32_e32 v21, 1, v20
	v_cmp_gt_i32_e64 s[0:1], s27, v21
	v_mov_b32_e32 v7, 0
	v_mov_b32_e32 v8, 0
	;; [unrolled: 1-line block ×3, first 2 shown]
	s_and_saveexec_b64 s[2:3], s[0:1]
	s_cbranch_execz .LBB571_23
; %bb.22:
	v_mad_i64_i32 v[6:7], s[16:17], s15, v21, 0
	v_lshl_add_u64 v[6:7], v[6:7], 1, s[4:5]
	v_lshlrev_b32_e32 v8, 1, v18
	v_mov_b32_e32 v9, 0
	v_lshl_add_u64 v[6:7], v[6:7], 0, v[8:9]
	global_load_dwordx4 v[6:9], v[6:7], off
.LBB571_23:
	s_or_b64 exec, exec, s[2:3]
	v_mov_b32_e32 v17, 0
	v_mov_b32_e32 v10, 0
	;; [unrolled: 1-line block ×5, first 2 shown]
	s_and_saveexec_b64 s[2:3], vcc
	s_cbranch_execz .LBB571_25
; %bb.24:
	v_mad_i64_i32 v[10:11], s[16:17], s15, v20, 0
	v_lshl_add_u64 v[10:11], v[10:11], 1, s[4:5]
	v_lshlrev_b32_e32 v12, 1, v18
	v_mov_b32_e32 v13, 0
	v_lshl_add_u64 v[10:11], v[10:11], 0, v[12:13]
	global_load_dwordx4 v[10:13], v[10:11], off offset:128
.LBB571_25:
	s_or_b64 exec, exec, s[2:3]
	v_mov_b32_e32 v16, 0
	v_mov_b32_e32 v15, 0
	;; [unrolled: 1-line block ×3, first 2 shown]
	s_and_saveexec_b64 s[2:3], s[0:1]
	s_cbranch_execz .LBB571_27
; %bb.26:
	v_mad_i64_i32 v[14:15], s[0:1], s15, v21, 0
	v_lshl_add_u64 v[14:15], v[14:15], 1, s[4:5]
	v_lshlrev_b32_e32 v16, 1, v18
	v_mov_b32_e32 v17, 0
	v_lshl_add_u64 v[14:15], v[14:15], 0, v[16:17]
	global_load_dwordx4 v[14:17], v[14:15], off offset:128
.LBB571_27:
	s_or_b64 exec, exec, s[2:3]
	s_branch .LBB571_46
.LBB571_28:
                                        ; implicit-def: $vgpr5
                                        ; implicit-def: $vgpr9
                                        ; implicit-def: $vgpr13
                                        ; implicit-def: $vgpr17
	v_lshrrev_b32_e32 v38, 2, v42
	s_branch .LBB571_47
.LBB571_29:
                                        ; implicit-def: $vgpr4
                                        ; implicit-def: $vgpr5
                                        ; implicit-def: $sgpr22
	v_lshl_or_b32 v2, v58, 9, v2
.LBB571_30:
	v_or_b32_e32 v4, 0x100, v2
	s_movk_i32 s22, 0x4000
	v_mov_b32_e32 v5, v2
.LBB571_31:
	s_mul_hi_u32 s20, s14, s12
	s_mul_i32 s21, s54, s12
	s_add_i32 s20, s20, s21
	s_mul_i32 s21, s14, s12
	s_mul_i32 s23, s21, s3
	s_mul_hi_u32 s24, s21, s51
	s_add_i32 s23, s24, s23
	s_mul_i32 s20, s20, s51
	s_add_i32 s23, s23, s20
	s_mul_i32 s21, s21, s51
	s_ashr_i32 s59, s55, 31
	s_add_u32 s20, s21, s55
	s_addc_u32 s21, s23, s59
	s_lshl_b64 s[20:21], s[20:21], 8
	s_add_u32 s20, s4, s20
	s_addc_u32 s21, s5, s21
	s_and_b32 s21, s21, 0xffff
	s_mov_b32 s23, 0x20000
	s_movk_i32 s60, 0x80
	buffer_load_dwordx4 v[6:9], v5, s[20:23], 0 offen
	buffer_load_dwordx4 v[10:13], v5, s[20:23], s60 offen
	;; [unrolled: 1-line block ×4, first 2 shown]
	v_and_b32_e32 v4, 6, v0
	v_lshlrev_b32_e32 v22, 2, v45
	v_lshlrev_b32_e32 v23, 3, v45
	v_xor_b32_e32 v25, v58, v4
	v_and_b32_e32 v5, 1, v0
	s_mul_i32 s3, s3, s12
	s_mul_hi_u32 s20, s51, s12
	v_lshl_or_b32 v23, v48, 5, v23
	v_xor_b32_e32 v26, v48, v22
	v_lshlrev_b32_e32 v25, 2, v25
	v_or_b32_e32 v64, 0x9000, v23
	v_or_b32_e32 v65, 0x9800, v23
	v_lshlrev_b32_e32 v23, 1, v26
	v_xor_b32_e32 v26, 0x440, v25
	v_cmp_eq_u32_e32 vcc, 0, v5
	s_add_i32 s65, s20, s3
	s_add_i32 s3, s44, s33
	v_cndmask_b32_e32 v5, v26, v25, vcc
	s_add_i32 s20, s46, s45
	s_add_i32 s37, s3, s48
	s_mov_b32 s62, 0x1000504
	v_lshlrev_b32_e32 v24, 8, v45
	s_mov_b32 s22, 0x8000
	v_xor_b32_e32 v22, v49, v22
	v_lshl_or_b32 v4, v4, 10, v5
	s_add_i32 s35, s20, s47
	s_lshl_b64 s[20:21], s[36:37], 2
	s_mov_b32 s63, 0x3020706
	v_lshlrev_b32_e32 v22, 1, v22
	v_or3_b32 v66, v23, v24, s22
	v_xor_b32_e32 v5, 8, v4
	v_xor_b32_e32 v23, 24, v4
	v_xor_b32_e32 v25, 40, v4
	v_xor_b32_e32 v27, 56, v4
	s_add_u32 s3, s10, s20
	v_or3_b32 v67, v22, v24, s22
	v_xor_b32_e32 v22, 16, v4
	v_xor_b32_e32 v24, 32, v4
	;; [unrolled: 1-line block ×3, first 2 shown]
	v_add_u32_e32 v5, 0x80, v5
	v_add_u32_e32 v23, 0x80, v23
	;; [unrolled: 1-line block ×4, first 2 shown]
	s_addc_u32 s24, s11, s21
	s_lshl_b64 s[20:21], s[34:35], 2
	s_add_u32 s40, s3, s20
	s_movk_i32 s3, 0xf8
	s_addc_u32 s41, s24, s21
	v_ashrrev_i32_e32 v35, 31, v34
	s_lshl_b32 s26, s15, 7
	s_mov_b32 s61, 0
	s_mul_i32 s64, s51, s12
	s_mov_b32 s37, 0
	s_waitcnt vmcnt(1)
	v_perm_b32 v28, v6, v14, s62
	s_waitcnt vmcnt(0)
	v_perm_b32 v29, v10, v18, s62
	v_perm_b32 v6, v6, v14, s63
	;; [unrolled: 1-line block ×15, first 2 shown]
	ds_write2st64_b32 v4, v28, v29 offset1:32
	ds_write2st64_b32 v5, v6, v10 offset1:32
	ds_write2st64_b32 v22, v14, v18 offset0:1 offset1:33
	ds_write2st64_b32 v23, v7, v11 offset0:1 offset1:33
	;; [unrolled: 1-line block ×6, first 2 shown]
	v_or_b32_e32 v4, v1, v45
	v_lshlrev_b32_e32 v4, 3, v4
	v_lshrrev_b32_e32 v6, 5, v42
	v_and_or_b32 v6, v4, s3, v6
	v_lshlrev_b32_e32 v6, 4, v6
	v_lshlrev_b32_e32 v12, 11, v43
	v_and_b32_e32 v4, 0x78, v4
	v_or_b32_e32 v9, 32, v6
	v_and_b32_e32 v5, 0x1000, v12
	v_lshrrev_b32_e32 v13, 1, v0
	v_xor_b32_e32 v9, v9, v4
	v_and_b32_e32 v8, 8, v13
	v_or_b32_e32 v9, v9, v5
	v_xor_b32_e32 v7, v6, v4
	v_xor_b32_e32 v70, v9, v8
	v_or_b32_e32 v9, 64, v6
	v_or_b32_e32 v6, 0x60, v6
	v_xor_b32_e32 v9, v9, v4
	v_xor_b32_e32 v4, v6, v4
	v_or_b32_e32 v7, v7, v5
	v_or_b32_e32 v9, v9, v5
	;; [unrolled: 1-line block ×3, first 2 shown]
	v_xor_b32_e32 v68, v7, v8
	v_xor_b32_e32 v71, v9, v8
	;; [unrolled: 1-line block ×3, first 2 shown]
	v_lshrrev_b32_e32 v8, 4, v0
	v_lshlrev_b32_e32 v9, 1, v45
	s_ashr_i32 s3, s2, 31
	v_or_b32_e32 v10, 1, v9
	v_xor_b32_e32 v9, v8, v9
	s_lshl_b64 s[20:21], s[2:3], 8
	v_xor_b32_e32 v10, v10, v8
	v_lshlrev_b32_e32 v9, 3, v9
	v_lshlrev_b32_e32 v8, 8, v8
	v_lshlrev_b64 v[4:5], 1, v[34:35]
	s_add_u32 s20, s18, s20
	v_or3_b32 v35, v9, v8, s22
	v_lshlrev_b32_e32 v9, 3, v10
	s_addc_u32 s21, s19, s21
	v_or3_b32 v74, v9, v8, s22
	v_mov_b32_e32 v9, 0
	v_lshl_add_u64 v[10:11], s[20:21], 0, v[8:9]
	v_lshlrev_b32_e32 v8, 4, v45
	s_movk_i32 s3, 0xff
	v_lshlrev_b32_e32 v17, 3, v43
	v_and_b32_e32 v13, 24, v13
	v_lshl_add_u64 v[36:37], v[10:11], 0, v[8:9]
	v_and_b32_e32 v10, 8, v0
	v_cmp_lt_u32_e32 vcc, s3, v0
	v_xor_b32_e32 v18, v17, v13
	v_or_b32_e32 v19, 0x440, v18
	v_cndmask_b32_e64 v16, 0, 1, vcc
	v_cmp_eq_u32_e32 vcc, 0, v10
	v_and_b32_e32 v8, 7, v0
	v_lshlrev_b32_e32 v11, 3, v8
	v_cndmask_b32_e32 v10, v19, v18, vcc
	v_lshlrev_b32_e32 v8, 7, v8
	v_or_b32_e32 v10, v10, v12
	v_xad_u32 v75, v10, v11, v8
	v_or_b32_e32 v10, 32, v13
	v_xor_b32_e32 v10, v17, v10
	v_or_b32_e32 v18, 0x440, v10
	v_cndmask_b32_e32 v10, v18, v10, vcc
	v_or_b32_e32 v10, v10, v12
	v_xad_u32 v76, v10, v11, v8
	v_or_b32_e32 v10, 64, v13
	v_xor_b32_e32 v10, v17, v10
	v_xor_b32_e32 v18, 0x440, v10
	v_cndmask_b32_e32 v10, v18, v10, vcc
	v_or_b32_e32 v10, v10, v12
	v_xad_u32 v77, v10, v11, v8
	v_or_b32_e32 v10, 0x60, v13
	v_xor_b32_e32 v10, v17, v10
	v_xor_b32_e32 v13, 0x440, v10
	v_and_b32_e32 v7, 0x78, v46
	v_cndmask_b32_e32 v10, v13, v10, vcc
	v_lshl_or_b32 v7, v44, 7, v7
	v_or_b32_e32 v10, v10, v12
	v_or_b32_e32 v69, 0x9000, v7
	v_or_b32_e32 v73, 0x9800, v7
	v_lshl_add_u64 v[6:7], s[8:9], 0, v[4:5]
	v_lshl_add_u64 v[4:5], s[28:29], 0, v[4:5]
	v_lshlrev_b32_e32 v14, 1, v3
	v_add_lshl_u32 v3, v3, s15, 1
	v_or_b32_e32 v15, 0x100, v2
	v_lshlrev_b32_e32 v16, 13, v16
	v_xad_u32 v78, v10, v11, v8
	v_lshlrev_b32_e32 v8, 8, v48
	v_cndmask_b32_e64 v79, v14, v2, s[0:1]
	v_cndmask_b32_e64 v80, v3, v15, s[0:1]
	v_lshl_add_u64 v[38:39], v[6:7], 0, v[8:9]
	v_lshl_add_u64 v[40:41], v[4:5], 0, v[8:9]
	s_mov_b32 s3, 0x7060302
	s_movk_i32 s22, 0x4000
	v_add_u32_e32 v81, v16, v75
	v_add_u32_e32 v82, v16, v76
	;; [unrolled: 1-line block ×4, first 2 shown]
	s_waitcnt lgkmcnt(0)
	s_barrier
.LBB571_32:                             ; =>This Inner Loop Header: Depth=1
	s_add_i32 s35, s37, 1
	s_cmp_lt_i32 s35, s52
	s_mov_b64 s[24:25], 0
	s_cselect_b64 s[42:43], -1, 0
	s_cmp_ge_i32 s35, s52
	s_mov_b64 s[20:21], 0
	s_cbranch_scc1 .LBB571_34
; %bb.33:                               ;   in Loop: Header=BB571_32 Depth=1
	s_add_i32 s0, s61, 64
	s_add_u32 s0, s16, s0
	s_addc_u32 s1, s17, 0
	s_lshl_b64 s[0:1], s[0:1], 8
	s_add_u32 s20, s6, s0
	s_addc_u32 s21, s7, s1
.LBB571_34:                             ;   in Loop: Header=BB571_32 Depth=1
	v_cndmask_b32_e64 v2, 0, 1, s[42:43]
	v_cmp_ne_u32_e64 s[0:1], 1, v2
	s_andn2_b64 vcc, exec, s[42:43]
	s_cbranch_vccnz .LBB571_36
; %bb.35:                               ;   in Loop: Header=BB571_32 Depth=1
	s_add_i32 s24, s61, 64
	s_add_u32 s24, s64, s24
	s_addc_u32 s25, s65, 0
	s_mul_i32 s27, s24, s54
	s_mul_hi_u32 s42, s24, s58
	s_add_i32 s27, s42, s27
	s_mul_i32 s25, s25, s58
	s_add_i32 s27, s27, s25
	s_mul_i32 s24, s24, s58
	s_add_u32 s24, s24, s55
	s_addc_u32 s25, s27, s59
	s_lshl_b64 s[24:25], s[24:25], 8
	s_add_u32 s24, s4, s24
	s_addc_u32 s25, s5, s25
.LBB571_36:                             ;   in Loop: Header=BB571_32 Depth=1
	v_perm_b32 v3, v56, v54, s3
	v_perm_b32 v2, v50, v52, s3
	;; [unrolled: 1-line block ×4, first 2 shown]
	ds_write_b64 v64, v[2:3]
	ds_write_b64 v65, v[4:5]
	;; [unrolled: 1-line block ×4, first 2 shown]
	s_waitcnt lgkmcnt(0)
	s_barrier
	ds_read_b64 v[10:11], v68 offset:16384
	ds_read_b64 v[12:13], v70 offset:16384
	ds_read2st64_b64 v[2:5], v69 offset1:1
	ds_read2st64_b64 v[6:9], v69 offset0:2 offset1:3
	ds_read_b64 v[14:15], v71 offset:16384
	s_waitcnt lgkmcnt(2)
	v_mfma_f32_16x16x16_bf16 a[0:3], v[10:11], v[2:3], 0
	ds_read_b64 v[2:3], v72 offset:16384
	s_add_i32 s27, s61, 63
	s_mul_i32 s42, s27, s31
	v_mfma_f32_16x16x16_bf16 a[0:3], v[12:13], v[4:5], a[0:3]
	s_mul_hi_u32 s43, s27, s30
	s_add_i32 s43, s43, s42
	s_mul_i32 s42, s27, s30
	s_waitcnt lgkmcnt(1)
	v_mfma_f32_16x16x16_bf16 a[0:3], v[14:15], v[6:7], a[0:3]
	s_lshl_b64 s[42:43], s[42:43], 2
	s_add_u32 s42, s40, s42
	s_addc_u32 s43, s41, s43
	s_waitcnt lgkmcnt(0)
	v_mfma_f32_16x16x16_bf16 a[0:3], v[2:3], v[8:9], a[0:3]
	s_and_b64 vcc, exec, s[0:1]
	v_mov_b32_e32 v87, 0
	v_mov_b32_e32 v86, 0
	;; [unrolled: 1-line block ×19, first 2 shown]
	s_cbranch_vccnz .LBB571_38
; %bb.37:                               ;   in Loop: Header=BB571_32 Depth=1
	s_and_b32 s21, s21, 0xffff
	buffer_load_dwordx4 v[14:17], v60, s[20:23], 0 offen
	buffer_load_dwordx4 v[10:13], v60, s[20:23], s60 offen
	;; [unrolled: 1-line block ×4, first 2 shown]
	v_mov_b32_e32 v86, v62
	v_mov_b32_e32 v85, v63
.LBB571_38:                             ;   in Loop: Header=BB571_32 Depth=1
	s_waitcnt vmcnt(3)
	v_add_u32_e32 v24, s61, v48
	s_waitcnt vmcnt(1)
	v_ashrrev_i32_e32 v18, 31, v24
	v_mul_lo_u32 v20, v18, s30
	v_mul_lo_u32 v21, v24, s31
	v_mad_u64_u32 v[18:19], s[20:21], v24, s30, 0
	v_add3_u32 v19, v19, v21, v20
	v_add_u32_e32 v20, 1, v24
	v_ashrrev_i32_e32 v21, 31, v20
	v_mul_lo_u32 v22, v21, s30
	v_mul_lo_u32 v23, v20, s31
	v_mad_u64_u32 v[20:21], s[20:21], v20, s30, 0
	v_add3_u32 v21, v21, v23, v22
	v_add_u32_e32 v22, 2, v24
	v_ashrrev_i32_e32 v23, 31, v22
	v_mul_lo_u32 v25, v23, s30
	v_mul_lo_u32 v26, v22, s31
	v_mad_u64_u32 v[22:23], s[20:21], v22, s30, 0
	s_add_u32 s20, s16, s61
	v_add3_u32 v23, v23, v26, v25
	v_add_u32_e32 v26, 3, v24
	s_addc_u32 s21, s17, 0
	v_ashrrev_i32_e32 v24, 31, v26
	s_lshl_b64 s[66:67], s[20:21], 8
	v_lshl_add_u64 v[18:19], v[18:19], 2, s[40:41]
	v_mul_lo_u32 v27, v24, s30
	v_lshl_add_u64 v[24:25], v[38:39], 0, s[66:67]
	v_mul_lo_u32 v28, v26, s31
	global_load_ushort v89, v[24:25], off
	global_load_ushort v94, v[24:25], off offset:256
	global_load_ushort v95, v[24:25], off offset:512
	;; [unrolled: 1-line block ×3, first 2 shown]
	global_load_dword v97, v[18:19], off
	v_mad_u64_u32 v[18:19], s[20:21], v26, s30, 0
	v_lshl_add_u64 v[20:21], v[20:21], 2, s[40:41]
	v_add3_u32 v19, v19, v28, v27
	v_lshl_add_u64 v[22:23], v[22:23], 2, s[40:41]
	v_lshl_add_u64 v[18:19], v[18:19], 2, s[40:41]
	global_load_dword v98, v[20:21], off
	global_load_dword v99, v[22:23], off
	global_load_dword v100, v[18:19], off
	s_load_dword s20, s[42:43], 0x0
	ds_read_b64 v[26:27], v68 offset:24576
	ds_read2st64_b64 v[22:25], v73 offset1:1
	ds_read2st64_b64 v[28:31], v73 offset0:2 offset1:3
	ds_read_b64 v[32:33], v70 offset:24576
	ds_read_b64 v[90:91], v71 offset:24576
	;; [unrolled: 1-line block ×3, first 2 shown]
	s_waitcnt lgkmcnt(0)
	v_mfma_f32_16x16x16_bf16 a[0:3], v[26:27], v[22:23], a[0:3]
	v_mov_b32_e32 v88, 0
	v_mov_b32_e32 v18, 0
	;; [unrolled: 1-line block ×3, first 2 shown]
	v_mfma_f32_16x16x16_bf16 a[0:3], v[32:33], v[24:25], a[0:3]
	v_mov_b32_e32 v20, 0
	v_mov_b32_e32 v21, 0
	;; [unrolled: 1-line block ×3, first 2 shown]
	v_mfma_f32_16x16x16_bf16 a[0:3], v[90:91], v[28:29], a[0:3]
	v_lshl_add_u64 v[28:29], v[40:41], 0, s[66:67]
	v_mov_b32_e32 v23, 0
	v_mov_b32_e32 v24, 0
	v_mfma_f32_16x16x16_bf16 a[0:3], v[92:93], v[30:31], a[0:3]
	v_mov_b32_e32 v25, 0
	v_mov_b32_e32 v26, 0
	;; [unrolled: 1-line block ×3, first 2 shown]
	s_and_b64 vcc, exec, s[0:1]
	s_waitcnt vmcnt(7)
	v_lshlrev_b32_e32 v90, 16, v89
	s_nop 0
	v_accvgpr_read_b32 v33, a1
	v_accvgpr_read_b32 v31, a3
	;; [unrolled: 1-line block ×4, first 2 shown]
	s_waitcnt vmcnt(6)
	v_lshlrev_b32_e32 v91, 16, v94
	s_waitcnt vmcnt(4)
	v_lshlrev_b32_e32 v93, 16, v96
	v_lshlrev_b32_e32 v92, 16, v95
	s_waitcnt vmcnt(3)
	v_sub_f32_e32 v89, s20, v97
	v_pk_add_f32 v[32:33], v[90:91], v[32:33] neg_lo:[0,1] neg_hi:[0,1]
	v_pk_add_f32 v[30:31], v[92:93], v[30:31] neg_lo:[0,1] neg_hi:[0,1]
	v_exp_f32_e32 v90, v89
	s_waitcnt vmcnt(2)
	v_sub_f32_e32 v89, s20, v98
	s_waitcnt vmcnt(1)
	v_sub_f32_e32 v92, s20, v99
	;; [unrolled: 2-line block ×3, first 2 shown]
	v_exp_f32_e32 v91, v89
	v_exp_f32_e32 v92, v92
	;; [unrolled: 1-line block ×3, first 2 shown]
	global_store_short_d16_hi v[28:29], v32, off
	global_store_short_d16_hi v[28:29], v33, off offset:256
	global_store_short_d16_hi v[28:29], v30, off offset:512
	;; [unrolled: 1-line block ×3, first 2 shown]
	v_pk_mul_f32 v[28:29], v[90:91], v[32:33]
	v_pk_mul_f32 v[30:31], v[92:93], v[30:31]
	v_perm_b32 v28, v29, v28, s3
	v_perm_b32 v29, v31, v30, s3
	ds_write_b64 v65, v[28:29]
	v_mov_b32_e32 v28, 0
	v_mov_b32_e32 v29, 0
	;; [unrolled: 1-line block ×6, first 2 shown]
	s_cbranch_vccnz .LBB571_40
; %bb.39:                               ;   in Loop: Header=BB571_32 Depth=1
	s_and_b32 s25, s25, 0xffff
	s_mov_b32 s27, s23
	buffer_load_dwordx4 v[30:33], v79, s[24:27], 0 offen
	buffer_load_dwordx4 v[22:25], v79, s[24:27], s60 offen
	;; [unrolled: 1-line block ×4, first 2 shown]
	v_mov_b32_e32 v87, v59
	v_mov_b32_e32 v88, v58
.LBB571_40:                             ;   in Loop: Header=BB571_32 Depth=1
	s_waitcnt lgkmcnt(0)
	s_barrier
	ds_read_b64 v[98:99], v81
	ds_read2st64_b64 v[90:93], v73 offset1:1
	ds_read2st64_b64 v[94:97], v73 offset0:2 offset1:3
	ds_read_b64 v[100:101], v82
	ds_read_b64 v[102:103], v83
	ds_read_b64 v[104:105], v84
	s_waitcnt lgkmcnt(4)
	v_mfma_f32_16x16x16_bf16 a[0:3], v[98:99], v[90:91], 0
	ds_read_b64 v[98:99], v75 offset:8192
	ds_read_b64 v[106:107], v76 offset:8192
	s_add_i32 s21, s56, s37
	s_mul_hi_i32 s25, s21, s13
	s_waitcnt lgkmcnt(1)
	v_mfma_f32_16x16x16_bf16 a[4:7], v[98:99], v[90:91], 0
	s_mul_i32 s21, s21, s13
	s_add_u32 s24, s21, s49
	s_addc_u32 s25, s25, s53
	v_mfma_f32_16x16x16_bf16 a[0:3], v[100:101], v[92:93], a[0:3]
	ds_read_b64 v[98:99], v35
	ds_read_b64 v[100:101], v74
	ds_read_b64 v[90:91], v77 offset:8192
	s_lshl_b64 s[24:25], s[24:25], 15
	v_mfma_f32_16x16x16_bf16 a[0:3], v[102:103], v[94:95], a[0:3]
	ds_read_b64 v[102:103], v78 offset:8192
	s_and_b64 vcc, exec, s[0:1]
	s_waitcnt lgkmcnt(4)
	v_mfma_f32_16x16x16_bf16 a[4:7], v[106:107], v[92:93], a[4:7]
	s_waitcnt lgkmcnt(1)
	v_mfma_f32_16x16x16_bf16 a[4:7], v[90:91], v[94:95], a[4:7]
	v_lshl_add_u64 v[90:91], v[36:37], 0, s[24:25]
	global_store_dwordx4 v[90:91], v[98:101], off
	v_mfma_f32_16x16x16_bf16 a[0:3], v[104:105], v[96:97], a[0:3]
	s_waitcnt lgkmcnt(0)
	v_mfma_f32_16x16x16_bf16 a[4:7], v[102:103], v[96:97], a[4:7]
	s_cbranch_vccnz .LBB571_42
; %bb.41:                               ;   in Loop: Header=BB571_32 Depth=1
	v_lshrrev_b32_e32 v89, 3, v87
	v_and_b32_e32 v89, 6, v89
	v_xor_b32_e32 v88, v89, v88
	v_lshlrev_b32_e32 v88, 2, v88
	v_and_b32_e32 v87, 8, v87
	v_xor_b32_e32 v90, 0x440, v88
	v_cmp_eq_u32_e32 vcc, 0, v87
	s_barrier
	s_nop 0
	v_cndmask_b32_e32 v87, v90, v88, vcc
	v_lshl_or_b32 v87, v89, 10, v87
	s_waitcnt vmcnt(2)
	v_perm_b32 v88, v30, v26, s62
	s_waitcnt vmcnt(1)
	v_perm_b32 v89, v22, v18, s62
	ds_write2st64_b32 v87, v88, v89 offset1:32
	v_xor_b32_e32 v88, 8, v87
	v_perm_b32 v26, v30, v26, s63
	v_perm_b32 v18, v22, v18, s63
	v_add_u32_e32 v22, 0x80, v88
	ds_write2st64_b32 v22, v26, v18 offset1:32
	v_xor_b32_e32 v18, 16, v87
	v_perm_b32 v22, v31, v27, s62
	v_perm_b32 v26, v23, v19, s62
	ds_write2st64_b32 v18, v22, v26 offset0:1 offset1:33
	v_xor_b32_e32 v18, 24, v87
	v_perm_b32 v22, v31, v27, s63
	v_perm_b32 v19, v23, v19, s63
	v_add_u32_e32 v18, 0x80, v18
	ds_write2st64_b32 v18, v22, v19 offset0:1 offset1:33
	v_xor_b32_e32 v18, 32, v87
	v_perm_b32 v19, v32, v28, s62
	v_perm_b32 v22, v24, v20, s62
	ds_write2st64_b32 v18, v19, v22 offset0:2 offset1:34
	v_xor_b32_e32 v18, 40, v87
	v_perm_b32 v19, v32, v28, s63
	v_perm_b32 v20, v24, v20, s63
	v_add_u32_e32 v18, 0x80, v18
	ds_write2st64_b32 v18, v19, v20 offset0:2 offset1:34
	;; [unrolled: 9-line block ×3, first 2 shown]
	ds_write_b64 v86, v[14:15] offset:16384
	v_xor_b32_e32 v14, 8, v86
	ds_write_b64 v14, v[16:17] offset:16384
	ds_write_b64 v86, v[10:11] offset:24576
	;; [unrolled: 1-line block ×4, first 2 shown]
	v_xor_b32_e32 v6, 8, v85
	ds_write_b64 v6, v[8:9] offset:16384
	ds_write_b64 v85, v[2:3] offset:24576
	;; [unrolled: 1-line block ×3, first 2 shown]
.LBB571_42:                             ;   in Loop: Header=BB571_32 Depth=1
	v_exp_f32_e32 v4, s20
	s_nop 2
	v_accvgpr_read_b32 v2, a0
	v_accvgpr_read_b32 v3, a1
	s_add_i32 s61, s61, 64
	v_fma_f32 v52, v52, v4, v2
	v_accvgpr_read_b32 v2, a2
	v_fma_f32 v54, v54, v4, v2
	v_accvgpr_read_b32 v2, a4
	;; [unrolled: 2-line block ×6, first 2 shown]
	v_fmac_f32_e32 v3, v56, v4
	s_cmp_eq_u32 s52, s35
	v_fmac_f32_e32 v2, v57, v4
	s_cbranch_scc1 .LBB571_4
; %bb.43:                               ;   in Loop: Header=BB571_32 Depth=1
	s_mov_b32 s37, s35
	v_mov_b32_e32 v56, v3
	v_mov_b32_e32 v57, v2
	s_branch .LBB571_32
.LBB571_44:
                                        ; implicit-def: $vgpr5
                                        ; implicit-def: $vgpr9
                                        ; implicit-def: $vgpr13
                                        ; implicit-def: $vgpr17
	s_cbranch_execz .LBB571_46
; %bb.45:
	s_waitcnt vmcnt(0)
	v_mad_u64_u32 v[2:3], s[0:1], v20, s15, v[18:19]
	v_lshlrev_b32_e32 v20, 1, v2
	s_lshl_b32 s2, s15, 7
	s_and_b32 s1, s5, 0xffff
	s_mov_b32 s3, 0x20000
	s_mov_b32 s0, s4
	v_add_lshl_u32 v21, v2, s15, 1
	s_movk_i32 s13, 0x80
	buffer_load_dwordx4 v[2:5], v20, s[0:3], 0 offen
	buffer_load_dwordx4 v[10:13], v20, s[0:3], s13 offen
	;; [unrolled: 1-line block ×4, first 2 shown]
.LBB571_46:
	v_lshrrev_b32_e32 v38, 2, v42
	s_cbranch_execnz .LBB571_59
.LBB571_47:
	s_and_b64 vcc, exec, s[6:7]
	s_cbranch_vccz .LBB571_57
; %bb.48:
	s_waitcnt vmcnt(0)
	v_lshlrev_b32_e32 v7, 1, v35
	v_cmp_gt_i32_e32 vcc, s27, v7
	v_mov_b32_e32 v6, 0
	v_lshlrev_b32_e32 v14, 9, v35
	v_mov_b32_e32 v2, 0
	v_mov_b32_e32 v3, 0
	;; [unrolled: 1-line block ×4, first 2 shown]
	s_and_saveexec_b64 s[0:1], vcc
	s_cbranch_execz .LBB571_50
; %bb.49:
	v_mov_b32_e32 v15, 0
	v_lshl_add_u64 v[2:3], s[4:5], 0, v[14:15]
	v_lshlrev_b32_e32 v4, 1, v18
	v_mov_b32_e32 v5, v15
	v_lshl_add_u64 v[2:3], v[2:3], 0, v[4:5]
	global_load_dwordx4 v[2:5], v[2:3], off
.LBB571_50:
	s_or_b64 exec, exec, s[0:1]
	v_or_b32_e32 v7, 1, v7
	v_cmp_gt_i32_e64 s[0:1], s27, v7
	v_lshlrev_b32_e32 v20, 8, v7
	v_mov_b32_e32 v7, 0
	v_mov_b32_e32 v8, 0
	;; [unrolled: 1-line block ×3, first 2 shown]
	s_and_saveexec_b64 s[2:3], s[0:1]
	s_cbranch_execz .LBB571_52
; %bb.51:
	v_mov_b32_e32 v21, 0
	v_lshl_add_u64 v[6:7], s[4:5], 0, v[20:21]
	v_lshlrev_b32_e32 v8, 1, v18
	v_mov_b32_e32 v9, v21
	v_lshl_add_u64 v[6:7], v[6:7], 0, v[8:9]
	global_load_dwordx4 v[6:9], v[6:7], off
.LBB571_52:
	s_or_b64 exec, exec, s[2:3]
	v_mov_b32_e32 v17, 0
	v_mov_b32_e32 v10, 0
	;; [unrolled: 1-line block ×5, first 2 shown]
	s_and_saveexec_b64 s[2:3], vcc
	s_cbranch_execz .LBB571_54
; %bb.53:
	v_mov_b32_e32 v15, 0
	v_lshl_add_u64 v[10:11], s[4:5], 0, v[14:15]
	v_lshlrev_b32_e32 v14, 1, v18
	v_lshl_add_u64 v[10:11], v[10:11], 0, v[14:15]
	global_load_dwordx4 v[10:13], v[10:11], off offset:128
.LBB571_54:
	s_or_b64 exec, exec, s[2:3]
	v_mov_b32_e32 v16, 0
	v_mov_b32_e32 v15, 0
	;; [unrolled: 1-line block ×3, first 2 shown]
	s_and_saveexec_b64 s[2:3], s[0:1]
	s_cbranch_execz .LBB571_56
; %bb.55:
	v_mov_b32_e32 v21, 0
	v_lshl_add_u64 v[14:15], s[4:5], 0, v[20:21]
	v_lshlrev_b32_e32 v20, 1, v18
	v_lshl_add_u64 v[14:15], v[14:15], 0, v[20:21]
	global_load_dwordx4 v[14:17], v[14:15], off offset:128
.LBB571_56:
	s_or_b64 exec, exec, s[2:3]
	s_branch .LBB571_59
.LBB571_57:
                                        ; implicit-def: $vgpr5
                                        ; implicit-def: $vgpr9
                                        ; implicit-def: $vgpr13
                                        ; implicit-def: $vgpr17
	s_cbranch_execz .LBB571_59
; %bb.58:
	s_waitcnt vmcnt(0)
	v_lshlrev_b32_e32 v2, 1, v18
	v_lshl_or_b32 v18, v35, 9, v2
	s_and_b32 s5, s5, 0xffff
	s_mov_b32 s7, 0x20000
	s_movk_i32 s6, 0x4000
	s_movk_i32 s0, 0x80
	buffer_load_dwordx4 v[2:5], v18, s[4:7], 0 offen
	buffer_load_dwordx4 v[6:9], v18, s[4:7], 0 offen offset:256
	buffer_load_dwordx4 v[10:13], v18, s[4:7], s0 offen
	buffer_load_dwordx4 v[14:17], v18, s[4:7], s0 offen offset:256
.LBB571_59:
	ds_read2st64_b64 v[22:25], v19 offset0:76 offset1:77
	ds_read2st64_b64 v[18:21], v19 offset0:78 offset1:79
	ds_read_b64 v[32:33], v26 offset:24576
	ds_read_b64 v[30:31], v27 offset:24576
	;; [unrolled: 1-line block ×4, first 2 shown]
	v_and_b32_e32 v37, 6, v0
	v_xor_b32_e32 v35, v35, v37
	v_lshlrev_b32_e32 v35, 2, v35
	v_and_b32_e32 v0, 1, v0
	v_xor_b32_e32 v39, 0x440, v35
	v_cmp_eq_u32_e32 vcc, 0, v0
	s_mov_b32 s0, 0x1000504
	s_mov_b32 s1, 0x3020706
	v_cndmask_b32_e32 v0, v39, v35, vcc
	v_lshl_or_b32 v0, v37, 10, v0
	s_waitcnt vmcnt(0)
	v_perm_b32 v35, v2, v6, s0
	v_perm_b32 v37, v10, v14, s0
	ds_write2st64_b32 v0, v35, v37 offset1:32
	v_xor_b32_e32 v35, 8, v0
	v_perm_b32 v2, v2, v6, s1
	v_perm_b32 v6, v10, v14, s1
	v_add_u32_e32 v10, 0x80, v35
	ds_write2st64_b32 v10, v2, v6 offset1:32
	v_xor_b32_e32 v2, 16, v0
	v_perm_b32 v6, v3, v7, s0
	v_perm_b32 v10, v11, v15, s0
	ds_write2st64_b32 v2, v6, v10 offset0:1 offset1:33
	v_xor_b32_e32 v2, 24, v0
	v_perm_b32 v3, v3, v7, s1
	v_perm_b32 v6, v11, v15, s1
	v_add_u32_e32 v2, 0x80, v2
	ds_write2st64_b32 v2, v3, v6 offset0:1 offset1:33
	v_xor_b32_e32 v2, 32, v0
	v_perm_b32 v3, v4, v8, s0
	v_perm_b32 v6, v12, v16, s0
	ds_write2st64_b32 v2, v3, v6 offset0:2 offset1:34
	v_xor_b32_e32 v2, 40, v0
	v_perm_b32 v3, v4, v8, s1
	v_perm_b32 v4, v12, v16, s1
	v_add_u32_e32 v2, 0x80, v2
	ds_write2st64_b32 v2, v3, v4 offset0:2 offset1:34
	v_xor_b32_e32 v2, 48, v0
	v_perm_b32 v3, v5, v9, s0
	v_perm_b32 v4, v13, v17, s0
	v_xor_b32_e32 v0, 56, v0
	v_and_or_b32 v8, v38, 12, v1
	ds_write2st64_b32 v2, v3, v4 offset0:3 offset1:35
	v_perm_b32 v2, v5, v9, s1
	v_perm_b32 v3, v13, v17, s1
	v_add_u32_e32 v0, 0x80, v0
	v_cmp_gt_i32_e64 s[2:3], s27, v8
	v_mov_b32_e32 v10, 0
	v_mov_b32_e32 v15, 0
	ds_write2st64_b32 v0, v2, v3 offset0:3 offset1:35
	s_and_saveexec_b64 s[0:1], s[2:3]
	s_cbranch_execz .LBB571_61
; %bb.60:
	v_add_u32_e32 v0, s26, v8
	v_ashrrev_i32_e32 v1, 31, v0
	v_mul_lo_u32 v2, v1, s30
	v_mul_lo_u32 v3, v0, s31
	v_mad_u64_u32 v[0:1], s[4:5], v0, s30, 0
	v_add3_u32 v1, v1, v3, v2
	v_lshl_add_u64 v[0:1], v[0:1], 2, s[10:11]
	global_load_dword v0, v[0:1], off
	s_waitcnt vmcnt(0)
	v_sub_f32_e32 v0, s12, v0
	v_exp_f32_e32 v15, v0
.LBB571_61:
	s_or_b64 exec, exec, s[0:1]
	v_or_b32_e32 v13, 1, v8
	v_cmp_gt_i32_e64 s[4:5], s27, v13
	s_and_saveexec_b64 s[0:1], s[4:5]
	s_cbranch_execz .LBB571_63
; %bb.62:
	v_add_u32_e32 v0, s26, v13
	v_ashrrev_i32_e32 v1, 31, v0
	v_mul_lo_u32 v2, v1, s30
	v_mul_lo_u32 v3, v0, s31
	v_mad_u64_u32 v[0:1], s[6:7], v0, s30, 0
	v_add3_u32 v1, v1, v3, v2
	v_lshl_add_u64 v[0:1], v[0:1], 2, s[10:11]
	global_load_dword v0, v[0:1], off
	s_waitcnt vmcnt(0)
	v_sub_f32_e32 v0, s12, v0
	v_exp_f32_e32 v10, v0
.LBB571_63:
	s_or_b64 exec, exec, s[0:1]
	v_or_b32_e32 v11, 2, v8
	v_cmp_gt_i32_e32 vcc, s27, v11
	v_mov_b32_e32 v9, 0
	v_mov_b32_e32 v14, 0
	s_and_saveexec_b64 s[0:1], vcc
	s_cbranch_execz .LBB571_65
; %bb.64:
	v_add_u32_e32 v0, s26, v11
	v_ashrrev_i32_e32 v1, 31, v0
	v_mul_lo_u32 v2, v1, s30
	v_mul_lo_u32 v3, v0, s31
	v_mad_u64_u32 v[0:1], s[6:7], v0, s30, 0
	v_add3_u32 v1, v1, v3, v2
	v_lshl_add_u64 v[0:1], v[0:1], 2, s[10:11]
	global_load_dword v0, v[0:1], off
	s_waitcnt vmcnt(0)
	v_sub_f32_e32 v0, s12, v0
	v_exp_f32_e32 v14, v0
.LBB571_65:
	s_or_b64 exec, exec, s[0:1]
	v_or_b32_e32 v12, 3, v8
	v_cmp_gt_i32_e64 s[0:1], s27, v12
	s_and_saveexec_b64 s[6:7], s[0:1]
	s_cbranch_execz .LBB571_67
; %bb.66:
	v_add_u32_e32 v0, s26, v12
	v_ashrrev_i32_e32 v1, 31, v0
	v_mul_lo_u32 v2, v1, s30
	v_mul_lo_u32 v3, v0, s31
	v_mad_u64_u32 v[0:1], s[14:15], v0, s30, 0
	v_add3_u32 v1, v1, v3, v2
	v_lshl_add_u64 v[0:1], v[0:1], 2, s[10:11]
	global_load_dword v0, v[0:1], off
	s_waitcnt vmcnt(0)
	v_sub_f32_e32 v0, s12, v0
	v_exp_f32_e32 v9, v0
.LBB571_67:
	s_or_b64 exec, exec, s[6:7]
	s_waitcnt lgkmcnt(11)
	v_mfma_f32_16x16x16_bf16 a[0:3], v[32:33], v[22:23], a[0:3]
	s_add_u32 s6, s8, s20
	v_ashrrev_i32_e32 v35, 31, v34
	s_addc_u32 s7, s9, s21
	s_waitcnt lgkmcnt(10)
	v_mfma_f32_16x16x16_bf16 a[0:3], v[30:31], v[24:25], a[0:3]
	v_lshlrev_b64 v[0:1], 1, v[34:35]
	v_lshl_add_u64 v[4:5], s[6:7], 0, v[0:1]
	s_add_u32 s6, s28, s20
	s_waitcnt lgkmcnt(9)
	v_mfma_f32_16x16x16_bf16 a[0:3], v[28:29], v[18:19], a[0:3]
	s_addc_u32 s7, s29, s21
	v_lshl_add_u64 v[6:7], s[6:7], 0, v[0:1]
	v_mov_b32_e32 v16, 0
	s_waitcnt lgkmcnt(8)
	v_mfma_f32_16x16x16_bf16 a[0:3], v[26:27], v[20:21], a[0:3]
	v_mov_b32_e32 v17, 0
	s_nop 5
	v_accvgpr_read_b32 v0, a0
	v_accvgpr_read_b32 v1, a1
	;; [unrolled: 1-line block ×4, first 2 shown]
	s_and_saveexec_b64 s[6:7], s[2:3]
	s_cbranch_execz .LBB571_69
; %bb.68:
	v_lshlrev_b32_e32 v18, 8, v8
	v_mov_b32_e32 v19, 0
	v_lshl_add_u64 v[20:21], v[4:5], 0, v[18:19]
	global_load_ushort v17, v[20:21], off
	v_lshl_add_u64 v[18:19], v[6:7], 0, v[18:19]
	s_waitcnt vmcnt(0)
	v_lshlrev_b32_e32 v17, 16, v17
	v_sub_f32_e32 v0, v17, v0
	global_store_short_d16_hi v[18:19], v0, off
	v_mul_f32_e32 v0, v15, v0
	v_lshrrev_b32_e32 v17, 16, v0
.LBB571_69:
	s_or_b64 exec, exec, s[6:7]
	s_and_saveexec_b64 s[2:3], s[4:5]
	s_cbranch_execz .LBB571_71
; %bb.70:
	v_lshlrev_b32_e32 v18, 8, v13
	v_mov_b32_e32 v19, 0
	v_lshl_add_u64 v[20:21], v[4:5], 0, v[18:19]
	global_load_ushort v0, v[20:21], off
	v_lshl_add_u64 v[18:19], v[6:7], 0, v[18:19]
	s_waitcnt vmcnt(0)
	v_lshlrev_b32_e32 v0, 16, v0
	v_sub_f32_e32 v0, v0, v1
	global_store_short_d16_hi v[18:19], v0, off
	v_mul_f32_e32 v0, v10, v0
	v_lshrrev_b32_e32 v16, 16, v0
.LBB571_71:
	s_or_b64 exec, exec, s[2:3]
	v_mov_b32_e32 v0, 0
	v_mov_b32_e32 v1, 0
	s_and_saveexec_b64 s[2:3], vcc
	s_cbranch_execz .LBB571_73
; %bb.72:
	v_lshlrev_b32_e32 v10, 8, v11
	v_mov_b32_e32 v11, 0
	v_lshl_add_u64 v[18:19], v[4:5], 0, v[10:11]
	global_load_ushort v1, v[18:19], off
	v_lshl_add_u64 v[10:11], v[6:7], 0, v[10:11]
	s_waitcnt vmcnt(0)
	v_lshlrev_b32_e32 v1, 16, v1
	v_sub_f32_e32 v1, v1, v2
	global_store_short_d16_hi v[10:11], v1, off
	v_mul_f32_e32 v1, v14, v1
	v_lshrrev_b32_e32 v1, 16, v1
.LBB571_73:
	s_or_b64 exec, exec, s[2:3]
	s_and_saveexec_b64 s[2:3], s[0:1]
	s_cbranch_execz .LBB571_75
; %bb.74:
	v_lshlrev_b32_e32 v10, 8, v12
	v_mov_b32_e32 v11, 0
	v_lshl_add_u64 v[4:5], v[4:5], 0, v[10:11]
	global_load_ushort v0, v[4:5], off
	v_lshl_add_u64 v[4:5], v[6:7], 0, v[10:11]
	s_waitcnt vmcnt(0)
	v_lshlrev_b32_e32 v0, 16, v0
	v_sub_f32_e32 v0, v0, v3
	global_store_short_d16_hi v[4:5], v0, off
	v_mul_f32_e32 v0, v9, v0
	v_lshrrev_b32_e32 v0, 16, v0
.LBB571_75:
	s_or_b64 exec, exec, s[2:3]
	s_mov_b32 s0, 0x5040100
	v_lshlrev_b32_e32 v2, 1, v36
	v_perm_b32 v1, v0, v1, s0
	v_perm_b32 v0, v16, v17, s0
	v_lshl_or_b32 v2, v8, 5, v2
	ds_write_b64 v2, v[0:1] offset:38912
	s_waitcnt lgkmcnt(0)
	s_barrier
.LBB571_76:
	s_endpgm
	.section	.rodata,"a",@progbits
	.p2align	6, 0x0
	.amdhsa_kernel _ZN12_GLOBAL__N_139chunk_gated_delta_rule_fwd_h_hip_kernelILi16ELb1ELb0ELb1ELb0ELb1ELb0ELb0ELb1EEEvPK12hip_bfloat16S3_S3_PKfS5_PKvPS1_S8_PvPKiSB_iiiiilll
		.amdhsa_group_segment_fixed_size 40960
		.amdhsa_private_segment_fixed_size 0
		.amdhsa_kernarg_size 136
		.amdhsa_user_sgpr_count 2
		.amdhsa_user_sgpr_dispatch_ptr 0
		.amdhsa_user_sgpr_queue_ptr 0
		.amdhsa_user_sgpr_kernarg_segment_ptr 1
		.amdhsa_user_sgpr_dispatch_id 0
		.amdhsa_user_sgpr_kernarg_preload_length 0
		.amdhsa_user_sgpr_kernarg_preload_offset 0
		.amdhsa_user_sgpr_private_segment_size 0
		.amdhsa_uses_dynamic_stack 0
		.amdhsa_enable_private_segment 0
		.amdhsa_system_sgpr_workgroup_id_x 1
		.amdhsa_system_sgpr_workgroup_id_y 1
		.amdhsa_system_sgpr_workgroup_id_z 0
		.amdhsa_system_sgpr_workgroup_info 0
		.amdhsa_system_vgpr_workitem_id 0
		.amdhsa_next_free_vgpr 116
		.amdhsa_next_free_sgpr 68
		.amdhsa_accum_offset 108
		.amdhsa_reserve_vcc 1
		.amdhsa_float_round_mode_32 0
		.amdhsa_float_round_mode_16_64 0
		.amdhsa_float_denorm_mode_32 3
		.amdhsa_float_denorm_mode_16_64 3
		.amdhsa_dx10_clamp 1
		.amdhsa_ieee_mode 1
		.amdhsa_fp16_overflow 0
		.amdhsa_tg_split 0
		.amdhsa_exception_fp_ieee_invalid_op 0
		.amdhsa_exception_fp_denorm_src 0
		.amdhsa_exception_fp_ieee_div_zero 0
		.amdhsa_exception_fp_ieee_overflow 0
		.amdhsa_exception_fp_ieee_underflow 0
		.amdhsa_exception_fp_ieee_inexact 0
		.amdhsa_exception_int_div_zero 0
	.end_amdhsa_kernel
	.section	.text._ZN12_GLOBAL__N_139chunk_gated_delta_rule_fwd_h_hip_kernelILi16ELb1ELb0ELb1ELb0ELb1ELb0ELb0ELb1EEEvPK12hip_bfloat16S3_S3_PKfS5_PKvPS1_S8_PvPKiSB_iiiiilll,"axG",@progbits,_ZN12_GLOBAL__N_139chunk_gated_delta_rule_fwd_h_hip_kernelILi16ELb1ELb0ELb1ELb0ELb1ELb0ELb0ELb1EEEvPK12hip_bfloat16S3_S3_PKfS5_PKvPS1_S8_PvPKiSB_iiiiilll,comdat
.Lfunc_end571:
	.size	_ZN12_GLOBAL__N_139chunk_gated_delta_rule_fwd_h_hip_kernelILi16ELb1ELb0ELb1ELb0ELb1ELb0ELb0ELb1EEEvPK12hip_bfloat16S3_S3_PKfS5_PKvPS1_S8_PvPKiSB_iiiiilll, .Lfunc_end571-_ZN12_GLOBAL__N_139chunk_gated_delta_rule_fwd_h_hip_kernelILi16ELb1ELb0ELb1ELb0ELb1ELb0ELb0ELb1EEEvPK12hip_bfloat16S3_S3_PKfS5_PKvPS1_S8_PvPKiSB_iiiiilll
                                        ; -- End function
	.section	.AMDGPU.csdata,"",@progbits
; Kernel info:
; codeLenInByte = 7320
; NumSgprs: 74
; NumVgprs: 108
; NumAgprs: 8
; TotalNumVgprs: 116
; ScratchSize: 0
; MemoryBound: 0
; FloatMode: 240
; IeeeMode: 1
; LDSByteSize: 40960 bytes/workgroup (compile time only)
; SGPRBlocks: 9
; VGPRBlocks: 14
; NumSGPRsForWavesPerEU: 74
; NumVGPRsForWavesPerEU: 116
; AccumOffset: 108
; Occupancy: 1
; WaveLimiterHint : 1
; COMPUTE_PGM_RSRC2:SCRATCH_EN: 0
; COMPUTE_PGM_RSRC2:USER_SGPR: 2
; COMPUTE_PGM_RSRC2:TRAP_HANDLER: 0
; COMPUTE_PGM_RSRC2:TGID_X_EN: 1
; COMPUTE_PGM_RSRC2:TGID_Y_EN: 1
; COMPUTE_PGM_RSRC2:TGID_Z_EN: 0
; COMPUTE_PGM_RSRC2:TIDIG_COMP_CNT: 0
; COMPUTE_PGM_RSRC3_GFX90A:ACCUM_OFFSET: 26
; COMPUTE_PGM_RSRC3_GFX90A:TG_SPLIT: 0
	.section	.text._ZN12_GLOBAL__N_139chunk_gated_delta_rule_fwd_h_hip_kernelILi16ELb1ELb0ELb0ELb0ELb1ELb0ELb0ELb1EEEvPK12hip_bfloat16S3_S3_PKfS5_PKvPS1_S8_PvPKiSB_iiiiilll,"axG",@progbits,_ZN12_GLOBAL__N_139chunk_gated_delta_rule_fwd_h_hip_kernelILi16ELb1ELb0ELb0ELb0ELb1ELb0ELb0ELb1EEEvPK12hip_bfloat16S3_S3_PKfS5_PKvPS1_S8_PvPKiSB_iiiiilll,comdat
	.globl	_ZN12_GLOBAL__N_139chunk_gated_delta_rule_fwd_h_hip_kernelILi16ELb1ELb0ELb0ELb0ELb1ELb0ELb0ELb1EEEvPK12hip_bfloat16S3_S3_PKfS5_PKvPS1_S8_PvPKiSB_iiiiilll ; -- Begin function _ZN12_GLOBAL__N_139chunk_gated_delta_rule_fwd_h_hip_kernelILi16ELb1ELb0ELb0ELb0ELb1ELb0ELb0ELb1EEEvPK12hip_bfloat16S3_S3_PKfS5_PKvPS1_S8_PvPKiSB_iiiiilll
	.p2align	8
	.type	_ZN12_GLOBAL__N_139chunk_gated_delta_rule_fwd_h_hip_kernelILi16ELb1ELb0ELb0ELb0ELb1ELb0ELb0ELb1EEEvPK12hip_bfloat16S3_S3_PKfS5_PKvPS1_S8_PvPKiSB_iiiiilll,@function
_ZN12_GLOBAL__N_139chunk_gated_delta_rule_fwd_h_hip_kernelILi16ELb1ELb0ELb0ELb0ELb1ELb0ELb0ELb1EEEvPK12hip_bfloat16S3_S3_PKfS5_PKvPS1_S8_PvPKiSB_iiiiilll: ; @_ZN12_GLOBAL__N_139chunk_gated_delta_rule_fwd_h_hip_kernelILi16ELb1ELb0ELb0ELb0ELb1ELb0ELb0ELb1EEEvPK12hip_bfloat16S3_S3_PKfS5_PKvPS1_S8_PvPKiSB_iiiiilll
; %bb.0:
	s_load_dwordx4 s[12:15], s[0:1], 0x5c
	s_load_dwordx4 s[16:19], s[0:1], 0x28
	s_abs_i32 s6, s3
	s_ashr_i32 s5, s3, 31
	v_and_b32_e32 v43, 15, v0
	s_waitcnt lgkmcnt(0)
	s_abs_i32 s4, s13
	v_cvt_f32_u32_e32 v1, s4
	s_sub_i32 s8, 0, s4
	s_ashr_i32 s7, s13, 31
	s_xor_b32 s5, s5, s7
	v_rcp_iflag_f32_e32 v1, v1
	v_lshrrev_b32_e32 v41, 6, v0
	v_bfe_u32 v42, v0, 4, 2
	v_mov_b32_e32 v5, 0
	v_mul_f32_e32 v1, 0x4f7ffffe, v1
	v_cvt_u32_f32_e32 v1, v1
	v_and_b32_e32 v40, 63, v0
	v_lshlrev_b32_e32 v44, 3, v0
	v_lshrrev_b32_e32 v45, 3, v40
	v_readfirstlane_b32 s9, v1
	s_mul_i32 s8, s8, s9
	s_mul_hi_u32 s8, s9, s8
	s_add_i32 s9, s9, s8
	s_mul_hi_u32 s8, s6, s9
	s_mul_i32 s9, s8, s4
	s_sub_i32 s6, s6, s9
	s_add_i32 s10, s8, 1
	s_sub_i32 s9, s6, s4
	s_cmp_ge_u32 s6, s4
	s_cselect_b32 s8, s10, s8
	s_cselect_b32 s6, s9, s6
	s_add_i32 s9, s8, 1
	s_cmp_ge_u32 s6, s4
	s_cselect_b32 s6, s9, s8
	s_xor_b32 s6, s6, s5
	s_sub_i32 s49, s6, s5
	s_mul_i32 s6, s49, s13
	s_sub_i32 s47, s3, s6
	s_abs_i32 s3, s14
	v_cvt_f32_u32_e32 v1, s3
	s_add_i32 s8, s12, 63
	s_ashr_i32 s9, s8, 31
	s_lshr_b32 s5, s9, 26
	v_rcp_iflag_f32_e32 v1, v1
	s_ashr_i32 s48, s12, 31
	s_add_i32 s8, s8, s5
	s_lshr_b32 s5, s48, 26
	v_mul_f32_e32 v1, 0x4f7ffffe, v1
	v_cvt_u32_f32_e32 v1, v1
	s_add_i32 s5, s12, s5
	s_ashr_i32 s52, s14, 31
	s_ashr_i32 s24, s8, 6
	;; [unrolled: 1-line block ×3, first 2 shown]
	s_xor_b32 s5, s7, s52
	s_sub_i32 s7, 0, s3
	v_readfirstlane_b32 s8, v1
	s_mul_i32 s7, s7, s8
	s_mul_hi_u32 s7, s8, s7
	s_add_i32 s8, s8, s7
	s_mul_hi_u32 s7, s4, s8
	s_mul_i32 s8, s7, s3
	s_sub_i32 s4, s4, s8
	s_lshl_b32 s2, s2, 4
	s_add_i32 s8, s7, 1
	s_sub_i32 s9, s4, s3
	s_cmp_ge_u32 s4, s3
	s_cselect_b32 s7, s8, s7
	s_cselect_b32 s4, s9, s4
	s_add_i32 s8, s7, 1
	s_cmp_ge_u32 s4, s3
	s_cselect_b32 s3, s8, s7
	s_xor_b32 s3, s3, s5
	s_sub_i32 s3, s3, s5
	s_abs_i32 s4, s3
	v_cvt_f32_u32_e32 v1, s4
	s_sub_i32 s7, 0, s4
	s_abs_i32 s5, s47
	s_xor_b32 s3, s47, s3
	v_rcp_iflag_f32_e32 v1, v1
	s_ashr_i32 s3, s3, 31
	v_or_b32_e32 v34, s2, v43
	v_lshlrev_b32_e32 v2, 7, v34
	v_mul_f32_e32 v1, 0x4f7ffffe, v1
	v_cvt_u32_f32_e32 v1, v1
	v_ashrrev_i32_e32 v3, 31, v2
	s_mul_i32 s54, s49, s24
	v_readfirstlane_b32 s8, v1
	s_mul_i32 s7, s7, s8
	s_mul_hi_u32 s7, s8, s7
	s_add_i32 s8, s8, s7
	s_mul_hi_u32 s7, s5, s8
	s_mul_i32 s8, s7, s4
	s_sub_i32 s5, s5, s8
	s_add_i32 s8, s7, 1
	s_sub_i32 s9, s5, s4
	s_cmp_ge_u32 s5, s4
	s_cselect_b32 s7, s8, s7
	s_cselect_b32 s5, s9, s5
	s_add_i32 s8, s7, 1
	s_cmp_ge_u32 s5, s4
	s_cselect_b32 s4, s8, s7
	s_xor_b32 s4, s4, s3
	s_sub_i32 s53, s4, s3
	s_ashr_i32 s3, s49, 31
	s_ashr_i32 s51, s47, 31
	s_mul_hi_i32 s4, s49, s13
	s_add_u32 s36, s6, s47
	s_addc_u32 s37, s4, s51
	s_lshl_b64 s[4:5], s[36:37], 15
	v_lshlrev_b32_e32 v1, 4, v41
	s_add_u32 s4, s16, s4
	v_lshl_or_b32 v46, v42, 2, v1
	s_addc_u32 s5, s17, s5
	v_lshl_add_u64 v[2:3], v[2:3], 1, s[4:5]
	v_lshlrev_b32_e32 v4, 1, v46
	v_lshl_add_u64 v[2:3], v[2:3], 0, v[4:5]
	global_load_dwordx2 v[4:5], v[2:3], off
	global_load_dwordx2 v[6:7], v[2:3], off offset:128
	s_load_dwordx8 s[4:11], s[0:1], 0x0
	s_load_dwordx2 s[28:29], s[0:1], 0x80
	s_load_dwordx4 s[20:23], s[0:1], 0x70
	v_or_b32_e32 v47, 64, v46
	s_mul_hi_u32 s55, s36, s12
	s_mul_i32 s16, s36, s12
	s_mul_i32 s37, s37, s12
	s_waitcnt lgkmcnt(0)
	s_mul_i32 s33, s49, s21
	s_mul_hi_u32 s42, s49, s20
	s_mul_i32 s34, s49, s20
	s_mul_i32 s43, s47, s23
	s_mul_hi_u32 s44, s47, s22
	s_mul_i32 s46, s3, s20
	s_mul_i32 s45, s51, s22
	s_cmp_lt_i32 s12, 64
	s_mul_i32 s30, s47, s22
	s_waitcnt vmcnt(1)
	v_and_b32_e32 v48, 0xffff0000, v4
	v_lshlrev_b32_e32 v50, 16, v4
	v_and_b32_e32 v54, 0xffff0000, v5
	v_lshlrev_b32_e32 v52, 16, v5
	s_waitcnt vmcnt(0)
	v_and_b32_e32 v49, 0xffff0000, v6
	v_lshlrev_b32_e32 v51, 16, v6
	v_and_b32_e32 v55, 0xffff0000, v7
	v_lshlrev_b32_e32 v53, 16, v7
	s_cbranch_scc1 .LBB572_3
; %bb.1:
	s_add_i32 s17, s55, s37
	s_lshl_b64 s[0:1], s[16:17], 8
	v_and_b32_e32 v57, 56, v44
	s_add_u32 s20, s6, s0
	v_lshl_or_b32 v56, v41, 3, v45
	v_lshlrev_b32_e32 v2, 1, v57
	s_addc_u32 s0, s7, s1
	v_lshl_or_b32 v58, v56, 8, v2
	s_and_b32 s21, s0, 0xffff
	s_mov_b32 s23, 0x20000
	s_movk_i32 s22, 0x4000
	s_movk_i32 s0, 0x80
	v_or_b32_e32 v59, 0x2000, v58
	buffer_load_dwordx4 v[4:7], v58, s[20:23], 0 offen
	buffer_load_dwordx4 v[8:11], v58, s[20:23], s0 offen
	;; [unrolled: 1-line block ×4, first 2 shown]
	v_lshlrev_b32_e32 v3, 3, v56
	v_and_or_b32 v21, v0, 7, v3
	v_and_b32_e32 v3, 0x78, v3
	v_lshlrev_b32_e32 v21, 4, v21
	v_xor_b32_e32 v60, v21, v3
	v_mul_lo_u32 v20, v56, s15
	v_or_b32_e32 v61, 0x1000, v60
	v_xor_b32_e32 v3, 8, v60
	s_cmpk_eq_i32 s15, 0x80
	s_mov_b32 s56, s14
	v_xor_b32_e32 v21, 8, v61
	s_cselect_b64 s[0:1], -1, 0
	s_cmpk_lg_i32 s15, 0x80
	s_waitcnt vmcnt(3)
	ds_write_b64 v60, v[4:5] offset:16384
	ds_write_b64 v3, v[6:7] offset:16384
	s_waitcnt vmcnt(2)
	ds_write_b64 v60, v[8:9] offset:24576
	ds_write_b64 v3, v[10:11] offset:24576
	;; [unrolled: 3-line block ×4, first 2 shown]
	v_lshl_add_u32 v3, v20, 1, v57
	s_cbranch_scc0 .LBB572_29
; %bb.2:
	v_lshlrev_b32_e32 v5, 1, v3
	v_add_lshl_u32 v4, v3, s15, 1
	s_lshl_b32 s22, s15, 7
	v_lshl_or_b32 v2, v56, 9, v2
	s_cbranch_execz .LBB572_30
	s_branch .LBB572_31
.LBB572_3:
	v_mov_b32_e32 v2, v55
	v_mov_b32_e32 v3, v54
.LBB572_4:
	s_lshl_b32 s26, s50, 6
	s_sub_i32 s27, s12, s26
	s_cmp_gt_i32 s27, 0
	s_cbranch_scc0 .LBB572_76
; %bb.5:
	s_ashr_i32 s3, s26, 31
	s_cmpk_lg_i32 s15, 0x80
	s_cselect_b64 s[22:23], -1, 0
	s_and_b64 vcc, exec, s[22:23]
	s_cbranch_vccz .LBB572_7
; %bb.6:
	s_mul_i32 s1, s49, s12
	s_mul_hi_i32 s0, s49, s12
	s_add_u32 s1, s1, s26
	s_addc_u32 s0, s0, s3
	s_mul_i32 s17, s1, s52
	s_mul_hi_u32 s20, s1, s14
	s_add_i32 s17, s20, s17
	s_mul_i32 s0, s0, s14
	s_add_i32 s17, s17, s0
	s_mul_i32 s1, s1, s14
	s_ashr_i32 s0, s53, 31
	s_add_u32 s24, s1, s53
	s_addc_u32 s25, s17, s0
	s_cbranch_execz .LBB572_8
	s_branch .LBB572_9
.LBB572_7:
                                        ; implicit-def: $sgpr24_sgpr25
.LBB572_8:
	s_mul_hi_i32 s0, s49, s14
	s_mul_i32 s49, s49, s14
	s_ashr_i32 s1, s53, 31
	s_add_u32 s14, s49, s53
	s_addc_u32 s0, s0, s1
	s_mul_i32 s1, s14, s48
	s_mul_hi_u32 s17, s14, s12
	s_add_i32 s1, s17, s1
	s_mul_i32 s0, s0, s12
	s_add_i32 s1, s1, s0
	s_mul_i32 s14, s14, s12
	s_add_u32 s24, s14, s26
	s_addc_u32 s25, s1, s3
.LBB572_9:
	s_mul_i32 s0, s36, s48
	s_add_i32 s0, s55, s0
	s_add_i32 s14, s54, s50
	;; [unrolled: 1-line block ×3, first 2 shown]
	s_add_u32 s0, s16, s26
	s_addc_u32 s1, s1, s3
	s_mov_b32 s3, 0x7060302
	v_lshlrev_b32_e32 v6, 3, v43
	v_perm_b32 v5, v3, v52, s3
	v_perm_b32 v4, v48, v50, s3
	;; [unrolled: 1-line block ×4, first 2 shown]
	v_lshlrev_b32_e32 v36, 2, v43
	v_lshl_or_b32 v6, v46, 5, v6
	s_lshl_b64 s[20:21], s[0:1], 8
	ds_write2st64_b64 v6, v[4:5], v[2:3] offset0:72 offset1:76
	v_xor_b32_e32 v6, v46, v36
	v_lshlrev_b32_e32 v7, 8, v43
	s_add_u32 s0, s6, s20
	v_lshl_or_b32 v6, v6, 1, v7
	s_addc_u32 s1, s7, s21
	ds_write_b64 v6, v[4:5] offset:32768
	v_xor_b32_e32 v4, v47, v36
	s_mul_hi_i32 s3, s14, s13
	s_mul_i32 s14, s14, s13
	v_lshl_or_b32 v4, v4, 1, v7
	s_add_u32 s6, s14, s47
	ds_write_b64 v4, v[2:3] offset:32768
	s_addc_u32 s7, s3, s51
	v_lshlrev_b32_e32 v3, 1, v43
	v_lshrrev_b32_e32 v2, 4, v0
	s_ashr_i32 s3, s2, 31
	s_lshl_b64 s[6:7], s[6:7], 15
	v_or_b32_e32 v4, 1, v3
	s_add_u32 s6, s18, s6
	v_xor_b32_e32 v3, v2, v3
	v_xor_b32_e32 v4, v4, v2
	v_lshlrev_b32_e32 v6, 8, v2
	s_addc_u32 s7, s19, s7
	s_lshl_b64 s[2:3], s[2:3], 8
	v_lshl_or_b32 v2, v3, 3, v6
	v_lshl_or_b32 v4, v4, 3, v6
	s_waitcnt lgkmcnt(0)
	s_barrier
	s_add_u32 s2, s6, s2
	ds_read_b64 v[2:3], v2 offset:32768
	ds_read_b64 v[4:5], v4 offset:32768
	s_addc_u32 s3, s7, s3
	v_mov_b32_e32 v7, 0
	s_cmp_lg_u32 s27, 64
	v_lshl_add_u64 v[8:9], s[2:3], 0, v[6:7]
	v_lshlrev_b32_e32 v6, 4, v43
	s_cselect_b64 s[6:7], -1, 0
	v_lshl_or_b32 v35, v41, 3, v45
	s_mov_b32 s16, 0
	v_lshl_add_u64 v[6:7], v[8:9], 0, v[6:7]
	s_waitcnt vmcnt(1)
	v_or_b32_e32 v19, 32, v35
	v_and_b32_e32 v18, 56, v44
	s_and_b64 vcc, exec, s[6:7]
	s_waitcnt lgkmcnt(0)
	global_store_dwordx4 v[6:7], v[2:5], off
	s_cbranch_vccz .LBB572_15
; %bb.10:
	s_mov_b32 s17, s16
	s_mov_b32 s18, s16
	;; [unrolled: 1-line block ×3, first 2 shown]
	v_mov_b64_e32 v[6:7], s[16:17]
	v_mov_b64_e32 v[8:9], s[18:19]
	v_mov_b64_e32 v[2:3], v[6:7]
	v_cmp_gt_i32_e32 vcc, s27, v35
	v_mov_b64_e32 v[4:5], v[8:9]
	s_and_saveexec_b64 s[2:3], vcc
	s_cbranch_execz .LBB572_12
; %bb.11:
	v_lshlrev_b32_e32 v2, 8, v35
	v_mov_b32_e32 v3, 0
	v_lshl_add_u64 v[4:5], s[0:1], 0, v[2:3]
	v_lshlrev_b32_e32 v2, 1, v18
	v_lshl_add_u64 v[10:11], v[4:5], 0, v[2:3]
	global_load_dwordx4 v[6:9], v[10:11], off
	global_load_dwordx4 v[2:5], v[10:11], off offset:128
.LBB572_12:
	s_or_b64 exec, exec, s[2:3]
	s_mov_b32 s17, s16
	s_mov_b32 s18, s16
	;; [unrolled: 1-line block ×3, first 2 shown]
	v_mov_b64_e32 v[14:15], s[16:17]
	v_mov_b64_e32 v[16:17], s[18:19]
	;; [unrolled: 1-line block ×3, first 2 shown]
	v_cmp_gt_i32_e32 vcc, s27, v19
	v_lshlrev_b32_e32 v20, 7, v19
	v_mov_b64_e32 v[12:13], v[16:17]
	s_and_saveexec_b64 s[2:3], vcc
	s_cbranch_execz .LBB572_14
; %bb.13:
	v_lshlrev_b32_e32 v10, 1, v20
	v_mov_b32_e32 v11, 0
	v_lshl_add_u64 v[12:13], s[0:1], 0, v[10:11]
	v_lshlrev_b32_e32 v10, 1, v18
	v_lshl_add_u64 v[22:23], v[12:13], 0, v[10:11]
	global_load_dwordx4 v[14:17], v[22:23], off
	global_load_dwordx4 v[10:13], v[22:23], off offset:128
.LBB572_14:
	s_or_b64 exec, exec, s[2:3]
	v_lshrrev_b32_e32 v21, 3, v18
	v_lshlrev_b32_e32 v22, 3, v35
	v_or_b32_e32 v21, v22, v21
	v_lshlrev_b32_e32 v21, 4, v21
	v_and_b32_e32 v22, 0x78, v22
	v_xor_b32_e32 v21, v21, v22
	s_branch .LBB572_17
.LBB572_15:
                                        ; implicit-def: $vgpr21
                                        ; implicit-def: $vgpr20
                                        ; implicit-def: $vgpr6_vgpr7_vgpr8_vgpr9
                                        ; implicit-def: $vgpr2_vgpr3_vgpr4_vgpr5
                                        ; implicit-def: $vgpr14_vgpr15_vgpr16_vgpr17
                                        ; implicit-def: $vgpr10_vgpr11_vgpr12_vgpr13
	s_cbranch_execz .LBB572_17
; %bb.16:
	s_waitcnt vmcnt(0)
	v_lshlrev_b32_e32 v2, 1, v18
	v_lshl_or_b32 v20, v35, 8, v2
	s_and_b32 s1, s1, 0xffff
	s_mov_b32 s3, 0x20000
	s_movk_i32 s2, 0x4000
	v_lshl_or_b32 v21, v19, 8, v2
	s_movk_i32 s13, 0x80
	buffer_load_dwordx4 v[6:9], v20, s[0:3], 0 offen
	buffer_load_dwordx4 v[2:5], v20, s[0:3], s13 offen
	;; [unrolled: 1-line block ×4, first 2 shown]
	v_lshrrev_b32_e32 v20, 3, v18
	v_lshlrev_b32_e32 v21, 3, v35
	v_or_b32_e32 v20, v21, v20
	v_lshlrev_b32_e32 v20, 4, v20
	v_and_b32_e32 v21, 0x78, v21
	v_xor_b32_e32 v21, v20, v21
	v_lshlrev_b32_e32 v20, 7, v19
.LBB572_17:
	s_lshl_b64 s[0:1], s[24:25], 8
	s_add_u32 s4, s4, s0
	s_movk_i32 s0, 0x1000
	v_and_or_b32 v19, v20, s0, v21
	s_waitcnt vmcnt(1)
	ds_write_b64 v21, v[6:7] offset:16384
	v_xor_b32_e32 v6, 8, v21
	ds_write_b64 v6, v[8:9] offset:16384
	s_waitcnt vmcnt(0)
	ds_write_b64 v21, v[2:3] offset:24576
	ds_write_b64 v6, v[4:5] offset:24576
	;; [unrolled: 1-line block ×3, first 2 shown]
	v_xor_b32_e32 v2, 8, v19
	ds_write_b64 v2, v[16:17] offset:16384
	ds_write_b64 v19, v[10:11] offset:24576
	;; [unrolled: 1-line block ×3, first 2 shown]
	v_or_b32_e32 v2, v1, v43
	s_addc_u32 s5, s5, s1
	s_add_i32 s0, s12, -1
	v_lshlrev_b32_e32 v2, 3, v2
	v_lshrrev_b32_e32 v4, 5, v40
	s_movk_i32 s12, 0xf8
	v_and_or_b32 v4, v2, s12, v4
	v_lshlrev_b32_e32 v3, 11, v41
	v_lshlrev_b32_e32 v12, 4, v4
	v_and_b32_e32 v13, 0x78, v2
	v_and_b32_e32 v14, 0x1000, v3
	v_lshlrev_b32_e32 v3, 2, v0
	v_xor_b32_e32 v2, v12, v13
	v_lshrrev_b32_e32 v4, 1, v40
	v_and_b32_e32 v3, 60, v3
	v_or_b32_e32 v2, v2, v14
	v_and_b32_e32 v15, 8, v4
	v_xor_b32_e32 v26, v2, v15
	v_lshl_or_b32 v2, v42, 6, v3
	v_lshlrev_b32_e32 v19, 1, v2
	v_or_b32_e32 v2, 32, v12
	v_xor_b32_e32 v2, v2, v13
	s_waitcnt lgkmcnt(0)
	s_barrier
	ds_read_b64 v[10:11], v26 offset:16384
	v_or_b32_e32 v2, v2, v14
	v_xor_b32_e32 v27, v2, v15
	v_or_b32_e32 v2, 64, v12
	v_xor_b32_e32 v2, v2, v13
	v_or_b32_e32 v2, v2, v14
	v_or_b32_e32 v12, 0x60, v12
	v_xor_b32_e32 v28, v2, v15
	ds_read2st64_b64 v[2:5], v19 offset0:72 offset1:73
	ds_read2st64_b64 v[6:9], v19 offset0:74 offset1:75
	v_xor_b32_e32 v16, v12, v13
	ds_read_b64 v[12:13], v27 offset:16384
	s_add_i32 s1, s42, s33
	s_waitcnt lgkmcnt(2)
	v_mfma_f32_16x16x16_bf16 a[0:3], v[10:11], v[2:3], 0
	s_add_i32 s35, s1, s46
	s_add_i32 s1, s44, s43
	;; [unrolled: 1-line block ×3, first 2 shown]
	s_ashr_i32 s1, s0, 31
	s_mul_i32 s2, s0, s29
	s_mul_hi_u32 s3, s0, s28
	s_add_i32 s2, s3, s2
	s_mul_i32 s1, s1, s28
	v_or_b32_e32 v14, v16, v14
	s_add_i32 s1, s2, s1
	s_lshl_b64 s[2:3], s[34:35], 2
	v_xor_b32_e32 v37, v14, v15
	ds_read_b64 v[14:15], v28 offset:16384
	ds_read_b64 v[16:17], v37 offset:16384
	s_waitcnt lgkmcnt(2)
	v_mfma_f32_16x16x16_bf16 a[0:3], v[12:13], v[4:5], a[0:3]
	s_add_u32 s10, s10, s2
	s_addc_u32 s11, s11, s3
	s_lshl_b64 s[2:3], s[30:31], 2
	s_mul_i32 s0, s0, s28
	s_add_u32 s10, s10, s2
	s_addc_u32 s11, s11, s3
	s_lshl_b64 s[0:1], s[0:1], 2
	s_waitcnt lgkmcnt(1)
	v_mfma_f32_16x16x16_bf16 a[0:3], v[14:15], v[6:7], a[0:3]
	s_add_u32 s0, s10, s0
	s_addc_u32 s1, s11, s1
	s_load_dword s12, s[0:1], 0x0
	s_waitcnt lgkmcnt(0)
	v_mfma_f32_16x16x16_bf16 a[0:3], v[16:17], v[8:9], a[0:3]
	s_and_b64 vcc, exec, s[22:23]
	s_cbranch_vccz .LBB572_28
; %bb.18:
	v_lshlrev_b32_e32 v20, 1, v35
	s_and_b64 vcc, exec, s[6:7]
	s_cbranch_vccz .LBB572_44
; %bb.19:
	v_cmp_gt_i32_e32 vcc, s27, v20
	v_mov_b32_e32 v6, 0
	v_mov_b32_e32 v2, 0
	v_mov_b32_e32 v3, 0
	v_mov_b32_e32 v4, 0
	v_mov_b32_e32 v5, 0
	s_and_saveexec_b64 s[0:1], vcc
	s_cbranch_execz .LBB572_21
; %bb.20:
	v_mad_i64_i32 v[2:3], s[2:3], s15, v20, 0
	v_lshl_add_u64 v[2:3], v[2:3], 1, s[4:5]
	v_lshlrev_b32_e32 v4, 1, v18
	v_mov_b32_e32 v5, 0
	v_lshl_add_u64 v[2:3], v[2:3], 0, v[4:5]
	global_load_dwordx4 v[2:5], v[2:3], off
.LBB572_21:
	s_or_b64 exec, exec, s[0:1]
	v_or_b32_e32 v21, 1, v20
	v_cmp_gt_i32_e64 s[0:1], s27, v21
	v_mov_b32_e32 v7, 0
	v_mov_b32_e32 v8, 0
	;; [unrolled: 1-line block ×3, first 2 shown]
	s_and_saveexec_b64 s[2:3], s[0:1]
	s_cbranch_execz .LBB572_23
; %bb.22:
	v_mad_i64_i32 v[6:7], s[16:17], s15, v21, 0
	v_lshl_add_u64 v[6:7], v[6:7], 1, s[4:5]
	v_lshlrev_b32_e32 v8, 1, v18
	v_mov_b32_e32 v9, 0
	v_lshl_add_u64 v[6:7], v[6:7], 0, v[8:9]
	global_load_dwordx4 v[6:9], v[6:7], off
.LBB572_23:
	s_or_b64 exec, exec, s[2:3]
	v_mov_b32_e32 v17, 0
	v_mov_b32_e32 v10, 0
	;; [unrolled: 1-line block ×5, first 2 shown]
	s_and_saveexec_b64 s[2:3], vcc
	s_cbranch_execz .LBB572_25
; %bb.24:
	v_mad_i64_i32 v[10:11], s[16:17], s15, v20, 0
	v_lshl_add_u64 v[10:11], v[10:11], 1, s[4:5]
	v_lshlrev_b32_e32 v12, 1, v18
	v_mov_b32_e32 v13, 0
	v_lshl_add_u64 v[10:11], v[10:11], 0, v[12:13]
	global_load_dwordx4 v[10:13], v[10:11], off offset:128
.LBB572_25:
	s_or_b64 exec, exec, s[2:3]
	v_mov_b32_e32 v16, 0
	v_mov_b32_e32 v15, 0
	;; [unrolled: 1-line block ×3, first 2 shown]
	s_and_saveexec_b64 s[2:3], s[0:1]
	s_cbranch_execz .LBB572_27
; %bb.26:
	v_mad_i64_i32 v[14:15], s[0:1], s15, v21, 0
	v_lshl_add_u64 v[14:15], v[14:15], 1, s[4:5]
	v_lshlrev_b32_e32 v16, 1, v18
	v_mov_b32_e32 v17, 0
	v_lshl_add_u64 v[14:15], v[14:15], 0, v[16:17]
	global_load_dwordx4 v[14:17], v[14:15], off offset:128
.LBB572_27:
	s_or_b64 exec, exec, s[2:3]
	s_branch .LBB572_46
.LBB572_28:
                                        ; implicit-def: $vgpr5
                                        ; implicit-def: $vgpr9
                                        ; implicit-def: $vgpr13
                                        ; implicit-def: $vgpr17
	v_lshrrev_b32_e32 v38, 2, v40
	s_branch .LBB572_47
.LBB572_29:
                                        ; implicit-def: $vgpr4
                                        ; implicit-def: $vgpr5
                                        ; implicit-def: $sgpr22
	v_lshl_or_b32 v2, v56, 9, v2
.LBB572_30:
	v_or_b32_e32 v4, 0x100, v2
	s_movk_i32 s22, 0x4000
	v_mov_b32_e32 v5, v2
.LBB572_31:
	s_mul_hi_u32 s20, s14, s12
	s_mul_i32 s21, s52, s12
	s_add_i32 s20, s20, s21
	s_mul_i32 s21, s14, s12
	s_mul_i32 s23, s21, s3
	s_mul_hi_u32 s24, s21, s49
	s_add_i32 s23, s24, s23
	s_mul_i32 s20, s20, s49
	s_add_i32 s23, s23, s20
	s_mul_i32 s21, s21, s49
	s_ashr_i32 s57, s53, 31
	s_add_u32 s20, s21, s53
	s_addc_u32 s21, s23, s57
	s_lshl_b64 s[20:21], s[20:21], 8
	s_add_u32 s20, s4, s20
	s_addc_u32 s21, s5, s21
	s_and_b32 s21, s21, 0xffff
	s_mov_b32 s23, 0x20000
	s_movk_i32 s58, 0x80
	buffer_load_dwordx4 v[6:9], v5, s[20:23], 0 offen
	buffer_load_dwordx4 v[10:13], v5, s[20:23], s58 offen
	;; [unrolled: 1-line block ×4, first 2 shown]
	v_and_b32_e32 v4, 6, v0
	v_lshlrev_b32_e32 v22, 2, v43
	v_lshlrev_b32_e32 v23, 3, v43
	v_xor_b32_e32 v25, v56, v4
	v_and_b32_e32 v5, 1, v0
	s_mul_i32 s3, s3, s12
	s_mul_hi_u32 s20, s49, s12
	v_lshl_or_b32 v23, v46, 5, v23
	v_xor_b32_e32 v26, v46, v22
	v_lshlrev_b32_e32 v25, 2, v25
	v_or_b32_e32 v62, 0x9000, v23
	v_or_b32_e32 v63, 0x9800, v23
	v_lshlrev_b32_e32 v23, 1, v26
	v_xor_b32_e32 v26, 0x440, v25
	v_cmp_eq_u32_e32 vcc, 0, v5
	s_add_i32 s63, s20, s3
	s_add_i32 s3, s42, s33
	v_cndmask_b32_e32 v5, v26, v25, vcc
	s_add_i32 s20, s44, s43
	s_add_i32 s35, s3, s46
	s_mov_b32 s60, 0x1000504
	v_lshlrev_b32_e32 v24, 8, v43
	s_mov_b32 s22, 0x8000
	v_xor_b32_e32 v22, v47, v22
	v_lshl_or_b32 v4, v4, 10, v5
	s_add_i32 s31, s20, s45
	s_lshl_b64 s[20:21], s[34:35], 2
	s_mov_b32 s61, 0x3020706
	v_lshlrev_b32_e32 v22, 1, v22
	v_or3_b32 v64, v23, v24, s22
	v_xor_b32_e32 v5, 8, v4
	v_xor_b32_e32 v23, 24, v4
	;; [unrolled: 1-line block ×4, first 2 shown]
	s_add_u32 s3, s10, s20
	v_or3_b32 v65, v22, v24, s22
	v_xor_b32_e32 v22, 16, v4
	v_xor_b32_e32 v24, 32, v4
	;; [unrolled: 1-line block ×3, first 2 shown]
	v_add_u32_e32 v5, 0x80, v5
	v_add_u32_e32 v23, 0x80, v23
	;; [unrolled: 1-line block ×4, first 2 shown]
	s_addc_u32 s24, s11, s21
	s_lshl_b64 s[20:21], s[30:31], 2
	s_add_u32 s38, s3, s20
	s_movk_i32 s3, 0xf8
	s_addc_u32 s39, s24, s21
	v_ashrrev_i32_e32 v35, 31, v34
	s_lshl_b32 s26, s15, 7
	s_mov_b32 s59, 0
	s_mul_i32 s62, s49, s12
	s_mov_b32 s35, 0
	s_waitcnt vmcnt(1)
	v_perm_b32 v28, v6, v14, s60
	s_waitcnt vmcnt(0)
	v_perm_b32 v29, v10, v18, s60
	v_perm_b32 v6, v6, v14, s61
	;; [unrolled: 1-line block ×15, first 2 shown]
	ds_write2st64_b32 v4, v28, v29 offset1:32
	ds_write2st64_b32 v5, v6, v10 offset1:32
	ds_write2st64_b32 v22, v14, v18 offset0:1 offset1:33
	ds_write2st64_b32 v23, v7, v11 offset0:1 offset1:33
	;; [unrolled: 1-line block ×6, first 2 shown]
	v_or_b32_e32 v4, v1, v43
	v_lshlrev_b32_e32 v4, 3, v4
	v_lshrrev_b32_e32 v6, 5, v40
	v_and_or_b32 v6, v4, s3, v6
	v_lshlrev_b32_e32 v6, 4, v6
	v_lshlrev_b32_e32 v10, 11, v41
	v_and_b32_e32 v4, 0x78, v4
	v_or_b32_e32 v9, 32, v6
	v_and_b32_e32 v5, 0x1000, v10
	v_xor_b32_e32 v7, v6, v4
	v_lshrrev_b32_e32 v11, 1, v0
	v_xor_b32_e32 v9, v9, v4
	v_or_b32_e32 v7, v7, v5
	v_and_b32_e32 v8, 8, v11
	v_or_b32_e32 v9, v9, v5
	v_xor_b32_e32 v66, v7, v8
	v_and_b32_e32 v7, 0x78, v44
	v_xor_b32_e32 v68, v9, v8
	v_or_b32_e32 v9, 64, v6
	v_or_b32_e32 v6, 0x60, v6
	v_lshl_or_b32 v7, v42, 7, v7
	v_xor_b32_e32 v9, v9, v4
	v_xor_b32_e32 v4, v6, v4
	v_or_b32_e32 v67, 0x9000, v7
	v_or_b32_e32 v9, v9, v5
	;; [unrolled: 1-line block ×4, first 2 shown]
	v_lshrrev_b32_e32 v6, 4, v0
	v_lshlrev_b32_e32 v7, 1, v43
	v_xor_b32_e32 v69, v9, v8
	v_xor_b32_e32 v70, v4, v8
	s_ashr_i32 s3, s2, 31
	v_or_b32_e32 v8, 1, v7
	v_xor_b32_e32 v7, v6, v7
	s_lshl_b64 s[20:21], s[2:3], 8
	v_xor_b32_e32 v8, v8, v6
	v_lshlrev_b32_e32 v7, 3, v7
	v_lshlrev_b32_e32 v6, 8, v6
	v_lshl_add_u64 v[4:5], v[34:35], 1, s[8:9]
	s_add_u32 s20, s18, s20
	v_or3_b32 v35, v7, v6, s22
	v_lshlrev_b32_e32 v7, 3, v8
	s_addc_u32 s21, s19, s21
	v_or3_b32 v72, v7, v6, s22
	v_mov_b32_e32 v7, 0
	v_lshl_add_u64 v[8:9], s[20:21], 0, v[6:7]
	v_lshlrev_b32_e32 v6, 4, v43
	s_movk_i32 s3, 0xff
	v_lshlrev_b32_e32 v15, 3, v41
	v_and_b32_e32 v11, 24, v11
	v_lshl_add_u64 v[36:37], v[8:9], 0, v[6:7]
	v_and_b32_e32 v8, 8, v0
	v_cmp_lt_u32_e32 vcc, s3, v0
	v_xor_b32_e32 v16, v15, v11
	v_or_b32_e32 v17, 0x440, v16
	v_cndmask_b32_e64 v14, 0, 1, vcc
	v_cmp_eq_u32_e32 vcc, 0, v8
	v_and_b32_e32 v6, 7, v0
	v_lshlrev_b32_e32 v9, 3, v6
	v_cndmask_b32_e32 v8, v17, v16, vcc
	v_lshlrev_b32_e32 v6, 7, v6
	v_or_b32_e32 v8, v8, v10
	v_xad_u32 v73, v8, v9, v6
	v_or_b32_e32 v8, 32, v11
	v_xor_b32_e32 v8, v15, v8
	v_or_b32_e32 v16, 0x440, v8
	v_cndmask_b32_e32 v8, v16, v8, vcc
	v_or_b32_e32 v8, v8, v10
	v_xad_u32 v74, v8, v9, v6
	v_or_b32_e32 v8, 64, v11
	v_xor_b32_e32 v8, v15, v8
	v_xor_b32_e32 v16, 0x440, v8
	v_cndmask_b32_e32 v8, v16, v8, vcc
	v_or_b32_e32 v8, v8, v10
	v_xad_u32 v75, v8, v9, v6
	v_or_b32_e32 v8, 0x60, v11
	v_xor_b32_e32 v8, v15, v8
	v_xor_b32_e32 v11, 0x440, v8
	v_cndmask_b32_e32 v8, v11, v8, vcc
	v_or_b32_e32 v8, v8, v10
	v_lshlrev_b32_e32 v12, 1, v3
	v_add_lshl_u32 v3, v3, s15, 1
	v_or_b32_e32 v13, 0x100, v2
	v_lshlrev_b32_e32 v14, 13, v14
	v_xad_u32 v76, v8, v9, v6
	v_lshlrev_b32_e32 v6, 8, v46
	v_cndmask_b32_e64 v77, v12, v2, s[0:1]
	v_cndmask_b32_e64 v78, v3, v13, s[0:1]
	v_lshl_add_u64 v[38:39], v[4:5], 0, v[6:7]
	s_mov_b32 s3, 0x7060302
	s_movk_i32 s22, 0x4000
	v_add_u32_e32 v79, v14, v73
	v_add_u32_e32 v80, v14, v74
	v_add_u32_e32 v81, v14, v75
	v_add_u32_e32 v82, v14, v76
	s_waitcnt lgkmcnt(0)
	s_barrier
.LBB572_32:                             ; =>This Inner Loop Header: Depth=1
	s_add_i32 s31, s35, 1
	s_cmp_lt_i32 s31, s50
	s_mov_b64 s[24:25], 0
	s_cselect_b64 s[40:41], -1, 0
	s_cmp_ge_i32 s31, s50
	s_mov_b64 s[20:21], 0
	s_cbranch_scc1 .LBB572_34
; %bb.33:                               ;   in Loop: Header=BB572_32 Depth=1
	s_add_i32 s0, s59, 64
	s_add_u32 s0, s16, s0
	s_addc_u32 s1, s17, 0
	s_lshl_b64 s[0:1], s[0:1], 8
	s_add_u32 s20, s6, s0
	s_addc_u32 s21, s7, s1
.LBB572_34:                             ;   in Loop: Header=BB572_32 Depth=1
	v_cndmask_b32_e64 v2, 0, 1, s[40:41]
	v_cmp_ne_u32_e64 s[0:1], 1, v2
	s_andn2_b64 vcc, exec, s[40:41]
	s_cbranch_vccnz .LBB572_36
; %bb.35:                               ;   in Loop: Header=BB572_32 Depth=1
	s_add_i32 s24, s59, 64
	s_add_u32 s24, s62, s24
	s_addc_u32 s25, s63, 0
	s_mul_i32 s27, s24, s52
	s_mul_hi_u32 s40, s24, s56
	s_add_i32 s27, s40, s27
	s_mul_i32 s25, s25, s56
	s_add_i32 s27, s27, s25
	s_mul_i32 s24, s24, s56
	s_add_u32 s24, s24, s53
	s_addc_u32 s25, s27, s57
	s_lshl_b64 s[24:25], s[24:25], 8
	s_add_u32 s24, s4, s24
	s_addc_u32 s25, s5, s25
.LBB572_36:                             ;   in Loop: Header=BB572_32 Depth=1
	v_perm_b32 v3, v54, v52, s3
	v_perm_b32 v2, v48, v50, s3
	;; [unrolled: 1-line block ×4, first 2 shown]
	ds_write_b64 v62, v[2:3]
	ds_write_b64 v63, v[4:5]
	;; [unrolled: 1-line block ×4, first 2 shown]
	s_waitcnt lgkmcnt(0)
	s_barrier
	ds_read_b64 v[10:11], v66 offset:16384
	ds_read_b64 v[12:13], v68 offset:16384
	ds_read2st64_b64 v[2:5], v67 offset1:1
	ds_read2st64_b64 v[6:9], v67 offset0:2 offset1:3
	ds_read_b64 v[14:15], v69 offset:16384
	s_waitcnt lgkmcnt(2)
	v_mfma_f32_16x16x16_bf16 a[0:3], v[10:11], v[2:3], 0
	ds_read_b64 v[2:3], v70 offset:16384
	s_add_i32 s27, s59, 63
	s_mul_i32 s40, s27, s29
	v_mfma_f32_16x16x16_bf16 a[0:3], v[12:13], v[4:5], a[0:3]
	s_mul_hi_u32 s41, s27, s28
	s_add_i32 s41, s41, s40
	s_mul_i32 s40, s27, s28
	s_waitcnt lgkmcnt(1)
	v_mfma_f32_16x16x16_bf16 a[0:3], v[14:15], v[6:7], a[0:3]
	s_lshl_b64 s[40:41], s[40:41], 2
	s_add_u32 s40, s38, s40
	s_addc_u32 s41, s39, s41
	s_waitcnt lgkmcnt(0)
	v_mfma_f32_16x16x16_bf16 a[0:3], v[2:3], v[8:9], a[0:3]
	s_and_b64 vcc, exec, s[0:1]
	v_mov_b32_e32 v85, 0
	v_mov_b32_e32 v84, 0
	;; [unrolled: 1-line block ×19, first 2 shown]
	s_cbranch_vccnz .LBB572_38
; %bb.37:                               ;   in Loop: Header=BB572_32 Depth=1
	s_and_b32 s21, s21, 0xffff
	buffer_load_dwordx4 v[14:17], v58, s[20:23], 0 offen
	buffer_load_dwordx4 v[10:13], v58, s[20:23], s58 offen
	;; [unrolled: 1-line block ×4, first 2 shown]
	v_mov_b32_e32 v84, v60
	v_mov_b32_e32 v83, v61
.LBB572_38:                             ;   in Loop: Header=BB572_32 Depth=1
	s_waitcnt vmcnt(3)
	v_add_u32_e32 v24, s59, v46
	s_waitcnt vmcnt(1)
	v_ashrrev_i32_e32 v18, 31, v24
	v_mul_lo_u32 v20, v18, s28
	v_mul_lo_u32 v21, v24, s29
	v_mad_u64_u32 v[18:19], s[20:21], v24, s28, 0
	v_add3_u32 v19, v19, v21, v20
	v_add_u32_e32 v20, 1, v24
	v_ashrrev_i32_e32 v21, 31, v20
	v_mul_lo_u32 v22, v21, s28
	v_mul_lo_u32 v23, v20, s29
	v_mad_u64_u32 v[20:21], s[20:21], v20, s28, 0
	v_add3_u32 v21, v21, v23, v22
	v_add_u32_e32 v22, 2, v24
	v_ashrrev_i32_e32 v23, 31, v22
	v_mul_lo_u32 v25, v23, s28
	v_mul_lo_u32 v26, v22, s29
	v_mad_u64_u32 v[22:23], s[20:21], v22, s28, 0
	v_add_u32_e32 v24, 3, v24
	v_add3_u32 v23, v23, v26, v25
	v_ashrrev_i32_e32 v25, 31, v24
	v_mul_lo_u32 v28, v25, s28
	v_mul_lo_u32 v29, v24, s29
	v_mad_u64_u32 v[24:25], s[20:21], v24, s28, 0
	s_add_u32 s20, s16, s59
	s_addc_u32 s21, s17, 0
	s_lshl_b64 s[20:21], s[20:21], 8
	v_lshl_add_u64 v[18:19], v[18:19], 2, s[38:39]
	v_lshl_add_u64 v[26:27], v[38:39], 0, s[20:21]
	;; [unrolled: 1-line block ×3, first 2 shown]
	global_load_ushort v87, v[26:27], off
	global_load_ushort v96, v[26:27], off offset:256
	global_load_ushort v97, v[26:27], off offset:512
	;; [unrolled: 1-line block ×3, first 2 shown]
	v_add3_u32 v25, v25, v29, v28
	global_load_dword v99, v[18:19], off
	v_lshl_add_u64 v[22:23], v[22:23], 2, s[38:39]
	v_lshl_add_u64 v[18:19], v[24:25], 2, s[38:39]
	global_load_dword v100, v[20:21], off
	global_load_dword v101, v[22:23], off
	;; [unrolled: 1-line block ×3, first 2 shown]
	s_load_dword s20, s[40:41], 0x0
	ds_read2st64_b64 v[26:29], v71 offset1:1
	ds_read2st64_b64 v[88:91], v71 offset0:2 offset1:3
	ds_read_b64 v[30:31], v66 offset:24576
	ds_read_b64 v[32:33], v68 offset:24576
	;; [unrolled: 1-line block ×4, first 2 shown]
	s_waitcnt lgkmcnt(0)
	v_mfma_f32_16x16x16_bf16 a[0:3], v[30:31], v[26:27], a[0:3]
	v_mov_b32_e32 v86, 0
	v_mov_b32_e32 v18, 0
	v_mov_b32_e32 v19, 0
	v_mfma_f32_16x16x16_bf16 a[0:3], v[32:33], v[28:29], a[0:3]
	v_mov_b32_e32 v20, 0
	v_mov_b32_e32 v21, 0
	v_mov_b32_e32 v22, 0
	v_mfma_f32_16x16x16_bf16 a[0:3], v[92:93], v[88:89], a[0:3]
	v_mov_b32_e32 v23, 0
	v_mov_b32_e32 v24, 0
	v_mov_b32_e32 v25, 0
	v_mfma_f32_16x16x16_bf16 a[0:3], v[94:95], v[90:91], a[0:3]
	v_mov_b32_e32 v26, 0
	v_mov_b32_e32 v27, 0
	v_mov_b32_e32 v28, 0
	v_mov_b32_e32 v29, 0
	v_mov_b32_e32 v30, 0
	;; [unrolled: 1-line block ×4, first 2 shown]
	v_accvgpr_read_b32 v91, a1
	v_accvgpr_read_b32 v89, a3
	;; [unrolled: 1-line block ×4, first 2 shown]
	s_and_b64 vcc, exec, s[0:1]
	s_waitcnt vmcnt(7)
	v_lshlrev_b32_e32 v92, 16, v87
	s_waitcnt vmcnt(6)
	v_lshlrev_b32_e32 v93, 16, v96
	;; [unrolled: 2-line block ×4, first 2 shown]
	v_pk_add_f32 v[90:91], v[92:93], v[90:91] neg_lo:[0,1] neg_hi:[0,1]
	s_waitcnt vmcnt(3)
	v_sub_f32_e32 v33, s20, v99
	v_exp_f32_e32 v96, v33
	s_waitcnt vmcnt(2)
	v_sub_f32_e32 v33, s20, v100
	s_waitcnt vmcnt(1)
	v_sub_f32_e32 v87, s20, v101
	;; [unrolled: 2-line block ×3, first 2 shown]
	v_exp_f32_e32 v97, v33
	v_exp_f32_e32 v98, v87
	;; [unrolled: 1-line block ×3, first 2 shown]
	v_pk_add_f32 v[88:89], v[94:95], v[88:89] neg_lo:[0,1] neg_hi:[0,1]
	v_pk_mul_f32 v[90:91], v[96:97], v[90:91]
	v_mov_b32_e32 v33, 0
	v_pk_mul_f32 v[88:89], v[98:99], v[88:89]
	s_nop 0
	v_perm_b32 v89, v89, v88, s3
	v_perm_b32 v88, v91, v90, s3
	ds_write_b64 v63, v[88:89]
	s_cbranch_vccnz .LBB572_40
; %bb.39:                               ;   in Loop: Header=BB572_32 Depth=1
	s_and_b32 s25, s25, 0xffff
	s_mov_b32 s27, s23
	buffer_load_dwordx4 v[30:33], v77, s[24:27], 0 offen
	buffer_load_dwordx4 v[22:25], v77, s[24:27], s58 offen
	;; [unrolled: 1-line block ×4, first 2 shown]
	v_mov_b32_e32 v85, v57
	v_mov_b32_e32 v86, v56
.LBB572_40:                             ;   in Loop: Header=BB572_32 Depth=1
	s_waitcnt lgkmcnt(0)
	s_barrier
	ds_read_b64 v[96:97], v79
	ds_read2st64_b64 v[88:91], v71 offset1:1
	ds_read2st64_b64 v[92:95], v71 offset0:2 offset1:3
	ds_read_b64 v[98:99], v80
	ds_read_b64 v[100:101], v81
	;; [unrolled: 1-line block ×3, first 2 shown]
	s_waitcnt lgkmcnt(4)
	v_mfma_f32_16x16x16_bf16 a[0:3], v[96:97], v[88:89], 0
	ds_read_b64 v[96:97], v73 offset:8192
	ds_read_b64 v[104:105], v74 offset:8192
	s_add_i32 s21, s54, s35
	s_mul_hi_i32 s25, s21, s13
	s_waitcnt lgkmcnt(1)
	v_mfma_f32_16x16x16_bf16 a[4:7], v[96:97], v[88:89], 0
	s_mul_i32 s21, s21, s13
	s_add_u32 s24, s21, s47
	s_addc_u32 s25, s25, s51
	v_mfma_f32_16x16x16_bf16 a[0:3], v[98:99], v[90:91], a[0:3]
	ds_read_b64 v[96:97], v35
	ds_read_b64 v[98:99], v72
	ds_read_b64 v[88:89], v75 offset:8192
	s_lshl_b64 s[24:25], s[24:25], 15
	v_mfma_f32_16x16x16_bf16 a[0:3], v[100:101], v[92:93], a[0:3]
	ds_read_b64 v[100:101], v76 offset:8192
	s_and_b64 vcc, exec, s[0:1]
	s_waitcnt lgkmcnt(4)
	v_mfma_f32_16x16x16_bf16 a[4:7], v[104:105], v[90:91], a[4:7]
	s_waitcnt lgkmcnt(1)
	v_mfma_f32_16x16x16_bf16 a[4:7], v[88:89], v[92:93], a[4:7]
	v_lshl_add_u64 v[88:89], v[36:37], 0, s[24:25]
	global_store_dwordx4 v[88:89], v[96:99], off
	v_mfma_f32_16x16x16_bf16 a[0:3], v[102:103], v[94:95], a[0:3]
	s_waitcnt lgkmcnt(0)
	v_mfma_f32_16x16x16_bf16 a[4:7], v[100:101], v[94:95], a[4:7]
	s_cbranch_vccnz .LBB572_42
; %bb.41:                               ;   in Loop: Header=BB572_32 Depth=1
	v_lshrrev_b32_e32 v87, 3, v85
	v_and_b32_e32 v87, 6, v87
	v_xor_b32_e32 v86, v87, v86
	v_lshlrev_b32_e32 v86, 2, v86
	v_and_b32_e32 v85, 8, v85
	v_xor_b32_e32 v88, 0x440, v86
	v_cmp_eq_u32_e32 vcc, 0, v85
	s_barrier
	s_nop 0
	v_cndmask_b32_e32 v85, v88, v86, vcc
	v_lshl_or_b32 v85, v87, 10, v85
	s_waitcnt vmcnt(2)
	v_perm_b32 v86, v30, v26, s60
	s_waitcnt vmcnt(1)
	v_perm_b32 v87, v22, v18, s60
	ds_write2st64_b32 v85, v86, v87 offset1:32
	v_xor_b32_e32 v86, 8, v85
	v_perm_b32 v26, v30, v26, s61
	v_perm_b32 v18, v22, v18, s61
	v_add_u32_e32 v22, 0x80, v86
	ds_write2st64_b32 v22, v26, v18 offset1:32
	v_xor_b32_e32 v18, 16, v85
	v_perm_b32 v22, v31, v27, s60
	v_perm_b32 v26, v23, v19, s60
	ds_write2st64_b32 v18, v22, v26 offset0:1 offset1:33
	v_xor_b32_e32 v18, 24, v85
	v_perm_b32 v22, v31, v27, s61
	v_perm_b32 v19, v23, v19, s61
	v_add_u32_e32 v18, 0x80, v18
	ds_write2st64_b32 v18, v22, v19 offset0:1 offset1:33
	v_xor_b32_e32 v18, 32, v85
	v_perm_b32 v19, v32, v28, s60
	v_perm_b32 v22, v24, v20, s60
	ds_write2st64_b32 v18, v19, v22 offset0:2 offset1:34
	v_xor_b32_e32 v18, 40, v85
	v_perm_b32 v19, v32, v28, s61
	v_perm_b32 v20, v24, v20, s61
	v_add_u32_e32 v18, 0x80, v18
	ds_write2st64_b32 v18, v19, v20 offset0:2 offset1:34
	;; [unrolled: 9-line block ×3, first 2 shown]
	ds_write_b64 v84, v[14:15] offset:16384
	v_xor_b32_e32 v14, 8, v84
	ds_write_b64 v14, v[16:17] offset:16384
	ds_write_b64 v84, v[10:11] offset:24576
	;; [unrolled: 1-line block ×4, first 2 shown]
	v_xor_b32_e32 v6, 8, v83
	ds_write_b64 v6, v[8:9] offset:16384
	ds_write_b64 v83, v[2:3] offset:24576
	;; [unrolled: 1-line block ×3, first 2 shown]
.LBB572_42:                             ;   in Loop: Header=BB572_32 Depth=1
	v_exp_f32_e32 v4, s20
	s_nop 2
	v_accvgpr_read_b32 v2, a0
	v_accvgpr_read_b32 v3, a1
	s_add_i32 s59, s59, 64
	v_fma_f32 v50, v50, v4, v2
	v_accvgpr_read_b32 v2, a2
	v_fma_f32 v52, v52, v4, v2
	v_accvgpr_read_b32 v2, a4
	;; [unrolled: 2-line block ×6, first 2 shown]
	v_fmac_f32_e32 v3, v54, v4
	s_cmp_eq_u32 s50, s31
	v_fmac_f32_e32 v2, v55, v4
	s_cbranch_scc1 .LBB572_4
; %bb.43:                               ;   in Loop: Header=BB572_32 Depth=1
	s_mov_b32 s35, s31
	v_mov_b32_e32 v54, v3
	v_mov_b32_e32 v55, v2
	s_branch .LBB572_32
.LBB572_44:
                                        ; implicit-def: $vgpr5
                                        ; implicit-def: $vgpr9
                                        ; implicit-def: $vgpr13
                                        ; implicit-def: $vgpr17
	s_cbranch_execz .LBB572_46
; %bb.45:
	s_waitcnt vmcnt(0)
	v_mad_u64_u32 v[2:3], s[0:1], v20, s15, v[18:19]
	v_lshlrev_b32_e32 v20, 1, v2
	s_lshl_b32 s2, s15, 7
	s_and_b32 s1, s5, 0xffff
	s_mov_b32 s3, 0x20000
	s_mov_b32 s0, s4
	v_add_lshl_u32 v21, v2, s15, 1
	s_movk_i32 s13, 0x80
	buffer_load_dwordx4 v[2:5], v20, s[0:3], 0 offen
	buffer_load_dwordx4 v[10:13], v20, s[0:3], s13 offen
	buffer_load_dwordx4 v[6:9], v21, s[0:3], 0 offen
	buffer_load_dwordx4 v[14:17], v21, s[0:3], s13 offen
.LBB572_46:
	v_lshrrev_b32_e32 v38, 2, v40
	s_cbranch_execnz .LBB572_59
.LBB572_47:
	s_and_b64 vcc, exec, s[6:7]
	s_cbranch_vccz .LBB572_57
; %bb.48:
	s_waitcnt vmcnt(0)
	v_lshlrev_b32_e32 v7, 1, v35
	v_cmp_gt_i32_e32 vcc, s27, v7
	v_mov_b32_e32 v6, 0
	v_lshlrev_b32_e32 v14, 9, v35
	v_mov_b32_e32 v2, 0
	v_mov_b32_e32 v3, 0
	;; [unrolled: 1-line block ×4, first 2 shown]
	s_and_saveexec_b64 s[0:1], vcc
	s_cbranch_execz .LBB572_50
; %bb.49:
	v_mov_b32_e32 v15, 0
	v_lshl_add_u64 v[2:3], s[4:5], 0, v[14:15]
	v_lshlrev_b32_e32 v4, 1, v18
	v_mov_b32_e32 v5, v15
	v_lshl_add_u64 v[2:3], v[2:3], 0, v[4:5]
	global_load_dwordx4 v[2:5], v[2:3], off
.LBB572_50:
	s_or_b64 exec, exec, s[0:1]
	v_or_b32_e32 v7, 1, v7
	v_cmp_gt_i32_e64 s[0:1], s27, v7
	v_lshlrev_b32_e32 v20, 8, v7
	v_mov_b32_e32 v7, 0
	v_mov_b32_e32 v8, 0
	;; [unrolled: 1-line block ×3, first 2 shown]
	s_and_saveexec_b64 s[2:3], s[0:1]
	s_cbranch_execz .LBB572_52
; %bb.51:
	v_mov_b32_e32 v21, 0
	v_lshl_add_u64 v[6:7], s[4:5], 0, v[20:21]
	v_lshlrev_b32_e32 v8, 1, v18
	v_mov_b32_e32 v9, v21
	v_lshl_add_u64 v[6:7], v[6:7], 0, v[8:9]
	global_load_dwordx4 v[6:9], v[6:7], off
.LBB572_52:
	s_or_b64 exec, exec, s[2:3]
	v_mov_b32_e32 v17, 0
	v_mov_b32_e32 v10, 0
	;; [unrolled: 1-line block ×5, first 2 shown]
	s_and_saveexec_b64 s[2:3], vcc
	s_cbranch_execz .LBB572_54
; %bb.53:
	v_mov_b32_e32 v15, 0
	v_lshl_add_u64 v[10:11], s[4:5], 0, v[14:15]
	v_lshlrev_b32_e32 v14, 1, v18
	v_lshl_add_u64 v[10:11], v[10:11], 0, v[14:15]
	global_load_dwordx4 v[10:13], v[10:11], off offset:128
.LBB572_54:
	s_or_b64 exec, exec, s[2:3]
	v_mov_b32_e32 v16, 0
	v_mov_b32_e32 v15, 0
	;; [unrolled: 1-line block ×3, first 2 shown]
	s_and_saveexec_b64 s[2:3], s[0:1]
	s_cbranch_execz .LBB572_56
; %bb.55:
	v_mov_b32_e32 v21, 0
	v_lshl_add_u64 v[14:15], s[4:5], 0, v[20:21]
	v_lshlrev_b32_e32 v20, 1, v18
	v_lshl_add_u64 v[14:15], v[14:15], 0, v[20:21]
	global_load_dwordx4 v[14:17], v[14:15], off offset:128
.LBB572_56:
	s_or_b64 exec, exec, s[2:3]
	s_branch .LBB572_59
.LBB572_57:
                                        ; implicit-def: $vgpr5
                                        ; implicit-def: $vgpr9
                                        ; implicit-def: $vgpr13
                                        ; implicit-def: $vgpr17
	s_cbranch_execz .LBB572_59
; %bb.58:
	s_waitcnt vmcnt(0)
	v_lshlrev_b32_e32 v2, 1, v18
	v_lshl_or_b32 v18, v35, 9, v2
	s_and_b32 s5, s5, 0xffff
	s_mov_b32 s7, 0x20000
	s_movk_i32 s6, 0x4000
	s_movk_i32 s0, 0x80
	buffer_load_dwordx4 v[2:5], v18, s[4:7], 0 offen
	buffer_load_dwordx4 v[6:9], v18, s[4:7], 0 offen offset:256
	buffer_load_dwordx4 v[10:13], v18, s[4:7], s0 offen
	buffer_load_dwordx4 v[14:17], v18, s[4:7], s0 offen offset:256
.LBB572_59:
	ds_read2st64_b64 v[22:25], v19 offset0:76 offset1:77
	ds_read2st64_b64 v[18:21], v19 offset0:78 offset1:79
	ds_read_b64 v[30:31], v26 offset:24576
	ds_read_b64 v[32:33], v27 offset:24576
	ds_read_b64 v[28:29], v28 offset:24576
	ds_read_b64 v[26:27], v37 offset:24576
	v_and_b32_e32 v37, 6, v0
	v_xor_b32_e32 v35, v35, v37
	v_lshlrev_b32_e32 v35, 2, v35
	v_and_b32_e32 v0, 1, v0
	v_xor_b32_e32 v39, 0x440, v35
	v_cmp_eq_u32_e32 vcc, 0, v0
	s_mov_b32 s0, 0x1000504
	s_mov_b32 s1, 0x3020706
	v_cndmask_b32_e32 v0, v39, v35, vcc
	v_lshl_or_b32 v0, v37, 10, v0
	s_waitcnt vmcnt(0)
	v_perm_b32 v35, v2, v6, s0
	v_perm_b32 v37, v10, v14, s0
	ds_write2st64_b32 v0, v35, v37 offset1:32
	v_xor_b32_e32 v35, 8, v0
	v_perm_b32 v2, v2, v6, s1
	v_perm_b32 v6, v10, v14, s1
	v_add_u32_e32 v10, 0x80, v35
	ds_write2st64_b32 v10, v2, v6 offset1:32
	v_xor_b32_e32 v2, 16, v0
	v_perm_b32 v6, v3, v7, s0
	v_perm_b32 v10, v11, v15, s0
	ds_write2st64_b32 v2, v6, v10 offset0:1 offset1:33
	v_xor_b32_e32 v2, 24, v0
	v_perm_b32 v3, v3, v7, s1
	v_perm_b32 v6, v11, v15, s1
	v_add_u32_e32 v2, 0x80, v2
	ds_write2st64_b32 v2, v3, v6 offset0:1 offset1:33
	v_xor_b32_e32 v2, 32, v0
	v_perm_b32 v3, v4, v8, s0
	v_perm_b32 v6, v12, v16, s0
	ds_write2st64_b32 v2, v3, v6 offset0:2 offset1:34
	v_xor_b32_e32 v2, 40, v0
	v_perm_b32 v3, v4, v8, s1
	v_perm_b32 v4, v12, v16, s1
	v_add_u32_e32 v2, 0x80, v2
	ds_write2st64_b32 v2, v3, v4 offset0:2 offset1:34
	v_xor_b32_e32 v2, 48, v0
	v_perm_b32 v3, v5, v9, s0
	v_perm_b32 v4, v13, v17, s0
	v_xor_b32_e32 v0, 56, v0
	v_and_or_b32 v6, v38, 12, v1
	ds_write2st64_b32 v2, v3, v4 offset0:3 offset1:35
	v_perm_b32 v2, v5, v9, s1
	v_perm_b32 v3, v13, v17, s1
	v_add_u32_e32 v0, 0x80, v0
	v_cmp_gt_i32_e32 vcc, s27, v6
	v_mov_b32_e32 v7, 0
	v_mov_b32_e32 v11, 0
	ds_write2st64_b32 v0, v2, v3 offset0:3 offset1:35
	s_and_saveexec_b64 s[0:1], vcc
	s_cbranch_execz .LBB572_61
; %bb.60:
	v_add_u32_e32 v0, s26, v6
	v_ashrrev_i32_e32 v1, 31, v0
	v_mul_lo_u32 v2, v1, s28
	v_mul_lo_u32 v3, v0, s29
	v_mad_u64_u32 v[0:1], s[2:3], v0, s28, 0
	v_add3_u32 v1, v1, v3, v2
	v_lshl_add_u64 v[0:1], v[0:1], 2, s[10:11]
	global_load_dword v0, v[0:1], off
	s_waitcnt vmcnt(0)
	v_sub_f32_e32 v0, s12, v0
	v_exp_f32_e32 v11, v0
.LBB572_61:
	s_or_b64 exec, exec, s[0:1]
	v_or_b32_e32 v9, 1, v6
	v_cmp_gt_i32_e64 s[0:1], s27, v9
	s_and_saveexec_b64 s[2:3], s[0:1]
	s_cbranch_execz .LBB572_63
; %bb.62:
	v_add_u32_e32 v0, s26, v9
	v_ashrrev_i32_e32 v1, 31, v0
	v_mul_lo_u32 v2, v1, s28
	v_mul_lo_u32 v3, v0, s29
	v_mad_u64_u32 v[0:1], s[4:5], v0, s28, 0
	v_add3_u32 v1, v1, v3, v2
	v_lshl_add_u64 v[0:1], v[0:1], 2, s[10:11]
	global_load_dword v0, v[0:1], off
	s_waitcnt vmcnt(0)
	v_sub_f32_e32 v0, s12, v0
	v_exp_f32_e32 v7, v0
.LBB572_63:
	s_or_b64 exec, exec, s[2:3]
	v_or_b32_e32 v10, 2, v6
	v_cmp_gt_i32_e64 s[2:3], s27, v10
	v_mov_b32_e32 v8, 0
	v_mov_b32_e32 v13, 0
	s_and_saveexec_b64 s[4:5], s[2:3]
	s_cbranch_execz .LBB572_65
; %bb.64:
	v_add_u32_e32 v0, s26, v10
	v_ashrrev_i32_e32 v1, 31, v0
	v_mul_lo_u32 v2, v1, s28
	v_mul_lo_u32 v3, v0, s29
	v_mad_u64_u32 v[0:1], s[6:7], v0, s28, 0
	v_add3_u32 v1, v1, v3, v2
	v_lshl_add_u64 v[0:1], v[0:1], 2, s[10:11]
	global_load_dword v0, v[0:1], off
	s_waitcnt vmcnt(0)
	v_sub_f32_e32 v0, s12, v0
	v_exp_f32_e32 v13, v0
.LBB572_65:
	s_or_b64 exec, exec, s[4:5]
	v_or_b32_e32 v12, 3, v6
	v_cmp_gt_i32_e64 s[4:5], s27, v12
	s_and_saveexec_b64 s[6:7], s[4:5]
	s_cbranch_execz .LBB572_67
; %bb.66:
	v_add_u32_e32 v0, s26, v12
	v_ashrrev_i32_e32 v1, 31, v0
	v_mul_lo_u32 v2, v1, s28
	v_mul_lo_u32 v3, v0, s29
	v_mad_u64_u32 v[0:1], s[14:15], v0, s28, 0
	v_add3_u32 v1, v1, v3, v2
	v_lshl_add_u64 v[0:1], v[0:1], 2, s[10:11]
	global_load_dword v0, v[0:1], off
	s_waitcnt vmcnt(0)
	v_sub_f32_e32 v0, s12, v0
	v_exp_f32_e32 v8, v0
.LBB572_67:
	s_or_b64 exec, exec, s[6:7]
	s_waitcnt lgkmcnt(11)
	v_mfma_f32_16x16x16_bf16 a[0:3], v[30:31], v[22:23], a[0:3]
	s_add_u32 s6, s8, s20
	v_ashrrev_i32_e32 v35, 31, v34
	s_addc_u32 s7, s9, s21
	s_waitcnt lgkmcnt(10)
	v_mfma_f32_16x16x16_bf16 a[0:3], v[32:33], v[24:25], a[0:3]
	v_mov_b32_e32 v14, 0
	v_lshl_add_u64 v[4:5], v[34:35], 1, s[6:7]
	v_mov_b32_e32 v15, 0
	s_waitcnt lgkmcnt(9)
	v_mfma_f32_16x16x16_bf16 a[0:3], v[28:29], v[18:19], a[0:3]
	s_waitcnt lgkmcnt(8)
	v_mfma_f32_16x16x16_bf16 a[0:3], v[26:27], v[20:21], a[0:3]
	s_nop 6
	v_accvgpr_read_b32 v0, a0
	v_accvgpr_read_b32 v1, a1
	;; [unrolled: 1-line block ×4, first 2 shown]
	s_and_saveexec_b64 s[6:7], vcc
	s_cbranch_execz .LBB572_69
; %bb.68:
	v_lshlrev_b32_e32 v16, 8, v6
	v_mov_b32_e32 v17, 0
	v_lshl_add_u64 v[16:17], v[4:5], 0, v[16:17]
	global_load_ushort v15, v[16:17], off
	s_waitcnt vmcnt(0)
	v_lshlrev_b32_e32 v15, 16, v15
	v_sub_f32_e32 v0, v15, v0
	v_mul_f32_e32 v0, v11, v0
	v_lshrrev_b32_e32 v15, 16, v0
.LBB572_69:
	s_or_b64 exec, exec, s[6:7]
	s_and_saveexec_b64 s[6:7], s[0:1]
	s_cbranch_execz .LBB572_71
; %bb.70:
	v_lshlrev_b32_e32 v16, 8, v9
	v_mov_b32_e32 v17, 0
	v_lshl_add_u64 v[16:17], v[4:5], 0, v[16:17]
	global_load_ushort v0, v[16:17], off
	s_waitcnt vmcnt(0)
	v_lshlrev_b32_e32 v0, 16, v0
	v_sub_f32_e32 v0, v0, v1
	v_mul_f32_e32 v0, v7, v0
	v_lshrrev_b32_e32 v14, 16, v0
.LBB572_71:
	s_or_b64 exec, exec, s[6:7]
	v_mov_b32_e32 v0, 0
	v_mov_b32_e32 v1, 0
	s_and_saveexec_b64 s[0:1], s[2:3]
	s_cbranch_execz .LBB572_73
; %bb.72:
	v_lshlrev_b32_e32 v10, 8, v10
	v_mov_b32_e32 v11, 0
	v_lshl_add_u64 v[10:11], v[4:5], 0, v[10:11]
	global_load_ushort v1, v[10:11], off
	s_waitcnt vmcnt(0)
	v_lshlrev_b32_e32 v1, 16, v1
	v_sub_f32_e32 v1, v1, v2
	v_mul_f32_e32 v1, v13, v1
	v_lshrrev_b32_e32 v1, 16, v1
.LBB572_73:
	s_or_b64 exec, exec, s[0:1]
	s_and_saveexec_b64 s[0:1], s[4:5]
	s_cbranch_execz .LBB572_75
; %bb.74:
	v_lshlrev_b32_e32 v10, 8, v12
	v_mov_b32_e32 v11, 0
	v_lshl_add_u64 v[4:5], v[4:5], 0, v[10:11]
	global_load_ushort v0, v[4:5], off
	s_waitcnt vmcnt(0)
	v_lshlrev_b32_e32 v0, 16, v0
	v_sub_f32_e32 v0, v0, v3
	v_mul_f32_e32 v0, v8, v0
	v_lshrrev_b32_e32 v0, 16, v0
.LBB572_75:
	s_or_b64 exec, exec, s[0:1]
	s_mov_b32 s0, 0x5040100
	v_lshlrev_b32_e32 v2, 1, v36
	v_perm_b32 v1, v0, v1, s0
	v_perm_b32 v0, v14, v15, s0
	v_lshl_or_b32 v2, v6, 5, v2
	ds_write_b64 v2, v[0:1] offset:38912
	s_waitcnt lgkmcnt(0)
	s_barrier
.LBB572_76:
	s_endpgm
	.section	.rodata,"a",@progbits
	.p2align	6, 0x0
	.amdhsa_kernel _ZN12_GLOBAL__N_139chunk_gated_delta_rule_fwd_h_hip_kernelILi16ELb1ELb0ELb0ELb0ELb1ELb0ELb0ELb1EEEvPK12hip_bfloat16S3_S3_PKfS5_PKvPS1_S8_PvPKiSB_iiiiilll
		.amdhsa_group_segment_fixed_size 40960
		.amdhsa_private_segment_fixed_size 0
		.amdhsa_kernarg_size 136
		.amdhsa_user_sgpr_count 2
		.amdhsa_user_sgpr_dispatch_ptr 0
		.amdhsa_user_sgpr_queue_ptr 0
		.amdhsa_user_sgpr_kernarg_segment_ptr 1
		.amdhsa_user_sgpr_dispatch_id 0
		.amdhsa_user_sgpr_kernarg_preload_length 0
		.amdhsa_user_sgpr_kernarg_preload_offset 0
		.amdhsa_user_sgpr_private_segment_size 0
		.amdhsa_uses_dynamic_stack 0
		.amdhsa_enable_private_segment 0
		.amdhsa_system_sgpr_workgroup_id_x 1
		.amdhsa_system_sgpr_workgroup_id_y 1
		.amdhsa_system_sgpr_workgroup_id_z 0
		.amdhsa_system_sgpr_workgroup_info 0
		.amdhsa_system_vgpr_workitem_id 0
		.amdhsa_next_free_vgpr 116
		.amdhsa_next_free_sgpr 64
		.amdhsa_accum_offset 108
		.amdhsa_reserve_vcc 1
		.amdhsa_float_round_mode_32 0
		.amdhsa_float_round_mode_16_64 0
		.amdhsa_float_denorm_mode_32 3
		.amdhsa_float_denorm_mode_16_64 3
		.amdhsa_dx10_clamp 1
		.amdhsa_ieee_mode 1
		.amdhsa_fp16_overflow 0
		.amdhsa_tg_split 0
		.amdhsa_exception_fp_ieee_invalid_op 0
		.amdhsa_exception_fp_denorm_src 0
		.amdhsa_exception_fp_ieee_div_zero 0
		.amdhsa_exception_fp_ieee_overflow 0
		.amdhsa_exception_fp_ieee_underflow 0
		.amdhsa_exception_fp_ieee_inexact 0
		.amdhsa_exception_int_div_zero 0
	.end_amdhsa_kernel
	.section	.text._ZN12_GLOBAL__N_139chunk_gated_delta_rule_fwd_h_hip_kernelILi16ELb1ELb0ELb0ELb0ELb1ELb0ELb0ELb1EEEvPK12hip_bfloat16S3_S3_PKfS5_PKvPS1_S8_PvPKiSB_iiiiilll,"axG",@progbits,_ZN12_GLOBAL__N_139chunk_gated_delta_rule_fwd_h_hip_kernelILi16ELb1ELb0ELb0ELb0ELb1ELb0ELb0ELb1EEEvPK12hip_bfloat16S3_S3_PKfS5_PKvPS1_S8_PvPKiSB_iiiiilll,comdat
.Lfunc_end572:
	.size	_ZN12_GLOBAL__N_139chunk_gated_delta_rule_fwd_h_hip_kernelILi16ELb1ELb0ELb0ELb0ELb1ELb0ELb0ELb1EEEvPK12hip_bfloat16S3_S3_PKfS5_PKvPS1_S8_PvPKiSB_iiiiilll, .Lfunc_end572-_ZN12_GLOBAL__N_139chunk_gated_delta_rule_fwd_h_hip_kernelILi16ELb1ELb0ELb0ELb0ELb1ELb0ELb0ELb1EEEvPK12hip_bfloat16S3_S3_PKfS5_PKvPS1_S8_PvPKiSB_iiiiilll
                                        ; -- End function
	.section	.AMDGPU.csdata,"",@progbits
; Kernel info:
; codeLenInByte = 7160
; NumSgprs: 70
; NumVgprs: 106
; NumAgprs: 8
; TotalNumVgprs: 116
; ScratchSize: 0
; MemoryBound: 0
; FloatMode: 240
; IeeeMode: 1
; LDSByteSize: 40960 bytes/workgroup (compile time only)
; SGPRBlocks: 8
; VGPRBlocks: 14
; NumSGPRsForWavesPerEU: 70
; NumVGPRsForWavesPerEU: 116
; AccumOffset: 108
; Occupancy: 1
; WaveLimiterHint : 1
; COMPUTE_PGM_RSRC2:SCRATCH_EN: 0
; COMPUTE_PGM_RSRC2:USER_SGPR: 2
; COMPUTE_PGM_RSRC2:TRAP_HANDLER: 0
; COMPUTE_PGM_RSRC2:TGID_X_EN: 1
; COMPUTE_PGM_RSRC2:TGID_Y_EN: 1
; COMPUTE_PGM_RSRC2:TGID_Z_EN: 0
; COMPUTE_PGM_RSRC2:TIDIG_COMP_CNT: 0
; COMPUTE_PGM_RSRC3_GFX90A:ACCUM_OFFSET: 26
; COMPUTE_PGM_RSRC3_GFX90A:TG_SPLIT: 0
	.section	.text._ZN12_GLOBAL__N_139chunk_gated_delta_rule_fwd_h_hip_kernelILi16ELb0ELb1ELb1ELb0ELb1ELb0ELb0ELb1EEEvPK12hip_bfloat16S3_S3_PKfS5_PKvPS1_S8_PvPKiSB_iiiiilll,"axG",@progbits,_ZN12_GLOBAL__N_139chunk_gated_delta_rule_fwd_h_hip_kernelILi16ELb0ELb1ELb1ELb0ELb1ELb0ELb0ELb1EEEvPK12hip_bfloat16S3_S3_PKfS5_PKvPS1_S8_PvPKiSB_iiiiilll,comdat
	.globl	_ZN12_GLOBAL__N_139chunk_gated_delta_rule_fwd_h_hip_kernelILi16ELb0ELb1ELb1ELb0ELb1ELb0ELb0ELb1EEEvPK12hip_bfloat16S3_S3_PKfS5_PKvPS1_S8_PvPKiSB_iiiiilll ; -- Begin function _ZN12_GLOBAL__N_139chunk_gated_delta_rule_fwd_h_hip_kernelILi16ELb0ELb1ELb1ELb0ELb1ELb0ELb0ELb1EEEvPK12hip_bfloat16S3_S3_PKfS5_PKvPS1_S8_PvPKiSB_iiiiilll
	.p2align	8
	.type	_ZN12_GLOBAL__N_139chunk_gated_delta_rule_fwd_h_hip_kernelILi16ELb0ELb1ELb1ELb0ELb1ELb0ELb0ELb1EEEvPK12hip_bfloat16S3_S3_PKfS5_PKvPS1_S8_PvPKiSB_iiiiilll,@function
_ZN12_GLOBAL__N_139chunk_gated_delta_rule_fwd_h_hip_kernelILi16ELb0ELb1ELb1ELb0ELb1ELb0ELb0ELb1EEEvPK12hip_bfloat16S3_S3_PKfS5_PKvPS1_S8_PvPKiSB_iiiiilll: ; @_ZN12_GLOBAL__N_139chunk_gated_delta_rule_fwd_h_hip_kernelILi16ELb0ELb1ELb1ELb0ELb1ELb0ELb0ELb1EEEvPK12hip_bfloat16S3_S3_PKfS5_PKvPS1_S8_PvPKiSB_iiiiilll
; %bb.0:
	s_load_dwordx4 s[16:19], s[0:1], 0x5c
	s_load_dwordx4 s[20:23], s[0:1], 0x70
	s_abs_i32 s14, s3
	s_ashr_i32 s13, s3, 31
	s_load_dwordx8 s[4:11], s[0:1], 0x0
	s_waitcnt lgkmcnt(0)
	s_abs_i32 s12, s17
	v_cvt_f32_u32_e32 v1, s12
	s_sub_i32 s24, 0, s12
	s_ashr_i32 s15, s17, 31
	s_xor_b32 s13, s13, s15
	v_rcp_iflag_f32_e32 v1, v1
	v_lshrrev_b32_e32 v48, 6, v0
	v_bfe_u32 v51, v0, 4, 2
	v_lshlrev_b32_e32 v49, 4, v48
	v_mul_f32_e32 v1, 0x4f7ffffe, v1
	v_cvt_u32_f32_e32 v1, v1
	v_lshlrev_b32_e32 v10, 2, v51
	v_and_b32_e32 v50, 63, v0
	v_mov_b32_e32 v9, 0
	v_readfirstlane_b32 s25, v1
	s_mul_i32 s24, s24, s25
	s_mul_hi_u32 s24, s25, s24
	s_add_i32 s25, s25, s24
	s_mul_hi_u32 s24, s14, s25
	s_mul_i32 s25, s24, s12
	s_sub_i32 s14, s14, s25
	s_add_i32 s26, s24, 1
	s_sub_i32 s25, s14, s12
	s_cmp_ge_u32 s14, s12
	s_cselect_b32 s24, s26, s24
	s_cselect_b32 s14, s25, s14
	s_add_i32 s25, s24, 1
	s_cmp_ge_u32 s14, s12
	s_cselect_b32 s14, s25, s24
	s_xor_b32 s14, s14, s13
	s_sub_i32 s49, s14, s13
	s_abs_i32 s13, s18
	v_cvt_f32_u32_e32 v1, s13
	s_add_i32 s24, s16, 63
	s_mul_i32 s47, s49, s17
	s_sub_i32 s33, s3, s47
	v_rcp_iflag_f32_e32 v1, v1
	s_ashr_i32 s3, s24, 31
	s_ashr_i32 s48, s16, 31
	s_lshr_b32 s3, s3, 26
	v_mul_f32_e32 v1, 0x4f7ffffe, v1
	v_cvt_u32_f32_e32 v1, v1
	s_lshr_b32 s14, s48, 26
	s_add_i32 s24, s24, s3
	s_add_i32 s14, s16, s14
	s_ashr_i32 s51, s18, 31
	s_ashr_i32 s3, s24, 6
	;; [unrolled: 1-line block ×3, first 2 shown]
	s_xor_b32 s14, s15, s51
	s_sub_i32 s15, 0, s13
	v_readfirstlane_b32 s24, v1
	s_mul_i32 s15, s15, s24
	s_mul_hi_u32 s15, s24, s15
	s_add_i32 s24, s24, s15
	s_mul_hi_u32 s15, s12, s24
	s_mul_i32 s24, s15, s13
	s_sub_i32 s12, s12, s24
	s_add_i32 s24, s15, 1
	s_sub_i32 s25, s12, s13
	s_cmp_ge_u32 s12, s13
	s_cselect_b32 s15, s24, s15
	s_cselect_b32 s12, s25, s12
	s_add_i32 s24, s15, 1
	s_cmp_ge_u32 s12, s13
	s_cselect_b32 s12, s24, s15
	s_xor_b32 s12, s12, s14
	s_sub_i32 s24, s12, s14
	s_abs_i32 s25, s24
	v_cvt_f32_u32_e32 v1, s25
	s_load_dwordx2 s[34:35], s[0:1], 0x40
	s_load_dwordx4 s[12:15], s[0:1], 0x30
	s_load_dwordx2 s[36:37], s[0:1], 0x80
	s_xor_b32 s0, s33, s24
	s_sub_i32 s24, 0, s25
	v_rcp_iflag_f32_e32 v1, v1
	s_abs_i32 s1, s33
	s_ashr_i32 s0, s0, 31
	s_mul_i32 s52, s49, s3
	v_mul_f32_e32 v1, 0x4f7ffffe, v1
	v_cvt_u32_f32_e32 v1, v1
	v_and_b32_e32 v52, 15, v0
	s_mul_hi_i32 s53, s49, s17
	v_lshrrev_b32_e32 v54, 3, v50
	v_readfirstlane_b32 s26, v1
	s_mul_i32 s24, s24, s26
	s_mul_hi_u32 s24, s26, s24
	s_add_i32 s26, s26, s24
	s_mul_hi_u32 s24, s1, s26
	s_mul_i32 s26, s24, s25
	s_sub_i32 s1, s1, s26
	s_add_i32 s26, s24, 1
	s_sub_i32 s27, s1, s25
	s_cmp_ge_u32 s1, s25
	s_cselect_b32 s24, s26, s24
	s_cselect_b32 s1, s27, s1
	s_add_i32 s26, s24, 1
	s_cmp_ge_u32 s1, s25
	s_cselect_b32 s1, s26, s24
	s_xor_b32 s1, s1, s0
	s_sub_i32 s54, s1, s0
	v_or_b32_e32 v1, v10, v49
	s_lshl_b32 s2, s2, 4
	v_or_b32_e32 v55, 64, v1
	s_cmp_lt_i32 s16, 64
	v_lshlrev_b32_e32 v53, 3, v0
	s_mul_i32 s21, s49, s21
	s_mul_hi_u32 s46, s49, s20
	s_mul_i32 s38, s49, s20
	v_mov_b32_e32 v8, v9
	v_mov_b32_e32 v7, v9
	;; [unrolled: 1-line block ×7, first 2 shown]
	s_cbranch_scc1 .LBB573_18
; %bb.1:
	s_ashr_i32 s3, s49, 31
	s_ashr_i32 s56, s33, 31
	s_add_u32 s0, s47, s33
	s_addc_u32 s1, s53, s56
	s_mul_i32 s1, s16, s1
	s_mul_hi_u32 s24, s16, s0
	s_add_i32 s41, s24, s1
	s_mul_i32 s40, s16, s0
	s_lshl_b64 s[0:1], s[40:41], 8
	v_and_b32_e32 v57, 56, v53
	s_add_u32 s24, s6, s0
	v_lshl_or_b32 v56, v48, 3, v54
	v_lshlrev_b32_e32 v3, 1, v57
	s_addc_u32 s0, s7, s1
	v_lshl_or_b32 v58, v56, 8, v3
	s_and_b32 s25, s0, 0xffff
	s_mov_b32 s27, 0x20000
	s_movk_i32 s26, 0x4000
	s_movk_i32 s0, 0x80
	v_or_b32_e32 v59, 0x2000, v58
	buffer_load_dwordx4 v[4:7], v58, s[24:27], 0 offen
	buffer_load_dwordx4 v[12:15], v58, s[24:27], s0 offen
	;; [unrolled: 1-line block ×4, first 2 shown]
	v_lshlrev_b32_e32 v2, 3, v56
	v_and_or_b32 v9, v0, 7, v2
	v_and_b32_e32 v2, 0x78, v2
	v_lshlrev_b32_e32 v9, 4, v9
	v_xor_b32_e32 v60, v9, v2
	v_mul_lo_u32 v8, v56, s19
	v_or_b32_e32 v61, 0x1000, v60
	v_xor_b32_e32 v2, 8, v60
	s_cmpk_eq_i32 s19, 0x80
	s_mov_b32 s55, s18
	v_xor_b32_e32 v9, 8, v61
	s_cselect_b64 s[0:1], -1, 0
	s_cmpk_lg_i32 s19, 0x80
	s_waitcnt vmcnt(3)
	ds_write_b64 v60, v[4:5] offset:16384
	ds_write_b64 v2, v[6:7] offset:16384
	s_waitcnt vmcnt(2)
	ds_write_b64 v60, v[12:13] offset:24576
	ds_write_b64 v2, v[14:15] offset:24576
	;; [unrolled: 3-line block ×4, first 2 shown]
	v_lshl_add_u32 v2, v8, 1, v57
	s_cbranch_scc0 .LBB573_3
; %bb.2:
	v_lshlrev_b32_e32 v6, 1, v2
	v_add_lshl_u32 v5, v2, s19, 1
	s_lshl_b32 s26, s19, 7
	v_lshl_or_b32 v4, v56, 9, v3
	s_cbranch_execz .LBB573_4
	s_branch .LBB573_5
.LBB573_3:
                                        ; implicit-def: $vgpr5
                                        ; implicit-def: $vgpr6
                                        ; implicit-def: $sgpr26
	v_lshl_or_b32 v4, v56, 9, v3
.LBB573_4:
	v_or_b32_e32 v5, 0x100, v4
	s_movk_i32 s26, 0x4000
	v_mov_b32_e32 v6, v4
.LBB573_5:
	s_mul_hi_u32 s24, s18, s16
	s_mul_i32 s25, s51, s16
	s_add_i32 s24, s24, s25
	s_mul_i32 s25, s18, s16
	s_mul_i32 s27, s25, s3
	s_mul_hi_u32 s28, s25, s49
	s_add_i32 s27, s28, s27
	s_mul_i32 s24, s24, s49
	s_add_i32 s27, s27, s24
	s_mul_i32 s25, s25, s49
	s_ashr_i32 s57, s54, 31
	s_add_u32 s24, s25, s54
	s_addc_u32 s25, s27, s57
	s_lshl_b64 s[24:25], s[24:25], 8
	s_add_u32 s24, s4, s24
	s_addc_u32 s25, s5, s25
	s_and_b32 s25, s25, 0xffff
	s_mov_b32 s27, 0x20000
	s_movk_i32 s58, 0x80
	buffer_load_dwordx4 v[12:15], v6, s[24:27], 0 offen
	buffer_load_dwordx4 v[16:19], v6, s[24:27], s58 offen
	;; [unrolled: 1-line block ×4, first 2 shown]
	v_and_b32_e32 v3, 6, v0
	s_mul_i32 s24, s3, s16
	s_mul_hi_u32 s25, s49, s16
	v_lshlrev_b32_e32 v6, 2, v52
	v_lshlrev_b32_e32 v7, 3, v52
	v_xor_b32_e32 v9, v56, v3
	v_and_b32_e32 v5, 1, v0
	s_mul_i32 s3, s3, s20
	v_lshl_or_b32 v7, v1, 5, v7
	v_xor_b32_e32 v11, v1, v6
	v_lshlrev_b32_e32 v9, 2, v9
	s_add_i32 s63, s25, s24
	s_add_i32 s24, s46, s21
	v_or_b32_e32 v62, 0x9000, v7
	v_or_b32_e32 v63, 0x9800, v7
	v_lshlrev_b32_e32 v7, 1, v11
	v_xor_b32_e32 v11, 0x440, v9
	v_cmp_eq_u32_e32 vcc, 0, v5
	s_add_i32 s39, s24, s3
	s_mul_i32 s3, s33, s23
	s_mul_hi_u32 s24, s33, s22
	v_cndmask_b32_e32 v5, v11, v9, vcc
	s_add_i32 s3, s24, s3
	s_mul_i32 s24, s56, s22
	s_mov_b32 s60, 0x1000504
	v_lshlrev_b32_e32 v8, 8, v52
	s_mov_b32 s26, 0x8000
	v_xor_b32_e32 v6, v55, v6
	v_lshl_or_b32 v3, v3, 10, v5
	s_add_i32 s25, s3, s24
	s_lshl_b64 s[28:29], s[38:39], 2
	s_mov_b32 s61, 0x3020706
	v_lshlrev_b32_e32 v6, 1, v6
	v_or3_b32 v64, v7, v8, s26
	v_xor_b32_e32 v5, 8, v3
	v_xor_b32_e32 v7, 24, v3
	;; [unrolled: 1-line block ×4, first 2 shown]
	s_mul_i32 s24, s33, s22
	s_add_u32 s3, s10, s28
	v_or3_b32 v65, v6, v8, s26
	v_xor_b32_e32 v6, 16, v3
	v_xor_b32_e32 v8, 32, v3
	;; [unrolled: 1-line block ×3, first 2 shown]
	v_add_u32_e32 v5, 0x80, v5
	v_add_u32_e32 v7, 0x80, v7
	;; [unrolled: 1-line block ×4, first 2 shown]
	s_addc_u32 s28, s11, s29
	s_lshl_b64 s[24:25], s[24:25], 2
	s_add_u32 s42, s3, s24
	s_movk_i32 s3, 0xf8
	s_addc_u32 s43, s28, s25
	s_lshl_b32 s30, s19, 7
	s_mov_b32 s59, 0
	s_mul_i32 s62, s49, s16
	v_add_u32_e32 v80, v49, v10
	s_mov_b32 s64, 0
	s_waitcnt vmcnt(1)
	v_perm_b32 v29, v12, v20, s60
	s_waitcnt vmcnt(0)
	v_perm_b32 v30, v16, v24, s60
	v_perm_b32 v12, v12, v20, s61
	v_perm_b32 v16, v16, v24, s61
	v_perm_b32 v20, v13, v21, s60
	v_perm_b32 v24, v17, v25, s60
	v_perm_b32 v13, v13, v21, s61
	v_perm_b32 v17, v17, v25, s61
	v_perm_b32 v21, v14, v22, s60
	v_perm_b32 v25, v18, v26, s60
	v_perm_b32 v14, v14, v22, s61
	v_perm_b32 v18, v18, v26, s61
	v_perm_b32 v22, v15, v23, s60
	v_perm_b32 v26, v19, v27, s60
	v_perm_b32 v15, v15, v23, s61
	v_perm_b32 v19, v19, v27, s61
	ds_write2st64_b32 v3, v29, v30 offset1:32
	ds_write2st64_b32 v5, v12, v16 offset1:32
	ds_write2st64_b32 v6, v20, v24 offset0:1 offset1:33
	ds_write2st64_b32 v7, v13, v17 offset0:1 offset1:33
	;; [unrolled: 1-line block ×6, first 2 shown]
	v_or_b32_e32 v3, v49, v52
	v_lshlrev_b32_e32 v3, 3, v3
	v_lshrrev_b32_e32 v7, 5, v50
	v_and_or_b32 v7, v3, s3, v7
	v_lshlrev_b32_e32 v7, 4, v7
	v_lshlrev_b32_e32 v5, 11, v48
	v_and_b32_e32 v3, 0x78, v3
	v_or_b32_e32 v12, 32, v7
	v_and_b32_e32 v6, 0x1000, v5
	v_lshrrev_b32_e32 v11, 1, v0
	v_xor_b32_e32 v12, v12, v3
	v_and_b32_e32 v9, 8, v11
	v_or_b32_e32 v12, v12, v6
	v_xor_b32_e32 v8, v7, v3
	v_xor_b32_e32 v68, v12, v9
	v_or_b32_e32 v12, 64, v7
	v_or_b32_e32 v7, 0x60, v7
	v_xor_b32_e32 v12, v12, v3
	v_xor_b32_e32 v3, v7, v3
	v_or_b32_e32 v3, v3, v6
	v_or_b32_e32 v12, v12, v6
	v_xor_b32_e32 v70, v3, v9
	v_lshlrev_b32_e32 v14, 1, v2
	v_add_lshl_u32 v15, v2, s19, 1
	v_lshrrev_b32_e32 v2, 4, v0
	v_lshlrev_b32_e32 v3, 1, v52
	v_xor_b32_e32 v69, v12, v9
	s_ashr_i32 s3, s2, 31
	v_or_b32_e32 v12, 1, v3
	v_xor_b32_e32 v3, v2, v3
	s_lshl_b64 s[24:25], s[2:3], 8
	v_xor_b32_e32 v12, v12, v2
	v_lshlrev_b32_e32 v3, 3, v3
	v_lshlrev_b32_e32 v2, 8, v2
	s_waitcnt lgkmcnt(0)
	s_add_u32 s24, s12, s24
	v_or3_b32 v72, v3, v2, s26
	v_lshlrev_b32_e32 v3, 3, v12
	s_addc_u32 s25, s13, s25
	v_or3_b32 v73, v3, v2, s26
	v_mov_b32_e32 v3, 0
	v_lshl_add_u64 v[12:13], s[24:25], 0, v[2:3]
	v_lshlrev_b32_e32 v2, 4, v52
	s_movk_i32 s3, 0xff
	v_lshlrev_b32_e32 v18, 3, v48
	v_and_b32_e32 v11, 24, v11
	v_lshl_add_u64 v[42:43], v[12:13], 0, v[2:3]
	v_and_b32_e32 v12, 8, v0
	v_cmp_lt_u32_e32 vcc, s3, v0
	v_xor_b32_e32 v19, v18, v11
	v_or_b32_e32 v20, 0x440, v19
	v_cndmask_b32_e64 v17, 0, 1, vcc
	v_cmp_eq_u32_e32 vcc, 0, v12
	v_and_b32_e32 v2, 7, v0
	v_lshlrev_b32_e32 v13, 3, v2
	v_cndmask_b32_e32 v12, v20, v19, vcc
	v_lshlrev_b32_e32 v2, 7, v2
	v_or_b32_e32 v12, v12, v5
	v_xad_u32 v74, v12, v13, v2
	v_or_b32_e32 v12, 32, v11
	v_xor_b32_e32 v12, v18, v12
	v_or_b32_e32 v19, 0x440, v12
	v_cndmask_b32_e32 v12, v19, v12, vcc
	v_or_b32_e32 v12, v12, v5
	v_xad_u32 v75, v12, v13, v2
	v_or_b32_e32 v12, 64, v11
	v_xor_b32_e32 v12, v18, v12
	v_xor_b32_e32 v19, 0x440, v12
	v_cndmask_b32_e32 v12, v19, v12, vcc
	v_or_b32_e32 v11, 0x60, v11
	v_or_b32_e32 v12, v12, v5
	v_xor_b32_e32 v11, v18, v11
	v_or_b32_e32 v8, v8, v6
	v_or_b32_e32 v6, s2, v52
	v_xad_u32 v76, v12, v13, v2
	v_xor_b32_e32 v12, 0x440, v11
	v_xor_b32_e32 v66, v8, v9
	v_and_b32_e32 v8, 0x78, v53
	v_ashrrev_i32_e32 v7, 31, v6
	v_cndmask_b32_e32 v11, v12, v11, vcc
	v_lshl_or_b32 v8, v51, 7, v8
	v_lshlrev_b64 v[6:7], 1, v[6:7]
	v_or_b32_e32 v5, v11, v5
	v_or_b32_e32 v67, 0x9000, v8
	;; [unrolled: 1-line block ×3, first 2 shown]
	v_lshl_add_u64 v[8:9], s[8:9], 0, v[6:7]
	v_lshl_add_u64 v[6:7], s[14:15], 0, v[6:7]
	v_or_b32_e32 v16, 0x100, v4
	v_lshlrev_b32_e32 v17, 13, v17
	v_xad_u32 v77, v5, v13, v2
	v_lshlrev_b32_e32 v2, 8, v1
	v_cndmask_b32_e64 v78, v14, v4, s[0:1]
	v_cndmask_b32_e64 v79, v15, v16, s[0:1]
	v_lshl_add_u64 v[44:45], v[8:9], 0, v[2:3]
	v_lshl_add_u64 v[46:47], v[6:7], 0, v[2:3]
	s_mov_b32 s3, 0x7060302
	s_movk_i32 s26, 0x4000
	v_add_u32_e32 v81, v17, v74
	v_add_u32_e32 v82, v17, v75
	;; [unrolled: 1-line block ×4, first 2 shown]
	v_mov_b32_e32 v2, v3
	v_mov_b32_e32 v4, v3
	;; [unrolled: 1-line block ×7, first 2 shown]
	s_barrier
.LBB573_6:                              ; =>This Inner Loop Header: Depth=1
	s_add_i32 s39, s64, 1
	s_cmp_lt_i32 s39, s50
	s_mov_b64 s[28:29], 0
	s_cselect_b64 s[44:45], -1, 0
	s_cmp_ge_i32 s39, s50
	s_mov_b64 s[24:25], 0
	s_cbranch_scc1 .LBB573_8
; %bb.7:                                ;   in Loop: Header=BB573_6 Depth=1
	s_add_i32 s0, s59, 64
	s_add_u32 s0, s40, s0
	s_addc_u32 s1, s41, 0
	s_lshl_b64 s[0:1], s[0:1], 8
	s_add_u32 s24, s6, s0
	s_addc_u32 s25, s7, s1
.LBB573_8:                              ;   in Loop: Header=BB573_6 Depth=1
	v_cndmask_b32_e64 v5, 0, 1, s[44:45]
	v_cmp_ne_u32_e64 s[0:1], 1, v5
	s_andn2_b64 vcc, exec, s[44:45]
	s_cbranch_vccnz .LBB573_10
; %bb.9:                                ;   in Loop: Header=BB573_6 Depth=1
	s_add_i32 s28, s59, 64
	s_add_u32 s28, s62, s28
	s_addc_u32 s29, s63, 0
	s_mul_i32 s31, s28, s51
	s_mul_hi_u32 s44, s28, s55
	s_add_i32 s31, s44, s31
	s_mul_i32 s29, s29, s55
	s_add_i32 s31, s31, s29
	s_mul_i32 s28, s28, s55
	s_add_u32 s28, s28, s54
	s_addc_u32 s29, s31, s57
	s_lshl_b64 s[28:29], s[28:29], 8
	s_add_u32 s28, s4, s28
	s_addc_u32 s29, s5, s29
.LBB573_10:                             ;   in Loop: Header=BB573_6 Depth=1
	v_perm_b32 v11, v86, v4, s3
	v_perm_b32 v10, v3, v2, s3
	;; [unrolled: 1-line block ×4, first 2 shown]
	ds_write_b64 v62, v[10:11]
	ds_write_b64 v63, v[12:13]
	;; [unrolled: 1-line block ×4, first 2 shown]
	s_waitcnt lgkmcnt(0)
	s_barrier
	ds_read_b64 v[18:19], v66 offset:16384
	ds_read_b64 v[20:21], v68 offset:16384
	ds_read2st64_b64 v[10:13], v67 offset1:1
	ds_read2st64_b64 v[14:17], v67 offset0:2 offset1:3
	ds_read_b64 v[22:23], v69 offset:16384
	s_waitcnt lgkmcnt(2)
	v_mfma_f32_16x16x16_bf16 a[0:3], v[18:19], v[10:11], 0
	ds_read_b64 v[10:11], v70 offset:16384
	s_add_i32 s31, s59, 63
	s_mul_i32 s44, s31, s37
	v_mfma_f32_16x16x16_bf16 a[0:3], v[20:21], v[12:13], a[0:3]
	s_mul_hi_u32 s45, s31, s36
	s_add_i32 s45, s45, s44
	s_mul_i32 s44, s31, s36
	s_waitcnt lgkmcnt(1)
	v_mfma_f32_16x16x16_bf16 a[0:3], v[22:23], v[14:15], a[0:3]
	s_lshl_b64 s[44:45], s[44:45], 2
	s_add_u32 s44, s42, s44
	s_addc_u32 s45, s43, s45
	s_waitcnt lgkmcnt(0)
	v_mfma_f32_16x16x16_bf16 a[0:3], v[10:11], v[16:17], a[0:3]
	s_and_b64 vcc, exec, s[0:1]
	v_mov_b32_e32 v87, 0
	v_mov_b32_e32 v9, 0
	;; [unrolled: 1-line block ×19, first 2 shown]
	s_cbranch_vccnz .LBB573_12
; %bb.11:                               ;   in Loop: Header=BB573_6 Depth=1
	s_and_b32 s25, s25, 0xffff
	buffer_load_dwordx4 v[22:25], v58, s[24:27], 0 offen
	buffer_load_dwordx4 v[18:21], v58, s[24:27], s58 offen
	;; [unrolled: 1-line block ×4, first 2 shown]
	v_mov_b32_e32 v9, v60
	v_mov_b32_e32 v5, v61
.LBB573_12:                             ;   in Loop: Header=BB573_6 Depth=1
	s_waitcnt vmcnt(3)
	v_add_u32_e32 v32, s59, v80
	s_waitcnt vmcnt(1)
	v_ashrrev_i32_e32 v26, 31, v32
	v_mul_lo_u32 v28, v26, s36
	v_mul_lo_u32 v29, v32, s37
	v_mad_u64_u32 v[26:27], s[24:25], v32, s36, 0
	v_add3_u32 v27, v27, v29, v28
	v_add_u32_e32 v28, 1, v32
	v_ashrrev_i32_e32 v29, 31, v28
	v_mul_lo_u32 v30, v29, s36
	v_mul_lo_u32 v31, v28, s37
	v_mad_u64_u32 v[28:29], s[24:25], v28, s36, 0
	v_add3_u32 v29, v29, v31, v30
	v_add_u32_e32 v30, 2, v32
	v_ashrrev_i32_e32 v31, 31, v30
	v_mul_lo_u32 v33, v31, s36
	v_mul_lo_u32 v34, v30, s37
	v_mad_u64_u32 v[30:31], s[24:25], v30, s36, 0
	s_add_u32 s24, s40, s59
	v_add3_u32 v31, v31, v34, v33
	v_add_u32_e32 v34, 3, v32
	s_addc_u32 s25, s41, 0
	v_ashrrev_i32_e32 v32, 31, v34
	s_lshl_b64 s[66:67], s[24:25], 8
	v_lshl_add_u64 v[26:27], v[26:27], 2, s[42:43]
	v_mul_lo_u32 v35, v32, s36
	v_lshl_add_u64 v[32:33], v[44:45], 0, s[66:67]
	v_mul_lo_u32 v36, v34, s37
	global_load_ushort v89, v[32:33], off
	global_load_ushort v94, v[32:33], off offset:256
	global_load_ushort v95, v[32:33], off offset:512
	;; [unrolled: 1-line block ×3, first 2 shown]
	global_load_dword v97, v[26:27], off
	v_mad_u64_u32 v[26:27], s[24:25], v34, s36, 0
	v_lshl_add_u64 v[28:29], v[28:29], 2, s[42:43]
	v_add3_u32 v27, v27, v36, v35
	v_lshl_add_u64 v[30:31], v[30:31], 2, s[42:43]
	v_lshl_add_u64 v[26:27], v[26:27], 2, s[42:43]
	global_load_dword v98, v[28:29], off
	global_load_dword v99, v[30:31], off
	;; [unrolled: 1-line block ×3, first 2 shown]
	s_load_dword s24, s[44:45], 0x0
	ds_read_b64 v[34:35], v66 offset:24576
	ds_read2st64_b64 v[30:33], v71 offset1:1
	ds_read2st64_b64 v[36:39], v71 offset0:2 offset1:3
	ds_read_b64 v[40:41], v68 offset:24576
	ds_read_b64 v[90:91], v69 offset:24576
	;; [unrolled: 1-line block ×3, first 2 shown]
	s_waitcnt lgkmcnt(0)
	v_mfma_f32_16x16x16_bf16 a[0:3], v[34:35], v[30:31], a[0:3]
	v_mov_b32_e32 v88, 0
	v_mov_b32_e32 v26, 0
	;; [unrolled: 1-line block ×3, first 2 shown]
	v_mfma_f32_16x16x16_bf16 a[0:3], v[40:41], v[32:33], a[0:3]
	v_mov_b32_e32 v28, 0
	v_mov_b32_e32 v29, 0
	;; [unrolled: 1-line block ×3, first 2 shown]
	v_mfma_f32_16x16x16_bf16 a[0:3], v[90:91], v[36:37], a[0:3]
	v_lshl_add_u64 v[36:37], v[46:47], 0, s[66:67]
	v_mov_b32_e32 v31, 0
	v_mov_b32_e32 v32, 0
	v_mfma_f32_16x16x16_bf16 a[0:3], v[92:93], v[38:39], a[0:3]
	v_mov_b32_e32 v33, 0
	v_mov_b32_e32 v34, 0
	;; [unrolled: 1-line block ×3, first 2 shown]
	s_and_b64 vcc, exec, s[0:1]
	s_waitcnt vmcnt(7)
	v_lshlrev_b32_e32 v90, 16, v89
	s_nop 0
	v_accvgpr_read_b32 v41, a1
	v_accvgpr_read_b32 v39, a3
	;; [unrolled: 1-line block ×4, first 2 shown]
	s_waitcnt vmcnt(6)
	v_lshlrev_b32_e32 v91, 16, v94
	s_waitcnt vmcnt(4)
	v_lshlrev_b32_e32 v93, 16, v96
	v_lshlrev_b32_e32 v92, 16, v95
	s_waitcnt vmcnt(3)
	v_sub_f32_e32 v89, s24, v97
	v_pk_add_f32 v[40:41], v[90:91], v[40:41] neg_lo:[0,1] neg_hi:[0,1]
	v_pk_add_f32 v[38:39], v[92:93], v[38:39] neg_lo:[0,1] neg_hi:[0,1]
	v_exp_f32_e32 v90, v89
	s_waitcnt vmcnt(2)
	v_sub_f32_e32 v89, s24, v98
	s_waitcnt vmcnt(1)
	v_sub_f32_e32 v92, s24, v99
	;; [unrolled: 2-line block ×3, first 2 shown]
	v_exp_f32_e32 v91, v89
	v_exp_f32_e32 v92, v92
	v_exp_f32_e32 v93, v93
	global_store_short_d16_hi v[36:37], v40, off
	global_store_short_d16_hi v[36:37], v41, off offset:256
	global_store_short_d16_hi v[36:37], v38, off offset:512
	;; [unrolled: 1-line block ×3, first 2 shown]
	v_pk_mul_f32 v[36:37], v[90:91], v[40:41]
	v_pk_mul_f32 v[38:39], v[92:93], v[38:39]
	v_perm_b32 v36, v37, v36, s3
	v_perm_b32 v37, v39, v38, s3
	ds_write_b64 v63, v[36:37]
	v_mov_b32_e32 v36, 0
	v_mov_b32_e32 v37, 0
	;; [unrolled: 1-line block ×6, first 2 shown]
	s_cbranch_vccnz .LBB573_14
; %bb.13:                               ;   in Loop: Header=BB573_6 Depth=1
	s_and_b32 s29, s29, 0xffff
	s_mov_b32 s31, s27
	buffer_load_dwordx4 v[38:41], v78, s[28:31], 0 offen
	buffer_load_dwordx4 v[30:33], v78, s[28:31], s58 offen
	buffer_load_dwordx4 v[34:37], v79, s[28:31], 0 offen
	buffer_load_dwordx4 v[26:29], v79, s[28:31], s58 offen
	v_mov_b32_e32 v87, v57
	v_mov_b32_e32 v88, v56
.LBB573_14:                             ;   in Loop: Header=BB573_6 Depth=1
	s_waitcnt lgkmcnt(0)
	s_barrier
	ds_read_b64 v[98:99], v81
	ds_read2st64_b64 v[90:93], v71 offset1:1
	ds_read2st64_b64 v[94:97], v71 offset0:2 offset1:3
	ds_read_b64 v[100:101], v82
	ds_read_b64 v[102:103], v83
	;; [unrolled: 1-line block ×3, first 2 shown]
	s_waitcnt lgkmcnt(4)
	v_mfma_f32_16x16x16_bf16 a[0:3], v[98:99], v[90:91], 0
	ds_read_b64 v[98:99], v74 offset:8192
	ds_read_b64 v[106:107], v75 offset:8192
	s_add_i32 s25, s52, s64
	s_mul_hi_i32 s29, s25, s17
	s_waitcnt lgkmcnt(1)
	v_mfma_f32_16x16x16_bf16 a[4:7], v[98:99], v[90:91], 0
	s_mul_i32 s25, s25, s17
	s_add_u32 s28, s25, s33
	s_addc_u32 s29, s29, s56
	v_mfma_f32_16x16x16_bf16 a[0:3], v[100:101], v[92:93], a[0:3]
	ds_read_b64 v[98:99], v72
	ds_read_b64 v[100:101], v73
	ds_read_b64 v[90:91], v76 offset:8192
	s_lshl_b64 s[28:29], s[28:29], 15
	v_mfma_f32_16x16x16_bf16 a[0:3], v[102:103], v[94:95], a[0:3]
	ds_read_b64 v[102:103], v77 offset:8192
	s_and_b64 vcc, exec, s[0:1]
	s_waitcnt lgkmcnt(4)
	v_mfma_f32_16x16x16_bf16 a[4:7], v[106:107], v[92:93], a[4:7]
	s_waitcnt lgkmcnt(1)
	v_mfma_f32_16x16x16_bf16 a[4:7], v[90:91], v[94:95], a[4:7]
	v_lshl_add_u64 v[90:91], v[42:43], 0, s[28:29]
	global_store_dwordx4 v[90:91], v[98:101], off
	v_mfma_f32_16x16x16_bf16 a[0:3], v[104:105], v[96:97], a[0:3]
	s_waitcnt lgkmcnt(0)
	v_mfma_f32_16x16x16_bf16 a[4:7], v[102:103], v[96:97], a[4:7]
	s_cbranch_vccnz .LBB573_16
; %bb.15:                               ;   in Loop: Header=BB573_6 Depth=1
	v_lshrrev_b32_e32 v89, 3, v87
	v_and_b32_e32 v89, 6, v89
	v_xor_b32_e32 v88, v89, v88
	v_lshlrev_b32_e32 v88, 2, v88
	v_and_b32_e32 v87, 8, v87
	v_xor_b32_e32 v90, 0x440, v88
	v_cmp_eq_u32_e32 vcc, 0, v87
	s_barrier
	s_nop 0
	v_cndmask_b32_e32 v87, v90, v88, vcc
	v_lshl_or_b32 v87, v89, 10, v87
	s_waitcnt vmcnt(2)
	v_perm_b32 v88, v38, v34, s60
	s_waitcnt vmcnt(1)
	v_perm_b32 v89, v30, v26, s60
	ds_write2st64_b32 v87, v88, v89 offset1:32
	v_xor_b32_e32 v88, 8, v87
	v_perm_b32 v34, v38, v34, s61
	v_perm_b32 v26, v30, v26, s61
	v_add_u32_e32 v30, 0x80, v88
	ds_write2st64_b32 v30, v34, v26 offset1:32
	v_xor_b32_e32 v26, 16, v87
	v_perm_b32 v30, v39, v35, s60
	v_perm_b32 v34, v31, v27, s60
	ds_write2st64_b32 v26, v30, v34 offset0:1 offset1:33
	v_xor_b32_e32 v26, 24, v87
	v_perm_b32 v30, v39, v35, s61
	v_perm_b32 v27, v31, v27, s61
	v_add_u32_e32 v26, 0x80, v26
	ds_write2st64_b32 v26, v30, v27 offset0:1 offset1:33
	v_xor_b32_e32 v26, 32, v87
	v_perm_b32 v27, v40, v36, s60
	v_perm_b32 v30, v32, v28, s60
	ds_write2st64_b32 v26, v27, v30 offset0:2 offset1:34
	v_xor_b32_e32 v26, 40, v87
	v_perm_b32 v27, v40, v36, s61
	v_perm_b32 v28, v32, v28, s61
	v_add_u32_e32 v26, 0x80, v26
	ds_write2st64_b32 v26, v27, v28 offset0:2 offset1:34
	;; [unrolled: 9-line block ×3, first 2 shown]
	ds_write_b64 v9, v[22:23] offset:16384
	v_xor_b32_e32 v22, 8, v9
	ds_write_b64 v22, v[24:25] offset:16384
	ds_write_b64 v9, v[18:19] offset:24576
	;; [unrolled: 1-line block ×4, first 2 shown]
	v_xor_b32_e32 v9, 8, v5
	ds_write_b64 v9, v[16:17] offset:16384
	ds_write_b64 v5, v[10:11] offset:24576
	ds_write_b64 v9, v[12:13] offset:24576
.LBB573_16:                             ;   in Loop: Header=BB573_6 Depth=1
	v_exp_f32_e32 v10, s24
	s_nop 2
	v_accvgpr_read_b32 v9, a1
	v_accvgpr_read_b32 v5, a0
	s_add_i32 s59, s59, 64
	v_fma_f32 v3, v3, v10, v9
	v_accvgpr_read_b32 v9, a4
	v_fma_f32 v6, v6, v10, v9
	v_accvgpr_read_b32 v9, a5
	;; [unrolled: 2-line block ×6, first 2 shown]
	v_fmac_f32_e32 v5, v86, v10
	s_cmp_eq_u32 s50, s39
	v_fmac_f32_e32 v9, v85, v10
	s_cbranch_scc1 .LBB573_18
; %bb.17:                               ;   in Loop: Header=BB573_6 Depth=1
	s_mov_b32 s64, s39
	v_mov_b32_e32 v86, v5
	v_mov_b32_e32 v85, v9
	s_branch .LBB573_6
.LBB573_18:
	s_lshl_b32 s44, s50, 6
	s_sub_i32 s45, s16, s44
	s_cmp_gt_i32 s45, 0
	s_waitcnt vmcnt(2)
	v_or_b32_e32 v34, s2, v52
	s_cbranch_scc1 .LBB573_20
; %bb.19:
	s_ashr_i32 s0, s33, 31
	s_add_u32 s28, s47, s33
	s_addc_u32 s29, s53, s0
	v_or_b32_e32 v10, s2, v52
	s_cbranch_execz .LBB573_21
	s_branch .LBB573_77
.LBB573_20:
                                        ; implicit-def: $sgpr28_sgpr29
                                        ; implicit-def: $vgpr10
.LBB573_21:
	s_ashr_i32 s39, s49, 31
	s_ashr_i32 s3, s44, 31
	s_cmpk_lg_i32 s19, 0x80
	s_cselect_b64 s[40:41], -1, 0
	s_and_b64 vcc, exec, s[40:41]
	s_cbranch_vccz .LBB573_23
; %bb.22:
	s_mul_i32 s1, s49, s16
	s_mul_hi_i32 s0, s49, s16
	s_add_u32 s1, s1, s44
	s_addc_u32 s0, s0, s3
	s_mul_i32 s24, s1, s51
	s_mul_hi_u32 s25, s1, s18
	s_add_i32 s24, s25, s24
	s_mul_i32 s0, s0, s18
	s_add_i32 s24, s24, s0
	s_mul_i32 s1, s1, s18
	s_ashr_i32 s0, s54, 31
	s_add_u32 s42, s1, s54
	s_addc_u32 s43, s24, s0
	s_cbranch_execz .LBB573_24
	s_branch .LBB573_25
.LBB573_23:
                                        ; implicit-def: $sgpr42_sgpr43
.LBB573_24:
	s_mul_hi_i32 s0, s49, s18
	s_mul_i32 s49, s49, s18
	s_ashr_i32 s1, s54, 31
	s_add_u32 s18, s49, s54
	s_addc_u32 s0, s0, s1
	s_mul_i32 s1, s18, s48
	s_mul_hi_u32 s24, s18, s16
	s_add_i32 s1, s24, s1
	s_mul_i32 s0, s0, s16
	s_add_i32 s1, s1, s0
	s_mul_i32 s18, s18, s16
	s_add_u32 s42, s18, s44
	s_addc_u32 s43, s1, s3
.LBB573_25:
	s_add_i32 s24, s52, s50
	s_ashr_i32 s18, s33, 31
	s_add_u32 s28, s47, s33
	s_addc_u32 s29, s53, s18
	s_mul_i32 s0, s28, s48
	s_mul_hi_u32 s1, s28, s16
	s_add_i32 s0, s1, s0
	s_mul_i32 s1, s29, s16
	s_add_i32 s1, s0, s1
	s_mul_i32 s0, s28, s16
	s_add_u32 s0, s0, s44
	s_addc_u32 s1, s1, s3
	s_mov_b32 s3, 0x7060302
	v_lshlrev_b32_e32 v14, 3, v52
	s_lshl_b64 s[30:31], s[0:1], 8
	v_perm_b32 v11, v5, v4, s3
	v_perm_b32 v10, v3, v2, s3
	;; [unrolled: 1-line block ×4, first 2 shown]
	v_lshlrev_b32_e32 v44, 2, v52
	v_lshl_or_b32 v14, v1, 5, v14
	s_add_u32 s0, s6, s30
	ds_write2st64_b64 v14, v[10:11], v[12:13] offset0:72 offset1:76
	v_xor_b32_e32 v14, v1, v44
	v_lshlrev_b32_e32 v15, 8, v52
	s_addc_u32 s1, s7, s31
	v_lshl_or_b32 v14, v14, 1, v15
	s_mul_hi_i32 s3, s24, s17
	s_mul_i32 s24, s24, s17
	ds_write_b64 v14, v[10:11] offset:32768
	v_xor_b32_e32 v10, v55, v44
	s_add_u32 s6, s24, s33
	v_lshl_or_b32 v10, v10, 1, v15
	s_addc_u32 s7, s3, s18
	v_lshlrev_b32_e32 v11, 1, v52
	ds_write_b64 v10, v[12:13] offset:32768
	v_lshrrev_b32_e32 v10, 4, v0
	s_ashr_i32 s3, s2, 31
	s_lshl_b64 s[6:7], s[6:7], 15
	v_or_b32_e32 v12, 1, v11
	s_waitcnt lgkmcnt(0)
	s_add_u32 s6, s12, s6
	v_xor_b32_e32 v11, v10, v11
	v_xor_b32_e32 v12, v12, v10
	v_lshlrev_b32_e32 v14, 8, v10
	s_addc_u32 s7, s13, s7
	s_lshl_b64 s[2:3], s[2:3], 8
	v_lshl_or_b32 v10, v11, 3, v14
	v_lshl_or_b32 v12, v12, 3, v14
	s_barrier
	s_add_u32 s2, s6, s2
	ds_read_b64 v[10:11], v10 offset:32768
	ds_read_b64 v[12:13], v12 offset:32768
	s_addc_u32 s3, s7, s3
	v_mov_b32_e32 v15, 0
	s_cmp_lg_u32 s45, 64
	v_lshl_add_u64 v[16:17], s[2:3], 0, v[14:15]
	v_lshlrev_b32_e32 v14, 4, v52
	s_cselect_b64 s[6:7], -1, 0
	v_lshl_or_b32 v35, v48, 3, v54
	s_mov_b32 s24, 0
	v_lshl_add_u64 v[14:15], v[16:17], 0, v[14:15]
	s_waitcnt vmcnt(1)
	v_or_b32_e32 v27, 32, v35
	v_and_b32_e32 v26, 56, v53
	s_and_b64 vcc, exec, s[6:7]
	s_waitcnt lgkmcnt(0)
	global_store_dwordx4 v[14:15], v[10:13], off
	s_cbranch_vccz .LBB573_31
; %bb.26:
	s_mov_b32 s25, s24
	s_mov_b32 s26, s24
	;; [unrolled: 1-line block ×3, first 2 shown]
	v_mov_b64_e32 v[14:15], s[24:25]
	v_mov_b64_e32 v[16:17], s[26:27]
	v_mov_b64_e32 v[10:11], v[14:15]
	v_cmp_gt_i32_e32 vcc, s45, v35
	v_mov_b64_e32 v[12:13], v[16:17]
	s_and_saveexec_b64 s[2:3], vcc
	s_cbranch_execz .LBB573_28
; %bb.27:
	v_lshlrev_b32_e32 v10, 8, v35
	v_mov_b32_e32 v11, 0
	v_lshl_add_u64 v[12:13], s[0:1], 0, v[10:11]
	v_lshlrev_b32_e32 v10, 1, v26
	v_lshl_add_u64 v[18:19], v[12:13], 0, v[10:11]
	global_load_dwordx4 v[14:17], v[18:19], off
	global_load_dwordx4 v[10:13], v[18:19], off offset:128
.LBB573_28:
	s_or_b64 exec, exec, s[2:3]
	s_mov_b32 s25, s24
	s_mov_b32 s26, s24
	;; [unrolled: 1-line block ×3, first 2 shown]
	v_mov_b64_e32 v[22:23], s[24:25]
	v_mov_b64_e32 v[24:25], s[26:27]
	;; [unrolled: 1-line block ×3, first 2 shown]
	v_cmp_gt_i32_e32 vcc, s45, v27
	v_lshlrev_b32_e32 v28, 7, v27
	v_mov_b64_e32 v[20:21], v[24:25]
	s_and_saveexec_b64 s[2:3], vcc
	s_cbranch_execz .LBB573_30
; %bb.29:
	v_lshlrev_b32_e32 v18, 1, v28
	v_mov_b32_e32 v19, 0
	v_lshl_add_u64 v[20:21], s[0:1], 0, v[18:19]
	v_lshlrev_b32_e32 v18, 1, v26
	v_lshl_add_u64 v[30:31], v[20:21], 0, v[18:19]
	global_load_dwordx4 v[22:25], v[30:31], off
	global_load_dwordx4 v[18:21], v[30:31], off offset:128
.LBB573_30:
	s_or_b64 exec, exec, s[2:3]
	v_lshrrev_b32_e32 v29, 3, v26
	v_lshlrev_b32_e32 v30, 3, v35
	v_or_b32_e32 v29, v30, v29
	v_lshlrev_b32_e32 v29, 4, v29
	v_and_b32_e32 v30, 0x78, v30
	v_xor_b32_e32 v29, v29, v30
	s_branch .LBB573_33
.LBB573_31:
                                        ; implicit-def: $vgpr29
                                        ; implicit-def: $vgpr28
                                        ; implicit-def: $vgpr14_vgpr15_vgpr16_vgpr17
                                        ; implicit-def: $vgpr10_vgpr11_vgpr12_vgpr13
                                        ; implicit-def: $vgpr22_vgpr23_vgpr24_vgpr25
                                        ; implicit-def: $vgpr18_vgpr19_vgpr20_vgpr21
	s_cbranch_execz .LBB573_33
; %bb.32:
	s_waitcnt vmcnt(0)
	v_lshlrev_b32_e32 v10, 1, v26
	v_lshl_or_b32 v28, v35, 8, v10
	s_and_b32 s1, s1, 0xffff
	s_mov_b32 s3, 0x20000
	s_movk_i32 s2, 0x4000
	v_lshl_or_b32 v29, v27, 8, v10
	s_movk_i32 s12, 0x80
	buffer_load_dwordx4 v[14:17], v28, s[0:3], 0 offen
	buffer_load_dwordx4 v[10:13], v28, s[0:3], s12 offen
	;; [unrolled: 1-line block ×4, first 2 shown]
	v_lshrrev_b32_e32 v28, 3, v26
	v_lshlrev_b32_e32 v29, 3, v35
	v_or_b32_e32 v28, v29, v28
	v_lshlrev_b32_e32 v28, 4, v28
	v_and_b32_e32 v29, 0x78, v29
	v_xor_b32_e32 v29, v28, v29
	v_lshlrev_b32_e32 v28, 7, v27
.LBB573_33:
	s_lshl_b64 s[0:1], s[42:43], 8
	s_add_u32 s4, s4, s0
	s_movk_i32 s0, 0x1000
	v_and_or_b32 v27, v28, s0, v29
	s_waitcnt vmcnt(1)
	ds_write_b64 v29, v[14:15] offset:16384
	v_xor_b32_e32 v14, 8, v29
	ds_write_b64 v14, v[16:17] offset:16384
	s_waitcnt vmcnt(0)
	ds_write_b64 v29, v[10:11] offset:24576
	ds_write_b64 v14, v[12:13] offset:24576
	;; [unrolled: 1-line block ×3, first 2 shown]
	v_xor_b32_e32 v10, 8, v27
	ds_write_b64 v10, v[24:25] offset:16384
	ds_write_b64 v27, v[18:19] offset:24576
	;; [unrolled: 1-line block ×3, first 2 shown]
	v_or_b32_e32 v10, v49, v52
	s_addc_u32 s5, s5, s1
	s_add_i32 s2, s16, -1
	v_lshlrev_b32_e32 v10, 3, v10
	v_lshrrev_b32_e32 v12, 5, v50
	s_movk_i32 s16, 0xf8
	v_and_or_b32 v12, v10, s16, v12
	v_lshlrev_b32_e32 v45, 11, v48
	v_lshlrev_b32_e32 v20, 4, v12
	v_and_b32_e32 v21, 0x78, v10
	v_and_b32_e32 v22, 0x1000, v45
	v_lshlrev_b32_e32 v11, 2, v0
	v_xor_b32_e32 v10, v20, v21
	v_lshrrev_b32_e32 v12, 1, v50
	v_and_b32_e32 v11, 60, v11
	v_or_b32_e32 v10, v10, v22
	v_and_b32_e32 v23, 8, v12
	v_xor_b32_e32 v36, v10, v23
	v_lshl_or_b32 v10, v51, 6, v11
	v_lshlrev_b32_e32 v46, 1, v10
	v_or_b32_e32 v10, 32, v20
	v_xor_b32_e32 v10, v10, v21
	s_waitcnt lgkmcnt(0)
	s_barrier
	ds_read_b64 v[18:19], v36 offset:16384
	v_or_b32_e32 v10, v10, v22
	v_xor_b32_e32 v37, v10, v23
	v_or_b32_e32 v10, 64, v20
	v_xor_b32_e32 v10, v10, v21
	v_or_b32_e32 v10, v10, v22
	v_or_b32_e32 v20, 0x60, v20
	v_xor_b32_e32 v38, v10, v23
	ds_read2st64_b64 v[10:13], v46 offset0:72 offset1:73
	ds_read2st64_b64 v[14:17], v46 offset0:74 offset1:75
	v_xor_b32_e32 v24, v20, v21
	ds_read_b64 v[20:21], v37 offset:16384
	s_waitcnt lgkmcnt(2)
	v_mfma_f32_16x16x16_bf16 a[0:3], v[18:19], v[10:11], 0
	s_add_i32 s0, s46, s21
	s_mul_i32 s39, s39, s20
	s_add_i32 s39, s0, s39
	s_mul_i32 s0, s33, s23
	s_mul_hi_u32 s1, s33, s22
	s_ashr_i32 s3, s2, 31
	s_mul_i32 s12, s2, s37
	s_mul_hi_u32 s13, s2, s36
	s_add_i32 s0, s1, s0
	s_mul_i32 s1, s18, s22
	s_add_i32 s12, s13, s12
	s_mul_i32 s3, s3, s36
	v_or_b32_e32 v22, v24, v22
	s_add_i32 s1, s0, s1
	s_add_i32 s3, s12, s3
	s_lshl_b64 s[12:13], s[38:39], 2
	v_xor_b32_e32 v47, v22, v23
	ds_read_b64 v[22:23], v38 offset:16384
	ds_read_b64 v[24:25], v47 offset:16384
	s_waitcnt lgkmcnt(2)
	v_mfma_f32_16x16x16_bf16 a[0:3], v[20:21], v[12:13], a[0:3]
	s_mul_i32 s0, s33, s22
	s_add_u32 s10, s10, s12
	s_addc_u32 s11, s11, s13
	s_lshl_b64 s[0:1], s[0:1], 2
	s_mul_i32 s2, s2, s36
	s_add_u32 s10, s10, s0
	s_addc_u32 s11, s11, s1
	s_lshl_b64 s[0:1], s[2:3], 2
	s_waitcnt lgkmcnt(1)
	v_mfma_f32_16x16x16_bf16 a[0:3], v[22:23], v[14:15], a[0:3]
	s_add_u32 s0, s10, s0
	s_addc_u32 s1, s11, s1
	s_load_dword s12, s[0:1], 0x0
	s_waitcnt lgkmcnt(0)
	v_mfma_f32_16x16x16_bf16 a[0:3], v[24:25], v[16:17], a[0:3]
	s_and_b64 vcc, exec, s[40:41]
	s_cbranch_vccz .LBB573_44
; %bb.34:
	v_lshlrev_b32_e32 v27, 1, v35
	s_and_b64 vcc, exec, s[6:7]
	s_cbranch_vccz .LBB573_45
; %bb.35:
	v_cmp_gt_i32_e32 vcc, s45, v27
	v_mov_b32_e32 v14, 0
	v_mov_b32_e32 v10, 0
	;; [unrolled: 1-line block ×5, first 2 shown]
	s_and_saveexec_b64 s[0:1], vcc
	s_cbranch_execz .LBB573_37
; %bb.36:
	v_mad_i64_i32 v[10:11], s[2:3], s19, v27, 0
	v_lshl_add_u64 v[10:11], v[10:11], 1, s[4:5]
	v_lshlrev_b32_e32 v12, 1, v26
	v_mov_b32_e32 v13, 0
	v_lshl_add_u64 v[10:11], v[10:11], 0, v[12:13]
	global_load_dwordx4 v[10:13], v[10:11], off
.LBB573_37:
	s_or_b64 exec, exec, s[0:1]
	v_or_b32_e32 v28, 1, v27
	v_cmp_gt_i32_e64 s[0:1], s45, v28
	v_mov_b32_e32 v15, 0
	v_mov_b32_e32 v16, 0
	;; [unrolled: 1-line block ×3, first 2 shown]
	s_and_saveexec_b64 s[2:3], s[0:1]
	s_cbranch_execz .LBB573_39
; %bb.38:
	v_mad_i64_i32 v[14:15], s[16:17], s19, v28, 0
	v_lshl_add_u64 v[14:15], v[14:15], 1, s[4:5]
	v_lshlrev_b32_e32 v16, 1, v26
	v_mov_b32_e32 v17, 0
	v_lshl_add_u64 v[14:15], v[14:15], 0, v[16:17]
	global_load_dwordx4 v[14:17], v[14:15], off
.LBB573_39:
	s_or_b64 exec, exec, s[2:3]
	v_mov_b32_e32 v25, 0
	v_mov_b32_e32 v18, 0
	;; [unrolled: 1-line block ×5, first 2 shown]
	s_and_saveexec_b64 s[2:3], vcc
	s_cbranch_execz .LBB573_41
; %bb.40:
	v_mad_i64_i32 v[18:19], s[16:17], s19, v27, 0
	v_lshl_add_u64 v[18:19], v[18:19], 1, s[4:5]
	v_lshlrev_b32_e32 v20, 1, v26
	v_mov_b32_e32 v21, 0
	v_lshl_add_u64 v[18:19], v[18:19], 0, v[20:21]
	global_load_dwordx4 v[18:21], v[18:19], off offset:128
.LBB573_41:
	s_or_b64 exec, exec, s[2:3]
	v_mov_b32_e32 v24, 0
	v_mov_b32_e32 v23, 0
	;; [unrolled: 1-line block ×3, first 2 shown]
	s_and_saveexec_b64 s[2:3], s[0:1]
	s_cbranch_execz .LBB573_43
; %bb.42:
	v_mad_i64_i32 v[22:23], s[0:1], s19, v28, 0
	v_lshl_add_u64 v[22:23], v[22:23], 1, s[4:5]
	v_lshlrev_b32_e32 v24, 1, v26
	v_mov_b32_e32 v25, 0
	v_lshl_add_u64 v[22:23], v[22:23], 0, v[24:25]
	global_load_dwordx4 v[22:25], v[22:23], off offset:128
.LBB573_43:
	s_or_b64 exec, exec, s[2:3]
	s_branch .LBB573_47
.LBB573_44:
                                        ; implicit-def: $vgpr13
                                        ; implicit-def: $vgpr17
                                        ; implicit-def: $vgpr21
                                        ; implicit-def: $vgpr25
	v_lshrrev_b32_e32 v50, 2, v50
	s_branch .LBB573_48
.LBB573_45:
                                        ; implicit-def: $vgpr13
                                        ; implicit-def: $vgpr17
                                        ; implicit-def: $vgpr21
                                        ; implicit-def: $vgpr25
	s_cbranch_execz .LBB573_47
; %bb.46:
	s_waitcnt vmcnt(0)
	v_mad_u64_u32 v[10:11], s[0:1], v27, s19, v[26:27]
	v_lshlrev_b32_e32 v27, 1, v10
	s_lshl_b32 s2, s19, 7
	s_and_b32 s1, s5, 0xffff
	s_mov_b32 s3, 0x20000
	s_mov_b32 s0, s4
	v_add_lshl_u32 v28, v10, s19, 1
	s_movk_i32 s13, 0x80
	buffer_load_dwordx4 v[10:13], v27, s[0:3], 0 offen
	buffer_load_dwordx4 v[18:21], v27, s[0:3], s13 offen
	buffer_load_dwordx4 v[14:17], v28, s[0:3], 0 offen
	buffer_load_dwordx4 v[22:25], v28, s[0:3], s13 offen
.LBB573_47:
	v_lshrrev_b32_e32 v50, 2, v50
	s_cbranch_execnz .LBB573_60
.LBB573_48:
	s_and_b64 vcc, exec, s[6:7]
	s_cbranch_vccz .LBB573_58
; %bb.49:
	s_waitcnt vmcnt(0)
	v_lshlrev_b32_e32 v15, 1, v35
	v_cmp_gt_i32_e32 vcc, s45, v15
	v_mov_b32_e32 v14, 0
	v_lshlrev_b32_e32 v22, 9, v35
	v_mov_b32_e32 v10, 0
	v_mov_b32_e32 v11, 0
	;; [unrolled: 1-line block ×4, first 2 shown]
	s_and_saveexec_b64 s[0:1], vcc
	s_cbranch_execz .LBB573_51
; %bb.50:
	v_mov_b32_e32 v23, 0
	v_lshl_add_u64 v[10:11], s[4:5], 0, v[22:23]
	v_lshlrev_b32_e32 v12, 1, v26
	v_mov_b32_e32 v13, v23
	v_lshl_add_u64 v[10:11], v[10:11], 0, v[12:13]
	global_load_dwordx4 v[10:13], v[10:11], off
.LBB573_51:
	s_or_b64 exec, exec, s[0:1]
	v_or_b32_e32 v15, 1, v15
	v_cmp_gt_i32_e64 s[0:1], s45, v15
	v_lshlrev_b32_e32 v28, 8, v15
	v_mov_b32_e32 v15, 0
	v_mov_b32_e32 v16, 0
	;; [unrolled: 1-line block ×3, first 2 shown]
	s_and_saveexec_b64 s[2:3], s[0:1]
	s_cbranch_execz .LBB573_53
; %bb.52:
	v_mov_b32_e32 v29, 0
	v_lshl_add_u64 v[14:15], s[4:5], 0, v[28:29]
	v_lshlrev_b32_e32 v16, 1, v26
	v_mov_b32_e32 v17, v29
	v_lshl_add_u64 v[14:15], v[14:15], 0, v[16:17]
	global_load_dwordx4 v[14:17], v[14:15], off
.LBB573_53:
	s_or_b64 exec, exec, s[2:3]
	v_mov_b32_e32 v25, 0
	v_mov_b32_e32 v18, 0
	;; [unrolled: 1-line block ×5, first 2 shown]
	s_and_saveexec_b64 s[2:3], vcc
	s_cbranch_execz .LBB573_55
; %bb.54:
	v_mov_b32_e32 v23, 0
	v_lshl_add_u64 v[18:19], s[4:5], 0, v[22:23]
	v_lshlrev_b32_e32 v22, 1, v26
	v_lshl_add_u64 v[18:19], v[18:19], 0, v[22:23]
	global_load_dwordx4 v[18:21], v[18:19], off offset:128
.LBB573_55:
	s_or_b64 exec, exec, s[2:3]
	v_mov_b32_e32 v24, 0
	v_mov_b32_e32 v23, 0
	;; [unrolled: 1-line block ×3, first 2 shown]
	s_and_saveexec_b64 s[2:3], s[0:1]
	s_cbranch_execz .LBB573_57
; %bb.56:
	v_mov_b32_e32 v29, 0
	v_lshl_add_u64 v[22:23], s[4:5], 0, v[28:29]
	v_lshlrev_b32_e32 v28, 1, v26
	v_lshl_add_u64 v[22:23], v[22:23], 0, v[28:29]
	global_load_dwordx4 v[22:25], v[22:23], off offset:128
.LBB573_57:
	s_or_b64 exec, exec, s[2:3]
	s_branch .LBB573_60
.LBB573_58:
                                        ; implicit-def: $vgpr13
                                        ; implicit-def: $vgpr17
                                        ; implicit-def: $vgpr21
                                        ; implicit-def: $vgpr25
	s_cbranch_execz .LBB573_60
; %bb.59:
	s_waitcnt vmcnt(0)
	v_lshlrev_b32_e32 v10, 1, v26
	v_lshl_or_b32 v26, v35, 9, v10
	s_and_b32 s5, s5, 0xffff
	s_mov_b32 s7, 0x20000
	s_movk_i32 s6, 0x4000
	s_movk_i32 s0, 0x80
	buffer_load_dwordx4 v[10:13], v26, s[4:7], 0 offen
	buffer_load_dwordx4 v[14:17], v26, s[4:7], 0 offen offset:256
	buffer_load_dwordx4 v[18:21], v26, s[4:7], s0 offen
	buffer_load_dwordx4 v[22:25], v26, s[4:7], s0 offen offset:256
.LBB573_60:
	ds_read2st64_b64 v[30:33], v46 offset0:76 offset1:77
	ds_read2st64_b64 v[26:29], v46 offset0:78 offset1:79
	ds_read_b64 v[42:43], v36 offset:24576
	ds_read_b64 v[40:41], v37 offset:24576
	;; [unrolled: 1-line block ×4, first 2 shown]
	v_and_b32_e32 v47, 6, v0
	v_xor_b32_e32 v35, v35, v47
	v_lshlrev_b32_e32 v35, 2, v35
	v_and_b32_e32 v51, 1, v0
	v_xor_b32_e32 v52, 0x440, v35
	v_cmp_eq_u32_e32 vcc, 0, v51
	s_mov_b32 s0, 0x1000504
	s_waitcnt vmcnt(0)
	v_perm_b32 v51, v18, v22, s0
	v_cndmask_b32_e32 v35, v52, v35, vcc
	v_lshl_or_b32 v35, v47, 10, v35
	v_perm_b32 v47, v10, v14, s0
	ds_write2st64_b32 v35, v47, v51 offset1:32
	v_xor_b32_e32 v47, 8, v35
	s_mov_b32 s1, 0x3020706
	v_perm_b32 v10, v10, v14, s1
	v_perm_b32 v14, v18, v22, s1
	v_add_u32_e32 v18, 0x80, v47
	ds_write2st64_b32 v18, v10, v14 offset1:32
	v_xor_b32_e32 v10, 16, v35
	v_perm_b32 v14, v11, v15, s0
	v_perm_b32 v18, v19, v23, s0
	ds_write2st64_b32 v10, v14, v18 offset0:1 offset1:33
	v_xor_b32_e32 v10, 24, v35
	v_perm_b32 v11, v11, v15, s1
	v_perm_b32 v14, v19, v23, s1
	v_add_u32_e32 v10, 0x80, v10
	ds_write2st64_b32 v10, v11, v14 offset0:1 offset1:33
	v_xor_b32_e32 v10, 32, v35
	v_perm_b32 v11, v12, v16, s0
	v_perm_b32 v14, v20, v24, s0
	ds_write2st64_b32 v10, v11, v14 offset0:2 offset1:34
	v_xor_b32_e32 v10, 40, v35
	v_perm_b32 v11, v12, v16, s1
	v_perm_b32 v12, v20, v24, s1
	v_add_u32_e32 v10, 0x80, v10
	ds_write2st64_b32 v10, v11, v12 offset0:2 offset1:34
	v_xor_b32_e32 v10, 48, v35
	v_perm_b32 v11, v13, v17, s0
	v_perm_b32 v12, v21, v25, s0
	ds_write2st64_b32 v10, v11, v12 offset0:3 offset1:35
	v_xor_b32_e32 v10, 56, v35
	v_and_or_b32 v18, v50, 12, v49
	v_perm_b32 v11, v13, v17, s1
	v_perm_b32 v12, v21, v25, s1
	v_add_u32_e32 v10, 0x80, v10
	v_cmp_gt_i32_e64 s[2:3], s45, v18
	v_mov_b32_e32 v20, 0
	v_mov_b32_e32 v25, 0
	ds_write2st64_b32 v10, v11, v12 offset0:3 offset1:35
	s_and_saveexec_b64 s[0:1], s[2:3]
	s_cbranch_execz .LBB573_62
; %bb.61:
	v_add_u32_e32 v10, s44, v18
	v_ashrrev_i32_e32 v11, 31, v10
	v_mul_lo_u32 v12, v11, s36
	v_mul_lo_u32 v13, v10, s37
	v_mad_u64_u32 v[10:11], s[4:5], v10, s36, 0
	v_add3_u32 v11, v11, v13, v12
	v_lshl_add_u64 v[10:11], v[10:11], 2, s[10:11]
	global_load_dword v10, v[10:11], off
	s_waitcnt vmcnt(0)
	v_sub_f32_e32 v10, s12, v10
	v_exp_f32_e32 v25, v10
.LBB573_62:
	s_or_b64 exec, exec, s[0:1]
	v_or_b32_e32 v23, 1, v18
	v_cmp_gt_i32_e64 s[4:5], s45, v23
	s_and_saveexec_b64 s[0:1], s[4:5]
	s_cbranch_execz .LBB573_64
; %bb.63:
	v_add_u32_e32 v10, s44, v23
	v_ashrrev_i32_e32 v11, 31, v10
	v_mul_lo_u32 v12, v11, s36
	v_mul_lo_u32 v13, v10, s37
	v_mad_u64_u32 v[10:11], s[6:7], v10, s36, 0
	v_add3_u32 v11, v11, v13, v12
	v_lshl_add_u64 v[10:11], v[10:11], 2, s[10:11]
	global_load_dword v10, v[10:11], off
	s_waitcnt vmcnt(0)
	v_sub_f32_e32 v10, s12, v10
	v_exp_f32_e32 v20, v10
.LBB573_64:
	s_or_b64 exec, exec, s[0:1]
	v_or_b32_e32 v22, 2, v18
	v_cmp_gt_i32_e64 s[0:1], s45, v22
	v_mov_b32_e32 v19, 0
	v_mov_b32_e32 v24, 0
	s_and_saveexec_b64 s[6:7], s[0:1]
	s_cbranch_execz .LBB573_66
; %bb.65:
	v_add_u32_e32 v10, s44, v22
	v_ashrrev_i32_e32 v11, 31, v10
	v_mul_lo_u32 v12, v11, s36
	v_mul_lo_u32 v13, v10, s37
	v_mad_u64_u32 v[10:11], s[16:17], v10, s36, 0
	v_add3_u32 v11, v11, v13, v12
	v_lshl_add_u64 v[10:11], v[10:11], 2, s[10:11]
	global_load_dword v10, v[10:11], off
	s_waitcnt vmcnt(0)
	v_sub_f32_e32 v10, s12, v10
	v_exp_f32_e32 v24, v10
.LBB573_66:
	s_or_b64 exec, exec, s[6:7]
	v_or_b32_e32 v21, 3, v18
	v_cmp_gt_i32_e32 vcc, s45, v21
	s_and_saveexec_b64 s[6:7], vcc
	s_cbranch_execz .LBB573_68
; %bb.67:
	v_add_u32_e32 v10, s44, v21
	v_ashrrev_i32_e32 v11, 31, v10
	v_mul_lo_u32 v12, v11, s36
	v_mul_lo_u32 v13, v10, s37
	v_mad_u64_u32 v[10:11], s[16:17], v10, s36, 0
	v_add3_u32 v11, v11, v13, v12
	v_lshl_add_u64 v[10:11], v[10:11], 2, s[10:11]
	global_load_dword v10, v[10:11], off
	s_waitcnt vmcnt(0)
	v_sub_f32_e32 v10, s12, v10
	v_exp_f32_e32 v19, v10
.LBB573_68:
	s_or_b64 exec, exec, s[6:7]
	s_waitcnt lgkmcnt(11)
	v_mfma_f32_16x16x16_bf16 a[0:3], v[42:43], v[30:31], a[0:3]
	s_add_u32 s6, s8, s30
	v_ashrrev_i32_e32 v35, 31, v34
	s_addc_u32 s7, s9, s31
	s_waitcnt lgkmcnt(10)
	v_mfma_f32_16x16x16_bf16 a[0:3], v[40:41], v[32:33], a[0:3]
	v_lshlrev_b64 v[10:11], 1, v[34:35]
	v_lshl_add_u64 v[14:15], s[6:7], 0, v[10:11]
	s_add_u32 s6, s14, s30
	s_waitcnt lgkmcnt(9)
	v_mfma_f32_16x16x16_bf16 a[0:3], v[38:39], v[26:27], a[0:3]
	s_addc_u32 s7, s15, s31
	v_lshl_add_u64 v[16:17], s[6:7], 0, v[10:11]
	v_mov_b32_e32 v26, 0
	s_waitcnt lgkmcnt(8)
	v_mfma_f32_16x16x16_bf16 a[0:3], v[36:37], v[28:29], a[0:3]
	v_mov_b32_e32 v27, 0
	s_nop 5
	v_accvgpr_read_b32 v13, a3
	v_accvgpr_read_b32 v12, a2
	;; [unrolled: 1-line block ×4, first 2 shown]
	s_and_saveexec_b64 s[6:7], s[2:3]
	s_cbranch_execz .LBB573_70
; %bb.69:
	v_lshlrev_b32_e32 v28, 8, v18
	v_mov_b32_e32 v29, 0
	v_lshl_add_u64 v[30:31], v[14:15], 0, v[28:29]
	global_load_ushort v27, v[30:31], off
	v_lshl_add_u64 v[28:29], v[16:17], 0, v[28:29]
	s_waitcnt vmcnt(0)
	v_lshlrev_b32_e32 v27, 16, v27
	v_sub_f32_e32 v10, v27, v10
	global_store_short_d16_hi v[28:29], v10, off
	v_mul_f32_e32 v10, v25, v10
	v_lshrrev_b32_e32 v27, 16, v10
.LBB573_70:
	s_or_b64 exec, exec, s[6:7]
	s_and_saveexec_b64 s[2:3], s[4:5]
	s_cbranch_execz .LBB573_72
; %bb.71:
	v_lshlrev_b32_e32 v28, 8, v23
	v_mov_b32_e32 v29, 0
	v_lshl_add_u64 v[30:31], v[14:15], 0, v[28:29]
	global_load_ushort v10, v[30:31], off
	v_lshl_add_u64 v[28:29], v[16:17], 0, v[28:29]
	s_waitcnt vmcnt(0)
	v_lshlrev_b32_e32 v10, 16, v10
	v_sub_f32_e32 v10, v10, v11
	global_store_short_d16_hi v[28:29], v10, off
	v_mul_f32_e32 v10, v20, v10
	v_lshrrev_b32_e32 v26, 16, v10
.LBB573_72:
	s_or_b64 exec, exec, s[2:3]
	v_mov_b32_e32 v11, 0
	v_mov_b32_e32 v20, 0
	s_and_saveexec_b64 s[2:3], s[0:1]
	s_cbranch_execz .LBB573_74
; %bb.73:
	v_lshlrev_b32_e32 v22, 8, v22
	v_mov_b32_e32 v23, 0
	v_lshl_add_u64 v[28:29], v[14:15], 0, v[22:23]
	global_load_ushort v10, v[28:29], off
	v_lshl_add_u64 v[22:23], v[16:17], 0, v[22:23]
	s_waitcnt vmcnt(0)
	v_lshlrev_b32_e32 v10, 16, v10
	v_sub_f32_e32 v10, v10, v12
	global_store_short_d16_hi v[22:23], v10, off
	v_mul_f32_e32 v10, v24, v10
	v_lshrrev_b32_e32 v20, 16, v10
.LBB573_74:
	s_or_b64 exec, exec, s[2:3]
	v_or_b32_e32 v10, 0x9800, v46
	s_and_saveexec_b64 s[0:1], vcc
	s_cbranch_execz .LBB573_76
; %bb.75:
	v_lshlrev_b32_e32 v22, 8, v21
	v_mov_b32_e32 v23, 0
	v_lshl_add_u64 v[14:15], v[14:15], 0, v[22:23]
	global_load_ushort v11, v[14:15], off
	v_lshl_add_u64 v[14:15], v[16:17], 0, v[22:23]
	s_waitcnt vmcnt(0)
	v_lshlrev_b32_e32 v11, 16, v11
	v_sub_f32_e32 v11, v11, v13
	global_store_short_d16_hi v[14:15], v11, off
	v_mul_f32_e32 v11, v19, v11
	v_lshrrev_b32_e32 v11, 16, v11
.LBB573_76:
	s_or_b64 exec, exec, s[0:1]
	s_mov_b32 s0, 0x5040100
	v_perm_b32 v13, v11, v20, s0
	v_lshlrev_b32_e32 v11, 1, v44
	v_perm_b32 v12, v26, v27, s0
	v_lshl_or_b32 v11, v18, 5, v11
	s_movk_i32 s0, 0xff
	ds_write_b64 v11, v[12:13] offset:38912
	v_and_b32_e32 v11, 7, v0
	v_and_b32_e32 v12, 8, v0
	v_cmp_lt_u32_e32 vcc, s0, v0
	v_lshrrev_b32_e32 v0, 1, v0
	v_lshlrev_b32_e32 v22, 3, v11
	v_lshlrev_b32_e32 v23, 7, v11
	v_cndmask_b32_e64 v11, 0, 1, vcc
	v_lshlrev_b32_e32 v25, 3, v48
	v_and_b32_e32 v0, 24, v0
	v_lshlrev_b32_e32 v24, 13, v11
	v_xor_b32_e32 v11, v25, v0
	v_or_b32_e32 v13, 0x440, v11
	v_cmp_eq_u32_e32 vcc, 0, v12
	s_waitcnt lgkmcnt(0)
	s_barrier
	v_cndmask_b32_e32 v11, v13, v11, vcc
	v_or_b32_e32 v11, v11, v45
	v_xad_u32 v26, v11, v22, v23
	v_add_u32_e32 v11, v24, v26
	ds_read_b64 v[20:21], v11
	ds_read2st64_b64 v[12:15], v10 offset1:1
	ds_read2st64_b64 v[16:19], v10 offset0:2 offset1:3
	v_or_b32_e32 v10, 32, v0
	v_xor_b32_e32 v10, v25, v10
	v_or_b32_e32 v11, 0x440, v10
	v_cndmask_b32_e32 v10, v11, v10, vcc
	v_or_b32_e32 v10, v10, v45
	v_xad_u32 v27, v10, v22, v23
	v_add_u32_e32 v10, v24, v27
	ds_read_b64 v[10:11], v10
	s_waitcnt lgkmcnt(2)
	v_mfma_f32_16x16x16_bf16 a[0:3], v[20:21], v[12:13], 0
	s_waitcnt lgkmcnt(0)
	v_mfma_f32_16x16x16_bf16 a[0:3], v[10:11], v[14:15], a[0:3]
	v_or_b32_e32 v10, 64, v0
	v_xor_b32_e32 v10, v25, v10
	v_xor_b32_e32 v11, 0x440, v10
	v_cndmask_b32_e32 v10, v11, v10, vcc
	v_or_b32_e32 v10, v10, v45
	v_or_b32_e32 v0, 0x60, v0
	v_xad_u32 v28, v10, v22, v23
	v_xor_b32_e32 v0, v25, v0
	v_add_u32_e32 v10, v24, v28
	v_xor_b32_e32 v20, 0x440, v0
	ds_read_b64 v[10:11], v10
	v_cndmask_b32_e32 v0, v20, v0, vcc
	v_or_b32_e32 v0, v0, v45
	v_xad_u32 v0, v0, v22, v23
	v_add_u32_e32 v20, v24, v0
	ds_read_b64 v[20:21], v20
	s_waitcnt lgkmcnt(1)
	v_mfma_f32_16x16x16_bf16 a[0:3], v[10:11], v[16:17], a[0:3]
	ds_read_b64 v[10:11], v26 offset:8192
	ds_read_b64 v[22:23], v28 offset:8192
	v_exp_f32_e32 v24, s12
	s_waitcnt lgkmcnt(2)
	v_mfma_f32_16x16x16_bf16 a[0:3], v[20:21], v[18:19], a[0:3]
	ds_read_b64 v[20:21], v27 offset:8192
	s_waitcnt lgkmcnt(2)
	v_mfma_f32_16x16x16_bf16 a[4:7], v[10:11], v[12:13], 0
	s_nop 3
	v_accvgpr_read_b32 v10, a0
	v_fma_f32 v12, v2, v24, v10
	ds_read_b64 v[10:11], v0 offset:8192
	s_waitcnt lgkmcnt(1)
	v_mfma_f32_16x16x16_bf16 a[4:7], v[20:21], v[14:15], a[4:7]
	v_accvgpr_read_b32 v0, a1
	v_fma_f32 v13, v3, v24, v0
	v_accvgpr_read_b32 v0, a2
	v_mfma_f32_16x16x16_bf16 a[4:7], v[22:23], v[16:17], a[4:7]
	v_accvgpr_read_b32 v15, a3
	v_fma_f32 v14, v4, v24, v0
	v_fmac_f32_e32 v15, v5, v24
	s_waitcnt lgkmcnt(0)
	v_mfma_f32_16x16x16_bf16 a[0:3], v[10:11], v[18:19], a[4:7]
	v_mov_b32_e32 v10, v34
	s_nop 5
	v_accvgpr_read_b32 v0, a0
	v_fma_f32 v16, v6, v24, v0
	v_accvgpr_read_b32 v0, a1
	v_fma_f32 v17, v7, v24, v0
	v_accvgpr_read_b32 v0, a2
	v_accvgpr_read_b32 v19, a3
	v_fma_f32 v18, v8, v24, v0
	v_fmac_f32_e32 v19, v9, v24
	v_mov_b64_e32 v[2:3], v[12:13]
	v_mov_b64_e32 v[4:5], v[14:15]
	;; [unrolled: 1-line block ×4, first 2 shown]
.LBB573_77:
	s_lshl_b64 s[0:1], s[28:29], 15
	s_waitcnt lgkmcnt(0)
	s_add_u32 s0, s34, s0
	v_lshlrev_b32_e32 v10, 7, v10
	s_addc_u32 s1, s35, s1
	v_ashrrev_i32_e32 v11, 31, v10
	v_lshl_add_u64 v[10:11], v[10:11], 1, s[0:1]
	v_lshlrev_b32_e32 v0, 1, v1
	v_mov_b32_e32 v1, 0
	s_mov_b32 s0, 0x7060302
	v_lshl_add_u64 v[0:1], v[10:11], 0, v[0:1]
	v_perm_b32 v5, v5, v4, s0
	v_perm_b32 v4, v3, v2, s0
	;; [unrolled: 1-line block ×4, first 2 shown]
	global_store_dwordx2 v[0:1], v[4:5], off
	global_store_dwordx2 v[0:1], v[2:3], off offset:128
	s_endpgm
	.section	.rodata,"a",@progbits
	.p2align	6, 0x0
	.amdhsa_kernel _ZN12_GLOBAL__N_139chunk_gated_delta_rule_fwd_h_hip_kernelILi16ELb0ELb1ELb1ELb0ELb1ELb0ELb0ELb1EEEvPK12hip_bfloat16S3_S3_PKfS5_PKvPS1_S8_PvPKiSB_iiiiilll
		.amdhsa_group_segment_fixed_size 40960
		.amdhsa_private_segment_fixed_size 0
		.amdhsa_kernarg_size 136
		.amdhsa_user_sgpr_count 2
		.amdhsa_user_sgpr_dispatch_ptr 0
		.amdhsa_user_sgpr_queue_ptr 0
		.amdhsa_user_sgpr_kernarg_segment_ptr 1
		.amdhsa_user_sgpr_dispatch_id 0
		.amdhsa_user_sgpr_kernarg_preload_length 0
		.amdhsa_user_sgpr_kernarg_preload_offset 0
		.amdhsa_user_sgpr_private_segment_size 0
		.amdhsa_uses_dynamic_stack 0
		.amdhsa_enable_private_segment 0
		.amdhsa_system_sgpr_workgroup_id_x 1
		.amdhsa_system_sgpr_workgroup_id_y 1
		.amdhsa_system_sgpr_workgroup_id_z 0
		.amdhsa_system_sgpr_workgroup_info 0
		.amdhsa_system_vgpr_workitem_id 0
		.amdhsa_next_free_vgpr 116
		.amdhsa_next_free_sgpr 68
		.amdhsa_accum_offset 108
		.amdhsa_reserve_vcc 1
		.amdhsa_float_round_mode_32 0
		.amdhsa_float_round_mode_16_64 0
		.amdhsa_float_denorm_mode_32 3
		.amdhsa_float_denorm_mode_16_64 3
		.amdhsa_dx10_clamp 1
		.amdhsa_ieee_mode 1
		.amdhsa_fp16_overflow 0
		.amdhsa_tg_split 0
		.amdhsa_exception_fp_ieee_invalid_op 0
		.amdhsa_exception_fp_denorm_src 0
		.amdhsa_exception_fp_ieee_div_zero 0
		.amdhsa_exception_fp_ieee_overflow 0
		.amdhsa_exception_fp_ieee_underflow 0
		.amdhsa_exception_fp_ieee_inexact 0
		.amdhsa_exception_int_div_zero 0
	.end_amdhsa_kernel
	.section	.text._ZN12_GLOBAL__N_139chunk_gated_delta_rule_fwd_h_hip_kernelILi16ELb0ELb1ELb1ELb0ELb1ELb0ELb0ELb1EEEvPK12hip_bfloat16S3_S3_PKfS5_PKvPS1_S8_PvPKiSB_iiiiilll,"axG",@progbits,_ZN12_GLOBAL__N_139chunk_gated_delta_rule_fwd_h_hip_kernelILi16ELb0ELb1ELb1ELb0ELb1ELb0ELb0ELb1EEEvPK12hip_bfloat16S3_S3_PKfS5_PKvPS1_S8_PvPKiSB_iiiiilll,comdat
.Lfunc_end573:
	.size	_ZN12_GLOBAL__N_139chunk_gated_delta_rule_fwd_h_hip_kernelILi16ELb0ELb1ELb1ELb0ELb1ELb0ELb0ELb1EEEvPK12hip_bfloat16S3_S3_PKfS5_PKvPS1_S8_PvPKiSB_iiiiilll, .Lfunc_end573-_ZN12_GLOBAL__N_139chunk_gated_delta_rule_fwd_h_hip_kernelILi16ELb0ELb1ELb1ELb0ELb1ELb0ELb0ELb1EEEvPK12hip_bfloat16S3_S3_PKfS5_PKvPS1_S8_PvPKiSB_iiiiilll
                                        ; -- End function
	.section	.AMDGPU.csdata,"",@progbits
; Kernel info:
; codeLenInByte = 7964
; NumSgprs: 74
; NumVgprs: 108
; NumAgprs: 8
; TotalNumVgprs: 116
; ScratchSize: 0
; MemoryBound: 0
; FloatMode: 240
; IeeeMode: 1
; LDSByteSize: 40960 bytes/workgroup (compile time only)
; SGPRBlocks: 9
; VGPRBlocks: 14
; NumSGPRsForWavesPerEU: 74
; NumVGPRsForWavesPerEU: 116
; AccumOffset: 108
; Occupancy: 1
; WaveLimiterHint : 1
; COMPUTE_PGM_RSRC2:SCRATCH_EN: 0
; COMPUTE_PGM_RSRC2:USER_SGPR: 2
; COMPUTE_PGM_RSRC2:TRAP_HANDLER: 0
; COMPUTE_PGM_RSRC2:TGID_X_EN: 1
; COMPUTE_PGM_RSRC2:TGID_Y_EN: 1
; COMPUTE_PGM_RSRC2:TGID_Z_EN: 0
; COMPUTE_PGM_RSRC2:TIDIG_COMP_CNT: 0
; COMPUTE_PGM_RSRC3_GFX90A:ACCUM_OFFSET: 26
; COMPUTE_PGM_RSRC3_GFX90A:TG_SPLIT: 0
	.section	.text._ZN12_GLOBAL__N_139chunk_gated_delta_rule_fwd_h_hip_kernelILi16ELb0ELb1ELb0ELb0ELb1ELb0ELb0ELb1EEEvPK12hip_bfloat16S3_S3_PKfS5_PKvPS1_S8_PvPKiSB_iiiiilll,"axG",@progbits,_ZN12_GLOBAL__N_139chunk_gated_delta_rule_fwd_h_hip_kernelILi16ELb0ELb1ELb0ELb0ELb1ELb0ELb0ELb1EEEvPK12hip_bfloat16S3_S3_PKfS5_PKvPS1_S8_PvPKiSB_iiiiilll,comdat
	.globl	_ZN12_GLOBAL__N_139chunk_gated_delta_rule_fwd_h_hip_kernelILi16ELb0ELb1ELb0ELb0ELb1ELb0ELb0ELb1EEEvPK12hip_bfloat16S3_S3_PKfS5_PKvPS1_S8_PvPKiSB_iiiiilll ; -- Begin function _ZN12_GLOBAL__N_139chunk_gated_delta_rule_fwd_h_hip_kernelILi16ELb0ELb1ELb0ELb0ELb1ELb0ELb0ELb1EEEvPK12hip_bfloat16S3_S3_PKfS5_PKvPS1_S8_PvPKiSB_iiiiilll
	.p2align	8
	.type	_ZN12_GLOBAL__N_139chunk_gated_delta_rule_fwd_h_hip_kernelILi16ELb0ELb1ELb0ELb0ELb1ELb0ELb0ELb1EEEvPK12hip_bfloat16S3_S3_PKfS5_PKvPS1_S8_PvPKiSB_iiiiilll,@function
_ZN12_GLOBAL__N_139chunk_gated_delta_rule_fwd_h_hip_kernelILi16ELb0ELb1ELb0ELb0ELb1ELb0ELb0ELb1EEEvPK12hip_bfloat16S3_S3_PKfS5_PKvPS1_S8_PvPKiSB_iiiiilll: ; @_ZN12_GLOBAL__N_139chunk_gated_delta_rule_fwd_h_hip_kernelILi16ELb0ELb1ELb0ELb0ELb1ELb0ELb0ELb1EEEvPK12hip_bfloat16S3_S3_PKfS5_PKvPS1_S8_PvPKiSB_iiiiilll
; %bb.0:
	s_load_dwordx4 s[12:15], s[0:1], 0x5c
	s_load_dwordx4 s[16:19], s[0:1], 0x70
	s_abs_i32 s22, s3
	s_ashr_i32 s21, s3, 31
	s_load_dwordx8 s[4:11], s[0:1], 0x0
	s_waitcnt lgkmcnt(0)
	s_abs_i32 s20, s13
	v_cvt_f32_u32_e32 v1, s20
	s_sub_i32 s24, 0, s20
	s_ashr_i32 s23, s13, 31
	s_xor_b32 s21, s21, s23
	v_rcp_iflag_f32_e32 v1, v1
	s_load_dwordx2 s[28:29], s[0:1], 0x40
	s_load_dwordx2 s[36:37], s[0:1], 0x30
	;; [unrolled: 1-line block ×3, first 2 shown]
	v_lshrrev_b32_e32 v46, 6, v0
	v_bfe_u32 v49, v0, 4, 2
	v_mul_f32_e32 v1, 0x4f7ffffe, v1
	v_cvt_u32_f32_e32 v1, v1
	v_lshlrev_b32_e32 v47, 4, v46
	v_lshlrev_b32_e32 v10, 2, v49
	v_and_b32_e32 v48, 63, v0
	v_readfirstlane_b32 s25, v1
	s_mul_i32 s24, s24, s25
	s_mul_hi_u32 s24, s25, s24
	s_add_i32 s25, s25, s24
	s_mul_hi_u32 s24, s22, s25
	s_mul_i32 s25, s24, s20
	s_sub_i32 s22, s22, s25
	s_add_i32 s26, s24, 1
	s_sub_i32 s25, s22, s20
	s_cmp_ge_u32 s22, s20
	s_cselect_b32 s24, s26, s24
	s_cselect_b32 s22, s25, s22
	s_add_i32 s25, s24, 1
	s_cmp_ge_u32 s22, s20
	s_cselect_b32 s22, s25, s24
	s_xor_b32 s22, s22, s21
	s_sub_i32 s47, s22, s21
	s_abs_i32 s21, s14
	v_cvt_f32_u32_e32 v1, s21
	s_add_i32 s24, s12, 63
	s_mul_i32 s45, s47, s13
	s_sub_i32 s33, s3, s45
	v_rcp_iflag_f32_e32 v1, v1
	s_ashr_i32 s3, s24, 31
	s_ashr_i32 s46, s12, 31
	s_lshr_b32 s3, s3, 26
	v_mul_f32_e32 v1, 0x4f7ffffe, v1
	v_cvt_u32_f32_e32 v1, v1
	s_lshr_b32 s22, s46, 26
	s_add_i32 s24, s24, s3
	s_add_i32 s22, s12, s22
	s_ashr_i32 s49, s14, 31
	s_ashr_i32 s3, s24, 6
	;; [unrolled: 1-line block ×3, first 2 shown]
	s_xor_b32 s22, s23, s49
	s_sub_i32 s23, 0, s21
	v_readfirstlane_b32 s24, v1
	s_mul_i32 s23, s23, s24
	s_mul_hi_u32 s23, s24, s23
	s_add_i32 s24, s24, s23
	s_mul_hi_u32 s23, s20, s24
	s_mul_i32 s24, s23, s21
	s_sub_i32 s20, s20, s24
	s_add_i32 s24, s23, 1
	s_sub_i32 s25, s20, s21
	s_cmp_ge_u32 s20, s21
	s_cselect_b32 s23, s24, s23
	s_cselect_b32 s20, s25, s20
	s_add_i32 s24, s23, 1
	s_cmp_ge_u32 s20, s21
	s_cselect_b32 s20, s24, s23
	s_xor_b32 s20, s20, s22
	s_sub_i32 s20, s20, s22
	s_abs_i32 s21, s20
	v_cvt_f32_u32_e32 v1, s21
	s_xor_b32 s0, s33, s20
	s_sub_i32 s20, 0, s21
	s_abs_i32 s1, s33
	v_rcp_iflag_f32_e32 v1, v1
	s_ashr_i32 s0, s0, 31
	v_mov_b32_e32 v9, 0
	s_mul_i32 s50, s47, s3
	v_mul_f32_e32 v1, 0x4f7ffffe, v1
	v_cvt_u32_f32_e32 v1, v1
	v_and_b32_e32 v50, 15, v0
	s_mul_hi_i32 s51, s47, s13
	v_lshrrev_b32_e32 v52, 3, v48
	v_readfirstlane_b32 s22, v1
	s_mul_i32 s20, s20, s22
	s_mul_hi_u32 s20, s22, s20
	s_add_i32 s22, s22, s20
	s_mul_hi_u32 s20, s1, s22
	s_mul_i32 s22, s20, s21
	s_sub_i32 s1, s1, s22
	s_add_i32 s22, s20, 1
	s_sub_i32 s23, s1, s21
	s_cmp_ge_u32 s1, s21
	s_cselect_b32 s20, s22, s20
	s_cselect_b32 s1, s23, s1
	s_add_i32 s22, s20, 1
	s_cmp_ge_u32 s1, s21
	s_cselect_b32 s1, s22, s20
	s_xor_b32 s1, s1, s0
	s_sub_i32 s52, s1, s0
	v_or_b32_e32 v1, v10, v47
	s_lshl_b32 s2, s2, 4
	v_or_b32_e32 v53, 64, v1
	s_cmp_lt_i32 s12, 64
	v_lshlrev_b32_e32 v51, 3, v0
	s_mul_i32 s17, s47, s17
	s_mul_hi_u32 s44, s47, s16
	s_mul_i32 s34, s47, s16
	v_mov_b32_e32 v8, v9
	v_mov_b32_e32 v7, v9
	v_mov_b32_e32 v6, v9
	v_mov_b32_e32 v5, v9
	v_mov_b32_e32 v4, v9
	v_mov_b32_e32 v3, v9
	v_mov_b32_e32 v2, v9
	s_cbranch_scc1 .LBB574_18
; %bb.1:
	s_ashr_i32 s3, s47, 31
	s_ashr_i32 s54, s33, 31
	s_add_u32 s0, s45, s33
	s_addc_u32 s1, s51, s54
	s_mul_i32 s1, s12, s1
	s_mul_hi_u32 s20, s12, s0
	s_add_i32 s39, s20, s1
	s_mul_i32 s38, s12, s0
	s_lshl_b64 s[0:1], s[38:39], 8
	v_and_b32_e32 v55, 56, v51
	s_add_u32 s20, s6, s0
	v_lshl_or_b32 v54, v46, 3, v52
	v_lshlrev_b32_e32 v3, 1, v55
	s_addc_u32 s0, s7, s1
	v_lshl_or_b32 v56, v54, 8, v3
	s_and_b32 s21, s0, 0xffff
	s_mov_b32 s23, 0x20000
	s_movk_i32 s22, 0x4000
	s_movk_i32 s0, 0x80
	v_or_b32_e32 v57, 0x2000, v56
	buffer_load_dwordx4 v[4:7], v56, s[20:23], 0 offen
	buffer_load_dwordx4 v[12:15], v56, s[20:23], s0 offen
	;; [unrolled: 1-line block ×4, first 2 shown]
	v_lshlrev_b32_e32 v2, 3, v54
	v_and_or_b32 v9, v0, 7, v2
	v_and_b32_e32 v2, 0x78, v2
	v_lshlrev_b32_e32 v9, 4, v9
	v_xor_b32_e32 v58, v9, v2
	v_mul_lo_u32 v8, v54, s15
	v_or_b32_e32 v59, 0x1000, v58
	v_xor_b32_e32 v2, 8, v58
	s_cmpk_eq_i32 s15, 0x80
	s_mov_b32 s53, s14
	v_xor_b32_e32 v9, 8, v59
	s_cselect_b64 s[0:1], -1, 0
	s_cmpk_lg_i32 s15, 0x80
	s_waitcnt vmcnt(3)
	ds_write_b64 v58, v[4:5] offset:16384
	ds_write_b64 v2, v[6:7] offset:16384
	s_waitcnt vmcnt(2)
	ds_write_b64 v58, v[12:13] offset:24576
	ds_write_b64 v2, v[14:15] offset:24576
	;; [unrolled: 3-line block ×4, first 2 shown]
	v_lshl_add_u32 v2, v8, 1, v55
	s_cbranch_scc0 .LBB574_3
; %bb.2:
	v_lshlrev_b32_e32 v6, 1, v2
	v_add_lshl_u32 v5, v2, s15, 1
	s_lshl_b32 s22, s15, 7
	v_lshl_or_b32 v4, v54, 9, v3
	s_cbranch_execz .LBB574_4
	s_branch .LBB574_5
.LBB574_3:
                                        ; implicit-def: $vgpr5
                                        ; implicit-def: $vgpr6
                                        ; implicit-def: $sgpr22
	v_lshl_or_b32 v4, v54, 9, v3
.LBB574_4:
	v_or_b32_e32 v5, 0x100, v4
	s_movk_i32 s22, 0x4000
	v_mov_b32_e32 v6, v4
.LBB574_5:
	s_mul_hi_u32 s20, s14, s12
	s_mul_i32 s21, s49, s12
	s_add_i32 s20, s20, s21
	s_mul_i32 s21, s14, s12
	s_mul_i32 s23, s21, s3
	s_mul_hi_u32 s24, s21, s47
	s_add_i32 s23, s24, s23
	s_mul_i32 s20, s20, s47
	s_add_i32 s23, s23, s20
	s_mul_i32 s21, s21, s47
	s_ashr_i32 s55, s52, 31
	s_add_u32 s20, s21, s52
	s_addc_u32 s21, s23, s55
	s_lshl_b64 s[20:21], s[20:21], 8
	s_add_u32 s20, s4, s20
	s_addc_u32 s21, s5, s21
	s_and_b32 s21, s21, 0xffff
	s_mov_b32 s23, 0x20000
	s_movk_i32 s56, 0x80
	buffer_load_dwordx4 v[12:15], v6, s[20:23], 0 offen
	buffer_load_dwordx4 v[16:19], v6, s[20:23], s56 offen
	;; [unrolled: 1-line block ×4, first 2 shown]
	v_and_b32_e32 v3, 6, v0
	s_mul_i32 s20, s3, s12
	s_mul_hi_u32 s21, s47, s12
	v_lshlrev_b32_e32 v6, 2, v50
	v_lshlrev_b32_e32 v7, 3, v50
	v_xor_b32_e32 v9, v54, v3
	v_and_b32_e32 v5, 1, v0
	s_mul_i32 s3, s3, s16
	v_lshl_or_b32 v7, v1, 5, v7
	v_xor_b32_e32 v11, v1, v6
	v_lshlrev_b32_e32 v9, 2, v9
	s_add_i32 s61, s21, s20
	s_add_i32 s20, s44, s17
	v_or_b32_e32 v60, 0x9000, v7
	v_or_b32_e32 v61, 0x9800, v7
	v_lshlrev_b32_e32 v7, 1, v11
	v_xor_b32_e32 v11, 0x440, v9
	v_cmp_eq_u32_e32 vcc, 0, v5
	s_add_i32 s35, s20, s3
	s_mul_i32 s3, s33, s19
	s_mul_hi_u32 s20, s33, s18
	v_cndmask_b32_e32 v5, v11, v9, vcc
	s_add_i32 s3, s20, s3
	s_mul_i32 s20, s54, s18
	s_mov_b32 s58, 0x1000504
	v_lshlrev_b32_e32 v8, 8, v50
	s_mov_b32 s22, 0x8000
	v_xor_b32_e32 v6, v53, v6
	v_lshl_or_b32 v3, v3, 10, v5
	s_add_i32 s21, s3, s20
	s_lshl_b64 s[24:25], s[34:35], 2
	s_mov_b32 s59, 0x3020706
	v_lshlrev_b32_e32 v6, 1, v6
	v_or3_b32 v62, v7, v8, s22
	v_xor_b32_e32 v5, 8, v3
	v_xor_b32_e32 v7, 24, v3
	;; [unrolled: 1-line block ×4, first 2 shown]
	s_mul_i32 s20, s33, s18
	s_add_u32 s3, s10, s24
	v_or3_b32 v63, v6, v8, s22
	v_xor_b32_e32 v6, 16, v3
	v_xor_b32_e32 v8, 32, v3
	;; [unrolled: 1-line block ×3, first 2 shown]
	v_add_u32_e32 v5, 0x80, v5
	v_add_u32_e32 v7, 0x80, v7
	;; [unrolled: 1-line block ×4, first 2 shown]
	s_addc_u32 s24, s11, s25
	s_lshl_b64 s[20:21], s[20:21], 2
	s_add_u32 s40, s3, s20
	s_movk_i32 s3, 0xf8
	s_addc_u32 s41, s24, s21
	s_lshl_b32 s26, s15, 7
	s_mov_b32 s57, 0
	s_mul_i32 s60, s47, s12
	v_add_u32_e32 v78, v47, v10
	s_mov_b32 s62, 0
	s_waitcnt vmcnt(1)
	v_perm_b32 v29, v12, v20, s58
	s_waitcnt vmcnt(0)
	v_perm_b32 v30, v16, v24, s58
	v_perm_b32 v12, v12, v20, s59
	v_perm_b32 v16, v16, v24, s59
	v_perm_b32 v20, v13, v21, s58
	v_perm_b32 v24, v17, v25, s58
	v_perm_b32 v13, v13, v21, s59
	v_perm_b32 v17, v17, v25, s59
	v_perm_b32 v21, v14, v22, s58
	v_perm_b32 v25, v18, v26, s58
	v_perm_b32 v14, v14, v22, s59
	v_perm_b32 v18, v18, v26, s59
	v_perm_b32 v22, v15, v23, s58
	v_perm_b32 v26, v19, v27, s58
	v_perm_b32 v15, v15, v23, s59
	v_perm_b32 v19, v19, v27, s59
	ds_write2st64_b32 v3, v29, v30 offset1:32
	ds_write2st64_b32 v5, v12, v16 offset1:32
	ds_write2st64_b32 v6, v20, v24 offset0:1 offset1:33
	ds_write2st64_b32 v7, v13, v17 offset0:1 offset1:33
	;; [unrolled: 1-line block ×6, first 2 shown]
	v_or_b32_e32 v3, v47, v50
	v_lshlrev_b32_e32 v3, 3, v3
	v_lshrrev_b32_e32 v7, 5, v48
	v_and_or_b32 v7, v3, s3, v7
	v_lshlrev_b32_e32 v7, 4, v7
	v_lshlrev_b32_e32 v5, 11, v46
	v_and_b32_e32 v3, 0x78, v3
	v_or_b32_e32 v12, 32, v7
	v_and_b32_e32 v6, 0x1000, v5
	v_lshrrev_b32_e32 v11, 1, v0
	v_xor_b32_e32 v12, v12, v3
	v_and_b32_e32 v9, 8, v11
	v_or_b32_e32 v12, v12, v6
	v_xor_b32_e32 v8, v7, v3
	v_xor_b32_e32 v66, v12, v9
	v_or_b32_e32 v12, 64, v7
	v_or_b32_e32 v7, 0x60, v7
	;; [unrolled: 1-line block ×3, first 2 shown]
	v_xor_b32_e32 v12, v12, v3
	v_xor_b32_e32 v3, v7, v3
	;; [unrolled: 1-line block ×3, first 2 shown]
	v_and_b32_e32 v8, 0x78, v51
	v_or_b32_e32 v12, v12, v6
	v_or_b32_e32 v3, v3, v6
	v_lshl_or_b32 v8, v49, 7, v8
	v_xor_b32_e32 v67, v12, v9
	v_xor_b32_e32 v68, v3, v9
	v_lshlrev_b32_e32 v12, 1, v2
	v_add_lshl_u32 v13, v2, s15, 1
	v_lshrrev_b32_e32 v2, 4, v0
	v_lshlrev_b32_e32 v3, 1, v50
	v_or_b32_e32 v65, 0x9000, v8
	v_or_b32_e32 v69, 0x9800, v8
	s_ashr_i32 s3, s2, 31
	v_or_b32_e32 v8, 1, v3
	v_xor_b32_e32 v3, v2, v3
	s_lshl_b64 s[20:21], s[2:3], 8
	v_xor_b32_e32 v8, v8, v2
	v_lshlrev_b32_e32 v3, 3, v3
	v_lshlrev_b32_e32 v2, 8, v2
	s_waitcnt lgkmcnt(0)
	s_add_u32 s20, s36, s20
	v_or3_b32 v70, v3, v2, s22
	v_lshlrev_b32_e32 v3, 3, v8
	s_addc_u32 s21, s37, s21
	v_or3_b32 v71, v3, v2, s22
	v_mov_b32_e32 v3, 0
	v_lshl_add_u64 v[8:9], s[20:21], 0, v[2:3]
	v_lshlrev_b32_e32 v2, 4, v50
	s_movk_i32 s3, 0xff
	v_lshlrev_b32_e32 v16, 3, v46
	v_and_b32_e32 v11, 24, v11
	v_lshl_add_u64 v[42:43], v[8:9], 0, v[2:3]
	v_and_b32_e32 v8, 8, v0
	v_cmp_lt_u32_e32 vcc, s3, v0
	v_xor_b32_e32 v17, v16, v11
	v_or_b32_e32 v18, 0x440, v17
	v_cndmask_b32_e64 v15, 0, 1, vcc
	v_cmp_eq_u32_e32 vcc, 0, v8
	v_and_b32_e32 v2, 7, v0
	v_lshlrev_b32_e32 v9, 3, v2
	v_cndmask_b32_e32 v8, v18, v17, vcc
	v_lshlrev_b32_e32 v2, 7, v2
	v_or_b32_e32 v8, v8, v5
	v_xad_u32 v72, v8, v9, v2
	v_or_b32_e32 v8, 32, v11
	v_xor_b32_e32 v8, v16, v8
	v_or_b32_e32 v17, 0x440, v8
	v_cndmask_b32_e32 v8, v17, v8, vcc
	v_or_b32_e32 v8, v8, v5
	v_xad_u32 v73, v8, v9, v2
	v_or_b32_e32 v8, 64, v11
	v_xor_b32_e32 v8, v16, v8
	v_xor_b32_e32 v17, 0x440, v8
	v_cndmask_b32_e32 v8, v17, v8, vcc
	v_or_b32_e32 v8, v8, v5
	v_xad_u32 v74, v8, v9, v2
	v_or_b32_e32 v8, 0x60, v11
	v_xor_b32_e32 v8, v16, v8
	v_xor_b32_e32 v11, 0x440, v8
	v_or_b32_e32 v6, s2, v50
	v_cndmask_b32_e32 v8, v11, v8, vcc
	v_ashrrev_i32_e32 v7, 31, v6
	v_or_b32_e32 v5, v8, v5
	v_lshl_add_u64 v[6:7], v[6:7], 1, s[8:9]
	v_or_b32_e32 v14, 0x100, v4
	v_lshlrev_b32_e32 v15, 13, v15
	v_xad_u32 v75, v5, v9, v2
	v_lshlrev_b32_e32 v2, 8, v1
	v_cndmask_b32_e64 v76, v12, v4, s[0:1]
	v_cndmask_b32_e64 v77, v13, v14, s[0:1]
	v_lshl_add_u64 v[44:45], v[6:7], 0, v[2:3]
	s_mov_b32 s3, 0x7060302
	s_movk_i32 s22, 0x4000
	v_add_u32_e32 v79, v15, v72
	v_add_u32_e32 v80, v15, v73
	;; [unrolled: 1-line block ×4, first 2 shown]
	v_mov_b32_e32 v2, v3
	v_mov_b32_e32 v4, v3
	;; [unrolled: 1-line block ×7, first 2 shown]
	s_barrier
.LBB574_6:                              ; =>This Inner Loop Header: Depth=1
	s_add_i32 s35, s62, 1
	s_cmp_lt_i32 s35, s48
	s_mov_b64 s[24:25], 0
	s_cselect_b64 s[42:43], -1, 0
	s_cmp_ge_i32 s35, s48
	s_mov_b64 s[20:21], 0
	s_cbranch_scc1 .LBB574_8
; %bb.7:                                ;   in Loop: Header=BB574_6 Depth=1
	s_add_i32 s0, s57, 64
	s_add_u32 s0, s38, s0
	s_addc_u32 s1, s39, 0
	s_lshl_b64 s[0:1], s[0:1], 8
	s_add_u32 s20, s6, s0
	s_addc_u32 s21, s7, s1
.LBB574_8:                              ;   in Loop: Header=BB574_6 Depth=1
	v_cndmask_b32_e64 v5, 0, 1, s[42:43]
	v_cmp_ne_u32_e64 s[0:1], 1, v5
	s_andn2_b64 vcc, exec, s[42:43]
	s_cbranch_vccnz .LBB574_10
; %bb.9:                                ;   in Loop: Header=BB574_6 Depth=1
	s_add_i32 s24, s57, 64
	s_add_u32 s24, s60, s24
	s_addc_u32 s25, s61, 0
	s_mul_i32 s27, s24, s49
	s_mul_hi_u32 s42, s24, s53
	s_add_i32 s27, s42, s27
	s_mul_i32 s25, s25, s53
	s_add_i32 s27, s27, s25
	s_mul_i32 s24, s24, s53
	s_add_u32 s24, s24, s52
	s_addc_u32 s25, s27, s55
	s_lshl_b64 s[24:25], s[24:25], 8
	s_add_u32 s24, s4, s24
	s_addc_u32 s25, s5, s25
.LBB574_10:                             ;   in Loop: Header=BB574_6 Depth=1
	v_perm_b32 v11, v84, v4, s3
	v_perm_b32 v10, v3, v2, s3
	;; [unrolled: 1-line block ×4, first 2 shown]
	ds_write_b64 v60, v[10:11]
	ds_write_b64 v61, v[12:13]
	;; [unrolled: 1-line block ×4, first 2 shown]
	s_waitcnt lgkmcnt(0)
	s_barrier
	ds_read_b64 v[18:19], v64 offset:16384
	ds_read_b64 v[20:21], v66 offset:16384
	ds_read2st64_b64 v[10:13], v65 offset1:1
	ds_read2st64_b64 v[14:17], v65 offset0:2 offset1:3
	ds_read_b64 v[22:23], v67 offset:16384
	s_waitcnt lgkmcnt(2)
	v_mfma_f32_16x16x16_bf16 a[0:3], v[18:19], v[10:11], 0
	ds_read_b64 v[10:11], v68 offset:16384
	s_add_i32 s27, s57, 63
	s_mul_i32 s42, s27, s31
	v_mfma_f32_16x16x16_bf16 a[0:3], v[20:21], v[12:13], a[0:3]
	s_mul_hi_u32 s43, s27, s30
	s_add_i32 s43, s43, s42
	s_mul_i32 s42, s27, s30
	s_waitcnt lgkmcnt(1)
	v_mfma_f32_16x16x16_bf16 a[0:3], v[22:23], v[14:15], a[0:3]
	s_lshl_b64 s[42:43], s[42:43], 2
	s_add_u32 s42, s40, s42
	s_addc_u32 s43, s41, s43
	s_waitcnt lgkmcnt(0)
	v_mfma_f32_16x16x16_bf16 a[0:3], v[10:11], v[16:17], a[0:3]
	s_and_b64 vcc, exec, s[0:1]
	v_mov_b32_e32 v85, 0
	v_mov_b32_e32 v9, 0
	;; [unrolled: 1-line block ×19, first 2 shown]
	s_cbranch_vccnz .LBB574_12
; %bb.11:                               ;   in Loop: Header=BB574_6 Depth=1
	s_and_b32 s21, s21, 0xffff
	buffer_load_dwordx4 v[22:25], v56, s[20:23], 0 offen
	buffer_load_dwordx4 v[18:21], v56, s[20:23], s56 offen
	;; [unrolled: 1-line block ×4, first 2 shown]
	v_mov_b32_e32 v9, v58
	v_mov_b32_e32 v5, v59
.LBB574_12:                             ;   in Loop: Header=BB574_6 Depth=1
	s_waitcnt vmcnt(3)
	v_add_u32_e32 v32, s57, v78
	s_waitcnt vmcnt(1)
	v_ashrrev_i32_e32 v26, 31, v32
	v_mul_lo_u32 v28, v26, s30
	v_mul_lo_u32 v29, v32, s31
	v_mad_u64_u32 v[26:27], s[20:21], v32, s30, 0
	v_add3_u32 v27, v27, v29, v28
	v_add_u32_e32 v28, 1, v32
	v_ashrrev_i32_e32 v29, 31, v28
	v_mul_lo_u32 v30, v29, s30
	v_mul_lo_u32 v31, v28, s31
	v_mad_u64_u32 v[28:29], s[20:21], v28, s30, 0
	v_add3_u32 v29, v29, v31, v30
	v_add_u32_e32 v30, 2, v32
	v_ashrrev_i32_e32 v31, 31, v30
	v_mul_lo_u32 v33, v31, s30
	v_mul_lo_u32 v34, v30, s31
	v_mad_u64_u32 v[30:31], s[20:21], v30, s30, 0
	v_add_u32_e32 v32, 3, v32
	v_add3_u32 v31, v31, v34, v33
	v_ashrrev_i32_e32 v33, 31, v32
	v_mul_lo_u32 v36, v33, s30
	v_mul_lo_u32 v37, v32, s31
	v_mad_u64_u32 v[32:33], s[20:21], v32, s30, 0
	s_add_u32 s20, s38, s57
	s_addc_u32 s21, s39, 0
	s_lshl_b64 s[20:21], s[20:21], 8
	v_lshl_add_u64 v[26:27], v[26:27], 2, s[40:41]
	v_lshl_add_u64 v[34:35], v[44:45], 0, s[20:21]
	;; [unrolled: 1-line block ×3, first 2 shown]
	global_load_ushort v87, v[34:35], off
	global_load_ushort v96, v[34:35], off offset:256
	global_load_ushort v97, v[34:35], off offset:512
	;; [unrolled: 1-line block ×3, first 2 shown]
	v_add3_u32 v33, v33, v37, v36
	global_load_dword v99, v[26:27], off
	v_lshl_add_u64 v[30:31], v[30:31], 2, s[40:41]
	v_lshl_add_u64 v[26:27], v[32:33], 2, s[40:41]
	global_load_dword v100, v[28:29], off
	global_load_dword v101, v[30:31], off
	;; [unrolled: 1-line block ×3, first 2 shown]
	s_load_dword s20, s[42:43], 0x0
	ds_read2st64_b64 v[34:37], v69 offset1:1
	ds_read2st64_b64 v[88:91], v69 offset0:2 offset1:3
	ds_read_b64 v[38:39], v64 offset:24576
	ds_read_b64 v[40:41], v66 offset:24576
	;; [unrolled: 1-line block ×4, first 2 shown]
	s_waitcnt lgkmcnt(0)
	v_mfma_f32_16x16x16_bf16 a[0:3], v[38:39], v[34:35], a[0:3]
	v_mov_b32_e32 v86, 0
	v_mov_b32_e32 v26, 0
	v_mov_b32_e32 v27, 0
	v_mfma_f32_16x16x16_bf16 a[0:3], v[40:41], v[36:37], a[0:3]
	v_mov_b32_e32 v28, 0
	v_mov_b32_e32 v29, 0
	v_mov_b32_e32 v30, 0
	;; [unrolled: 4-line block ×4, first 2 shown]
	v_mov_b32_e32 v37, 0
	v_mov_b32_e32 v38, 0
	;; [unrolled: 1-line block ×4, first 2 shown]
	v_accvgpr_read_b32 v91, a1
	v_accvgpr_read_b32 v89, a3
	;; [unrolled: 1-line block ×4, first 2 shown]
	s_and_b64 vcc, exec, s[0:1]
	s_waitcnt vmcnt(7)
	v_lshlrev_b32_e32 v92, 16, v87
	s_waitcnt vmcnt(6)
	v_lshlrev_b32_e32 v93, 16, v96
	;; [unrolled: 2-line block ×4, first 2 shown]
	v_pk_add_f32 v[90:91], v[92:93], v[90:91] neg_lo:[0,1] neg_hi:[0,1]
	s_waitcnt vmcnt(3)
	v_sub_f32_e32 v41, s20, v99
	v_exp_f32_e32 v96, v41
	s_waitcnt vmcnt(2)
	v_sub_f32_e32 v41, s20, v100
	s_waitcnt vmcnt(1)
	v_sub_f32_e32 v87, s20, v101
	;; [unrolled: 2-line block ×3, first 2 shown]
	v_exp_f32_e32 v97, v41
	v_exp_f32_e32 v98, v87
	;; [unrolled: 1-line block ×3, first 2 shown]
	v_pk_add_f32 v[88:89], v[94:95], v[88:89] neg_lo:[0,1] neg_hi:[0,1]
	v_pk_mul_f32 v[90:91], v[96:97], v[90:91]
	v_mov_b32_e32 v41, 0
	v_pk_mul_f32 v[88:89], v[98:99], v[88:89]
	s_nop 0
	v_perm_b32 v89, v89, v88, s3
	v_perm_b32 v88, v91, v90, s3
	ds_write_b64 v61, v[88:89]
	s_cbranch_vccnz .LBB574_14
; %bb.13:                               ;   in Loop: Header=BB574_6 Depth=1
	s_and_b32 s25, s25, 0xffff
	s_mov_b32 s27, s23
	buffer_load_dwordx4 v[38:41], v76, s[24:27], 0 offen
	buffer_load_dwordx4 v[30:33], v76, s[24:27], s56 offen
	;; [unrolled: 1-line block ×4, first 2 shown]
	v_mov_b32_e32 v85, v55
	v_mov_b32_e32 v86, v54
.LBB574_14:                             ;   in Loop: Header=BB574_6 Depth=1
	s_waitcnt lgkmcnt(0)
	s_barrier
	ds_read_b64 v[96:97], v79
	ds_read2st64_b64 v[88:91], v69 offset1:1
	ds_read2st64_b64 v[92:95], v69 offset0:2 offset1:3
	ds_read_b64 v[98:99], v80
	ds_read_b64 v[100:101], v81
	;; [unrolled: 1-line block ×3, first 2 shown]
	s_waitcnt lgkmcnt(4)
	v_mfma_f32_16x16x16_bf16 a[0:3], v[96:97], v[88:89], 0
	ds_read_b64 v[96:97], v72 offset:8192
	ds_read_b64 v[104:105], v73 offset:8192
	s_add_i32 s21, s50, s62
	s_mul_hi_i32 s25, s21, s13
	s_waitcnt lgkmcnt(1)
	v_mfma_f32_16x16x16_bf16 a[4:7], v[96:97], v[88:89], 0
	s_mul_i32 s21, s21, s13
	s_add_u32 s24, s21, s33
	s_addc_u32 s25, s25, s54
	v_mfma_f32_16x16x16_bf16 a[0:3], v[98:99], v[90:91], a[0:3]
	ds_read_b64 v[96:97], v70
	ds_read_b64 v[98:99], v71
	ds_read_b64 v[88:89], v74 offset:8192
	s_lshl_b64 s[24:25], s[24:25], 15
	v_mfma_f32_16x16x16_bf16 a[0:3], v[100:101], v[92:93], a[0:3]
	ds_read_b64 v[100:101], v75 offset:8192
	s_and_b64 vcc, exec, s[0:1]
	s_waitcnt lgkmcnt(4)
	v_mfma_f32_16x16x16_bf16 a[4:7], v[104:105], v[90:91], a[4:7]
	s_waitcnt lgkmcnt(1)
	v_mfma_f32_16x16x16_bf16 a[4:7], v[88:89], v[92:93], a[4:7]
	v_lshl_add_u64 v[88:89], v[42:43], 0, s[24:25]
	global_store_dwordx4 v[88:89], v[96:99], off
	v_mfma_f32_16x16x16_bf16 a[0:3], v[102:103], v[94:95], a[0:3]
	s_waitcnt lgkmcnt(0)
	v_mfma_f32_16x16x16_bf16 a[4:7], v[100:101], v[94:95], a[4:7]
	s_cbranch_vccnz .LBB574_16
; %bb.15:                               ;   in Loop: Header=BB574_6 Depth=1
	v_lshrrev_b32_e32 v87, 3, v85
	v_and_b32_e32 v87, 6, v87
	v_xor_b32_e32 v86, v87, v86
	v_lshlrev_b32_e32 v86, 2, v86
	v_and_b32_e32 v85, 8, v85
	v_xor_b32_e32 v88, 0x440, v86
	v_cmp_eq_u32_e32 vcc, 0, v85
	s_barrier
	s_nop 0
	v_cndmask_b32_e32 v85, v88, v86, vcc
	v_lshl_or_b32 v85, v87, 10, v85
	s_waitcnt vmcnt(2)
	v_perm_b32 v86, v38, v34, s58
	s_waitcnt vmcnt(1)
	v_perm_b32 v87, v30, v26, s58
	ds_write2st64_b32 v85, v86, v87 offset1:32
	v_xor_b32_e32 v86, 8, v85
	v_perm_b32 v34, v38, v34, s59
	v_perm_b32 v26, v30, v26, s59
	v_add_u32_e32 v30, 0x80, v86
	ds_write2st64_b32 v30, v34, v26 offset1:32
	v_xor_b32_e32 v26, 16, v85
	v_perm_b32 v30, v39, v35, s58
	v_perm_b32 v34, v31, v27, s58
	ds_write2st64_b32 v26, v30, v34 offset0:1 offset1:33
	v_xor_b32_e32 v26, 24, v85
	v_perm_b32 v30, v39, v35, s59
	v_perm_b32 v27, v31, v27, s59
	v_add_u32_e32 v26, 0x80, v26
	ds_write2st64_b32 v26, v30, v27 offset0:1 offset1:33
	v_xor_b32_e32 v26, 32, v85
	v_perm_b32 v27, v40, v36, s58
	v_perm_b32 v30, v32, v28, s58
	ds_write2st64_b32 v26, v27, v30 offset0:2 offset1:34
	v_xor_b32_e32 v26, 40, v85
	v_perm_b32 v27, v40, v36, s59
	v_perm_b32 v28, v32, v28, s59
	v_add_u32_e32 v26, 0x80, v26
	ds_write2st64_b32 v26, v27, v28 offset0:2 offset1:34
	;; [unrolled: 9-line block ×3, first 2 shown]
	ds_write_b64 v9, v[22:23] offset:16384
	v_xor_b32_e32 v22, 8, v9
	ds_write_b64 v22, v[24:25] offset:16384
	ds_write_b64 v9, v[18:19] offset:24576
	;; [unrolled: 1-line block ×4, first 2 shown]
	v_xor_b32_e32 v9, 8, v5
	ds_write_b64 v9, v[16:17] offset:16384
	ds_write_b64 v5, v[10:11] offset:24576
	;; [unrolled: 1-line block ×3, first 2 shown]
.LBB574_16:                             ;   in Loop: Header=BB574_6 Depth=1
	v_exp_f32_e32 v10, s20
	s_nop 2
	v_accvgpr_read_b32 v9, a1
	v_accvgpr_read_b32 v5, a0
	s_add_i32 s57, s57, 64
	v_fma_f32 v3, v3, v10, v9
	v_accvgpr_read_b32 v9, a4
	v_fma_f32 v6, v6, v10, v9
	v_accvgpr_read_b32 v9, a5
	;; [unrolled: 2-line block ×6, first 2 shown]
	v_fmac_f32_e32 v5, v84, v10
	s_cmp_eq_u32 s48, s35
	v_fmac_f32_e32 v9, v83, v10
	s_cbranch_scc1 .LBB574_18
; %bb.17:                               ;   in Loop: Header=BB574_6 Depth=1
	s_mov_b32 s62, s35
	v_mov_b32_e32 v84, v5
	v_mov_b32_e32 v83, v9
	s_branch .LBB574_6
.LBB574_18:
	s_lshl_b32 s42, s48, 6
	s_sub_i32 s43, s12, s42
	s_cmp_gt_i32 s43, 0
	s_waitcnt vmcnt(2)
	v_or_b32_e32 v34, s2, v50
	s_cbranch_scc1 .LBB574_20
; %bb.19:
	s_ashr_i32 s0, s33, 31
	s_add_u32 s24, s45, s33
	s_addc_u32 s25, s51, s0
	v_or_b32_e32 v10, s2, v50
	s_cbranch_execz .LBB574_21
	s_branch .LBB574_77
.LBB574_20:
                                        ; implicit-def: $sgpr24_sgpr25
                                        ; implicit-def: $vgpr10
.LBB574_21:
	s_ashr_i32 s35, s47, 31
	s_ashr_i32 s3, s42, 31
	s_cmpk_lg_i32 s15, 0x80
	s_cselect_b64 s[38:39], -1, 0
	s_and_b64 vcc, exec, s[38:39]
	s_cbranch_vccz .LBB574_23
; %bb.22:
	s_mul_i32 s1, s47, s12
	s_mul_hi_i32 s0, s47, s12
	s_add_u32 s1, s1, s42
	s_addc_u32 s0, s0, s3
	s_mul_i32 s20, s1, s49
	s_mul_hi_u32 s21, s1, s14
	s_add_i32 s20, s21, s20
	s_mul_i32 s0, s0, s14
	s_add_i32 s20, s20, s0
	s_mul_i32 s1, s1, s14
	s_ashr_i32 s0, s52, 31
	s_add_u32 s40, s1, s52
	s_addc_u32 s41, s20, s0
	s_cbranch_execz .LBB574_24
	s_branch .LBB574_25
.LBB574_23:
                                        ; implicit-def: $sgpr40_sgpr41
.LBB574_24:
	s_mul_hi_i32 s0, s47, s14
	s_mul_i32 s47, s47, s14
	s_ashr_i32 s1, s52, 31
	s_add_u32 s14, s47, s52
	s_addc_u32 s0, s0, s1
	s_mul_i32 s1, s14, s46
	s_mul_hi_u32 s20, s14, s12
	s_add_i32 s1, s20, s1
	s_mul_i32 s0, s0, s12
	s_add_i32 s1, s1, s0
	s_mul_i32 s14, s14, s12
	s_add_u32 s40, s14, s42
	s_addc_u32 s41, s1, s3
.LBB574_25:
	s_add_i32 s20, s50, s48
	s_ashr_i32 s14, s33, 31
	s_add_u32 s24, s45, s33
	s_addc_u32 s25, s51, s14
	s_mul_i32 s0, s24, s46
	s_mul_hi_u32 s1, s24, s12
	s_add_i32 s0, s1, s0
	s_mul_i32 s1, s25, s12
	s_add_i32 s1, s0, s1
	s_mul_i32 s0, s24, s12
	s_add_u32 s0, s0, s42
	s_addc_u32 s1, s1, s3
	s_mov_b32 s3, 0x7060302
	v_lshlrev_b32_e32 v14, 3, v50
	s_lshl_b64 s[26:27], s[0:1], 8
	v_perm_b32 v11, v5, v4, s3
	v_perm_b32 v10, v3, v2, s3
	;; [unrolled: 1-line block ×4, first 2 shown]
	v_lshlrev_b32_e32 v44, 2, v50
	v_lshl_or_b32 v14, v1, 5, v14
	s_add_u32 s0, s6, s26
	ds_write2st64_b64 v14, v[10:11], v[12:13] offset0:72 offset1:76
	v_xor_b32_e32 v14, v1, v44
	v_lshlrev_b32_e32 v15, 8, v50
	s_addc_u32 s1, s7, s27
	v_lshl_or_b32 v14, v14, 1, v15
	s_mul_hi_i32 s3, s20, s13
	s_mul_i32 s20, s20, s13
	ds_write_b64 v14, v[10:11] offset:32768
	v_xor_b32_e32 v10, v53, v44
	s_add_u32 s6, s20, s33
	v_lshl_or_b32 v10, v10, 1, v15
	s_addc_u32 s7, s3, s14
	v_lshlrev_b32_e32 v11, 1, v50
	ds_write_b64 v10, v[12:13] offset:32768
	v_lshrrev_b32_e32 v10, 4, v0
	s_ashr_i32 s3, s2, 31
	s_lshl_b64 s[6:7], s[6:7], 15
	v_or_b32_e32 v12, 1, v11
	s_waitcnt lgkmcnt(0)
	s_add_u32 s6, s36, s6
	v_xor_b32_e32 v11, v10, v11
	v_xor_b32_e32 v12, v12, v10
	v_lshlrev_b32_e32 v14, 8, v10
	s_addc_u32 s7, s37, s7
	s_lshl_b64 s[2:3], s[2:3], 8
	v_lshl_or_b32 v10, v11, 3, v14
	v_lshl_or_b32 v12, v12, 3, v14
	s_barrier
	s_add_u32 s2, s6, s2
	ds_read_b64 v[10:11], v10 offset:32768
	ds_read_b64 v[12:13], v12 offset:32768
	s_addc_u32 s3, s7, s3
	v_mov_b32_e32 v15, 0
	s_cmp_lg_u32 s43, 64
	v_lshl_add_u64 v[16:17], s[2:3], 0, v[14:15]
	v_lshlrev_b32_e32 v14, 4, v50
	s_cselect_b64 s[6:7], -1, 0
	v_lshl_or_b32 v35, v46, 3, v52
	s_mov_b32 s20, 0
	v_lshl_add_u64 v[14:15], v[16:17], 0, v[14:15]
	s_waitcnt vmcnt(1)
	v_or_b32_e32 v27, 32, v35
	v_and_b32_e32 v26, 56, v51
	s_and_b64 vcc, exec, s[6:7]
	s_waitcnt lgkmcnt(0)
	global_store_dwordx4 v[14:15], v[10:13], off
	s_cbranch_vccz .LBB574_31
; %bb.26:
	s_mov_b32 s21, s20
	s_mov_b32 s22, s20
	;; [unrolled: 1-line block ×3, first 2 shown]
	v_mov_b64_e32 v[14:15], s[20:21]
	v_mov_b64_e32 v[16:17], s[22:23]
	;; [unrolled: 1-line block ×3, first 2 shown]
	v_cmp_gt_i32_e32 vcc, s43, v35
	v_mov_b64_e32 v[12:13], v[16:17]
	s_and_saveexec_b64 s[2:3], vcc
	s_cbranch_execz .LBB574_28
; %bb.27:
	v_lshlrev_b32_e32 v10, 8, v35
	v_mov_b32_e32 v11, 0
	v_lshl_add_u64 v[12:13], s[0:1], 0, v[10:11]
	v_lshlrev_b32_e32 v10, 1, v26
	v_lshl_add_u64 v[18:19], v[12:13], 0, v[10:11]
	global_load_dwordx4 v[14:17], v[18:19], off
	global_load_dwordx4 v[10:13], v[18:19], off offset:128
.LBB574_28:
	s_or_b64 exec, exec, s[2:3]
	s_mov_b32 s22, s20
	s_mov_b32 s23, s20
	;; [unrolled: 1-line block ×3, first 2 shown]
	v_mov_b64_e32 v[24:25], s[22:23]
	v_mov_b64_e32 v[22:23], s[20:21]
	v_mov_b64_e32 v[18:19], v[22:23]
	v_cmp_gt_i32_e32 vcc, s43, v27
	v_lshlrev_b32_e32 v28, 7, v27
	v_mov_b64_e32 v[20:21], v[24:25]
	s_and_saveexec_b64 s[2:3], vcc
	s_cbranch_execz .LBB574_30
; %bb.29:
	v_lshlrev_b32_e32 v18, 1, v28
	v_mov_b32_e32 v19, 0
	v_lshl_add_u64 v[20:21], s[0:1], 0, v[18:19]
	v_lshlrev_b32_e32 v18, 1, v26
	v_lshl_add_u64 v[30:31], v[20:21], 0, v[18:19]
	global_load_dwordx4 v[22:25], v[30:31], off
	global_load_dwordx4 v[18:21], v[30:31], off offset:128
.LBB574_30:
	s_or_b64 exec, exec, s[2:3]
	v_lshrrev_b32_e32 v29, 3, v26
	v_lshlrev_b32_e32 v30, 3, v35
	v_or_b32_e32 v29, v30, v29
	v_lshlrev_b32_e32 v29, 4, v29
	v_and_b32_e32 v30, 0x78, v30
	v_xor_b32_e32 v29, v29, v30
	s_branch .LBB574_33
.LBB574_31:
                                        ; implicit-def: $vgpr29
                                        ; implicit-def: $vgpr28
                                        ; implicit-def: $vgpr14_vgpr15_vgpr16_vgpr17
                                        ; implicit-def: $vgpr10_vgpr11_vgpr12_vgpr13
                                        ; implicit-def: $vgpr22_vgpr23_vgpr24_vgpr25
                                        ; implicit-def: $vgpr18_vgpr19_vgpr20_vgpr21
	s_cbranch_execz .LBB574_33
; %bb.32:
	s_waitcnt vmcnt(0)
	v_lshlrev_b32_e32 v10, 1, v26
	v_lshl_or_b32 v28, v35, 8, v10
	s_and_b32 s1, s1, 0xffff
	s_mov_b32 s3, 0x20000
	s_movk_i32 s2, 0x4000
	v_lshl_or_b32 v29, v27, 8, v10
	s_movk_i32 s13, 0x80
	buffer_load_dwordx4 v[14:17], v28, s[0:3], 0 offen
	buffer_load_dwordx4 v[10:13], v28, s[0:3], s13 offen
	buffer_load_dwordx4 v[22:25], v29, s[0:3], 0 offen
	buffer_load_dwordx4 v[18:21], v29, s[0:3], s13 offen
	v_lshrrev_b32_e32 v28, 3, v26
	v_lshlrev_b32_e32 v29, 3, v35
	v_or_b32_e32 v28, v29, v28
	v_lshlrev_b32_e32 v28, 4, v28
	v_and_b32_e32 v29, 0x78, v29
	v_xor_b32_e32 v29, v28, v29
	v_lshlrev_b32_e32 v28, 7, v27
.LBB574_33:
	s_lshl_b64 s[0:1], s[40:41], 8
	s_add_u32 s4, s4, s0
	s_movk_i32 s0, 0x1000
	v_and_or_b32 v27, v28, s0, v29
	s_waitcnt vmcnt(1)
	ds_write_b64 v29, v[14:15] offset:16384
	v_xor_b32_e32 v14, 8, v29
	s_addc_u32 s5, s5, s1
	ds_write_b64 v14, v[16:17] offset:16384
	s_waitcnt vmcnt(0)
	ds_write_b64 v29, v[10:11] offset:24576
	ds_write_b64 v14, v[12:13] offset:24576
	;; [unrolled: 1-line block ×3, first 2 shown]
	v_xor_b32_e32 v10, 8, v27
	s_add_i32 s0, s44, s17
	s_mul_i32 s35, s35, s16
	ds_write_b64 v10, v[24:25] offset:16384
	ds_write_b64 v27, v[18:19] offset:24576
	;; [unrolled: 1-line block ×3, first 2 shown]
	s_add_i32 s35, s0, s35
	s_mul_i32 s0, s33, s19
	s_mul_hi_u32 s1, s33, s18
	v_or_b32_e32 v10, v47, v50
	s_add_i32 s0, s1, s0
	s_mul_i32 s1, s14, s18
	v_lshlrev_b32_e32 v10, 3, v10
	v_lshrrev_b32_e32 v12, 5, v48
	s_movk_i32 s14, 0xf8
	v_and_or_b32 v12, v10, s14, v12
	v_lshlrev_b32_e32 v45, 11, v46
	v_lshlrev_b32_e32 v20, 4, v12
	v_and_b32_e32 v21, 0x78, v10
	v_and_b32_e32 v22, 0x1000, v45
	v_lshlrev_b32_e32 v11, 2, v0
	v_xor_b32_e32 v10, v20, v21
	v_lshrrev_b32_e32 v12, 1, v48
	v_and_b32_e32 v11, 60, v11
	v_or_b32_e32 v10, v10, v22
	v_and_b32_e32 v23, 8, v12
	v_xor_b32_e32 v36, v10, v23
	v_lshl_or_b32 v10, v49, 6, v11
	v_lshlrev_b32_e32 v49, 1, v10
	v_or_b32_e32 v10, 32, v20
	v_xor_b32_e32 v10, v10, v21
	s_waitcnt lgkmcnt(0)
	s_barrier
	ds_read_b64 v[18:19], v36 offset:16384
	v_or_b32_e32 v10, v10, v22
	v_xor_b32_e32 v37, v10, v23
	v_or_b32_e32 v10, 64, v20
	v_xor_b32_e32 v10, v10, v21
	v_or_b32_e32 v10, v10, v22
	v_or_b32_e32 v20, 0x60, v20
	v_xor_b32_e32 v38, v10, v23
	ds_read2st64_b64 v[10:13], v49 offset0:72 offset1:73
	ds_read2st64_b64 v[14:17], v49 offset0:74 offset1:75
	v_xor_b32_e32 v24, v20, v21
	ds_read_b64 v[20:21], v37 offset:16384
	s_waitcnt lgkmcnt(2)
	v_mfma_f32_16x16x16_bf16 a[0:3], v[18:19], v[10:11], 0
	s_add_i32 s2, s12, -1
	s_ashr_i32 s3, s2, 31
	s_mul_i32 s12, s2, s31
	s_mul_hi_u32 s13, s2, s30
	s_add_i32 s12, s13, s12
	s_mul_i32 s3, s3, s30
	v_or_b32_e32 v22, v24, v22
	s_add_i32 s1, s0, s1
	s_add_i32 s3, s12, s3
	s_lshl_b64 s[12:13], s[34:35], 2
	v_xor_b32_e32 v50, v22, v23
	ds_read_b64 v[22:23], v38 offset:16384
	ds_read_b64 v[24:25], v50 offset:16384
	s_waitcnt lgkmcnt(2)
	v_mfma_f32_16x16x16_bf16 a[0:3], v[20:21], v[12:13], a[0:3]
	s_mul_i32 s0, s33, s18
	s_add_u32 s10, s10, s12
	s_addc_u32 s11, s11, s13
	s_lshl_b64 s[0:1], s[0:1], 2
	s_mul_i32 s2, s2, s30
	s_add_u32 s10, s10, s0
	s_addc_u32 s11, s11, s1
	s_lshl_b64 s[0:1], s[2:3], 2
	s_waitcnt lgkmcnt(1)
	v_mfma_f32_16x16x16_bf16 a[0:3], v[22:23], v[14:15], a[0:3]
	s_add_u32 s0, s10, s0
	s_addc_u32 s1, s11, s1
	s_load_dword s12, s[0:1], 0x0
	s_waitcnt lgkmcnt(0)
	v_mfma_f32_16x16x16_bf16 a[0:3], v[24:25], v[16:17], a[0:3]
	s_and_b64 vcc, exec, s[38:39]
	s_cbranch_vccz .LBB574_44
; %bb.34:
	v_lshlrev_b32_e32 v27, 1, v35
	s_and_b64 vcc, exec, s[6:7]
	s_cbranch_vccz .LBB574_45
; %bb.35:
	v_cmp_gt_i32_e32 vcc, s43, v27
	v_mov_b32_e32 v14, 0
	v_mov_b32_e32 v10, 0
	;; [unrolled: 1-line block ×5, first 2 shown]
	s_and_saveexec_b64 s[0:1], vcc
	s_cbranch_execz .LBB574_37
; %bb.36:
	v_mad_i64_i32 v[10:11], s[2:3], s15, v27, 0
	v_lshl_add_u64 v[10:11], v[10:11], 1, s[4:5]
	v_lshlrev_b32_e32 v12, 1, v26
	v_mov_b32_e32 v13, 0
	v_lshl_add_u64 v[10:11], v[10:11], 0, v[12:13]
	global_load_dwordx4 v[10:13], v[10:11], off
.LBB574_37:
	s_or_b64 exec, exec, s[0:1]
	v_or_b32_e32 v28, 1, v27
	v_cmp_gt_i32_e64 s[0:1], s43, v28
	v_mov_b32_e32 v15, 0
	v_mov_b32_e32 v16, 0
	v_mov_b32_e32 v17, 0
	s_and_saveexec_b64 s[2:3], s[0:1]
	s_cbranch_execz .LBB574_39
; %bb.38:
	v_mad_i64_i32 v[14:15], s[16:17], s15, v28, 0
	v_lshl_add_u64 v[14:15], v[14:15], 1, s[4:5]
	v_lshlrev_b32_e32 v16, 1, v26
	v_mov_b32_e32 v17, 0
	v_lshl_add_u64 v[14:15], v[14:15], 0, v[16:17]
	global_load_dwordx4 v[14:17], v[14:15], off
.LBB574_39:
	s_or_b64 exec, exec, s[2:3]
	v_mov_b32_e32 v25, 0
	v_mov_b32_e32 v18, 0
	;; [unrolled: 1-line block ×5, first 2 shown]
	s_and_saveexec_b64 s[2:3], vcc
	s_cbranch_execz .LBB574_41
; %bb.40:
	v_mad_i64_i32 v[18:19], s[16:17], s15, v27, 0
	v_lshl_add_u64 v[18:19], v[18:19], 1, s[4:5]
	v_lshlrev_b32_e32 v20, 1, v26
	v_mov_b32_e32 v21, 0
	v_lshl_add_u64 v[18:19], v[18:19], 0, v[20:21]
	global_load_dwordx4 v[18:21], v[18:19], off offset:128
.LBB574_41:
	s_or_b64 exec, exec, s[2:3]
	v_mov_b32_e32 v24, 0
	v_mov_b32_e32 v23, 0
	;; [unrolled: 1-line block ×3, first 2 shown]
	s_and_saveexec_b64 s[2:3], s[0:1]
	s_cbranch_execz .LBB574_43
; %bb.42:
	v_mad_i64_i32 v[22:23], s[0:1], s15, v28, 0
	v_lshl_add_u64 v[22:23], v[22:23], 1, s[4:5]
	v_lshlrev_b32_e32 v24, 1, v26
	v_mov_b32_e32 v25, 0
	v_lshl_add_u64 v[22:23], v[22:23], 0, v[24:25]
	global_load_dwordx4 v[22:25], v[22:23], off offset:128
.LBB574_43:
	s_or_b64 exec, exec, s[2:3]
	s_branch .LBB574_47
.LBB574_44:
                                        ; implicit-def: $vgpr13
                                        ; implicit-def: $vgpr17
                                        ; implicit-def: $vgpr21
                                        ; implicit-def: $vgpr25
	v_lshrrev_b32_e32 v48, 2, v48
	s_branch .LBB574_48
.LBB574_45:
                                        ; implicit-def: $vgpr13
                                        ; implicit-def: $vgpr17
                                        ; implicit-def: $vgpr21
                                        ; implicit-def: $vgpr25
	s_cbranch_execz .LBB574_47
; %bb.46:
	s_waitcnt vmcnt(0)
	v_mad_u64_u32 v[10:11], s[0:1], v27, s15, v[26:27]
	v_lshlrev_b32_e32 v27, 1, v10
	s_lshl_b32 s2, s15, 7
	s_and_b32 s1, s5, 0xffff
	s_mov_b32 s3, 0x20000
	s_mov_b32 s0, s4
	v_add_lshl_u32 v28, v10, s15, 1
	s_movk_i32 s13, 0x80
	buffer_load_dwordx4 v[10:13], v27, s[0:3], 0 offen
	buffer_load_dwordx4 v[18:21], v27, s[0:3], s13 offen
	;; [unrolled: 1-line block ×4, first 2 shown]
.LBB574_47:
	v_lshrrev_b32_e32 v48, 2, v48
	s_cbranch_execnz .LBB574_60
.LBB574_48:
	s_and_b64 vcc, exec, s[6:7]
	s_cbranch_vccz .LBB574_58
; %bb.49:
	s_waitcnt vmcnt(0)
	v_lshlrev_b32_e32 v15, 1, v35
	v_cmp_gt_i32_e32 vcc, s43, v15
	v_mov_b32_e32 v14, 0
	v_lshlrev_b32_e32 v22, 9, v35
	v_mov_b32_e32 v10, 0
	v_mov_b32_e32 v11, 0
	;; [unrolled: 1-line block ×4, first 2 shown]
	s_and_saveexec_b64 s[0:1], vcc
	s_cbranch_execz .LBB574_51
; %bb.50:
	v_mov_b32_e32 v23, 0
	v_lshl_add_u64 v[10:11], s[4:5], 0, v[22:23]
	v_lshlrev_b32_e32 v12, 1, v26
	v_mov_b32_e32 v13, v23
	v_lshl_add_u64 v[10:11], v[10:11], 0, v[12:13]
	global_load_dwordx4 v[10:13], v[10:11], off
.LBB574_51:
	s_or_b64 exec, exec, s[0:1]
	v_or_b32_e32 v15, 1, v15
	v_cmp_gt_i32_e64 s[0:1], s43, v15
	v_lshlrev_b32_e32 v28, 8, v15
	v_mov_b32_e32 v15, 0
	v_mov_b32_e32 v16, 0
	;; [unrolled: 1-line block ×3, first 2 shown]
	s_and_saveexec_b64 s[2:3], s[0:1]
	s_cbranch_execz .LBB574_53
; %bb.52:
	v_mov_b32_e32 v29, 0
	v_lshl_add_u64 v[14:15], s[4:5], 0, v[28:29]
	v_lshlrev_b32_e32 v16, 1, v26
	v_mov_b32_e32 v17, v29
	v_lshl_add_u64 v[14:15], v[14:15], 0, v[16:17]
	global_load_dwordx4 v[14:17], v[14:15], off
.LBB574_53:
	s_or_b64 exec, exec, s[2:3]
	v_mov_b32_e32 v25, 0
	v_mov_b32_e32 v18, 0
	;; [unrolled: 1-line block ×5, first 2 shown]
	s_and_saveexec_b64 s[2:3], vcc
	s_cbranch_execz .LBB574_55
; %bb.54:
	v_mov_b32_e32 v23, 0
	v_lshl_add_u64 v[18:19], s[4:5], 0, v[22:23]
	v_lshlrev_b32_e32 v22, 1, v26
	v_lshl_add_u64 v[18:19], v[18:19], 0, v[22:23]
	global_load_dwordx4 v[18:21], v[18:19], off offset:128
.LBB574_55:
	s_or_b64 exec, exec, s[2:3]
	v_mov_b32_e32 v24, 0
	v_mov_b32_e32 v23, 0
	v_mov_b32_e32 v22, 0
	s_and_saveexec_b64 s[2:3], s[0:1]
	s_cbranch_execz .LBB574_57
; %bb.56:
	v_mov_b32_e32 v29, 0
	v_lshl_add_u64 v[22:23], s[4:5], 0, v[28:29]
	v_lshlrev_b32_e32 v28, 1, v26
	v_lshl_add_u64 v[22:23], v[22:23], 0, v[28:29]
	global_load_dwordx4 v[22:25], v[22:23], off offset:128
.LBB574_57:
	s_or_b64 exec, exec, s[2:3]
	s_branch .LBB574_60
.LBB574_58:
                                        ; implicit-def: $vgpr13
                                        ; implicit-def: $vgpr17
                                        ; implicit-def: $vgpr21
                                        ; implicit-def: $vgpr25
	s_cbranch_execz .LBB574_60
; %bb.59:
	s_waitcnt vmcnt(0)
	v_lshlrev_b32_e32 v10, 1, v26
	v_lshl_or_b32 v26, v35, 9, v10
	s_and_b32 s5, s5, 0xffff
	s_mov_b32 s7, 0x20000
	s_movk_i32 s6, 0x4000
	s_movk_i32 s0, 0x80
	buffer_load_dwordx4 v[10:13], v26, s[4:7], 0 offen
	buffer_load_dwordx4 v[14:17], v26, s[4:7], 0 offen offset:256
	buffer_load_dwordx4 v[18:21], v26, s[4:7], s0 offen
	buffer_load_dwordx4 v[22:25], v26, s[4:7], s0 offen offset:256
.LBB574_60:
	ds_read2st64_b64 v[30:33], v49 offset0:76 offset1:77
	ds_read2st64_b64 v[26:29], v49 offset0:78 offset1:79
	ds_read_b64 v[40:41], v36 offset:24576
	ds_read_b64 v[42:43], v37 offset:24576
	;; [unrolled: 1-line block ×4, first 2 shown]
	v_and_b32_e32 v50, 6, v0
	v_xor_b32_e32 v35, v35, v50
	v_lshlrev_b32_e32 v35, 2, v35
	v_and_b32_e32 v51, 1, v0
	v_xor_b32_e32 v52, 0x440, v35
	v_cmp_eq_u32_e32 vcc, 0, v51
	s_mov_b32 s0, 0x1000504
	s_waitcnt vmcnt(0)
	v_perm_b32 v51, v18, v22, s0
	v_cndmask_b32_e32 v35, v52, v35, vcc
	v_lshl_or_b32 v35, v50, 10, v35
	v_perm_b32 v50, v10, v14, s0
	ds_write2st64_b32 v35, v50, v51 offset1:32
	v_xor_b32_e32 v50, 8, v35
	s_mov_b32 s1, 0x3020706
	v_perm_b32 v10, v10, v14, s1
	v_perm_b32 v14, v18, v22, s1
	v_add_u32_e32 v18, 0x80, v50
	ds_write2st64_b32 v18, v10, v14 offset1:32
	v_xor_b32_e32 v10, 16, v35
	v_perm_b32 v14, v11, v15, s0
	v_perm_b32 v18, v19, v23, s0
	ds_write2st64_b32 v10, v14, v18 offset0:1 offset1:33
	v_xor_b32_e32 v10, 24, v35
	v_perm_b32 v11, v11, v15, s1
	v_perm_b32 v14, v19, v23, s1
	v_add_u32_e32 v10, 0x80, v10
	ds_write2st64_b32 v10, v11, v14 offset0:1 offset1:33
	v_xor_b32_e32 v10, 32, v35
	v_perm_b32 v11, v12, v16, s0
	v_perm_b32 v14, v20, v24, s0
	ds_write2st64_b32 v10, v11, v14 offset0:2 offset1:34
	v_xor_b32_e32 v10, 40, v35
	v_perm_b32 v11, v12, v16, s1
	v_perm_b32 v12, v20, v24, s1
	v_add_u32_e32 v10, 0x80, v10
	ds_write2st64_b32 v10, v11, v12 offset0:2 offset1:34
	v_xor_b32_e32 v10, 48, v35
	v_perm_b32 v11, v13, v17, s0
	v_perm_b32 v12, v21, v25, s0
	ds_write2st64_b32 v10, v11, v12 offset0:3 offset1:35
	v_xor_b32_e32 v10, 56, v35
	v_and_or_b32 v16, v48, 12, v47
	v_perm_b32 v11, v13, v17, s1
	v_perm_b32 v12, v21, v25, s1
	v_add_u32_e32 v10, 0x80, v10
	v_cmp_gt_i32_e32 vcc, s43, v16
	v_mov_b32_e32 v17, 0
	v_mov_b32_e32 v21, 0
	ds_write2st64_b32 v10, v11, v12 offset0:3 offset1:35
	s_and_saveexec_b64 s[0:1], vcc
	s_cbranch_execz .LBB574_62
; %bb.61:
	v_add_u32_e32 v10, s42, v16
	v_ashrrev_i32_e32 v11, 31, v10
	v_mul_lo_u32 v12, v11, s30
	v_mul_lo_u32 v13, v10, s31
	v_mad_u64_u32 v[10:11], s[2:3], v10, s30, 0
	v_add3_u32 v11, v11, v13, v12
	v_lshl_add_u64 v[10:11], v[10:11], 2, s[10:11]
	global_load_dword v10, v[10:11], off
	s_waitcnt vmcnt(0)
	v_sub_f32_e32 v10, s12, v10
	v_exp_f32_e32 v21, v10
.LBB574_62:
	s_or_b64 exec, exec, s[0:1]
	v_or_b32_e32 v19, 1, v16
	v_cmp_gt_i32_e64 s[0:1], s43, v19
	s_and_saveexec_b64 s[2:3], s[0:1]
	s_cbranch_execz .LBB574_64
; %bb.63:
	v_add_u32_e32 v10, s42, v19
	v_ashrrev_i32_e32 v11, 31, v10
	v_mul_lo_u32 v12, v11, s30
	v_mul_lo_u32 v13, v10, s31
	v_mad_u64_u32 v[10:11], s[4:5], v10, s30, 0
	v_add3_u32 v11, v11, v13, v12
	v_lshl_add_u64 v[10:11], v[10:11], 2, s[10:11]
	global_load_dword v10, v[10:11], off
	s_waitcnt vmcnt(0)
	v_sub_f32_e32 v10, s12, v10
	v_exp_f32_e32 v17, v10
.LBB574_64:
	s_or_b64 exec, exec, s[2:3]
	v_or_b32_e32 v20, 2, v16
	v_cmp_gt_i32_e64 s[2:3], s43, v20
	v_mov_b32_e32 v18, 0
	v_mov_b32_e32 v23, 0
	s_and_saveexec_b64 s[4:5], s[2:3]
	s_cbranch_execz .LBB574_66
; %bb.65:
	v_add_u32_e32 v10, s42, v20
	v_ashrrev_i32_e32 v11, 31, v10
	v_mul_lo_u32 v12, v11, s30
	v_mul_lo_u32 v13, v10, s31
	v_mad_u64_u32 v[10:11], s[6:7], v10, s30, 0
	v_add3_u32 v11, v11, v13, v12
	v_lshl_add_u64 v[10:11], v[10:11], 2, s[10:11]
	global_load_dword v10, v[10:11], off
	s_waitcnt vmcnt(0)
	v_sub_f32_e32 v10, s12, v10
	v_exp_f32_e32 v23, v10
.LBB574_66:
	s_or_b64 exec, exec, s[4:5]
	v_or_b32_e32 v22, 3, v16
	v_cmp_gt_i32_e64 s[4:5], s43, v22
	s_and_saveexec_b64 s[6:7], s[4:5]
	s_cbranch_execz .LBB574_68
; %bb.67:
	v_add_u32_e32 v10, s42, v22
	v_ashrrev_i32_e32 v11, 31, v10
	v_mul_lo_u32 v12, v11, s30
	v_mul_lo_u32 v13, v10, s31
	v_mad_u64_u32 v[10:11], s[14:15], v10, s30, 0
	v_add3_u32 v11, v11, v13, v12
	v_lshl_add_u64 v[10:11], v[10:11], 2, s[10:11]
	global_load_dword v10, v[10:11], off
	s_waitcnt vmcnt(0)
	v_sub_f32_e32 v10, s12, v10
	v_exp_f32_e32 v18, v10
.LBB574_68:
	s_or_b64 exec, exec, s[6:7]
	s_waitcnt lgkmcnt(11)
	v_mfma_f32_16x16x16_bf16 a[0:3], v[40:41], v[30:31], a[0:3]
	s_add_u32 s6, s8, s26
	v_ashrrev_i32_e32 v35, 31, v34
	s_addc_u32 s7, s9, s27
	s_waitcnt lgkmcnt(10)
	v_mfma_f32_16x16x16_bf16 a[0:3], v[42:43], v[32:33], a[0:3]
	v_mov_b32_e32 v24, 0
	v_lshl_add_u64 v[14:15], v[34:35], 1, s[6:7]
	v_mov_b32_e32 v25, 0
	s_waitcnt lgkmcnt(9)
	v_mfma_f32_16x16x16_bf16 a[0:3], v[38:39], v[26:27], a[0:3]
	s_waitcnt lgkmcnt(8)
	v_mfma_f32_16x16x16_bf16 a[0:3], v[36:37], v[28:29], a[0:3]
	s_nop 6
	v_accvgpr_read_b32 v13, a3
	v_accvgpr_read_b32 v12, a2
	v_accvgpr_read_b32 v11, a1
	v_accvgpr_read_b32 v10, a0
	s_and_saveexec_b64 s[6:7], vcc
	s_cbranch_execz .LBB574_70
; %bb.69:
	v_lshlrev_b32_e32 v26, 8, v16
	v_mov_b32_e32 v27, 0
	v_lshl_add_u64 v[26:27], v[14:15], 0, v[26:27]
	global_load_ushort v25, v[26:27], off
	s_waitcnt vmcnt(0)
	v_lshlrev_b32_e32 v25, 16, v25
	v_sub_f32_e32 v10, v25, v10
	v_mul_f32_e32 v10, v21, v10
	v_lshrrev_b32_e32 v25, 16, v10
.LBB574_70:
	s_or_b64 exec, exec, s[6:7]
	s_and_saveexec_b64 s[6:7], s[0:1]
	s_cbranch_execz .LBB574_72
; %bb.71:
	v_lshlrev_b32_e32 v26, 8, v19
	v_mov_b32_e32 v27, 0
	v_lshl_add_u64 v[26:27], v[14:15], 0, v[26:27]
	global_load_ushort v10, v[26:27], off
	s_waitcnt vmcnt(0)
	v_lshlrev_b32_e32 v10, 16, v10
	v_sub_f32_e32 v10, v10, v11
	v_mul_f32_e32 v10, v17, v10
	v_lshrrev_b32_e32 v24, 16, v10
.LBB574_72:
	s_or_b64 exec, exec, s[6:7]
	v_mov_b32_e32 v11, 0
	v_mov_b32_e32 v17, 0
	s_and_saveexec_b64 s[0:1], s[2:3]
	s_cbranch_execz .LBB574_74
; %bb.73:
	v_lshlrev_b32_e32 v20, 8, v20
	v_mov_b32_e32 v21, 0
	v_lshl_add_u64 v[20:21], v[14:15], 0, v[20:21]
	global_load_ushort v10, v[20:21], off
	s_waitcnt vmcnt(0)
	v_lshlrev_b32_e32 v10, 16, v10
	v_sub_f32_e32 v10, v10, v12
	v_mul_f32_e32 v10, v23, v10
	v_lshrrev_b32_e32 v17, 16, v10
.LBB574_74:
	s_or_b64 exec, exec, s[0:1]
	v_or_b32_e32 v10, 0x9800, v49
	s_and_saveexec_b64 s[0:1], s[4:5]
	s_cbranch_execz .LBB574_76
; %bb.75:
	v_lshlrev_b32_e32 v20, 8, v22
	v_mov_b32_e32 v21, 0
	v_lshl_add_u64 v[14:15], v[14:15], 0, v[20:21]
	global_load_ushort v11, v[14:15], off
	s_waitcnt vmcnt(0)
	v_lshlrev_b32_e32 v11, 16, v11
	v_sub_f32_e32 v11, v11, v13
	v_mul_f32_e32 v11, v18, v11
	v_lshrrev_b32_e32 v11, 16, v11
.LBB574_76:
	s_or_b64 exec, exec, s[0:1]
	s_mov_b32 s0, 0x5040100
	v_perm_b32 v13, v11, v17, s0
	v_lshlrev_b32_e32 v11, 1, v44
	v_perm_b32 v12, v24, v25, s0
	v_lshl_or_b32 v11, v16, 5, v11
	s_movk_i32 s0, 0xff
	ds_write_b64 v11, v[12:13] offset:38912
	v_and_b32_e32 v11, 7, v0
	v_and_b32_e32 v12, 8, v0
	v_cmp_lt_u32_e32 vcc, s0, v0
	v_lshrrev_b32_e32 v0, 1, v0
	v_lshlrev_b32_e32 v22, 3, v11
	v_lshlrev_b32_e32 v23, 7, v11
	v_cndmask_b32_e64 v11, 0, 1, vcc
	v_lshlrev_b32_e32 v25, 3, v46
	v_and_b32_e32 v0, 24, v0
	v_lshlrev_b32_e32 v24, 13, v11
	v_xor_b32_e32 v11, v25, v0
	v_or_b32_e32 v13, 0x440, v11
	v_cmp_eq_u32_e32 vcc, 0, v12
	s_waitcnt lgkmcnt(0)
	s_barrier
	v_cndmask_b32_e32 v11, v13, v11, vcc
	v_or_b32_e32 v11, v11, v45
	v_xad_u32 v26, v11, v22, v23
	v_add_u32_e32 v11, v24, v26
	ds_read_b64 v[20:21], v11
	ds_read2st64_b64 v[12:15], v10 offset1:1
	ds_read2st64_b64 v[16:19], v10 offset0:2 offset1:3
	v_or_b32_e32 v10, 32, v0
	v_xor_b32_e32 v10, v25, v10
	v_or_b32_e32 v11, 0x440, v10
	v_cndmask_b32_e32 v10, v11, v10, vcc
	v_or_b32_e32 v10, v10, v45
	v_xad_u32 v27, v10, v22, v23
	v_add_u32_e32 v10, v24, v27
	ds_read_b64 v[10:11], v10
	s_waitcnt lgkmcnt(2)
	v_mfma_f32_16x16x16_bf16 a[0:3], v[20:21], v[12:13], 0
	s_waitcnt lgkmcnt(0)
	v_mfma_f32_16x16x16_bf16 a[0:3], v[10:11], v[14:15], a[0:3]
	v_or_b32_e32 v10, 64, v0
	v_xor_b32_e32 v10, v25, v10
	v_xor_b32_e32 v11, 0x440, v10
	v_cndmask_b32_e32 v10, v11, v10, vcc
	v_or_b32_e32 v10, v10, v45
	v_or_b32_e32 v0, 0x60, v0
	v_xad_u32 v28, v10, v22, v23
	v_xor_b32_e32 v0, v25, v0
	v_add_u32_e32 v10, v24, v28
	v_xor_b32_e32 v20, 0x440, v0
	ds_read_b64 v[10:11], v10
	v_cndmask_b32_e32 v0, v20, v0, vcc
	v_or_b32_e32 v0, v0, v45
	v_xad_u32 v0, v0, v22, v23
	v_add_u32_e32 v20, v24, v0
	ds_read_b64 v[20:21], v20
	s_waitcnt lgkmcnt(1)
	v_mfma_f32_16x16x16_bf16 a[0:3], v[10:11], v[16:17], a[0:3]
	ds_read_b64 v[10:11], v26 offset:8192
	ds_read_b64 v[22:23], v28 offset:8192
	v_exp_f32_e32 v24, s12
	s_waitcnt lgkmcnt(2)
	v_mfma_f32_16x16x16_bf16 a[0:3], v[20:21], v[18:19], a[0:3]
	ds_read_b64 v[20:21], v27 offset:8192
	s_waitcnt lgkmcnt(2)
	v_mfma_f32_16x16x16_bf16 a[4:7], v[10:11], v[12:13], 0
	s_nop 3
	v_accvgpr_read_b32 v10, a0
	v_fma_f32 v12, v2, v24, v10
	ds_read_b64 v[10:11], v0 offset:8192
	s_waitcnt lgkmcnt(1)
	v_mfma_f32_16x16x16_bf16 a[4:7], v[20:21], v[14:15], a[4:7]
	v_accvgpr_read_b32 v0, a1
	v_fma_f32 v13, v3, v24, v0
	v_accvgpr_read_b32 v0, a2
	v_mfma_f32_16x16x16_bf16 a[4:7], v[22:23], v[16:17], a[4:7]
	v_accvgpr_read_b32 v15, a3
	v_fma_f32 v14, v4, v24, v0
	v_fmac_f32_e32 v15, v5, v24
	s_waitcnt lgkmcnt(0)
	v_mfma_f32_16x16x16_bf16 a[0:3], v[10:11], v[18:19], a[4:7]
	v_mov_b32_e32 v10, v34
	s_nop 5
	v_accvgpr_read_b32 v0, a0
	v_fma_f32 v16, v6, v24, v0
	v_accvgpr_read_b32 v0, a1
	v_fma_f32 v17, v7, v24, v0
	v_accvgpr_read_b32 v0, a2
	v_accvgpr_read_b32 v19, a3
	v_fma_f32 v18, v8, v24, v0
	v_fmac_f32_e32 v19, v9, v24
	v_mov_b64_e32 v[2:3], v[12:13]
	v_mov_b64_e32 v[4:5], v[14:15]
	;; [unrolled: 1-line block ×4, first 2 shown]
.LBB574_77:
	s_lshl_b64 s[0:1], s[24:25], 15
	s_waitcnt lgkmcnt(0)
	s_add_u32 s0, s28, s0
	v_lshlrev_b32_e32 v10, 7, v10
	s_addc_u32 s1, s29, s1
	v_ashrrev_i32_e32 v11, 31, v10
	v_lshl_add_u64 v[10:11], v[10:11], 1, s[0:1]
	v_lshlrev_b32_e32 v0, 1, v1
	v_mov_b32_e32 v1, 0
	s_mov_b32 s0, 0x7060302
	v_lshl_add_u64 v[0:1], v[10:11], 0, v[0:1]
	v_perm_b32 v5, v5, v4, s0
	v_perm_b32 v4, v3, v2, s0
	v_perm_b32 v3, v9, v8, s0
	v_perm_b32 v2, v7, v6, s0
	global_store_dwordx2 v[0:1], v[4:5], off
	global_store_dwordx2 v[0:1], v[2:3], off offset:128
	s_endpgm
	.section	.rodata,"a",@progbits
	.p2align	6, 0x0
	.amdhsa_kernel _ZN12_GLOBAL__N_139chunk_gated_delta_rule_fwd_h_hip_kernelILi16ELb0ELb1ELb0ELb0ELb1ELb0ELb0ELb1EEEvPK12hip_bfloat16S3_S3_PKfS5_PKvPS1_S8_PvPKiSB_iiiiilll
		.amdhsa_group_segment_fixed_size 40960
		.amdhsa_private_segment_fixed_size 0
		.amdhsa_kernarg_size 136
		.amdhsa_user_sgpr_count 2
		.amdhsa_user_sgpr_dispatch_ptr 0
		.amdhsa_user_sgpr_queue_ptr 0
		.amdhsa_user_sgpr_kernarg_segment_ptr 1
		.amdhsa_user_sgpr_dispatch_id 0
		.amdhsa_user_sgpr_kernarg_preload_length 0
		.amdhsa_user_sgpr_kernarg_preload_offset 0
		.amdhsa_user_sgpr_private_segment_size 0
		.amdhsa_uses_dynamic_stack 0
		.amdhsa_enable_private_segment 0
		.amdhsa_system_sgpr_workgroup_id_x 1
		.amdhsa_system_sgpr_workgroup_id_y 1
		.amdhsa_system_sgpr_workgroup_id_z 0
		.amdhsa_system_sgpr_workgroup_info 0
		.amdhsa_system_vgpr_workitem_id 0
		.amdhsa_next_free_vgpr 116
		.amdhsa_next_free_sgpr 63
		.amdhsa_accum_offset 108
		.amdhsa_reserve_vcc 1
		.amdhsa_float_round_mode_32 0
		.amdhsa_float_round_mode_16_64 0
		.amdhsa_float_denorm_mode_32 3
		.amdhsa_float_denorm_mode_16_64 3
		.amdhsa_dx10_clamp 1
		.amdhsa_ieee_mode 1
		.amdhsa_fp16_overflow 0
		.amdhsa_tg_split 0
		.amdhsa_exception_fp_ieee_invalid_op 0
		.amdhsa_exception_fp_denorm_src 0
		.amdhsa_exception_fp_ieee_div_zero 0
		.amdhsa_exception_fp_ieee_overflow 0
		.amdhsa_exception_fp_ieee_underflow 0
		.amdhsa_exception_fp_ieee_inexact 0
		.amdhsa_exception_int_div_zero 0
	.end_amdhsa_kernel
	.section	.text._ZN12_GLOBAL__N_139chunk_gated_delta_rule_fwd_h_hip_kernelILi16ELb0ELb1ELb0ELb0ELb1ELb0ELb0ELb1EEEvPK12hip_bfloat16S3_S3_PKfS5_PKvPS1_S8_PvPKiSB_iiiiilll,"axG",@progbits,_ZN12_GLOBAL__N_139chunk_gated_delta_rule_fwd_h_hip_kernelILi16ELb0ELb1ELb0ELb0ELb1ELb0ELb0ELb1EEEvPK12hip_bfloat16S3_S3_PKfS5_PKvPS1_S8_PvPKiSB_iiiiilll,comdat
.Lfunc_end574:
	.size	_ZN12_GLOBAL__N_139chunk_gated_delta_rule_fwd_h_hip_kernelILi16ELb0ELb1ELb0ELb0ELb1ELb0ELb0ELb1EEEvPK12hip_bfloat16S3_S3_PKfS5_PKvPS1_S8_PvPKiSB_iiiiilll, .Lfunc_end574-_ZN12_GLOBAL__N_139chunk_gated_delta_rule_fwd_h_hip_kernelILi16ELb0ELb1ELb0ELb0ELb1ELb0ELb0ELb1EEEvPK12hip_bfloat16S3_S3_PKfS5_PKvPS1_S8_PvPKiSB_iiiiilll
                                        ; -- End function
	.section	.AMDGPU.csdata,"",@progbits
; Kernel info:
; codeLenInByte = 7816
; NumSgprs: 69
; NumVgprs: 106
; NumAgprs: 8
; TotalNumVgprs: 116
; ScratchSize: 0
; MemoryBound: 0
; FloatMode: 240
; IeeeMode: 1
; LDSByteSize: 40960 bytes/workgroup (compile time only)
; SGPRBlocks: 8
; VGPRBlocks: 14
; NumSGPRsForWavesPerEU: 69
; NumVGPRsForWavesPerEU: 116
; AccumOffset: 108
; Occupancy: 1
; WaveLimiterHint : 1
; COMPUTE_PGM_RSRC2:SCRATCH_EN: 0
; COMPUTE_PGM_RSRC2:USER_SGPR: 2
; COMPUTE_PGM_RSRC2:TRAP_HANDLER: 0
; COMPUTE_PGM_RSRC2:TGID_X_EN: 1
; COMPUTE_PGM_RSRC2:TGID_Y_EN: 1
; COMPUTE_PGM_RSRC2:TGID_Z_EN: 0
; COMPUTE_PGM_RSRC2:TIDIG_COMP_CNT: 0
; COMPUTE_PGM_RSRC3_GFX90A:ACCUM_OFFSET: 26
; COMPUTE_PGM_RSRC3_GFX90A:TG_SPLIT: 0
	.section	.text._ZN12_GLOBAL__N_139chunk_gated_delta_rule_fwd_h_hip_kernelILi16ELb0ELb0ELb1ELb0ELb1ELb0ELb0ELb1EEEvPK12hip_bfloat16S3_S3_PKfS5_PKvPS1_S8_PvPKiSB_iiiiilll,"axG",@progbits,_ZN12_GLOBAL__N_139chunk_gated_delta_rule_fwd_h_hip_kernelILi16ELb0ELb0ELb1ELb0ELb1ELb0ELb0ELb1EEEvPK12hip_bfloat16S3_S3_PKfS5_PKvPS1_S8_PvPKiSB_iiiiilll,comdat
	.globl	_ZN12_GLOBAL__N_139chunk_gated_delta_rule_fwd_h_hip_kernelILi16ELb0ELb0ELb1ELb0ELb1ELb0ELb0ELb1EEEvPK12hip_bfloat16S3_S3_PKfS5_PKvPS1_S8_PvPKiSB_iiiiilll ; -- Begin function _ZN12_GLOBAL__N_139chunk_gated_delta_rule_fwd_h_hip_kernelILi16ELb0ELb0ELb1ELb0ELb1ELb0ELb0ELb1EEEvPK12hip_bfloat16S3_S3_PKfS5_PKvPS1_S8_PvPKiSB_iiiiilll
	.p2align	8
	.type	_ZN12_GLOBAL__N_139chunk_gated_delta_rule_fwd_h_hip_kernelILi16ELb0ELb0ELb1ELb0ELb1ELb0ELb0ELb1EEEvPK12hip_bfloat16S3_S3_PKfS5_PKvPS1_S8_PvPKiSB_iiiiilll,@function
_ZN12_GLOBAL__N_139chunk_gated_delta_rule_fwd_h_hip_kernelILi16ELb0ELb0ELb1ELb0ELb1ELb0ELb0ELb1EEEvPK12hip_bfloat16S3_S3_PKfS5_PKvPS1_S8_PvPKiSB_iiiiilll: ; @_ZN12_GLOBAL__N_139chunk_gated_delta_rule_fwd_h_hip_kernelILi16ELb0ELb0ELb1ELb0ELb1ELb0ELb0ELb1EEEvPK12hip_bfloat16S3_S3_PKfS5_PKvPS1_S8_PvPKiSB_iiiiilll
; %bb.0:
	s_load_dwordx4 s[16:19], s[0:1], 0x5c
	s_load_dwordx4 s[12:15], s[0:1], 0x30
	s_abs_i32 s22, s3
	s_ashr_i32 s21, s3, 31
	s_load_dwordx8 s[4:11], s[0:1], 0x0
	s_waitcnt lgkmcnt(0)
	s_abs_i32 s20, s17
	v_cvt_f32_u32_e32 v1, s20
	s_sub_i32 s24, 0, s20
	s_ashr_i32 s23, s17, 31
	s_xor_b32 s21, s21, s23
	v_rcp_iflag_f32_e32 v1, v1
	v_lshrrev_b32_e32 v44, 6, v0
	v_bfe_u32 v45, v0, 4, 2
	v_lshlrev_b32_e32 v42, 4, v44
	v_mul_f32_e32 v1, 0x4f7ffffe, v1
	v_cvt_u32_f32_e32 v1, v1
	v_lshlrev_b32_e32 v2, 2, v45
	v_and_b32_e32 v43, 63, v0
	v_or_b32_e32 v48, v2, v42
	v_readfirstlane_b32 s25, v1
	s_mul_i32 s24, s24, s25
	s_mul_hi_u32 s24, s25, s24
	s_add_i32 s25, s25, s24
	s_mul_hi_u32 s24, s22, s25
	s_mul_i32 s25, s24, s20
	s_sub_i32 s22, s22, s25
	s_add_i32 s26, s24, 1
	s_sub_i32 s25, s22, s20
	s_cmp_ge_u32 s22, s20
	s_cselect_b32 s24, s26, s24
	s_cselect_b32 s22, s25, s22
	s_add_i32 s25, s24, 1
	s_cmp_ge_u32 s22, s20
	s_cselect_b32 s22, s25, s24
	s_xor_b32 s22, s22, s21
	s_sub_i32 s47, s22, s21
	s_abs_i32 s21, s18
	v_cvt_f32_u32_e32 v1, s21
	s_add_i32 s24, s16, 63
	s_mul_i32 s45, s47, s17
	s_sub_i32 s33, s3, s45
	v_rcp_iflag_f32_e32 v1, v1
	s_ashr_i32 s3, s24, 31
	s_ashr_i32 s46, s16, 31
	s_lshr_b32 s3, s3, 26
	v_mul_f32_e32 v1, 0x4f7ffffe, v1
	v_cvt_u32_f32_e32 v1, v1
	s_lshr_b32 s22, s46, 26
	s_add_i32 s24, s24, s3
	s_add_i32 s22, s16, s22
	s_ashr_i32 s49, s18, 31
	s_ashr_i32 s3, s24, 6
	;; [unrolled: 1-line block ×3, first 2 shown]
	s_xor_b32 s22, s23, s49
	s_sub_i32 s23, 0, s21
	v_readfirstlane_b32 s24, v1
	s_mul_i32 s23, s23, s24
	s_mul_hi_u32 s23, s24, s23
	s_add_i32 s24, s24, s23
	s_mul_hi_u32 s23, s20, s24
	s_mul_i32 s24, s23, s21
	s_sub_i32 s20, s20, s24
	s_add_i32 s24, s23, 1
	s_sub_i32 s25, s20, s21
	s_cmp_ge_u32 s20, s21
	s_cselect_b32 s23, s24, s23
	s_cselect_b32 s20, s25, s20
	s_add_i32 s24, s23, 1
	s_cmp_ge_u32 s20, s21
	s_cselect_b32 s20, s24, s23
	s_xor_b32 s20, s20, s22
	s_sub_i32 s24, s20, s22
	s_abs_i32 s25, s24
	v_cvt_f32_u32_e32 v1, s25
	s_load_dwordx2 s[34:35], s[0:1], 0x80
	s_load_dwordx4 s[20:23], s[0:1], 0x70
	s_xor_b32 s0, s33, s24
	s_sub_i32 s24, 0, s25
	v_rcp_iflag_f32_e32 v1, v1
	s_abs_i32 s1, s33
	s_ashr_i32 s0, s0, 31
	s_mul_i32 s50, s47, s3
	v_mul_f32_e32 v1, 0x4f7ffffe, v1
	v_cvt_u32_f32_e32 v1, v1
	v_or_b32_e32 v49, 64, v48
	v_mov_b32_e32 v3, 0
	s_mul_hi_i32 s51, s47, s17
	v_readfirstlane_b32 s26, v1
	s_mul_i32 s24, s24, s26
	s_mul_hi_u32 s24, s26, s24
	s_add_i32 s26, s26, s24
	s_mul_hi_u32 s24, s1, s26
	s_mul_i32 s26, s24, s25
	s_sub_i32 s1, s1, s26
	s_add_i32 s26, s24, 1
	s_sub_i32 s27, s1, s25
	s_cmp_ge_u32 s1, s25
	s_cselect_b32 s24, s26, s24
	s_cselect_b32 s1, s27, s1
	s_add_i32 s26, s24, 1
	s_cmp_ge_u32 s1, s25
	s_cselect_b32 s1, s26, s24
	s_xor_b32 s1, s1, s0
	s_sub_i32 s52, s1, s0
	s_lshl_b32 s36, s2, 4
	v_and_b32_e32 v1, 15, v0
	s_cmp_lt_i32 s16, 64
	v_lshrrev_b32_e32 v47, 3, v43
	v_lshlrev_b32_e32 v46, 3, v0
	s_waitcnt lgkmcnt(0)
	s_mul_i32 s21, s47, s21
	s_mul_hi_u32 s44, s47, s20
	s_mul_i32 s38, s47, s20
	v_mov_b32_e32 v61, 0
	v_mov_b32_e32 v34, 0
	;; [unrolled: 1-line block ×7, first 2 shown]
	s_cbranch_scc1 .LBB575_18
; %bb.1:
	s_ashr_i32 s28, s47, 31
	s_ashr_i32 s54, s33, 31
	s_add_u32 s0, s45, s33
	s_addc_u32 s1, s51, s54
	s_mul_i32 s1, s16, s1
	s_mul_hi_u32 s2, s16, s0
	s_add_i32 s3, s2, s1
	s_mul_i32 s2, s16, s0
	s_lshl_b64 s[0:1], s[2:3], 8
	v_and_b32_e32 v51, 56, v46
	s_add_u32 s24, s6, s0
	v_lshl_or_b32 v50, v44, 3, v47
	v_lshlrev_b32_e32 v3, 1, v51
	s_addc_u32 s0, s7, s1
	v_lshl_or_b32 v52, v50, 8, v3
	s_and_b32 s25, s0, 0xffff
	s_mov_b32 s27, 0x20000
	s_movk_i32 s26, 0x4000
	s_movk_i32 s0, 0x80
	v_or_b32_e32 v53, 0x2000, v52
	buffer_load_dwordx4 v[4:7], v52, s[24:27], 0 offen
	buffer_load_dwordx4 v[8:11], v52, s[24:27], s0 offen
	buffer_load_dwordx4 v[12:15], v53, s[24:27], 0 offen
	buffer_load_dwordx4 v[16:19], v53, s[24:27], s0 offen
	v_lshlrev_b32_e32 v20, 3, v50
	v_and_or_b32 v22, v0, 7, v20
	v_and_b32_e32 v20, 0x78, v20
	v_lshlrev_b32_e32 v22, 4, v22
	v_xor_b32_e32 v54, v22, v20
	v_mul_lo_u32 v21, v50, s19
	v_or_b32_e32 v55, 0x1000, v54
	s_cmpk_eq_i32 s19, 0x80
	s_mov_b32 s53, s18
	v_xor_b32_e32 v20, 8, v54
	v_xor_b32_e32 v22, 8, v55
	s_cselect_b64 s[0:1], -1, 0
	s_cmpk_lg_i32 s19, 0x80
	s_waitcnt vmcnt(3)
	ds_write_b64 v54, v[4:5] offset:16384
	ds_write_b64 v20, v[6:7] offset:16384
	s_waitcnt vmcnt(2)
	ds_write_b64 v54, v[8:9] offset:24576
	ds_write_b64 v20, v[10:11] offset:24576
	;; [unrolled: 3-line block ×4, first 2 shown]
	v_lshl_add_u32 v4, v21, 1, v51
	s_cbranch_scc0 .LBB575_3
; %bb.2:
	v_lshlrev_b32_e32 v6, 1, v4
	v_add_lshl_u32 v5, v4, s19, 1
	s_lshl_b32 s26, s19, 7
	v_lshl_or_b32 v3, v50, 9, v3
	s_cbranch_execz .LBB575_4
	s_branch .LBB575_5
.LBB575_3:
                                        ; implicit-def: $vgpr5
                                        ; implicit-def: $vgpr6
                                        ; implicit-def: $sgpr26
	v_lshl_or_b32 v3, v50, 9, v3
.LBB575_4:
	v_or_b32_e32 v5, 0x100, v3
	s_movk_i32 s26, 0x4000
	v_mov_b32_e32 v6, v3
.LBB575_5:
	s_mul_hi_u32 s24, s18, s16
	s_mul_i32 s25, s49, s16
	s_add_i32 s24, s24, s25
	s_mul_i32 s25, s18, s16
	s_mul_i32 s27, s25, s28
	s_mul_hi_u32 s29, s25, s47
	s_add_i32 s27, s29, s27
	s_mul_i32 s24, s24, s47
	s_add_i32 s27, s27, s24
	s_mul_i32 s25, s25, s47
	s_ashr_i32 s55, s52, 31
	s_add_u32 s24, s25, s52
	s_addc_u32 s25, s27, s55
	s_lshl_b64 s[24:25], s[24:25], 8
	s_add_u32 s24, s4, s24
	s_addc_u32 s25, s5, s25
	s_and_b32 s25, s25, 0xffff
	s_mov_b32 s27, 0x20000
	s_movk_i32 s56, 0x80
	buffer_load_dwordx4 v[8:11], v6, s[24:27], 0 offen
	buffer_load_dwordx4 v[12:15], v6, s[24:27], s56 offen
	;; [unrolled: 1-line block ×4, first 2 shown]
	v_and_b32_e32 v5, 6, v0
	s_mul_i32 s24, s28, s16
	s_mul_hi_u32 s25, s47, s16
	v_lshlrev_b32_e32 v7, 2, v1
	v_lshlrev_b32_e32 v24, 3, v1
	v_xor_b32_e32 v26, v50, v5
	v_and_b32_e32 v6, 1, v0
	s_mul_i32 s28, s28, s20
	v_lshl_or_b32 v24, v48, 5, v24
	v_xor_b32_e32 v27, v48, v7
	v_lshlrev_b32_e32 v26, 2, v26
	s_add_i32 s61, s25, s24
	s_add_i32 s24, s44, s21
	v_or_b32_e32 v56, 0x9000, v24
	v_or_b32_e32 v57, 0x9800, v24
	v_lshlrev_b32_e32 v24, 1, v27
	v_xor_b32_e32 v27, 0x440, v26
	v_cmp_eq_u32_e32 vcc, 0, v6
	s_add_i32 s39, s24, s28
	s_mul_i32 s24, s33, s23
	s_mul_hi_u32 s25, s33, s22
	v_cndmask_b32_e32 v6, v27, v26, vcc
	s_add_i32 s24, s25, s24
	s_mul_i32 s25, s54, s22
	s_mov_b32 s58, 0x1000504
	v_lshlrev_b32_e32 v25, 8, v1
	s_mov_b32 s26, 0x8000
	v_xor_b32_e32 v7, v49, v7
	v_lshl_or_b32 v5, v5, 10, v6
	s_add_i32 s25, s24, s25
	s_lshl_b64 s[28:29], s[38:39], 2
	s_mov_b32 s59, 0x3020706
	v_lshlrev_b32_e32 v7, 1, v7
	v_or3_b32 v58, v24, v25, s26
	v_xor_b32_e32 v6, 8, v5
	v_xor_b32_e32 v24, 24, v5
	;; [unrolled: 1-line block ×4, first 2 shown]
	s_mul_i32 s24, s33, s22
	s_add_u32 s28, s10, s28
	v_or3_b32 v59, v7, v25, s26
	v_xor_b32_e32 v7, 16, v5
	v_xor_b32_e32 v25, 32, v5
	;; [unrolled: 1-line block ×3, first 2 shown]
	v_add_u32_e32 v6, 0x80, v6
	v_add_u32_e32 v24, 0x80, v24
	;; [unrolled: 1-line block ×4, first 2 shown]
	s_addc_u32 s29, s11, s29
	s_lshl_b64 s[24:25], s[24:25], 2
	s_add_u32 s40, s28, s24
	s_movk_i32 s24, 0xf8
	s_addc_u32 s41, s29, s25
	s_ashr_i32 s37, s36, 31
	s_lshl_b32 s30, s19, 7
	v_mov_b32_e32 v35, 0
	s_mov_b32 s57, 0
	s_mul_i32 s60, s47, s16
	v_add_u32_e32 v78, v42, v2
	s_mov_b32 s62, 0
	v_mov_b32_e32 v62, v35
	v_mov_b32_e32 v63, v35
	;; [unrolled: 1-line block ×6, first 2 shown]
	s_waitcnt vmcnt(1)
	v_perm_b32 v29, v8, v16, s58
	s_waitcnt vmcnt(0)
	v_perm_b32 v30, v12, v20, s58
	v_perm_b32 v8, v8, v16, s59
	;; [unrolled: 1-line block ×15, first 2 shown]
	ds_write2st64_b32 v5, v29, v30 offset1:32
	ds_write2st64_b32 v6, v8, v12 offset1:32
	ds_write2st64_b32 v7, v16, v20 offset0:1 offset1:33
	ds_write2st64_b32 v24, v9, v13 offset0:1 offset1:33
	;; [unrolled: 1-line block ×6, first 2 shown]
	v_or_b32_e32 v5, v42, v1
	v_lshlrev_b32_e32 v5, 3, v5
	v_lshrrev_b32_e32 v7, 5, v43
	v_and_or_b32 v7, v5, s24, v7
	v_lshlrev_b32_e32 v7, 4, v7
	v_lshlrev_b32_e32 v10, 11, v44
	v_and_b32_e32 v5, 0x78, v5
	v_or_b32_e32 v12, 32, v7
	v_and_b32_e32 v6, 0x1000, v10
	v_lshrrev_b32_e32 v11, 1, v0
	v_xor_b32_e32 v12, v12, v5
	v_and_b32_e32 v9, 8, v11
	v_or_b32_e32 v12, v12, v6
	v_xor_b32_e32 v8, v7, v5
	v_xor_b32_e32 v66, v12, v9
	v_or_b32_e32 v12, 64, v7
	v_or_b32_e32 v7, 0x60, v7
	v_xor_b32_e32 v12, v12, v5
	v_xor_b32_e32 v5, v7, v5
	v_or_b32_e32 v5, v5, v6
	v_or_b32_e32 v12, v12, v6
	v_xor_b32_e32 v68, v5, v9
	v_lshlrev_b32_e32 v5, 1, v1
	v_xor_b32_e32 v67, v12, v9
	v_lshlrev_b32_e32 v12, 1, v4
	v_add_lshl_u32 v13, v4, s19, 1
	v_lshrrev_b32_e32 v4, 4, v0
	s_lshl_b64 s[24:25], s[36:37], 8
	v_or_b32_e32 v15, 1, v5
	s_add_u32 s24, s12, s24
	v_xor_b32_e32 v5, v4, v5
	v_xor_b32_e32 v15, v15, v4
	s_addc_u32 s25, s13, s25
	v_lshlrev_b32_e32 v5, 3, v5
	v_lshlrev_b32_e32 v34, 8, v4
	;; [unrolled: 1-line block ×3, first 2 shown]
	v_or3_b32 v70, v5, v34, s26
	v_or3_b32 v71, v4, v34, s26
	v_lshl_add_u64 v[4:5], s[24:25], 0, v[34:35]
	v_lshlrev_b32_e32 v34, 4, v1
	s_movk_i32 s24, 0xff
	v_lshlrev_b32_e32 v17, 3, v44
	v_and_b32_e32 v11, 24, v11
	v_lshl_add_u64 v[36:37], v[4:5], 0, v[34:35]
	v_and_b32_e32 v5, 8, v0
	v_cmp_lt_u32_e32 vcc, s24, v0
	v_xor_b32_e32 v18, v17, v11
	v_or_b32_e32 v19, 0x440, v18
	v_cndmask_b32_e64 v16, 0, 1, vcc
	v_cmp_eq_u32_e32 vcc, 0, v5
	v_and_b32_e32 v4, 7, v0
	v_lshlrev_b32_e32 v15, 3, v4
	v_cndmask_b32_e32 v5, v19, v18, vcc
	v_lshlrev_b32_e32 v4, 7, v4
	v_or_b32_e32 v5, v5, v10
	v_xad_u32 v72, v5, v15, v4
	v_or_b32_e32 v5, 32, v11
	v_xor_b32_e32 v5, v17, v5
	v_or_b32_e32 v18, 0x440, v5
	v_cndmask_b32_e32 v5, v18, v5, vcc
	v_or_b32_e32 v5, v5, v10
	v_xad_u32 v73, v5, v15, v4
	v_or_b32_e32 v5, 64, v11
	v_xor_b32_e32 v5, v17, v5
	v_xor_b32_e32 v18, 0x440, v5
	v_cndmask_b32_e32 v5, v18, v5, vcc
	v_or_b32_e32 v5, v5, v10
	v_xad_u32 v74, v5, v15, v4
	v_or_b32_e32 v5, 0x60, v11
	v_xor_b32_e32 v5, v17, v5
	v_or_b32_e32 v8, v8, v6
	v_or_b32_e32 v6, s36, v1
	v_xor_b32_e32 v11, 0x440, v5
	v_xor_b32_e32 v64, v8, v9
	v_and_b32_e32 v8, 0x78, v46
	v_ashrrev_i32_e32 v7, 31, v6
	v_cndmask_b32_e32 v5, v11, v5, vcc
	v_lshl_or_b32 v8, v45, 7, v8
	v_lshlrev_b64 v[6:7], 1, v[6:7]
	v_or_b32_e32 v5, v5, v10
	v_or_b32_e32 v65, 0x9000, v8
	;; [unrolled: 1-line block ×3, first 2 shown]
	v_lshl_add_u64 v[8:9], s[8:9], 0, v[6:7]
	v_lshl_add_u64 v[6:7], s[14:15], 0, v[6:7]
	v_or_b32_e32 v14, 0x100, v3
	v_lshlrev_b32_e32 v16, 13, v16
	v_xad_u32 v75, v5, v15, v4
	v_lshlrev_b32_e32 v34, 8, v48
	v_cndmask_b32_e64 v76, v12, v3, s[0:1]
	v_cndmask_b32_e64 v77, v13, v14, s[0:1]
	v_lshl_add_u64 v[38:39], v[8:9], 0, v[34:35]
	v_lshl_add_u64 v[40:41], v[6:7], 0, v[34:35]
	s_mov_b32 s37, 0x7060302
	s_movk_i32 s26, 0x4000
	v_add_u32_e32 v79, v16, v72
	v_add_u32_e32 v80, v16, v73
	;; [unrolled: 1-line block ×4, first 2 shown]
	v_mov_b32_e32 v34, v35
	s_waitcnt lgkmcnt(0)
	s_barrier
.LBB575_6:                              ; =>This Inner Loop Header: Depth=1
	s_add_i32 s39, s62, 1
	s_cmp_lt_i32 s39, s48
	s_mov_b64 s[28:29], 0
	s_cselect_b64 s[42:43], -1, 0
	s_cmp_ge_i32 s39, s48
	s_mov_b64 s[24:25], 0
	s_cbranch_scc1 .LBB575_8
; %bb.7:                                ;   in Loop: Header=BB575_6 Depth=1
	s_add_i32 s0, s57, 64
	s_add_u32 s0, s2, s0
	s_addc_u32 s1, s3, 0
	s_lshl_b64 s[0:1], s[0:1], 8
	s_add_u32 s24, s6, s0
	s_addc_u32 s25, s7, s1
.LBB575_8:                              ;   in Loop: Header=BB575_6 Depth=1
	v_cndmask_b32_e64 v2, 0, 1, s[42:43]
	v_cmp_ne_u32_e64 s[0:1], 1, v2
	s_andn2_b64 vcc, exec, s[42:43]
	s_cbranch_vccnz .LBB575_10
; %bb.9:                                ;   in Loop: Header=BB575_6 Depth=1
	s_add_i32 s28, s57, 64
	s_add_u32 s28, s60, s28
	s_addc_u32 s29, s61, 0
	s_mul_i32 s31, s28, s49
	s_mul_hi_u32 s42, s28, s53
	s_add_i32 s31, s42, s31
	s_mul_i32 s29, s29, s53
	s_add_i32 s31, s31, s29
	s_mul_i32 s28, s28, s53
	s_add_u32 s28, s28, s52
	s_addc_u32 s29, s31, s55
	s_lshl_b64 s[28:29], s[28:29], 8
	s_add_u32 s28, s4, s28
	s_addc_u32 s29, s5, s29
.LBB575_10:                             ;   in Loop: Header=BB575_6 Depth=1
	v_perm_b32 v3, v84, v63, s37
	v_perm_b32 v2, v62, v35, s37
	;; [unrolled: 1-line block ×4, first 2 shown]
	ds_write_b64 v56, v[2:3]
	ds_write_b64 v57, v[4:5]
	;; [unrolled: 1-line block ×4, first 2 shown]
	s_waitcnt lgkmcnt(0)
	s_barrier
	ds_read_b64 v[10:11], v64 offset:16384
	ds_read_b64 v[12:13], v66 offset:16384
	ds_read2st64_b64 v[2:5], v65 offset1:1
	ds_read2st64_b64 v[6:9], v65 offset0:2 offset1:3
	ds_read_b64 v[14:15], v67 offset:16384
	s_waitcnt lgkmcnt(2)
	v_mfma_f32_16x16x16_bf16 a[0:3], v[10:11], v[2:3], 0
	ds_read_b64 v[2:3], v68 offset:16384
	s_add_i32 s31, s57, 63
	s_mul_i32 s42, s31, s35
	v_mfma_f32_16x16x16_bf16 a[0:3], v[12:13], v[4:5], a[0:3]
	s_mul_hi_u32 s43, s31, s34
	s_add_i32 s43, s43, s42
	s_mul_i32 s42, s31, s34
	s_waitcnt lgkmcnt(1)
	v_mfma_f32_16x16x16_bf16 a[0:3], v[14:15], v[6:7], a[0:3]
	s_lshl_b64 s[42:43], s[42:43], 2
	s_add_u32 s42, s40, s42
	s_addc_u32 s43, s41, s43
	s_waitcnt lgkmcnt(0)
	v_mfma_f32_16x16x16_bf16 a[0:3], v[2:3], v[8:9], a[0:3]
	s_and_b64 vcc, exec, s[0:1]
	v_mov_b32_e32 v87, 0
	v_mov_b32_e32 v86, 0
	;; [unrolled: 1-line block ×19, first 2 shown]
	s_cbranch_vccnz .LBB575_12
; %bb.11:                               ;   in Loop: Header=BB575_6 Depth=1
	s_and_b32 s25, s25, 0xffff
	buffer_load_dwordx4 v[14:17], v52, s[24:27], 0 offen
	buffer_load_dwordx4 v[10:13], v52, s[24:27], s56 offen
	;; [unrolled: 1-line block ×4, first 2 shown]
	v_mov_b32_e32 v86, v54
	v_mov_b32_e32 v85, v55
.LBB575_12:                             ;   in Loop: Header=BB575_6 Depth=1
	s_waitcnt vmcnt(3)
	v_add_u32_e32 v24, s57, v78
	s_waitcnt vmcnt(1)
	v_ashrrev_i32_e32 v18, 31, v24
	v_mul_lo_u32 v20, v18, s34
	v_mul_lo_u32 v21, v24, s35
	v_mad_u64_u32 v[18:19], s[24:25], v24, s34, 0
	v_add3_u32 v19, v19, v21, v20
	v_add_u32_e32 v20, 1, v24
	v_ashrrev_i32_e32 v21, 31, v20
	v_mul_lo_u32 v22, v21, s34
	v_mul_lo_u32 v23, v20, s35
	v_mad_u64_u32 v[20:21], s[24:25], v20, s34, 0
	v_add3_u32 v21, v21, v23, v22
	v_add_u32_e32 v22, 2, v24
	v_ashrrev_i32_e32 v23, 31, v22
	v_mul_lo_u32 v25, v23, s34
	v_mul_lo_u32 v26, v22, s35
	v_mad_u64_u32 v[22:23], s[24:25], v22, s34, 0
	s_add_u32 s24, s2, s57
	v_add3_u32 v23, v23, v26, v25
	v_add_u32_e32 v26, 3, v24
	s_addc_u32 s25, s3, 0
	v_ashrrev_i32_e32 v24, 31, v26
	s_lshl_b64 s[64:65], s[24:25], 8
	v_lshl_add_u64 v[18:19], v[18:19], 2, s[40:41]
	v_mul_lo_u32 v27, v24, s34
	v_lshl_add_u64 v[24:25], v[38:39], 0, s[64:65]
	v_mul_lo_u32 v28, v26, s35
	global_load_ushort v89, v[24:25], off
	global_load_ushort v94, v[24:25], off offset:256
	global_load_ushort v95, v[24:25], off offset:512
	;; [unrolled: 1-line block ×3, first 2 shown]
	global_load_dword v97, v[18:19], off
	v_mad_u64_u32 v[18:19], s[24:25], v26, s34, 0
	v_lshl_add_u64 v[20:21], v[20:21], 2, s[40:41]
	v_add3_u32 v19, v19, v28, v27
	v_lshl_add_u64 v[22:23], v[22:23], 2, s[40:41]
	v_lshl_add_u64 v[18:19], v[18:19], 2, s[40:41]
	global_load_dword v98, v[20:21], off
	global_load_dword v99, v[22:23], off
	;; [unrolled: 1-line block ×3, first 2 shown]
	s_load_dword s24, s[42:43], 0x0
	ds_read_b64 v[26:27], v64 offset:24576
	ds_read2st64_b64 v[22:25], v69 offset1:1
	ds_read2st64_b64 v[28:31], v69 offset0:2 offset1:3
	ds_read_b64 v[32:33], v66 offset:24576
	ds_read_b64 v[90:91], v67 offset:24576
	;; [unrolled: 1-line block ×3, first 2 shown]
	s_waitcnt lgkmcnt(0)
	v_mfma_f32_16x16x16_bf16 a[0:3], v[26:27], v[22:23], a[0:3]
	v_mov_b32_e32 v88, 0
	v_mov_b32_e32 v18, 0
	;; [unrolled: 1-line block ×3, first 2 shown]
	v_mfma_f32_16x16x16_bf16 a[0:3], v[32:33], v[24:25], a[0:3]
	v_mov_b32_e32 v20, 0
	v_mov_b32_e32 v21, 0
	v_mov_b32_e32 v22, 0
	v_mfma_f32_16x16x16_bf16 a[0:3], v[90:91], v[28:29], a[0:3]
	v_lshl_add_u64 v[28:29], v[40:41], 0, s[64:65]
	v_mov_b32_e32 v23, 0
	v_mov_b32_e32 v24, 0
	v_mfma_f32_16x16x16_bf16 a[0:3], v[92:93], v[30:31], a[0:3]
	v_mov_b32_e32 v25, 0
	v_mov_b32_e32 v26, 0
	;; [unrolled: 1-line block ×3, first 2 shown]
	s_and_b64 vcc, exec, s[0:1]
	s_waitcnt vmcnt(7)
	v_lshlrev_b32_e32 v90, 16, v89
	s_nop 0
	v_accvgpr_read_b32 v33, a1
	v_accvgpr_read_b32 v31, a3
	;; [unrolled: 1-line block ×4, first 2 shown]
	s_waitcnt vmcnt(6)
	v_lshlrev_b32_e32 v91, 16, v94
	s_waitcnt vmcnt(4)
	v_lshlrev_b32_e32 v93, 16, v96
	v_lshlrev_b32_e32 v92, 16, v95
	s_waitcnt vmcnt(3)
	v_sub_f32_e32 v89, s24, v97
	v_pk_add_f32 v[32:33], v[90:91], v[32:33] neg_lo:[0,1] neg_hi:[0,1]
	v_pk_add_f32 v[30:31], v[92:93], v[30:31] neg_lo:[0,1] neg_hi:[0,1]
	v_exp_f32_e32 v90, v89
	s_waitcnt vmcnt(2)
	v_sub_f32_e32 v89, s24, v98
	s_waitcnt vmcnt(1)
	v_sub_f32_e32 v92, s24, v99
	;; [unrolled: 2-line block ×3, first 2 shown]
	v_exp_f32_e32 v91, v89
	v_exp_f32_e32 v92, v92
	;; [unrolled: 1-line block ×3, first 2 shown]
	global_store_short_d16_hi v[28:29], v32, off
	global_store_short_d16_hi v[28:29], v33, off offset:256
	global_store_short_d16_hi v[28:29], v30, off offset:512
	global_store_short_d16_hi v[28:29], v31, off offset:768
	v_pk_mul_f32 v[28:29], v[90:91], v[32:33]
	v_pk_mul_f32 v[30:31], v[92:93], v[30:31]
	v_perm_b32 v28, v29, v28, s37
	v_perm_b32 v29, v31, v30, s37
	ds_write_b64 v57, v[28:29]
	v_mov_b32_e32 v28, 0
	v_mov_b32_e32 v29, 0
	;; [unrolled: 1-line block ×6, first 2 shown]
	s_cbranch_vccnz .LBB575_14
; %bb.13:                               ;   in Loop: Header=BB575_6 Depth=1
	s_and_b32 s29, s29, 0xffff
	s_mov_b32 s31, s27
	buffer_load_dwordx4 v[30:33], v76, s[28:31], 0 offen
	buffer_load_dwordx4 v[22:25], v76, s[28:31], s56 offen
	;; [unrolled: 1-line block ×4, first 2 shown]
	v_mov_b32_e32 v87, v51
	v_mov_b32_e32 v88, v50
.LBB575_14:                             ;   in Loop: Header=BB575_6 Depth=1
	s_waitcnt lgkmcnt(0)
	s_barrier
	ds_read_b64 v[98:99], v79
	ds_read2st64_b64 v[90:93], v69 offset1:1
	ds_read2st64_b64 v[94:97], v69 offset0:2 offset1:3
	ds_read_b64 v[100:101], v80
	ds_read_b64 v[102:103], v81
	;; [unrolled: 1-line block ×3, first 2 shown]
	s_waitcnt lgkmcnt(4)
	v_mfma_f32_16x16x16_bf16 a[0:3], v[98:99], v[90:91], 0
	ds_read_b64 v[98:99], v72 offset:8192
	ds_read_b64 v[106:107], v73 offset:8192
	s_add_i32 s25, s50, s62
	s_mul_hi_i32 s29, s25, s17
	s_waitcnt lgkmcnt(1)
	v_mfma_f32_16x16x16_bf16 a[4:7], v[98:99], v[90:91], 0
	s_mul_i32 s25, s25, s17
	s_add_u32 s28, s25, s33
	s_addc_u32 s29, s29, s54
	v_mfma_f32_16x16x16_bf16 a[0:3], v[100:101], v[92:93], a[0:3]
	ds_read_b64 v[98:99], v70
	ds_read_b64 v[100:101], v71
	ds_read_b64 v[90:91], v74 offset:8192
	s_lshl_b64 s[28:29], s[28:29], 15
	v_mfma_f32_16x16x16_bf16 a[0:3], v[102:103], v[94:95], a[0:3]
	ds_read_b64 v[102:103], v75 offset:8192
	s_and_b64 vcc, exec, s[0:1]
	s_waitcnt lgkmcnt(4)
	v_mfma_f32_16x16x16_bf16 a[4:7], v[106:107], v[92:93], a[4:7]
	s_waitcnt lgkmcnt(1)
	v_mfma_f32_16x16x16_bf16 a[4:7], v[90:91], v[94:95], a[4:7]
	v_lshl_add_u64 v[90:91], v[36:37], 0, s[28:29]
	global_store_dwordx4 v[90:91], v[98:101], off
	v_mfma_f32_16x16x16_bf16 a[0:3], v[104:105], v[96:97], a[0:3]
	s_waitcnt lgkmcnt(0)
	v_mfma_f32_16x16x16_bf16 a[4:7], v[102:103], v[96:97], a[4:7]
	s_cbranch_vccnz .LBB575_16
; %bb.15:                               ;   in Loop: Header=BB575_6 Depth=1
	v_lshrrev_b32_e32 v89, 3, v87
	v_and_b32_e32 v89, 6, v89
	v_xor_b32_e32 v88, v89, v88
	v_lshlrev_b32_e32 v88, 2, v88
	v_and_b32_e32 v87, 8, v87
	v_xor_b32_e32 v90, 0x440, v88
	v_cmp_eq_u32_e32 vcc, 0, v87
	s_barrier
	s_nop 0
	v_cndmask_b32_e32 v87, v90, v88, vcc
	v_lshl_or_b32 v87, v89, 10, v87
	s_waitcnt vmcnt(2)
	v_perm_b32 v88, v30, v26, s58
	s_waitcnt vmcnt(1)
	v_perm_b32 v89, v22, v18, s58
	ds_write2st64_b32 v87, v88, v89 offset1:32
	v_xor_b32_e32 v88, 8, v87
	v_perm_b32 v26, v30, v26, s59
	v_perm_b32 v18, v22, v18, s59
	v_add_u32_e32 v22, 0x80, v88
	ds_write2st64_b32 v22, v26, v18 offset1:32
	v_xor_b32_e32 v18, 16, v87
	v_perm_b32 v22, v31, v27, s58
	v_perm_b32 v26, v23, v19, s58
	ds_write2st64_b32 v18, v22, v26 offset0:1 offset1:33
	v_xor_b32_e32 v18, 24, v87
	v_perm_b32 v22, v31, v27, s59
	v_perm_b32 v19, v23, v19, s59
	v_add_u32_e32 v18, 0x80, v18
	ds_write2st64_b32 v18, v22, v19 offset0:1 offset1:33
	v_xor_b32_e32 v18, 32, v87
	v_perm_b32 v19, v32, v28, s58
	v_perm_b32 v22, v24, v20, s58
	ds_write2st64_b32 v18, v19, v22 offset0:2 offset1:34
	v_xor_b32_e32 v18, 40, v87
	v_perm_b32 v19, v32, v28, s59
	v_perm_b32 v20, v24, v20, s59
	v_add_u32_e32 v18, 0x80, v18
	ds_write2st64_b32 v18, v19, v20 offset0:2 offset1:34
	;; [unrolled: 9-line block ×3, first 2 shown]
	ds_write_b64 v86, v[14:15] offset:16384
	v_xor_b32_e32 v14, 8, v86
	ds_write_b64 v14, v[16:17] offset:16384
	ds_write_b64 v86, v[10:11] offset:24576
	ds_write_b64 v14, v[12:13] offset:24576
	ds_write_b64 v85, v[6:7] offset:16384
	v_xor_b32_e32 v6, 8, v85
	ds_write_b64 v6, v[8:9] offset:16384
	ds_write_b64 v85, v[2:3] offset:24576
	ds_write_b64 v6, v[4:5] offset:24576
.LBB575_16:                             ;   in Loop: Header=BB575_6 Depth=1
	v_exp_f32_e32 v2, s24
	s_nop 2
	v_accvgpr_read_b32 v3, a0
	v_accvgpr_read_b32 v4, a1
	s_add_i32 s57, s57, 64
	v_fma_f32 v35, v35, v2, v3
	v_accvgpr_read_b32 v3, a2
	v_fma_f32 v63, v63, v2, v3
	v_accvgpr_read_b32 v3, a4
	v_fma_f32 v60, v60, v2, v3
	v_accvgpr_read_b32 v3, a5
	v_fma_f32 v34, v34, v2, v3
	v_accvgpr_read_b32 v3, a6
	v_fma_f32 v62, v62, v2, v4
	v_accvgpr_read_b32 v4, a3
	v_fma_f32 v61, v61, v2, v3
	v_accvgpr_read_b32 v3, a7
	v_fmac_f32_e32 v4, v84, v2
	s_cmp_eq_u32 s48, s39
	v_fmac_f32_e32 v3, v83, v2
	s_cbranch_scc1 .LBB575_18
; %bb.17:                               ;   in Loop: Header=BB575_6 Depth=1
	s_mov_b32 s62, s39
	v_mov_b32_e32 v84, v4
	v_mov_b32_e32 v83, v3
	s_branch .LBB575_6
.LBB575_18:
	s_lshl_b32 s42, s48, 6
	s_sub_i32 s43, s16, s42
	s_cmp_gt_i32 s43, 0
	s_cbranch_scc0 .LBB575_75
; %bb.19:
	s_ashr_i32 s39, s47, 31
	s_ashr_i32 s2, s42, 31
	s_cmpk_lg_i32 s19, 0x80
	s_cselect_b64 s[30:31], -1, 0
	s_and_b64 vcc, exec, s[30:31]
	s_cbranch_vccz .LBB575_21
; %bb.20:
	s_mul_i32 s1, s47, s16
	s_mul_hi_i32 s0, s47, s16
	s_add_u32 s1, s1, s42
	s_addc_u32 s0, s0, s2
	s_mul_i32 s3, s1, s49
	s_mul_hi_u32 s24, s1, s18
	s_add_i32 s3, s24, s3
	s_mul_i32 s0, s0, s18
	s_add_i32 s3, s3, s0
	s_mul_i32 s1, s1, s18
	s_ashr_i32 s0, s52, 31
	s_add_u32 s40, s1, s52
	s_addc_u32 s41, s3, s0
	s_cbranch_execz .LBB575_22
	s_branch .LBB575_23
.LBB575_21:
                                        ; implicit-def: $sgpr40_sgpr41
.LBB575_22:
	s_mul_hi_i32 s0, s47, s18
	s_mul_i32 s47, s47, s18
	s_ashr_i32 s1, s52, 31
	s_add_u32 s3, s47, s52
	s_addc_u32 s0, s0, s1
	s_mul_i32 s1, s3, s46
	s_mul_hi_u32 s18, s3, s16
	s_add_i32 s1, s18, s1
	s_mul_i32 s0, s0, s16
	s_add_i32 s1, s1, s0
	s_mul_i32 s3, s3, s16
	s_add_u32 s40, s3, s42
	s_addc_u32 s41, s1, s2
.LBB575_23:
	s_add_i32 s3, s50, s48
	s_ashr_i32 s18, s33, 31
	s_add_u32 s0, s45, s33
	s_addc_u32 s1, s51, s18
	s_mul_i32 s24, s0, s46
	s_mul_hi_u32 s25, s0, s16
	s_add_i32 s24, s25, s24
	s_mul_i32 s1, s1, s16
	s_add_i32 s24, s24, s1
	s_mul_i32 s0, s0, s16
	s_add_u32 s0, s0, s42
	s_addc_u32 s1, s24, s2
	s_mov_b32 s2, 0x7060302
	v_lshlrev_b32_e32 v6, 3, v1
	v_perm_b32 v5, v4, v63, s2
	v_perm_b32 v4, v62, v35, s2
	v_perm_b32 v3, v3, v61, s2
	v_perm_b32 v2, v34, v60, s2
	v_lshlrev_b32_e32 v34, 2, v1
	v_lshl_or_b32 v6, v48, 5, v6
	s_lshl_b64 s[28:29], s[0:1], 8
	ds_write2st64_b64 v6, v[4:5], v[2:3] offset0:72 offset1:76
	v_xor_b32_e32 v6, v48, v34
	v_lshlrev_b32_e32 v7, 8, v1
	s_add_u32 s0, s6, s28
	v_lshl_or_b32 v6, v6, 1, v7
	s_addc_u32 s1, s7, s29
	ds_write_b64 v6, v[4:5] offset:32768
	v_xor_b32_e32 v4, v49, v34
	s_mul_hi_i32 s6, s3, s17
	s_mul_i32 s3, s3, s17
	v_lshl_or_b32 v4, v4, 1, v7
	s_add_u32 s2, s3, s33
	ds_write_b64 v4, v[2:3] offset:32768
	s_addc_u32 s3, s6, s18
	v_lshlrev_b32_e32 v3, 1, v1
	v_lshrrev_b32_e32 v2, 4, v0
	s_ashr_i32 s37, s36, 31
	s_lshl_b64 s[2:3], s[2:3], 15
	v_or_b32_e32 v4, 1, v3
	s_add_u32 s6, s12, s2
	v_xor_b32_e32 v3, v2, v3
	v_xor_b32_e32 v4, v4, v2
	v_lshlrev_b32_e32 v6, 8, v2
	s_addc_u32 s7, s13, s3
	s_lshl_b64 s[2:3], s[36:37], 8
	v_lshl_or_b32 v2, v3, 3, v6
	v_lshl_or_b32 v4, v4, 3, v6
	s_waitcnt lgkmcnt(0)
	s_barrier
	s_add_u32 s2, s6, s2
	ds_read_b64 v[2:3], v2 offset:32768
	ds_read_b64 v[4:5], v4 offset:32768
	s_addc_u32 s3, s7, s3
	v_mov_b32_e32 v7, 0
	s_cmp_lg_u32 s43, 64
	v_lshl_add_u64 v[8:9], s[2:3], 0, v[6:7]
	v_lshlrev_b32_e32 v6, 4, v1
	s_cselect_b64 s[6:7], -1, 0
	v_lshl_or_b32 v35, v44, 3, v47
	s_mov_b32 s24, 0
	v_lshl_add_u64 v[6:7], v[8:9], 0, v[6:7]
	s_waitcnt vmcnt(1)
	v_or_b32_e32 v19, 32, v35
	v_and_b32_e32 v18, 56, v46
	s_and_b64 vcc, exec, s[6:7]
	s_waitcnt lgkmcnt(0)
	global_store_dwordx4 v[6:7], v[2:5], off
	s_cbranch_vccz .LBB575_29
; %bb.24:
	s_mov_b32 s25, s24
	s_mov_b32 s26, s24
	;; [unrolled: 1-line block ×3, first 2 shown]
	v_mov_b64_e32 v[6:7], s[24:25]
	v_mov_b64_e32 v[8:9], s[26:27]
	;; [unrolled: 1-line block ×3, first 2 shown]
	v_cmp_gt_i32_e32 vcc, s43, v35
	v_mov_b64_e32 v[4:5], v[8:9]
	s_and_saveexec_b64 s[2:3], vcc
	s_cbranch_execz .LBB575_26
; %bb.25:
	v_lshlrev_b32_e32 v2, 8, v35
	v_mov_b32_e32 v3, 0
	v_lshl_add_u64 v[4:5], s[0:1], 0, v[2:3]
	v_lshlrev_b32_e32 v2, 1, v18
	v_lshl_add_u64 v[10:11], v[4:5], 0, v[2:3]
	global_load_dwordx4 v[6:9], v[10:11], off
	global_load_dwordx4 v[2:5], v[10:11], off offset:128
.LBB575_26:
	s_or_b64 exec, exec, s[2:3]
	s_mov_b32 s25, s24
	s_mov_b32 s26, s24
	;; [unrolled: 1-line block ×3, first 2 shown]
	v_mov_b64_e32 v[14:15], s[24:25]
	v_mov_b64_e32 v[16:17], s[26:27]
	;; [unrolled: 1-line block ×3, first 2 shown]
	v_cmp_gt_i32_e32 vcc, s43, v19
	v_lshlrev_b32_e32 v20, 7, v19
	v_mov_b64_e32 v[12:13], v[16:17]
	s_and_saveexec_b64 s[2:3], vcc
	s_cbranch_execz .LBB575_28
; %bb.27:
	v_lshlrev_b32_e32 v10, 1, v20
	v_mov_b32_e32 v11, 0
	v_lshl_add_u64 v[12:13], s[0:1], 0, v[10:11]
	v_lshlrev_b32_e32 v10, 1, v18
	v_lshl_add_u64 v[22:23], v[12:13], 0, v[10:11]
	global_load_dwordx4 v[14:17], v[22:23], off
	global_load_dwordx4 v[10:13], v[22:23], off offset:128
.LBB575_28:
	s_or_b64 exec, exec, s[2:3]
	v_lshrrev_b32_e32 v21, 3, v18
	v_lshlrev_b32_e32 v22, 3, v35
	v_or_b32_e32 v21, v22, v21
	v_lshlrev_b32_e32 v21, 4, v21
	v_and_b32_e32 v22, 0x78, v22
	v_xor_b32_e32 v21, v21, v22
	s_branch .LBB575_31
.LBB575_29:
                                        ; implicit-def: $vgpr21
                                        ; implicit-def: $vgpr20
                                        ; implicit-def: $vgpr6_vgpr7_vgpr8_vgpr9
                                        ; implicit-def: $vgpr2_vgpr3_vgpr4_vgpr5
                                        ; implicit-def: $vgpr14_vgpr15_vgpr16_vgpr17
                                        ; implicit-def: $vgpr10_vgpr11_vgpr12_vgpr13
	s_cbranch_execz .LBB575_31
; %bb.30:
	s_waitcnt vmcnt(0)
	v_lshlrev_b32_e32 v2, 1, v18
	v_lshl_or_b32 v20, v35, 8, v2
	s_and_b32 s1, s1, 0xffff
	s_mov_b32 s3, 0x20000
	s_movk_i32 s2, 0x4000
	v_lshl_or_b32 v21, v19, 8, v2
	s_movk_i32 s12, 0x80
	buffer_load_dwordx4 v[6:9], v20, s[0:3], 0 offen
	buffer_load_dwordx4 v[2:5], v20, s[0:3], s12 offen
	;; [unrolled: 1-line block ×4, first 2 shown]
	v_lshrrev_b32_e32 v20, 3, v18
	v_lshlrev_b32_e32 v21, 3, v35
	v_or_b32_e32 v20, v21, v20
	v_lshlrev_b32_e32 v20, 4, v20
	v_and_b32_e32 v21, 0x78, v21
	v_xor_b32_e32 v21, v20, v21
	v_lshlrev_b32_e32 v20, 7, v19
.LBB575_31:
	s_lshl_b64 s[0:1], s[40:41], 8
	s_add_u32 s4, s4, s0
	s_movk_i32 s0, 0x1000
	v_and_or_b32 v19, v20, s0, v21
	s_waitcnt vmcnt(1)
	ds_write_b64 v21, v[6:7] offset:16384
	v_xor_b32_e32 v6, 8, v21
	ds_write_b64 v6, v[8:9] offset:16384
	s_waitcnt vmcnt(0)
	ds_write_b64 v21, v[2:3] offset:24576
	ds_write_b64 v6, v[4:5] offset:24576
	;; [unrolled: 1-line block ×3, first 2 shown]
	v_xor_b32_e32 v2, 8, v19
	ds_write_b64 v2, v[16:17] offset:16384
	ds_write_b64 v19, v[10:11] offset:24576
	;; [unrolled: 1-line block ×3, first 2 shown]
	v_or_b32_e32 v2, v42, v1
	s_addc_u32 s5, s5, s1
	s_add_i32 s2, s16, -1
	v_lshlrev_b32_e32 v2, 3, v2
	v_lshrrev_b32_e32 v4, 5, v43
	s_movk_i32 s16, 0xf8
	v_and_or_b32 v4, v2, s16, v4
	v_lshlrev_b32_e32 v3, 11, v44
	v_lshlrev_b32_e32 v12, 4, v4
	v_and_b32_e32 v13, 0x78, v2
	v_and_b32_e32 v14, 0x1000, v3
	v_lshlrev_b32_e32 v3, 2, v0
	v_xor_b32_e32 v2, v12, v13
	v_lshrrev_b32_e32 v4, 1, v43
	v_and_b32_e32 v3, 60, v3
	v_or_b32_e32 v2, v2, v14
	v_and_b32_e32 v15, 8, v4
	v_xor_b32_e32 v26, v2, v15
	v_lshl_or_b32 v2, v45, 6, v3
	v_lshlrev_b32_e32 v19, 1, v2
	v_or_b32_e32 v2, 32, v12
	v_xor_b32_e32 v2, v2, v13
	s_waitcnt lgkmcnt(0)
	s_barrier
	ds_read_b64 v[10:11], v26 offset:16384
	v_or_b32_e32 v2, v2, v14
	v_xor_b32_e32 v27, v2, v15
	v_or_b32_e32 v2, 64, v12
	v_xor_b32_e32 v2, v2, v13
	v_or_b32_e32 v2, v2, v14
	v_or_b32_e32 v12, 0x60, v12
	v_xor_b32_e32 v28, v2, v15
	ds_read2st64_b64 v[2:5], v19 offset0:72 offset1:73
	ds_read2st64_b64 v[6:9], v19 offset0:74 offset1:75
	v_xor_b32_e32 v16, v12, v13
	ds_read_b64 v[12:13], v27 offset:16384
	s_waitcnt lgkmcnt(2)
	v_mfma_f32_16x16x16_bf16 a[0:3], v[10:11], v[2:3], 0
	s_add_i32 s0, s44, s21
	s_mul_i32 s39, s39, s20
	s_add_i32 s39, s0, s39
	s_mul_i32 s0, s33, s23
	s_mul_hi_u32 s1, s33, s22
	s_ashr_i32 s3, s2, 31
	s_mul_i32 s12, s2, s35
	s_mul_hi_u32 s13, s2, s34
	s_add_i32 s0, s1, s0
	s_mul_i32 s1, s18, s22
	s_add_i32 s12, s13, s12
	s_mul_i32 s3, s3, s34
	v_or_b32_e32 v14, v16, v14
	s_add_i32 s1, s0, s1
	s_add_i32 s3, s12, s3
	s_lshl_b64 s[12:13], s[38:39], 2
	v_xor_b32_e32 v36, v14, v15
	ds_read_b64 v[14:15], v28 offset:16384
	ds_read_b64 v[16:17], v36 offset:16384
	s_waitcnt lgkmcnt(2)
	v_mfma_f32_16x16x16_bf16 a[0:3], v[12:13], v[4:5], a[0:3]
	s_mul_i32 s0, s33, s22
	s_add_u32 s10, s10, s12
	s_addc_u32 s11, s11, s13
	s_lshl_b64 s[0:1], s[0:1], 2
	s_mul_i32 s2, s2, s34
	s_add_u32 s10, s10, s0
	s_addc_u32 s11, s11, s1
	s_lshl_b64 s[0:1], s[2:3], 2
	s_waitcnt lgkmcnt(1)
	v_mfma_f32_16x16x16_bf16 a[0:3], v[14:15], v[6:7], a[0:3]
	s_add_u32 s0, s10, s0
	s_addc_u32 s1, s11, s1
	s_load_dword s12, s[0:1], 0x0
	s_waitcnt lgkmcnt(0)
	v_mfma_f32_16x16x16_bf16 a[0:3], v[16:17], v[8:9], a[0:3]
	s_and_b64 vcc, exec, s[30:31]
	s_cbranch_vccz .LBB575_42
; %bb.32:
	v_lshlrev_b32_e32 v20, 1, v35
	s_and_b64 vcc, exec, s[6:7]
	s_cbranch_vccz .LBB575_43
; %bb.33:
	v_cmp_gt_i32_e32 vcc, s43, v20
	v_mov_b32_e32 v6, 0
	v_mov_b32_e32 v2, 0
	;; [unrolled: 1-line block ×5, first 2 shown]
	s_and_saveexec_b64 s[0:1], vcc
	s_cbranch_execz .LBB575_35
; %bb.34:
	v_mad_i64_i32 v[2:3], s[2:3], s19, v20, 0
	v_lshl_add_u64 v[2:3], v[2:3], 1, s[4:5]
	v_lshlrev_b32_e32 v4, 1, v18
	v_mov_b32_e32 v5, 0
	v_lshl_add_u64 v[2:3], v[2:3], 0, v[4:5]
	global_load_dwordx4 v[2:5], v[2:3], off
.LBB575_35:
	s_or_b64 exec, exec, s[0:1]
	v_or_b32_e32 v21, 1, v20
	v_cmp_gt_i32_e64 s[0:1], s43, v21
	v_mov_b32_e32 v7, 0
	v_mov_b32_e32 v8, 0
	;; [unrolled: 1-line block ×3, first 2 shown]
	s_and_saveexec_b64 s[2:3], s[0:1]
	s_cbranch_execz .LBB575_37
; %bb.36:
	v_mad_i64_i32 v[6:7], s[16:17], s19, v21, 0
	v_lshl_add_u64 v[6:7], v[6:7], 1, s[4:5]
	v_lshlrev_b32_e32 v8, 1, v18
	v_mov_b32_e32 v9, 0
	v_lshl_add_u64 v[6:7], v[6:7], 0, v[8:9]
	global_load_dwordx4 v[6:9], v[6:7], off
.LBB575_37:
	s_or_b64 exec, exec, s[2:3]
	v_mov_b32_e32 v17, 0
	v_mov_b32_e32 v10, 0
	;; [unrolled: 1-line block ×5, first 2 shown]
	s_and_saveexec_b64 s[2:3], vcc
	s_cbranch_execz .LBB575_39
; %bb.38:
	v_mad_i64_i32 v[10:11], s[16:17], s19, v20, 0
	v_lshl_add_u64 v[10:11], v[10:11], 1, s[4:5]
	v_lshlrev_b32_e32 v12, 1, v18
	v_mov_b32_e32 v13, 0
	v_lshl_add_u64 v[10:11], v[10:11], 0, v[12:13]
	global_load_dwordx4 v[10:13], v[10:11], off offset:128
.LBB575_39:
	s_or_b64 exec, exec, s[2:3]
	v_mov_b32_e32 v16, 0
	v_mov_b32_e32 v15, 0
	;; [unrolled: 1-line block ×3, first 2 shown]
	s_and_saveexec_b64 s[2:3], s[0:1]
	s_cbranch_execz .LBB575_41
; %bb.40:
	v_mad_i64_i32 v[14:15], s[0:1], s19, v21, 0
	v_lshl_add_u64 v[14:15], v[14:15], 1, s[4:5]
	v_lshlrev_b32_e32 v16, 1, v18
	v_mov_b32_e32 v17, 0
	v_lshl_add_u64 v[14:15], v[14:15], 0, v[16:17]
	global_load_dwordx4 v[14:17], v[14:15], off offset:128
.LBB575_41:
	s_or_b64 exec, exec, s[2:3]
	s_branch .LBB575_45
.LBB575_42:
                                        ; implicit-def: $vgpr5
                                        ; implicit-def: $vgpr9
                                        ; implicit-def: $vgpr13
                                        ; implicit-def: $vgpr17
	v_lshrrev_b32_e32 v37, 2, v43
	s_branch .LBB575_46
.LBB575_43:
                                        ; implicit-def: $vgpr5
                                        ; implicit-def: $vgpr9
                                        ; implicit-def: $vgpr13
                                        ; implicit-def: $vgpr17
	s_cbranch_execz .LBB575_45
; %bb.44:
	s_waitcnt vmcnt(0)
	v_mad_u64_u32 v[2:3], s[0:1], v20, s19, v[18:19]
	v_lshlrev_b32_e32 v20, 1, v2
	s_lshl_b32 s2, s19, 7
	s_and_b32 s1, s5, 0xffff
	s_mov_b32 s3, 0x20000
	s_mov_b32 s0, s4
	v_add_lshl_u32 v21, v2, s19, 1
	s_movk_i32 s13, 0x80
	buffer_load_dwordx4 v[2:5], v20, s[0:3], 0 offen
	buffer_load_dwordx4 v[10:13], v20, s[0:3], s13 offen
	;; [unrolled: 1-line block ×4, first 2 shown]
.LBB575_45:
	v_lshrrev_b32_e32 v37, 2, v43
	s_cbranch_execnz .LBB575_58
.LBB575_46:
	s_and_b64 vcc, exec, s[6:7]
	s_cbranch_vccz .LBB575_56
; %bb.47:
	s_waitcnt vmcnt(0)
	v_lshlrev_b32_e32 v7, 1, v35
	v_cmp_gt_i32_e32 vcc, s43, v7
	v_mov_b32_e32 v6, 0
	v_lshlrev_b32_e32 v14, 9, v35
	v_mov_b32_e32 v2, 0
	v_mov_b32_e32 v3, 0
	;; [unrolled: 1-line block ×4, first 2 shown]
	s_and_saveexec_b64 s[0:1], vcc
	s_cbranch_execz .LBB575_49
; %bb.48:
	v_mov_b32_e32 v15, 0
	v_lshl_add_u64 v[2:3], s[4:5], 0, v[14:15]
	v_lshlrev_b32_e32 v4, 1, v18
	v_mov_b32_e32 v5, v15
	v_lshl_add_u64 v[2:3], v[2:3], 0, v[4:5]
	global_load_dwordx4 v[2:5], v[2:3], off
.LBB575_49:
	s_or_b64 exec, exec, s[0:1]
	v_or_b32_e32 v7, 1, v7
	v_cmp_gt_i32_e64 s[0:1], s43, v7
	v_lshlrev_b32_e32 v20, 8, v7
	v_mov_b32_e32 v7, 0
	v_mov_b32_e32 v8, 0
	;; [unrolled: 1-line block ×3, first 2 shown]
	s_and_saveexec_b64 s[2:3], s[0:1]
	s_cbranch_execz .LBB575_51
; %bb.50:
	v_mov_b32_e32 v21, 0
	v_lshl_add_u64 v[6:7], s[4:5], 0, v[20:21]
	v_lshlrev_b32_e32 v8, 1, v18
	v_mov_b32_e32 v9, v21
	v_lshl_add_u64 v[6:7], v[6:7], 0, v[8:9]
	global_load_dwordx4 v[6:9], v[6:7], off
.LBB575_51:
	s_or_b64 exec, exec, s[2:3]
	v_mov_b32_e32 v17, 0
	v_mov_b32_e32 v10, 0
	;; [unrolled: 1-line block ×5, first 2 shown]
	s_and_saveexec_b64 s[2:3], vcc
	s_cbranch_execz .LBB575_53
; %bb.52:
	v_mov_b32_e32 v15, 0
	v_lshl_add_u64 v[10:11], s[4:5], 0, v[14:15]
	v_lshlrev_b32_e32 v14, 1, v18
	v_lshl_add_u64 v[10:11], v[10:11], 0, v[14:15]
	global_load_dwordx4 v[10:13], v[10:11], off offset:128
.LBB575_53:
	s_or_b64 exec, exec, s[2:3]
	v_mov_b32_e32 v16, 0
	v_mov_b32_e32 v15, 0
	;; [unrolled: 1-line block ×3, first 2 shown]
	s_and_saveexec_b64 s[2:3], s[0:1]
	s_cbranch_execz .LBB575_55
; %bb.54:
	v_mov_b32_e32 v21, 0
	v_lshl_add_u64 v[14:15], s[4:5], 0, v[20:21]
	v_lshlrev_b32_e32 v20, 1, v18
	v_lshl_add_u64 v[14:15], v[14:15], 0, v[20:21]
	global_load_dwordx4 v[14:17], v[14:15], off offset:128
.LBB575_55:
	s_or_b64 exec, exec, s[2:3]
	s_branch .LBB575_58
.LBB575_56:
                                        ; implicit-def: $vgpr5
                                        ; implicit-def: $vgpr9
                                        ; implicit-def: $vgpr13
                                        ; implicit-def: $vgpr17
	s_cbranch_execz .LBB575_58
; %bb.57:
	s_waitcnt vmcnt(0)
	v_lshlrev_b32_e32 v2, 1, v18
	v_lshl_or_b32 v18, v35, 9, v2
	s_and_b32 s5, s5, 0xffff
	s_mov_b32 s7, 0x20000
	s_movk_i32 s6, 0x4000
	s_movk_i32 s0, 0x80
	buffer_load_dwordx4 v[2:5], v18, s[4:7], 0 offen
	buffer_load_dwordx4 v[6:9], v18, s[4:7], 0 offen offset:256
	buffer_load_dwordx4 v[10:13], v18, s[4:7], s0 offen
	buffer_load_dwordx4 v[14:17], v18, s[4:7], s0 offen offset:256
.LBB575_58:
	ds_read2st64_b64 v[22:25], v19 offset0:76 offset1:77
	ds_read2st64_b64 v[18:21], v19 offset0:78 offset1:79
	ds_read_b64 v[32:33], v26 offset:24576
	ds_read_b64 v[30:31], v27 offset:24576
	;; [unrolled: 1-line block ×4, first 2 shown]
	v_and_b32_e32 v36, 6, v0
	v_xor_b32_e32 v35, v35, v36
	v_lshlrev_b32_e32 v35, 2, v35
	v_and_b32_e32 v0, 1, v0
	v_xor_b32_e32 v38, 0x440, v35
	v_cmp_eq_u32_e32 vcc, 0, v0
	s_mov_b32 s0, 0x1000504
	s_mov_b32 s1, 0x3020706
	v_cndmask_b32_e32 v0, v38, v35, vcc
	v_lshl_or_b32 v0, v36, 10, v0
	s_waitcnt vmcnt(0)
	v_perm_b32 v35, v2, v6, s0
	v_perm_b32 v36, v10, v14, s0
	ds_write2st64_b32 v0, v35, v36 offset1:32
	v_xor_b32_e32 v35, 8, v0
	v_perm_b32 v2, v2, v6, s1
	v_perm_b32 v6, v10, v14, s1
	v_add_u32_e32 v10, 0x80, v35
	ds_write2st64_b32 v10, v2, v6 offset1:32
	v_xor_b32_e32 v2, 16, v0
	v_perm_b32 v6, v3, v7, s0
	v_perm_b32 v10, v11, v15, s0
	ds_write2st64_b32 v2, v6, v10 offset0:1 offset1:33
	v_xor_b32_e32 v2, 24, v0
	v_perm_b32 v3, v3, v7, s1
	v_perm_b32 v6, v11, v15, s1
	v_add_u32_e32 v2, 0x80, v2
	ds_write2st64_b32 v2, v3, v6 offset0:1 offset1:33
	v_xor_b32_e32 v2, 32, v0
	v_perm_b32 v3, v4, v8, s0
	v_perm_b32 v6, v12, v16, s0
	ds_write2st64_b32 v2, v3, v6 offset0:2 offset1:34
	v_xor_b32_e32 v2, 40, v0
	v_perm_b32 v3, v4, v8, s1
	v_perm_b32 v4, v12, v16, s1
	v_add_u32_e32 v2, 0x80, v2
	ds_write2st64_b32 v2, v3, v4 offset0:2 offset1:34
	v_xor_b32_e32 v2, 48, v0
	v_perm_b32 v3, v5, v9, s0
	v_perm_b32 v4, v13, v17, s0
	v_xor_b32_e32 v0, 56, v0
	v_and_or_b32 v8, v37, 12, v42
	ds_write2st64_b32 v2, v3, v4 offset0:3 offset1:35
	v_perm_b32 v2, v5, v9, s1
	v_perm_b32 v3, v13, v17, s1
	v_add_u32_e32 v0, 0x80, v0
	v_cmp_gt_i32_e64 s[2:3], s43, v8
	v_mov_b32_e32 v10, 0
	v_mov_b32_e32 v15, 0
	ds_write2st64_b32 v0, v2, v3 offset0:3 offset1:35
	s_and_saveexec_b64 s[0:1], s[2:3]
	s_cbranch_execz .LBB575_60
; %bb.59:
	v_add_u32_e32 v0, s42, v8
	v_ashrrev_i32_e32 v2, 31, v0
	v_mul_lo_u32 v4, v2, s34
	v_mul_lo_u32 v5, v0, s35
	v_mad_u64_u32 v[2:3], s[4:5], v0, s34, 0
	v_add3_u32 v3, v3, v5, v4
	v_lshl_add_u64 v[2:3], v[2:3], 2, s[10:11]
	global_load_dword v0, v[2:3], off
	s_waitcnt vmcnt(0)
	v_sub_f32_e32 v0, s12, v0
	v_exp_f32_e32 v15, v0
.LBB575_60:
	s_or_b64 exec, exec, s[0:1]
	v_or_b32_e32 v13, 1, v8
	v_cmp_gt_i32_e64 s[4:5], s43, v13
	s_and_saveexec_b64 s[0:1], s[4:5]
	s_cbranch_execz .LBB575_62
; %bb.61:
	v_add_u32_e32 v0, s42, v13
	v_ashrrev_i32_e32 v2, 31, v0
	v_mul_lo_u32 v4, v2, s34
	v_mul_lo_u32 v5, v0, s35
	v_mad_u64_u32 v[2:3], s[6:7], v0, s34, 0
	v_add3_u32 v3, v3, v5, v4
	v_lshl_add_u64 v[2:3], v[2:3], 2, s[10:11]
	global_load_dword v0, v[2:3], off
	s_waitcnt vmcnt(0)
	v_sub_f32_e32 v0, s12, v0
	v_exp_f32_e32 v10, v0
.LBB575_62:
	s_or_b64 exec, exec, s[0:1]
	v_or_b32_e32 v11, 2, v8
	v_cmp_gt_i32_e32 vcc, s43, v11
	v_mov_b32_e32 v9, 0
	v_mov_b32_e32 v14, 0
	s_and_saveexec_b64 s[0:1], vcc
	s_cbranch_execz .LBB575_64
; %bb.63:
	v_add_u32_e32 v0, s42, v11
	v_ashrrev_i32_e32 v2, 31, v0
	v_mul_lo_u32 v4, v2, s34
	v_mul_lo_u32 v5, v0, s35
	v_mad_u64_u32 v[2:3], s[6:7], v0, s34, 0
	v_add3_u32 v3, v3, v5, v4
	v_lshl_add_u64 v[2:3], v[2:3], 2, s[10:11]
	global_load_dword v0, v[2:3], off
	s_waitcnt vmcnt(0)
	v_sub_f32_e32 v0, s12, v0
	v_exp_f32_e32 v14, v0
.LBB575_64:
	s_or_b64 exec, exec, s[0:1]
	v_or_b32_e32 v12, 3, v8
	v_cmp_gt_i32_e64 s[0:1], s43, v12
	s_and_saveexec_b64 s[6:7], s[0:1]
	s_cbranch_execz .LBB575_66
; %bb.65:
	v_add_u32_e32 v0, s42, v12
	v_ashrrev_i32_e32 v2, 31, v0
	v_mul_lo_u32 v4, v2, s34
	v_mul_lo_u32 v5, v0, s35
	v_mad_u64_u32 v[2:3], s[16:17], v0, s34, 0
	v_add3_u32 v3, v3, v5, v4
	v_lshl_add_u64 v[2:3], v[2:3], 2, s[10:11]
	global_load_dword v0, v[2:3], off
	s_waitcnt vmcnt(0)
	v_sub_f32_e32 v0, s12, v0
	v_exp_f32_e32 v9, v0
.LBB575_66:
	s_or_b64 exec, exec, s[6:7]
	s_waitcnt lgkmcnt(11)
	v_mfma_f32_16x16x16_bf16 a[0:3], v[32:33], v[22:23], a[0:3]
	v_or_b32_e32 v0, s36, v1
	s_add_u32 s6, s8, s28
	v_ashrrev_i32_e32 v1, 31, v0
	s_waitcnt lgkmcnt(10)
	v_mfma_f32_16x16x16_bf16 a[0:3], v[30:31], v[24:25], a[0:3]
	s_addc_u32 s7, s9, s29
	v_lshlrev_b64 v[0:1], 1, v[0:1]
	v_lshl_add_u64 v[4:5], s[6:7], 0, v[0:1]
	s_waitcnt lgkmcnt(9)
	v_mfma_f32_16x16x16_bf16 a[0:3], v[28:29], v[18:19], a[0:3]
	s_add_u32 s6, s14, s28
	s_addc_u32 s7, s15, s29
	v_lshl_add_u64 v[6:7], s[6:7], 0, v[0:1]
	s_waitcnt lgkmcnt(8)
	v_mfma_f32_16x16x16_bf16 a[0:3], v[26:27], v[20:21], a[0:3]
	v_mov_b32_e32 v16, 0
	v_mov_b32_e32 v17, 0
	s_nop 4
	v_accvgpr_read_b32 v0, a0
	v_accvgpr_read_b32 v1, a1
	;; [unrolled: 1-line block ×4, first 2 shown]
	s_and_saveexec_b64 s[6:7], s[2:3]
	s_cbranch_execz .LBB575_68
; %bb.67:
	v_lshlrev_b32_e32 v18, 8, v8
	v_mov_b32_e32 v19, 0
	v_lshl_add_u64 v[20:21], v[4:5], 0, v[18:19]
	global_load_ushort v17, v[20:21], off
	v_lshl_add_u64 v[18:19], v[6:7], 0, v[18:19]
	s_waitcnt vmcnt(0)
	v_lshlrev_b32_e32 v17, 16, v17
	v_sub_f32_e32 v0, v17, v0
	global_store_short_d16_hi v[18:19], v0, off
	v_mul_f32_e32 v0, v15, v0
	v_lshrrev_b32_e32 v17, 16, v0
.LBB575_68:
	s_or_b64 exec, exec, s[6:7]
	s_and_saveexec_b64 s[2:3], s[4:5]
	s_cbranch_execz .LBB575_70
; %bb.69:
	v_lshlrev_b32_e32 v18, 8, v13
	v_mov_b32_e32 v19, 0
	v_lshl_add_u64 v[20:21], v[4:5], 0, v[18:19]
	global_load_ushort v0, v[20:21], off
	v_lshl_add_u64 v[18:19], v[6:7], 0, v[18:19]
	s_waitcnt vmcnt(0)
	v_lshlrev_b32_e32 v0, 16, v0
	v_sub_f32_e32 v0, v0, v1
	global_store_short_d16_hi v[18:19], v0, off
	v_mul_f32_e32 v0, v10, v0
	v_lshrrev_b32_e32 v16, 16, v0
.LBB575_70:
	s_or_b64 exec, exec, s[2:3]
	v_mov_b32_e32 v0, 0
	v_mov_b32_e32 v1, 0
	s_and_saveexec_b64 s[2:3], vcc
	s_cbranch_execz .LBB575_72
; %bb.71:
	v_lshlrev_b32_e32 v10, 8, v11
	v_mov_b32_e32 v11, 0
	v_lshl_add_u64 v[18:19], v[4:5], 0, v[10:11]
	global_load_ushort v1, v[18:19], off
	v_lshl_add_u64 v[10:11], v[6:7], 0, v[10:11]
	s_waitcnt vmcnt(0)
	v_lshlrev_b32_e32 v1, 16, v1
	v_sub_f32_e32 v1, v1, v2
	global_store_short_d16_hi v[10:11], v1, off
	v_mul_f32_e32 v1, v14, v1
	v_lshrrev_b32_e32 v1, 16, v1
.LBB575_72:
	s_or_b64 exec, exec, s[2:3]
	s_and_saveexec_b64 s[2:3], s[0:1]
	s_cbranch_execz .LBB575_74
; %bb.73:
	v_lshlrev_b32_e32 v10, 8, v12
	v_mov_b32_e32 v11, 0
	v_lshl_add_u64 v[4:5], v[4:5], 0, v[10:11]
	global_load_ushort v0, v[4:5], off
	v_lshl_add_u64 v[4:5], v[6:7], 0, v[10:11]
	s_waitcnt vmcnt(0)
	v_lshlrev_b32_e32 v0, 16, v0
	v_sub_f32_e32 v0, v0, v3
	global_store_short_d16_hi v[4:5], v0, off
	v_mul_f32_e32 v0, v9, v0
	v_lshrrev_b32_e32 v0, 16, v0
.LBB575_74:
	s_or_b64 exec, exec, s[2:3]
	s_mov_b32 s0, 0x5040100
	v_lshlrev_b32_e32 v2, 1, v34
	v_perm_b32 v1, v0, v1, s0
	v_perm_b32 v0, v16, v17, s0
	v_lshl_or_b32 v2, v8, 5, v2
	ds_write_b64 v2, v[0:1] offset:38912
	s_waitcnt lgkmcnt(0)
	s_barrier
.LBB575_75:
	s_endpgm
	.section	.rodata,"a",@progbits
	.p2align	6, 0x0
	.amdhsa_kernel _ZN12_GLOBAL__N_139chunk_gated_delta_rule_fwd_h_hip_kernelILi16ELb0ELb0ELb1ELb0ELb1ELb0ELb0ELb1EEEvPK12hip_bfloat16S3_S3_PKfS5_PKvPS1_S8_PvPKiSB_iiiiilll
		.amdhsa_group_segment_fixed_size 40960
		.amdhsa_private_segment_fixed_size 0
		.amdhsa_kernarg_size 136
		.amdhsa_user_sgpr_count 2
		.amdhsa_user_sgpr_dispatch_ptr 0
		.amdhsa_user_sgpr_queue_ptr 0
		.amdhsa_user_sgpr_kernarg_segment_ptr 1
		.amdhsa_user_sgpr_dispatch_id 0
		.amdhsa_user_sgpr_kernarg_preload_length 0
		.amdhsa_user_sgpr_kernarg_preload_offset 0
		.amdhsa_user_sgpr_private_segment_size 0
		.amdhsa_uses_dynamic_stack 0
		.amdhsa_enable_private_segment 0
		.amdhsa_system_sgpr_workgroup_id_x 1
		.amdhsa_system_sgpr_workgroup_id_y 1
		.amdhsa_system_sgpr_workgroup_id_z 0
		.amdhsa_system_sgpr_workgroup_info 0
		.amdhsa_system_vgpr_workitem_id 0
		.amdhsa_next_free_vgpr 116
		.amdhsa_next_free_sgpr 66
		.amdhsa_accum_offset 108
		.amdhsa_reserve_vcc 1
		.amdhsa_float_round_mode_32 0
		.amdhsa_float_round_mode_16_64 0
		.amdhsa_float_denorm_mode_32 3
		.amdhsa_float_denorm_mode_16_64 3
		.amdhsa_dx10_clamp 1
		.amdhsa_ieee_mode 1
		.amdhsa_fp16_overflow 0
		.amdhsa_tg_split 0
		.amdhsa_exception_fp_ieee_invalid_op 0
		.amdhsa_exception_fp_denorm_src 0
		.amdhsa_exception_fp_ieee_div_zero 0
		.amdhsa_exception_fp_ieee_overflow 0
		.amdhsa_exception_fp_ieee_underflow 0
		.amdhsa_exception_fp_ieee_inexact 0
		.amdhsa_exception_int_div_zero 0
	.end_amdhsa_kernel
	.section	.text._ZN12_GLOBAL__N_139chunk_gated_delta_rule_fwd_h_hip_kernelILi16ELb0ELb0ELb1ELb0ELb1ELb0ELb0ELb1EEEvPK12hip_bfloat16S3_S3_PKfS5_PKvPS1_S8_PvPKiSB_iiiiilll,"axG",@progbits,_ZN12_GLOBAL__N_139chunk_gated_delta_rule_fwd_h_hip_kernelILi16ELb0ELb0ELb1ELb0ELb1ELb0ELb0ELb1EEEvPK12hip_bfloat16S3_S3_PKfS5_PKvPS1_S8_PvPKiSB_iiiiilll,comdat
.Lfunc_end575:
	.size	_ZN12_GLOBAL__N_139chunk_gated_delta_rule_fwd_h_hip_kernelILi16ELb0ELb0ELb1ELb0ELb1ELb0ELb0ELb1EEEvPK12hip_bfloat16S3_S3_PKfS5_PKvPS1_S8_PvPKiSB_iiiiilll, .Lfunc_end575-_ZN12_GLOBAL__N_139chunk_gated_delta_rule_fwd_h_hip_kernelILi16ELb0ELb0ELb1ELb0ELb1ELb0ELb0ELb1EEEvPK12hip_bfloat16S3_S3_PKfS5_PKvPS1_S8_PvPKiSB_iiiiilll
                                        ; -- End function
	.section	.AMDGPU.csdata,"",@progbits
; Kernel info:
; codeLenInByte = 7300
; NumSgprs: 72
; NumVgprs: 108
; NumAgprs: 8
; TotalNumVgprs: 116
; ScratchSize: 0
; MemoryBound: 0
; FloatMode: 240
; IeeeMode: 1
; LDSByteSize: 40960 bytes/workgroup (compile time only)
; SGPRBlocks: 8
; VGPRBlocks: 14
; NumSGPRsForWavesPerEU: 72
; NumVGPRsForWavesPerEU: 116
; AccumOffset: 108
; Occupancy: 1
; WaveLimiterHint : 1
; COMPUTE_PGM_RSRC2:SCRATCH_EN: 0
; COMPUTE_PGM_RSRC2:USER_SGPR: 2
; COMPUTE_PGM_RSRC2:TRAP_HANDLER: 0
; COMPUTE_PGM_RSRC2:TGID_X_EN: 1
; COMPUTE_PGM_RSRC2:TGID_Y_EN: 1
; COMPUTE_PGM_RSRC2:TGID_Z_EN: 0
; COMPUTE_PGM_RSRC2:TIDIG_COMP_CNT: 0
; COMPUTE_PGM_RSRC3_GFX90A:ACCUM_OFFSET: 26
; COMPUTE_PGM_RSRC3_GFX90A:TG_SPLIT: 0
	.section	.text._ZN12_GLOBAL__N_139chunk_gated_delta_rule_fwd_h_hip_kernelILi16ELb0ELb0ELb0ELb0ELb1ELb0ELb0ELb1EEEvPK12hip_bfloat16S3_S3_PKfS5_PKvPS1_S8_PvPKiSB_iiiiilll,"axG",@progbits,_ZN12_GLOBAL__N_139chunk_gated_delta_rule_fwd_h_hip_kernelILi16ELb0ELb0ELb0ELb0ELb1ELb0ELb0ELb1EEEvPK12hip_bfloat16S3_S3_PKfS5_PKvPS1_S8_PvPKiSB_iiiiilll,comdat
	.globl	_ZN12_GLOBAL__N_139chunk_gated_delta_rule_fwd_h_hip_kernelILi16ELb0ELb0ELb0ELb0ELb1ELb0ELb0ELb1EEEvPK12hip_bfloat16S3_S3_PKfS5_PKvPS1_S8_PvPKiSB_iiiiilll ; -- Begin function _ZN12_GLOBAL__N_139chunk_gated_delta_rule_fwd_h_hip_kernelILi16ELb0ELb0ELb0ELb0ELb1ELb0ELb0ELb1EEEvPK12hip_bfloat16S3_S3_PKfS5_PKvPS1_S8_PvPKiSB_iiiiilll
	.p2align	8
	.type	_ZN12_GLOBAL__N_139chunk_gated_delta_rule_fwd_h_hip_kernelILi16ELb0ELb0ELb0ELb0ELb1ELb0ELb0ELb1EEEvPK12hip_bfloat16S3_S3_PKfS5_PKvPS1_S8_PvPKiSB_iiiiilll,@function
_ZN12_GLOBAL__N_139chunk_gated_delta_rule_fwd_h_hip_kernelILi16ELb0ELb0ELb0ELb0ELb1ELb0ELb0ELb1EEEvPK12hip_bfloat16S3_S3_PKfS5_PKvPS1_S8_PvPKiSB_iiiiilll: ; @_ZN12_GLOBAL__N_139chunk_gated_delta_rule_fwd_h_hip_kernelILi16ELb0ELb0ELb0ELb0ELb1ELb0ELb0ELb1EEEvPK12hip_bfloat16S3_S3_PKfS5_PKvPS1_S8_PvPKiSB_iiiiilll
; %bb.0:
	s_load_dwordx4 s[12:15], s[0:1], 0x5c
	s_load_dwordx2 s[36:37], s[0:1], 0x30
	s_abs_i32 s18, s3
	s_ashr_i32 s17, s3, 31
	s_load_dwordx8 s[4:11], s[0:1], 0x0
	s_waitcnt lgkmcnt(0)
	s_abs_i32 s16, s13
	v_cvt_f32_u32_e32 v1, s16
	s_sub_i32 s20, 0, s16
	s_ashr_i32 s19, s13, 31
	s_xor_b32 s17, s17, s19
	v_rcp_iflag_f32_e32 v1, v1
	v_lshrrev_b32_e32 v42, 6, v0
	v_bfe_u32 v43, v0, 4, 2
	v_lshlrev_b32_e32 v40, 4, v42
	v_mul_f32_e32 v1, 0x4f7ffffe, v1
	v_cvt_u32_f32_e32 v1, v1
	v_lshlrev_b32_e32 v2, 2, v43
	v_and_b32_e32 v41, 63, v0
	v_or_b32_e32 v46, v2, v40
	v_readfirstlane_b32 s21, v1
	s_mul_i32 s20, s20, s21
	s_mul_hi_u32 s20, s21, s20
	s_add_i32 s21, s21, s20
	s_mul_hi_u32 s20, s18, s21
	s_mul_i32 s21, s20, s16
	s_sub_i32 s18, s18, s21
	s_add_i32 s22, s20, 1
	s_sub_i32 s21, s18, s16
	s_cmp_ge_u32 s18, s16
	s_cselect_b32 s20, s22, s20
	s_cselect_b32 s18, s21, s18
	s_add_i32 s21, s20, 1
	s_cmp_ge_u32 s18, s16
	s_cselect_b32 s18, s21, s20
	s_xor_b32 s18, s18, s17
	s_sub_i32 s45, s18, s17
	s_abs_i32 s17, s14
	v_cvt_f32_u32_e32 v1, s17
	s_add_i32 s20, s12, 63
	s_mul_i32 s43, s45, s13
	s_sub_i32 s33, s3, s43
	v_rcp_iflag_f32_e32 v1, v1
	s_ashr_i32 s3, s20, 31
	s_ashr_i32 s44, s12, 31
	s_lshr_b32 s3, s3, 26
	v_mul_f32_e32 v1, 0x4f7ffffe, v1
	v_cvt_u32_f32_e32 v1, v1
	s_lshr_b32 s18, s44, 26
	s_add_i32 s20, s20, s3
	s_add_i32 s18, s12, s18
	s_ashr_i32 s47, s14, 31
	s_ashr_i32 s3, s20, 6
	;; [unrolled: 1-line block ×3, first 2 shown]
	s_xor_b32 s18, s19, s47
	s_sub_i32 s19, 0, s17
	v_readfirstlane_b32 s20, v1
	s_mul_i32 s19, s19, s20
	s_mul_hi_u32 s19, s20, s19
	s_add_i32 s20, s20, s19
	s_mul_hi_u32 s19, s16, s20
	s_mul_i32 s20, s19, s17
	s_sub_i32 s16, s16, s20
	s_add_i32 s20, s19, 1
	s_sub_i32 s21, s16, s17
	s_cmp_ge_u32 s16, s17
	s_cselect_b32 s19, s20, s19
	s_cselect_b32 s16, s21, s16
	s_add_i32 s20, s19, 1
	s_cmp_ge_u32 s16, s17
	s_cselect_b32 s16, s20, s19
	s_xor_b32 s16, s16, s18
	s_sub_i32 s20, s16, s18
	s_abs_i32 s21, s20
	v_cvt_f32_u32_e32 v1, s21
	s_load_dwordx2 s[28:29], s[0:1], 0x80
	s_load_dwordx4 s[16:19], s[0:1], 0x70
	s_xor_b32 s0, s33, s20
	s_sub_i32 s20, 0, s21
	v_rcp_iflag_f32_e32 v1, v1
	s_abs_i32 s1, s33
	s_ashr_i32 s0, s0, 31
	s_mul_i32 s48, s45, s3
	v_mul_f32_e32 v1, 0x4f7ffffe, v1
	v_cvt_u32_f32_e32 v1, v1
	v_or_b32_e32 v47, 64, v46
	v_mov_b32_e32 v3, 0
	s_mul_hi_i32 s49, s45, s13
	v_readfirstlane_b32 s22, v1
	s_mul_i32 s20, s20, s22
	s_mul_hi_u32 s20, s22, s20
	s_add_i32 s22, s22, s20
	s_mul_hi_u32 s20, s1, s22
	s_mul_i32 s22, s20, s21
	s_sub_i32 s1, s1, s22
	s_add_i32 s22, s20, 1
	s_sub_i32 s23, s1, s21
	s_cmp_ge_u32 s1, s21
	s_cselect_b32 s20, s22, s20
	s_cselect_b32 s1, s23, s1
	s_add_i32 s22, s20, 1
	s_cmp_ge_u32 s1, s21
	s_cselect_b32 s1, s22, s20
	s_xor_b32 s1, s1, s0
	s_sub_i32 s50, s1, s0
	s_lshl_b32 s30, s2, 4
	v_and_b32_e32 v1, 15, v0
	s_cmp_lt_i32 s12, 64
	v_lshrrev_b32_e32 v45, 3, v41
	v_lshlrev_b32_e32 v44, 3, v0
	s_waitcnt lgkmcnt(0)
	s_mul_i32 s17, s45, s17
	s_mul_hi_u32 s42, s45, s16
	s_mul_i32 s34, s45, s16
	v_mov_b32_e32 v59, 0
	v_mov_b32_e32 v34, 0
	;; [unrolled: 1-line block ×7, first 2 shown]
	s_cbranch_scc1 .LBB576_18
; %bb.1:
	s_ashr_i32 s24, s45, 31
	s_ashr_i32 s52, s33, 31
	s_add_u32 s0, s43, s33
	s_addc_u32 s1, s49, s52
	s_mul_i32 s1, s12, s1
	s_mul_hi_u32 s2, s12, s0
	s_add_i32 s3, s2, s1
	s_mul_i32 s2, s12, s0
	s_lshl_b64 s[0:1], s[2:3], 8
	v_and_b32_e32 v49, 56, v44
	s_add_u32 s20, s6, s0
	v_lshl_or_b32 v48, v42, 3, v45
	v_lshlrev_b32_e32 v3, 1, v49
	s_addc_u32 s0, s7, s1
	v_lshl_or_b32 v50, v48, 8, v3
	s_and_b32 s21, s0, 0xffff
	s_mov_b32 s23, 0x20000
	s_movk_i32 s22, 0x4000
	s_movk_i32 s0, 0x80
	v_or_b32_e32 v51, 0x2000, v50
	buffer_load_dwordx4 v[4:7], v50, s[20:23], 0 offen
	buffer_load_dwordx4 v[8:11], v50, s[20:23], s0 offen
	;; [unrolled: 1-line block ×4, first 2 shown]
	v_lshlrev_b32_e32 v20, 3, v48
	v_and_or_b32 v22, v0, 7, v20
	v_and_b32_e32 v20, 0x78, v20
	v_lshlrev_b32_e32 v22, 4, v22
	v_xor_b32_e32 v52, v22, v20
	v_mul_lo_u32 v21, v48, s15
	v_or_b32_e32 v53, 0x1000, v52
	s_cmpk_eq_i32 s15, 0x80
	s_mov_b32 s51, s14
	v_xor_b32_e32 v20, 8, v52
	v_xor_b32_e32 v22, 8, v53
	s_cselect_b64 s[0:1], -1, 0
	s_cmpk_lg_i32 s15, 0x80
	s_waitcnt vmcnt(3)
	ds_write_b64 v52, v[4:5] offset:16384
	ds_write_b64 v20, v[6:7] offset:16384
	s_waitcnt vmcnt(2)
	ds_write_b64 v52, v[8:9] offset:24576
	ds_write_b64 v20, v[10:11] offset:24576
	;; [unrolled: 3-line block ×4, first 2 shown]
	v_lshl_add_u32 v4, v21, 1, v49
	s_cbranch_scc0 .LBB576_3
; %bb.2:
	v_lshlrev_b32_e32 v6, 1, v4
	v_add_lshl_u32 v5, v4, s15, 1
	s_lshl_b32 s22, s15, 7
	v_lshl_or_b32 v3, v48, 9, v3
	s_cbranch_execz .LBB576_4
	s_branch .LBB576_5
.LBB576_3:
                                        ; implicit-def: $vgpr5
                                        ; implicit-def: $vgpr6
                                        ; implicit-def: $sgpr22
	v_lshl_or_b32 v3, v48, 9, v3
.LBB576_4:
	v_or_b32_e32 v5, 0x100, v3
	s_movk_i32 s22, 0x4000
	v_mov_b32_e32 v6, v3
.LBB576_5:
	s_mul_hi_u32 s20, s14, s12
	s_mul_i32 s21, s47, s12
	s_add_i32 s20, s20, s21
	s_mul_i32 s21, s14, s12
	s_mul_i32 s23, s21, s24
	s_mul_hi_u32 s25, s21, s45
	s_add_i32 s23, s25, s23
	s_mul_i32 s20, s20, s45
	s_add_i32 s23, s23, s20
	s_mul_i32 s21, s21, s45
	s_ashr_i32 s53, s50, 31
	s_add_u32 s20, s21, s50
	s_addc_u32 s21, s23, s53
	s_lshl_b64 s[20:21], s[20:21], 8
	s_add_u32 s20, s4, s20
	s_addc_u32 s21, s5, s21
	s_and_b32 s21, s21, 0xffff
	s_mov_b32 s23, 0x20000
	s_movk_i32 s54, 0x80
	buffer_load_dwordx4 v[8:11], v6, s[20:23], 0 offen
	buffer_load_dwordx4 v[12:15], v6, s[20:23], s54 offen
	;; [unrolled: 1-line block ×4, first 2 shown]
	v_and_b32_e32 v5, 6, v0
	s_mul_i32 s20, s24, s12
	s_mul_hi_u32 s21, s45, s12
	v_lshlrev_b32_e32 v7, 2, v1
	v_lshlrev_b32_e32 v24, 3, v1
	v_xor_b32_e32 v26, v48, v5
	v_and_b32_e32 v6, 1, v0
	s_mul_i32 s24, s24, s16
	v_lshl_or_b32 v24, v46, 5, v24
	v_xor_b32_e32 v27, v46, v7
	v_lshlrev_b32_e32 v26, 2, v26
	s_add_i32 s59, s21, s20
	s_add_i32 s20, s42, s17
	v_or_b32_e32 v54, 0x9000, v24
	v_or_b32_e32 v55, 0x9800, v24
	v_lshlrev_b32_e32 v24, 1, v27
	v_xor_b32_e32 v27, 0x440, v26
	v_cmp_eq_u32_e32 vcc, 0, v6
	s_add_i32 s35, s20, s24
	s_mul_i32 s20, s33, s19
	s_mul_hi_u32 s21, s33, s18
	v_cndmask_b32_e32 v6, v27, v26, vcc
	s_add_i32 s20, s21, s20
	s_mul_i32 s21, s52, s18
	s_mov_b32 s56, 0x1000504
	v_lshlrev_b32_e32 v25, 8, v1
	s_mov_b32 s22, 0x8000
	v_xor_b32_e32 v7, v47, v7
	v_lshl_or_b32 v5, v5, 10, v6
	s_add_i32 s21, s20, s21
	s_lshl_b64 s[24:25], s[34:35], 2
	s_mov_b32 s57, 0x3020706
	v_lshlrev_b32_e32 v7, 1, v7
	v_or3_b32 v56, v24, v25, s22
	v_xor_b32_e32 v6, 8, v5
	v_xor_b32_e32 v24, 24, v5
	;; [unrolled: 1-line block ×4, first 2 shown]
	s_mul_i32 s20, s33, s18
	s_add_u32 s24, s10, s24
	v_or3_b32 v57, v7, v25, s22
	v_xor_b32_e32 v7, 16, v5
	v_xor_b32_e32 v25, 32, v5
	;; [unrolled: 1-line block ×3, first 2 shown]
	v_add_u32_e32 v6, 0x80, v6
	v_add_u32_e32 v24, 0x80, v24
	;; [unrolled: 1-line block ×4, first 2 shown]
	s_addc_u32 s25, s11, s25
	s_lshl_b64 s[20:21], s[20:21], 2
	s_add_u32 s38, s24, s20
	s_movk_i32 s20, 0xf8
	s_addc_u32 s39, s25, s21
	s_ashr_i32 s31, s30, 31
	s_lshl_b32 s26, s15, 7
	v_mov_b32_e32 v35, 0
	s_mov_b32 s55, 0
	s_mul_i32 s58, s45, s12
	v_add_u32_e32 v76, v40, v2
	s_mov_b32 s60, 0
	v_mov_b32_e32 v60, v35
	v_mov_b32_e32 v61, v35
	v_mov_b32_e32 v82, v35
	v_mov_b32_e32 v58, v35
	v_mov_b32_e32 v59, v35
	v_mov_b32_e32 v81, v35
	s_waitcnt vmcnt(1)
	v_perm_b32 v29, v8, v16, s56
	s_waitcnt vmcnt(0)
	v_perm_b32 v30, v12, v20, s56
	v_perm_b32 v8, v8, v16, s57
	;; [unrolled: 1-line block ×15, first 2 shown]
	ds_write2st64_b32 v5, v29, v30 offset1:32
	ds_write2st64_b32 v6, v8, v12 offset1:32
	ds_write2st64_b32 v7, v16, v20 offset0:1 offset1:33
	ds_write2st64_b32 v24, v9, v13 offset0:1 offset1:33
	;; [unrolled: 1-line block ×6, first 2 shown]
	v_or_b32_e32 v5, v40, v1
	v_lshlrev_b32_e32 v5, 3, v5
	v_lshrrev_b32_e32 v7, 5, v41
	v_and_or_b32 v7, v5, s20, v7
	v_lshlrev_b32_e32 v7, 4, v7
	v_lshlrev_b32_e32 v8, 11, v42
	v_and_b32_e32 v5, 0x78, v5
	v_or_b32_e32 v12, 32, v7
	v_and_b32_e32 v6, 0x1000, v8
	v_lshrrev_b32_e32 v10, 1, v0
	v_xor_b32_e32 v12, v12, v5
	v_and_b32_e32 v11, 8, v10
	v_or_b32_e32 v12, v12, v6
	v_xor_b32_e32 v9, v7, v5
	v_xor_b32_e32 v64, v12, v11
	v_or_b32_e32 v12, 64, v7
	v_or_b32_e32 v7, 0x60, v7
	;; [unrolled: 1-line block ×3, first 2 shown]
	v_xor_b32_e32 v12, v12, v5
	v_xor_b32_e32 v5, v7, v5
	;; [unrolled: 1-line block ×3, first 2 shown]
	v_and_b32_e32 v9, 0x78, v44
	v_or_b32_e32 v5, v5, v6
	v_lshl_or_b32 v9, v43, 7, v9
	v_or_b32_e32 v12, v12, v6
	v_xor_b32_e32 v66, v5, v11
	v_lshlrev_b32_e32 v5, 1, v1
	v_or_b32_e32 v63, 0x9000, v9
	v_xor_b32_e32 v65, v12, v11
	v_or_b32_e32 v67, 0x9800, v9
	v_lshlrev_b32_e32 v9, 1, v4
	v_add_lshl_u32 v11, v4, s15, 1
	v_lshrrev_b32_e32 v4, 4, v0
	s_lshl_b64 s[20:21], s[30:31], 8
	v_or_b32_e32 v13, 1, v5
	s_add_u32 s20, s36, s20
	v_xor_b32_e32 v5, v4, v5
	v_xor_b32_e32 v13, v13, v4
	s_addc_u32 s21, s37, s21
	v_lshlrev_b32_e32 v5, 3, v5
	v_lshlrev_b32_e32 v34, 8, v4
	;; [unrolled: 1-line block ×3, first 2 shown]
	v_or3_b32 v68, v5, v34, s22
	v_or3_b32 v69, v4, v34, s22
	v_lshl_add_u64 v[4:5], s[20:21], 0, v[34:35]
	v_lshlrev_b32_e32 v34, 4, v1
	s_movk_i32 s20, 0xff
	v_lshlrev_b32_e32 v15, 3, v42
	v_and_b32_e32 v10, 24, v10
	v_lshl_add_u64 v[36:37], v[4:5], 0, v[34:35]
	v_and_b32_e32 v5, 8, v0
	v_cmp_lt_u32_e32 vcc, s20, v0
	v_xor_b32_e32 v16, v15, v10
	v_or_b32_e32 v17, 0x440, v16
	v_cndmask_b32_e64 v14, 0, 1, vcc
	v_cmp_eq_u32_e32 vcc, 0, v5
	v_and_b32_e32 v4, 7, v0
	v_lshlrev_b32_e32 v13, 3, v4
	v_cndmask_b32_e32 v5, v17, v16, vcc
	v_lshlrev_b32_e32 v4, 7, v4
	v_or_b32_e32 v5, v5, v8
	v_xad_u32 v70, v5, v13, v4
	v_or_b32_e32 v5, 32, v10
	v_xor_b32_e32 v5, v15, v5
	v_or_b32_e32 v16, 0x440, v5
	v_cndmask_b32_e32 v5, v16, v5, vcc
	v_or_b32_e32 v5, v5, v8
	v_xad_u32 v71, v5, v13, v4
	v_or_b32_e32 v5, 64, v10
	v_xor_b32_e32 v5, v15, v5
	v_xor_b32_e32 v16, 0x440, v5
	v_cndmask_b32_e32 v5, v16, v5, vcc
	v_or_b32_e32 v5, v5, v8
	v_xad_u32 v72, v5, v13, v4
	v_or_b32_e32 v5, 0x60, v10
	v_xor_b32_e32 v5, v15, v5
	v_xor_b32_e32 v10, 0x440, v5
	v_or_b32_e32 v6, s30, v1
	v_cndmask_b32_e32 v5, v10, v5, vcc
	v_ashrrev_i32_e32 v7, 31, v6
	v_or_b32_e32 v5, v5, v8
	v_lshl_add_u64 v[6:7], v[6:7], 1, s[8:9]
	v_or_b32_e32 v12, 0x100, v3
	v_lshlrev_b32_e32 v14, 13, v14
	v_xad_u32 v73, v5, v13, v4
	v_lshlrev_b32_e32 v34, 8, v46
	v_cndmask_b32_e64 v74, v9, v3, s[0:1]
	v_cndmask_b32_e64 v75, v11, v12, s[0:1]
	v_lshl_add_u64 v[38:39], v[6:7], 0, v[34:35]
	s_mov_b32 s31, 0x7060302
	s_movk_i32 s22, 0x4000
	v_add_u32_e32 v77, v14, v70
	v_add_u32_e32 v78, v14, v71
	;; [unrolled: 1-line block ×4, first 2 shown]
	v_mov_b32_e32 v34, v35
	s_waitcnt lgkmcnt(0)
	s_barrier
.LBB576_6:                              ; =>This Inner Loop Header: Depth=1
	s_add_i32 s35, s60, 1
	s_cmp_lt_i32 s35, s46
	s_mov_b64 s[24:25], 0
	s_cselect_b64 s[40:41], -1, 0
	s_cmp_ge_i32 s35, s46
	s_mov_b64 s[20:21], 0
	s_cbranch_scc1 .LBB576_8
; %bb.7:                                ;   in Loop: Header=BB576_6 Depth=1
	s_add_i32 s0, s55, 64
	s_add_u32 s0, s2, s0
	s_addc_u32 s1, s3, 0
	s_lshl_b64 s[0:1], s[0:1], 8
	s_add_u32 s20, s6, s0
	s_addc_u32 s21, s7, s1
.LBB576_8:                              ;   in Loop: Header=BB576_6 Depth=1
	v_cndmask_b32_e64 v2, 0, 1, s[40:41]
	v_cmp_ne_u32_e64 s[0:1], 1, v2
	s_andn2_b64 vcc, exec, s[40:41]
	s_cbranch_vccnz .LBB576_10
; %bb.9:                                ;   in Loop: Header=BB576_6 Depth=1
	s_add_i32 s24, s55, 64
	s_add_u32 s24, s58, s24
	s_addc_u32 s25, s59, 0
	s_mul_i32 s27, s24, s47
	s_mul_hi_u32 s40, s24, s51
	s_add_i32 s27, s40, s27
	s_mul_i32 s25, s25, s51
	s_add_i32 s27, s27, s25
	s_mul_i32 s24, s24, s51
	s_add_u32 s24, s24, s50
	s_addc_u32 s25, s27, s53
	s_lshl_b64 s[24:25], s[24:25], 8
	s_add_u32 s24, s4, s24
	s_addc_u32 s25, s5, s25
.LBB576_10:                             ;   in Loop: Header=BB576_6 Depth=1
	v_perm_b32 v3, v82, v61, s31
	v_perm_b32 v2, v60, v35, s31
	;; [unrolled: 1-line block ×4, first 2 shown]
	ds_write_b64 v54, v[2:3]
	ds_write_b64 v55, v[4:5]
	;; [unrolled: 1-line block ×4, first 2 shown]
	s_waitcnt lgkmcnt(0)
	s_barrier
	ds_read_b64 v[10:11], v62 offset:16384
	ds_read_b64 v[12:13], v64 offset:16384
	ds_read2st64_b64 v[2:5], v63 offset1:1
	ds_read2st64_b64 v[6:9], v63 offset0:2 offset1:3
	ds_read_b64 v[14:15], v65 offset:16384
	s_waitcnt lgkmcnt(2)
	v_mfma_f32_16x16x16_bf16 a[0:3], v[10:11], v[2:3], 0
	ds_read_b64 v[2:3], v66 offset:16384
	s_add_i32 s27, s55, 63
	s_mul_i32 s40, s27, s29
	v_mfma_f32_16x16x16_bf16 a[0:3], v[12:13], v[4:5], a[0:3]
	s_mul_hi_u32 s41, s27, s28
	s_add_i32 s41, s41, s40
	s_mul_i32 s40, s27, s28
	s_waitcnt lgkmcnt(1)
	v_mfma_f32_16x16x16_bf16 a[0:3], v[14:15], v[6:7], a[0:3]
	s_lshl_b64 s[40:41], s[40:41], 2
	s_add_u32 s40, s38, s40
	s_addc_u32 s41, s39, s41
	s_waitcnt lgkmcnt(0)
	v_mfma_f32_16x16x16_bf16 a[0:3], v[2:3], v[8:9], a[0:3]
	s_and_b64 vcc, exec, s[0:1]
	v_mov_b32_e32 v85, 0
	v_mov_b32_e32 v84, 0
	;; [unrolled: 1-line block ×19, first 2 shown]
	s_cbranch_vccnz .LBB576_12
; %bb.11:                               ;   in Loop: Header=BB576_6 Depth=1
	s_and_b32 s21, s21, 0xffff
	buffer_load_dwordx4 v[14:17], v50, s[20:23], 0 offen
	buffer_load_dwordx4 v[10:13], v50, s[20:23], s54 offen
	buffer_load_dwordx4 v[6:9], v51, s[20:23], 0 offen
	buffer_load_dwordx4 v[2:5], v51, s[20:23], s54 offen
	v_mov_b32_e32 v84, v52
	v_mov_b32_e32 v83, v53
.LBB576_12:                             ;   in Loop: Header=BB576_6 Depth=1
	s_waitcnt vmcnt(3)
	v_add_u32_e32 v24, s55, v76
	s_waitcnt vmcnt(1)
	v_ashrrev_i32_e32 v18, 31, v24
	v_mul_lo_u32 v20, v18, s28
	v_mul_lo_u32 v21, v24, s29
	v_mad_u64_u32 v[18:19], s[20:21], v24, s28, 0
	v_add3_u32 v19, v19, v21, v20
	v_add_u32_e32 v20, 1, v24
	v_ashrrev_i32_e32 v21, 31, v20
	v_mul_lo_u32 v22, v21, s28
	v_mul_lo_u32 v23, v20, s29
	v_mad_u64_u32 v[20:21], s[20:21], v20, s28, 0
	v_add3_u32 v21, v21, v23, v22
	v_add_u32_e32 v22, 2, v24
	v_ashrrev_i32_e32 v23, 31, v22
	v_mul_lo_u32 v25, v23, s28
	v_mul_lo_u32 v26, v22, s29
	v_mad_u64_u32 v[22:23], s[20:21], v22, s28, 0
	v_add_u32_e32 v24, 3, v24
	v_add3_u32 v23, v23, v26, v25
	v_ashrrev_i32_e32 v25, 31, v24
	v_mul_lo_u32 v28, v25, s28
	v_mul_lo_u32 v29, v24, s29
	v_mad_u64_u32 v[24:25], s[20:21], v24, s28, 0
	s_add_u32 s20, s2, s55
	s_addc_u32 s21, s3, 0
	s_lshl_b64 s[20:21], s[20:21], 8
	v_lshl_add_u64 v[18:19], v[18:19], 2, s[38:39]
	v_lshl_add_u64 v[26:27], v[38:39], 0, s[20:21]
	;; [unrolled: 1-line block ×3, first 2 shown]
	global_load_ushort v87, v[26:27], off
	global_load_ushort v96, v[26:27], off offset:256
	global_load_ushort v97, v[26:27], off offset:512
	;; [unrolled: 1-line block ×3, first 2 shown]
	v_add3_u32 v25, v25, v29, v28
	global_load_dword v99, v[18:19], off
	v_lshl_add_u64 v[22:23], v[22:23], 2, s[38:39]
	v_lshl_add_u64 v[18:19], v[24:25], 2, s[38:39]
	global_load_dword v100, v[20:21], off
	global_load_dword v101, v[22:23], off
	;; [unrolled: 1-line block ×3, first 2 shown]
	s_load_dword s20, s[40:41], 0x0
	ds_read2st64_b64 v[26:29], v67 offset1:1
	ds_read2st64_b64 v[88:91], v67 offset0:2 offset1:3
	ds_read_b64 v[30:31], v62 offset:24576
	ds_read_b64 v[32:33], v64 offset:24576
	;; [unrolled: 1-line block ×4, first 2 shown]
	s_waitcnt lgkmcnt(0)
	v_mfma_f32_16x16x16_bf16 a[0:3], v[30:31], v[26:27], a[0:3]
	v_mov_b32_e32 v86, 0
	v_mov_b32_e32 v18, 0
	v_mov_b32_e32 v19, 0
	v_mfma_f32_16x16x16_bf16 a[0:3], v[32:33], v[28:29], a[0:3]
	v_mov_b32_e32 v20, 0
	v_mov_b32_e32 v21, 0
	v_mov_b32_e32 v22, 0
	;; [unrolled: 4-line block ×4, first 2 shown]
	v_mov_b32_e32 v29, 0
	v_mov_b32_e32 v30, 0
	;; [unrolled: 1-line block ×4, first 2 shown]
	v_accvgpr_read_b32 v91, a1
	v_accvgpr_read_b32 v89, a3
	;; [unrolled: 1-line block ×4, first 2 shown]
	s_and_b64 vcc, exec, s[0:1]
	s_waitcnt vmcnt(7)
	v_lshlrev_b32_e32 v92, 16, v87
	s_waitcnt vmcnt(6)
	v_lshlrev_b32_e32 v93, 16, v96
	;; [unrolled: 2-line block ×4, first 2 shown]
	v_pk_add_f32 v[90:91], v[92:93], v[90:91] neg_lo:[0,1] neg_hi:[0,1]
	s_waitcnt vmcnt(3)
	v_sub_f32_e32 v33, s20, v99
	v_exp_f32_e32 v96, v33
	s_waitcnt vmcnt(2)
	v_sub_f32_e32 v33, s20, v100
	s_waitcnt vmcnt(1)
	v_sub_f32_e32 v87, s20, v101
	;; [unrolled: 2-line block ×3, first 2 shown]
	v_exp_f32_e32 v97, v33
	v_exp_f32_e32 v98, v87
	;; [unrolled: 1-line block ×3, first 2 shown]
	v_pk_add_f32 v[88:89], v[94:95], v[88:89] neg_lo:[0,1] neg_hi:[0,1]
	v_pk_mul_f32 v[90:91], v[96:97], v[90:91]
	v_mov_b32_e32 v33, 0
	v_pk_mul_f32 v[88:89], v[98:99], v[88:89]
	s_nop 0
	v_perm_b32 v89, v89, v88, s31
	v_perm_b32 v88, v91, v90, s31
	ds_write_b64 v55, v[88:89]
	s_cbranch_vccnz .LBB576_14
; %bb.13:                               ;   in Loop: Header=BB576_6 Depth=1
	s_and_b32 s25, s25, 0xffff
	s_mov_b32 s27, s23
	buffer_load_dwordx4 v[30:33], v74, s[24:27], 0 offen
	buffer_load_dwordx4 v[22:25], v74, s[24:27], s54 offen
	;; [unrolled: 1-line block ×4, first 2 shown]
	v_mov_b32_e32 v85, v49
	v_mov_b32_e32 v86, v48
.LBB576_14:                             ;   in Loop: Header=BB576_6 Depth=1
	s_waitcnt lgkmcnt(0)
	s_barrier
	ds_read_b64 v[96:97], v77
	ds_read2st64_b64 v[88:91], v67 offset1:1
	ds_read2st64_b64 v[92:95], v67 offset0:2 offset1:3
	ds_read_b64 v[98:99], v78
	ds_read_b64 v[100:101], v79
	;; [unrolled: 1-line block ×3, first 2 shown]
	s_waitcnt lgkmcnt(4)
	v_mfma_f32_16x16x16_bf16 a[0:3], v[96:97], v[88:89], 0
	ds_read_b64 v[96:97], v70 offset:8192
	ds_read_b64 v[104:105], v71 offset:8192
	s_add_i32 s21, s48, s60
	s_mul_hi_i32 s25, s21, s13
	s_waitcnt lgkmcnt(1)
	v_mfma_f32_16x16x16_bf16 a[4:7], v[96:97], v[88:89], 0
	s_mul_i32 s21, s21, s13
	s_add_u32 s24, s21, s33
	s_addc_u32 s25, s25, s52
	v_mfma_f32_16x16x16_bf16 a[0:3], v[98:99], v[90:91], a[0:3]
	ds_read_b64 v[96:97], v68
	ds_read_b64 v[98:99], v69
	ds_read_b64 v[88:89], v72 offset:8192
	s_lshl_b64 s[24:25], s[24:25], 15
	v_mfma_f32_16x16x16_bf16 a[0:3], v[100:101], v[92:93], a[0:3]
	ds_read_b64 v[100:101], v73 offset:8192
	s_and_b64 vcc, exec, s[0:1]
	s_waitcnt lgkmcnt(4)
	v_mfma_f32_16x16x16_bf16 a[4:7], v[104:105], v[90:91], a[4:7]
	s_waitcnt lgkmcnt(1)
	v_mfma_f32_16x16x16_bf16 a[4:7], v[88:89], v[92:93], a[4:7]
	v_lshl_add_u64 v[88:89], v[36:37], 0, s[24:25]
	global_store_dwordx4 v[88:89], v[96:99], off
	v_mfma_f32_16x16x16_bf16 a[0:3], v[102:103], v[94:95], a[0:3]
	s_waitcnt lgkmcnt(0)
	v_mfma_f32_16x16x16_bf16 a[4:7], v[100:101], v[94:95], a[4:7]
	s_cbranch_vccnz .LBB576_16
; %bb.15:                               ;   in Loop: Header=BB576_6 Depth=1
	v_lshrrev_b32_e32 v87, 3, v85
	v_and_b32_e32 v87, 6, v87
	v_xor_b32_e32 v86, v87, v86
	v_lshlrev_b32_e32 v86, 2, v86
	v_and_b32_e32 v85, 8, v85
	v_xor_b32_e32 v88, 0x440, v86
	v_cmp_eq_u32_e32 vcc, 0, v85
	s_barrier
	s_nop 0
	v_cndmask_b32_e32 v85, v88, v86, vcc
	v_lshl_or_b32 v85, v87, 10, v85
	s_waitcnt vmcnt(2)
	v_perm_b32 v86, v30, v26, s56
	s_waitcnt vmcnt(1)
	v_perm_b32 v87, v22, v18, s56
	ds_write2st64_b32 v85, v86, v87 offset1:32
	v_xor_b32_e32 v86, 8, v85
	v_perm_b32 v26, v30, v26, s57
	v_perm_b32 v18, v22, v18, s57
	v_add_u32_e32 v22, 0x80, v86
	ds_write2st64_b32 v22, v26, v18 offset1:32
	v_xor_b32_e32 v18, 16, v85
	v_perm_b32 v22, v31, v27, s56
	v_perm_b32 v26, v23, v19, s56
	ds_write2st64_b32 v18, v22, v26 offset0:1 offset1:33
	v_xor_b32_e32 v18, 24, v85
	v_perm_b32 v22, v31, v27, s57
	v_perm_b32 v19, v23, v19, s57
	v_add_u32_e32 v18, 0x80, v18
	ds_write2st64_b32 v18, v22, v19 offset0:1 offset1:33
	v_xor_b32_e32 v18, 32, v85
	v_perm_b32 v19, v32, v28, s56
	v_perm_b32 v22, v24, v20, s56
	ds_write2st64_b32 v18, v19, v22 offset0:2 offset1:34
	v_xor_b32_e32 v18, 40, v85
	v_perm_b32 v19, v32, v28, s57
	v_perm_b32 v20, v24, v20, s57
	v_add_u32_e32 v18, 0x80, v18
	ds_write2st64_b32 v18, v19, v20 offset0:2 offset1:34
	v_xor_b32_e32 v18, 48, v85
	v_perm_b32 v19, v33, v29, s56
	v_perm_b32 v20, v25, v21, s56
	ds_write2st64_b32 v18, v19, v20 offset0:3 offset1:35
	v_xor_b32_e32 v18, 56, v85
	v_perm_b32 v19, v33, v29, s57
	v_perm_b32 v20, v25, v21, s57
	v_add_u32_e32 v18, 0x80, v18
	ds_write2st64_b32 v18, v19, v20 offset0:3 offset1:35
	ds_write_b64 v84, v[14:15] offset:16384
	v_xor_b32_e32 v14, 8, v84
	ds_write_b64 v14, v[16:17] offset:16384
	ds_write_b64 v84, v[10:11] offset:24576
	;; [unrolled: 1-line block ×4, first 2 shown]
	v_xor_b32_e32 v6, 8, v83
	ds_write_b64 v6, v[8:9] offset:16384
	ds_write_b64 v83, v[2:3] offset:24576
	;; [unrolled: 1-line block ×3, first 2 shown]
.LBB576_16:                             ;   in Loop: Header=BB576_6 Depth=1
	v_exp_f32_e32 v2, s20
	s_nop 2
	v_accvgpr_read_b32 v3, a0
	v_accvgpr_read_b32 v4, a1
	s_add_i32 s55, s55, 64
	v_fma_f32 v35, v35, v2, v3
	v_accvgpr_read_b32 v3, a2
	v_fma_f32 v61, v61, v2, v3
	v_accvgpr_read_b32 v3, a4
	;; [unrolled: 2-line block ×6, first 2 shown]
	v_fmac_f32_e32 v4, v82, v2
	s_cmp_eq_u32 s46, s35
	v_fmac_f32_e32 v3, v81, v2
	s_cbranch_scc1 .LBB576_18
; %bb.17:                               ;   in Loop: Header=BB576_6 Depth=1
	s_mov_b32 s60, s35
	v_mov_b32_e32 v82, v4
	v_mov_b32_e32 v81, v3
	s_branch .LBB576_6
.LBB576_18:
	s_lshl_b32 s40, s46, 6
	s_sub_i32 s41, s12, s40
	s_cmp_gt_i32 s41, 0
	s_cbranch_scc0 .LBB576_75
; %bb.19:
	s_ashr_i32 s35, s45, 31
	s_ashr_i32 s2, s40, 31
	s_cmpk_lg_i32 s15, 0x80
	s_cselect_b64 s[26:27], -1, 0
	s_and_b64 vcc, exec, s[26:27]
	s_cbranch_vccz .LBB576_21
; %bb.20:
	s_mul_i32 s1, s45, s12
	s_mul_hi_i32 s0, s45, s12
	s_add_u32 s1, s1, s40
	s_addc_u32 s0, s0, s2
	s_mul_i32 s3, s1, s47
	s_mul_hi_u32 s20, s1, s14
	s_add_i32 s3, s20, s3
	s_mul_i32 s0, s0, s14
	s_add_i32 s3, s3, s0
	s_mul_i32 s1, s1, s14
	s_ashr_i32 s0, s50, 31
	s_add_u32 s38, s1, s50
	s_addc_u32 s39, s3, s0
	s_cbranch_execz .LBB576_22
	s_branch .LBB576_23
.LBB576_21:
                                        ; implicit-def: $sgpr38_sgpr39
.LBB576_22:
	s_mul_hi_i32 s0, s45, s14
	s_mul_i32 s45, s45, s14
	s_ashr_i32 s1, s50, 31
	s_add_u32 s3, s45, s50
	s_addc_u32 s0, s0, s1
	s_mul_i32 s1, s3, s44
	s_mul_hi_u32 s14, s3, s12
	s_add_i32 s1, s14, s1
	s_mul_i32 s0, s0, s12
	s_add_i32 s1, s1, s0
	s_mul_i32 s3, s3, s12
	s_add_u32 s38, s3, s40
	s_addc_u32 s39, s1, s2
.LBB576_23:
	s_add_i32 s3, s48, s46
	s_ashr_i32 s14, s33, 31
	s_add_u32 s0, s43, s33
	s_addc_u32 s1, s49, s14
	s_mul_i32 s20, s0, s44
	s_mul_hi_u32 s21, s0, s12
	s_add_i32 s20, s21, s20
	s_mul_i32 s1, s1, s12
	s_add_i32 s20, s20, s1
	s_mul_i32 s0, s0, s12
	s_add_u32 s0, s0, s40
	s_addc_u32 s1, s20, s2
	s_mov_b32 s2, 0x7060302
	v_lshlrev_b32_e32 v6, 3, v1
	v_perm_b32 v5, v4, v61, s2
	v_perm_b32 v4, v60, v35, s2
	;; [unrolled: 1-line block ×4, first 2 shown]
	v_lshlrev_b32_e32 v34, 2, v1
	v_lshl_or_b32 v6, v46, 5, v6
	s_lshl_b64 s[24:25], s[0:1], 8
	ds_write2st64_b64 v6, v[4:5], v[2:3] offset0:72 offset1:76
	v_xor_b32_e32 v6, v46, v34
	v_lshlrev_b32_e32 v7, 8, v1
	s_add_u32 s0, s6, s24
	v_lshl_or_b32 v6, v6, 1, v7
	s_addc_u32 s1, s7, s25
	ds_write_b64 v6, v[4:5] offset:32768
	v_xor_b32_e32 v4, v47, v34
	s_mul_hi_i32 s6, s3, s13
	s_mul_i32 s3, s3, s13
	v_lshl_or_b32 v4, v4, 1, v7
	s_add_u32 s2, s3, s33
	ds_write_b64 v4, v[2:3] offset:32768
	s_addc_u32 s3, s6, s14
	v_lshlrev_b32_e32 v3, 1, v1
	v_lshrrev_b32_e32 v2, 4, v0
	s_ashr_i32 s31, s30, 31
	s_lshl_b64 s[2:3], s[2:3], 15
	v_or_b32_e32 v4, 1, v3
	s_add_u32 s6, s36, s2
	v_xor_b32_e32 v3, v2, v3
	v_xor_b32_e32 v4, v4, v2
	v_lshlrev_b32_e32 v6, 8, v2
	s_addc_u32 s7, s37, s3
	s_lshl_b64 s[2:3], s[30:31], 8
	v_lshl_or_b32 v2, v3, 3, v6
	v_lshl_or_b32 v4, v4, 3, v6
	s_waitcnt lgkmcnt(0)
	s_barrier
	s_add_u32 s2, s6, s2
	ds_read_b64 v[2:3], v2 offset:32768
	ds_read_b64 v[4:5], v4 offset:32768
	s_addc_u32 s3, s7, s3
	v_mov_b32_e32 v7, 0
	s_cmp_lg_u32 s41, 64
	v_lshl_add_u64 v[8:9], s[2:3], 0, v[6:7]
	v_lshlrev_b32_e32 v6, 4, v1
	s_cselect_b64 s[6:7], -1, 0
	v_lshl_or_b32 v35, v42, 3, v45
	s_mov_b32 s20, 0
	v_lshl_add_u64 v[6:7], v[8:9], 0, v[6:7]
	s_waitcnt vmcnt(1)
	v_or_b32_e32 v19, 32, v35
	v_and_b32_e32 v18, 56, v44
	s_and_b64 vcc, exec, s[6:7]
	s_waitcnt lgkmcnt(0)
	global_store_dwordx4 v[6:7], v[2:5], off
	s_cbranch_vccz .LBB576_29
; %bb.24:
	s_mov_b32 s21, s20
	s_mov_b32 s22, s20
	;; [unrolled: 1-line block ×3, first 2 shown]
	v_mov_b64_e32 v[6:7], s[20:21]
	v_mov_b64_e32 v[8:9], s[22:23]
	;; [unrolled: 1-line block ×3, first 2 shown]
	v_cmp_gt_i32_e32 vcc, s41, v35
	v_mov_b64_e32 v[4:5], v[8:9]
	s_and_saveexec_b64 s[2:3], vcc
	s_cbranch_execz .LBB576_26
; %bb.25:
	v_lshlrev_b32_e32 v2, 8, v35
	v_mov_b32_e32 v3, 0
	v_lshl_add_u64 v[4:5], s[0:1], 0, v[2:3]
	v_lshlrev_b32_e32 v2, 1, v18
	v_lshl_add_u64 v[10:11], v[4:5], 0, v[2:3]
	global_load_dwordx4 v[6:9], v[10:11], off
	global_load_dwordx4 v[2:5], v[10:11], off offset:128
.LBB576_26:
	s_or_b64 exec, exec, s[2:3]
	s_mov_b32 s21, s20
	s_mov_b32 s22, s20
	;; [unrolled: 1-line block ×3, first 2 shown]
	v_mov_b64_e32 v[14:15], s[20:21]
	v_mov_b64_e32 v[16:17], s[22:23]
	v_mov_b64_e32 v[10:11], v[14:15]
	v_cmp_gt_i32_e32 vcc, s41, v19
	v_lshlrev_b32_e32 v20, 7, v19
	v_mov_b64_e32 v[12:13], v[16:17]
	s_and_saveexec_b64 s[2:3], vcc
	s_cbranch_execz .LBB576_28
; %bb.27:
	v_lshlrev_b32_e32 v10, 1, v20
	v_mov_b32_e32 v11, 0
	v_lshl_add_u64 v[12:13], s[0:1], 0, v[10:11]
	v_lshlrev_b32_e32 v10, 1, v18
	v_lshl_add_u64 v[22:23], v[12:13], 0, v[10:11]
	global_load_dwordx4 v[14:17], v[22:23], off
	global_load_dwordx4 v[10:13], v[22:23], off offset:128
.LBB576_28:
	s_or_b64 exec, exec, s[2:3]
	v_lshrrev_b32_e32 v21, 3, v18
	v_lshlrev_b32_e32 v22, 3, v35
	v_or_b32_e32 v21, v22, v21
	v_lshlrev_b32_e32 v21, 4, v21
	v_and_b32_e32 v22, 0x78, v22
	v_xor_b32_e32 v21, v21, v22
	s_branch .LBB576_31
.LBB576_29:
                                        ; implicit-def: $vgpr21
                                        ; implicit-def: $vgpr20
                                        ; implicit-def: $vgpr6_vgpr7_vgpr8_vgpr9
                                        ; implicit-def: $vgpr2_vgpr3_vgpr4_vgpr5
                                        ; implicit-def: $vgpr14_vgpr15_vgpr16_vgpr17
                                        ; implicit-def: $vgpr10_vgpr11_vgpr12_vgpr13
	s_cbranch_execz .LBB576_31
; %bb.30:
	s_waitcnt vmcnt(0)
	v_lshlrev_b32_e32 v2, 1, v18
	v_lshl_or_b32 v20, v35, 8, v2
	s_and_b32 s1, s1, 0xffff
	s_mov_b32 s3, 0x20000
	s_movk_i32 s2, 0x4000
	v_lshl_or_b32 v21, v19, 8, v2
	s_movk_i32 s13, 0x80
	buffer_load_dwordx4 v[6:9], v20, s[0:3], 0 offen
	buffer_load_dwordx4 v[2:5], v20, s[0:3], s13 offen
	buffer_load_dwordx4 v[14:17], v21, s[0:3], 0 offen
	buffer_load_dwordx4 v[10:13], v21, s[0:3], s13 offen
	v_lshrrev_b32_e32 v20, 3, v18
	v_lshlrev_b32_e32 v21, 3, v35
	v_or_b32_e32 v20, v21, v20
	v_lshlrev_b32_e32 v20, 4, v20
	v_and_b32_e32 v21, 0x78, v21
	v_xor_b32_e32 v21, v20, v21
	v_lshlrev_b32_e32 v20, 7, v19
.LBB576_31:
	s_lshl_b64 s[0:1], s[38:39], 8
	s_add_u32 s4, s4, s0
	s_movk_i32 s0, 0x1000
	v_and_or_b32 v19, v20, s0, v21
	s_waitcnt vmcnt(1)
	ds_write_b64 v21, v[6:7] offset:16384
	v_xor_b32_e32 v6, 8, v21
	s_addc_u32 s5, s5, s1
	ds_write_b64 v6, v[8:9] offset:16384
	s_waitcnt vmcnt(0)
	ds_write_b64 v21, v[2:3] offset:24576
	ds_write_b64 v6, v[4:5] offset:24576
	;; [unrolled: 1-line block ×3, first 2 shown]
	v_xor_b32_e32 v2, 8, v19
	s_add_i32 s0, s42, s17
	s_mul_i32 s35, s35, s16
	ds_write_b64 v2, v[16:17] offset:16384
	ds_write_b64 v19, v[10:11] offset:24576
	;; [unrolled: 1-line block ×3, first 2 shown]
	s_add_i32 s35, s0, s35
	s_mul_i32 s0, s33, s19
	s_mul_hi_u32 s1, s33, s18
	v_or_b32_e32 v2, v40, v1
	s_add_i32 s0, s1, s0
	s_mul_i32 s1, s14, s18
	v_lshlrev_b32_e32 v2, 3, v2
	v_lshrrev_b32_e32 v4, 5, v41
	s_movk_i32 s14, 0xf8
	v_and_or_b32 v4, v2, s14, v4
	v_lshlrev_b32_e32 v3, 11, v42
	v_lshlrev_b32_e32 v12, 4, v4
	v_and_b32_e32 v13, 0x78, v2
	v_and_b32_e32 v14, 0x1000, v3
	v_lshlrev_b32_e32 v3, 2, v0
	v_xor_b32_e32 v2, v12, v13
	v_lshrrev_b32_e32 v4, 1, v41
	v_and_b32_e32 v3, 60, v3
	v_or_b32_e32 v2, v2, v14
	v_and_b32_e32 v15, 8, v4
	v_xor_b32_e32 v26, v2, v15
	v_lshl_or_b32 v2, v43, 6, v3
	v_lshlrev_b32_e32 v19, 1, v2
	v_or_b32_e32 v2, 32, v12
	v_xor_b32_e32 v2, v2, v13
	s_waitcnt lgkmcnt(0)
	s_barrier
	ds_read_b64 v[10:11], v26 offset:16384
	v_or_b32_e32 v2, v2, v14
	v_xor_b32_e32 v27, v2, v15
	v_or_b32_e32 v2, 64, v12
	v_xor_b32_e32 v2, v2, v13
	v_or_b32_e32 v2, v2, v14
	v_or_b32_e32 v12, 0x60, v12
	v_xor_b32_e32 v28, v2, v15
	ds_read2st64_b64 v[2:5], v19 offset0:72 offset1:73
	ds_read2st64_b64 v[6:9], v19 offset0:74 offset1:75
	v_xor_b32_e32 v16, v12, v13
	ds_read_b64 v[12:13], v27 offset:16384
	s_waitcnt lgkmcnt(2)
	v_mfma_f32_16x16x16_bf16 a[0:3], v[10:11], v[2:3], 0
	s_add_i32 s2, s12, -1
	s_ashr_i32 s3, s2, 31
	s_mul_i32 s12, s2, s29
	s_mul_hi_u32 s13, s2, s28
	s_add_i32 s12, s13, s12
	s_mul_i32 s3, s3, s28
	v_or_b32_e32 v14, v16, v14
	s_add_i32 s1, s0, s1
	s_add_i32 s3, s12, s3
	s_lshl_b64 s[12:13], s[34:35], 2
	v_xor_b32_e32 v36, v14, v15
	ds_read_b64 v[14:15], v28 offset:16384
	ds_read_b64 v[16:17], v36 offset:16384
	s_waitcnt lgkmcnt(2)
	v_mfma_f32_16x16x16_bf16 a[0:3], v[12:13], v[4:5], a[0:3]
	s_mul_i32 s0, s33, s18
	s_add_u32 s10, s10, s12
	s_addc_u32 s11, s11, s13
	s_lshl_b64 s[0:1], s[0:1], 2
	s_mul_i32 s2, s2, s28
	s_add_u32 s10, s10, s0
	s_addc_u32 s11, s11, s1
	s_lshl_b64 s[0:1], s[2:3], 2
	s_waitcnt lgkmcnt(1)
	v_mfma_f32_16x16x16_bf16 a[0:3], v[14:15], v[6:7], a[0:3]
	s_add_u32 s0, s10, s0
	s_addc_u32 s1, s11, s1
	s_load_dword s12, s[0:1], 0x0
	s_waitcnt lgkmcnt(0)
	v_mfma_f32_16x16x16_bf16 a[0:3], v[16:17], v[8:9], a[0:3]
	s_and_b64 vcc, exec, s[26:27]
	s_cbranch_vccz .LBB576_42
; %bb.32:
	v_lshlrev_b32_e32 v20, 1, v35
	s_and_b64 vcc, exec, s[6:7]
	s_cbranch_vccz .LBB576_43
; %bb.33:
	v_cmp_gt_i32_e32 vcc, s41, v20
	v_mov_b32_e32 v6, 0
	v_mov_b32_e32 v2, 0
	;; [unrolled: 1-line block ×5, first 2 shown]
	s_and_saveexec_b64 s[0:1], vcc
	s_cbranch_execz .LBB576_35
; %bb.34:
	v_mad_i64_i32 v[2:3], s[2:3], s15, v20, 0
	v_lshl_add_u64 v[2:3], v[2:3], 1, s[4:5]
	v_lshlrev_b32_e32 v4, 1, v18
	v_mov_b32_e32 v5, 0
	v_lshl_add_u64 v[2:3], v[2:3], 0, v[4:5]
	global_load_dwordx4 v[2:5], v[2:3], off
.LBB576_35:
	s_or_b64 exec, exec, s[0:1]
	v_or_b32_e32 v21, 1, v20
	v_cmp_gt_i32_e64 s[0:1], s41, v21
	v_mov_b32_e32 v7, 0
	v_mov_b32_e32 v8, 0
	;; [unrolled: 1-line block ×3, first 2 shown]
	s_and_saveexec_b64 s[2:3], s[0:1]
	s_cbranch_execz .LBB576_37
; %bb.36:
	v_mad_i64_i32 v[6:7], s[16:17], s15, v21, 0
	v_lshl_add_u64 v[6:7], v[6:7], 1, s[4:5]
	v_lshlrev_b32_e32 v8, 1, v18
	v_mov_b32_e32 v9, 0
	v_lshl_add_u64 v[6:7], v[6:7], 0, v[8:9]
	global_load_dwordx4 v[6:9], v[6:7], off
.LBB576_37:
	s_or_b64 exec, exec, s[2:3]
	v_mov_b32_e32 v17, 0
	v_mov_b32_e32 v10, 0
	;; [unrolled: 1-line block ×5, first 2 shown]
	s_and_saveexec_b64 s[2:3], vcc
	s_cbranch_execz .LBB576_39
; %bb.38:
	v_mad_i64_i32 v[10:11], s[16:17], s15, v20, 0
	v_lshl_add_u64 v[10:11], v[10:11], 1, s[4:5]
	v_lshlrev_b32_e32 v12, 1, v18
	v_mov_b32_e32 v13, 0
	v_lshl_add_u64 v[10:11], v[10:11], 0, v[12:13]
	global_load_dwordx4 v[10:13], v[10:11], off offset:128
.LBB576_39:
	s_or_b64 exec, exec, s[2:3]
	v_mov_b32_e32 v16, 0
	v_mov_b32_e32 v15, 0
	;; [unrolled: 1-line block ×3, first 2 shown]
	s_and_saveexec_b64 s[2:3], s[0:1]
	s_cbranch_execz .LBB576_41
; %bb.40:
	v_mad_i64_i32 v[14:15], s[0:1], s15, v21, 0
	v_lshl_add_u64 v[14:15], v[14:15], 1, s[4:5]
	v_lshlrev_b32_e32 v16, 1, v18
	v_mov_b32_e32 v17, 0
	v_lshl_add_u64 v[14:15], v[14:15], 0, v[16:17]
	global_load_dwordx4 v[14:17], v[14:15], off offset:128
.LBB576_41:
	s_or_b64 exec, exec, s[2:3]
	s_branch .LBB576_45
.LBB576_42:
                                        ; implicit-def: $vgpr5
                                        ; implicit-def: $vgpr9
                                        ; implicit-def: $vgpr13
                                        ; implicit-def: $vgpr17
	v_lshrrev_b32_e32 v37, 2, v41
	s_branch .LBB576_46
.LBB576_43:
                                        ; implicit-def: $vgpr5
                                        ; implicit-def: $vgpr9
                                        ; implicit-def: $vgpr13
                                        ; implicit-def: $vgpr17
	s_cbranch_execz .LBB576_45
; %bb.44:
	s_waitcnt vmcnt(0)
	v_mad_u64_u32 v[2:3], s[0:1], v20, s15, v[18:19]
	v_lshlrev_b32_e32 v20, 1, v2
	s_lshl_b32 s2, s15, 7
	s_and_b32 s1, s5, 0xffff
	s_mov_b32 s3, 0x20000
	s_mov_b32 s0, s4
	v_add_lshl_u32 v21, v2, s15, 1
	s_movk_i32 s13, 0x80
	buffer_load_dwordx4 v[2:5], v20, s[0:3], 0 offen
	buffer_load_dwordx4 v[10:13], v20, s[0:3], s13 offen
	;; [unrolled: 1-line block ×4, first 2 shown]
.LBB576_45:
	v_lshrrev_b32_e32 v37, 2, v41
	s_cbranch_execnz .LBB576_58
.LBB576_46:
	s_and_b64 vcc, exec, s[6:7]
	s_cbranch_vccz .LBB576_56
; %bb.47:
	s_waitcnt vmcnt(0)
	v_lshlrev_b32_e32 v7, 1, v35
	v_cmp_gt_i32_e32 vcc, s41, v7
	v_mov_b32_e32 v6, 0
	v_lshlrev_b32_e32 v14, 9, v35
	v_mov_b32_e32 v2, 0
	v_mov_b32_e32 v3, 0
	;; [unrolled: 1-line block ×4, first 2 shown]
	s_and_saveexec_b64 s[0:1], vcc
	s_cbranch_execz .LBB576_49
; %bb.48:
	v_mov_b32_e32 v15, 0
	v_lshl_add_u64 v[2:3], s[4:5], 0, v[14:15]
	v_lshlrev_b32_e32 v4, 1, v18
	v_mov_b32_e32 v5, v15
	v_lshl_add_u64 v[2:3], v[2:3], 0, v[4:5]
	global_load_dwordx4 v[2:5], v[2:3], off
.LBB576_49:
	s_or_b64 exec, exec, s[0:1]
	v_or_b32_e32 v7, 1, v7
	v_cmp_gt_i32_e64 s[0:1], s41, v7
	v_lshlrev_b32_e32 v20, 8, v7
	v_mov_b32_e32 v7, 0
	v_mov_b32_e32 v8, 0
	;; [unrolled: 1-line block ×3, first 2 shown]
	s_and_saveexec_b64 s[2:3], s[0:1]
	s_cbranch_execz .LBB576_51
; %bb.50:
	v_mov_b32_e32 v21, 0
	v_lshl_add_u64 v[6:7], s[4:5], 0, v[20:21]
	v_lshlrev_b32_e32 v8, 1, v18
	v_mov_b32_e32 v9, v21
	v_lshl_add_u64 v[6:7], v[6:7], 0, v[8:9]
	global_load_dwordx4 v[6:9], v[6:7], off
.LBB576_51:
	s_or_b64 exec, exec, s[2:3]
	v_mov_b32_e32 v17, 0
	v_mov_b32_e32 v10, 0
	;; [unrolled: 1-line block ×5, first 2 shown]
	s_and_saveexec_b64 s[2:3], vcc
	s_cbranch_execz .LBB576_53
; %bb.52:
	v_mov_b32_e32 v15, 0
	v_lshl_add_u64 v[10:11], s[4:5], 0, v[14:15]
	v_lshlrev_b32_e32 v14, 1, v18
	v_lshl_add_u64 v[10:11], v[10:11], 0, v[14:15]
	global_load_dwordx4 v[10:13], v[10:11], off offset:128
.LBB576_53:
	s_or_b64 exec, exec, s[2:3]
	v_mov_b32_e32 v16, 0
	v_mov_b32_e32 v15, 0
	;; [unrolled: 1-line block ×3, first 2 shown]
	s_and_saveexec_b64 s[2:3], s[0:1]
	s_cbranch_execz .LBB576_55
; %bb.54:
	v_mov_b32_e32 v21, 0
	v_lshl_add_u64 v[14:15], s[4:5], 0, v[20:21]
	v_lshlrev_b32_e32 v20, 1, v18
	v_lshl_add_u64 v[14:15], v[14:15], 0, v[20:21]
	global_load_dwordx4 v[14:17], v[14:15], off offset:128
.LBB576_55:
	s_or_b64 exec, exec, s[2:3]
	s_branch .LBB576_58
.LBB576_56:
                                        ; implicit-def: $vgpr5
                                        ; implicit-def: $vgpr9
                                        ; implicit-def: $vgpr13
                                        ; implicit-def: $vgpr17
	s_cbranch_execz .LBB576_58
; %bb.57:
	s_waitcnt vmcnt(0)
	v_lshlrev_b32_e32 v2, 1, v18
	v_lshl_or_b32 v18, v35, 9, v2
	s_and_b32 s5, s5, 0xffff
	s_mov_b32 s7, 0x20000
	s_movk_i32 s6, 0x4000
	s_movk_i32 s0, 0x80
	buffer_load_dwordx4 v[2:5], v18, s[4:7], 0 offen
	buffer_load_dwordx4 v[6:9], v18, s[4:7], 0 offen offset:256
	buffer_load_dwordx4 v[10:13], v18, s[4:7], s0 offen
	buffer_load_dwordx4 v[14:17], v18, s[4:7], s0 offen offset:256
.LBB576_58:
	ds_read2st64_b64 v[22:25], v19 offset0:76 offset1:77
	ds_read2st64_b64 v[18:21], v19 offset0:78 offset1:79
	ds_read_b64 v[30:31], v26 offset:24576
	ds_read_b64 v[32:33], v27 offset:24576
	;; [unrolled: 1-line block ×4, first 2 shown]
	v_and_b32_e32 v36, 6, v0
	v_xor_b32_e32 v35, v35, v36
	v_lshlrev_b32_e32 v35, 2, v35
	v_and_b32_e32 v0, 1, v0
	v_xor_b32_e32 v38, 0x440, v35
	v_cmp_eq_u32_e32 vcc, 0, v0
	s_mov_b32 s0, 0x1000504
	s_mov_b32 s1, 0x3020706
	v_cndmask_b32_e32 v0, v38, v35, vcc
	v_lshl_or_b32 v0, v36, 10, v0
	s_waitcnt vmcnt(0)
	v_perm_b32 v35, v2, v6, s0
	v_perm_b32 v36, v10, v14, s0
	ds_write2st64_b32 v0, v35, v36 offset1:32
	v_xor_b32_e32 v35, 8, v0
	v_perm_b32 v2, v2, v6, s1
	v_perm_b32 v6, v10, v14, s1
	v_add_u32_e32 v10, 0x80, v35
	ds_write2st64_b32 v10, v2, v6 offset1:32
	v_xor_b32_e32 v2, 16, v0
	v_perm_b32 v6, v3, v7, s0
	v_perm_b32 v10, v11, v15, s0
	ds_write2st64_b32 v2, v6, v10 offset0:1 offset1:33
	v_xor_b32_e32 v2, 24, v0
	v_perm_b32 v3, v3, v7, s1
	v_perm_b32 v6, v11, v15, s1
	v_add_u32_e32 v2, 0x80, v2
	ds_write2st64_b32 v2, v3, v6 offset0:1 offset1:33
	v_xor_b32_e32 v2, 32, v0
	v_perm_b32 v3, v4, v8, s0
	v_perm_b32 v6, v12, v16, s0
	ds_write2st64_b32 v2, v3, v6 offset0:2 offset1:34
	v_xor_b32_e32 v2, 40, v0
	v_perm_b32 v3, v4, v8, s1
	v_perm_b32 v4, v12, v16, s1
	v_add_u32_e32 v2, 0x80, v2
	ds_write2st64_b32 v2, v3, v4 offset0:2 offset1:34
	v_xor_b32_e32 v2, 48, v0
	v_perm_b32 v3, v5, v9, s0
	v_perm_b32 v4, v13, v17, s0
	v_xor_b32_e32 v0, 56, v0
	v_and_or_b32 v6, v37, 12, v40
	ds_write2st64_b32 v2, v3, v4 offset0:3 offset1:35
	v_perm_b32 v2, v5, v9, s1
	v_perm_b32 v3, v13, v17, s1
	v_add_u32_e32 v0, 0x80, v0
	v_cmp_gt_i32_e32 vcc, s41, v6
	v_mov_b32_e32 v7, 0
	v_mov_b32_e32 v11, 0
	ds_write2st64_b32 v0, v2, v3 offset0:3 offset1:35
	s_and_saveexec_b64 s[0:1], vcc
	s_cbranch_execz .LBB576_60
; %bb.59:
	v_add_u32_e32 v0, s40, v6
	v_ashrrev_i32_e32 v2, 31, v0
	v_mul_lo_u32 v4, v2, s28
	v_mul_lo_u32 v5, v0, s29
	v_mad_u64_u32 v[2:3], s[2:3], v0, s28, 0
	v_add3_u32 v3, v3, v5, v4
	v_lshl_add_u64 v[2:3], v[2:3], 2, s[10:11]
	global_load_dword v0, v[2:3], off
	s_waitcnt vmcnt(0)
	v_sub_f32_e32 v0, s12, v0
	v_exp_f32_e32 v11, v0
.LBB576_60:
	s_or_b64 exec, exec, s[0:1]
	v_or_b32_e32 v9, 1, v6
	v_cmp_gt_i32_e64 s[0:1], s41, v9
	s_and_saveexec_b64 s[2:3], s[0:1]
	s_cbranch_execz .LBB576_62
; %bb.61:
	v_add_u32_e32 v0, s40, v9
	v_ashrrev_i32_e32 v2, 31, v0
	v_mul_lo_u32 v4, v2, s28
	v_mul_lo_u32 v5, v0, s29
	v_mad_u64_u32 v[2:3], s[4:5], v0, s28, 0
	v_add3_u32 v3, v3, v5, v4
	v_lshl_add_u64 v[2:3], v[2:3], 2, s[10:11]
	global_load_dword v0, v[2:3], off
	s_waitcnt vmcnt(0)
	v_sub_f32_e32 v0, s12, v0
	v_exp_f32_e32 v7, v0
.LBB576_62:
	s_or_b64 exec, exec, s[2:3]
	v_or_b32_e32 v10, 2, v6
	v_cmp_gt_i32_e64 s[2:3], s41, v10
	v_mov_b32_e32 v8, 0
	v_mov_b32_e32 v13, 0
	s_and_saveexec_b64 s[4:5], s[2:3]
	s_cbranch_execz .LBB576_64
; %bb.63:
	v_add_u32_e32 v0, s40, v10
	v_ashrrev_i32_e32 v2, 31, v0
	v_mul_lo_u32 v4, v2, s28
	v_mul_lo_u32 v5, v0, s29
	v_mad_u64_u32 v[2:3], s[6:7], v0, s28, 0
	v_add3_u32 v3, v3, v5, v4
	v_lshl_add_u64 v[2:3], v[2:3], 2, s[10:11]
	global_load_dword v0, v[2:3], off
	s_waitcnt vmcnt(0)
	v_sub_f32_e32 v0, s12, v0
	v_exp_f32_e32 v13, v0
.LBB576_64:
	s_or_b64 exec, exec, s[4:5]
	v_or_b32_e32 v12, 3, v6
	v_cmp_gt_i32_e64 s[4:5], s41, v12
	s_and_saveexec_b64 s[6:7], s[4:5]
	s_cbranch_execz .LBB576_66
; %bb.65:
	v_add_u32_e32 v0, s40, v12
	v_ashrrev_i32_e32 v2, 31, v0
	v_mul_lo_u32 v4, v2, s28
	v_mul_lo_u32 v5, v0, s29
	v_mad_u64_u32 v[2:3], s[14:15], v0, s28, 0
	v_add3_u32 v3, v3, v5, v4
	v_lshl_add_u64 v[2:3], v[2:3], 2, s[10:11]
	global_load_dword v0, v[2:3], off
	s_waitcnt vmcnt(0)
	v_sub_f32_e32 v0, s12, v0
	v_exp_f32_e32 v8, v0
.LBB576_66:
	s_or_b64 exec, exec, s[6:7]
	s_waitcnt lgkmcnt(11)
	v_mfma_f32_16x16x16_bf16 a[0:3], v[30:31], v[22:23], a[0:3]
	v_or_b32_e32 v0, s30, v1
	s_add_u32 s6, s8, s24
	s_addc_u32 s7, s9, s25
	s_waitcnt lgkmcnt(10)
	v_mfma_f32_16x16x16_bf16 a[0:3], v[32:33], v[24:25], a[0:3]
	v_ashrrev_i32_e32 v1, 31, v0
	v_lshl_add_u64 v[4:5], v[0:1], 1, s[6:7]
	v_mov_b32_e32 v14, 0
	s_waitcnt lgkmcnt(9)
	v_mfma_f32_16x16x16_bf16 a[0:3], v[28:29], v[18:19], a[0:3]
	v_mov_b32_e32 v15, 0
	s_waitcnt lgkmcnt(8)
	v_mfma_f32_16x16x16_bf16 a[0:3], v[26:27], v[20:21], a[0:3]
	s_nop 6
	v_accvgpr_read_b32 v0, a0
	v_accvgpr_read_b32 v1, a1
	;; [unrolled: 1-line block ×4, first 2 shown]
	s_and_saveexec_b64 s[6:7], vcc
	s_cbranch_execz .LBB576_68
; %bb.67:
	v_lshlrev_b32_e32 v16, 8, v6
	v_mov_b32_e32 v17, 0
	v_lshl_add_u64 v[16:17], v[4:5], 0, v[16:17]
	global_load_ushort v15, v[16:17], off
	s_waitcnt vmcnt(0)
	v_lshlrev_b32_e32 v15, 16, v15
	v_sub_f32_e32 v0, v15, v0
	v_mul_f32_e32 v0, v11, v0
	v_lshrrev_b32_e32 v15, 16, v0
.LBB576_68:
	s_or_b64 exec, exec, s[6:7]
	s_and_saveexec_b64 s[6:7], s[0:1]
	s_cbranch_execz .LBB576_70
; %bb.69:
	v_lshlrev_b32_e32 v16, 8, v9
	v_mov_b32_e32 v17, 0
	v_lshl_add_u64 v[16:17], v[4:5], 0, v[16:17]
	global_load_ushort v0, v[16:17], off
	s_waitcnt vmcnt(0)
	v_lshlrev_b32_e32 v0, 16, v0
	v_sub_f32_e32 v0, v0, v1
	v_mul_f32_e32 v0, v7, v0
	v_lshrrev_b32_e32 v14, 16, v0
.LBB576_70:
	s_or_b64 exec, exec, s[6:7]
	v_mov_b32_e32 v0, 0
	v_mov_b32_e32 v1, 0
	s_and_saveexec_b64 s[0:1], s[2:3]
	s_cbranch_execz .LBB576_72
; %bb.71:
	v_lshlrev_b32_e32 v10, 8, v10
	v_mov_b32_e32 v11, 0
	v_lshl_add_u64 v[10:11], v[4:5], 0, v[10:11]
	global_load_ushort v1, v[10:11], off
	s_waitcnt vmcnt(0)
	v_lshlrev_b32_e32 v1, 16, v1
	v_sub_f32_e32 v1, v1, v2
	v_mul_f32_e32 v1, v13, v1
	v_lshrrev_b32_e32 v1, 16, v1
.LBB576_72:
	s_or_b64 exec, exec, s[0:1]
	s_and_saveexec_b64 s[0:1], s[4:5]
	s_cbranch_execz .LBB576_74
; %bb.73:
	v_lshlrev_b32_e32 v10, 8, v12
	v_mov_b32_e32 v11, 0
	v_lshl_add_u64 v[4:5], v[4:5], 0, v[10:11]
	global_load_ushort v0, v[4:5], off
	s_waitcnt vmcnt(0)
	v_lshlrev_b32_e32 v0, 16, v0
	v_sub_f32_e32 v0, v0, v3
	v_mul_f32_e32 v0, v8, v0
	v_lshrrev_b32_e32 v0, 16, v0
.LBB576_74:
	s_or_b64 exec, exec, s[0:1]
	s_mov_b32 s0, 0x5040100
	v_lshlrev_b32_e32 v2, 1, v34
	v_perm_b32 v1, v0, v1, s0
	v_perm_b32 v0, v14, v15, s0
	v_lshl_or_b32 v2, v6, 5, v2
	ds_write_b64 v2, v[0:1] offset:38912
	s_waitcnt lgkmcnt(0)
	s_barrier
.LBB576_75:
	s_endpgm
	.section	.rodata,"a",@progbits
	.p2align	6, 0x0
	.amdhsa_kernel _ZN12_GLOBAL__N_139chunk_gated_delta_rule_fwd_h_hip_kernelILi16ELb0ELb0ELb0ELb0ELb1ELb0ELb0ELb1EEEvPK12hip_bfloat16S3_S3_PKfS5_PKvPS1_S8_PvPKiSB_iiiiilll
		.amdhsa_group_segment_fixed_size 40960
		.amdhsa_private_segment_fixed_size 0
		.amdhsa_kernarg_size 136
		.amdhsa_user_sgpr_count 2
		.amdhsa_user_sgpr_dispatch_ptr 0
		.amdhsa_user_sgpr_queue_ptr 0
		.amdhsa_user_sgpr_kernarg_segment_ptr 1
		.amdhsa_user_sgpr_dispatch_id 0
		.amdhsa_user_sgpr_kernarg_preload_length 0
		.amdhsa_user_sgpr_kernarg_preload_offset 0
		.amdhsa_user_sgpr_private_segment_size 0
		.amdhsa_uses_dynamic_stack 0
		.amdhsa_enable_private_segment 0
		.amdhsa_system_sgpr_workgroup_id_x 1
		.amdhsa_system_sgpr_workgroup_id_y 1
		.amdhsa_system_sgpr_workgroup_id_z 0
		.amdhsa_system_sgpr_workgroup_info 0
		.amdhsa_system_vgpr_workitem_id 0
		.amdhsa_next_free_vgpr 116
		.amdhsa_next_free_sgpr 61
		.amdhsa_accum_offset 108
		.amdhsa_reserve_vcc 1
		.amdhsa_float_round_mode_32 0
		.amdhsa_float_round_mode_16_64 0
		.amdhsa_float_denorm_mode_32 3
		.amdhsa_float_denorm_mode_16_64 3
		.amdhsa_dx10_clamp 1
		.amdhsa_ieee_mode 1
		.amdhsa_fp16_overflow 0
		.amdhsa_tg_split 0
		.amdhsa_exception_fp_ieee_invalid_op 0
		.amdhsa_exception_fp_denorm_src 0
		.amdhsa_exception_fp_ieee_div_zero 0
		.amdhsa_exception_fp_ieee_overflow 0
		.amdhsa_exception_fp_ieee_underflow 0
		.amdhsa_exception_fp_ieee_inexact 0
		.amdhsa_exception_int_div_zero 0
	.end_amdhsa_kernel
	.section	.text._ZN12_GLOBAL__N_139chunk_gated_delta_rule_fwd_h_hip_kernelILi16ELb0ELb0ELb0ELb0ELb1ELb0ELb0ELb1EEEvPK12hip_bfloat16S3_S3_PKfS5_PKvPS1_S8_PvPKiSB_iiiiilll,"axG",@progbits,_ZN12_GLOBAL__N_139chunk_gated_delta_rule_fwd_h_hip_kernelILi16ELb0ELb0ELb0ELb0ELb1ELb0ELb0ELb1EEEvPK12hip_bfloat16S3_S3_PKfS5_PKvPS1_S8_PvPKiSB_iiiiilll,comdat
.Lfunc_end576:
	.size	_ZN12_GLOBAL__N_139chunk_gated_delta_rule_fwd_h_hip_kernelILi16ELb0ELb0ELb0ELb0ELb1ELb0ELb0ELb1EEEvPK12hip_bfloat16S3_S3_PKfS5_PKvPS1_S8_PvPKiSB_iiiiilll, .Lfunc_end576-_ZN12_GLOBAL__N_139chunk_gated_delta_rule_fwd_h_hip_kernelILi16ELb0ELb0ELb0ELb0ELb1ELb0ELb0ELb1EEEvPK12hip_bfloat16S3_S3_PKfS5_PKvPS1_S8_PvPKiSB_iiiiilll
                                        ; -- End function
	.section	.AMDGPU.csdata,"",@progbits
; Kernel info:
; codeLenInByte = 7152
; NumSgprs: 67
; NumVgprs: 106
; NumAgprs: 8
; TotalNumVgprs: 116
; ScratchSize: 0
; MemoryBound: 0
; FloatMode: 240
; IeeeMode: 1
; LDSByteSize: 40960 bytes/workgroup (compile time only)
; SGPRBlocks: 8
; VGPRBlocks: 14
; NumSGPRsForWavesPerEU: 67
; NumVGPRsForWavesPerEU: 116
; AccumOffset: 108
; Occupancy: 1
; WaveLimiterHint : 1
; COMPUTE_PGM_RSRC2:SCRATCH_EN: 0
; COMPUTE_PGM_RSRC2:USER_SGPR: 2
; COMPUTE_PGM_RSRC2:TRAP_HANDLER: 0
; COMPUTE_PGM_RSRC2:TGID_X_EN: 1
; COMPUTE_PGM_RSRC2:TGID_Y_EN: 1
; COMPUTE_PGM_RSRC2:TGID_Z_EN: 0
; COMPUTE_PGM_RSRC2:TIDIG_COMP_CNT: 0
; COMPUTE_PGM_RSRC3_GFX90A:ACCUM_OFFSET: 26
; COMPUTE_PGM_RSRC3_GFX90A:TG_SPLIT: 0
	.section	.text._ZN12_GLOBAL__N_139chunk_gated_delta_rule_fwd_h_hip_kernelILi16ELb1ELb1ELb1ELb1ELb0ELb1ELb1ELb1EEEvPK12hip_bfloat16S3_S3_PKfS5_PKvPS1_S8_PvPKiSB_iiiiilll,"axG",@progbits,_ZN12_GLOBAL__N_139chunk_gated_delta_rule_fwd_h_hip_kernelILi16ELb1ELb1ELb1ELb1ELb0ELb1ELb1ELb1EEEvPK12hip_bfloat16S3_S3_PKfS5_PKvPS1_S8_PvPKiSB_iiiiilll,comdat
	.globl	_ZN12_GLOBAL__N_139chunk_gated_delta_rule_fwd_h_hip_kernelILi16ELb1ELb1ELb1ELb1ELb0ELb1ELb1ELb1EEEvPK12hip_bfloat16S3_S3_PKfS5_PKvPS1_S8_PvPKiSB_iiiiilll ; -- Begin function _ZN12_GLOBAL__N_139chunk_gated_delta_rule_fwd_h_hip_kernelILi16ELb1ELb1ELb1ELb1ELb0ELb1ELb1ELb1EEEvPK12hip_bfloat16S3_S3_PKfS5_PKvPS1_S8_PvPKiSB_iiiiilll
	.p2align	8
	.type	_ZN12_GLOBAL__N_139chunk_gated_delta_rule_fwd_h_hip_kernelILi16ELb1ELb1ELb1ELb1ELb0ELb1ELb1ELb1EEEvPK12hip_bfloat16S3_S3_PKfS5_PKvPS1_S8_PvPKiSB_iiiiilll,@function
_ZN12_GLOBAL__N_139chunk_gated_delta_rule_fwd_h_hip_kernelILi16ELb1ELb1ELb1ELb1ELb0ELb1ELb1ELb1EEEvPK12hip_bfloat16S3_S3_PKfS5_PKvPS1_S8_PvPKiSB_iiiiilll: ; @_ZN12_GLOBAL__N_139chunk_gated_delta_rule_fwd_h_hip_kernelILi16ELb1ELb1ELb1ELb1ELb0ELb1ELb1ELb1EEEvPK12hip_bfloat16S3_S3_PKfS5_PKvPS1_S8_PvPKiSB_iiiiilll
; %bb.0:
	s_load_dwordx4 s[28:31], s[0:1], 0x5c
	s_load_dwordx4 s[4:7], s[0:1], 0x70
	s_abs_i32 s11, s3
	s_ashr_i32 s10, s3, 31
	s_load_dwordx4 s[24:27], s[0:1], 0x40
	s_load_dwordx2 s[8:9], s[0:1], 0x50
	s_waitcnt lgkmcnt(0)
	s_abs_i32 s14, s29
	v_cvt_f32_u32_e32 v1, s14
	s_sub_i32 s12, 0, s14
	s_ashr_i32 s15, s29, 31
	s_xor_b32 s10, s10, s15
	v_rcp_iflag_f32_e32 v1, v1
	v_and_b32_e32 v67, 15, v0
	v_bfe_u32 v66, v0, 4, 2
	v_mov_b32_e32 v49, 0
	v_mul_f32_e32 v1, 0x4f7ffffe, v1
	v_cvt_u32_f32_e32 v1, v1
	v_lshlrev_b32_e32 v68, 3, v0
	v_readfirstlane_b32 s13, v1
	s_mul_i32 s12, s12, s13
	s_mul_hi_u32 s12, s13, s12
	s_add_i32 s13, s13, s12
	s_mul_hi_u32 s12, s11, s13
	s_mul_i32 s13, s12, s14
	s_sub_i32 s11, s11, s13
	s_add_i32 s16, s12, 1
	s_sub_i32 s13, s11, s14
	s_cmp_ge_u32 s11, s14
	s_cselect_b32 s12, s16, s12
	s_cselect_b32 s11, s13, s11
	s_add_i32 s13, s12, 1
	s_cmp_ge_u32 s11, s14
	s_cselect_b32 s11, s13, s12
	s_xor_b32 s11, s11, s10
	s_sub_i32 s36, s11, s10
	s_mul_i32 s16, s36, s29
	s_ashr_i32 s37, s36, 31
	s_sub_i32 s33, s3, s16
	s_lshl_b64 s[10:11], s[36:37], 2
	s_add_u32 s12, s26, s10
	s_addc_u32 s13, s27, s11
	s_add_u32 s38, s8, s10
	s_addc_u32 s39, s9, s11
	s_abs_i32 s3, s30
	v_cvt_f32_u32_e32 v1, s3
	s_load_dwordx2 s[34:35], s[12:13], 0x0
	s_sub_i32 s9, 0, s3
	s_lshl_b32 s2, s2, 4
	v_rcp_iflag_f32_e32 v1, v1
	v_or_b32_e32 v58, s2, v67
	s_waitcnt lgkmcnt(0)
	s_sub_i32 s56, s35, s34
	s_ashr_i32 s8, s56, 31
	v_mul_f32_e32 v1, 0x4f7ffffe, v1
	v_cvt_u32_f32_e32 v1, v1
	s_lshr_b32 s8, s8, 26
	s_add_i32 s8, s56, s8
	s_ashr_i32 s55, s8, 6
	v_readfirstlane_b32 s10, v1
	s_mul_i32 s9, s9, s10
	s_mul_hi_u32 s9, s10, s9
	s_add_i32 s10, s10, s9
	s_mul_hi_u32 s9, s14, s10
	s_mul_i32 s10, s9, s3
	s_ashr_i32 s8, s30, 31
	s_sub_i32 s10, s14, s10
	s_xor_b32 s8, s15, s8
	s_add_i32 s11, s9, 1
	s_sub_i32 s12, s10, s3
	s_cmp_ge_u32 s10, s3
	s_cselect_b32 s9, s11, s9
	s_cselect_b32 s10, s12, s10
	s_add_i32 s11, s9, 1
	s_cmp_ge_u32 s10, s3
	s_cselect_b32 s3, s11, s9
	s_xor_b32 s3, s3, s8
	s_sub_i32 s3, s3, s8
	s_abs_i32 s17, s3
	v_cvt_f32_u32_e32 v1, s17
	s_sub_i32 s19, 0, s17
	s_abs_i32 s18, s33
	s_xor_b32 s3, s33, s3
	v_rcp_iflag_f32_e32 v2, v1
	s_ashr_i32 s3, s3, 31
	s_load_dwordx8 s[8:15], s[0:1], 0x20
	v_lshrrev_b32_e32 v1, 6, v0
	v_mul_f32_e32 v2, 0x4f7ffffe, v2
	v_cvt_u32_f32_e32 v2, v2
	v_lshlrev_b32_e32 v45, 4, v1
	v_lshlrev_b32_e32 v46, 7, v58
	v_lshl_or_b32 v70, v66, 2, v45
	v_readfirstlane_b32 s20, v2
	s_mul_i32 s19, s19, s20
	s_mul_hi_u32 s19, s20, s19
	s_add_i32 s20, s20, s19
	s_mul_hi_u32 s19, s18, s20
	s_mul_i32 s20, s19, s17
	s_sub_i32 s18, s18, s20
	s_add_i32 s20, s19, 1
	s_sub_i32 s21, s18, s17
	s_cmp_ge_u32 s18, s17
	s_cselect_b32 s19, s20, s19
	s_cselect_b32 s18, s21, s18
	s_add_i32 s20, s19, 1
	s_cmp_ge_u32 s18, s17
	s_cselect_b32 s17, s20, s19
	s_xor_b32 s17, s17, s3
	s_sub_i32 s57, s17, s3
	s_ashr_i32 s48, s33, 31
	s_mul_hi_i32 s3, s36, s29
	s_add_u32 s16, s16, s33
	s_addc_u32 s17, s3, s48
	s_lshl_b64 s[26:27], s[16:17], 15
	s_waitcnt lgkmcnt(0)
	s_add_u32 s10, s10, s26
	s_addc_u32 s11, s11, s27
	v_ashrrev_i32_e32 v47, 31, v46
	v_lshl_add_u64 v[2:3], v[46:47], 1, s[10:11]
	v_lshlrev_b32_e32 v48, 1, v70
	v_lshl_add_u64 v[2:3], v[2:3], 0, v[48:49]
	global_load_dwordx2 v[4:5], v[2:3], off
	global_load_dwordx2 v[6:7], v[2:3], off offset:128
	s_load_dwordx8 s[16:23], s[0:1], 0x0
	s_load_dwordx2 s[10:11], s[0:1], 0x80
	s_load_dword s60, s[38:39], 0x0
	v_and_b32_e32 v49, 63, v0
	v_lshrrev_b32_e32 v69, 3, v49
	v_or_b32_e32 v71, 64, v70
	s_mul_i32 s49, s36, s5
	s_mul_hi_u32 s50, s36, s4
	s_mul_i32 s42, s36, s4
	s_mul_i32 s51, s37, s4
	s_mul_hi_i32 s58, s33, s28
	s_mul_i32 s59, s33, s28
	s_mul_i32 s52, s33, s7
	s_mul_hi_u32 s53, s33, s6
	s_mul_i32 s54, s48, s6
	s_cmp_lt_i32 s56, 64
	s_mul_i32 s40, s33, s6
	s_waitcnt vmcnt(1)
	v_and_b32_e32 v53, 0xffff0000, v4
	v_lshlrev_b32_e32 v52, 16, v4
	v_and_b32_e32 v57, 0xffff0000, v5
	v_lshlrev_b32_e32 v56, 16, v5
	s_waitcnt vmcnt(0)
	v_and_b32_e32 v51, 0xffff0000, v6
	v_lshlrev_b32_e32 v50, 16, v6
	v_and_b32_e32 v55, 0xffff0000, v7
	v_lshlrev_b32_e32 v54, 16, v7
	s_cbranch_scc1 .LBB577_18
; %bb.1:
	s_ashr_i32 s1, s34, 31
	s_add_u32 s0, s59, s34
	s_addc_u32 s1, s58, s1
	s_lshl_b64 s[0:1], s[0:1], 8
	v_and_b32_e32 v73, 56, v68
	s_waitcnt lgkmcnt(0)
	s_add_u32 s4, s18, s0
	v_lshl_or_b32 v72, v1, 3, v69
	v_lshlrev_b32_e32 v2, 1, v73
	s_addc_u32 s0, s19, s1
	v_lshl_or_b32 v74, v72, 8, v2
	s_and_b32 s5, s0, 0xffff
	s_mov_b32 s7, 0x20000
	s_movk_i32 s6, 0x4000
	s_movk_i32 s0, 0x80
	v_or_b32_e32 v75, 0x2000, v74
	buffer_load_dwordx4 v[4:7], v74, s[4:7], 0 offen
	buffer_load_dwordx4 v[8:11], v74, s[4:7], s0 offen
	;; [unrolled: 1-line block ×4, first 2 shown]
	v_lshlrev_b32_e32 v3, 3, v72
	v_and_or_b32 v21, v0, 7, v3
	v_and_b32_e32 v3, 0x78, v3
	v_lshlrev_b32_e32 v21, 4, v21
	v_xor_b32_e32 v76, v21, v3
	v_mul_lo_u32 v20, v72, s31
	v_or_b32_e32 v77, 0x1000, v76
	v_xor_b32_e32 v3, 8, v76
	s_cmpk_eq_i32 s31, 0x80
	s_mov_b32 s61, s34
	v_xor_b32_e32 v21, 8, v77
	s_cselect_b64 s[0:1], -1, 0
	s_cmpk_lg_i32 s31, 0x80
	s_waitcnt vmcnt(3)
	ds_write_b64 v76, v[4:5] offset:16384
	ds_write_b64 v3, v[6:7] offset:16384
	s_waitcnt vmcnt(2)
	ds_write_b64 v76, v[8:9] offset:24576
	ds_write_b64 v3, v[10:11] offset:24576
	;; [unrolled: 3-line block ×4, first 2 shown]
	v_lshl_add_u32 v3, v20, 1, v73
	s_cbranch_scc0 .LBB577_3
; %bb.2:
	v_lshlrev_b32_e32 v5, 1, v3
	v_add_lshl_u32 v4, v3, s31, 1
	s_lshl_b32 s6, s31, 7
	v_lshl_or_b32 v2, v72, 9, v2
	s_cbranch_execz .LBB577_4
	s_branch .LBB577_5
.LBB577_3:
                                        ; implicit-def: $vgpr4
                                        ; implicit-def: $vgpr5
                                        ; implicit-def: $sgpr6
	v_lshl_or_b32 v2, v72, 9, v2
.LBB577_4:
	v_or_b32_e32 v4, 0x100, v2
	s_movk_i32 s6, 0x4000
	v_mov_b32_e32 v5, v2
.LBB577_5:
	s_mul_i32 s4, s34, s30
	s_ashr_i32 s62, s57, 31
	s_mul_hi_i32 s3, s34, s30
	s_add_u32 s4, s4, s57
	s_addc_u32 s5, s3, s62
	s_lshl_b64 s[4:5], s[4:5], 8
	s_add_u32 s4, s16, s4
	s_addc_u32 s3, s17, s5
	s_and_b32 s5, s3, 0xffff
	s_movk_i32 s63, 0x80
	buffer_load_dwordx4 v[6:9], v5, s[4:7], 0 offen
	buffer_load_dwordx4 v[10:13], v5, s[4:7], s63 offen
	;; [unrolled: 1-line block ×4, first 2 shown]
	v_and_b32_e32 v4, 6, v0
	v_lshlrev_b32_e32 v22, 2, v67
	v_lshlrev_b32_e32 v23, 3, v67
	v_xor_b32_e32 v27, v72, v4
	v_and_b32_e32 v5, 1, v0
	v_lshl_or_b32 v23, v70, 5, v23
	v_xor_b32_e32 v28, v70, v22
	v_lshlrev_b32_e32 v27, 2, v27
	s_add_i32 s3, s50, s49
	v_or_b32_e32 v78, 0x9000, v23
	v_or_b32_e32 v79, 0x9800, v23
	v_lshlrev_b32_e32 v23, 1, v28
	v_xor_b32_e32 v28, 0x440, v27
	v_cmp_eq_u32_e32 vcc, 0, v5
	s_add_i32 s4, s53, s52
	s_add_i32 s43, s3, s51
	v_cndmask_b32_e32 v5, v28, v27, vcc
	s_add_i32 s41, s4, s54
	s_lshl_b64 s[4:5], s[42:43], 2
	s_mov_b32 s64, 0x1000504
	s_mov_b32 s65, 0x3020706
	v_lshlrev_b32_e32 v24, 8, v67
	s_mov_b32 s6, 0x8000
	v_xor_b32_e32 v22, v71, v22
	v_lshl_or_b32 v4, v4, 10, v5
	s_add_u32 s3, s22, s4
	v_or_b32_e32 v25, v45, v67
	v_lshlrev_b32_e32 v22, 1, v22
	v_or3_b32 v80, v23, v24, s6
	v_xor_b32_e32 v5, 8, v4
	v_xor_b32_e32 v23, 24, v4
	;; [unrolled: 1-line block ×4, first 2 shown]
	s_addc_u32 s36, s23, s5
	s_lshl_b64 s[4:5], s[40:41], 2
	v_or3_b32 v81, v22, v24, s6
	v_xor_b32_e32 v22, 16, v4
	v_xor_b32_e32 v24, 32, v4
	;; [unrolled: 1-line block ×3, first 2 shown]
	v_add_u32_e32 v5, 0x80, v5
	v_add_u32_e32 v23, 0x80, v23
	;; [unrolled: 1-line block ×4, first 2 shown]
	s_add_u32 s44, s3, s4
	s_movk_i32 s3, 0xf8
	s_addc_u32 s45, s36, s5
	v_ashrrev_i32_e32 v59, 31, v58
	s_lshl_b32 s38, s31, 7
	v_lshrrev_b32_e32 v26, 2, v49
	s_mov_b32 s66, 0
	v_mov_b32_e32 v101, 0x3fb8aa3b
	s_waitcnt vmcnt(1)
	v_perm_b32 v30, v6, v14, s64
	s_waitcnt vmcnt(0)
	v_perm_b32 v31, v10, v18, s64
	v_perm_b32 v6, v6, v14, s65
	;; [unrolled: 1-line block ×15, first 2 shown]
	ds_write2st64_b32 v4, v30, v31 offset1:32
	ds_write2st64_b32 v5, v6, v10 offset1:32
	ds_write2st64_b32 v22, v14, v18 offset0:1 offset1:33
	ds_write2st64_b32 v23, v7, v11 offset0:1 offset1:33
	;; [unrolled: 1-line block ×6, first 2 shown]
	v_lshlrev_b32_e32 v4, 3, v25
	v_lshrrev_b32_e32 v6, 5, v49
	v_and_or_b32 v6, v4, s3, v6
	v_lshlrev_b32_e32 v6, 4, v6
	v_lshlrev_b32_e32 v13, 11, v1
	v_and_b32_e32 v4, 0x78, v4
	v_or_b32_e32 v9, 32, v6
	v_and_b32_e32 v5, 0x1000, v13
	v_lshrrev_b32_e32 v8, 1, v49
	v_xor_b32_e32 v9, v9, v4
	v_and_b32_e32 v8, 8, v8
	v_or_b32_e32 v9, v9, v5
	v_xor_b32_e32 v7, v6, v4
	v_xor_b32_e32 v84, v9, v8
	v_or_b32_e32 v9, 64, v6
	v_or_b32_e32 v6, 0x60, v6
	v_xor_b32_e32 v9, v9, v4
	v_xor_b32_e32 v4, v6, v4
	v_or_b32_e32 v7, v7, v5
	v_or_b32_e32 v9, v9, v5
	;; [unrolled: 1-line block ×3, first 2 shown]
	v_xor_b32_e32 v82, v7, v8
	v_xor_b32_e32 v85, v9, v8
	;; [unrolled: 1-line block ×3, first 2 shown]
	v_lshrrev_b32_e32 v8, 4, v0
	v_lshlrev_b32_e32 v9, 1, v67
	s_ashr_i32 s3, s2, 31
	v_or_b32_e32 v10, 1, v9
	v_xor_b32_e32 v9, v8, v9
	s_lshl_b64 s[4:5], s[2:3], 8
	v_xor_b32_e32 v10, v10, v8
	v_lshlrev_b32_e32 v9, 3, v9
	v_lshlrev_b32_e32 v8, 8, v8
	v_lshlrev_b64 v[4:5], 1, v[58:59]
	s_add_u32 s4, s12, s4
	v_or3_b32 v59, v9, v8, s6
	v_lshlrev_b32_e32 v9, 3, v10
	s_addc_u32 s5, s13, s5
	v_or3_b32 v88, v9, v8, s6
	v_mov_b32_e32 v9, 0
	v_lshrrev_b32_e32 v19, 1, v0
	v_lshl_add_u64 v[10:11], s[4:5], 0, v[8:9]
	v_lshlrev_b32_e32 v8, 4, v67
	s_movk_i32 s3, 0xff
	v_lshlrev_b32_e32 v18, 3, v1
	v_and_b32_e32 v19, 24, v19
	v_lshl_add_u64 v[60:61], v[10:11], 0, v[8:9]
	v_and_b32_e32 v8, 7, v0
	v_and_b32_e32 v11, 8, v0
	v_cmp_lt_u32_e32 vcc, s3, v0
	v_xor_b32_e32 v20, v18, v19
	v_lshlrev_b32_e32 v16, 3, v8
	v_lshlrev_b32_e32 v17, 7, v8
	v_cndmask_b32_e64 v8, 0, 1, vcc
	v_or_b32_e32 v21, 0x440, v20
	v_cmp_eq_u32_e32 vcc, 0, v11
	v_or_b32_e32 v23, 64, v19
	v_xor_b32_e32 v23, v18, v23
	v_cndmask_b32_e32 v11, v21, v20, vcc
	v_or_b32_e32 v21, 32, v19
	v_or_b32_e32 v19, 0x60, v19
	v_xor_b32_e32 v21, v18, v21
	v_xor_b32_e32 v18, v18, v19
	v_or_b32_e32 v22, 0x440, v21
	v_xor_b32_e32 v24, 0x440, v23
	v_xor_b32_e32 v19, 0x440, v18
	v_cndmask_b32_e32 v21, v22, v21, vcc
	v_cndmask_b32_e32 v23, v24, v23, vcc
	;; [unrolled: 1-line block ×3, first 2 shown]
	v_and_b32_e32 v7, 0x78, v68
	v_or_b32_e32 v11, v11, v13
	v_or_b32_e32 v21, v21, v13
	;; [unrolled: 1-line block ×4, first 2 shown]
	v_and_b32_e32 v12, 12, v26
	v_lshl_or_b32 v7, v66, 7, v7
	v_lshlrev_b32_e32 v8, 13, v8
	v_xor_b32_e32 v11, v11, v16
	v_xor_b32_e32 v21, v21, v16
	;; [unrolled: 1-line block ×4, first 2 shown]
	v_or_b32_e32 v83, 0x9000, v7
	v_or_b32_e32 v87, 0x9800, v7
	v_lshl_add_u64 v[6:7], s[20:21], 0, v[4:5]
	v_lshl_add_u64 v[4:5], s[14:15], 0, v[4:5]
	v_lshlrev_b32_e32 v14, 1, v3
	v_add_lshl_u32 v3, v3, s31, 1
	v_or_b32_e32 v15, 0x100, v2
	v_or_b32_e32 v10, v12, v45
	v_add_u32_e32 v20, v8, v11
	v_add_u32_e32 v22, v8, v21
	;; [unrolled: 1-line block ×4, first 2 shown]
	v_or3_b32 v12, v45, v12, 64
	v_add_u32_e32 v11, 0x2000, v11
	v_add_u32_e32 v18, 0x2000, v21
	;; [unrolled: 1-line block ×4, first 2 shown]
	v_lshlrev_b32_e32 v8, 8, v70
	v_cndmask_b32_e64 v89, v14, v2, s[0:1]
	v_cndmask_b32_e64 v90, v3, v15, s[0:1]
	v_lshl_add_u64 v[62:63], v[6:7], 0, v[8:9]
	v_lshl_add_u64 v[64:65], v[4:5], 0, v[8:9]
	s_mov_b32 s3, 0x7060302
	s_movk_i32 s6, 0x4000
	v_lshlrev_b32_e32 v91, 2, v10
	v_add_u32_e32 v92, v20, v17
	v_add_u32_e32 v93, v22, v17
	;; [unrolled: 1-line block ×4, first 2 shown]
	v_lshlrev_b32_e32 v96, 2, v12
	v_add_u32_e32 v97, v11, v17
	v_add_u32_e32 v98, v18, v17
	;; [unrolled: 1-line block ×4, first 2 shown]
	s_waitcnt lgkmcnt(0)
	s_barrier
.LBB577_6:                              ; =>This Inner Loop Header: Depth=1
	s_add_i32 s41, s66, 1
	s_cmp_lt_i32 s41, s55
	s_mov_b64 s[36:37], 0
	s_cselect_b64 s[46:47], -1, 0
	s_cmp_ge_i32 s41, s55
	s_mov_b64 s[4:5], 0
	s_cbranch_scc1 .LBB577_8
; %bb.7:                                ;   in Loop: Header=BB577_6 Depth=1
	s_add_i32 s0, s61, 64
	s_ashr_i32 s1, s0, 31
	s_add_u32 s0, s59, s0
	s_addc_u32 s1, s58, s1
	s_lshl_b64 s[0:1], s[0:1], 8
	s_add_u32 s4, s18, s0
	s_addc_u32 s5, s19, s1
.LBB577_8:                              ;   in Loop: Header=BB577_6 Depth=1
	v_cndmask_b32_e64 v2, 0, 1, s[46:47]
	v_cmp_ne_u32_e64 s[0:1], 1, v2
	s_andn2_b64 vcc, exec, s[46:47]
	s_cbranch_vccnz .LBB577_10
; %bb.9:                                ;   in Loop: Header=BB577_6 Depth=1
	s_add_i32 s36, s61, 64
	s_mul_hi_i32 s37, s36, s30
	s_mul_i32 s36, s36, s30
	s_add_u32 s36, s36, s57
	s_addc_u32 s37, s37, s62
	s_lshl_b64 s[36:37], s[36:37], 8
	s_add_u32 s36, s16, s36
	s_addc_u32 s37, s17, s37
.LBB577_10:                             ;   in Loop: Header=BB577_6 Depth=1
	v_perm_b32 v3, v57, v56, s3
	v_perm_b32 v2, v53, v52, s3
	;; [unrolled: 1-line block ×4, first 2 shown]
	ds_write_b64 v78, v[2:3]
	ds_write_b64 v79, v[4:5]
	;; [unrolled: 1-line block ×4, first 2 shown]
	s_waitcnt lgkmcnt(0)
	s_barrier
	ds_read_b64 v[10:11], v82 offset:16384
	ds_read_b64 v[12:13], v84 offset:16384
	ds_read2st64_b64 v[2:5], v83 offset1:1
	s_waitcnt lgkmcnt(0)
	v_mfma_f32_16x16x16_bf16 a[0:3], v[10:11], v[2:3], 0
	ds_read2st64_b64 v[6:9], v83 offset0:2 offset1:3
	ds_read_b64 v[14:15], v85 offset:16384
	ds_read_b64 v[2:3], v86 offset:16384
	s_add_i32 s43, s61, 63
	v_mfma_f32_16x16x16_bf16 a[0:3], v[12:13], v[4:5], a[0:3]
	s_ashr_i32 s39, s43, 31
	s_mul_i32 s46, s43, s11
	s_mul_hi_u32 s47, s43, s10
	s_waitcnt lgkmcnt(1)
	v_mfma_f32_16x16x16_bf16 a[0:3], v[14:15], v[6:7], a[0:3]
	s_add_i32 s46, s47, s46
	s_mul_i32 s39, s39, s10
	s_add_i32 s47, s46, s39
	s_mul_i32 s46, s43, s10
	s_waitcnt lgkmcnt(0)
	v_mfma_f32_16x16x16_bf16 a[0:3], v[2:3], v[8:9], a[0:3]
	s_lshl_b64 s[46:47], s[46:47], 2
	s_add_u32 s46, s44, s46
	s_addc_u32 s47, s45, s47
	s_and_b64 vcc, exec, s[0:1]
	v_mov_b32_e32 v104, 0
	v_mov_b32_e32 v103, 0
	;; [unrolled: 1-line block ×19, first 2 shown]
	s_cbranch_vccnz .LBB577_12
; %bb.11:                               ;   in Loop: Header=BB577_6 Depth=1
	s_and_b32 s5, s5, 0xffff
	buffer_load_dwordx4 v[14:17], v74, s[4:7], 0 offen
	buffer_load_dwordx4 v[10:13], v74, s[4:7], s63 offen
	;; [unrolled: 1-line block ×4, first 2 shown]
	v_mov_b32_e32 v103, v76
	v_mov_b32_e32 v102, v77
.LBB577_12:                             ;   in Loop: Header=BB577_6 Depth=1
	v_add_u32_e32 v22, s61, v70
	v_ashrrev_i32_e32 v18, 31, v22
	v_mul_lo_u32 v20, v18, s10
	v_mul_lo_u32 v21, v22, s11
	v_mad_u64_u32 v[18:19], s[4:5], v22, s10, 0
	v_add3_u32 v19, v19, v21, v20
	v_lshl_add_u64 v[18:19], v[18:19], 2, s[44:45]
	global_load_dword v34, v[18:19], off
	v_add_u32_e32 v18, 1, v22
	v_ashrrev_i32_e32 v19, 31, v18
	v_mul_lo_u32 v20, v19, s10
	v_mul_lo_u32 v21, v18, s11
	v_mad_u64_u32 v[18:19], s[4:5], v18, s10, 0
	v_add3_u32 v19, v19, v21, v20
	v_add_u32_e32 v20, 2, v22
	v_ashrrev_i32_e32 v21, 31, v20
	v_mul_lo_u32 v23, v21, s10
	v_mul_lo_u32 v24, v20, s11
	v_mad_u64_u32 v[20:21], s[4:5], v20, s10, 0
	v_add_u32_e32 v22, 3, v22
	v_add3_u32 v21, v21, v24, v23
	v_ashrrev_i32_e32 v23, 31, v22
	v_mul_lo_u32 v26, v23, s10
	v_mul_lo_u32 v27, v22, s11
	v_mad_u64_u32 v[22:23], s[4:5], v22, s10, 0
	s_ashr_i32 s5, s61, 31
	s_add_u32 s4, s59, s61
	s_addc_u32 s5, s58, s5
	s_lshl_b64 s[68:69], s[4:5], 8
	v_lshl_add_u64 v[18:19], v[18:19], 2, s[44:45]
	v_lshl_add_u64 v[24:25], v[62:63], 0, s[68:69]
	v_add3_u32 v23, v23, v27, v26
	v_lshl_add_u64 v[20:21], v[20:21], 2, s[44:45]
	global_load_ushort v35, v[24:25], off
	global_load_ushort v36, v[24:25], off offset:256
	global_load_ushort v37, v[24:25], off offset:512
	global_load_ushort v38, v[24:25], off offset:768
	v_lshl_add_u64 v[22:23], v[22:23], 2, s[44:45]
	global_load_dword v39, v[18:19], off
	global_load_dword v40, v[20:21], off
	;; [unrolled: 1-line block ×3, first 2 shown]
	ds_read_b64 v[22:23], v82 offset:24576
	ds_read_b64 v[28:29], v84 offset:24576
	ds_read2st64_b64 v[18:21], v87 offset1:1
	s_waitcnt lgkmcnt(0)
	v_mfma_f32_16x16x16_bf16 a[0:3], v[22:23], v[18:19], a[0:3]
	s_load_dword s4, s[46:47], 0x0
	ds_read2st64_b64 v[24:27], v87 offset0:2 offset1:3
	ds_read_b64 v[30:31], v85 offset:24576
	ds_read_b64 v[32:33], v86 offset:24576
	v_mov_b32_e32 v105, 0
	v_mfma_f32_16x16x16_bf16 a[0:3], v[28:29], v[20:21], a[0:3]
	v_mov_b32_e32 v18, 0
	v_mov_b32_e32 v19, 0
	;; [unrolled: 1-line block ×3, first 2 shown]
	s_waitcnt lgkmcnt(0)
	v_mfma_f32_16x16x16_bf16 a[0:3], v[30:31], v[24:25], a[0:3]
	v_lshl_add_u64 v[24:25], v[64:65], 0, s[68:69]
	v_mov_b32_e32 v21, 0
	v_mov_b32_e32 v22, 0
	v_mfma_f32_16x16x16_bf16 a[0:3], v[32:33], v[26:27], a[0:3]
	v_mov_b32_e32 v23, 0
	s_and_b64 vcc, exec, s[0:1]
	s_waitcnt vmcnt(7)
	v_sub_f32_e32 v34, s4, v34
	s_nop 2
	v_accvgpr_read_b32 v29, a1
	v_accvgpr_read_b32 v27, a3
	;; [unrolled: 1-line block ×4, first 2 shown]
	v_mul_f32_e32 v34, 0x3fb8aa3b, v34
	s_waitcnt vmcnt(6)
	v_lshlrev_b32_e32 v30, 16, v35
	s_waitcnt vmcnt(5)
	v_lshlrev_b32_e32 v31, 16, v36
	;; [unrolled: 2-line block ×4, first 2 shown]
	s_waitcnt vmcnt(2)
	v_sub_f32_e32 v35, s4, v39
	s_waitcnt vmcnt(1)
	v_sub_f32_e32 v36, s4, v40
	;; [unrolled: 2-line block ×3, first 2 shown]
	v_pk_add_f32 v[28:29], v[30:31], v[28:29] neg_lo:[0,1] neg_hi:[0,1]
	v_pk_add_f32 v[26:27], v[32:33], v[26:27] neg_lo:[0,1] neg_hi:[0,1]
	v_mul_f32_e32 v31, 0x3fb8aa3b, v35
	v_mul_f32_e32 v32, 0x3fb8aa3b, v36
	v_mul_f32_e32 v33, 0x3fb8aa3b, v37
	v_exp_f32_e32 v30, v34
	v_exp_f32_e32 v31, v31
	;; [unrolled: 1-line block ×4, first 2 shown]
	global_store_short_d16_hi v[24:25], v28, off
	global_store_short_d16_hi v[24:25], v29, off offset:256
	global_store_short_d16_hi v[24:25], v26, off offset:512
	;; [unrolled: 1-line block ×3, first 2 shown]
	v_pk_mul_f32 v[24:25], v[30:31], v[28:29]
	v_pk_mul_f32 v[26:27], v[32:33], v[26:27]
	v_mov_b32_e32 v28, 0
	v_perm_b32 v27, v27, v26, s3
	v_perm_b32 v26, v25, v24, s3
	ds_write_b64 v79, v[26:27]
	v_mov_b32_e32 v24, 0
	v_mov_b32_e32 v25, 0
	;; [unrolled: 1-line block ×9, first 2 shown]
	s_cbranch_vccnz .LBB577_14
; %bb.13:                               ;   in Loop: Header=BB577_6 Depth=1
	s_and_b32 s37, s37, 0xffff
	s_mov_b32 s39, s7
	buffer_load_dwordx4 v[30:33], v89, s[36:39], 0 offen
	buffer_load_dwordx4 v[22:25], v89, s[36:39], s63 offen
	buffer_load_dwordx4 v[26:29], v90, s[36:39], 0 offen
	buffer_load_dwordx4 v[18:21], v90, s[36:39], s63 offen
	v_mov_b32_e32 v104, v73
	v_mov_b32_e32 v105, v72
.LBB577_14:                             ;   in Loop: Header=BB577_6 Depth=1
	s_waitcnt lgkmcnt(0)
	s_barrier
	ds_read_b64 v[34:35], v92
	ds_read_b64 v[40:41], v93
	ds_read2st64_b64 v[36:39], v87 offset1:1
	ds_read2st64_b64 v[106:109], v87 offset0:2 offset1:3
	ds_read_b64 v[42:43], v94
	ds_read_b64 v[114:115], v95
	s_add_i32 s5, s60, s66
	s_mul_hi_i32 s37, s5, s29
	s_mul_i32 s5, s5, s29
	s_waitcnt lgkmcnt(3)
	v_mfma_f32_16x16x16_bf16 a[0:3], v[34:35], v[36:37], 0
	ds_read_b64 v[34:35], v97
	s_add_u32 s36, s5, s33
	s_addc_u32 s37, s37, s48
	v_mfma_f32_16x16x16_bf16 a[0:3], v[40:41], v[38:39], a[0:3]
	ds_read_b64 v[40:41], v98
	s_lshl_b64 s[36:37], s[36:37], 15
	s_mul_i32 s39, s43, s29
	s_mul_hi_i32 s5, s43, s29
	s_add_u32 s46, s39, s33
	s_addc_u32 s47, s5, s48
	s_lshl_b64 s[46:47], s[46:47], 9
	s_add_u32 s46, s8, s46
	s_waitcnt lgkmcnt(1)
	v_mfma_f32_16x16x16_bf16 a[4:7], v[34:35], v[36:37], 0
	s_addc_u32 s47, s9, s47
	s_and_b64 vcc, exec, s[0:1]
	v_mfma_f32_16x16x16_bf16 a[0:3], v[42:43], v[106:107], a[0:3]
	ds_read_b64 v[42:43], v99
	ds_read_b64 v[116:117], v100
	global_load_dwordx4 v[34:37], v96, s[46:47]
	s_waitcnt lgkmcnt(2)
	v_mfma_f32_16x16x16_bf16 a[4:7], v[40:41], v[38:39], a[4:7]
	global_load_dwordx4 v[38:41], v91, s[46:47]
	ds_read_b64 v[110:111], v59
	ds_read_b64 v[112:113], v88
	s_waitcnt lgkmcnt(3)
	v_mfma_f32_16x16x16_bf16 a[8:11], v[42:43], v[106:107], a[4:7]
	v_lshl_add_u64 v[42:43], v[60:61], 0, s[36:37]
	s_waitcnt lgkmcnt(0)
	global_store_dwordx4 v[42:43], v[110:113], off
	v_mfma_f32_16x16x16_bf16 a[4:7], v[114:115], v[108:109], a[0:3]
	s_waitcnt vmcnt(2)
	v_mov_b32_e32 v44, v37
	v_mfma_f32_16x16x16_bf16 a[0:3], v[116:117], v[108:109], a[8:11]
	v_mov_b32_e32 v43, v36
	v_mov_b32_e32 v42, v35
	s_cbranch_vccnz .LBB577_16
; %bb.15:                               ;   in Loop: Header=BB577_6 Depth=1
	v_lshrrev_b32_e32 v35, 3, v104
	v_and_b32_e32 v35, 6, v35
	v_xor_b32_e32 v36, v35, v105
	v_lshlrev_b32_e32 v36, 2, v36
	v_and_b32_e32 v37, 8, v104
	v_xor_b32_e32 v104, 0x440, v36
	v_cmp_eq_u32_e32 vcc, 0, v37
	v_perm_b32 v37, v22, v18, s64
	s_nop 0
	v_cndmask_b32_e32 v36, v104, v36, vcc
	v_lshl_or_b32 v35, v35, 10, v36
	v_perm_b32 v36, v30, v26, s64
	s_barrier
	ds_write2st64_b32 v35, v36, v37 offset1:32
	v_xor_b32_e32 v36, 8, v35
	v_perm_b32 v26, v30, v26, s65
	v_perm_b32 v18, v22, v18, s65
	v_add_u32_e32 v22, 0x80, v36
	ds_write2st64_b32 v22, v26, v18 offset1:32
	v_xor_b32_e32 v18, 16, v35
	v_perm_b32 v22, v31, v27, s64
	v_perm_b32 v26, v23, v19, s64
	ds_write2st64_b32 v18, v22, v26 offset0:1 offset1:33
	v_xor_b32_e32 v18, 24, v35
	v_perm_b32 v22, v31, v27, s65
	v_perm_b32 v19, v23, v19, s65
	v_add_u32_e32 v18, 0x80, v18
	ds_write2st64_b32 v18, v22, v19 offset0:1 offset1:33
	v_xor_b32_e32 v18, 32, v35
	v_perm_b32 v19, v32, v28, s64
	v_perm_b32 v22, v24, v20, s64
	ds_write2st64_b32 v18, v19, v22 offset0:2 offset1:34
	v_xor_b32_e32 v18, 40, v35
	v_perm_b32 v19, v32, v28, s65
	v_perm_b32 v20, v24, v20, s65
	v_add_u32_e32 v18, 0x80, v18
	ds_write2st64_b32 v18, v19, v20 offset0:2 offset1:34
	;; [unrolled: 9-line block ×3, first 2 shown]
	ds_write_b64 v103, v[14:15] offset:16384
	v_xor_b32_e32 v14, 8, v103
	ds_write_b64 v14, v[16:17] offset:16384
	ds_write_b64 v103, v[10:11] offset:24576
	;; [unrolled: 1-line block ×4, first 2 shown]
	v_xor_b32_e32 v6, 8, v102
	ds_write_b64 v6, v[8:9] offset:16384
	ds_write_b64 v102, v[2:3] offset:24576
	;; [unrolled: 1-line block ×3, first 2 shown]
.LBB577_16:                             ;   in Loop: Header=BB577_6 Depth=1
	v_mul_f32_e32 v6, s4, v101
	v_exp_f32_e32 v10, v6
	s_waitcnt vmcnt(1)
	v_mul_f32_e32 v6, 0x3fb8aa3b, v38
	v_exp_f32_e32 v12, v6
	v_mul_f32_e32 v6, 0x3fb8aa3b, v39
	v_exp_f32_e32 v13, v6
	;; [unrolled: 2-line block ×4, first 2 shown]
	v_accvgpr_read_b32 v2, a4
	v_accvgpr_read_b32 v3, a5
	v_pk_mul_f32 v[12:13], v[10:11], v[12:13] op_sel_hi:[0,1]
	v_pk_fma_f32 v[52:53], v[52:53], v[12:13], v[2:3]
	v_pk_mul_f32 v[2:3], v[10:11], v[14:15] op_sel_hi:[0,1]
	v_mul_f32_e32 v11, 0x3fb8aa3b, v34
	v_exp_f32_e32 v12, v11
	v_mul_f32_e32 v11, 0x3fb8aa3b, v42
	v_exp_f32_e32 v13, v11
	;; [unrolled: 2-line block ×4, first 2 shown]
	v_accvgpr_read_b32 v4, a6
	v_accvgpr_read_b32 v5, a7
	;; [unrolled: 1-line block ×5, first 2 shown]
	v_pk_fma_f32 v[56:57], v[56:57], v[2:3], v[4:5]
	v_pk_mul_f32 v[2:3], v[10:11], v[12:13] op_sel_hi:[0,1]
	v_accvgpr_read_b32 v8, a2
	v_pk_fma_f32 v[50:51], v[50:51], v[2:3], v[6:7]
	v_pk_mul_f32 v[2:3], v[10:11], v[14:15] op_sel_hi:[0,1]
	s_add_i32 s61, s61, 64
	s_cmp_eq_u32 s55, s41
	v_pk_fma_f32 v[54:55], v[54:55], v[2:3], v[8:9]
	s_cbranch_scc1 .LBB577_18
; %bb.17:                               ;   in Loop: Header=BB577_6 Depth=1
	s_mov_b32 s66, s41
	s_branch .LBB577_6
.LBB577_18:
	s_lshl_b32 s0, s55, 6
	s_sub_i32 s46, s56, s0
	s_cmp_gt_i32 s46, 0
	s_cbranch_scc0 .LBB577_75
; %bb.19:
	s_add_i32 s34, s0, s34
	s_ashr_i32 s3, s34, 31
	s_cmpk_lg_i32 s31, 0x80
	s_cselect_b64 s[38:39], -1, 0
	s_and_b64 vcc, exec, s[38:39]
	s_cbranch_vccz .LBB577_21
; %bb.20:
	s_mul_i32 s1, s34, s30
	s_ashr_i32 s4, s57, 31
	s_mul_hi_i32 s0, s34, s30
	s_add_u32 s44, s1, s57
	s_addc_u32 s45, s0, s4
	s_cbranch_execz .LBB577_22
	s_branch .LBB577_23
.LBB577_21:
                                        ; implicit-def: $sgpr44_sgpr45
.LBB577_22:
	s_mul_i32 s1, s57, s28
	s_mul_hi_i32 s0, s57, s28
	s_add_u32 s44, s1, s34
	s_addc_u32 s45, s0, s3
.LBB577_23:
	s_waitcnt lgkmcnt(0)
	s_add_i32 s4, s55, s60
	s_add_u32 s0, s59, s34
	s_addc_u32 s1, s58, s3
	s_mov_b32 s3, 0x7060302
	v_lshlrev_b32_e32 v6, 3, v67
	s_lshl_b64 s[36:37], s[0:1], 8
	v_perm_b32 v3, v57, v56, s3
	v_perm_b32 v2, v53, v52, s3
	;; [unrolled: 1-line block ×4, first 2 shown]
	v_lshlrev_b32_e32 v34, 2, v67
	v_lshl_or_b32 v6, v70, 5, v6
	s_add_u32 s0, s18, s36
	ds_write2st64_b64 v6, v[2:3], v[4:5] offset0:72 offset1:76
	v_xor_b32_e32 v6, v70, v34
	v_lshlrev_b32_e32 v7, 8, v67
	s_addc_u32 s1, s19, s37
	v_lshl_or_b32 v6, v6, 1, v7
	s_mul_hi_i32 s3, s4, s29
	s_mul_i32 s4, s4, s29
	ds_write_b64 v6, v[2:3] offset:32768
	v_xor_b32_e32 v2, v71, v34
	s_add_u32 s4, s4, s33
	v_lshl_or_b32 v2, v2, 1, v7
	s_addc_u32 s5, s3, s48
	v_lshlrev_b32_e32 v3, 1, v67
	ds_write_b64 v2, v[4:5] offset:32768
	v_lshrrev_b32_e32 v2, 4, v0
	s_ashr_i32 s3, s2, 31
	s_lshl_b64 s[4:5], s[4:5], 15
	v_or_b32_e32 v4, 1, v3
	s_add_u32 s4, s12, s4
	v_xor_b32_e32 v3, v2, v3
	v_xor_b32_e32 v4, v4, v2
	v_lshlrev_b32_e32 v6, 8, v2
	s_addc_u32 s5, s13, s5
	s_lshl_b64 s[2:3], s[2:3], 8
	v_lshl_or_b32 v2, v3, 3, v6
	v_lshl_or_b32 v4, v4, 3, v6
	s_waitcnt lgkmcnt(0)
	s_barrier
	s_add_u32 s2, s4, s2
	ds_read_b64 v[2:3], v2 offset:32768
	ds_read_b64 v[4:5], v4 offset:32768
	s_addc_u32 s3, s5, s3
	v_mov_b32_e32 v7, 0
	s_cmp_lg_u32 s46, 64
	v_lshl_add_u64 v[8:9], s[2:3], 0, v[6:7]
	v_lshlrev_b32_e32 v6, 4, v67
	s_cselect_b64 s[18:19], -1, 0
	v_lshl_or_b32 v36, v1, 3, v69
	s_mov_b32 s4, 0
	v_lshl_add_u64 v[6:7], v[8:9], 0, v[6:7]
	v_or_b32_e32 v19, 32, v36
	v_and_b32_e32 v18, 56, v68
	s_and_b64 vcc, exec, s[18:19]
	s_waitcnt lgkmcnt(0)
	global_store_dwordx4 v[6:7], v[2:5], off
	s_cbranch_vccz .LBB577_29
; %bb.24:
	s_mov_b32 s6, s4
	s_mov_b32 s7, s4
	;; [unrolled: 1-line block ×3, first 2 shown]
	v_mov_b64_e32 v[8:9], s[6:7]
	v_mov_b64_e32 v[6:7], s[4:5]
	;; [unrolled: 1-line block ×3, first 2 shown]
	v_cmp_gt_i32_e32 vcc, s46, v36
	v_mov_b64_e32 v[4:5], v[8:9]
	s_and_saveexec_b64 s[2:3], vcc
	s_cbranch_execz .LBB577_26
; %bb.25:
	v_lshlrev_b32_e32 v2, 8, v36
	v_mov_b32_e32 v3, 0
	v_lshl_add_u64 v[4:5], s[0:1], 0, v[2:3]
	v_lshlrev_b32_e32 v2, 1, v18
	v_lshl_add_u64 v[10:11], v[4:5], 0, v[2:3]
	global_load_dwordx4 v[6:9], v[10:11], off
	global_load_dwordx4 v[2:5], v[10:11], off offset:128
.LBB577_26:
	s_or_b64 exec, exec, s[2:3]
	s_mov_b32 s6, s4
	s_mov_b32 s7, s4
	;; [unrolled: 1-line block ×3, first 2 shown]
	v_mov_b64_e32 v[16:17], s[6:7]
	v_mov_b64_e32 v[14:15], s[4:5]
	;; [unrolled: 1-line block ×3, first 2 shown]
	v_cmp_gt_i32_e32 vcc, s46, v19
	v_lshlrev_b32_e32 v20, 7, v19
	v_mov_b64_e32 v[12:13], v[16:17]
	s_and_saveexec_b64 s[2:3], vcc
	s_cbranch_execz .LBB577_28
; %bb.27:
	v_lshlrev_b32_e32 v10, 1, v20
	v_mov_b32_e32 v11, 0
	v_lshl_add_u64 v[12:13], s[0:1], 0, v[10:11]
	v_lshlrev_b32_e32 v10, 1, v18
	v_lshl_add_u64 v[22:23], v[12:13], 0, v[10:11]
	global_load_dwordx4 v[14:17], v[22:23], off
	global_load_dwordx4 v[10:13], v[22:23], off offset:128
.LBB577_28:
	s_or_b64 exec, exec, s[2:3]
	v_lshrrev_b32_e32 v21, 3, v18
	v_lshlrev_b32_e32 v22, 3, v36
	v_or_b32_e32 v21, v22, v21
	v_lshlrev_b32_e32 v21, 4, v21
	v_and_b32_e32 v22, 0x78, v22
	v_xor_b32_e32 v21, v21, v22
	s_branch .LBB577_31
.LBB577_29:
                                        ; implicit-def: $vgpr21
                                        ; implicit-def: $vgpr20
                                        ; implicit-def: $vgpr6_vgpr7_vgpr8_vgpr9
                                        ; implicit-def: $vgpr2_vgpr3_vgpr4_vgpr5
                                        ; implicit-def: $vgpr14_vgpr15_vgpr16_vgpr17
                                        ; implicit-def: $vgpr10_vgpr11_vgpr12_vgpr13
	s_cbranch_execz .LBB577_31
; %bb.30:
	s_waitcnt vmcnt(0)
	v_lshlrev_b32_e32 v2, 1, v18
	v_lshl_or_b32 v20, v36, 8, v2
	s_and_b32 s1, s1, 0xffff
	s_mov_b32 s3, 0x20000
	s_movk_i32 s2, 0x4000
	v_lshl_or_b32 v21, v19, 8, v2
	s_movk_i32 s4, 0x80
	buffer_load_dwordx4 v[6:9], v20, s[0:3], 0 offen
	buffer_load_dwordx4 v[2:5], v20, s[0:3], s4 offen
	;; [unrolled: 1-line block ×4, first 2 shown]
	v_lshrrev_b32_e32 v20, 3, v18
	v_lshlrev_b32_e32 v21, 3, v36
	v_or_b32_e32 v20, v21, v20
	v_lshlrev_b32_e32 v20, 4, v20
	v_and_b32_e32 v21, 0x78, v21
	v_xor_b32_e32 v21, v20, v21
	v_lshlrev_b32_e32 v20, 7, v19
.LBB577_31:
	s_lshl_b64 s[0:1], s[44:45], 8
	s_add_u32 s4, s16, s0
	s_movk_i32 s0, 0x1000
	v_and_or_b32 v19, v20, s0, v21
	s_waitcnt vmcnt(1)
	ds_write_b64 v21, v[6:7] offset:16384
	v_xor_b32_e32 v6, 8, v21
	ds_write_b64 v6, v[8:9] offset:16384
	s_waitcnt vmcnt(0)
	ds_write_b64 v21, v[2:3] offset:24576
	ds_write_b64 v6, v[4:5] offset:24576
	;; [unrolled: 1-line block ×3, first 2 shown]
	v_xor_b32_e32 v2, 8, v19
	ds_write_b64 v2, v[16:17] offset:16384
	ds_write_b64 v19, v[10:11] offset:24576
	;; [unrolled: 1-line block ×3, first 2 shown]
	v_or_b32_e32 v2, v45, v67
	v_lshlrev_b32_e32 v2, 3, v2
	v_lshrrev_b32_e32 v4, 5, v49
	s_movk_i32 s6, 0xf8
	v_and_or_b32 v4, v2, s6, v4
	v_lshlrev_b32_e32 v35, 11, v1
	v_lshlrev_b32_e32 v12, 4, v4
	v_and_b32_e32 v13, 0x78, v2
	v_and_b32_e32 v14, 0x1000, v35
	v_lshlrev_b32_e32 v3, 2, v0
	v_xor_b32_e32 v2, v12, v13
	v_lshrrev_b32_e32 v4, 1, v49
	v_and_b32_e32 v3, 60, v3
	v_or_b32_e32 v2, v2, v14
	v_and_b32_e32 v15, 8, v4
	v_xor_b32_e32 v26, v2, v15
	v_lshl_or_b32 v2, v66, 6, v3
	v_lshlrev_b32_e32 v37, 1, v2
	v_or_b32_e32 v2, 32, v12
	v_xor_b32_e32 v2, v2, v13
	s_waitcnt lgkmcnt(0)
	s_barrier
	ds_read_b64 v[10:11], v26 offset:16384
	v_or_b32_e32 v2, v2, v14
	v_xor_b32_e32 v27, v2, v15
	v_or_b32_e32 v2, 64, v12
	v_xor_b32_e32 v2, v2, v13
	v_or_b32_e32 v2, v2, v14
	v_or_b32_e32 v12, 0x60, v12
	v_xor_b32_e32 v28, v2, v15
	ds_read2st64_b64 v[2:5], v37 offset0:72 offset1:73
	ds_read2st64_b64 v[6:9], v37 offset0:74 offset1:75
	v_xor_b32_e32 v16, v12, v13
	ds_read_b64 v[12:13], v27 offset:16384
	s_addc_u32 s5, s17, s1
	s_add_i32 s0, s50, s49
	s_waitcnt lgkmcnt(2)
	v_mfma_f32_16x16x16_bf16 a[0:3], v[10:11], v[2:3], 0
	s_add_i32 s17, s35, -1
	s_add_i32 s43, s0, s51
	s_add_i32 s0, s53, s52
	;; [unrolled: 1-line block ×3, first 2 shown]
	s_ashr_i32 s0, s17, 31
	s_mul_i32 s1, s17, s11
	s_mul_hi_u32 s2, s17, s10
	s_add_i32 s1, s2, s1
	s_mul_i32 s0, s0, s10
	v_or_b32_e32 v14, v16, v14
	s_add_i32 s1, s1, s0
	s_lshl_b64 s[2:3], s[42:43], 2
	v_xor_b32_e32 v38, v14, v15
	ds_read_b64 v[14:15], v28 offset:16384
	ds_read_b64 v[16:17], v38 offset:16384
	s_waitcnt lgkmcnt(2)
	v_mfma_f32_16x16x16_bf16 a[0:3], v[12:13], v[4:5], a[0:3]
	s_add_u32 s6, s22, s2
	s_addc_u32 s7, s23, s3
	s_lshl_b64 s[2:3], s[40:41], 2
	s_mul_i32 s0, s17, s10
	s_add_u32 s12, s6, s2
	s_addc_u32 s13, s7, s3
	s_lshl_b64 s[0:1], s[0:1], 2
	s_waitcnt lgkmcnt(1)
	v_mfma_f32_16x16x16_bf16 a[0:3], v[14:15], v[6:7], a[0:3]
	s_add_u32 s0, s12, s0
	s_addc_u32 s1, s13, s1
	s_load_dword s16, s[0:1], 0x0
	s_waitcnt lgkmcnt(0)
	v_mfma_f32_16x16x16_bf16 a[0:3], v[16:17], v[8:9], a[0:3]
	s_and_b64 vcc, exec, s[38:39]
	s_cbranch_vccz .LBB577_42
; %bb.32:
	v_lshlrev_b32_e32 v19, 1, v36
	s_and_b64 vcc, exec, s[18:19]
	s_cbranch_vccz .LBB577_43
; %bb.33:
	v_cmp_gt_i32_e32 vcc, s46, v19
	v_mov_b32_e32 v6, 0
	v_mov_b32_e32 v2, 0
	v_mov_b32_e32 v3, 0
	v_mov_b32_e32 v4, 0
	v_mov_b32_e32 v5, 0
	s_and_saveexec_b64 s[0:1], vcc
	s_cbranch_execz .LBB577_35
; %bb.34:
	v_mad_i64_i32 v[2:3], s[2:3], s31, v19, 0
	v_lshl_add_u64 v[2:3], v[2:3], 1, s[4:5]
	v_lshlrev_b32_e32 v4, 1, v18
	v_mov_b32_e32 v5, 0
	v_lshl_add_u64 v[2:3], v[2:3], 0, v[4:5]
	global_load_dwordx4 v[2:5], v[2:3], off
.LBB577_35:
	s_or_b64 exec, exec, s[0:1]
	v_or_b32_e32 v20, 1, v19
	v_cmp_gt_i32_e64 s[0:1], s46, v20
	v_mov_b32_e32 v7, 0
	v_mov_b32_e32 v8, 0
	;; [unrolled: 1-line block ×3, first 2 shown]
	s_and_saveexec_b64 s[2:3], s[0:1]
	s_cbranch_execz .LBB577_37
; %bb.36:
	v_mad_i64_i32 v[6:7], s[6:7], s31, v20, 0
	v_lshl_add_u64 v[6:7], v[6:7], 1, s[4:5]
	v_lshlrev_b32_e32 v8, 1, v18
	v_mov_b32_e32 v9, 0
	v_lshl_add_u64 v[6:7], v[6:7], 0, v[8:9]
	global_load_dwordx4 v[6:9], v[6:7], off
.LBB577_37:
	s_or_b64 exec, exec, s[2:3]
	v_mov_b32_e32 v17, 0
	v_mov_b32_e32 v10, 0
	;; [unrolled: 1-line block ×5, first 2 shown]
	s_and_saveexec_b64 s[2:3], vcc
	s_cbranch_execz .LBB577_39
; %bb.38:
	v_mad_i64_i32 v[10:11], s[6:7], s31, v19, 0
	v_lshl_add_u64 v[10:11], v[10:11], 1, s[4:5]
	v_lshlrev_b32_e32 v12, 1, v18
	v_mov_b32_e32 v13, 0
	v_lshl_add_u64 v[10:11], v[10:11], 0, v[12:13]
	global_load_dwordx4 v[10:13], v[10:11], off offset:128
.LBB577_39:
	s_or_b64 exec, exec, s[2:3]
	v_mov_b32_e32 v16, 0
	v_mov_b32_e32 v15, 0
	;; [unrolled: 1-line block ×3, first 2 shown]
	s_and_saveexec_b64 s[2:3], s[0:1]
	s_cbranch_execz .LBB577_41
; %bb.40:
	v_mad_i64_i32 v[14:15], s[0:1], s31, v20, 0
	v_lshl_add_u64 v[14:15], v[14:15], 1, s[4:5]
	v_lshlrev_b32_e32 v16, 1, v18
	v_mov_b32_e32 v17, 0
	v_lshl_add_u64 v[14:15], v[14:15], 0, v[16:17]
	global_load_dwordx4 v[14:17], v[14:15], off offset:128
.LBB577_41:
	s_or_b64 exec, exec, s[2:3]
	s_branch .LBB577_45
.LBB577_42:
                                        ; implicit-def: $vgpr5
                                        ; implicit-def: $vgpr9
                                        ; implicit-def: $vgpr13
                                        ; implicit-def: $vgpr17
	v_lshrrev_b32_e32 v19, 2, v49
	s_branch .LBB577_46
.LBB577_43:
                                        ; implicit-def: $vgpr5
                                        ; implicit-def: $vgpr9
                                        ; implicit-def: $vgpr13
                                        ; implicit-def: $vgpr17
	s_cbranch_execz .LBB577_45
; %bb.44:
	s_waitcnt vmcnt(0)
	v_mad_u64_u32 v[2:3], s[0:1], v19, s31, v[18:19]
	v_lshlrev_b32_e32 v19, 1, v2
	s_lshl_b32 s2, s31, 7
	s_and_b32 s1, s5, 0xffff
	s_mov_b32 s3, 0x20000
	s_mov_b32 s0, s4
	v_add_lshl_u32 v20, v2, s31, 1
	s_movk_i32 s6, 0x80
	buffer_load_dwordx4 v[2:5], v19, s[0:3], 0 offen
	buffer_load_dwordx4 v[10:13], v19, s[0:3], s6 offen
	;; [unrolled: 1-line block ×4, first 2 shown]
.LBB577_45:
	v_lshrrev_b32_e32 v19, 2, v49
	s_cbranch_execnz .LBB577_58
.LBB577_46:
	s_and_b64 vcc, exec, s[18:19]
	s_cbranch_vccz .LBB577_56
; %bb.47:
	s_waitcnt vmcnt(0)
	v_lshlrev_b32_e32 v7, 1, v36
	v_cmp_gt_i32_e32 vcc, s46, v7
	v_mov_b32_e32 v6, 0
	v_lshlrev_b32_e32 v14, 9, v36
	v_mov_b32_e32 v2, 0
	v_mov_b32_e32 v3, 0
	;; [unrolled: 1-line block ×4, first 2 shown]
	s_and_saveexec_b64 s[0:1], vcc
	s_cbranch_execz .LBB577_49
; %bb.48:
	v_mov_b32_e32 v15, 0
	v_lshl_add_u64 v[2:3], s[4:5], 0, v[14:15]
	v_lshlrev_b32_e32 v4, 1, v18
	v_mov_b32_e32 v5, v15
	v_lshl_add_u64 v[2:3], v[2:3], 0, v[4:5]
	global_load_dwordx4 v[2:5], v[2:3], off
.LBB577_49:
	s_or_b64 exec, exec, s[0:1]
	v_or_b32_e32 v7, 1, v7
	v_cmp_gt_i32_e64 s[0:1], s46, v7
	v_lshlrev_b32_e32 v20, 8, v7
	v_mov_b32_e32 v7, 0
	v_mov_b32_e32 v8, 0
	;; [unrolled: 1-line block ×3, first 2 shown]
	s_and_saveexec_b64 s[2:3], s[0:1]
	s_cbranch_execz .LBB577_51
; %bb.50:
	v_mov_b32_e32 v21, 0
	v_lshl_add_u64 v[6:7], s[4:5], 0, v[20:21]
	v_lshlrev_b32_e32 v8, 1, v18
	v_mov_b32_e32 v9, v21
	v_lshl_add_u64 v[6:7], v[6:7], 0, v[8:9]
	global_load_dwordx4 v[6:9], v[6:7], off
.LBB577_51:
	s_or_b64 exec, exec, s[2:3]
	v_mov_b32_e32 v17, 0
	v_mov_b32_e32 v10, 0
	;; [unrolled: 1-line block ×5, first 2 shown]
	s_and_saveexec_b64 s[2:3], vcc
	s_cbranch_execz .LBB577_53
; %bb.52:
	v_mov_b32_e32 v15, 0
	v_lshl_add_u64 v[10:11], s[4:5], 0, v[14:15]
	v_lshlrev_b32_e32 v14, 1, v18
	v_lshl_add_u64 v[10:11], v[10:11], 0, v[14:15]
	global_load_dwordx4 v[10:13], v[10:11], off offset:128
.LBB577_53:
	s_or_b64 exec, exec, s[2:3]
	v_mov_b32_e32 v16, 0
	v_mov_b32_e32 v15, 0
	;; [unrolled: 1-line block ×3, first 2 shown]
	s_and_saveexec_b64 s[2:3], s[0:1]
	s_cbranch_execz .LBB577_55
; %bb.54:
	v_mov_b32_e32 v21, 0
	v_lshl_add_u64 v[14:15], s[4:5], 0, v[20:21]
	v_lshlrev_b32_e32 v20, 1, v18
	v_lshl_add_u64 v[14:15], v[14:15], 0, v[20:21]
	global_load_dwordx4 v[14:17], v[14:15], off offset:128
.LBB577_55:
	s_or_b64 exec, exec, s[2:3]
	s_branch .LBB577_58
.LBB577_56:
                                        ; implicit-def: $vgpr5
                                        ; implicit-def: $vgpr9
                                        ; implicit-def: $vgpr13
                                        ; implicit-def: $vgpr17
	s_cbranch_execz .LBB577_58
; %bb.57:
	s_waitcnt vmcnt(0)
	v_lshlrev_b32_e32 v2, 1, v18
	v_lshl_or_b32 v18, v36, 9, v2
	s_and_b32 s5, s5, 0xffff
	s_mov_b32 s7, 0x20000
	s_movk_i32 s6, 0x4000
	s_movk_i32 s0, 0x80
	buffer_load_dwordx4 v[2:5], v18, s[4:7], 0 offen
	buffer_load_dwordx4 v[6:9], v18, s[4:7], 0 offen offset:256
	buffer_load_dwordx4 v[10:13], v18, s[4:7], s0 offen
	buffer_load_dwordx4 v[14:17], v18, s[4:7], s0 offen offset:256
.LBB577_58:
	v_and_b32_e32 v39, 12, v19
	ds_read2st64_b64 v[22:25], v37 offset0:76 offset1:77
	ds_read2st64_b64 v[18:21], v37 offset0:78 offset1:79
	ds_read_b64 v[32:33], v26 offset:24576
	ds_read_b64 v[30:31], v27 offset:24576
	;; [unrolled: 1-line block ×4, first 2 shown]
	v_and_b32_e32 v38, 6, v0
	v_xor_b32_e32 v36, v36, v38
	v_lshlrev_b32_e32 v36, 2, v36
	v_and_b32_e32 v40, 1, v0
	v_xor_b32_e32 v41, 0x440, v36
	v_cmp_eq_u32_e32 vcc, 0, v40
	s_mov_b32 s0, 0x1000504
	s_waitcnt vmcnt(0)
	v_perm_b32 v40, v10, v14, s0
	v_cndmask_b32_e32 v36, v41, v36, vcc
	v_lshl_or_b32 v36, v38, 10, v36
	v_perm_b32 v38, v2, v6, s0
	ds_write2st64_b32 v36, v38, v40 offset1:32
	v_xor_b32_e32 v38, 8, v36
	s_mov_b32 s1, 0x3020706
	v_perm_b32 v2, v2, v6, s1
	v_perm_b32 v6, v10, v14, s1
	v_add_u32_e32 v10, 0x80, v38
	ds_write2st64_b32 v10, v2, v6 offset1:32
	v_xor_b32_e32 v2, 16, v36
	v_perm_b32 v6, v3, v7, s0
	v_perm_b32 v10, v11, v15, s0
	ds_write2st64_b32 v2, v6, v10 offset0:1 offset1:33
	v_xor_b32_e32 v2, 24, v36
	v_perm_b32 v3, v3, v7, s1
	v_perm_b32 v6, v11, v15, s1
	v_add_u32_e32 v2, 0x80, v2
	ds_write2st64_b32 v2, v3, v6 offset0:1 offset1:33
	v_xor_b32_e32 v2, 32, v36
	v_perm_b32 v3, v4, v8, s0
	v_perm_b32 v6, v12, v16, s0
	ds_write2st64_b32 v2, v3, v6 offset0:2 offset1:34
	v_xor_b32_e32 v2, 40, v36
	v_perm_b32 v3, v4, v8, s1
	v_perm_b32 v4, v12, v16, s1
	v_add_u32_e32 v2, 0x80, v2
	ds_write2st64_b32 v2, v3, v4 offset0:2 offset1:34
	v_xor_b32_e32 v2, 48, v36
	v_perm_b32 v3, v5, v9, s0
	v_perm_b32 v4, v13, v17, s0
	ds_write2st64_b32 v2, v3, v4 offset0:3 offset1:35
	v_xor_b32_e32 v2, 56, v36
	v_or_b32_e32 v10, v39, v45
	v_perm_b32 v3, v5, v9, s1
	v_perm_b32 v4, v13, v17, s1
	v_add_u32_e32 v2, 0x80, v2
	v_cmp_gt_i32_e32 vcc, s46, v10
	v_mov_b32_e32 v12, 0
	v_mov_b32_e32 v16, 0
	ds_write2st64_b32 v2, v3, v4 offset0:3 offset1:35
	s_and_saveexec_b64 s[0:1], vcc
	s_cbranch_execz .LBB577_60
; %bb.59:
	v_add_u32_e32 v2, s34, v10
	v_ashrrev_i32_e32 v3, 31, v2
	v_mul_lo_u32 v4, v3, s10
	v_mul_lo_u32 v5, v2, s11
	v_mad_u64_u32 v[2:3], s[2:3], v2, s10, 0
	v_add3_u32 v3, v3, v5, v4
	v_lshl_add_u64 v[2:3], v[2:3], 2, s[12:13]
	global_load_dword v2, v[2:3], off
	s_waitcnt vmcnt(0)
	v_sub_f32_e32 v2, s16, v2
	v_mul_f32_e32 v2, 0x3fb8aa3b, v2
	v_exp_f32_e32 v16, v2
.LBB577_60:
	s_or_b64 exec, exec, s[0:1]
	v_or_b32_e32 v15, 1, v10
	v_cmp_gt_i32_e64 s[4:5], s46, v15
	s_and_saveexec_b64 s[0:1], s[4:5]
	s_cbranch_execz .LBB577_62
; %bb.61:
	v_add_u32_e32 v2, s34, v15
	v_ashrrev_i32_e32 v3, 31, v2
	v_mul_lo_u32 v4, v3, s10
	v_mul_lo_u32 v5, v2, s11
	v_mad_u64_u32 v[2:3], s[2:3], v2, s10, 0
	v_add3_u32 v3, v3, v5, v4
	v_lshl_add_u64 v[2:3], v[2:3], 2, s[12:13]
	global_load_dword v2, v[2:3], off
	s_waitcnt vmcnt(0)
	v_sub_f32_e32 v2, s16, v2
	v_mul_f32_e32 v2, 0x3fb8aa3b, v2
	v_exp_f32_e32 v12, v2
.LBB577_62:
	s_or_b64 exec, exec, s[0:1]
	v_or_b32_e32 v13, 2, v10
	v_cmp_gt_i32_e64 s[0:1], s46, v13
	v_mov_b32_e32 v11, 0
	v_mov_b32_e32 v17, 0
	s_and_saveexec_b64 s[2:3], s[0:1]
	s_cbranch_execz .LBB577_64
; %bb.63:
	v_add_u32_e32 v2, s34, v13
	v_ashrrev_i32_e32 v3, 31, v2
	v_mul_lo_u32 v4, v3, s10
	v_mul_lo_u32 v5, v2, s11
	v_mad_u64_u32 v[2:3], s[6:7], v2, s10, 0
	v_add3_u32 v3, v3, v5, v4
	v_lshl_add_u64 v[2:3], v[2:3], 2, s[12:13]
	global_load_dword v2, v[2:3], off
	s_waitcnt vmcnt(0)
	v_sub_f32_e32 v2, s16, v2
	v_mul_f32_e32 v2, 0x3fb8aa3b, v2
	v_exp_f32_e32 v17, v2
.LBB577_64:
	s_or_b64 exec, exec, s[2:3]
	v_or_b32_e32 v14, 3, v10
	v_cmp_gt_i32_e64 s[2:3], s46, v14
	s_and_saveexec_b64 s[6:7], s[2:3]
	s_cbranch_execz .LBB577_66
; %bb.65:
	v_add_u32_e32 v2, s34, v14
	v_ashrrev_i32_e32 v3, 31, v2
	v_mul_lo_u32 v4, v3, s10
	v_mul_lo_u32 v5, v2, s11
	v_mad_u64_u32 v[2:3], s[10:11], v2, s10, 0
	v_add3_u32 v3, v3, v5, v4
	v_lshl_add_u64 v[2:3], v[2:3], 2, s[12:13]
	global_load_dword v2, v[2:3], off
	s_waitcnt vmcnt(0)
	v_sub_f32_e32 v2, s16, v2
	v_mul_f32_e32 v2, 0x3fb8aa3b, v2
	v_exp_f32_e32 v11, v2
.LBB577_66:
	s_or_b64 exec, exec, s[6:7]
	s_waitcnt lgkmcnt(11)
	v_mfma_f32_16x16x16_bf16 a[0:3], v[32:33], v[22:23], a[0:3]
	s_add_u32 s6, s20, s36
	v_ashrrev_i32_e32 v59, 31, v58
	s_addc_u32 s7, s21, s37
	s_waitcnt lgkmcnt(10)
	v_mfma_f32_16x16x16_bf16 a[0:3], v[30:31], v[24:25], a[0:3]
	v_lshlrev_b64 v[2:3], 1, v[58:59]
	v_lshl_add_u64 v[6:7], s[6:7], 0, v[2:3]
	s_add_u32 s6, s14, s36
	s_waitcnt lgkmcnt(9)
	v_mfma_f32_16x16x16_bf16 a[0:3], v[28:29], v[18:19], a[0:3]
	s_addc_u32 s7, s15, s37
	v_lshl_add_u64 v[8:9], s[6:7], 0, v[2:3]
	v_mov_b32_e32 v18, 0
	s_waitcnt lgkmcnt(8)
	v_mfma_f32_16x16x16_bf16 a[0:3], v[26:27], v[20:21], a[0:3]
	v_mov_b32_e32 v19, 0
	s_nop 5
	v_accvgpr_read_b32 v5, a3
	v_accvgpr_read_b32 v4, a2
	;; [unrolled: 1-line block ×4, first 2 shown]
	s_and_saveexec_b64 s[6:7], vcc
	s_cbranch_execz .LBB577_68
; %bb.67:
	v_lshlrev_b32_e32 v20, 8, v10
	v_mov_b32_e32 v21, 0
	v_lshl_add_u64 v[22:23], v[6:7], 0, v[20:21]
	global_load_ushort v19, v[22:23], off
	v_lshl_add_u64 v[20:21], v[8:9], 0, v[20:21]
	s_waitcnt vmcnt(0)
	v_lshlrev_b32_e32 v19, 16, v19
	v_sub_f32_e32 v2, v19, v2
	global_store_short_d16_hi v[20:21], v2, off
	v_mul_f32_e32 v2, v16, v2
	v_lshrrev_b32_e32 v19, 16, v2
.LBB577_68:
	s_or_b64 exec, exec, s[6:7]
	s_and_saveexec_b64 s[6:7], s[4:5]
	s_cbranch_execz .LBB577_70
; %bb.69:
	v_lshlrev_b32_e32 v20, 8, v15
	v_mov_b32_e32 v21, 0
	v_lshl_add_u64 v[22:23], v[6:7], 0, v[20:21]
	global_load_ushort v2, v[22:23], off
	v_lshl_add_u64 v[20:21], v[8:9], 0, v[20:21]
	s_waitcnt vmcnt(0)
	v_lshlrev_b32_e32 v2, 16, v2
	v_sub_f32_e32 v2, v2, v3
	global_store_short_d16_hi v[20:21], v2, off
	v_mul_f32_e32 v2, v12, v2
	v_lshrrev_b32_e32 v18, 16, v2
.LBB577_70:
	s_or_b64 exec, exec, s[6:7]
	v_mov_b32_e32 v3, 0
	v_mov_b32_e32 v12, 0
	s_and_saveexec_b64 s[4:5], s[0:1]
	s_cbranch_execz .LBB577_72
; %bb.71:
	v_lshlrev_b32_e32 v12, 8, v13
	v_mov_b32_e32 v13, 0
	v_lshl_add_u64 v[20:21], v[6:7], 0, v[12:13]
	global_load_ushort v2, v[20:21], off
	v_lshl_add_u64 v[12:13], v[8:9], 0, v[12:13]
	s_waitcnt vmcnt(0)
	v_lshlrev_b32_e32 v2, 16, v2
	v_sub_f32_e32 v2, v2, v4
	global_store_short_d16_hi v[12:13], v2, off
	v_mul_f32_e32 v2, v17, v2
	v_lshrrev_b32_e32 v12, 16, v2
.LBB577_72:
	s_or_b64 exec, exec, s[4:5]
	v_or_b32_e32 v2, 0x9800, v37
	s_and_saveexec_b64 s[0:1], s[2:3]
	s_cbranch_execz .LBB577_74
; %bb.73:
	v_lshlrev_b32_e32 v14, 8, v14
	v_mov_b32_e32 v15, 0
	v_lshl_add_u64 v[6:7], v[6:7], 0, v[14:15]
	global_load_ushort v3, v[6:7], off
	v_lshl_add_u64 v[6:7], v[8:9], 0, v[14:15]
	s_waitcnt vmcnt(0)
	v_lshlrev_b32_e32 v3, 16, v3
	v_sub_f32_e32 v3, v3, v5
	global_store_short_d16_hi v[6:7], v3, off
	v_mul_f32_e32 v3, v11, v3
	v_lshrrev_b32_e32 v3, 16, v3
.LBB577_74:
	s_or_b64 exec, exec, s[0:1]
	s_mov_b32 s0, 0x5040100
	v_perm_b32 v5, v3, v12, s0
	v_lshlrev_b32_e32 v3, 1, v34
	v_perm_b32 v4, v18, v19, s0
	v_lshl_or_b32 v3, v10, 5, v3
	s_movk_i32 s2, 0xff
	ds_write_b64 v3, v[4:5] offset:38912
	v_and_b32_e32 v3, 7, v0
	v_cmp_lt_u32_e32 vcc, s2, v0
	v_and_b32_e32 v4, 8, v0
	v_lshlrev_b32_e32 v12, 3, v3
	v_lshlrev_b32_e32 v24, 7, v3
	v_cndmask_b32_e64 v3, 0, 1, vcc
	v_lshrrev_b32_e32 v0, 1, v0
	v_lshlrev_b32_e32 v14, 13, v3
	v_lshlrev_b32_e32 v3, 3, v1
	v_and_b32_e32 v0, 24, v0
	v_xor_b32_e32 v5, v3, v0
	v_or_b32_e32 v6, 0x440, v5
	v_cmp_eq_u32_e32 vcc, 0, v4
	s_mul_i32 s0, s17, s29
	s_mul_hi_i32 s1, s17, s29
	v_cndmask_b32_e32 v4, v6, v5, vcc
	v_or_b32_e32 v4, v4, v35
	v_xor_b32_e32 v22, v4, v12
	v_or_b32_e32 v4, 32, v0
	v_xor_b32_e32 v4, v3, v4
	v_or_b32_e32 v5, 0x440, v4
	v_cndmask_b32_e32 v4, v5, v4, vcc
	v_or_b32_e32 v4, v4, v35
	v_xor_b32_e32 v23, v4, v12
	v_or_b32_e32 v4, 64, v0
	v_xor_b32_e32 v4, v3, v4
	v_xor_b32_e32 v5, 0x440, v4
	v_cndmask_b32_e32 v4, v5, v4, vcc
	v_or_b32_e32 v0, 0x60, v0
	s_add_u32 s0, s0, s33
	v_add3_u32 v15, v14, v22, v24
	v_or_b32_e32 v4, v4, v35
	v_xor_b32_e32 v0, v3, v0
	s_waitcnt lgkmcnt(0)
	s_barrier
	s_addc_u32 s1, s1, s48
	v_lshlrev_b32_e32 v13, 2, v10
	v_xor_b32_e32 v25, v4, v12
	ds_read2st64_b64 v[4:7], v2 offset1:1
	ds_read2st64_b64 v[8:11], v2 offset0:2 offset1:3
	ds_read_b64 v[2:3], v15
	v_xor_b32_e32 v15, 0x440, v0
	s_lshl_b64 s[0:1], s[0:1], 9
	v_cndmask_b32_e32 v0, v15, v0, vcc
	s_add_u32 s0, s8, s0
	v_or_b32_e32 v0, v0, v35
	s_addc_u32 s1, s9, s1
	v_add3_u32 v16, v14, v23, v24
	v_add3_u32 v18, v14, v25, v24
	v_xor_b32_e32 v26, v0, v12
	v_add3_u32 v0, v14, v26, v24
	ds_read_b64 v[16:17], v16
	ds_read_b64 v[18:19], v18
	;; [unrolled: 1-line block ×3, first 2 shown]
	global_load_dwordx4 v[12:15], v13, s[0:1]
	v_lshlrev_b32_e32 v0, 6, v1
	v_lshlrev_b32_e32 v1, 2, v39
	s_movk_i32 s2, 0x100
	v_or3_b32 v0, v0, v1, s2
	s_waitcnt lgkmcnt(3)
	v_mfma_f32_16x16x16_bf16 a[0:3], v[2:3], v[4:5], 0
	global_load_dwordx4 v[0:3], v0, s[0:1]
	v_add_u32_e32 v27, v23, v24
	s_waitcnt vmcnt(1)
	v_mul_f32_e32 v12, 0x3fb8aa3b, v12
	s_waitcnt lgkmcnt(2)
	v_mfma_f32_16x16x16_bf16 a[0:3], v[16:17], v[6:7], a[0:3]
	v_mov_b32_e32 v16, 0x3fb8aa3b
	v_mul_f32_e32 v16, s16, v16
	v_mul_f32_e32 v13, 0x3fb8aa3b, v13
	s_waitcnt lgkmcnt(1)
	v_mfma_f32_16x16x16_bf16 a[0:3], v[18:19], v[8:9], a[0:3]
	v_exp_f32_e32 v16, v16
	v_add_u32_e32 v17, v22, v24
	v_exp_f32_e32 v12, v12
	s_waitcnt lgkmcnt(0)
	v_mfma_f32_16x16x16_bf16 a[0:3], v[20:21], v[10:11], a[0:3]
	v_exp_f32_e32 v13, v13
	ds_read_b64 v[22:23], v17 offset:8192
	v_mul_f32_e32 v14, 0x3fb8aa3b, v14
	v_mul_f32_e32 v15, 0x3fb8aa3b, v15
	v_pk_mul_f32 v[12:13], v[16:17], v[12:13] op_sel_hi:[0,1]
	v_exp_f32_e32 v14, v14
	v_exp_f32_e32 v15, v15
	v_accvgpr_read_b32 v21, a1
	v_accvgpr_read_b32 v20, a0
	v_pk_fma_f32 v[52:53], v[52:53], v[12:13], v[20:21]
	ds_read_b64 v[12:13], v27 offset:8192
	v_accvgpr_read_b32 v19, a3
	v_accvgpr_read_b32 v18, a2
	s_waitcnt lgkmcnt(1)
	v_mfma_f32_16x16x16_bf16 a[0:3], v[22:23], v[4:5], 0
	v_pk_mul_f32 v[14:15], v[16:17], v[14:15] op_sel_hi:[0,1]
	v_pk_fma_f32 v[56:57], v[56:57], v[14:15], v[18:19]
	v_add_u32_e32 v14, v25, v24
	v_add_u32_e32 v17, v26, v24
	ds_read_b64 v[14:15], v14 offset:8192
	ds_read_b64 v[18:19], v17 offset:8192
	s_waitcnt lgkmcnt(2)
	v_mfma_f32_16x16x16_bf16 a[0:3], v[12:13], v[6:7], a[0:3]
	s_waitcnt vmcnt(0)
	v_mov_b32_e32 v4, v3
	v_mov_b32_e32 v3, v2
	;; [unrolled: 1-line block ×3, first 2 shown]
	s_waitcnt lgkmcnt(1)
	v_mfma_f32_16x16x16_bf16 a[0:3], v[14:15], v[8:9], a[0:3]
	v_mul_f32_e32 v0, 0x3fb8aa3b, v0
	v_mul_f32_e32 v1, 0x3fb8aa3b, v2
	v_exp_f32_e32 v0, v0
	s_waitcnt lgkmcnt(0)
	v_mfma_f32_16x16x16_bf16 a[0:3], v[18:19], v[10:11], a[0:3]
	v_exp_f32_e32 v1, v1
	v_mul_f32_e32 v2, 0x3fb8aa3b, v3
	v_mul_f32_e32 v3, 0x3fb8aa3b, v4
	v_exp_f32_e32 v2, v2
	v_exp_f32_e32 v3, v3
	v_pk_mul_f32 v[0:1], v[16:17], v[0:1] op_sel_hi:[0,1]
	s_nop 0
	v_accvgpr_read_b32 v7, a1
	v_accvgpr_read_b32 v6, a0
	;; [unrolled: 1-line block ×4, first 2 shown]
	v_pk_fma_f32 v[50:51], v[50:51], v[0:1], v[6:7]
	v_pk_mul_f32 v[0:1], v[16:17], v[2:3] op_sel_hi:[0,1]
	v_pk_fma_f32 v[54:55], v[54:55], v[0:1], v[4:5]
.LBB577_75:
	s_add_u32 s0, s24, s26
	s_addc_u32 s1, s25, s27
	v_lshl_add_u64 v[0:1], v[46:47], 1, s[0:1]
	v_mov_b32_e32 v49, 0
	s_mov_b32 s0, 0x7060302
	v_lshl_add_u64 v[0:1], v[0:1], 0, v[48:49]
	v_perm_b32 v3, v57, v56, s0
	v_perm_b32 v2, v53, v52, s0
	global_store_dwordx2 v[0:1], v[2:3], off
	v_perm_b32 v3, v55, v54, s0
	v_perm_b32 v2, v51, v50, s0
	global_store_dwordx2 v[0:1], v[2:3], off offset:128
	s_endpgm
	.section	.rodata,"a",@progbits
	.p2align	6, 0x0
	.amdhsa_kernel _ZN12_GLOBAL__N_139chunk_gated_delta_rule_fwd_h_hip_kernelILi16ELb1ELb1ELb1ELb1ELb0ELb1ELb1ELb1EEEvPK12hip_bfloat16S3_S3_PKfS5_PKvPS1_S8_PvPKiSB_iiiiilll
		.amdhsa_group_segment_fixed_size 40960
		.amdhsa_private_segment_fixed_size 0
		.amdhsa_kernarg_size 136
		.amdhsa_user_sgpr_count 2
		.amdhsa_user_sgpr_dispatch_ptr 0
		.amdhsa_user_sgpr_queue_ptr 0
		.amdhsa_user_sgpr_kernarg_segment_ptr 1
		.amdhsa_user_sgpr_dispatch_id 0
		.amdhsa_user_sgpr_kernarg_preload_length 0
		.amdhsa_user_sgpr_kernarg_preload_offset 0
		.amdhsa_user_sgpr_private_segment_size 0
		.amdhsa_uses_dynamic_stack 0
		.amdhsa_enable_private_segment 0
		.amdhsa_system_sgpr_workgroup_id_x 1
		.amdhsa_system_sgpr_workgroup_id_y 1
		.amdhsa_system_sgpr_workgroup_id_z 0
		.amdhsa_system_sgpr_workgroup_info 0
		.amdhsa_system_vgpr_workitem_id 0
		.amdhsa_next_free_vgpr 132
		.amdhsa_next_free_sgpr 70
		.amdhsa_accum_offset 120
		.amdhsa_reserve_vcc 1
		.amdhsa_float_round_mode_32 0
		.amdhsa_float_round_mode_16_64 0
		.amdhsa_float_denorm_mode_32 3
		.amdhsa_float_denorm_mode_16_64 3
		.amdhsa_dx10_clamp 1
		.amdhsa_ieee_mode 1
		.amdhsa_fp16_overflow 0
		.amdhsa_tg_split 0
		.amdhsa_exception_fp_ieee_invalid_op 0
		.amdhsa_exception_fp_denorm_src 0
		.amdhsa_exception_fp_ieee_div_zero 0
		.amdhsa_exception_fp_ieee_overflow 0
		.amdhsa_exception_fp_ieee_underflow 0
		.amdhsa_exception_fp_ieee_inexact 0
		.amdhsa_exception_int_div_zero 0
	.end_amdhsa_kernel
	.section	.text._ZN12_GLOBAL__N_139chunk_gated_delta_rule_fwd_h_hip_kernelILi16ELb1ELb1ELb1ELb1ELb0ELb1ELb1ELb1EEEvPK12hip_bfloat16S3_S3_PKfS5_PKvPS1_S8_PvPKiSB_iiiiilll,"axG",@progbits,_ZN12_GLOBAL__N_139chunk_gated_delta_rule_fwd_h_hip_kernelILi16ELb1ELb1ELb1ELb1ELb0ELb1ELb1ELb1EEEvPK12hip_bfloat16S3_S3_PKfS5_PKvPS1_S8_PvPKiSB_iiiiilll,comdat
.Lfunc_end577:
	.size	_ZN12_GLOBAL__N_139chunk_gated_delta_rule_fwd_h_hip_kernelILi16ELb1ELb1ELb1ELb1ELb0ELb1ELb1ELb1EEEvPK12hip_bfloat16S3_S3_PKfS5_PKvPS1_S8_PvPKiSB_iiiiilll, .Lfunc_end577-_ZN12_GLOBAL__N_139chunk_gated_delta_rule_fwd_h_hip_kernelILi16ELb1ELb1ELb1ELb1ELb0ELb1ELb1ELb1EEEvPK12hip_bfloat16S3_S3_PKfS5_PKvPS1_S8_PvPKiSB_iiiiilll
                                        ; -- End function
	.section	.AMDGPU.csdata,"",@progbits
; Kernel info:
; codeLenInByte = 8320
; NumSgprs: 76
; NumVgprs: 118
; NumAgprs: 12
; TotalNumVgprs: 132
; ScratchSize: 0
; MemoryBound: 0
; FloatMode: 240
; IeeeMode: 1
; LDSByteSize: 40960 bytes/workgroup (compile time only)
; SGPRBlocks: 9
; VGPRBlocks: 16
; NumSGPRsForWavesPerEU: 76
; NumVGPRsForWavesPerEU: 132
; AccumOffset: 120
; Occupancy: 1
; WaveLimiterHint : 1
; COMPUTE_PGM_RSRC2:SCRATCH_EN: 0
; COMPUTE_PGM_RSRC2:USER_SGPR: 2
; COMPUTE_PGM_RSRC2:TRAP_HANDLER: 0
; COMPUTE_PGM_RSRC2:TGID_X_EN: 1
; COMPUTE_PGM_RSRC2:TGID_Y_EN: 1
; COMPUTE_PGM_RSRC2:TGID_Z_EN: 0
; COMPUTE_PGM_RSRC2:TIDIG_COMP_CNT: 0
; COMPUTE_PGM_RSRC3_GFX90A:ACCUM_OFFSET: 29
; COMPUTE_PGM_RSRC3_GFX90A:TG_SPLIT: 0
	.section	.text._ZN12_GLOBAL__N_139chunk_gated_delta_rule_fwd_h_hip_kernelILi16ELb1ELb1ELb0ELb1ELb0ELb1ELb1ELb1EEEvPK12hip_bfloat16S3_S3_PKfS5_PKvPS1_S8_PvPKiSB_iiiiilll,"axG",@progbits,_ZN12_GLOBAL__N_139chunk_gated_delta_rule_fwd_h_hip_kernelILi16ELb1ELb1ELb0ELb1ELb0ELb1ELb1ELb1EEEvPK12hip_bfloat16S3_S3_PKfS5_PKvPS1_S8_PvPKiSB_iiiiilll,comdat
	.globl	_ZN12_GLOBAL__N_139chunk_gated_delta_rule_fwd_h_hip_kernelILi16ELb1ELb1ELb0ELb1ELb0ELb1ELb1ELb1EEEvPK12hip_bfloat16S3_S3_PKfS5_PKvPS1_S8_PvPKiSB_iiiiilll ; -- Begin function _ZN12_GLOBAL__N_139chunk_gated_delta_rule_fwd_h_hip_kernelILi16ELb1ELb1ELb0ELb1ELb0ELb1ELb1ELb1EEEvPK12hip_bfloat16S3_S3_PKfS5_PKvPS1_S8_PvPKiSB_iiiiilll
	.p2align	8
	.type	_ZN12_GLOBAL__N_139chunk_gated_delta_rule_fwd_h_hip_kernelILi16ELb1ELb1ELb0ELb1ELb0ELb1ELb1ELb1EEEvPK12hip_bfloat16S3_S3_PKfS5_PKvPS1_S8_PvPKiSB_iiiiilll,@function
_ZN12_GLOBAL__N_139chunk_gated_delta_rule_fwd_h_hip_kernelILi16ELb1ELb1ELb0ELb1ELb0ELb1ELb1ELb1EEEvPK12hip_bfloat16S3_S3_PKfS5_PKvPS1_S8_PvPKiSB_iiiiilll: ; @_ZN12_GLOBAL__N_139chunk_gated_delta_rule_fwd_h_hip_kernelILi16ELb1ELb1ELb0ELb1ELb0ELb1ELb1ELb1EEEvPK12hip_bfloat16S3_S3_PKfS5_PKvPS1_S8_PvPKiSB_iiiiilll
; %bb.0:
	s_load_dwordx4 s[16:19], s[0:1], 0x5c
	s_load_dwordx4 s[24:27], s[0:1], 0x70
	s_abs_i32 s7, s3
	s_ashr_i32 s6, s3, 31
	s_load_dwordx4 s[12:15], s[0:1], 0x40
	s_load_dwordx2 s[4:5], s[0:1], 0x50
	s_waitcnt lgkmcnt(0)
	s_abs_i32 s10, s17
	v_cvt_f32_u32_e32 v1, s10
	s_sub_i32 s8, 0, s10
	s_ashr_i32 s11, s17, 31
	s_xor_b32 s6, s6, s11
	v_rcp_iflag_f32_e32 v1, v1
	v_and_b32_e32 v65, 15, v0
	v_bfe_u32 v64, v0, 4, 2
	v_mov_b32_e32 v49, 0
	v_mul_f32_e32 v1, 0x4f7ffffe, v1
	v_cvt_u32_f32_e32 v1, v1
	v_lshlrev_b32_e32 v66, 3, v0
	v_readfirstlane_b32 s9, v1
	s_mul_i32 s8, s8, s9
	s_mul_hi_u32 s8, s9, s8
	s_add_i32 s9, s9, s8
	s_mul_hi_u32 s8, s7, s9
	s_mul_i32 s9, s8, s10
	s_sub_i32 s7, s7, s9
	s_add_i32 s20, s8, 1
	s_sub_i32 s9, s7, s10
	s_cmp_ge_u32 s7, s10
	s_cselect_b32 s8, s20, s8
	s_cselect_b32 s7, s9, s7
	s_add_i32 s9, s8, 1
	s_cmp_ge_u32 s7, s10
	s_cselect_b32 s7, s9, s8
	s_xor_b32 s7, s7, s6
	s_sub_i32 s28, s7, s6
	s_mul_i32 s36, s28, s17
	s_ashr_i32 s29, s28, 31
	s_sub_i32 s33, s3, s36
	s_lshl_b64 s[6:7], s[28:29], 2
	s_add_u32 s8, s14, s6
	s_addc_u32 s9, s15, s7
	s_add_u32 s30, s4, s6
	s_addc_u32 s31, s5, s7
	s_abs_i32 s3, s18
	v_cvt_f32_u32_e32 v1, s3
	s_load_dwordx2 s[34:35], s[8:9], 0x0
	s_sub_i32 s5, 0, s3
	s_lshl_b32 s2, s2, 4
	v_rcp_iflag_f32_e32 v1, v1
	s_load_dwordx4 s[20:23], s[0:1], 0x20
	s_load_dwordx2 s[40:41], s[0:1], 0x30
	s_waitcnt lgkmcnt(0)
	s_sub_i32 s54, s35, s34
	s_ashr_i32 s4, s54, 31
	v_mul_f32_e32 v1, 0x4f7ffffe, v1
	v_cvt_u32_f32_e32 v1, v1
	s_lshr_b32 s4, s4, 26
	s_add_i32 s4, s54, s4
	s_ashr_i32 s53, s4, 6
	v_readfirstlane_b32 s6, v1
	s_mul_i32 s5, s5, s6
	s_mul_hi_u32 s5, s6, s5
	s_add_i32 s6, s6, s5
	s_mul_hi_u32 s5, s10, s6
	s_mul_i32 s6, s5, s3
	s_ashr_i32 s4, s18, 31
	s_sub_i32 s6, s10, s6
	s_xor_b32 s4, s11, s4
	s_add_i32 s7, s5, 1
	s_sub_i32 s8, s6, s3
	s_cmp_ge_u32 s6, s3
	s_cselect_b32 s5, s7, s5
	s_cselect_b32 s6, s8, s6
	s_add_i32 s7, s5, 1
	s_cmp_ge_u32 s6, s3
	s_cselect_b32 s3, s7, s5
	s_xor_b32 s3, s3, s4
	s_sub_i32 s3, s3, s4
	s_abs_i32 s4, s3
	v_cvt_f32_u32_e32 v1, s4
	s_sub_i32 s6, 0, s4
	s_abs_i32 s5, s33
	s_xor_b32 s3, s33, s3
	v_rcp_iflag_f32_e32 v2, v1
	s_ashr_i32 s3, s3, 31
	v_lshrrev_b32_e32 v1, 6, v0
	v_or_b32_e32 v58, s2, v65
	v_mul_f32_e32 v2, 0x4f7ffffe, v2
	v_cvt_u32_f32_e32 v2, v2
	v_lshlrev_b32_e32 v45, 4, v1
	v_lshlrev_b32_e32 v46, 7, v58
	v_lshl_or_b32 v68, v64, 2, v45
	v_readfirstlane_b32 s7, v2
	s_mul_i32 s6, s6, s7
	s_mul_hi_u32 s6, s7, s6
	s_add_i32 s7, s7, s6
	s_mul_hi_u32 s6, s5, s7
	s_mul_i32 s7, s6, s4
	s_sub_i32 s5, s5, s7
	s_add_i32 s7, s6, 1
	s_sub_i32 s8, s5, s4
	s_cmp_ge_u32 s5, s4
	s_cselect_b32 s6, s7, s6
	s_cselect_b32 s5, s8, s5
	s_add_i32 s7, s6, 1
	s_cmp_ge_u32 s5, s4
	s_cselect_b32 s4, s7, s6
	s_xor_b32 s4, s4, s3
	s_sub_i32 s55, s4, s3
	s_ashr_i32 s46, s33, 31
	s_mul_hi_i32 s3, s28, s17
	s_add_u32 s4, s36, s33
	s_addc_u32 s5, s3, s46
	s_lshl_b64 s[14:15], s[4:5], 15
	s_add_u32 s4, s22, s14
	s_addc_u32 s5, s23, s15
	v_ashrrev_i32_e32 v47, 31, v46
	v_lshl_add_u64 v[2:3], v[46:47], 1, s[4:5]
	v_lshlrev_b32_e32 v48, 1, v68
	v_lshl_add_u64 v[2:3], v[2:3], 0, v[48:49]
	global_load_dwordx2 v[4:5], v[2:3], off
	global_load_dwordx2 v[6:7], v[2:3], off offset:128
	s_load_dwordx8 s[4:11], s[0:1], 0x0
	s_load_dwordx2 s[22:23], s[0:1], 0x80
	s_load_dword s58, s[30:31], 0x0
	v_and_b32_e32 v49, 63, v0
	v_lshrrev_b32_e32 v67, 3, v49
	v_or_b32_e32 v69, 64, v68
	s_mul_i32 s47, s28, s25
	s_mul_hi_u32 s48, s28, s24
	s_mul_i32 s38, s28, s24
	s_mul_i32 s49, s29, s24
	s_mul_hi_i32 s56, s33, s16
	s_mul_i32 s57, s33, s16
	s_mul_i32 s50, s33, s27
	s_mul_hi_u32 s51, s33, s26
	s_mul_i32 s52, s46, s26
	s_cmp_lt_i32 s54, 64
	s_mul_i32 s36, s33, s26
	s_waitcnt vmcnt(1)
	v_and_b32_e32 v53, 0xffff0000, v4
	v_lshlrev_b32_e32 v52, 16, v4
	v_and_b32_e32 v57, 0xffff0000, v5
	v_lshlrev_b32_e32 v56, 16, v5
	s_waitcnt vmcnt(0)
	v_and_b32_e32 v51, 0xffff0000, v6
	v_lshlrev_b32_e32 v50, 16, v6
	v_and_b32_e32 v55, 0xffff0000, v7
	v_lshlrev_b32_e32 v54, 16, v7
	s_cbranch_scc1 .LBB578_18
; %bb.1:
	s_ashr_i32 s1, s34, 31
	s_add_u32 s0, s57, s34
	s_addc_u32 s1, s56, s1
	s_lshl_b64 s[0:1], s[0:1], 8
	v_and_b32_e32 v71, 56, v66
	s_waitcnt lgkmcnt(0)
	s_add_u32 s24, s6, s0
	v_lshl_or_b32 v70, v1, 3, v67
	v_lshlrev_b32_e32 v2, 1, v71
	s_addc_u32 s0, s7, s1
	v_lshl_or_b32 v72, v70, 8, v2
	s_and_b32 s25, s0, 0xffff
	s_mov_b32 s27, 0x20000
	s_movk_i32 s26, 0x4000
	s_movk_i32 s0, 0x80
	v_or_b32_e32 v73, 0x2000, v72
	buffer_load_dwordx4 v[4:7], v72, s[24:27], 0 offen
	buffer_load_dwordx4 v[8:11], v72, s[24:27], s0 offen
	buffer_load_dwordx4 v[12:15], v73, s[24:27], 0 offen
	buffer_load_dwordx4 v[16:19], v73, s[24:27], s0 offen
	v_lshlrev_b32_e32 v3, 3, v70
	v_and_or_b32 v21, v0, 7, v3
	v_and_b32_e32 v3, 0x78, v3
	v_lshlrev_b32_e32 v21, 4, v21
	v_xor_b32_e32 v74, v21, v3
	v_mul_lo_u32 v20, v70, s19
	v_or_b32_e32 v75, 0x1000, v74
	v_xor_b32_e32 v3, 8, v74
	s_cmpk_eq_i32 s19, 0x80
	s_mov_b32 s59, s34
	v_xor_b32_e32 v21, 8, v75
	s_cselect_b64 s[0:1], -1, 0
	s_cmpk_lg_i32 s19, 0x80
	s_waitcnt vmcnt(3)
	ds_write_b64 v74, v[4:5] offset:16384
	ds_write_b64 v3, v[6:7] offset:16384
	s_waitcnt vmcnt(2)
	ds_write_b64 v74, v[8:9] offset:24576
	ds_write_b64 v3, v[10:11] offset:24576
	;; [unrolled: 3-line block ×4, first 2 shown]
	v_lshl_add_u32 v3, v20, 1, v71
	s_cbranch_scc0 .LBB578_3
; %bb.2:
	v_lshlrev_b32_e32 v5, 1, v3
	v_add_lshl_u32 v4, v3, s19, 1
	s_lshl_b32 s26, s19, 7
	v_lshl_or_b32 v2, v70, 9, v2
	s_cbranch_execz .LBB578_4
	s_branch .LBB578_5
.LBB578_3:
                                        ; implicit-def: $vgpr4
                                        ; implicit-def: $vgpr5
                                        ; implicit-def: $sgpr26
	v_lshl_or_b32 v2, v70, 9, v2
.LBB578_4:
	v_or_b32_e32 v4, 0x100, v2
	s_movk_i32 s26, 0x4000
	v_mov_b32_e32 v5, v2
.LBB578_5:
	s_mul_i32 s24, s34, s18
	s_ashr_i32 s60, s55, 31
	s_mul_hi_i32 s3, s34, s18
	s_add_u32 s24, s24, s55
	s_addc_u32 s25, s3, s60
	s_lshl_b64 s[24:25], s[24:25], 8
	s_add_u32 s24, s4, s24
	s_addc_u32 s3, s5, s25
	s_and_b32 s25, s3, 0xffff
	s_movk_i32 s61, 0x80
	buffer_load_dwordx4 v[6:9], v5, s[24:27], 0 offen
	buffer_load_dwordx4 v[10:13], v5, s[24:27], s61 offen
	;; [unrolled: 1-line block ×4, first 2 shown]
	v_and_b32_e32 v4, 6, v0
	v_lshlrev_b32_e32 v22, 2, v65
	v_lshlrev_b32_e32 v23, 3, v65
	v_xor_b32_e32 v27, v70, v4
	v_and_b32_e32 v5, 1, v0
	v_lshl_or_b32 v23, v68, 5, v23
	v_xor_b32_e32 v28, v68, v22
	v_lshlrev_b32_e32 v27, 2, v27
	s_add_i32 s3, s48, s47
	v_or_b32_e32 v76, 0x9000, v23
	v_or_b32_e32 v77, 0x9800, v23
	v_lshlrev_b32_e32 v23, 1, v28
	v_xor_b32_e32 v28, 0x440, v27
	v_cmp_eq_u32_e32 vcc, 0, v5
	s_add_i32 s24, s51, s50
	s_add_i32 s39, s3, s49
	v_cndmask_b32_e32 v5, v28, v27, vcc
	s_add_i32 s37, s24, s52
	s_lshl_b64 s[24:25], s[38:39], 2
	s_mov_b32 s62, 0x1000504
	s_mov_b32 s63, 0x3020706
	v_lshlrev_b32_e32 v24, 8, v65
	s_mov_b32 s26, 0x8000
	v_xor_b32_e32 v22, v69, v22
	v_lshl_or_b32 v4, v4, 10, v5
	s_add_u32 s3, s10, s24
	v_or_b32_e32 v25, v45, v65
	v_lshlrev_b32_e32 v22, 1, v22
	v_or3_b32 v78, v23, v24, s26
	v_xor_b32_e32 v5, 8, v4
	v_xor_b32_e32 v23, 24, v4
	;; [unrolled: 1-line block ×4, first 2 shown]
	s_addc_u32 s28, s11, s25
	s_lshl_b64 s[24:25], s[36:37], 2
	v_or3_b32 v79, v22, v24, s26
	v_xor_b32_e32 v22, 16, v4
	v_xor_b32_e32 v24, 32, v4
	;; [unrolled: 1-line block ×3, first 2 shown]
	v_add_u32_e32 v5, 0x80, v5
	v_add_u32_e32 v23, 0x80, v23
	;; [unrolled: 1-line block ×4, first 2 shown]
	s_add_u32 s42, s3, s24
	s_movk_i32 s3, 0xf8
	s_addc_u32 s43, s28, s25
	v_ashrrev_i32_e32 v59, 31, v58
	s_lshl_b32 s30, s19, 7
	v_lshrrev_b32_e32 v26, 2, v49
	s_mov_b32 s64, 0
	v_mov_b32_e32 v99, 0x3fb8aa3b
	s_waitcnt vmcnt(1)
	v_perm_b32 v30, v6, v14, s62
	s_waitcnt vmcnt(0)
	v_perm_b32 v31, v10, v18, s62
	v_perm_b32 v6, v6, v14, s63
	;; [unrolled: 1-line block ×15, first 2 shown]
	ds_write2st64_b32 v4, v30, v31 offset1:32
	ds_write2st64_b32 v5, v6, v10 offset1:32
	ds_write2st64_b32 v22, v14, v18 offset0:1 offset1:33
	ds_write2st64_b32 v23, v7, v11 offset0:1 offset1:33
	ds_write2st64_b32 v24, v15, v19 offset0:2 offset1:34
	ds_write2st64_b32 v27, v8, v12 offset0:2 offset1:34
	ds_write2st64_b32 v28, v16, v20 offset0:3 offset1:35
	ds_write2st64_b32 v29, v9, v13 offset0:3 offset1:35
	v_lshlrev_b32_e32 v4, 3, v25
	v_lshrrev_b32_e32 v6, 5, v49
	v_and_or_b32 v6, v4, s3, v6
	v_lshlrev_b32_e32 v6, 4, v6
	v_lshlrev_b32_e32 v11, 11, v1
	v_and_b32_e32 v4, 0x78, v4
	v_or_b32_e32 v9, 32, v6
	v_and_b32_e32 v5, 0x1000, v11
	v_xor_b32_e32 v7, v6, v4
	v_lshrrev_b32_e32 v8, 1, v49
	v_xor_b32_e32 v9, v9, v4
	v_or_b32_e32 v7, v7, v5
	v_and_b32_e32 v8, 8, v8
	v_or_b32_e32 v9, v9, v5
	v_xor_b32_e32 v80, v7, v8
	v_and_b32_e32 v7, 0x78, v66
	v_xor_b32_e32 v82, v9, v8
	v_or_b32_e32 v9, 64, v6
	v_or_b32_e32 v6, 0x60, v6
	v_lshl_or_b32 v7, v64, 7, v7
	v_xor_b32_e32 v9, v9, v4
	v_xor_b32_e32 v4, v6, v4
	v_or_b32_e32 v81, 0x9000, v7
	v_or_b32_e32 v9, v9, v5
	;; [unrolled: 1-line block ×4, first 2 shown]
	v_lshrrev_b32_e32 v6, 4, v0
	v_lshlrev_b32_e32 v7, 1, v65
	v_xor_b32_e32 v83, v9, v8
	v_xor_b32_e32 v84, v4, v8
	s_ashr_i32 s3, s2, 31
	v_or_b32_e32 v8, 1, v7
	v_xor_b32_e32 v7, v6, v7
	s_lshl_b64 s[24:25], s[2:3], 8
	v_xor_b32_e32 v8, v8, v6
	v_lshlrev_b32_e32 v7, 3, v7
	v_lshlrev_b32_e32 v6, 8, v6
	v_lshl_add_u64 v[4:5], v[58:59], 1, s[8:9]
	s_add_u32 s24, s40, s24
	v_or3_b32 v59, v7, v6, s26
	v_lshlrev_b32_e32 v7, 3, v8
	s_addc_u32 s25, s41, s25
	v_or3_b32 v86, v7, v6, s26
	v_mov_b32_e32 v7, 0
	v_lshrrev_b32_e32 v17, 1, v0
	v_lshl_add_u64 v[8:9], s[24:25], 0, v[6:7]
	v_lshlrev_b32_e32 v6, 4, v65
	s_movk_i32 s3, 0xff
	v_lshlrev_b32_e32 v16, 3, v1
	v_and_b32_e32 v17, 24, v17
	v_lshl_add_u64 v[60:61], v[8:9], 0, v[6:7]
	v_and_b32_e32 v6, 7, v0
	v_and_b32_e32 v9, 8, v0
	v_cmp_lt_u32_e32 vcc, s3, v0
	v_xor_b32_e32 v18, v16, v17
	v_lshlrev_b32_e32 v14, 3, v6
	v_lshlrev_b32_e32 v15, 7, v6
	v_cndmask_b32_e64 v6, 0, 1, vcc
	v_or_b32_e32 v19, 0x440, v18
	v_cmp_eq_u32_e32 vcc, 0, v9
	v_or_b32_e32 v21, 64, v17
	v_xor_b32_e32 v21, v16, v21
	v_cndmask_b32_e32 v9, v19, v18, vcc
	v_or_b32_e32 v19, 32, v17
	v_or_b32_e32 v17, 0x60, v17
	v_xor_b32_e32 v19, v16, v19
	v_xor_b32_e32 v16, v16, v17
	v_or_b32_e32 v20, 0x440, v19
	v_xor_b32_e32 v22, 0x440, v21
	v_xor_b32_e32 v17, 0x440, v16
	v_cndmask_b32_e32 v19, v20, v19, vcc
	v_cndmask_b32_e32 v21, v22, v21, vcc
	;; [unrolled: 1-line block ×3, first 2 shown]
	v_or_b32_e32 v9, v9, v11
	v_or_b32_e32 v19, v19, v11
	;; [unrolled: 1-line block ×4, first 2 shown]
	v_and_b32_e32 v10, 12, v26
	v_lshlrev_b32_e32 v6, 13, v6
	v_xor_b32_e32 v9, v9, v14
	v_xor_b32_e32 v19, v19, v14
	;; [unrolled: 1-line block ×4, first 2 shown]
	v_lshlrev_b32_e32 v12, 1, v3
	v_add_lshl_u32 v3, v3, s19, 1
	v_or_b32_e32 v13, 0x100, v2
	v_or_b32_e32 v8, v10, v45
	v_add_u32_e32 v18, v6, v9
	v_add_u32_e32 v20, v6, v19
	;; [unrolled: 1-line block ×4, first 2 shown]
	v_or3_b32 v10, v45, v10, 64
	v_add_u32_e32 v9, 0x2000, v9
	v_add_u32_e32 v16, 0x2000, v19
	;; [unrolled: 1-line block ×4, first 2 shown]
	v_lshlrev_b32_e32 v6, 8, v68
	v_cndmask_b32_e64 v87, v12, v2, s[0:1]
	v_cndmask_b32_e64 v88, v3, v13, s[0:1]
	v_lshl_add_u64 v[62:63], v[4:5], 0, v[6:7]
	s_mov_b32 s3, 0x7060302
	s_movk_i32 s26, 0x4000
	v_lshlrev_b32_e32 v89, 2, v8
	v_add_u32_e32 v90, v18, v15
	v_add_u32_e32 v91, v20, v15
	;; [unrolled: 1-line block ×4, first 2 shown]
	v_lshlrev_b32_e32 v94, 2, v10
	v_add_u32_e32 v95, v9, v15
	v_add_u32_e32 v96, v16, v15
	;; [unrolled: 1-line block ×4, first 2 shown]
	s_waitcnt lgkmcnt(0)
	s_barrier
.LBB578_6:                              ; =>This Inner Loop Header: Depth=1
	s_add_i32 s37, s64, 1
	s_cmp_lt_i32 s37, s53
	s_mov_b64 s[28:29], 0
	s_cselect_b64 s[44:45], -1, 0
	s_cmp_ge_i32 s37, s53
	s_mov_b64 s[24:25], 0
	s_cbranch_scc1 .LBB578_8
; %bb.7:                                ;   in Loop: Header=BB578_6 Depth=1
	s_add_i32 s0, s59, 64
	s_ashr_i32 s1, s0, 31
	s_add_u32 s0, s57, s0
	s_addc_u32 s1, s56, s1
	s_lshl_b64 s[0:1], s[0:1], 8
	s_add_u32 s24, s6, s0
	s_addc_u32 s25, s7, s1
.LBB578_8:                              ;   in Loop: Header=BB578_6 Depth=1
	v_cndmask_b32_e64 v2, 0, 1, s[44:45]
	v_cmp_ne_u32_e64 s[0:1], 1, v2
	s_andn2_b64 vcc, exec, s[44:45]
	s_cbranch_vccnz .LBB578_10
; %bb.9:                                ;   in Loop: Header=BB578_6 Depth=1
	s_add_i32 s28, s59, 64
	s_mul_hi_i32 s29, s28, s18
	s_mul_i32 s28, s28, s18
	s_add_u32 s28, s28, s55
	s_addc_u32 s29, s29, s60
	s_lshl_b64 s[28:29], s[28:29], 8
	s_add_u32 s28, s4, s28
	s_addc_u32 s29, s5, s29
.LBB578_10:                             ;   in Loop: Header=BB578_6 Depth=1
	v_perm_b32 v3, v57, v56, s3
	v_perm_b32 v2, v53, v52, s3
	;; [unrolled: 1-line block ×4, first 2 shown]
	ds_write_b64 v76, v[2:3]
	ds_write_b64 v77, v[4:5]
	;; [unrolled: 1-line block ×4, first 2 shown]
	s_waitcnt lgkmcnt(0)
	s_barrier
	ds_read_b64 v[10:11], v80 offset:16384
	ds_read_b64 v[12:13], v82 offset:16384
	ds_read2st64_b64 v[2:5], v81 offset1:1
	s_waitcnt lgkmcnt(0)
	v_mfma_f32_16x16x16_bf16 a[0:3], v[10:11], v[2:3], 0
	ds_read2st64_b64 v[6:9], v81 offset0:2 offset1:3
	ds_read_b64 v[14:15], v83 offset:16384
	ds_read_b64 v[2:3], v84 offset:16384
	s_add_i32 s39, s59, 63
	v_mfma_f32_16x16x16_bf16 a[0:3], v[12:13], v[4:5], a[0:3]
	s_ashr_i32 s31, s39, 31
	s_mul_i32 s44, s39, s23
	s_mul_hi_u32 s45, s39, s22
	s_waitcnt lgkmcnt(1)
	v_mfma_f32_16x16x16_bf16 a[0:3], v[14:15], v[6:7], a[0:3]
	s_add_i32 s44, s45, s44
	s_mul_i32 s31, s31, s22
	s_add_i32 s45, s44, s31
	s_mul_i32 s44, s39, s22
	s_waitcnt lgkmcnt(0)
	v_mfma_f32_16x16x16_bf16 a[0:3], v[2:3], v[8:9], a[0:3]
	s_lshl_b64 s[44:45], s[44:45], 2
	s_add_u32 s44, s42, s44
	s_addc_u32 s45, s43, s45
	s_and_b64 vcc, exec, s[0:1]
	v_mov_b32_e32 v102, 0
	v_mov_b32_e32 v101, 0
	;; [unrolled: 1-line block ×19, first 2 shown]
	s_cbranch_vccnz .LBB578_12
; %bb.11:                               ;   in Loop: Header=BB578_6 Depth=1
	s_and_b32 s25, s25, 0xffff
	buffer_load_dwordx4 v[14:17], v72, s[24:27], 0 offen
	buffer_load_dwordx4 v[10:13], v72, s[24:27], s61 offen
	;; [unrolled: 1-line block ×4, first 2 shown]
	v_mov_b32_e32 v101, v74
	v_mov_b32_e32 v100, v75
.LBB578_12:                             ;   in Loop: Header=BB578_6 Depth=1
	v_add_u32_e32 v22, s59, v68
	v_ashrrev_i32_e32 v18, 31, v22
	v_mul_lo_u32 v20, v18, s22
	v_mul_lo_u32 v21, v22, s23
	v_mad_u64_u32 v[18:19], s[24:25], v22, s22, 0
	v_add3_u32 v19, v19, v21, v20
	v_lshl_add_u64 v[18:19], v[18:19], 2, s[42:43]
	global_load_dword v38, v[18:19], off
	v_add_u32_e32 v18, 1, v22
	v_ashrrev_i32_e32 v19, 31, v18
	v_mul_lo_u32 v20, v19, s22
	v_mul_lo_u32 v21, v18, s23
	v_mad_u64_u32 v[18:19], s[24:25], v18, s22, 0
	v_add3_u32 v19, v19, v21, v20
	v_add_u32_e32 v20, 2, v22
	v_ashrrev_i32_e32 v21, 31, v20
	v_mul_lo_u32 v23, v21, s22
	v_mul_lo_u32 v24, v20, s23
	v_mad_u64_u32 v[20:21], s[24:25], v20, s22, 0
	v_add_u32_e32 v22, 3, v22
	v_add3_u32 v21, v21, v24, v23
	v_ashrrev_i32_e32 v23, 31, v22
	v_mul_lo_u32 v26, v23, s22
	v_mul_lo_u32 v27, v22, s23
	v_mad_u64_u32 v[22:23], s[24:25], v22, s22, 0
	s_ashr_i32 s25, s59, 31
	s_add_u32 s24, s57, s59
	s_addc_u32 s25, s56, s25
	s_lshl_b64 s[24:25], s[24:25], 8
	v_lshl_add_u64 v[18:19], v[18:19], 2, s[42:43]
	v_lshl_add_u64 v[24:25], v[62:63], 0, s[24:25]
	v_add3_u32 v23, v23, v27, v26
	v_lshl_add_u64 v[20:21], v[20:21], 2, s[42:43]
	global_load_ushort v39, v[24:25], off
	global_load_ushort v40, v[24:25], off offset:256
	global_load_ushort v41, v[24:25], off offset:512
	;; [unrolled: 1-line block ×3, first 2 shown]
	v_lshl_add_u64 v[22:23], v[22:23], 2, s[42:43]
	global_load_dword v43, v[18:19], off
	global_load_dword v44, v[20:21], off
	;; [unrolled: 1-line block ×3, first 2 shown]
	s_load_dword s24, s[44:45], 0x0
	ds_read_b64 v[26:27], v80 offset:24576
	ds_read2st64_b64 v[22:25], v85 offset1:1
	ds_read2st64_b64 v[28:31], v85 offset0:2 offset1:3
	ds_read_b64 v[32:33], v82 offset:24576
	ds_read_b64 v[34:35], v83 offset:24576
	;; [unrolled: 1-line block ×3, first 2 shown]
	s_waitcnt lgkmcnt(0)
	v_mfma_f32_16x16x16_bf16 a[0:3], v[26:27], v[22:23], a[0:3]
	v_mov_b32_e32 v103, 0
	v_mov_b32_e32 v18, 0
	v_mov_b32_e32 v19, 0
	v_mfma_f32_16x16x16_bf16 a[0:3], v[32:33], v[24:25], a[0:3]
	v_mov_b32_e32 v20, 0
	v_mov_b32_e32 v21, 0
	v_mov_b32_e32 v22, 0
	;; [unrolled: 4-line block ×4, first 2 shown]
	s_and_b64 vcc, exec, s[0:1]
	s_waitcnt vmcnt(7)
	v_sub_f32_e32 v29, s24, v38
	v_mul_f32_e32 v29, 0x3fb8aa3b, v29
	v_exp_f32_e32 v38, v29
	v_accvgpr_read_b32 v33, a1
	v_accvgpr_read_b32 v31, a3
	;; [unrolled: 1-line block ×4, first 2 shown]
	s_waitcnt vmcnt(6)
	v_lshlrev_b32_e32 v34, 16, v39
	s_waitcnt vmcnt(5)
	v_lshlrev_b32_e32 v35, 16, v40
	;; [unrolled: 2-line block ×3, first 2 shown]
	s_waitcnt vmcnt(2)
	v_sub_f32_e32 v39, s24, v43
	s_waitcnt vmcnt(1)
	v_sub_f32_e32 v40, s24, v44
	;; [unrolled: 2-line block ×3, first 2 shown]
	v_mul_f32_e32 v29, 0x3fb8aa3b, v39
	v_mul_f32_e32 v40, 0x3fb8aa3b, v40
	;; [unrolled: 1-line block ×3, first 2 shown]
	v_exp_f32_e32 v39, v29
	v_exp_f32_e32 v40, v40
	v_exp_f32_e32 v41, v41
	v_lshlrev_b32_e32 v37, 16, v42
	v_pk_add_f32 v[32:33], v[34:35], v[32:33] neg_lo:[0,1] neg_hi:[0,1]
	v_pk_add_f32 v[30:31], v[36:37], v[30:31] neg_lo:[0,1] neg_hi:[0,1]
	v_pk_mul_f32 v[32:33], v[38:39], v[32:33]
	v_pk_mul_f32 v[30:31], v[40:41], v[30:31]
	v_mov_b32_e32 v29, 0
	v_perm_b32 v31, v31, v30, s3
	v_perm_b32 v30, v33, v32, s3
	ds_write_b64 v77, v[30:31]
	v_mov_b32_e32 v30, 0
	v_mov_b32_e32 v31, 0
	;; [unrolled: 1-line block ×4, first 2 shown]
	s_cbranch_vccnz .LBB578_14
; %bb.13:                               ;   in Loop: Header=BB578_6 Depth=1
	s_and_b32 s29, s29, 0xffff
	s_mov_b32 s31, s27
	buffer_load_dwordx4 v[30:33], v87, s[28:31], 0 offen
	buffer_load_dwordx4 v[22:25], v87, s[28:31], s61 offen
	;; [unrolled: 1-line block ×4, first 2 shown]
	v_mov_b32_e32 v102, v71
	v_mov_b32_e32 v103, v70
.LBB578_14:                             ;   in Loop: Header=BB578_6 Depth=1
	s_waitcnt lgkmcnt(0)
	s_barrier
	ds_read_b64 v[34:35], v90
	ds_read_b64 v[40:41], v91
	ds_read2st64_b64 v[36:39], v85 offset1:1
	ds_read2st64_b64 v[104:107], v85 offset0:2 offset1:3
	ds_read_b64 v[42:43], v92
	ds_read_b64 v[112:113], v93
	s_add_i32 s25, s58, s64
	s_mul_hi_i32 s29, s25, s17
	s_mul_i32 s25, s25, s17
	s_waitcnt lgkmcnt(3)
	v_mfma_f32_16x16x16_bf16 a[0:3], v[34:35], v[36:37], 0
	ds_read_b64 v[34:35], v95
	s_add_u32 s28, s25, s33
	s_addc_u32 s29, s29, s46
	v_mfma_f32_16x16x16_bf16 a[0:3], v[40:41], v[38:39], a[0:3]
	ds_read_b64 v[40:41], v96
	s_lshl_b64 s[28:29], s[28:29], 15
	s_mul_i32 s31, s39, s17
	s_mul_hi_i32 s25, s39, s17
	s_add_u32 s44, s31, s33
	s_addc_u32 s45, s25, s46
	s_lshl_b64 s[44:45], s[44:45], 9
	s_add_u32 s44, s20, s44
	s_waitcnt lgkmcnt(1)
	v_mfma_f32_16x16x16_bf16 a[4:7], v[34:35], v[36:37], 0
	s_addc_u32 s45, s21, s45
	s_and_b64 vcc, exec, s[0:1]
	v_mfma_f32_16x16x16_bf16 a[0:3], v[42:43], v[104:105], a[0:3]
	ds_read_b64 v[42:43], v97
	ds_read_b64 v[114:115], v98
	global_load_dwordx4 v[34:37], v94, s[44:45]
	s_waitcnt lgkmcnt(2)
	v_mfma_f32_16x16x16_bf16 a[4:7], v[40:41], v[38:39], a[4:7]
	global_load_dwordx4 v[38:41], v89, s[44:45]
	ds_read_b64 v[108:109], v59
	ds_read_b64 v[110:111], v86
	s_waitcnt lgkmcnt(3)
	v_mfma_f32_16x16x16_bf16 a[8:11], v[42:43], v[104:105], a[4:7]
	v_lshl_add_u64 v[42:43], v[60:61], 0, s[28:29]
	s_waitcnt lgkmcnt(0)
	global_store_dwordx4 v[42:43], v[108:111], off
	v_mfma_f32_16x16x16_bf16 a[4:7], v[112:113], v[106:107], a[0:3]
	s_waitcnt vmcnt(2)
	v_mov_b32_e32 v44, v37
	v_mfma_f32_16x16x16_bf16 a[0:3], v[114:115], v[106:107], a[8:11]
	v_mov_b32_e32 v43, v36
	v_mov_b32_e32 v42, v35
	s_cbranch_vccnz .LBB578_16
; %bb.15:                               ;   in Loop: Header=BB578_6 Depth=1
	v_lshrrev_b32_e32 v35, 3, v102
	v_and_b32_e32 v35, 6, v35
	v_xor_b32_e32 v36, v35, v103
	v_lshlrev_b32_e32 v36, 2, v36
	v_and_b32_e32 v37, 8, v102
	v_xor_b32_e32 v102, 0x440, v36
	v_cmp_eq_u32_e32 vcc, 0, v37
	v_perm_b32 v37, v22, v18, s62
	s_nop 0
	v_cndmask_b32_e32 v36, v102, v36, vcc
	v_lshl_or_b32 v35, v35, 10, v36
	v_perm_b32 v36, v30, v26, s62
	s_barrier
	ds_write2st64_b32 v35, v36, v37 offset1:32
	v_xor_b32_e32 v36, 8, v35
	v_perm_b32 v26, v30, v26, s63
	v_perm_b32 v18, v22, v18, s63
	v_add_u32_e32 v22, 0x80, v36
	ds_write2st64_b32 v22, v26, v18 offset1:32
	v_xor_b32_e32 v18, 16, v35
	v_perm_b32 v22, v31, v27, s62
	v_perm_b32 v26, v23, v19, s62
	ds_write2st64_b32 v18, v22, v26 offset0:1 offset1:33
	v_xor_b32_e32 v18, 24, v35
	v_perm_b32 v22, v31, v27, s63
	v_perm_b32 v19, v23, v19, s63
	v_add_u32_e32 v18, 0x80, v18
	ds_write2st64_b32 v18, v22, v19 offset0:1 offset1:33
	v_xor_b32_e32 v18, 32, v35
	v_perm_b32 v19, v32, v28, s62
	v_perm_b32 v22, v24, v20, s62
	ds_write2st64_b32 v18, v19, v22 offset0:2 offset1:34
	v_xor_b32_e32 v18, 40, v35
	v_perm_b32 v19, v32, v28, s63
	v_perm_b32 v20, v24, v20, s63
	v_add_u32_e32 v18, 0x80, v18
	ds_write2st64_b32 v18, v19, v20 offset0:2 offset1:34
	;; [unrolled: 9-line block ×3, first 2 shown]
	ds_write_b64 v101, v[14:15] offset:16384
	v_xor_b32_e32 v14, 8, v101
	ds_write_b64 v14, v[16:17] offset:16384
	ds_write_b64 v101, v[10:11] offset:24576
	;; [unrolled: 1-line block ×4, first 2 shown]
	v_xor_b32_e32 v6, 8, v100
	ds_write_b64 v6, v[8:9] offset:16384
	ds_write_b64 v100, v[2:3] offset:24576
	;; [unrolled: 1-line block ×3, first 2 shown]
.LBB578_16:                             ;   in Loop: Header=BB578_6 Depth=1
	v_mul_f32_e32 v6, s24, v99
	v_exp_f32_e32 v10, v6
	s_waitcnt vmcnt(1)
	v_mul_f32_e32 v6, 0x3fb8aa3b, v38
	v_exp_f32_e32 v12, v6
	v_mul_f32_e32 v6, 0x3fb8aa3b, v39
	v_exp_f32_e32 v13, v6
	;; [unrolled: 2-line block ×4, first 2 shown]
	v_accvgpr_read_b32 v2, a4
	v_accvgpr_read_b32 v3, a5
	v_pk_mul_f32 v[12:13], v[10:11], v[12:13] op_sel_hi:[0,1]
	v_pk_fma_f32 v[52:53], v[52:53], v[12:13], v[2:3]
	v_pk_mul_f32 v[2:3], v[10:11], v[14:15] op_sel_hi:[0,1]
	v_mul_f32_e32 v11, 0x3fb8aa3b, v34
	v_exp_f32_e32 v12, v11
	v_mul_f32_e32 v11, 0x3fb8aa3b, v42
	v_exp_f32_e32 v13, v11
	;; [unrolled: 2-line block ×4, first 2 shown]
	v_accvgpr_read_b32 v4, a6
	v_accvgpr_read_b32 v5, a7
	;; [unrolled: 1-line block ×5, first 2 shown]
	v_pk_fma_f32 v[56:57], v[56:57], v[2:3], v[4:5]
	v_pk_mul_f32 v[2:3], v[10:11], v[12:13] op_sel_hi:[0,1]
	v_accvgpr_read_b32 v8, a2
	v_pk_fma_f32 v[50:51], v[50:51], v[2:3], v[6:7]
	v_pk_mul_f32 v[2:3], v[10:11], v[14:15] op_sel_hi:[0,1]
	s_add_i32 s59, s59, 64
	s_cmp_eq_u32 s53, s37
	v_pk_fma_f32 v[54:55], v[54:55], v[2:3], v[8:9]
	s_cbranch_scc1 .LBB578_18
; %bb.17:                               ;   in Loop: Header=BB578_6 Depth=1
	s_mov_b32 s64, s37
	s_branch .LBB578_6
.LBB578_18:
	s_lshl_b32 s0, s53, 6
	s_sub_i32 s44, s54, s0
	s_cmp_gt_i32 s44, 0
	s_cbranch_scc0 .LBB578_75
; %bb.19:
	s_add_i32 s34, s0, s34
	s_ashr_i32 s3, s34, 31
	s_cmpk_lg_i32 s19, 0x80
	s_cselect_b64 s[30:31], -1, 0
	s_and_b64 vcc, exec, s[30:31]
	s_cbranch_vccz .LBB578_21
; %bb.20:
	s_mul_hi_i32 s0, s34, s18
	s_mul_i32 s1, s34, s18
	s_ashr_i32 s18, s55, 31
	s_add_u32 s42, s1, s55
	s_addc_u32 s43, s0, s18
	s_cbranch_execz .LBB578_22
	s_branch .LBB578_23
.LBB578_21:
                                        ; implicit-def: $sgpr42_sgpr43
.LBB578_22:
	s_mul_i32 s1, s55, s16
	s_mul_hi_i32 s0, s55, s16
	s_add_u32 s42, s1, s34
	s_addc_u32 s43, s0, s3
.LBB578_23:
	s_waitcnt lgkmcnt(0)
	s_add_i32 s16, s53, s58
	s_add_u32 s0, s57, s34
	s_addc_u32 s1, s56, s3
	s_mov_b32 s3, 0x7060302
	v_lshlrev_b32_e32 v6, 3, v65
	s_lshl_b64 s[28:29], s[0:1], 8
	v_perm_b32 v3, v57, v56, s3
	v_perm_b32 v2, v53, v52, s3
	;; [unrolled: 1-line block ×4, first 2 shown]
	v_lshlrev_b32_e32 v34, 2, v65
	v_lshl_or_b32 v6, v68, 5, v6
	s_add_u32 s0, s6, s28
	ds_write2st64_b64 v6, v[2:3], v[4:5] offset0:72 offset1:76
	v_xor_b32_e32 v6, v68, v34
	v_lshlrev_b32_e32 v7, 8, v65
	s_addc_u32 s1, s7, s29
	v_lshl_or_b32 v6, v6, 1, v7
	s_mul_hi_i32 s3, s16, s17
	s_mul_i32 s16, s16, s17
	ds_write_b64 v6, v[2:3] offset:32768
	v_xor_b32_e32 v2, v69, v34
	s_add_u32 s6, s16, s33
	v_lshl_or_b32 v2, v2, 1, v7
	s_addc_u32 s7, s3, s46
	v_lshlrev_b32_e32 v3, 1, v65
	ds_write_b64 v2, v[4:5] offset:32768
	v_lshrrev_b32_e32 v2, 4, v0
	s_ashr_i32 s3, s2, 31
	s_lshl_b64 s[6:7], s[6:7], 15
	v_or_b32_e32 v4, 1, v3
	s_add_u32 s6, s40, s6
	v_xor_b32_e32 v3, v2, v3
	v_xor_b32_e32 v4, v4, v2
	v_lshlrev_b32_e32 v6, 8, v2
	s_addc_u32 s7, s41, s7
	s_lshl_b64 s[2:3], s[2:3], 8
	v_lshl_or_b32 v2, v3, 3, v6
	v_lshl_or_b32 v4, v4, 3, v6
	s_waitcnt lgkmcnt(0)
	s_barrier
	s_add_u32 s2, s6, s2
	ds_read_b64 v[2:3], v2 offset:32768
	ds_read_b64 v[4:5], v4 offset:32768
	s_addc_u32 s3, s7, s3
	v_mov_b32_e32 v7, 0
	s_cmp_lg_u32 s44, 64
	v_lshl_add_u64 v[8:9], s[2:3], 0, v[6:7]
	v_lshlrev_b32_e32 v6, 4, v65
	s_cselect_b64 s[6:7], -1, 0
	v_lshl_or_b32 v36, v1, 3, v67
	s_mov_b32 s24, 0
	v_lshl_add_u64 v[6:7], v[8:9], 0, v[6:7]
	v_or_b32_e32 v19, 32, v36
	v_and_b32_e32 v18, 56, v66
	s_and_b64 vcc, exec, s[6:7]
	s_waitcnt lgkmcnt(0)
	global_store_dwordx4 v[6:7], v[2:5], off
	s_cbranch_vccz .LBB578_29
; %bb.24:
	s_mov_b32 s25, s24
	s_mov_b32 s26, s24
	;; [unrolled: 1-line block ×3, first 2 shown]
	v_mov_b64_e32 v[6:7], s[24:25]
	v_mov_b64_e32 v[8:9], s[26:27]
	;; [unrolled: 1-line block ×3, first 2 shown]
	v_cmp_gt_i32_e32 vcc, s44, v36
	v_mov_b64_e32 v[4:5], v[8:9]
	s_and_saveexec_b64 s[2:3], vcc
	s_cbranch_execz .LBB578_26
; %bb.25:
	v_lshlrev_b32_e32 v2, 8, v36
	v_mov_b32_e32 v3, 0
	v_lshl_add_u64 v[4:5], s[0:1], 0, v[2:3]
	v_lshlrev_b32_e32 v2, 1, v18
	v_lshl_add_u64 v[10:11], v[4:5], 0, v[2:3]
	global_load_dwordx4 v[6:9], v[10:11], off
	global_load_dwordx4 v[2:5], v[10:11], off offset:128
.LBB578_26:
	s_or_b64 exec, exec, s[2:3]
	s_mov_b32 s25, s24
	s_mov_b32 s26, s24
	;; [unrolled: 1-line block ×3, first 2 shown]
	v_mov_b64_e32 v[14:15], s[24:25]
	v_mov_b64_e32 v[16:17], s[26:27]
	;; [unrolled: 1-line block ×3, first 2 shown]
	v_cmp_gt_i32_e32 vcc, s44, v19
	v_lshlrev_b32_e32 v20, 7, v19
	v_mov_b64_e32 v[12:13], v[16:17]
	s_and_saveexec_b64 s[2:3], vcc
	s_cbranch_execz .LBB578_28
; %bb.27:
	v_lshlrev_b32_e32 v10, 1, v20
	v_mov_b32_e32 v11, 0
	v_lshl_add_u64 v[12:13], s[0:1], 0, v[10:11]
	v_lshlrev_b32_e32 v10, 1, v18
	v_lshl_add_u64 v[22:23], v[12:13], 0, v[10:11]
	global_load_dwordx4 v[14:17], v[22:23], off
	global_load_dwordx4 v[10:13], v[22:23], off offset:128
.LBB578_28:
	s_or_b64 exec, exec, s[2:3]
	v_lshrrev_b32_e32 v21, 3, v18
	v_lshlrev_b32_e32 v22, 3, v36
	v_or_b32_e32 v21, v22, v21
	v_lshlrev_b32_e32 v21, 4, v21
	v_and_b32_e32 v22, 0x78, v22
	v_xor_b32_e32 v21, v21, v22
	s_branch .LBB578_31
.LBB578_29:
                                        ; implicit-def: $vgpr21
                                        ; implicit-def: $vgpr20
                                        ; implicit-def: $vgpr6_vgpr7_vgpr8_vgpr9
                                        ; implicit-def: $vgpr2_vgpr3_vgpr4_vgpr5
                                        ; implicit-def: $vgpr14_vgpr15_vgpr16_vgpr17
                                        ; implicit-def: $vgpr10_vgpr11_vgpr12_vgpr13
	s_cbranch_execz .LBB578_31
; %bb.30:
	s_waitcnt vmcnt(0)
	v_lshlrev_b32_e32 v2, 1, v18
	v_lshl_or_b32 v20, v36, 8, v2
	s_and_b32 s1, s1, 0xffff
	s_mov_b32 s3, 0x20000
	s_movk_i32 s2, 0x4000
	v_lshl_or_b32 v21, v19, 8, v2
	s_movk_i32 s16, 0x80
	buffer_load_dwordx4 v[6:9], v20, s[0:3], 0 offen
	buffer_load_dwordx4 v[2:5], v20, s[0:3], s16 offen
	;; [unrolled: 1-line block ×4, first 2 shown]
	v_lshrrev_b32_e32 v20, 3, v18
	v_lshlrev_b32_e32 v21, 3, v36
	v_or_b32_e32 v20, v21, v20
	v_lshlrev_b32_e32 v20, 4, v20
	v_and_b32_e32 v21, 0x78, v21
	v_xor_b32_e32 v21, v20, v21
	v_lshlrev_b32_e32 v20, 7, v19
.LBB578_31:
	s_lshl_b64 s[0:1], s[42:43], 8
	s_add_u32 s4, s4, s0
	s_movk_i32 s0, 0x1000
	v_and_or_b32 v19, v20, s0, v21
	s_waitcnt vmcnt(1)
	ds_write_b64 v21, v[6:7] offset:16384
	v_xor_b32_e32 v6, 8, v21
	ds_write_b64 v6, v[8:9] offset:16384
	s_waitcnt vmcnt(0)
	ds_write_b64 v21, v[2:3] offset:24576
	ds_write_b64 v6, v[4:5] offset:24576
	;; [unrolled: 1-line block ×3, first 2 shown]
	v_xor_b32_e32 v2, 8, v19
	ds_write_b64 v2, v[16:17] offset:16384
	ds_write_b64 v19, v[10:11] offset:24576
	;; [unrolled: 1-line block ×3, first 2 shown]
	v_or_b32_e32 v2, v45, v65
	v_lshlrev_b32_e32 v2, 3, v2
	v_lshrrev_b32_e32 v4, 5, v49
	s_movk_i32 s16, 0xf8
	v_and_or_b32 v4, v2, s16, v4
	v_lshlrev_b32_e32 v35, 11, v1
	v_lshlrev_b32_e32 v12, 4, v4
	v_and_b32_e32 v13, 0x78, v2
	v_and_b32_e32 v14, 0x1000, v35
	v_lshlrev_b32_e32 v3, 2, v0
	v_xor_b32_e32 v2, v12, v13
	v_lshrrev_b32_e32 v4, 1, v49
	v_and_b32_e32 v3, 60, v3
	v_or_b32_e32 v2, v2, v14
	v_and_b32_e32 v15, 8, v4
	v_xor_b32_e32 v26, v2, v15
	v_lshl_or_b32 v2, v64, 6, v3
	v_lshlrev_b32_e32 v37, 1, v2
	v_or_b32_e32 v2, 32, v12
	v_xor_b32_e32 v2, v2, v13
	s_waitcnt lgkmcnt(0)
	s_barrier
	ds_read_b64 v[10:11], v26 offset:16384
	v_or_b32_e32 v2, v2, v14
	v_xor_b32_e32 v27, v2, v15
	v_or_b32_e32 v2, 64, v12
	v_xor_b32_e32 v2, v2, v13
	v_or_b32_e32 v2, v2, v14
	v_or_b32_e32 v12, 0x60, v12
	v_xor_b32_e32 v28, v2, v15
	ds_read2st64_b64 v[2:5], v37 offset0:72 offset1:73
	ds_read2st64_b64 v[6:9], v37 offset0:74 offset1:75
	v_xor_b32_e32 v16, v12, v13
	ds_read_b64 v[12:13], v27 offset:16384
	s_addc_u32 s5, s5, s1
	s_add_i32 s0, s48, s47
	s_waitcnt lgkmcnt(2)
	v_mfma_f32_16x16x16_bf16 a[0:3], v[10:11], v[2:3], 0
	s_add_i32 s18, s35, -1
	s_add_i32 s39, s0, s49
	s_add_i32 s0, s51, s50
	;; [unrolled: 1-line block ×3, first 2 shown]
	s_ashr_i32 s0, s18, 31
	s_mul_i32 s1, s18, s23
	s_mul_hi_u32 s2, s18, s22
	s_add_i32 s1, s2, s1
	s_mul_i32 s0, s0, s22
	v_or_b32_e32 v14, v16, v14
	s_add_i32 s1, s1, s0
	s_lshl_b64 s[2:3], s[38:39], 2
	v_xor_b32_e32 v38, v14, v15
	ds_read_b64 v[14:15], v28 offset:16384
	ds_read_b64 v[16:17], v38 offset:16384
	s_waitcnt lgkmcnt(2)
	v_mfma_f32_16x16x16_bf16 a[0:3], v[12:13], v[4:5], a[0:3]
	s_add_u32 s10, s10, s2
	s_addc_u32 s11, s11, s3
	s_lshl_b64 s[2:3], s[36:37], 2
	s_mul_i32 s0, s18, s22
	s_add_u32 s10, s10, s2
	s_addc_u32 s11, s11, s3
	s_lshl_b64 s[0:1], s[0:1], 2
	s_waitcnt lgkmcnt(1)
	v_mfma_f32_16x16x16_bf16 a[0:3], v[14:15], v[6:7], a[0:3]
	s_add_u32 s0, s10, s0
	s_addc_u32 s1, s11, s1
	s_load_dword s16, s[0:1], 0x0
	s_waitcnt lgkmcnt(0)
	v_mfma_f32_16x16x16_bf16 a[0:3], v[16:17], v[8:9], a[0:3]
	s_and_b64 vcc, exec, s[30:31]
	s_cbranch_vccz .LBB578_42
; %bb.32:
	v_lshlrev_b32_e32 v19, 1, v36
	s_and_b64 vcc, exec, s[6:7]
	s_cbranch_vccz .LBB578_43
; %bb.33:
	v_cmp_gt_i32_e32 vcc, s44, v19
	v_mov_b32_e32 v6, 0
	v_mov_b32_e32 v2, 0
	;; [unrolled: 1-line block ×5, first 2 shown]
	s_and_saveexec_b64 s[0:1], vcc
	s_cbranch_execz .LBB578_35
; %bb.34:
	v_mad_i64_i32 v[2:3], s[2:3], s19, v19, 0
	v_lshl_add_u64 v[2:3], v[2:3], 1, s[4:5]
	v_lshlrev_b32_e32 v4, 1, v18
	v_mov_b32_e32 v5, 0
	v_lshl_add_u64 v[2:3], v[2:3], 0, v[4:5]
	global_load_dwordx4 v[2:5], v[2:3], off
.LBB578_35:
	s_or_b64 exec, exec, s[0:1]
	v_or_b32_e32 v20, 1, v19
	v_cmp_gt_i32_e64 s[0:1], s44, v20
	v_mov_b32_e32 v7, 0
	v_mov_b32_e32 v8, 0
	;; [unrolled: 1-line block ×3, first 2 shown]
	s_and_saveexec_b64 s[2:3], s[0:1]
	s_cbranch_execz .LBB578_37
; %bb.36:
	v_mad_i64_i32 v[6:7], s[24:25], s19, v20, 0
	v_lshl_add_u64 v[6:7], v[6:7], 1, s[4:5]
	v_lshlrev_b32_e32 v8, 1, v18
	v_mov_b32_e32 v9, 0
	v_lshl_add_u64 v[6:7], v[6:7], 0, v[8:9]
	global_load_dwordx4 v[6:9], v[6:7], off
.LBB578_37:
	s_or_b64 exec, exec, s[2:3]
	v_mov_b32_e32 v17, 0
	v_mov_b32_e32 v10, 0
	;; [unrolled: 1-line block ×5, first 2 shown]
	s_and_saveexec_b64 s[2:3], vcc
	s_cbranch_execz .LBB578_39
; %bb.38:
	v_mad_i64_i32 v[10:11], s[24:25], s19, v19, 0
	v_lshl_add_u64 v[10:11], v[10:11], 1, s[4:5]
	v_lshlrev_b32_e32 v12, 1, v18
	v_mov_b32_e32 v13, 0
	v_lshl_add_u64 v[10:11], v[10:11], 0, v[12:13]
	global_load_dwordx4 v[10:13], v[10:11], off offset:128
.LBB578_39:
	s_or_b64 exec, exec, s[2:3]
	v_mov_b32_e32 v16, 0
	v_mov_b32_e32 v15, 0
	;; [unrolled: 1-line block ×3, first 2 shown]
	s_and_saveexec_b64 s[2:3], s[0:1]
	s_cbranch_execz .LBB578_41
; %bb.40:
	v_mad_i64_i32 v[14:15], s[0:1], s19, v20, 0
	v_lshl_add_u64 v[14:15], v[14:15], 1, s[4:5]
	v_lshlrev_b32_e32 v16, 1, v18
	v_mov_b32_e32 v17, 0
	v_lshl_add_u64 v[14:15], v[14:15], 0, v[16:17]
	global_load_dwordx4 v[14:17], v[14:15], off offset:128
.LBB578_41:
	s_or_b64 exec, exec, s[2:3]
	s_branch .LBB578_45
.LBB578_42:
                                        ; implicit-def: $vgpr5
                                        ; implicit-def: $vgpr9
                                        ; implicit-def: $vgpr13
                                        ; implicit-def: $vgpr17
	v_lshrrev_b32_e32 v19, 2, v49
	s_branch .LBB578_46
.LBB578_43:
                                        ; implicit-def: $vgpr5
                                        ; implicit-def: $vgpr9
                                        ; implicit-def: $vgpr13
                                        ; implicit-def: $vgpr17
	s_cbranch_execz .LBB578_45
; %bb.44:
	s_waitcnt vmcnt(0)
	v_mad_u64_u32 v[2:3], s[0:1], v19, s19, v[18:19]
	v_lshlrev_b32_e32 v19, 1, v2
	s_lshl_b32 s2, s19, 7
	s_and_b32 s1, s5, 0xffff
	s_mov_b32 s3, 0x20000
	s_mov_b32 s0, s4
	v_add_lshl_u32 v20, v2, s19, 1
	s_movk_i32 s19, 0x80
	buffer_load_dwordx4 v[2:5], v19, s[0:3], 0 offen
	buffer_load_dwordx4 v[10:13], v19, s[0:3], s19 offen
	;; [unrolled: 1-line block ×4, first 2 shown]
.LBB578_45:
	v_lshrrev_b32_e32 v19, 2, v49
	s_cbranch_execnz .LBB578_58
.LBB578_46:
	s_and_b64 vcc, exec, s[6:7]
	s_cbranch_vccz .LBB578_56
; %bb.47:
	s_waitcnt vmcnt(0)
	v_lshlrev_b32_e32 v7, 1, v36
	v_cmp_gt_i32_e32 vcc, s44, v7
	v_mov_b32_e32 v6, 0
	v_lshlrev_b32_e32 v14, 9, v36
	v_mov_b32_e32 v2, 0
	v_mov_b32_e32 v3, 0
	;; [unrolled: 1-line block ×4, first 2 shown]
	s_and_saveexec_b64 s[0:1], vcc
	s_cbranch_execz .LBB578_49
; %bb.48:
	v_mov_b32_e32 v15, 0
	v_lshl_add_u64 v[2:3], s[4:5], 0, v[14:15]
	v_lshlrev_b32_e32 v4, 1, v18
	v_mov_b32_e32 v5, v15
	v_lshl_add_u64 v[2:3], v[2:3], 0, v[4:5]
	global_load_dwordx4 v[2:5], v[2:3], off
.LBB578_49:
	s_or_b64 exec, exec, s[0:1]
	v_or_b32_e32 v7, 1, v7
	v_cmp_gt_i32_e64 s[0:1], s44, v7
	v_lshlrev_b32_e32 v20, 8, v7
	v_mov_b32_e32 v7, 0
	v_mov_b32_e32 v8, 0
	;; [unrolled: 1-line block ×3, first 2 shown]
	s_and_saveexec_b64 s[2:3], s[0:1]
	s_cbranch_execz .LBB578_51
; %bb.50:
	v_mov_b32_e32 v21, 0
	v_lshl_add_u64 v[6:7], s[4:5], 0, v[20:21]
	v_lshlrev_b32_e32 v8, 1, v18
	v_mov_b32_e32 v9, v21
	v_lshl_add_u64 v[6:7], v[6:7], 0, v[8:9]
	global_load_dwordx4 v[6:9], v[6:7], off
.LBB578_51:
	s_or_b64 exec, exec, s[2:3]
	v_mov_b32_e32 v17, 0
	v_mov_b32_e32 v10, 0
	;; [unrolled: 1-line block ×5, first 2 shown]
	s_and_saveexec_b64 s[2:3], vcc
	s_cbranch_execz .LBB578_53
; %bb.52:
	v_mov_b32_e32 v15, 0
	v_lshl_add_u64 v[10:11], s[4:5], 0, v[14:15]
	v_lshlrev_b32_e32 v14, 1, v18
	v_lshl_add_u64 v[10:11], v[10:11], 0, v[14:15]
	global_load_dwordx4 v[10:13], v[10:11], off offset:128
.LBB578_53:
	s_or_b64 exec, exec, s[2:3]
	v_mov_b32_e32 v16, 0
	v_mov_b32_e32 v15, 0
	;; [unrolled: 1-line block ×3, first 2 shown]
	s_and_saveexec_b64 s[2:3], s[0:1]
	s_cbranch_execz .LBB578_55
; %bb.54:
	v_mov_b32_e32 v21, 0
	v_lshl_add_u64 v[14:15], s[4:5], 0, v[20:21]
	v_lshlrev_b32_e32 v20, 1, v18
	v_lshl_add_u64 v[14:15], v[14:15], 0, v[20:21]
	global_load_dwordx4 v[14:17], v[14:15], off offset:128
.LBB578_55:
	s_or_b64 exec, exec, s[2:3]
	s_branch .LBB578_58
.LBB578_56:
                                        ; implicit-def: $vgpr5
                                        ; implicit-def: $vgpr9
                                        ; implicit-def: $vgpr13
                                        ; implicit-def: $vgpr17
	s_cbranch_execz .LBB578_58
; %bb.57:
	s_waitcnt vmcnt(0)
	v_lshlrev_b32_e32 v2, 1, v18
	v_lshl_or_b32 v18, v36, 9, v2
	s_and_b32 s5, s5, 0xffff
	s_mov_b32 s7, 0x20000
	s_movk_i32 s6, 0x4000
	s_movk_i32 s0, 0x80
	buffer_load_dwordx4 v[2:5], v18, s[4:7], 0 offen
	buffer_load_dwordx4 v[6:9], v18, s[4:7], 0 offen offset:256
	buffer_load_dwordx4 v[10:13], v18, s[4:7], s0 offen
	buffer_load_dwordx4 v[14:17], v18, s[4:7], s0 offen offset:256
.LBB578_58:
	v_and_b32_e32 v39, 12, v19
	ds_read2st64_b64 v[22:25], v37 offset0:76 offset1:77
	ds_read2st64_b64 v[18:21], v37 offset0:78 offset1:79
	ds_read_b64 v[30:31], v26 offset:24576
	ds_read_b64 v[32:33], v27 offset:24576
	;; [unrolled: 1-line block ×4, first 2 shown]
	v_and_b32_e32 v38, 6, v0
	v_xor_b32_e32 v36, v36, v38
	v_lshlrev_b32_e32 v36, 2, v36
	v_and_b32_e32 v40, 1, v0
	v_xor_b32_e32 v41, 0x440, v36
	v_cmp_eq_u32_e32 vcc, 0, v40
	s_mov_b32 s0, 0x1000504
	s_waitcnt vmcnt(0)
	v_perm_b32 v40, v10, v14, s0
	v_cndmask_b32_e32 v36, v41, v36, vcc
	v_lshl_or_b32 v36, v38, 10, v36
	v_perm_b32 v38, v2, v6, s0
	ds_write2st64_b32 v36, v38, v40 offset1:32
	v_xor_b32_e32 v38, 8, v36
	s_mov_b32 s1, 0x3020706
	v_perm_b32 v2, v2, v6, s1
	v_perm_b32 v6, v10, v14, s1
	v_add_u32_e32 v10, 0x80, v38
	ds_write2st64_b32 v10, v2, v6 offset1:32
	v_xor_b32_e32 v2, 16, v36
	v_perm_b32 v6, v3, v7, s0
	v_perm_b32 v10, v11, v15, s0
	ds_write2st64_b32 v2, v6, v10 offset0:1 offset1:33
	v_xor_b32_e32 v2, 24, v36
	v_perm_b32 v3, v3, v7, s1
	v_perm_b32 v6, v11, v15, s1
	v_add_u32_e32 v2, 0x80, v2
	ds_write2st64_b32 v2, v3, v6 offset0:1 offset1:33
	v_xor_b32_e32 v2, 32, v36
	v_perm_b32 v3, v4, v8, s0
	v_perm_b32 v6, v12, v16, s0
	ds_write2st64_b32 v2, v3, v6 offset0:2 offset1:34
	v_xor_b32_e32 v2, 40, v36
	v_perm_b32 v3, v4, v8, s1
	v_perm_b32 v4, v12, v16, s1
	v_add_u32_e32 v2, 0x80, v2
	ds_write2st64_b32 v2, v3, v4 offset0:2 offset1:34
	v_xor_b32_e32 v2, 48, v36
	v_perm_b32 v3, v5, v9, s0
	v_perm_b32 v4, v13, v17, s0
	ds_write2st64_b32 v2, v3, v4 offset0:3 offset1:35
	v_xor_b32_e32 v2, 56, v36
	v_or_b32_e32 v8, v39, v45
	v_perm_b32 v3, v5, v9, s1
	v_perm_b32 v4, v13, v17, s1
	v_add_u32_e32 v2, 0x80, v2
	v_cmp_gt_i32_e32 vcc, s44, v8
	v_mov_b32_e32 v9, 0
	v_mov_b32_e32 v13, 0
	ds_write2st64_b32 v2, v3, v4 offset0:3 offset1:35
	s_and_saveexec_b64 s[0:1], vcc
	s_cbranch_execz .LBB578_60
; %bb.59:
	v_add_u32_e32 v2, s34, v8
	v_ashrrev_i32_e32 v3, 31, v2
	v_mul_lo_u32 v4, v3, s22
	v_mul_lo_u32 v5, v2, s23
	v_mad_u64_u32 v[2:3], s[2:3], v2, s22, 0
	v_add3_u32 v3, v3, v5, v4
	v_lshl_add_u64 v[2:3], v[2:3], 2, s[10:11]
	global_load_dword v2, v[2:3], off
	s_waitcnt vmcnt(0)
	v_sub_f32_e32 v2, s16, v2
	v_mul_f32_e32 v2, 0x3fb8aa3b, v2
	v_exp_f32_e32 v13, v2
.LBB578_60:
	s_or_b64 exec, exec, s[0:1]
	v_or_b32_e32 v11, 1, v8
	v_cmp_gt_i32_e64 s[0:1], s44, v11
	s_and_saveexec_b64 s[2:3], s[0:1]
	s_cbranch_execz .LBB578_62
; %bb.61:
	v_add_u32_e32 v2, s34, v11
	v_ashrrev_i32_e32 v3, 31, v2
	v_mul_lo_u32 v4, v3, s22
	v_mul_lo_u32 v5, v2, s23
	v_mad_u64_u32 v[2:3], s[4:5], v2, s22, 0
	v_add3_u32 v3, v3, v5, v4
	v_lshl_add_u64 v[2:3], v[2:3], 2, s[10:11]
	global_load_dword v2, v[2:3], off
	s_waitcnt vmcnt(0)
	v_sub_f32_e32 v2, s16, v2
	v_mul_f32_e32 v2, 0x3fb8aa3b, v2
	v_exp_f32_e32 v9, v2
.LBB578_62:
	s_or_b64 exec, exec, s[2:3]
	v_or_b32_e32 v12, 2, v8
	v_cmp_gt_i32_e64 s[2:3], s44, v12
	v_mov_b32_e32 v10, 0
	v_mov_b32_e32 v15, 0
	s_and_saveexec_b64 s[4:5], s[2:3]
	s_cbranch_execz .LBB578_64
; %bb.63:
	v_add_u32_e32 v2, s34, v12
	v_ashrrev_i32_e32 v3, 31, v2
	v_mul_lo_u32 v4, v3, s22
	v_mul_lo_u32 v5, v2, s23
	v_mad_u64_u32 v[2:3], s[6:7], v2, s22, 0
	v_add3_u32 v3, v3, v5, v4
	v_lshl_add_u64 v[2:3], v[2:3], 2, s[10:11]
	global_load_dword v2, v[2:3], off
	s_waitcnt vmcnt(0)
	v_sub_f32_e32 v2, s16, v2
	v_mul_f32_e32 v2, 0x3fb8aa3b, v2
	v_exp_f32_e32 v15, v2
.LBB578_64:
	s_or_b64 exec, exec, s[4:5]
	v_or_b32_e32 v14, 3, v8
	v_cmp_gt_i32_e64 s[4:5], s44, v14
	s_and_saveexec_b64 s[6:7], s[4:5]
	s_cbranch_execz .LBB578_66
; %bb.65:
	v_add_u32_e32 v2, s34, v14
	v_ashrrev_i32_e32 v3, 31, v2
	v_mul_lo_u32 v4, v3, s22
	v_mul_lo_u32 v5, v2, s23
	v_mad_u64_u32 v[2:3], s[22:23], v2, s22, 0
	v_add3_u32 v3, v3, v5, v4
	v_lshl_add_u64 v[2:3], v[2:3], 2, s[10:11]
	global_load_dword v2, v[2:3], off
	s_waitcnt vmcnt(0)
	v_sub_f32_e32 v2, s16, v2
	v_mul_f32_e32 v2, 0x3fb8aa3b, v2
	v_exp_f32_e32 v10, v2
.LBB578_66:
	s_or_b64 exec, exec, s[6:7]
	s_waitcnt lgkmcnt(11)
	v_mfma_f32_16x16x16_bf16 a[0:3], v[30:31], v[22:23], a[0:3]
	s_add_u32 s6, s8, s28
	v_ashrrev_i32_e32 v59, 31, v58
	s_addc_u32 s7, s9, s29
	s_waitcnt lgkmcnt(10)
	v_mfma_f32_16x16x16_bf16 a[0:3], v[32:33], v[24:25], a[0:3]
	v_mov_b32_e32 v16, 0
	v_lshl_add_u64 v[6:7], v[58:59], 1, s[6:7]
	v_mov_b32_e32 v17, 0
	s_waitcnt lgkmcnt(9)
	v_mfma_f32_16x16x16_bf16 a[0:3], v[28:29], v[18:19], a[0:3]
	s_waitcnt lgkmcnt(8)
	v_mfma_f32_16x16x16_bf16 a[0:3], v[26:27], v[20:21], a[0:3]
	s_nop 6
	v_accvgpr_read_b32 v5, a3
	v_accvgpr_read_b32 v4, a2
	v_accvgpr_read_b32 v3, a1
	v_accvgpr_read_b32 v2, a0
	s_and_saveexec_b64 s[6:7], vcc
	s_cbranch_execz .LBB578_68
; %bb.67:
	v_lshlrev_b32_e32 v18, 8, v8
	v_mov_b32_e32 v19, 0
	v_lshl_add_u64 v[18:19], v[6:7], 0, v[18:19]
	global_load_ushort v17, v[18:19], off
	s_waitcnt vmcnt(0)
	v_lshlrev_b32_e32 v17, 16, v17
	v_sub_f32_e32 v2, v17, v2
	v_mul_f32_e32 v2, v13, v2
	v_lshrrev_b32_e32 v17, 16, v2
.LBB578_68:
	s_or_b64 exec, exec, s[6:7]
	s_and_saveexec_b64 s[6:7], s[0:1]
	s_cbranch_execz .LBB578_70
; %bb.69:
	v_lshlrev_b32_e32 v18, 8, v11
	v_mov_b32_e32 v19, 0
	v_lshl_add_u64 v[18:19], v[6:7], 0, v[18:19]
	global_load_ushort v2, v[18:19], off
	s_waitcnt vmcnt(0)
	v_lshlrev_b32_e32 v2, 16, v2
	v_sub_f32_e32 v2, v2, v3
	v_mul_f32_e32 v2, v9, v2
	v_lshrrev_b32_e32 v16, 16, v2
.LBB578_70:
	s_or_b64 exec, exec, s[6:7]
	v_mov_b32_e32 v3, 0
	v_mov_b32_e32 v9, 0
	s_and_saveexec_b64 s[0:1], s[2:3]
	s_cbranch_execz .LBB578_72
; %bb.71:
	v_lshlrev_b32_e32 v12, 8, v12
	v_mov_b32_e32 v13, 0
	v_lshl_add_u64 v[12:13], v[6:7], 0, v[12:13]
	global_load_ushort v2, v[12:13], off
	s_waitcnt vmcnt(0)
	v_lshlrev_b32_e32 v2, 16, v2
	v_sub_f32_e32 v2, v2, v4
	v_mul_f32_e32 v2, v15, v2
	v_lshrrev_b32_e32 v9, 16, v2
.LBB578_72:
	s_or_b64 exec, exec, s[0:1]
	v_or_b32_e32 v2, 0x9800, v37
	s_and_saveexec_b64 s[0:1], s[4:5]
	s_cbranch_execz .LBB578_74
; %bb.73:
	v_lshlrev_b32_e32 v12, 8, v14
	v_mov_b32_e32 v13, 0
	v_lshl_add_u64 v[6:7], v[6:7], 0, v[12:13]
	global_load_ushort v3, v[6:7], off
	s_waitcnt vmcnt(0)
	v_lshlrev_b32_e32 v3, 16, v3
	v_sub_f32_e32 v3, v3, v5
	v_mul_f32_e32 v3, v10, v3
	v_lshrrev_b32_e32 v3, 16, v3
.LBB578_74:
	s_or_b64 exec, exec, s[0:1]
	s_mov_b32 s0, 0x5040100
	v_perm_b32 v5, v3, v9, s0
	v_lshlrev_b32_e32 v3, 1, v34
	v_perm_b32 v4, v16, v17, s0
	v_lshl_or_b32 v3, v8, 5, v3
	s_movk_i32 s2, 0xff
	ds_write_b64 v3, v[4:5] offset:38912
	v_and_b32_e32 v3, 7, v0
	v_cmp_lt_u32_e32 vcc, s2, v0
	v_and_b32_e32 v4, 8, v0
	v_lshlrev_b32_e32 v12, 3, v3
	v_lshlrev_b32_e32 v24, 7, v3
	v_cndmask_b32_e64 v3, 0, 1, vcc
	v_lshrrev_b32_e32 v0, 1, v0
	v_lshlrev_b32_e32 v14, 13, v3
	v_lshlrev_b32_e32 v3, 3, v1
	v_and_b32_e32 v0, 24, v0
	v_xor_b32_e32 v5, v3, v0
	v_or_b32_e32 v6, 0x440, v5
	v_cmp_eq_u32_e32 vcc, 0, v4
	s_mul_i32 s0, s18, s17
	s_mul_hi_i32 s1, s18, s17
	v_cndmask_b32_e32 v4, v6, v5, vcc
	v_or_b32_e32 v4, v4, v35
	v_xor_b32_e32 v22, v4, v12
	v_or_b32_e32 v4, 32, v0
	v_xor_b32_e32 v4, v3, v4
	v_or_b32_e32 v5, 0x440, v4
	v_cndmask_b32_e32 v4, v5, v4, vcc
	v_or_b32_e32 v4, v4, v35
	v_xor_b32_e32 v23, v4, v12
	v_or_b32_e32 v4, 64, v0
	v_xor_b32_e32 v4, v3, v4
	v_xor_b32_e32 v5, 0x440, v4
	v_cndmask_b32_e32 v4, v5, v4, vcc
	v_or_b32_e32 v0, 0x60, v0
	s_add_u32 s0, s0, s33
	v_add3_u32 v15, v14, v22, v24
	v_or_b32_e32 v4, v4, v35
	v_xor_b32_e32 v0, v3, v0
	s_waitcnt lgkmcnt(0)
	s_barrier
	s_addc_u32 s1, s1, s46
	v_lshlrev_b32_e32 v13, 2, v8
	v_xor_b32_e32 v25, v4, v12
	ds_read2st64_b64 v[4:7], v2 offset1:1
	ds_read2st64_b64 v[8:11], v2 offset0:2 offset1:3
	ds_read_b64 v[2:3], v15
	v_xor_b32_e32 v15, 0x440, v0
	s_lshl_b64 s[0:1], s[0:1], 9
	v_cndmask_b32_e32 v0, v15, v0, vcc
	s_add_u32 s0, s20, s0
	v_or_b32_e32 v0, v0, v35
	s_addc_u32 s1, s21, s1
	v_add3_u32 v16, v14, v23, v24
	v_add3_u32 v18, v14, v25, v24
	v_xor_b32_e32 v26, v0, v12
	v_add3_u32 v0, v14, v26, v24
	ds_read_b64 v[16:17], v16
	ds_read_b64 v[18:19], v18
	;; [unrolled: 1-line block ×3, first 2 shown]
	global_load_dwordx4 v[12:15], v13, s[0:1]
	v_lshlrev_b32_e32 v0, 6, v1
	v_lshlrev_b32_e32 v1, 2, v39
	s_movk_i32 s2, 0x100
	v_or3_b32 v0, v0, v1, s2
	s_waitcnt lgkmcnt(3)
	v_mfma_f32_16x16x16_bf16 a[0:3], v[2:3], v[4:5], 0
	global_load_dwordx4 v[0:3], v0, s[0:1]
	v_add_u32_e32 v27, v23, v24
	s_waitcnt vmcnt(1)
	v_mul_f32_e32 v12, 0x3fb8aa3b, v12
	s_waitcnt lgkmcnt(2)
	v_mfma_f32_16x16x16_bf16 a[0:3], v[16:17], v[6:7], a[0:3]
	v_mov_b32_e32 v16, 0x3fb8aa3b
	v_mul_f32_e32 v16, s16, v16
	v_mul_f32_e32 v13, 0x3fb8aa3b, v13
	s_waitcnt lgkmcnt(1)
	v_mfma_f32_16x16x16_bf16 a[0:3], v[18:19], v[8:9], a[0:3]
	v_exp_f32_e32 v16, v16
	v_add_u32_e32 v17, v22, v24
	v_exp_f32_e32 v12, v12
	s_waitcnt lgkmcnt(0)
	v_mfma_f32_16x16x16_bf16 a[0:3], v[20:21], v[10:11], a[0:3]
	v_exp_f32_e32 v13, v13
	ds_read_b64 v[22:23], v17 offset:8192
	v_mul_f32_e32 v14, 0x3fb8aa3b, v14
	v_mul_f32_e32 v15, 0x3fb8aa3b, v15
	v_pk_mul_f32 v[12:13], v[16:17], v[12:13] op_sel_hi:[0,1]
	v_exp_f32_e32 v14, v14
	v_exp_f32_e32 v15, v15
	v_accvgpr_read_b32 v21, a1
	v_accvgpr_read_b32 v20, a0
	v_pk_fma_f32 v[52:53], v[52:53], v[12:13], v[20:21]
	ds_read_b64 v[12:13], v27 offset:8192
	v_accvgpr_read_b32 v19, a3
	v_accvgpr_read_b32 v18, a2
	s_waitcnt lgkmcnt(1)
	v_mfma_f32_16x16x16_bf16 a[0:3], v[22:23], v[4:5], 0
	v_pk_mul_f32 v[14:15], v[16:17], v[14:15] op_sel_hi:[0,1]
	v_pk_fma_f32 v[56:57], v[56:57], v[14:15], v[18:19]
	v_add_u32_e32 v14, v25, v24
	v_add_u32_e32 v17, v26, v24
	ds_read_b64 v[14:15], v14 offset:8192
	ds_read_b64 v[18:19], v17 offset:8192
	s_waitcnt lgkmcnt(2)
	v_mfma_f32_16x16x16_bf16 a[0:3], v[12:13], v[6:7], a[0:3]
	s_waitcnt vmcnt(0)
	v_mov_b32_e32 v4, v3
	v_mov_b32_e32 v3, v2
	;; [unrolled: 1-line block ×3, first 2 shown]
	s_waitcnt lgkmcnt(1)
	v_mfma_f32_16x16x16_bf16 a[0:3], v[14:15], v[8:9], a[0:3]
	v_mul_f32_e32 v0, 0x3fb8aa3b, v0
	v_mul_f32_e32 v1, 0x3fb8aa3b, v2
	v_exp_f32_e32 v0, v0
	s_waitcnt lgkmcnt(0)
	v_mfma_f32_16x16x16_bf16 a[0:3], v[18:19], v[10:11], a[0:3]
	v_exp_f32_e32 v1, v1
	v_mul_f32_e32 v2, 0x3fb8aa3b, v3
	v_mul_f32_e32 v3, 0x3fb8aa3b, v4
	v_exp_f32_e32 v2, v2
	v_exp_f32_e32 v3, v3
	v_pk_mul_f32 v[0:1], v[16:17], v[0:1] op_sel_hi:[0,1]
	s_nop 0
	v_accvgpr_read_b32 v7, a1
	v_accvgpr_read_b32 v6, a0
	v_accvgpr_read_b32 v5, a3
	v_accvgpr_read_b32 v4, a2
	v_pk_fma_f32 v[50:51], v[50:51], v[0:1], v[6:7]
	v_pk_mul_f32 v[0:1], v[16:17], v[2:3] op_sel_hi:[0,1]
	v_pk_fma_f32 v[54:55], v[54:55], v[0:1], v[4:5]
.LBB578_75:
	s_add_u32 s0, s12, s14
	s_addc_u32 s1, s13, s15
	v_lshl_add_u64 v[0:1], v[46:47], 1, s[0:1]
	v_mov_b32_e32 v49, 0
	s_mov_b32 s0, 0x7060302
	v_lshl_add_u64 v[0:1], v[0:1], 0, v[48:49]
	v_perm_b32 v3, v57, v56, s0
	v_perm_b32 v2, v53, v52, s0
	global_store_dwordx2 v[0:1], v[2:3], off
	v_perm_b32 v3, v55, v54, s0
	v_perm_b32 v2, v51, v50, s0
	global_store_dwordx2 v[0:1], v[2:3], off offset:128
	s_endpgm
	.section	.rodata,"a",@progbits
	.p2align	6, 0x0
	.amdhsa_kernel _ZN12_GLOBAL__N_139chunk_gated_delta_rule_fwd_h_hip_kernelILi16ELb1ELb1ELb0ELb1ELb0ELb1ELb1ELb1EEEvPK12hip_bfloat16S3_S3_PKfS5_PKvPS1_S8_PvPKiSB_iiiiilll
		.amdhsa_group_segment_fixed_size 40960
		.amdhsa_private_segment_fixed_size 0
		.amdhsa_kernarg_size 136
		.amdhsa_user_sgpr_count 2
		.amdhsa_user_sgpr_dispatch_ptr 0
		.amdhsa_user_sgpr_queue_ptr 0
		.amdhsa_user_sgpr_kernarg_segment_ptr 1
		.amdhsa_user_sgpr_dispatch_id 0
		.amdhsa_user_sgpr_kernarg_preload_length 0
		.amdhsa_user_sgpr_kernarg_preload_offset 0
		.amdhsa_user_sgpr_private_segment_size 0
		.amdhsa_uses_dynamic_stack 0
		.amdhsa_enable_private_segment 0
		.amdhsa_system_sgpr_workgroup_id_x 1
		.amdhsa_system_sgpr_workgroup_id_y 1
		.amdhsa_system_sgpr_workgroup_id_z 0
		.amdhsa_system_sgpr_workgroup_info 0
		.amdhsa_system_vgpr_workitem_id 0
		.amdhsa_next_free_vgpr 128
		.amdhsa_next_free_sgpr 65
		.amdhsa_accum_offset 116
		.amdhsa_reserve_vcc 1
		.amdhsa_float_round_mode_32 0
		.amdhsa_float_round_mode_16_64 0
		.amdhsa_float_denorm_mode_32 3
		.amdhsa_float_denorm_mode_16_64 3
		.amdhsa_dx10_clamp 1
		.amdhsa_ieee_mode 1
		.amdhsa_fp16_overflow 0
		.amdhsa_tg_split 0
		.amdhsa_exception_fp_ieee_invalid_op 0
		.amdhsa_exception_fp_denorm_src 0
		.amdhsa_exception_fp_ieee_div_zero 0
		.amdhsa_exception_fp_ieee_overflow 0
		.amdhsa_exception_fp_ieee_underflow 0
		.amdhsa_exception_fp_ieee_inexact 0
		.amdhsa_exception_int_div_zero 0
	.end_amdhsa_kernel
	.section	.text._ZN12_GLOBAL__N_139chunk_gated_delta_rule_fwd_h_hip_kernelILi16ELb1ELb1ELb0ELb1ELb0ELb1ELb1ELb1EEEvPK12hip_bfloat16S3_S3_PKfS5_PKvPS1_S8_PvPKiSB_iiiiilll,"axG",@progbits,_ZN12_GLOBAL__N_139chunk_gated_delta_rule_fwd_h_hip_kernelILi16ELb1ELb1ELb0ELb1ELb0ELb1ELb1ELb1EEEvPK12hip_bfloat16S3_S3_PKfS5_PKvPS1_S8_PvPKiSB_iiiiilll,comdat
.Lfunc_end578:
	.size	_ZN12_GLOBAL__N_139chunk_gated_delta_rule_fwd_h_hip_kernelILi16ELb1ELb1ELb0ELb1ELb0ELb1ELb1ELb1EEEvPK12hip_bfloat16S3_S3_PKfS5_PKvPS1_S8_PvPKiSB_iiiiilll, .Lfunc_end578-_ZN12_GLOBAL__N_139chunk_gated_delta_rule_fwd_h_hip_kernelILi16ELb1ELb1ELb0ELb1ELb0ELb1ELb1ELb1EEEvPK12hip_bfloat16S3_S3_PKfS5_PKvPS1_S8_PvPKiSB_iiiiilll
                                        ; -- End function
	.section	.AMDGPU.csdata,"",@progbits
; Kernel info:
; codeLenInByte = 8160
; NumSgprs: 71
; NumVgprs: 116
; NumAgprs: 12
; TotalNumVgprs: 128
; ScratchSize: 0
; MemoryBound: 0
; FloatMode: 240
; IeeeMode: 1
; LDSByteSize: 40960 bytes/workgroup (compile time only)
; SGPRBlocks: 8
; VGPRBlocks: 15
; NumSGPRsForWavesPerEU: 71
; NumVGPRsForWavesPerEU: 128
; AccumOffset: 116
; Occupancy: 1
; WaveLimiterHint : 1
; COMPUTE_PGM_RSRC2:SCRATCH_EN: 0
; COMPUTE_PGM_RSRC2:USER_SGPR: 2
; COMPUTE_PGM_RSRC2:TRAP_HANDLER: 0
; COMPUTE_PGM_RSRC2:TGID_X_EN: 1
; COMPUTE_PGM_RSRC2:TGID_Y_EN: 1
; COMPUTE_PGM_RSRC2:TGID_Z_EN: 0
; COMPUTE_PGM_RSRC2:TIDIG_COMP_CNT: 0
; COMPUTE_PGM_RSRC3_GFX90A:ACCUM_OFFSET: 28
; COMPUTE_PGM_RSRC3_GFX90A:TG_SPLIT: 0
	.section	.text._ZN12_GLOBAL__N_139chunk_gated_delta_rule_fwd_h_hip_kernelILi16ELb1ELb0ELb1ELb1ELb0ELb1ELb1ELb1EEEvPK12hip_bfloat16S3_S3_PKfS5_PKvPS1_S8_PvPKiSB_iiiiilll,"axG",@progbits,_ZN12_GLOBAL__N_139chunk_gated_delta_rule_fwd_h_hip_kernelILi16ELb1ELb0ELb1ELb1ELb0ELb1ELb1ELb1EEEvPK12hip_bfloat16S3_S3_PKfS5_PKvPS1_S8_PvPKiSB_iiiiilll,comdat
	.globl	_ZN12_GLOBAL__N_139chunk_gated_delta_rule_fwd_h_hip_kernelILi16ELb1ELb0ELb1ELb1ELb0ELb1ELb1ELb1EEEvPK12hip_bfloat16S3_S3_PKfS5_PKvPS1_S8_PvPKiSB_iiiiilll ; -- Begin function _ZN12_GLOBAL__N_139chunk_gated_delta_rule_fwd_h_hip_kernelILi16ELb1ELb0ELb1ELb1ELb0ELb1ELb1ELb1EEEvPK12hip_bfloat16S3_S3_PKfS5_PKvPS1_S8_PvPKiSB_iiiiilll
	.p2align	8
	.type	_ZN12_GLOBAL__N_139chunk_gated_delta_rule_fwd_h_hip_kernelILi16ELb1ELb0ELb1ELb1ELb0ELb1ELb1ELb1EEEvPK12hip_bfloat16S3_S3_PKfS5_PKvPS1_S8_PvPKiSB_iiiiilll,@function
_ZN12_GLOBAL__N_139chunk_gated_delta_rule_fwd_h_hip_kernelILi16ELb1ELb0ELb1ELb1ELb0ELb1ELb1ELb1EEEvPK12hip_bfloat16S3_S3_PKfS5_PKvPS1_S8_PvPKiSB_iiiiilll: ; @_ZN12_GLOBAL__N_139chunk_gated_delta_rule_fwd_h_hip_kernelILi16ELb1ELb0ELb1ELb1ELb0ELb1ELb1ELb1EEEvPK12hip_bfloat16S3_S3_PKfS5_PKvPS1_S8_PvPKiSB_iiiiilll
; %bb.0:
	s_load_dwordx4 s[12:15], s[0:1], 0x5c
	s_load_dwordx4 s[4:7], s[0:1], 0x48
	s_abs_i32 s9, s3
	s_ashr_i32 s8, s3, 31
	v_and_b32_e32 v64, 15, v0
	s_waitcnt lgkmcnt(0)
	s_abs_i32 s10, s13
	v_cvt_f32_u32_e32 v1, s10
	s_sub_i32 s16, 0, s10
	s_ashr_i32 s11, s13, 31
	s_xor_b32 s8, s8, s11
	v_rcp_iflag_f32_e32 v1, v1
	v_lshrrev_b32_e32 v62, 6, v0
	v_bfe_u32 v63, v0, 4, 2
	v_mov_b32_e32 v5, 0
	v_mul_f32_e32 v1, 0x4f7ffffe, v1
	v_cvt_u32_f32_e32 v1, v1
	v_and_b32_e32 v45, 63, v0
	v_lshlrev_b32_e32 v65, 3, v0
	v_lshrrev_b32_e32 v66, 3, v45
	v_readfirstlane_b32 s17, v1
	s_mul_i32 s16, s16, s17
	s_mul_hi_u32 s16, s17, s16
	s_add_i32 s17, s17, s16
	s_mul_hi_u32 s16, s9, s17
	s_mul_i32 s17, s16, s10
	s_sub_i32 s9, s9, s17
	s_add_i32 s18, s16, 1
	s_sub_i32 s17, s9, s10
	s_cmp_ge_u32 s9, s10
	s_cselect_b32 s16, s18, s16
	s_cselect_b32 s9, s17, s9
	s_add_i32 s17, s16, 1
	s_cmp_ge_u32 s9, s10
	s_cselect_b32 s9, s17, s16
	s_xor_b32 s9, s9, s8
	s_sub_i32 s20, s9, s8
	s_mul_i32 s24, s20, s13
	s_ashr_i32 s21, s20, 31
	s_sub_i32 s49, s3, s24
	s_lshl_b64 s[8:9], s[20:21], 2
	s_add_u32 s4, s4, s8
	s_addc_u32 s5, s5, s9
	s_add_u32 s22, s6, s8
	s_addc_u32 s23, s7, s9
	s_abs_i32 s3, s14
	v_cvt_f32_u32_e32 v1, s3
	s_load_dwordx2 s[34:35], s[4:5], 0x0
	s_lshl_b32 s40, s2, 4
	s_ashr_i32 s2, s14, 31
	v_rcp_iflag_f32_e32 v1, v1
	s_xor_b32 s2, s11, s2
	s_waitcnt lgkmcnt(0)
	s_sub_i32 s52, s35, s34
	s_ashr_i32 s4, s52, 31
	v_mul_f32_e32 v1, 0x4f7ffffe, v1
	v_cvt_u32_f32_e32 v1, v1
	s_lshr_b32 s4, s4, 26
	s_add_i32 s4, s52, s4
	s_ashr_i32 s50, s4, 6
	s_sub_i32 s4, 0, s3
	v_readfirstlane_b32 s5, v1
	s_mul_i32 s4, s4, s5
	s_mul_hi_u32 s4, s5, s4
	s_add_i32 s5, s5, s4
	s_mul_hi_u32 s4, s10, s5
	s_mul_i32 s5, s4, s3
	s_sub_i32 s5, s10, s5
	s_add_i32 s6, s4, 1
	s_sub_i32 s7, s5, s3
	s_cmp_ge_u32 s5, s3
	s_cselect_b32 s4, s6, s4
	s_cselect_b32 s5, s7, s5
	s_add_i32 s6, s4, 1
	s_cmp_ge_u32 s5, s3
	s_cselect_b32 s3, s6, s4
	s_xor_b32 s3, s3, s2
	s_sub_i32 s2, s3, s2
	s_abs_i32 s3, s2
	v_cvt_f32_u32_e32 v1, s3
	s_sub_i32 s5, 0, s3
	s_abs_i32 s4, s49
	s_xor_b32 s2, s49, s2
	v_rcp_iflag_f32_e32 v1, v1
	s_ashr_i32 s2, s2, 31
	s_load_dwordx4 s[16:19], s[0:1], 0x28
	s_load_dwordx2 s[28:29], s[0:1], 0x38
	v_or_b32_e32 v46, s40, v64
	v_mul_f32_e32 v1, 0x4f7ffffe, v1
	v_cvt_u32_f32_e32 v1, v1
	v_lshlrev_b32_e32 v2, 7, v46
	v_ashrrev_i32_e32 v3, 31, v2
	s_mul_hi_i32 s54, s49, s12
	v_readfirstlane_b32 s6, v1
	s_mul_i32 s5, s5, s6
	s_mul_hi_u32 s5, s6, s5
	s_add_i32 s6, s6, s5
	s_mul_hi_u32 s5, s4, s6
	s_mul_i32 s6, s5, s3
	s_sub_i32 s4, s4, s6
	s_add_i32 s6, s5, 1
	s_sub_i32 s7, s4, s3
	s_cmp_ge_u32 s4, s3
	s_cselect_b32 s5, s6, s5
	s_cselect_b32 s4, s7, s4
	s_add_i32 s6, s5, 1
	s_cmp_ge_u32 s4, s3
	s_cselect_b32 s3, s6, s5
	s_xor_b32 s3, s3, s2
	s_sub_i32 s53, s3, s2
	s_ashr_i32 s51, s49, 31
	s_mul_hi_i32 s3, s20, s13
	s_add_u32 s2, s24, s49
	s_addc_u32 s3, s3, s51
	s_lshl_b64 s[2:3], s[2:3], 15
	v_lshlrev_b32_e32 v1, 4, v62
	s_waitcnt lgkmcnt(0)
	s_add_u32 s2, s16, s2
	v_lshl_or_b32 v67, v63, 2, v1
	s_addc_u32 s3, s17, s3
	v_lshl_add_u64 v[2:3], v[2:3], 1, s[2:3]
	v_lshlrev_b32_e32 v4, 1, v67
	v_lshl_add_u64 v[2:3], v[2:3], 0, v[4:5]
	global_load_dwordx2 v[4:5], v[2:3], off
	global_load_dwordx2 v[6:7], v[2:3], off offset:128
	s_load_dwordx8 s[4:11], s[0:1], 0x0
	s_load_dwordx2 s[30:31], s[0:1], 0x80
	s_load_dwordx4 s[24:27], s[0:1], 0x70
	s_load_dword s56, s[22:23], 0x0
	v_or_b32_e32 v68, 64, v67
	s_mul_i32 s55, s49, s12
	s_cmp_lt_i32 s52, 64
	s_waitcnt lgkmcnt(0)
	s_mul_i32 s33, s20, s25
	s_mul_hi_u32 s44, s20, s24
	s_mul_i32 s38, s20, s24
	s_mul_i32 s45, s21, s24
	;; [unrolled: 1-line block ×3, first 2 shown]
	s_mul_hi_u32 s47, s49, s26
	s_mul_i32 s48, s51, s26
	s_mul_i32 s36, s49, s26
	s_waitcnt vmcnt(1)
	v_and_b32_e32 v51, 0xffff0000, v4
	v_lshlrev_b32_e32 v50, 16, v4
	v_and_b32_e32 v55, 0xffff0000, v5
	v_lshlrev_b32_e32 v54, 16, v5
	s_waitcnt vmcnt(0)
	v_and_b32_e32 v49, 0xffff0000, v6
	v_lshlrev_b32_e32 v48, 16, v6
	v_and_b32_e32 v53, 0xffff0000, v7
	v_lshlrev_b32_e32 v52, 16, v7
	s_cbranch_scc1 .LBB579_18
; %bb.1:
	s_ashr_i32 s3, s34, 31
	s_add_u32 s2, s55, s34
	s_addc_u32 s3, s54, s3
	s_lshl_b64 s[2:3], s[2:3], 8
	v_and_b32_e32 v70, 56, v65
	s_add_u32 s20, s6, s2
	v_lshl_or_b32 v69, v62, 3, v66
	v_lshlrev_b32_e32 v2, 1, v70
	s_addc_u32 s2, s7, s3
	v_lshl_or_b32 v71, v69, 8, v2
	s_and_b32 s21, s2, 0xffff
	s_mov_b32 s23, 0x20000
	s_movk_i32 s22, 0x4000
	s_movk_i32 s2, 0x80
	v_or_b32_e32 v72, 0x2000, v71
	buffer_load_dwordx4 v[4:7], v71, s[20:23], 0 offen
	buffer_load_dwordx4 v[8:11], v71, s[20:23], s2 offen
	;; [unrolled: 1-line block ×4, first 2 shown]
	v_lshlrev_b32_e32 v3, 3, v69
	v_and_or_b32 v21, v0, 7, v3
	v_and_b32_e32 v3, 0x78, v3
	v_lshlrev_b32_e32 v21, 4, v21
	v_xor_b32_e32 v73, v21, v3
	v_mul_lo_u32 v20, v69, s15
	v_or_b32_e32 v74, 0x1000, v73
	v_xor_b32_e32 v3, 8, v73
	s_cmpk_eq_i32 s15, 0x80
	s_mov_b32 s57, s34
	v_xor_b32_e32 v21, 8, v74
	s_cselect_b64 s[2:3], -1, 0
	s_cmpk_lg_i32 s15, 0x80
	s_waitcnt vmcnt(3)
	ds_write_b64 v73, v[4:5] offset:16384
	ds_write_b64 v3, v[6:7] offset:16384
	s_waitcnt vmcnt(2)
	ds_write_b64 v73, v[8:9] offset:24576
	ds_write_b64 v3, v[10:11] offset:24576
	;; [unrolled: 3-line block ×4, first 2 shown]
	v_lshl_add_u32 v3, v20, 1, v70
	s_cbranch_scc0 .LBB579_3
; %bb.2:
	v_lshlrev_b32_e32 v5, 1, v3
	v_add_lshl_u32 v4, v3, s15, 1
	s_lshl_b32 s22, s15, 7
	s_load_dwordx2 s[16:17], s[0:1], 0x20
	v_lshl_or_b32 v2, v69, 9, v2
	s_cbranch_execz .LBB579_4
	s_branch .LBB579_5
.LBB579_3:
                                        ; implicit-def: $vgpr4
                                        ; implicit-def: $vgpr5
                                        ; implicit-def: $sgpr22
	s_load_dwordx2 s[16:17], s[0:1], 0x20
	v_lshl_or_b32 v2, v69, 9, v2
.LBB579_4:
	v_or_b32_e32 v4, 0x100, v2
	s_movk_i32 s22, 0x4000
	v_mov_b32_e32 v5, v2
.LBB579_5:
	s_mul_i32 s0, s34, s14
	s_ashr_i32 s58, s53, 31
	s_mul_hi_i32 s1, s34, s14
	s_add_u32 s0, s0, s53
	s_addc_u32 s1, s1, s58
	s_lshl_b64 s[0:1], s[0:1], 8
	s_add_u32 s20, s4, s0
	s_addc_u32 s0, s5, s1
	s_and_b32 s21, s0, 0xffff
	s_movk_i32 s59, 0x80
	buffer_load_dwordx4 v[6:9], v5, s[20:23], 0 offen
	buffer_load_dwordx4 v[10:13], v5, s[20:23], s59 offen
	;; [unrolled: 1-line block ×4, first 2 shown]
	v_and_b32_e32 v4, 6, v0
	v_lshlrev_b32_e32 v22, 2, v64
	v_lshlrev_b32_e32 v23, 3, v64
	v_xor_b32_e32 v27, v69, v4
	v_and_b32_e32 v5, 1, v0
	v_lshl_or_b32 v23, v67, 5, v23
	v_xor_b32_e32 v28, v67, v22
	v_lshlrev_b32_e32 v27, 2, v27
	s_add_i32 s0, s44, s33
	v_or_b32_e32 v75, 0x9000, v23
	v_or_b32_e32 v76, 0x9800, v23
	v_lshlrev_b32_e32 v23, 1, v28
	v_xor_b32_e32 v28, 0x440, v27
	v_cmp_eq_u32_e32 vcc, 0, v5
	s_add_i32 s1, s47, s46
	s_add_i32 s39, s0, s45
	v_cndmask_b32_e32 v5, v28, v27, vcc
	s_add_i32 s37, s1, s48
	s_lshl_b64 s[0:1], s[38:39], 2
	s_mov_b32 s60, 0x1000504
	s_mov_b32 s61, 0x3020706
	v_lshlrev_b32_e32 v24, 8, v64
	s_mov_b32 s20, 0x8000
	v_xor_b32_e32 v22, v68, v22
	v_lshl_or_b32 v4, v4, 10, v5
	s_add_u32 s21, s10, s0
	v_or_b32_e32 v25, v1, v64
	v_lshlrev_b32_e32 v22, 1, v22
	v_or3_b32 v77, v23, v24, s20
	v_xor_b32_e32 v5, 8, v4
	v_xor_b32_e32 v23, 24, v4
	;; [unrolled: 1-line block ×4, first 2 shown]
	s_addc_u32 s22, s11, s1
	s_lshl_b64 s[0:1], s[36:37], 2
	v_or3_b32 v78, v22, v24, s20
	v_xor_b32_e32 v22, 16, v4
	v_xor_b32_e32 v24, 32, v4
	;; [unrolled: 1-line block ×3, first 2 shown]
	v_add_u32_e32 v5, 0x80, v5
	v_add_u32_e32 v23, 0x80, v23
	;; [unrolled: 1-line block ×4, first 2 shown]
	s_add_u32 s42, s21, s0
	s_movk_i32 s0, 0xf8
	s_addc_u32 s43, s22, s1
	s_ashr_i32 s41, s40, 31
	v_ashrrev_i32_e32 v47, 31, v46
	s_lshl_b32 s26, s15, 7
	v_lshrrev_b32_e32 v26, 2, v45
	s_mov_b32 s62, 0
	s_mov_b32 s37, 0x7060302
	s_movk_i32 s22, 0x4000
	v_mov_b32_e32 v98, 0x3fb8aa3b
	s_waitcnt vmcnt(1)
	v_perm_b32 v30, v6, v14, s60
	s_waitcnt vmcnt(0)
	v_perm_b32 v31, v10, v18, s60
	v_perm_b32 v6, v6, v14, s61
	;; [unrolled: 1-line block ×15, first 2 shown]
	ds_write2st64_b32 v4, v30, v31 offset1:32
	ds_write2st64_b32 v5, v6, v10 offset1:32
	ds_write2st64_b32 v22, v14, v18 offset0:1 offset1:33
	ds_write2st64_b32 v23, v7, v11 offset0:1 offset1:33
	;; [unrolled: 1-line block ×6, first 2 shown]
	v_lshlrev_b32_e32 v4, 3, v25
	v_lshrrev_b32_e32 v6, 5, v45
	v_and_or_b32 v6, v4, s0, v6
	v_lshlrev_b32_e32 v6, 4, v6
	v_lshlrev_b32_e32 v13, 11, v62
	v_and_b32_e32 v4, 0x78, v4
	v_or_b32_e32 v9, 32, v6
	v_and_b32_e32 v5, 0x1000, v13
	v_lshrrev_b32_e32 v8, 1, v45
	v_xor_b32_e32 v9, v9, v4
	v_and_b32_e32 v8, 8, v8
	v_or_b32_e32 v9, v9, v5
	v_xor_b32_e32 v7, v6, v4
	v_xor_b32_e32 v81, v9, v8
	v_or_b32_e32 v9, 64, v6
	v_or_b32_e32 v6, 0x60, v6
	v_xor_b32_e32 v9, v9, v4
	v_xor_b32_e32 v4, v6, v4
	v_or_b32_e32 v7, v7, v5
	v_or_b32_e32 v9, v9, v5
	;; [unrolled: 1-line block ×3, first 2 shown]
	v_xor_b32_e32 v79, v7, v8
	v_xor_b32_e32 v82, v9, v8
	;; [unrolled: 1-line block ×3, first 2 shown]
	v_lshrrev_b32_e32 v8, 4, v0
	v_lshlrev_b32_e32 v9, 1, v64
	v_or_b32_e32 v10, 1, v9
	v_xor_b32_e32 v9, v8, v9
	s_lshl_b64 s[0:1], s[40:41], 8
	v_xor_b32_e32 v10, v10, v8
	v_lshlrev_b32_e32 v9, 3, v9
	v_lshlrev_b32_e32 v8, 8, v8
	v_lshlrev_b64 v[4:5], 1, v[46:47]
	s_add_u32 s0, s18, s0
	v_or3_b32 v47, v9, v8, s20
	v_lshlrev_b32_e32 v9, 3, v10
	s_addc_u32 s1, s19, s1
	v_or3_b32 v85, v9, v8, s20
	v_mov_b32_e32 v9, 0
	v_lshrrev_b32_e32 v19, 1, v0
	v_lshl_add_u64 v[10:11], s[0:1], 0, v[8:9]
	v_lshlrev_b32_e32 v8, 4, v64
	s_movk_i32 s0, 0xff
	v_lshlrev_b32_e32 v18, 3, v62
	v_and_b32_e32 v19, 24, v19
	v_lshl_add_u64 v[56:57], v[10:11], 0, v[8:9]
	v_and_b32_e32 v8, 7, v0
	v_and_b32_e32 v11, 8, v0
	v_cmp_lt_u32_e32 vcc, s0, v0
	v_xor_b32_e32 v20, v18, v19
	v_lshlrev_b32_e32 v16, 3, v8
	v_lshlrev_b32_e32 v17, 7, v8
	v_cndmask_b32_e64 v8, 0, 1, vcc
	v_or_b32_e32 v21, 0x440, v20
	v_cmp_eq_u32_e32 vcc, 0, v11
	v_or_b32_e32 v23, 64, v19
	v_xor_b32_e32 v23, v18, v23
	v_cndmask_b32_e32 v11, v21, v20, vcc
	v_or_b32_e32 v21, 32, v19
	v_or_b32_e32 v19, 0x60, v19
	v_xor_b32_e32 v21, v18, v21
	v_xor_b32_e32 v18, v18, v19
	v_or_b32_e32 v22, 0x440, v21
	v_xor_b32_e32 v24, 0x440, v23
	v_xor_b32_e32 v19, 0x440, v18
	v_cndmask_b32_e32 v21, v22, v21, vcc
	v_cndmask_b32_e32 v23, v24, v23, vcc
	;; [unrolled: 1-line block ×3, first 2 shown]
	v_and_b32_e32 v7, 0x78, v65
	v_or_b32_e32 v11, v11, v13
	v_or_b32_e32 v21, v21, v13
	;; [unrolled: 1-line block ×4, first 2 shown]
	v_and_b32_e32 v12, 12, v26
	v_lshl_or_b32 v7, v63, 7, v7
	v_lshlrev_b32_e32 v8, 13, v8
	v_xor_b32_e32 v11, v11, v16
	v_xor_b32_e32 v21, v21, v16
	;; [unrolled: 1-line block ×4, first 2 shown]
	v_or_b32_e32 v80, 0x9000, v7
	v_or_b32_e32 v84, 0x9800, v7
	v_lshl_add_u64 v[6:7], s[8:9], 0, v[4:5]
	v_lshl_add_u64 v[4:5], s[28:29], 0, v[4:5]
	v_lshlrev_b32_e32 v14, 1, v3
	v_add_lshl_u32 v3, v3, s15, 1
	v_or_b32_e32 v15, 0x100, v2
	v_or_b32_e32 v10, v12, v1
	v_add_u32_e32 v20, v8, v11
	v_add_u32_e32 v22, v8, v21
	v_add_u32_e32 v24, v8, v23
	v_add_u32_e32 v16, v8, v13
	v_or3_b32 v12, v1, v12, 64
	v_add_u32_e32 v11, 0x2000, v11
	v_add_u32_e32 v18, 0x2000, v21
	v_add_u32_e32 v19, 0x2000, v23
	v_add_u32_e32 v13, 0x2000, v13
	v_lshlrev_b32_e32 v8, 8, v67
	v_cndmask_b32_e64 v86, v14, v2, s[2:3]
	v_cndmask_b32_e64 v87, v3, v15, s[2:3]
	v_lshl_add_u64 v[58:59], v[6:7], 0, v[8:9]
	v_lshl_add_u64 v[60:61], v[4:5], 0, v[8:9]
	v_lshlrev_b32_e32 v88, 2, v10
	v_add_u32_e32 v89, v20, v17
	v_add_u32_e32 v90, v22, v17
	;; [unrolled: 1-line block ×4, first 2 shown]
	v_lshlrev_b32_e32 v93, 2, v12
	v_add_u32_e32 v94, v11, v17
	v_add_u32_e32 v95, v18, v17
	;; [unrolled: 1-line block ×4, first 2 shown]
	s_waitcnt lgkmcnt(0)
	s_barrier
.LBB579_6:                              ; =>This Inner Loop Header: Depth=1
	s_add_i32 s39, s62, 1
	s_cmp_lt_i32 s39, s50
	s_mov_b64 s[24:25], 0
	s_cselect_b64 s[2:3], -1, 0
	s_cmp_ge_i32 s39, s50
	s_mov_b64 s[20:21], 0
	s_cbranch_scc1 .LBB579_8
; %bb.7:                                ;   in Loop: Header=BB579_6 Depth=1
	s_add_i32 s0, s57, 64
	s_ashr_i32 s1, s0, 31
	s_add_u32 s0, s55, s0
	s_addc_u32 s1, s54, s1
	s_lshl_b64 s[0:1], s[0:1], 8
	s_add_u32 s20, s6, s0
	s_addc_u32 s21, s7, s1
.LBB579_8:                              ;   in Loop: Header=BB579_6 Depth=1
	v_cndmask_b32_e64 v2, 0, 1, s[2:3]
	v_cmp_ne_u32_e64 s[0:1], 1, v2
	s_andn2_b64 vcc, exec, s[2:3]
	s_cbranch_vccnz .LBB579_10
; %bb.9:                                ;   in Loop: Header=BB579_6 Depth=1
	s_add_i32 s2, s57, 64
	s_mul_hi_i32 s3, s2, s14
	s_mul_i32 s2, s2, s14
	s_add_u32 s2, s2, s53
	s_addc_u32 s3, s3, s58
	s_lshl_b64 s[2:3], s[2:3], 8
	s_add_u32 s24, s4, s2
	s_addc_u32 s25, s5, s3
.LBB579_10:                             ;   in Loop: Header=BB579_6 Depth=1
	v_perm_b32 v3, v55, v54, s37
	v_perm_b32 v2, v51, v50, s37
	;; [unrolled: 1-line block ×4, first 2 shown]
	ds_write_b64 v75, v[2:3]
	ds_write_b64 v76, v[4:5]
	;; [unrolled: 1-line block ×4, first 2 shown]
	s_waitcnt lgkmcnt(0)
	s_barrier
	ds_read_b64 v[10:11], v79 offset:16384
	ds_read_b64 v[12:13], v81 offset:16384
	ds_read2st64_b64 v[2:5], v80 offset1:1
	s_waitcnt lgkmcnt(0)
	v_mfma_f32_16x16x16_bf16 a[0:3], v[10:11], v[2:3], 0
	ds_read2st64_b64 v[6:9], v80 offset0:2 offset1:3
	ds_read_b64 v[14:15], v82 offset:16384
	ds_read_b64 v[2:3], v83 offset:16384
	s_add_i32 s41, s57, 63
	v_mfma_f32_16x16x16_bf16 a[0:3], v[12:13], v[4:5], a[0:3]
	s_ashr_i32 s2, s41, 31
	s_mul_i32 s3, s41, s31
	s_mul_hi_u32 s27, s41, s30
	s_waitcnt lgkmcnt(1)
	v_mfma_f32_16x16x16_bf16 a[0:3], v[14:15], v[6:7], a[0:3]
	s_add_i32 s3, s27, s3
	s_mul_i32 s2, s2, s30
	s_add_i32 s3, s3, s2
	s_mul_i32 s2, s41, s30
	s_waitcnt lgkmcnt(0)
	v_mfma_f32_16x16x16_bf16 a[0:3], v[2:3], v[8:9], a[0:3]
	s_lshl_b64 s[2:3], s[2:3], 2
	s_add_u32 s2, s42, s2
	s_addc_u32 s3, s43, s3
	s_and_b64 vcc, exec, s[0:1]
	v_mov_b32_e32 v101, 0
	v_mov_b32_e32 v100, 0
	;; [unrolled: 1-line block ×19, first 2 shown]
	s_cbranch_vccnz .LBB579_12
; %bb.11:                               ;   in Loop: Header=BB579_6 Depth=1
	s_and_b32 s21, s21, 0xffff
	buffer_load_dwordx4 v[14:17], v71, s[20:23], 0 offen
	buffer_load_dwordx4 v[10:13], v71, s[20:23], s59 offen
	;; [unrolled: 1-line block ×4, first 2 shown]
	v_mov_b32_e32 v100, v73
	v_mov_b32_e32 v99, v74
.LBB579_12:                             ;   in Loop: Header=BB579_6 Depth=1
	v_add_u32_e32 v22, s57, v67
	v_ashrrev_i32_e32 v18, 31, v22
	v_mul_lo_u32 v20, v18, s30
	v_mul_lo_u32 v21, v22, s31
	v_mad_u64_u32 v[18:19], s[20:21], v22, s30, 0
	v_add3_u32 v19, v19, v21, v20
	v_lshl_add_u64 v[18:19], v[18:19], 2, s[42:43]
	global_load_dword v34, v[18:19], off
	v_add_u32_e32 v18, 1, v22
	v_ashrrev_i32_e32 v19, 31, v18
	v_mul_lo_u32 v20, v19, s30
	v_mul_lo_u32 v21, v18, s31
	v_mad_u64_u32 v[18:19], s[20:21], v18, s30, 0
	v_add3_u32 v19, v19, v21, v20
	v_add_u32_e32 v20, 2, v22
	v_ashrrev_i32_e32 v21, 31, v20
	v_mul_lo_u32 v23, v21, s30
	v_mul_lo_u32 v24, v20, s31
	v_mad_u64_u32 v[20:21], s[20:21], v20, s30, 0
	v_add_u32_e32 v22, 3, v22
	v_add3_u32 v21, v21, v24, v23
	v_ashrrev_i32_e32 v23, 31, v22
	v_mul_lo_u32 v26, v23, s30
	v_mul_lo_u32 v27, v22, s31
	v_mad_u64_u32 v[22:23], s[20:21], v22, s30, 0
	s_ashr_i32 s21, s57, 31
	s_add_u32 s20, s55, s57
	s_addc_u32 s21, s54, s21
	s_lshl_b64 s[20:21], s[20:21], 8
	v_lshl_add_u64 v[18:19], v[18:19], 2, s[42:43]
	v_lshl_add_u64 v[24:25], v[58:59], 0, s[20:21]
	v_add3_u32 v23, v23, v27, v26
	v_lshl_add_u64 v[20:21], v[20:21], 2, s[42:43]
	global_load_ushort v35, v[24:25], off
	global_load_ushort v36, v[24:25], off offset:256
	global_load_ushort v37, v[24:25], off offset:512
	;; [unrolled: 1-line block ×3, first 2 shown]
	v_lshl_add_u64 v[22:23], v[22:23], 2, s[42:43]
	global_load_dword v39, v[18:19], off
	global_load_dword v40, v[20:21], off
	;; [unrolled: 1-line block ×3, first 2 shown]
	ds_read_b64 v[22:23], v79 offset:24576
	ds_read_b64 v[28:29], v81 offset:24576
	ds_read2st64_b64 v[18:21], v84 offset1:1
	s_waitcnt lgkmcnt(0)
	v_mfma_f32_16x16x16_bf16 a[0:3], v[22:23], v[18:19], a[0:3]
	s_load_dword s2, s[2:3], 0x0
	ds_read2st64_b64 v[24:27], v84 offset0:2 offset1:3
	ds_read_b64 v[30:31], v82 offset:24576
	ds_read_b64 v[32:33], v83 offset:24576
	v_mov_b32_e32 v102, 0
	v_mfma_f32_16x16x16_bf16 a[0:3], v[28:29], v[20:21], a[0:3]
	v_mov_b32_e32 v18, 0
	v_mov_b32_e32 v19, 0
	;; [unrolled: 1-line block ×3, first 2 shown]
	s_waitcnt lgkmcnt(0)
	v_mfma_f32_16x16x16_bf16 a[0:3], v[30:31], v[24:25], a[0:3]
	v_lshl_add_u64 v[24:25], v[60:61], 0, s[20:21]
	v_mov_b32_e32 v21, 0
	v_mov_b32_e32 v22, 0
	v_mfma_f32_16x16x16_bf16 a[0:3], v[32:33], v[26:27], a[0:3]
	v_mov_b32_e32 v23, 0
	s_and_b64 vcc, exec, s[0:1]
	s_waitcnt vmcnt(7)
	v_sub_f32_e32 v34, s2, v34
	s_nop 2
	v_accvgpr_read_b32 v29, a1
	v_accvgpr_read_b32 v27, a3
	;; [unrolled: 1-line block ×4, first 2 shown]
	v_mul_f32_e32 v34, 0x3fb8aa3b, v34
	s_waitcnt vmcnt(6)
	v_lshlrev_b32_e32 v30, 16, v35
	s_waitcnt vmcnt(5)
	v_lshlrev_b32_e32 v31, 16, v36
	;; [unrolled: 2-line block ×4, first 2 shown]
	s_waitcnt vmcnt(2)
	v_sub_f32_e32 v35, s2, v39
	s_waitcnt vmcnt(1)
	v_sub_f32_e32 v36, s2, v40
	;; [unrolled: 2-line block ×3, first 2 shown]
	v_pk_add_f32 v[28:29], v[30:31], v[28:29] neg_lo:[0,1] neg_hi:[0,1]
	v_pk_add_f32 v[26:27], v[32:33], v[26:27] neg_lo:[0,1] neg_hi:[0,1]
	v_mul_f32_e32 v31, 0x3fb8aa3b, v35
	v_mul_f32_e32 v32, 0x3fb8aa3b, v36
	;; [unrolled: 1-line block ×3, first 2 shown]
	v_exp_f32_e32 v30, v34
	v_exp_f32_e32 v31, v31
	v_exp_f32_e32 v32, v32
	v_exp_f32_e32 v33, v33
	global_store_short_d16_hi v[24:25], v28, off
	global_store_short_d16_hi v[24:25], v29, off offset:256
	global_store_short_d16_hi v[24:25], v26, off offset:512
	;; [unrolled: 1-line block ×3, first 2 shown]
	v_pk_mul_f32 v[24:25], v[30:31], v[28:29]
	v_pk_mul_f32 v[26:27], v[32:33], v[26:27]
	v_perm_b32 v24, v25, v24, s37
	v_perm_b32 v25, v27, v26, s37
	ds_write_b64 v76, v[24:25]
	v_mov_b32_e32 v24, 0
	v_mov_b32_e32 v25, 0
	;; [unrolled: 1-line block ×10, first 2 shown]
	s_cbranch_vccnz .LBB579_14
; %bb.13:                               ;   in Loop: Header=BB579_6 Depth=1
	s_and_b32 s25, s25, 0xffff
	s_mov_b32 s27, s23
	buffer_load_dwordx4 v[30:33], v86, s[24:27], 0 offen
	buffer_load_dwordx4 v[22:25], v86, s[24:27], s59 offen
	;; [unrolled: 1-line block ×4, first 2 shown]
	v_mov_b32_e32 v101, v70
	v_mov_b32_e32 v102, v69
.LBB579_14:                             ;   in Loop: Header=BB579_6 Depth=1
	s_waitcnt lgkmcnt(0)
	s_barrier
	ds_read_b64 v[34:35], v89
	ds_read_b64 v[40:41], v90
	ds_read2st64_b64 v[36:39], v84 offset1:1
	ds_read2st64_b64 v[104:107], v84 offset0:2 offset1:3
	ds_read_b64 v[42:43], v91
	ds_read_b64 v[112:113], v92
	s_add_i32 s3, s56, s62
	s_mul_hi_i32 s21, s3, s13
	s_mul_i32 s3, s3, s13
	s_waitcnt lgkmcnt(3)
	v_mfma_f32_16x16x16_bf16 a[0:3], v[34:35], v[36:37], 0
	ds_read_b64 v[34:35], v94
	s_add_u32 s20, s3, s49
	s_addc_u32 s21, s21, s51
	v_mfma_f32_16x16x16_bf16 a[0:3], v[40:41], v[38:39], a[0:3]
	ds_read_b64 v[40:41], v95
	s_lshl_b64 s[20:21], s[20:21], 15
	s_mul_i32 s24, s41, s13
	s_mul_hi_i32 s3, s41, s13
	s_add_u32 s24, s24, s49
	s_addc_u32 s25, s3, s51
	s_lshl_b64 s[24:25], s[24:25], 9
	s_add_u32 s24, s16, s24
	s_waitcnt lgkmcnt(1)
	v_mfma_f32_16x16x16_bf16 a[4:7], v[34:35], v[36:37], 0
	s_addc_u32 s25, s17, s25
	s_and_b64 vcc, exec, s[0:1]
	v_mfma_f32_16x16x16_bf16 a[0:3], v[42:43], v[104:105], a[0:3]
	ds_read_b64 v[42:43], v96
	ds_read_b64 v[114:115], v97
	global_load_dwordx4 v[34:37], v93, s[24:25]
	s_waitcnt lgkmcnt(2)
	v_mfma_f32_16x16x16_bf16 a[4:7], v[40:41], v[38:39], a[4:7]
	global_load_dwordx4 v[38:41], v88, s[24:25]
	ds_read_b64 v[108:109], v47
	ds_read_b64 v[110:111], v85
	s_waitcnt lgkmcnt(3)
	v_mfma_f32_16x16x16_bf16 a[8:11], v[42:43], v[104:105], a[4:7]
	v_lshl_add_u64 v[42:43], v[56:57], 0, s[20:21]
	s_waitcnt lgkmcnt(0)
	global_store_dwordx4 v[42:43], v[108:111], off
	v_mfma_f32_16x16x16_bf16 a[4:7], v[112:113], v[106:107], a[0:3]
	s_waitcnt vmcnt(2)
	v_mov_b32_e32 v44, v37
	v_mfma_f32_16x16x16_bf16 a[0:3], v[114:115], v[106:107], a[8:11]
	v_mov_b32_e32 v43, v36
	v_mov_b32_e32 v42, v35
	s_cbranch_vccnz .LBB579_16
; %bb.15:                               ;   in Loop: Header=BB579_6 Depth=1
	v_lshrrev_b32_e32 v35, 3, v101
	v_and_b32_e32 v35, 6, v35
	v_xor_b32_e32 v36, v35, v102
	v_lshlrev_b32_e32 v36, 2, v36
	v_and_b32_e32 v37, 8, v101
	v_xor_b32_e32 v101, 0x440, v36
	v_cmp_eq_u32_e32 vcc, 0, v37
	v_perm_b32 v37, v22, v18, s60
	s_nop 0
	v_cndmask_b32_e32 v36, v101, v36, vcc
	v_lshl_or_b32 v35, v35, 10, v36
	v_perm_b32 v36, v30, v26, s60
	s_barrier
	ds_write2st64_b32 v35, v36, v37 offset1:32
	v_xor_b32_e32 v36, 8, v35
	v_perm_b32 v26, v30, v26, s61
	v_perm_b32 v18, v22, v18, s61
	v_add_u32_e32 v22, 0x80, v36
	ds_write2st64_b32 v22, v26, v18 offset1:32
	v_xor_b32_e32 v18, 16, v35
	v_perm_b32 v22, v31, v27, s60
	v_perm_b32 v26, v23, v19, s60
	ds_write2st64_b32 v18, v22, v26 offset0:1 offset1:33
	v_xor_b32_e32 v18, 24, v35
	v_perm_b32 v22, v31, v27, s61
	v_perm_b32 v19, v23, v19, s61
	v_add_u32_e32 v18, 0x80, v18
	ds_write2st64_b32 v18, v22, v19 offset0:1 offset1:33
	v_xor_b32_e32 v18, 32, v35
	v_perm_b32 v19, v32, v28, s60
	v_perm_b32 v22, v24, v20, s60
	ds_write2st64_b32 v18, v19, v22 offset0:2 offset1:34
	v_xor_b32_e32 v18, 40, v35
	v_perm_b32 v19, v32, v28, s61
	v_perm_b32 v20, v24, v20, s61
	v_add_u32_e32 v18, 0x80, v18
	ds_write2st64_b32 v18, v19, v20 offset0:2 offset1:34
	;; [unrolled: 9-line block ×3, first 2 shown]
	ds_write_b64 v100, v[14:15] offset:16384
	v_xor_b32_e32 v14, 8, v100
	ds_write_b64 v14, v[16:17] offset:16384
	ds_write_b64 v100, v[10:11] offset:24576
	;; [unrolled: 1-line block ×4, first 2 shown]
	v_xor_b32_e32 v6, 8, v99
	ds_write_b64 v6, v[8:9] offset:16384
	ds_write_b64 v99, v[2:3] offset:24576
	;; [unrolled: 1-line block ×3, first 2 shown]
.LBB579_16:                             ;   in Loop: Header=BB579_6 Depth=1
	v_mul_f32_e32 v6, s2, v98
	v_exp_f32_e32 v10, v6
	s_waitcnt vmcnt(1)
	v_mul_f32_e32 v6, 0x3fb8aa3b, v38
	v_exp_f32_e32 v12, v6
	v_mul_f32_e32 v6, 0x3fb8aa3b, v39
	v_exp_f32_e32 v13, v6
	v_mul_f32_e32 v6, 0x3fb8aa3b, v40
	v_exp_f32_e32 v14, v6
	v_mul_f32_e32 v6, 0x3fb8aa3b, v41
	v_exp_f32_e32 v15, v6
	v_accvgpr_read_b32 v2, a4
	v_accvgpr_read_b32 v3, a5
	v_pk_mul_f32 v[12:13], v[10:11], v[12:13] op_sel_hi:[0,1]
	v_pk_fma_f32 v[50:51], v[50:51], v[12:13], v[2:3]
	v_pk_mul_f32 v[2:3], v[10:11], v[14:15] op_sel_hi:[0,1]
	v_mul_f32_e32 v11, 0x3fb8aa3b, v34
	v_exp_f32_e32 v12, v11
	v_mul_f32_e32 v11, 0x3fb8aa3b, v42
	v_exp_f32_e32 v13, v11
	;; [unrolled: 2-line block ×4, first 2 shown]
	v_accvgpr_read_b32 v4, a6
	v_accvgpr_read_b32 v5, a7
	;; [unrolled: 1-line block ×5, first 2 shown]
	v_pk_fma_f32 v[54:55], v[54:55], v[2:3], v[4:5]
	v_pk_mul_f32 v[2:3], v[10:11], v[12:13] op_sel_hi:[0,1]
	v_accvgpr_read_b32 v8, a2
	v_pk_fma_f32 v[48:49], v[48:49], v[2:3], v[6:7]
	v_pk_mul_f32 v[2:3], v[10:11], v[14:15] op_sel_hi:[0,1]
	s_add_i32 s57, s57, 64
	s_cmp_eq_u32 s50, s39
	v_pk_fma_f32 v[52:53], v[52:53], v[2:3], v[8:9]
	s_cbranch_scc1 .LBB579_18
; %bb.17:                               ;   in Loop: Header=BB579_6 Depth=1
	s_mov_b32 s62, s39
	s_branch .LBB579_6
.LBB579_18:
	s_lshl_b32 s26, s50, 6
	s_sub_i32 s27, s52, s26
	s_cmp_gt_i32 s27, 0
	s_cbranch_scc0 .LBB579_75
; %bb.19:
	s_add_i32 s26, s26, s34
	s_ashr_i32 s2, s26, 31
	s_cmpk_lg_i32 s15, 0x80
	s_cselect_b64 s[22:23], -1, 0
	s_and_b64 vcc, exec, s[22:23]
	s_cbranch_vccz .LBB579_21
; %bb.20:
	s_mul_i32 s1, s26, s14
	s_ashr_i32 s3, s53, 31
	s_mul_hi_i32 s0, s26, s14
	s_add_u32 s24, s1, s53
	s_addc_u32 s25, s0, s3
	s_cbranch_execz .LBB579_22
	s_branch .LBB579_23
.LBB579_21:
                                        ; implicit-def: $sgpr24_sgpr25
.LBB579_22:
	s_mul_i32 s1, s53, s12
	s_mul_hi_i32 s0, s53, s12
	s_add_u32 s24, s1, s26
	s_addc_u32 s25, s0, s2
.LBB579_23:
	s_add_i32 s3, s50, s56
	s_add_u32 s0, s55, s26
	s_addc_u32 s1, s54, s2
	s_mov_b32 s2, 0x7060302
	v_lshlrev_b32_e32 v6, 3, v64
	s_lshl_b64 s[20:21], s[0:1], 8
	v_perm_b32 v3, v55, v54, s2
	v_perm_b32 v2, v51, v50, s2
	v_perm_b32 v5, v53, v52, s2
	v_perm_b32 v4, v49, v48, s2
	v_lshlrev_b32_e32 v34, 2, v64
	v_lshl_or_b32 v6, v67, 5, v6
	s_add_u32 s0, s6, s20
	ds_write2st64_b64 v6, v[2:3], v[4:5] offset0:72 offset1:76
	v_xor_b32_e32 v6, v67, v34
	v_lshlrev_b32_e32 v7, 8, v64
	s_addc_u32 s1, s7, s21
	v_lshl_or_b32 v6, v6, 1, v7
	s_mul_hi_i32 s6, s3, s13
	s_mul_i32 s3, s3, s13
	ds_write_b64 v6, v[2:3] offset:32768
	v_xor_b32_e32 v2, v68, v34
	s_add_u32 s2, s3, s49
	v_lshl_or_b32 v2, v2, 1, v7
	s_addc_u32 s3, s6, s51
	v_lshlrev_b32_e32 v3, 1, v64
	ds_write_b64 v2, v[4:5] offset:32768
	v_lshrrev_b32_e32 v2, 4, v0
	s_ashr_i32 s41, s40, 31
	s_lshl_b64 s[2:3], s[2:3], 15
	v_or_b32_e32 v4, 1, v3
	s_add_u32 s6, s18, s2
	v_xor_b32_e32 v3, v2, v3
	v_xor_b32_e32 v4, v4, v2
	v_lshlrev_b32_e32 v6, 8, v2
	s_addc_u32 s7, s19, s3
	s_lshl_b64 s[2:3], s[40:41], 8
	v_lshl_or_b32 v2, v3, 3, v6
	v_lshl_or_b32 v4, v4, 3, v6
	s_waitcnt lgkmcnt(0)
	s_barrier
	s_add_u32 s2, s6, s2
	ds_read_b64 v[2:3], v2 offset:32768
	ds_read_b64 v[4:5], v4 offset:32768
	s_addc_u32 s3, s7, s3
	v_mov_b32_e32 v7, 0
	s_cmp_lg_u32 s27, 64
	v_lshl_add_u64 v[8:9], s[2:3], 0, v[6:7]
	v_lshlrev_b32_e32 v6, 4, v64
	s_cselect_b64 s[6:7], -1, 0
	v_lshl_or_b32 v35, v62, 3, v66
	s_mov_b32 s16, 0
	v_lshl_add_u64 v[6:7], v[8:9], 0, v[6:7]
	v_or_b32_e32 v19, 32, v35
	v_and_b32_e32 v18, 56, v65
	s_and_b64 vcc, exec, s[6:7]
	s_waitcnt lgkmcnt(0)
	global_store_dwordx4 v[6:7], v[2:5], off
	s_cbranch_vccz .LBB579_29
; %bb.24:
	s_mov_b32 s17, s16
	s_mov_b32 s18, s16
	;; [unrolled: 1-line block ×3, first 2 shown]
	v_mov_b64_e32 v[6:7], s[16:17]
	v_mov_b64_e32 v[8:9], s[18:19]
	;; [unrolled: 1-line block ×3, first 2 shown]
	v_cmp_gt_i32_e32 vcc, s27, v35
	v_mov_b64_e32 v[4:5], v[8:9]
	s_and_saveexec_b64 s[2:3], vcc
	s_cbranch_execz .LBB579_26
; %bb.25:
	v_lshlrev_b32_e32 v2, 8, v35
	v_mov_b32_e32 v3, 0
	v_lshl_add_u64 v[4:5], s[0:1], 0, v[2:3]
	v_lshlrev_b32_e32 v2, 1, v18
	v_lshl_add_u64 v[10:11], v[4:5], 0, v[2:3]
	global_load_dwordx4 v[6:9], v[10:11], off
	global_load_dwordx4 v[2:5], v[10:11], off offset:128
.LBB579_26:
	s_or_b64 exec, exec, s[2:3]
	s_mov_b32 s17, s16
	s_mov_b32 s18, s16
	;; [unrolled: 1-line block ×3, first 2 shown]
	v_mov_b64_e32 v[14:15], s[16:17]
	v_mov_b64_e32 v[16:17], s[18:19]
	;; [unrolled: 1-line block ×3, first 2 shown]
	v_cmp_gt_i32_e32 vcc, s27, v19
	v_lshlrev_b32_e32 v20, 7, v19
	v_mov_b64_e32 v[12:13], v[16:17]
	s_and_saveexec_b64 s[2:3], vcc
	s_cbranch_execz .LBB579_28
; %bb.27:
	v_lshlrev_b32_e32 v10, 1, v20
	v_mov_b32_e32 v11, 0
	v_lshl_add_u64 v[12:13], s[0:1], 0, v[10:11]
	v_lshlrev_b32_e32 v10, 1, v18
	v_lshl_add_u64 v[22:23], v[12:13], 0, v[10:11]
	global_load_dwordx4 v[14:17], v[22:23], off
	global_load_dwordx4 v[10:13], v[22:23], off offset:128
.LBB579_28:
	s_or_b64 exec, exec, s[2:3]
	v_lshrrev_b32_e32 v21, 3, v18
	v_lshlrev_b32_e32 v22, 3, v35
	v_or_b32_e32 v21, v22, v21
	v_lshlrev_b32_e32 v21, 4, v21
	v_and_b32_e32 v22, 0x78, v22
	v_xor_b32_e32 v21, v21, v22
	s_branch .LBB579_31
.LBB579_29:
                                        ; implicit-def: $vgpr21
                                        ; implicit-def: $vgpr20
                                        ; implicit-def: $vgpr6_vgpr7_vgpr8_vgpr9
                                        ; implicit-def: $vgpr2_vgpr3_vgpr4_vgpr5
                                        ; implicit-def: $vgpr14_vgpr15_vgpr16_vgpr17
                                        ; implicit-def: $vgpr10_vgpr11_vgpr12_vgpr13
	s_cbranch_execz .LBB579_31
; %bb.30:
	s_waitcnt vmcnt(0)
	v_lshlrev_b32_e32 v2, 1, v18
	v_lshl_or_b32 v20, v35, 8, v2
	s_and_b32 s1, s1, 0xffff
	s_mov_b32 s3, 0x20000
	s_movk_i32 s2, 0x4000
	v_lshl_or_b32 v21, v19, 8, v2
	s_movk_i32 s12, 0x80
	buffer_load_dwordx4 v[6:9], v20, s[0:3], 0 offen
	buffer_load_dwordx4 v[2:5], v20, s[0:3], s12 offen
	buffer_load_dwordx4 v[14:17], v21, s[0:3], 0 offen
	buffer_load_dwordx4 v[10:13], v21, s[0:3], s12 offen
	v_lshrrev_b32_e32 v20, 3, v18
	v_lshlrev_b32_e32 v21, 3, v35
	v_or_b32_e32 v20, v21, v20
	v_lshlrev_b32_e32 v20, 4, v20
	v_and_b32_e32 v21, 0x78, v21
	v_xor_b32_e32 v21, v20, v21
	v_lshlrev_b32_e32 v20, 7, v19
.LBB579_31:
	s_lshl_b64 s[0:1], s[24:25], 8
	s_add_u32 s4, s4, s0
	s_movk_i32 s0, 0x1000
	v_and_or_b32 v19, v20, s0, v21
	s_waitcnt vmcnt(1)
	ds_write_b64 v21, v[6:7] offset:16384
	v_xor_b32_e32 v6, 8, v21
	ds_write_b64 v6, v[8:9] offset:16384
	s_waitcnt vmcnt(0)
	ds_write_b64 v21, v[2:3] offset:24576
	ds_write_b64 v6, v[4:5] offset:24576
	;; [unrolled: 1-line block ×3, first 2 shown]
	v_xor_b32_e32 v2, 8, v19
	ds_write_b64 v2, v[16:17] offset:16384
	ds_write_b64 v19, v[10:11] offset:24576
	ds_write_b64 v2, v[12:13] offset:24576
	v_or_b32_e32 v2, v1, v64
	v_lshlrev_b32_e32 v2, 3, v2
	v_lshrrev_b32_e32 v4, 5, v45
	s_movk_i32 s12, 0xf8
	v_and_or_b32 v4, v2, s12, v4
	v_lshlrev_b32_e32 v3, 11, v62
	v_lshlrev_b32_e32 v12, 4, v4
	v_and_b32_e32 v13, 0x78, v2
	v_and_b32_e32 v14, 0x1000, v3
	v_lshlrev_b32_e32 v3, 2, v0
	v_xor_b32_e32 v2, v12, v13
	v_lshrrev_b32_e32 v4, 1, v45
	v_and_b32_e32 v3, 60, v3
	v_or_b32_e32 v2, v2, v14
	v_and_b32_e32 v15, 8, v4
	v_xor_b32_e32 v26, v2, v15
	v_lshl_or_b32 v2, v63, 6, v3
	v_lshlrev_b32_e32 v19, 1, v2
	v_or_b32_e32 v2, 32, v12
	v_xor_b32_e32 v2, v2, v13
	s_waitcnt lgkmcnt(0)
	s_barrier
	ds_read_b64 v[10:11], v26 offset:16384
	v_or_b32_e32 v2, v2, v14
	v_xor_b32_e32 v27, v2, v15
	v_or_b32_e32 v2, 64, v12
	v_xor_b32_e32 v2, v2, v13
	v_or_b32_e32 v2, v2, v14
	v_or_b32_e32 v12, 0x60, v12
	v_xor_b32_e32 v28, v2, v15
	ds_read2st64_b64 v[2:5], v19 offset0:72 offset1:73
	ds_read2st64_b64 v[6:9], v19 offset0:74 offset1:75
	v_xor_b32_e32 v16, v12, v13
	ds_read_b64 v[12:13], v27 offset:16384
	s_addc_u32 s5, s5, s1
	s_add_i32 s1, s44, s33
	s_waitcnt lgkmcnt(2)
	v_mfma_f32_16x16x16_bf16 a[0:3], v[10:11], v[2:3], 0
	s_add_i32 s0, s35, -1
	s_add_i32 s39, s1, s45
	s_add_i32 s1, s47, s46
	;; [unrolled: 1-line block ×3, first 2 shown]
	s_ashr_i32 s1, s0, 31
	s_mul_i32 s2, s0, s31
	s_mul_hi_u32 s3, s0, s30
	s_add_i32 s2, s3, s2
	s_mul_i32 s1, s1, s30
	v_or_b32_e32 v14, v16, v14
	s_add_i32 s1, s2, s1
	s_lshl_b64 s[2:3], s[38:39], 2
	v_xor_b32_e32 v36, v14, v15
	ds_read_b64 v[14:15], v28 offset:16384
	ds_read_b64 v[16:17], v36 offset:16384
	s_waitcnt lgkmcnt(2)
	v_mfma_f32_16x16x16_bf16 a[0:3], v[12:13], v[4:5], a[0:3]
	s_add_u32 s10, s10, s2
	s_addc_u32 s11, s11, s3
	s_lshl_b64 s[2:3], s[36:37], 2
	s_mul_i32 s0, s0, s30
	s_add_u32 s10, s10, s2
	s_addc_u32 s11, s11, s3
	s_lshl_b64 s[0:1], s[0:1], 2
	s_waitcnt lgkmcnt(1)
	v_mfma_f32_16x16x16_bf16 a[0:3], v[14:15], v[6:7], a[0:3]
	s_add_u32 s0, s10, s0
	s_addc_u32 s1, s11, s1
	s_load_dword s12, s[0:1], 0x0
	s_waitcnt lgkmcnt(0)
	v_mfma_f32_16x16x16_bf16 a[0:3], v[16:17], v[8:9], a[0:3]
	s_and_b64 vcc, exec, s[22:23]
	s_cbranch_vccz .LBB579_42
; %bb.32:
	v_lshlrev_b32_e32 v20, 1, v35
	s_and_b64 vcc, exec, s[6:7]
	s_cbranch_vccz .LBB579_43
; %bb.33:
	v_cmp_gt_i32_e32 vcc, s27, v20
	v_mov_b32_e32 v6, 0
	v_mov_b32_e32 v2, 0
	;; [unrolled: 1-line block ×5, first 2 shown]
	s_and_saveexec_b64 s[0:1], vcc
	s_cbranch_execz .LBB579_35
; %bb.34:
	v_mad_i64_i32 v[2:3], s[2:3], s15, v20, 0
	v_lshl_add_u64 v[2:3], v[2:3], 1, s[4:5]
	v_lshlrev_b32_e32 v4, 1, v18
	v_mov_b32_e32 v5, 0
	v_lshl_add_u64 v[2:3], v[2:3], 0, v[4:5]
	global_load_dwordx4 v[2:5], v[2:3], off
.LBB579_35:
	s_or_b64 exec, exec, s[0:1]
	v_or_b32_e32 v21, 1, v20
	v_cmp_gt_i32_e64 s[0:1], s27, v21
	v_mov_b32_e32 v7, 0
	v_mov_b32_e32 v8, 0
	;; [unrolled: 1-line block ×3, first 2 shown]
	s_and_saveexec_b64 s[2:3], s[0:1]
	s_cbranch_execz .LBB579_37
; %bb.36:
	v_mad_i64_i32 v[6:7], s[16:17], s15, v21, 0
	v_lshl_add_u64 v[6:7], v[6:7], 1, s[4:5]
	v_lshlrev_b32_e32 v8, 1, v18
	v_mov_b32_e32 v9, 0
	v_lshl_add_u64 v[6:7], v[6:7], 0, v[8:9]
	global_load_dwordx4 v[6:9], v[6:7], off
.LBB579_37:
	s_or_b64 exec, exec, s[2:3]
	v_mov_b32_e32 v17, 0
	v_mov_b32_e32 v10, 0
	;; [unrolled: 1-line block ×5, first 2 shown]
	s_and_saveexec_b64 s[2:3], vcc
	s_cbranch_execz .LBB579_39
; %bb.38:
	v_mad_i64_i32 v[10:11], s[16:17], s15, v20, 0
	v_lshl_add_u64 v[10:11], v[10:11], 1, s[4:5]
	v_lshlrev_b32_e32 v12, 1, v18
	v_mov_b32_e32 v13, 0
	v_lshl_add_u64 v[10:11], v[10:11], 0, v[12:13]
	global_load_dwordx4 v[10:13], v[10:11], off offset:128
.LBB579_39:
	s_or_b64 exec, exec, s[2:3]
	v_mov_b32_e32 v16, 0
	v_mov_b32_e32 v15, 0
	;; [unrolled: 1-line block ×3, first 2 shown]
	s_and_saveexec_b64 s[2:3], s[0:1]
	s_cbranch_execz .LBB579_41
; %bb.40:
	v_mad_i64_i32 v[14:15], s[0:1], s15, v21, 0
	v_lshl_add_u64 v[14:15], v[14:15], 1, s[4:5]
	v_lshlrev_b32_e32 v16, 1, v18
	v_mov_b32_e32 v17, 0
	v_lshl_add_u64 v[14:15], v[14:15], 0, v[16:17]
	global_load_dwordx4 v[14:17], v[14:15], off offset:128
.LBB579_41:
	s_or_b64 exec, exec, s[2:3]
	s_branch .LBB579_45
.LBB579_42:
                                        ; implicit-def: $vgpr5
                                        ; implicit-def: $vgpr9
                                        ; implicit-def: $vgpr13
                                        ; implicit-def: $vgpr17
	v_lshrrev_b32_e32 v37, 2, v45
	s_branch .LBB579_46
.LBB579_43:
                                        ; implicit-def: $vgpr5
                                        ; implicit-def: $vgpr9
                                        ; implicit-def: $vgpr13
                                        ; implicit-def: $vgpr17
	s_cbranch_execz .LBB579_45
; %bb.44:
	s_waitcnt vmcnt(0)
	v_mad_u64_u32 v[2:3], s[0:1], v20, s15, v[18:19]
	v_lshlrev_b32_e32 v20, 1, v2
	s_lshl_b32 s2, s15, 7
	s_and_b32 s1, s5, 0xffff
	s_mov_b32 s3, 0x20000
	s_mov_b32 s0, s4
	v_add_lshl_u32 v21, v2, s15, 1
	s_movk_i32 s13, 0x80
	buffer_load_dwordx4 v[2:5], v20, s[0:3], 0 offen
	buffer_load_dwordx4 v[10:13], v20, s[0:3], s13 offen
	;; [unrolled: 1-line block ×4, first 2 shown]
.LBB579_45:
	v_lshrrev_b32_e32 v37, 2, v45
	s_cbranch_execnz .LBB579_58
.LBB579_46:
	s_and_b64 vcc, exec, s[6:7]
	s_cbranch_vccz .LBB579_56
; %bb.47:
	s_waitcnt vmcnt(0)
	v_lshlrev_b32_e32 v7, 1, v35
	v_cmp_gt_i32_e32 vcc, s27, v7
	v_mov_b32_e32 v6, 0
	v_lshlrev_b32_e32 v14, 9, v35
	v_mov_b32_e32 v2, 0
	v_mov_b32_e32 v3, 0
	;; [unrolled: 1-line block ×4, first 2 shown]
	s_and_saveexec_b64 s[0:1], vcc
	s_cbranch_execz .LBB579_49
; %bb.48:
	v_mov_b32_e32 v15, 0
	v_lshl_add_u64 v[2:3], s[4:5], 0, v[14:15]
	v_lshlrev_b32_e32 v4, 1, v18
	v_mov_b32_e32 v5, v15
	v_lshl_add_u64 v[2:3], v[2:3], 0, v[4:5]
	global_load_dwordx4 v[2:5], v[2:3], off
.LBB579_49:
	s_or_b64 exec, exec, s[0:1]
	v_or_b32_e32 v7, 1, v7
	v_cmp_gt_i32_e64 s[0:1], s27, v7
	v_lshlrev_b32_e32 v20, 8, v7
	v_mov_b32_e32 v7, 0
	v_mov_b32_e32 v8, 0
	;; [unrolled: 1-line block ×3, first 2 shown]
	s_and_saveexec_b64 s[2:3], s[0:1]
	s_cbranch_execz .LBB579_51
; %bb.50:
	v_mov_b32_e32 v21, 0
	v_lshl_add_u64 v[6:7], s[4:5], 0, v[20:21]
	v_lshlrev_b32_e32 v8, 1, v18
	v_mov_b32_e32 v9, v21
	v_lshl_add_u64 v[6:7], v[6:7], 0, v[8:9]
	global_load_dwordx4 v[6:9], v[6:7], off
.LBB579_51:
	s_or_b64 exec, exec, s[2:3]
	v_mov_b32_e32 v17, 0
	v_mov_b32_e32 v10, 0
	;; [unrolled: 1-line block ×5, first 2 shown]
	s_and_saveexec_b64 s[2:3], vcc
	s_cbranch_execz .LBB579_53
; %bb.52:
	v_mov_b32_e32 v15, 0
	v_lshl_add_u64 v[10:11], s[4:5], 0, v[14:15]
	v_lshlrev_b32_e32 v14, 1, v18
	v_lshl_add_u64 v[10:11], v[10:11], 0, v[14:15]
	global_load_dwordx4 v[10:13], v[10:11], off offset:128
.LBB579_53:
	s_or_b64 exec, exec, s[2:3]
	v_mov_b32_e32 v16, 0
	v_mov_b32_e32 v15, 0
	;; [unrolled: 1-line block ×3, first 2 shown]
	s_and_saveexec_b64 s[2:3], s[0:1]
	s_cbranch_execz .LBB579_55
; %bb.54:
	v_mov_b32_e32 v21, 0
	v_lshl_add_u64 v[14:15], s[4:5], 0, v[20:21]
	v_lshlrev_b32_e32 v20, 1, v18
	v_lshl_add_u64 v[14:15], v[14:15], 0, v[20:21]
	global_load_dwordx4 v[14:17], v[14:15], off offset:128
.LBB579_55:
	s_or_b64 exec, exec, s[2:3]
	s_branch .LBB579_58
.LBB579_56:
                                        ; implicit-def: $vgpr5
                                        ; implicit-def: $vgpr9
                                        ; implicit-def: $vgpr13
                                        ; implicit-def: $vgpr17
	s_cbranch_execz .LBB579_58
; %bb.57:
	s_waitcnt vmcnt(0)
	v_lshlrev_b32_e32 v2, 1, v18
	v_lshl_or_b32 v18, v35, 9, v2
	s_and_b32 s5, s5, 0xffff
	s_mov_b32 s7, 0x20000
	s_movk_i32 s6, 0x4000
	s_movk_i32 s0, 0x80
	buffer_load_dwordx4 v[2:5], v18, s[4:7], 0 offen
	buffer_load_dwordx4 v[6:9], v18, s[4:7], 0 offen offset:256
	buffer_load_dwordx4 v[10:13], v18, s[4:7], s0 offen
	buffer_load_dwordx4 v[14:17], v18, s[4:7], s0 offen offset:256
.LBB579_58:
	ds_read2st64_b64 v[22:25], v19 offset0:76 offset1:77
	ds_read2st64_b64 v[18:21], v19 offset0:78 offset1:79
	ds_read_b64 v[32:33], v26 offset:24576
	ds_read_b64 v[30:31], v27 offset:24576
	;; [unrolled: 1-line block ×4, first 2 shown]
	v_and_b32_e32 v36, 6, v0
	v_xor_b32_e32 v35, v35, v36
	v_lshlrev_b32_e32 v35, 2, v35
	v_and_b32_e32 v0, 1, v0
	v_xor_b32_e32 v38, 0x440, v35
	v_cmp_eq_u32_e32 vcc, 0, v0
	s_mov_b32 s0, 0x1000504
	s_mov_b32 s1, 0x3020706
	v_cndmask_b32_e32 v0, v38, v35, vcc
	v_lshl_or_b32 v0, v36, 10, v0
	s_waitcnt vmcnt(0)
	v_perm_b32 v35, v2, v6, s0
	v_perm_b32 v36, v10, v14, s0
	ds_write2st64_b32 v0, v35, v36 offset1:32
	v_xor_b32_e32 v35, 8, v0
	v_perm_b32 v2, v2, v6, s1
	v_perm_b32 v6, v10, v14, s1
	v_add_u32_e32 v10, 0x80, v35
	ds_write2st64_b32 v10, v2, v6 offset1:32
	v_xor_b32_e32 v2, 16, v0
	v_perm_b32 v6, v3, v7, s0
	v_perm_b32 v10, v11, v15, s0
	ds_write2st64_b32 v2, v6, v10 offset0:1 offset1:33
	v_xor_b32_e32 v2, 24, v0
	v_perm_b32 v3, v3, v7, s1
	v_perm_b32 v6, v11, v15, s1
	v_add_u32_e32 v2, 0x80, v2
	ds_write2st64_b32 v2, v3, v6 offset0:1 offset1:33
	v_xor_b32_e32 v2, 32, v0
	v_perm_b32 v3, v4, v8, s0
	v_perm_b32 v6, v12, v16, s0
	ds_write2st64_b32 v2, v3, v6 offset0:2 offset1:34
	v_xor_b32_e32 v2, 40, v0
	v_perm_b32 v3, v4, v8, s1
	v_perm_b32 v4, v12, v16, s1
	v_add_u32_e32 v2, 0x80, v2
	ds_write2st64_b32 v2, v3, v4 offset0:2 offset1:34
	v_xor_b32_e32 v2, 48, v0
	v_perm_b32 v3, v5, v9, s0
	v_perm_b32 v4, v13, v17, s0
	v_xor_b32_e32 v0, 56, v0
	v_and_or_b32 v8, v37, 12, v1
	ds_write2st64_b32 v2, v3, v4 offset0:3 offset1:35
	v_perm_b32 v2, v5, v9, s1
	v_perm_b32 v3, v13, v17, s1
	v_add_u32_e32 v0, 0x80, v0
	v_cmp_gt_i32_e32 vcc, s27, v8
	v_mov_b32_e32 v9, 0
	v_mov_b32_e32 v14, 0
	ds_write2st64_b32 v0, v2, v3 offset0:3 offset1:35
	s_and_saveexec_b64 s[0:1], vcc
	s_cbranch_execz .LBB579_60
; %bb.59:
	v_add_u32_e32 v0, s26, v8
	v_ashrrev_i32_e32 v1, 31, v0
	v_mul_lo_u32 v2, v1, s30
	v_mul_lo_u32 v3, v0, s31
	v_mad_u64_u32 v[0:1], s[2:3], v0, s30, 0
	v_add3_u32 v1, v1, v3, v2
	v_lshl_add_u64 v[0:1], v[0:1], 2, s[10:11]
	global_load_dword v0, v[0:1], off
	s_waitcnt vmcnt(0)
	v_sub_f32_e32 v0, s12, v0
	v_mul_f32_e32 v0, 0x3fb8aa3b, v0
	v_exp_f32_e32 v14, v0
.LBB579_60:
	s_or_b64 exec, exec, s[0:1]
	v_or_b32_e32 v12, 1, v8
	v_cmp_gt_i32_e64 s[2:3], s27, v12
	s_and_saveexec_b64 s[0:1], s[2:3]
	s_cbranch_execz .LBB579_62
; %bb.61:
	v_add_u32_e32 v0, s26, v12
	v_ashrrev_i32_e32 v1, 31, v0
	v_mul_lo_u32 v2, v1, s30
	v_mul_lo_u32 v3, v0, s31
	v_mad_u64_u32 v[0:1], s[4:5], v0, s30, 0
	v_add3_u32 v1, v1, v3, v2
	v_lshl_add_u64 v[0:1], v[0:1], 2, s[10:11]
	global_load_dword v0, v[0:1], off
	s_waitcnt vmcnt(0)
	v_sub_f32_e32 v0, s12, v0
	v_mul_f32_e32 v0, 0x3fb8aa3b, v0
	v_exp_f32_e32 v9, v0
.LBB579_62:
	s_or_b64 exec, exec, s[0:1]
	v_or_b32_e32 v11, 2, v8
	v_cmp_gt_i32_e64 s[0:1], s27, v11
	v_mov_b32_e32 v10, 0
	v_mov_b32_e32 v15, 0
	s_and_saveexec_b64 s[4:5], s[0:1]
	s_cbranch_execz .LBB579_64
; %bb.63:
	v_add_u32_e32 v0, s26, v11
	v_ashrrev_i32_e32 v1, 31, v0
	v_mul_lo_u32 v2, v1, s30
	v_mul_lo_u32 v3, v0, s31
	v_mad_u64_u32 v[0:1], s[6:7], v0, s30, 0
	v_add3_u32 v1, v1, v3, v2
	v_lshl_add_u64 v[0:1], v[0:1], 2, s[10:11]
	global_load_dword v0, v[0:1], off
	s_waitcnt vmcnt(0)
	v_sub_f32_e32 v0, s12, v0
	v_mul_f32_e32 v0, 0x3fb8aa3b, v0
	v_exp_f32_e32 v15, v0
.LBB579_64:
	s_or_b64 exec, exec, s[4:5]
	v_or_b32_e32 v13, 3, v8
	v_cmp_gt_i32_e64 s[4:5], s27, v13
	s_and_saveexec_b64 s[6:7], s[4:5]
	s_cbranch_execz .LBB579_66
; %bb.65:
	v_add_u32_e32 v0, s26, v13
	v_ashrrev_i32_e32 v1, 31, v0
	v_mul_lo_u32 v2, v1, s30
	v_mul_lo_u32 v3, v0, s31
	v_mad_u64_u32 v[0:1], s[14:15], v0, s30, 0
	v_add3_u32 v1, v1, v3, v2
	v_lshl_add_u64 v[0:1], v[0:1], 2, s[10:11]
	global_load_dword v0, v[0:1], off
	s_waitcnt vmcnt(0)
	v_sub_f32_e32 v0, s12, v0
	v_mul_f32_e32 v0, 0x3fb8aa3b, v0
	v_exp_f32_e32 v10, v0
.LBB579_66:
	s_or_b64 exec, exec, s[6:7]
	s_waitcnt lgkmcnt(11)
	v_mfma_f32_16x16x16_bf16 a[0:3], v[32:33], v[22:23], a[0:3]
	s_add_u32 s6, s8, s20
	v_ashrrev_i32_e32 v47, 31, v46
	s_addc_u32 s7, s9, s21
	s_waitcnt lgkmcnt(10)
	v_mfma_f32_16x16x16_bf16 a[0:3], v[30:31], v[24:25], a[0:3]
	v_lshlrev_b64 v[0:1], 1, v[46:47]
	v_lshl_add_u64 v[4:5], s[6:7], 0, v[0:1]
	s_add_u32 s6, s28, s20
	s_waitcnt lgkmcnt(9)
	v_mfma_f32_16x16x16_bf16 a[0:3], v[28:29], v[18:19], a[0:3]
	s_addc_u32 s7, s29, s21
	v_lshl_add_u64 v[6:7], s[6:7], 0, v[0:1]
	v_mov_b32_e32 v16, 0
	s_waitcnt lgkmcnt(8)
	v_mfma_f32_16x16x16_bf16 a[0:3], v[26:27], v[20:21], a[0:3]
	v_mov_b32_e32 v17, 0
	s_nop 5
	v_accvgpr_read_b32 v0, a0
	v_accvgpr_read_b32 v1, a1
	;; [unrolled: 1-line block ×4, first 2 shown]
	s_and_saveexec_b64 s[6:7], vcc
	s_cbranch_execz .LBB579_68
; %bb.67:
	v_lshlrev_b32_e32 v18, 8, v8
	v_mov_b32_e32 v19, 0
	v_lshl_add_u64 v[20:21], v[4:5], 0, v[18:19]
	global_load_ushort v17, v[20:21], off
	v_lshl_add_u64 v[18:19], v[6:7], 0, v[18:19]
	s_waitcnt vmcnt(0)
	v_lshlrev_b32_e32 v17, 16, v17
	v_sub_f32_e32 v0, v17, v0
	global_store_short_d16_hi v[18:19], v0, off
	v_mul_f32_e32 v0, v14, v0
	v_lshrrev_b32_e32 v17, 16, v0
.LBB579_68:
	s_or_b64 exec, exec, s[6:7]
	s_and_saveexec_b64 s[6:7], s[2:3]
	s_cbranch_execz .LBB579_70
; %bb.69:
	v_lshlrev_b32_e32 v18, 8, v12
	v_mov_b32_e32 v19, 0
	v_lshl_add_u64 v[20:21], v[4:5], 0, v[18:19]
	global_load_ushort v0, v[20:21], off
	v_lshl_add_u64 v[18:19], v[6:7], 0, v[18:19]
	s_waitcnt vmcnt(0)
	v_lshlrev_b32_e32 v0, 16, v0
	v_sub_f32_e32 v0, v0, v1
	global_store_short_d16_hi v[18:19], v0, off
	v_mul_f32_e32 v0, v9, v0
	v_lshrrev_b32_e32 v16, 16, v0
.LBB579_70:
	s_or_b64 exec, exec, s[6:7]
	v_mov_b32_e32 v0, 0
	v_mov_b32_e32 v1, 0
	s_and_saveexec_b64 s[2:3], s[0:1]
	s_cbranch_execz .LBB579_72
; %bb.71:
	v_lshlrev_b32_e32 v18, 8, v11
	v_mov_b32_e32 v19, 0
	v_lshl_add_u64 v[20:21], v[4:5], 0, v[18:19]
	global_load_ushort v1, v[20:21], off
	v_lshl_add_u64 v[18:19], v[6:7], 0, v[18:19]
	s_waitcnt vmcnt(0)
	v_lshlrev_b32_e32 v1, 16, v1
	v_sub_f32_e32 v1, v1, v2
	global_store_short_d16_hi v[18:19], v1, off
	v_mul_f32_e32 v1, v15, v1
	v_lshrrev_b32_e32 v1, 16, v1
.LBB579_72:
	s_or_b64 exec, exec, s[2:3]
	s_and_saveexec_b64 s[0:1], s[4:5]
	s_cbranch_execz .LBB579_74
; %bb.73:
	v_lshlrev_b32_e32 v12, 8, v13
	v_mov_b32_e32 v13, 0
	v_lshl_add_u64 v[4:5], v[4:5], 0, v[12:13]
	global_load_ushort v0, v[4:5], off
	v_lshl_add_u64 v[4:5], v[6:7], 0, v[12:13]
	s_waitcnt vmcnt(0)
	v_lshlrev_b32_e32 v0, 16, v0
	v_sub_f32_e32 v0, v0, v3
	global_store_short_d16_hi v[4:5], v0, off
	v_mul_f32_e32 v0, v10, v0
	v_lshrrev_b32_e32 v0, 16, v0
.LBB579_74:
	s_or_b64 exec, exec, s[0:1]
	s_mov_b32 s0, 0x5040100
	v_lshlrev_b32_e32 v2, 1, v34
	v_perm_b32 v1, v0, v1, s0
	v_perm_b32 v0, v16, v17, s0
	v_lshl_or_b32 v2, v8, 5, v2
	ds_write_b64 v2, v[0:1] offset:38912
	s_waitcnt lgkmcnt(0)
	s_barrier
.LBB579_75:
	s_endpgm
	.section	.rodata,"a",@progbits
	.p2align	6, 0x0
	.amdhsa_kernel _ZN12_GLOBAL__N_139chunk_gated_delta_rule_fwd_h_hip_kernelILi16ELb1ELb0ELb1ELb1ELb0ELb1ELb1ELb1EEEvPK12hip_bfloat16S3_S3_PKfS5_PKvPS1_S8_PvPKiSB_iiiiilll
		.amdhsa_group_segment_fixed_size 40960
		.amdhsa_private_segment_fixed_size 0
		.amdhsa_kernarg_size 136
		.amdhsa_user_sgpr_count 2
		.amdhsa_user_sgpr_dispatch_ptr 0
		.amdhsa_user_sgpr_queue_ptr 0
		.amdhsa_user_sgpr_kernarg_segment_ptr 1
		.amdhsa_user_sgpr_dispatch_id 0
		.amdhsa_user_sgpr_kernarg_preload_length 0
		.amdhsa_user_sgpr_kernarg_preload_offset 0
		.amdhsa_user_sgpr_private_segment_size 0
		.amdhsa_uses_dynamic_stack 0
		.amdhsa_enable_private_segment 0
		.amdhsa_system_sgpr_workgroup_id_x 1
		.amdhsa_system_sgpr_workgroup_id_y 1
		.amdhsa_system_sgpr_workgroup_id_z 0
		.amdhsa_system_sgpr_workgroup_info 0
		.amdhsa_system_vgpr_workitem_id 0
		.amdhsa_next_free_vgpr 128
		.amdhsa_next_free_sgpr 63
		.amdhsa_accum_offset 116
		.amdhsa_reserve_vcc 1
		.amdhsa_float_round_mode_32 0
		.amdhsa_float_round_mode_16_64 0
		.amdhsa_float_denorm_mode_32 3
		.amdhsa_float_denorm_mode_16_64 3
		.amdhsa_dx10_clamp 1
		.amdhsa_ieee_mode 1
		.amdhsa_fp16_overflow 0
		.amdhsa_tg_split 0
		.amdhsa_exception_fp_ieee_invalid_op 0
		.amdhsa_exception_fp_denorm_src 0
		.amdhsa_exception_fp_ieee_div_zero 0
		.amdhsa_exception_fp_ieee_overflow 0
		.amdhsa_exception_fp_ieee_underflow 0
		.amdhsa_exception_fp_ieee_inexact 0
		.amdhsa_exception_int_div_zero 0
	.end_amdhsa_kernel
	.section	.text._ZN12_GLOBAL__N_139chunk_gated_delta_rule_fwd_h_hip_kernelILi16ELb1ELb0ELb1ELb1ELb0ELb1ELb1ELb1EEEvPK12hip_bfloat16S3_S3_PKfS5_PKvPS1_S8_PvPKiSB_iiiiilll,"axG",@progbits,_ZN12_GLOBAL__N_139chunk_gated_delta_rule_fwd_h_hip_kernelILi16ELb1ELb0ELb1ELb1ELb0ELb1ELb1ELb1EEEvPK12hip_bfloat16S3_S3_PKfS5_PKvPS1_S8_PvPKiSB_iiiiilll,comdat
.Lfunc_end579:
	.size	_ZN12_GLOBAL__N_139chunk_gated_delta_rule_fwd_h_hip_kernelILi16ELb1ELb0ELb1ELb1ELb0ELb1ELb1ELb1EEEvPK12hip_bfloat16S3_S3_PKfS5_PKvPS1_S8_PvPKiSB_iiiiilll, .Lfunc_end579-_ZN12_GLOBAL__N_139chunk_gated_delta_rule_fwd_h_hip_kernelILi16ELb1ELb0ELb1ELb1ELb0ELb1ELb1ELb1EEEvPK12hip_bfloat16S3_S3_PKfS5_PKvPS1_S8_PvPKiSB_iiiiilll
                                        ; -- End function
	.section	.AMDGPU.csdata,"",@progbits
; Kernel info:
; codeLenInByte = 7520
; NumSgprs: 69
; NumVgprs: 116
; NumAgprs: 12
; TotalNumVgprs: 128
; ScratchSize: 0
; MemoryBound: 0
; FloatMode: 240
; IeeeMode: 1
; LDSByteSize: 40960 bytes/workgroup (compile time only)
; SGPRBlocks: 8
; VGPRBlocks: 15
; NumSGPRsForWavesPerEU: 69
; NumVGPRsForWavesPerEU: 128
; AccumOffset: 116
; Occupancy: 1
; WaveLimiterHint : 1
; COMPUTE_PGM_RSRC2:SCRATCH_EN: 0
; COMPUTE_PGM_RSRC2:USER_SGPR: 2
; COMPUTE_PGM_RSRC2:TRAP_HANDLER: 0
; COMPUTE_PGM_RSRC2:TGID_X_EN: 1
; COMPUTE_PGM_RSRC2:TGID_Y_EN: 1
; COMPUTE_PGM_RSRC2:TGID_Z_EN: 0
; COMPUTE_PGM_RSRC2:TIDIG_COMP_CNT: 0
; COMPUTE_PGM_RSRC3_GFX90A:ACCUM_OFFSET: 28
; COMPUTE_PGM_RSRC3_GFX90A:TG_SPLIT: 0
	.section	.text._ZN12_GLOBAL__N_139chunk_gated_delta_rule_fwd_h_hip_kernelILi16ELb1ELb0ELb0ELb1ELb0ELb1ELb1ELb1EEEvPK12hip_bfloat16S3_S3_PKfS5_PKvPS1_S8_PvPKiSB_iiiiilll,"axG",@progbits,_ZN12_GLOBAL__N_139chunk_gated_delta_rule_fwd_h_hip_kernelILi16ELb1ELb0ELb0ELb1ELb0ELb1ELb1ELb1EEEvPK12hip_bfloat16S3_S3_PKfS5_PKvPS1_S8_PvPKiSB_iiiiilll,comdat
	.globl	_ZN12_GLOBAL__N_139chunk_gated_delta_rule_fwd_h_hip_kernelILi16ELb1ELb0ELb0ELb1ELb0ELb1ELb1ELb1EEEvPK12hip_bfloat16S3_S3_PKfS5_PKvPS1_S8_PvPKiSB_iiiiilll ; -- Begin function _ZN12_GLOBAL__N_139chunk_gated_delta_rule_fwd_h_hip_kernelILi16ELb1ELb0ELb0ELb1ELb0ELb1ELb1ELb1EEEvPK12hip_bfloat16S3_S3_PKfS5_PKvPS1_S8_PvPKiSB_iiiiilll
	.p2align	8
	.type	_ZN12_GLOBAL__N_139chunk_gated_delta_rule_fwd_h_hip_kernelILi16ELb1ELb0ELb0ELb1ELb0ELb1ELb1ELb1EEEvPK12hip_bfloat16S3_S3_PKfS5_PKvPS1_S8_PvPKiSB_iiiiilll,@function
_ZN12_GLOBAL__N_139chunk_gated_delta_rule_fwd_h_hip_kernelILi16ELb1ELb0ELb0ELb1ELb0ELb1ELb1ELb1EEEvPK12hip_bfloat16S3_S3_PKfS5_PKvPS1_S8_PvPKiSB_iiiiilll: ; @_ZN12_GLOBAL__N_139chunk_gated_delta_rule_fwd_h_hip_kernelILi16ELb1ELb0ELb0ELb1ELb0ELb1ELb1ELb1EEEvPK12hip_bfloat16S3_S3_PKfS5_PKvPS1_S8_PvPKiSB_iiiiilll
; %bb.0:
	s_load_dwordx4 s[12:15], s[0:1], 0x5c
	s_load_dwordx4 s[20:23], s[0:1], 0x70
	s_abs_i32 s9, s3
	s_ashr_i32 s8, s3, 31
	s_load_dwordx4 s[4:7], s[0:1], 0x48
	s_waitcnt lgkmcnt(0)
	s_abs_i32 s10, s13
	v_cvt_f32_u32_e32 v1, s10
	s_sub_i32 s16, 0, s10
	s_ashr_i32 s11, s13, 31
	s_xor_b32 s8, s8, s11
	v_rcp_iflag_f32_e32 v1, v1
	v_and_b32_e32 v62, 15, v0
	v_lshrrev_b32_e32 v60, 6, v0
	v_bfe_u32 v61, v0, 4, 2
	v_mul_f32_e32 v1, 0x4f7ffffe, v1
	v_cvt_u32_f32_e32 v1, v1
	v_mov_b32_e32 v5, 0
	v_and_b32_e32 v45, 63, v0
	v_lshlrev_b32_e32 v63, 3, v0
	v_readfirstlane_b32 s17, v1
	s_mul_i32 s16, s16, s17
	s_mul_hi_u32 s16, s17, s16
	s_add_i32 s17, s17, s16
	s_mul_hi_u32 s16, s9, s17
	s_mul_i32 s17, s16, s10
	s_sub_i32 s9, s9, s17
	s_add_i32 s18, s16, 1
	s_sub_i32 s17, s9, s10
	s_cmp_ge_u32 s9, s10
	s_cselect_b32 s16, s18, s16
	s_cselect_b32 s9, s17, s9
	s_add_i32 s17, s16, 1
	s_cmp_ge_u32 s9, s10
	s_cselect_b32 s9, s17, s16
	s_load_dwordx4 s[16:19], s[0:1], 0x28
	s_xor_b32 s9, s9, s8
	s_sub_i32 s24, s9, s8
	s_mul_i32 s28, s24, s13
	s_ashr_i32 s25, s24, 31
	s_sub_i32 s47, s3, s28
	s_lshl_b64 s[8:9], s[24:25], 2
	s_add_u32 s4, s4, s8
	s_addc_u32 s5, s5, s9
	s_add_u32 s26, s6, s8
	s_addc_u32 s27, s7, s9
	s_abs_i32 s3, s14
	v_cvt_f32_u32_e32 v1, s3
	s_load_dwordx2 s[30:31], s[4:5], 0x0
	s_lshl_b32 s38, s2, 4
	s_ashr_i32 s2, s14, 31
	v_rcp_iflag_f32_e32 v1, v1
	s_xor_b32 s2, s11, s2
	s_waitcnt lgkmcnt(0)
	s_sub_i32 s50, s31, s30
	s_ashr_i32 s4, s50, 31
	v_mul_f32_e32 v1, 0x4f7ffffe, v1
	v_cvt_u32_f32_e32 v1, v1
	s_lshr_b32 s4, s4, 26
	s_add_i32 s4, s50, s4
	s_ashr_i32 s48, s4, 6
	s_sub_i32 s4, 0, s3
	v_readfirstlane_b32 s5, v1
	s_mul_i32 s4, s4, s5
	s_mul_hi_u32 s4, s5, s4
	s_add_i32 s5, s5, s4
	s_mul_hi_u32 s4, s10, s5
	s_mul_i32 s5, s4, s3
	s_sub_i32 s5, s10, s5
	s_add_i32 s6, s4, 1
	s_sub_i32 s7, s5, s3
	s_cmp_ge_u32 s5, s3
	s_cselect_b32 s4, s6, s4
	s_cselect_b32 s5, s7, s5
	s_add_i32 s6, s4, 1
	s_cmp_ge_u32 s5, s3
	s_cselect_b32 s3, s6, s4
	s_xor_b32 s3, s3, s2
	s_sub_i32 s2, s3, s2
	s_abs_i32 s3, s2
	v_cvt_f32_u32_e32 v1, s3
	s_sub_i32 s5, 0, s3
	s_abs_i32 s4, s47
	s_xor_b32 s2, s47, s2
	v_rcp_iflag_f32_e32 v1, v1
	s_ashr_i32 s2, s2, 31
	v_or_b32_e32 v46, s38, v62
	v_lshlrev_b32_e32 v2, 7, v46
	v_mul_f32_e32 v1, 0x4f7ffffe, v1
	v_cvt_u32_f32_e32 v1, v1
	v_ashrrev_i32_e32 v3, 31, v2
	v_lshrrev_b32_e32 v64, 3, v45
	s_mul_i32 s33, s24, s21
	v_readfirstlane_b32 s6, v1
	s_mul_i32 s5, s5, s6
	s_mul_hi_u32 s5, s6, s5
	s_add_i32 s6, s6, s5
	s_mul_hi_u32 s5, s4, s6
	s_mul_i32 s6, s5, s3
	s_sub_i32 s4, s4, s6
	s_add_i32 s6, s5, 1
	s_sub_i32 s7, s4, s3
	s_cmp_ge_u32 s4, s3
	s_cselect_b32 s5, s6, s5
	s_cselect_b32 s4, s7, s4
	s_add_i32 s6, s5, 1
	s_cmp_ge_u32 s4, s3
	s_cselect_b32 s3, s6, s5
	s_xor_b32 s3, s3, s2
	s_sub_i32 s51, s3, s2
	s_ashr_i32 s49, s47, 31
	s_mul_hi_i32 s3, s24, s13
	s_add_u32 s2, s28, s47
	s_addc_u32 s3, s3, s49
	s_lshl_b64 s[2:3], s[2:3], 15
	v_lshlrev_b32_e32 v1, 4, v60
	s_add_u32 s2, s16, s2
	v_lshl_or_b32 v65, v61, 2, v1
	s_addc_u32 s3, s17, s3
	v_lshl_add_u64 v[2:3], v[2:3], 1, s[2:3]
	v_lshlrev_b32_e32 v4, 1, v65
	v_lshl_add_u64 v[2:3], v[2:3], 0, v[4:5]
	global_load_dwordx2 v[4:5], v[2:3], off
	global_load_dwordx2 v[6:7], v[2:3], off offset:128
	s_load_dwordx8 s[4:11], s[0:1], 0x0
	s_load_dwordx2 s[28:29], s[0:1], 0x80
	s_load_dword s54, s[26:27], 0x0
	v_or_b32_e32 v66, 64, v65
	s_mul_hi_u32 s42, s24, s20
	s_mul_i32 s36, s24, s20
	s_mul_i32 s43, s25, s20
	s_mul_hi_i32 s52, s47, s12
	s_mul_i32 s53, s47, s12
	s_mul_i32 s44, s47, s23
	s_mul_hi_u32 s45, s47, s22
	s_mul_i32 s46, s49, s22
	s_cmp_lt_i32 s50, 64
	s_mul_i32 s34, s47, s22
	s_waitcnt vmcnt(1)
	v_and_b32_e32 v51, 0xffff0000, v4
	v_lshlrev_b32_e32 v50, 16, v4
	v_and_b32_e32 v55, 0xffff0000, v5
	v_lshlrev_b32_e32 v54, 16, v5
	s_waitcnt vmcnt(0)
	v_and_b32_e32 v49, 0xffff0000, v6
	v_lshlrev_b32_e32 v48, 16, v6
	v_and_b32_e32 v53, 0xffff0000, v7
	v_lshlrev_b32_e32 v52, 16, v7
	s_cbranch_scc1 .LBB580_18
; %bb.1:
	s_ashr_i32 s3, s30, 31
	s_add_u32 s2, s53, s30
	s_addc_u32 s3, s52, s3
	s_lshl_b64 s[2:3], s[2:3], 8
	v_and_b32_e32 v68, 56, v63
	s_waitcnt lgkmcnt(0)
	s_add_u32 s20, s6, s2
	v_lshl_or_b32 v67, v60, 3, v64
	v_lshlrev_b32_e32 v2, 1, v68
	s_addc_u32 s2, s7, s3
	v_lshl_or_b32 v69, v67, 8, v2
	s_and_b32 s21, s2, 0xffff
	s_mov_b32 s23, 0x20000
	s_movk_i32 s22, 0x4000
	s_movk_i32 s2, 0x80
	v_or_b32_e32 v70, 0x2000, v69
	buffer_load_dwordx4 v[4:7], v69, s[20:23], 0 offen
	buffer_load_dwordx4 v[8:11], v69, s[20:23], s2 offen
	;; [unrolled: 1-line block ×4, first 2 shown]
	v_lshlrev_b32_e32 v3, 3, v67
	v_and_or_b32 v21, v0, 7, v3
	v_and_b32_e32 v3, 0x78, v3
	v_lshlrev_b32_e32 v21, 4, v21
	v_xor_b32_e32 v71, v21, v3
	v_mul_lo_u32 v20, v67, s15
	v_or_b32_e32 v72, 0x1000, v71
	v_xor_b32_e32 v3, 8, v71
	s_cmpk_eq_i32 s15, 0x80
	s_mov_b32 s55, s30
	v_xor_b32_e32 v21, 8, v72
	s_cselect_b64 s[2:3], -1, 0
	s_cmpk_lg_i32 s15, 0x80
	s_waitcnt vmcnt(3)
	ds_write_b64 v71, v[4:5] offset:16384
	ds_write_b64 v3, v[6:7] offset:16384
	s_waitcnt vmcnt(2)
	ds_write_b64 v71, v[8:9] offset:24576
	ds_write_b64 v3, v[10:11] offset:24576
	;; [unrolled: 3-line block ×4, first 2 shown]
	v_lshl_add_u32 v3, v20, 1, v68
	s_cbranch_scc0 .LBB580_3
; %bb.2:
	v_lshlrev_b32_e32 v5, 1, v3
	v_add_lshl_u32 v4, v3, s15, 1
	s_lshl_b32 s22, s15, 7
	s_load_dwordx2 s[16:17], s[0:1], 0x20
	v_lshl_or_b32 v2, v67, 9, v2
	s_cbranch_execz .LBB580_4
	s_branch .LBB580_5
.LBB580_3:
                                        ; implicit-def: $vgpr4
                                        ; implicit-def: $vgpr5
                                        ; implicit-def: $sgpr22
	s_load_dwordx2 s[16:17], s[0:1], 0x20
	v_lshl_or_b32 v2, v67, 9, v2
.LBB580_4:
	v_or_b32_e32 v4, 0x100, v2
	s_movk_i32 s22, 0x4000
	v_mov_b32_e32 v5, v2
.LBB580_5:
	s_mul_i32 s0, s30, s14
	s_ashr_i32 s56, s51, 31
	s_mul_hi_i32 s1, s30, s14
	s_add_u32 s0, s0, s51
	s_addc_u32 s1, s1, s56
	s_lshl_b64 s[0:1], s[0:1], 8
	s_add_u32 s20, s4, s0
	s_addc_u32 s0, s5, s1
	s_and_b32 s21, s0, 0xffff
	s_movk_i32 s57, 0x80
	buffer_load_dwordx4 v[6:9], v5, s[20:23], 0 offen
	buffer_load_dwordx4 v[10:13], v5, s[20:23], s57 offen
	;; [unrolled: 1-line block ×4, first 2 shown]
	v_and_b32_e32 v4, 6, v0
	v_lshlrev_b32_e32 v22, 2, v62
	v_lshlrev_b32_e32 v23, 3, v62
	v_xor_b32_e32 v27, v67, v4
	v_and_b32_e32 v5, 1, v0
	v_lshl_or_b32 v23, v65, 5, v23
	v_xor_b32_e32 v28, v65, v22
	v_lshlrev_b32_e32 v27, 2, v27
	s_add_i32 s0, s42, s33
	v_or_b32_e32 v73, 0x9000, v23
	v_or_b32_e32 v74, 0x9800, v23
	v_lshlrev_b32_e32 v23, 1, v28
	v_xor_b32_e32 v28, 0x440, v27
	v_cmp_eq_u32_e32 vcc, 0, v5
	s_add_i32 s1, s45, s44
	s_add_i32 s37, s0, s43
	v_cndmask_b32_e32 v5, v28, v27, vcc
	s_add_i32 s35, s1, s46
	s_lshl_b64 s[0:1], s[36:37], 2
	s_mov_b32 s58, 0x1000504
	s_mov_b32 s59, 0x3020706
	v_lshlrev_b32_e32 v24, 8, v62
	s_mov_b32 s20, 0x8000
	v_xor_b32_e32 v22, v66, v22
	v_lshl_or_b32 v4, v4, 10, v5
	s_add_u32 s21, s10, s0
	v_or_b32_e32 v25, v1, v62
	v_lshlrev_b32_e32 v22, 1, v22
	v_or3_b32 v75, v23, v24, s20
	v_xor_b32_e32 v5, 8, v4
	v_xor_b32_e32 v23, 24, v4
	;; [unrolled: 1-line block ×4, first 2 shown]
	s_addc_u32 s22, s11, s1
	s_lshl_b64 s[0:1], s[34:35], 2
	v_or3_b32 v76, v22, v24, s20
	v_xor_b32_e32 v22, 16, v4
	v_xor_b32_e32 v24, 32, v4
	;; [unrolled: 1-line block ×3, first 2 shown]
	v_add_u32_e32 v5, 0x80, v5
	v_add_u32_e32 v23, 0x80, v23
	;; [unrolled: 1-line block ×4, first 2 shown]
	s_add_u32 s40, s21, s0
	s_movk_i32 s0, 0xf8
	s_addc_u32 s41, s22, s1
	s_ashr_i32 s39, s38, 31
	v_ashrrev_i32_e32 v47, 31, v46
	s_lshl_b32 s26, s15, 7
	v_lshrrev_b32_e32 v26, 2, v45
	s_mov_b32 s60, 0
	s_mov_b32 s35, 0x7060302
	s_movk_i32 s22, 0x4000
	v_mov_b32_e32 v96, 0x3fb8aa3b
	s_waitcnt vmcnt(1)
	v_perm_b32 v30, v6, v14, s58
	s_waitcnt vmcnt(0)
	v_perm_b32 v31, v10, v18, s58
	v_perm_b32 v6, v6, v14, s59
	;; [unrolled: 1-line block ×15, first 2 shown]
	ds_write2st64_b32 v4, v30, v31 offset1:32
	ds_write2st64_b32 v5, v6, v10 offset1:32
	ds_write2st64_b32 v22, v14, v18 offset0:1 offset1:33
	ds_write2st64_b32 v23, v7, v11 offset0:1 offset1:33
	ds_write2st64_b32 v24, v15, v19 offset0:2 offset1:34
	ds_write2st64_b32 v27, v8, v12 offset0:2 offset1:34
	ds_write2st64_b32 v28, v16, v20 offset0:3 offset1:35
	ds_write2st64_b32 v29, v9, v13 offset0:3 offset1:35
	v_lshlrev_b32_e32 v4, 3, v25
	v_lshrrev_b32_e32 v6, 5, v45
	v_and_or_b32 v6, v4, s0, v6
	v_lshlrev_b32_e32 v6, 4, v6
	v_lshlrev_b32_e32 v11, 11, v60
	v_and_b32_e32 v4, 0x78, v4
	v_or_b32_e32 v9, 32, v6
	v_and_b32_e32 v5, 0x1000, v11
	v_xor_b32_e32 v7, v6, v4
	v_lshrrev_b32_e32 v8, 1, v45
	v_xor_b32_e32 v9, v9, v4
	v_or_b32_e32 v7, v7, v5
	v_and_b32_e32 v8, 8, v8
	v_or_b32_e32 v9, v9, v5
	v_xor_b32_e32 v77, v7, v8
	v_and_b32_e32 v7, 0x78, v63
	v_xor_b32_e32 v79, v9, v8
	v_or_b32_e32 v9, 64, v6
	v_or_b32_e32 v6, 0x60, v6
	v_lshl_or_b32 v7, v61, 7, v7
	v_xor_b32_e32 v9, v9, v4
	v_xor_b32_e32 v4, v6, v4
	v_or_b32_e32 v78, 0x9000, v7
	v_or_b32_e32 v9, v9, v5
	;; [unrolled: 1-line block ×4, first 2 shown]
	v_lshrrev_b32_e32 v6, 4, v0
	v_lshlrev_b32_e32 v7, 1, v62
	v_xor_b32_e32 v80, v9, v8
	v_xor_b32_e32 v81, v4, v8
	v_or_b32_e32 v8, 1, v7
	v_xor_b32_e32 v7, v6, v7
	s_lshl_b64 s[0:1], s[38:39], 8
	v_xor_b32_e32 v8, v8, v6
	v_lshlrev_b32_e32 v7, 3, v7
	v_lshlrev_b32_e32 v6, 8, v6
	v_lshl_add_u64 v[4:5], v[46:47], 1, s[8:9]
	s_add_u32 s0, s18, s0
	v_or3_b32 v47, v7, v6, s20
	v_lshlrev_b32_e32 v7, 3, v8
	s_addc_u32 s1, s19, s1
	v_or3_b32 v83, v7, v6, s20
	v_mov_b32_e32 v7, 0
	v_lshrrev_b32_e32 v17, 1, v0
	v_lshl_add_u64 v[8:9], s[0:1], 0, v[6:7]
	v_lshlrev_b32_e32 v6, 4, v62
	s_movk_i32 s0, 0xff
	v_lshlrev_b32_e32 v16, 3, v60
	v_and_b32_e32 v17, 24, v17
	v_lshl_add_u64 v[56:57], v[8:9], 0, v[6:7]
	v_and_b32_e32 v6, 7, v0
	v_and_b32_e32 v9, 8, v0
	v_cmp_lt_u32_e32 vcc, s0, v0
	v_xor_b32_e32 v18, v16, v17
	v_lshlrev_b32_e32 v14, 3, v6
	v_lshlrev_b32_e32 v15, 7, v6
	v_cndmask_b32_e64 v6, 0, 1, vcc
	v_or_b32_e32 v19, 0x440, v18
	v_cmp_eq_u32_e32 vcc, 0, v9
	v_or_b32_e32 v21, 64, v17
	v_xor_b32_e32 v21, v16, v21
	v_cndmask_b32_e32 v9, v19, v18, vcc
	v_or_b32_e32 v19, 32, v17
	v_or_b32_e32 v17, 0x60, v17
	v_xor_b32_e32 v19, v16, v19
	v_xor_b32_e32 v16, v16, v17
	v_or_b32_e32 v20, 0x440, v19
	v_xor_b32_e32 v22, 0x440, v21
	v_xor_b32_e32 v17, 0x440, v16
	v_cndmask_b32_e32 v19, v20, v19, vcc
	v_cndmask_b32_e32 v21, v22, v21, vcc
	;; [unrolled: 1-line block ×3, first 2 shown]
	v_or_b32_e32 v9, v9, v11
	v_or_b32_e32 v19, v19, v11
	;; [unrolled: 1-line block ×4, first 2 shown]
	v_and_b32_e32 v10, 12, v26
	v_lshlrev_b32_e32 v6, 13, v6
	v_xor_b32_e32 v9, v9, v14
	v_xor_b32_e32 v19, v19, v14
	;; [unrolled: 1-line block ×4, first 2 shown]
	v_lshlrev_b32_e32 v12, 1, v3
	v_add_lshl_u32 v3, v3, s15, 1
	v_or_b32_e32 v13, 0x100, v2
	v_or_b32_e32 v8, v10, v1
	v_add_u32_e32 v18, v6, v9
	v_add_u32_e32 v20, v6, v19
	;; [unrolled: 1-line block ×4, first 2 shown]
	v_or3_b32 v10, v1, v10, 64
	v_add_u32_e32 v9, 0x2000, v9
	v_add_u32_e32 v16, 0x2000, v19
	;; [unrolled: 1-line block ×4, first 2 shown]
	v_lshlrev_b32_e32 v6, 8, v65
	v_cndmask_b32_e64 v84, v12, v2, s[2:3]
	v_cndmask_b32_e64 v85, v3, v13, s[2:3]
	v_lshl_add_u64 v[58:59], v[4:5], 0, v[6:7]
	v_lshlrev_b32_e32 v86, 2, v8
	v_add_u32_e32 v87, v18, v15
	v_add_u32_e32 v88, v20, v15
	;; [unrolled: 1-line block ×4, first 2 shown]
	v_lshlrev_b32_e32 v91, 2, v10
	v_add_u32_e32 v92, v9, v15
	v_add_u32_e32 v93, v16, v15
	;; [unrolled: 1-line block ×4, first 2 shown]
	s_waitcnt lgkmcnt(0)
	s_barrier
.LBB580_6:                              ; =>This Inner Loop Header: Depth=1
	s_add_i32 s37, s60, 1
	s_cmp_lt_i32 s37, s48
	s_mov_b64 s[24:25], 0
	s_cselect_b64 s[2:3], -1, 0
	s_cmp_ge_i32 s37, s48
	s_mov_b64 s[20:21], 0
	s_cbranch_scc1 .LBB580_8
; %bb.7:                                ;   in Loop: Header=BB580_6 Depth=1
	s_add_i32 s0, s55, 64
	s_ashr_i32 s1, s0, 31
	s_add_u32 s0, s53, s0
	s_addc_u32 s1, s52, s1
	s_lshl_b64 s[0:1], s[0:1], 8
	s_add_u32 s20, s6, s0
	s_addc_u32 s21, s7, s1
.LBB580_8:                              ;   in Loop: Header=BB580_6 Depth=1
	v_cndmask_b32_e64 v2, 0, 1, s[2:3]
	v_cmp_ne_u32_e64 s[0:1], 1, v2
	s_andn2_b64 vcc, exec, s[2:3]
	s_cbranch_vccnz .LBB580_10
; %bb.9:                                ;   in Loop: Header=BB580_6 Depth=1
	s_add_i32 s2, s55, 64
	s_mul_hi_i32 s3, s2, s14
	s_mul_i32 s2, s2, s14
	s_add_u32 s2, s2, s51
	s_addc_u32 s3, s3, s56
	s_lshl_b64 s[2:3], s[2:3], 8
	s_add_u32 s24, s4, s2
	s_addc_u32 s25, s5, s3
.LBB580_10:                             ;   in Loop: Header=BB580_6 Depth=1
	v_perm_b32 v3, v55, v54, s35
	v_perm_b32 v2, v51, v50, s35
	;; [unrolled: 1-line block ×4, first 2 shown]
	ds_write_b64 v73, v[2:3]
	ds_write_b64 v74, v[4:5]
	;; [unrolled: 1-line block ×4, first 2 shown]
	s_waitcnt lgkmcnt(0)
	s_barrier
	ds_read_b64 v[10:11], v77 offset:16384
	ds_read_b64 v[12:13], v79 offset:16384
	ds_read2st64_b64 v[2:5], v78 offset1:1
	s_waitcnt lgkmcnt(0)
	v_mfma_f32_16x16x16_bf16 a[0:3], v[10:11], v[2:3], 0
	ds_read2st64_b64 v[6:9], v78 offset0:2 offset1:3
	ds_read_b64 v[14:15], v80 offset:16384
	ds_read_b64 v[2:3], v81 offset:16384
	s_add_i32 s39, s55, 63
	v_mfma_f32_16x16x16_bf16 a[0:3], v[12:13], v[4:5], a[0:3]
	s_ashr_i32 s2, s39, 31
	s_mul_i32 s3, s39, s29
	s_mul_hi_u32 s27, s39, s28
	s_waitcnt lgkmcnt(1)
	v_mfma_f32_16x16x16_bf16 a[0:3], v[14:15], v[6:7], a[0:3]
	s_add_i32 s3, s27, s3
	s_mul_i32 s2, s2, s28
	s_add_i32 s3, s3, s2
	s_mul_i32 s2, s39, s28
	s_waitcnt lgkmcnt(0)
	v_mfma_f32_16x16x16_bf16 a[0:3], v[2:3], v[8:9], a[0:3]
	s_lshl_b64 s[2:3], s[2:3], 2
	s_add_u32 s2, s40, s2
	s_addc_u32 s3, s41, s3
	s_and_b64 vcc, exec, s[0:1]
	v_mov_b32_e32 v99, 0
	v_mov_b32_e32 v98, 0
	;; [unrolled: 1-line block ×19, first 2 shown]
	s_cbranch_vccnz .LBB580_12
; %bb.11:                               ;   in Loop: Header=BB580_6 Depth=1
	s_and_b32 s21, s21, 0xffff
	buffer_load_dwordx4 v[14:17], v69, s[20:23], 0 offen
	buffer_load_dwordx4 v[10:13], v69, s[20:23], s57 offen
	;; [unrolled: 1-line block ×4, first 2 shown]
	v_mov_b32_e32 v98, v71
	v_mov_b32_e32 v97, v72
.LBB580_12:                             ;   in Loop: Header=BB580_6 Depth=1
	v_add_u32_e32 v22, s55, v65
	v_ashrrev_i32_e32 v18, 31, v22
	v_mul_lo_u32 v20, v18, s28
	v_mul_lo_u32 v21, v22, s29
	v_mad_u64_u32 v[18:19], s[20:21], v22, s28, 0
	v_add3_u32 v19, v19, v21, v20
	v_lshl_add_u64 v[18:19], v[18:19], 2, s[40:41]
	global_load_dword v38, v[18:19], off
	v_add_u32_e32 v18, 1, v22
	v_ashrrev_i32_e32 v19, 31, v18
	v_mul_lo_u32 v20, v19, s28
	v_mul_lo_u32 v21, v18, s29
	v_mad_u64_u32 v[18:19], s[20:21], v18, s28, 0
	v_add3_u32 v19, v19, v21, v20
	v_add_u32_e32 v20, 2, v22
	v_ashrrev_i32_e32 v21, 31, v20
	v_mul_lo_u32 v23, v21, s28
	v_mul_lo_u32 v24, v20, s29
	v_mad_u64_u32 v[20:21], s[20:21], v20, s28, 0
	v_add_u32_e32 v22, 3, v22
	v_add3_u32 v21, v21, v24, v23
	v_ashrrev_i32_e32 v23, 31, v22
	v_mul_lo_u32 v26, v23, s28
	v_mul_lo_u32 v27, v22, s29
	v_mad_u64_u32 v[22:23], s[20:21], v22, s28, 0
	s_ashr_i32 s21, s55, 31
	s_add_u32 s20, s53, s55
	s_addc_u32 s21, s52, s21
	s_lshl_b64 s[20:21], s[20:21], 8
	v_lshl_add_u64 v[18:19], v[18:19], 2, s[40:41]
	v_lshl_add_u64 v[24:25], v[58:59], 0, s[20:21]
	v_add3_u32 v23, v23, v27, v26
	v_lshl_add_u64 v[20:21], v[20:21], 2, s[40:41]
	global_load_ushort v39, v[24:25], off
	global_load_ushort v40, v[24:25], off offset:256
	global_load_ushort v41, v[24:25], off offset:512
	;; [unrolled: 1-line block ×3, first 2 shown]
	v_lshl_add_u64 v[22:23], v[22:23], 2, s[40:41]
	global_load_dword v43, v[18:19], off
	global_load_dword v44, v[20:21], off
	global_load_dword v101, v[22:23], off
	s_load_dword s2, s[2:3], 0x0
	ds_read_b64 v[26:27], v77 offset:24576
	ds_read2st64_b64 v[22:25], v82 offset1:1
	ds_read2st64_b64 v[28:31], v82 offset0:2 offset1:3
	ds_read_b64 v[32:33], v79 offset:24576
	ds_read_b64 v[34:35], v80 offset:24576
	ds_read_b64 v[36:37], v81 offset:24576
	s_waitcnt lgkmcnt(0)
	v_mfma_f32_16x16x16_bf16 a[0:3], v[26:27], v[22:23], a[0:3]
	v_mov_b32_e32 v100, 0
	v_mov_b32_e32 v18, 0
	v_mov_b32_e32 v19, 0
	v_mfma_f32_16x16x16_bf16 a[0:3], v[32:33], v[24:25], a[0:3]
	v_mov_b32_e32 v20, 0
	v_mov_b32_e32 v21, 0
	v_mov_b32_e32 v22, 0
	;; [unrolled: 4-line block ×4, first 2 shown]
	s_and_b64 vcc, exec, s[0:1]
	s_waitcnt vmcnt(7)
	v_sub_f32_e32 v29, s2, v38
	v_mul_f32_e32 v29, 0x3fb8aa3b, v29
	v_exp_f32_e32 v38, v29
	v_accvgpr_read_b32 v33, a1
	v_accvgpr_read_b32 v31, a3
	;; [unrolled: 1-line block ×4, first 2 shown]
	s_waitcnt vmcnt(6)
	v_lshlrev_b32_e32 v34, 16, v39
	s_waitcnt vmcnt(5)
	v_lshlrev_b32_e32 v35, 16, v40
	;; [unrolled: 2-line block ×3, first 2 shown]
	s_waitcnt vmcnt(2)
	v_sub_f32_e32 v39, s2, v43
	s_waitcnt vmcnt(1)
	v_sub_f32_e32 v40, s2, v44
	;; [unrolled: 2-line block ×3, first 2 shown]
	v_mul_f32_e32 v29, 0x3fb8aa3b, v39
	v_mul_f32_e32 v40, 0x3fb8aa3b, v40
	;; [unrolled: 1-line block ×3, first 2 shown]
	v_exp_f32_e32 v39, v29
	v_exp_f32_e32 v40, v40
	v_exp_f32_e32 v41, v41
	v_lshlrev_b32_e32 v37, 16, v42
	v_pk_add_f32 v[32:33], v[34:35], v[32:33] neg_lo:[0,1] neg_hi:[0,1]
	v_pk_add_f32 v[30:31], v[36:37], v[30:31] neg_lo:[0,1] neg_hi:[0,1]
	v_pk_mul_f32 v[32:33], v[38:39], v[32:33]
	v_pk_mul_f32 v[30:31], v[40:41], v[30:31]
	v_mov_b32_e32 v29, 0
	v_perm_b32 v31, v31, v30, s35
	v_perm_b32 v30, v33, v32, s35
	ds_write_b64 v74, v[30:31]
	v_mov_b32_e32 v30, 0
	v_mov_b32_e32 v31, 0
	;; [unrolled: 1-line block ×4, first 2 shown]
	s_cbranch_vccnz .LBB580_14
; %bb.13:                               ;   in Loop: Header=BB580_6 Depth=1
	s_and_b32 s25, s25, 0xffff
	s_mov_b32 s27, s23
	buffer_load_dwordx4 v[30:33], v84, s[24:27], 0 offen
	buffer_load_dwordx4 v[22:25], v84, s[24:27], s57 offen
	;; [unrolled: 1-line block ×4, first 2 shown]
	v_mov_b32_e32 v99, v68
	v_mov_b32_e32 v100, v67
.LBB580_14:                             ;   in Loop: Header=BB580_6 Depth=1
	s_waitcnt lgkmcnt(0)
	s_barrier
	ds_read_b64 v[34:35], v87
	ds_read_b64 v[40:41], v88
	ds_read2st64_b64 v[36:39], v82 offset1:1
	ds_read2st64_b64 v[102:105], v82 offset0:2 offset1:3
	ds_read_b64 v[42:43], v89
	ds_read_b64 v[110:111], v90
	s_add_i32 s3, s54, s60
	s_mul_hi_i32 s21, s3, s13
	s_mul_i32 s3, s3, s13
	s_waitcnt lgkmcnt(3)
	v_mfma_f32_16x16x16_bf16 a[0:3], v[34:35], v[36:37], 0
	ds_read_b64 v[34:35], v92
	s_add_u32 s20, s3, s47
	s_addc_u32 s21, s21, s49
	v_mfma_f32_16x16x16_bf16 a[0:3], v[40:41], v[38:39], a[0:3]
	ds_read_b64 v[40:41], v93
	s_lshl_b64 s[20:21], s[20:21], 15
	s_mul_i32 s24, s39, s13
	s_mul_hi_i32 s3, s39, s13
	s_add_u32 s24, s24, s47
	s_addc_u32 s25, s3, s49
	s_lshl_b64 s[24:25], s[24:25], 9
	s_add_u32 s24, s16, s24
	s_waitcnt lgkmcnt(1)
	v_mfma_f32_16x16x16_bf16 a[4:7], v[34:35], v[36:37], 0
	s_addc_u32 s25, s17, s25
	s_and_b64 vcc, exec, s[0:1]
	v_mfma_f32_16x16x16_bf16 a[0:3], v[42:43], v[102:103], a[0:3]
	ds_read_b64 v[42:43], v94
	ds_read_b64 v[112:113], v95
	global_load_dwordx4 v[34:37], v91, s[24:25]
	s_waitcnt lgkmcnt(2)
	v_mfma_f32_16x16x16_bf16 a[4:7], v[40:41], v[38:39], a[4:7]
	global_load_dwordx4 v[38:41], v86, s[24:25]
	ds_read_b64 v[106:107], v47
	ds_read_b64 v[108:109], v83
	s_waitcnt lgkmcnt(3)
	v_mfma_f32_16x16x16_bf16 a[8:11], v[42:43], v[102:103], a[4:7]
	v_lshl_add_u64 v[42:43], v[56:57], 0, s[20:21]
	s_waitcnt lgkmcnt(0)
	global_store_dwordx4 v[42:43], v[106:109], off
	v_mfma_f32_16x16x16_bf16 a[4:7], v[110:111], v[104:105], a[0:3]
	s_waitcnt vmcnt(2)
	v_mov_b32_e32 v44, v37
	v_mfma_f32_16x16x16_bf16 a[0:3], v[112:113], v[104:105], a[8:11]
	v_mov_b32_e32 v43, v36
	v_mov_b32_e32 v42, v35
	s_cbranch_vccnz .LBB580_16
; %bb.15:                               ;   in Loop: Header=BB580_6 Depth=1
	v_lshrrev_b32_e32 v35, 3, v99
	v_and_b32_e32 v35, 6, v35
	v_xor_b32_e32 v36, v35, v100
	v_lshlrev_b32_e32 v36, 2, v36
	v_and_b32_e32 v37, 8, v99
	v_xor_b32_e32 v99, 0x440, v36
	v_cmp_eq_u32_e32 vcc, 0, v37
	v_perm_b32 v37, v22, v18, s58
	s_nop 0
	v_cndmask_b32_e32 v36, v99, v36, vcc
	v_lshl_or_b32 v35, v35, 10, v36
	v_perm_b32 v36, v30, v26, s58
	s_barrier
	ds_write2st64_b32 v35, v36, v37 offset1:32
	v_xor_b32_e32 v36, 8, v35
	v_perm_b32 v26, v30, v26, s59
	v_perm_b32 v18, v22, v18, s59
	v_add_u32_e32 v22, 0x80, v36
	ds_write2st64_b32 v22, v26, v18 offset1:32
	v_xor_b32_e32 v18, 16, v35
	v_perm_b32 v22, v31, v27, s58
	v_perm_b32 v26, v23, v19, s58
	ds_write2st64_b32 v18, v22, v26 offset0:1 offset1:33
	v_xor_b32_e32 v18, 24, v35
	v_perm_b32 v22, v31, v27, s59
	v_perm_b32 v19, v23, v19, s59
	v_add_u32_e32 v18, 0x80, v18
	ds_write2st64_b32 v18, v22, v19 offset0:1 offset1:33
	v_xor_b32_e32 v18, 32, v35
	v_perm_b32 v19, v32, v28, s58
	v_perm_b32 v22, v24, v20, s58
	ds_write2st64_b32 v18, v19, v22 offset0:2 offset1:34
	v_xor_b32_e32 v18, 40, v35
	v_perm_b32 v19, v32, v28, s59
	v_perm_b32 v20, v24, v20, s59
	v_add_u32_e32 v18, 0x80, v18
	ds_write2st64_b32 v18, v19, v20 offset0:2 offset1:34
	;; [unrolled: 9-line block ×3, first 2 shown]
	ds_write_b64 v98, v[14:15] offset:16384
	v_xor_b32_e32 v14, 8, v98
	ds_write_b64 v14, v[16:17] offset:16384
	ds_write_b64 v98, v[10:11] offset:24576
	;; [unrolled: 1-line block ×4, first 2 shown]
	v_xor_b32_e32 v6, 8, v97
	ds_write_b64 v6, v[8:9] offset:16384
	ds_write_b64 v97, v[2:3] offset:24576
	;; [unrolled: 1-line block ×3, first 2 shown]
.LBB580_16:                             ;   in Loop: Header=BB580_6 Depth=1
	v_mul_f32_e32 v6, s2, v96
	v_exp_f32_e32 v10, v6
	s_waitcnt vmcnt(1)
	v_mul_f32_e32 v6, 0x3fb8aa3b, v38
	v_exp_f32_e32 v12, v6
	v_mul_f32_e32 v6, 0x3fb8aa3b, v39
	v_exp_f32_e32 v13, v6
	;; [unrolled: 2-line block ×4, first 2 shown]
	v_accvgpr_read_b32 v2, a4
	v_accvgpr_read_b32 v3, a5
	v_pk_mul_f32 v[12:13], v[10:11], v[12:13] op_sel_hi:[0,1]
	v_pk_fma_f32 v[50:51], v[50:51], v[12:13], v[2:3]
	v_pk_mul_f32 v[2:3], v[10:11], v[14:15] op_sel_hi:[0,1]
	v_mul_f32_e32 v11, 0x3fb8aa3b, v34
	v_exp_f32_e32 v12, v11
	v_mul_f32_e32 v11, 0x3fb8aa3b, v42
	v_exp_f32_e32 v13, v11
	;; [unrolled: 2-line block ×4, first 2 shown]
	v_accvgpr_read_b32 v4, a6
	v_accvgpr_read_b32 v5, a7
	;; [unrolled: 1-line block ×5, first 2 shown]
	v_pk_fma_f32 v[54:55], v[54:55], v[2:3], v[4:5]
	v_pk_mul_f32 v[2:3], v[10:11], v[12:13] op_sel_hi:[0,1]
	v_accvgpr_read_b32 v8, a2
	v_pk_fma_f32 v[48:49], v[48:49], v[2:3], v[6:7]
	v_pk_mul_f32 v[2:3], v[10:11], v[14:15] op_sel_hi:[0,1]
	s_add_i32 s55, s55, 64
	s_cmp_eq_u32 s48, s37
	v_pk_fma_f32 v[52:53], v[52:53], v[2:3], v[8:9]
	s_cbranch_scc1 .LBB580_18
; %bb.17:                               ;   in Loop: Header=BB580_6 Depth=1
	s_mov_b32 s60, s37
	s_branch .LBB580_6
.LBB580_18:
	s_lshl_b32 s26, s48, 6
	s_sub_i32 s27, s50, s26
	s_cmp_gt_i32 s27, 0
	s_cbranch_scc0 .LBB580_75
; %bb.19:
	s_add_i32 s26, s26, s30
	s_ashr_i32 s2, s26, 31
	s_cmpk_lg_i32 s15, 0x80
	s_cselect_b64 s[22:23], -1, 0
	s_and_b64 vcc, exec, s[22:23]
	s_cbranch_vccz .LBB580_21
; %bb.20:
	s_mul_i32 s1, s26, s14
	s_ashr_i32 s3, s51, 31
	s_mul_hi_i32 s0, s26, s14
	s_add_u32 s24, s1, s51
	s_addc_u32 s25, s0, s3
	s_cbranch_execz .LBB580_22
	s_branch .LBB580_23
.LBB580_21:
                                        ; implicit-def: $sgpr24_sgpr25
.LBB580_22:
	s_mul_i32 s1, s51, s12
	s_mul_hi_i32 s0, s51, s12
	s_add_u32 s24, s1, s26
	s_addc_u32 s25, s0, s2
.LBB580_23:
	s_waitcnt lgkmcnt(0)
	s_add_i32 s3, s48, s54
	s_add_u32 s0, s53, s26
	s_addc_u32 s1, s52, s2
	s_mov_b32 s2, 0x7060302
	v_lshlrev_b32_e32 v6, 3, v62
	s_lshl_b64 s[20:21], s[0:1], 8
	v_perm_b32 v3, v55, v54, s2
	v_perm_b32 v2, v51, v50, s2
	;; [unrolled: 1-line block ×4, first 2 shown]
	v_lshlrev_b32_e32 v34, 2, v62
	v_lshl_or_b32 v6, v65, 5, v6
	s_add_u32 s0, s6, s20
	ds_write2st64_b64 v6, v[2:3], v[4:5] offset0:72 offset1:76
	v_xor_b32_e32 v6, v65, v34
	v_lshlrev_b32_e32 v7, 8, v62
	s_addc_u32 s1, s7, s21
	v_lshl_or_b32 v6, v6, 1, v7
	s_mul_hi_i32 s6, s3, s13
	s_mul_i32 s3, s3, s13
	ds_write_b64 v6, v[2:3] offset:32768
	v_xor_b32_e32 v2, v66, v34
	s_add_u32 s2, s3, s47
	v_lshl_or_b32 v2, v2, 1, v7
	s_addc_u32 s3, s6, s49
	v_lshlrev_b32_e32 v3, 1, v62
	ds_write_b64 v2, v[4:5] offset:32768
	v_lshrrev_b32_e32 v2, 4, v0
	s_ashr_i32 s39, s38, 31
	s_lshl_b64 s[2:3], s[2:3], 15
	v_or_b32_e32 v4, 1, v3
	s_add_u32 s6, s18, s2
	v_xor_b32_e32 v3, v2, v3
	v_xor_b32_e32 v4, v4, v2
	v_lshlrev_b32_e32 v6, 8, v2
	s_addc_u32 s7, s19, s3
	s_lshl_b64 s[2:3], s[38:39], 8
	v_lshl_or_b32 v2, v3, 3, v6
	v_lshl_or_b32 v4, v4, 3, v6
	s_waitcnt lgkmcnt(0)
	s_barrier
	s_add_u32 s2, s6, s2
	ds_read_b64 v[2:3], v2 offset:32768
	ds_read_b64 v[4:5], v4 offset:32768
	s_addc_u32 s3, s7, s3
	v_mov_b32_e32 v7, 0
	s_cmp_lg_u32 s27, 64
	v_lshl_add_u64 v[8:9], s[2:3], 0, v[6:7]
	v_lshlrev_b32_e32 v6, 4, v62
	s_cselect_b64 s[6:7], -1, 0
	v_lshl_or_b32 v35, v60, 3, v64
	s_mov_b32 s16, 0
	v_lshl_add_u64 v[6:7], v[8:9], 0, v[6:7]
	v_or_b32_e32 v19, 32, v35
	v_and_b32_e32 v18, 56, v63
	s_and_b64 vcc, exec, s[6:7]
	s_waitcnt lgkmcnt(0)
	global_store_dwordx4 v[6:7], v[2:5], off
	s_cbranch_vccz .LBB580_29
; %bb.24:
	s_mov_b32 s17, s16
	s_mov_b32 s18, s16
	;; [unrolled: 1-line block ×3, first 2 shown]
	v_mov_b64_e32 v[6:7], s[16:17]
	v_mov_b64_e32 v[8:9], s[18:19]
	;; [unrolled: 1-line block ×3, first 2 shown]
	v_cmp_gt_i32_e32 vcc, s27, v35
	v_mov_b64_e32 v[4:5], v[8:9]
	s_and_saveexec_b64 s[2:3], vcc
	s_cbranch_execz .LBB580_26
; %bb.25:
	v_lshlrev_b32_e32 v2, 8, v35
	v_mov_b32_e32 v3, 0
	v_lshl_add_u64 v[4:5], s[0:1], 0, v[2:3]
	v_lshlrev_b32_e32 v2, 1, v18
	v_lshl_add_u64 v[10:11], v[4:5], 0, v[2:3]
	global_load_dwordx4 v[6:9], v[10:11], off
	global_load_dwordx4 v[2:5], v[10:11], off offset:128
.LBB580_26:
	s_or_b64 exec, exec, s[2:3]
	s_mov_b32 s17, s16
	s_mov_b32 s18, s16
	;; [unrolled: 1-line block ×3, first 2 shown]
	v_mov_b64_e32 v[14:15], s[16:17]
	v_mov_b64_e32 v[16:17], s[18:19]
	;; [unrolled: 1-line block ×3, first 2 shown]
	v_cmp_gt_i32_e32 vcc, s27, v19
	v_lshlrev_b32_e32 v20, 7, v19
	v_mov_b64_e32 v[12:13], v[16:17]
	s_and_saveexec_b64 s[2:3], vcc
	s_cbranch_execz .LBB580_28
; %bb.27:
	v_lshlrev_b32_e32 v10, 1, v20
	v_mov_b32_e32 v11, 0
	v_lshl_add_u64 v[12:13], s[0:1], 0, v[10:11]
	v_lshlrev_b32_e32 v10, 1, v18
	v_lshl_add_u64 v[22:23], v[12:13], 0, v[10:11]
	global_load_dwordx4 v[14:17], v[22:23], off
	global_load_dwordx4 v[10:13], v[22:23], off offset:128
.LBB580_28:
	s_or_b64 exec, exec, s[2:3]
	v_lshrrev_b32_e32 v21, 3, v18
	v_lshlrev_b32_e32 v22, 3, v35
	v_or_b32_e32 v21, v22, v21
	v_lshlrev_b32_e32 v21, 4, v21
	v_and_b32_e32 v22, 0x78, v22
	v_xor_b32_e32 v21, v21, v22
	s_branch .LBB580_31
.LBB580_29:
                                        ; implicit-def: $vgpr21
                                        ; implicit-def: $vgpr20
                                        ; implicit-def: $vgpr6_vgpr7_vgpr8_vgpr9
                                        ; implicit-def: $vgpr2_vgpr3_vgpr4_vgpr5
                                        ; implicit-def: $vgpr14_vgpr15_vgpr16_vgpr17
                                        ; implicit-def: $vgpr10_vgpr11_vgpr12_vgpr13
	s_cbranch_execz .LBB580_31
; %bb.30:
	s_waitcnt vmcnt(0)
	v_lshlrev_b32_e32 v2, 1, v18
	v_lshl_or_b32 v20, v35, 8, v2
	s_and_b32 s1, s1, 0xffff
	s_mov_b32 s3, 0x20000
	s_movk_i32 s2, 0x4000
	v_lshl_or_b32 v21, v19, 8, v2
	s_movk_i32 s12, 0x80
	buffer_load_dwordx4 v[6:9], v20, s[0:3], 0 offen
	buffer_load_dwordx4 v[2:5], v20, s[0:3], s12 offen
	buffer_load_dwordx4 v[14:17], v21, s[0:3], 0 offen
	buffer_load_dwordx4 v[10:13], v21, s[0:3], s12 offen
	v_lshrrev_b32_e32 v20, 3, v18
	v_lshlrev_b32_e32 v21, 3, v35
	v_or_b32_e32 v20, v21, v20
	v_lshlrev_b32_e32 v20, 4, v20
	v_and_b32_e32 v21, 0x78, v21
	v_xor_b32_e32 v21, v20, v21
	v_lshlrev_b32_e32 v20, 7, v19
.LBB580_31:
	s_lshl_b64 s[0:1], s[24:25], 8
	s_add_u32 s4, s4, s0
	s_movk_i32 s0, 0x1000
	v_and_or_b32 v19, v20, s0, v21
	s_waitcnt vmcnt(1)
	ds_write_b64 v21, v[6:7] offset:16384
	v_xor_b32_e32 v6, 8, v21
	ds_write_b64 v6, v[8:9] offset:16384
	s_waitcnt vmcnt(0)
	ds_write_b64 v21, v[2:3] offset:24576
	ds_write_b64 v6, v[4:5] offset:24576
	ds_write_b64 v19, v[14:15] offset:16384
	v_xor_b32_e32 v2, 8, v19
	ds_write_b64 v2, v[16:17] offset:16384
	ds_write_b64 v19, v[10:11] offset:24576
	;; [unrolled: 1-line block ×3, first 2 shown]
	v_or_b32_e32 v2, v1, v62
	v_lshlrev_b32_e32 v2, 3, v2
	v_lshrrev_b32_e32 v4, 5, v45
	s_movk_i32 s12, 0xf8
	v_and_or_b32 v4, v2, s12, v4
	v_lshlrev_b32_e32 v3, 11, v60
	v_lshlrev_b32_e32 v12, 4, v4
	v_and_b32_e32 v13, 0x78, v2
	v_and_b32_e32 v14, 0x1000, v3
	v_lshlrev_b32_e32 v3, 2, v0
	v_xor_b32_e32 v2, v12, v13
	v_lshrrev_b32_e32 v4, 1, v45
	v_and_b32_e32 v3, 60, v3
	v_or_b32_e32 v2, v2, v14
	v_and_b32_e32 v15, 8, v4
	v_xor_b32_e32 v26, v2, v15
	v_lshl_or_b32 v2, v61, 6, v3
	v_lshlrev_b32_e32 v19, 1, v2
	v_or_b32_e32 v2, 32, v12
	v_xor_b32_e32 v2, v2, v13
	s_waitcnt lgkmcnt(0)
	s_barrier
	ds_read_b64 v[10:11], v26 offset:16384
	v_or_b32_e32 v2, v2, v14
	v_xor_b32_e32 v27, v2, v15
	v_or_b32_e32 v2, 64, v12
	v_xor_b32_e32 v2, v2, v13
	v_or_b32_e32 v2, v2, v14
	v_or_b32_e32 v12, 0x60, v12
	v_xor_b32_e32 v28, v2, v15
	ds_read2st64_b64 v[2:5], v19 offset0:72 offset1:73
	ds_read2st64_b64 v[6:9], v19 offset0:74 offset1:75
	v_xor_b32_e32 v16, v12, v13
	ds_read_b64 v[12:13], v27 offset:16384
	s_addc_u32 s5, s5, s1
	s_add_i32 s1, s42, s33
	s_waitcnt lgkmcnt(2)
	v_mfma_f32_16x16x16_bf16 a[0:3], v[10:11], v[2:3], 0
	s_add_i32 s0, s31, -1
	s_add_i32 s37, s1, s43
	s_add_i32 s1, s45, s44
	;; [unrolled: 1-line block ×3, first 2 shown]
	s_ashr_i32 s1, s0, 31
	s_mul_i32 s2, s0, s29
	s_mul_hi_u32 s3, s0, s28
	s_add_i32 s2, s3, s2
	s_mul_i32 s1, s1, s28
	v_or_b32_e32 v14, v16, v14
	s_add_i32 s1, s2, s1
	s_lshl_b64 s[2:3], s[36:37], 2
	v_xor_b32_e32 v36, v14, v15
	ds_read_b64 v[14:15], v28 offset:16384
	ds_read_b64 v[16:17], v36 offset:16384
	s_waitcnt lgkmcnt(2)
	v_mfma_f32_16x16x16_bf16 a[0:3], v[12:13], v[4:5], a[0:3]
	s_add_u32 s10, s10, s2
	s_addc_u32 s11, s11, s3
	s_lshl_b64 s[2:3], s[34:35], 2
	s_mul_i32 s0, s0, s28
	s_add_u32 s10, s10, s2
	s_addc_u32 s11, s11, s3
	s_lshl_b64 s[0:1], s[0:1], 2
	s_waitcnt lgkmcnt(1)
	v_mfma_f32_16x16x16_bf16 a[0:3], v[14:15], v[6:7], a[0:3]
	s_add_u32 s0, s10, s0
	s_addc_u32 s1, s11, s1
	s_load_dword s12, s[0:1], 0x0
	s_waitcnt lgkmcnt(0)
	v_mfma_f32_16x16x16_bf16 a[0:3], v[16:17], v[8:9], a[0:3]
	s_and_b64 vcc, exec, s[22:23]
	s_cbranch_vccz .LBB580_42
; %bb.32:
	v_lshlrev_b32_e32 v20, 1, v35
	s_and_b64 vcc, exec, s[6:7]
	s_cbranch_vccz .LBB580_43
; %bb.33:
	v_cmp_gt_i32_e32 vcc, s27, v20
	v_mov_b32_e32 v6, 0
	v_mov_b32_e32 v2, 0
	;; [unrolled: 1-line block ×5, first 2 shown]
	s_and_saveexec_b64 s[0:1], vcc
	s_cbranch_execz .LBB580_35
; %bb.34:
	v_mad_i64_i32 v[2:3], s[2:3], s15, v20, 0
	v_lshl_add_u64 v[2:3], v[2:3], 1, s[4:5]
	v_lshlrev_b32_e32 v4, 1, v18
	v_mov_b32_e32 v5, 0
	v_lshl_add_u64 v[2:3], v[2:3], 0, v[4:5]
	global_load_dwordx4 v[2:5], v[2:3], off
.LBB580_35:
	s_or_b64 exec, exec, s[0:1]
	v_or_b32_e32 v21, 1, v20
	v_cmp_gt_i32_e64 s[0:1], s27, v21
	v_mov_b32_e32 v7, 0
	v_mov_b32_e32 v8, 0
	;; [unrolled: 1-line block ×3, first 2 shown]
	s_and_saveexec_b64 s[2:3], s[0:1]
	s_cbranch_execz .LBB580_37
; %bb.36:
	v_mad_i64_i32 v[6:7], s[16:17], s15, v21, 0
	v_lshl_add_u64 v[6:7], v[6:7], 1, s[4:5]
	v_lshlrev_b32_e32 v8, 1, v18
	v_mov_b32_e32 v9, 0
	v_lshl_add_u64 v[6:7], v[6:7], 0, v[8:9]
	global_load_dwordx4 v[6:9], v[6:7], off
.LBB580_37:
	s_or_b64 exec, exec, s[2:3]
	v_mov_b32_e32 v17, 0
	v_mov_b32_e32 v10, 0
	;; [unrolled: 1-line block ×5, first 2 shown]
	s_and_saveexec_b64 s[2:3], vcc
	s_cbranch_execz .LBB580_39
; %bb.38:
	v_mad_i64_i32 v[10:11], s[16:17], s15, v20, 0
	v_lshl_add_u64 v[10:11], v[10:11], 1, s[4:5]
	v_lshlrev_b32_e32 v12, 1, v18
	v_mov_b32_e32 v13, 0
	v_lshl_add_u64 v[10:11], v[10:11], 0, v[12:13]
	global_load_dwordx4 v[10:13], v[10:11], off offset:128
.LBB580_39:
	s_or_b64 exec, exec, s[2:3]
	v_mov_b32_e32 v16, 0
	v_mov_b32_e32 v15, 0
	;; [unrolled: 1-line block ×3, first 2 shown]
	s_and_saveexec_b64 s[2:3], s[0:1]
	s_cbranch_execz .LBB580_41
; %bb.40:
	v_mad_i64_i32 v[14:15], s[0:1], s15, v21, 0
	v_lshl_add_u64 v[14:15], v[14:15], 1, s[4:5]
	v_lshlrev_b32_e32 v16, 1, v18
	v_mov_b32_e32 v17, 0
	v_lshl_add_u64 v[14:15], v[14:15], 0, v[16:17]
	global_load_dwordx4 v[14:17], v[14:15], off offset:128
.LBB580_41:
	s_or_b64 exec, exec, s[2:3]
	s_branch .LBB580_45
.LBB580_42:
                                        ; implicit-def: $vgpr5
                                        ; implicit-def: $vgpr9
                                        ; implicit-def: $vgpr13
                                        ; implicit-def: $vgpr17
	v_lshrrev_b32_e32 v37, 2, v45
	s_branch .LBB580_46
.LBB580_43:
                                        ; implicit-def: $vgpr5
                                        ; implicit-def: $vgpr9
                                        ; implicit-def: $vgpr13
                                        ; implicit-def: $vgpr17
	s_cbranch_execz .LBB580_45
; %bb.44:
	s_waitcnt vmcnt(0)
	v_mad_u64_u32 v[2:3], s[0:1], v20, s15, v[18:19]
	v_lshlrev_b32_e32 v20, 1, v2
	s_lshl_b32 s2, s15, 7
	s_and_b32 s1, s5, 0xffff
	s_mov_b32 s3, 0x20000
	s_mov_b32 s0, s4
	v_add_lshl_u32 v21, v2, s15, 1
	s_movk_i32 s13, 0x80
	buffer_load_dwordx4 v[2:5], v20, s[0:3], 0 offen
	buffer_load_dwordx4 v[10:13], v20, s[0:3], s13 offen
	;; [unrolled: 1-line block ×4, first 2 shown]
.LBB580_45:
	v_lshrrev_b32_e32 v37, 2, v45
	s_cbranch_execnz .LBB580_58
.LBB580_46:
	s_and_b64 vcc, exec, s[6:7]
	s_cbranch_vccz .LBB580_56
; %bb.47:
	s_waitcnt vmcnt(0)
	v_lshlrev_b32_e32 v7, 1, v35
	v_cmp_gt_i32_e32 vcc, s27, v7
	v_mov_b32_e32 v6, 0
	v_lshlrev_b32_e32 v14, 9, v35
	v_mov_b32_e32 v2, 0
	v_mov_b32_e32 v3, 0
	;; [unrolled: 1-line block ×4, first 2 shown]
	s_and_saveexec_b64 s[0:1], vcc
	s_cbranch_execz .LBB580_49
; %bb.48:
	v_mov_b32_e32 v15, 0
	v_lshl_add_u64 v[2:3], s[4:5], 0, v[14:15]
	v_lshlrev_b32_e32 v4, 1, v18
	v_mov_b32_e32 v5, v15
	v_lshl_add_u64 v[2:3], v[2:3], 0, v[4:5]
	global_load_dwordx4 v[2:5], v[2:3], off
.LBB580_49:
	s_or_b64 exec, exec, s[0:1]
	v_or_b32_e32 v7, 1, v7
	v_cmp_gt_i32_e64 s[0:1], s27, v7
	v_lshlrev_b32_e32 v20, 8, v7
	v_mov_b32_e32 v7, 0
	v_mov_b32_e32 v8, 0
	;; [unrolled: 1-line block ×3, first 2 shown]
	s_and_saveexec_b64 s[2:3], s[0:1]
	s_cbranch_execz .LBB580_51
; %bb.50:
	v_mov_b32_e32 v21, 0
	v_lshl_add_u64 v[6:7], s[4:5], 0, v[20:21]
	v_lshlrev_b32_e32 v8, 1, v18
	v_mov_b32_e32 v9, v21
	v_lshl_add_u64 v[6:7], v[6:7], 0, v[8:9]
	global_load_dwordx4 v[6:9], v[6:7], off
.LBB580_51:
	s_or_b64 exec, exec, s[2:3]
	v_mov_b32_e32 v17, 0
	v_mov_b32_e32 v10, 0
	;; [unrolled: 1-line block ×5, first 2 shown]
	s_and_saveexec_b64 s[2:3], vcc
	s_cbranch_execz .LBB580_53
; %bb.52:
	v_mov_b32_e32 v15, 0
	v_lshl_add_u64 v[10:11], s[4:5], 0, v[14:15]
	v_lshlrev_b32_e32 v14, 1, v18
	v_lshl_add_u64 v[10:11], v[10:11], 0, v[14:15]
	global_load_dwordx4 v[10:13], v[10:11], off offset:128
.LBB580_53:
	s_or_b64 exec, exec, s[2:3]
	v_mov_b32_e32 v16, 0
	v_mov_b32_e32 v15, 0
	;; [unrolled: 1-line block ×3, first 2 shown]
	s_and_saveexec_b64 s[2:3], s[0:1]
	s_cbranch_execz .LBB580_55
; %bb.54:
	v_mov_b32_e32 v21, 0
	v_lshl_add_u64 v[14:15], s[4:5], 0, v[20:21]
	v_lshlrev_b32_e32 v20, 1, v18
	v_lshl_add_u64 v[14:15], v[14:15], 0, v[20:21]
	global_load_dwordx4 v[14:17], v[14:15], off offset:128
.LBB580_55:
	s_or_b64 exec, exec, s[2:3]
	s_branch .LBB580_58
.LBB580_56:
                                        ; implicit-def: $vgpr5
                                        ; implicit-def: $vgpr9
                                        ; implicit-def: $vgpr13
                                        ; implicit-def: $vgpr17
	s_cbranch_execz .LBB580_58
; %bb.57:
	s_waitcnt vmcnt(0)
	v_lshlrev_b32_e32 v2, 1, v18
	v_lshl_or_b32 v18, v35, 9, v2
	s_and_b32 s5, s5, 0xffff
	s_mov_b32 s7, 0x20000
	s_movk_i32 s6, 0x4000
	s_movk_i32 s0, 0x80
	buffer_load_dwordx4 v[2:5], v18, s[4:7], 0 offen
	buffer_load_dwordx4 v[6:9], v18, s[4:7], 0 offen offset:256
	buffer_load_dwordx4 v[10:13], v18, s[4:7], s0 offen
	buffer_load_dwordx4 v[14:17], v18, s[4:7], s0 offen offset:256
.LBB580_58:
	ds_read2st64_b64 v[22:25], v19 offset0:76 offset1:77
	ds_read2st64_b64 v[18:21], v19 offset0:78 offset1:79
	ds_read_b64 v[30:31], v26 offset:24576
	ds_read_b64 v[32:33], v27 offset:24576
	;; [unrolled: 1-line block ×4, first 2 shown]
	v_and_b32_e32 v36, 6, v0
	v_xor_b32_e32 v35, v35, v36
	v_lshlrev_b32_e32 v35, 2, v35
	v_and_b32_e32 v0, 1, v0
	v_xor_b32_e32 v38, 0x440, v35
	v_cmp_eq_u32_e32 vcc, 0, v0
	s_mov_b32 s0, 0x1000504
	s_mov_b32 s1, 0x3020706
	v_cndmask_b32_e32 v0, v38, v35, vcc
	v_lshl_or_b32 v0, v36, 10, v0
	s_waitcnt vmcnt(0)
	v_perm_b32 v35, v2, v6, s0
	v_perm_b32 v36, v10, v14, s0
	ds_write2st64_b32 v0, v35, v36 offset1:32
	v_xor_b32_e32 v35, 8, v0
	v_perm_b32 v2, v2, v6, s1
	v_perm_b32 v6, v10, v14, s1
	v_add_u32_e32 v10, 0x80, v35
	ds_write2st64_b32 v10, v2, v6 offset1:32
	v_xor_b32_e32 v2, 16, v0
	v_perm_b32 v6, v3, v7, s0
	v_perm_b32 v10, v11, v15, s0
	ds_write2st64_b32 v2, v6, v10 offset0:1 offset1:33
	v_xor_b32_e32 v2, 24, v0
	v_perm_b32 v3, v3, v7, s1
	v_perm_b32 v6, v11, v15, s1
	v_add_u32_e32 v2, 0x80, v2
	ds_write2st64_b32 v2, v3, v6 offset0:1 offset1:33
	v_xor_b32_e32 v2, 32, v0
	v_perm_b32 v3, v4, v8, s0
	v_perm_b32 v6, v12, v16, s0
	ds_write2st64_b32 v2, v3, v6 offset0:2 offset1:34
	v_xor_b32_e32 v2, 40, v0
	v_perm_b32 v3, v4, v8, s1
	v_perm_b32 v4, v12, v16, s1
	v_add_u32_e32 v2, 0x80, v2
	ds_write2st64_b32 v2, v3, v4 offset0:2 offset1:34
	v_xor_b32_e32 v2, 48, v0
	v_perm_b32 v3, v5, v9, s0
	v_perm_b32 v4, v13, v17, s0
	v_xor_b32_e32 v0, 56, v0
	v_and_or_b32 v6, v37, 12, v1
	ds_write2st64_b32 v2, v3, v4 offset0:3 offset1:35
	v_perm_b32 v2, v5, v9, s1
	v_perm_b32 v3, v13, v17, s1
	v_add_u32_e32 v0, 0x80, v0
	v_cmp_gt_i32_e32 vcc, s27, v6
	v_mov_b32_e32 v7, 0
	v_mov_b32_e32 v11, 0
	ds_write2st64_b32 v0, v2, v3 offset0:3 offset1:35
	s_and_saveexec_b64 s[0:1], vcc
	s_cbranch_execz .LBB580_60
; %bb.59:
	v_add_u32_e32 v0, s26, v6
	v_ashrrev_i32_e32 v1, 31, v0
	v_mul_lo_u32 v2, v1, s28
	v_mul_lo_u32 v3, v0, s29
	v_mad_u64_u32 v[0:1], s[2:3], v0, s28, 0
	v_add3_u32 v1, v1, v3, v2
	v_lshl_add_u64 v[0:1], v[0:1], 2, s[10:11]
	global_load_dword v0, v[0:1], off
	s_waitcnt vmcnt(0)
	v_sub_f32_e32 v0, s12, v0
	v_mul_f32_e32 v0, 0x3fb8aa3b, v0
	v_exp_f32_e32 v11, v0
.LBB580_60:
	s_or_b64 exec, exec, s[0:1]
	v_or_b32_e32 v9, 1, v6
	v_cmp_gt_i32_e64 s[0:1], s27, v9
	s_and_saveexec_b64 s[2:3], s[0:1]
	s_cbranch_execz .LBB580_62
; %bb.61:
	v_add_u32_e32 v0, s26, v9
	v_ashrrev_i32_e32 v1, 31, v0
	v_mul_lo_u32 v2, v1, s28
	v_mul_lo_u32 v3, v0, s29
	v_mad_u64_u32 v[0:1], s[4:5], v0, s28, 0
	v_add3_u32 v1, v1, v3, v2
	v_lshl_add_u64 v[0:1], v[0:1], 2, s[10:11]
	global_load_dword v0, v[0:1], off
	s_waitcnt vmcnt(0)
	v_sub_f32_e32 v0, s12, v0
	v_mul_f32_e32 v0, 0x3fb8aa3b, v0
	v_exp_f32_e32 v7, v0
.LBB580_62:
	s_or_b64 exec, exec, s[2:3]
	v_or_b32_e32 v10, 2, v6
	v_cmp_gt_i32_e64 s[2:3], s27, v10
	v_mov_b32_e32 v8, 0
	v_mov_b32_e32 v13, 0
	s_and_saveexec_b64 s[4:5], s[2:3]
	s_cbranch_execz .LBB580_64
; %bb.63:
	v_add_u32_e32 v0, s26, v10
	v_ashrrev_i32_e32 v1, 31, v0
	v_mul_lo_u32 v2, v1, s28
	v_mul_lo_u32 v3, v0, s29
	v_mad_u64_u32 v[0:1], s[6:7], v0, s28, 0
	v_add3_u32 v1, v1, v3, v2
	v_lshl_add_u64 v[0:1], v[0:1], 2, s[10:11]
	global_load_dword v0, v[0:1], off
	s_waitcnt vmcnt(0)
	v_sub_f32_e32 v0, s12, v0
	v_mul_f32_e32 v0, 0x3fb8aa3b, v0
	v_exp_f32_e32 v13, v0
.LBB580_64:
	s_or_b64 exec, exec, s[4:5]
	v_or_b32_e32 v12, 3, v6
	v_cmp_gt_i32_e64 s[4:5], s27, v12
	s_and_saveexec_b64 s[6:7], s[4:5]
	s_cbranch_execz .LBB580_66
; %bb.65:
	v_add_u32_e32 v0, s26, v12
	v_ashrrev_i32_e32 v1, 31, v0
	v_mul_lo_u32 v2, v1, s28
	v_mul_lo_u32 v3, v0, s29
	v_mad_u64_u32 v[0:1], s[14:15], v0, s28, 0
	v_add3_u32 v1, v1, v3, v2
	v_lshl_add_u64 v[0:1], v[0:1], 2, s[10:11]
	global_load_dword v0, v[0:1], off
	s_waitcnt vmcnt(0)
	v_sub_f32_e32 v0, s12, v0
	v_mul_f32_e32 v0, 0x3fb8aa3b, v0
	v_exp_f32_e32 v8, v0
.LBB580_66:
	s_or_b64 exec, exec, s[6:7]
	s_waitcnt lgkmcnt(11)
	v_mfma_f32_16x16x16_bf16 a[0:3], v[30:31], v[22:23], a[0:3]
	s_add_u32 s6, s8, s20
	v_ashrrev_i32_e32 v47, 31, v46
	s_addc_u32 s7, s9, s21
	s_waitcnt lgkmcnt(10)
	v_mfma_f32_16x16x16_bf16 a[0:3], v[32:33], v[24:25], a[0:3]
	v_mov_b32_e32 v14, 0
	v_lshl_add_u64 v[4:5], v[46:47], 1, s[6:7]
	v_mov_b32_e32 v15, 0
	s_waitcnt lgkmcnt(9)
	v_mfma_f32_16x16x16_bf16 a[0:3], v[28:29], v[18:19], a[0:3]
	s_waitcnt lgkmcnt(8)
	v_mfma_f32_16x16x16_bf16 a[0:3], v[26:27], v[20:21], a[0:3]
	s_nop 6
	v_accvgpr_read_b32 v0, a0
	v_accvgpr_read_b32 v1, a1
	;; [unrolled: 1-line block ×4, first 2 shown]
	s_and_saveexec_b64 s[6:7], vcc
	s_cbranch_execz .LBB580_68
; %bb.67:
	v_lshlrev_b32_e32 v16, 8, v6
	v_mov_b32_e32 v17, 0
	v_lshl_add_u64 v[16:17], v[4:5], 0, v[16:17]
	global_load_ushort v15, v[16:17], off
	s_waitcnt vmcnt(0)
	v_lshlrev_b32_e32 v15, 16, v15
	v_sub_f32_e32 v0, v15, v0
	v_mul_f32_e32 v0, v11, v0
	v_lshrrev_b32_e32 v15, 16, v0
.LBB580_68:
	s_or_b64 exec, exec, s[6:7]
	s_and_saveexec_b64 s[6:7], s[0:1]
	s_cbranch_execz .LBB580_70
; %bb.69:
	v_lshlrev_b32_e32 v16, 8, v9
	v_mov_b32_e32 v17, 0
	v_lshl_add_u64 v[16:17], v[4:5], 0, v[16:17]
	global_load_ushort v0, v[16:17], off
	s_waitcnt vmcnt(0)
	v_lshlrev_b32_e32 v0, 16, v0
	v_sub_f32_e32 v0, v0, v1
	v_mul_f32_e32 v0, v7, v0
	v_lshrrev_b32_e32 v14, 16, v0
.LBB580_70:
	s_or_b64 exec, exec, s[6:7]
	v_mov_b32_e32 v0, 0
	v_mov_b32_e32 v1, 0
	s_and_saveexec_b64 s[0:1], s[2:3]
	s_cbranch_execz .LBB580_72
; %bb.71:
	v_lshlrev_b32_e32 v10, 8, v10
	v_mov_b32_e32 v11, 0
	v_lshl_add_u64 v[10:11], v[4:5], 0, v[10:11]
	global_load_ushort v1, v[10:11], off
	s_waitcnt vmcnt(0)
	v_lshlrev_b32_e32 v1, 16, v1
	v_sub_f32_e32 v1, v1, v2
	v_mul_f32_e32 v1, v13, v1
	v_lshrrev_b32_e32 v1, 16, v1
.LBB580_72:
	s_or_b64 exec, exec, s[0:1]
	s_and_saveexec_b64 s[0:1], s[4:5]
	s_cbranch_execz .LBB580_74
; %bb.73:
	v_lshlrev_b32_e32 v10, 8, v12
	v_mov_b32_e32 v11, 0
	v_lshl_add_u64 v[4:5], v[4:5], 0, v[10:11]
	global_load_ushort v0, v[4:5], off
	s_waitcnt vmcnt(0)
	v_lshlrev_b32_e32 v0, 16, v0
	v_sub_f32_e32 v0, v0, v3
	v_mul_f32_e32 v0, v8, v0
	v_lshrrev_b32_e32 v0, 16, v0
.LBB580_74:
	s_or_b64 exec, exec, s[0:1]
	s_mov_b32 s0, 0x5040100
	v_lshlrev_b32_e32 v2, 1, v34
	v_perm_b32 v1, v0, v1, s0
	v_perm_b32 v0, v14, v15, s0
	v_lshl_or_b32 v2, v6, 5, v2
	ds_write_b64 v2, v[0:1] offset:38912
	s_waitcnt lgkmcnt(0)
	s_barrier
.LBB580_75:
	s_endpgm
	.section	.rodata,"a",@progbits
	.p2align	6, 0x0
	.amdhsa_kernel _ZN12_GLOBAL__N_139chunk_gated_delta_rule_fwd_h_hip_kernelILi16ELb1ELb0ELb0ELb1ELb0ELb1ELb1ELb1EEEvPK12hip_bfloat16S3_S3_PKfS5_PKvPS1_S8_PvPKiSB_iiiiilll
		.amdhsa_group_segment_fixed_size 40960
		.amdhsa_private_segment_fixed_size 0
		.amdhsa_kernarg_size 136
		.amdhsa_user_sgpr_count 2
		.amdhsa_user_sgpr_dispatch_ptr 0
		.amdhsa_user_sgpr_queue_ptr 0
		.amdhsa_user_sgpr_kernarg_segment_ptr 1
		.amdhsa_user_sgpr_dispatch_id 0
		.amdhsa_user_sgpr_kernarg_preload_length 0
		.amdhsa_user_sgpr_kernarg_preload_offset 0
		.amdhsa_user_sgpr_private_segment_size 0
		.amdhsa_uses_dynamic_stack 0
		.amdhsa_enable_private_segment 0
		.amdhsa_system_sgpr_workgroup_id_x 1
		.amdhsa_system_sgpr_workgroup_id_y 1
		.amdhsa_system_sgpr_workgroup_id_z 0
		.amdhsa_system_sgpr_workgroup_info 0
		.amdhsa_system_vgpr_workitem_id 0
		.amdhsa_next_free_vgpr 128
		.amdhsa_next_free_sgpr 61
		.amdhsa_accum_offset 116
		.amdhsa_reserve_vcc 1
		.amdhsa_float_round_mode_32 0
		.amdhsa_float_round_mode_16_64 0
		.amdhsa_float_denorm_mode_32 3
		.amdhsa_float_denorm_mode_16_64 3
		.amdhsa_dx10_clamp 1
		.amdhsa_ieee_mode 1
		.amdhsa_fp16_overflow 0
		.amdhsa_tg_split 0
		.amdhsa_exception_fp_ieee_invalid_op 0
		.amdhsa_exception_fp_denorm_src 0
		.amdhsa_exception_fp_ieee_div_zero 0
		.amdhsa_exception_fp_ieee_overflow 0
		.amdhsa_exception_fp_ieee_underflow 0
		.amdhsa_exception_fp_ieee_inexact 0
		.amdhsa_exception_int_div_zero 0
	.end_amdhsa_kernel
	.section	.text._ZN12_GLOBAL__N_139chunk_gated_delta_rule_fwd_h_hip_kernelILi16ELb1ELb0ELb0ELb1ELb0ELb1ELb1ELb1EEEvPK12hip_bfloat16S3_S3_PKfS5_PKvPS1_S8_PvPKiSB_iiiiilll,"axG",@progbits,_ZN12_GLOBAL__N_139chunk_gated_delta_rule_fwd_h_hip_kernelILi16ELb1ELb0ELb0ELb1ELb0ELb1ELb1ELb1EEEvPK12hip_bfloat16S3_S3_PKfS5_PKvPS1_S8_PvPKiSB_iiiiilll,comdat
.Lfunc_end580:
	.size	_ZN12_GLOBAL__N_139chunk_gated_delta_rule_fwd_h_hip_kernelILi16ELb1ELb0ELb0ELb1ELb0ELb1ELb1ELb1EEEvPK12hip_bfloat16S3_S3_PKfS5_PKvPS1_S8_PvPKiSB_iiiiilll, .Lfunc_end580-_ZN12_GLOBAL__N_139chunk_gated_delta_rule_fwd_h_hip_kernelILi16ELb1ELb0ELb0ELb1ELb0ELb1ELb1ELb1EEEvPK12hip_bfloat16S3_S3_PKfS5_PKvPS1_S8_PvPKiSB_iiiiilll
                                        ; -- End function
	.section	.AMDGPU.csdata,"",@progbits
; Kernel info:
; codeLenInByte = 7348
; NumSgprs: 67
; NumVgprs: 114
; NumAgprs: 12
; TotalNumVgprs: 128
; ScratchSize: 0
; MemoryBound: 0
; FloatMode: 240
; IeeeMode: 1
; LDSByteSize: 40960 bytes/workgroup (compile time only)
; SGPRBlocks: 8
; VGPRBlocks: 15
; NumSGPRsForWavesPerEU: 67
; NumVGPRsForWavesPerEU: 128
; AccumOffset: 116
; Occupancy: 1
; WaveLimiterHint : 1
; COMPUTE_PGM_RSRC2:SCRATCH_EN: 0
; COMPUTE_PGM_RSRC2:USER_SGPR: 2
; COMPUTE_PGM_RSRC2:TRAP_HANDLER: 0
; COMPUTE_PGM_RSRC2:TGID_X_EN: 1
; COMPUTE_PGM_RSRC2:TGID_Y_EN: 1
; COMPUTE_PGM_RSRC2:TGID_Z_EN: 0
; COMPUTE_PGM_RSRC2:TIDIG_COMP_CNT: 0
; COMPUTE_PGM_RSRC3_GFX90A:ACCUM_OFFSET: 28
; COMPUTE_PGM_RSRC3_GFX90A:TG_SPLIT: 0
	.section	.text._ZN12_GLOBAL__N_139chunk_gated_delta_rule_fwd_h_hip_kernelILi16ELb0ELb1ELb1ELb1ELb0ELb1ELb1ELb1EEEvPK12hip_bfloat16S3_S3_PKfS5_PKvPS1_S8_PvPKiSB_iiiiilll,"axG",@progbits,_ZN12_GLOBAL__N_139chunk_gated_delta_rule_fwd_h_hip_kernelILi16ELb0ELb1ELb1ELb1ELb0ELb1ELb1ELb1EEEvPK12hip_bfloat16S3_S3_PKfS5_PKvPS1_S8_PvPKiSB_iiiiilll,comdat
	.globl	_ZN12_GLOBAL__N_139chunk_gated_delta_rule_fwd_h_hip_kernelILi16ELb0ELb1ELb1ELb1ELb0ELb1ELb1ELb1EEEvPK12hip_bfloat16S3_S3_PKfS5_PKvPS1_S8_PvPKiSB_iiiiilll ; -- Begin function _ZN12_GLOBAL__N_139chunk_gated_delta_rule_fwd_h_hip_kernelILi16ELb0ELb1ELb1ELb1ELb0ELb1ELb1ELb1EEEvPK12hip_bfloat16S3_S3_PKfS5_PKvPS1_S8_PvPKiSB_iiiiilll
	.p2align	8
	.type	_ZN12_GLOBAL__N_139chunk_gated_delta_rule_fwd_h_hip_kernelILi16ELb0ELb1ELb1ELb1ELb0ELb1ELb1ELb1EEEvPK12hip_bfloat16S3_S3_PKfS5_PKvPS1_S8_PvPKiSB_iiiiilll,@function
_ZN12_GLOBAL__N_139chunk_gated_delta_rule_fwd_h_hip_kernelILi16ELb0ELb1ELb1ELb1ELb0ELb1ELb1ELb1EEEvPK12hip_bfloat16S3_S3_PKfS5_PKvPS1_S8_PvPKiSB_iiiiilll: ; @_ZN12_GLOBAL__N_139chunk_gated_delta_rule_fwd_h_hip_kernelILi16ELb0ELb1ELb1ELb1ELb0ELb1ELb1ELb1EEEvPK12hip_bfloat16S3_S3_PKfS5_PKvPS1_S8_PvPKiSB_iiiiilll
; %bb.0:
	s_load_dwordx4 s[20:23], s[0:1], 0x5c
	s_load_dwordx2 s[40:41], s[0:1], 0x20
	s_abs_i32 s27, s3
	s_ashr_i32 s26, s3, 31
	s_load_dwordx2 s[24:25], s[0:1], 0x50
	s_load_dwordx8 s[4:11], s[0:1], 0x30
	s_load_dwordx8 s[12:19], s[0:1], 0x0
	s_waitcnt lgkmcnt(0)
	s_abs_i32 s30, s21
	v_cvt_f32_u32_e32 v1, s30
	s_sub_i32 s28, 0, s30
	s_ashr_i32 s33, s21, 31
	s_xor_b32 s26, s26, s33
	v_rcp_iflag_f32_e32 v1, v1
	v_lshrrev_b32_e32 v45, 6, v0
	v_bfe_u32 v62, v0, 4, 2
	v_lshlrev_b32_e32 v60, 4, v45
	v_mul_f32_e32 v1, 0x4f7ffffe, v1
	v_cvt_u32_f32_e32 v1, v1
	v_lshlrev_b32_e32 v2, 2, v62
	v_and_b32_e32 v61, 63, v0
	v_mov_b32_e32 v49, 0
	v_readfirstlane_b32 s29, v1
	s_mul_i32 s28, s28, s29
	s_mul_hi_u32 s28, s29, s28
	s_add_i32 s29, s29, s28
	s_mul_hi_u32 s28, s27, s29
	s_mul_i32 s29, s28, s30
	s_sub_i32 s27, s27, s29
	s_add_i32 s31, s28, 1
	s_sub_i32 s29, s27, s30
	s_cmp_ge_u32 s27, s30
	s_cselect_b32 s28, s31, s28
	s_cselect_b32 s27, s29, s27
	s_add_i32 s29, s28, 1
	s_cmp_ge_u32 s27, s30
	s_cselect_b32 s27, s29, s28
	s_xor_b32 s27, s27, s26
	s_sub_i32 s34, s27, s26
	s_mul_i32 s26, s34, s21
	s_ashr_i32 s35, s34, 31
	s_sub_i32 s48, s3, s26
	s_lshl_b64 s[26:27], s[34:35], 2
	s_add_u32 s10, s10, s26
	s_addc_u32 s11, s11, s27
	s_add_u32 s28, s24, s26
	s_addc_u32 s29, s25, s27
	s_abs_i32 s3, s22
	v_cvt_f32_u32_e32 v1, s3
	s_load_dwordx2 s[42:43], s[10:11], 0x0
	s_sub_i32 s11, 0, s3
	s_mov_b32 s49, s21
	v_rcp_iflag_f32_e32 v1, v1
	v_and_b32_e32 v63, 15, v0
	s_waitcnt lgkmcnt(0)
	s_sub_i32 s54, s43, s42
	s_ashr_i32 s10, s54, 31
	v_mul_f32_e32 v1, 0x4f7ffffe, v1
	v_cvt_u32_f32_e32 v1, v1
	s_lshr_b32 s10, s10, 26
	s_add_i32 s10, s54, s10
	s_ashr_i32 s53, s10, 6
	v_readfirstlane_b32 s24, v1
	s_mul_i32 s11, s11, s24
	s_mul_hi_u32 s11, s24, s11
	s_add_i32 s24, s24, s11
	s_mul_hi_u32 s11, s30, s24
	s_mul_i32 s24, s11, s3
	s_ashr_i32 s10, s22, 31
	s_sub_i32 s24, s30, s24
	s_xor_b32 s10, s33, s10
	s_add_i32 s25, s11, 1
	s_sub_i32 s26, s24, s3
	s_cmp_ge_u32 s24, s3
	s_cselect_b32 s11, s25, s11
	s_cselect_b32 s24, s26, s24
	s_add_i32 s25, s11, 1
	s_cmp_ge_u32 s24, s3
	s_cselect_b32 s3, s25, s11
	s_xor_b32 s3, s3, s10
	s_sub_i32 s3, s3, s10
	s_abs_i32 s30, s3
	v_cvt_f32_u32_e32 v1, s30
	s_load_dwordx2 s[10:11], s[0:1], 0x80
	s_load_dwordx4 s[24:27], s[0:1], 0x70
	s_load_dword s55, s[28:29], 0x0
	s_xor_b32 s0, s48, s3
	v_rcp_iflag_f32_e32 v1, v1
	s_sub_i32 s3, 0, s30
	s_abs_i32 s1, s48
	s_ashr_i32 s0, s0, 31
	v_mul_f32_e32 v1, 0x4f7ffffe, v1
	v_cvt_u32_f32_e32 v1, v1
	s_mul_hi_i32 s56, s48, s20
	s_mul_i32 s57, s48, s20
	v_lshrrev_b32_e32 v65, 3, v61
	v_readfirstlane_b32 s28, v1
	s_mul_i32 s3, s3, s28
	s_mul_hi_u32 s3, s28, s3
	s_add_i32 s28, s28, s3
	s_mul_hi_u32 s3, s1, s28
	s_mul_i32 s28, s3, s30
	s_sub_i32 s1, s1, s28
	s_add_i32 s28, s3, 1
	s_sub_i32 s29, s1, s30
	s_cmp_ge_u32 s1, s30
	s_cselect_b32 s3, s28, s3
	s_cselect_b32 s1, s29, s1
	s_add_i32 s28, s3, 1
	s_cmp_ge_u32 s1, s30
	s_cselect_b32 s1, s28, s3
	s_xor_b32 s1, s1, s0
	s_sub_i32 s58, s1, s0
	v_or_b32_e32 v1, v2, v60
	s_lshl_b32 s2, s2, 4
	v_or_b32_e32 v66, 64, v1
	s_cmp_lt_i32 s54, 64
	v_lshlrev_b32_e32 v64, 3, v0
	s_waitcnt lgkmcnt(0)
	s_mul_i32 s50, s34, s25
	s_mul_hi_u32 s51, s34, s24
	s_mul_i32 s52, s35, s24
	s_mul_i32 s44, s34, s24
	v_mov_b32_e32 v48, v49
	v_mov_b32_e32 v51, v49
	v_mov_b32_e32 v50, v49
	v_mov_b32_e32 v53, v49
	v_mov_b32_e32 v52, v49
	v_mov_b32_e32 v47, v49
	v_mov_b32_e32 v46, v49
	s_cbranch_scc1 .LBB581_18
; %bb.1:
	s_ashr_i32 s60, s48, 31
	s_ashr_i32 s1, s42, 31
	s_add_u32 s0, s57, s42
	s_addc_u32 s1, s56, s1
	s_lshl_b64 s[0:1], s[0:1], 8
	v_and_b32_e32 v68, 56, v64
	s_add_u32 s28, s14, s0
	v_lshl_or_b32 v67, v45, 3, v65
	v_lshlrev_b32_e32 v3, 1, v68
	s_addc_u32 s0, s15, s1
	v_lshl_or_b32 v69, v67, 8, v3
	s_and_b32 s29, s0, 0xffff
	s_mov_b32 s31, 0x20000
	s_movk_i32 s30, 0x4000
	s_movk_i32 s0, 0x80
	v_or_b32_e32 v70, 0x2000, v69
	buffer_load_dwordx4 v[4:7], v69, s[28:31], 0 offen
	buffer_load_dwordx4 v[8:11], v69, s[28:31], s0 offen
	;; [unrolled: 1-line block ×4, first 2 shown]
	v_lshlrev_b32_e32 v20, 3, v67
	v_and_or_b32 v22, v0, 7, v20
	v_and_b32_e32 v20, 0x78, v20
	v_lshlrev_b32_e32 v22, 4, v22
	v_xor_b32_e32 v71, v22, v20
	v_mul_lo_u32 v21, v67, s23
	v_or_b32_e32 v72, 0x1000, v71
	s_cmpk_eq_i32 s23, 0x80
	s_mov_b32 s59, s42
	v_xor_b32_e32 v20, 8, v71
	v_xor_b32_e32 v22, 8, v72
	s_cselect_b64 s[0:1], -1, 0
	s_cmpk_lg_i32 s23, 0x80
	s_waitcnt vmcnt(3)
	ds_write_b64 v71, v[4:5] offset:16384
	ds_write_b64 v20, v[6:7] offset:16384
	s_waitcnt vmcnt(2)
	ds_write_b64 v71, v[8:9] offset:24576
	ds_write_b64 v20, v[10:11] offset:24576
	;; [unrolled: 3-line block ×4, first 2 shown]
	v_lshl_add_u32 v4, v21, 1, v68
	s_cbranch_scc0 .LBB581_3
; %bb.2:
	v_lshlrev_b32_e32 v6, 1, v4
	v_add_lshl_u32 v5, v4, s23, 1
	s_lshl_b32 s30, s23, 7
	v_lshl_or_b32 v3, v67, 9, v3
	s_cbranch_execz .LBB581_4
	s_branch .LBB581_5
.LBB581_3:
                                        ; implicit-def: $vgpr5
                                        ; implicit-def: $vgpr6
                                        ; implicit-def: $sgpr30
	v_lshl_or_b32 v3, v67, 9, v3
.LBB581_4:
	v_or_b32_e32 v5, 0x100, v3
	s_movk_i32 s30, 0x4000
	v_mov_b32_e32 v6, v3
.LBB581_5:
	s_mul_i32 s24, s42, s22
	s_ashr_i32 s61, s58, 31
	s_mul_hi_i32 s3, s42, s22
	s_add_u32 s24, s24, s58
	s_addc_u32 s25, s3, s61
	s_lshl_b64 s[24:25], s[24:25], 8
	s_add_u32 s28, s12, s24
	s_addc_u32 s3, s13, s25
	s_and_b32 s29, s3, 0xffff
	s_movk_i32 s62, 0x80
	buffer_load_dwordx4 v[8:11], v6, s[28:31], 0 offen
	buffer_load_dwordx4 v[12:15], v6, s[28:31], s62 offen
	;; [unrolled: 1-line block ×4, first 2 shown]
	v_and_b32_e32 v5, 6, v0
	v_lshlrev_b32_e32 v7, 2, v63
	v_lshlrev_b32_e32 v24, 3, v63
	v_xor_b32_e32 v26, v67, v5
	v_and_b32_e32 v6, 1, v0
	v_lshl_or_b32 v24, v1, 5, v24
	v_xor_b32_e32 v27, v1, v7
	v_lshlrev_b32_e32 v26, 2, v26
	s_mul_i32 s3, s48, s27
	s_mul_hi_u32 s25, s48, s26
	v_or_b32_e32 v73, 0x9000, v24
	v_or_b32_e32 v74, 0x9800, v24
	v_lshlrev_b32_e32 v24, 1, v27
	v_xor_b32_e32 v27, 0x440, v26
	v_cmp_eq_u32_e32 vcc, 0, v6
	s_add_i32 s29, s51, s50
	s_mul_i32 s28, s60, s26
	v_cndmask_b32_e32 v6, v27, v26, vcc
	s_add_i32 s3, s25, s3
	s_add_i32 s45, s29, s52
	s_mov_b32 s63, 0x1000504
	v_lshlrev_b32_e32 v25, 8, v63
	s_mov_b32 s30, 0x8000
	v_xor_b32_e32 v7, v66, v7
	v_lshl_or_b32 v5, v5, 10, v6
	s_add_i32 s25, s3, s28
	s_lshl_b64 s[28:29], s[44:45], 2
	s_mov_b32 s64, 0x3020706
	s_mul_i32 s24, s48, s26
	v_lshlrev_b32_e32 v7, 1, v7
	v_or3_b32 v75, v24, v25, s30
	v_xor_b32_e32 v6, 8, v5
	v_xor_b32_e32 v24, 24, v5
	v_xor_b32_e32 v26, 40, v5
	v_xor_b32_e32 v28, 56, v5
	s_add_u32 s3, s18, s28
	v_or3_b32 v76, v7, v25, s30
	v_xor_b32_e32 v7, 16, v5
	v_xor_b32_e32 v25, 32, v5
	;; [unrolled: 1-line block ×3, first 2 shown]
	v_add_u32_e32 v6, 0x80, v6
	v_add_u32_e32 v24, 0x80, v24
	v_add_u32_e32 v26, 0x80, v26
	v_add_u32_e32 v28, 0x80, v28
	s_addc_u32 s28, s19, s29
	s_lshl_b64 s[24:25], s[24:25], 2
	s_add_u32 s24, s3, s24
	s_movk_i32 s3, 0xf8
	s_addc_u32 s25, s28, s25
	s_lshl_b32 s38, s23, 7
	v_mov_b32_e32 v47, 0
	s_mov_b32 s65, 0
	v_add_u32_e32 v87, v60, v2
	v_mov_b32_e32 v98, 0x3fb8aa3b
	v_mov_b32_e32 v52, v47
	;; [unrolled: 1-line block ×7, first 2 shown]
	s_waitcnt vmcnt(1)
	v_perm_b32 v29, v8, v16, s63
	s_waitcnt vmcnt(0)
	v_perm_b32 v30, v12, v20, s63
	v_perm_b32 v8, v8, v16, s64
	;; [unrolled: 1-line block ×15, first 2 shown]
	ds_write2st64_b32 v5, v29, v30 offset1:32
	ds_write2st64_b32 v6, v8, v12 offset1:32
	ds_write2st64_b32 v7, v16, v20 offset0:1 offset1:33
	ds_write2st64_b32 v24, v9, v13 offset0:1 offset1:33
	;; [unrolled: 1-line block ×6, first 2 shown]
	v_or_b32_e32 v5, v60, v63
	v_lshlrev_b32_e32 v5, 3, v5
	v_lshrrev_b32_e32 v7, 5, v61
	v_and_or_b32 v7, v5, s3, v7
	v_lshlrev_b32_e32 v7, 4, v7
	v_lshrrev_b32_e32 v6, 2, v61
	v_lshlrev_b32_e32 v11, 11, v45
	v_and_b32_e32 v5, 0x78, v5
	v_or_b32_e32 v12, 32, v7
	v_and_b32_e32 v10, 12, v6
	v_and_b32_e32 v6, 0x1000, v11
	v_lshrrev_b32_e32 v9, 1, v61
	v_xor_b32_e32 v12, v12, v5
	v_and_b32_e32 v9, 8, v9
	v_or_b32_e32 v12, v12, v6
	v_xor_b32_e32 v8, v7, v5
	v_xor_b32_e32 v79, v12, v9
	v_or_b32_e32 v12, 64, v7
	v_or_b32_e32 v7, 0x60, v7
	v_xor_b32_e32 v12, v12, v5
	v_xor_b32_e32 v5, v7, v5
	v_or_b32_e32 v5, v5, v6
	v_or_b32_e32 v12, v12, v6
	v_xor_b32_e32 v81, v5, v9
	s_ashr_i32 s3, s2, 31
	v_lshlrev_b32_e32 v5, 1, v63
	v_xor_b32_e32 v80, v12, v9
	v_lshlrev_b32_e32 v12, 1, v4
	v_add_lshl_u32 v13, v4, s23, 1
	v_lshrrev_b32_e32 v4, 4, v0
	s_lshl_b64 s[28:29], s[2:3], 8
	v_or_b32_e32 v15, 1, v5
	s_add_u32 s28, s4, s28
	v_xor_b32_e32 v5, v4, v5
	v_xor_b32_e32 v15, v15, v4
	s_addc_u32 s29, s5, s29
	v_lshlrev_b32_e32 v5, 3, v5
	v_lshlrev_b32_e32 v46, 8, v4
	;; [unrolled: 1-line block ×3, first 2 shown]
	v_lshrrev_b32_e32 v19, 1, v0
	v_or3_b32 v83, v5, v46, s30
	v_or3_b32 v84, v4, v46, s30
	v_lshl_add_u64 v[4:5], s[28:29], 0, v[46:47]
	v_lshlrev_b32_e32 v46, 4, v63
	s_movk_i32 s3, 0xff
	v_lshlrev_b32_e32 v18, 3, v45
	v_and_b32_e32 v19, 24, v19
	v_lshl_add_u64 v[54:55], v[4:5], 0, v[46:47]
	v_and_b32_e32 v5, 8, v0
	v_cmp_lt_u32_e32 vcc, s3, v0
	v_xor_b32_e32 v20, v18, v19
	v_or_b32_e32 v21, 0x440, v20
	v_cndmask_b32_e64 v17, 0, 1, vcc
	v_cmp_eq_u32_e32 vcc, 0, v5
	v_or_b32_e32 v23, 64, v19
	v_xor_b32_e32 v23, v18, v23
	v_cndmask_b32_e32 v5, v21, v20, vcc
	v_or_b32_e32 v21, 32, v19
	v_or_b32_e32 v19, 0x60, v19
	v_xor_b32_e32 v21, v18, v21
	v_xor_b32_e32 v18, v18, v19
	v_or_b32_e32 v22, 0x440, v21
	v_xor_b32_e32 v24, 0x440, v23
	v_xor_b32_e32 v19, 0x440, v18
	v_or_b32_e32 v8, v8, v6
	v_or_b32_e32 v6, s2, v63
	v_and_b32_e32 v4, 7, v0
	v_cndmask_b32_e32 v21, v22, v21, vcc
	v_cndmask_b32_e32 v23, v24, v23, vcc
	;; [unrolled: 1-line block ×3, first 2 shown]
	v_xor_b32_e32 v77, v8, v9
	v_and_b32_e32 v8, 0x78, v64
	v_ashrrev_i32_e32 v7, 31, v6
	v_lshlrev_b32_e32 v15, 3, v4
	v_or_b32_e32 v5, v5, v11
	v_or_b32_e32 v21, v21, v11
	;; [unrolled: 1-line block ×4, first 2 shown]
	v_lshl_or_b32 v8, v62, 7, v8
	v_lshlrev_b64 v[6:7], 1, v[6:7]
	v_lshlrev_b32_e32 v17, 13, v17
	v_xor_b32_e32 v5, v5, v15
	v_xor_b32_e32 v21, v21, v15
	;; [unrolled: 1-line block ×4, first 2 shown]
	v_or_b32_e32 v78, 0x9000, v8
	v_or_b32_e32 v82, 0x9800, v8
	v_lshl_add_u64 v[8:9], s[16:17], 0, v[6:7]
	v_lshl_add_u64 v[6:7], s[6:7], 0, v[6:7]
	v_or_b32_e32 v14, 0x100, v3
	v_lshlrev_b32_e32 v16, 7, v4
	v_or_b32_e32 v4, v10, v60
	v_add_u32_e32 v20, v17, v5
	v_add_u32_e32 v22, v17, v21
	;; [unrolled: 1-line block ×4, first 2 shown]
	v_or3_b32 v10, v60, v10, 64
	v_add_u32_e32 v5, 0x2000, v5
	v_add_u32_e32 v17, 0x2000, v21
	v_add_u32_e32 v18, 0x2000, v23
	v_add_u32_e32 v11, 0x2000, v11
	v_lshlrev_b32_e32 v46, 8, v1
	v_cndmask_b32_e64 v85, v12, v3, s[0:1]
	v_cndmask_b32_e64 v86, v13, v14, s[0:1]
	v_lshl_add_u64 v[56:57], v[8:9], 0, v[46:47]
	v_lshl_add_u64 v[58:59], v[6:7], 0, v[46:47]
	s_mov_b32 s3, 0x7060302
	s_movk_i32 s30, 0x4000
	v_lshlrev_b32_e32 v88, 2, v4
	v_add_u32_e32 v89, v20, v16
	v_add_u32_e32 v90, v22, v16
	;; [unrolled: 1-line block ×4, first 2 shown]
	v_lshlrev_b32_e32 v93, 2, v10
	v_add_u32_e32 v94, v5, v16
	v_add_u32_e32 v95, v17, v16
	;; [unrolled: 1-line block ×4, first 2 shown]
	v_mov_b32_e32 v46, v47
	s_waitcnt lgkmcnt(0)
	s_barrier
.LBB581_6:                              ; =>This Inner Loop Header: Depth=1
	s_add_i32 s45, s65, 1
	s_cmp_lt_i32 s45, s53
	s_mov_b64 s[36:37], 0
	s_cselect_b64 s[46:47], -1, 0
	s_cmp_ge_i32 s45, s53
	s_mov_b64 s[28:29], 0
	s_cbranch_scc1 .LBB581_8
; %bb.7:                                ;   in Loop: Header=BB581_6 Depth=1
	s_add_i32 s0, s59, 64
	s_ashr_i32 s1, s0, 31
	s_add_u32 s0, s57, s0
	s_addc_u32 s1, s56, s1
	s_lshl_b64 s[0:1], s[0:1], 8
	s_add_u32 s28, s14, s0
	s_addc_u32 s29, s15, s1
.LBB581_8:                              ;   in Loop: Header=BB581_6 Depth=1
	v_cndmask_b32_e64 v2, 0, 1, s[46:47]
	v_cmp_ne_u32_e64 s[0:1], 1, v2
	s_andn2_b64 vcc, exec, s[46:47]
	s_cbranch_vccnz .LBB581_10
; %bb.9:                                ;   in Loop: Header=BB581_6 Depth=1
	s_add_i32 s36, s59, 64
	s_mul_hi_i32 s37, s36, s22
	s_mul_i32 s36, s36, s22
	s_add_u32 s36, s36, s58
	s_addc_u32 s37, s37, s61
	s_lshl_b64 s[36:37], s[36:37], 8
	s_add_u32 s36, s12, s36
	s_addc_u32 s37, s13, s37
.LBB581_10:                             ;   in Loop: Header=BB581_6 Depth=1
	v_perm_b32 v3, v53, v52, s3
	v_perm_b32 v2, v47, v46, s3
	;; [unrolled: 1-line block ×4, first 2 shown]
	ds_write_b64 v73, v[2:3]
	ds_write_b64 v74, v[4:5]
	;; [unrolled: 1-line block ×4, first 2 shown]
	s_waitcnt lgkmcnt(0)
	s_barrier
	ds_read_b64 v[10:11], v77 offset:16384
	ds_read_b64 v[12:13], v79 offset:16384
	ds_read2st64_b64 v[2:5], v78 offset1:1
	s_waitcnt lgkmcnt(0)
	v_mfma_f32_16x16x16_bf16 a[0:3], v[10:11], v[2:3], 0
	ds_read2st64_b64 v[6:9], v78 offset0:2 offset1:3
	ds_read_b64 v[14:15], v80 offset:16384
	ds_read_b64 v[2:3], v81 offset:16384
	s_add_i32 s66, s59, 63
	v_mfma_f32_16x16x16_bf16 a[0:3], v[12:13], v[4:5], a[0:3]
	s_ashr_i32 s39, s66, 31
	s_mul_i32 s46, s66, s11
	s_mul_hi_u32 s47, s66, s10
	s_waitcnt lgkmcnt(1)
	v_mfma_f32_16x16x16_bf16 a[0:3], v[14:15], v[6:7], a[0:3]
	s_add_i32 s46, s47, s46
	s_mul_i32 s39, s39, s10
	s_add_i32 s47, s46, s39
	s_mul_i32 s46, s66, s10
	s_waitcnt lgkmcnt(0)
	v_mfma_f32_16x16x16_bf16 a[0:3], v[2:3], v[8:9], a[0:3]
	s_lshl_b64 s[46:47], s[46:47], 2
	s_add_u32 s46, s24, s46
	s_addc_u32 s47, s25, s47
	s_and_b64 vcc, exec, s[0:1]
	v_mov_b32_e32 v101, 0
	v_mov_b32_e32 v100, 0
	;; [unrolled: 1-line block ×19, first 2 shown]
	s_cbranch_vccnz .LBB581_12
; %bb.11:                               ;   in Loop: Header=BB581_6 Depth=1
	s_and_b32 s29, s29, 0xffff
	buffer_load_dwordx4 v[14:17], v69, s[28:31], 0 offen
	buffer_load_dwordx4 v[10:13], v69, s[28:31], s62 offen
	;; [unrolled: 1-line block ×4, first 2 shown]
	v_mov_b32_e32 v100, v71
	v_mov_b32_e32 v99, v72
.LBB581_12:                             ;   in Loop: Header=BB581_6 Depth=1
	v_add_u32_e32 v22, s59, v87
	v_ashrrev_i32_e32 v18, 31, v22
	v_mul_lo_u32 v20, v18, s10
	v_mul_lo_u32 v21, v22, s11
	v_mad_u64_u32 v[18:19], s[28:29], v22, s10, 0
	v_add3_u32 v19, v19, v21, v20
	v_lshl_add_u64 v[18:19], v[18:19], 2, s[24:25]
	global_load_dword v34, v[18:19], off
	v_add_u32_e32 v18, 1, v22
	v_ashrrev_i32_e32 v19, 31, v18
	v_mul_lo_u32 v20, v19, s10
	v_mul_lo_u32 v21, v18, s11
	v_mad_u64_u32 v[18:19], s[28:29], v18, s10, 0
	v_add3_u32 v19, v19, v21, v20
	v_add_u32_e32 v20, 2, v22
	v_ashrrev_i32_e32 v21, 31, v20
	v_mul_lo_u32 v23, v21, s10
	v_mul_lo_u32 v24, v20, s11
	v_mad_u64_u32 v[20:21], s[28:29], v20, s10, 0
	v_add_u32_e32 v22, 3, v22
	v_add3_u32 v21, v21, v24, v23
	v_ashrrev_i32_e32 v23, 31, v22
	v_mul_lo_u32 v26, v23, s10
	v_mul_lo_u32 v27, v22, s11
	v_mad_u64_u32 v[22:23], s[28:29], v22, s10, 0
	s_ashr_i32 s29, s59, 31
	s_add_u32 s28, s57, s59
	s_addc_u32 s29, s56, s29
	s_lshl_b64 s[68:69], s[28:29], 8
	v_lshl_add_u64 v[18:19], v[18:19], 2, s[24:25]
	v_lshl_add_u64 v[24:25], v[56:57], 0, s[68:69]
	v_add3_u32 v23, v23, v27, v26
	v_lshl_add_u64 v[20:21], v[20:21], 2, s[24:25]
	global_load_ushort v35, v[24:25], off
	global_load_ushort v36, v[24:25], off offset:256
	global_load_ushort v37, v[24:25], off offset:512
	global_load_ushort v38, v[24:25], off offset:768
	v_lshl_add_u64 v[22:23], v[22:23], 2, s[24:25]
	global_load_dword v39, v[18:19], off
	global_load_dword v40, v[20:21], off
	;; [unrolled: 1-line block ×3, first 2 shown]
	ds_read_b64 v[22:23], v77 offset:24576
	ds_read_b64 v[28:29], v79 offset:24576
	ds_read2st64_b64 v[18:21], v82 offset1:1
	s_waitcnt lgkmcnt(0)
	v_mfma_f32_16x16x16_bf16 a[0:3], v[22:23], v[18:19], a[0:3]
	s_load_dword s28, s[46:47], 0x0
	ds_read2st64_b64 v[24:27], v82 offset0:2 offset1:3
	ds_read_b64 v[30:31], v80 offset:24576
	ds_read_b64 v[32:33], v81 offset:24576
	v_mov_b32_e32 v102, 0
	v_mfma_f32_16x16x16_bf16 a[0:3], v[28:29], v[20:21], a[0:3]
	v_mov_b32_e32 v18, 0
	v_mov_b32_e32 v19, 0
	;; [unrolled: 1-line block ×3, first 2 shown]
	s_waitcnt lgkmcnt(0)
	v_mfma_f32_16x16x16_bf16 a[0:3], v[30:31], v[24:25], a[0:3]
	v_lshl_add_u64 v[24:25], v[58:59], 0, s[68:69]
	v_mov_b32_e32 v21, 0
	v_mov_b32_e32 v22, 0
	v_mfma_f32_16x16x16_bf16 a[0:3], v[32:33], v[26:27], a[0:3]
	v_mov_b32_e32 v23, 0
	s_and_b64 vcc, exec, s[0:1]
	s_waitcnt vmcnt(7)
	v_sub_f32_e32 v34, s28, v34
	s_nop 2
	v_accvgpr_read_b32 v29, a1
	v_accvgpr_read_b32 v27, a3
	;; [unrolled: 1-line block ×4, first 2 shown]
	v_mul_f32_e32 v34, 0x3fb8aa3b, v34
	s_waitcnt vmcnt(6)
	v_lshlrev_b32_e32 v30, 16, v35
	s_waitcnt vmcnt(5)
	v_lshlrev_b32_e32 v31, 16, v36
	;; [unrolled: 2-line block ×4, first 2 shown]
	s_waitcnt vmcnt(2)
	v_sub_f32_e32 v35, s28, v39
	s_waitcnt vmcnt(1)
	v_sub_f32_e32 v36, s28, v40
	;; [unrolled: 2-line block ×3, first 2 shown]
	v_pk_add_f32 v[28:29], v[30:31], v[28:29] neg_lo:[0,1] neg_hi:[0,1]
	v_pk_add_f32 v[26:27], v[32:33], v[26:27] neg_lo:[0,1] neg_hi:[0,1]
	v_mul_f32_e32 v31, 0x3fb8aa3b, v35
	v_mul_f32_e32 v32, 0x3fb8aa3b, v36
	;; [unrolled: 1-line block ×3, first 2 shown]
	v_exp_f32_e32 v30, v34
	v_exp_f32_e32 v31, v31
	;; [unrolled: 1-line block ×4, first 2 shown]
	global_store_short_d16_hi v[24:25], v28, off
	global_store_short_d16_hi v[24:25], v29, off offset:256
	global_store_short_d16_hi v[24:25], v26, off offset:512
	;; [unrolled: 1-line block ×3, first 2 shown]
	v_pk_mul_f32 v[24:25], v[30:31], v[28:29]
	v_pk_mul_f32 v[26:27], v[32:33], v[26:27]
	v_perm_b32 v24, v25, v24, s3
	v_perm_b32 v25, v27, v26, s3
	ds_write_b64 v74, v[24:25]
	v_mov_b32_e32 v24, 0
	v_mov_b32_e32 v25, 0
	;; [unrolled: 1-line block ×10, first 2 shown]
	s_cbranch_vccnz .LBB581_14
; %bb.13:                               ;   in Loop: Header=BB581_6 Depth=1
	s_and_b32 s37, s37, 0xffff
	s_mov_b32 s39, s31
	buffer_load_dwordx4 v[30:33], v85, s[36:39], 0 offen
	buffer_load_dwordx4 v[22:25], v85, s[36:39], s62 offen
	;; [unrolled: 1-line block ×4, first 2 shown]
	v_mov_b32_e32 v101, v68
	v_mov_b32_e32 v102, v67
.LBB581_14:                             ;   in Loop: Header=BB581_6 Depth=1
	s_waitcnt lgkmcnt(0)
	s_barrier
	ds_read_b64 v[34:35], v89
	ds_read_b64 v[40:41], v90
	ds_read2st64_b64 v[36:39], v82 offset1:1
	ds_read2st64_b64 v[104:107], v82 offset0:2 offset1:3
	ds_read_b64 v[42:43], v91
	ds_read_b64 v[112:113], v92
	s_add_i32 s29, s55, s65
	s_mul_hi_i32 s37, s29, s49
	s_mul_i32 s29, s29, s49
	s_waitcnt lgkmcnt(3)
	v_mfma_f32_16x16x16_bf16 a[0:3], v[34:35], v[36:37], 0
	ds_read_b64 v[34:35], v94
	s_add_u32 s36, s29, s48
	s_addc_u32 s37, s37, s60
	v_mfma_f32_16x16x16_bf16 a[0:3], v[40:41], v[38:39], a[0:3]
	ds_read_b64 v[40:41], v95
	s_lshl_b64 s[36:37], s[36:37], 15
	s_mul_i32 s39, s66, s49
	s_mul_hi_i32 s29, s66, s49
	s_add_u32 s46, s39, s48
	s_addc_u32 s47, s29, s60
	s_lshl_b64 s[46:47], s[46:47], 9
	s_add_u32 s46, s40, s46
	s_waitcnt lgkmcnt(1)
	v_mfma_f32_16x16x16_bf16 a[4:7], v[34:35], v[36:37], 0
	s_addc_u32 s47, s41, s47
	s_and_b64 vcc, exec, s[0:1]
	v_mfma_f32_16x16x16_bf16 a[0:3], v[42:43], v[104:105], a[0:3]
	ds_read_b64 v[42:43], v96
	ds_read_b64 v[114:115], v97
	global_load_dwordx4 v[34:37], v93, s[46:47]
	s_waitcnt lgkmcnt(2)
	v_mfma_f32_16x16x16_bf16 a[4:7], v[40:41], v[38:39], a[4:7]
	global_load_dwordx4 v[38:41], v88, s[46:47]
	ds_read_b64 v[108:109], v83
	ds_read_b64 v[110:111], v84
	s_waitcnt lgkmcnt(3)
	v_mfma_f32_16x16x16_bf16 a[8:11], v[42:43], v[104:105], a[4:7]
	v_lshl_add_u64 v[42:43], v[54:55], 0, s[36:37]
	s_waitcnt lgkmcnt(0)
	global_store_dwordx4 v[42:43], v[108:111], off
	v_mfma_f32_16x16x16_bf16 a[4:7], v[112:113], v[106:107], a[0:3]
	s_waitcnt vmcnt(2)
	v_mov_b32_e32 v44, v37
	v_mfma_f32_16x16x16_bf16 a[0:3], v[114:115], v[106:107], a[8:11]
	v_mov_b32_e32 v43, v36
	v_mov_b32_e32 v42, v35
	s_cbranch_vccnz .LBB581_16
; %bb.15:                               ;   in Loop: Header=BB581_6 Depth=1
	v_lshrrev_b32_e32 v35, 3, v101
	v_and_b32_e32 v35, 6, v35
	v_xor_b32_e32 v36, v35, v102
	v_lshlrev_b32_e32 v36, 2, v36
	v_and_b32_e32 v37, 8, v101
	v_xor_b32_e32 v101, 0x440, v36
	v_cmp_eq_u32_e32 vcc, 0, v37
	v_perm_b32 v37, v22, v18, s63
	s_nop 0
	v_cndmask_b32_e32 v36, v101, v36, vcc
	v_lshl_or_b32 v35, v35, 10, v36
	v_perm_b32 v36, v30, v26, s63
	s_barrier
	ds_write2st64_b32 v35, v36, v37 offset1:32
	v_xor_b32_e32 v36, 8, v35
	v_perm_b32 v26, v30, v26, s64
	v_perm_b32 v18, v22, v18, s64
	v_add_u32_e32 v22, 0x80, v36
	ds_write2st64_b32 v22, v26, v18 offset1:32
	v_xor_b32_e32 v18, 16, v35
	v_perm_b32 v22, v31, v27, s63
	v_perm_b32 v26, v23, v19, s63
	ds_write2st64_b32 v18, v22, v26 offset0:1 offset1:33
	v_xor_b32_e32 v18, 24, v35
	v_perm_b32 v22, v31, v27, s64
	v_perm_b32 v19, v23, v19, s64
	v_add_u32_e32 v18, 0x80, v18
	ds_write2st64_b32 v18, v22, v19 offset0:1 offset1:33
	v_xor_b32_e32 v18, 32, v35
	v_perm_b32 v19, v32, v28, s63
	v_perm_b32 v22, v24, v20, s63
	ds_write2st64_b32 v18, v19, v22 offset0:2 offset1:34
	v_xor_b32_e32 v18, 40, v35
	v_perm_b32 v19, v32, v28, s64
	v_perm_b32 v20, v24, v20, s64
	v_add_u32_e32 v18, 0x80, v18
	ds_write2st64_b32 v18, v19, v20 offset0:2 offset1:34
	;; [unrolled: 9-line block ×3, first 2 shown]
	ds_write_b64 v100, v[14:15] offset:16384
	v_xor_b32_e32 v14, 8, v100
	ds_write_b64 v14, v[16:17] offset:16384
	ds_write_b64 v100, v[10:11] offset:24576
	;; [unrolled: 1-line block ×4, first 2 shown]
	v_xor_b32_e32 v6, 8, v99
	ds_write_b64 v6, v[8:9] offset:16384
	ds_write_b64 v99, v[2:3] offset:24576
	;; [unrolled: 1-line block ×3, first 2 shown]
.LBB581_16:                             ;   in Loop: Header=BB581_6 Depth=1
	v_mul_f32_e32 v6, s28, v98
	v_exp_f32_e32 v10, v6
	s_waitcnt vmcnt(1)
	v_mul_f32_e32 v6, 0x3fb8aa3b, v38
	v_exp_f32_e32 v12, v6
	v_mul_f32_e32 v6, 0x3fb8aa3b, v39
	v_exp_f32_e32 v13, v6
	;; [unrolled: 2-line block ×4, first 2 shown]
	v_accvgpr_read_b32 v2, a4
	v_accvgpr_read_b32 v3, a5
	v_pk_mul_f32 v[12:13], v[10:11], v[12:13] op_sel_hi:[0,1]
	v_pk_fma_f32 v[46:47], v[46:47], v[12:13], v[2:3]
	v_pk_mul_f32 v[2:3], v[10:11], v[14:15] op_sel_hi:[0,1]
	v_mul_f32_e32 v11, 0x3fb8aa3b, v34
	v_exp_f32_e32 v12, v11
	v_mul_f32_e32 v11, 0x3fb8aa3b, v42
	v_exp_f32_e32 v13, v11
	;; [unrolled: 2-line block ×4, first 2 shown]
	v_accvgpr_read_b32 v4, a6
	v_accvgpr_read_b32 v5, a7
	;; [unrolled: 1-line block ×5, first 2 shown]
	v_pk_fma_f32 v[52:53], v[52:53], v[2:3], v[4:5]
	v_pk_mul_f32 v[2:3], v[10:11], v[12:13] op_sel_hi:[0,1]
	v_accvgpr_read_b32 v8, a2
	v_pk_fma_f32 v[50:51], v[50:51], v[2:3], v[6:7]
	v_pk_mul_f32 v[2:3], v[10:11], v[14:15] op_sel_hi:[0,1]
	s_add_i32 s59, s59, 64
	s_cmp_eq_u32 s53, s45
	v_pk_fma_f32 v[48:49], v[48:49], v[2:3], v[8:9]
	s_cbranch_scc1 .LBB581_18
; %bb.17:                               ;   in Loop: Header=BB581_6 Depth=1
	s_mov_b32 s65, s45
	s_branch .LBB581_6
.LBB581_18:
	s_lshl_b32 s3, s53, 6
	s_sub_i32 s54, s54, s3
	s_cmp_gt_i32 s54, 0
	v_or_b32_e32 v26, s2, v63
	s_cbranch_scc1 .LBB581_20
; %bb.19:
	s_ashr_i32 s25, s48, 31
	v_or_b32_e32 v2, s2, v63
	s_cbranch_execz .LBB581_21
	s_branch .LBB581_77
.LBB581_20:
                                        ; implicit-def: $vgpr2
                                        ; implicit-def: $sgpr24_sgpr25
.LBB581_21:
	s_add_i32 s24, s3, s42
	s_ashr_i32 s3, s24, 31
	s_cmpk_lg_i32 s23, 0x80
	s_cselect_b64 s[38:39], -1, 0
	s_and_b64 vcc, exec, s[38:39]
	s_cbranch_vccz .LBB581_23
; %bb.22:
	s_mul_hi_i32 s0, s24, s22
	s_mul_i32 s1, s24, s22
	s_ashr_i32 s22, s58, 31
	s_add_u32 s46, s1, s58
	s_addc_u32 s47, s0, s22
	s_cbranch_execz .LBB581_24
	s_branch .LBB581_25
.LBB581_23:
                                        ; implicit-def: $sgpr46_sgpr47
.LBB581_24:
	s_mul_i32 s1, s58, s20
	s_mul_hi_i32 s0, s58, s20
	s_add_u32 s46, s1, s24
	s_addc_u32 s47, s0, s3
.LBB581_25:
	s_add_i32 s20, s53, s55
	s_ashr_i32 s25, s48, 31
	s_add_u32 s0, s57, s24
	s_addc_u32 s1, s56, s3
	s_mov_b32 s3, 0x7060302
	v_lshlrev_b32_e32 v6, 3, v63
	s_lshl_b64 s[36:37], s[0:1], 8
	v_perm_b32 v3, v53, v52, s3
	v_perm_b32 v2, v47, v46, s3
	;; [unrolled: 1-line block ×4, first 2 shown]
	v_lshlrev_b32_e32 v36, 2, v63
	v_lshl_or_b32 v6, v1, 5, v6
	s_add_u32 s0, s14, s36
	ds_write2st64_b64 v6, v[2:3], v[4:5] offset0:72 offset1:76
	v_xor_b32_e32 v6, v1, v36
	v_lshlrev_b32_e32 v7, 8, v63
	s_addc_u32 s1, s15, s37
	v_lshl_or_b32 v6, v6, 1, v7
	s_mul_hi_i32 s3, s20, s21
	s_mul_i32 s20, s20, s21
	ds_write_b64 v6, v[2:3] offset:32768
	v_xor_b32_e32 v2, v66, v36
	s_add_u32 s14, s20, s48
	v_lshl_or_b32 v2, v2, 1, v7
	s_addc_u32 s15, s3, s25
	v_lshlrev_b32_e32 v3, 1, v63
	ds_write_b64 v2, v[4:5] offset:32768
	v_lshrrev_b32_e32 v2, 4, v0
	s_ashr_i32 s3, s2, 31
	s_lshl_b64 s[14:15], s[14:15], 15
	v_or_b32_e32 v4, 1, v3
	s_add_u32 s4, s4, s14
	v_xor_b32_e32 v3, v2, v3
	v_xor_b32_e32 v4, v4, v2
	v_lshlrev_b32_e32 v6, 8, v2
	s_addc_u32 s5, s5, s15
	s_lshl_b64 s[2:3], s[2:3], 8
	v_lshl_or_b32 v2, v3, 3, v6
	v_lshl_or_b32 v4, v4, 3, v6
	s_waitcnt lgkmcnt(0)
	s_barrier
	s_add_u32 s2, s4, s2
	ds_read_b64 v[2:3], v2 offset:32768
	ds_read_b64 v[4:5], v4 offset:32768
	s_addc_u32 s3, s5, s3
	v_mov_b32_e32 v7, 0
	s_cmp_lg_u32 s54, 64
	v_lshl_add_u64 v[8:9], s[2:3], 0, v[6:7]
	v_lshlrev_b32_e32 v6, 4, v63
	s_cselect_b64 s[4:5], -1, 0
	v_lshl_or_b32 v27, v45, 3, v65
	s_mov_b32 s28, 0
	v_lshl_add_u64 v[6:7], v[8:9], 0, v[6:7]
	v_or_b32_e32 v19, 32, v27
	v_and_b32_e32 v18, 56, v64
	s_and_b64 vcc, exec, s[4:5]
	s_waitcnt lgkmcnt(0)
	global_store_dwordx4 v[6:7], v[2:5], off
	s_cbranch_vccz .LBB581_31
; %bb.26:
	s_mov_b32 s29, s28
	s_mov_b32 s30, s28
	;; [unrolled: 1-line block ×3, first 2 shown]
	v_mov_b64_e32 v[6:7], s[28:29]
	v_mov_b64_e32 v[8:9], s[30:31]
	;; [unrolled: 1-line block ×3, first 2 shown]
	v_cmp_gt_i32_e32 vcc, s54, v27
	v_mov_b64_e32 v[4:5], v[8:9]
	s_and_saveexec_b64 s[2:3], vcc
	s_cbranch_execz .LBB581_28
; %bb.27:
	v_lshlrev_b32_e32 v2, 8, v27
	v_mov_b32_e32 v3, 0
	v_lshl_add_u64 v[4:5], s[0:1], 0, v[2:3]
	v_lshlrev_b32_e32 v2, 1, v18
	v_lshl_add_u64 v[10:11], v[4:5], 0, v[2:3]
	global_load_dwordx4 v[6:9], v[10:11], off
	global_load_dwordx4 v[2:5], v[10:11], off offset:128
.LBB581_28:
	s_or_b64 exec, exec, s[2:3]
	s_mov_b32 s29, s28
	s_mov_b32 s30, s28
	;; [unrolled: 1-line block ×3, first 2 shown]
	v_mov_b64_e32 v[14:15], s[28:29]
	v_mov_b64_e32 v[16:17], s[30:31]
	;; [unrolled: 1-line block ×3, first 2 shown]
	v_cmp_gt_i32_e32 vcc, s54, v19
	v_lshlrev_b32_e32 v20, 7, v19
	v_mov_b64_e32 v[12:13], v[16:17]
	s_and_saveexec_b64 s[2:3], vcc
	s_cbranch_execz .LBB581_30
; %bb.29:
	v_lshlrev_b32_e32 v10, 1, v20
	v_mov_b32_e32 v11, 0
	v_lshl_add_u64 v[12:13], s[0:1], 0, v[10:11]
	v_lshlrev_b32_e32 v10, 1, v18
	v_lshl_add_u64 v[22:23], v[12:13], 0, v[10:11]
	global_load_dwordx4 v[14:17], v[22:23], off
	global_load_dwordx4 v[10:13], v[22:23], off offset:128
.LBB581_30:
	s_or_b64 exec, exec, s[2:3]
	v_lshrrev_b32_e32 v21, 3, v18
	v_lshlrev_b32_e32 v22, 3, v27
	v_or_b32_e32 v21, v22, v21
	v_lshlrev_b32_e32 v21, 4, v21
	v_and_b32_e32 v22, 0x78, v22
	v_xor_b32_e32 v21, v21, v22
	s_branch .LBB581_33
.LBB581_31:
                                        ; implicit-def: $vgpr21
                                        ; implicit-def: $vgpr20
                                        ; implicit-def: $vgpr6_vgpr7_vgpr8_vgpr9
                                        ; implicit-def: $vgpr2_vgpr3_vgpr4_vgpr5
                                        ; implicit-def: $vgpr14_vgpr15_vgpr16_vgpr17
                                        ; implicit-def: $vgpr10_vgpr11_vgpr12_vgpr13
	s_cbranch_execz .LBB581_33
; %bb.32:
	s_waitcnt vmcnt(0)
	v_lshlrev_b32_e32 v2, 1, v18
	v_lshl_or_b32 v20, v27, 8, v2
	s_and_b32 s1, s1, 0xffff
	s_mov_b32 s3, 0x20000
	s_movk_i32 s2, 0x4000
	v_lshl_or_b32 v21, v19, 8, v2
	s_movk_i32 s14, 0x80
	buffer_load_dwordx4 v[6:9], v20, s[0:3], 0 offen
	buffer_load_dwordx4 v[2:5], v20, s[0:3], s14 offen
	;; [unrolled: 1-line block ×4, first 2 shown]
	v_lshrrev_b32_e32 v20, 3, v18
	v_lshlrev_b32_e32 v21, 3, v27
	v_or_b32_e32 v20, v21, v20
	v_lshlrev_b32_e32 v20, 4, v20
	v_and_b32_e32 v21, 0x78, v21
	v_xor_b32_e32 v21, v20, v21
	v_lshlrev_b32_e32 v20, 7, v19
.LBB581_33:
	s_lshl_b64 s[0:1], s[46:47], 8
	s_add_u32 s12, s12, s0
	s_movk_i32 s0, 0x1000
	v_and_or_b32 v19, v20, s0, v21
	s_waitcnt vmcnt(1)
	ds_write_b64 v21, v[6:7] offset:16384
	v_xor_b32_e32 v6, 8, v21
	ds_write_b64 v6, v[8:9] offset:16384
	s_waitcnt vmcnt(0)
	ds_write_b64 v21, v[2:3] offset:24576
	ds_write_b64 v6, v[4:5] offset:24576
	ds_write_b64 v19, v[14:15] offset:16384
	v_xor_b32_e32 v2, 8, v19
	ds_write_b64 v2, v[16:17] offset:16384
	ds_write_b64 v19, v[10:11] offset:24576
	;; [unrolled: 1-line block ×3, first 2 shown]
	v_or_b32_e32 v2, v60, v63
	v_lshlrev_b32_e32 v2, 3, v2
	v_lshrrev_b32_e32 v4, 5, v61
	s_movk_i32 s20, 0xf8
	v_and_or_b32 v4, v2, s20, v4
	v_lshlrev_b32_e32 v37, 11, v45
	v_lshlrev_b32_e32 v12, 4, v4
	v_and_b32_e32 v13, 0x78, v2
	v_and_b32_e32 v14, 0x1000, v37
	v_lshlrev_b32_e32 v3, 2, v0
	v_xor_b32_e32 v2, v12, v13
	v_lshrrev_b32_e32 v4, 1, v61
	v_and_b32_e32 v3, 60, v3
	v_or_b32_e32 v2, v2, v14
	v_and_b32_e32 v15, 8, v4
	v_xor_b32_e32 v28, v2, v15
	v_lshl_or_b32 v2, v62, 6, v3
	v_lshlrev_b32_e32 v38, 1, v2
	v_or_b32_e32 v2, 32, v12
	v_xor_b32_e32 v2, v2, v13
	s_waitcnt lgkmcnt(0)
	s_barrier
	ds_read_b64 v[10:11], v28 offset:16384
	v_or_b32_e32 v2, v2, v14
	v_xor_b32_e32 v29, v2, v15
	v_or_b32_e32 v2, 64, v12
	v_xor_b32_e32 v2, v2, v13
	v_or_b32_e32 v2, v2, v14
	v_or_b32_e32 v12, 0x60, v12
	v_xor_b32_e32 v30, v2, v15
	ds_read2st64_b64 v[2:5], v38 offset0:72 offset1:73
	ds_read2st64_b64 v[6:9], v38 offset0:74 offset1:75
	v_xor_b32_e32 v16, v12, v13
	ds_read_b64 v[12:13], v29 offset:16384
	s_waitcnt lgkmcnt(2)
	v_mfma_f32_16x16x16_bf16 a[0:3], v[10:11], v[2:3], 0
	s_addc_u32 s13, s13, s1
	s_add_i32 s22, s43, -1
	s_add_i32 s0, s51, s50
	s_add_i32 s45, s0, s52
	s_mul_i32 s0, s48, s27
	s_mul_hi_u32 s1, s48, s26
	s_ashr_i32 s2, s22, 31
	s_mul_i32 s3, s22, s11
	s_mul_hi_u32 s14, s22, s10
	s_add_i32 s0, s1, s0
	s_mul_i32 s1, s25, s26
	s_add_i32 s3, s14, s3
	s_mul_i32 s2, s2, s10
	v_or_b32_e32 v14, v16, v14
	s_add_i32 s1, s0, s1
	s_add_i32 s3, s3, s2
	s_lshl_b64 s[14:15], s[44:45], 2
	v_xor_b32_e32 v39, v14, v15
	ds_read_b64 v[14:15], v30 offset:16384
	ds_read_b64 v[16:17], v39 offset:16384
	s_waitcnt lgkmcnt(2)
	v_mfma_f32_16x16x16_bf16 a[0:3], v[12:13], v[4:5], a[0:3]
	s_mul_i32 s0, s48, s26
	s_add_u32 s14, s18, s14
	s_addc_u32 s15, s19, s15
	s_lshl_b64 s[0:1], s[0:1], 2
	s_mul_i32 s2, s22, s10
	s_add_u32 s18, s14, s0
	s_addc_u32 s19, s15, s1
	s_lshl_b64 s[0:1], s[2:3], 2
	s_waitcnt lgkmcnt(1)
	v_mfma_f32_16x16x16_bf16 a[0:3], v[14:15], v[6:7], a[0:3]
	s_add_u32 s0, s18, s0
	s_addc_u32 s1, s19, s1
	s_load_dword s20, s[0:1], 0x0
	s_waitcnt lgkmcnt(0)
	v_mfma_f32_16x16x16_bf16 a[0:3], v[16:17], v[8:9], a[0:3]
	s_and_b64 vcc, exec, s[38:39]
	s_cbranch_vccz .LBB581_44
; %bb.34:
	v_lshlrev_b32_e32 v19, 1, v27
	s_and_b64 vcc, exec, s[4:5]
	s_cbranch_vccz .LBB581_45
; %bb.35:
	v_cmp_gt_i32_e32 vcc, s54, v19
	v_mov_b32_e32 v6, 0
	v_mov_b32_e32 v2, 0
	;; [unrolled: 1-line block ×5, first 2 shown]
	s_and_saveexec_b64 s[0:1], vcc
	s_cbranch_execz .LBB581_37
; %bb.36:
	v_mad_i64_i32 v[2:3], s[2:3], s23, v19, 0
	v_lshl_add_u64 v[2:3], v[2:3], 1, s[12:13]
	v_lshlrev_b32_e32 v4, 1, v18
	v_mov_b32_e32 v5, 0
	v_lshl_add_u64 v[2:3], v[2:3], 0, v[4:5]
	global_load_dwordx4 v[2:5], v[2:3], off
.LBB581_37:
	s_or_b64 exec, exec, s[0:1]
	v_or_b32_e32 v20, 1, v19
	v_cmp_gt_i32_e64 s[0:1], s54, v20
	v_mov_b32_e32 v7, 0
	v_mov_b32_e32 v8, 0
	v_mov_b32_e32 v9, 0
	s_and_saveexec_b64 s[2:3], s[0:1]
	s_cbranch_execz .LBB581_39
; %bb.38:
	v_mad_i64_i32 v[6:7], s[14:15], s23, v20, 0
	v_lshl_add_u64 v[6:7], v[6:7], 1, s[12:13]
	v_lshlrev_b32_e32 v8, 1, v18
	v_mov_b32_e32 v9, 0
	v_lshl_add_u64 v[6:7], v[6:7], 0, v[8:9]
	global_load_dwordx4 v[6:9], v[6:7], off
.LBB581_39:
	s_or_b64 exec, exec, s[2:3]
	v_mov_b32_e32 v17, 0
	v_mov_b32_e32 v10, 0
	;; [unrolled: 1-line block ×5, first 2 shown]
	s_and_saveexec_b64 s[2:3], vcc
	s_cbranch_execz .LBB581_41
; %bb.40:
	v_mad_i64_i32 v[10:11], s[14:15], s23, v19, 0
	v_lshl_add_u64 v[10:11], v[10:11], 1, s[12:13]
	v_lshlrev_b32_e32 v12, 1, v18
	v_mov_b32_e32 v13, 0
	v_lshl_add_u64 v[10:11], v[10:11], 0, v[12:13]
	global_load_dwordx4 v[10:13], v[10:11], off offset:128
.LBB581_41:
	s_or_b64 exec, exec, s[2:3]
	v_mov_b32_e32 v16, 0
	v_mov_b32_e32 v15, 0
	;; [unrolled: 1-line block ×3, first 2 shown]
	s_and_saveexec_b64 s[2:3], s[0:1]
	s_cbranch_execz .LBB581_43
; %bb.42:
	v_mad_i64_i32 v[14:15], s[0:1], s23, v20, 0
	v_lshl_add_u64 v[14:15], v[14:15], 1, s[12:13]
	v_lshlrev_b32_e32 v16, 1, v18
	v_mov_b32_e32 v17, 0
	v_lshl_add_u64 v[14:15], v[14:15], 0, v[16:17]
	global_load_dwordx4 v[14:17], v[14:15], off offset:128
.LBB581_43:
	s_or_b64 exec, exec, s[2:3]
	s_branch .LBB581_47
.LBB581_44:
                                        ; implicit-def: $vgpr5
                                        ; implicit-def: $vgpr9
                                        ; implicit-def: $vgpr13
                                        ; implicit-def: $vgpr17
	v_lshrrev_b32_e32 v19, 2, v61
	s_branch .LBB581_48
.LBB581_45:
                                        ; implicit-def: $vgpr5
                                        ; implicit-def: $vgpr9
                                        ; implicit-def: $vgpr13
                                        ; implicit-def: $vgpr17
	s_cbranch_execz .LBB581_47
; %bb.46:
	s_waitcnt vmcnt(0)
	v_mad_u64_u32 v[2:3], s[0:1], v19, s23, v[18:19]
	v_lshlrev_b32_e32 v19, 1, v2
	s_lshl_b32 s2, s23, 7
	s_and_b32 s1, s13, 0xffff
	s_mov_b32 s3, 0x20000
	s_mov_b32 s0, s12
	v_add_lshl_u32 v20, v2, s23, 1
	s_movk_i32 s14, 0x80
	buffer_load_dwordx4 v[2:5], v19, s[0:3], 0 offen
	buffer_load_dwordx4 v[10:13], v19, s[0:3], s14 offen
	;; [unrolled: 1-line block ×4, first 2 shown]
.LBB581_47:
	v_lshrrev_b32_e32 v19, 2, v61
	s_cbranch_execnz .LBB581_60
.LBB581_48:
	s_and_b64 vcc, exec, s[4:5]
	s_cbranch_vccz .LBB581_58
; %bb.49:
	s_waitcnt vmcnt(0)
	v_lshlrev_b32_e32 v7, 1, v27
	v_cmp_gt_i32_e32 vcc, s54, v7
	v_mov_b32_e32 v6, 0
	v_lshlrev_b32_e32 v14, 9, v27
	v_mov_b32_e32 v2, 0
	v_mov_b32_e32 v3, 0
	;; [unrolled: 1-line block ×4, first 2 shown]
	s_and_saveexec_b64 s[0:1], vcc
	s_cbranch_execz .LBB581_51
; %bb.50:
	v_mov_b32_e32 v15, 0
	v_lshl_add_u64 v[2:3], s[12:13], 0, v[14:15]
	v_lshlrev_b32_e32 v4, 1, v18
	v_mov_b32_e32 v5, v15
	v_lshl_add_u64 v[2:3], v[2:3], 0, v[4:5]
	global_load_dwordx4 v[2:5], v[2:3], off
.LBB581_51:
	s_or_b64 exec, exec, s[0:1]
	v_or_b32_e32 v7, 1, v7
	v_cmp_gt_i32_e64 s[0:1], s54, v7
	v_lshlrev_b32_e32 v20, 8, v7
	v_mov_b32_e32 v7, 0
	v_mov_b32_e32 v8, 0
	;; [unrolled: 1-line block ×3, first 2 shown]
	s_and_saveexec_b64 s[2:3], s[0:1]
	s_cbranch_execz .LBB581_53
; %bb.52:
	v_mov_b32_e32 v21, 0
	v_lshl_add_u64 v[6:7], s[12:13], 0, v[20:21]
	v_lshlrev_b32_e32 v8, 1, v18
	v_mov_b32_e32 v9, v21
	v_lshl_add_u64 v[6:7], v[6:7], 0, v[8:9]
	global_load_dwordx4 v[6:9], v[6:7], off
.LBB581_53:
	s_or_b64 exec, exec, s[2:3]
	v_mov_b32_e32 v17, 0
	v_mov_b32_e32 v10, 0
	;; [unrolled: 1-line block ×5, first 2 shown]
	s_and_saveexec_b64 s[2:3], vcc
	s_cbranch_execz .LBB581_55
; %bb.54:
	v_mov_b32_e32 v15, 0
	v_lshl_add_u64 v[10:11], s[12:13], 0, v[14:15]
	v_lshlrev_b32_e32 v14, 1, v18
	v_lshl_add_u64 v[10:11], v[10:11], 0, v[14:15]
	global_load_dwordx4 v[10:13], v[10:11], off offset:128
.LBB581_55:
	s_or_b64 exec, exec, s[2:3]
	v_mov_b32_e32 v16, 0
	v_mov_b32_e32 v15, 0
	;; [unrolled: 1-line block ×3, first 2 shown]
	s_and_saveexec_b64 s[2:3], s[0:1]
	s_cbranch_execz .LBB581_57
; %bb.56:
	v_mov_b32_e32 v21, 0
	v_lshl_add_u64 v[14:15], s[12:13], 0, v[20:21]
	v_lshlrev_b32_e32 v20, 1, v18
	v_lshl_add_u64 v[14:15], v[14:15], 0, v[20:21]
	global_load_dwordx4 v[14:17], v[14:15], off offset:128
.LBB581_57:
	s_or_b64 exec, exec, s[2:3]
	s_branch .LBB581_60
.LBB581_58:
                                        ; implicit-def: $vgpr5
                                        ; implicit-def: $vgpr9
                                        ; implicit-def: $vgpr13
                                        ; implicit-def: $vgpr17
	s_cbranch_execz .LBB581_60
; %bb.59:
	s_waitcnt vmcnt(0)
	v_lshlrev_b32_e32 v2, 1, v18
	v_lshl_or_b32 v18, v27, 9, v2
	s_and_b32 s13, s13, 0xffff
	s_mov_b32 s15, 0x20000
	s_movk_i32 s14, 0x4000
	s_movk_i32 s0, 0x80
	buffer_load_dwordx4 v[2:5], v18, s[12:15], 0 offen
	buffer_load_dwordx4 v[6:9], v18, s[12:15], 0 offen offset:256
	buffer_load_dwordx4 v[10:13], v18, s[12:15], s0 offen
	buffer_load_dwordx4 v[14:17], v18, s[12:15], s0 offen offset:256
.LBB581_60:
	v_and_b32_e32 v40, 12, v19
	ds_read2st64_b64 v[22:25], v38 offset0:76 offset1:77
	ds_read2st64_b64 v[18:21], v38 offset0:78 offset1:79
	ds_read_b64 v[34:35], v28 offset:24576
	ds_read_b64 v[32:33], v29 offset:24576
	;; [unrolled: 1-line block ×4, first 2 shown]
	v_and_b32_e32 v39, 6, v0
	v_xor_b32_e32 v27, v27, v39
	v_lshlrev_b32_e32 v27, 2, v27
	v_and_b32_e32 v41, 1, v0
	v_xor_b32_e32 v42, 0x440, v27
	v_cmp_eq_u32_e32 vcc, 0, v41
	s_mov_b32 s0, 0x1000504
	s_waitcnt vmcnt(0)
	v_perm_b32 v41, v10, v14, s0
	v_cndmask_b32_e32 v27, v42, v27, vcc
	v_lshl_or_b32 v27, v39, 10, v27
	v_perm_b32 v39, v2, v6, s0
	ds_write2st64_b32 v27, v39, v41 offset1:32
	v_xor_b32_e32 v39, 8, v27
	s_mov_b32 s1, 0x3020706
	v_perm_b32 v2, v2, v6, s1
	v_perm_b32 v6, v10, v14, s1
	v_add_u32_e32 v10, 0x80, v39
	ds_write2st64_b32 v10, v2, v6 offset1:32
	v_xor_b32_e32 v2, 16, v27
	v_perm_b32 v6, v3, v7, s0
	v_perm_b32 v10, v11, v15, s0
	ds_write2st64_b32 v2, v6, v10 offset0:1 offset1:33
	v_xor_b32_e32 v2, 24, v27
	v_perm_b32 v3, v3, v7, s1
	v_perm_b32 v6, v11, v15, s1
	v_add_u32_e32 v2, 0x80, v2
	ds_write2st64_b32 v2, v3, v6 offset0:1 offset1:33
	v_xor_b32_e32 v2, 32, v27
	v_perm_b32 v3, v4, v8, s0
	v_perm_b32 v6, v12, v16, s0
	ds_write2st64_b32 v2, v3, v6 offset0:2 offset1:34
	v_xor_b32_e32 v2, 40, v27
	v_perm_b32 v3, v4, v8, s1
	v_perm_b32 v4, v12, v16, s1
	v_add_u32_e32 v2, 0x80, v2
	ds_write2st64_b32 v2, v3, v4 offset0:2 offset1:34
	v_xor_b32_e32 v2, 48, v27
	v_perm_b32 v3, v5, v9, s0
	v_perm_b32 v4, v13, v17, s0
	ds_write2st64_b32 v2, v3, v4 offset0:3 offset1:35
	v_xor_b32_e32 v2, 56, v27
	v_or_b32_e32 v10, v40, v60
	v_perm_b32 v3, v5, v9, s1
	v_perm_b32 v4, v13, v17, s1
	v_add_u32_e32 v2, 0x80, v2
	v_cmp_gt_i32_e64 s[0:1], s54, v10
	v_mov_b32_e32 v12, 0
	v_mov_b32_e32 v16, 0
	ds_write2st64_b32 v2, v3, v4 offset0:3 offset1:35
	s_and_saveexec_b64 s[2:3], s[0:1]
	s_cbranch_execz .LBB581_62
; %bb.61:
	v_add_u32_e32 v2, s24, v10
	v_ashrrev_i32_e32 v3, 31, v2
	v_mul_lo_u32 v4, v3, s10
	v_mul_lo_u32 v5, v2, s11
	v_mad_u64_u32 v[2:3], s[4:5], v2, s10, 0
	v_add3_u32 v3, v3, v5, v4
	v_lshl_add_u64 v[2:3], v[2:3], 2, s[18:19]
	global_load_dword v2, v[2:3], off
	s_waitcnt vmcnt(0)
	v_sub_f32_e32 v2, s20, v2
	v_mul_f32_e32 v2, 0x3fb8aa3b, v2
	v_exp_f32_e32 v16, v2
.LBB581_62:
	s_or_b64 exec, exec, s[2:3]
	v_or_b32_e32 v15, 1, v10
	v_cmp_gt_i32_e64 s[4:5], s54, v15
	s_and_saveexec_b64 s[2:3], s[4:5]
	s_cbranch_execz .LBB581_64
; %bb.63:
	v_add_u32_e32 v2, s24, v15
	v_ashrrev_i32_e32 v3, 31, v2
	v_mul_lo_u32 v4, v3, s10
	v_mul_lo_u32 v5, v2, s11
	v_mad_u64_u32 v[2:3], s[12:13], v2, s10, 0
	v_add3_u32 v3, v3, v5, v4
	v_lshl_add_u64 v[2:3], v[2:3], 2, s[18:19]
	global_load_dword v2, v[2:3], off
	s_waitcnt vmcnt(0)
	v_sub_f32_e32 v2, s20, v2
	v_mul_f32_e32 v2, 0x3fb8aa3b, v2
	v_exp_f32_e32 v12, v2
.LBB581_64:
	s_or_b64 exec, exec, s[2:3]
	v_or_b32_e32 v14, 2, v10
	v_cmp_gt_i32_e64 s[2:3], s54, v14
	v_mov_b32_e32 v11, 0
	v_mov_b32_e32 v17, 0
	s_and_saveexec_b64 s[12:13], s[2:3]
	s_cbranch_execz .LBB581_66
; %bb.65:
	v_add_u32_e32 v2, s24, v14
	v_ashrrev_i32_e32 v3, 31, v2
	v_mul_lo_u32 v4, v3, s10
	v_mul_lo_u32 v5, v2, s11
	v_mad_u64_u32 v[2:3], s[14:15], v2, s10, 0
	v_add3_u32 v3, v3, v5, v4
	v_lshl_add_u64 v[2:3], v[2:3], 2, s[18:19]
	global_load_dword v2, v[2:3], off
	s_waitcnt vmcnt(0)
	v_sub_f32_e32 v2, s20, v2
	v_mul_f32_e32 v2, 0x3fb8aa3b, v2
	v_exp_f32_e32 v17, v2
.LBB581_66:
	s_or_b64 exec, exec, s[12:13]
	v_or_b32_e32 v13, 3, v10
	v_cmp_gt_i32_e32 vcc, s54, v13
	s_and_saveexec_b64 s[12:13], vcc
	s_cbranch_execz .LBB581_68
; %bb.67:
	v_add_u32_e32 v2, s24, v13
	v_ashrrev_i32_e32 v3, 31, v2
	v_mul_lo_u32 v4, v3, s10
	v_mul_lo_u32 v5, v2, s11
	v_mad_u64_u32 v[2:3], s[10:11], v2, s10, 0
	v_add3_u32 v3, v3, v5, v4
	v_lshl_add_u64 v[2:3], v[2:3], 2, s[18:19]
	global_load_dword v2, v[2:3], off
	s_waitcnt vmcnt(0)
	v_sub_f32_e32 v2, s20, v2
	v_mul_f32_e32 v2, 0x3fb8aa3b, v2
	v_exp_f32_e32 v11, v2
.LBB581_68:
	s_or_b64 exec, exec, s[12:13]
	s_waitcnt lgkmcnt(11)
	v_mfma_f32_16x16x16_bf16 a[0:3], v[34:35], v[22:23], a[0:3]
	s_add_u32 s10, s16, s36
	s_addc_u32 s11, s17, s37
	v_ashrrev_i32_e32 v27, 31, v26
	s_waitcnt lgkmcnt(10)
	v_mfma_f32_16x16x16_bf16 a[0:3], v[32:33], v[24:25], a[0:3]
	s_add_u32 s6, s6, s36
	v_lshlrev_b64 v[2:3], 1, v[26:27]
	s_addc_u32 s7, s7, s37
	s_waitcnt lgkmcnt(9)
	v_mfma_f32_16x16x16_bf16 a[0:3], v[30:31], v[18:19], a[0:3]
	v_lshl_add_u64 v[6:7], s[10:11], 0, v[2:3]
	v_lshl_add_u64 v[8:9], s[6:7], 0, v[2:3]
	v_mov_b32_e32 v18, 0
	s_waitcnt lgkmcnt(8)
	v_mfma_f32_16x16x16_bf16 a[0:3], v[28:29], v[20:21], a[0:3]
	v_mov_b32_e32 v19, 0
	s_nop 5
	v_accvgpr_read_b32 v5, a3
	v_accvgpr_read_b32 v4, a2
	;; [unrolled: 1-line block ×4, first 2 shown]
	s_and_saveexec_b64 s[6:7], s[0:1]
	s_cbranch_execz .LBB581_70
; %bb.69:
	v_lshlrev_b32_e32 v20, 8, v10
	v_mov_b32_e32 v21, 0
	v_lshl_add_u64 v[22:23], v[6:7], 0, v[20:21]
	global_load_ushort v19, v[22:23], off
	v_lshl_add_u64 v[20:21], v[8:9], 0, v[20:21]
	s_waitcnt vmcnt(0)
	v_lshlrev_b32_e32 v19, 16, v19
	v_sub_f32_e32 v2, v19, v2
	global_store_short_d16_hi v[20:21], v2, off
	v_mul_f32_e32 v2, v16, v2
	v_lshrrev_b32_e32 v19, 16, v2
.LBB581_70:
	s_or_b64 exec, exec, s[6:7]
	s_and_saveexec_b64 s[0:1], s[4:5]
	s_cbranch_execz .LBB581_72
; %bb.71:
	v_lshlrev_b32_e32 v20, 8, v15
	v_mov_b32_e32 v21, 0
	v_lshl_add_u64 v[22:23], v[6:7], 0, v[20:21]
	global_load_ushort v2, v[22:23], off
	v_lshl_add_u64 v[20:21], v[8:9], 0, v[20:21]
	s_waitcnt vmcnt(0)
	v_lshlrev_b32_e32 v2, 16, v2
	v_sub_f32_e32 v2, v2, v3
	global_store_short_d16_hi v[20:21], v2, off
	v_mul_f32_e32 v2, v12, v2
	v_lshrrev_b32_e32 v18, 16, v2
.LBB581_72:
	s_or_b64 exec, exec, s[0:1]
	v_mov_b32_e32 v3, 0
	v_mov_b32_e32 v12, 0
	s_and_saveexec_b64 s[0:1], s[2:3]
	s_cbranch_execz .LBB581_74
; %bb.73:
	v_lshlrev_b32_e32 v14, 8, v14
	v_mov_b32_e32 v15, 0
	v_lshl_add_u64 v[20:21], v[6:7], 0, v[14:15]
	global_load_ushort v2, v[20:21], off
	v_lshl_add_u64 v[14:15], v[8:9], 0, v[14:15]
	s_waitcnt vmcnt(0)
	v_lshlrev_b32_e32 v2, 16, v2
	v_sub_f32_e32 v2, v2, v4
	global_store_short_d16_hi v[14:15], v2, off
	v_mul_f32_e32 v2, v17, v2
	v_lshrrev_b32_e32 v12, 16, v2
.LBB581_74:
	s_or_b64 exec, exec, s[0:1]
	v_or_b32_e32 v2, 0x9800, v38
	s_and_saveexec_b64 s[0:1], vcc
	s_cbranch_execz .LBB581_76
; %bb.75:
	v_lshlrev_b32_e32 v14, 8, v13
	v_mov_b32_e32 v15, 0
	v_lshl_add_u64 v[6:7], v[6:7], 0, v[14:15]
	global_load_ushort v3, v[6:7], off
	v_lshl_add_u64 v[6:7], v[8:9], 0, v[14:15]
	s_waitcnt vmcnt(0)
	v_lshlrev_b32_e32 v3, 16, v3
	v_sub_f32_e32 v3, v3, v5
	global_store_short_d16_hi v[6:7], v3, off
	v_mul_f32_e32 v3, v11, v3
	v_lshrrev_b32_e32 v3, 16, v3
.LBB581_76:
	s_or_b64 exec, exec, s[0:1]
	s_mov_b32 s0, 0x5040100
	v_perm_b32 v5, v3, v12, s0
	v_lshlrev_b32_e32 v3, 1, v36
	v_perm_b32 v4, v18, v19, s0
	v_lshl_or_b32 v3, v10, 5, v3
	s_movk_i32 s2, 0xff
	ds_write_b64 v3, v[4:5] offset:38912
	v_and_b32_e32 v3, 7, v0
	v_cmp_lt_u32_e32 vcc, s2, v0
	v_and_b32_e32 v4, 8, v0
	v_lshlrev_b32_e32 v12, 3, v3
	v_lshlrev_b32_e32 v24, 7, v3
	v_cndmask_b32_e64 v3, 0, 1, vcc
	v_lshrrev_b32_e32 v0, 1, v0
	v_lshlrev_b32_e32 v14, 13, v3
	v_lshlrev_b32_e32 v3, 3, v45
	v_and_b32_e32 v0, 24, v0
	v_xor_b32_e32 v5, v3, v0
	v_or_b32_e32 v6, 0x440, v5
	v_cmp_eq_u32_e32 vcc, 0, v4
	s_mul_i32 s0, s22, s21
	s_mul_hi_i32 s1, s22, s21
	v_cndmask_b32_e32 v4, v6, v5, vcc
	v_or_b32_e32 v4, v4, v37
	v_xor_b32_e32 v25, v4, v12
	v_or_b32_e32 v4, 32, v0
	v_xor_b32_e32 v4, v3, v4
	v_or_b32_e32 v5, 0x440, v4
	v_cndmask_b32_e32 v4, v5, v4, vcc
	v_or_b32_e32 v4, v4, v37
	v_xor_b32_e32 v27, v4, v12
	v_or_b32_e32 v4, 64, v0
	v_xor_b32_e32 v4, v3, v4
	v_xor_b32_e32 v5, 0x440, v4
	v_cndmask_b32_e32 v4, v5, v4, vcc
	v_or_b32_e32 v0, 0x60, v0
	s_add_u32 s0, s0, s48
	v_add3_u32 v15, v14, v25, v24
	v_or_b32_e32 v4, v4, v37
	v_xor_b32_e32 v0, v3, v0
	s_waitcnt lgkmcnt(0)
	s_barrier
	s_addc_u32 s1, s1, s25
	v_lshlrev_b32_e32 v13, 2, v10
	v_xor_b32_e32 v28, v4, v12
	ds_read2st64_b64 v[4:7], v2 offset1:1
	ds_read2st64_b64 v[8:11], v2 offset0:2 offset1:3
	ds_read_b64 v[2:3], v15
	v_xor_b32_e32 v15, 0x440, v0
	s_lshl_b64 s[0:1], s[0:1], 9
	v_cndmask_b32_e32 v0, v15, v0, vcc
	s_add_u32 s0, s40, s0
	v_or_b32_e32 v0, v0, v37
	s_addc_u32 s1, s41, s1
	v_add3_u32 v16, v14, v27, v24
	v_xor_b32_e32 v29, v0, v12
	v_add3_u32 v18, v14, v28, v24
	v_add3_u32 v0, v14, v29, v24
	ds_read_b64 v[16:17], v16
	ds_read_b64 v[20:21], v18
	;; [unrolled: 1-line block ×3, first 2 shown]
	global_load_dwordx4 v[12:15], v13, s[0:1]
	s_waitcnt lgkmcnt(3)
	v_mfma_f32_16x16x16_bf16 a[0:3], v[2:3], v[4:5], 0
	v_lshlrev_b32_e32 v0, 6, v45
	v_lshlrev_b32_e32 v2, 2, v40
	s_movk_i32 s2, 0x100
	v_or3_b32 v0, v0, v2, s2
	s_waitcnt lgkmcnt(2)
	v_mfma_f32_16x16x16_bf16 a[0:3], v[16:17], v[6:7], a[0:3]
	global_load_dwordx4 v[16:19], v0, s[0:1]
	v_mov_b32_e32 v0, 0x3fb8aa3b
	v_mul_f32_e32 v0, s20, v0
	s_waitcnt lgkmcnt(1)
	v_mfma_f32_16x16x16_bf16 a[0:3], v[20:21], v[8:9], a[0:3]
	v_exp_f32_e32 v0, v0
	v_add_u32_e32 v25, v25, v24
	v_add_u32_e32 v27, v27, v24
	s_waitcnt lgkmcnt(0)
	v_mfma_f32_16x16x16_bf16 a[0:3], v[22:23], v[10:11], a[0:3]
	ds_read_b64 v[22:23], v25 offset:8192
	s_waitcnt vmcnt(1)
	v_mul_f32_e32 v12, 0x3fb8aa3b, v12
	v_mul_f32_e32 v13, 0x3fb8aa3b, v13
	v_exp_f32_e32 v12, v12
	v_exp_f32_e32 v13, v13
	s_nop 0
	v_accvgpr_read_b32 v21, a1
	v_accvgpr_read_b32 v20, a0
	v_mul_f32_e32 v14, 0x3fb8aa3b, v14
	v_pk_mul_f32 v[12:13], v[0:1], v[12:13] op_sel_hi:[0,1]
	v_pk_fma_f32 v[46:47], v[46:47], v[12:13], v[20:21]
	ds_read_b64 v[12:13], v27 offset:8192
	v_mul_f32_e32 v15, 0x3fb8aa3b, v15
	v_exp_f32_e32 v14, v14
	v_exp_f32_e32 v15, v15
	v_accvgpr_read_b32 v3, a3
	v_accvgpr_read_b32 v2, a2
	s_waitcnt lgkmcnt(1)
	v_mfma_f32_16x16x16_bf16 a[0:3], v[22:23], v[4:5], 0
	v_pk_mul_f32 v[14:15], v[0:1], v[14:15] op_sel_hi:[0,1]
	v_pk_fma_f32 v[52:53], v[52:53], v[14:15], v[2:3]
	v_add_u32_e32 v2, v28, v24
	v_add_u32_e32 v3, v29, v24
	ds_read_b64 v[14:15], v2 offset:8192
	ds_read_b64 v[20:21], v3 offset:8192
	s_waitcnt lgkmcnt(2)
	v_mfma_f32_16x16x16_bf16 a[0:3], v[12:13], v[6:7], a[0:3]
	s_waitcnt vmcnt(0)
	v_mov_b32_e32 v2, v17
	v_mov_b32_e32 v3, v18
	;; [unrolled: 1-line block ×3, first 2 shown]
	s_waitcnt lgkmcnt(1)
	v_mfma_f32_16x16x16_bf16 a[0:3], v[14:15], v[8:9], a[0:3]
	v_mul_f32_e32 v2, 0x3fb8aa3b, v2
	v_mul_f32_e32 v5, 0x3fb8aa3b, v16
	v_exp_f32_e32 v17, v2
	v_mul_f32_e32 v2, 0x3fb8aa3b, v3
	v_mul_f32_e32 v3, 0x3fb8aa3b, v4
	s_waitcnt lgkmcnt(0)
	v_mfma_f32_16x16x16_bf16 a[0:3], v[20:21], v[10:11], a[0:3]
	v_exp_f32_e32 v16, v5
	v_exp_f32_e32 v2, v2
	;; [unrolled: 1-line block ×3, first 2 shown]
	v_pk_mul_f32 v[6:7], v[0:1], v[16:17] op_sel_hi:[0,1]
	v_pk_mul_f32 v[2:3], v[0:1], v[2:3] op_sel_hi:[0,1]
	s_nop 1
	v_accvgpr_read_b32 v9, a1
	v_accvgpr_read_b32 v5, a3
	;; [unrolled: 1-line block ×4, first 2 shown]
	v_pk_fma_f32 v[50:51], v[50:51], v[6:7], v[8:9]
	v_pk_fma_f32 v[48:49], v[48:49], v[2:3], v[4:5]
	v_mov_b32_e32 v2, v26
.LBB581_77:
	s_mul_i32 s0, s49, s35
	s_mul_hi_u32 s1, s49, s34
	s_add_i32 s0, s1, s0
	s_mul_i32 s1, s33, s34
	s_add_i32 s1, s0, s1
	s_mul_i32 s0, s49, s34
	s_add_u32 s0, s0, s48
	s_addc_u32 s1, s1, s25
	s_lshl_b64 s[0:1], s[0:1], 15
	s_add_u32 s0, s8, s0
	v_lshlrev_b32_e32 v2, 7, v2
	s_addc_u32 s1, s9, s1
	v_ashrrev_i32_e32 v3, 31, v2
	v_lshl_add_u64 v[2:3], v[2:3], 1, s[0:1]
	v_lshlrev_b32_e32 v0, 1, v1
	v_mov_b32_e32 v1, 0
	s_mov_b32 s0, 0x7060302
	v_lshl_add_u64 v[0:1], v[2:3], 0, v[0:1]
	v_perm_b32 v3, v53, v52, s0
	v_perm_b32 v2, v47, v46, s0
	global_store_dwordx2 v[0:1], v[2:3], off
	v_perm_b32 v3, v49, v48, s0
	v_perm_b32 v2, v51, v50, s0
	global_store_dwordx2 v[0:1], v[2:3], off offset:128
	s_endpgm
	.section	.rodata,"a",@progbits
	.p2align	6, 0x0
	.amdhsa_kernel _ZN12_GLOBAL__N_139chunk_gated_delta_rule_fwd_h_hip_kernelILi16ELb0ELb1ELb1ELb1ELb0ELb1ELb1ELb1EEEvPK12hip_bfloat16S3_S3_PKfS5_PKvPS1_S8_PvPKiSB_iiiiilll
		.amdhsa_group_segment_fixed_size 40960
		.amdhsa_private_segment_fixed_size 0
		.amdhsa_kernarg_size 136
		.amdhsa_user_sgpr_count 2
		.amdhsa_user_sgpr_dispatch_ptr 0
		.amdhsa_user_sgpr_queue_ptr 0
		.amdhsa_user_sgpr_kernarg_segment_ptr 1
		.amdhsa_user_sgpr_dispatch_id 0
		.amdhsa_user_sgpr_kernarg_preload_length 0
		.amdhsa_user_sgpr_kernarg_preload_offset 0
		.amdhsa_user_sgpr_private_segment_size 0
		.amdhsa_uses_dynamic_stack 0
		.amdhsa_enable_private_segment 0
		.amdhsa_system_sgpr_workgroup_id_x 1
		.amdhsa_system_sgpr_workgroup_id_y 1
		.amdhsa_system_sgpr_workgroup_id_z 0
		.amdhsa_system_sgpr_workgroup_info 0
		.amdhsa_system_vgpr_workitem_id 0
		.amdhsa_next_free_vgpr 128
		.amdhsa_next_free_sgpr 70
		.amdhsa_accum_offset 116
		.amdhsa_reserve_vcc 1
		.amdhsa_float_round_mode_32 0
		.amdhsa_float_round_mode_16_64 0
		.amdhsa_float_denorm_mode_32 3
		.amdhsa_float_denorm_mode_16_64 3
		.amdhsa_dx10_clamp 1
		.amdhsa_ieee_mode 1
		.amdhsa_fp16_overflow 0
		.amdhsa_tg_split 0
		.amdhsa_exception_fp_ieee_invalid_op 0
		.amdhsa_exception_fp_denorm_src 0
		.amdhsa_exception_fp_ieee_div_zero 0
		.amdhsa_exception_fp_ieee_overflow 0
		.amdhsa_exception_fp_ieee_underflow 0
		.amdhsa_exception_fp_ieee_inexact 0
		.amdhsa_exception_int_div_zero 0
	.end_amdhsa_kernel
	.section	.text._ZN12_GLOBAL__N_139chunk_gated_delta_rule_fwd_h_hip_kernelILi16ELb0ELb1ELb1ELb1ELb0ELb1ELb1ELb1EEEvPK12hip_bfloat16S3_S3_PKfS5_PKvPS1_S8_PvPKiSB_iiiiilll,"axG",@progbits,_ZN12_GLOBAL__N_139chunk_gated_delta_rule_fwd_h_hip_kernelILi16ELb0ELb1ELb1ELb1ELb0ELb1ELb1ELb1EEEvPK12hip_bfloat16S3_S3_PKfS5_PKvPS1_S8_PvPKiSB_iiiiilll,comdat
.Lfunc_end581:
	.size	_ZN12_GLOBAL__N_139chunk_gated_delta_rule_fwd_h_hip_kernelILi16ELb0ELb1ELb1ELb1ELb0ELb1ELb1ELb1EEEvPK12hip_bfloat16S3_S3_PKfS5_PKvPS1_S8_PvPKiSB_iiiiilll, .Lfunc_end581-_ZN12_GLOBAL__N_139chunk_gated_delta_rule_fwd_h_hip_kernelILi16ELb0ELb1ELb1ELb1ELb0ELb1ELb1ELb1EEEvPK12hip_bfloat16S3_S3_PKfS5_PKvPS1_S8_PvPKiSB_iiiiilll
                                        ; -- End function
	.section	.AMDGPU.csdata,"",@progbits
; Kernel info:
; codeLenInByte = 8348
; NumSgprs: 76
; NumVgprs: 116
; NumAgprs: 12
; TotalNumVgprs: 128
; ScratchSize: 0
; MemoryBound: 0
; FloatMode: 240
; IeeeMode: 1
; LDSByteSize: 40960 bytes/workgroup (compile time only)
; SGPRBlocks: 9
; VGPRBlocks: 15
; NumSGPRsForWavesPerEU: 76
; NumVGPRsForWavesPerEU: 128
; AccumOffset: 116
; Occupancy: 1
; WaveLimiterHint : 1
; COMPUTE_PGM_RSRC2:SCRATCH_EN: 0
; COMPUTE_PGM_RSRC2:USER_SGPR: 2
; COMPUTE_PGM_RSRC2:TRAP_HANDLER: 0
; COMPUTE_PGM_RSRC2:TGID_X_EN: 1
; COMPUTE_PGM_RSRC2:TGID_Y_EN: 1
; COMPUTE_PGM_RSRC2:TGID_Z_EN: 0
; COMPUTE_PGM_RSRC2:TIDIG_COMP_CNT: 0
; COMPUTE_PGM_RSRC3_GFX90A:ACCUM_OFFSET: 28
; COMPUTE_PGM_RSRC3_GFX90A:TG_SPLIT: 0
	.section	.text._ZN12_GLOBAL__N_139chunk_gated_delta_rule_fwd_h_hip_kernelILi16ELb0ELb1ELb0ELb1ELb0ELb1ELb1ELb1EEEvPK12hip_bfloat16S3_S3_PKfS5_PKvPS1_S8_PvPKiSB_iiiiilll,"axG",@progbits,_ZN12_GLOBAL__N_139chunk_gated_delta_rule_fwd_h_hip_kernelILi16ELb0ELb1ELb0ELb1ELb0ELb1ELb1ELb1EEEvPK12hip_bfloat16S3_S3_PKfS5_PKvPS1_S8_PvPKiSB_iiiiilll,comdat
	.globl	_ZN12_GLOBAL__N_139chunk_gated_delta_rule_fwd_h_hip_kernelILi16ELb0ELb1ELb0ELb1ELb0ELb1ELb1ELb1EEEvPK12hip_bfloat16S3_S3_PKfS5_PKvPS1_S8_PvPKiSB_iiiiilll ; -- Begin function _ZN12_GLOBAL__N_139chunk_gated_delta_rule_fwd_h_hip_kernelILi16ELb0ELb1ELb0ELb1ELb0ELb1ELb1ELb1EEEvPK12hip_bfloat16S3_S3_PKfS5_PKvPS1_S8_PvPKiSB_iiiiilll
	.p2align	8
	.type	_ZN12_GLOBAL__N_139chunk_gated_delta_rule_fwd_h_hip_kernelILi16ELb0ELb1ELb0ELb1ELb0ELb1ELb1ELb1EEEvPK12hip_bfloat16S3_S3_PKfS5_PKvPS1_S8_PvPKiSB_iiiiilll,@function
_ZN12_GLOBAL__N_139chunk_gated_delta_rule_fwd_h_hip_kernelILi16ELb0ELb1ELb0ELb1ELb0ELb1ELb1ELb1EEEvPK12hip_bfloat16S3_S3_PKfS5_PKvPS1_S8_PvPKiSB_iiiiilll: ; @_ZN12_GLOBAL__N_139chunk_gated_delta_rule_fwd_h_hip_kernelILi16ELb0ELb1ELb0ELb1ELb0ELb1ELb1ELb1EEEvPK12hip_bfloat16S3_S3_PKfS5_PKvPS1_S8_PvPKiSB_iiiiilll
; %bb.0:
	s_load_dwordx4 s[16:19], s[0:1], 0x5c
	s_load_dwordx4 s[20:23], s[0:1], 0x70
	s_abs_i32 s27, s3
	s_ashr_i32 s26, s3, 31
	s_load_dwordx8 s[4:11], s[0:1], 0x0
	s_load_dwordx2 s[36:37], s[0:1], 0x20
	s_load_dwordx2 s[42:43], s[0:1], 0x30
	s_waitcnt lgkmcnt(0)
	s_abs_i32 s28, s17
	v_cvt_f32_u32_e32 v1, s28
	s_sub_i32 s29, 0, s28
	s_ashr_i32 s33, s17, 31
	s_xor_b32 s26, s26, s33
	v_rcp_iflag_f32_e32 v1, v1
	s_load_dwordx4 s[12:15], s[0:1], 0x40
	s_load_dwordx2 s[24:25], s[0:1], 0x50
	v_lshrrev_b32_e32 v45, 6, v0
	v_bfe_u32 v60, v0, 4, 2
	v_mul_f32_e32 v1, 0x4f7ffffe, v1
	v_cvt_u32_f32_e32 v1, v1
	v_lshlrev_b32_e32 v58, 4, v45
	v_lshlrev_b32_e32 v2, 2, v60
	v_and_b32_e32 v59, 63, v0
	v_readfirstlane_b32 s30, v1
	s_mul_i32 s29, s29, s30
	s_mul_hi_u32 s29, s30, s29
	s_add_i32 s30, s30, s29
	s_mul_hi_u32 s29, s27, s30
	s_mul_i32 s30, s29, s28
	s_sub_i32 s27, s27, s30
	s_add_i32 s30, s29, 1
	s_sub_i32 s31, s27, s28
	s_cmp_ge_u32 s27, s28
	s_cselect_b32 s29, s30, s29
	s_cselect_b32 s27, s31, s27
	s_add_i32 s30, s29, 1
	s_cmp_ge_u32 s27, s28
	s_cselect_b32 s27, s30, s29
	s_xor_b32 s27, s27, s26
	s_sub_i32 s34, s27, s26
	s_mul_i32 s26, s34, s17
	s_ashr_i32 s35, s34, 31
	s_sub_i32 s46, s3, s26
	s_lshl_b64 s[26:27], s[34:35], 2
	s_waitcnt lgkmcnt(0)
	s_add_u32 s14, s14, s26
	s_addc_u32 s15, s15, s27
	s_add_u32 s24, s24, s26
	s_addc_u32 s25, s25, s27
	s_abs_i32 s3, s18
	v_cvt_f32_u32_e32 v1, s3
	s_load_dwordx2 s[38:39], s[14:15], 0x0
	s_sub_i32 s15, 0, s3
	s_load_dword s53, s[24:25], 0x0
	v_rcp_iflag_f32_e32 v1, v1
	v_mov_b32_e32 v49, 0
	s_waitcnt lgkmcnt(0)
	s_sub_i32 s51, s39, s38
	s_ashr_i32 s14, s51, 31
	v_mul_f32_e32 v1, 0x4f7ffffe, v1
	v_cvt_u32_f32_e32 v1, v1
	s_lshr_b32 s14, s14, 26
	s_add_i32 s14, s51, s14
	s_ashr_i32 s52, s14, 6
	v_readfirstlane_b32 s26, v1
	s_mul_i32 s15, s15, s26
	s_mul_hi_u32 s15, s26, s15
	s_add_i32 s26, s26, s15
	s_mul_hi_u32 s15, s28, s26
	s_mul_i32 s26, s15, s3
	s_ashr_i32 s14, s18, 31
	s_sub_i32 s26, s28, s26
	s_xor_b32 s14, s33, s14
	s_add_i32 s27, s15, 1
	s_sub_i32 s28, s26, s3
	s_cmp_ge_u32 s26, s3
	s_cselect_b32 s15, s27, s15
	s_cselect_b32 s26, s28, s26
	s_add_i32 s27, s15, 1
	s_cmp_ge_u32 s26, s3
	s_cselect_b32 s3, s27, s15
	s_xor_b32 s3, s3, s14
	s_sub_i32 s3, s3, s14
	s_abs_i32 s26, s3
	v_cvt_f32_u32_e32 v1, s26
	s_load_dwordx2 s[14:15], s[0:1], 0x80
	s_xor_b32 s0, s46, s3
	s_sub_i32 s3, 0, s26
	v_rcp_iflag_f32_e32 v1, v1
	s_abs_i32 s1, s46
	s_ashr_i32 s0, s0, 31
	s_mov_b32 s47, s17
	v_mul_f32_e32 v1, 0x4f7ffffe, v1
	v_cvt_u32_f32_e32 v1, v1
	v_and_b32_e32 v61, 15, v0
	s_mul_hi_i32 s54, s46, s16
	s_mul_i32 s55, s46, s16
	v_readfirstlane_b32 s24, v1
	s_mul_i32 s3, s3, s24
	s_mul_hi_u32 s3, s24, s3
	s_add_i32 s24, s24, s3
	s_mul_hi_u32 s3, s1, s24
	s_mul_i32 s24, s3, s26
	s_sub_i32 s1, s1, s24
	s_add_i32 s24, s3, 1
	s_sub_i32 s25, s1, s26
	s_cmp_ge_u32 s1, s26
	s_cselect_b32 s3, s24, s3
	s_cselect_b32 s1, s25, s1
	s_add_i32 s24, s3, 1
	s_cmp_ge_u32 s1, s26
	s_cselect_b32 s1, s24, s3
	s_xor_b32 s1, s1, s0
	s_sub_i32 s56, s1, s0
	v_or_b32_e32 v1, v2, v58
	s_lshl_b32 s2, s2, 4
	v_or_b32_e32 v64, 64, v1
	s_cmp_lt_i32 s51, 64
	v_lshrrev_b32_e32 v63, 3, v59
	v_lshlrev_b32_e32 v62, 3, v0
	s_mul_i32 s48, s34, s21
	s_mul_hi_u32 s49, s34, s20
	s_mul_i32 s50, s35, s20
	s_mul_i32 s40, s34, s20
	v_mov_b32_e32 v48, v49
	v_mov_b32_e32 v51, v49
	;; [unrolled: 1-line block ×7, first 2 shown]
	s_cbranch_scc1 .LBB582_18
; %bb.1:
	s_ashr_i32 s58, s46, 31
	s_ashr_i32 s1, s38, 31
	s_add_u32 s0, s55, s38
	s_addc_u32 s1, s54, s1
	s_lshl_b64 s[0:1], s[0:1], 8
	v_and_b32_e32 v66, 56, v62
	s_add_u32 s24, s6, s0
	v_lshl_or_b32 v65, v45, 3, v63
	v_lshlrev_b32_e32 v3, 1, v66
	s_addc_u32 s0, s7, s1
	v_lshl_or_b32 v67, v65, 8, v3
	s_and_b32 s25, s0, 0xffff
	s_mov_b32 s27, 0x20000
	s_movk_i32 s26, 0x4000
	s_movk_i32 s0, 0x80
	v_or_b32_e32 v68, 0x2000, v67
	buffer_load_dwordx4 v[4:7], v67, s[24:27], 0 offen
	buffer_load_dwordx4 v[8:11], v67, s[24:27], s0 offen
	;; [unrolled: 1-line block ×4, first 2 shown]
	v_lshlrev_b32_e32 v20, 3, v65
	v_and_or_b32 v22, v0, 7, v20
	v_and_b32_e32 v20, 0x78, v20
	v_lshlrev_b32_e32 v22, 4, v22
	v_xor_b32_e32 v69, v22, v20
	v_mul_lo_u32 v21, v65, s19
	v_or_b32_e32 v70, 0x1000, v69
	s_cmpk_eq_i32 s19, 0x80
	s_mov_b32 s57, s38
	v_xor_b32_e32 v20, 8, v69
	v_xor_b32_e32 v22, 8, v70
	s_cselect_b64 s[0:1], -1, 0
	s_cmpk_lg_i32 s19, 0x80
	s_waitcnt vmcnt(3)
	ds_write_b64 v69, v[4:5] offset:16384
	ds_write_b64 v20, v[6:7] offset:16384
	s_waitcnt vmcnt(2)
	ds_write_b64 v69, v[8:9] offset:24576
	ds_write_b64 v20, v[10:11] offset:24576
	;; [unrolled: 3-line block ×4, first 2 shown]
	v_lshl_add_u32 v4, v21, 1, v66
	s_cbranch_scc0 .LBB582_3
; %bb.2:
	v_lshlrev_b32_e32 v6, 1, v4
	v_add_lshl_u32 v5, v4, s19, 1
	s_lshl_b32 s26, s19, 7
	v_lshl_or_b32 v3, v65, 9, v3
	s_cbranch_execz .LBB582_4
	s_branch .LBB582_5
.LBB582_3:
                                        ; implicit-def: $vgpr5
                                        ; implicit-def: $vgpr6
                                        ; implicit-def: $sgpr26
	v_lshl_or_b32 v3, v65, 9, v3
.LBB582_4:
	v_or_b32_e32 v5, 0x100, v3
	s_movk_i32 s26, 0x4000
	v_mov_b32_e32 v6, v3
.LBB582_5:
	s_mul_i32 s20, s38, s18
	s_ashr_i32 s59, s56, 31
	s_mul_hi_i32 s3, s38, s18
	s_add_u32 s20, s20, s56
	s_addc_u32 s21, s3, s59
	s_lshl_b64 s[20:21], s[20:21], 8
	s_add_u32 s24, s4, s20
	s_addc_u32 s3, s5, s21
	s_and_b32 s25, s3, 0xffff
	s_movk_i32 s60, 0x80
	buffer_load_dwordx4 v[8:11], v6, s[24:27], 0 offen
	buffer_load_dwordx4 v[12:15], v6, s[24:27], s60 offen
	;; [unrolled: 1-line block ×4, first 2 shown]
	v_and_b32_e32 v5, 6, v0
	v_lshlrev_b32_e32 v7, 2, v61
	v_lshlrev_b32_e32 v24, 3, v61
	v_xor_b32_e32 v26, v65, v5
	v_and_b32_e32 v6, 1, v0
	v_lshl_or_b32 v24, v1, 5, v24
	v_xor_b32_e32 v27, v1, v7
	v_lshlrev_b32_e32 v26, 2, v26
	s_mul_i32 s3, s46, s23
	s_mul_hi_u32 s21, s46, s22
	v_or_b32_e32 v71, 0x9000, v24
	v_or_b32_e32 v72, 0x9800, v24
	v_lshlrev_b32_e32 v24, 1, v27
	v_xor_b32_e32 v27, 0x440, v26
	v_cmp_eq_u32_e32 vcc, 0, v6
	s_add_i32 s25, s49, s48
	s_mul_i32 s24, s58, s22
	v_cndmask_b32_e32 v6, v27, v26, vcc
	s_add_i32 s3, s21, s3
	s_add_i32 s41, s25, s50
	s_mov_b32 s61, 0x1000504
	v_lshlrev_b32_e32 v25, 8, v61
	s_mov_b32 s26, 0x8000
	v_xor_b32_e32 v7, v64, v7
	v_lshl_or_b32 v5, v5, 10, v6
	s_add_i32 s21, s3, s24
	s_lshl_b64 s[24:25], s[40:41], 2
	s_mov_b32 s62, 0x3020706
	s_mul_i32 s20, s46, s22
	v_lshlrev_b32_e32 v7, 1, v7
	v_or3_b32 v73, v24, v25, s26
	v_xor_b32_e32 v6, 8, v5
	v_xor_b32_e32 v24, 24, v5
	;; [unrolled: 1-line block ×4, first 2 shown]
	s_add_u32 s3, s10, s24
	v_or3_b32 v74, v7, v25, s26
	v_xor_b32_e32 v7, 16, v5
	v_xor_b32_e32 v25, 32, v5
	;; [unrolled: 1-line block ×3, first 2 shown]
	v_add_u32_e32 v6, 0x80, v6
	v_add_u32_e32 v24, 0x80, v24
	;; [unrolled: 1-line block ×4, first 2 shown]
	s_addc_u32 s24, s11, s25
	s_lshl_b64 s[20:21], s[20:21], 2
	s_add_u32 s20, s3, s20
	s_movk_i32 s3, 0xf8
	s_addc_u32 s21, s24, s21
	s_lshl_b32 s30, s19, 7
	v_mov_b32_e32 v47, 0
	s_mov_b32 s63, 0
	v_add_u32_e32 v85, v58, v2
	v_mov_b32_e32 v96, 0x3fb8aa3b
	v_mov_b32_e32 v52, v47
	;; [unrolled: 1-line block ×7, first 2 shown]
	s_waitcnt vmcnt(1)
	v_perm_b32 v29, v8, v16, s61
	s_waitcnt vmcnt(0)
	v_perm_b32 v30, v12, v20, s61
	v_perm_b32 v8, v8, v16, s62
	;; [unrolled: 1-line block ×15, first 2 shown]
	ds_write2st64_b32 v5, v29, v30 offset1:32
	ds_write2st64_b32 v6, v8, v12 offset1:32
	ds_write2st64_b32 v7, v16, v20 offset0:1 offset1:33
	ds_write2st64_b32 v24, v9, v13 offset0:1 offset1:33
	ds_write2st64_b32 v25, v17, v21 offset0:2 offset1:34
	ds_write2st64_b32 v26, v10, v14 offset0:2 offset1:34
	ds_write2st64_b32 v27, v18, v22 offset0:3 offset1:35
	ds_write2st64_b32 v28, v11, v15 offset0:3 offset1:35
	v_or_b32_e32 v5, v58, v61
	v_lshlrev_b32_e32 v5, 3, v5
	v_lshrrev_b32_e32 v7, 5, v59
	v_and_or_b32 v7, v5, s3, v7
	v_lshlrev_b32_e32 v7, 4, v7
	v_lshrrev_b32_e32 v6, 2, v59
	v_lshlrev_b32_e32 v9, 11, v45
	v_and_b32_e32 v5, 0x78, v5
	v_or_b32_e32 v12, 32, v7
	v_and_b32_e32 v8, 12, v6
	v_and_b32_e32 v6, 0x1000, v9
	v_lshrrev_b32_e32 v11, 1, v59
	v_xor_b32_e32 v12, v12, v5
	v_and_b32_e32 v11, 8, v11
	v_or_b32_e32 v12, v12, v6
	v_xor_b32_e32 v10, v7, v5
	v_xor_b32_e32 v77, v12, v11
	v_or_b32_e32 v12, 64, v7
	v_or_b32_e32 v7, 0x60, v7
	;; [unrolled: 1-line block ×3, first 2 shown]
	v_xor_b32_e32 v12, v12, v5
	v_xor_b32_e32 v5, v7, v5
	;; [unrolled: 1-line block ×3, first 2 shown]
	v_and_b32_e32 v10, 0x78, v62
	v_or_b32_e32 v5, v5, v6
	v_lshl_or_b32 v10, v60, 7, v10
	v_or_b32_e32 v12, v12, v6
	v_xor_b32_e32 v79, v5, v11
	s_ashr_i32 s3, s2, 31
	v_lshlrev_b32_e32 v5, 1, v61
	v_or_b32_e32 v76, 0x9000, v10
	v_xor_b32_e32 v78, v12, v11
	v_or_b32_e32 v80, 0x9800, v10
	v_lshlrev_b32_e32 v10, 1, v4
	v_add_lshl_u32 v11, v4, s19, 1
	v_lshrrev_b32_e32 v4, 4, v0
	s_lshl_b64 s[24:25], s[2:3], 8
	v_or_b32_e32 v13, 1, v5
	s_add_u32 s24, s42, s24
	v_xor_b32_e32 v5, v4, v5
	v_xor_b32_e32 v13, v13, v4
	s_addc_u32 s25, s43, s25
	v_lshlrev_b32_e32 v5, 3, v5
	v_lshlrev_b32_e32 v46, 8, v4
	;; [unrolled: 1-line block ×3, first 2 shown]
	v_lshrrev_b32_e32 v17, 1, v0
	v_or3_b32 v81, v5, v46, s26
	v_or3_b32 v82, v4, v46, s26
	v_lshl_add_u64 v[4:5], s[24:25], 0, v[46:47]
	v_lshlrev_b32_e32 v46, 4, v61
	s_movk_i32 s3, 0xff
	v_lshlrev_b32_e32 v16, 3, v45
	v_and_b32_e32 v17, 24, v17
	v_lshl_add_u64 v[54:55], v[4:5], 0, v[46:47]
	v_and_b32_e32 v5, 8, v0
	v_cmp_lt_u32_e32 vcc, s3, v0
	v_xor_b32_e32 v18, v16, v17
	v_or_b32_e32 v19, 0x440, v18
	v_cndmask_b32_e64 v15, 0, 1, vcc
	v_cmp_eq_u32_e32 vcc, 0, v5
	v_or_b32_e32 v21, 64, v17
	v_xor_b32_e32 v21, v16, v21
	v_cndmask_b32_e32 v5, v19, v18, vcc
	v_or_b32_e32 v19, 32, v17
	v_or_b32_e32 v17, 0x60, v17
	v_xor_b32_e32 v19, v16, v19
	v_xor_b32_e32 v16, v16, v17
	v_or_b32_e32 v20, 0x440, v19
	v_xor_b32_e32 v22, 0x440, v21
	v_xor_b32_e32 v17, 0x440, v16
	v_and_b32_e32 v4, 7, v0
	v_cndmask_b32_e32 v19, v20, v19, vcc
	v_cndmask_b32_e32 v21, v22, v21, vcc
	;; [unrolled: 1-line block ×3, first 2 shown]
	v_or_b32_e32 v6, s2, v61
	v_lshlrev_b32_e32 v13, 3, v4
	v_or_b32_e32 v5, v5, v9
	v_or_b32_e32 v19, v19, v9
	;; [unrolled: 1-line block ×4, first 2 shown]
	v_ashrrev_i32_e32 v7, 31, v6
	v_lshlrev_b32_e32 v15, 13, v15
	v_xor_b32_e32 v5, v5, v13
	v_xor_b32_e32 v19, v19, v13
	;; [unrolled: 1-line block ×4, first 2 shown]
	v_lshl_add_u64 v[6:7], v[6:7], 1, s[8:9]
	v_or_b32_e32 v12, 0x100, v3
	v_lshlrev_b32_e32 v14, 7, v4
	v_or_b32_e32 v4, v8, v58
	v_add_u32_e32 v18, v15, v5
	v_add_u32_e32 v20, v15, v19
	;; [unrolled: 1-line block ×4, first 2 shown]
	v_or3_b32 v8, v58, v8, 64
	v_add_u32_e32 v5, 0x2000, v5
	v_add_u32_e32 v15, 0x2000, v19
	;; [unrolled: 1-line block ×4, first 2 shown]
	v_lshlrev_b32_e32 v46, 8, v1
	v_cndmask_b32_e64 v83, v10, v3, s[0:1]
	v_cndmask_b32_e64 v84, v11, v12, s[0:1]
	v_lshl_add_u64 v[56:57], v[6:7], 0, v[46:47]
	s_mov_b32 s3, 0x7060302
	s_movk_i32 s26, 0x4000
	v_lshlrev_b32_e32 v86, 2, v4
	v_add_u32_e32 v87, v18, v14
	v_add_u32_e32 v88, v20, v14
	;; [unrolled: 1-line block ×4, first 2 shown]
	v_lshlrev_b32_e32 v91, 2, v8
	v_add_u32_e32 v92, v5, v14
	v_add_u32_e32 v93, v15, v14
	;; [unrolled: 1-line block ×4, first 2 shown]
	v_mov_b32_e32 v46, v47
	s_waitcnt lgkmcnt(0)
	s_barrier
.LBB582_6:                              ; =>This Inner Loop Header: Depth=1
	s_add_i32 s41, s63, 1
	s_cmp_lt_i32 s41, s52
	s_mov_b64 s[28:29], 0
	s_cselect_b64 s[44:45], -1, 0
	s_cmp_ge_i32 s41, s52
	s_mov_b64 s[24:25], 0
	s_cbranch_scc1 .LBB582_8
; %bb.7:                                ;   in Loop: Header=BB582_6 Depth=1
	s_add_i32 s0, s57, 64
	s_ashr_i32 s1, s0, 31
	s_add_u32 s0, s55, s0
	s_addc_u32 s1, s54, s1
	s_lshl_b64 s[0:1], s[0:1], 8
	s_add_u32 s24, s6, s0
	s_addc_u32 s25, s7, s1
.LBB582_8:                              ;   in Loop: Header=BB582_6 Depth=1
	v_cndmask_b32_e64 v2, 0, 1, s[44:45]
	v_cmp_ne_u32_e64 s[0:1], 1, v2
	s_andn2_b64 vcc, exec, s[44:45]
	s_cbranch_vccnz .LBB582_10
; %bb.9:                                ;   in Loop: Header=BB582_6 Depth=1
	s_add_i32 s28, s57, 64
	s_mul_hi_i32 s29, s28, s18
	s_mul_i32 s28, s28, s18
	s_add_u32 s28, s28, s56
	s_addc_u32 s29, s29, s59
	s_lshl_b64 s[28:29], s[28:29], 8
	s_add_u32 s28, s4, s28
	s_addc_u32 s29, s5, s29
.LBB582_10:                             ;   in Loop: Header=BB582_6 Depth=1
	v_perm_b32 v3, v53, v52, s3
	v_perm_b32 v2, v47, v46, s3
	;; [unrolled: 1-line block ×4, first 2 shown]
	ds_write_b64 v71, v[2:3]
	ds_write_b64 v72, v[4:5]
	ds_write_b64 v73, v[2:3]
	ds_write_b64 v74, v[4:5]
	s_waitcnt lgkmcnt(0)
	s_barrier
	ds_read_b64 v[10:11], v75 offset:16384
	ds_read_b64 v[12:13], v77 offset:16384
	ds_read2st64_b64 v[2:5], v76 offset1:1
	s_waitcnt lgkmcnt(0)
	v_mfma_f32_16x16x16_bf16 a[0:3], v[10:11], v[2:3], 0
	ds_read2st64_b64 v[6:9], v76 offset0:2 offset1:3
	ds_read_b64 v[14:15], v78 offset:16384
	ds_read_b64 v[2:3], v79 offset:16384
	s_add_i32 s64, s57, 63
	v_mfma_f32_16x16x16_bf16 a[0:3], v[12:13], v[4:5], a[0:3]
	s_ashr_i32 s31, s64, 31
	s_mul_i32 s44, s64, s15
	s_mul_hi_u32 s45, s64, s14
	s_waitcnt lgkmcnt(1)
	v_mfma_f32_16x16x16_bf16 a[0:3], v[14:15], v[6:7], a[0:3]
	s_add_i32 s44, s45, s44
	s_mul_i32 s31, s31, s14
	s_add_i32 s45, s44, s31
	s_mul_i32 s44, s64, s14
	s_waitcnt lgkmcnt(0)
	v_mfma_f32_16x16x16_bf16 a[0:3], v[2:3], v[8:9], a[0:3]
	s_lshl_b64 s[44:45], s[44:45], 2
	s_add_u32 s44, s20, s44
	s_addc_u32 s45, s21, s45
	s_and_b64 vcc, exec, s[0:1]
	v_mov_b32_e32 v99, 0
	v_mov_b32_e32 v98, 0
	;; [unrolled: 1-line block ×19, first 2 shown]
	s_cbranch_vccnz .LBB582_12
; %bb.11:                               ;   in Loop: Header=BB582_6 Depth=1
	s_and_b32 s25, s25, 0xffff
	buffer_load_dwordx4 v[14:17], v67, s[24:27], 0 offen
	buffer_load_dwordx4 v[10:13], v67, s[24:27], s60 offen
	;; [unrolled: 1-line block ×4, first 2 shown]
	v_mov_b32_e32 v98, v69
	v_mov_b32_e32 v97, v70
.LBB582_12:                             ;   in Loop: Header=BB582_6 Depth=1
	v_add_u32_e32 v22, s57, v85
	v_ashrrev_i32_e32 v18, 31, v22
	v_mul_lo_u32 v20, v18, s14
	v_mul_lo_u32 v21, v22, s15
	v_mad_u64_u32 v[18:19], s[24:25], v22, s14, 0
	v_add3_u32 v19, v19, v21, v20
	v_lshl_add_u64 v[18:19], v[18:19], 2, s[20:21]
	global_load_dword v38, v[18:19], off
	v_add_u32_e32 v18, 1, v22
	v_ashrrev_i32_e32 v19, 31, v18
	v_mul_lo_u32 v20, v19, s14
	v_mul_lo_u32 v21, v18, s15
	v_mad_u64_u32 v[18:19], s[24:25], v18, s14, 0
	v_add3_u32 v19, v19, v21, v20
	v_add_u32_e32 v20, 2, v22
	v_ashrrev_i32_e32 v21, 31, v20
	v_mul_lo_u32 v23, v21, s14
	v_mul_lo_u32 v24, v20, s15
	v_mad_u64_u32 v[20:21], s[24:25], v20, s14, 0
	v_add_u32_e32 v22, 3, v22
	v_add3_u32 v21, v21, v24, v23
	v_ashrrev_i32_e32 v23, 31, v22
	v_mul_lo_u32 v26, v23, s14
	v_mul_lo_u32 v27, v22, s15
	v_mad_u64_u32 v[22:23], s[24:25], v22, s14, 0
	s_ashr_i32 s25, s57, 31
	s_add_u32 s24, s55, s57
	s_addc_u32 s25, s54, s25
	s_lshl_b64 s[24:25], s[24:25], 8
	v_lshl_add_u64 v[18:19], v[18:19], 2, s[20:21]
	v_lshl_add_u64 v[24:25], v[56:57], 0, s[24:25]
	v_add3_u32 v23, v23, v27, v26
	v_lshl_add_u64 v[20:21], v[20:21], 2, s[20:21]
	global_load_ushort v39, v[24:25], off
	global_load_ushort v40, v[24:25], off offset:256
	global_load_ushort v41, v[24:25], off offset:512
	;; [unrolled: 1-line block ×3, first 2 shown]
	v_lshl_add_u64 v[22:23], v[22:23], 2, s[20:21]
	global_load_dword v43, v[18:19], off
	global_load_dword v44, v[20:21], off
	;; [unrolled: 1-line block ×3, first 2 shown]
	s_load_dword s24, s[44:45], 0x0
	ds_read_b64 v[26:27], v75 offset:24576
	ds_read2st64_b64 v[22:25], v80 offset1:1
	ds_read2st64_b64 v[28:31], v80 offset0:2 offset1:3
	ds_read_b64 v[32:33], v77 offset:24576
	ds_read_b64 v[34:35], v78 offset:24576
	;; [unrolled: 1-line block ×3, first 2 shown]
	s_waitcnt lgkmcnt(0)
	v_mfma_f32_16x16x16_bf16 a[0:3], v[26:27], v[22:23], a[0:3]
	v_mov_b32_e32 v100, 0
	v_mov_b32_e32 v18, 0
	v_mov_b32_e32 v19, 0
	v_mfma_f32_16x16x16_bf16 a[0:3], v[32:33], v[24:25], a[0:3]
	v_mov_b32_e32 v20, 0
	v_mov_b32_e32 v21, 0
	v_mov_b32_e32 v22, 0
	;; [unrolled: 4-line block ×4, first 2 shown]
	s_and_b64 vcc, exec, s[0:1]
	s_waitcnt vmcnt(7)
	v_sub_f32_e32 v29, s24, v38
	v_mul_f32_e32 v29, 0x3fb8aa3b, v29
	v_exp_f32_e32 v38, v29
	v_accvgpr_read_b32 v33, a1
	v_accvgpr_read_b32 v31, a3
	;; [unrolled: 1-line block ×4, first 2 shown]
	s_waitcnt vmcnt(6)
	v_lshlrev_b32_e32 v34, 16, v39
	s_waitcnt vmcnt(5)
	v_lshlrev_b32_e32 v35, 16, v40
	;; [unrolled: 2-line block ×3, first 2 shown]
	s_waitcnt vmcnt(2)
	v_sub_f32_e32 v39, s24, v43
	s_waitcnt vmcnt(1)
	v_sub_f32_e32 v40, s24, v44
	;; [unrolled: 2-line block ×3, first 2 shown]
	v_mul_f32_e32 v29, 0x3fb8aa3b, v39
	v_mul_f32_e32 v40, 0x3fb8aa3b, v40
	;; [unrolled: 1-line block ×3, first 2 shown]
	v_exp_f32_e32 v39, v29
	v_exp_f32_e32 v40, v40
	;; [unrolled: 1-line block ×3, first 2 shown]
	v_lshlrev_b32_e32 v37, 16, v42
	v_pk_add_f32 v[32:33], v[34:35], v[32:33] neg_lo:[0,1] neg_hi:[0,1]
	v_pk_add_f32 v[30:31], v[36:37], v[30:31] neg_lo:[0,1] neg_hi:[0,1]
	v_pk_mul_f32 v[32:33], v[38:39], v[32:33]
	v_pk_mul_f32 v[30:31], v[40:41], v[30:31]
	v_mov_b32_e32 v29, 0
	v_perm_b32 v31, v31, v30, s3
	v_perm_b32 v30, v33, v32, s3
	ds_write_b64 v72, v[30:31]
	v_mov_b32_e32 v30, 0
	v_mov_b32_e32 v31, 0
	;; [unrolled: 1-line block ×4, first 2 shown]
	s_cbranch_vccnz .LBB582_14
; %bb.13:                               ;   in Loop: Header=BB582_6 Depth=1
	s_and_b32 s29, s29, 0xffff
	s_mov_b32 s31, s27
	buffer_load_dwordx4 v[30:33], v83, s[28:31], 0 offen
	buffer_load_dwordx4 v[22:25], v83, s[28:31], s60 offen
	;; [unrolled: 1-line block ×4, first 2 shown]
	v_mov_b32_e32 v99, v66
	v_mov_b32_e32 v100, v65
.LBB582_14:                             ;   in Loop: Header=BB582_6 Depth=1
	s_waitcnt lgkmcnt(0)
	s_barrier
	ds_read_b64 v[34:35], v87
	ds_read_b64 v[40:41], v88
	ds_read2st64_b64 v[36:39], v80 offset1:1
	ds_read2st64_b64 v[102:105], v80 offset0:2 offset1:3
	ds_read_b64 v[42:43], v89
	ds_read_b64 v[110:111], v90
	s_add_i32 s25, s53, s63
	s_mul_hi_i32 s29, s25, s47
	s_mul_i32 s25, s25, s47
	s_waitcnt lgkmcnt(3)
	v_mfma_f32_16x16x16_bf16 a[0:3], v[34:35], v[36:37], 0
	ds_read_b64 v[34:35], v92
	s_add_u32 s28, s25, s46
	s_addc_u32 s29, s29, s58
	v_mfma_f32_16x16x16_bf16 a[0:3], v[40:41], v[38:39], a[0:3]
	ds_read_b64 v[40:41], v93
	s_lshl_b64 s[28:29], s[28:29], 15
	s_mul_i32 s31, s64, s47
	s_mul_hi_i32 s25, s64, s47
	s_add_u32 s44, s31, s46
	s_addc_u32 s45, s25, s58
	s_lshl_b64 s[44:45], s[44:45], 9
	s_add_u32 s44, s36, s44
	s_waitcnt lgkmcnt(1)
	v_mfma_f32_16x16x16_bf16 a[4:7], v[34:35], v[36:37], 0
	s_addc_u32 s45, s37, s45
	s_and_b64 vcc, exec, s[0:1]
	v_mfma_f32_16x16x16_bf16 a[0:3], v[42:43], v[102:103], a[0:3]
	ds_read_b64 v[42:43], v94
	ds_read_b64 v[112:113], v95
	global_load_dwordx4 v[34:37], v91, s[44:45]
	s_waitcnt lgkmcnt(2)
	v_mfma_f32_16x16x16_bf16 a[4:7], v[40:41], v[38:39], a[4:7]
	global_load_dwordx4 v[38:41], v86, s[44:45]
	ds_read_b64 v[106:107], v81
	ds_read_b64 v[108:109], v82
	s_waitcnt lgkmcnt(3)
	v_mfma_f32_16x16x16_bf16 a[8:11], v[42:43], v[102:103], a[4:7]
	v_lshl_add_u64 v[42:43], v[54:55], 0, s[28:29]
	s_waitcnt lgkmcnt(0)
	global_store_dwordx4 v[42:43], v[106:109], off
	v_mfma_f32_16x16x16_bf16 a[4:7], v[110:111], v[104:105], a[0:3]
	s_waitcnt vmcnt(2)
	v_mov_b32_e32 v44, v37
	v_mfma_f32_16x16x16_bf16 a[0:3], v[112:113], v[104:105], a[8:11]
	v_mov_b32_e32 v43, v36
	v_mov_b32_e32 v42, v35
	s_cbranch_vccnz .LBB582_16
; %bb.15:                               ;   in Loop: Header=BB582_6 Depth=1
	v_lshrrev_b32_e32 v35, 3, v99
	v_and_b32_e32 v35, 6, v35
	v_xor_b32_e32 v36, v35, v100
	v_lshlrev_b32_e32 v36, 2, v36
	v_and_b32_e32 v37, 8, v99
	v_xor_b32_e32 v99, 0x440, v36
	v_cmp_eq_u32_e32 vcc, 0, v37
	v_perm_b32 v37, v22, v18, s61
	s_nop 0
	v_cndmask_b32_e32 v36, v99, v36, vcc
	v_lshl_or_b32 v35, v35, 10, v36
	v_perm_b32 v36, v30, v26, s61
	s_barrier
	ds_write2st64_b32 v35, v36, v37 offset1:32
	v_xor_b32_e32 v36, 8, v35
	v_perm_b32 v26, v30, v26, s62
	v_perm_b32 v18, v22, v18, s62
	v_add_u32_e32 v22, 0x80, v36
	ds_write2st64_b32 v22, v26, v18 offset1:32
	v_xor_b32_e32 v18, 16, v35
	v_perm_b32 v22, v31, v27, s61
	v_perm_b32 v26, v23, v19, s61
	ds_write2st64_b32 v18, v22, v26 offset0:1 offset1:33
	v_xor_b32_e32 v18, 24, v35
	v_perm_b32 v22, v31, v27, s62
	v_perm_b32 v19, v23, v19, s62
	v_add_u32_e32 v18, 0x80, v18
	ds_write2st64_b32 v18, v22, v19 offset0:1 offset1:33
	v_xor_b32_e32 v18, 32, v35
	v_perm_b32 v19, v32, v28, s61
	v_perm_b32 v22, v24, v20, s61
	ds_write2st64_b32 v18, v19, v22 offset0:2 offset1:34
	v_xor_b32_e32 v18, 40, v35
	v_perm_b32 v19, v32, v28, s62
	v_perm_b32 v20, v24, v20, s62
	v_add_u32_e32 v18, 0x80, v18
	ds_write2st64_b32 v18, v19, v20 offset0:2 offset1:34
	;; [unrolled: 9-line block ×3, first 2 shown]
	ds_write_b64 v98, v[14:15] offset:16384
	v_xor_b32_e32 v14, 8, v98
	ds_write_b64 v14, v[16:17] offset:16384
	ds_write_b64 v98, v[10:11] offset:24576
	;; [unrolled: 1-line block ×4, first 2 shown]
	v_xor_b32_e32 v6, 8, v97
	ds_write_b64 v6, v[8:9] offset:16384
	ds_write_b64 v97, v[2:3] offset:24576
	;; [unrolled: 1-line block ×3, first 2 shown]
.LBB582_16:                             ;   in Loop: Header=BB582_6 Depth=1
	v_mul_f32_e32 v6, s24, v96
	v_exp_f32_e32 v10, v6
	s_waitcnt vmcnt(1)
	v_mul_f32_e32 v6, 0x3fb8aa3b, v38
	v_exp_f32_e32 v12, v6
	v_mul_f32_e32 v6, 0x3fb8aa3b, v39
	v_exp_f32_e32 v13, v6
	v_mul_f32_e32 v6, 0x3fb8aa3b, v40
	v_exp_f32_e32 v14, v6
	v_mul_f32_e32 v6, 0x3fb8aa3b, v41
	v_exp_f32_e32 v15, v6
	v_accvgpr_read_b32 v2, a4
	v_accvgpr_read_b32 v3, a5
	v_pk_mul_f32 v[12:13], v[10:11], v[12:13] op_sel_hi:[0,1]
	v_pk_fma_f32 v[46:47], v[46:47], v[12:13], v[2:3]
	v_pk_mul_f32 v[2:3], v[10:11], v[14:15] op_sel_hi:[0,1]
	v_mul_f32_e32 v11, 0x3fb8aa3b, v34
	v_exp_f32_e32 v12, v11
	v_mul_f32_e32 v11, 0x3fb8aa3b, v42
	v_exp_f32_e32 v13, v11
	;; [unrolled: 2-line block ×4, first 2 shown]
	v_accvgpr_read_b32 v4, a6
	v_accvgpr_read_b32 v5, a7
	;; [unrolled: 1-line block ×5, first 2 shown]
	v_pk_fma_f32 v[52:53], v[52:53], v[2:3], v[4:5]
	v_pk_mul_f32 v[2:3], v[10:11], v[12:13] op_sel_hi:[0,1]
	v_accvgpr_read_b32 v8, a2
	v_pk_fma_f32 v[50:51], v[50:51], v[2:3], v[6:7]
	v_pk_mul_f32 v[2:3], v[10:11], v[14:15] op_sel_hi:[0,1]
	s_add_i32 s57, s57, 64
	s_cmp_eq_u32 s52, s41
	v_pk_fma_f32 v[48:49], v[48:49], v[2:3], v[8:9]
	s_cbranch_scc1 .LBB582_18
; %bb.17:                               ;   in Loop: Header=BB582_6 Depth=1
	s_mov_b32 s63, s41
	s_branch .LBB582_6
.LBB582_18:
	s_lshl_b32 s3, s52, 6
	s_sub_i32 s51, s51, s3
	s_cmp_gt_i32 s51, 0
	v_or_b32_e32 v26, s2, v61
	s_cbranch_scc1 .LBB582_20
; %bb.19:
	s_ashr_i32 s21, s46, 31
	v_or_b32_e32 v2, s2, v61
	s_cbranch_execz .LBB582_21
	s_branch .LBB582_77
.LBB582_20:
                                        ; implicit-def: $vgpr2
                                        ; implicit-def: $sgpr20_sgpr21
.LBB582_21:
	s_add_i32 s20, s3, s38
	s_ashr_i32 s3, s20, 31
	s_cmpk_lg_i32 s19, 0x80
	s_cselect_b64 s[30:31], -1, 0
	s_and_b64 vcc, exec, s[30:31]
	s_cbranch_vccz .LBB582_23
; %bb.22:
	s_mul_hi_i32 s0, s20, s18
	s_mul_i32 s1, s20, s18
	s_ashr_i32 s18, s56, 31
	s_add_u32 s44, s1, s56
	s_addc_u32 s45, s0, s18
	s_cbranch_execz .LBB582_24
	s_branch .LBB582_25
.LBB582_23:
                                        ; implicit-def: $sgpr44_sgpr45
.LBB582_24:
	s_mul_i32 s1, s56, s16
	s_mul_hi_i32 s0, s56, s16
	s_add_u32 s44, s1, s20
	s_addc_u32 s45, s0, s3
.LBB582_25:
	s_add_i32 s16, s52, s53
	s_ashr_i32 s21, s46, 31
	s_add_u32 s0, s55, s20
	s_addc_u32 s1, s54, s3
	s_mov_b32 s3, 0x7060302
	v_lshlrev_b32_e32 v6, 3, v61
	s_lshl_b64 s[28:29], s[0:1], 8
	v_perm_b32 v3, v53, v52, s3
	v_perm_b32 v2, v47, v46, s3
	;; [unrolled: 1-line block ×4, first 2 shown]
	v_lshlrev_b32_e32 v36, 2, v61
	v_lshl_or_b32 v6, v1, 5, v6
	s_add_u32 s0, s6, s28
	ds_write2st64_b64 v6, v[2:3], v[4:5] offset0:72 offset1:76
	v_xor_b32_e32 v6, v1, v36
	v_lshlrev_b32_e32 v7, 8, v61
	s_addc_u32 s1, s7, s29
	v_lshl_or_b32 v6, v6, 1, v7
	s_mul_hi_i32 s3, s16, s17
	s_mul_i32 s16, s16, s17
	ds_write_b64 v6, v[2:3] offset:32768
	v_xor_b32_e32 v2, v64, v36
	s_add_u32 s6, s16, s46
	v_lshl_or_b32 v2, v2, 1, v7
	s_addc_u32 s7, s3, s21
	v_lshlrev_b32_e32 v3, 1, v61
	ds_write_b64 v2, v[4:5] offset:32768
	v_lshrrev_b32_e32 v2, 4, v0
	s_ashr_i32 s3, s2, 31
	s_lshl_b64 s[6:7], s[6:7], 15
	v_or_b32_e32 v4, 1, v3
	s_add_u32 s6, s42, s6
	v_xor_b32_e32 v3, v2, v3
	v_xor_b32_e32 v4, v4, v2
	v_lshlrev_b32_e32 v6, 8, v2
	s_addc_u32 s7, s43, s7
	s_lshl_b64 s[2:3], s[2:3], 8
	v_lshl_or_b32 v2, v3, 3, v6
	v_lshl_or_b32 v4, v4, 3, v6
	s_waitcnt lgkmcnt(0)
	s_barrier
	s_add_u32 s2, s6, s2
	ds_read_b64 v[2:3], v2 offset:32768
	ds_read_b64 v[4:5], v4 offset:32768
	s_addc_u32 s3, s7, s3
	v_mov_b32_e32 v7, 0
	s_cmp_lg_u32 s51, 64
	v_lshl_add_u64 v[8:9], s[2:3], 0, v[6:7]
	v_lshlrev_b32_e32 v6, 4, v61
	s_cselect_b64 s[6:7], -1, 0
	v_lshl_or_b32 v27, v45, 3, v63
	s_mov_b32 s24, 0
	v_lshl_add_u64 v[6:7], v[8:9], 0, v[6:7]
	v_or_b32_e32 v19, 32, v27
	v_and_b32_e32 v18, 56, v62
	s_and_b64 vcc, exec, s[6:7]
	s_waitcnt lgkmcnt(0)
	global_store_dwordx4 v[6:7], v[2:5], off
	s_cbranch_vccz .LBB582_31
; %bb.26:
	s_mov_b32 s25, s24
	s_mov_b32 s26, s24
	;; [unrolled: 1-line block ×3, first 2 shown]
	v_mov_b64_e32 v[6:7], s[24:25]
	v_mov_b64_e32 v[8:9], s[26:27]
	;; [unrolled: 1-line block ×3, first 2 shown]
	v_cmp_gt_i32_e32 vcc, s51, v27
	v_mov_b64_e32 v[4:5], v[8:9]
	s_and_saveexec_b64 s[2:3], vcc
	s_cbranch_execz .LBB582_28
; %bb.27:
	v_lshlrev_b32_e32 v2, 8, v27
	v_mov_b32_e32 v3, 0
	v_lshl_add_u64 v[4:5], s[0:1], 0, v[2:3]
	v_lshlrev_b32_e32 v2, 1, v18
	v_lshl_add_u64 v[10:11], v[4:5], 0, v[2:3]
	global_load_dwordx4 v[6:9], v[10:11], off
	global_load_dwordx4 v[2:5], v[10:11], off offset:128
.LBB582_28:
	s_or_b64 exec, exec, s[2:3]
	s_mov_b32 s25, s24
	s_mov_b32 s26, s24
	;; [unrolled: 1-line block ×3, first 2 shown]
	v_mov_b64_e32 v[14:15], s[24:25]
	v_mov_b64_e32 v[16:17], s[26:27]
	;; [unrolled: 1-line block ×3, first 2 shown]
	v_cmp_gt_i32_e32 vcc, s51, v19
	v_lshlrev_b32_e32 v20, 7, v19
	v_mov_b64_e32 v[12:13], v[16:17]
	s_and_saveexec_b64 s[2:3], vcc
	s_cbranch_execz .LBB582_30
; %bb.29:
	v_lshlrev_b32_e32 v10, 1, v20
	v_mov_b32_e32 v11, 0
	v_lshl_add_u64 v[12:13], s[0:1], 0, v[10:11]
	v_lshlrev_b32_e32 v10, 1, v18
	v_lshl_add_u64 v[22:23], v[12:13], 0, v[10:11]
	global_load_dwordx4 v[14:17], v[22:23], off
	global_load_dwordx4 v[10:13], v[22:23], off offset:128
.LBB582_30:
	s_or_b64 exec, exec, s[2:3]
	v_lshrrev_b32_e32 v21, 3, v18
	v_lshlrev_b32_e32 v22, 3, v27
	v_or_b32_e32 v21, v22, v21
	v_lshlrev_b32_e32 v21, 4, v21
	v_and_b32_e32 v22, 0x78, v22
	v_xor_b32_e32 v21, v21, v22
	s_branch .LBB582_33
.LBB582_31:
                                        ; implicit-def: $vgpr21
                                        ; implicit-def: $vgpr20
                                        ; implicit-def: $vgpr6_vgpr7_vgpr8_vgpr9
                                        ; implicit-def: $vgpr2_vgpr3_vgpr4_vgpr5
                                        ; implicit-def: $vgpr14_vgpr15_vgpr16_vgpr17
                                        ; implicit-def: $vgpr10_vgpr11_vgpr12_vgpr13
	s_cbranch_execz .LBB582_33
; %bb.32:
	s_waitcnt vmcnt(0)
	v_lshlrev_b32_e32 v2, 1, v18
	v_lshl_or_b32 v20, v27, 8, v2
	s_and_b32 s1, s1, 0xffff
	s_mov_b32 s3, 0x20000
	s_movk_i32 s2, 0x4000
	v_lshl_or_b32 v21, v19, 8, v2
	s_movk_i32 s16, 0x80
	buffer_load_dwordx4 v[6:9], v20, s[0:3], 0 offen
	buffer_load_dwordx4 v[2:5], v20, s[0:3], s16 offen
	;; [unrolled: 1-line block ×4, first 2 shown]
	v_lshrrev_b32_e32 v20, 3, v18
	v_lshlrev_b32_e32 v21, 3, v27
	v_or_b32_e32 v20, v21, v20
	v_lshlrev_b32_e32 v20, 4, v20
	v_and_b32_e32 v21, 0x78, v21
	v_xor_b32_e32 v21, v20, v21
	v_lshlrev_b32_e32 v20, 7, v19
.LBB582_33:
	s_lshl_b64 s[0:1], s[44:45], 8
	s_add_u32 s4, s4, s0
	s_movk_i32 s0, 0x1000
	v_and_or_b32 v19, v20, s0, v21
	s_waitcnt vmcnt(1)
	ds_write_b64 v21, v[6:7] offset:16384
	v_xor_b32_e32 v6, 8, v21
	s_addc_u32 s5, s5, s1
	ds_write_b64 v6, v[8:9] offset:16384
	s_waitcnt vmcnt(0)
	ds_write_b64 v21, v[2:3] offset:24576
	ds_write_b64 v6, v[4:5] offset:24576
	ds_write_b64 v19, v[14:15] offset:16384
	v_xor_b32_e32 v2, 8, v19
	s_add_i32 s18, s39, -1
	ds_write_b64 v2, v[16:17] offset:16384
	ds_write_b64 v19, v[10:11] offset:24576
	;; [unrolled: 1-line block ×3, first 2 shown]
	s_mul_i32 s3, s18, s15
	s_mul_hi_u32 s16, s18, s14
	v_or_b32_e32 v2, v58, v61
	s_add_i32 s3, s16, s3
	v_lshlrev_b32_e32 v2, 3, v2
	v_lshrrev_b32_e32 v4, 5, v59
	s_movk_i32 s16, 0xf8
	v_and_or_b32 v4, v2, s16, v4
	v_lshlrev_b32_e32 v37, 11, v45
	v_lshlrev_b32_e32 v12, 4, v4
	v_and_b32_e32 v13, 0x78, v2
	v_and_b32_e32 v14, 0x1000, v37
	v_lshlrev_b32_e32 v3, 2, v0
	v_xor_b32_e32 v2, v12, v13
	v_lshrrev_b32_e32 v4, 1, v59
	v_and_b32_e32 v3, 60, v3
	v_or_b32_e32 v2, v2, v14
	v_and_b32_e32 v15, 8, v4
	v_xor_b32_e32 v28, v2, v15
	v_lshl_or_b32 v2, v60, 6, v3
	v_lshlrev_b32_e32 v38, 1, v2
	v_or_b32_e32 v2, 32, v12
	v_xor_b32_e32 v2, v2, v13
	s_waitcnt lgkmcnt(0)
	s_barrier
	ds_read_b64 v[10:11], v28 offset:16384
	v_or_b32_e32 v2, v2, v14
	v_xor_b32_e32 v29, v2, v15
	v_or_b32_e32 v2, 64, v12
	v_xor_b32_e32 v2, v2, v13
	v_or_b32_e32 v2, v2, v14
	v_or_b32_e32 v12, 0x60, v12
	v_xor_b32_e32 v30, v2, v15
	ds_read2st64_b64 v[2:5], v38 offset0:72 offset1:73
	ds_read2st64_b64 v[6:9], v38 offset0:74 offset1:75
	v_xor_b32_e32 v16, v12, v13
	ds_read_b64 v[12:13], v29 offset:16384
	s_waitcnt lgkmcnt(2)
	v_mfma_f32_16x16x16_bf16 a[0:3], v[10:11], v[2:3], 0
	s_add_i32 s0, s49, s48
	s_add_i32 s41, s0, s50
	s_mul_i32 s0, s46, s23
	s_mul_hi_u32 s1, s46, s22
	s_ashr_i32 s2, s18, 31
	s_add_i32 s0, s1, s0
	s_mul_i32 s1, s21, s22
	s_mul_i32 s2, s2, s14
	v_or_b32_e32 v14, v16, v14
	s_add_i32 s1, s0, s1
	s_mul_i32 s0, s46, s22
	s_add_i32 s3, s3, s2
	s_lshl_b64 s[22:23], s[40:41], 2
	v_xor_b32_e32 v39, v14, v15
	ds_read_b64 v[14:15], v30 offset:16384
	ds_read_b64 v[16:17], v39 offset:16384
	s_waitcnt lgkmcnt(2)
	v_mfma_f32_16x16x16_bf16 a[0:3], v[12:13], v[4:5], a[0:3]
	s_add_u32 s10, s10, s22
	s_addc_u32 s11, s11, s23
	s_lshl_b64 s[0:1], s[0:1], 2
	s_mul_i32 s2, s18, s14
	s_add_u32 s10, s10, s0
	s_addc_u32 s11, s11, s1
	s_lshl_b64 s[0:1], s[2:3], 2
	s_waitcnt lgkmcnt(1)
	v_mfma_f32_16x16x16_bf16 a[0:3], v[14:15], v[6:7], a[0:3]
	s_add_u32 s0, s10, s0
	s_addc_u32 s1, s11, s1
	s_load_dword s16, s[0:1], 0x0
	s_waitcnt lgkmcnt(0)
	v_mfma_f32_16x16x16_bf16 a[0:3], v[16:17], v[8:9], a[0:3]
	s_and_b64 vcc, exec, s[30:31]
	s_cbranch_vccz .LBB582_44
; %bb.34:
	v_lshlrev_b32_e32 v19, 1, v27
	s_and_b64 vcc, exec, s[6:7]
	s_cbranch_vccz .LBB582_45
; %bb.35:
	v_cmp_gt_i32_e32 vcc, s51, v19
	v_mov_b32_e32 v6, 0
	v_mov_b32_e32 v2, 0
	v_mov_b32_e32 v3, 0
	v_mov_b32_e32 v4, 0
	v_mov_b32_e32 v5, 0
	s_and_saveexec_b64 s[0:1], vcc
	s_cbranch_execz .LBB582_37
; %bb.36:
	v_mad_i64_i32 v[2:3], s[2:3], s19, v19, 0
	v_lshl_add_u64 v[2:3], v[2:3], 1, s[4:5]
	v_lshlrev_b32_e32 v4, 1, v18
	v_mov_b32_e32 v5, 0
	v_lshl_add_u64 v[2:3], v[2:3], 0, v[4:5]
	global_load_dwordx4 v[2:5], v[2:3], off
.LBB582_37:
	s_or_b64 exec, exec, s[0:1]
	v_or_b32_e32 v20, 1, v19
	v_cmp_gt_i32_e64 s[0:1], s51, v20
	v_mov_b32_e32 v7, 0
	v_mov_b32_e32 v8, 0
	;; [unrolled: 1-line block ×3, first 2 shown]
	s_and_saveexec_b64 s[2:3], s[0:1]
	s_cbranch_execz .LBB582_39
; %bb.38:
	v_mad_i64_i32 v[6:7], s[22:23], s19, v20, 0
	v_lshl_add_u64 v[6:7], v[6:7], 1, s[4:5]
	v_lshlrev_b32_e32 v8, 1, v18
	v_mov_b32_e32 v9, 0
	v_lshl_add_u64 v[6:7], v[6:7], 0, v[8:9]
	global_load_dwordx4 v[6:9], v[6:7], off
.LBB582_39:
	s_or_b64 exec, exec, s[2:3]
	v_mov_b32_e32 v17, 0
	v_mov_b32_e32 v10, 0
	;; [unrolled: 1-line block ×5, first 2 shown]
	s_and_saveexec_b64 s[2:3], vcc
	s_cbranch_execz .LBB582_41
; %bb.40:
	v_mad_i64_i32 v[10:11], s[22:23], s19, v19, 0
	v_lshl_add_u64 v[10:11], v[10:11], 1, s[4:5]
	v_lshlrev_b32_e32 v12, 1, v18
	v_mov_b32_e32 v13, 0
	v_lshl_add_u64 v[10:11], v[10:11], 0, v[12:13]
	global_load_dwordx4 v[10:13], v[10:11], off offset:128
.LBB582_41:
	s_or_b64 exec, exec, s[2:3]
	v_mov_b32_e32 v16, 0
	v_mov_b32_e32 v15, 0
	;; [unrolled: 1-line block ×3, first 2 shown]
	s_and_saveexec_b64 s[2:3], s[0:1]
	s_cbranch_execz .LBB582_43
; %bb.42:
	v_mad_i64_i32 v[14:15], s[0:1], s19, v20, 0
	v_lshl_add_u64 v[14:15], v[14:15], 1, s[4:5]
	v_lshlrev_b32_e32 v16, 1, v18
	v_mov_b32_e32 v17, 0
	v_lshl_add_u64 v[14:15], v[14:15], 0, v[16:17]
	global_load_dwordx4 v[14:17], v[14:15], off offset:128
.LBB582_43:
	s_or_b64 exec, exec, s[2:3]
	s_branch .LBB582_47
.LBB582_44:
                                        ; implicit-def: $vgpr5
                                        ; implicit-def: $vgpr9
                                        ; implicit-def: $vgpr13
                                        ; implicit-def: $vgpr17
	v_lshrrev_b32_e32 v19, 2, v59
	s_branch .LBB582_48
.LBB582_45:
                                        ; implicit-def: $vgpr5
                                        ; implicit-def: $vgpr9
                                        ; implicit-def: $vgpr13
                                        ; implicit-def: $vgpr17
	s_cbranch_execz .LBB582_47
; %bb.46:
	s_waitcnt vmcnt(0)
	v_mad_u64_u32 v[2:3], s[0:1], v19, s19, v[18:19]
	v_lshlrev_b32_e32 v19, 1, v2
	s_lshl_b32 s2, s19, 7
	s_and_b32 s1, s5, 0xffff
	s_mov_b32 s3, 0x20000
	s_mov_b32 s0, s4
	v_add_lshl_u32 v20, v2, s19, 1
	s_movk_i32 s19, 0x80
	buffer_load_dwordx4 v[2:5], v19, s[0:3], 0 offen
	buffer_load_dwordx4 v[10:13], v19, s[0:3], s19 offen
	;; [unrolled: 1-line block ×4, first 2 shown]
.LBB582_47:
	v_lshrrev_b32_e32 v19, 2, v59
	s_cbranch_execnz .LBB582_60
.LBB582_48:
	s_and_b64 vcc, exec, s[6:7]
	s_cbranch_vccz .LBB582_58
; %bb.49:
	s_waitcnt vmcnt(0)
	v_lshlrev_b32_e32 v7, 1, v27
	v_cmp_gt_i32_e32 vcc, s51, v7
	v_mov_b32_e32 v6, 0
	v_lshlrev_b32_e32 v14, 9, v27
	v_mov_b32_e32 v2, 0
	v_mov_b32_e32 v3, 0
	;; [unrolled: 1-line block ×4, first 2 shown]
	s_and_saveexec_b64 s[0:1], vcc
	s_cbranch_execz .LBB582_51
; %bb.50:
	v_mov_b32_e32 v15, 0
	v_lshl_add_u64 v[2:3], s[4:5], 0, v[14:15]
	v_lshlrev_b32_e32 v4, 1, v18
	v_mov_b32_e32 v5, v15
	v_lshl_add_u64 v[2:3], v[2:3], 0, v[4:5]
	global_load_dwordx4 v[2:5], v[2:3], off
.LBB582_51:
	s_or_b64 exec, exec, s[0:1]
	v_or_b32_e32 v7, 1, v7
	v_cmp_gt_i32_e64 s[0:1], s51, v7
	v_lshlrev_b32_e32 v20, 8, v7
	v_mov_b32_e32 v7, 0
	v_mov_b32_e32 v8, 0
	;; [unrolled: 1-line block ×3, first 2 shown]
	s_and_saveexec_b64 s[2:3], s[0:1]
	s_cbranch_execz .LBB582_53
; %bb.52:
	v_mov_b32_e32 v21, 0
	v_lshl_add_u64 v[6:7], s[4:5], 0, v[20:21]
	v_lshlrev_b32_e32 v8, 1, v18
	v_mov_b32_e32 v9, v21
	v_lshl_add_u64 v[6:7], v[6:7], 0, v[8:9]
	global_load_dwordx4 v[6:9], v[6:7], off
.LBB582_53:
	s_or_b64 exec, exec, s[2:3]
	v_mov_b32_e32 v17, 0
	v_mov_b32_e32 v10, 0
	;; [unrolled: 1-line block ×5, first 2 shown]
	s_and_saveexec_b64 s[2:3], vcc
	s_cbranch_execz .LBB582_55
; %bb.54:
	v_mov_b32_e32 v15, 0
	v_lshl_add_u64 v[10:11], s[4:5], 0, v[14:15]
	v_lshlrev_b32_e32 v14, 1, v18
	v_lshl_add_u64 v[10:11], v[10:11], 0, v[14:15]
	global_load_dwordx4 v[10:13], v[10:11], off offset:128
.LBB582_55:
	s_or_b64 exec, exec, s[2:3]
	v_mov_b32_e32 v16, 0
	v_mov_b32_e32 v15, 0
	;; [unrolled: 1-line block ×3, first 2 shown]
	s_and_saveexec_b64 s[2:3], s[0:1]
	s_cbranch_execz .LBB582_57
; %bb.56:
	v_mov_b32_e32 v21, 0
	v_lshl_add_u64 v[14:15], s[4:5], 0, v[20:21]
	v_lshlrev_b32_e32 v20, 1, v18
	v_lshl_add_u64 v[14:15], v[14:15], 0, v[20:21]
	global_load_dwordx4 v[14:17], v[14:15], off offset:128
.LBB582_57:
	s_or_b64 exec, exec, s[2:3]
	s_branch .LBB582_60
.LBB582_58:
                                        ; implicit-def: $vgpr5
                                        ; implicit-def: $vgpr9
                                        ; implicit-def: $vgpr13
                                        ; implicit-def: $vgpr17
	s_cbranch_execz .LBB582_60
; %bb.59:
	s_waitcnt vmcnt(0)
	v_lshlrev_b32_e32 v2, 1, v18
	v_lshl_or_b32 v18, v27, 9, v2
	s_and_b32 s5, s5, 0xffff
	s_mov_b32 s7, 0x20000
	s_movk_i32 s6, 0x4000
	s_movk_i32 s0, 0x80
	buffer_load_dwordx4 v[2:5], v18, s[4:7], 0 offen
	buffer_load_dwordx4 v[6:9], v18, s[4:7], 0 offen offset:256
	buffer_load_dwordx4 v[10:13], v18, s[4:7], s0 offen
	buffer_load_dwordx4 v[14:17], v18, s[4:7], s0 offen offset:256
.LBB582_60:
	v_and_b32_e32 v40, 12, v19
	ds_read2st64_b64 v[22:25], v38 offset0:76 offset1:77
	ds_read2st64_b64 v[18:21], v38 offset0:78 offset1:79
	ds_read_b64 v[32:33], v28 offset:24576
	ds_read_b64 v[34:35], v29 offset:24576
	ds_read_b64 v[30:31], v30 offset:24576
	ds_read_b64 v[28:29], v39 offset:24576
	v_and_b32_e32 v39, 6, v0
	v_xor_b32_e32 v27, v27, v39
	v_lshlrev_b32_e32 v27, 2, v27
	v_and_b32_e32 v41, 1, v0
	v_xor_b32_e32 v42, 0x440, v27
	v_cmp_eq_u32_e32 vcc, 0, v41
	s_mov_b32 s0, 0x1000504
	s_waitcnt vmcnt(0)
	v_perm_b32 v41, v10, v14, s0
	v_cndmask_b32_e32 v27, v42, v27, vcc
	v_lshl_or_b32 v27, v39, 10, v27
	v_perm_b32 v39, v2, v6, s0
	ds_write2st64_b32 v27, v39, v41 offset1:32
	v_xor_b32_e32 v39, 8, v27
	s_mov_b32 s1, 0x3020706
	v_perm_b32 v2, v2, v6, s1
	v_perm_b32 v6, v10, v14, s1
	v_add_u32_e32 v10, 0x80, v39
	ds_write2st64_b32 v10, v2, v6 offset1:32
	v_xor_b32_e32 v2, 16, v27
	v_perm_b32 v6, v3, v7, s0
	v_perm_b32 v10, v11, v15, s0
	ds_write2st64_b32 v2, v6, v10 offset0:1 offset1:33
	v_xor_b32_e32 v2, 24, v27
	v_perm_b32 v3, v3, v7, s1
	v_perm_b32 v6, v11, v15, s1
	v_add_u32_e32 v2, 0x80, v2
	ds_write2st64_b32 v2, v3, v6 offset0:1 offset1:33
	v_xor_b32_e32 v2, 32, v27
	v_perm_b32 v3, v4, v8, s0
	v_perm_b32 v6, v12, v16, s0
	ds_write2st64_b32 v2, v3, v6 offset0:2 offset1:34
	v_xor_b32_e32 v2, 40, v27
	v_perm_b32 v3, v4, v8, s1
	v_perm_b32 v4, v12, v16, s1
	v_add_u32_e32 v2, 0x80, v2
	ds_write2st64_b32 v2, v3, v4 offset0:2 offset1:34
	v_xor_b32_e32 v2, 48, v27
	v_perm_b32 v3, v5, v9, s0
	v_perm_b32 v4, v13, v17, s0
	ds_write2st64_b32 v2, v3, v4 offset0:3 offset1:35
	v_xor_b32_e32 v2, 56, v27
	v_or_b32_e32 v8, v40, v58
	v_perm_b32 v3, v5, v9, s1
	v_perm_b32 v4, v13, v17, s1
	v_add_u32_e32 v2, 0x80, v2
	v_cmp_gt_i32_e32 vcc, s51, v8
	v_mov_b32_e32 v9, 0
	v_mov_b32_e32 v13, 0
	ds_write2st64_b32 v2, v3, v4 offset0:3 offset1:35
	s_and_saveexec_b64 s[0:1], vcc
	s_cbranch_execz .LBB582_62
; %bb.61:
	v_add_u32_e32 v2, s20, v8
	v_ashrrev_i32_e32 v3, 31, v2
	v_mul_lo_u32 v4, v3, s14
	v_mul_lo_u32 v5, v2, s15
	v_mad_u64_u32 v[2:3], s[2:3], v2, s14, 0
	v_add3_u32 v3, v3, v5, v4
	v_lshl_add_u64 v[2:3], v[2:3], 2, s[10:11]
	global_load_dword v2, v[2:3], off
	s_waitcnt vmcnt(0)
	v_sub_f32_e32 v2, s16, v2
	v_mul_f32_e32 v2, 0x3fb8aa3b, v2
	v_exp_f32_e32 v13, v2
.LBB582_62:
	s_or_b64 exec, exec, s[0:1]
	v_or_b32_e32 v11, 1, v8
	v_cmp_gt_i32_e64 s[0:1], s51, v11
	s_and_saveexec_b64 s[2:3], s[0:1]
	s_cbranch_execz .LBB582_64
; %bb.63:
	v_add_u32_e32 v2, s20, v11
	v_ashrrev_i32_e32 v3, 31, v2
	v_mul_lo_u32 v4, v3, s14
	v_mul_lo_u32 v5, v2, s15
	v_mad_u64_u32 v[2:3], s[4:5], v2, s14, 0
	v_add3_u32 v3, v3, v5, v4
	v_lshl_add_u64 v[2:3], v[2:3], 2, s[10:11]
	global_load_dword v2, v[2:3], off
	s_waitcnt vmcnt(0)
	v_sub_f32_e32 v2, s16, v2
	v_mul_f32_e32 v2, 0x3fb8aa3b, v2
	v_exp_f32_e32 v9, v2
.LBB582_64:
	s_or_b64 exec, exec, s[2:3]
	v_or_b32_e32 v12, 2, v8
	v_cmp_gt_i32_e64 s[2:3], s51, v12
	v_mov_b32_e32 v10, 0
	v_mov_b32_e32 v15, 0
	s_and_saveexec_b64 s[4:5], s[2:3]
	s_cbranch_execz .LBB582_66
; %bb.65:
	v_add_u32_e32 v2, s20, v12
	v_ashrrev_i32_e32 v3, 31, v2
	v_mul_lo_u32 v4, v3, s14
	v_mul_lo_u32 v5, v2, s15
	v_mad_u64_u32 v[2:3], s[6:7], v2, s14, 0
	v_add3_u32 v3, v3, v5, v4
	v_lshl_add_u64 v[2:3], v[2:3], 2, s[10:11]
	global_load_dword v2, v[2:3], off
	s_waitcnt vmcnt(0)
	v_sub_f32_e32 v2, s16, v2
	v_mul_f32_e32 v2, 0x3fb8aa3b, v2
	v_exp_f32_e32 v15, v2
.LBB582_66:
	s_or_b64 exec, exec, s[4:5]
	v_or_b32_e32 v14, 3, v8
	v_cmp_gt_i32_e64 s[4:5], s51, v14
	s_and_saveexec_b64 s[6:7], s[4:5]
	s_cbranch_execz .LBB582_68
; %bb.67:
	v_add_u32_e32 v2, s20, v14
	v_ashrrev_i32_e32 v3, 31, v2
	v_mul_lo_u32 v4, v3, s14
	v_mul_lo_u32 v5, v2, s15
	v_mad_u64_u32 v[2:3], s[14:15], v2, s14, 0
	v_add3_u32 v3, v3, v5, v4
	v_lshl_add_u64 v[2:3], v[2:3], 2, s[10:11]
	global_load_dword v2, v[2:3], off
	s_waitcnt vmcnt(0)
	v_sub_f32_e32 v2, s16, v2
	v_mul_f32_e32 v2, 0x3fb8aa3b, v2
	v_exp_f32_e32 v10, v2
.LBB582_68:
	s_or_b64 exec, exec, s[6:7]
	s_waitcnt lgkmcnt(11)
	v_mfma_f32_16x16x16_bf16 a[0:3], v[32:33], v[22:23], a[0:3]
	s_add_u32 s6, s8, s28
	v_ashrrev_i32_e32 v27, 31, v26
	s_addc_u32 s7, s9, s29
	s_waitcnt lgkmcnt(10)
	v_mfma_f32_16x16x16_bf16 a[0:3], v[34:35], v[24:25], a[0:3]
	v_mov_b32_e32 v16, 0
	v_lshl_add_u64 v[6:7], v[26:27], 1, s[6:7]
	v_mov_b32_e32 v17, 0
	s_waitcnt lgkmcnt(9)
	v_mfma_f32_16x16x16_bf16 a[0:3], v[30:31], v[18:19], a[0:3]
	s_waitcnt lgkmcnt(8)
	v_mfma_f32_16x16x16_bf16 a[0:3], v[28:29], v[20:21], a[0:3]
	s_nop 6
	v_accvgpr_read_b32 v5, a3
	v_accvgpr_read_b32 v4, a2
	;; [unrolled: 1-line block ×4, first 2 shown]
	s_and_saveexec_b64 s[6:7], vcc
	s_cbranch_execz .LBB582_70
; %bb.69:
	v_lshlrev_b32_e32 v18, 8, v8
	v_mov_b32_e32 v19, 0
	v_lshl_add_u64 v[18:19], v[6:7], 0, v[18:19]
	global_load_ushort v17, v[18:19], off
	s_waitcnt vmcnt(0)
	v_lshlrev_b32_e32 v17, 16, v17
	v_sub_f32_e32 v2, v17, v2
	v_mul_f32_e32 v2, v13, v2
	v_lshrrev_b32_e32 v17, 16, v2
.LBB582_70:
	s_or_b64 exec, exec, s[6:7]
	s_and_saveexec_b64 s[6:7], s[0:1]
	s_cbranch_execz .LBB582_72
; %bb.71:
	v_lshlrev_b32_e32 v18, 8, v11
	v_mov_b32_e32 v19, 0
	v_lshl_add_u64 v[18:19], v[6:7], 0, v[18:19]
	global_load_ushort v2, v[18:19], off
	s_waitcnt vmcnt(0)
	v_lshlrev_b32_e32 v2, 16, v2
	v_sub_f32_e32 v2, v2, v3
	v_mul_f32_e32 v2, v9, v2
	v_lshrrev_b32_e32 v16, 16, v2
.LBB582_72:
	s_or_b64 exec, exec, s[6:7]
	v_mov_b32_e32 v3, 0
	v_mov_b32_e32 v9, 0
	s_and_saveexec_b64 s[0:1], s[2:3]
	s_cbranch_execz .LBB582_74
; %bb.73:
	v_lshlrev_b32_e32 v12, 8, v12
	v_mov_b32_e32 v13, 0
	v_lshl_add_u64 v[12:13], v[6:7], 0, v[12:13]
	global_load_ushort v2, v[12:13], off
	s_waitcnt vmcnt(0)
	v_lshlrev_b32_e32 v2, 16, v2
	v_sub_f32_e32 v2, v2, v4
	v_mul_f32_e32 v2, v15, v2
	v_lshrrev_b32_e32 v9, 16, v2
.LBB582_74:
	s_or_b64 exec, exec, s[0:1]
	v_or_b32_e32 v2, 0x9800, v38
	s_and_saveexec_b64 s[0:1], s[4:5]
	s_cbranch_execz .LBB582_76
; %bb.75:
	v_lshlrev_b32_e32 v12, 8, v14
	v_mov_b32_e32 v13, 0
	v_lshl_add_u64 v[6:7], v[6:7], 0, v[12:13]
	global_load_ushort v3, v[6:7], off
	s_waitcnt vmcnt(0)
	v_lshlrev_b32_e32 v3, 16, v3
	v_sub_f32_e32 v3, v3, v5
	v_mul_f32_e32 v3, v10, v3
	v_lshrrev_b32_e32 v3, 16, v3
.LBB582_76:
	s_or_b64 exec, exec, s[0:1]
	s_mov_b32 s0, 0x5040100
	v_perm_b32 v5, v3, v9, s0
	v_lshlrev_b32_e32 v3, 1, v36
	v_perm_b32 v4, v16, v17, s0
	v_lshl_or_b32 v3, v8, 5, v3
	s_movk_i32 s2, 0xff
	ds_write_b64 v3, v[4:5] offset:38912
	v_and_b32_e32 v3, 7, v0
	v_cmp_lt_u32_e32 vcc, s2, v0
	v_and_b32_e32 v4, 8, v0
	v_lshlrev_b32_e32 v12, 3, v3
	v_lshlrev_b32_e32 v24, 7, v3
	v_cndmask_b32_e64 v3, 0, 1, vcc
	v_lshrrev_b32_e32 v0, 1, v0
	v_lshlrev_b32_e32 v14, 13, v3
	v_lshlrev_b32_e32 v3, 3, v45
	v_and_b32_e32 v0, 24, v0
	v_xor_b32_e32 v5, v3, v0
	v_or_b32_e32 v6, 0x440, v5
	v_cmp_eq_u32_e32 vcc, 0, v4
	s_mul_i32 s0, s18, s17
	s_mul_hi_i32 s1, s18, s17
	v_cndmask_b32_e32 v4, v6, v5, vcc
	v_or_b32_e32 v4, v4, v37
	v_xor_b32_e32 v25, v4, v12
	v_or_b32_e32 v4, 32, v0
	v_xor_b32_e32 v4, v3, v4
	v_or_b32_e32 v5, 0x440, v4
	v_cndmask_b32_e32 v4, v5, v4, vcc
	v_or_b32_e32 v4, v4, v37
	v_xor_b32_e32 v27, v4, v12
	v_or_b32_e32 v4, 64, v0
	v_xor_b32_e32 v4, v3, v4
	v_xor_b32_e32 v5, 0x440, v4
	v_cndmask_b32_e32 v4, v5, v4, vcc
	v_or_b32_e32 v0, 0x60, v0
	s_add_u32 s0, s0, s46
	v_add3_u32 v15, v14, v25, v24
	v_or_b32_e32 v4, v4, v37
	v_xor_b32_e32 v0, v3, v0
	s_waitcnt lgkmcnt(0)
	s_barrier
	s_addc_u32 s1, s1, s21
	v_lshlrev_b32_e32 v13, 2, v8
	v_xor_b32_e32 v28, v4, v12
	ds_read2st64_b64 v[4:7], v2 offset1:1
	ds_read2st64_b64 v[8:11], v2 offset0:2 offset1:3
	ds_read_b64 v[2:3], v15
	v_xor_b32_e32 v15, 0x440, v0
	s_lshl_b64 s[0:1], s[0:1], 9
	v_cndmask_b32_e32 v0, v15, v0, vcc
	s_add_u32 s0, s36, s0
	v_or_b32_e32 v0, v0, v37
	s_addc_u32 s1, s37, s1
	v_add3_u32 v16, v14, v27, v24
	v_xor_b32_e32 v29, v0, v12
	v_add3_u32 v18, v14, v28, v24
	v_add3_u32 v0, v14, v29, v24
	ds_read_b64 v[16:17], v16
	ds_read_b64 v[20:21], v18
	;; [unrolled: 1-line block ×3, first 2 shown]
	global_load_dwordx4 v[12:15], v13, s[0:1]
	s_waitcnt lgkmcnt(3)
	v_mfma_f32_16x16x16_bf16 a[0:3], v[2:3], v[4:5], 0
	v_lshlrev_b32_e32 v0, 6, v45
	v_lshlrev_b32_e32 v2, 2, v40
	s_movk_i32 s2, 0x100
	v_or3_b32 v0, v0, v2, s2
	s_waitcnt lgkmcnt(2)
	v_mfma_f32_16x16x16_bf16 a[0:3], v[16:17], v[6:7], a[0:3]
	global_load_dwordx4 v[16:19], v0, s[0:1]
	v_mov_b32_e32 v0, 0x3fb8aa3b
	v_mul_f32_e32 v0, s16, v0
	s_waitcnt lgkmcnt(1)
	v_mfma_f32_16x16x16_bf16 a[0:3], v[20:21], v[8:9], a[0:3]
	v_exp_f32_e32 v0, v0
	v_add_u32_e32 v25, v25, v24
	v_add_u32_e32 v27, v27, v24
	s_waitcnt lgkmcnt(0)
	v_mfma_f32_16x16x16_bf16 a[0:3], v[22:23], v[10:11], a[0:3]
	ds_read_b64 v[22:23], v25 offset:8192
	s_waitcnt vmcnt(1)
	v_mul_f32_e32 v12, 0x3fb8aa3b, v12
	v_mul_f32_e32 v13, 0x3fb8aa3b, v13
	v_exp_f32_e32 v12, v12
	v_exp_f32_e32 v13, v13
	s_nop 0
	v_accvgpr_read_b32 v21, a1
	v_accvgpr_read_b32 v20, a0
	v_mul_f32_e32 v14, 0x3fb8aa3b, v14
	v_pk_mul_f32 v[12:13], v[0:1], v[12:13] op_sel_hi:[0,1]
	v_pk_fma_f32 v[46:47], v[46:47], v[12:13], v[20:21]
	ds_read_b64 v[12:13], v27 offset:8192
	v_mul_f32_e32 v15, 0x3fb8aa3b, v15
	v_exp_f32_e32 v14, v14
	v_exp_f32_e32 v15, v15
	v_accvgpr_read_b32 v3, a3
	v_accvgpr_read_b32 v2, a2
	s_waitcnt lgkmcnt(1)
	v_mfma_f32_16x16x16_bf16 a[0:3], v[22:23], v[4:5], 0
	v_pk_mul_f32 v[14:15], v[0:1], v[14:15] op_sel_hi:[0,1]
	v_pk_fma_f32 v[52:53], v[52:53], v[14:15], v[2:3]
	v_add_u32_e32 v2, v28, v24
	v_add_u32_e32 v3, v29, v24
	ds_read_b64 v[14:15], v2 offset:8192
	ds_read_b64 v[20:21], v3 offset:8192
	s_waitcnt lgkmcnt(2)
	v_mfma_f32_16x16x16_bf16 a[0:3], v[12:13], v[6:7], a[0:3]
	s_waitcnt vmcnt(0)
	v_mov_b32_e32 v2, v17
	v_mov_b32_e32 v3, v18
	;; [unrolled: 1-line block ×3, first 2 shown]
	s_waitcnt lgkmcnt(1)
	v_mfma_f32_16x16x16_bf16 a[0:3], v[14:15], v[8:9], a[0:3]
	v_mul_f32_e32 v2, 0x3fb8aa3b, v2
	v_mul_f32_e32 v5, 0x3fb8aa3b, v16
	v_exp_f32_e32 v17, v2
	v_mul_f32_e32 v2, 0x3fb8aa3b, v3
	v_mul_f32_e32 v3, 0x3fb8aa3b, v4
	s_waitcnt lgkmcnt(0)
	v_mfma_f32_16x16x16_bf16 a[0:3], v[20:21], v[10:11], a[0:3]
	v_exp_f32_e32 v16, v5
	v_exp_f32_e32 v2, v2
	;; [unrolled: 1-line block ×3, first 2 shown]
	v_pk_mul_f32 v[6:7], v[0:1], v[16:17] op_sel_hi:[0,1]
	v_pk_mul_f32 v[2:3], v[0:1], v[2:3] op_sel_hi:[0,1]
	s_nop 1
	v_accvgpr_read_b32 v9, a1
	v_accvgpr_read_b32 v5, a3
	;; [unrolled: 1-line block ×4, first 2 shown]
	v_pk_fma_f32 v[50:51], v[50:51], v[6:7], v[8:9]
	v_pk_fma_f32 v[48:49], v[48:49], v[2:3], v[4:5]
	v_mov_b32_e32 v2, v26
.LBB582_77:
	s_mul_i32 s0, s47, s35
	s_mul_hi_u32 s1, s47, s34
	s_add_i32 s0, s1, s0
	s_mul_i32 s1, s33, s34
	s_add_i32 s1, s0, s1
	s_mul_i32 s0, s47, s34
	s_add_u32 s0, s0, s46
	s_addc_u32 s1, s1, s21
	s_lshl_b64 s[0:1], s[0:1], 15
	s_add_u32 s0, s12, s0
	v_lshlrev_b32_e32 v2, 7, v2
	s_addc_u32 s1, s13, s1
	v_ashrrev_i32_e32 v3, 31, v2
	v_lshl_add_u64 v[2:3], v[2:3], 1, s[0:1]
	v_lshlrev_b32_e32 v0, 1, v1
	v_mov_b32_e32 v1, 0
	s_mov_b32 s0, 0x7060302
	v_lshl_add_u64 v[0:1], v[2:3], 0, v[0:1]
	v_perm_b32 v3, v53, v52, s0
	v_perm_b32 v2, v47, v46, s0
	global_store_dwordx2 v[0:1], v[2:3], off
	v_perm_b32 v3, v49, v48, s0
	v_perm_b32 v2, v51, v50, s0
	global_store_dwordx2 v[0:1], v[2:3], off offset:128
	s_endpgm
	.section	.rodata,"a",@progbits
	.p2align	6, 0x0
	.amdhsa_kernel _ZN12_GLOBAL__N_139chunk_gated_delta_rule_fwd_h_hip_kernelILi16ELb0ELb1ELb0ELb1ELb0ELb1ELb1ELb1EEEvPK12hip_bfloat16S3_S3_PKfS5_PKvPS1_S8_PvPKiSB_iiiiilll
		.amdhsa_group_segment_fixed_size 40960
		.amdhsa_private_segment_fixed_size 0
		.amdhsa_kernarg_size 136
		.amdhsa_user_sgpr_count 2
		.amdhsa_user_sgpr_dispatch_ptr 0
		.amdhsa_user_sgpr_queue_ptr 0
		.amdhsa_user_sgpr_kernarg_segment_ptr 1
		.amdhsa_user_sgpr_dispatch_id 0
		.amdhsa_user_sgpr_kernarg_preload_length 0
		.amdhsa_user_sgpr_kernarg_preload_offset 0
		.amdhsa_user_sgpr_private_segment_size 0
		.amdhsa_uses_dynamic_stack 0
		.amdhsa_enable_private_segment 0
		.amdhsa_system_sgpr_workgroup_id_x 1
		.amdhsa_system_sgpr_workgroup_id_y 1
		.amdhsa_system_sgpr_workgroup_id_z 0
		.amdhsa_system_sgpr_workgroup_info 0
		.amdhsa_system_vgpr_workitem_id 0
		.amdhsa_next_free_vgpr 128
		.amdhsa_next_free_sgpr 65
		.amdhsa_accum_offset 116
		.amdhsa_reserve_vcc 1
		.amdhsa_float_round_mode_32 0
		.amdhsa_float_round_mode_16_64 0
		.amdhsa_float_denorm_mode_32 3
		.amdhsa_float_denorm_mode_16_64 3
		.amdhsa_dx10_clamp 1
		.amdhsa_ieee_mode 1
		.amdhsa_fp16_overflow 0
		.amdhsa_tg_split 0
		.amdhsa_exception_fp_ieee_invalid_op 0
		.amdhsa_exception_fp_denorm_src 0
		.amdhsa_exception_fp_ieee_div_zero 0
		.amdhsa_exception_fp_ieee_overflow 0
		.amdhsa_exception_fp_ieee_underflow 0
		.amdhsa_exception_fp_ieee_inexact 0
		.amdhsa_exception_int_div_zero 0
	.end_amdhsa_kernel
	.section	.text._ZN12_GLOBAL__N_139chunk_gated_delta_rule_fwd_h_hip_kernelILi16ELb0ELb1ELb0ELb1ELb0ELb1ELb1ELb1EEEvPK12hip_bfloat16S3_S3_PKfS5_PKvPS1_S8_PvPKiSB_iiiiilll,"axG",@progbits,_ZN12_GLOBAL__N_139chunk_gated_delta_rule_fwd_h_hip_kernelILi16ELb0ELb1ELb0ELb1ELb0ELb1ELb1ELb1EEEvPK12hip_bfloat16S3_S3_PKfS5_PKvPS1_S8_PvPKiSB_iiiiilll,comdat
.Lfunc_end582:
	.size	_ZN12_GLOBAL__N_139chunk_gated_delta_rule_fwd_h_hip_kernelILi16ELb0ELb1ELb0ELb1ELb0ELb1ELb1ELb1EEEvPK12hip_bfloat16S3_S3_PKfS5_PKvPS1_S8_PvPKiSB_iiiiilll, .Lfunc_end582-_ZN12_GLOBAL__N_139chunk_gated_delta_rule_fwd_h_hip_kernelILi16ELb0ELb1ELb0ELb1ELb0ELb1ELb1ELb1EEEvPK12hip_bfloat16S3_S3_PKfS5_PKvPS1_S8_PvPKiSB_iiiiilll
                                        ; -- End function
	.section	.AMDGPU.csdata,"",@progbits
; Kernel info:
; codeLenInByte = 8192
; NumSgprs: 71
; NumVgprs: 114
; NumAgprs: 12
; TotalNumVgprs: 128
; ScratchSize: 0
; MemoryBound: 0
; FloatMode: 240
; IeeeMode: 1
; LDSByteSize: 40960 bytes/workgroup (compile time only)
; SGPRBlocks: 8
; VGPRBlocks: 15
; NumSGPRsForWavesPerEU: 71
; NumVGPRsForWavesPerEU: 128
; AccumOffset: 116
; Occupancy: 1
; WaveLimiterHint : 1
; COMPUTE_PGM_RSRC2:SCRATCH_EN: 0
; COMPUTE_PGM_RSRC2:USER_SGPR: 2
; COMPUTE_PGM_RSRC2:TRAP_HANDLER: 0
; COMPUTE_PGM_RSRC2:TGID_X_EN: 1
; COMPUTE_PGM_RSRC2:TGID_Y_EN: 1
; COMPUTE_PGM_RSRC2:TGID_Z_EN: 0
; COMPUTE_PGM_RSRC2:TIDIG_COMP_CNT: 0
; COMPUTE_PGM_RSRC3_GFX90A:ACCUM_OFFSET: 28
; COMPUTE_PGM_RSRC3_GFX90A:TG_SPLIT: 0
	.section	.text._ZN12_GLOBAL__N_139chunk_gated_delta_rule_fwd_h_hip_kernelILi16ELb0ELb0ELb1ELb1ELb0ELb1ELb1ELb1EEEvPK12hip_bfloat16S3_S3_PKfS5_PKvPS1_S8_PvPKiSB_iiiiilll,"axG",@progbits,_ZN12_GLOBAL__N_139chunk_gated_delta_rule_fwd_h_hip_kernelILi16ELb0ELb0ELb1ELb1ELb0ELb1ELb1ELb1EEEvPK12hip_bfloat16S3_S3_PKfS5_PKvPS1_S8_PvPKiSB_iiiiilll,comdat
	.globl	_ZN12_GLOBAL__N_139chunk_gated_delta_rule_fwd_h_hip_kernelILi16ELb0ELb0ELb1ELb1ELb0ELb1ELb1ELb1EEEvPK12hip_bfloat16S3_S3_PKfS5_PKvPS1_S8_PvPKiSB_iiiiilll ; -- Begin function _ZN12_GLOBAL__N_139chunk_gated_delta_rule_fwd_h_hip_kernelILi16ELb0ELb0ELb1ELb1ELb0ELb1ELb1ELb1EEEvPK12hip_bfloat16S3_S3_PKfS5_PKvPS1_S8_PvPKiSB_iiiiilll
	.p2align	8
	.type	_ZN12_GLOBAL__N_139chunk_gated_delta_rule_fwd_h_hip_kernelILi16ELb0ELb0ELb1ELb1ELb0ELb1ELb1ELb1EEEvPK12hip_bfloat16S3_S3_PKfS5_PKvPS1_S8_PvPKiSB_iiiiilll,@function
_ZN12_GLOBAL__N_139chunk_gated_delta_rule_fwd_h_hip_kernelILi16ELb0ELb0ELb1ELb1ELb0ELb1ELb1ELb1EEEvPK12hip_bfloat16S3_S3_PKfS5_PKvPS1_S8_PvPKiSB_iiiiilll: ; @_ZN12_GLOBAL__N_139chunk_gated_delta_rule_fwd_h_hip_kernelILi16ELb0ELb0ELb1ELb1ELb0ELb1ELb1ELb1EEEvPK12hip_bfloat16S3_S3_PKfS5_PKvPS1_S8_PvPKiSB_iiiiilll
; %bb.0:
	s_load_dwordx4 s[16:19], s[0:1], 0x5c
	s_load_dwordx4 s[20:23], s[0:1], 0x70
	s_abs_i32 s25, s3
	s_ashr_i32 s24, s3, 31
	s_load_dwordx4 s[12:15], s[0:1], 0x30
	s_load_dwordx4 s[28:31], s[0:1], 0x48
	s_waitcnt lgkmcnt(0)
	s_abs_i32 s34, s17
	v_cvt_f32_u32_e32 v1, s34
	s_sub_i32 s26, 0, s34
	s_ashr_i32 s35, s17, 31
	s_xor_b32 s24, s24, s35
	v_rcp_iflag_f32_e32 v1, v1
	s_load_dwordx8 s[4:11], s[0:1], 0x0
	v_lshrrev_b32_e32 v61, 6, v0
	v_bfe_u32 v62, v0, 4, 2
	v_mul_f32_e32 v1, 0x4f7ffffe, v1
	v_cvt_u32_f32_e32 v1, v1
	v_lshlrev_b32_e32 v45, 4, v61
	v_lshlrev_b32_e32 v2, 2, v62
	v_and_b32_e32 v60, 63, v0
	v_readfirstlane_b32 s27, v1
	s_mul_i32 s26, s26, s27
	s_mul_hi_u32 s26, s27, s26
	s_add_i32 s27, s27, s26
	s_mul_hi_u32 s26, s25, s27
	s_mul_i32 s27, s26, s34
	s_sub_i32 s25, s25, s27
	s_add_i32 s33, s26, 1
	s_sub_i32 s27, s25, s34
	s_cmp_ge_u32 s25, s34
	s_cselect_b32 s26, s33, s26
	s_cselect_b32 s25, s27, s25
	s_add_i32 s27, s26, 1
	s_cmp_ge_u32 s25, s34
	s_cselect_b32 s25, s27, s26
	s_xor_b32 s25, s25, s24
	s_sub_i32 s24, s25, s24
	s_mul_i32 s25, s24, s17
	s_sub_i32 s33, s3, s25
	s_ashr_i32 s25, s24, 31
	s_lshl_b64 s[26:27], s[24:25], 2
	s_add_u32 s28, s28, s26
	s_addc_u32 s29, s29, s27
	s_add_u32 s26, s30, s26
	s_addc_u32 s27, s31, s27
	s_abs_i32 s3, s18
	v_cvt_f32_u32_e32 v1, s3
	s_load_dwordx2 s[38:39], s[28:29], 0x0
	s_sub_i32 s29, 0, s3
	s_load_dword s48, s[26:27], 0x0
	v_rcp_iflag_f32_e32 v1, v1
	v_or_b32_e32 v66, v2, v45
	s_waitcnt lgkmcnt(0)
	s_sub_i32 s49, s39, s38
	s_ashr_i32 s28, s49, 31
	v_mul_f32_e32 v1, 0x4f7ffffe, v1
	v_cvt_u32_f32_e32 v1, v1
	s_lshr_b32 s28, s28, 26
	s_add_i32 s28, s49, s28
	s_ashr_i32 s47, s28, 6
	v_readfirstlane_b32 s30, v1
	s_mul_i32 s29, s29, s30
	s_mul_hi_u32 s29, s30, s29
	s_add_i32 s30, s30, s29
	s_mul_hi_u32 s29, s34, s30
	s_mul_i32 s30, s29, s3
	s_ashr_i32 s28, s18, 31
	s_sub_i32 s30, s34, s30
	s_xor_b32 s28, s35, s28
	s_add_i32 s31, s29, 1
	s_sub_i32 s34, s30, s3
	s_cmp_ge_u32 s30, s3
	s_cselect_b32 s29, s31, s29
	s_cselect_b32 s30, s34, s30
	s_add_i32 s31, s29, 1
	s_cmp_ge_u32 s30, s3
	s_cselect_b32 s3, s31, s29
	s_xor_b32 s3, s3, s28
	s_sub_i32 s3, s3, s28
	s_abs_i32 s28, s3
	v_cvt_f32_u32_e32 v1, s28
	s_sub_i32 s27, 0, s28
	s_abs_i32 s26, s33
	s_xor_b32 s3, s33, s3
	v_rcp_iflag_f32_e32 v1, v1
	s_ashr_i32 s3, s3, 31
	s_load_dwordx2 s[34:35], s[0:1], 0x80
	v_mov_b32_e32 v49, 0
	v_mul_f32_e32 v1, 0x4f7ffffe, v1
	v_cvt_u32_f32_e32 v1, v1
	v_or_b32_e32 v65, 64, v66
	s_mul_hi_i32 s50, s33, s16
	s_mul_i32 s51, s33, s16
	v_readfirstlane_b32 s29, v1
	s_mul_i32 s27, s27, s29
	s_mul_hi_u32 s27, s29, s27
	s_add_i32 s29, s29, s27
	s_mul_hi_u32 s27, s26, s29
	s_mul_i32 s29, s27, s28
	s_sub_i32 s26, s26, s29
	s_add_i32 s29, s27, 1
	s_sub_i32 s30, s26, s28
	s_cmp_ge_u32 s26, s28
	s_cselect_b32 s27, s29, s27
	s_cselect_b32 s26, s30, s26
	s_add_i32 s29, s27, 1
	s_cmp_ge_u32 s26, s28
	s_cselect_b32 s26, s29, s27
	s_xor_b32 s26, s26, s3
	s_sub_i32 s53, s26, s3
	s_lshl_b32 s36, s2, 4
	v_and_b32_e32 v1, 15, v0
	s_cmp_lt_i32 s49, 64
	v_lshrrev_b32_e32 v64, 3, v60
	v_lshlrev_b32_e32 v63, 3, v0
	s_mul_i32 s44, s24, s21
	s_mul_hi_u32 s45, s24, s20
	s_mul_i32 s46, s25, s20
	s_mul_i32 s20, s24, s20
	v_mov_b32_e32 v48, v49
	v_mov_b32_e32 v51, v49
	;; [unrolled: 1-line block ×7, first 2 shown]
	s_cbranch_scc1 .LBB583_18
; %bb.1:
	s_ashr_i32 s55, s33, 31
	s_ashr_i32 s3, s38, 31
	s_add_u32 s2, s51, s38
	s_addc_u32 s3, s50, s3
	s_lshl_b64 s[2:3], s[2:3], 8
	v_and_b32_e32 v68, 56, v63
	s_add_u32 s24, s6, s2
	v_lshl_or_b32 v67, v61, 3, v64
	v_lshlrev_b32_e32 v3, 1, v68
	s_addc_u32 s2, s7, s3
	v_lshl_or_b32 v69, v67, 8, v3
	s_and_b32 s25, s2, 0xffff
	s_mov_b32 s27, 0x20000
	s_movk_i32 s26, 0x4000
	s_movk_i32 s2, 0x80
	v_or_b32_e32 v70, 0x2000, v69
	buffer_load_dwordx4 v[4:7], v69, s[24:27], 0 offen
	buffer_load_dwordx4 v[8:11], v69, s[24:27], s2 offen
	;; [unrolled: 1-line block ×4, first 2 shown]
	v_lshlrev_b32_e32 v20, 3, v67
	v_and_or_b32 v22, v0, 7, v20
	v_and_b32_e32 v20, 0x78, v20
	v_lshlrev_b32_e32 v22, 4, v22
	v_xor_b32_e32 v71, v22, v20
	v_mul_lo_u32 v21, v67, s19
	v_or_b32_e32 v72, 0x1000, v71
	s_cmpk_eq_i32 s19, 0x80
	s_mov_b32 s52, s17
	s_mov_b32 s54, s38
	v_xor_b32_e32 v20, 8, v71
	v_xor_b32_e32 v22, 8, v72
	s_cselect_b64 s[2:3], -1, 0
	s_cmpk_lg_i32 s19, 0x80
	s_waitcnt vmcnt(3)
	ds_write_b64 v71, v[4:5] offset:16384
	ds_write_b64 v20, v[6:7] offset:16384
	s_waitcnt vmcnt(2)
	ds_write_b64 v71, v[8:9] offset:24576
	ds_write_b64 v20, v[10:11] offset:24576
	;; [unrolled: 3-line block ×4, first 2 shown]
	v_lshl_add_u32 v4, v21, 1, v68
	s_cbranch_scc0 .LBB583_3
; %bb.2:
	v_lshlrev_b32_e32 v6, 1, v4
	v_add_lshl_u32 v5, v4, s19, 1
	s_lshl_b32 s26, s19, 7
	s_load_dwordx2 s[40:41], s[0:1], 0x20
	v_lshl_or_b32 v3, v67, 9, v3
	s_cbranch_execz .LBB583_4
	s_branch .LBB583_5
.LBB583_3:
                                        ; implicit-def: $vgpr5
                                        ; implicit-def: $vgpr6
                                        ; implicit-def: $sgpr26
	s_load_dwordx2 s[40:41], s[0:1], 0x20
	v_lshl_or_b32 v3, v67, 9, v3
.LBB583_4:
	v_or_b32_e32 v5, 0x100, v3
	s_movk_i32 s26, 0x4000
	v_mov_b32_e32 v6, v3
.LBB583_5:
	s_mul_i32 s0, s38, s18
	s_ashr_i32 s56, s53, 31
	s_mul_hi_i32 s1, s38, s18
	s_add_u32 s0, s0, s53
	s_addc_u32 s1, s1, s56
	s_lshl_b64 s[0:1], s[0:1], 8
	s_add_u32 s24, s4, s0
	s_addc_u32 s0, s5, s1
	s_and_b32 s25, s0, 0xffff
	s_movk_i32 s57, 0x80
	buffer_load_dwordx4 v[8:11], v6, s[24:27], 0 offen
	buffer_load_dwordx4 v[12:15], v6, s[24:27], s57 offen
	;; [unrolled: 1-line block ×4, first 2 shown]
	v_and_b32_e32 v5, 6, v0
	v_lshlrev_b32_e32 v7, 2, v1
	v_lshlrev_b32_e32 v24, 3, v1
	v_xor_b32_e32 v26, v67, v5
	v_and_b32_e32 v6, 1, v0
	v_lshl_or_b32 v24, v66, 5, v24
	v_xor_b32_e32 v27, v66, v7
	v_lshlrev_b32_e32 v26, 2, v26
	s_mul_i32 s1, s33, s23
	s_mul_hi_u32 s21, s33, s22
	v_or_b32_e32 v73, 0x9000, v24
	v_or_b32_e32 v74, 0x9800, v24
	v_lshlrev_b32_e32 v24, 1, v27
	v_xor_b32_e32 v27, 0x440, v26
	v_cmp_eq_u32_e32 vcc, 0, v6
	s_add_i32 s25, s45, s44
	s_mul_i32 s24, s55, s22
	v_cndmask_b32_e32 v6, v27, v26, vcc
	s_add_i32 s1, s21, s1
	s_add_i32 s21, s25, s46
	s_mov_b32 s58, 0x1000504
	v_lshlrev_b32_e32 v25, 8, v1
	s_mov_b32 s26, 0x8000
	v_xor_b32_e32 v7, v65, v7
	v_lshl_or_b32 v5, v5, 10, v6
	s_add_i32 s1, s1, s24
	s_lshl_b64 s[24:25], s[20:21], 2
	s_mov_b32 s59, 0x3020706
	s_mul_i32 s0, s33, s22
	v_lshlrev_b32_e32 v7, 1, v7
	v_or3_b32 v75, v24, v25, s26
	v_xor_b32_e32 v6, 8, v5
	v_xor_b32_e32 v24, 24, v5
	;; [unrolled: 1-line block ×4, first 2 shown]
	s_add_u32 s21, s10, s24
	v_or3_b32 v76, v7, v25, s26
	v_xor_b32_e32 v7, 16, v5
	v_xor_b32_e32 v25, 32, v5
	;; [unrolled: 1-line block ×3, first 2 shown]
	v_add_u32_e32 v6, 0x80, v6
	v_add_u32_e32 v24, 0x80, v24
	;; [unrolled: 1-line block ×4, first 2 shown]
	s_addc_u32 s24, s11, s25
	s_lshl_b64 s[0:1], s[0:1], 2
	s_add_u32 s42, s21, s0
	s_movk_i32 s0, 0xf8
	s_addc_u32 s43, s24, s1
	s_ashr_i32 s37, s36, 31
	s_lshl_b32 s30, s19, 7
	v_mov_b32_e32 v47, 0
	s_mov_b32 s60, 0
	v_add_u32_e32 v87, v45, v2
	s_mov_b32 s21, 0x7060302
	v_mov_b32_e32 v98, 0x3fb8aa3b
	v_mov_b32_e32 v52, v47
	;; [unrolled: 1-line block ×7, first 2 shown]
	s_waitcnt vmcnt(1)
	v_perm_b32 v29, v8, v16, s58
	s_waitcnt vmcnt(0)
	v_perm_b32 v30, v12, v20, s58
	v_perm_b32 v8, v8, v16, s59
	;; [unrolled: 1-line block ×15, first 2 shown]
	ds_write2st64_b32 v5, v29, v30 offset1:32
	ds_write2st64_b32 v6, v8, v12 offset1:32
	ds_write2st64_b32 v7, v16, v20 offset0:1 offset1:33
	ds_write2st64_b32 v24, v9, v13 offset0:1 offset1:33
	;; [unrolled: 1-line block ×6, first 2 shown]
	v_or_b32_e32 v5, v45, v1
	v_lshlrev_b32_e32 v5, 3, v5
	v_lshrrev_b32_e32 v7, 5, v60
	v_and_or_b32 v7, v5, s0, v7
	v_lshlrev_b32_e32 v7, 4, v7
	v_lshrrev_b32_e32 v6, 2, v60
	v_lshlrev_b32_e32 v11, 11, v61
	v_and_b32_e32 v5, 0x78, v5
	v_or_b32_e32 v12, 32, v7
	v_and_b32_e32 v10, 12, v6
	v_and_b32_e32 v6, 0x1000, v11
	v_lshrrev_b32_e32 v9, 1, v60
	v_xor_b32_e32 v12, v12, v5
	v_and_b32_e32 v9, 8, v9
	v_or_b32_e32 v12, v12, v6
	v_xor_b32_e32 v8, v7, v5
	v_xor_b32_e32 v79, v12, v9
	v_or_b32_e32 v12, 64, v7
	v_or_b32_e32 v7, 0x60, v7
	v_xor_b32_e32 v12, v12, v5
	v_xor_b32_e32 v5, v7, v5
	v_or_b32_e32 v5, v5, v6
	v_or_b32_e32 v12, v12, v6
	v_xor_b32_e32 v81, v5, v9
	v_lshlrev_b32_e32 v5, 1, v1
	v_xor_b32_e32 v80, v12, v9
	v_lshlrev_b32_e32 v12, 1, v4
	v_add_lshl_u32 v13, v4, s19, 1
	v_lshrrev_b32_e32 v4, 4, v0
	s_lshl_b64 s[0:1], s[36:37], 8
	v_or_b32_e32 v15, 1, v5
	s_add_u32 s0, s12, s0
	v_xor_b32_e32 v5, v4, v5
	v_xor_b32_e32 v15, v15, v4
	s_addc_u32 s1, s13, s1
	v_lshlrev_b32_e32 v5, 3, v5
	v_lshlrev_b32_e32 v46, 8, v4
	v_lshlrev_b32_e32 v4, 3, v15
	v_lshrrev_b32_e32 v19, 1, v0
	v_or3_b32 v83, v5, v46, s26
	v_or3_b32 v84, v4, v46, s26
	v_lshl_add_u64 v[4:5], s[0:1], 0, v[46:47]
	v_lshlrev_b32_e32 v46, 4, v1
	s_movk_i32 s0, 0xff
	v_lshlrev_b32_e32 v18, 3, v61
	v_and_b32_e32 v19, 24, v19
	v_lshl_add_u64 v[54:55], v[4:5], 0, v[46:47]
	v_and_b32_e32 v5, 8, v0
	v_cmp_lt_u32_e32 vcc, s0, v0
	v_xor_b32_e32 v20, v18, v19
	v_or_b32_e32 v21, 0x440, v20
	v_cndmask_b32_e64 v17, 0, 1, vcc
	v_cmp_eq_u32_e32 vcc, 0, v5
	v_or_b32_e32 v23, 64, v19
	v_xor_b32_e32 v23, v18, v23
	v_cndmask_b32_e32 v5, v21, v20, vcc
	v_or_b32_e32 v21, 32, v19
	v_or_b32_e32 v19, 0x60, v19
	v_xor_b32_e32 v21, v18, v21
	v_xor_b32_e32 v18, v18, v19
	v_or_b32_e32 v22, 0x440, v21
	v_xor_b32_e32 v24, 0x440, v23
	v_xor_b32_e32 v19, 0x440, v18
	v_or_b32_e32 v8, v8, v6
	v_or_b32_e32 v6, s36, v1
	v_and_b32_e32 v4, 7, v0
	v_cndmask_b32_e32 v21, v22, v21, vcc
	v_cndmask_b32_e32 v23, v24, v23, vcc
	;; [unrolled: 1-line block ×3, first 2 shown]
	v_xor_b32_e32 v77, v8, v9
	v_and_b32_e32 v8, 0x78, v63
	v_ashrrev_i32_e32 v7, 31, v6
	v_lshlrev_b32_e32 v15, 3, v4
	v_or_b32_e32 v5, v5, v11
	v_or_b32_e32 v21, v21, v11
	;; [unrolled: 1-line block ×4, first 2 shown]
	v_lshl_or_b32 v8, v62, 7, v8
	v_lshlrev_b64 v[6:7], 1, v[6:7]
	v_lshlrev_b32_e32 v17, 13, v17
	v_xor_b32_e32 v5, v5, v15
	v_xor_b32_e32 v21, v21, v15
	;; [unrolled: 1-line block ×4, first 2 shown]
	v_or_b32_e32 v78, 0x9000, v8
	v_or_b32_e32 v82, 0x9800, v8
	v_lshl_add_u64 v[8:9], s[8:9], 0, v[6:7]
	v_lshl_add_u64 v[6:7], s[14:15], 0, v[6:7]
	v_or_b32_e32 v14, 0x100, v3
	v_lshlrev_b32_e32 v16, 7, v4
	v_or_b32_e32 v4, v10, v45
	v_add_u32_e32 v20, v17, v5
	v_add_u32_e32 v22, v17, v21
	;; [unrolled: 1-line block ×4, first 2 shown]
	v_or3_b32 v10, v45, v10, 64
	v_add_u32_e32 v5, 0x2000, v5
	v_add_u32_e32 v17, 0x2000, v21
	;; [unrolled: 1-line block ×4, first 2 shown]
	v_lshlrev_b32_e32 v46, 8, v66
	v_cndmask_b32_e64 v85, v12, v3, s[2:3]
	v_cndmask_b32_e64 v86, v13, v14, s[2:3]
	v_lshl_add_u64 v[56:57], v[8:9], 0, v[46:47]
	v_lshl_add_u64 v[58:59], v[6:7], 0, v[46:47]
	s_movk_i32 s26, 0x4000
	v_lshlrev_b32_e32 v88, 2, v4
	v_add_u32_e32 v89, v20, v16
	v_add_u32_e32 v90, v22, v16
	;; [unrolled: 1-line block ×4, first 2 shown]
	v_lshlrev_b32_e32 v93, 2, v10
	v_add_u32_e32 v94, v5, v16
	v_add_u32_e32 v95, v17, v16
	;; [unrolled: 1-line block ×4, first 2 shown]
	v_mov_b32_e32 v46, v47
	s_waitcnt lgkmcnt(0)
	s_barrier
.LBB583_6:                              ; =>This Inner Loop Header: Depth=1
	s_add_i32 s37, s60, 1
	s_cmp_lt_i32 s37, s47
	s_mov_b64 s[28:29], 0
	s_cselect_b64 s[2:3], -1, 0
	s_cmp_ge_i32 s37, s47
	s_mov_b64 s[24:25], 0
	s_cbranch_scc1 .LBB583_8
; %bb.7:                                ;   in Loop: Header=BB583_6 Depth=1
	s_add_i32 s0, s54, 64
	s_ashr_i32 s1, s0, 31
	s_add_u32 s0, s51, s0
	s_addc_u32 s1, s50, s1
	s_lshl_b64 s[0:1], s[0:1], 8
	s_add_u32 s24, s6, s0
	s_addc_u32 s25, s7, s1
.LBB583_8:                              ;   in Loop: Header=BB583_6 Depth=1
	v_cndmask_b32_e64 v2, 0, 1, s[2:3]
	v_cmp_ne_u32_e64 s[0:1], 1, v2
	s_andn2_b64 vcc, exec, s[2:3]
	s_cbranch_vccnz .LBB583_10
; %bb.9:                                ;   in Loop: Header=BB583_6 Depth=1
	s_add_i32 s2, s54, 64
	s_mul_hi_i32 s3, s2, s18
	s_mul_i32 s2, s2, s18
	s_add_u32 s2, s2, s53
	s_addc_u32 s3, s3, s56
	s_lshl_b64 s[2:3], s[2:3], 8
	s_add_u32 s28, s4, s2
	s_addc_u32 s29, s5, s3
.LBB583_10:                             ;   in Loop: Header=BB583_6 Depth=1
	v_perm_b32 v3, v53, v52, s21
	v_perm_b32 v2, v47, v46, s21
	;; [unrolled: 1-line block ×4, first 2 shown]
	ds_write_b64 v73, v[2:3]
	ds_write_b64 v74, v[4:5]
	;; [unrolled: 1-line block ×4, first 2 shown]
	s_waitcnt lgkmcnt(0)
	s_barrier
	ds_read_b64 v[10:11], v77 offset:16384
	ds_read_b64 v[12:13], v79 offset:16384
	ds_read2st64_b64 v[2:5], v78 offset1:1
	s_waitcnt lgkmcnt(0)
	v_mfma_f32_16x16x16_bf16 a[0:3], v[10:11], v[2:3], 0
	ds_read2st64_b64 v[6:9], v78 offset0:2 offset1:3
	ds_read_b64 v[14:15], v80 offset:16384
	ds_read_b64 v[2:3], v81 offset:16384
	s_add_i32 s61, s54, 63
	v_mfma_f32_16x16x16_bf16 a[0:3], v[12:13], v[4:5], a[0:3]
	s_ashr_i32 s2, s61, 31
	s_mul_i32 s3, s61, s35
	s_mul_hi_u32 s31, s61, s34
	s_waitcnt lgkmcnt(1)
	v_mfma_f32_16x16x16_bf16 a[0:3], v[14:15], v[6:7], a[0:3]
	s_add_i32 s3, s31, s3
	s_mul_i32 s2, s2, s34
	s_add_i32 s3, s3, s2
	s_mul_i32 s2, s61, s34
	s_waitcnt lgkmcnt(0)
	v_mfma_f32_16x16x16_bf16 a[0:3], v[2:3], v[8:9], a[0:3]
	s_lshl_b64 s[2:3], s[2:3], 2
	s_add_u32 s2, s42, s2
	s_addc_u32 s3, s43, s3
	s_and_b64 vcc, exec, s[0:1]
	v_mov_b32_e32 v101, 0
	v_mov_b32_e32 v100, 0
	;; [unrolled: 1-line block ×19, first 2 shown]
	s_cbranch_vccnz .LBB583_12
; %bb.11:                               ;   in Loop: Header=BB583_6 Depth=1
	s_and_b32 s25, s25, 0xffff
	buffer_load_dwordx4 v[14:17], v69, s[24:27], 0 offen
	buffer_load_dwordx4 v[10:13], v69, s[24:27], s57 offen
	buffer_load_dwordx4 v[6:9], v70, s[24:27], 0 offen
	buffer_load_dwordx4 v[2:5], v70, s[24:27], s57 offen
	v_mov_b32_e32 v100, v71
	v_mov_b32_e32 v99, v72
.LBB583_12:                             ;   in Loop: Header=BB583_6 Depth=1
	v_add_u32_e32 v22, s54, v87
	v_ashrrev_i32_e32 v18, 31, v22
	v_mul_lo_u32 v20, v18, s34
	v_mul_lo_u32 v21, v22, s35
	v_mad_u64_u32 v[18:19], s[24:25], v22, s34, 0
	v_add3_u32 v19, v19, v21, v20
	v_lshl_add_u64 v[18:19], v[18:19], 2, s[42:43]
	global_load_dword v34, v[18:19], off
	v_add_u32_e32 v18, 1, v22
	v_ashrrev_i32_e32 v19, 31, v18
	v_mul_lo_u32 v20, v19, s34
	v_mul_lo_u32 v21, v18, s35
	v_mad_u64_u32 v[18:19], s[24:25], v18, s34, 0
	v_add3_u32 v19, v19, v21, v20
	v_add_u32_e32 v20, 2, v22
	v_ashrrev_i32_e32 v21, 31, v20
	v_mul_lo_u32 v23, v21, s34
	v_mul_lo_u32 v24, v20, s35
	v_mad_u64_u32 v[20:21], s[24:25], v20, s34, 0
	v_add_u32_e32 v22, 3, v22
	v_add3_u32 v21, v21, v24, v23
	v_ashrrev_i32_e32 v23, 31, v22
	v_mul_lo_u32 v26, v23, s34
	v_mul_lo_u32 v27, v22, s35
	v_mad_u64_u32 v[22:23], s[24:25], v22, s34, 0
	s_ashr_i32 s25, s54, 31
	s_add_u32 s24, s51, s54
	s_addc_u32 s25, s50, s25
	s_lshl_b64 s[24:25], s[24:25], 8
	v_lshl_add_u64 v[18:19], v[18:19], 2, s[42:43]
	v_lshl_add_u64 v[24:25], v[56:57], 0, s[24:25]
	v_add3_u32 v23, v23, v27, v26
	v_lshl_add_u64 v[20:21], v[20:21], 2, s[42:43]
	global_load_ushort v35, v[24:25], off
	global_load_ushort v36, v[24:25], off offset:256
	global_load_ushort v37, v[24:25], off offset:512
	;; [unrolled: 1-line block ×3, first 2 shown]
	v_lshl_add_u64 v[22:23], v[22:23], 2, s[42:43]
	global_load_dword v39, v[18:19], off
	global_load_dword v40, v[20:21], off
	;; [unrolled: 1-line block ×3, first 2 shown]
	ds_read_b64 v[22:23], v77 offset:24576
	ds_read_b64 v[28:29], v79 offset:24576
	ds_read2st64_b64 v[18:21], v82 offset1:1
	s_waitcnt lgkmcnt(0)
	v_mfma_f32_16x16x16_bf16 a[0:3], v[22:23], v[18:19], a[0:3]
	s_load_dword s2, s[2:3], 0x0
	ds_read2st64_b64 v[24:27], v82 offset0:2 offset1:3
	ds_read_b64 v[30:31], v80 offset:24576
	ds_read_b64 v[32:33], v81 offset:24576
	v_mov_b32_e32 v102, 0
	v_mfma_f32_16x16x16_bf16 a[0:3], v[28:29], v[20:21], a[0:3]
	v_mov_b32_e32 v18, 0
	v_mov_b32_e32 v19, 0
	;; [unrolled: 1-line block ×3, first 2 shown]
	s_waitcnt lgkmcnt(0)
	v_mfma_f32_16x16x16_bf16 a[0:3], v[30:31], v[24:25], a[0:3]
	v_lshl_add_u64 v[24:25], v[58:59], 0, s[24:25]
	v_mov_b32_e32 v21, 0
	v_mov_b32_e32 v22, 0
	v_mfma_f32_16x16x16_bf16 a[0:3], v[32:33], v[26:27], a[0:3]
	v_mov_b32_e32 v23, 0
	s_and_b64 vcc, exec, s[0:1]
	s_waitcnt vmcnt(7)
	v_sub_f32_e32 v34, s2, v34
	s_nop 2
	v_accvgpr_read_b32 v29, a1
	v_accvgpr_read_b32 v27, a3
	;; [unrolled: 1-line block ×4, first 2 shown]
	v_mul_f32_e32 v34, 0x3fb8aa3b, v34
	s_waitcnt vmcnt(6)
	v_lshlrev_b32_e32 v30, 16, v35
	s_waitcnt vmcnt(5)
	v_lshlrev_b32_e32 v31, 16, v36
	s_waitcnt vmcnt(4)
	v_lshlrev_b32_e32 v32, 16, v37
	s_waitcnt vmcnt(3)
	v_lshlrev_b32_e32 v33, 16, v38
	s_waitcnt vmcnt(2)
	v_sub_f32_e32 v35, s2, v39
	s_waitcnt vmcnt(1)
	v_sub_f32_e32 v36, s2, v40
	;; [unrolled: 2-line block ×3, first 2 shown]
	v_pk_add_f32 v[28:29], v[30:31], v[28:29] neg_lo:[0,1] neg_hi:[0,1]
	v_pk_add_f32 v[26:27], v[32:33], v[26:27] neg_lo:[0,1] neg_hi:[0,1]
	v_mul_f32_e32 v31, 0x3fb8aa3b, v35
	v_mul_f32_e32 v32, 0x3fb8aa3b, v36
	;; [unrolled: 1-line block ×3, first 2 shown]
	v_exp_f32_e32 v30, v34
	v_exp_f32_e32 v31, v31
	;; [unrolled: 1-line block ×4, first 2 shown]
	global_store_short_d16_hi v[24:25], v28, off
	global_store_short_d16_hi v[24:25], v29, off offset:256
	global_store_short_d16_hi v[24:25], v26, off offset:512
	;; [unrolled: 1-line block ×3, first 2 shown]
	v_pk_mul_f32 v[24:25], v[30:31], v[28:29]
	v_pk_mul_f32 v[26:27], v[32:33], v[26:27]
	v_perm_b32 v24, v25, v24, s21
	v_perm_b32 v25, v27, v26, s21
	ds_write_b64 v74, v[24:25]
	v_mov_b32_e32 v24, 0
	v_mov_b32_e32 v25, 0
	;; [unrolled: 1-line block ×10, first 2 shown]
	s_cbranch_vccnz .LBB583_14
; %bb.13:                               ;   in Loop: Header=BB583_6 Depth=1
	s_and_b32 s29, s29, 0xffff
	s_mov_b32 s31, s27
	buffer_load_dwordx4 v[30:33], v85, s[28:31], 0 offen
	buffer_load_dwordx4 v[22:25], v85, s[28:31], s57 offen
	;; [unrolled: 1-line block ×4, first 2 shown]
	v_mov_b32_e32 v101, v68
	v_mov_b32_e32 v102, v67
.LBB583_14:                             ;   in Loop: Header=BB583_6 Depth=1
	s_waitcnt lgkmcnt(0)
	s_barrier
	ds_read_b64 v[34:35], v89
	ds_read_b64 v[40:41], v90
	ds_read2st64_b64 v[36:39], v82 offset1:1
	ds_read2st64_b64 v[104:107], v82 offset0:2 offset1:3
	ds_read_b64 v[42:43], v91
	ds_read_b64 v[112:113], v92
	s_add_i32 s3, s48, s60
	s_mul_hi_i32 s25, s3, s52
	s_mul_i32 s3, s3, s52
	s_waitcnt lgkmcnt(3)
	v_mfma_f32_16x16x16_bf16 a[0:3], v[34:35], v[36:37], 0
	ds_read_b64 v[34:35], v94
	s_add_u32 s24, s3, s33
	s_addc_u32 s25, s25, s55
	v_mfma_f32_16x16x16_bf16 a[0:3], v[40:41], v[38:39], a[0:3]
	ds_read_b64 v[40:41], v95
	s_lshl_b64 s[24:25], s[24:25], 15
	s_mul_i32 s28, s61, s52
	s_mul_hi_i32 s3, s61, s52
	s_add_u32 s28, s28, s33
	s_addc_u32 s29, s3, s55
	s_lshl_b64 s[28:29], s[28:29], 9
	s_add_u32 s28, s40, s28
	s_waitcnt lgkmcnt(1)
	v_mfma_f32_16x16x16_bf16 a[4:7], v[34:35], v[36:37], 0
	s_addc_u32 s29, s41, s29
	s_and_b64 vcc, exec, s[0:1]
	v_mfma_f32_16x16x16_bf16 a[0:3], v[42:43], v[104:105], a[0:3]
	ds_read_b64 v[42:43], v96
	ds_read_b64 v[114:115], v97
	global_load_dwordx4 v[34:37], v93, s[28:29]
	s_waitcnt lgkmcnt(2)
	v_mfma_f32_16x16x16_bf16 a[4:7], v[40:41], v[38:39], a[4:7]
	global_load_dwordx4 v[38:41], v88, s[28:29]
	ds_read_b64 v[108:109], v83
	ds_read_b64 v[110:111], v84
	s_waitcnt lgkmcnt(3)
	v_mfma_f32_16x16x16_bf16 a[8:11], v[42:43], v[104:105], a[4:7]
	v_lshl_add_u64 v[42:43], v[54:55], 0, s[24:25]
	s_waitcnt lgkmcnt(0)
	global_store_dwordx4 v[42:43], v[108:111], off
	v_mfma_f32_16x16x16_bf16 a[4:7], v[112:113], v[106:107], a[0:3]
	s_waitcnt vmcnt(2)
	v_mov_b32_e32 v44, v37
	v_mfma_f32_16x16x16_bf16 a[0:3], v[114:115], v[106:107], a[8:11]
	v_mov_b32_e32 v43, v36
	v_mov_b32_e32 v42, v35
	s_cbranch_vccnz .LBB583_16
; %bb.15:                               ;   in Loop: Header=BB583_6 Depth=1
	v_lshrrev_b32_e32 v35, 3, v101
	v_and_b32_e32 v35, 6, v35
	v_xor_b32_e32 v36, v35, v102
	v_lshlrev_b32_e32 v36, 2, v36
	v_and_b32_e32 v37, 8, v101
	v_xor_b32_e32 v101, 0x440, v36
	v_cmp_eq_u32_e32 vcc, 0, v37
	v_perm_b32 v37, v22, v18, s58
	s_nop 0
	v_cndmask_b32_e32 v36, v101, v36, vcc
	v_lshl_or_b32 v35, v35, 10, v36
	v_perm_b32 v36, v30, v26, s58
	s_barrier
	ds_write2st64_b32 v35, v36, v37 offset1:32
	v_xor_b32_e32 v36, 8, v35
	v_perm_b32 v26, v30, v26, s59
	v_perm_b32 v18, v22, v18, s59
	v_add_u32_e32 v22, 0x80, v36
	ds_write2st64_b32 v22, v26, v18 offset1:32
	v_xor_b32_e32 v18, 16, v35
	v_perm_b32 v22, v31, v27, s58
	v_perm_b32 v26, v23, v19, s58
	ds_write2st64_b32 v18, v22, v26 offset0:1 offset1:33
	v_xor_b32_e32 v18, 24, v35
	v_perm_b32 v22, v31, v27, s59
	v_perm_b32 v19, v23, v19, s59
	v_add_u32_e32 v18, 0x80, v18
	ds_write2st64_b32 v18, v22, v19 offset0:1 offset1:33
	v_xor_b32_e32 v18, 32, v35
	v_perm_b32 v19, v32, v28, s58
	v_perm_b32 v22, v24, v20, s58
	ds_write2st64_b32 v18, v19, v22 offset0:2 offset1:34
	v_xor_b32_e32 v18, 40, v35
	v_perm_b32 v19, v32, v28, s59
	v_perm_b32 v20, v24, v20, s59
	v_add_u32_e32 v18, 0x80, v18
	ds_write2st64_b32 v18, v19, v20 offset0:2 offset1:34
	;; [unrolled: 9-line block ×3, first 2 shown]
	ds_write_b64 v100, v[14:15] offset:16384
	v_xor_b32_e32 v14, 8, v100
	ds_write_b64 v14, v[16:17] offset:16384
	ds_write_b64 v100, v[10:11] offset:24576
	;; [unrolled: 1-line block ×4, first 2 shown]
	v_xor_b32_e32 v6, 8, v99
	ds_write_b64 v6, v[8:9] offset:16384
	ds_write_b64 v99, v[2:3] offset:24576
	;; [unrolled: 1-line block ×3, first 2 shown]
.LBB583_16:                             ;   in Loop: Header=BB583_6 Depth=1
	v_mul_f32_e32 v6, s2, v98
	v_exp_f32_e32 v10, v6
	s_waitcnt vmcnt(1)
	v_mul_f32_e32 v6, 0x3fb8aa3b, v38
	v_exp_f32_e32 v12, v6
	v_mul_f32_e32 v6, 0x3fb8aa3b, v39
	v_exp_f32_e32 v13, v6
	;; [unrolled: 2-line block ×4, first 2 shown]
	v_accvgpr_read_b32 v2, a4
	v_accvgpr_read_b32 v3, a5
	v_pk_mul_f32 v[12:13], v[10:11], v[12:13] op_sel_hi:[0,1]
	v_pk_fma_f32 v[46:47], v[46:47], v[12:13], v[2:3]
	v_pk_mul_f32 v[2:3], v[10:11], v[14:15] op_sel_hi:[0,1]
	v_mul_f32_e32 v11, 0x3fb8aa3b, v34
	v_exp_f32_e32 v12, v11
	v_mul_f32_e32 v11, 0x3fb8aa3b, v42
	v_exp_f32_e32 v13, v11
	;; [unrolled: 2-line block ×4, first 2 shown]
	v_accvgpr_read_b32 v4, a6
	v_accvgpr_read_b32 v5, a7
	v_accvgpr_read_b32 v9, a3
	v_accvgpr_read_b32 v7, a1
	v_accvgpr_read_b32 v6, a0
	v_pk_fma_f32 v[52:53], v[52:53], v[2:3], v[4:5]
	v_pk_mul_f32 v[2:3], v[10:11], v[12:13] op_sel_hi:[0,1]
	v_accvgpr_read_b32 v8, a2
	v_pk_fma_f32 v[50:51], v[50:51], v[2:3], v[6:7]
	v_pk_mul_f32 v[2:3], v[10:11], v[14:15] op_sel_hi:[0,1]
	s_add_i32 s54, s54, 64
	s_cmp_eq_u32 s47, s37
	v_pk_fma_f32 v[48:49], v[48:49], v[2:3], v[8:9]
	s_cbranch_scc1 .LBB583_18
; %bb.17:                               ;   in Loop: Header=BB583_6 Depth=1
	s_mov_b32 s60, s37
	s_branch .LBB583_6
.LBB583_18:
	s_lshl_b32 s0, s47, 6
	s_sub_i32 s42, s49, s0
	s_cmp_gt_i32 s42, 0
	s_cbranch_scc0 .LBB583_75
; %bb.19:
	s_add_i32 s38, s0, s38
	s_ashr_i32 s2, s38, 31
	s_cmpk_lg_i32 s19, 0x80
	s_cselect_b64 s[30:31], -1, 0
	s_and_b64 vcc, exec, s[30:31]
	s_cbranch_vccz .LBB583_21
; %bb.20:
	s_mul_i32 s1, s38, s18
	s_ashr_i32 s3, s53, 31
	s_mul_hi_i32 s0, s38, s18
	s_add_u32 s40, s1, s53
	s_addc_u32 s41, s0, s3
	s_cbranch_execz .LBB583_22
	s_branch .LBB583_23
.LBB583_21:
                                        ; implicit-def: $sgpr40_sgpr41
.LBB583_22:
	s_mul_i32 s1, s53, s16
	s_mul_hi_i32 s0, s53, s16
	s_add_u32 s40, s1, s38
	s_addc_u32 s41, s0, s2
.LBB583_23:
	s_add_i32 s3, s47, s48
	s_ashr_i32 s16, s33, 31
	s_add_u32 s0, s51, s38
	s_addc_u32 s1, s50, s2
	s_mov_b32 s2, 0x7060302
	v_lshlrev_b32_e32 v6, 3, v1
	s_lshl_b64 s[28:29], s[0:1], 8
	v_perm_b32 v3, v53, v52, s2
	v_perm_b32 v2, v47, v46, s2
	;; [unrolled: 1-line block ×4, first 2 shown]
	v_lshlrev_b32_e32 v34, 2, v1
	v_lshl_or_b32 v6, v66, 5, v6
	s_add_u32 s0, s6, s28
	ds_write2st64_b64 v6, v[2:3], v[4:5] offset0:72 offset1:76
	v_xor_b32_e32 v6, v66, v34
	v_lshlrev_b32_e32 v7, 8, v1
	s_addc_u32 s1, s7, s29
	v_lshl_or_b32 v6, v6, 1, v7
	s_mul_hi_i32 s6, s3, s17
	s_mul_i32 s3, s3, s17
	ds_write_b64 v6, v[2:3] offset:32768
	v_xor_b32_e32 v2, v65, v34
	s_add_u32 s2, s3, s33
	v_lshl_or_b32 v2, v2, 1, v7
	s_addc_u32 s3, s6, s16
	v_lshlrev_b32_e32 v3, 1, v1
	ds_write_b64 v2, v[4:5] offset:32768
	v_lshrrev_b32_e32 v2, 4, v0
	s_ashr_i32 s37, s36, 31
	s_lshl_b64 s[2:3], s[2:3], 15
	v_or_b32_e32 v4, 1, v3
	s_add_u32 s6, s12, s2
	v_xor_b32_e32 v3, v2, v3
	v_xor_b32_e32 v4, v4, v2
	v_lshlrev_b32_e32 v6, 8, v2
	s_addc_u32 s7, s13, s3
	s_lshl_b64 s[2:3], s[36:37], 8
	v_lshl_or_b32 v2, v3, 3, v6
	v_lshl_or_b32 v4, v4, 3, v6
	s_waitcnt lgkmcnt(0)
	s_barrier
	s_add_u32 s2, s6, s2
	ds_read_b64 v[2:3], v2 offset:32768
	ds_read_b64 v[4:5], v4 offset:32768
	s_addc_u32 s3, s7, s3
	v_mov_b32_e32 v7, 0
	s_cmp_lg_u32 s42, 64
	v_lshl_add_u64 v[8:9], s[2:3], 0, v[6:7]
	v_lshlrev_b32_e32 v6, 4, v1
	s_cselect_b64 s[6:7], -1, 0
	v_lshl_or_b32 v35, v61, 3, v64
	s_mov_b32 s24, 0
	v_lshl_add_u64 v[6:7], v[8:9], 0, v[6:7]
	v_or_b32_e32 v19, 32, v35
	v_and_b32_e32 v18, 56, v63
	s_and_b64 vcc, exec, s[6:7]
	s_waitcnt lgkmcnt(0)
	global_store_dwordx4 v[6:7], v[2:5], off
	s_cbranch_vccz .LBB583_29
; %bb.24:
	s_mov_b32 s25, s24
	s_mov_b32 s26, s24
	;; [unrolled: 1-line block ×3, first 2 shown]
	v_mov_b64_e32 v[6:7], s[24:25]
	v_mov_b64_e32 v[8:9], s[26:27]
	;; [unrolled: 1-line block ×3, first 2 shown]
	v_cmp_gt_i32_e32 vcc, s42, v35
	v_mov_b64_e32 v[4:5], v[8:9]
	s_and_saveexec_b64 s[2:3], vcc
	s_cbranch_execz .LBB583_26
; %bb.25:
	v_lshlrev_b32_e32 v2, 8, v35
	v_mov_b32_e32 v3, 0
	v_lshl_add_u64 v[4:5], s[0:1], 0, v[2:3]
	v_lshlrev_b32_e32 v2, 1, v18
	v_lshl_add_u64 v[10:11], v[4:5], 0, v[2:3]
	global_load_dwordx4 v[6:9], v[10:11], off
	global_load_dwordx4 v[2:5], v[10:11], off offset:128
.LBB583_26:
	s_or_b64 exec, exec, s[2:3]
	s_mov_b32 s25, s24
	s_mov_b32 s26, s24
	;; [unrolled: 1-line block ×3, first 2 shown]
	v_mov_b64_e32 v[14:15], s[24:25]
	v_mov_b64_e32 v[16:17], s[26:27]
	;; [unrolled: 1-line block ×3, first 2 shown]
	v_cmp_gt_i32_e32 vcc, s42, v19
	v_lshlrev_b32_e32 v20, 7, v19
	v_mov_b64_e32 v[12:13], v[16:17]
	s_and_saveexec_b64 s[2:3], vcc
	s_cbranch_execz .LBB583_28
; %bb.27:
	v_lshlrev_b32_e32 v10, 1, v20
	v_mov_b32_e32 v11, 0
	v_lshl_add_u64 v[12:13], s[0:1], 0, v[10:11]
	v_lshlrev_b32_e32 v10, 1, v18
	v_lshl_add_u64 v[22:23], v[12:13], 0, v[10:11]
	global_load_dwordx4 v[14:17], v[22:23], off
	global_load_dwordx4 v[10:13], v[22:23], off offset:128
.LBB583_28:
	s_or_b64 exec, exec, s[2:3]
	v_lshrrev_b32_e32 v21, 3, v18
	v_lshlrev_b32_e32 v22, 3, v35
	v_or_b32_e32 v21, v22, v21
	v_lshlrev_b32_e32 v21, 4, v21
	v_and_b32_e32 v22, 0x78, v22
	v_xor_b32_e32 v21, v21, v22
	s_branch .LBB583_31
.LBB583_29:
                                        ; implicit-def: $vgpr21
                                        ; implicit-def: $vgpr20
                                        ; implicit-def: $vgpr6_vgpr7_vgpr8_vgpr9
                                        ; implicit-def: $vgpr2_vgpr3_vgpr4_vgpr5
                                        ; implicit-def: $vgpr14_vgpr15_vgpr16_vgpr17
                                        ; implicit-def: $vgpr10_vgpr11_vgpr12_vgpr13
	s_cbranch_execz .LBB583_31
; %bb.30:
	s_waitcnt vmcnt(0)
	v_lshlrev_b32_e32 v2, 1, v18
	v_lshl_or_b32 v20, v35, 8, v2
	s_and_b32 s1, s1, 0xffff
	s_mov_b32 s3, 0x20000
	s_movk_i32 s2, 0x4000
	v_lshl_or_b32 v21, v19, 8, v2
	s_movk_i32 s12, 0x80
	buffer_load_dwordx4 v[6:9], v20, s[0:3], 0 offen
	buffer_load_dwordx4 v[2:5], v20, s[0:3], s12 offen
	;; [unrolled: 1-line block ×4, first 2 shown]
	v_lshrrev_b32_e32 v20, 3, v18
	v_lshlrev_b32_e32 v21, 3, v35
	v_or_b32_e32 v20, v21, v20
	v_lshlrev_b32_e32 v20, 4, v20
	v_and_b32_e32 v21, 0x78, v21
	v_xor_b32_e32 v21, v20, v21
	v_lshlrev_b32_e32 v20, 7, v19
.LBB583_31:
	s_lshl_b64 s[0:1], s[40:41], 8
	s_add_u32 s4, s4, s0
	s_movk_i32 s0, 0x1000
	v_and_or_b32 v19, v20, s0, v21
	s_waitcnt vmcnt(1)
	ds_write_b64 v21, v[6:7] offset:16384
	v_xor_b32_e32 v6, 8, v21
	s_addc_u32 s5, s5, s1
	ds_write_b64 v6, v[8:9] offset:16384
	s_waitcnt vmcnt(0)
	ds_write_b64 v21, v[2:3] offset:24576
	ds_write_b64 v6, v[4:5] offset:24576
	;; [unrolled: 1-line block ×3, first 2 shown]
	v_xor_b32_e32 v2, 8, v19
	s_add_i32 s0, s45, s44
	ds_write_b64 v2, v[16:17] offset:16384
	ds_write_b64 v19, v[10:11] offset:24576
	;; [unrolled: 1-line block ×3, first 2 shown]
	s_add_i32 s21, s0, s46
	s_mul_i32 s0, s33, s23
	s_mul_hi_u32 s1, s33, s22
	v_or_b32_e32 v2, v45, v1
	s_add_i32 s0, s1, s0
	s_mul_i32 s1, s16, s22
	v_lshlrev_b32_e32 v2, 3, v2
	v_lshrrev_b32_e32 v4, 5, v60
	s_movk_i32 s16, 0xf8
	v_and_or_b32 v4, v2, s16, v4
	v_lshlrev_b32_e32 v3, 11, v61
	v_lshlrev_b32_e32 v12, 4, v4
	v_and_b32_e32 v13, 0x78, v2
	v_and_b32_e32 v14, 0x1000, v3
	v_lshlrev_b32_e32 v3, 2, v0
	v_xor_b32_e32 v2, v12, v13
	v_lshrrev_b32_e32 v4, 1, v60
	v_and_b32_e32 v3, 60, v3
	v_or_b32_e32 v2, v2, v14
	v_and_b32_e32 v15, 8, v4
	v_xor_b32_e32 v26, v2, v15
	v_lshl_or_b32 v2, v62, 6, v3
	v_lshlrev_b32_e32 v19, 1, v2
	v_or_b32_e32 v2, 32, v12
	v_xor_b32_e32 v2, v2, v13
	s_waitcnt lgkmcnt(0)
	s_barrier
	ds_read_b64 v[10:11], v26 offset:16384
	v_or_b32_e32 v2, v2, v14
	v_xor_b32_e32 v27, v2, v15
	v_or_b32_e32 v2, 64, v12
	v_xor_b32_e32 v2, v2, v13
	v_or_b32_e32 v2, v2, v14
	v_or_b32_e32 v12, 0x60, v12
	v_xor_b32_e32 v28, v2, v15
	ds_read2st64_b64 v[2:5], v19 offset0:72 offset1:73
	ds_read2st64_b64 v[6:9], v19 offset0:74 offset1:75
	v_xor_b32_e32 v16, v12, v13
	ds_read_b64 v[12:13], v27 offset:16384
	s_waitcnt lgkmcnt(2)
	v_mfma_f32_16x16x16_bf16 a[0:3], v[10:11], v[2:3], 0
	s_add_i32 s2, s39, -1
	s_ashr_i32 s3, s2, 31
	s_mul_i32 s12, s2, s35
	s_mul_hi_u32 s13, s2, s34
	s_add_i32 s12, s13, s12
	s_mul_i32 s3, s3, s34
	v_or_b32_e32 v14, v16, v14
	s_add_i32 s1, s0, s1
	s_add_i32 s3, s12, s3
	s_lshl_b64 s[12:13], s[20:21], 2
	v_xor_b32_e32 v36, v14, v15
	ds_read_b64 v[14:15], v28 offset:16384
	ds_read_b64 v[16:17], v36 offset:16384
	s_waitcnt lgkmcnt(2)
	v_mfma_f32_16x16x16_bf16 a[0:3], v[12:13], v[4:5], a[0:3]
	s_mul_i32 s0, s33, s22
	s_add_u32 s10, s10, s12
	s_addc_u32 s11, s11, s13
	s_lshl_b64 s[0:1], s[0:1], 2
	s_mul_i32 s2, s2, s34
	s_add_u32 s10, s10, s0
	s_addc_u32 s11, s11, s1
	s_lshl_b64 s[0:1], s[2:3], 2
	s_waitcnt lgkmcnt(1)
	v_mfma_f32_16x16x16_bf16 a[0:3], v[14:15], v[6:7], a[0:3]
	s_add_u32 s0, s10, s0
	s_addc_u32 s1, s11, s1
	s_load_dword s12, s[0:1], 0x0
	s_waitcnt lgkmcnt(0)
	v_mfma_f32_16x16x16_bf16 a[0:3], v[16:17], v[8:9], a[0:3]
	s_and_b64 vcc, exec, s[30:31]
	s_cbranch_vccz .LBB583_42
; %bb.32:
	v_lshlrev_b32_e32 v20, 1, v35
	s_and_b64 vcc, exec, s[6:7]
	s_cbranch_vccz .LBB583_43
; %bb.33:
	v_cmp_gt_i32_e32 vcc, s42, v20
	v_mov_b32_e32 v6, 0
	v_mov_b32_e32 v2, 0
	;; [unrolled: 1-line block ×5, first 2 shown]
	s_and_saveexec_b64 s[0:1], vcc
	s_cbranch_execz .LBB583_35
; %bb.34:
	v_mad_i64_i32 v[2:3], s[2:3], s19, v20, 0
	v_lshl_add_u64 v[2:3], v[2:3], 1, s[4:5]
	v_lshlrev_b32_e32 v4, 1, v18
	v_mov_b32_e32 v5, 0
	v_lshl_add_u64 v[2:3], v[2:3], 0, v[4:5]
	global_load_dwordx4 v[2:5], v[2:3], off
.LBB583_35:
	s_or_b64 exec, exec, s[0:1]
	v_or_b32_e32 v21, 1, v20
	v_cmp_gt_i32_e64 s[0:1], s42, v21
	v_mov_b32_e32 v7, 0
	v_mov_b32_e32 v8, 0
	;; [unrolled: 1-line block ×3, first 2 shown]
	s_and_saveexec_b64 s[2:3], s[0:1]
	s_cbranch_execz .LBB583_37
; %bb.36:
	v_mad_i64_i32 v[6:7], s[16:17], s19, v21, 0
	v_lshl_add_u64 v[6:7], v[6:7], 1, s[4:5]
	v_lshlrev_b32_e32 v8, 1, v18
	v_mov_b32_e32 v9, 0
	v_lshl_add_u64 v[6:7], v[6:7], 0, v[8:9]
	global_load_dwordx4 v[6:9], v[6:7], off
.LBB583_37:
	s_or_b64 exec, exec, s[2:3]
	v_mov_b32_e32 v17, 0
	v_mov_b32_e32 v10, 0
	;; [unrolled: 1-line block ×5, first 2 shown]
	s_and_saveexec_b64 s[2:3], vcc
	s_cbranch_execz .LBB583_39
; %bb.38:
	v_mad_i64_i32 v[10:11], s[16:17], s19, v20, 0
	v_lshl_add_u64 v[10:11], v[10:11], 1, s[4:5]
	v_lshlrev_b32_e32 v12, 1, v18
	v_mov_b32_e32 v13, 0
	v_lshl_add_u64 v[10:11], v[10:11], 0, v[12:13]
	global_load_dwordx4 v[10:13], v[10:11], off offset:128
.LBB583_39:
	s_or_b64 exec, exec, s[2:3]
	v_mov_b32_e32 v16, 0
	v_mov_b32_e32 v15, 0
	;; [unrolled: 1-line block ×3, first 2 shown]
	s_and_saveexec_b64 s[2:3], s[0:1]
	s_cbranch_execz .LBB583_41
; %bb.40:
	v_mad_i64_i32 v[14:15], s[0:1], s19, v21, 0
	v_lshl_add_u64 v[14:15], v[14:15], 1, s[4:5]
	v_lshlrev_b32_e32 v16, 1, v18
	v_mov_b32_e32 v17, 0
	v_lshl_add_u64 v[14:15], v[14:15], 0, v[16:17]
	global_load_dwordx4 v[14:17], v[14:15], off offset:128
.LBB583_41:
	s_or_b64 exec, exec, s[2:3]
	s_branch .LBB583_45
.LBB583_42:
                                        ; implicit-def: $vgpr5
                                        ; implicit-def: $vgpr9
                                        ; implicit-def: $vgpr13
                                        ; implicit-def: $vgpr17
	v_lshrrev_b32_e32 v37, 2, v60
	s_branch .LBB583_46
.LBB583_43:
                                        ; implicit-def: $vgpr5
                                        ; implicit-def: $vgpr9
                                        ; implicit-def: $vgpr13
                                        ; implicit-def: $vgpr17
	s_cbranch_execz .LBB583_45
; %bb.44:
	s_waitcnt vmcnt(0)
	v_mad_u64_u32 v[2:3], s[0:1], v20, s19, v[18:19]
	v_lshlrev_b32_e32 v20, 1, v2
	s_lshl_b32 s2, s19, 7
	s_and_b32 s1, s5, 0xffff
	s_mov_b32 s3, 0x20000
	s_mov_b32 s0, s4
	v_add_lshl_u32 v21, v2, s19, 1
	s_movk_i32 s13, 0x80
	buffer_load_dwordx4 v[2:5], v20, s[0:3], 0 offen
	buffer_load_dwordx4 v[10:13], v20, s[0:3], s13 offen
	;; [unrolled: 1-line block ×4, first 2 shown]
.LBB583_45:
	v_lshrrev_b32_e32 v37, 2, v60
	s_cbranch_execnz .LBB583_58
.LBB583_46:
	s_and_b64 vcc, exec, s[6:7]
	s_cbranch_vccz .LBB583_56
; %bb.47:
	s_waitcnt vmcnt(0)
	v_lshlrev_b32_e32 v7, 1, v35
	v_cmp_gt_i32_e32 vcc, s42, v7
	v_mov_b32_e32 v6, 0
	v_lshlrev_b32_e32 v14, 9, v35
	v_mov_b32_e32 v2, 0
	v_mov_b32_e32 v3, 0
	v_mov_b32_e32 v4, 0
	v_mov_b32_e32 v5, 0
	s_and_saveexec_b64 s[0:1], vcc
	s_cbranch_execz .LBB583_49
; %bb.48:
	v_mov_b32_e32 v15, 0
	v_lshl_add_u64 v[2:3], s[4:5], 0, v[14:15]
	v_lshlrev_b32_e32 v4, 1, v18
	v_mov_b32_e32 v5, v15
	v_lshl_add_u64 v[2:3], v[2:3], 0, v[4:5]
	global_load_dwordx4 v[2:5], v[2:3], off
.LBB583_49:
	s_or_b64 exec, exec, s[0:1]
	v_or_b32_e32 v7, 1, v7
	v_cmp_gt_i32_e64 s[0:1], s42, v7
	v_lshlrev_b32_e32 v20, 8, v7
	v_mov_b32_e32 v7, 0
	v_mov_b32_e32 v8, 0
	;; [unrolled: 1-line block ×3, first 2 shown]
	s_and_saveexec_b64 s[2:3], s[0:1]
	s_cbranch_execz .LBB583_51
; %bb.50:
	v_mov_b32_e32 v21, 0
	v_lshl_add_u64 v[6:7], s[4:5], 0, v[20:21]
	v_lshlrev_b32_e32 v8, 1, v18
	v_mov_b32_e32 v9, v21
	v_lshl_add_u64 v[6:7], v[6:7], 0, v[8:9]
	global_load_dwordx4 v[6:9], v[6:7], off
.LBB583_51:
	s_or_b64 exec, exec, s[2:3]
	v_mov_b32_e32 v17, 0
	v_mov_b32_e32 v10, 0
	;; [unrolled: 1-line block ×5, first 2 shown]
	s_and_saveexec_b64 s[2:3], vcc
	s_cbranch_execz .LBB583_53
; %bb.52:
	v_mov_b32_e32 v15, 0
	v_lshl_add_u64 v[10:11], s[4:5], 0, v[14:15]
	v_lshlrev_b32_e32 v14, 1, v18
	v_lshl_add_u64 v[10:11], v[10:11], 0, v[14:15]
	global_load_dwordx4 v[10:13], v[10:11], off offset:128
.LBB583_53:
	s_or_b64 exec, exec, s[2:3]
	v_mov_b32_e32 v16, 0
	v_mov_b32_e32 v15, 0
	;; [unrolled: 1-line block ×3, first 2 shown]
	s_and_saveexec_b64 s[2:3], s[0:1]
	s_cbranch_execz .LBB583_55
; %bb.54:
	v_mov_b32_e32 v21, 0
	v_lshl_add_u64 v[14:15], s[4:5], 0, v[20:21]
	v_lshlrev_b32_e32 v20, 1, v18
	v_lshl_add_u64 v[14:15], v[14:15], 0, v[20:21]
	global_load_dwordx4 v[14:17], v[14:15], off offset:128
.LBB583_55:
	s_or_b64 exec, exec, s[2:3]
	s_branch .LBB583_58
.LBB583_56:
                                        ; implicit-def: $vgpr5
                                        ; implicit-def: $vgpr9
                                        ; implicit-def: $vgpr13
                                        ; implicit-def: $vgpr17
	s_cbranch_execz .LBB583_58
; %bb.57:
	s_waitcnt vmcnt(0)
	v_lshlrev_b32_e32 v2, 1, v18
	v_lshl_or_b32 v18, v35, 9, v2
	s_and_b32 s5, s5, 0xffff
	s_mov_b32 s7, 0x20000
	s_movk_i32 s6, 0x4000
	s_movk_i32 s0, 0x80
	buffer_load_dwordx4 v[2:5], v18, s[4:7], 0 offen
	buffer_load_dwordx4 v[6:9], v18, s[4:7], 0 offen offset:256
	buffer_load_dwordx4 v[10:13], v18, s[4:7], s0 offen
	buffer_load_dwordx4 v[14:17], v18, s[4:7], s0 offen offset:256
.LBB583_58:
	ds_read2st64_b64 v[22:25], v19 offset0:76 offset1:77
	ds_read2st64_b64 v[18:21], v19 offset0:78 offset1:79
	ds_read_b64 v[32:33], v26 offset:24576
	ds_read_b64 v[30:31], v27 offset:24576
	;; [unrolled: 1-line block ×4, first 2 shown]
	v_and_b32_e32 v36, 6, v0
	v_xor_b32_e32 v35, v35, v36
	v_lshlrev_b32_e32 v35, 2, v35
	v_and_b32_e32 v0, 1, v0
	v_xor_b32_e32 v38, 0x440, v35
	v_cmp_eq_u32_e32 vcc, 0, v0
	s_mov_b32 s0, 0x1000504
	s_mov_b32 s1, 0x3020706
	v_cndmask_b32_e32 v0, v38, v35, vcc
	v_lshl_or_b32 v0, v36, 10, v0
	s_waitcnt vmcnt(0)
	v_perm_b32 v35, v2, v6, s0
	v_perm_b32 v36, v10, v14, s0
	ds_write2st64_b32 v0, v35, v36 offset1:32
	v_xor_b32_e32 v35, 8, v0
	v_perm_b32 v2, v2, v6, s1
	v_perm_b32 v6, v10, v14, s1
	v_add_u32_e32 v10, 0x80, v35
	ds_write2st64_b32 v10, v2, v6 offset1:32
	v_xor_b32_e32 v2, 16, v0
	v_perm_b32 v6, v3, v7, s0
	v_perm_b32 v10, v11, v15, s0
	ds_write2st64_b32 v2, v6, v10 offset0:1 offset1:33
	v_xor_b32_e32 v2, 24, v0
	v_perm_b32 v3, v3, v7, s1
	v_perm_b32 v6, v11, v15, s1
	v_add_u32_e32 v2, 0x80, v2
	ds_write2st64_b32 v2, v3, v6 offset0:1 offset1:33
	v_xor_b32_e32 v2, 32, v0
	v_perm_b32 v3, v4, v8, s0
	v_perm_b32 v6, v12, v16, s0
	ds_write2st64_b32 v2, v3, v6 offset0:2 offset1:34
	v_xor_b32_e32 v2, 40, v0
	v_perm_b32 v3, v4, v8, s1
	v_perm_b32 v4, v12, v16, s1
	v_add_u32_e32 v2, 0x80, v2
	ds_write2st64_b32 v2, v3, v4 offset0:2 offset1:34
	v_xor_b32_e32 v2, 48, v0
	v_perm_b32 v3, v5, v9, s0
	v_perm_b32 v4, v13, v17, s0
	v_xor_b32_e32 v0, 56, v0
	v_and_or_b32 v8, v37, 12, v45
	ds_write2st64_b32 v2, v3, v4 offset0:3 offset1:35
	v_perm_b32 v2, v5, v9, s1
	v_perm_b32 v3, v13, v17, s1
	v_add_u32_e32 v0, 0x80, v0
	v_cmp_gt_i32_e32 vcc, s42, v8
	v_mov_b32_e32 v9, 0
	v_mov_b32_e32 v14, 0
	ds_write2st64_b32 v0, v2, v3 offset0:3 offset1:35
	s_and_saveexec_b64 s[0:1], vcc
	s_cbranch_execz .LBB583_60
; %bb.59:
	v_add_u32_e32 v0, s38, v8
	v_ashrrev_i32_e32 v2, 31, v0
	v_mul_lo_u32 v4, v2, s34
	v_mul_lo_u32 v5, v0, s35
	v_mad_u64_u32 v[2:3], s[2:3], v0, s34, 0
	v_add3_u32 v3, v3, v5, v4
	v_lshl_add_u64 v[2:3], v[2:3], 2, s[10:11]
	global_load_dword v0, v[2:3], off
	s_waitcnt vmcnt(0)
	v_sub_f32_e32 v0, s12, v0
	v_mul_f32_e32 v0, 0x3fb8aa3b, v0
	v_exp_f32_e32 v14, v0
.LBB583_60:
	s_or_b64 exec, exec, s[0:1]
	v_or_b32_e32 v12, 1, v8
	v_cmp_gt_i32_e64 s[2:3], s42, v12
	s_and_saveexec_b64 s[0:1], s[2:3]
	s_cbranch_execz .LBB583_62
; %bb.61:
	v_add_u32_e32 v0, s38, v12
	v_ashrrev_i32_e32 v2, 31, v0
	v_mul_lo_u32 v4, v2, s34
	v_mul_lo_u32 v5, v0, s35
	v_mad_u64_u32 v[2:3], s[4:5], v0, s34, 0
	v_add3_u32 v3, v3, v5, v4
	v_lshl_add_u64 v[2:3], v[2:3], 2, s[10:11]
	global_load_dword v0, v[2:3], off
	s_waitcnt vmcnt(0)
	v_sub_f32_e32 v0, s12, v0
	v_mul_f32_e32 v0, 0x3fb8aa3b, v0
	v_exp_f32_e32 v9, v0
.LBB583_62:
	s_or_b64 exec, exec, s[0:1]
	v_or_b32_e32 v11, 2, v8
	v_cmp_gt_i32_e64 s[0:1], s42, v11
	v_mov_b32_e32 v10, 0
	v_mov_b32_e32 v15, 0
	s_and_saveexec_b64 s[4:5], s[0:1]
	s_cbranch_execz .LBB583_64
; %bb.63:
	v_add_u32_e32 v0, s38, v11
	v_ashrrev_i32_e32 v2, 31, v0
	v_mul_lo_u32 v4, v2, s34
	v_mul_lo_u32 v5, v0, s35
	v_mad_u64_u32 v[2:3], s[6:7], v0, s34, 0
	v_add3_u32 v3, v3, v5, v4
	v_lshl_add_u64 v[2:3], v[2:3], 2, s[10:11]
	global_load_dword v0, v[2:3], off
	s_waitcnt vmcnt(0)
	v_sub_f32_e32 v0, s12, v0
	v_mul_f32_e32 v0, 0x3fb8aa3b, v0
	v_exp_f32_e32 v15, v0
.LBB583_64:
	s_or_b64 exec, exec, s[4:5]
	v_or_b32_e32 v13, 3, v8
	v_cmp_gt_i32_e64 s[4:5], s42, v13
	s_and_saveexec_b64 s[6:7], s[4:5]
	s_cbranch_execz .LBB583_66
; %bb.65:
	v_add_u32_e32 v0, s38, v13
	v_ashrrev_i32_e32 v2, 31, v0
	v_mul_lo_u32 v4, v2, s34
	v_mul_lo_u32 v5, v0, s35
	v_mad_u64_u32 v[2:3], s[16:17], v0, s34, 0
	v_add3_u32 v3, v3, v5, v4
	v_lshl_add_u64 v[2:3], v[2:3], 2, s[10:11]
	global_load_dword v0, v[2:3], off
	s_waitcnt vmcnt(0)
	v_sub_f32_e32 v0, s12, v0
	v_mul_f32_e32 v0, 0x3fb8aa3b, v0
	v_exp_f32_e32 v10, v0
.LBB583_66:
	s_or_b64 exec, exec, s[6:7]
	s_waitcnt lgkmcnt(11)
	v_mfma_f32_16x16x16_bf16 a[0:3], v[32:33], v[22:23], a[0:3]
	v_or_b32_e32 v0, s36, v1
	s_add_u32 s6, s8, s28
	v_ashrrev_i32_e32 v1, 31, v0
	s_waitcnt lgkmcnt(10)
	v_mfma_f32_16x16x16_bf16 a[0:3], v[30:31], v[24:25], a[0:3]
	s_addc_u32 s7, s9, s29
	v_lshlrev_b64 v[0:1], 1, v[0:1]
	v_lshl_add_u64 v[4:5], s[6:7], 0, v[0:1]
	s_waitcnt lgkmcnt(9)
	v_mfma_f32_16x16x16_bf16 a[0:3], v[28:29], v[18:19], a[0:3]
	s_add_u32 s6, s14, s28
	s_addc_u32 s7, s15, s29
	v_lshl_add_u64 v[6:7], s[6:7], 0, v[0:1]
	s_waitcnt lgkmcnt(8)
	v_mfma_f32_16x16x16_bf16 a[0:3], v[26:27], v[20:21], a[0:3]
	v_mov_b32_e32 v16, 0
	v_mov_b32_e32 v17, 0
	s_nop 4
	v_accvgpr_read_b32 v0, a0
	v_accvgpr_read_b32 v1, a1
	;; [unrolled: 1-line block ×4, first 2 shown]
	s_and_saveexec_b64 s[6:7], vcc
	s_cbranch_execz .LBB583_68
; %bb.67:
	v_lshlrev_b32_e32 v18, 8, v8
	v_mov_b32_e32 v19, 0
	v_lshl_add_u64 v[20:21], v[4:5], 0, v[18:19]
	global_load_ushort v17, v[20:21], off
	v_lshl_add_u64 v[18:19], v[6:7], 0, v[18:19]
	s_waitcnt vmcnt(0)
	v_lshlrev_b32_e32 v17, 16, v17
	v_sub_f32_e32 v0, v17, v0
	global_store_short_d16_hi v[18:19], v0, off
	v_mul_f32_e32 v0, v14, v0
	v_lshrrev_b32_e32 v17, 16, v0
.LBB583_68:
	s_or_b64 exec, exec, s[6:7]
	s_and_saveexec_b64 s[6:7], s[2:3]
	s_cbranch_execz .LBB583_70
; %bb.69:
	v_lshlrev_b32_e32 v18, 8, v12
	v_mov_b32_e32 v19, 0
	v_lshl_add_u64 v[20:21], v[4:5], 0, v[18:19]
	global_load_ushort v0, v[20:21], off
	v_lshl_add_u64 v[18:19], v[6:7], 0, v[18:19]
	s_waitcnt vmcnt(0)
	v_lshlrev_b32_e32 v0, 16, v0
	v_sub_f32_e32 v0, v0, v1
	global_store_short_d16_hi v[18:19], v0, off
	v_mul_f32_e32 v0, v9, v0
	v_lshrrev_b32_e32 v16, 16, v0
.LBB583_70:
	s_or_b64 exec, exec, s[6:7]
	v_mov_b32_e32 v0, 0
	v_mov_b32_e32 v1, 0
	s_and_saveexec_b64 s[2:3], s[0:1]
	s_cbranch_execz .LBB583_72
; %bb.71:
	v_lshlrev_b32_e32 v18, 8, v11
	v_mov_b32_e32 v19, 0
	v_lshl_add_u64 v[20:21], v[4:5], 0, v[18:19]
	global_load_ushort v1, v[20:21], off
	v_lshl_add_u64 v[18:19], v[6:7], 0, v[18:19]
	s_waitcnt vmcnt(0)
	v_lshlrev_b32_e32 v1, 16, v1
	v_sub_f32_e32 v1, v1, v2
	global_store_short_d16_hi v[18:19], v1, off
	v_mul_f32_e32 v1, v15, v1
	v_lshrrev_b32_e32 v1, 16, v1
.LBB583_72:
	s_or_b64 exec, exec, s[2:3]
	s_and_saveexec_b64 s[0:1], s[4:5]
	s_cbranch_execz .LBB583_74
; %bb.73:
	v_lshlrev_b32_e32 v12, 8, v13
	v_mov_b32_e32 v13, 0
	v_lshl_add_u64 v[4:5], v[4:5], 0, v[12:13]
	global_load_ushort v0, v[4:5], off
	v_lshl_add_u64 v[4:5], v[6:7], 0, v[12:13]
	s_waitcnt vmcnt(0)
	v_lshlrev_b32_e32 v0, 16, v0
	v_sub_f32_e32 v0, v0, v3
	global_store_short_d16_hi v[4:5], v0, off
	v_mul_f32_e32 v0, v10, v0
	v_lshrrev_b32_e32 v0, 16, v0
.LBB583_74:
	s_or_b64 exec, exec, s[0:1]
	s_mov_b32 s0, 0x5040100
	v_lshlrev_b32_e32 v2, 1, v34
	v_perm_b32 v1, v0, v1, s0
	v_perm_b32 v0, v16, v17, s0
	v_lshl_or_b32 v2, v8, 5, v2
	ds_write_b64 v2, v[0:1] offset:38912
	s_waitcnt lgkmcnt(0)
	s_barrier
.LBB583_75:
	s_endpgm
	.section	.rodata,"a",@progbits
	.p2align	6, 0x0
	.amdhsa_kernel _ZN12_GLOBAL__N_139chunk_gated_delta_rule_fwd_h_hip_kernelILi16ELb0ELb0ELb1ELb1ELb0ELb1ELb1ELb1EEEvPK12hip_bfloat16S3_S3_PKfS5_PKvPS1_S8_PvPKiSB_iiiiilll
		.amdhsa_group_segment_fixed_size 40960
		.amdhsa_private_segment_fixed_size 0
		.amdhsa_kernarg_size 136
		.amdhsa_user_sgpr_count 2
		.amdhsa_user_sgpr_dispatch_ptr 0
		.amdhsa_user_sgpr_queue_ptr 0
		.amdhsa_user_sgpr_kernarg_segment_ptr 1
		.amdhsa_user_sgpr_dispatch_id 0
		.amdhsa_user_sgpr_kernarg_preload_length 0
		.amdhsa_user_sgpr_kernarg_preload_offset 0
		.amdhsa_user_sgpr_private_segment_size 0
		.amdhsa_uses_dynamic_stack 0
		.amdhsa_enable_private_segment 0
		.amdhsa_system_sgpr_workgroup_id_x 1
		.amdhsa_system_sgpr_workgroup_id_y 1
		.amdhsa_system_sgpr_workgroup_id_z 0
		.amdhsa_system_sgpr_workgroup_info 0
		.amdhsa_system_vgpr_workitem_id 0
		.amdhsa_next_free_vgpr 128
		.amdhsa_next_free_sgpr 62
		.amdhsa_accum_offset 116
		.amdhsa_reserve_vcc 1
		.amdhsa_float_round_mode_32 0
		.amdhsa_float_round_mode_16_64 0
		.amdhsa_float_denorm_mode_32 3
		.amdhsa_float_denorm_mode_16_64 3
		.amdhsa_dx10_clamp 1
		.amdhsa_ieee_mode 1
		.amdhsa_fp16_overflow 0
		.amdhsa_tg_split 0
		.amdhsa_exception_fp_ieee_invalid_op 0
		.amdhsa_exception_fp_denorm_src 0
		.amdhsa_exception_fp_ieee_div_zero 0
		.amdhsa_exception_fp_ieee_overflow 0
		.amdhsa_exception_fp_ieee_underflow 0
		.amdhsa_exception_fp_ieee_inexact 0
		.amdhsa_exception_int_div_zero 0
	.end_amdhsa_kernel
	.section	.text._ZN12_GLOBAL__N_139chunk_gated_delta_rule_fwd_h_hip_kernelILi16ELb0ELb0ELb1ELb1ELb0ELb1ELb1ELb1EEEvPK12hip_bfloat16S3_S3_PKfS5_PKvPS1_S8_PvPKiSB_iiiiilll,"axG",@progbits,_ZN12_GLOBAL__N_139chunk_gated_delta_rule_fwd_h_hip_kernelILi16ELb0ELb0ELb1ELb1ELb0ELb1ELb1ELb1EEEvPK12hip_bfloat16S3_S3_PKfS5_PKvPS1_S8_PvPKiSB_iiiiilll,comdat
.Lfunc_end583:
	.size	_ZN12_GLOBAL__N_139chunk_gated_delta_rule_fwd_h_hip_kernelILi16ELb0ELb0ELb1ELb1ELb0ELb1ELb1ELb1EEEvPK12hip_bfloat16S3_S3_PKfS5_PKvPS1_S8_PvPKiSB_iiiiilll, .Lfunc_end583-_ZN12_GLOBAL__N_139chunk_gated_delta_rule_fwd_h_hip_kernelILi16ELb0ELb0ELb1ELb1ELb0ELb1ELb1ELb1EEEvPK12hip_bfloat16S3_S3_PKfS5_PKvPS1_S8_PvPKiSB_iiiiilll
                                        ; -- End function
	.section	.AMDGPU.csdata,"",@progbits
; Kernel info:
; codeLenInByte = 7468
; NumSgprs: 68
; NumVgprs: 116
; NumAgprs: 12
; TotalNumVgprs: 128
; ScratchSize: 0
; MemoryBound: 0
; FloatMode: 240
; IeeeMode: 1
; LDSByteSize: 40960 bytes/workgroup (compile time only)
; SGPRBlocks: 8
; VGPRBlocks: 15
; NumSGPRsForWavesPerEU: 68
; NumVGPRsForWavesPerEU: 128
; AccumOffset: 116
; Occupancy: 1
; WaveLimiterHint : 1
; COMPUTE_PGM_RSRC2:SCRATCH_EN: 0
; COMPUTE_PGM_RSRC2:USER_SGPR: 2
; COMPUTE_PGM_RSRC2:TRAP_HANDLER: 0
; COMPUTE_PGM_RSRC2:TGID_X_EN: 1
; COMPUTE_PGM_RSRC2:TGID_Y_EN: 1
; COMPUTE_PGM_RSRC2:TGID_Z_EN: 0
; COMPUTE_PGM_RSRC2:TIDIG_COMP_CNT: 0
; COMPUTE_PGM_RSRC3_GFX90A:ACCUM_OFFSET: 28
; COMPUTE_PGM_RSRC3_GFX90A:TG_SPLIT: 0
	.section	.text._ZN12_GLOBAL__N_139chunk_gated_delta_rule_fwd_h_hip_kernelILi16ELb0ELb0ELb0ELb1ELb0ELb1ELb1ELb1EEEvPK12hip_bfloat16S3_S3_PKfS5_PKvPS1_S8_PvPKiSB_iiiiilll,"axG",@progbits,_ZN12_GLOBAL__N_139chunk_gated_delta_rule_fwd_h_hip_kernelILi16ELb0ELb0ELb0ELb1ELb0ELb1ELb1ELb1EEEvPK12hip_bfloat16S3_S3_PKfS5_PKvPS1_S8_PvPKiSB_iiiiilll,comdat
	.globl	_ZN12_GLOBAL__N_139chunk_gated_delta_rule_fwd_h_hip_kernelILi16ELb0ELb0ELb0ELb1ELb0ELb1ELb1ELb1EEEvPK12hip_bfloat16S3_S3_PKfS5_PKvPS1_S8_PvPKiSB_iiiiilll ; -- Begin function _ZN12_GLOBAL__N_139chunk_gated_delta_rule_fwd_h_hip_kernelILi16ELb0ELb0ELb0ELb1ELb0ELb1ELb1ELb1EEEvPK12hip_bfloat16S3_S3_PKfS5_PKvPS1_S8_PvPKiSB_iiiiilll
	.p2align	8
	.type	_ZN12_GLOBAL__N_139chunk_gated_delta_rule_fwd_h_hip_kernelILi16ELb0ELb0ELb0ELb1ELb0ELb1ELb1ELb1EEEvPK12hip_bfloat16S3_S3_PKfS5_PKvPS1_S8_PvPKiSB_iiiiilll,@function
_ZN12_GLOBAL__N_139chunk_gated_delta_rule_fwd_h_hip_kernelILi16ELb0ELb0ELb0ELb1ELb0ELb1ELb1ELb1EEEvPK12hip_bfloat16S3_S3_PKfS5_PKvPS1_S8_PvPKiSB_iiiiilll: ; @_ZN12_GLOBAL__N_139chunk_gated_delta_rule_fwd_h_hip_kernelILi16ELb0ELb0ELb0ELb1ELb0ELb1ELb1ELb1EEEvPK12hip_bfloat16S3_S3_PKfS5_PKvPS1_S8_PvPKiSB_iiiiilll
; %bb.0:
	s_load_dwordx4 s[12:15], s[0:1], 0x5c
	s_load_dwordx4 s[16:19], s[0:1], 0x70
	s_abs_i32 s21, s3
	s_ashr_i32 s20, s3, 31
	s_load_dwordx2 s[36:37], s[0:1], 0x30
	s_load_dwordx4 s[24:27], s[0:1], 0x48
	s_waitcnt lgkmcnt(0)
	s_abs_i32 s28, s13
	v_cvt_f32_u32_e32 v1, s28
	s_sub_i32 s22, 0, s28
	s_ashr_i32 s29, s13, 31
	s_xor_b32 s20, s20, s29
	v_rcp_iflag_f32_e32 v1, v1
	s_load_dwordx8 s[4:11], s[0:1], 0x0
	v_lshrrev_b32_e32 v59, 6, v0
	v_bfe_u32 v60, v0, 4, 2
	v_mul_f32_e32 v1, 0x4f7ffffe, v1
	v_cvt_u32_f32_e32 v1, v1
	v_lshlrev_b32_e32 v45, 4, v59
	v_lshlrev_b32_e32 v2, 2, v60
	v_and_b32_e32 v58, 63, v0
	v_readfirstlane_b32 s23, v1
	s_mul_i32 s22, s22, s23
	s_mul_hi_u32 s22, s23, s22
	s_add_i32 s23, s23, s22
	s_mul_hi_u32 s22, s21, s23
	s_mul_i32 s23, s22, s28
	s_sub_i32 s21, s21, s23
	s_add_i32 s30, s22, 1
	s_sub_i32 s23, s21, s28
	s_cmp_ge_u32 s21, s28
	s_cselect_b32 s22, s30, s22
	s_cselect_b32 s21, s23, s21
	s_add_i32 s23, s22, 1
	s_cmp_ge_u32 s21, s28
	s_cselect_b32 s21, s23, s22
	s_xor_b32 s21, s21, s20
	s_sub_i32 s20, s21, s20
	s_mul_i32 s21, s20, s13
	s_sub_i32 s33, s3, s21
	s_ashr_i32 s21, s20, 31
	s_lshl_b64 s[22:23], s[20:21], 2
	s_add_u32 s24, s24, s22
	s_addc_u32 s25, s25, s23
	s_add_u32 s22, s26, s22
	s_addc_u32 s23, s27, s23
	s_abs_i32 s3, s14
	v_cvt_f32_u32_e32 v1, s3
	s_load_dwordx2 s[34:35], s[24:25], 0x0
	s_sub_i32 s25, 0, s3
	s_load_dword s46, s[22:23], 0x0
	v_rcp_iflag_f32_e32 v1, v1
	v_or_b32_e32 v64, v2, v45
	s_waitcnt lgkmcnt(0)
	s_sub_i32 s47, s35, s34
	s_ashr_i32 s24, s47, 31
	v_mul_f32_e32 v1, 0x4f7ffffe, v1
	v_cvt_u32_f32_e32 v1, v1
	s_lshr_b32 s24, s24, 26
	s_add_i32 s24, s47, s24
	s_ashr_i32 s45, s24, 6
	v_readfirstlane_b32 s26, v1
	s_mul_i32 s25, s25, s26
	s_mul_hi_u32 s25, s26, s25
	s_add_i32 s26, s26, s25
	s_mul_hi_u32 s25, s28, s26
	s_mul_i32 s26, s25, s3
	s_ashr_i32 s24, s14, 31
	s_sub_i32 s26, s28, s26
	s_xor_b32 s24, s29, s24
	s_add_i32 s27, s25, 1
	s_sub_i32 s28, s26, s3
	s_cmp_ge_u32 s26, s3
	s_cselect_b32 s25, s27, s25
	s_cselect_b32 s26, s28, s26
	s_add_i32 s27, s25, 1
	s_cmp_ge_u32 s26, s3
	s_cselect_b32 s3, s27, s25
	s_xor_b32 s3, s3, s24
	s_sub_i32 s3, s3, s24
	s_abs_i32 s24, s3
	v_cvt_f32_u32_e32 v1, s24
	s_sub_i32 s23, 0, s24
	s_abs_i32 s22, s33
	s_xor_b32 s3, s33, s3
	v_rcp_iflag_f32_e32 v1, v1
	s_ashr_i32 s3, s3, 31
	s_load_dwordx2 s[28:29], s[0:1], 0x80
	v_mov_b32_e32 v49, 0
	v_mul_f32_e32 v1, 0x4f7ffffe, v1
	v_cvt_u32_f32_e32 v1, v1
	v_or_b32_e32 v63, 64, v64
	s_mul_hi_i32 s48, s33, s12
	s_mul_i32 s49, s33, s12
	v_readfirstlane_b32 s25, v1
	s_mul_i32 s23, s23, s25
	s_mul_hi_u32 s23, s25, s23
	s_add_i32 s25, s25, s23
	s_mul_hi_u32 s23, s22, s25
	s_mul_i32 s25, s23, s24
	s_sub_i32 s22, s22, s25
	s_add_i32 s25, s23, 1
	s_sub_i32 s26, s22, s24
	s_cmp_ge_u32 s22, s24
	s_cselect_b32 s23, s25, s23
	s_cselect_b32 s22, s26, s22
	s_add_i32 s25, s23, 1
	s_cmp_ge_u32 s22, s24
	s_cselect_b32 s22, s25, s23
	s_xor_b32 s22, s22, s3
	s_sub_i32 s51, s22, s3
	s_lshl_b32 s30, s2, 4
	v_and_b32_e32 v1, 15, v0
	s_cmp_lt_i32 s47, 64
	v_lshrrev_b32_e32 v62, 3, v58
	v_lshlrev_b32_e32 v61, 3, v0
	s_mul_i32 s42, s20, s17
	s_mul_hi_u32 s43, s20, s16
	s_mul_i32 s44, s21, s16
	s_mul_i32 s16, s20, s16
	v_mov_b32_e32 v48, v49
	v_mov_b32_e32 v51, v49
	v_mov_b32_e32 v50, v49
	v_mov_b32_e32 v53, v49
	v_mov_b32_e32 v52, v49
	v_mov_b32_e32 v47, v49
	v_mov_b32_e32 v46, v49
	s_cbranch_scc1 .LBB584_18
; %bb.1:
	s_ashr_i32 s53, s33, 31
	s_ashr_i32 s3, s34, 31
	s_add_u32 s2, s49, s34
	s_addc_u32 s3, s48, s3
	s_lshl_b64 s[2:3], s[2:3], 8
	v_and_b32_e32 v66, 56, v61
	s_add_u32 s20, s6, s2
	v_lshl_or_b32 v65, v59, 3, v62
	v_lshlrev_b32_e32 v3, 1, v66
	s_addc_u32 s2, s7, s3
	v_lshl_or_b32 v67, v65, 8, v3
	s_and_b32 s21, s2, 0xffff
	s_mov_b32 s23, 0x20000
	s_movk_i32 s22, 0x4000
	s_movk_i32 s2, 0x80
	v_or_b32_e32 v68, 0x2000, v67
	buffer_load_dwordx4 v[4:7], v67, s[20:23], 0 offen
	buffer_load_dwordx4 v[8:11], v67, s[20:23], s2 offen
	;; [unrolled: 1-line block ×4, first 2 shown]
	v_lshlrev_b32_e32 v20, 3, v65
	v_and_or_b32 v22, v0, 7, v20
	v_and_b32_e32 v20, 0x78, v20
	v_lshlrev_b32_e32 v22, 4, v22
	v_xor_b32_e32 v69, v22, v20
	v_mul_lo_u32 v21, v65, s15
	v_or_b32_e32 v70, 0x1000, v69
	s_cmpk_eq_i32 s15, 0x80
	s_mov_b32 s50, s13
	s_mov_b32 s52, s34
	v_xor_b32_e32 v20, 8, v69
	v_xor_b32_e32 v22, 8, v70
	s_cselect_b64 s[2:3], -1, 0
	s_cmpk_lg_i32 s15, 0x80
	s_waitcnt vmcnt(3)
	ds_write_b64 v69, v[4:5] offset:16384
	ds_write_b64 v20, v[6:7] offset:16384
	s_waitcnt vmcnt(2)
	ds_write_b64 v69, v[8:9] offset:24576
	ds_write_b64 v20, v[10:11] offset:24576
	;; [unrolled: 3-line block ×4, first 2 shown]
	v_lshl_add_u32 v4, v21, 1, v66
	s_cbranch_scc0 .LBB584_3
; %bb.2:
	v_lshlrev_b32_e32 v6, 1, v4
	v_add_lshl_u32 v5, v4, s15, 1
	s_lshl_b32 s22, s15, 7
	s_load_dwordx2 s[38:39], s[0:1], 0x20
	v_lshl_or_b32 v3, v65, 9, v3
	s_cbranch_execz .LBB584_4
	s_branch .LBB584_5
.LBB584_3:
                                        ; implicit-def: $vgpr5
                                        ; implicit-def: $vgpr6
                                        ; implicit-def: $sgpr22
	s_load_dwordx2 s[38:39], s[0:1], 0x20
	v_lshl_or_b32 v3, v65, 9, v3
.LBB584_4:
	v_or_b32_e32 v5, 0x100, v3
	s_movk_i32 s22, 0x4000
	v_mov_b32_e32 v6, v3
.LBB584_5:
	s_mul_i32 s0, s34, s14
	s_ashr_i32 s54, s51, 31
	s_mul_hi_i32 s1, s34, s14
	s_add_u32 s0, s0, s51
	s_addc_u32 s1, s1, s54
	s_lshl_b64 s[0:1], s[0:1], 8
	s_add_u32 s20, s4, s0
	s_addc_u32 s0, s5, s1
	s_and_b32 s21, s0, 0xffff
	s_movk_i32 s55, 0x80
	buffer_load_dwordx4 v[8:11], v6, s[20:23], 0 offen
	buffer_load_dwordx4 v[12:15], v6, s[20:23], s55 offen
	;; [unrolled: 1-line block ×4, first 2 shown]
	v_and_b32_e32 v5, 6, v0
	v_lshlrev_b32_e32 v7, 2, v1
	v_lshlrev_b32_e32 v24, 3, v1
	v_xor_b32_e32 v26, v65, v5
	v_and_b32_e32 v6, 1, v0
	v_lshl_or_b32 v24, v64, 5, v24
	v_xor_b32_e32 v27, v64, v7
	v_lshlrev_b32_e32 v26, 2, v26
	s_mul_i32 s1, s33, s19
	s_mul_hi_u32 s17, s33, s18
	v_or_b32_e32 v71, 0x9000, v24
	v_or_b32_e32 v72, 0x9800, v24
	v_lshlrev_b32_e32 v24, 1, v27
	v_xor_b32_e32 v27, 0x440, v26
	v_cmp_eq_u32_e32 vcc, 0, v6
	s_add_i32 s21, s43, s42
	s_mul_i32 s20, s53, s18
	v_cndmask_b32_e32 v6, v27, v26, vcc
	s_add_i32 s1, s17, s1
	s_add_i32 s17, s21, s44
	s_mov_b32 s56, 0x1000504
	v_lshlrev_b32_e32 v25, 8, v1
	s_mov_b32 s22, 0x8000
	v_xor_b32_e32 v7, v63, v7
	v_lshl_or_b32 v5, v5, 10, v6
	s_add_i32 s1, s1, s20
	s_lshl_b64 s[20:21], s[16:17], 2
	s_mov_b32 s57, 0x3020706
	s_mul_i32 s0, s33, s18
	v_lshlrev_b32_e32 v7, 1, v7
	v_or3_b32 v73, v24, v25, s22
	v_xor_b32_e32 v6, 8, v5
	v_xor_b32_e32 v24, 24, v5
	;; [unrolled: 1-line block ×4, first 2 shown]
	s_add_u32 s17, s10, s20
	v_or3_b32 v74, v7, v25, s22
	v_xor_b32_e32 v7, 16, v5
	v_xor_b32_e32 v25, 32, v5
	;; [unrolled: 1-line block ×3, first 2 shown]
	v_add_u32_e32 v6, 0x80, v6
	v_add_u32_e32 v24, 0x80, v24
	;; [unrolled: 1-line block ×4, first 2 shown]
	s_addc_u32 s20, s11, s21
	s_lshl_b64 s[0:1], s[0:1], 2
	s_add_u32 s40, s17, s0
	s_movk_i32 s0, 0xf8
	s_addc_u32 s41, s20, s1
	s_ashr_i32 s31, s30, 31
	s_lshl_b32 s26, s15, 7
	v_mov_b32_e32 v47, 0
	s_mov_b32 s58, 0
	v_add_u32_e32 v85, v45, v2
	s_mov_b32 s17, 0x7060302
	v_mov_b32_e32 v96, 0x3fb8aa3b
	v_mov_b32_e32 v52, v47
	;; [unrolled: 1-line block ×7, first 2 shown]
	s_waitcnt vmcnt(1)
	v_perm_b32 v29, v8, v16, s56
	s_waitcnt vmcnt(0)
	v_perm_b32 v30, v12, v20, s56
	v_perm_b32 v8, v8, v16, s57
	;; [unrolled: 1-line block ×15, first 2 shown]
	ds_write2st64_b32 v5, v29, v30 offset1:32
	ds_write2st64_b32 v6, v8, v12 offset1:32
	ds_write2st64_b32 v7, v16, v20 offset0:1 offset1:33
	ds_write2st64_b32 v24, v9, v13 offset0:1 offset1:33
	;; [unrolled: 1-line block ×6, first 2 shown]
	v_or_b32_e32 v5, v45, v1
	v_lshlrev_b32_e32 v5, 3, v5
	v_lshrrev_b32_e32 v7, 5, v58
	v_and_or_b32 v7, v5, s0, v7
	v_lshlrev_b32_e32 v7, 4, v7
	v_lshrrev_b32_e32 v6, 2, v58
	v_lshlrev_b32_e32 v9, 11, v59
	v_and_b32_e32 v5, 0x78, v5
	v_or_b32_e32 v12, 32, v7
	v_and_b32_e32 v8, 12, v6
	v_and_b32_e32 v6, 0x1000, v9
	v_lshrrev_b32_e32 v11, 1, v58
	v_xor_b32_e32 v12, v12, v5
	v_and_b32_e32 v11, 8, v11
	v_or_b32_e32 v12, v12, v6
	v_xor_b32_e32 v10, v7, v5
	v_xor_b32_e32 v77, v12, v11
	v_or_b32_e32 v12, 64, v7
	v_or_b32_e32 v7, 0x60, v7
	;; [unrolled: 1-line block ×3, first 2 shown]
	v_xor_b32_e32 v12, v12, v5
	v_xor_b32_e32 v5, v7, v5
	;; [unrolled: 1-line block ×3, first 2 shown]
	v_and_b32_e32 v10, 0x78, v61
	v_or_b32_e32 v5, v5, v6
	v_lshl_or_b32 v10, v60, 7, v10
	v_or_b32_e32 v12, v12, v6
	v_xor_b32_e32 v79, v5, v11
	v_lshlrev_b32_e32 v5, 1, v1
	v_or_b32_e32 v76, 0x9000, v10
	v_xor_b32_e32 v78, v12, v11
	v_or_b32_e32 v80, 0x9800, v10
	v_lshlrev_b32_e32 v10, 1, v4
	v_add_lshl_u32 v11, v4, s15, 1
	v_lshrrev_b32_e32 v4, 4, v0
	s_lshl_b64 s[0:1], s[30:31], 8
	v_or_b32_e32 v13, 1, v5
	s_add_u32 s0, s36, s0
	v_xor_b32_e32 v5, v4, v5
	v_xor_b32_e32 v13, v13, v4
	s_addc_u32 s1, s37, s1
	v_lshlrev_b32_e32 v5, 3, v5
	v_lshlrev_b32_e32 v46, 8, v4
	;; [unrolled: 1-line block ×3, first 2 shown]
	v_lshrrev_b32_e32 v17, 1, v0
	v_or3_b32 v81, v5, v46, s22
	v_or3_b32 v82, v4, v46, s22
	v_lshl_add_u64 v[4:5], s[0:1], 0, v[46:47]
	v_lshlrev_b32_e32 v46, 4, v1
	s_movk_i32 s0, 0xff
	v_lshlrev_b32_e32 v16, 3, v59
	v_and_b32_e32 v17, 24, v17
	v_lshl_add_u64 v[54:55], v[4:5], 0, v[46:47]
	v_and_b32_e32 v5, 8, v0
	v_cmp_lt_u32_e32 vcc, s0, v0
	v_xor_b32_e32 v18, v16, v17
	v_or_b32_e32 v19, 0x440, v18
	v_cndmask_b32_e64 v15, 0, 1, vcc
	v_cmp_eq_u32_e32 vcc, 0, v5
	v_or_b32_e32 v21, 64, v17
	v_xor_b32_e32 v21, v16, v21
	v_cndmask_b32_e32 v5, v19, v18, vcc
	v_or_b32_e32 v19, 32, v17
	v_or_b32_e32 v17, 0x60, v17
	v_xor_b32_e32 v19, v16, v19
	v_xor_b32_e32 v16, v16, v17
	v_or_b32_e32 v20, 0x440, v19
	v_xor_b32_e32 v22, 0x440, v21
	v_xor_b32_e32 v17, 0x440, v16
	v_and_b32_e32 v4, 7, v0
	v_cndmask_b32_e32 v19, v20, v19, vcc
	v_cndmask_b32_e32 v21, v22, v21, vcc
	;; [unrolled: 1-line block ×3, first 2 shown]
	v_or_b32_e32 v6, s30, v1
	v_lshlrev_b32_e32 v13, 3, v4
	v_or_b32_e32 v5, v5, v9
	v_or_b32_e32 v19, v19, v9
	v_or_b32_e32 v21, v21, v9
	v_or_b32_e32 v9, v16, v9
	v_ashrrev_i32_e32 v7, 31, v6
	v_lshlrev_b32_e32 v15, 13, v15
	v_xor_b32_e32 v5, v5, v13
	v_xor_b32_e32 v19, v19, v13
	;; [unrolled: 1-line block ×4, first 2 shown]
	v_lshl_add_u64 v[6:7], v[6:7], 1, s[8:9]
	v_or_b32_e32 v12, 0x100, v3
	v_lshlrev_b32_e32 v14, 7, v4
	v_or_b32_e32 v4, v8, v45
	v_add_u32_e32 v18, v15, v5
	v_add_u32_e32 v20, v15, v19
	;; [unrolled: 1-line block ×4, first 2 shown]
	v_or3_b32 v8, v45, v8, 64
	v_add_u32_e32 v5, 0x2000, v5
	v_add_u32_e32 v15, 0x2000, v19
	;; [unrolled: 1-line block ×4, first 2 shown]
	v_lshlrev_b32_e32 v46, 8, v64
	v_cndmask_b32_e64 v83, v10, v3, s[2:3]
	v_cndmask_b32_e64 v84, v11, v12, s[2:3]
	v_lshl_add_u64 v[56:57], v[6:7], 0, v[46:47]
	s_movk_i32 s22, 0x4000
	v_lshlrev_b32_e32 v86, 2, v4
	v_add_u32_e32 v87, v18, v14
	v_add_u32_e32 v88, v20, v14
	;; [unrolled: 1-line block ×4, first 2 shown]
	v_lshlrev_b32_e32 v91, 2, v8
	v_add_u32_e32 v92, v5, v14
	v_add_u32_e32 v93, v15, v14
	;; [unrolled: 1-line block ×4, first 2 shown]
	v_mov_b32_e32 v46, v47
	s_waitcnt lgkmcnt(0)
	s_barrier
.LBB584_6:                              ; =>This Inner Loop Header: Depth=1
	s_add_i32 s31, s58, 1
	s_cmp_lt_i32 s31, s45
	s_mov_b64 s[24:25], 0
	s_cselect_b64 s[2:3], -1, 0
	s_cmp_ge_i32 s31, s45
	s_mov_b64 s[20:21], 0
	s_cbranch_scc1 .LBB584_8
; %bb.7:                                ;   in Loop: Header=BB584_6 Depth=1
	s_add_i32 s0, s52, 64
	s_ashr_i32 s1, s0, 31
	s_add_u32 s0, s49, s0
	s_addc_u32 s1, s48, s1
	s_lshl_b64 s[0:1], s[0:1], 8
	s_add_u32 s20, s6, s0
	s_addc_u32 s21, s7, s1
.LBB584_8:                              ;   in Loop: Header=BB584_6 Depth=1
	v_cndmask_b32_e64 v2, 0, 1, s[2:3]
	v_cmp_ne_u32_e64 s[0:1], 1, v2
	s_andn2_b64 vcc, exec, s[2:3]
	s_cbranch_vccnz .LBB584_10
; %bb.9:                                ;   in Loop: Header=BB584_6 Depth=1
	s_add_i32 s2, s52, 64
	s_mul_hi_i32 s3, s2, s14
	s_mul_i32 s2, s2, s14
	s_add_u32 s2, s2, s51
	s_addc_u32 s3, s3, s54
	s_lshl_b64 s[2:3], s[2:3], 8
	s_add_u32 s24, s4, s2
	s_addc_u32 s25, s5, s3
.LBB584_10:                             ;   in Loop: Header=BB584_6 Depth=1
	v_perm_b32 v3, v53, v52, s17
	v_perm_b32 v2, v47, v46, s17
	;; [unrolled: 1-line block ×4, first 2 shown]
	ds_write_b64 v71, v[2:3]
	ds_write_b64 v72, v[4:5]
	;; [unrolled: 1-line block ×4, first 2 shown]
	s_waitcnt lgkmcnt(0)
	s_barrier
	ds_read_b64 v[10:11], v75 offset:16384
	ds_read_b64 v[12:13], v77 offset:16384
	ds_read2st64_b64 v[2:5], v76 offset1:1
	s_waitcnt lgkmcnt(0)
	v_mfma_f32_16x16x16_bf16 a[0:3], v[10:11], v[2:3], 0
	ds_read2st64_b64 v[6:9], v76 offset0:2 offset1:3
	ds_read_b64 v[14:15], v78 offset:16384
	ds_read_b64 v[2:3], v79 offset:16384
	s_add_i32 s59, s52, 63
	v_mfma_f32_16x16x16_bf16 a[0:3], v[12:13], v[4:5], a[0:3]
	s_ashr_i32 s2, s59, 31
	s_mul_i32 s3, s59, s29
	s_mul_hi_u32 s27, s59, s28
	s_waitcnt lgkmcnt(1)
	v_mfma_f32_16x16x16_bf16 a[0:3], v[14:15], v[6:7], a[0:3]
	s_add_i32 s3, s27, s3
	s_mul_i32 s2, s2, s28
	s_add_i32 s3, s3, s2
	s_mul_i32 s2, s59, s28
	s_waitcnt lgkmcnt(0)
	v_mfma_f32_16x16x16_bf16 a[0:3], v[2:3], v[8:9], a[0:3]
	s_lshl_b64 s[2:3], s[2:3], 2
	s_add_u32 s2, s40, s2
	s_addc_u32 s3, s41, s3
	s_and_b64 vcc, exec, s[0:1]
	v_mov_b32_e32 v99, 0
	v_mov_b32_e32 v98, 0
	;; [unrolled: 1-line block ×19, first 2 shown]
	s_cbranch_vccnz .LBB584_12
; %bb.11:                               ;   in Loop: Header=BB584_6 Depth=1
	s_and_b32 s21, s21, 0xffff
	buffer_load_dwordx4 v[14:17], v67, s[20:23], 0 offen
	buffer_load_dwordx4 v[10:13], v67, s[20:23], s55 offen
	;; [unrolled: 1-line block ×4, first 2 shown]
	v_mov_b32_e32 v98, v69
	v_mov_b32_e32 v97, v70
.LBB584_12:                             ;   in Loop: Header=BB584_6 Depth=1
	v_add_u32_e32 v22, s52, v85
	v_ashrrev_i32_e32 v18, 31, v22
	v_mul_lo_u32 v20, v18, s28
	v_mul_lo_u32 v21, v22, s29
	v_mad_u64_u32 v[18:19], s[20:21], v22, s28, 0
	v_add3_u32 v19, v19, v21, v20
	v_lshl_add_u64 v[18:19], v[18:19], 2, s[40:41]
	global_load_dword v38, v[18:19], off
	v_add_u32_e32 v18, 1, v22
	v_ashrrev_i32_e32 v19, 31, v18
	v_mul_lo_u32 v20, v19, s28
	v_mul_lo_u32 v21, v18, s29
	v_mad_u64_u32 v[18:19], s[20:21], v18, s28, 0
	v_add3_u32 v19, v19, v21, v20
	v_add_u32_e32 v20, 2, v22
	v_ashrrev_i32_e32 v21, 31, v20
	v_mul_lo_u32 v23, v21, s28
	v_mul_lo_u32 v24, v20, s29
	v_mad_u64_u32 v[20:21], s[20:21], v20, s28, 0
	v_add_u32_e32 v22, 3, v22
	v_add3_u32 v21, v21, v24, v23
	v_ashrrev_i32_e32 v23, 31, v22
	v_mul_lo_u32 v26, v23, s28
	v_mul_lo_u32 v27, v22, s29
	v_mad_u64_u32 v[22:23], s[20:21], v22, s28, 0
	s_ashr_i32 s21, s52, 31
	s_add_u32 s20, s49, s52
	s_addc_u32 s21, s48, s21
	s_lshl_b64 s[20:21], s[20:21], 8
	v_lshl_add_u64 v[18:19], v[18:19], 2, s[40:41]
	v_lshl_add_u64 v[24:25], v[56:57], 0, s[20:21]
	v_add3_u32 v23, v23, v27, v26
	v_lshl_add_u64 v[20:21], v[20:21], 2, s[40:41]
	global_load_ushort v39, v[24:25], off
	global_load_ushort v40, v[24:25], off offset:256
	global_load_ushort v41, v[24:25], off offset:512
	;; [unrolled: 1-line block ×3, first 2 shown]
	v_lshl_add_u64 v[22:23], v[22:23], 2, s[40:41]
	global_load_dword v43, v[18:19], off
	global_load_dword v44, v[20:21], off
	;; [unrolled: 1-line block ×3, first 2 shown]
	s_load_dword s2, s[2:3], 0x0
	ds_read_b64 v[26:27], v75 offset:24576
	ds_read2st64_b64 v[22:25], v80 offset1:1
	ds_read2st64_b64 v[28:31], v80 offset0:2 offset1:3
	ds_read_b64 v[32:33], v77 offset:24576
	ds_read_b64 v[34:35], v78 offset:24576
	;; [unrolled: 1-line block ×3, first 2 shown]
	s_waitcnt lgkmcnt(0)
	v_mfma_f32_16x16x16_bf16 a[0:3], v[26:27], v[22:23], a[0:3]
	v_mov_b32_e32 v100, 0
	v_mov_b32_e32 v18, 0
	v_mov_b32_e32 v19, 0
	v_mfma_f32_16x16x16_bf16 a[0:3], v[32:33], v[24:25], a[0:3]
	v_mov_b32_e32 v20, 0
	v_mov_b32_e32 v21, 0
	v_mov_b32_e32 v22, 0
	;; [unrolled: 4-line block ×4, first 2 shown]
	s_and_b64 vcc, exec, s[0:1]
	s_waitcnt vmcnt(7)
	v_sub_f32_e32 v29, s2, v38
	v_mul_f32_e32 v29, 0x3fb8aa3b, v29
	v_exp_f32_e32 v38, v29
	v_accvgpr_read_b32 v33, a1
	v_accvgpr_read_b32 v31, a3
	;; [unrolled: 1-line block ×4, first 2 shown]
	s_waitcnt vmcnt(6)
	v_lshlrev_b32_e32 v34, 16, v39
	s_waitcnt vmcnt(5)
	v_lshlrev_b32_e32 v35, 16, v40
	;; [unrolled: 2-line block ×3, first 2 shown]
	s_waitcnt vmcnt(2)
	v_sub_f32_e32 v39, s2, v43
	s_waitcnt vmcnt(1)
	v_sub_f32_e32 v40, s2, v44
	s_waitcnt vmcnt(0)
	v_sub_f32_e32 v41, s2, v101
	v_mul_f32_e32 v29, 0x3fb8aa3b, v39
	v_mul_f32_e32 v40, 0x3fb8aa3b, v40
	;; [unrolled: 1-line block ×3, first 2 shown]
	v_exp_f32_e32 v39, v29
	v_exp_f32_e32 v40, v40
	;; [unrolled: 1-line block ×3, first 2 shown]
	v_lshlrev_b32_e32 v37, 16, v42
	v_pk_add_f32 v[32:33], v[34:35], v[32:33] neg_lo:[0,1] neg_hi:[0,1]
	v_pk_add_f32 v[30:31], v[36:37], v[30:31] neg_lo:[0,1] neg_hi:[0,1]
	v_pk_mul_f32 v[32:33], v[38:39], v[32:33]
	v_pk_mul_f32 v[30:31], v[40:41], v[30:31]
	v_mov_b32_e32 v29, 0
	v_perm_b32 v31, v31, v30, s17
	v_perm_b32 v30, v33, v32, s17
	ds_write_b64 v72, v[30:31]
	v_mov_b32_e32 v30, 0
	v_mov_b32_e32 v31, 0
	;; [unrolled: 1-line block ×4, first 2 shown]
	s_cbranch_vccnz .LBB584_14
; %bb.13:                               ;   in Loop: Header=BB584_6 Depth=1
	s_and_b32 s25, s25, 0xffff
	s_mov_b32 s27, s23
	buffer_load_dwordx4 v[30:33], v83, s[24:27], 0 offen
	buffer_load_dwordx4 v[22:25], v83, s[24:27], s55 offen
	;; [unrolled: 1-line block ×4, first 2 shown]
	v_mov_b32_e32 v99, v66
	v_mov_b32_e32 v100, v65
.LBB584_14:                             ;   in Loop: Header=BB584_6 Depth=1
	s_waitcnt lgkmcnt(0)
	s_barrier
	ds_read_b64 v[34:35], v87
	ds_read_b64 v[40:41], v88
	ds_read2st64_b64 v[36:39], v80 offset1:1
	ds_read2st64_b64 v[102:105], v80 offset0:2 offset1:3
	ds_read_b64 v[42:43], v89
	ds_read_b64 v[110:111], v90
	s_add_i32 s3, s46, s58
	s_mul_hi_i32 s21, s3, s50
	s_mul_i32 s3, s3, s50
	s_waitcnt lgkmcnt(3)
	v_mfma_f32_16x16x16_bf16 a[0:3], v[34:35], v[36:37], 0
	ds_read_b64 v[34:35], v92
	s_add_u32 s20, s3, s33
	s_addc_u32 s21, s21, s53
	v_mfma_f32_16x16x16_bf16 a[0:3], v[40:41], v[38:39], a[0:3]
	ds_read_b64 v[40:41], v93
	s_lshl_b64 s[20:21], s[20:21], 15
	s_mul_i32 s24, s59, s50
	s_mul_hi_i32 s3, s59, s50
	s_add_u32 s24, s24, s33
	s_addc_u32 s25, s3, s53
	s_lshl_b64 s[24:25], s[24:25], 9
	s_add_u32 s24, s38, s24
	s_waitcnt lgkmcnt(1)
	v_mfma_f32_16x16x16_bf16 a[4:7], v[34:35], v[36:37], 0
	s_addc_u32 s25, s39, s25
	s_and_b64 vcc, exec, s[0:1]
	v_mfma_f32_16x16x16_bf16 a[0:3], v[42:43], v[102:103], a[0:3]
	ds_read_b64 v[42:43], v94
	ds_read_b64 v[112:113], v95
	global_load_dwordx4 v[34:37], v91, s[24:25]
	s_waitcnt lgkmcnt(2)
	v_mfma_f32_16x16x16_bf16 a[4:7], v[40:41], v[38:39], a[4:7]
	global_load_dwordx4 v[38:41], v86, s[24:25]
	ds_read_b64 v[106:107], v81
	ds_read_b64 v[108:109], v82
	s_waitcnt lgkmcnt(3)
	v_mfma_f32_16x16x16_bf16 a[8:11], v[42:43], v[102:103], a[4:7]
	v_lshl_add_u64 v[42:43], v[54:55], 0, s[20:21]
	s_waitcnt lgkmcnt(0)
	global_store_dwordx4 v[42:43], v[106:109], off
	v_mfma_f32_16x16x16_bf16 a[4:7], v[110:111], v[104:105], a[0:3]
	s_waitcnt vmcnt(2)
	v_mov_b32_e32 v44, v37
	v_mfma_f32_16x16x16_bf16 a[0:3], v[112:113], v[104:105], a[8:11]
	v_mov_b32_e32 v43, v36
	v_mov_b32_e32 v42, v35
	s_cbranch_vccnz .LBB584_16
; %bb.15:                               ;   in Loop: Header=BB584_6 Depth=1
	v_lshrrev_b32_e32 v35, 3, v99
	v_and_b32_e32 v35, 6, v35
	v_xor_b32_e32 v36, v35, v100
	v_lshlrev_b32_e32 v36, 2, v36
	v_and_b32_e32 v37, 8, v99
	v_xor_b32_e32 v99, 0x440, v36
	v_cmp_eq_u32_e32 vcc, 0, v37
	v_perm_b32 v37, v22, v18, s56
	s_nop 0
	v_cndmask_b32_e32 v36, v99, v36, vcc
	v_lshl_or_b32 v35, v35, 10, v36
	v_perm_b32 v36, v30, v26, s56
	s_barrier
	ds_write2st64_b32 v35, v36, v37 offset1:32
	v_xor_b32_e32 v36, 8, v35
	v_perm_b32 v26, v30, v26, s57
	v_perm_b32 v18, v22, v18, s57
	v_add_u32_e32 v22, 0x80, v36
	ds_write2st64_b32 v22, v26, v18 offset1:32
	v_xor_b32_e32 v18, 16, v35
	v_perm_b32 v22, v31, v27, s56
	v_perm_b32 v26, v23, v19, s56
	ds_write2st64_b32 v18, v22, v26 offset0:1 offset1:33
	v_xor_b32_e32 v18, 24, v35
	v_perm_b32 v22, v31, v27, s57
	v_perm_b32 v19, v23, v19, s57
	v_add_u32_e32 v18, 0x80, v18
	ds_write2st64_b32 v18, v22, v19 offset0:1 offset1:33
	v_xor_b32_e32 v18, 32, v35
	v_perm_b32 v19, v32, v28, s56
	v_perm_b32 v22, v24, v20, s56
	ds_write2st64_b32 v18, v19, v22 offset0:2 offset1:34
	v_xor_b32_e32 v18, 40, v35
	v_perm_b32 v19, v32, v28, s57
	v_perm_b32 v20, v24, v20, s57
	v_add_u32_e32 v18, 0x80, v18
	ds_write2st64_b32 v18, v19, v20 offset0:2 offset1:34
	;; [unrolled: 9-line block ×3, first 2 shown]
	ds_write_b64 v98, v[14:15] offset:16384
	v_xor_b32_e32 v14, 8, v98
	ds_write_b64 v14, v[16:17] offset:16384
	ds_write_b64 v98, v[10:11] offset:24576
	;; [unrolled: 1-line block ×4, first 2 shown]
	v_xor_b32_e32 v6, 8, v97
	ds_write_b64 v6, v[8:9] offset:16384
	ds_write_b64 v97, v[2:3] offset:24576
	;; [unrolled: 1-line block ×3, first 2 shown]
.LBB584_16:                             ;   in Loop: Header=BB584_6 Depth=1
	v_mul_f32_e32 v6, s2, v96
	v_exp_f32_e32 v10, v6
	s_waitcnt vmcnt(1)
	v_mul_f32_e32 v6, 0x3fb8aa3b, v38
	v_exp_f32_e32 v12, v6
	v_mul_f32_e32 v6, 0x3fb8aa3b, v39
	v_exp_f32_e32 v13, v6
	;; [unrolled: 2-line block ×4, first 2 shown]
	v_accvgpr_read_b32 v2, a4
	v_accvgpr_read_b32 v3, a5
	v_pk_mul_f32 v[12:13], v[10:11], v[12:13] op_sel_hi:[0,1]
	v_pk_fma_f32 v[46:47], v[46:47], v[12:13], v[2:3]
	v_pk_mul_f32 v[2:3], v[10:11], v[14:15] op_sel_hi:[0,1]
	v_mul_f32_e32 v11, 0x3fb8aa3b, v34
	v_exp_f32_e32 v12, v11
	v_mul_f32_e32 v11, 0x3fb8aa3b, v42
	v_exp_f32_e32 v13, v11
	;; [unrolled: 2-line block ×4, first 2 shown]
	v_accvgpr_read_b32 v4, a6
	v_accvgpr_read_b32 v5, a7
	;; [unrolled: 1-line block ×5, first 2 shown]
	v_pk_fma_f32 v[52:53], v[52:53], v[2:3], v[4:5]
	v_pk_mul_f32 v[2:3], v[10:11], v[12:13] op_sel_hi:[0,1]
	v_accvgpr_read_b32 v8, a2
	v_pk_fma_f32 v[50:51], v[50:51], v[2:3], v[6:7]
	v_pk_mul_f32 v[2:3], v[10:11], v[14:15] op_sel_hi:[0,1]
	s_add_i32 s52, s52, 64
	s_cmp_eq_u32 s45, s31
	v_pk_fma_f32 v[48:49], v[48:49], v[2:3], v[8:9]
	s_cbranch_scc1 .LBB584_18
; %bb.17:                               ;   in Loop: Header=BB584_6 Depth=1
	s_mov_b32 s58, s31
	s_branch .LBB584_6
.LBB584_18:
	s_lshl_b32 s0, s45, 6
	s_sub_i32 s40, s47, s0
	s_cmp_gt_i32 s40, 0
	s_cbranch_scc0 .LBB584_75
; %bb.19:
	s_add_i32 s34, s0, s34
	s_ashr_i32 s2, s34, 31
	s_cmpk_lg_i32 s15, 0x80
	s_cselect_b64 s[26:27], -1, 0
	s_and_b64 vcc, exec, s[26:27]
	s_cbranch_vccz .LBB584_21
; %bb.20:
	s_mul_i32 s1, s34, s14
	s_ashr_i32 s3, s51, 31
	s_mul_hi_i32 s0, s34, s14
	s_add_u32 s38, s1, s51
	s_addc_u32 s39, s0, s3
	s_cbranch_execz .LBB584_22
	s_branch .LBB584_23
.LBB584_21:
                                        ; implicit-def: $sgpr38_sgpr39
.LBB584_22:
	s_mul_i32 s1, s51, s12
	s_mul_hi_i32 s0, s51, s12
	s_add_u32 s38, s1, s34
	s_addc_u32 s39, s0, s2
.LBB584_23:
	s_add_i32 s3, s45, s46
	s_ashr_i32 s12, s33, 31
	s_add_u32 s0, s49, s34
	s_addc_u32 s1, s48, s2
	s_mov_b32 s2, 0x7060302
	v_lshlrev_b32_e32 v6, 3, v1
	s_lshl_b64 s[24:25], s[0:1], 8
	v_perm_b32 v3, v53, v52, s2
	v_perm_b32 v2, v47, v46, s2
	;; [unrolled: 1-line block ×4, first 2 shown]
	v_lshlrev_b32_e32 v34, 2, v1
	v_lshl_or_b32 v6, v64, 5, v6
	s_add_u32 s0, s6, s24
	ds_write2st64_b64 v6, v[2:3], v[4:5] offset0:72 offset1:76
	v_xor_b32_e32 v6, v64, v34
	v_lshlrev_b32_e32 v7, 8, v1
	s_addc_u32 s1, s7, s25
	v_lshl_or_b32 v6, v6, 1, v7
	s_mul_hi_i32 s6, s3, s13
	s_mul_i32 s3, s3, s13
	ds_write_b64 v6, v[2:3] offset:32768
	v_xor_b32_e32 v2, v63, v34
	s_add_u32 s2, s3, s33
	v_lshl_or_b32 v2, v2, 1, v7
	s_addc_u32 s3, s6, s12
	v_lshlrev_b32_e32 v3, 1, v1
	ds_write_b64 v2, v[4:5] offset:32768
	v_lshrrev_b32_e32 v2, 4, v0
	s_ashr_i32 s31, s30, 31
	s_lshl_b64 s[2:3], s[2:3], 15
	v_or_b32_e32 v4, 1, v3
	s_add_u32 s6, s36, s2
	v_xor_b32_e32 v3, v2, v3
	v_xor_b32_e32 v4, v4, v2
	v_lshlrev_b32_e32 v6, 8, v2
	s_addc_u32 s7, s37, s3
	s_lshl_b64 s[2:3], s[30:31], 8
	v_lshl_or_b32 v2, v3, 3, v6
	v_lshl_or_b32 v4, v4, 3, v6
	s_waitcnt lgkmcnt(0)
	s_barrier
	s_add_u32 s2, s6, s2
	ds_read_b64 v[2:3], v2 offset:32768
	ds_read_b64 v[4:5], v4 offset:32768
	s_addc_u32 s3, s7, s3
	v_mov_b32_e32 v7, 0
	s_cmp_lg_u32 s40, 64
	v_lshl_add_u64 v[8:9], s[2:3], 0, v[6:7]
	v_lshlrev_b32_e32 v6, 4, v1
	s_cselect_b64 s[6:7], -1, 0
	v_lshl_or_b32 v35, v59, 3, v62
	s_mov_b32 s20, 0
	v_lshl_add_u64 v[6:7], v[8:9], 0, v[6:7]
	v_or_b32_e32 v19, 32, v35
	v_and_b32_e32 v18, 56, v61
	s_and_b64 vcc, exec, s[6:7]
	s_waitcnt lgkmcnt(0)
	global_store_dwordx4 v[6:7], v[2:5], off
	s_cbranch_vccz .LBB584_29
; %bb.24:
	s_mov_b32 s21, s20
	s_mov_b32 s22, s20
	;; [unrolled: 1-line block ×3, first 2 shown]
	v_mov_b64_e32 v[6:7], s[20:21]
	v_mov_b64_e32 v[8:9], s[22:23]
	;; [unrolled: 1-line block ×3, first 2 shown]
	v_cmp_gt_i32_e32 vcc, s40, v35
	v_mov_b64_e32 v[4:5], v[8:9]
	s_and_saveexec_b64 s[2:3], vcc
	s_cbranch_execz .LBB584_26
; %bb.25:
	v_lshlrev_b32_e32 v2, 8, v35
	v_mov_b32_e32 v3, 0
	v_lshl_add_u64 v[4:5], s[0:1], 0, v[2:3]
	v_lshlrev_b32_e32 v2, 1, v18
	v_lshl_add_u64 v[10:11], v[4:5], 0, v[2:3]
	global_load_dwordx4 v[6:9], v[10:11], off
	global_load_dwordx4 v[2:5], v[10:11], off offset:128
.LBB584_26:
	s_or_b64 exec, exec, s[2:3]
	s_mov_b32 s21, s20
	s_mov_b32 s22, s20
	;; [unrolled: 1-line block ×3, first 2 shown]
	v_mov_b64_e32 v[14:15], s[20:21]
	v_mov_b64_e32 v[16:17], s[22:23]
	;; [unrolled: 1-line block ×3, first 2 shown]
	v_cmp_gt_i32_e32 vcc, s40, v19
	v_lshlrev_b32_e32 v20, 7, v19
	v_mov_b64_e32 v[12:13], v[16:17]
	s_and_saveexec_b64 s[2:3], vcc
	s_cbranch_execz .LBB584_28
; %bb.27:
	v_lshlrev_b32_e32 v10, 1, v20
	v_mov_b32_e32 v11, 0
	v_lshl_add_u64 v[12:13], s[0:1], 0, v[10:11]
	v_lshlrev_b32_e32 v10, 1, v18
	v_lshl_add_u64 v[22:23], v[12:13], 0, v[10:11]
	global_load_dwordx4 v[14:17], v[22:23], off
	global_load_dwordx4 v[10:13], v[22:23], off offset:128
.LBB584_28:
	s_or_b64 exec, exec, s[2:3]
	v_lshrrev_b32_e32 v21, 3, v18
	v_lshlrev_b32_e32 v22, 3, v35
	v_or_b32_e32 v21, v22, v21
	v_lshlrev_b32_e32 v21, 4, v21
	v_and_b32_e32 v22, 0x78, v22
	v_xor_b32_e32 v21, v21, v22
	s_branch .LBB584_31
.LBB584_29:
                                        ; implicit-def: $vgpr21
                                        ; implicit-def: $vgpr20
                                        ; implicit-def: $vgpr6_vgpr7_vgpr8_vgpr9
                                        ; implicit-def: $vgpr2_vgpr3_vgpr4_vgpr5
                                        ; implicit-def: $vgpr14_vgpr15_vgpr16_vgpr17
                                        ; implicit-def: $vgpr10_vgpr11_vgpr12_vgpr13
	s_cbranch_execz .LBB584_31
; %bb.30:
	s_waitcnt vmcnt(0)
	v_lshlrev_b32_e32 v2, 1, v18
	v_lshl_or_b32 v20, v35, 8, v2
	s_and_b32 s1, s1, 0xffff
	s_mov_b32 s3, 0x20000
	s_movk_i32 s2, 0x4000
	v_lshl_or_b32 v21, v19, 8, v2
	s_movk_i32 s13, 0x80
	buffer_load_dwordx4 v[6:9], v20, s[0:3], 0 offen
	buffer_load_dwordx4 v[2:5], v20, s[0:3], s13 offen
	;; [unrolled: 1-line block ×4, first 2 shown]
	v_lshrrev_b32_e32 v20, 3, v18
	v_lshlrev_b32_e32 v21, 3, v35
	v_or_b32_e32 v20, v21, v20
	v_lshlrev_b32_e32 v20, 4, v20
	v_and_b32_e32 v21, 0x78, v21
	v_xor_b32_e32 v21, v20, v21
	v_lshlrev_b32_e32 v20, 7, v19
.LBB584_31:
	s_lshl_b64 s[0:1], s[38:39], 8
	s_add_u32 s4, s4, s0
	s_movk_i32 s0, 0x1000
	v_and_or_b32 v19, v20, s0, v21
	s_waitcnt vmcnt(1)
	ds_write_b64 v21, v[6:7] offset:16384
	v_xor_b32_e32 v6, 8, v21
	ds_write_b64 v6, v[8:9] offset:16384
	s_waitcnt vmcnt(0)
	ds_write_b64 v21, v[2:3] offset:24576
	ds_write_b64 v6, v[4:5] offset:24576
	;; [unrolled: 1-line block ×3, first 2 shown]
	v_xor_b32_e32 v2, 8, v19
	ds_write_b64 v2, v[16:17] offset:16384
	ds_write_b64 v19, v[10:11] offset:24576
	;; [unrolled: 1-line block ×3, first 2 shown]
	v_or_b32_e32 v2, v45, v1
	v_lshlrev_b32_e32 v2, 3, v2
	v_lshrrev_b32_e32 v4, 5, v58
	s_movk_i32 s14, 0xf8
	v_and_or_b32 v4, v2, s14, v4
	v_lshlrev_b32_e32 v3, 11, v59
	v_lshlrev_b32_e32 v12, 4, v4
	v_and_b32_e32 v13, 0x78, v2
	v_and_b32_e32 v14, 0x1000, v3
	v_lshlrev_b32_e32 v3, 2, v0
	v_xor_b32_e32 v2, v12, v13
	v_lshrrev_b32_e32 v4, 1, v58
	v_and_b32_e32 v3, 60, v3
	v_or_b32_e32 v2, v2, v14
	v_and_b32_e32 v15, 8, v4
	v_xor_b32_e32 v26, v2, v15
	v_lshl_or_b32 v2, v60, 6, v3
	v_lshlrev_b32_e32 v19, 1, v2
	v_or_b32_e32 v2, 32, v12
	v_xor_b32_e32 v2, v2, v13
	s_waitcnt lgkmcnt(0)
	s_barrier
	ds_read_b64 v[10:11], v26 offset:16384
	v_or_b32_e32 v2, v2, v14
	v_xor_b32_e32 v27, v2, v15
	v_or_b32_e32 v2, 64, v12
	v_xor_b32_e32 v2, v2, v13
	v_or_b32_e32 v2, v2, v14
	v_or_b32_e32 v12, 0x60, v12
	v_xor_b32_e32 v28, v2, v15
	ds_read2st64_b64 v[2:5], v19 offset0:72 offset1:73
	ds_read2st64_b64 v[6:9], v19 offset0:74 offset1:75
	v_xor_b32_e32 v16, v12, v13
	ds_read_b64 v[12:13], v27 offset:16384
	s_addc_u32 s5, s5, s1
	s_add_i32 s0, s43, s42
	s_waitcnt lgkmcnt(2)
	v_mfma_f32_16x16x16_bf16 a[0:3], v[10:11], v[2:3], 0
	s_add_i32 s2, s35, -1
	s_add_i32 s17, s0, s44
	s_mul_i32 s0, s33, s19
	s_mul_hi_u32 s1, s33, s18
	s_add_i32 s0, s1, s0
	s_mul_i32 s1, s12, s18
	s_ashr_i32 s3, s2, 31
	s_mul_i32 s12, s2, s29
	s_mul_hi_u32 s13, s2, s28
	s_add_i32 s12, s13, s12
	s_mul_i32 s3, s3, s28
	v_or_b32_e32 v14, v16, v14
	s_add_i32 s1, s0, s1
	s_add_i32 s3, s12, s3
	s_lshl_b64 s[12:13], s[16:17], 2
	v_xor_b32_e32 v36, v14, v15
	ds_read_b64 v[14:15], v28 offset:16384
	ds_read_b64 v[16:17], v36 offset:16384
	s_waitcnt lgkmcnt(2)
	v_mfma_f32_16x16x16_bf16 a[0:3], v[12:13], v[4:5], a[0:3]
	s_mul_i32 s0, s33, s18
	s_add_u32 s10, s10, s12
	s_addc_u32 s11, s11, s13
	s_lshl_b64 s[0:1], s[0:1], 2
	s_mul_i32 s2, s2, s28
	s_add_u32 s10, s10, s0
	s_addc_u32 s11, s11, s1
	s_lshl_b64 s[0:1], s[2:3], 2
	s_waitcnt lgkmcnt(1)
	v_mfma_f32_16x16x16_bf16 a[0:3], v[14:15], v[6:7], a[0:3]
	s_add_u32 s0, s10, s0
	s_addc_u32 s1, s11, s1
	s_load_dword s12, s[0:1], 0x0
	s_waitcnt lgkmcnt(0)
	v_mfma_f32_16x16x16_bf16 a[0:3], v[16:17], v[8:9], a[0:3]
	s_and_b64 vcc, exec, s[26:27]
	s_cbranch_vccz .LBB584_42
; %bb.32:
	v_lshlrev_b32_e32 v20, 1, v35
	s_and_b64 vcc, exec, s[6:7]
	s_cbranch_vccz .LBB584_43
; %bb.33:
	v_cmp_gt_i32_e32 vcc, s40, v20
	v_mov_b32_e32 v6, 0
	v_mov_b32_e32 v2, 0
	v_mov_b32_e32 v3, 0
	v_mov_b32_e32 v4, 0
	v_mov_b32_e32 v5, 0
	s_and_saveexec_b64 s[0:1], vcc
	s_cbranch_execz .LBB584_35
; %bb.34:
	v_mad_i64_i32 v[2:3], s[2:3], s15, v20, 0
	v_lshl_add_u64 v[2:3], v[2:3], 1, s[4:5]
	v_lshlrev_b32_e32 v4, 1, v18
	v_mov_b32_e32 v5, 0
	v_lshl_add_u64 v[2:3], v[2:3], 0, v[4:5]
	global_load_dwordx4 v[2:5], v[2:3], off
.LBB584_35:
	s_or_b64 exec, exec, s[0:1]
	v_or_b32_e32 v21, 1, v20
	v_cmp_gt_i32_e64 s[0:1], s40, v21
	v_mov_b32_e32 v7, 0
	v_mov_b32_e32 v8, 0
	;; [unrolled: 1-line block ×3, first 2 shown]
	s_and_saveexec_b64 s[2:3], s[0:1]
	s_cbranch_execz .LBB584_37
; %bb.36:
	v_mad_i64_i32 v[6:7], s[16:17], s15, v21, 0
	v_lshl_add_u64 v[6:7], v[6:7], 1, s[4:5]
	v_lshlrev_b32_e32 v8, 1, v18
	v_mov_b32_e32 v9, 0
	v_lshl_add_u64 v[6:7], v[6:7], 0, v[8:9]
	global_load_dwordx4 v[6:9], v[6:7], off
.LBB584_37:
	s_or_b64 exec, exec, s[2:3]
	v_mov_b32_e32 v17, 0
	v_mov_b32_e32 v10, 0
	;; [unrolled: 1-line block ×5, first 2 shown]
	s_and_saveexec_b64 s[2:3], vcc
	s_cbranch_execz .LBB584_39
; %bb.38:
	v_mad_i64_i32 v[10:11], s[16:17], s15, v20, 0
	v_lshl_add_u64 v[10:11], v[10:11], 1, s[4:5]
	v_lshlrev_b32_e32 v12, 1, v18
	v_mov_b32_e32 v13, 0
	v_lshl_add_u64 v[10:11], v[10:11], 0, v[12:13]
	global_load_dwordx4 v[10:13], v[10:11], off offset:128
.LBB584_39:
	s_or_b64 exec, exec, s[2:3]
	v_mov_b32_e32 v16, 0
	v_mov_b32_e32 v15, 0
	;; [unrolled: 1-line block ×3, first 2 shown]
	s_and_saveexec_b64 s[2:3], s[0:1]
	s_cbranch_execz .LBB584_41
; %bb.40:
	v_mad_i64_i32 v[14:15], s[0:1], s15, v21, 0
	v_lshl_add_u64 v[14:15], v[14:15], 1, s[4:5]
	v_lshlrev_b32_e32 v16, 1, v18
	v_mov_b32_e32 v17, 0
	v_lshl_add_u64 v[14:15], v[14:15], 0, v[16:17]
	global_load_dwordx4 v[14:17], v[14:15], off offset:128
.LBB584_41:
	s_or_b64 exec, exec, s[2:3]
	s_branch .LBB584_45
.LBB584_42:
                                        ; implicit-def: $vgpr5
                                        ; implicit-def: $vgpr9
                                        ; implicit-def: $vgpr13
                                        ; implicit-def: $vgpr17
	v_lshrrev_b32_e32 v37, 2, v58
	s_branch .LBB584_46
.LBB584_43:
                                        ; implicit-def: $vgpr5
                                        ; implicit-def: $vgpr9
                                        ; implicit-def: $vgpr13
                                        ; implicit-def: $vgpr17
	s_cbranch_execz .LBB584_45
; %bb.44:
	s_waitcnt vmcnt(0)
	v_mad_u64_u32 v[2:3], s[0:1], v20, s15, v[18:19]
	v_lshlrev_b32_e32 v20, 1, v2
	s_lshl_b32 s2, s15, 7
	s_and_b32 s1, s5, 0xffff
	s_mov_b32 s3, 0x20000
	s_mov_b32 s0, s4
	v_add_lshl_u32 v21, v2, s15, 1
	s_movk_i32 s13, 0x80
	buffer_load_dwordx4 v[2:5], v20, s[0:3], 0 offen
	buffer_load_dwordx4 v[10:13], v20, s[0:3], s13 offen
	;; [unrolled: 1-line block ×4, first 2 shown]
.LBB584_45:
	v_lshrrev_b32_e32 v37, 2, v58
	s_cbranch_execnz .LBB584_58
.LBB584_46:
	s_and_b64 vcc, exec, s[6:7]
	s_cbranch_vccz .LBB584_56
; %bb.47:
	s_waitcnt vmcnt(0)
	v_lshlrev_b32_e32 v7, 1, v35
	v_cmp_gt_i32_e32 vcc, s40, v7
	v_mov_b32_e32 v6, 0
	v_lshlrev_b32_e32 v14, 9, v35
	v_mov_b32_e32 v2, 0
	v_mov_b32_e32 v3, 0
	;; [unrolled: 1-line block ×4, first 2 shown]
	s_and_saveexec_b64 s[0:1], vcc
	s_cbranch_execz .LBB584_49
; %bb.48:
	v_mov_b32_e32 v15, 0
	v_lshl_add_u64 v[2:3], s[4:5], 0, v[14:15]
	v_lshlrev_b32_e32 v4, 1, v18
	v_mov_b32_e32 v5, v15
	v_lshl_add_u64 v[2:3], v[2:3], 0, v[4:5]
	global_load_dwordx4 v[2:5], v[2:3], off
.LBB584_49:
	s_or_b64 exec, exec, s[0:1]
	v_or_b32_e32 v7, 1, v7
	v_cmp_gt_i32_e64 s[0:1], s40, v7
	v_lshlrev_b32_e32 v20, 8, v7
	v_mov_b32_e32 v7, 0
	v_mov_b32_e32 v8, 0
	;; [unrolled: 1-line block ×3, first 2 shown]
	s_and_saveexec_b64 s[2:3], s[0:1]
	s_cbranch_execz .LBB584_51
; %bb.50:
	v_mov_b32_e32 v21, 0
	v_lshl_add_u64 v[6:7], s[4:5], 0, v[20:21]
	v_lshlrev_b32_e32 v8, 1, v18
	v_mov_b32_e32 v9, v21
	v_lshl_add_u64 v[6:7], v[6:7], 0, v[8:9]
	global_load_dwordx4 v[6:9], v[6:7], off
.LBB584_51:
	s_or_b64 exec, exec, s[2:3]
	v_mov_b32_e32 v17, 0
	v_mov_b32_e32 v10, 0
	;; [unrolled: 1-line block ×5, first 2 shown]
	s_and_saveexec_b64 s[2:3], vcc
	s_cbranch_execz .LBB584_53
; %bb.52:
	v_mov_b32_e32 v15, 0
	v_lshl_add_u64 v[10:11], s[4:5], 0, v[14:15]
	v_lshlrev_b32_e32 v14, 1, v18
	v_lshl_add_u64 v[10:11], v[10:11], 0, v[14:15]
	global_load_dwordx4 v[10:13], v[10:11], off offset:128
.LBB584_53:
	s_or_b64 exec, exec, s[2:3]
	v_mov_b32_e32 v16, 0
	v_mov_b32_e32 v15, 0
	;; [unrolled: 1-line block ×3, first 2 shown]
	s_and_saveexec_b64 s[2:3], s[0:1]
	s_cbranch_execz .LBB584_55
; %bb.54:
	v_mov_b32_e32 v21, 0
	v_lshl_add_u64 v[14:15], s[4:5], 0, v[20:21]
	v_lshlrev_b32_e32 v20, 1, v18
	v_lshl_add_u64 v[14:15], v[14:15], 0, v[20:21]
	global_load_dwordx4 v[14:17], v[14:15], off offset:128
.LBB584_55:
	s_or_b64 exec, exec, s[2:3]
	s_branch .LBB584_58
.LBB584_56:
                                        ; implicit-def: $vgpr5
                                        ; implicit-def: $vgpr9
                                        ; implicit-def: $vgpr13
                                        ; implicit-def: $vgpr17
	s_cbranch_execz .LBB584_58
; %bb.57:
	s_waitcnt vmcnt(0)
	v_lshlrev_b32_e32 v2, 1, v18
	v_lshl_or_b32 v18, v35, 9, v2
	s_and_b32 s5, s5, 0xffff
	s_mov_b32 s7, 0x20000
	s_movk_i32 s6, 0x4000
	s_movk_i32 s0, 0x80
	buffer_load_dwordx4 v[2:5], v18, s[4:7], 0 offen
	buffer_load_dwordx4 v[6:9], v18, s[4:7], 0 offen offset:256
	buffer_load_dwordx4 v[10:13], v18, s[4:7], s0 offen
	buffer_load_dwordx4 v[14:17], v18, s[4:7], s0 offen offset:256
.LBB584_58:
	ds_read2st64_b64 v[22:25], v19 offset0:76 offset1:77
	ds_read2st64_b64 v[18:21], v19 offset0:78 offset1:79
	ds_read_b64 v[30:31], v26 offset:24576
	ds_read_b64 v[32:33], v27 offset:24576
	;; [unrolled: 1-line block ×4, first 2 shown]
	v_and_b32_e32 v36, 6, v0
	v_xor_b32_e32 v35, v35, v36
	v_lshlrev_b32_e32 v35, 2, v35
	v_and_b32_e32 v0, 1, v0
	v_xor_b32_e32 v38, 0x440, v35
	v_cmp_eq_u32_e32 vcc, 0, v0
	s_mov_b32 s0, 0x1000504
	s_mov_b32 s1, 0x3020706
	v_cndmask_b32_e32 v0, v38, v35, vcc
	v_lshl_or_b32 v0, v36, 10, v0
	s_waitcnt vmcnt(0)
	v_perm_b32 v35, v2, v6, s0
	v_perm_b32 v36, v10, v14, s0
	ds_write2st64_b32 v0, v35, v36 offset1:32
	v_xor_b32_e32 v35, 8, v0
	v_perm_b32 v2, v2, v6, s1
	v_perm_b32 v6, v10, v14, s1
	v_add_u32_e32 v10, 0x80, v35
	ds_write2st64_b32 v10, v2, v6 offset1:32
	v_xor_b32_e32 v2, 16, v0
	v_perm_b32 v6, v3, v7, s0
	v_perm_b32 v10, v11, v15, s0
	ds_write2st64_b32 v2, v6, v10 offset0:1 offset1:33
	v_xor_b32_e32 v2, 24, v0
	v_perm_b32 v3, v3, v7, s1
	v_perm_b32 v6, v11, v15, s1
	v_add_u32_e32 v2, 0x80, v2
	ds_write2st64_b32 v2, v3, v6 offset0:1 offset1:33
	v_xor_b32_e32 v2, 32, v0
	v_perm_b32 v3, v4, v8, s0
	v_perm_b32 v6, v12, v16, s0
	ds_write2st64_b32 v2, v3, v6 offset0:2 offset1:34
	v_xor_b32_e32 v2, 40, v0
	v_perm_b32 v3, v4, v8, s1
	v_perm_b32 v4, v12, v16, s1
	v_add_u32_e32 v2, 0x80, v2
	ds_write2st64_b32 v2, v3, v4 offset0:2 offset1:34
	v_xor_b32_e32 v2, 48, v0
	v_perm_b32 v3, v5, v9, s0
	v_perm_b32 v4, v13, v17, s0
	v_xor_b32_e32 v0, 56, v0
	v_and_or_b32 v6, v37, 12, v45
	ds_write2st64_b32 v2, v3, v4 offset0:3 offset1:35
	v_perm_b32 v2, v5, v9, s1
	v_perm_b32 v3, v13, v17, s1
	v_add_u32_e32 v0, 0x80, v0
	v_cmp_gt_i32_e32 vcc, s40, v6
	v_mov_b32_e32 v7, 0
	v_mov_b32_e32 v11, 0
	ds_write2st64_b32 v0, v2, v3 offset0:3 offset1:35
	s_and_saveexec_b64 s[0:1], vcc
	s_cbranch_execz .LBB584_60
; %bb.59:
	v_add_u32_e32 v0, s34, v6
	v_ashrrev_i32_e32 v2, 31, v0
	v_mul_lo_u32 v4, v2, s28
	v_mul_lo_u32 v5, v0, s29
	v_mad_u64_u32 v[2:3], s[2:3], v0, s28, 0
	v_add3_u32 v3, v3, v5, v4
	v_lshl_add_u64 v[2:3], v[2:3], 2, s[10:11]
	global_load_dword v0, v[2:3], off
	s_waitcnt vmcnt(0)
	v_sub_f32_e32 v0, s12, v0
	v_mul_f32_e32 v0, 0x3fb8aa3b, v0
	v_exp_f32_e32 v11, v0
.LBB584_60:
	s_or_b64 exec, exec, s[0:1]
	v_or_b32_e32 v9, 1, v6
	v_cmp_gt_i32_e64 s[0:1], s40, v9
	s_and_saveexec_b64 s[2:3], s[0:1]
	s_cbranch_execz .LBB584_62
; %bb.61:
	v_add_u32_e32 v0, s34, v9
	v_ashrrev_i32_e32 v2, 31, v0
	v_mul_lo_u32 v4, v2, s28
	v_mul_lo_u32 v5, v0, s29
	v_mad_u64_u32 v[2:3], s[4:5], v0, s28, 0
	v_add3_u32 v3, v3, v5, v4
	v_lshl_add_u64 v[2:3], v[2:3], 2, s[10:11]
	global_load_dword v0, v[2:3], off
	s_waitcnt vmcnt(0)
	v_sub_f32_e32 v0, s12, v0
	v_mul_f32_e32 v0, 0x3fb8aa3b, v0
	v_exp_f32_e32 v7, v0
.LBB584_62:
	s_or_b64 exec, exec, s[2:3]
	v_or_b32_e32 v10, 2, v6
	v_cmp_gt_i32_e64 s[2:3], s40, v10
	v_mov_b32_e32 v8, 0
	v_mov_b32_e32 v13, 0
	s_and_saveexec_b64 s[4:5], s[2:3]
	s_cbranch_execz .LBB584_64
; %bb.63:
	v_add_u32_e32 v0, s34, v10
	v_ashrrev_i32_e32 v2, 31, v0
	v_mul_lo_u32 v4, v2, s28
	v_mul_lo_u32 v5, v0, s29
	v_mad_u64_u32 v[2:3], s[6:7], v0, s28, 0
	v_add3_u32 v3, v3, v5, v4
	v_lshl_add_u64 v[2:3], v[2:3], 2, s[10:11]
	global_load_dword v0, v[2:3], off
	s_waitcnt vmcnt(0)
	v_sub_f32_e32 v0, s12, v0
	v_mul_f32_e32 v0, 0x3fb8aa3b, v0
	v_exp_f32_e32 v13, v0
.LBB584_64:
	s_or_b64 exec, exec, s[4:5]
	v_or_b32_e32 v12, 3, v6
	v_cmp_gt_i32_e64 s[4:5], s40, v12
	s_and_saveexec_b64 s[6:7], s[4:5]
	s_cbranch_execz .LBB584_66
; %bb.65:
	v_add_u32_e32 v0, s34, v12
	v_ashrrev_i32_e32 v2, 31, v0
	v_mul_lo_u32 v4, v2, s28
	v_mul_lo_u32 v5, v0, s29
	v_mad_u64_u32 v[2:3], s[14:15], v0, s28, 0
	v_add3_u32 v3, v3, v5, v4
	v_lshl_add_u64 v[2:3], v[2:3], 2, s[10:11]
	global_load_dword v0, v[2:3], off
	s_waitcnt vmcnt(0)
	v_sub_f32_e32 v0, s12, v0
	v_mul_f32_e32 v0, 0x3fb8aa3b, v0
	v_exp_f32_e32 v8, v0
.LBB584_66:
	s_or_b64 exec, exec, s[6:7]
	s_waitcnt lgkmcnt(11)
	v_mfma_f32_16x16x16_bf16 a[0:3], v[30:31], v[22:23], a[0:3]
	v_or_b32_e32 v0, s30, v1
	s_add_u32 s6, s8, s24
	s_addc_u32 s7, s9, s25
	s_waitcnt lgkmcnt(10)
	v_mfma_f32_16x16x16_bf16 a[0:3], v[32:33], v[24:25], a[0:3]
	v_ashrrev_i32_e32 v1, 31, v0
	v_lshl_add_u64 v[4:5], v[0:1], 1, s[6:7]
	v_mov_b32_e32 v14, 0
	s_waitcnt lgkmcnt(9)
	v_mfma_f32_16x16x16_bf16 a[0:3], v[28:29], v[18:19], a[0:3]
	v_mov_b32_e32 v15, 0
	s_waitcnt lgkmcnt(8)
	v_mfma_f32_16x16x16_bf16 a[0:3], v[26:27], v[20:21], a[0:3]
	s_nop 6
	v_accvgpr_read_b32 v0, a0
	v_accvgpr_read_b32 v1, a1
	;; [unrolled: 1-line block ×4, first 2 shown]
	s_and_saveexec_b64 s[6:7], vcc
	s_cbranch_execz .LBB584_68
; %bb.67:
	v_lshlrev_b32_e32 v16, 8, v6
	v_mov_b32_e32 v17, 0
	v_lshl_add_u64 v[16:17], v[4:5], 0, v[16:17]
	global_load_ushort v15, v[16:17], off
	s_waitcnt vmcnt(0)
	v_lshlrev_b32_e32 v15, 16, v15
	v_sub_f32_e32 v0, v15, v0
	v_mul_f32_e32 v0, v11, v0
	v_lshrrev_b32_e32 v15, 16, v0
.LBB584_68:
	s_or_b64 exec, exec, s[6:7]
	s_and_saveexec_b64 s[6:7], s[0:1]
	s_cbranch_execz .LBB584_70
; %bb.69:
	v_lshlrev_b32_e32 v16, 8, v9
	v_mov_b32_e32 v17, 0
	v_lshl_add_u64 v[16:17], v[4:5], 0, v[16:17]
	global_load_ushort v0, v[16:17], off
	s_waitcnt vmcnt(0)
	v_lshlrev_b32_e32 v0, 16, v0
	v_sub_f32_e32 v0, v0, v1
	v_mul_f32_e32 v0, v7, v0
	v_lshrrev_b32_e32 v14, 16, v0
.LBB584_70:
	s_or_b64 exec, exec, s[6:7]
	v_mov_b32_e32 v0, 0
	v_mov_b32_e32 v1, 0
	s_and_saveexec_b64 s[0:1], s[2:3]
	s_cbranch_execz .LBB584_72
; %bb.71:
	v_lshlrev_b32_e32 v10, 8, v10
	v_mov_b32_e32 v11, 0
	v_lshl_add_u64 v[10:11], v[4:5], 0, v[10:11]
	global_load_ushort v1, v[10:11], off
	s_waitcnt vmcnt(0)
	v_lshlrev_b32_e32 v1, 16, v1
	v_sub_f32_e32 v1, v1, v2
	v_mul_f32_e32 v1, v13, v1
	v_lshrrev_b32_e32 v1, 16, v1
.LBB584_72:
	s_or_b64 exec, exec, s[0:1]
	s_and_saveexec_b64 s[0:1], s[4:5]
	s_cbranch_execz .LBB584_74
; %bb.73:
	v_lshlrev_b32_e32 v10, 8, v12
	v_mov_b32_e32 v11, 0
	v_lshl_add_u64 v[4:5], v[4:5], 0, v[10:11]
	global_load_ushort v0, v[4:5], off
	s_waitcnt vmcnt(0)
	v_lshlrev_b32_e32 v0, 16, v0
	v_sub_f32_e32 v0, v0, v3
	v_mul_f32_e32 v0, v8, v0
	v_lshrrev_b32_e32 v0, 16, v0
.LBB584_74:
	s_or_b64 exec, exec, s[0:1]
	s_mov_b32 s0, 0x5040100
	v_lshlrev_b32_e32 v2, 1, v34
	v_perm_b32 v1, v0, v1, s0
	v_perm_b32 v0, v14, v15, s0
	v_lshl_or_b32 v2, v6, 5, v2
	ds_write_b64 v2, v[0:1] offset:38912
	s_waitcnt lgkmcnt(0)
	s_barrier
.LBB584_75:
	s_endpgm
	.section	.rodata,"a",@progbits
	.p2align	6, 0x0
	.amdhsa_kernel _ZN12_GLOBAL__N_139chunk_gated_delta_rule_fwd_h_hip_kernelILi16ELb0ELb0ELb0ELb1ELb0ELb1ELb1ELb1EEEvPK12hip_bfloat16S3_S3_PKfS5_PKvPS1_S8_PvPKiSB_iiiiilll
		.amdhsa_group_segment_fixed_size 40960
		.amdhsa_private_segment_fixed_size 0
		.amdhsa_kernarg_size 136
		.amdhsa_user_sgpr_count 2
		.amdhsa_user_sgpr_dispatch_ptr 0
		.amdhsa_user_sgpr_queue_ptr 0
		.amdhsa_user_sgpr_kernarg_segment_ptr 1
		.amdhsa_user_sgpr_dispatch_id 0
		.amdhsa_user_sgpr_kernarg_preload_length 0
		.amdhsa_user_sgpr_kernarg_preload_offset 0
		.amdhsa_user_sgpr_private_segment_size 0
		.amdhsa_uses_dynamic_stack 0
		.amdhsa_enable_private_segment 0
		.amdhsa_system_sgpr_workgroup_id_x 1
		.amdhsa_system_sgpr_workgroup_id_y 1
		.amdhsa_system_sgpr_workgroup_id_z 0
		.amdhsa_system_sgpr_workgroup_info 0
		.amdhsa_system_vgpr_workitem_id 0
		.amdhsa_next_free_vgpr 128
		.amdhsa_next_free_sgpr 60
		.amdhsa_accum_offset 116
		.amdhsa_reserve_vcc 1
		.amdhsa_float_round_mode_32 0
		.amdhsa_float_round_mode_16_64 0
		.amdhsa_float_denorm_mode_32 3
		.amdhsa_float_denorm_mode_16_64 3
		.amdhsa_dx10_clamp 1
		.amdhsa_ieee_mode 1
		.amdhsa_fp16_overflow 0
		.amdhsa_tg_split 0
		.amdhsa_exception_fp_ieee_invalid_op 0
		.amdhsa_exception_fp_denorm_src 0
		.amdhsa_exception_fp_ieee_div_zero 0
		.amdhsa_exception_fp_ieee_overflow 0
		.amdhsa_exception_fp_ieee_underflow 0
		.amdhsa_exception_fp_ieee_inexact 0
		.amdhsa_exception_int_div_zero 0
	.end_amdhsa_kernel
	.section	.text._ZN12_GLOBAL__N_139chunk_gated_delta_rule_fwd_h_hip_kernelILi16ELb0ELb0ELb0ELb1ELb0ELb1ELb1ELb1EEEvPK12hip_bfloat16S3_S3_PKfS5_PKvPS1_S8_PvPKiSB_iiiiilll,"axG",@progbits,_ZN12_GLOBAL__N_139chunk_gated_delta_rule_fwd_h_hip_kernelILi16ELb0ELb0ELb0ELb1ELb0ELb1ELb1ELb1EEEvPK12hip_bfloat16S3_S3_PKfS5_PKvPS1_S8_PvPKiSB_iiiiilll,comdat
.Lfunc_end584:
	.size	_ZN12_GLOBAL__N_139chunk_gated_delta_rule_fwd_h_hip_kernelILi16ELb0ELb0ELb0ELb1ELb0ELb1ELb1ELb1EEEvPK12hip_bfloat16S3_S3_PKfS5_PKvPS1_S8_PvPKiSB_iiiiilll, .Lfunc_end584-_ZN12_GLOBAL__N_139chunk_gated_delta_rule_fwd_h_hip_kernelILi16ELb0ELb0ELb0ELb1ELb0ELb1ELb1ELb1EEEvPK12hip_bfloat16S3_S3_PKfS5_PKvPS1_S8_PvPKiSB_iiiiilll
                                        ; -- End function
	.section	.AMDGPU.csdata,"",@progbits
; Kernel info:
; codeLenInByte = 7304
; NumSgprs: 66
; NumVgprs: 114
; NumAgprs: 12
; TotalNumVgprs: 128
; ScratchSize: 0
; MemoryBound: 0
; FloatMode: 240
; IeeeMode: 1
; LDSByteSize: 40960 bytes/workgroup (compile time only)
; SGPRBlocks: 8
; VGPRBlocks: 15
; NumSGPRsForWavesPerEU: 66
; NumVGPRsForWavesPerEU: 128
; AccumOffset: 116
; Occupancy: 1
; WaveLimiterHint : 1
; COMPUTE_PGM_RSRC2:SCRATCH_EN: 0
; COMPUTE_PGM_RSRC2:USER_SGPR: 2
; COMPUTE_PGM_RSRC2:TRAP_HANDLER: 0
; COMPUTE_PGM_RSRC2:TGID_X_EN: 1
; COMPUTE_PGM_RSRC2:TGID_Y_EN: 1
; COMPUTE_PGM_RSRC2:TGID_Z_EN: 0
; COMPUTE_PGM_RSRC2:TIDIG_COMP_CNT: 0
; COMPUTE_PGM_RSRC3_GFX90A:ACCUM_OFFSET: 28
; COMPUTE_PGM_RSRC3_GFX90A:TG_SPLIT: 0
	.section	.text._ZN12_GLOBAL__N_139chunk_gated_delta_rule_fwd_h_hip_kernelILi16ELb1ELb1ELb1ELb0ELb0ELb1ELb1ELb1EEEvPK12hip_bfloat16S3_S3_PKfS5_PKvPS1_S8_PvPKiSB_iiiiilll,"axG",@progbits,_ZN12_GLOBAL__N_139chunk_gated_delta_rule_fwd_h_hip_kernelILi16ELb1ELb1ELb1ELb0ELb0ELb1ELb1ELb1EEEvPK12hip_bfloat16S3_S3_PKfS5_PKvPS1_S8_PvPKiSB_iiiiilll,comdat
	.globl	_ZN12_GLOBAL__N_139chunk_gated_delta_rule_fwd_h_hip_kernelILi16ELb1ELb1ELb1ELb0ELb0ELb1ELb1ELb1EEEvPK12hip_bfloat16S3_S3_PKfS5_PKvPS1_S8_PvPKiSB_iiiiilll ; -- Begin function _ZN12_GLOBAL__N_139chunk_gated_delta_rule_fwd_h_hip_kernelILi16ELb1ELb1ELb1ELb0ELb0ELb1ELb1ELb1EEEvPK12hip_bfloat16S3_S3_PKfS5_PKvPS1_S8_PvPKiSB_iiiiilll
	.p2align	8
	.type	_ZN12_GLOBAL__N_139chunk_gated_delta_rule_fwd_h_hip_kernelILi16ELb1ELb1ELb1ELb0ELb0ELb1ELb1ELb1EEEvPK12hip_bfloat16S3_S3_PKfS5_PKvPS1_S8_PvPKiSB_iiiiilll,@function
_ZN12_GLOBAL__N_139chunk_gated_delta_rule_fwd_h_hip_kernelILi16ELb1ELb1ELb1ELb0ELb0ELb1ELb1ELb1EEEvPK12hip_bfloat16S3_S3_PKfS5_PKvPS1_S8_PvPKiSB_iiiiilll: ; @_ZN12_GLOBAL__N_139chunk_gated_delta_rule_fwd_h_hip_kernelILi16ELb1ELb1ELb1ELb0ELb0ELb1ELb1ELb1EEEvPK12hip_bfloat16S3_S3_PKfS5_PKvPS1_S8_PvPKiSB_iiiiilll
; %bb.0:
	s_load_dwordx4 s[24:27], s[0:1], 0x5c
	s_abs_i32 s6, s3
	s_ashr_i32 s5, s3, 31
	v_and_b32_e32 v67, 15, v0
	v_bfe_u32 v66, v0, 4, 2
	s_waitcnt lgkmcnt(0)
	s_abs_i32 s4, s25
	v_cvt_f32_u32_e32 v1, s4
	s_sub_i32 s8, 0, s4
	s_ashr_i32 s7, s25, 31
	s_xor_b32 s5, s5, s7
	v_rcp_iflag_f32_e32 v1, v1
	v_mov_b32_e32 v49, 0
	v_lshlrev_b32_e32 v68, 3, v0
	v_mul_f32_e32 v1, 0x4f7ffffe, v1
	v_cvt_u32_f32_e32 v1, v1
	s_nop 0
	v_readfirstlane_b32 s9, v1
	s_mul_i32 s8, s8, s9
	s_mul_hi_u32 s8, s9, s8
	s_add_i32 s9, s9, s8
	s_mul_hi_u32 s8, s6, s9
	s_mul_i32 s9, s8, s4
	s_sub_i32 s6, s6, s9
	s_add_i32 s10, s8, 1
	s_sub_i32 s9, s6, s4
	s_cmp_ge_u32 s6, s4
	s_cselect_b32 s8, s10, s8
	s_cselect_b32 s6, s9, s6
	s_add_i32 s9, s8, 1
	s_cmp_ge_u32 s6, s4
	s_cselect_b32 s6, s9, s8
	s_xor_b32 s6, s6, s5
	s_sub_i32 s59, s6, s5
	s_mul_i32 s6, s59, s25
	s_sub_i32 s33, s3, s6
	s_abs_i32 s3, s26
	v_cvt_f32_u32_e32 v1, s3
	s_add_i32 s8, s24, 63
	s_ashr_i32 s9, s8, 31
	s_lshr_b32 s5, s9, 26
	v_rcp_iflag_f32_e32 v1, v1
	s_ashr_i32 s58, s24, 31
	s_add_i32 s8, s8, s5
	s_lshr_b32 s5, s58, 26
	v_mul_f32_e32 v1, 0x4f7ffffe, v1
	v_cvt_u32_f32_e32 v1, v1
	s_add_i32 s5, s24, s5
	s_ashr_i32 s61, s26, 31
	s_ashr_i32 s28, s8, 6
	;; [unrolled: 1-line block ×3, first 2 shown]
	s_xor_b32 s5, s7, s61
	s_sub_i32 s7, 0, s3
	v_readfirstlane_b32 s8, v1
	s_mul_i32 s7, s7, s8
	s_mul_hi_u32 s7, s8, s7
	s_add_i32 s8, s8, s7
	s_mul_hi_u32 s7, s4, s8
	s_mul_i32 s8, s7, s3
	s_sub_i32 s4, s4, s8
	s_lshl_b32 s2, s2, 4
	s_add_i32 s8, s7, 1
	s_sub_i32 s9, s4, s3
	s_cmp_ge_u32 s4, s3
	s_cselect_b32 s7, s8, s7
	s_cselect_b32 s4, s9, s4
	s_add_i32 s8, s7, 1
	s_cmp_ge_u32 s4, s3
	s_cselect_b32 s3, s8, s7
	s_xor_b32 s3, s3, s5
	s_sub_i32 s3, s3, s5
	s_abs_i32 s4, s3
	v_cvt_f32_u32_e32 v1, s4
	s_sub_i32 s7, 0, s4
	s_abs_i32 s5, s33
	s_xor_b32 s3, s33, s3
	v_rcp_iflag_f32_e32 v2, v1
	s_ashr_i32 s3, s3, 31
	s_load_dwordx8 s[8:15], s[0:1], 0x20
	v_lshrrev_b32_e32 v1, 6, v0
	v_mul_f32_e32 v2, 0x4f7ffffe, v2
	v_cvt_u32_f32_e32 v2, v2
	v_or_b32_e32 v58, s2, v67
	v_lshlrev_b32_e32 v45, 4, v1
	v_lshlrev_b32_e32 v46, 7, v58
	v_readfirstlane_b32 s16, v2
	s_mul_i32 s7, s7, s16
	s_mul_hi_u32 s7, s16, s7
	s_add_i32 s16, s16, s7
	s_mul_hi_u32 s7, s5, s16
	s_mul_i32 s16, s7, s4
	s_sub_i32 s5, s5, s16
	s_add_i32 s16, s7, 1
	s_sub_i32 s17, s5, s4
	s_cmp_ge_u32 s5, s4
	s_cselect_b32 s7, s16, s7
	s_cselect_b32 s5, s17, s5
	s_add_i32 s16, s7, 1
	s_cmp_ge_u32 s5, s4
	s_cselect_b32 s4, s16, s7
	s_xor_b32 s4, s4, s3
	s_sub_i32 s62, s4, s3
	s_ashr_i32 s3, s59, 31
	s_ashr_i32 s50, s33, 31
	s_mul_hi_i32 s4, s59, s25
	s_add_u32 s42, s6, s33
	s_addc_u32 s43, s4, s50
	s_lshl_b64 s[34:35], s[42:43], 15
	s_waitcnt lgkmcnt(0)
	s_add_u32 s4, s10, s34
	v_lshl_or_b32 v70, v66, 2, v45
	s_addc_u32 s5, s11, s35
	v_ashrrev_i32_e32 v47, 31, v46
	v_lshl_add_u64 v[2:3], v[46:47], 1, s[4:5]
	v_lshlrev_b32_e32 v48, 1, v70
	v_lshl_add_u64 v[2:3], v[2:3], 0, v[48:49]
	global_load_dwordx2 v[4:5], v[2:3], off
	global_load_dwordx2 v[6:7], v[2:3], off offset:128
	s_load_dwordx2 s[10:11], s[0:1], 0x40
	s_load_dwordx8 s[16:23], s[0:1], 0x0
	s_load_dwordx2 s[36:37], s[0:1], 0x80
	s_load_dwordx4 s[4:7], s[0:1], 0x70
	v_and_b32_e32 v49, 63, v0
	v_lshrrev_b32_e32 v69, 3, v49
	v_or_b32_e32 v71, 64, v70
	s_mul_i32 s51, s59, s24
	s_waitcnt lgkmcnt(0)
	s_mul_i32 s52, s59, s5
	s_mul_hi_u32 s53, s59, s4
	s_mul_i32 s40, s59, s4
	s_mul_i32 s63, s59, s28
	;; [unrolled: 1-line block ×3, first 2 shown]
	s_mul_hi_u32 s55, s33, s6
	s_mul_i32 s57, s3, s4
	s_mul_i32 s56, s50, s6
	s_mul_hi_u32 s64, s42, s24
	s_mul_i32 s44, s42, s24
	s_mul_i32 s65, s43, s24
	s_cmp_lt_i32 s24, 64
	s_mul_i32 s38, s33, s6
	s_waitcnt vmcnt(1)
	v_and_b32_e32 v53, 0xffff0000, v4
	v_lshlrev_b32_e32 v52, 16, v4
	v_and_b32_e32 v57, 0xffff0000, v5
	v_lshlrev_b32_e32 v56, 16, v5
	s_waitcnt vmcnt(0)
	v_and_b32_e32 v51, 0xffff0000, v6
	v_lshlrev_b32_e32 v50, 16, v6
	v_and_b32_e32 v55, 0xffff0000, v7
	v_lshlrev_b32_e32 v54, 16, v7
	s_cbranch_scc1 .LBB585_18
; %bb.1:
	s_add_i32 s45, s64, s65
	s_lshl_b64 s[0:1], s[44:45], 8
	v_and_b32_e32 v73, 56, v68
	s_add_u32 s4, s18, s0
	v_lshl_or_b32 v72, v1, 3, v69
	v_lshlrev_b32_e32 v2, 1, v73
	s_addc_u32 s0, s19, s1
	v_lshl_or_b32 v74, v72, 8, v2
	s_and_b32 s5, s0, 0xffff
	s_mov_b32 s7, 0x20000
	s_movk_i32 s6, 0x4000
	s_movk_i32 s0, 0x80
	v_or_b32_e32 v75, 0x2000, v74
	buffer_load_dwordx4 v[4:7], v74, s[4:7], 0 offen
	buffer_load_dwordx4 v[8:11], v74, s[4:7], s0 offen
	;; [unrolled: 1-line block ×4, first 2 shown]
	v_lshlrev_b32_e32 v3, 3, v72
	v_and_or_b32 v21, v0, 7, v3
	v_and_b32_e32 v3, 0x78, v3
	v_lshlrev_b32_e32 v21, 4, v21
	v_xor_b32_e32 v76, v21, v3
	v_mul_lo_u32 v20, v72, s27
	v_or_b32_e32 v77, 0x1000, v76
	v_xor_b32_e32 v3, 8, v76
	s_cmpk_eq_i32 s27, 0x80
	s_mov_b32 s66, s26
	v_xor_b32_e32 v21, 8, v77
	s_cselect_b64 s[0:1], -1, 0
	s_cmpk_lg_i32 s27, 0x80
	s_waitcnt vmcnt(3)
	ds_write_b64 v76, v[4:5] offset:16384
	ds_write_b64 v3, v[6:7] offset:16384
	s_waitcnt vmcnt(2)
	ds_write_b64 v76, v[8:9] offset:24576
	ds_write_b64 v3, v[10:11] offset:24576
	;; [unrolled: 3-line block ×4, first 2 shown]
	v_lshl_add_u32 v3, v20, 1, v73
	s_cbranch_scc0 .LBB585_3
; %bb.2:
	v_lshlrev_b32_e32 v5, 1, v3
	v_add_lshl_u32 v4, v3, s27, 1
	s_lshl_b32 s6, s27, 7
	v_lshl_or_b32 v2, v72, 9, v2
	s_cbranch_execz .LBB585_4
	s_branch .LBB585_5
.LBB585_3:
                                        ; implicit-def: $vgpr4
                                        ; implicit-def: $vgpr5
                                        ; implicit-def: $sgpr6
	v_lshl_or_b32 v2, v72, 9, v2
.LBB585_4:
	v_or_b32_e32 v4, 0x100, v2
	s_movk_i32 s6, 0x4000
	v_mov_b32_e32 v5, v2
.LBB585_5:
	s_mul_hi_u32 s4, s26, s24
	s_mul_i32 s5, s61, s24
	s_add_i32 s4, s4, s5
	s_mul_i32 s5, s26, s24
	s_mul_i32 s7, s5, s3
	s_mul_hi_u32 s28, s5, s59
	s_add_i32 s7, s28, s7
	s_mul_i32 s4, s4, s59
	s_add_i32 s7, s7, s4
	s_mul_i32 s5, s5, s59
	s_ashr_i32 s43, s62, 31
	s_add_u32 s4, s5, s62
	s_addc_u32 s5, s7, s43
	s_lshl_b64 s[4:5], s[4:5], 8
	s_add_u32 s4, s16, s4
	s_addc_u32 s5, s17, s5
	s_and_b32 s5, s5, 0xffff
	s_mov_b32 s7, 0x20000
	s_movk_i32 s67, 0x80
	buffer_load_dwordx4 v[6:9], v5, s[4:7], 0 offen
	buffer_load_dwordx4 v[10:13], v5, s[4:7], s67 offen
	;; [unrolled: 1-line block ×4, first 2 shown]
	v_and_b32_e32 v4, 6, v0
	v_lshlrev_b32_e32 v22, 2, v67
	v_lshlrev_b32_e32 v23, 3, v67
	v_xor_b32_e32 v25, v72, v4
	v_and_b32_e32 v5, 1, v0
	s_mul_i32 s3, s3, s24
	s_mul_hi_u32 s4, s59, s24
	v_lshl_or_b32 v23, v70, 5, v23
	v_xor_b32_e32 v26, v70, v22
	v_lshlrev_b32_e32 v25, 2, v25
	v_or_b32_e32 v78, 0x9000, v23
	v_or_b32_e32 v79, 0x9800, v23
	v_lshlrev_b32_e32 v23, 1, v26
	v_xor_b32_e32 v26, 0x440, v25
	v_cmp_eq_u32_e32 vcc, 0, v5
	s_add_i32 s71, s4, s3
	s_add_i32 s3, s53, s52
	v_cndmask_b32_e32 v5, v26, v25, vcc
	s_add_i32 s4, s55, s54
	s_add_i32 s41, s3, s57
	s_mov_b32 s69, 0x1000504
	v_lshlrev_b32_e32 v24, 8, v67
	s_mov_b32 s6, 0x8000
	v_xor_b32_e32 v22, v71, v22
	v_lshl_or_b32 v4, v4, 10, v5
	s_add_i32 s39, s4, s56
	s_lshl_b64 s[4:5], s[40:41], 2
	s_mov_b32 s70, 0x3020706
	v_lshlrev_b32_e32 v22, 1, v22
	v_or3_b32 v80, v23, v24, s6
	v_xor_b32_e32 v5, 8, v4
	v_xor_b32_e32 v23, 24, v4
	;; [unrolled: 1-line block ×4, first 2 shown]
	s_add_u32 s3, s22, s4
	v_or3_b32 v81, v22, v24, s6
	v_xor_b32_e32 v22, 16, v4
	v_xor_b32_e32 v24, 32, v4
	;; [unrolled: 1-line block ×3, first 2 shown]
	v_add_u32_e32 v5, 0x80, v5
	v_add_u32_e32 v23, 0x80, v23
	;; [unrolled: 1-line block ×4, first 2 shown]
	s_addc_u32 s28, s23, s5
	s_lshl_b64 s[4:5], s[38:39], 2
	s_add_u32 s46, s3, s4
	s_movk_i32 s3, 0xf8
	s_addc_u32 s47, s28, s5
	v_ashrrev_i32_e32 v59, 31, v58
	s_lshl_b32 s30, s27, 7
	s_mov_b32 s68, 0
	s_mov_b32 s39, 0x7060302
	v_mov_b32_e32 v101, 0x3fb8aa3b
	s_mov_b32 s72, 0
	s_waitcnt vmcnt(1)
	v_perm_b32 v28, v6, v14, s69
	s_waitcnt vmcnt(0)
	v_perm_b32 v29, v10, v18, s69
	v_perm_b32 v6, v6, v14, s70
	;; [unrolled: 1-line block ×15, first 2 shown]
	ds_write2st64_b32 v4, v28, v29 offset1:32
	ds_write2st64_b32 v5, v6, v10 offset1:32
	ds_write2st64_b32 v22, v14, v18 offset0:1 offset1:33
	ds_write2st64_b32 v23, v7, v11 offset0:1 offset1:33
	;; [unrolled: 1-line block ×6, first 2 shown]
	v_or_b32_e32 v4, v45, v67
	v_lshlrev_b32_e32 v4, 3, v4
	v_lshrrev_b32_e32 v6, 5, v49
	v_and_or_b32 v6, v4, s3, v6
	v_lshlrev_b32_e32 v6, 4, v6
	v_lshrrev_b32_e32 v5, 2, v49
	v_lshlrev_b32_e32 v13, 11, v1
	v_and_b32_e32 v4, 0x78, v4
	v_or_b32_e32 v9, 32, v6
	v_and_b32_e32 v12, 12, v5
	v_and_b32_e32 v5, 0x1000, v13
	v_lshrrev_b32_e32 v8, 1, v49
	v_xor_b32_e32 v9, v9, v4
	v_and_b32_e32 v8, 8, v8
	v_or_b32_e32 v9, v9, v5
	v_xor_b32_e32 v7, v6, v4
	v_xor_b32_e32 v84, v9, v8
	v_or_b32_e32 v9, 64, v6
	v_or_b32_e32 v6, 0x60, v6
	v_xor_b32_e32 v9, v9, v4
	v_xor_b32_e32 v4, v6, v4
	v_or_b32_e32 v7, v7, v5
	v_or_b32_e32 v9, v9, v5
	;; [unrolled: 1-line block ×3, first 2 shown]
	v_xor_b32_e32 v82, v7, v8
	v_xor_b32_e32 v85, v9, v8
	;; [unrolled: 1-line block ×3, first 2 shown]
	v_lshrrev_b32_e32 v8, 4, v0
	v_lshlrev_b32_e32 v9, 1, v67
	s_ashr_i32 s3, s2, 31
	v_or_b32_e32 v10, 1, v9
	v_xor_b32_e32 v9, v8, v9
	s_lshl_b64 s[4:5], s[2:3], 8
	v_xor_b32_e32 v10, v10, v8
	v_lshlrev_b32_e32 v9, 3, v9
	v_lshlrev_b32_e32 v8, 8, v8
	v_lshlrev_b64 v[4:5], 1, v[58:59]
	s_add_u32 s4, s12, s4
	v_or3_b32 v59, v9, v8, s6
	v_lshlrev_b32_e32 v9, 3, v10
	s_addc_u32 s5, s13, s5
	v_or3_b32 v88, v9, v8, s6
	v_mov_b32_e32 v9, 0
	v_lshrrev_b32_e32 v19, 1, v0
	v_lshl_add_u64 v[10:11], s[4:5], 0, v[8:9]
	v_lshlrev_b32_e32 v8, 4, v67
	s_movk_i32 s3, 0xff
	v_lshlrev_b32_e32 v18, 3, v1
	v_and_b32_e32 v19, 24, v19
	v_lshl_add_u64 v[60:61], v[10:11], 0, v[8:9]
	v_and_b32_e32 v8, 7, v0
	v_and_b32_e32 v11, 8, v0
	v_cmp_lt_u32_e32 vcc, s3, v0
	v_xor_b32_e32 v20, v18, v19
	v_lshlrev_b32_e32 v16, 3, v8
	v_lshlrev_b32_e32 v17, 7, v8
	v_cndmask_b32_e64 v8, 0, 1, vcc
	v_or_b32_e32 v21, 0x440, v20
	v_cmp_eq_u32_e32 vcc, 0, v11
	v_or_b32_e32 v23, 64, v19
	v_xor_b32_e32 v23, v18, v23
	v_cndmask_b32_e32 v11, v21, v20, vcc
	v_or_b32_e32 v21, 32, v19
	v_or_b32_e32 v19, 0x60, v19
	v_xor_b32_e32 v21, v18, v21
	v_xor_b32_e32 v18, v18, v19
	v_or_b32_e32 v22, 0x440, v21
	v_xor_b32_e32 v24, 0x440, v23
	v_xor_b32_e32 v19, 0x440, v18
	v_cndmask_b32_e32 v21, v22, v21, vcc
	v_cndmask_b32_e32 v23, v24, v23, vcc
	;; [unrolled: 1-line block ×3, first 2 shown]
	v_and_b32_e32 v7, 0x78, v68
	v_or_b32_e32 v11, v11, v13
	v_or_b32_e32 v21, v21, v13
	;; [unrolled: 1-line block ×4, first 2 shown]
	v_lshl_or_b32 v7, v66, 7, v7
	v_lshlrev_b32_e32 v8, 13, v8
	v_xor_b32_e32 v11, v11, v16
	v_xor_b32_e32 v21, v21, v16
	;; [unrolled: 1-line block ×4, first 2 shown]
	v_or_b32_e32 v83, 0x9000, v7
	v_or_b32_e32 v87, 0x9800, v7
	v_lshl_add_u64 v[6:7], s[20:21], 0, v[4:5]
	v_lshl_add_u64 v[4:5], s[14:15], 0, v[4:5]
	v_lshlrev_b32_e32 v14, 1, v3
	v_add_lshl_u32 v3, v3, s27, 1
	v_or_b32_e32 v15, 0x100, v2
	v_or_b32_e32 v10, v12, v45
	v_add_u32_e32 v20, v8, v11
	v_add_u32_e32 v22, v8, v21
	;; [unrolled: 1-line block ×4, first 2 shown]
	v_or3_b32 v12, v45, v12, 64
	v_add_u32_e32 v11, 0x2000, v11
	v_add_u32_e32 v18, 0x2000, v21
	v_add_u32_e32 v19, 0x2000, v23
	v_add_u32_e32 v13, 0x2000, v13
	v_lshlrev_b32_e32 v8, 8, v70
	v_cndmask_b32_e64 v89, v14, v2, s[0:1]
	v_cndmask_b32_e64 v90, v3, v15, s[0:1]
	v_lshl_add_u64 v[62:63], v[6:7], 0, v[8:9]
	v_lshl_add_u64 v[64:65], v[4:5], 0, v[8:9]
	s_add_i32 s3, s51, 63
	s_movk_i32 s6, 0x4000
	v_lshlrev_b32_e32 v91, 2, v10
	v_add_u32_e32 v92, v20, v17
	v_add_u32_e32 v93, v22, v17
	;; [unrolled: 1-line block ×4, first 2 shown]
	v_lshlrev_b32_e32 v96, 2, v12
	v_add_u32_e32 v97, v11, v17
	v_add_u32_e32 v98, v18, v17
	;; [unrolled: 1-line block ×4, first 2 shown]
	s_waitcnt lgkmcnt(0)
	s_barrier
.LBB585_6:                              ; =>This Inner Loop Header: Depth=1
	s_add_i32 s41, s72, 1
	s_cmp_lt_i32 s41, s60
	s_mov_b64 s[28:29], 0
	s_cselect_b64 s[48:49], -1, 0
	s_cmp_ge_i32 s41, s60
	s_mov_b64 s[4:5], 0
	s_cbranch_scc1 .LBB585_8
; %bb.7:                                ;   in Loop: Header=BB585_6 Depth=1
	s_add_i32 s0, s68, 64
	s_add_u32 s0, s44, s0
	s_addc_u32 s1, s45, 0
	s_lshl_b64 s[0:1], s[0:1], 8
	s_add_u32 s4, s18, s0
	s_addc_u32 s5, s19, s1
.LBB585_8:                              ;   in Loop: Header=BB585_6 Depth=1
	v_cndmask_b32_e64 v2, 0, 1, s[48:49]
	v_cmp_ne_u32_e64 s[0:1], 1, v2
	s_andn2_b64 vcc, exec, s[48:49]
	s_cbranch_vccnz .LBB585_10
; %bb.9:                                ;   in Loop: Header=BB585_6 Depth=1
	s_add_i32 s28, s68, 64
	s_add_u32 s28, s51, s28
	s_addc_u32 s29, s71, 0
	s_mul_i32 s31, s28, s61
	s_mul_hi_u32 s48, s28, s66
	s_add_i32 s31, s48, s31
	s_mul_i32 s29, s29, s66
	s_add_i32 s31, s31, s29
	s_mul_i32 s28, s28, s66
	s_add_u32 s28, s28, s62
	s_addc_u32 s29, s31, s43
	s_lshl_b64 s[28:29], s[28:29], 8
	s_add_u32 s28, s16, s28
	s_addc_u32 s29, s17, s29
.LBB585_10:                             ;   in Loop: Header=BB585_6 Depth=1
	v_perm_b32 v3, v57, v56, s39
	v_perm_b32 v2, v53, v52, s39
	;; [unrolled: 1-line block ×4, first 2 shown]
	ds_write_b64 v78, v[2:3]
	ds_write_b64 v79, v[4:5]
	;; [unrolled: 1-line block ×4, first 2 shown]
	s_waitcnt lgkmcnt(0)
	s_barrier
	ds_read_b64 v[10:11], v82 offset:16384
	ds_read_b64 v[12:13], v84 offset:16384
	ds_read2st64_b64 v[2:5], v83 offset1:1
	ds_read2st64_b64 v[6:9], v83 offset0:2 offset1:3
	ds_read_b64 v[14:15], v85 offset:16384
	s_waitcnt lgkmcnt(2)
	v_mfma_f32_16x16x16_bf16 a[0:3], v[10:11], v[2:3], 0
	ds_read_b64 v[2:3], v86 offset:16384
	s_add_i32 s31, s68, 63
	s_mul_i32 s48, s31, s37
	v_mfma_f32_16x16x16_bf16 a[0:3], v[12:13], v[4:5], a[0:3]
	s_mul_hi_u32 s49, s31, s36
	s_add_i32 s49, s49, s48
	s_mul_i32 s48, s31, s36
	s_waitcnt lgkmcnt(1)
	v_mfma_f32_16x16x16_bf16 a[0:3], v[14:15], v[6:7], a[0:3]
	s_lshl_b64 s[48:49], s[48:49], 2
	s_add_u32 s48, s46, s48
	s_addc_u32 s49, s47, s49
	s_waitcnt lgkmcnt(0)
	v_mfma_f32_16x16x16_bf16 a[0:3], v[2:3], v[8:9], a[0:3]
	s_and_b64 vcc, exec, s[0:1]
	v_mov_b32_e32 v104, 0
	v_mov_b32_e32 v103, 0
	;; [unrolled: 1-line block ×19, first 2 shown]
	s_cbranch_vccnz .LBB585_12
; %bb.11:                               ;   in Loop: Header=BB585_6 Depth=1
	s_and_b32 s5, s5, 0xffff
	buffer_load_dwordx4 v[14:17], v74, s[4:7], 0 offen
	buffer_load_dwordx4 v[10:13], v74, s[4:7], s67 offen
	;; [unrolled: 1-line block ×4, first 2 shown]
	v_mov_b32_e32 v103, v76
	v_mov_b32_e32 v102, v77
.LBB585_12:                             ;   in Loop: Header=BB585_6 Depth=1
	v_add_u32_e32 v24, s68, v70
	v_ashrrev_i32_e32 v18, 31, v24
	v_mul_lo_u32 v20, v18, s36
	v_mul_lo_u32 v21, v24, s37
	v_mad_u64_u32 v[18:19], s[4:5], v24, s36, 0
	v_add3_u32 v19, v19, v21, v20
	v_add_u32_e32 v20, 1, v24
	v_ashrrev_i32_e32 v21, 31, v20
	v_mul_lo_u32 v22, v21, s36
	v_mul_lo_u32 v23, v20, s37
	v_mad_u64_u32 v[20:21], s[4:5], v20, s36, 0
	v_add3_u32 v21, v21, v23, v22
	v_add_u32_e32 v22, 2, v24
	v_ashrrev_i32_e32 v23, 31, v22
	v_mul_lo_u32 v25, v23, s36
	v_mul_lo_u32 v26, v22, s37
	v_mad_u64_u32 v[22:23], s[4:5], v22, s36, 0
	s_add_u32 s4, s44, s68
	v_add3_u32 v23, v23, v26, v25
	v_add_u32_e32 v26, 3, v24
	s_addc_u32 s5, s45, 0
	v_ashrrev_i32_e32 v24, 31, v26
	s_lshl_b64 s[74:75], s[4:5], 8
	v_lshl_add_u64 v[18:19], v[18:19], 2, s[46:47]
	v_mul_lo_u32 v27, v24, s36
	v_lshl_add_u64 v[24:25], v[62:63], 0, s[74:75]
	v_mul_lo_u32 v28, v26, s37
	global_load_ushort v34, v[24:25], off
	global_load_ushort v35, v[24:25], off offset:256
	global_load_ushort v36, v[24:25], off offset:512
	;; [unrolled: 1-line block ×3, first 2 shown]
	global_load_dword v38, v[18:19], off
	v_mad_u64_u32 v[18:19], s[4:5], v26, s36, 0
	v_lshl_add_u64 v[20:21], v[20:21], 2, s[46:47]
	v_add3_u32 v19, v19, v28, v27
	v_lshl_add_u64 v[22:23], v[22:23], 2, s[46:47]
	v_lshl_add_u64 v[18:19], v[18:19], 2, s[46:47]
	global_load_dword v39, v[20:21], off
	global_load_dword v40, v[22:23], off
	;; [unrolled: 1-line block ×3, first 2 shown]
	ds_read_b64 v[18:19], v82 offset:24576
	s_load_dword s4, s[48:49], 0x0
	ds_read_b64 v[28:29], v84 offset:24576
	ds_read2st64_b64 v[20:23], v87 offset1:1
	ds_read2st64_b64 v[24:27], v87 offset0:2 offset1:3
	ds_read_b64 v[30:31], v85 offset:24576
	ds_read_b64 v[32:33], v86 offset:24576
	s_waitcnt lgkmcnt(0)
	v_mfma_f32_16x16x16_bf16 a[0:3], v[18:19], v[20:21], a[0:3]
	v_mov_b32_e32 v105, 0
	v_mov_b32_e32 v18, 0
	v_mov_b32_e32 v19, 0
	v_mfma_f32_16x16x16_bf16 a[0:3], v[28:29], v[22:23], a[0:3]
	v_lshl_add_u64 v[28:29], v[64:65], 0, s[74:75]
	v_mov_b32_e32 v20, 0
	v_mov_b32_e32 v21, 0
	v_mfma_f32_16x16x16_bf16 a[0:3], v[30:31], v[24:25], a[0:3]
	v_mov_b32_e32 v22, 0
	v_mov_b32_e32 v23, 0
	;; [unrolled: 1-line block ×3, first 2 shown]
	v_mfma_f32_16x16x16_bf16 a[0:3], v[32:33], v[26:27], a[0:3]
	s_and_b64 vcc, exec, s[0:1]
	s_waitcnt vmcnt(7)
	v_lshlrev_b32_e32 v32, 16, v34
	s_nop 3
	v_accvgpr_read_b32 v31, a1
	v_accvgpr_read_b32 v27, a3
	;; [unrolled: 1-line block ×4, first 2 shown]
	s_waitcnt vmcnt(6)
	v_lshlrev_b32_e32 v33, 16, v35
	s_waitcnt vmcnt(4)
	v_lshlrev_b32_e32 v35, 16, v37
	v_lshlrev_b32_e32 v34, 16, v36
	s_waitcnt vmcnt(3)
	v_sub_f32_e32 v25, s4, v38
	v_pk_add_f32 v[30:31], v[32:33], v[30:31] neg_lo:[0,1] neg_hi:[0,1]
	v_pk_add_f32 v[26:27], v[34:35], v[26:27] neg_lo:[0,1] neg_hi:[0,1]
	v_mul_f32_e32 v25, 0x3fb8aa3b, v25
	s_waitcnt vmcnt(2)
	v_sub_f32_e32 v33, s4, v39
	s_waitcnt vmcnt(1)
	v_sub_f32_e32 v34, s4, v40
	;; [unrolled: 2-line block ×3, first 2 shown]
	v_exp_f32_e32 v32, v25
	v_mul_f32_e32 v25, 0x3fb8aa3b, v33
	v_mul_f32_e32 v34, 0x3fb8aa3b, v34
	;; [unrolled: 1-line block ×3, first 2 shown]
	v_exp_f32_e32 v33, v25
	v_exp_f32_e32 v34, v34
	;; [unrolled: 1-line block ×3, first 2 shown]
	global_store_short_d16_hi v[28:29], v30, off
	global_store_short_d16_hi v[28:29], v31, off offset:256
	global_store_short_d16_hi v[28:29], v26, off offset:512
	;; [unrolled: 1-line block ×3, first 2 shown]
	v_pk_mul_f32 v[28:29], v[32:33], v[30:31]
	v_pk_mul_f32 v[26:27], v[34:35], v[26:27]
	v_mov_b32_e32 v25, 0
	v_perm_b32 v27, v27, v26, s39
	v_perm_b32 v26, v29, v28, s39
	ds_write_b64 v79, v[26:27]
	v_mov_b32_e32 v26, 0
	v_mov_b32_e32 v27, 0
	;; [unrolled: 1-line block ×8, first 2 shown]
	s_cbranch_vccnz .LBB585_14
; %bb.13:                               ;   in Loop: Header=BB585_6 Depth=1
	s_and_b32 s29, s29, 0xffff
	s_mov_b32 s31, s7
	buffer_load_dwordx4 v[30:33], v89, s[28:31], 0 offen
	buffer_load_dwordx4 v[22:25], v89, s[28:31], s67 offen
	buffer_load_dwordx4 v[26:29], v90, s[28:31], 0 offen
	buffer_load_dwordx4 v[18:21], v90, s[28:31], s67 offen
	v_mov_b32_e32 v104, v73
	v_mov_b32_e32 v105, v72
.LBB585_14:                             ;   in Loop: Header=BB585_6 Depth=1
	s_waitcnt lgkmcnt(0)
	s_barrier
	ds_read_b64 v[34:35], v92
	ds_read_b64 v[40:41], v93
	ds_read2st64_b64 v[36:39], v87 offset1:1
	ds_read2st64_b64 v[106:109], v87 offset0:2 offset1:3
	ds_read_b64 v[42:43], v94
	ds_read_b64 v[114:115], v95
	s_add_i32 s5, s63, s72
	s_mul_hi_i32 s29, s5, s25
	s_mul_i32 s5, s5, s25
	s_waitcnt lgkmcnt(3)
	v_mfma_f32_16x16x16_bf16 a[0:3], v[34:35], v[36:37], 0
	ds_read_b64 v[34:35], v97
	s_add_u32 s28, s5, s33
	s_addc_u32 s29, s29, s50
	s_add_i32 s5, s3, s68
	v_mfma_f32_16x16x16_bf16 a[0:3], v[40:41], v[38:39], a[0:3]
	ds_read_b64 v[40:41], v98
	s_lshl_b64 s[28:29], s[28:29], 15
	s_mul_hi_i32 s31, s5, s25
	s_mul_i32 s5, s5, s25
	s_add_u32 s48, s5, s33
	s_addc_u32 s49, s31, s50
	s_lshl_b64 s[48:49], s[48:49], 9
	s_add_u32 s48, s8, s48
	s_waitcnt lgkmcnt(1)
	v_mfma_f32_16x16x16_bf16 a[4:7], v[34:35], v[36:37], 0
	s_addc_u32 s49, s9, s49
	s_and_b64 vcc, exec, s[0:1]
	v_mfma_f32_16x16x16_bf16 a[0:3], v[42:43], v[106:107], a[0:3]
	ds_read_b64 v[42:43], v99
	ds_read_b64 v[116:117], v100
	global_load_dwordx4 v[34:37], v96, s[48:49]
	s_waitcnt lgkmcnt(2)
	v_mfma_f32_16x16x16_bf16 a[4:7], v[40:41], v[38:39], a[4:7]
	global_load_dwordx4 v[38:41], v91, s[48:49]
	ds_read_b64 v[110:111], v59
	ds_read_b64 v[112:113], v88
	s_waitcnt lgkmcnt(3)
	v_mfma_f32_16x16x16_bf16 a[8:11], v[42:43], v[106:107], a[4:7]
	v_lshl_add_u64 v[42:43], v[60:61], 0, s[28:29]
	s_waitcnt lgkmcnt(0)
	global_store_dwordx4 v[42:43], v[110:113], off
	v_mfma_f32_16x16x16_bf16 a[4:7], v[114:115], v[108:109], a[0:3]
	s_waitcnt vmcnt(2)
	v_mov_b32_e32 v44, v37
	v_mfma_f32_16x16x16_bf16 a[0:3], v[116:117], v[108:109], a[8:11]
	v_mov_b32_e32 v43, v36
	v_mov_b32_e32 v42, v35
	s_cbranch_vccnz .LBB585_16
; %bb.15:                               ;   in Loop: Header=BB585_6 Depth=1
	v_lshrrev_b32_e32 v35, 3, v104
	v_and_b32_e32 v35, 6, v35
	v_xor_b32_e32 v36, v35, v105
	v_lshlrev_b32_e32 v36, 2, v36
	v_and_b32_e32 v37, 8, v104
	v_xor_b32_e32 v104, 0x440, v36
	v_cmp_eq_u32_e32 vcc, 0, v37
	v_perm_b32 v37, v22, v18, s69
	s_nop 0
	v_cndmask_b32_e32 v36, v104, v36, vcc
	v_lshl_or_b32 v35, v35, 10, v36
	v_perm_b32 v36, v30, v26, s69
	s_barrier
	ds_write2st64_b32 v35, v36, v37 offset1:32
	v_xor_b32_e32 v36, 8, v35
	v_perm_b32 v26, v30, v26, s70
	v_perm_b32 v18, v22, v18, s70
	v_add_u32_e32 v22, 0x80, v36
	ds_write2st64_b32 v22, v26, v18 offset1:32
	v_xor_b32_e32 v18, 16, v35
	v_perm_b32 v22, v31, v27, s69
	v_perm_b32 v26, v23, v19, s69
	ds_write2st64_b32 v18, v22, v26 offset0:1 offset1:33
	v_xor_b32_e32 v18, 24, v35
	v_perm_b32 v22, v31, v27, s70
	v_perm_b32 v19, v23, v19, s70
	v_add_u32_e32 v18, 0x80, v18
	ds_write2st64_b32 v18, v22, v19 offset0:1 offset1:33
	v_xor_b32_e32 v18, 32, v35
	v_perm_b32 v19, v32, v28, s69
	v_perm_b32 v22, v24, v20, s69
	ds_write2st64_b32 v18, v19, v22 offset0:2 offset1:34
	v_xor_b32_e32 v18, 40, v35
	v_perm_b32 v19, v32, v28, s70
	v_perm_b32 v20, v24, v20, s70
	v_add_u32_e32 v18, 0x80, v18
	ds_write2st64_b32 v18, v19, v20 offset0:2 offset1:34
	;; [unrolled: 9-line block ×3, first 2 shown]
	ds_write_b64 v103, v[14:15] offset:16384
	v_xor_b32_e32 v14, 8, v103
	ds_write_b64 v14, v[16:17] offset:16384
	ds_write_b64 v103, v[10:11] offset:24576
	;; [unrolled: 1-line block ×4, first 2 shown]
	v_xor_b32_e32 v6, 8, v102
	ds_write_b64 v6, v[8:9] offset:16384
	ds_write_b64 v102, v[2:3] offset:24576
	;; [unrolled: 1-line block ×3, first 2 shown]
.LBB585_16:                             ;   in Loop: Header=BB585_6 Depth=1
	v_mul_f32_e32 v6, s4, v101
	v_exp_f32_e32 v10, v6
	s_waitcnt vmcnt(1)
	v_mul_f32_e32 v6, 0x3fb8aa3b, v38
	v_exp_f32_e32 v12, v6
	v_mul_f32_e32 v6, 0x3fb8aa3b, v39
	v_exp_f32_e32 v13, v6
	v_mul_f32_e32 v6, 0x3fb8aa3b, v40
	v_exp_f32_e32 v14, v6
	v_mul_f32_e32 v6, 0x3fb8aa3b, v41
	v_exp_f32_e32 v15, v6
	v_accvgpr_read_b32 v2, a4
	v_accvgpr_read_b32 v3, a5
	v_pk_mul_f32 v[12:13], v[10:11], v[12:13] op_sel_hi:[0,1]
	v_pk_fma_f32 v[52:53], v[52:53], v[12:13], v[2:3]
	v_pk_mul_f32 v[2:3], v[10:11], v[14:15] op_sel_hi:[0,1]
	v_mul_f32_e32 v11, 0x3fb8aa3b, v34
	v_exp_f32_e32 v12, v11
	v_mul_f32_e32 v11, 0x3fb8aa3b, v42
	v_exp_f32_e32 v13, v11
	;; [unrolled: 2-line block ×4, first 2 shown]
	v_accvgpr_read_b32 v4, a6
	v_accvgpr_read_b32 v5, a7
	;; [unrolled: 1-line block ×5, first 2 shown]
	v_pk_fma_f32 v[56:57], v[56:57], v[2:3], v[4:5]
	v_pk_mul_f32 v[2:3], v[10:11], v[12:13] op_sel_hi:[0,1]
	v_accvgpr_read_b32 v8, a2
	v_pk_fma_f32 v[50:51], v[50:51], v[2:3], v[6:7]
	v_pk_mul_f32 v[2:3], v[10:11], v[14:15] op_sel_hi:[0,1]
	s_add_i32 s68, s68, 64
	s_cmp_eq_u32 s60, s41
	v_pk_fma_f32 v[54:55], v[54:55], v[2:3], v[8:9]
	s_cbranch_scc1 .LBB585_18
; %bb.17:                               ;   in Loop: Header=BB585_6 Depth=1
	s_mov_b32 s72, s41
	s_branch .LBB585_6
.LBB585_18:
	s_lshl_b32 s43, s60, 6
	s_sub_i32 s45, s24, s43
	s_cmp_gt_i32 s45, 0
	s_cbranch_scc0 .LBB585_75
; %bb.19:
	s_ashr_i32 s3, s43, 31
	s_cmpk_lg_i32 s27, 0x80
	s_cselect_b64 s[30:31], -1, 0
	s_and_b64 vcc, exec, s[30:31]
	s_cbranch_vccz .LBB585_21
; %bb.20:
	s_mul_hi_i32 s0, s59, s24
	s_add_u32 s1, s51, s43
	s_addc_u32 s0, s0, s3
	s_mul_i32 s4, s1, s61
	s_mul_hi_u32 s5, s1, s26
	s_add_i32 s4, s5, s4
	s_mul_i32 s0, s0, s26
	s_add_i32 s4, s4, s0
	s_mul_i32 s1, s1, s26
	s_ashr_i32 s0, s62, 31
	s_add_u32 s46, s1, s62
	s_addc_u32 s47, s4, s0
	s_cbranch_execz .LBB585_22
	s_branch .LBB585_23
.LBB585_21:
                                        ; implicit-def: $sgpr46_sgpr47
.LBB585_22:
	s_mul_hi_i32 s0, s59, s26
	s_mul_i32 s59, s59, s26
	s_ashr_i32 s1, s62, 31
	s_add_u32 s4, s59, s62
	s_addc_u32 s0, s0, s1
	s_mul_i32 s1, s4, s58
	s_mul_hi_u32 s5, s4, s24
	s_add_i32 s1, s5, s1
	s_mul_i32 s0, s0, s24
	s_add_i32 s1, s1, s0
	s_mul_i32 s4, s4, s24
	s_add_u32 s46, s4, s43
	s_addc_u32 s47, s1, s3
.LBB585_23:
	s_mul_i32 s0, s42, s58
	s_add_i32 s0, s64, s0
	s_add_i32 s4, s63, s60
	;; [unrolled: 1-line block ×3, first 2 shown]
	s_add_u32 s0, s44, s43
	s_addc_u32 s1, s1, s3
	s_mov_b32 s3, 0x7060302
	v_lshlrev_b32_e32 v6, 3, v67
	s_lshl_b64 s[28:29], s[0:1], 8
	v_perm_b32 v3, v57, v56, s3
	v_perm_b32 v2, v53, v52, s3
	;; [unrolled: 1-line block ×4, first 2 shown]
	v_lshlrev_b32_e32 v34, 2, v67
	v_lshl_or_b32 v6, v70, 5, v6
	s_add_u32 s0, s18, s28
	ds_write2st64_b64 v6, v[2:3], v[4:5] offset0:72 offset1:76
	v_xor_b32_e32 v6, v70, v34
	v_lshlrev_b32_e32 v7, 8, v67
	s_addc_u32 s1, s19, s29
	v_lshl_or_b32 v6, v6, 1, v7
	s_mul_hi_i32 s3, s4, s25
	s_mul_i32 s4, s4, s25
	ds_write_b64 v6, v[2:3] offset:32768
	v_xor_b32_e32 v2, v71, v34
	s_add_u32 s4, s4, s33
	v_lshl_or_b32 v2, v2, 1, v7
	s_addc_u32 s5, s3, s50
	v_lshlrev_b32_e32 v3, 1, v67
	ds_write_b64 v2, v[4:5] offset:32768
	v_lshrrev_b32_e32 v2, 4, v0
	s_ashr_i32 s3, s2, 31
	s_lshl_b64 s[4:5], s[4:5], 15
	v_or_b32_e32 v4, 1, v3
	s_add_u32 s4, s12, s4
	v_xor_b32_e32 v3, v2, v3
	v_xor_b32_e32 v4, v4, v2
	v_lshlrev_b32_e32 v6, 8, v2
	s_addc_u32 s5, s13, s5
	s_lshl_b64 s[2:3], s[2:3], 8
	v_lshl_or_b32 v2, v3, 3, v6
	v_lshl_or_b32 v4, v4, 3, v6
	s_waitcnt lgkmcnt(0)
	s_barrier
	s_add_u32 s2, s4, s2
	ds_read_b64 v[2:3], v2 offset:32768
	ds_read_b64 v[4:5], v4 offset:32768
	s_addc_u32 s3, s5, s3
	v_mov_b32_e32 v7, 0
	s_cmp_lg_u32 s45, 64
	v_lshl_add_u64 v[8:9], s[2:3], 0, v[6:7]
	v_lshlrev_b32_e32 v6, 4, v67
	s_cselect_b64 s[18:19], -1, 0
	v_lshl_or_b32 v36, v1, 3, v69
	s_mov_b32 s4, 0
	v_lshl_add_u64 v[6:7], v[8:9], 0, v[6:7]
	v_or_b32_e32 v19, 32, v36
	v_and_b32_e32 v18, 56, v68
	s_and_b64 vcc, exec, s[18:19]
	s_waitcnt lgkmcnt(0)
	global_store_dwordx4 v[6:7], v[2:5], off
	s_cbranch_vccz .LBB585_29
; %bb.24:
	s_mov_b32 s6, s4
	s_mov_b32 s7, s4
	;; [unrolled: 1-line block ×3, first 2 shown]
	v_mov_b64_e32 v[8:9], s[6:7]
	v_mov_b64_e32 v[6:7], s[4:5]
	;; [unrolled: 1-line block ×3, first 2 shown]
	v_cmp_gt_i32_e32 vcc, s45, v36
	v_mov_b64_e32 v[4:5], v[8:9]
	s_and_saveexec_b64 s[2:3], vcc
	s_cbranch_execz .LBB585_26
; %bb.25:
	v_lshlrev_b32_e32 v2, 8, v36
	v_mov_b32_e32 v3, 0
	v_lshl_add_u64 v[4:5], s[0:1], 0, v[2:3]
	v_lshlrev_b32_e32 v2, 1, v18
	v_lshl_add_u64 v[10:11], v[4:5], 0, v[2:3]
	global_load_dwordx4 v[6:9], v[10:11], off
	global_load_dwordx4 v[2:5], v[10:11], off offset:128
.LBB585_26:
	s_or_b64 exec, exec, s[2:3]
	s_mov_b32 s6, s4
	s_mov_b32 s7, s4
	;; [unrolled: 1-line block ×3, first 2 shown]
	v_mov_b64_e32 v[16:17], s[6:7]
	v_mov_b64_e32 v[14:15], s[4:5]
	;; [unrolled: 1-line block ×3, first 2 shown]
	v_cmp_gt_i32_e32 vcc, s45, v19
	v_lshlrev_b32_e32 v20, 7, v19
	v_mov_b64_e32 v[12:13], v[16:17]
	s_and_saveexec_b64 s[2:3], vcc
	s_cbranch_execz .LBB585_28
; %bb.27:
	v_lshlrev_b32_e32 v10, 1, v20
	v_mov_b32_e32 v11, 0
	v_lshl_add_u64 v[12:13], s[0:1], 0, v[10:11]
	v_lshlrev_b32_e32 v10, 1, v18
	v_lshl_add_u64 v[22:23], v[12:13], 0, v[10:11]
	global_load_dwordx4 v[14:17], v[22:23], off
	global_load_dwordx4 v[10:13], v[22:23], off offset:128
.LBB585_28:
	s_or_b64 exec, exec, s[2:3]
	v_lshrrev_b32_e32 v21, 3, v18
	v_lshlrev_b32_e32 v22, 3, v36
	v_or_b32_e32 v21, v22, v21
	v_lshlrev_b32_e32 v21, 4, v21
	v_and_b32_e32 v22, 0x78, v22
	v_xor_b32_e32 v21, v21, v22
	s_branch .LBB585_31
.LBB585_29:
                                        ; implicit-def: $vgpr21
                                        ; implicit-def: $vgpr20
                                        ; implicit-def: $vgpr6_vgpr7_vgpr8_vgpr9
                                        ; implicit-def: $vgpr2_vgpr3_vgpr4_vgpr5
                                        ; implicit-def: $vgpr14_vgpr15_vgpr16_vgpr17
                                        ; implicit-def: $vgpr10_vgpr11_vgpr12_vgpr13
	s_cbranch_execz .LBB585_31
; %bb.30:
	s_waitcnt vmcnt(0)
	v_lshlrev_b32_e32 v2, 1, v18
	v_lshl_or_b32 v20, v36, 8, v2
	s_and_b32 s1, s1, 0xffff
	s_mov_b32 s3, 0x20000
	s_movk_i32 s2, 0x4000
	v_lshl_or_b32 v21, v19, 8, v2
	s_movk_i32 s4, 0x80
	buffer_load_dwordx4 v[6:9], v20, s[0:3], 0 offen
	buffer_load_dwordx4 v[2:5], v20, s[0:3], s4 offen
	;; [unrolled: 1-line block ×4, first 2 shown]
	v_lshrrev_b32_e32 v20, 3, v18
	v_lshlrev_b32_e32 v21, 3, v36
	v_or_b32_e32 v20, v21, v20
	v_lshlrev_b32_e32 v20, 4, v20
	v_and_b32_e32 v21, 0x78, v21
	v_xor_b32_e32 v21, v20, v21
	v_lshlrev_b32_e32 v20, 7, v19
.LBB585_31:
	s_lshl_b64 s[0:1], s[46:47], 8
	s_add_u32 s4, s16, s0
	s_movk_i32 s0, 0x1000
	v_and_or_b32 v19, v20, s0, v21
	s_waitcnt vmcnt(1)
	ds_write_b64 v21, v[6:7] offset:16384
	v_xor_b32_e32 v6, 8, v21
	ds_write_b64 v6, v[8:9] offset:16384
	s_waitcnt vmcnt(0)
	ds_write_b64 v21, v[2:3] offset:24576
	ds_write_b64 v6, v[4:5] offset:24576
	;; [unrolled: 1-line block ×3, first 2 shown]
	v_xor_b32_e32 v2, 8, v19
	ds_write_b64 v2, v[16:17] offset:16384
	ds_write_b64 v19, v[10:11] offset:24576
	;; [unrolled: 1-line block ×3, first 2 shown]
	v_or_b32_e32 v2, v45, v67
	v_lshlrev_b32_e32 v2, 3, v2
	v_lshrrev_b32_e32 v4, 5, v49
	s_movk_i32 s6, 0xf8
	v_and_or_b32 v4, v2, s6, v4
	v_lshlrev_b32_e32 v35, 11, v1
	v_lshlrev_b32_e32 v12, 4, v4
	v_and_b32_e32 v13, 0x78, v2
	v_and_b32_e32 v14, 0x1000, v35
	v_lshlrev_b32_e32 v3, 2, v0
	v_xor_b32_e32 v2, v12, v13
	v_lshrrev_b32_e32 v4, 1, v49
	v_and_b32_e32 v3, 60, v3
	v_or_b32_e32 v2, v2, v14
	v_and_b32_e32 v15, 8, v4
	v_xor_b32_e32 v26, v2, v15
	v_lshl_or_b32 v2, v66, 6, v3
	v_lshlrev_b32_e32 v37, 1, v2
	v_or_b32_e32 v2, 32, v12
	v_xor_b32_e32 v2, v2, v13
	s_waitcnt lgkmcnt(0)
	s_barrier
	ds_read_b64 v[10:11], v26 offset:16384
	v_or_b32_e32 v2, v2, v14
	v_xor_b32_e32 v27, v2, v15
	v_or_b32_e32 v2, 64, v12
	v_xor_b32_e32 v2, v2, v13
	v_or_b32_e32 v2, v2, v14
	v_or_b32_e32 v12, 0x60, v12
	v_xor_b32_e32 v28, v2, v15
	ds_read2st64_b64 v[2:5], v37 offset0:72 offset1:73
	ds_read2st64_b64 v[6:9], v37 offset0:74 offset1:75
	v_xor_b32_e32 v16, v12, v13
	ds_read_b64 v[12:13], v27 offset:16384
	s_addc_u32 s5, s17, s1
	s_add_i32 s0, s53, s52
	s_waitcnt lgkmcnt(2)
	v_mfma_f32_16x16x16_bf16 a[0:3], v[10:11], v[2:3], 0
	s_add_i32 s17, s24, -1
	s_add_i32 s41, s0, s57
	s_add_i32 s0, s55, s54
	;; [unrolled: 1-line block ×3, first 2 shown]
	s_ashr_i32 s0, s17, 31
	s_mul_i32 s1, s17, s37
	s_mul_hi_u32 s2, s17, s36
	s_add_i32 s1, s2, s1
	s_mul_i32 s0, s0, s36
	v_or_b32_e32 v14, v16, v14
	s_add_i32 s1, s1, s0
	s_lshl_b64 s[2:3], s[40:41], 2
	v_xor_b32_e32 v38, v14, v15
	ds_read_b64 v[14:15], v28 offset:16384
	ds_read_b64 v[16:17], v38 offset:16384
	s_waitcnt lgkmcnt(2)
	v_mfma_f32_16x16x16_bf16 a[0:3], v[12:13], v[4:5], a[0:3]
	s_add_u32 s6, s22, s2
	s_addc_u32 s7, s23, s3
	s_lshl_b64 s[2:3], s[38:39], 2
	s_mul_i32 s0, s17, s36
	s_add_u32 s12, s6, s2
	s_addc_u32 s13, s7, s3
	s_lshl_b64 s[0:1], s[0:1], 2
	s_waitcnt lgkmcnt(1)
	v_mfma_f32_16x16x16_bf16 a[0:3], v[14:15], v[6:7], a[0:3]
	s_add_u32 s0, s12, s0
	s_addc_u32 s1, s13, s1
	s_load_dword s16, s[0:1], 0x0
	s_waitcnt lgkmcnt(0)
	v_mfma_f32_16x16x16_bf16 a[0:3], v[16:17], v[8:9], a[0:3]
	s_and_b64 vcc, exec, s[30:31]
	s_cbranch_vccz .LBB585_42
; %bb.32:
	v_lshlrev_b32_e32 v19, 1, v36
	s_and_b64 vcc, exec, s[18:19]
	s_cbranch_vccz .LBB585_43
; %bb.33:
	v_cmp_gt_i32_e32 vcc, s45, v19
	v_mov_b32_e32 v6, 0
	v_mov_b32_e32 v2, 0
	;; [unrolled: 1-line block ×5, first 2 shown]
	s_and_saveexec_b64 s[0:1], vcc
	s_cbranch_execz .LBB585_35
; %bb.34:
	v_mad_i64_i32 v[2:3], s[2:3], s27, v19, 0
	v_lshl_add_u64 v[2:3], v[2:3], 1, s[4:5]
	v_lshlrev_b32_e32 v4, 1, v18
	v_mov_b32_e32 v5, 0
	v_lshl_add_u64 v[2:3], v[2:3], 0, v[4:5]
	global_load_dwordx4 v[2:5], v[2:3], off
.LBB585_35:
	s_or_b64 exec, exec, s[0:1]
	v_or_b32_e32 v20, 1, v19
	v_cmp_gt_i32_e64 s[0:1], s45, v20
	v_mov_b32_e32 v7, 0
	v_mov_b32_e32 v8, 0
	;; [unrolled: 1-line block ×3, first 2 shown]
	s_and_saveexec_b64 s[2:3], s[0:1]
	s_cbranch_execz .LBB585_37
; %bb.36:
	v_mad_i64_i32 v[6:7], s[6:7], s27, v20, 0
	v_lshl_add_u64 v[6:7], v[6:7], 1, s[4:5]
	v_lshlrev_b32_e32 v8, 1, v18
	v_mov_b32_e32 v9, 0
	v_lshl_add_u64 v[6:7], v[6:7], 0, v[8:9]
	global_load_dwordx4 v[6:9], v[6:7], off
.LBB585_37:
	s_or_b64 exec, exec, s[2:3]
	v_mov_b32_e32 v17, 0
	v_mov_b32_e32 v10, 0
	v_mov_b32_e32 v11, 0
	v_mov_b32_e32 v12, 0
	v_mov_b32_e32 v13, 0
	s_and_saveexec_b64 s[2:3], vcc
	s_cbranch_execz .LBB585_39
; %bb.38:
	v_mad_i64_i32 v[10:11], s[6:7], s27, v19, 0
	v_lshl_add_u64 v[10:11], v[10:11], 1, s[4:5]
	v_lshlrev_b32_e32 v12, 1, v18
	v_mov_b32_e32 v13, 0
	v_lshl_add_u64 v[10:11], v[10:11], 0, v[12:13]
	global_load_dwordx4 v[10:13], v[10:11], off offset:128
.LBB585_39:
	s_or_b64 exec, exec, s[2:3]
	v_mov_b32_e32 v16, 0
	v_mov_b32_e32 v15, 0
	;; [unrolled: 1-line block ×3, first 2 shown]
	s_and_saveexec_b64 s[2:3], s[0:1]
	s_cbranch_execz .LBB585_41
; %bb.40:
	v_mad_i64_i32 v[14:15], s[0:1], s27, v20, 0
	v_lshl_add_u64 v[14:15], v[14:15], 1, s[4:5]
	v_lshlrev_b32_e32 v16, 1, v18
	v_mov_b32_e32 v17, 0
	v_lshl_add_u64 v[14:15], v[14:15], 0, v[16:17]
	global_load_dwordx4 v[14:17], v[14:15], off offset:128
.LBB585_41:
	s_or_b64 exec, exec, s[2:3]
	s_branch .LBB585_45
.LBB585_42:
                                        ; implicit-def: $vgpr5
                                        ; implicit-def: $vgpr9
                                        ; implicit-def: $vgpr13
                                        ; implicit-def: $vgpr17
	v_lshrrev_b32_e32 v19, 2, v49
	s_branch .LBB585_46
.LBB585_43:
                                        ; implicit-def: $vgpr5
                                        ; implicit-def: $vgpr9
                                        ; implicit-def: $vgpr13
                                        ; implicit-def: $vgpr17
	s_cbranch_execz .LBB585_45
; %bb.44:
	s_waitcnt vmcnt(0)
	v_mad_u64_u32 v[2:3], s[0:1], v19, s27, v[18:19]
	v_lshlrev_b32_e32 v19, 1, v2
	s_lshl_b32 s2, s27, 7
	s_and_b32 s1, s5, 0xffff
	s_mov_b32 s3, 0x20000
	s_mov_b32 s0, s4
	v_add_lshl_u32 v20, v2, s27, 1
	s_movk_i32 s6, 0x80
	buffer_load_dwordx4 v[2:5], v19, s[0:3], 0 offen
	buffer_load_dwordx4 v[10:13], v19, s[0:3], s6 offen
	;; [unrolled: 1-line block ×4, first 2 shown]
.LBB585_45:
	v_lshrrev_b32_e32 v19, 2, v49
	s_cbranch_execnz .LBB585_58
.LBB585_46:
	s_and_b64 vcc, exec, s[18:19]
	s_cbranch_vccz .LBB585_56
; %bb.47:
	s_waitcnt vmcnt(0)
	v_lshlrev_b32_e32 v7, 1, v36
	v_cmp_gt_i32_e32 vcc, s45, v7
	v_mov_b32_e32 v6, 0
	v_lshlrev_b32_e32 v14, 9, v36
	v_mov_b32_e32 v2, 0
	v_mov_b32_e32 v3, 0
	;; [unrolled: 1-line block ×4, first 2 shown]
	s_and_saveexec_b64 s[0:1], vcc
	s_cbranch_execz .LBB585_49
; %bb.48:
	v_mov_b32_e32 v15, 0
	v_lshl_add_u64 v[2:3], s[4:5], 0, v[14:15]
	v_lshlrev_b32_e32 v4, 1, v18
	v_mov_b32_e32 v5, v15
	v_lshl_add_u64 v[2:3], v[2:3], 0, v[4:5]
	global_load_dwordx4 v[2:5], v[2:3], off
.LBB585_49:
	s_or_b64 exec, exec, s[0:1]
	v_or_b32_e32 v7, 1, v7
	v_cmp_gt_i32_e64 s[0:1], s45, v7
	v_lshlrev_b32_e32 v20, 8, v7
	v_mov_b32_e32 v7, 0
	v_mov_b32_e32 v8, 0
	;; [unrolled: 1-line block ×3, first 2 shown]
	s_and_saveexec_b64 s[2:3], s[0:1]
	s_cbranch_execz .LBB585_51
; %bb.50:
	v_mov_b32_e32 v21, 0
	v_lshl_add_u64 v[6:7], s[4:5], 0, v[20:21]
	v_lshlrev_b32_e32 v8, 1, v18
	v_mov_b32_e32 v9, v21
	v_lshl_add_u64 v[6:7], v[6:7], 0, v[8:9]
	global_load_dwordx4 v[6:9], v[6:7], off
.LBB585_51:
	s_or_b64 exec, exec, s[2:3]
	v_mov_b32_e32 v17, 0
	v_mov_b32_e32 v10, 0
	;; [unrolled: 1-line block ×5, first 2 shown]
	s_and_saveexec_b64 s[2:3], vcc
	s_cbranch_execz .LBB585_53
; %bb.52:
	v_mov_b32_e32 v15, 0
	v_lshl_add_u64 v[10:11], s[4:5], 0, v[14:15]
	v_lshlrev_b32_e32 v14, 1, v18
	v_lshl_add_u64 v[10:11], v[10:11], 0, v[14:15]
	global_load_dwordx4 v[10:13], v[10:11], off offset:128
.LBB585_53:
	s_or_b64 exec, exec, s[2:3]
	v_mov_b32_e32 v16, 0
	v_mov_b32_e32 v15, 0
	;; [unrolled: 1-line block ×3, first 2 shown]
	s_and_saveexec_b64 s[2:3], s[0:1]
	s_cbranch_execz .LBB585_55
; %bb.54:
	v_mov_b32_e32 v21, 0
	v_lshl_add_u64 v[14:15], s[4:5], 0, v[20:21]
	v_lshlrev_b32_e32 v20, 1, v18
	v_lshl_add_u64 v[14:15], v[14:15], 0, v[20:21]
	global_load_dwordx4 v[14:17], v[14:15], off offset:128
.LBB585_55:
	s_or_b64 exec, exec, s[2:3]
	s_branch .LBB585_58
.LBB585_56:
                                        ; implicit-def: $vgpr5
                                        ; implicit-def: $vgpr9
                                        ; implicit-def: $vgpr13
                                        ; implicit-def: $vgpr17
	s_cbranch_execz .LBB585_58
; %bb.57:
	s_waitcnt vmcnt(0)
	v_lshlrev_b32_e32 v2, 1, v18
	v_lshl_or_b32 v18, v36, 9, v2
	s_and_b32 s5, s5, 0xffff
	s_mov_b32 s7, 0x20000
	s_movk_i32 s6, 0x4000
	s_movk_i32 s0, 0x80
	buffer_load_dwordx4 v[2:5], v18, s[4:7], 0 offen
	buffer_load_dwordx4 v[6:9], v18, s[4:7], 0 offen offset:256
	buffer_load_dwordx4 v[10:13], v18, s[4:7], s0 offen
	buffer_load_dwordx4 v[14:17], v18, s[4:7], s0 offen offset:256
.LBB585_58:
	v_and_b32_e32 v39, 12, v19
	ds_read2st64_b64 v[22:25], v37 offset0:76 offset1:77
	ds_read2st64_b64 v[18:21], v37 offset0:78 offset1:79
	ds_read_b64 v[32:33], v26 offset:24576
	ds_read_b64 v[30:31], v27 offset:24576
	;; [unrolled: 1-line block ×4, first 2 shown]
	v_and_b32_e32 v38, 6, v0
	v_xor_b32_e32 v36, v36, v38
	v_lshlrev_b32_e32 v36, 2, v36
	v_and_b32_e32 v40, 1, v0
	v_xor_b32_e32 v41, 0x440, v36
	v_cmp_eq_u32_e32 vcc, 0, v40
	s_mov_b32 s0, 0x1000504
	s_waitcnt vmcnt(0)
	v_perm_b32 v40, v10, v14, s0
	v_cndmask_b32_e32 v36, v41, v36, vcc
	v_lshl_or_b32 v36, v38, 10, v36
	v_perm_b32 v38, v2, v6, s0
	ds_write2st64_b32 v36, v38, v40 offset1:32
	v_xor_b32_e32 v38, 8, v36
	s_mov_b32 s1, 0x3020706
	v_perm_b32 v2, v2, v6, s1
	v_perm_b32 v6, v10, v14, s1
	v_add_u32_e32 v10, 0x80, v38
	ds_write2st64_b32 v10, v2, v6 offset1:32
	v_xor_b32_e32 v2, 16, v36
	v_perm_b32 v6, v3, v7, s0
	v_perm_b32 v10, v11, v15, s0
	ds_write2st64_b32 v2, v6, v10 offset0:1 offset1:33
	v_xor_b32_e32 v2, 24, v36
	v_perm_b32 v3, v3, v7, s1
	v_perm_b32 v6, v11, v15, s1
	v_add_u32_e32 v2, 0x80, v2
	ds_write2st64_b32 v2, v3, v6 offset0:1 offset1:33
	v_xor_b32_e32 v2, 32, v36
	v_perm_b32 v3, v4, v8, s0
	v_perm_b32 v6, v12, v16, s0
	ds_write2st64_b32 v2, v3, v6 offset0:2 offset1:34
	v_xor_b32_e32 v2, 40, v36
	v_perm_b32 v3, v4, v8, s1
	v_perm_b32 v4, v12, v16, s1
	v_add_u32_e32 v2, 0x80, v2
	ds_write2st64_b32 v2, v3, v4 offset0:2 offset1:34
	v_xor_b32_e32 v2, 48, v36
	v_perm_b32 v3, v5, v9, s0
	v_perm_b32 v4, v13, v17, s0
	ds_write2st64_b32 v2, v3, v4 offset0:3 offset1:35
	v_xor_b32_e32 v2, 56, v36
	v_or_b32_e32 v10, v39, v45
	v_perm_b32 v3, v5, v9, s1
	v_perm_b32 v4, v13, v17, s1
	v_add_u32_e32 v2, 0x80, v2
	v_cmp_gt_i32_e32 vcc, s45, v10
	v_mov_b32_e32 v12, 0
	v_mov_b32_e32 v16, 0
	ds_write2st64_b32 v2, v3, v4 offset0:3 offset1:35
	s_and_saveexec_b64 s[0:1], vcc
	s_cbranch_execz .LBB585_60
; %bb.59:
	v_add_u32_e32 v2, s43, v10
	v_ashrrev_i32_e32 v3, 31, v2
	v_mul_lo_u32 v4, v3, s36
	v_mul_lo_u32 v5, v2, s37
	v_mad_u64_u32 v[2:3], s[2:3], v2, s36, 0
	v_add3_u32 v3, v3, v5, v4
	v_lshl_add_u64 v[2:3], v[2:3], 2, s[12:13]
	global_load_dword v2, v[2:3], off
	s_waitcnt vmcnt(0)
	v_sub_f32_e32 v2, s16, v2
	v_mul_f32_e32 v2, 0x3fb8aa3b, v2
	v_exp_f32_e32 v16, v2
.LBB585_60:
	s_or_b64 exec, exec, s[0:1]
	v_or_b32_e32 v15, 1, v10
	v_cmp_gt_i32_e64 s[4:5], s45, v15
	s_and_saveexec_b64 s[0:1], s[4:5]
	s_cbranch_execz .LBB585_62
; %bb.61:
	v_add_u32_e32 v2, s43, v15
	v_ashrrev_i32_e32 v3, 31, v2
	v_mul_lo_u32 v4, v3, s36
	v_mul_lo_u32 v5, v2, s37
	v_mad_u64_u32 v[2:3], s[2:3], v2, s36, 0
	v_add3_u32 v3, v3, v5, v4
	v_lshl_add_u64 v[2:3], v[2:3], 2, s[12:13]
	global_load_dword v2, v[2:3], off
	s_waitcnt vmcnt(0)
	v_sub_f32_e32 v2, s16, v2
	v_mul_f32_e32 v2, 0x3fb8aa3b, v2
	v_exp_f32_e32 v12, v2
.LBB585_62:
	s_or_b64 exec, exec, s[0:1]
	v_or_b32_e32 v13, 2, v10
	v_cmp_gt_i32_e64 s[0:1], s45, v13
	v_mov_b32_e32 v11, 0
	v_mov_b32_e32 v17, 0
	s_and_saveexec_b64 s[2:3], s[0:1]
	s_cbranch_execz .LBB585_64
; %bb.63:
	v_add_u32_e32 v2, s43, v13
	v_ashrrev_i32_e32 v3, 31, v2
	v_mul_lo_u32 v4, v3, s36
	v_mul_lo_u32 v5, v2, s37
	v_mad_u64_u32 v[2:3], s[6:7], v2, s36, 0
	v_add3_u32 v3, v3, v5, v4
	v_lshl_add_u64 v[2:3], v[2:3], 2, s[12:13]
	global_load_dword v2, v[2:3], off
	s_waitcnt vmcnt(0)
	v_sub_f32_e32 v2, s16, v2
	v_mul_f32_e32 v2, 0x3fb8aa3b, v2
	v_exp_f32_e32 v17, v2
.LBB585_64:
	s_or_b64 exec, exec, s[2:3]
	v_or_b32_e32 v14, 3, v10
	v_cmp_gt_i32_e64 s[2:3], s45, v14
	s_and_saveexec_b64 s[6:7], s[2:3]
	s_cbranch_execz .LBB585_66
; %bb.65:
	v_add_u32_e32 v2, s43, v14
	v_ashrrev_i32_e32 v3, 31, v2
	v_mul_lo_u32 v4, v3, s36
	v_mul_lo_u32 v5, v2, s37
	v_mad_u64_u32 v[2:3], s[18:19], v2, s36, 0
	v_add3_u32 v3, v3, v5, v4
	v_lshl_add_u64 v[2:3], v[2:3], 2, s[12:13]
	global_load_dword v2, v[2:3], off
	s_waitcnt vmcnt(0)
	v_sub_f32_e32 v2, s16, v2
	v_mul_f32_e32 v2, 0x3fb8aa3b, v2
	v_exp_f32_e32 v11, v2
.LBB585_66:
	s_or_b64 exec, exec, s[6:7]
	s_waitcnt lgkmcnt(11)
	v_mfma_f32_16x16x16_bf16 a[0:3], v[32:33], v[22:23], a[0:3]
	s_add_u32 s6, s20, s28
	v_ashrrev_i32_e32 v59, 31, v58
	s_addc_u32 s7, s21, s29
	s_waitcnt lgkmcnt(10)
	v_mfma_f32_16x16x16_bf16 a[0:3], v[30:31], v[24:25], a[0:3]
	v_lshlrev_b64 v[2:3], 1, v[58:59]
	v_lshl_add_u64 v[6:7], s[6:7], 0, v[2:3]
	s_add_u32 s6, s14, s28
	s_waitcnt lgkmcnt(9)
	v_mfma_f32_16x16x16_bf16 a[0:3], v[28:29], v[18:19], a[0:3]
	s_addc_u32 s7, s15, s29
	v_lshl_add_u64 v[8:9], s[6:7], 0, v[2:3]
	v_mov_b32_e32 v18, 0
	s_waitcnt lgkmcnt(8)
	v_mfma_f32_16x16x16_bf16 a[0:3], v[26:27], v[20:21], a[0:3]
	v_mov_b32_e32 v19, 0
	s_nop 5
	v_accvgpr_read_b32 v5, a3
	v_accvgpr_read_b32 v4, a2
	;; [unrolled: 1-line block ×4, first 2 shown]
	s_and_saveexec_b64 s[6:7], vcc
	s_cbranch_execz .LBB585_68
; %bb.67:
	v_lshlrev_b32_e32 v20, 8, v10
	v_mov_b32_e32 v21, 0
	v_lshl_add_u64 v[22:23], v[6:7], 0, v[20:21]
	global_load_ushort v19, v[22:23], off
	v_lshl_add_u64 v[20:21], v[8:9], 0, v[20:21]
	s_waitcnt vmcnt(0)
	v_lshlrev_b32_e32 v19, 16, v19
	v_sub_f32_e32 v2, v19, v2
	global_store_short_d16_hi v[20:21], v2, off
	v_mul_f32_e32 v2, v16, v2
	v_lshrrev_b32_e32 v19, 16, v2
.LBB585_68:
	s_or_b64 exec, exec, s[6:7]
	s_and_saveexec_b64 s[6:7], s[4:5]
	s_cbranch_execz .LBB585_70
; %bb.69:
	v_lshlrev_b32_e32 v20, 8, v15
	v_mov_b32_e32 v21, 0
	v_lshl_add_u64 v[22:23], v[6:7], 0, v[20:21]
	global_load_ushort v2, v[22:23], off
	v_lshl_add_u64 v[20:21], v[8:9], 0, v[20:21]
	s_waitcnt vmcnt(0)
	v_lshlrev_b32_e32 v2, 16, v2
	v_sub_f32_e32 v2, v2, v3
	global_store_short_d16_hi v[20:21], v2, off
	v_mul_f32_e32 v2, v12, v2
	v_lshrrev_b32_e32 v18, 16, v2
.LBB585_70:
	s_or_b64 exec, exec, s[6:7]
	v_mov_b32_e32 v3, 0
	v_mov_b32_e32 v12, 0
	s_and_saveexec_b64 s[4:5], s[0:1]
	s_cbranch_execz .LBB585_72
; %bb.71:
	v_lshlrev_b32_e32 v12, 8, v13
	v_mov_b32_e32 v13, 0
	v_lshl_add_u64 v[20:21], v[6:7], 0, v[12:13]
	global_load_ushort v2, v[20:21], off
	v_lshl_add_u64 v[12:13], v[8:9], 0, v[12:13]
	s_waitcnt vmcnt(0)
	v_lshlrev_b32_e32 v2, 16, v2
	v_sub_f32_e32 v2, v2, v4
	global_store_short_d16_hi v[12:13], v2, off
	v_mul_f32_e32 v2, v17, v2
	v_lshrrev_b32_e32 v12, 16, v2
.LBB585_72:
	s_or_b64 exec, exec, s[4:5]
	v_or_b32_e32 v2, 0x9800, v37
	s_and_saveexec_b64 s[0:1], s[2:3]
	s_cbranch_execz .LBB585_74
; %bb.73:
	v_lshlrev_b32_e32 v14, 8, v14
	v_mov_b32_e32 v15, 0
	v_lshl_add_u64 v[6:7], v[6:7], 0, v[14:15]
	global_load_ushort v3, v[6:7], off
	v_lshl_add_u64 v[6:7], v[8:9], 0, v[14:15]
	s_waitcnt vmcnt(0)
	v_lshlrev_b32_e32 v3, 16, v3
	v_sub_f32_e32 v3, v3, v5
	global_store_short_d16_hi v[6:7], v3, off
	v_mul_f32_e32 v3, v11, v3
	v_lshrrev_b32_e32 v3, 16, v3
.LBB585_74:
	s_or_b64 exec, exec, s[0:1]
	s_mov_b32 s0, 0x5040100
	v_perm_b32 v5, v3, v12, s0
	v_lshlrev_b32_e32 v3, 1, v34
	v_perm_b32 v4, v18, v19, s0
	v_lshl_or_b32 v3, v10, 5, v3
	s_movk_i32 s2, 0xff
	ds_write_b64 v3, v[4:5] offset:38912
	v_and_b32_e32 v3, 7, v0
	v_cmp_lt_u32_e32 vcc, s2, v0
	v_and_b32_e32 v4, 8, v0
	v_lshlrev_b32_e32 v12, 3, v3
	v_lshlrev_b32_e32 v24, 7, v3
	v_cndmask_b32_e64 v3, 0, 1, vcc
	v_lshrrev_b32_e32 v0, 1, v0
	v_lshlrev_b32_e32 v14, 13, v3
	v_lshlrev_b32_e32 v3, 3, v1
	v_and_b32_e32 v0, 24, v0
	v_xor_b32_e32 v5, v3, v0
	v_or_b32_e32 v6, 0x440, v5
	v_cmp_eq_u32_e32 vcc, 0, v4
	s_add_i32 s0, s17, s51
	s_mul_hi_i32 s1, s0, s25
	v_cndmask_b32_e32 v4, v6, v5, vcc
	v_or_b32_e32 v4, v4, v35
	v_xor_b32_e32 v22, v4, v12
	v_or_b32_e32 v4, 32, v0
	v_xor_b32_e32 v4, v3, v4
	v_or_b32_e32 v5, 0x440, v4
	v_cndmask_b32_e32 v4, v5, v4, vcc
	v_or_b32_e32 v4, v4, v35
	v_xor_b32_e32 v23, v4, v12
	v_or_b32_e32 v4, 64, v0
	v_xor_b32_e32 v4, v3, v4
	v_xor_b32_e32 v5, 0x440, v4
	s_mul_i32 s0, s0, s25
	v_cndmask_b32_e32 v4, v5, v4, vcc
	v_or_b32_e32 v0, 0x60, v0
	s_add_u32 s0, s0, s33
	v_add3_u32 v15, v14, v22, v24
	v_or_b32_e32 v4, v4, v35
	v_xor_b32_e32 v0, v3, v0
	s_waitcnt lgkmcnt(0)
	s_barrier
	s_addc_u32 s1, s1, s50
	v_lshlrev_b32_e32 v13, 2, v10
	v_xor_b32_e32 v25, v4, v12
	ds_read2st64_b64 v[4:7], v2 offset1:1
	ds_read2st64_b64 v[8:11], v2 offset0:2 offset1:3
	ds_read_b64 v[2:3], v15
	v_xor_b32_e32 v15, 0x440, v0
	s_lshl_b64 s[0:1], s[0:1], 9
	v_cndmask_b32_e32 v0, v15, v0, vcc
	s_add_u32 s0, s8, s0
	v_or_b32_e32 v0, v0, v35
	s_addc_u32 s1, s9, s1
	v_add3_u32 v16, v14, v23, v24
	v_add3_u32 v18, v14, v25, v24
	v_xor_b32_e32 v26, v0, v12
	v_add3_u32 v0, v14, v26, v24
	ds_read_b64 v[16:17], v16
	ds_read_b64 v[18:19], v18
	ds_read_b64 v[20:21], v0
	global_load_dwordx4 v[12:15], v13, s[0:1]
	v_lshlrev_b32_e32 v0, 6, v1
	v_lshlrev_b32_e32 v1, 2, v39
	s_movk_i32 s2, 0x100
	v_or3_b32 v0, v0, v1, s2
	s_waitcnt lgkmcnt(3)
	v_mfma_f32_16x16x16_bf16 a[0:3], v[2:3], v[4:5], 0
	global_load_dwordx4 v[0:3], v0, s[0:1]
	v_add_u32_e32 v27, v23, v24
	s_waitcnt vmcnt(1)
	v_mul_f32_e32 v12, 0x3fb8aa3b, v12
	s_waitcnt lgkmcnt(2)
	v_mfma_f32_16x16x16_bf16 a[0:3], v[16:17], v[6:7], a[0:3]
	v_mov_b32_e32 v16, 0x3fb8aa3b
	v_mul_f32_e32 v16, s16, v16
	v_mul_f32_e32 v13, 0x3fb8aa3b, v13
	s_waitcnt lgkmcnt(1)
	v_mfma_f32_16x16x16_bf16 a[0:3], v[18:19], v[8:9], a[0:3]
	v_exp_f32_e32 v16, v16
	v_add_u32_e32 v17, v22, v24
	v_exp_f32_e32 v12, v12
	s_waitcnt lgkmcnt(0)
	v_mfma_f32_16x16x16_bf16 a[0:3], v[20:21], v[10:11], a[0:3]
	v_exp_f32_e32 v13, v13
	ds_read_b64 v[22:23], v17 offset:8192
	v_mul_f32_e32 v14, 0x3fb8aa3b, v14
	v_mul_f32_e32 v15, 0x3fb8aa3b, v15
	v_pk_mul_f32 v[12:13], v[16:17], v[12:13] op_sel_hi:[0,1]
	v_exp_f32_e32 v14, v14
	v_exp_f32_e32 v15, v15
	v_accvgpr_read_b32 v21, a1
	v_accvgpr_read_b32 v20, a0
	v_pk_fma_f32 v[52:53], v[52:53], v[12:13], v[20:21]
	ds_read_b64 v[12:13], v27 offset:8192
	v_accvgpr_read_b32 v19, a3
	v_accvgpr_read_b32 v18, a2
	s_waitcnt lgkmcnt(1)
	v_mfma_f32_16x16x16_bf16 a[0:3], v[22:23], v[4:5], 0
	v_pk_mul_f32 v[14:15], v[16:17], v[14:15] op_sel_hi:[0,1]
	v_pk_fma_f32 v[56:57], v[56:57], v[14:15], v[18:19]
	v_add_u32_e32 v14, v25, v24
	v_add_u32_e32 v17, v26, v24
	ds_read_b64 v[14:15], v14 offset:8192
	ds_read_b64 v[18:19], v17 offset:8192
	s_waitcnt lgkmcnt(2)
	v_mfma_f32_16x16x16_bf16 a[0:3], v[12:13], v[6:7], a[0:3]
	s_waitcnt vmcnt(0)
	v_mov_b32_e32 v4, v3
	v_mov_b32_e32 v3, v2
	;; [unrolled: 1-line block ×3, first 2 shown]
	s_waitcnt lgkmcnt(1)
	v_mfma_f32_16x16x16_bf16 a[0:3], v[14:15], v[8:9], a[0:3]
	v_mul_f32_e32 v0, 0x3fb8aa3b, v0
	v_mul_f32_e32 v1, 0x3fb8aa3b, v2
	v_exp_f32_e32 v0, v0
	s_waitcnt lgkmcnt(0)
	v_mfma_f32_16x16x16_bf16 a[0:3], v[18:19], v[10:11], a[0:3]
	v_exp_f32_e32 v1, v1
	v_mul_f32_e32 v2, 0x3fb8aa3b, v3
	v_mul_f32_e32 v3, 0x3fb8aa3b, v4
	v_exp_f32_e32 v2, v2
	v_exp_f32_e32 v3, v3
	v_pk_mul_f32 v[0:1], v[16:17], v[0:1] op_sel_hi:[0,1]
	s_nop 0
	v_accvgpr_read_b32 v7, a1
	v_accvgpr_read_b32 v6, a0
	;; [unrolled: 1-line block ×4, first 2 shown]
	v_pk_fma_f32 v[50:51], v[50:51], v[0:1], v[6:7]
	v_pk_mul_f32 v[0:1], v[16:17], v[2:3] op_sel_hi:[0,1]
	v_pk_fma_f32 v[54:55], v[54:55], v[0:1], v[4:5]
.LBB585_75:
	s_add_u32 s0, s10, s34
	s_addc_u32 s1, s11, s35
	v_lshl_add_u64 v[0:1], v[46:47], 1, s[0:1]
	v_mov_b32_e32 v49, 0
	s_mov_b32 s0, 0x7060302
	v_lshl_add_u64 v[0:1], v[0:1], 0, v[48:49]
	v_perm_b32 v3, v57, v56, s0
	v_perm_b32 v2, v53, v52, s0
	global_store_dwordx2 v[0:1], v[2:3], off
	v_perm_b32 v3, v55, v54, s0
	v_perm_b32 v2, v51, v50, s0
	global_store_dwordx2 v[0:1], v[2:3], off offset:128
	s_endpgm
	.section	.rodata,"a",@progbits
	.p2align	6, 0x0
	.amdhsa_kernel _ZN12_GLOBAL__N_139chunk_gated_delta_rule_fwd_h_hip_kernelILi16ELb1ELb1ELb1ELb0ELb0ELb1ELb1ELb1EEEvPK12hip_bfloat16S3_S3_PKfS5_PKvPS1_S8_PvPKiSB_iiiiilll
		.amdhsa_group_segment_fixed_size 40960
		.amdhsa_private_segment_fixed_size 0
		.amdhsa_kernarg_size 136
		.amdhsa_user_sgpr_count 2
		.amdhsa_user_sgpr_dispatch_ptr 0
		.amdhsa_user_sgpr_queue_ptr 0
		.amdhsa_user_sgpr_kernarg_segment_ptr 1
		.amdhsa_user_sgpr_dispatch_id 0
		.amdhsa_user_sgpr_kernarg_preload_length 0
		.amdhsa_user_sgpr_kernarg_preload_offset 0
		.amdhsa_user_sgpr_private_segment_size 0
		.amdhsa_uses_dynamic_stack 0
		.amdhsa_enable_private_segment 0
		.amdhsa_system_sgpr_workgroup_id_x 1
		.amdhsa_system_sgpr_workgroup_id_y 1
		.amdhsa_system_sgpr_workgroup_id_z 0
		.amdhsa_system_sgpr_workgroup_info 0
		.amdhsa_system_vgpr_workitem_id 0
		.amdhsa_next_free_vgpr 132
		.amdhsa_next_free_sgpr 76
		.amdhsa_accum_offset 120
		.amdhsa_reserve_vcc 1
		.amdhsa_float_round_mode_32 0
		.amdhsa_float_round_mode_16_64 0
		.amdhsa_float_denorm_mode_32 3
		.amdhsa_float_denorm_mode_16_64 3
		.amdhsa_dx10_clamp 1
		.amdhsa_ieee_mode 1
		.amdhsa_fp16_overflow 0
		.amdhsa_tg_split 0
		.amdhsa_exception_fp_ieee_invalid_op 0
		.amdhsa_exception_fp_denorm_src 0
		.amdhsa_exception_fp_ieee_div_zero 0
		.amdhsa_exception_fp_ieee_overflow 0
		.amdhsa_exception_fp_ieee_underflow 0
		.amdhsa_exception_fp_ieee_inexact 0
		.amdhsa_exception_int_div_zero 0
	.end_amdhsa_kernel
	.section	.text._ZN12_GLOBAL__N_139chunk_gated_delta_rule_fwd_h_hip_kernelILi16ELb1ELb1ELb1ELb0ELb0ELb1ELb1ELb1EEEvPK12hip_bfloat16S3_S3_PKfS5_PKvPS1_S8_PvPKiSB_iiiiilll,"axG",@progbits,_ZN12_GLOBAL__N_139chunk_gated_delta_rule_fwd_h_hip_kernelILi16ELb1ELb1ELb1ELb0ELb0ELb1ELb1ELb1EEEvPK12hip_bfloat16S3_S3_PKfS5_PKvPS1_S8_PvPKiSB_iiiiilll,comdat
.Lfunc_end585:
	.size	_ZN12_GLOBAL__N_139chunk_gated_delta_rule_fwd_h_hip_kernelILi16ELb1ELb1ELb1ELb0ELb0ELb1ELb1ELb1EEEvPK12hip_bfloat16S3_S3_PKfS5_PKvPS1_S8_PvPKiSB_iiiiilll, .Lfunc_end585-_ZN12_GLOBAL__N_139chunk_gated_delta_rule_fwd_h_hip_kernelILi16ELb1ELb1ELb1ELb0ELb0ELb1ELb1ELb1EEEvPK12hip_bfloat16S3_S3_PKfS5_PKvPS1_S8_PvPKiSB_iiiiilll
                                        ; -- End function
	.section	.AMDGPU.csdata,"",@progbits
; Kernel info:
; codeLenInByte = 8428
; NumSgprs: 82
; NumVgprs: 118
; NumAgprs: 12
; TotalNumVgprs: 132
; ScratchSize: 0
; MemoryBound: 0
; FloatMode: 240
; IeeeMode: 1
; LDSByteSize: 40960 bytes/workgroup (compile time only)
; SGPRBlocks: 10
; VGPRBlocks: 16
; NumSGPRsForWavesPerEU: 82
; NumVGPRsForWavesPerEU: 132
; AccumOffset: 120
; Occupancy: 1
; WaveLimiterHint : 1
; COMPUTE_PGM_RSRC2:SCRATCH_EN: 0
; COMPUTE_PGM_RSRC2:USER_SGPR: 2
; COMPUTE_PGM_RSRC2:TRAP_HANDLER: 0
; COMPUTE_PGM_RSRC2:TGID_X_EN: 1
; COMPUTE_PGM_RSRC2:TGID_Y_EN: 1
; COMPUTE_PGM_RSRC2:TGID_Z_EN: 0
; COMPUTE_PGM_RSRC2:TIDIG_COMP_CNT: 0
; COMPUTE_PGM_RSRC3_GFX90A:ACCUM_OFFSET: 29
; COMPUTE_PGM_RSRC3_GFX90A:TG_SPLIT: 0
	.section	.text._ZN12_GLOBAL__N_139chunk_gated_delta_rule_fwd_h_hip_kernelILi16ELb1ELb1ELb0ELb0ELb0ELb1ELb1ELb1EEEvPK12hip_bfloat16S3_S3_PKfS5_PKvPS1_S8_PvPKiSB_iiiiilll,"axG",@progbits,_ZN12_GLOBAL__N_139chunk_gated_delta_rule_fwd_h_hip_kernelILi16ELb1ELb1ELb0ELb0ELb0ELb1ELb1ELb1EEEvPK12hip_bfloat16S3_S3_PKfS5_PKvPS1_S8_PvPKiSB_iiiiilll,comdat
	.globl	_ZN12_GLOBAL__N_139chunk_gated_delta_rule_fwd_h_hip_kernelILi16ELb1ELb1ELb0ELb0ELb0ELb1ELb1ELb1EEEvPK12hip_bfloat16S3_S3_PKfS5_PKvPS1_S8_PvPKiSB_iiiiilll ; -- Begin function _ZN12_GLOBAL__N_139chunk_gated_delta_rule_fwd_h_hip_kernelILi16ELb1ELb1ELb0ELb0ELb0ELb1ELb1ELb1EEEvPK12hip_bfloat16S3_S3_PKfS5_PKvPS1_S8_PvPKiSB_iiiiilll
	.p2align	8
	.type	_ZN12_GLOBAL__N_139chunk_gated_delta_rule_fwd_h_hip_kernelILi16ELb1ELb1ELb0ELb0ELb0ELb1ELb1ELb1EEEvPK12hip_bfloat16S3_S3_PKfS5_PKvPS1_S8_PvPKiSB_iiiiilll,@function
_ZN12_GLOBAL__N_139chunk_gated_delta_rule_fwd_h_hip_kernelILi16ELb1ELb1ELb0ELb0ELb0ELb1ELb1ELb1EEEvPK12hip_bfloat16S3_S3_PKfS5_PKvPS1_S8_PvPKiSB_iiiiilll: ; @_ZN12_GLOBAL__N_139chunk_gated_delta_rule_fwd_h_hip_kernelILi16ELb1ELb1ELb0ELb0ELb0ELb1ELb1ELb1EEEvPK12hip_bfloat16S3_S3_PKfS5_PKvPS1_S8_PvPKiSB_iiiiilll
; %bb.0:
	s_load_dwordx4 s[12:15], s[0:1], 0x5c
	s_abs_i32 s6, s3
	s_ashr_i32 s5, s3, 31
	s_load_dwordx4 s[16:19], s[0:1], 0x20
	s_load_dwordx2 s[38:39], s[0:1], 0x30
	v_and_b32_e32 v65, 15, v0
	s_waitcnt lgkmcnt(0)
	s_abs_i32 s4, s13
	v_cvt_f32_u32_e32 v1, s4
	s_sub_i32 s8, 0, s4
	s_ashr_i32 s7, s13, 31
	s_xor_b32 s5, s5, s7
	v_rcp_iflag_f32_e32 v1, v1
	v_bfe_u32 v64, v0, 4, 2
	v_mov_b32_e32 v49, 0
	v_lshlrev_b32_e32 v66, 3, v0
	v_mul_f32_e32 v1, 0x4f7ffffe, v1
	v_cvt_u32_f32_e32 v1, v1
	s_nop 0
	v_readfirstlane_b32 s9, v1
	s_mul_i32 s8, s8, s9
	s_mul_hi_u32 s8, s9, s8
	s_add_i32 s9, s9, s8
	s_mul_hi_u32 s8, s6, s9
	s_mul_i32 s9, s8, s4
	s_sub_i32 s6, s6, s9
	s_add_i32 s10, s8, 1
	s_sub_i32 s9, s6, s4
	s_cmp_ge_u32 s6, s4
	s_cselect_b32 s8, s10, s8
	s_cselect_b32 s6, s9, s6
	s_add_i32 s9, s8, 1
	s_cmp_ge_u32 s6, s4
	s_cselect_b32 s6, s9, s8
	s_xor_b32 s6, s6, s5
	s_sub_i32 s57, s6, s5
	s_mul_i32 s6, s57, s13
	s_sub_i32 s33, s3, s6
	s_abs_i32 s3, s14
	v_cvt_f32_u32_e32 v1, s3
	s_add_i32 s8, s12, 63
	s_ashr_i32 s9, s8, 31
	s_lshr_b32 s5, s9, 26
	v_rcp_iflag_f32_e32 v1, v1
	s_ashr_i32 s56, s12, 31
	s_add_i32 s8, s8, s5
	s_lshr_b32 s5, s56, 26
	v_mul_f32_e32 v1, 0x4f7ffffe, v1
	v_cvt_u32_f32_e32 v1, v1
	s_add_i32 s5, s12, s5
	s_ashr_i32 s59, s14, 31
	s_ashr_i32 s24, s8, 6
	s_ashr_i32 s58, s5, 6
	s_xor_b32 s5, s7, s59
	s_sub_i32 s7, 0, s3
	v_readfirstlane_b32 s8, v1
	s_mul_i32 s7, s7, s8
	s_mul_hi_u32 s7, s8, s7
	s_add_i32 s8, s8, s7
	s_mul_hi_u32 s7, s4, s8
	s_mul_i32 s8, s7, s3
	s_sub_i32 s4, s4, s8
	s_lshl_b32 s2, s2, 4
	s_add_i32 s8, s7, 1
	s_sub_i32 s9, s4, s3
	s_cmp_ge_u32 s4, s3
	s_cselect_b32 s7, s8, s7
	s_cselect_b32 s4, s9, s4
	s_add_i32 s8, s7, 1
	s_cmp_ge_u32 s4, s3
	s_cselect_b32 s3, s8, s7
	s_xor_b32 s3, s3, s5
	s_sub_i32 s3, s3, s5
	s_abs_i32 s4, s3
	v_cvt_f32_u32_e32 v1, s4
	s_sub_i32 s7, 0, s4
	s_abs_i32 s5, s33
	s_xor_b32 s3, s33, s3
	v_rcp_iflag_f32_e32 v2, v1
	s_ashr_i32 s3, s3, 31
	v_lshrrev_b32_e32 v1, 6, v0
	v_or_b32_e32 v58, s2, v65
	v_mul_f32_e32 v2, 0x4f7ffffe, v2
	v_cvt_u32_f32_e32 v2, v2
	v_lshlrev_b32_e32 v45, 4, v1
	v_lshlrev_b32_e32 v46, 7, v58
	v_lshl_or_b32 v68, v64, 2, v45
	v_readfirstlane_b32 s8, v2
	s_mul_i32 s7, s7, s8
	s_mul_hi_u32 s7, s8, s7
	s_add_i32 s8, s8, s7
	s_mul_hi_u32 s7, s5, s8
	s_mul_i32 s8, s7, s4
	s_sub_i32 s5, s5, s8
	s_add_i32 s8, s7, 1
	s_sub_i32 s9, s5, s4
	s_cmp_ge_u32 s5, s4
	s_cselect_b32 s7, s8, s7
	s_cselect_b32 s5, s9, s5
	s_add_i32 s8, s7, 1
	s_cmp_ge_u32 s5, s4
	s_cselect_b32 s4, s8, s7
	s_xor_b32 s4, s4, s3
	s_sub_i32 s60, s4, s3
	s_ashr_i32 s3, s57, 31
	s_ashr_i32 s48, s33, 31
	s_mul_hi_i32 s4, s57, s13
	s_add_u32 s40, s6, s33
	s_addc_u32 s41, s4, s48
	s_lshl_b64 s[28:29], s[40:41], 15
	s_add_u32 s4, s18, s28
	s_addc_u32 s5, s19, s29
	v_ashrrev_i32_e32 v47, 31, v46
	v_lshl_add_u64 v[2:3], v[46:47], 1, s[4:5]
	v_lshlrev_b32_e32 v48, 1, v68
	v_lshl_add_u64 v[2:3], v[2:3], 0, v[48:49]
	global_load_dwordx2 v[4:5], v[2:3], off
	global_load_dwordx2 v[6:7], v[2:3], off offset:128
	s_load_dwordx2 s[18:19], s[0:1], 0x40
	s_load_dwordx8 s[4:11], s[0:1], 0x0
	s_load_dwordx2 s[30:31], s[0:1], 0x80
	s_load_dwordx4 s[20:23], s[0:1], 0x70
	v_and_b32_e32 v49, 63, v0
	v_lshrrev_b32_e32 v67, 3, v49
	v_or_b32_e32 v69, 64, v68
	s_mul_i32 s49, s57, s12
	s_waitcnt lgkmcnt(0)
	s_mul_i32 s50, s57, s21
	s_mul_hi_u32 s51, s57, s20
	s_mul_i32 s36, s57, s20
	s_mul_i32 s61, s57, s24
	;; [unrolled: 1-line block ×3, first 2 shown]
	s_mul_hi_u32 s53, s33, s22
	s_mul_i32 s55, s3, s20
	s_mul_i32 s54, s48, s22
	s_mul_hi_u32 s62, s40, s12
	s_mul_i32 s42, s40, s12
	s_mul_i32 s63, s41, s12
	s_cmp_lt_i32 s12, 64
	s_mul_i32 s34, s33, s22
	s_waitcnt vmcnt(1)
	v_and_b32_e32 v53, 0xffff0000, v4
	v_lshlrev_b32_e32 v52, 16, v4
	v_and_b32_e32 v57, 0xffff0000, v5
	v_lshlrev_b32_e32 v56, 16, v5
	s_waitcnt vmcnt(0)
	v_and_b32_e32 v51, 0xffff0000, v6
	v_lshlrev_b32_e32 v50, 16, v6
	v_and_b32_e32 v55, 0xffff0000, v7
	v_lshlrev_b32_e32 v54, 16, v7
	s_cbranch_scc1 .LBB586_18
; %bb.1:
	s_add_i32 s43, s62, s63
	s_lshl_b64 s[0:1], s[42:43], 8
	v_and_b32_e32 v71, 56, v66
	s_add_u32 s20, s6, s0
	v_lshl_or_b32 v70, v1, 3, v67
	v_lshlrev_b32_e32 v2, 1, v71
	s_addc_u32 s0, s7, s1
	v_lshl_or_b32 v72, v70, 8, v2
	s_and_b32 s21, s0, 0xffff
	s_mov_b32 s23, 0x20000
	s_movk_i32 s22, 0x4000
	s_movk_i32 s0, 0x80
	v_or_b32_e32 v73, 0x2000, v72
	buffer_load_dwordx4 v[4:7], v72, s[20:23], 0 offen
	buffer_load_dwordx4 v[8:11], v72, s[20:23], s0 offen
	;; [unrolled: 1-line block ×4, first 2 shown]
	v_lshlrev_b32_e32 v3, 3, v70
	v_and_or_b32 v21, v0, 7, v3
	v_and_b32_e32 v3, 0x78, v3
	v_lshlrev_b32_e32 v21, 4, v21
	v_xor_b32_e32 v74, v21, v3
	v_mul_lo_u32 v20, v70, s15
	v_or_b32_e32 v75, 0x1000, v74
	v_xor_b32_e32 v3, 8, v74
	s_cmpk_eq_i32 s15, 0x80
	s_mov_b32 s64, s14
	v_xor_b32_e32 v21, 8, v75
	s_cselect_b64 s[0:1], -1, 0
	s_cmpk_lg_i32 s15, 0x80
	s_waitcnt vmcnt(3)
	ds_write_b64 v74, v[4:5] offset:16384
	ds_write_b64 v3, v[6:7] offset:16384
	s_waitcnt vmcnt(2)
	ds_write_b64 v74, v[8:9] offset:24576
	ds_write_b64 v3, v[10:11] offset:24576
	;; [unrolled: 3-line block ×4, first 2 shown]
	v_lshl_add_u32 v3, v20, 1, v71
	s_cbranch_scc0 .LBB586_3
; %bb.2:
	v_lshlrev_b32_e32 v5, 1, v3
	v_add_lshl_u32 v4, v3, s15, 1
	s_lshl_b32 s22, s15, 7
	v_lshl_or_b32 v2, v70, 9, v2
	s_cbranch_execz .LBB586_4
	s_branch .LBB586_5
.LBB586_3:
                                        ; implicit-def: $vgpr4
                                        ; implicit-def: $vgpr5
                                        ; implicit-def: $sgpr22
	v_lshl_or_b32 v2, v70, 9, v2
.LBB586_4:
	v_or_b32_e32 v4, 0x100, v2
	s_movk_i32 s22, 0x4000
	v_mov_b32_e32 v5, v2
.LBB586_5:
	s_mul_hi_u32 s20, s14, s12
	s_mul_i32 s21, s59, s12
	s_add_i32 s20, s20, s21
	s_mul_i32 s21, s14, s12
	s_mul_i32 s23, s21, s3
	s_mul_hi_u32 s24, s21, s57
	s_add_i32 s23, s24, s23
	s_mul_i32 s20, s20, s57
	s_add_i32 s23, s23, s20
	s_mul_i32 s21, s21, s57
	s_ashr_i32 s41, s60, 31
	s_add_u32 s20, s21, s60
	s_addc_u32 s21, s23, s41
	s_lshl_b64 s[20:21], s[20:21], 8
	s_add_u32 s20, s4, s20
	s_addc_u32 s21, s5, s21
	s_and_b32 s21, s21, 0xffff
	s_mov_b32 s23, 0x20000
	s_movk_i32 s65, 0x80
	buffer_load_dwordx4 v[6:9], v5, s[20:23], 0 offen
	buffer_load_dwordx4 v[10:13], v5, s[20:23], s65 offen
	buffer_load_dwordx4 v[14:17], v4, s[20:23], 0 offen
	buffer_load_dwordx4 v[18:21], v4, s[20:23], s65 offen
	v_and_b32_e32 v4, 6, v0
	v_lshlrev_b32_e32 v22, 2, v65
	v_lshlrev_b32_e32 v23, 3, v65
	v_xor_b32_e32 v25, v70, v4
	v_and_b32_e32 v5, 1, v0
	s_mul_i32 s3, s3, s12
	s_mul_hi_u32 s20, s57, s12
	v_lshl_or_b32 v23, v68, 5, v23
	v_xor_b32_e32 v26, v68, v22
	v_lshlrev_b32_e32 v25, 2, v25
	v_or_b32_e32 v76, 0x9000, v23
	v_or_b32_e32 v77, 0x9800, v23
	v_lshlrev_b32_e32 v23, 1, v26
	v_xor_b32_e32 v26, 0x440, v25
	v_cmp_eq_u32_e32 vcc, 0, v5
	s_add_i32 s69, s20, s3
	s_add_i32 s3, s51, s50
	v_cndmask_b32_e32 v5, v26, v25, vcc
	s_add_i32 s20, s53, s52
	s_add_i32 s37, s3, s55
	s_mov_b32 s67, 0x1000504
	v_lshlrev_b32_e32 v24, 8, v65
	s_mov_b32 s22, 0x8000
	v_xor_b32_e32 v22, v69, v22
	v_lshl_or_b32 v4, v4, 10, v5
	s_add_i32 s35, s20, s54
	s_lshl_b64 s[20:21], s[36:37], 2
	s_mov_b32 s68, 0x3020706
	v_lshlrev_b32_e32 v22, 1, v22
	v_or3_b32 v78, v23, v24, s22
	v_xor_b32_e32 v5, 8, v4
	v_xor_b32_e32 v23, 24, v4
	;; [unrolled: 1-line block ×4, first 2 shown]
	s_add_u32 s3, s10, s20
	v_or3_b32 v79, v22, v24, s22
	v_xor_b32_e32 v22, 16, v4
	v_xor_b32_e32 v24, 32, v4
	;; [unrolled: 1-line block ×3, first 2 shown]
	v_add_u32_e32 v5, 0x80, v5
	v_add_u32_e32 v23, 0x80, v23
	;; [unrolled: 1-line block ×4, first 2 shown]
	s_addc_u32 s24, s11, s21
	s_lshl_b64 s[20:21], s[34:35], 2
	s_add_u32 s44, s3, s20
	s_movk_i32 s3, 0xf8
	s_addc_u32 s45, s24, s21
	v_ashrrev_i32_e32 v59, 31, v58
	s_lshl_b32 s26, s15, 7
	s_mov_b32 s66, 0
	s_mov_b32 s35, 0x7060302
	v_mov_b32_e32 v99, 0x3fb8aa3b
	s_mov_b32 s70, 0
	s_waitcnt vmcnt(1)
	v_perm_b32 v28, v6, v14, s67
	s_waitcnt vmcnt(0)
	v_perm_b32 v29, v10, v18, s67
	v_perm_b32 v6, v6, v14, s68
	;; [unrolled: 1-line block ×15, first 2 shown]
	ds_write2st64_b32 v4, v28, v29 offset1:32
	ds_write2st64_b32 v5, v6, v10 offset1:32
	ds_write2st64_b32 v22, v14, v18 offset0:1 offset1:33
	ds_write2st64_b32 v23, v7, v11 offset0:1 offset1:33
	;; [unrolled: 1-line block ×6, first 2 shown]
	v_or_b32_e32 v4, v45, v65
	v_lshlrev_b32_e32 v4, 3, v4
	v_lshrrev_b32_e32 v6, 5, v49
	v_and_or_b32 v6, v4, s3, v6
	v_lshlrev_b32_e32 v6, 4, v6
	v_lshrrev_b32_e32 v5, 2, v49
	v_lshlrev_b32_e32 v11, 11, v1
	v_and_b32_e32 v4, 0x78, v4
	v_or_b32_e32 v9, 32, v6
	v_and_b32_e32 v10, 12, v5
	v_and_b32_e32 v5, 0x1000, v11
	v_xor_b32_e32 v7, v6, v4
	v_lshrrev_b32_e32 v8, 1, v49
	v_xor_b32_e32 v9, v9, v4
	v_or_b32_e32 v7, v7, v5
	v_and_b32_e32 v8, 8, v8
	v_or_b32_e32 v9, v9, v5
	v_xor_b32_e32 v80, v7, v8
	v_and_b32_e32 v7, 0x78, v66
	v_xor_b32_e32 v82, v9, v8
	v_or_b32_e32 v9, 64, v6
	v_or_b32_e32 v6, 0x60, v6
	v_lshl_or_b32 v7, v64, 7, v7
	v_xor_b32_e32 v9, v9, v4
	v_xor_b32_e32 v4, v6, v4
	v_or_b32_e32 v81, 0x9000, v7
	v_or_b32_e32 v9, v9, v5
	;; [unrolled: 1-line block ×4, first 2 shown]
	v_lshrrev_b32_e32 v6, 4, v0
	v_lshlrev_b32_e32 v7, 1, v65
	v_xor_b32_e32 v83, v9, v8
	v_xor_b32_e32 v84, v4, v8
	s_ashr_i32 s3, s2, 31
	v_or_b32_e32 v8, 1, v7
	v_xor_b32_e32 v7, v6, v7
	s_lshl_b64 s[20:21], s[2:3], 8
	v_xor_b32_e32 v8, v8, v6
	v_lshlrev_b32_e32 v7, 3, v7
	v_lshlrev_b32_e32 v6, 8, v6
	v_lshl_add_u64 v[4:5], v[58:59], 1, s[8:9]
	s_add_u32 s20, s38, s20
	v_or3_b32 v59, v7, v6, s22
	v_lshlrev_b32_e32 v7, 3, v8
	s_addc_u32 s21, s39, s21
	v_or3_b32 v86, v7, v6, s22
	v_mov_b32_e32 v7, 0
	v_lshrrev_b32_e32 v17, 1, v0
	v_lshl_add_u64 v[8:9], s[20:21], 0, v[6:7]
	v_lshlrev_b32_e32 v6, 4, v65
	s_movk_i32 s3, 0xff
	v_lshlrev_b32_e32 v16, 3, v1
	v_and_b32_e32 v17, 24, v17
	v_lshl_add_u64 v[60:61], v[8:9], 0, v[6:7]
	v_and_b32_e32 v6, 7, v0
	v_and_b32_e32 v9, 8, v0
	v_cmp_lt_u32_e32 vcc, s3, v0
	v_xor_b32_e32 v18, v16, v17
	v_lshlrev_b32_e32 v14, 3, v6
	v_lshlrev_b32_e32 v15, 7, v6
	v_cndmask_b32_e64 v6, 0, 1, vcc
	v_or_b32_e32 v19, 0x440, v18
	v_cmp_eq_u32_e32 vcc, 0, v9
	v_or_b32_e32 v21, 64, v17
	v_xor_b32_e32 v21, v16, v21
	v_cndmask_b32_e32 v9, v19, v18, vcc
	v_or_b32_e32 v19, 32, v17
	v_or_b32_e32 v17, 0x60, v17
	v_xor_b32_e32 v19, v16, v19
	v_xor_b32_e32 v16, v16, v17
	v_or_b32_e32 v20, 0x440, v19
	v_xor_b32_e32 v22, 0x440, v21
	v_xor_b32_e32 v17, 0x440, v16
	v_cndmask_b32_e32 v19, v20, v19, vcc
	v_cndmask_b32_e32 v21, v22, v21, vcc
	;; [unrolled: 1-line block ×3, first 2 shown]
	v_or_b32_e32 v9, v9, v11
	v_or_b32_e32 v19, v19, v11
	v_or_b32_e32 v21, v21, v11
	v_or_b32_e32 v11, v16, v11
	v_lshlrev_b32_e32 v6, 13, v6
	v_xor_b32_e32 v9, v9, v14
	v_xor_b32_e32 v19, v19, v14
	;; [unrolled: 1-line block ×4, first 2 shown]
	v_lshlrev_b32_e32 v12, 1, v3
	v_add_lshl_u32 v3, v3, s15, 1
	v_or_b32_e32 v13, 0x100, v2
	v_or_b32_e32 v8, v10, v45
	v_add_u32_e32 v18, v6, v9
	v_add_u32_e32 v20, v6, v19
	v_add_u32_e32 v22, v6, v21
	v_add_u32_e32 v14, v6, v11
	v_or3_b32 v10, v45, v10, 64
	v_add_u32_e32 v9, 0x2000, v9
	v_add_u32_e32 v16, 0x2000, v19
	;; [unrolled: 1-line block ×4, first 2 shown]
	v_lshlrev_b32_e32 v6, 8, v68
	v_cndmask_b32_e64 v87, v12, v2, s[0:1]
	v_cndmask_b32_e64 v88, v3, v13, s[0:1]
	v_lshl_add_u64 v[62:63], v[4:5], 0, v[6:7]
	s_add_i32 s3, s49, 63
	s_movk_i32 s22, 0x4000
	v_lshlrev_b32_e32 v89, 2, v8
	v_add_u32_e32 v90, v18, v15
	v_add_u32_e32 v91, v20, v15
	;; [unrolled: 1-line block ×4, first 2 shown]
	v_lshlrev_b32_e32 v94, 2, v10
	v_add_u32_e32 v95, v9, v15
	v_add_u32_e32 v96, v16, v15
	;; [unrolled: 1-line block ×4, first 2 shown]
	s_waitcnt lgkmcnt(0)
	s_barrier
.LBB586_6:                              ; =>This Inner Loop Header: Depth=1
	s_add_i32 s37, s70, 1
	s_cmp_lt_i32 s37, s58
	s_mov_b64 s[24:25], 0
	s_cselect_b64 s[46:47], -1, 0
	s_cmp_ge_i32 s37, s58
	s_mov_b64 s[20:21], 0
	s_cbranch_scc1 .LBB586_8
; %bb.7:                                ;   in Loop: Header=BB586_6 Depth=1
	s_add_i32 s0, s66, 64
	s_add_u32 s0, s42, s0
	s_addc_u32 s1, s43, 0
	s_lshl_b64 s[0:1], s[0:1], 8
	s_add_u32 s20, s6, s0
	s_addc_u32 s21, s7, s1
.LBB586_8:                              ;   in Loop: Header=BB586_6 Depth=1
	v_cndmask_b32_e64 v2, 0, 1, s[46:47]
	v_cmp_ne_u32_e64 s[0:1], 1, v2
	s_andn2_b64 vcc, exec, s[46:47]
	s_cbranch_vccnz .LBB586_10
; %bb.9:                                ;   in Loop: Header=BB586_6 Depth=1
	s_add_i32 s24, s66, 64
	s_add_u32 s24, s49, s24
	s_addc_u32 s25, s69, 0
	s_mul_i32 s27, s24, s59
	s_mul_hi_u32 s46, s24, s64
	s_add_i32 s27, s46, s27
	s_mul_i32 s25, s25, s64
	s_add_i32 s27, s27, s25
	s_mul_i32 s24, s24, s64
	s_add_u32 s24, s24, s60
	s_addc_u32 s25, s27, s41
	s_lshl_b64 s[24:25], s[24:25], 8
	s_add_u32 s24, s4, s24
	s_addc_u32 s25, s5, s25
.LBB586_10:                             ;   in Loop: Header=BB586_6 Depth=1
	v_perm_b32 v3, v57, v56, s35
	v_perm_b32 v2, v53, v52, s35
	v_perm_b32 v5, v55, v54, s35
	v_perm_b32 v4, v51, v50, s35
	ds_write_b64 v76, v[2:3]
	ds_write_b64 v77, v[4:5]
	;; [unrolled: 1-line block ×4, first 2 shown]
	s_waitcnt lgkmcnt(0)
	s_barrier
	ds_read_b64 v[10:11], v80 offset:16384
	ds_read_b64 v[12:13], v82 offset:16384
	ds_read2st64_b64 v[2:5], v81 offset1:1
	ds_read2st64_b64 v[6:9], v81 offset0:2 offset1:3
	ds_read_b64 v[14:15], v83 offset:16384
	s_waitcnt lgkmcnt(2)
	v_mfma_f32_16x16x16_bf16 a[0:3], v[10:11], v[2:3], 0
	ds_read_b64 v[2:3], v84 offset:16384
	s_add_i32 s27, s66, 63
	s_mul_i32 s46, s27, s31
	v_mfma_f32_16x16x16_bf16 a[0:3], v[12:13], v[4:5], a[0:3]
	s_mul_hi_u32 s47, s27, s30
	s_add_i32 s47, s47, s46
	s_mul_i32 s46, s27, s30
	s_waitcnt lgkmcnt(1)
	v_mfma_f32_16x16x16_bf16 a[0:3], v[14:15], v[6:7], a[0:3]
	s_lshl_b64 s[46:47], s[46:47], 2
	s_add_u32 s46, s44, s46
	s_addc_u32 s47, s45, s47
	s_waitcnt lgkmcnt(0)
	v_mfma_f32_16x16x16_bf16 a[0:3], v[2:3], v[8:9], a[0:3]
	s_and_b64 vcc, exec, s[0:1]
	v_mov_b32_e32 v102, 0
	v_mov_b32_e32 v101, 0
	v_mov_b32_e32 v100, 0
	v_mov_b32_e32 v2, 0
	v_mov_b32_e32 v3, 0
	v_mov_b32_e32 v4, 0
	v_mov_b32_e32 v5, 0
	v_mov_b32_e32 v6, 0
	v_mov_b32_e32 v7, 0
	v_mov_b32_e32 v8, 0
	v_mov_b32_e32 v9, 0
	v_mov_b32_e32 v10, 0
	v_mov_b32_e32 v11, 0
	v_mov_b32_e32 v12, 0
	v_mov_b32_e32 v13, 0
	v_mov_b32_e32 v14, 0
	v_mov_b32_e32 v15, 0
	v_mov_b32_e32 v16, 0
	v_mov_b32_e32 v17, 0
	s_cbranch_vccnz .LBB586_12
; %bb.11:                               ;   in Loop: Header=BB586_6 Depth=1
	s_and_b32 s21, s21, 0xffff
	buffer_load_dwordx4 v[14:17], v72, s[20:23], 0 offen
	buffer_load_dwordx4 v[10:13], v72, s[20:23], s65 offen
	;; [unrolled: 1-line block ×4, first 2 shown]
	v_mov_b32_e32 v101, v74
	v_mov_b32_e32 v100, v75
.LBB586_12:                             ;   in Loop: Header=BB586_6 Depth=1
	v_add_u32_e32 v24, s66, v68
	v_ashrrev_i32_e32 v18, 31, v24
	v_mul_lo_u32 v20, v18, s30
	v_mul_lo_u32 v21, v24, s31
	v_mad_u64_u32 v[18:19], s[20:21], v24, s30, 0
	v_add3_u32 v19, v19, v21, v20
	v_add_u32_e32 v20, 1, v24
	v_ashrrev_i32_e32 v21, 31, v20
	v_mul_lo_u32 v22, v21, s30
	v_mul_lo_u32 v23, v20, s31
	v_mad_u64_u32 v[20:21], s[20:21], v20, s30, 0
	v_add3_u32 v21, v21, v23, v22
	v_add_u32_e32 v22, 2, v24
	v_ashrrev_i32_e32 v23, 31, v22
	v_mul_lo_u32 v25, v23, s30
	v_mul_lo_u32 v26, v22, s31
	v_mad_u64_u32 v[22:23], s[20:21], v22, s30, 0
	v_add_u32_e32 v24, 3, v24
	v_add3_u32 v23, v23, v26, v25
	v_ashrrev_i32_e32 v25, 31, v24
	v_mul_lo_u32 v28, v25, s30
	v_mul_lo_u32 v29, v24, s31
	v_mad_u64_u32 v[24:25], s[20:21], v24, s30, 0
	s_add_u32 s20, s42, s66
	s_addc_u32 s21, s43, 0
	s_lshl_b64 s[20:21], s[20:21], 8
	v_lshl_add_u64 v[18:19], v[18:19], 2, s[44:45]
	v_lshl_add_u64 v[20:21], v[20:21], 2, s[44:45]
	;; [unrolled: 1-line block ×3, first 2 shown]
	v_add3_u32 v25, v25, v29, v28
	v_lshl_add_u64 v[22:23], v[22:23], 2, s[44:45]
	global_load_ushort v38, v[26:27], off
	global_load_ushort v39, v[26:27], off offset:256
	global_load_ushort v40, v[26:27], off offset:512
	;; [unrolled: 1-line block ×3, first 2 shown]
	global_load_dword v42, v[18:19], off
	v_lshl_add_u64 v[18:19], v[24:25], 2, s[44:45]
	global_load_dword v43, v[20:21], off
	global_load_dword v44, v[22:23], off
	;; [unrolled: 1-line block ×3, first 2 shown]
	s_load_dword s20, s[46:47], 0x0
	ds_read2st64_b64 v[24:27], v85 offset1:1
	ds_read2st64_b64 v[28:31], v85 offset0:2 offset1:3
	ds_read_b64 v[22:23], v80 offset:24576
	ds_read_b64 v[32:33], v82 offset:24576
	;; [unrolled: 1-line block ×4, first 2 shown]
	s_waitcnt lgkmcnt(0)
	v_mfma_f32_16x16x16_bf16 a[0:3], v[22:23], v[24:25], a[0:3]
	v_mov_b32_e32 v103, 0
	v_mov_b32_e32 v18, 0
	v_mov_b32_e32 v19, 0
	v_mfma_f32_16x16x16_bf16 a[0:3], v[32:33], v[26:27], a[0:3]
	v_mov_b32_e32 v20, 0
	v_mov_b32_e32 v21, 0
	v_mov_b32_e32 v22, 0
	v_mfma_f32_16x16x16_bf16 a[0:3], v[34:35], v[28:29], a[0:3]
	v_mov_b32_e32 v23, 0
	v_mov_b32_e32 v24, 0
	v_mov_b32_e32 v25, 0
	v_mfma_f32_16x16x16_bf16 a[0:3], v[36:37], v[30:31], a[0:3]
	v_mov_b32_e32 v26, 0
	v_mov_b32_e32 v27, 0
	v_mov_b32_e32 v28, 0
	v_mov_b32_e32 v29, 0
	s_and_b64 vcc, exec, s[0:1]
	s_waitcnt vmcnt(7)
	v_lshlrev_b32_e32 v34, 16, v38
	s_waitcnt vmcnt(6)
	v_lshlrev_b32_e32 v35, 16, v39
	;; [unrolled: 2-line block ×4, first 2 shown]
	s_waitcnt vmcnt(3)
	v_sub_f32_e32 v38, s20, v42
	s_waitcnt vmcnt(2)
	v_sub_f32_e32 v39, s20, v43
	;; [unrolled: 2-line block ×4, first 2 shown]
	v_mul_f32_e32 v38, 0x3fb8aa3b, v38
	v_mul_f32_e32 v39, 0x3fb8aa3b, v39
	;; [unrolled: 1-line block ×4, first 2 shown]
	v_exp_f32_e32 v38, v38
	v_exp_f32_e32 v39, v39
	;; [unrolled: 1-line block ×4, first 2 shown]
	v_accvgpr_read_b32 v33, a1
	v_accvgpr_read_b32 v31, a3
	;; [unrolled: 1-line block ×4, first 2 shown]
	v_pk_add_f32 v[32:33], v[34:35], v[32:33] neg_lo:[0,1] neg_hi:[0,1]
	v_pk_add_f32 v[30:31], v[36:37], v[30:31] neg_lo:[0,1] neg_hi:[0,1]
	v_pk_mul_f32 v[32:33], v[38:39], v[32:33]
	v_pk_mul_f32 v[30:31], v[40:41], v[30:31]
	s_nop 0
	v_perm_b32 v31, v31, v30, s35
	v_perm_b32 v30, v33, v32, s35
	ds_write_b64 v77, v[30:31]
	v_mov_b32_e32 v30, 0
	v_mov_b32_e32 v31, 0
	;; [unrolled: 1-line block ×4, first 2 shown]
	s_cbranch_vccnz .LBB586_14
; %bb.13:                               ;   in Loop: Header=BB586_6 Depth=1
	s_and_b32 s25, s25, 0xffff
	s_mov_b32 s27, s23
	buffer_load_dwordx4 v[30:33], v87, s[24:27], 0 offen
	buffer_load_dwordx4 v[22:25], v87, s[24:27], s65 offen
	buffer_load_dwordx4 v[26:29], v88, s[24:27], 0 offen
	buffer_load_dwordx4 v[18:21], v88, s[24:27], s65 offen
	v_mov_b32_e32 v102, v71
	v_mov_b32_e32 v103, v70
.LBB586_14:                             ;   in Loop: Header=BB586_6 Depth=1
	s_waitcnt lgkmcnt(0)
	s_barrier
	ds_read_b64 v[34:35], v90
	ds_read_b64 v[40:41], v91
	ds_read2st64_b64 v[36:39], v85 offset1:1
	ds_read2st64_b64 v[104:107], v85 offset0:2 offset1:3
	ds_read_b64 v[42:43], v92
	ds_read_b64 v[112:113], v93
	s_add_i32 s21, s61, s70
	s_mul_hi_i32 s25, s21, s13
	s_mul_i32 s21, s21, s13
	s_waitcnt lgkmcnt(3)
	v_mfma_f32_16x16x16_bf16 a[0:3], v[34:35], v[36:37], 0
	ds_read_b64 v[34:35], v95
	s_add_u32 s24, s21, s33
	s_addc_u32 s25, s25, s48
	s_add_i32 s21, s3, s66
	v_mfma_f32_16x16x16_bf16 a[0:3], v[40:41], v[38:39], a[0:3]
	ds_read_b64 v[40:41], v96
	s_lshl_b64 s[24:25], s[24:25], 15
	s_mul_hi_i32 s27, s21, s13
	s_mul_i32 s21, s21, s13
	s_add_u32 s46, s21, s33
	s_addc_u32 s47, s27, s48
	s_lshl_b64 s[46:47], s[46:47], 9
	s_add_u32 s46, s16, s46
	s_waitcnt lgkmcnt(1)
	v_mfma_f32_16x16x16_bf16 a[4:7], v[34:35], v[36:37], 0
	s_addc_u32 s47, s17, s47
	s_and_b64 vcc, exec, s[0:1]
	v_mfma_f32_16x16x16_bf16 a[0:3], v[42:43], v[104:105], a[0:3]
	ds_read_b64 v[42:43], v97
	ds_read_b64 v[114:115], v98
	global_load_dwordx4 v[34:37], v94, s[46:47]
	s_waitcnt lgkmcnt(2)
	v_mfma_f32_16x16x16_bf16 a[4:7], v[40:41], v[38:39], a[4:7]
	global_load_dwordx4 v[38:41], v89, s[46:47]
	ds_read_b64 v[108:109], v59
	ds_read_b64 v[110:111], v86
	s_waitcnt lgkmcnt(3)
	v_mfma_f32_16x16x16_bf16 a[8:11], v[42:43], v[104:105], a[4:7]
	v_lshl_add_u64 v[42:43], v[60:61], 0, s[24:25]
	s_waitcnt lgkmcnt(0)
	global_store_dwordx4 v[42:43], v[108:111], off
	v_mfma_f32_16x16x16_bf16 a[4:7], v[112:113], v[106:107], a[0:3]
	s_waitcnt vmcnt(2)
	v_mov_b32_e32 v44, v37
	v_mfma_f32_16x16x16_bf16 a[0:3], v[114:115], v[106:107], a[8:11]
	v_mov_b32_e32 v43, v36
	v_mov_b32_e32 v42, v35
	s_cbranch_vccnz .LBB586_16
; %bb.15:                               ;   in Loop: Header=BB586_6 Depth=1
	v_lshrrev_b32_e32 v35, 3, v102
	v_and_b32_e32 v35, 6, v35
	v_xor_b32_e32 v36, v35, v103
	v_lshlrev_b32_e32 v36, 2, v36
	v_and_b32_e32 v37, 8, v102
	v_xor_b32_e32 v102, 0x440, v36
	v_cmp_eq_u32_e32 vcc, 0, v37
	v_perm_b32 v37, v22, v18, s67
	s_nop 0
	v_cndmask_b32_e32 v36, v102, v36, vcc
	v_lshl_or_b32 v35, v35, 10, v36
	v_perm_b32 v36, v30, v26, s67
	s_barrier
	ds_write2st64_b32 v35, v36, v37 offset1:32
	v_xor_b32_e32 v36, 8, v35
	v_perm_b32 v26, v30, v26, s68
	v_perm_b32 v18, v22, v18, s68
	v_add_u32_e32 v22, 0x80, v36
	ds_write2st64_b32 v22, v26, v18 offset1:32
	v_xor_b32_e32 v18, 16, v35
	v_perm_b32 v22, v31, v27, s67
	v_perm_b32 v26, v23, v19, s67
	ds_write2st64_b32 v18, v22, v26 offset0:1 offset1:33
	v_xor_b32_e32 v18, 24, v35
	v_perm_b32 v22, v31, v27, s68
	v_perm_b32 v19, v23, v19, s68
	v_add_u32_e32 v18, 0x80, v18
	ds_write2st64_b32 v18, v22, v19 offset0:1 offset1:33
	v_xor_b32_e32 v18, 32, v35
	v_perm_b32 v19, v32, v28, s67
	v_perm_b32 v22, v24, v20, s67
	ds_write2st64_b32 v18, v19, v22 offset0:2 offset1:34
	v_xor_b32_e32 v18, 40, v35
	v_perm_b32 v19, v32, v28, s68
	v_perm_b32 v20, v24, v20, s68
	v_add_u32_e32 v18, 0x80, v18
	ds_write2st64_b32 v18, v19, v20 offset0:2 offset1:34
	;; [unrolled: 9-line block ×3, first 2 shown]
	ds_write_b64 v101, v[14:15] offset:16384
	v_xor_b32_e32 v14, 8, v101
	ds_write_b64 v14, v[16:17] offset:16384
	ds_write_b64 v101, v[10:11] offset:24576
	;; [unrolled: 1-line block ×4, first 2 shown]
	v_xor_b32_e32 v6, 8, v100
	ds_write_b64 v6, v[8:9] offset:16384
	ds_write_b64 v100, v[2:3] offset:24576
	;; [unrolled: 1-line block ×3, first 2 shown]
.LBB586_16:                             ;   in Loop: Header=BB586_6 Depth=1
	v_mul_f32_e32 v6, s20, v99
	v_exp_f32_e32 v10, v6
	s_waitcnt vmcnt(1)
	v_mul_f32_e32 v6, 0x3fb8aa3b, v38
	v_exp_f32_e32 v12, v6
	v_mul_f32_e32 v6, 0x3fb8aa3b, v39
	v_exp_f32_e32 v13, v6
	;; [unrolled: 2-line block ×4, first 2 shown]
	v_accvgpr_read_b32 v2, a4
	v_accvgpr_read_b32 v3, a5
	v_pk_mul_f32 v[12:13], v[10:11], v[12:13] op_sel_hi:[0,1]
	v_pk_fma_f32 v[52:53], v[52:53], v[12:13], v[2:3]
	v_pk_mul_f32 v[2:3], v[10:11], v[14:15] op_sel_hi:[0,1]
	v_mul_f32_e32 v11, 0x3fb8aa3b, v34
	v_exp_f32_e32 v12, v11
	v_mul_f32_e32 v11, 0x3fb8aa3b, v42
	v_exp_f32_e32 v13, v11
	;; [unrolled: 2-line block ×4, first 2 shown]
	v_accvgpr_read_b32 v4, a6
	v_accvgpr_read_b32 v5, a7
	;; [unrolled: 1-line block ×5, first 2 shown]
	v_pk_fma_f32 v[56:57], v[56:57], v[2:3], v[4:5]
	v_pk_mul_f32 v[2:3], v[10:11], v[12:13] op_sel_hi:[0,1]
	v_accvgpr_read_b32 v8, a2
	v_pk_fma_f32 v[50:51], v[50:51], v[2:3], v[6:7]
	v_pk_mul_f32 v[2:3], v[10:11], v[14:15] op_sel_hi:[0,1]
	s_add_i32 s66, s66, 64
	s_cmp_eq_u32 s58, s37
	v_pk_fma_f32 v[54:55], v[54:55], v[2:3], v[8:9]
	s_cbranch_scc1 .LBB586_18
; %bb.17:                               ;   in Loop: Header=BB586_6 Depth=1
	s_mov_b32 s70, s37
	s_branch .LBB586_6
.LBB586_18:
	s_lshl_b32 s41, s58, 6
	s_sub_i32 s43, s12, s41
	s_cmp_gt_i32 s43, 0
	s_cbranch_scc0 .LBB586_75
; %bb.19:
	s_ashr_i32 s3, s41, 31
	s_cmpk_lg_i32 s15, 0x80
	s_cselect_b64 s[26:27], -1, 0
	s_and_b64 vcc, exec, s[26:27]
	s_cbranch_vccz .LBB586_21
; %bb.20:
	s_mul_hi_i32 s0, s57, s12
	s_add_u32 s1, s49, s41
	s_addc_u32 s0, s0, s3
	s_mul_i32 s20, s1, s59
	s_mul_hi_u32 s21, s1, s14
	s_add_i32 s20, s21, s20
	s_mul_i32 s0, s0, s14
	s_add_i32 s20, s20, s0
	s_mul_i32 s1, s1, s14
	s_ashr_i32 s0, s60, 31
	s_add_u32 s44, s1, s60
	s_addc_u32 s45, s20, s0
	s_cbranch_execz .LBB586_22
	s_branch .LBB586_23
.LBB586_21:
                                        ; implicit-def: $sgpr44_sgpr45
.LBB586_22:
	s_mul_hi_i32 s0, s57, s14
	s_mul_i32 s57, s57, s14
	s_ashr_i32 s1, s60, 31
	s_add_u32 s14, s57, s60
	s_addc_u32 s0, s0, s1
	s_mul_i32 s1, s14, s56
	s_mul_hi_u32 s20, s14, s12
	s_add_i32 s1, s20, s1
	s_mul_i32 s0, s0, s12
	s_add_i32 s1, s1, s0
	s_mul_i32 s14, s14, s12
	s_add_u32 s44, s14, s41
	s_addc_u32 s45, s1, s3
.LBB586_23:
	s_mul_i32 s0, s40, s56
	s_add_i32 s0, s62, s0
	s_add_i32 s14, s61, s58
	s_add_i32 s1, s0, s63
	s_add_u32 s0, s42, s41
	s_addc_u32 s1, s1, s3
	s_mov_b32 s3, 0x7060302
	v_lshlrev_b32_e32 v6, 3, v65
	s_lshl_b64 s[24:25], s[0:1], 8
	v_perm_b32 v3, v57, v56, s3
	v_perm_b32 v2, v53, v52, s3
	;; [unrolled: 1-line block ×4, first 2 shown]
	v_lshlrev_b32_e32 v34, 2, v65
	v_lshl_or_b32 v6, v68, 5, v6
	s_add_u32 s0, s6, s24
	ds_write2st64_b64 v6, v[2:3], v[4:5] offset0:72 offset1:76
	v_xor_b32_e32 v6, v68, v34
	v_lshlrev_b32_e32 v7, 8, v65
	s_addc_u32 s1, s7, s25
	v_lshl_or_b32 v6, v6, 1, v7
	s_mul_hi_i32 s3, s14, s13
	s_mul_i32 s14, s14, s13
	ds_write_b64 v6, v[2:3] offset:32768
	v_xor_b32_e32 v2, v69, v34
	s_add_u32 s6, s14, s33
	v_lshl_or_b32 v2, v2, 1, v7
	s_addc_u32 s7, s3, s48
	v_lshlrev_b32_e32 v3, 1, v65
	ds_write_b64 v2, v[4:5] offset:32768
	v_lshrrev_b32_e32 v2, 4, v0
	s_ashr_i32 s3, s2, 31
	s_lshl_b64 s[6:7], s[6:7], 15
	v_or_b32_e32 v4, 1, v3
	s_add_u32 s6, s38, s6
	v_xor_b32_e32 v3, v2, v3
	v_xor_b32_e32 v4, v4, v2
	v_lshlrev_b32_e32 v6, 8, v2
	s_addc_u32 s7, s39, s7
	s_lshl_b64 s[2:3], s[2:3], 8
	v_lshl_or_b32 v2, v3, 3, v6
	v_lshl_or_b32 v4, v4, 3, v6
	s_waitcnt lgkmcnt(0)
	s_barrier
	s_add_u32 s2, s6, s2
	ds_read_b64 v[2:3], v2 offset:32768
	ds_read_b64 v[4:5], v4 offset:32768
	s_addc_u32 s3, s7, s3
	v_mov_b32_e32 v7, 0
	s_cmp_lg_u32 s43, 64
	v_lshl_add_u64 v[8:9], s[2:3], 0, v[6:7]
	v_lshlrev_b32_e32 v6, 4, v65
	s_cselect_b64 s[6:7], -1, 0
	v_lshl_or_b32 v36, v1, 3, v67
	s_mov_b32 s20, 0
	v_lshl_add_u64 v[6:7], v[8:9], 0, v[6:7]
	v_or_b32_e32 v19, 32, v36
	v_and_b32_e32 v18, 56, v66
	s_and_b64 vcc, exec, s[6:7]
	s_waitcnt lgkmcnt(0)
	global_store_dwordx4 v[6:7], v[2:5], off
	s_cbranch_vccz .LBB586_29
; %bb.24:
	s_mov_b32 s21, s20
	s_mov_b32 s22, s20
	;; [unrolled: 1-line block ×3, first 2 shown]
	v_mov_b64_e32 v[6:7], s[20:21]
	v_mov_b64_e32 v[8:9], s[22:23]
	;; [unrolled: 1-line block ×3, first 2 shown]
	v_cmp_gt_i32_e32 vcc, s43, v36
	v_mov_b64_e32 v[4:5], v[8:9]
	s_and_saveexec_b64 s[2:3], vcc
	s_cbranch_execz .LBB586_26
; %bb.25:
	v_lshlrev_b32_e32 v2, 8, v36
	v_mov_b32_e32 v3, 0
	v_lshl_add_u64 v[4:5], s[0:1], 0, v[2:3]
	v_lshlrev_b32_e32 v2, 1, v18
	v_lshl_add_u64 v[10:11], v[4:5], 0, v[2:3]
	global_load_dwordx4 v[6:9], v[10:11], off
	global_load_dwordx4 v[2:5], v[10:11], off offset:128
.LBB586_26:
	s_or_b64 exec, exec, s[2:3]
	s_mov_b32 s21, s20
	s_mov_b32 s22, s20
	;; [unrolled: 1-line block ×3, first 2 shown]
	v_mov_b64_e32 v[14:15], s[20:21]
	v_mov_b64_e32 v[16:17], s[22:23]
	v_mov_b64_e32 v[10:11], v[14:15]
	v_cmp_gt_i32_e32 vcc, s43, v19
	v_lshlrev_b32_e32 v20, 7, v19
	v_mov_b64_e32 v[12:13], v[16:17]
	s_and_saveexec_b64 s[2:3], vcc
	s_cbranch_execz .LBB586_28
; %bb.27:
	v_lshlrev_b32_e32 v10, 1, v20
	v_mov_b32_e32 v11, 0
	v_lshl_add_u64 v[12:13], s[0:1], 0, v[10:11]
	v_lshlrev_b32_e32 v10, 1, v18
	v_lshl_add_u64 v[22:23], v[12:13], 0, v[10:11]
	global_load_dwordx4 v[14:17], v[22:23], off
	global_load_dwordx4 v[10:13], v[22:23], off offset:128
.LBB586_28:
	s_or_b64 exec, exec, s[2:3]
	v_lshrrev_b32_e32 v21, 3, v18
	v_lshlrev_b32_e32 v22, 3, v36
	v_or_b32_e32 v21, v22, v21
	v_lshlrev_b32_e32 v21, 4, v21
	v_and_b32_e32 v22, 0x78, v22
	v_xor_b32_e32 v21, v21, v22
	s_branch .LBB586_31
.LBB586_29:
                                        ; implicit-def: $vgpr21
                                        ; implicit-def: $vgpr20
                                        ; implicit-def: $vgpr6_vgpr7_vgpr8_vgpr9
                                        ; implicit-def: $vgpr2_vgpr3_vgpr4_vgpr5
                                        ; implicit-def: $vgpr14_vgpr15_vgpr16_vgpr17
                                        ; implicit-def: $vgpr10_vgpr11_vgpr12_vgpr13
	s_cbranch_execz .LBB586_31
; %bb.30:
	s_waitcnt vmcnt(0)
	v_lshlrev_b32_e32 v2, 1, v18
	v_lshl_or_b32 v20, v36, 8, v2
	s_and_b32 s1, s1, 0xffff
	s_mov_b32 s3, 0x20000
	s_movk_i32 s2, 0x4000
	v_lshl_or_b32 v21, v19, 8, v2
	s_movk_i32 s14, 0x80
	buffer_load_dwordx4 v[6:9], v20, s[0:3], 0 offen
	buffer_load_dwordx4 v[2:5], v20, s[0:3], s14 offen
	;; [unrolled: 1-line block ×4, first 2 shown]
	v_lshrrev_b32_e32 v20, 3, v18
	v_lshlrev_b32_e32 v21, 3, v36
	v_or_b32_e32 v20, v21, v20
	v_lshlrev_b32_e32 v20, 4, v20
	v_and_b32_e32 v21, 0x78, v21
	v_xor_b32_e32 v21, v20, v21
	v_lshlrev_b32_e32 v20, 7, v19
.LBB586_31:
	s_lshl_b64 s[0:1], s[44:45], 8
	s_add_u32 s4, s4, s0
	s_movk_i32 s0, 0x1000
	v_and_or_b32 v19, v20, s0, v21
	s_waitcnt vmcnt(1)
	ds_write_b64 v21, v[6:7] offset:16384
	v_xor_b32_e32 v6, 8, v21
	ds_write_b64 v6, v[8:9] offset:16384
	s_waitcnt vmcnt(0)
	ds_write_b64 v21, v[2:3] offset:24576
	ds_write_b64 v6, v[4:5] offset:24576
	;; [unrolled: 1-line block ×3, first 2 shown]
	v_xor_b32_e32 v2, 8, v19
	ds_write_b64 v2, v[16:17] offset:16384
	ds_write_b64 v19, v[10:11] offset:24576
	;; [unrolled: 1-line block ×3, first 2 shown]
	v_or_b32_e32 v2, v45, v65
	s_addc_u32 s5, s5, s1
	s_add_i32 s14, s12, -1
	v_lshlrev_b32_e32 v2, 3, v2
	v_lshrrev_b32_e32 v4, 5, v49
	s_movk_i32 s12, 0xf8
	v_and_or_b32 v4, v2, s12, v4
	v_lshlrev_b32_e32 v35, 11, v1
	v_lshlrev_b32_e32 v12, 4, v4
	v_and_b32_e32 v13, 0x78, v2
	v_and_b32_e32 v14, 0x1000, v35
	v_lshlrev_b32_e32 v3, 2, v0
	v_xor_b32_e32 v2, v12, v13
	v_lshrrev_b32_e32 v4, 1, v49
	v_and_b32_e32 v3, 60, v3
	v_or_b32_e32 v2, v2, v14
	v_and_b32_e32 v15, 8, v4
	v_xor_b32_e32 v26, v2, v15
	v_lshl_or_b32 v2, v64, 6, v3
	v_lshlrev_b32_e32 v37, 1, v2
	v_or_b32_e32 v2, 32, v12
	v_xor_b32_e32 v2, v2, v13
	s_waitcnt lgkmcnt(0)
	s_barrier
	ds_read_b64 v[10:11], v26 offset:16384
	v_or_b32_e32 v2, v2, v14
	v_xor_b32_e32 v27, v2, v15
	v_or_b32_e32 v2, 64, v12
	v_xor_b32_e32 v2, v2, v13
	v_or_b32_e32 v2, v2, v14
	v_or_b32_e32 v12, 0x60, v12
	v_xor_b32_e32 v28, v2, v15
	ds_read2st64_b64 v[2:5], v37 offset0:72 offset1:73
	ds_read2st64_b64 v[6:9], v37 offset0:74 offset1:75
	v_xor_b32_e32 v16, v12, v13
	ds_read_b64 v[12:13], v27 offset:16384
	s_add_i32 s0, s51, s50
	s_waitcnt lgkmcnt(2)
	v_mfma_f32_16x16x16_bf16 a[0:3], v[10:11], v[2:3], 0
	s_add_i32 s37, s0, s55
	s_add_i32 s0, s53, s52
	;; [unrolled: 1-line block ×3, first 2 shown]
	s_ashr_i32 s0, s14, 31
	s_mul_i32 s1, s14, s31
	s_mul_hi_u32 s2, s14, s30
	s_add_i32 s1, s2, s1
	s_mul_i32 s0, s0, s30
	v_or_b32_e32 v14, v16, v14
	s_add_i32 s1, s1, s0
	s_lshl_b64 s[2:3], s[36:37], 2
	v_xor_b32_e32 v38, v14, v15
	ds_read_b64 v[14:15], v28 offset:16384
	ds_read_b64 v[16:17], v38 offset:16384
	s_waitcnt lgkmcnt(2)
	v_mfma_f32_16x16x16_bf16 a[0:3], v[12:13], v[4:5], a[0:3]
	s_add_u32 s10, s10, s2
	s_addc_u32 s11, s11, s3
	s_lshl_b64 s[2:3], s[34:35], 2
	s_mul_i32 s0, s14, s30
	s_add_u32 s10, s10, s2
	s_addc_u32 s11, s11, s3
	s_lshl_b64 s[0:1], s[0:1], 2
	s_waitcnt lgkmcnt(1)
	v_mfma_f32_16x16x16_bf16 a[0:3], v[14:15], v[6:7], a[0:3]
	s_add_u32 s0, s10, s0
	s_addc_u32 s1, s11, s1
	s_load_dword s12, s[0:1], 0x0
	s_waitcnt lgkmcnt(0)
	v_mfma_f32_16x16x16_bf16 a[0:3], v[16:17], v[8:9], a[0:3]
	s_and_b64 vcc, exec, s[26:27]
	s_cbranch_vccz .LBB586_42
; %bb.32:
	v_lshlrev_b32_e32 v19, 1, v36
	s_and_b64 vcc, exec, s[6:7]
	s_cbranch_vccz .LBB586_43
; %bb.33:
	v_cmp_gt_i32_e32 vcc, s43, v19
	v_mov_b32_e32 v6, 0
	v_mov_b32_e32 v2, 0
	;; [unrolled: 1-line block ×5, first 2 shown]
	s_and_saveexec_b64 s[0:1], vcc
	s_cbranch_execz .LBB586_35
; %bb.34:
	v_mad_i64_i32 v[2:3], s[2:3], s15, v19, 0
	v_lshl_add_u64 v[2:3], v[2:3], 1, s[4:5]
	v_lshlrev_b32_e32 v4, 1, v18
	v_mov_b32_e32 v5, 0
	v_lshl_add_u64 v[2:3], v[2:3], 0, v[4:5]
	global_load_dwordx4 v[2:5], v[2:3], off
.LBB586_35:
	s_or_b64 exec, exec, s[0:1]
	v_or_b32_e32 v20, 1, v19
	v_cmp_gt_i32_e64 s[0:1], s43, v20
	v_mov_b32_e32 v7, 0
	v_mov_b32_e32 v8, 0
	;; [unrolled: 1-line block ×3, first 2 shown]
	s_and_saveexec_b64 s[2:3], s[0:1]
	s_cbranch_execz .LBB586_37
; %bb.36:
	v_mad_i64_i32 v[6:7], s[20:21], s15, v20, 0
	v_lshl_add_u64 v[6:7], v[6:7], 1, s[4:5]
	v_lshlrev_b32_e32 v8, 1, v18
	v_mov_b32_e32 v9, 0
	v_lshl_add_u64 v[6:7], v[6:7], 0, v[8:9]
	global_load_dwordx4 v[6:9], v[6:7], off
.LBB586_37:
	s_or_b64 exec, exec, s[2:3]
	v_mov_b32_e32 v17, 0
	v_mov_b32_e32 v10, 0
	v_mov_b32_e32 v11, 0
	v_mov_b32_e32 v12, 0
	v_mov_b32_e32 v13, 0
	s_and_saveexec_b64 s[2:3], vcc
	s_cbranch_execz .LBB586_39
; %bb.38:
	v_mad_i64_i32 v[10:11], s[20:21], s15, v19, 0
	v_lshl_add_u64 v[10:11], v[10:11], 1, s[4:5]
	v_lshlrev_b32_e32 v12, 1, v18
	v_mov_b32_e32 v13, 0
	v_lshl_add_u64 v[10:11], v[10:11], 0, v[12:13]
	global_load_dwordx4 v[10:13], v[10:11], off offset:128
.LBB586_39:
	s_or_b64 exec, exec, s[2:3]
	v_mov_b32_e32 v16, 0
	v_mov_b32_e32 v15, 0
	;; [unrolled: 1-line block ×3, first 2 shown]
	s_and_saveexec_b64 s[2:3], s[0:1]
	s_cbranch_execz .LBB586_41
; %bb.40:
	v_mad_i64_i32 v[14:15], s[0:1], s15, v20, 0
	v_lshl_add_u64 v[14:15], v[14:15], 1, s[4:5]
	v_lshlrev_b32_e32 v16, 1, v18
	v_mov_b32_e32 v17, 0
	v_lshl_add_u64 v[14:15], v[14:15], 0, v[16:17]
	global_load_dwordx4 v[14:17], v[14:15], off offset:128
.LBB586_41:
	s_or_b64 exec, exec, s[2:3]
	s_branch .LBB586_45
.LBB586_42:
                                        ; implicit-def: $vgpr5
                                        ; implicit-def: $vgpr9
                                        ; implicit-def: $vgpr13
                                        ; implicit-def: $vgpr17
	v_lshrrev_b32_e32 v19, 2, v49
	s_branch .LBB586_46
.LBB586_43:
                                        ; implicit-def: $vgpr5
                                        ; implicit-def: $vgpr9
                                        ; implicit-def: $vgpr13
                                        ; implicit-def: $vgpr17
	s_cbranch_execz .LBB586_45
; %bb.44:
	s_waitcnt vmcnt(0)
	v_mad_u64_u32 v[2:3], s[0:1], v19, s15, v[18:19]
	v_lshlrev_b32_e32 v19, 1, v2
	s_lshl_b32 s2, s15, 7
	s_and_b32 s1, s5, 0xffff
	s_mov_b32 s3, 0x20000
	s_mov_b32 s0, s4
	v_add_lshl_u32 v20, v2, s15, 1
	s_movk_i32 s15, 0x80
	buffer_load_dwordx4 v[2:5], v19, s[0:3], 0 offen
	buffer_load_dwordx4 v[10:13], v19, s[0:3], s15 offen
	;; [unrolled: 1-line block ×4, first 2 shown]
.LBB586_45:
	v_lshrrev_b32_e32 v19, 2, v49
	s_cbranch_execnz .LBB586_58
.LBB586_46:
	s_and_b64 vcc, exec, s[6:7]
	s_cbranch_vccz .LBB586_56
; %bb.47:
	s_waitcnt vmcnt(0)
	v_lshlrev_b32_e32 v7, 1, v36
	v_cmp_gt_i32_e32 vcc, s43, v7
	v_mov_b32_e32 v6, 0
	v_lshlrev_b32_e32 v14, 9, v36
	v_mov_b32_e32 v2, 0
	v_mov_b32_e32 v3, 0
	;; [unrolled: 1-line block ×4, first 2 shown]
	s_and_saveexec_b64 s[0:1], vcc
	s_cbranch_execz .LBB586_49
; %bb.48:
	v_mov_b32_e32 v15, 0
	v_lshl_add_u64 v[2:3], s[4:5], 0, v[14:15]
	v_lshlrev_b32_e32 v4, 1, v18
	v_mov_b32_e32 v5, v15
	v_lshl_add_u64 v[2:3], v[2:3], 0, v[4:5]
	global_load_dwordx4 v[2:5], v[2:3], off
.LBB586_49:
	s_or_b64 exec, exec, s[0:1]
	v_or_b32_e32 v7, 1, v7
	v_cmp_gt_i32_e64 s[0:1], s43, v7
	v_lshlrev_b32_e32 v20, 8, v7
	v_mov_b32_e32 v7, 0
	v_mov_b32_e32 v8, 0
	;; [unrolled: 1-line block ×3, first 2 shown]
	s_and_saveexec_b64 s[2:3], s[0:1]
	s_cbranch_execz .LBB586_51
; %bb.50:
	v_mov_b32_e32 v21, 0
	v_lshl_add_u64 v[6:7], s[4:5], 0, v[20:21]
	v_lshlrev_b32_e32 v8, 1, v18
	v_mov_b32_e32 v9, v21
	v_lshl_add_u64 v[6:7], v[6:7], 0, v[8:9]
	global_load_dwordx4 v[6:9], v[6:7], off
.LBB586_51:
	s_or_b64 exec, exec, s[2:3]
	v_mov_b32_e32 v17, 0
	v_mov_b32_e32 v10, 0
	;; [unrolled: 1-line block ×5, first 2 shown]
	s_and_saveexec_b64 s[2:3], vcc
	s_cbranch_execz .LBB586_53
; %bb.52:
	v_mov_b32_e32 v15, 0
	v_lshl_add_u64 v[10:11], s[4:5], 0, v[14:15]
	v_lshlrev_b32_e32 v14, 1, v18
	v_lshl_add_u64 v[10:11], v[10:11], 0, v[14:15]
	global_load_dwordx4 v[10:13], v[10:11], off offset:128
.LBB586_53:
	s_or_b64 exec, exec, s[2:3]
	v_mov_b32_e32 v16, 0
	v_mov_b32_e32 v15, 0
	;; [unrolled: 1-line block ×3, first 2 shown]
	s_and_saveexec_b64 s[2:3], s[0:1]
	s_cbranch_execz .LBB586_55
; %bb.54:
	v_mov_b32_e32 v21, 0
	v_lshl_add_u64 v[14:15], s[4:5], 0, v[20:21]
	v_lshlrev_b32_e32 v20, 1, v18
	v_lshl_add_u64 v[14:15], v[14:15], 0, v[20:21]
	global_load_dwordx4 v[14:17], v[14:15], off offset:128
.LBB586_55:
	s_or_b64 exec, exec, s[2:3]
	s_branch .LBB586_58
.LBB586_56:
                                        ; implicit-def: $vgpr5
                                        ; implicit-def: $vgpr9
                                        ; implicit-def: $vgpr13
                                        ; implicit-def: $vgpr17
	s_cbranch_execz .LBB586_58
; %bb.57:
	s_waitcnt vmcnt(0)
	v_lshlrev_b32_e32 v2, 1, v18
	v_lshl_or_b32 v18, v36, 9, v2
	s_and_b32 s5, s5, 0xffff
	s_mov_b32 s7, 0x20000
	s_movk_i32 s6, 0x4000
	s_movk_i32 s0, 0x80
	buffer_load_dwordx4 v[2:5], v18, s[4:7], 0 offen
	buffer_load_dwordx4 v[6:9], v18, s[4:7], 0 offen offset:256
	buffer_load_dwordx4 v[10:13], v18, s[4:7], s0 offen
	buffer_load_dwordx4 v[14:17], v18, s[4:7], s0 offen offset:256
.LBB586_58:
	v_and_b32_e32 v39, 12, v19
	ds_read2st64_b64 v[22:25], v37 offset0:76 offset1:77
	ds_read2st64_b64 v[18:21], v37 offset0:78 offset1:79
	ds_read_b64 v[30:31], v26 offset:24576
	ds_read_b64 v[32:33], v27 offset:24576
	;; [unrolled: 1-line block ×4, first 2 shown]
	v_and_b32_e32 v38, 6, v0
	v_xor_b32_e32 v36, v36, v38
	v_lshlrev_b32_e32 v36, 2, v36
	v_and_b32_e32 v40, 1, v0
	v_xor_b32_e32 v41, 0x440, v36
	v_cmp_eq_u32_e32 vcc, 0, v40
	s_mov_b32 s0, 0x1000504
	s_waitcnt vmcnt(0)
	v_perm_b32 v40, v10, v14, s0
	v_cndmask_b32_e32 v36, v41, v36, vcc
	v_lshl_or_b32 v36, v38, 10, v36
	v_perm_b32 v38, v2, v6, s0
	ds_write2st64_b32 v36, v38, v40 offset1:32
	v_xor_b32_e32 v38, 8, v36
	s_mov_b32 s1, 0x3020706
	v_perm_b32 v2, v2, v6, s1
	v_perm_b32 v6, v10, v14, s1
	v_add_u32_e32 v10, 0x80, v38
	ds_write2st64_b32 v10, v2, v6 offset1:32
	v_xor_b32_e32 v2, 16, v36
	v_perm_b32 v6, v3, v7, s0
	v_perm_b32 v10, v11, v15, s0
	ds_write2st64_b32 v2, v6, v10 offset0:1 offset1:33
	v_xor_b32_e32 v2, 24, v36
	v_perm_b32 v3, v3, v7, s1
	v_perm_b32 v6, v11, v15, s1
	v_add_u32_e32 v2, 0x80, v2
	ds_write2st64_b32 v2, v3, v6 offset0:1 offset1:33
	v_xor_b32_e32 v2, 32, v36
	v_perm_b32 v3, v4, v8, s0
	v_perm_b32 v6, v12, v16, s0
	ds_write2st64_b32 v2, v3, v6 offset0:2 offset1:34
	v_xor_b32_e32 v2, 40, v36
	v_perm_b32 v3, v4, v8, s1
	v_perm_b32 v4, v12, v16, s1
	v_add_u32_e32 v2, 0x80, v2
	ds_write2st64_b32 v2, v3, v4 offset0:2 offset1:34
	v_xor_b32_e32 v2, 48, v36
	v_perm_b32 v3, v5, v9, s0
	v_perm_b32 v4, v13, v17, s0
	ds_write2st64_b32 v2, v3, v4 offset0:3 offset1:35
	v_xor_b32_e32 v2, 56, v36
	v_or_b32_e32 v8, v39, v45
	v_perm_b32 v3, v5, v9, s1
	v_perm_b32 v4, v13, v17, s1
	v_add_u32_e32 v2, 0x80, v2
	v_cmp_gt_i32_e32 vcc, s43, v8
	v_mov_b32_e32 v9, 0
	v_mov_b32_e32 v13, 0
	ds_write2st64_b32 v2, v3, v4 offset0:3 offset1:35
	s_and_saveexec_b64 s[0:1], vcc
	s_cbranch_execz .LBB586_60
; %bb.59:
	v_add_u32_e32 v2, s41, v8
	v_ashrrev_i32_e32 v3, 31, v2
	v_mul_lo_u32 v4, v3, s30
	v_mul_lo_u32 v5, v2, s31
	v_mad_u64_u32 v[2:3], s[2:3], v2, s30, 0
	v_add3_u32 v3, v3, v5, v4
	v_lshl_add_u64 v[2:3], v[2:3], 2, s[10:11]
	global_load_dword v2, v[2:3], off
	s_waitcnt vmcnt(0)
	v_sub_f32_e32 v2, s12, v2
	v_mul_f32_e32 v2, 0x3fb8aa3b, v2
	v_exp_f32_e32 v13, v2
.LBB586_60:
	s_or_b64 exec, exec, s[0:1]
	v_or_b32_e32 v11, 1, v8
	v_cmp_gt_i32_e64 s[0:1], s43, v11
	s_and_saveexec_b64 s[2:3], s[0:1]
	s_cbranch_execz .LBB586_62
; %bb.61:
	v_add_u32_e32 v2, s41, v11
	v_ashrrev_i32_e32 v3, 31, v2
	v_mul_lo_u32 v4, v3, s30
	v_mul_lo_u32 v5, v2, s31
	v_mad_u64_u32 v[2:3], s[4:5], v2, s30, 0
	v_add3_u32 v3, v3, v5, v4
	v_lshl_add_u64 v[2:3], v[2:3], 2, s[10:11]
	global_load_dword v2, v[2:3], off
	s_waitcnt vmcnt(0)
	v_sub_f32_e32 v2, s12, v2
	v_mul_f32_e32 v2, 0x3fb8aa3b, v2
	v_exp_f32_e32 v9, v2
.LBB586_62:
	s_or_b64 exec, exec, s[2:3]
	v_or_b32_e32 v12, 2, v8
	v_cmp_gt_i32_e64 s[2:3], s43, v12
	v_mov_b32_e32 v10, 0
	v_mov_b32_e32 v15, 0
	s_and_saveexec_b64 s[4:5], s[2:3]
	s_cbranch_execz .LBB586_64
; %bb.63:
	v_add_u32_e32 v2, s41, v12
	v_ashrrev_i32_e32 v3, 31, v2
	v_mul_lo_u32 v4, v3, s30
	v_mul_lo_u32 v5, v2, s31
	v_mad_u64_u32 v[2:3], s[6:7], v2, s30, 0
	v_add3_u32 v3, v3, v5, v4
	v_lshl_add_u64 v[2:3], v[2:3], 2, s[10:11]
	global_load_dword v2, v[2:3], off
	s_waitcnt vmcnt(0)
	v_sub_f32_e32 v2, s12, v2
	v_mul_f32_e32 v2, 0x3fb8aa3b, v2
	v_exp_f32_e32 v15, v2
.LBB586_64:
	s_or_b64 exec, exec, s[4:5]
	v_or_b32_e32 v14, 3, v8
	v_cmp_gt_i32_e64 s[4:5], s43, v14
	s_and_saveexec_b64 s[6:7], s[4:5]
	s_cbranch_execz .LBB586_66
; %bb.65:
	v_add_u32_e32 v2, s41, v14
	v_ashrrev_i32_e32 v3, 31, v2
	v_mul_lo_u32 v4, v3, s30
	v_mul_lo_u32 v5, v2, s31
	v_mad_u64_u32 v[2:3], s[20:21], v2, s30, 0
	v_add3_u32 v3, v3, v5, v4
	v_lshl_add_u64 v[2:3], v[2:3], 2, s[10:11]
	global_load_dword v2, v[2:3], off
	s_waitcnt vmcnt(0)
	v_sub_f32_e32 v2, s12, v2
	v_mul_f32_e32 v2, 0x3fb8aa3b, v2
	v_exp_f32_e32 v10, v2
.LBB586_66:
	s_or_b64 exec, exec, s[6:7]
	s_waitcnt lgkmcnt(11)
	v_mfma_f32_16x16x16_bf16 a[0:3], v[30:31], v[22:23], a[0:3]
	s_add_u32 s6, s8, s24
	v_ashrrev_i32_e32 v59, 31, v58
	s_addc_u32 s7, s9, s25
	s_waitcnt lgkmcnt(10)
	v_mfma_f32_16x16x16_bf16 a[0:3], v[32:33], v[24:25], a[0:3]
	v_mov_b32_e32 v16, 0
	v_lshl_add_u64 v[6:7], v[58:59], 1, s[6:7]
	v_mov_b32_e32 v17, 0
	s_waitcnt lgkmcnt(9)
	v_mfma_f32_16x16x16_bf16 a[0:3], v[28:29], v[18:19], a[0:3]
	s_waitcnt lgkmcnt(8)
	v_mfma_f32_16x16x16_bf16 a[0:3], v[26:27], v[20:21], a[0:3]
	s_nop 6
	v_accvgpr_read_b32 v5, a3
	v_accvgpr_read_b32 v4, a2
	;; [unrolled: 1-line block ×4, first 2 shown]
	s_and_saveexec_b64 s[6:7], vcc
	s_cbranch_execz .LBB586_68
; %bb.67:
	v_lshlrev_b32_e32 v18, 8, v8
	v_mov_b32_e32 v19, 0
	v_lshl_add_u64 v[18:19], v[6:7], 0, v[18:19]
	global_load_ushort v17, v[18:19], off
	s_waitcnt vmcnt(0)
	v_lshlrev_b32_e32 v17, 16, v17
	v_sub_f32_e32 v2, v17, v2
	v_mul_f32_e32 v2, v13, v2
	v_lshrrev_b32_e32 v17, 16, v2
.LBB586_68:
	s_or_b64 exec, exec, s[6:7]
	s_and_saveexec_b64 s[6:7], s[0:1]
	s_cbranch_execz .LBB586_70
; %bb.69:
	v_lshlrev_b32_e32 v18, 8, v11
	v_mov_b32_e32 v19, 0
	v_lshl_add_u64 v[18:19], v[6:7], 0, v[18:19]
	global_load_ushort v2, v[18:19], off
	s_waitcnt vmcnt(0)
	v_lshlrev_b32_e32 v2, 16, v2
	v_sub_f32_e32 v2, v2, v3
	v_mul_f32_e32 v2, v9, v2
	v_lshrrev_b32_e32 v16, 16, v2
.LBB586_70:
	s_or_b64 exec, exec, s[6:7]
	v_mov_b32_e32 v3, 0
	v_mov_b32_e32 v9, 0
	s_and_saveexec_b64 s[0:1], s[2:3]
	s_cbranch_execz .LBB586_72
; %bb.71:
	v_lshlrev_b32_e32 v12, 8, v12
	v_mov_b32_e32 v13, 0
	v_lshl_add_u64 v[12:13], v[6:7], 0, v[12:13]
	global_load_ushort v2, v[12:13], off
	s_waitcnt vmcnt(0)
	v_lshlrev_b32_e32 v2, 16, v2
	v_sub_f32_e32 v2, v2, v4
	v_mul_f32_e32 v2, v15, v2
	v_lshrrev_b32_e32 v9, 16, v2
.LBB586_72:
	s_or_b64 exec, exec, s[0:1]
	v_or_b32_e32 v2, 0x9800, v37
	s_and_saveexec_b64 s[0:1], s[4:5]
	s_cbranch_execz .LBB586_74
; %bb.73:
	v_lshlrev_b32_e32 v12, 8, v14
	v_mov_b32_e32 v13, 0
	v_lshl_add_u64 v[6:7], v[6:7], 0, v[12:13]
	global_load_ushort v3, v[6:7], off
	s_waitcnt vmcnt(0)
	v_lshlrev_b32_e32 v3, 16, v3
	v_sub_f32_e32 v3, v3, v5
	v_mul_f32_e32 v3, v10, v3
	v_lshrrev_b32_e32 v3, 16, v3
.LBB586_74:
	s_or_b64 exec, exec, s[0:1]
	s_mov_b32 s0, 0x5040100
	v_perm_b32 v5, v3, v9, s0
	v_lshlrev_b32_e32 v3, 1, v34
	v_perm_b32 v4, v16, v17, s0
	v_lshl_or_b32 v3, v8, 5, v3
	s_movk_i32 s2, 0xff
	ds_write_b64 v3, v[4:5] offset:38912
	v_and_b32_e32 v3, 7, v0
	v_cmp_lt_u32_e32 vcc, s2, v0
	v_and_b32_e32 v4, 8, v0
	v_lshlrev_b32_e32 v12, 3, v3
	v_lshlrev_b32_e32 v24, 7, v3
	v_cndmask_b32_e64 v3, 0, 1, vcc
	v_lshrrev_b32_e32 v0, 1, v0
	v_lshlrev_b32_e32 v14, 13, v3
	v_lshlrev_b32_e32 v3, 3, v1
	v_and_b32_e32 v0, 24, v0
	v_xor_b32_e32 v5, v3, v0
	v_or_b32_e32 v6, 0x440, v5
	v_cmp_eq_u32_e32 vcc, 0, v4
	s_add_i32 s0, s14, s49
	s_mul_hi_i32 s1, s0, s13
	v_cndmask_b32_e32 v4, v6, v5, vcc
	v_or_b32_e32 v4, v4, v35
	v_xor_b32_e32 v22, v4, v12
	v_or_b32_e32 v4, 32, v0
	v_xor_b32_e32 v4, v3, v4
	v_or_b32_e32 v5, 0x440, v4
	v_cndmask_b32_e32 v4, v5, v4, vcc
	v_or_b32_e32 v4, v4, v35
	v_xor_b32_e32 v23, v4, v12
	v_or_b32_e32 v4, 64, v0
	v_xor_b32_e32 v4, v3, v4
	v_xor_b32_e32 v5, 0x440, v4
	s_mul_i32 s0, s0, s13
	v_cndmask_b32_e32 v4, v5, v4, vcc
	v_or_b32_e32 v0, 0x60, v0
	s_add_u32 s0, s0, s33
	v_add3_u32 v15, v14, v22, v24
	v_or_b32_e32 v4, v4, v35
	v_xor_b32_e32 v0, v3, v0
	s_waitcnt lgkmcnt(0)
	s_barrier
	s_addc_u32 s1, s1, s48
	v_lshlrev_b32_e32 v13, 2, v8
	v_xor_b32_e32 v25, v4, v12
	ds_read2st64_b64 v[4:7], v2 offset1:1
	ds_read2st64_b64 v[8:11], v2 offset0:2 offset1:3
	ds_read_b64 v[2:3], v15
	v_xor_b32_e32 v15, 0x440, v0
	s_lshl_b64 s[0:1], s[0:1], 9
	v_cndmask_b32_e32 v0, v15, v0, vcc
	s_add_u32 s0, s16, s0
	v_or_b32_e32 v0, v0, v35
	s_addc_u32 s1, s17, s1
	v_add3_u32 v16, v14, v23, v24
	v_add3_u32 v18, v14, v25, v24
	v_xor_b32_e32 v26, v0, v12
	v_add3_u32 v0, v14, v26, v24
	ds_read_b64 v[16:17], v16
	ds_read_b64 v[18:19], v18
	;; [unrolled: 1-line block ×3, first 2 shown]
	global_load_dwordx4 v[12:15], v13, s[0:1]
	v_lshlrev_b32_e32 v0, 6, v1
	v_lshlrev_b32_e32 v1, 2, v39
	s_movk_i32 s2, 0x100
	v_or3_b32 v0, v0, v1, s2
	s_waitcnt lgkmcnt(3)
	v_mfma_f32_16x16x16_bf16 a[0:3], v[2:3], v[4:5], 0
	global_load_dwordx4 v[0:3], v0, s[0:1]
	v_add_u32_e32 v27, v23, v24
	s_waitcnt vmcnt(1)
	v_mul_f32_e32 v12, 0x3fb8aa3b, v12
	s_waitcnt lgkmcnt(2)
	v_mfma_f32_16x16x16_bf16 a[0:3], v[16:17], v[6:7], a[0:3]
	v_mov_b32_e32 v16, 0x3fb8aa3b
	v_mul_f32_e32 v16, s12, v16
	v_mul_f32_e32 v13, 0x3fb8aa3b, v13
	s_waitcnt lgkmcnt(1)
	v_mfma_f32_16x16x16_bf16 a[0:3], v[18:19], v[8:9], a[0:3]
	v_exp_f32_e32 v16, v16
	v_add_u32_e32 v17, v22, v24
	v_exp_f32_e32 v12, v12
	s_waitcnt lgkmcnt(0)
	v_mfma_f32_16x16x16_bf16 a[0:3], v[20:21], v[10:11], a[0:3]
	v_exp_f32_e32 v13, v13
	ds_read_b64 v[22:23], v17 offset:8192
	v_mul_f32_e32 v14, 0x3fb8aa3b, v14
	v_mul_f32_e32 v15, 0x3fb8aa3b, v15
	v_pk_mul_f32 v[12:13], v[16:17], v[12:13] op_sel_hi:[0,1]
	v_exp_f32_e32 v14, v14
	v_exp_f32_e32 v15, v15
	v_accvgpr_read_b32 v21, a1
	v_accvgpr_read_b32 v20, a0
	v_pk_fma_f32 v[52:53], v[52:53], v[12:13], v[20:21]
	ds_read_b64 v[12:13], v27 offset:8192
	v_accvgpr_read_b32 v19, a3
	v_accvgpr_read_b32 v18, a2
	s_waitcnt lgkmcnt(1)
	v_mfma_f32_16x16x16_bf16 a[0:3], v[22:23], v[4:5], 0
	v_pk_mul_f32 v[14:15], v[16:17], v[14:15] op_sel_hi:[0,1]
	v_pk_fma_f32 v[56:57], v[56:57], v[14:15], v[18:19]
	v_add_u32_e32 v14, v25, v24
	v_add_u32_e32 v17, v26, v24
	ds_read_b64 v[14:15], v14 offset:8192
	ds_read_b64 v[18:19], v17 offset:8192
	s_waitcnt lgkmcnt(2)
	v_mfma_f32_16x16x16_bf16 a[0:3], v[12:13], v[6:7], a[0:3]
	s_waitcnt vmcnt(0)
	v_mov_b32_e32 v4, v3
	v_mov_b32_e32 v3, v2
	;; [unrolled: 1-line block ×3, first 2 shown]
	s_waitcnt lgkmcnt(1)
	v_mfma_f32_16x16x16_bf16 a[0:3], v[14:15], v[8:9], a[0:3]
	v_mul_f32_e32 v0, 0x3fb8aa3b, v0
	v_mul_f32_e32 v1, 0x3fb8aa3b, v2
	v_exp_f32_e32 v0, v0
	s_waitcnt lgkmcnt(0)
	v_mfma_f32_16x16x16_bf16 a[0:3], v[18:19], v[10:11], a[0:3]
	v_exp_f32_e32 v1, v1
	v_mul_f32_e32 v2, 0x3fb8aa3b, v3
	v_mul_f32_e32 v3, 0x3fb8aa3b, v4
	v_exp_f32_e32 v2, v2
	v_exp_f32_e32 v3, v3
	v_pk_mul_f32 v[0:1], v[16:17], v[0:1] op_sel_hi:[0,1]
	s_nop 0
	v_accvgpr_read_b32 v7, a1
	v_accvgpr_read_b32 v6, a0
	;; [unrolled: 1-line block ×4, first 2 shown]
	v_pk_fma_f32 v[50:51], v[50:51], v[0:1], v[6:7]
	v_pk_mul_f32 v[0:1], v[16:17], v[2:3] op_sel_hi:[0,1]
	v_pk_fma_f32 v[54:55], v[54:55], v[0:1], v[4:5]
.LBB586_75:
	s_add_u32 s0, s18, s28
	s_addc_u32 s1, s19, s29
	v_lshl_add_u64 v[0:1], v[46:47], 1, s[0:1]
	v_mov_b32_e32 v49, 0
	s_mov_b32 s0, 0x7060302
	v_lshl_add_u64 v[0:1], v[0:1], 0, v[48:49]
	v_perm_b32 v3, v57, v56, s0
	v_perm_b32 v2, v53, v52, s0
	global_store_dwordx2 v[0:1], v[2:3], off
	v_perm_b32 v3, v55, v54, s0
	v_perm_b32 v2, v51, v50, s0
	global_store_dwordx2 v[0:1], v[2:3], off offset:128
	s_endpgm
	.section	.rodata,"a",@progbits
	.p2align	6, 0x0
	.amdhsa_kernel _ZN12_GLOBAL__N_139chunk_gated_delta_rule_fwd_h_hip_kernelILi16ELb1ELb1ELb0ELb0ELb0ELb1ELb1ELb1EEEvPK12hip_bfloat16S3_S3_PKfS5_PKvPS1_S8_PvPKiSB_iiiiilll
		.amdhsa_group_segment_fixed_size 40960
		.amdhsa_private_segment_fixed_size 0
		.amdhsa_kernarg_size 136
		.amdhsa_user_sgpr_count 2
		.amdhsa_user_sgpr_dispatch_ptr 0
		.amdhsa_user_sgpr_queue_ptr 0
		.amdhsa_user_sgpr_kernarg_segment_ptr 1
		.amdhsa_user_sgpr_dispatch_id 0
		.amdhsa_user_sgpr_kernarg_preload_length 0
		.amdhsa_user_sgpr_kernarg_preload_offset 0
		.amdhsa_user_sgpr_private_segment_size 0
		.amdhsa_uses_dynamic_stack 0
		.amdhsa_enable_private_segment 0
		.amdhsa_system_sgpr_workgroup_id_x 1
		.amdhsa_system_sgpr_workgroup_id_y 1
		.amdhsa_system_sgpr_workgroup_id_z 0
		.amdhsa_system_sgpr_workgroup_info 0
		.amdhsa_system_vgpr_workitem_id 0
		.amdhsa_next_free_vgpr 128
		.amdhsa_next_free_sgpr 71
		.amdhsa_accum_offset 116
		.amdhsa_reserve_vcc 1
		.amdhsa_float_round_mode_32 0
		.amdhsa_float_round_mode_16_64 0
		.amdhsa_float_denorm_mode_32 3
		.amdhsa_float_denorm_mode_16_64 3
		.amdhsa_dx10_clamp 1
		.amdhsa_ieee_mode 1
		.amdhsa_fp16_overflow 0
		.amdhsa_tg_split 0
		.amdhsa_exception_fp_ieee_invalid_op 0
		.amdhsa_exception_fp_denorm_src 0
		.amdhsa_exception_fp_ieee_div_zero 0
		.amdhsa_exception_fp_ieee_overflow 0
		.amdhsa_exception_fp_ieee_underflow 0
		.amdhsa_exception_fp_ieee_inexact 0
		.amdhsa_exception_int_div_zero 0
	.end_amdhsa_kernel
	.section	.text._ZN12_GLOBAL__N_139chunk_gated_delta_rule_fwd_h_hip_kernelILi16ELb1ELb1ELb0ELb0ELb0ELb1ELb1ELb1EEEvPK12hip_bfloat16S3_S3_PKfS5_PKvPS1_S8_PvPKiSB_iiiiilll,"axG",@progbits,_ZN12_GLOBAL__N_139chunk_gated_delta_rule_fwd_h_hip_kernelILi16ELb1ELb1ELb0ELb0ELb0ELb1ELb1ELb1EEEvPK12hip_bfloat16S3_S3_PKfS5_PKvPS1_S8_PvPKiSB_iiiiilll,comdat
.Lfunc_end586:
	.size	_ZN12_GLOBAL__N_139chunk_gated_delta_rule_fwd_h_hip_kernelILi16ELb1ELb1ELb0ELb0ELb0ELb1ELb1ELb1EEEvPK12hip_bfloat16S3_S3_PKfS5_PKvPS1_S8_PvPKiSB_iiiiilll, .Lfunc_end586-_ZN12_GLOBAL__N_139chunk_gated_delta_rule_fwd_h_hip_kernelILi16ELb1ELb1ELb0ELb0ELb0ELb1ELb1ELb1EEEvPK12hip_bfloat16S3_S3_PKfS5_PKvPS1_S8_PvPKiSB_iiiiilll
                                        ; -- End function
	.section	.AMDGPU.csdata,"",@progbits
; Kernel info:
; codeLenInByte = 8284
; NumSgprs: 77
; NumVgprs: 116
; NumAgprs: 12
; TotalNumVgprs: 128
; ScratchSize: 0
; MemoryBound: 0
; FloatMode: 240
; IeeeMode: 1
; LDSByteSize: 40960 bytes/workgroup (compile time only)
; SGPRBlocks: 9
; VGPRBlocks: 15
; NumSGPRsForWavesPerEU: 77
; NumVGPRsForWavesPerEU: 128
; AccumOffset: 116
; Occupancy: 1
; WaveLimiterHint : 1
; COMPUTE_PGM_RSRC2:SCRATCH_EN: 0
; COMPUTE_PGM_RSRC2:USER_SGPR: 2
; COMPUTE_PGM_RSRC2:TRAP_HANDLER: 0
; COMPUTE_PGM_RSRC2:TGID_X_EN: 1
; COMPUTE_PGM_RSRC2:TGID_Y_EN: 1
; COMPUTE_PGM_RSRC2:TGID_Z_EN: 0
; COMPUTE_PGM_RSRC2:TIDIG_COMP_CNT: 0
; COMPUTE_PGM_RSRC3_GFX90A:ACCUM_OFFSET: 28
; COMPUTE_PGM_RSRC3_GFX90A:TG_SPLIT: 0
	.section	.text._ZN12_GLOBAL__N_139chunk_gated_delta_rule_fwd_h_hip_kernelILi16ELb1ELb0ELb1ELb0ELb0ELb1ELb1ELb1EEEvPK12hip_bfloat16S3_S3_PKfS5_PKvPS1_S8_PvPKiSB_iiiiilll,"axG",@progbits,_ZN12_GLOBAL__N_139chunk_gated_delta_rule_fwd_h_hip_kernelILi16ELb1ELb0ELb1ELb0ELb0ELb1ELb1ELb1EEEvPK12hip_bfloat16S3_S3_PKfS5_PKvPS1_S8_PvPKiSB_iiiiilll,comdat
	.globl	_ZN12_GLOBAL__N_139chunk_gated_delta_rule_fwd_h_hip_kernelILi16ELb1ELb0ELb1ELb0ELb0ELb1ELb1ELb1EEEvPK12hip_bfloat16S3_S3_PKfS5_PKvPS1_S8_PvPKiSB_iiiiilll ; -- Begin function _ZN12_GLOBAL__N_139chunk_gated_delta_rule_fwd_h_hip_kernelILi16ELb1ELb0ELb1ELb0ELb0ELb1ELb1ELb1EEEvPK12hip_bfloat16S3_S3_PKfS5_PKvPS1_S8_PvPKiSB_iiiiilll
	.p2align	8
	.type	_ZN12_GLOBAL__N_139chunk_gated_delta_rule_fwd_h_hip_kernelILi16ELb1ELb0ELb1ELb0ELb0ELb1ELb1ELb1EEEvPK12hip_bfloat16S3_S3_PKfS5_PKvPS1_S8_PvPKiSB_iiiiilll,@function
_ZN12_GLOBAL__N_139chunk_gated_delta_rule_fwd_h_hip_kernelILi16ELb1ELb0ELb1ELb0ELb0ELb1ELb1ELb1EEEvPK12hip_bfloat16S3_S3_PKfS5_PKvPS1_S8_PvPKiSB_iiiiilll: ; @_ZN12_GLOBAL__N_139chunk_gated_delta_rule_fwd_h_hip_kernelILi16ELb1ELb0ELb1ELb0ELb0ELb1ELb1ELb1EEEvPK12hip_bfloat16S3_S3_PKfS5_PKvPS1_S8_PvPKiSB_iiiiilll
; %bb.0:
	s_load_dwordx4 s[12:15], s[0:1], 0x5c
	s_load_dwordx4 s[20:23], s[0:1], 0x70
	s_abs_i32 s6, s3
	s_ashr_i32 s5, s3, 31
	s_load_dwordx4 s[16:19], s[0:1], 0x28
	s_load_dwordx2 s[28:29], s[0:1], 0x38
	s_waitcnt lgkmcnt(0)
	s_abs_i32 s4, s13
	v_cvt_f32_u32_e32 v1, s4
	s_sub_i32 s8, 0, s4
	s_ashr_i32 s7, s13, 31
	s_xor_b32 s5, s5, s7
	v_rcp_iflag_f32_e32 v1, v1
	v_and_b32_e32 v64, 15, v0
	v_lshrrev_b32_e32 v62, 6, v0
	v_bfe_u32 v63, v0, 4, 2
	v_mul_f32_e32 v1, 0x4f7ffffe, v1
	v_cvt_u32_f32_e32 v1, v1
	v_mov_b32_e32 v5, 0
	v_and_b32_e32 v45, 63, v0
	v_lshlrev_b32_e32 v65, 3, v0
	v_readfirstlane_b32 s9, v1
	s_mul_i32 s8, s8, s9
	s_mul_hi_u32 s8, s9, s8
	s_add_i32 s9, s9, s8
	s_mul_hi_u32 s8, s6, s9
	s_mul_i32 s9, s8, s4
	s_sub_i32 s6, s6, s9
	s_add_i32 s10, s8, 1
	s_sub_i32 s9, s6, s4
	s_cmp_ge_u32 s6, s4
	s_cselect_b32 s8, s10, s8
	s_cselect_b32 s6, s9, s6
	s_add_i32 s9, s8, 1
	s_cmp_ge_u32 s6, s4
	s_cselect_b32 s6, s9, s8
	s_xor_b32 s6, s6, s5
	s_add_i32 s8, s12, 63
	s_sub_i32 s53, s6, s5
	s_ashr_i32 s9, s8, 31
	s_mul_i32 s5, s53, s13
	s_sub_i32 s51, s3, s5
	s_lshr_b32 s3, s9, 26
	s_add_i32 s8, s8, s3
	s_abs_i32 s3, s14
	v_cvt_f32_u32_e32 v1, s3
	s_ashr_i32 s52, s12, 31
	s_lshr_b32 s6, s52, 26
	s_add_i32 s6, s12, s6
	v_rcp_iflag_f32_e32 v1, v1
	s_ashr_i32 s56, s14, 31
	s_ashr_i32 s54, s6, 6
	s_lshl_b32 s38, s2, 4
	v_mul_f32_e32 v1, 0x4f7ffffe, v1
	v_cvt_u32_f32_e32 v1, v1
	s_xor_b32 s2, s7, s56
	s_sub_i32 s6, 0, s3
	s_ashr_i32 s25, s8, 6
	v_readfirstlane_b32 s7, v1
	s_mul_i32 s6, s6, s7
	s_mul_hi_u32 s6, s7, s6
	s_add_i32 s7, s7, s6
	s_mul_hi_u32 s6, s4, s7
	s_mul_i32 s7, s6, s3
	s_sub_i32 s4, s4, s7
	s_add_i32 s7, s6, 1
	s_sub_i32 s8, s4, s3
	s_cmp_ge_u32 s4, s3
	s_cselect_b32 s6, s7, s6
	s_cselect_b32 s4, s8, s4
	s_add_i32 s7, s6, 1
	s_cmp_ge_u32 s4, s3
	s_cselect_b32 s3, s7, s6
	s_xor_b32 s3, s3, s2
	s_sub_i32 s2, s3, s2
	s_abs_i32 s3, s2
	v_cvt_f32_u32_e32 v1, s3
	s_sub_i32 s6, 0, s3
	s_abs_i32 s4, s51
	s_xor_b32 s2, s51, s2
	v_rcp_iflag_f32_e32 v1, v1
	s_ashr_i32 s2, s2, 31
	v_or_b32_e32 v46, s38, v64
	v_lshlrev_b32_e32 v2, 7, v46
	v_mul_f32_e32 v1, 0x4f7ffffe, v1
	v_cvt_u32_f32_e32 v1, v1
	v_ashrrev_i32_e32 v3, 31, v2
	v_lshrrev_b32_e32 v66, 3, v45
	s_mul_i32 s33, s53, s21
	v_readfirstlane_b32 s7, v1
	s_mul_i32 s6, s6, s7
	s_mul_hi_u32 s6, s7, s6
	s_add_i32 s7, s7, s6
	s_mul_hi_u32 s6, s4, s7
	s_mul_i32 s7, s6, s3
	s_sub_i32 s4, s4, s7
	s_add_i32 s7, s6, 1
	s_sub_i32 s8, s4, s3
	s_cmp_ge_u32 s4, s3
	s_cselect_b32 s6, s7, s6
	s_cselect_b32 s4, s8, s4
	s_add_i32 s7, s6, 1
	s_cmp_ge_u32 s4, s3
	s_cselect_b32 s3, s7, s6
	s_xor_b32 s3, s3, s2
	s_sub_i32 s57, s3, s2
	s_ashr_i32 s24, s53, 31
	s_ashr_i32 s55, s51, 31
	s_mul_hi_i32 s2, s53, s13
	s_add_u32 s40, s5, s51
	s_addc_u32 s41, s2, s55
	s_lshl_b64 s[2:3], s[40:41], 15
	v_lshlrev_b32_e32 v1, 4, v62
	s_add_u32 s2, s16, s2
	v_lshl_or_b32 v67, v63, 2, v1
	s_addc_u32 s3, s17, s3
	v_lshl_add_u64 v[2:3], v[2:3], 1, s[2:3]
	v_lshlrev_b32_e32 v4, 1, v67
	v_lshl_add_u64 v[2:3], v[2:3], 0, v[4:5]
	global_load_dwordx2 v[4:5], v[2:3], off
	global_load_dwordx2 v[6:7], v[2:3], off offset:128
	s_load_dwordx8 s[4:11], s[0:1], 0x0
	s_load_dwordx2 s[30:31], s[0:1], 0x80
	v_or_b32_e32 v68, 64, v67
	s_mul_hi_u32 s46, s53, s20
	s_mul_i32 s36, s53, s20
	s_mul_i32 s58, s53, s25
	;; [unrolled: 1-line block ×3, first 2 shown]
	s_mul_hi_u32 s48, s51, s22
	s_mul_i32 s50, s24, s20
	s_mul_i32 s49, s55, s22
	s_mul_hi_u32 s59, s40, s12
	s_mul_i32 s16, s40, s12
	s_mul_i32 s41, s41, s12
	s_cmp_lt_i32 s12, 64
	s_mul_i32 s34, s51, s22
	s_waitcnt vmcnt(1)
	v_and_b32_e32 v51, 0xffff0000, v4
	v_lshlrev_b32_e32 v50, 16, v4
	v_and_b32_e32 v55, 0xffff0000, v5
	v_lshlrev_b32_e32 v54, 16, v5
	s_waitcnt vmcnt(0)
	v_and_b32_e32 v49, 0xffff0000, v6
	v_lshlrev_b32_e32 v48, 16, v6
	v_and_b32_e32 v53, 0xffff0000, v7
	v_lshlrev_b32_e32 v52, 16, v7
	s_cbranch_scc1 .LBB587_18
; %bb.1:
	s_add_i32 s17, s59, s41
	s_lshl_b64 s[2:3], s[16:17], 8
	v_and_b32_e32 v70, 56, v65
	s_waitcnt lgkmcnt(0)
	s_add_u32 s20, s6, s2
	v_lshl_or_b32 v69, v62, 3, v66
	v_lshlrev_b32_e32 v2, 1, v70
	s_addc_u32 s2, s7, s3
	v_lshl_or_b32 v71, v69, 8, v2
	s_and_b32 s21, s2, 0xffff
	s_mov_b32 s23, 0x20000
	s_movk_i32 s22, 0x4000
	s_movk_i32 s2, 0x80
	v_or_b32_e32 v72, 0x2000, v71
	buffer_load_dwordx4 v[4:7], v71, s[20:23], 0 offen
	buffer_load_dwordx4 v[8:11], v71, s[20:23], s2 offen
	;; [unrolled: 1-line block ×4, first 2 shown]
	v_lshlrev_b32_e32 v3, 3, v69
	v_and_or_b32 v21, v0, 7, v3
	v_and_b32_e32 v3, 0x78, v3
	v_lshlrev_b32_e32 v21, 4, v21
	v_xor_b32_e32 v73, v21, v3
	v_mul_lo_u32 v20, v69, s15
	v_or_b32_e32 v74, 0x1000, v73
	v_xor_b32_e32 v3, 8, v73
	s_cmpk_eq_i32 s15, 0x80
	s_mov_b32 s60, s14
	v_xor_b32_e32 v21, 8, v74
	s_cselect_b64 s[2:3], -1, 0
	s_cmpk_lg_i32 s15, 0x80
	s_waitcnt vmcnt(3)
	ds_write_b64 v73, v[4:5] offset:16384
	ds_write_b64 v3, v[6:7] offset:16384
	s_waitcnt vmcnt(2)
	ds_write_b64 v73, v[8:9] offset:24576
	ds_write_b64 v3, v[10:11] offset:24576
	;; [unrolled: 3-line block ×4, first 2 shown]
	v_lshl_add_u32 v3, v20, 1, v70
	s_cbranch_scc0 .LBB587_3
; %bb.2:
	v_lshlrev_b32_e32 v5, 1, v3
	v_add_lshl_u32 v4, v3, s15, 1
	s_lshl_b32 s22, s15, 7
	s_load_dwordx2 s[42:43], s[0:1], 0x20
	v_lshl_or_b32 v2, v69, 9, v2
	s_cbranch_execz .LBB587_4
	s_branch .LBB587_5
.LBB587_3:
                                        ; implicit-def: $vgpr4
                                        ; implicit-def: $vgpr5
                                        ; implicit-def: $sgpr22
	s_load_dwordx2 s[42:43], s[0:1], 0x20
	v_lshl_or_b32 v2, v69, 9, v2
.LBB587_4:
	v_or_b32_e32 v4, 0x100, v2
	s_movk_i32 s22, 0x4000
	v_mov_b32_e32 v5, v2
.LBB587_5:
	s_mul_hi_u32 s0, s14, s12
	s_mul_i32 s1, s56, s12
	s_add_i32 s0, s0, s1
	s_mul_i32 s1, s14, s12
	s_mul_i32 s20, s1, s24
	s_mul_hi_u32 s21, s1, s53
	s_add_i32 s20, s21, s20
	s_mul_i32 s0, s0, s53
	s_add_i32 s20, s20, s0
	s_mul_i32 s1, s1, s53
	s_ashr_i32 s61, s57, 31
	s_add_u32 s0, s1, s57
	s_addc_u32 s1, s20, s61
	s_lshl_b64 s[0:1], s[0:1], 8
	s_add_u32 s20, s4, s0
	s_addc_u32 s0, s5, s1
	s_and_b32 s21, s0, 0xffff
	s_movk_i32 s62, 0x80
	buffer_load_dwordx4 v[6:9], v5, s[20:23], 0 offen
	buffer_load_dwordx4 v[10:13], v5, s[20:23], s62 offen
	;; [unrolled: 1-line block ×4, first 2 shown]
	v_and_b32_e32 v4, 6, v0
	v_lshlrev_b32_e32 v22, 2, v64
	v_lshlrev_b32_e32 v23, 3, v64
	v_xor_b32_e32 v25, v69, v4
	v_and_b32_e32 v5, 1, v0
	s_mul_i32 s24, s24, s12
	s_mul_hi_u32 s0, s53, s12
	v_lshl_or_b32 v23, v67, 5, v23
	v_xor_b32_e32 v26, v67, v22
	v_lshlrev_b32_e32 v25, 2, v25
	v_or_b32_e32 v75, 0x9000, v23
	v_or_b32_e32 v76, 0x9800, v23
	v_lshlrev_b32_e32 v23, 1, v26
	v_xor_b32_e32 v26, 0x440, v25
	v_cmp_eq_u32_e32 vcc, 0, v5
	s_add_i32 s67, s0, s24
	s_add_i32 s0, s46, s33
	v_cndmask_b32_e32 v5, v26, v25, vcc
	s_add_i32 s1, s48, s47
	s_add_i32 s37, s0, s50
	s_mov_b32 s65, 0x1000504
	v_lshlrev_b32_e32 v24, 8, v64
	s_mov_b32 s20, 0x8000
	v_xor_b32_e32 v22, v68, v22
	v_lshl_or_b32 v4, v4, 10, v5
	s_add_i32 s35, s1, s49
	s_lshl_b64 s[0:1], s[36:37], 2
	s_mov_b32 s66, 0x3020706
	v_lshlrev_b32_e32 v22, 1, v22
	v_or3_b32 v77, v23, v24, s20
	v_xor_b32_e32 v5, 8, v4
	v_xor_b32_e32 v23, 24, v4
	;; [unrolled: 1-line block ×4, first 2 shown]
	s_add_u32 s21, s10, s0
	v_or3_b32 v78, v22, v24, s20
	v_xor_b32_e32 v22, 16, v4
	v_xor_b32_e32 v24, 32, v4
	;; [unrolled: 1-line block ×3, first 2 shown]
	v_add_u32_e32 v5, 0x80, v5
	v_add_u32_e32 v23, 0x80, v23
	;; [unrolled: 1-line block ×4, first 2 shown]
	s_addc_u32 s22, s11, s1
	s_lshl_b64 s[0:1], s[34:35], 2
	s_add_u32 s44, s21, s0
	s_movk_i32 s0, 0xf8
	s_addc_u32 s45, s22, s1
	s_ashr_i32 s39, s38, 31
	v_ashrrev_i32_e32 v47, 31, v46
	s_lshl_b32 s26, s15, 7
	s_mul_i32 s63, s53, s12
	s_mov_b32 s64, 0
	s_mov_b32 s37, 0x7060302
	s_movk_i32 s22, 0x4000
	v_mov_b32_e32 v98, 0x3fb8aa3b
	s_mov_b32 s68, 0
	s_waitcnt vmcnt(1)
	v_perm_b32 v28, v6, v14, s65
	s_waitcnt vmcnt(0)
	v_perm_b32 v29, v10, v18, s65
	v_perm_b32 v6, v6, v14, s66
	;; [unrolled: 1-line block ×15, first 2 shown]
	ds_write2st64_b32 v4, v28, v29 offset1:32
	ds_write2st64_b32 v5, v6, v10 offset1:32
	ds_write2st64_b32 v22, v14, v18 offset0:1 offset1:33
	ds_write2st64_b32 v23, v7, v11 offset0:1 offset1:33
	;; [unrolled: 1-line block ×6, first 2 shown]
	v_or_b32_e32 v4, v1, v64
	v_lshlrev_b32_e32 v4, 3, v4
	v_lshrrev_b32_e32 v6, 5, v45
	v_and_or_b32 v6, v4, s0, v6
	v_lshlrev_b32_e32 v6, 4, v6
	v_lshrrev_b32_e32 v5, 2, v45
	v_lshlrev_b32_e32 v13, 11, v62
	v_and_b32_e32 v4, 0x78, v4
	v_or_b32_e32 v9, 32, v6
	v_and_b32_e32 v12, 12, v5
	v_and_b32_e32 v5, 0x1000, v13
	v_lshrrev_b32_e32 v8, 1, v45
	v_xor_b32_e32 v9, v9, v4
	v_and_b32_e32 v8, 8, v8
	v_or_b32_e32 v9, v9, v5
	v_xor_b32_e32 v7, v6, v4
	v_xor_b32_e32 v81, v9, v8
	v_or_b32_e32 v9, 64, v6
	v_or_b32_e32 v6, 0x60, v6
	v_xor_b32_e32 v9, v9, v4
	v_xor_b32_e32 v4, v6, v4
	v_or_b32_e32 v7, v7, v5
	v_or_b32_e32 v9, v9, v5
	;; [unrolled: 1-line block ×3, first 2 shown]
	v_xor_b32_e32 v79, v7, v8
	v_xor_b32_e32 v82, v9, v8
	v_xor_b32_e32 v83, v4, v8
	v_lshrrev_b32_e32 v8, 4, v0
	v_lshlrev_b32_e32 v9, 1, v64
	v_or_b32_e32 v10, 1, v9
	v_xor_b32_e32 v9, v8, v9
	s_lshl_b64 s[0:1], s[38:39], 8
	v_xor_b32_e32 v10, v10, v8
	v_lshlrev_b32_e32 v9, 3, v9
	v_lshlrev_b32_e32 v8, 8, v8
	v_lshlrev_b64 v[4:5], 1, v[46:47]
	s_add_u32 s0, s18, s0
	v_or3_b32 v47, v9, v8, s20
	v_lshlrev_b32_e32 v9, 3, v10
	s_addc_u32 s1, s19, s1
	v_or3_b32 v85, v9, v8, s20
	v_mov_b32_e32 v9, 0
	v_lshrrev_b32_e32 v19, 1, v0
	v_lshl_add_u64 v[10:11], s[0:1], 0, v[8:9]
	v_lshlrev_b32_e32 v8, 4, v64
	s_movk_i32 s0, 0xff
	v_lshlrev_b32_e32 v18, 3, v62
	v_and_b32_e32 v19, 24, v19
	v_lshl_add_u64 v[56:57], v[10:11], 0, v[8:9]
	v_and_b32_e32 v8, 7, v0
	v_and_b32_e32 v11, 8, v0
	v_cmp_lt_u32_e32 vcc, s0, v0
	v_xor_b32_e32 v20, v18, v19
	v_lshlrev_b32_e32 v16, 3, v8
	v_lshlrev_b32_e32 v17, 7, v8
	v_cndmask_b32_e64 v8, 0, 1, vcc
	v_or_b32_e32 v21, 0x440, v20
	v_cmp_eq_u32_e32 vcc, 0, v11
	v_or_b32_e32 v23, 64, v19
	v_xor_b32_e32 v23, v18, v23
	v_cndmask_b32_e32 v11, v21, v20, vcc
	v_or_b32_e32 v21, 32, v19
	v_or_b32_e32 v19, 0x60, v19
	v_xor_b32_e32 v21, v18, v21
	v_xor_b32_e32 v18, v18, v19
	v_or_b32_e32 v22, 0x440, v21
	v_xor_b32_e32 v24, 0x440, v23
	v_xor_b32_e32 v19, 0x440, v18
	v_cndmask_b32_e32 v21, v22, v21, vcc
	v_cndmask_b32_e32 v23, v24, v23, vcc
	;; [unrolled: 1-line block ×3, first 2 shown]
	v_and_b32_e32 v7, 0x78, v65
	v_or_b32_e32 v11, v11, v13
	v_or_b32_e32 v21, v21, v13
	;; [unrolled: 1-line block ×4, first 2 shown]
	v_lshl_or_b32 v7, v63, 7, v7
	v_lshlrev_b32_e32 v8, 13, v8
	v_xor_b32_e32 v11, v11, v16
	v_xor_b32_e32 v21, v21, v16
	;; [unrolled: 1-line block ×4, first 2 shown]
	v_or_b32_e32 v80, 0x9000, v7
	v_or_b32_e32 v84, 0x9800, v7
	v_lshl_add_u64 v[6:7], s[8:9], 0, v[4:5]
	v_lshl_add_u64 v[4:5], s[28:29], 0, v[4:5]
	v_lshlrev_b32_e32 v14, 1, v3
	v_add_lshl_u32 v3, v3, s15, 1
	v_or_b32_e32 v15, 0x100, v2
	v_or_b32_e32 v10, v12, v1
	v_add_u32_e32 v20, v8, v11
	v_add_u32_e32 v22, v8, v21
	;; [unrolled: 1-line block ×4, first 2 shown]
	v_or3_b32 v12, v1, v12, 64
	v_add_u32_e32 v11, 0x2000, v11
	v_add_u32_e32 v18, 0x2000, v21
	;; [unrolled: 1-line block ×4, first 2 shown]
	v_lshlrev_b32_e32 v8, 8, v67
	v_cndmask_b32_e64 v86, v14, v2, s[2:3]
	v_cndmask_b32_e64 v87, v3, v15, s[2:3]
	v_lshl_add_u64 v[58:59], v[6:7], 0, v[8:9]
	v_lshl_add_u64 v[60:61], v[4:5], 0, v[8:9]
	s_add_i32 s35, s63, 63
	v_lshlrev_b32_e32 v88, 2, v10
	v_add_u32_e32 v89, v20, v17
	v_add_u32_e32 v90, v22, v17
	;; [unrolled: 1-line block ×4, first 2 shown]
	v_lshlrev_b32_e32 v93, 2, v12
	v_add_u32_e32 v94, v11, v17
	v_add_u32_e32 v95, v18, v17
	;; [unrolled: 1-line block ×4, first 2 shown]
	s_waitcnt lgkmcnt(0)
	s_barrier
.LBB587_6:                              ; =>This Inner Loop Header: Depth=1
	s_add_i32 s39, s68, 1
	s_cmp_lt_i32 s39, s54
	s_mov_b64 s[24:25], 0
	s_cselect_b64 s[2:3], -1, 0
	s_cmp_ge_i32 s39, s54
	s_mov_b64 s[20:21], 0
	s_cbranch_scc1 .LBB587_8
; %bb.7:                                ;   in Loop: Header=BB587_6 Depth=1
	s_add_i32 s0, s64, 64
	s_add_u32 s0, s16, s0
	s_addc_u32 s1, s17, 0
	s_lshl_b64 s[0:1], s[0:1], 8
	s_add_u32 s20, s6, s0
	s_addc_u32 s21, s7, s1
.LBB587_8:                              ;   in Loop: Header=BB587_6 Depth=1
	v_cndmask_b32_e64 v2, 0, 1, s[2:3]
	v_cmp_ne_u32_e64 s[0:1], 1, v2
	s_andn2_b64 vcc, exec, s[2:3]
	s_cbranch_vccnz .LBB587_10
; %bb.9:                                ;   in Loop: Header=BB587_6 Depth=1
	s_add_i32 s2, s64, 64
	s_add_u32 s2, s63, s2
	s_addc_u32 s3, s67, 0
	s_mul_i32 s24, s2, s56
	s_mul_hi_u32 s25, s2, s60
	s_add_i32 s24, s25, s24
	s_mul_i32 s3, s3, s60
	s_add_i32 s24, s24, s3
	s_mul_i32 s2, s2, s60
	s_add_u32 s2, s2, s57
	s_addc_u32 s3, s24, s61
	s_lshl_b64 s[2:3], s[2:3], 8
	s_add_u32 s24, s4, s2
	s_addc_u32 s25, s5, s3
.LBB587_10:                             ;   in Loop: Header=BB587_6 Depth=1
	v_perm_b32 v3, v55, v54, s37
	v_perm_b32 v2, v51, v50, s37
	;; [unrolled: 1-line block ×4, first 2 shown]
	ds_write_b64 v75, v[2:3]
	ds_write_b64 v76, v[4:5]
	;; [unrolled: 1-line block ×4, first 2 shown]
	s_waitcnt lgkmcnt(0)
	s_barrier
	ds_read_b64 v[10:11], v79 offset:16384
	ds_read_b64 v[12:13], v81 offset:16384
	ds_read2st64_b64 v[2:5], v80 offset1:1
	ds_read2st64_b64 v[6:9], v80 offset0:2 offset1:3
	ds_read_b64 v[14:15], v82 offset:16384
	s_waitcnt lgkmcnt(2)
	v_mfma_f32_16x16x16_bf16 a[0:3], v[10:11], v[2:3], 0
	ds_read_b64 v[2:3], v83 offset:16384
	s_add_i32 s2, s64, 63
	s_mul_i32 s3, s2, s31
	v_mfma_f32_16x16x16_bf16 a[0:3], v[12:13], v[4:5], a[0:3]
	s_mul_hi_u32 s27, s2, s30
	s_add_i32 s3, s27, s3
	s_mul_i32 s2, s2, s30
	s_waitcnt lgkmcnt(1)
	v_mfma_f32_16x16x16_bf16 a[0:3], v[14:15], v[6:7], a[0:3]
	s_lshl_b64 s[2:3], s[2:3], 2
	s_add_u32 s2, s44, s2
	s_addc_u32 s3, s45, s3
	s_waitcnt lgkmcnt(0)
	v_mfma_f32_16x16x16_bf16 a[0:3], v[2:3], v[8:9], a[0:3]
	s_and_b64 vcc, exec, s[0:1]
	v_mov_b32_e32 v101, 0
	v_mov_b32_e32 v100, 0
	;; [unrolled: 1-line block ×19, first 2 shown]
	s_cbranch_vccnz .LBB587_12
; %bb.11:                               ;   in Loop: Header=BB587_6 Depth=1
	s_and_b32 s21, s21, 0xffff
	buffer_load_dwordx4 v[14:17], v71, s[20:23], 0 offen
	buffer_load_dwordx4 v[10:13], v71, s[20:23], s62 offen
	;; [unrolled: 1-line block ×4, first 2 shown]
	v_mov_b32_e32 v100, v73
	v_mov_b32_e32 v99, v74
.LBB587_12:                             ;   in Loop: Header=BB587_6 Depth=1
	v_add_u32_e32 v24, s64, v67
	v_ashrrev_i32_e32 v18, 31, v24
	v_mul_lo_u32 v20, v18, s30
	v_mul_lo_u32 v21, v24, s31
	v_mad_u64_u32 v[18:19], s[20:21], v24, s30, 0
	v_add3_u32 v19, v19, v21, v20
	v_add_u32_e32 v20, 1, v24
	v_ashrrev_i32_e32 v21, 31, v20
	v_mul_lo_u32 v22, v21, s30
	v_mul_lo_u32 v23, v20, s31
	v_mad_u64_u32 v[20:21], s[20:21], v20, s30, 0
	v_add3_u32 v21, v21, v23, v22
	v_add_u32_e32 v22, 2, v24
	v_ashrrev_i32_e32 v23, 31, v22
	v_mul_lo_u32 v25, v23, s30
	v_mul_lo_u32 v26, v22, s31
	v_mad_u64_u32 v[22:23], s[20:21], v22, s30, 0
	s_add_u32 s20, s16, s64
	v_add3_u32 v23, v23, v26, v25
	v_add_u32_e32 v26, 3, v24
	s_addc_u32 s21, s17, 0
	v_ashrrev_i32_e32 v24, 31, v26
	s_lshl_b64 s[20:21], s[20:21], 8
	v_lshl_add_u64 v[18:19], v[18:19], 2, s[44:45]
	v_mul_lo_u32 v27, v24, s30
	v_lshl_add_u64 v[24:25], v[58:59], 0, s[20:21]
	v_mul_lo_u32 v28, v26, s31
	global_load_ushort v34, v[24:25], off
	global_load_ushort v35, v[24:25], off offset:256
	global_load_ushort v36, v[24:25], off offset:512
	;; [unrolled: 1-line block ×3, first 2 shown]
	global_load_dword v38, v[18:19], off
	v_mad_u64_u32 v[18:19], s[70:71], v26, s30, 0
	v_lshl_add_u64 v[20:21], v[20:21], 2, s[44:45]
	v_add3_u32 v19, v19, v28, v27
	v_lshl_add_u64 v[22:23], v[22:23], 2, s[44:45]
	v_lshl_add_u64 v[18:19], v[18:19], 2, s[44:45]
	global_load_dword v39, v[20:21], off
	global_load_dword v40, v[22:23], off
	;; [unrolled: 1-line block ×3, first 2 shown]
	ds_read_b64 v[18:19], v79 offset:24576
	s_load_dword s2, s[2:3], 0x0
	ds_read_b64 v[28:29], v81 offset:24576
	ds_read2st64_b64 v[20:23], v84 offset1:1
	ds_read2st64_b64 v[24:27], v84 offset0:2 offset1:3
	ds_read_b64 v[30:31], v82 offset:24576
	ds_read_b64 v[32:33], v83 offset:24576
	s_waitcnt lgkmcnt(0)
	v_mfma_f32_16x16x16_bf16 a[0:3], v[18:19], v[20:21], a[0:3]
	v_mov_b32_e32 v102, 0
	v_mov_b32_e32 v18, 0
	;; [unrolled: 1-line block ×3, first 2 shown]
	v_mfma_f32_16x16x16_bf16 a[0:3], v[28:29], v[22:23], a[0:3]
	v_lshl_add_u64 v[28:29], v[60:61], 0, s[20:21]
	v_mov_b32_e32 v20, 0
	v_mov_b32_e32 v21, 0
	v_mfma_f32_16x16x16_bf16 a[0:3], v[30:31], v[24:25], a[0:3]
	v_mov_b32_e32 v22, 0
	v_mov_b32_e32 v23, 0
	;; [unrolled: 1-line block ×3, first 2 shown]
	v_mfma_f32_16x16x16_bf16 a[0:3], v[32:33], v[26:27], a[0:3]
	s_and_b64 vcc, exec, s[0:1]
	s_waitcnt vmcnt(7)
	v_lshlrev_b32_e32 v32, 16, v34
	s_nop 3
	v_accvgpr_read_b32 v31, a1
	v_accvgpr_read_b32 v27, a3
	;; [unrolled: 1-line block ×4, first 2 shown]
	s_waitcnt vmcnt(6)
	v_lshlrev_b32_e32 v33, 16, v35
	s_waitcnt vmcnt(4)
	v_lshlrev_b32_e32 v35, 16, v37
	v_lshlrev_b32_e32 v34, 16, v36
	s_waitcnt vmcnt(3)
	v_sub_f32_e32 v25, s2, v38
	v_pk_add_f32 v[30:31], v[32:33], v[30:31] neg_lo:[0,1] neg_hi:[0,1]
	v_pk_add_f32 v[26:27], v[34:35], v[26:27] neg_lo:[0,1] neg_hi:[0,1]
	v_mul_f32_e32 v25, 0x3fb8aa3b, v25
	s_waitcnt vmcnt(2)
	v_sub_f32_e32 v33, s2, v39
	s_waitcnt vmcnt(1)
	v_sub_f32_e32 v34, s2, v40
	;; [unrolled: 2-line block ×3, first 2 shown]
	v_exp_f32_e32 v32, v25
	v_mul_f32_e32 v25, 0x3fb8aa3b, v33
	v_mul_f32_e32 v34, 0x3fb8aa3b, v34
	;; [unrolled: 1-line block ×3, first 2 shown]
	v_exp_f32_e32 v33, v25
	v_exp_f32_e32 v34, v34
	;; [unrolled: 1-line block ×3, first 2 shown]
	global_store_short_d16_hi v[28:29], v30, off
	global_store_short_d16_hi v[28:29], v31, off offset:256
	global_store_short_d16_hi v[28:29], v26, off offset:512
	global_store_short_d16_hi v[28:29], v27, off offset:768
	v_pk_mul_f32 v[28:29], v[32:33], v[30:31]
	v_pk_mul_f32 v[26:27], v[34:35], v[26:27]
	v_mov_b32_e32 v25, 0
	v_perm_b32 v27, v27, v26, s37
	v_perm_b32 v26, v29, v28, s37
	ds_write_b64 v76, v[26:27]
	v_mov_b32_e32 v26, 0
	v_mov_b32_e32 v27, 0
	;; [unrolled: 1-line block ×8, first 2 shown]
	s_cbranch_vccnz .LBB587_14
; %bb.13:                               ;   in Loop: Header=BB587_6 Depth=1
	s_and_b32 s25, s25, 0xffff
	s_mov_b32 s27, s23
	buffer_load_dwordx4 v[30:33], v86, s[24:27], 0 offen
	buffer_load_dwordx4 v[22:25], v86, s[24:27], s62 offen
	;; [unrolled: 1-line block ×4, first 2 shown]
	v_mov_b32_e32 v101, v70
	v_mov_b32_e32 v102, v69
.LBB587_14:                             ;   in Loop: Header=BB587_6 Depth=1
	s_waitcnt lgkmcnt(0)
	s_barrier
	ds_read_b64 v[34:35], v89
	ds_read_b64 v[40:41], v90
	ds_read2st64_b64 v[36:39], v84 offset1:1
	ds_read2st64_b64 v[104:107], v84 offset0:2 offset1:3
	ds_read_b64 v[42:43], v91
	ds_read_b64 v[112:113], v92
	s_add_i32 s3, s58, s68
	s_mul_hi_i32 s21, s3, s13
	s_mul_i32 s3, s3, s13
	s_waitcnt lgkmcnt(3)
	v_mfma_f32_16x16x16_bf16 a[0:3], v[34:35], v[36:37], 0
	ds_read_b64 v[34:35], v94
	s_add_u32 s20, s3, s51
	s_addc_u32 s21, s21, s55
	s_add_i32 s3, s35, s64
	v_mfma_f32_16x16x16_bf16 a[0:3], v[40:41], v[38:39], a[0:3]
	ds_read_b64 v[40:41], v95
	s_lshl_b64 s[20:21], s[20:21], 15
	s_mul_hi_i32 s25, s3, s13
	s_mul_i32 s3, s3, s13
	s_add_u32 s24, s3, s51
	s_addc_u32 s25, s25, s55
	s_lshl_b64 s[24:25], s[24:25], 9
	s_add_u32 s24, s42, s24
	s_waitcnt lgkmcnt(1)
	v_mfma_f32_16x16x16_bf16 a[4:7], v[34:35], v[36:37], 0
	s_addc_u32 s25, s43, s25
	s_and_b64 vcc, exec, s[0:1]
	v_mfma_f32_16x16x16_bf16 a[0:3], v[42:43], v[104:105], a[0:3]
	ds_read_b64 v[42:43], v96
	ds_read_b64 v[114:115], v97
	global_load_dwordx4 v[34:37], v93, s[24:25]
	s_waitcnt lgkmcnt(2)
	v_mfma_f32_16x16x16_bf16 a[4:7], v[40:41], v[38:39], a[4:7]
	global_load_dwordx4 v[38:41], v88, s[24:25]
	ds_read_b64 v[108:109], v47
	ds_read_b64 v[110:111], v85
	s_waitcnt lgkmcnt(3)
	v_mfma_f32_16x16x16_bf16 a[8:11], v[42:43], v[104:105], a[4:7]
	v_lshl_add_u64 v[42:43], v[56:57], 0, s[20:21]
	s_waitcnt lgkmcnt(0)
	global_store_dwordx4 v[42:43], v[108:111], off
	v_mfma_f32_16x16x16_bf16 a[4:7], v[112:113], v[106:107], a[0:3]
	s_waitcnt vmcnt(2)
	v_mov_b32_e32 v44, v37
	v_mfma_f32_16x16x16_bf16 a[0:3], v[114:115], v[106:107], a[8:11]
	v_mov_b32_e32 v43, v36
	v_mov_b32_e32 v42, v35
	s_cbranch_vccnz .LBB587_16
; %bb.15:                               ;   in Loop: Header=BB587_6 Depth=1
	v_lshrrev_b32_e32 v35, 3, v101
	v_and_b32_e32 v35, 6, v35
	v_xor_b32_e32 v36, v35, v102
	v_lshlrev_b32_e32 v36, 2, v36
	v_and_b32_e32 v37, 8, v101
	v_xor_b32_e32 v101, 0x440, v36
	v_cmp_eq_u32_e32 vcc, 0, v37
	v_perm_b32 v37, v22, v18, s65
	s_nop 0
	v_cndmask_b32_e32 v36, v101, v36, vcc
	v_lshl_or_b32 v35, v35, 10, v36
	v_perm_b32 v36, v30, v26, s65
	s_barrier
	ds_write2st64_b32 v35, v36, v37 offset1:32
	v_xor_b32_e32 v36, 8, v35
	v_perm_b32 v26, v30, v26, s66
	v_perm_b32 v18, v22, v18, s66
	v_add_u32_e32 v22, 0x80, v36
	ds_write2st64_b32 v22, v26, v18 offset1:32
	v_xor_b32_e32 v18, 16, v35
	v_perm_b32 v22, v31, v27, s65
	v_perm_b32 v26, v23, v19, s65
	ds_write2st64_b32 v18, v22, v26 offset0:1 offset1:33
	v_xor_b32_e32 v18, 24, v35
	v_perm_b32 v22, v31, v27, s66
	v_perm_b32 v19, v23, v19, s66
	v_add_u32_e32 v18, 0x80, v18
	ds_write2st64_b32 v18, v22, v19 offset0:1 offset1:33
	v_xor_b32_e32 v18, 32, v35
	v_perm_b32 v19, v32, v28, s65
	v_perm_b32 v22, v24, v20, s65
	ds_write2st64_b32 v18, v19, v22 offset0:2 offset1:34
	v_xor_b32_e32 v18, 40, v35
	v_perm_b32 v19, v32, v28, s66
	v_perm_b32 v20, v24, v20, s66
	v_add_u32_e32 v18, 0x80, v18
	ds_write2st64_b32 v18, v19, v20 offset0:2 offset1:34
	;; [unrolled: 9-line block ×3, first 2 shown]
	ds_write_b64 v100, v[14:15] offset:16384
	v_xor_b32_e32 v14, 8, v100
	ds_write_b64 v14, v[16:17] offset:16384
	ds_write_b64 v100, v[10:11] offset:24576
	ds_write_b64 v14, v[12:13] offset:24576
	ds_write_b64 v99, v[6:7] offset:16384
	v_xor_b32_e32 v6, 8, v99
	ds_write_b64 v6, v[8:9] offset:16384
	ds_write_b64 v99, v[2:3] offset:24576
	;; [unrolled: 1-line block ×3, first 2 shown]
.LBB587_16:                             ;   in Loop: Header=BB587_6 Depth=1
	v_mul_f32_e32 v6, s2, v98
	v_exp_f32_e32 v10, v6
	s_waitcnt vmcnt(1)
	v_mul_f32_e32 v6, 0x3fb8aa3b, v38
	v_exp_f32_e32 v12, v6
	v_mul_f32_e32 v6, 0x3fb8aa3b, v39
	v_exp_f32_e32 v13, v6
	;; [unrolled: 2-line block ×4, first 2 shown]
	v_accvgpr_read_b32 v2, a4
	v_accvgpr_read_b32 v3, a5
	v_pk_mul_f32 v[12:13], v[10:11], v[12:13] op_sel_hi:[0,1]
	v_pk_fma_f32 v[50:51], v[50:51], v[12:13], v[2:3]
	v_pk_mul_f32 v[2:3], v[10:11], v[14:15] op_sel_hi:[0,1]
	v_mul_f32_e32 v11, 0x3fb8aa3b, v34
	v_exp_f32_e32 v12, v11
	v_mul_f32_e32 v11, 0x3fb8aa3b, v42
	v_exp_f32_e32 v13, v11
	;; [unrolled: 2-line block ×4, first 2 shown]
	v_accvgpr_read_b32 v4, a6
	v_accvgpr_read_b32 v5, a7
	;; [unrolled: 1-line block ×5, first 2 shown]
	v_pk_fma_f32 v[54:55], v[54:55], v[2:3], v[4:5]
	v_pk_mul_f32 v[2:3], v[10:11], v[12:13] op_sel_hi:[0,1]
	v_accvgpr_read_b32 v8, a2
	v_pk_fma_f32 v[48:49], v[48:49], v[2:3], v[6:7]
	v_pk_mul_f32 v[2:3], v[10:11], v[14:15] op_sel_hi:[0,1]
	s_add_i32 s64, s64, 64
	s_cmp_eq_u32 s54, s39
	v_pk_fma_f32 v[52:53], v[52:53], v[2:3], v[8:9]
	s_cbranch_scc1 .LBB587_18
; %bb.17:                               ;   in Loop: Header=BB587_6 Depth=1
	s_mov_b32 s68, s39
	s_branch .LBB587_6
.LBB587_18:
	s_lshl_b32 s26, s54, 6
	s_sub_i32 s27, s12, s26
	s_cmp_gt_i32 s27, 0
	s_cbranch_scc0 .LBB587_75
; %bb.19:
	s_ashr_i32 s2, s26, 31
	s_cmpk_lg_i32 s15, 0x80
	s_cselect_b64 s[22:23], -1, 0
	s_and_b64 vcc, exec, s[22:23]
	s_cbranch_vccz .LBB587_21
; %bb.20:
	s_mul_i32 s1, s53, s12
	s_mul_hi_i32 s0, s53, s12
	s_add_u32 s1, s1, s26
	s_addc_u32 s0, s0, s2
	s_mul_i32 s3, s1, s56
	s_mul_hi_u32 s17, s1, s14
	s_add_i32 s3, s17, s3
	s_mul_i32 s0, s0, s14
	s_add_i32 s3, s3, s0
	s_mul_i32 s1, s1, s14
	s_ashr_i32 s0, s57, 31
	s_add_u32 s24, s1, s57
	s_addc_u32 s25, s3, s0
	s_cbranch_execz .LBB587_22
	s_branch .LBB587_23
.LBB587_21:
                                        ; implicit-def: $sgpr24_sgpr25
.LBB587_22:
	s_mul_hi_i32 s0, s53, s14
	s_mul_i32 s53, s53, s14
	s_ashr_i32 s1, s57, 31
	s_add_u32 s3, s53, s57
	s_addc_u32 s0, s0, s1
	s_mul_i32 s1, s3, s52
	s_mul_hi_u32 s14, s3, s12
	s_add_i32 s1, s14, s1
	s_mul_i32 s0, s0, s12
	s_add_i32 s1, s1, s0
	s_mul_i32 s3, s3, s12
	s_add_u32 s24, s3, s26
	s_addc_u32 s25, s1, s2
.LBB587_23:
	s_mul_i32 s0, s40, s52
	s_add_i32 s0, s59, s0
	s_add_i32 s3, s58, s54
	;; [unrolled: 1-line block ×3, first 2 shown]
	s_add_u32 s0, s16, s26
	s_addc_u32 s1, s1, s2
	s_mov_b32 s2, 0x7060302
	v_lshlrev_b32_e32 v6, 3, v64
	s_lshl_b64 s[20:21], s[0:1], 8
	v_perm_b32 v3, v55, v54, s2
	v_perm_b32 v2, v51, v50, s2
	;; [unrolled: 1-line block ×4, first 2 shown]
	v_lshlrev_b32_e32 v34, 2, v64
	v_lshl_or_b32 v6, v67, 5, v6
	s_waitcnt lgkmcnt(0)
	s_add_u32 s0, s6, s20
	ds_write2st64_b64 v6, v[2:3], v[4:5] offset0:72 offset1:76
	v_xor_b32_e32 v6, v67, v34
	v_lshlrev_b32_e32 v7, 8, v64
	s_addc_u32 s1, s7, s21
	v_lshl_or_b32 v6, v6, 1, v7
	s_mul_hi_i32 s6, s3, s13
	s_mul_i32 s3, s3, s13
	ds_write_b64 v6, v[2:3] offset:32768
	v_xor_b32_e32 v2, v68, v34
	s_add_u32 s2, s3, s51
	v_lshl_or_b32 v2, v2, 1, v7
	s_addc_u32 s3, s6, s55
	v_lshlrev_b32_e32 v3, 1, v64
	ds_write_b64 v2, v[4:5] offset:32768
	v_lshrrev_b32_e32 v2, 4, v0
	s_ashr_i32 s39, s38, 31
	s_lshl_b64 s[2:3], s[2:3], 15
	v_or_b32_e32 v4, 1, v3
	s_add_u32 s6, s18, s2
	v_xor_b32_e32 v3, v2, v3
	v_xor_b32_e32 v4, v4, v2
	v_lshlrev_b32_e32 v6, 8, v2
	s_addc_u32 s7, s19, s3
	s_lshl_b64 s[2:3], s[38:39], 8
	v_lshl_or_b32 v2, v3, 3, v6
	v_lshl_or_b32 v4, v4, 3, v6
	s_waitcnt lgkmcnt(0)
	s_barrier
	s_add_u32 s2, s6, s2
	ds_read_b64 v[2:3], v2 offset:32768
	ds_read_b64 v[4:5], v4 offset:32768
	s_addc_u32 s3, s7, s3
	v_mov_b32_e32 v7, 0
	s_cmp_lg_u32 s27, 64
	v_lshl_add_u64 v[8:9], s[2:3], 0, v[6:7]
	v_lshlrev_b32_e32 v6, 4, v64
	s_cselect_b64 s[6:7], -1, 0
	v_lshl_or_b32 v35, v62, 3, v66
	s_mov_b32 s16, 0
	v_lshl_add_u64 v[6:7], v[8:9], 0, v[6:7]
	v_or_b32_e32 v19, 32, v35
	v_and_b32_e32 v18, 56, v65
	s_and_b64 vcc, exec, s[6:7]
	s_waitcnt lgkmcnt(0)
	global_store_dwordx4 v[6:7], v[2:5], off
	s_cbranch_vccz .LBB587_29
; %bb.24:
	s_mov_b32 s17, s16
	s_mov_b32 s18, s16
	s_mov_b32 s19, s16
	v_mov_b64_e32 v[6:7], s[16:17]
	v_mov_b64_e32 v[8:9], s[18:19]
	;; [unrolled: 1-line block ×3, first 2 shown]
	v_cmp_gt_i32_e32 vcc, s27, v35
	v_mov_b64_e32 v[4:5], v[8:9]
	s_and_saveexec_b64 s[2:3], vcc
	s_cbranch_execz .LBB587_26
; %bb.25:
	v_lshlrev_b32_e32 v2, 8, v35
	v_mov_b32_e32 v3, 0
	v_lshl_add_u64 v[4:5], s[0:1], 0, v[2:3]
	v_lshlrev_b32_e32 v2, 1, v18
	v_lshl_add_u64 v[10:11], v[4:5], 0, v[2:3]
	global_load_dwordx4 v[6:9], v[10:11], off
	global_load_dwordx4 v[2:5], v[10:11], off offset:128
.LBB587_26:
	s_or_b64 exec, exec, s[2:3]
	s_mov_b32 s17, s16
	s_mov_b32 s18, s16
	;; [unrolled: 1-line block ×3, first 2 shown]
	v_mov_b64_e32 v[14:15], s[16:17]
	v_mov_b64_e32 v[16:17], s[18:19]
	;; [unrolled: 1-line block ×3, first 2 shown]
	v_cmp_gt_i32_e32 vcc, s27, v19
	v_lshlrev_b32_e32 v20, 7, v19
	v_mov_b64_e32 v[12:13], v[16:17]
	s_and_saveexec_b64 s[2:3], vcc
	s_cbranch_execz .LBB587_28
; %bb.27:
	v_lshlrev_b32_e32 v10, 1, v20
	v_mov_b32_e32 v11, 0
	v_lshl_add_u64 v[12:13], s[0:1], 0, v[10:11]
	v_lshlrev_b32_e32 v10, 1, v18
	v_lshl_add_u64 v[22:23], v[12:13], 0, v[10:11]
	global_load_dwordx4 v[14:17], v[22:23], off
	global_load_dwordx4 v[10:13], v[22:23], off offset:128
.LBB587_28:
	s_or_b64 exec, exec, s[2:3]
	v_lshrrev_b32_e32 v21, 3, v18
	v_lshlrev_b32_e32 v22, 3, v35
	v_or_b32_e32 v21, v22, v21
	v_lshlrev_b32_e32 v21, 4, v21
	v_and_b32_e32 v22, 0x78, v22
	v_xor_b32_e32 v21, v21, v22
	s_branch .LBB587_31
.LBB587_29:
                                        ; implicit-def: $vgpr21
                                        ; implicit-def: $vgpr20
                                        ; implicit-def: $vgpr6_vgpr7_vgpr8_vgpr9
                                        ; implicit-def: $vgpr2_vgpr3_vgpr4_vgpr5
                                        ; implicit-def: $vgpr14_vgpr15_vgpr16_vgpr17
                                        ; implicit-def: $vgpr10_vgpr11_vgpr12_vgpr13
	s_cbranch_execz .LBB587_31
; %bb.30:
	s_waitcnt vmcnt(0)
	v_lshlrev_b32_e32 v2, 1, v18
	v_lshl_or_b32 v20, v35, 8, v2
	s_and_b32 s1, s1, 0xffff
	s_mov_b32 s3, 0x20000
	s_movk_i32 s2, 0x4000
	v_lshl_or_b32 v21, v19, 8, v2
	s_movk_i32 s13, 0x80
	buffer_load_dwordx4 v[6:9], v20, s[0:3], 0 offen
	buffer_load_dwordx4 v[2:5], v20, s[0:3], s13 offen
	;; [unrolled: 1-line block ×4, first 2 shown]
	v_lshrrev_b32_e32 v20, 3, v18
	v_lshlrev_b32_e32 v21, 3, v35
	v_or_b32_e32 v20, v21, v20
	v_lshlrev_b32_e32 v20, 4, v20
	v_and_b32_e32 v21, 0x78, v21
	v_xor_b32_e32 v21, v20, v21
	v_lshlrev_b32_e32 v20, 7, v19
.LBB587_31:
	s_lshl_b64 s[0:1], s[24:25], 8
	s_add_u32 s4, s4, s0
	s_movk_i32 s0, 0x1000
	v_and_or_b32 v19, v20, s0, v21
	s_waitcnt vmcnt(1)
	ds_write_b64 v21, v[6:7] offset:16384
	v_xor_b32_e32 v6, 8, v21
	ds_write_b64 v6, v[8:9] offset:16384
	s_waitcnt vmcnt(0)
	ds_write_b64 v21, v[2:3] offset:24576
	ds_write_b64 v6, v[4:5] offset:24576
	;; [unrolled: 1-line block ×3, first 2 shown]
	v_xor_b32_e32 v2, 8, v19
	ds_write_b64 v2, v[16:17] offset:16384
	ds_write_b64 v19, v[10:11] offset:24576
	;; [unrolled: 1-line block ×3, first 2 shown]
	v_or_b32_e32 v2, v1, v64
	s_addc_u32 s5, s5, s1
	s_add_i32 s0, s12, -1
	v_lshlrev_b32_e32 v2, 3, v2
	v_lshrrev_b32_e32 v4, 5, v45
	s_movk_i32 s12, 0xf8
	v_and_or_b32 v4, v2, s12, v4
	v_lshlrev_b32_e32 v3, 11, v62
	v_lshlrev_b32_e32 v12, 4, v4
	v_and_b32_e32 v13, 0x78, v2
	v_and_b32_e32 v14, 0x1000, v3
	v_lshlrev_b32_e32 v3, 2, v0
	v_xor_b32_e32 v2, v12, v13
	v_lshrrev_b32_e32 v4, 1, v45
	v_and_b32_e32 v3, 60, v3
	v_or_b32_e32 v2, v2, v14
	v_and_b32_e32 v15, 8, v4
	v_xor_b32_e32 v26, v2, v15
	v_lshl_or_b32 v2, v63, 6, v3
	v_lshlrev_b32_e32 v19, 1, v2
	v_or_b32_e32 v2, 32, v12
	v_xor_b32_e32 v2, v2, v13
	s_waitcnt lgkmcnt(0)
	s_barrier
	ds_read_b64 v[10:11], v26 offset:16384
	v_or_b32_e32 v2, v2, v14
	v_xor_b32_e32 v27, v2, v15
	v_or_b32_e32 v2, 64, v12
	v_xor_b32_e32 v2, v2, v13
	v_or_b32_e32 v2, v2, v14
	v_or_b32_e32 v12, 0x60, v12
	v_xor_b32_e32 v28, v2, v15
	ds_read2st64_b64 v[2:5], v19 offset0:72 offset1:73
	ds_read2st64_b64 v[6:9], v19 offset0:74 offset1:75
	v_xor_b32_e32 v16, v12, v13
	ds_read_b64 v[12:13], v27 offset:16384
	s_add_i32 s1, s46, s33
	s_waitcnt lgkmcnt(2)
	v_mfma_f32_16x16x16_bf16 a[0:3], v[10:11], v[2:3], 0
	s_add_i32 s37, s1, s50
	s_add_i32 s1, s48, s47
	;; [unrolled: 1-line block ×3, first 2 shown]
	s_ashr_i32 s1, s0, 31
	s_mul_i32 s2, s0, s31
	s_mul_hi_u32 s3, s0, s30
	s_add_i32 s2, s3, s2
	s_mul_i32 s1, s1, s30
	v_or_b32_e32 v14, v16, v14
	s_add_i32 s1, s2, s1
	s_lshl_b64 s[2:3], s[36:37], 2
	v_xor_b32_e32 v36, v14, v15
	ds_read_b64 v[14:15], v28 offset:16384
	ds_read_b64 v[16:17], v36 offset:16384
	s_waitcnt lgkmcnt(2)
	v_mfma_f32_16x16x16_bf16 a[0:3], v[12:13], v[4:5], a[0:3]
	s_add_u32 s10, s10, s2
	s_addc_u32 s11, s11, s3
	s_lshl_b64 s[2:3], s[34:35], 2
	s_mul_i32 s0, s0, s30
	s_add_u32 s10, s10, s2
	s_addc_u32 s11, s11, s3
	s_lshl_b64 s[0:1], s[0:1], 2
	s_waitcnt lgkmcnt(1)
	v_mfma_f32_16x16x16_bf16 a[0:3], v[14:15], v[6:7], a[0:3]
	s_add_u32 s0, s10, s0
	s_addc_u32 s1, s11, s1
	s_load_dword s12, s[0:1], 0x0
	s_waitcnt lgkmcnt(0)
	v_mfma_f32_16x16x16_bf16 a[0:3], v[16:17], v[8:9], a[0:3]
	s_and_b64 vcc, exec, s[22:23]
	s_cbranch_vccz .LBB587_42
; %bb.32:
	v_lshlrev_b32_e32 v20, 1, v35
	s_and_b64 vcc, exec, s[6:7]
	s_cbranch_vccz .LBB587_43
; %bb.33:
	v_cmp_gt_i32_e32 vcc, s27, v20
	v_mov_b32_e32 v6, 0
	v_mov_b32_e32 v2, 0
	;; [unrolled: 1-line block ×5, first 2 shown]
	s_and_saveexec_b64 s[0:1], vcc
	s_cbranch_execz .LBB587_35
; %bb.34:
	v_mad_i64_i32 v[2:3], s[2:3], s15, v20, 0
	v_lshl_add_u64 v[2:3], v[2:3], 1, s[4:5]
	v_lshlrev_b32_e32 v4, 1, v18
	v_mov_b32_e32 v5, 0
	v_lshl_add_u64 v[2:3], v[2:3], 0, v[4:5]
	global_load_dwordx4 v[2:5], v[2:3], off
.LBB587_35:
	s_or_b64 exec, exec, s[0:1]
	v_or_b32_e32 v21, 1, v20
	v_cmp_gt_i32_e64 s[0:1], s27, v21
	v_mov_b32_e32 v7, 0
	v_mov_b32_e32 v8, 0
	;; [unrolled: 1-line block ×3, first 2 shown]
	s_and_saveexec_b64 s[2:3], s[0:1]
	s_cbranch_execz .LBB587_37
; %bb.36:
	v_mad_i64_i32 v[6:7], s[16:17], s15, v21, 0
	v_lshl_add_u64 v[6:7], v[6:7], 1, s[4:5]
	v_lshlrev_b32_e32 v8, 1, v18
	v_mov_b32_e32 v9, 0
	v_lshl_add_u64 v[6:7], v[6:7], 0, v[8:9]
	global_load_dwordx4 v[6:9], v[6:7], off
.LBB587_37:
	s_or_b64 exec, exec, s[2:3]
	v_mov_b32_e32 v17, 0
	v_mov_b32_e32 v10, 0
	;; [unrolled: 1-line block ×5, first 2 shown]
	s_and_saveexec_b64 s[2:3], vcc
	s_cbranch_execz .LBB587_39
; %bb.38:
	v_mad_i64_i32 v[10:11], s[16:17], s15, v20, 0
	v_lshl_add_u64 v[10:11], v[10:11], 1, s[4:5]
	v_lshlrev_b32_e32 v12, 1, v18
	v_mov_b32_e32 v13, 0
	v_lshl_add_u64 v[10:11], v[10:11], 0, v[12:13]
	global_load_dwordx4 v[10:13], v[10:11], off offset:128
.LBB587_39:
	s_or_b64 exec, exec, s[2:3]
	v_mov_b32_e32 v16, 0
	v_mov_b32_e32 v15, 0
	;; [unrolled: 1-line block ×3, first 2 shown]
	s_and_saveexec_b64 s[2:3], s[0:1]
	s_cbranch_execz .LBB587_41
; %bb.40:
	v_mad_i64_i32 v[14:15], s[0:1], s15, v21, 0
	v_lshl_add_u64 v[14:15], v[14:15], 1, s[4:5]
	v_lshlrev_b32_e32 v16, 1, v18
	v_mov_b32_e32 v17, 0
	v_lshl_add_u64 v[14:15], v[14:15], 0, v[16:17]
	global_load_dwordx4 v[14:17], v[14:15], off offset:128
.LBB587_41:
	s_or_b64 exec, exec, s[2:3]
	s_branch .LBB587_45
.LBB587_42:
                                        ; implicit-def: $vgpr5
                                        ; implicit-def: $vgpr9
                                        ; implicit-def: $vgpr13
                                        ; implicit-def: $vgpr17
	v_lshrrev_b32_e32 v37, 2, v45
	s_branch .LBB587_46
.LBB587_43:
                                        ; implicit-def: $vgpr5
                                        ; implicit-def: $vgpr9
                                        ; implicit-def: $vgpr13
                                        ; implicit-def: $vgpr17
	s_cbranch_execz .LBB587_45
; %bb.44:
	s_waitcnt vmcnt(0)
	v_mad_u64_u32 v[2:3], s[0:1], v20, s15, v[18:19]
	v_lshlrev_b32_e32 v20, 1, v2
	s_lshl_b32 s2, s15, 7
	s_and_b32 s1, s5, 0xffff
	s_mov_b32 s3, 0x20000
	s_mov_b32 s0, s4
	v_add_lshl_u32 v21, v2, s15, 1
	s_movk_i32 s13, 0x80
	buffer_load_dwordx4 v[2:5], v20, s[0:3], 0 offen
	buffer_load_dwordx4 v[10:13], v20, s[0:3], s13 offen
	;; [unrolled: 1-line block ×4, first 2 shown]
.LBB587_45:
	v_lshrrev_b32_e32 v37, 2, v45
	s_cbranch_execnz .LBB587_58
.LBB587_46:
	s_and_b64 vcc, exec, s[6:7]
	s_cbranch_vccz .LBB587_56
; %bb.47:
	s_waitcnt vmcnt(0)
	v_lshlrev_b32_e32 v7, 1, v35
	v_cmp_gt_i32_e32 vcc, s27, v7
	v_mov_b32_e32 v6, 0
	v_lshlrev_b32_e32 v14, 9, v35
	v_mov_b32_e32 v2, 0
	v_mov_b32_e32 v3, 0
	;; [unrolled: 1-line block ×4, first 2 shown]
	s_and_saveexec_b64 s[0:1], vcc
	s_cbranch_execz .LBB587_49
; %bb.48:
	v_mov_b32_e32 v15, 0
	v_lshl_add_u64 v[2:3], s[4:5], 0, v[14:15]
	v_lshlrev_b32_e32 v4, 1, v18
	v_mov_b32_e32 v5, v15
	v_lshl_add_u64 v[2:3], v[2:3], 0, v[4:5]
	global_load_dwordx4 v[2:5], v[2:3], off
.LBB587_49:
	s_or_b64 exec, exec, s[0:1]
	v_or_b32_e32 v7, 1, v7
	v_cmp_gt_i32_e64 s[0:1], s27, v7
	v_lshlrev_b32_e32 v20, 8, v7
	v_mov_b32_e32 v7, 0
	v_mov_b32_e32 v8, 0
	;; [unrolled: 1-line block ×3, first 2 shown]
	s_and_saveexec_b64 s[2:3], s[0:1]
	s_cbranch_execz .LBB587_51
; %bb.50:
	v_mov_b32_e32 v21, 0
	v_lshl_add_u64 v[6:7], s[4:5], 0, v[20:21]
	v_lshlrev_b32_e32 v8, 1, v18
	v_mov_b32_e32 v9, v21
	v_lshl_add_u64 v[6:7], v[6:7], 0, v[8:9]
	global_load_dwordx4 v[6:9], v[6:7], off
.LBB587_51:
	s_or_b64 exec, exec, s[2:3]
	v_mov_b32_e32 v17, 0
	v_mov_b32_e32 v10, 0
	;; [unrolled: 1-line block ×5, first 2 shown]
	s_and_saveexec_b64 s[2:3], vcc
	s_cbranch_execz .LBB587_53
; %bb.52:
	v_mov_b32_e32 v15, 0
	v_lshl_add_u64 v[10:11], s[4:5], 0, v[14:15]
	v_lshlrev_b32_e32 v14, 1, v18
	v_lshl_add_u64 v[10:11], v[10:11], 0, v[14:15]
	global_load_dwordx4 v[10:13], v[10:11], off offset:128
.LBB587_53:
	s_or_b64 exec, exec, s[2:3]
	v_mov_b32_e32 v16, 0
	v_mov_b32_e32 v15, 0
	;; [unrolled: 1-line block ×3, first 2 shown]
	s_and_saveexec_b64 s[2:3], s[0:1]
	s_cbranch_execz .LBB587_55
; %bb.54:
	v_mov_b32_e32 v21, 0
	v_lshl_add_u64 v[14:15], s[4:5], 0, v[20:21]
	v_lshlrev_b32_e32 v20, 1, v18
	v_lshl_add_u64 v[14:15], v[14:15], 0, v[20:21]
	global_load_dwordx4 v[14:17], v[14:15], off offset:128
.LBB587_55:
	s_or_b64 exec, exec, s[2:3]
	s_branch .LBB587_58
.LBB587_56:
                                        ; implicit-def: $vgpr5
                                        ; implicit-def: $vgpr9
                                        ; implicit-def: $vgpr13
                                        ; implicit-def: $vgpr17
	s_cbranch_execz .LBB587_58
; %bb.57:
	s_waitcnt vmcnt(0)
	v_lshlrev_b32_e32 v2, 1, v18
	v_lshl_or_b32 v18, v35, 9, v2
	s_and_b32 s5, s5, 0xffff
	s_mov_b32 s7, 0x20000
	s_movk_i32 s6, 0x4000
	s_movk_i32 s0, 0x80
	buffer_load_dwordx4 v[2:5], v18, s[4:7], 0 offen
	buffer_load_dwordx4 v[6:9], v18, s[4:7], 0 offen offset:256
	buffer_load_dwordx4 v[10:13], v18, s[4:7], s0 offen
	buffer_load_dwordx4 v[14:17], v18, s[4:7], s0 offen offset:256
.LBB587_58:
	ds_read2st64_b64 v[22:25], v19 offset0:76 offset1:77
	ds_read2st64_b64 v[18:21], v19 offset0:78 offset1:79
	ds_read_b64 v[32:33], v26 offset:24576
	ds_read_b64 v[30:31], v27 offset:24576
	;; [unrolled: 1-line block ×4, first 2 shown]
	v_and_b32_e32 v36, 6, v0
	v_xor_b32_e32 v35, v35, v36
	v_lshlrev_b32_e32 v35, 2, v35
	v_and_b32_e32 v0, 1, v0
	v_xor_b32_e32 v38, 0x440, v35
	v_cmp_eq_u32_e32 vcc, 0, v0
	s_mov_b32 s0, 0x1000504
	s_mov_b32 s1, 0x3020706
	v_cndmask_b32_e32 v0, v38, v35, vcc
	v_lshl_or_b32 v0, v36, 10, v0
	s_waitcnt vmcnt(0)
	v_perm_b32 v35, v2, v6, s0
	v_perm_b32 v36, v10, v14, s0
	ds_write2st64_b32 v0, v35, v36 offset1:32
	v_xor_b32_e32 v35, 8, v0
	v_perm_b32 v2, v2, v6, s1
	v_perm_b32 v6, v10, v14, s1
	v_add_u32_e32 v10, 0x80, v35
	ds_write2st64_b32 v10, v2, v6 offset1:32
	v_xor_b32_e32 v2, 16, v0
	v_perm_b32 v6, v3, v7, s0
	v_perm_b32 v10, v11, v15, s0
	ds_write2st64_b32 v2, v6, v10 offset0:1 offset1:33
	v_xor_b32_e32 v2, 24, v0
	v_perm_b32 v3, v3, v7, s1
	v_perm_b32 v6, v11, v15, s1
	v_add_u32_e32 v2, 0x80, v2
	ds_write2st64_b32 v2, v3, v6 offset0:1 offset1:33
	v_xor_b32_e32 v2, 32, v0
	v_perm_b32 v3, v4, v8, s0
	v_perm_b32 v6, v12, v16, s0
	ds_write2st64_b32 v2, v3, v6 offset0:2 offset1:34
	v_xor_b32_e32 v2, 40, v0
	v_perm_b32 v3, v4, v8, s1
	v_perm_b32 v4, v12, v16, s1
	v_add_u32_e32 v2, 0x80, v2
	ds_write2st64_b32 v2, v3, v4 offset0:2 offset1:34
	v_xor_b32_e32 v2, 48, v0
	v_perm_b32 v3, v5, v9, s0
	v_perm_b32 v4, v13, v17, s0
	v_xor_b32_e32 v0, 56, v0
	v_and_or_b32 v8, v37, 12, v1
	ds_write2st64_b32 v2, v3, v4 offset0:3 offset1:35
	v_perm_b32 v2, v5, v9, s1
	v_perm_b32 v3, v13, v17, s1
	v_add_u32_e32 v0, 0x80, v0
	v_cmp_gt_i32_e32 vcc, s27, v8
	v_mov_b32_e32 v9, 0
	v_mov_b32_e32 v14, 0
	ds_write2st64_b32 v0, v2, v3 offset0:3 offset1:35
	s_and_saveexec_b64 s[0:1], vcc
	s_cbranch_execz .LBB587_60
; %bb.59:
	v_add_u32_e32 v0, s26, v8
	v_ashrrev_i32_e32 v1, 31, v0
	v_mul_lo_u32 v2, v1, s30
	v_mul_lo_u32 v3, v0, s31
	v_mad_u64_u32 v[0:1], s[2:3], v0, s30, 0
	v_add3_u32 v1, v1, v3, v2
	v_lshl_add_u64 v[0:1], v[0:1], 2, s[10:11]
	global_load_dword v0, v[0:1], off
	s_waitcnt vmcnt(0)
	v_sub_f32_e32 v0, s12, v0
	v_mul_f32_e32 v0, 0x3fb8aa3b, v0
	v_exp_f32_e32 v14, v0
.LBB587_60:
	s_or_b64 exec, exec, s[0:1]
	v_or_b32_e32 v12, 1, v8
	v_cmp_gt_i32_e64 s[2:3], s27, v12
	s_and_saveexec_b64 s[0:1], s[2:3]
	s_cbranch_execz .LBB587_62
; %bb.61:
	v_add_u32_e32 v0, s26, v12
	v_ashrrev_i32_e32 v1, 31, v0
	v_mul_lo_u32 v2, v1, s30
	v_mul_lo_u32 v3, v0, s31
	v_mad_u64_u32 v[0:1], s[4:5], v0, s30, 0
	v_add3_u32 v1, v1, v3, v2
	v_lshl_add_u64 v[0:1], v[0:1], 2, s[10:11]
	global_load_dword v0, v[0:1], off
	s_waitcnt vmcnt(0)
	v_sub_f32_e32 v0, s12, v0
	v_mul_f32_e32 v0, 0x3fb8aa3b, v0
	v_exp_f32_e32 v9, v0
.LBB587_62:
	s_or_b64 exec, exec, s[0:1]
	v_or_b32_e32 v11, 2, v8
	v_cmp_gt_i32_e64 s[0:1], s27, v11
	v_mov_b32_e32 v10, 0
	v_mov_b32_e32 v15, 0
	s_and_saveexec_b64 s[4:5], s[0:1]
	s_cbranch_execz .LBB587_64
; %bb.63:
	v_add_u32_e32 v0, s26, v11
	v_ashrrev_i32_e32 v1, 31, v0
	v_mul_lo_u32 v2, v1, s30
	v_mul_lo_u32 v3, v0, s31
	v_mad_u64_u32 v[0:1], s[6:7], v0, s30, 0
	v_add3_u32 v1, v1, v3, v2
	v_lshl_add_u64 v[0:1], v[0:1], 2, s[10:11]
	global_load_dword v0, v[0:1], off
	s_waitcnt vmcnt(0)
	v_sub_f32_e32 v0, s12, v0
	v_mul_f32_e32 v0, 0x3fb8aa3b, v0
	v_exp_f32_e32 v15, v0
.LBB587_64:
	s_or_b64 exec, exec, s[4:5]
	v_or_b32_e32 v13, 3, v8
	v_cmp_gt_i32_e64 s[4:5], s27, v13
	s_and_saveexec_b64 s[6:7], s[4:5]
	s_cbranch_execz .LBB587_66
; %bb.65:
	v_add_u32_e32 v0, s26, v13
	v_ashrrev_i32_e32 v1, 31, v0
	v_mul_lo_u32 v2, v1, s30
	v_mul_lo_u32 v3, v0, s31
	v_mad_u64_u32 v[0:1], s[14:15], v0, s30, 0
	v_add3_u32 v1, v1, v3, v2
	v_lshl_add_u64 v[0:1], v[0:1], 2, s[10:11]
	global_load_dword v0, v[0:1], off
	s_waitcnt vmcnt(0)
	v_sub_f32_e32 v0, s12, v0
	v_mul_f32_e32 v0, 0x3fb8aa3b, v0
	v_exp_f32_e32 v10, v0
.LBB587_66:
	s_or_b64 exec, exec, s[6:7]
	s_waitcnt lgkmcnt(11)
	v_mfma_f32_16x16x16_bf16 a[0:3], v[32:33], v[22:23], a[0:3]
	s_add_u32 s6, s8, s20
	v_ashrrev_i32_e32 v47, 31, v46
	s_addc_u32 s7, s9, s21
	s_waitcnt lgkmcnt(10)
	v_mfma_f32_16x16x16_bf16 a[0:3], v[30:31], v[24:25], a[0:3]
	v_lshlrev_b64 v[0:1], 1, v[46:47]
	v_lshl_add_u64 v[4:5], s[6:7], 0, v[0:1]
	s_add_u32 s6, s28, s20
	s_waitcnt lgkmcnt(9)
	v_mfma_f32_16x16x16_bf16 a[0:3], v[28:29], v[18:19], a[0:3]
	s_addc_u32 s7, s29, s21
	v_lshl_add_u64 v[6:7], s[6:7], 0, v[0:1]
	v_mov_b32_e32 v16, 0
	s_waitcnt lgkmcnt(8)
	v_mfma_f32_16x16x16_bf16 a[0:3], v[26:27], v[20:21], a[0:3]
	v_mov_b32_e32 v17, 0
	s_nop 5
	v_accvgpr_read_b32 v0, a0
	v_accvgpr_read_b32 v1, a1
	;; [unrolled: 1-line block ×4, first 2 shown]
	s_and_saveexec_b64 s[6:7], vcc
	s_cbranch_execz .LBB587_68
; %bb.67:
	v_lshlrev_b32_e32 v18, 8, v8
	v_mov_b32_e32 v19, 0
	v_lshl_add_u64 v[20:21], v[4:5], 0, v[18:19]
	global_load_ushort v17, v[20:21], off
	v_lshl_add_u64 v[18:19], v[6:7], 0, v[18:19]
	s_waitcnt vmcnt(0)
	v_lshlrev_b32_e32 v17, 16, v17
	v_sub_f32_e32 v0, v17, v0
	global_store_short_d16_hi v[18:19], v0, off
	v_mul_f32_e32 v0, v14, v0
	v_lshrrev_b32_e32 v17, 16, v0
.LBB587_68:
	s_or_b64 exec, exec, s[6:7]
	s_and_saveexec_b64 s[6:7], s[2:3]
	s_cbranch_execz .LBB587_70
; %bb.69:
	v_lshlrev_b32_e32 v18, 8, v12
	v_mov_b32_e32 v19, 0
	v_lshl_add_u64 v[20:21], v[4:5], 0, v[18:19]
	global_load_ushort v0, v[20:21], off
	v_lshl_add_u64 v[18:19], v[6:7], 0, v[18:19]
	s_waitcnt vmcnt(0)
	v_lshlrev_b32_e32 v0, 16, v0
	v_sub_f32_e32 v0, v0, v1
	global_store_short_d16_hi v[18:19], v0, off
	v_mul_f32_e32 v0, v9, v0
	v_lshrrev_b32_e32 v16, 16, v0
.LBB587_70:
	s_or_b64 exec, exec, s[6:7]
	v_mov_b32_e32 v0, 0
	v_mov_b32_e32 v1, 0
	s_and_saveexec_b64 s[2:3], s[0:1]
	s_cbranch_execz .LBB587_72
; %bb.71:
	v_lshlrev_b32_e32 v18, 8, v11
	v_mov_b32_e32 v19, 0
	v_lshl_add_u64 v[20:21], v[4:5], 0, v[18:19]
	global_load_ushort v1, v[20:21], off
	v_lshl_add_u64 v[18:19], v[6:7], 0, v[18:19]
	s_waitcnt vmcnt(0)
	v_lshlrev_b32_e32 v1, 16, v1
	v_sub_f32_e32 v1, v1, v2
	global_store_short_d16_hi v[18:19], v1, off
	v_mul_f32_e32 v1, v15, v1
	v_lshrrev_b32_e32 v1, 16, v1
.LBB587_72:
	s_or_b64 exec, exec, s[2:3]
	s_and_saveexec_b64 s[0:1], s[4:5]
	s_cbranch_execz .LBB587_74
; %bb.73:
	v_lshlrev_b32_e32 v12, 8, v13
	v_mov_b32_e32 v13, 0
	v_lshl_add_u64 v[4:5], v[4:5], 0, v[12:13]
	global_load_ushort v0, v[4:5], off
	v_lshl_add_u64 v[4:5], v[6:7], 0, v[12:13]
	s_waitcnt vmcnt(0)
	v_lshlrev_b32_e32 v0, 16, v0
	v_sub_f32_e32 v0, v0, v3
	global_store_short_d16_hi v[4:5], v0, off
	v_mul_f32_e32 v0, v10, v0
	v_lshrrev_b32_e32 v0, 16, v0
.LBB587_74:
	s_or_b64 exec, exec, s[0:1]
	s_mov_b32 s0, 0x5040100
	v_lshlrev_b32_e32 v2, 1, v34
	v_perm_b32 v1, v0, v1, s0
	v_perm_b32 v0, v16, v17, s0
	v_lshl_or_b32 v2, v8, 5, v2
	ds_write_b64 v2, v[0:1] offset:38912
	s_waitcnt lgkmcnt(0)
	s_barrier
.LBB587_75:
	s_endpgm
	.section	.rodata,"a",@progbits
	.p2align	6, 0x0
	.amdhsa_kernel _ZN12_GLOBAL__N_139chunk_gated_delta_rule_fwd_h_hip_kernelILi16ELb1ELb0ELb1ELb0ELb0ELb1ELb1ELb1EEEvPK12hip_bfloat16S3_S3_PKfS5_PKvPS1_S8_PvPKiSB_iiiiilll
		.amdhsa_group_segment_fixed_size 40960
		.amdhsa_private_segment_fixed_size 0
		.amdhsa_kernarg_size 136
		.amdhsa_user_sgpr_count 2
		.amdhsa_user_sgpr_dispatch_ptr 0
		.amdhsa_user_sgpr_queue_ptr 0
		.amdhsa_user_sgpr_kernarg_segment_ptr 1
		.amdhsa_user_sgpr_dispatch_id 0
		.amdhsa_user_sgpr_kernarg_preload_length 0
		.amdhsa_user_sgpr_kernarg_preload_offset 0
		.amdhsa_user_sgpr_private_segment_size 0
		.amdhsa_uses_dynamic_stack 0
		.amdhsa_enable_private_segment 0
		.amdhsa_system_sgpr_workgroup_id_x 1
		.amdhsa_system_sgpr_workgroup_id_y 1
		.amdhsa_system_sgpr_workgroup_id_z 0
		.amdhsa_system_sgpr_workgroup_info 0
		.amdhsa_system_vgpr_workitem_id 0
		.amdhsa_next_free_vgpr 128
		.amdhsa_next_free_sgpr 72
		.amdhsa_accum_offset 116
		.amdhsa_reserve_vcc 1
		.amdhsa_float_round_mode_32 0
		.amdhsa_float_round_mode_16_64 0
		.amdhsa_float_denorm_mode_32 3
		.amdhsa_float_denorm_mode_16_64 3
		.amdhsa_dx10_clamp 1
		.amdhsa_ieee_mode 1
		.amdhsa_fp16_overflow 0
		.amdhsa_tg_split 0
		.amdhsa_exception_fp_ieee_invalid_op 0
		.amdhsa_exception_fp_denorm_src 0
		.amdhsa_exception_fp_ieee_div_zero 0
		.amdhsa_exception_fp_ieee_overflow 0
		.amdhsa_exception_fp_ieee_underflow 0
		.amdhsa_exception_fp_ieee_inexact 0
		.amdhsa_exception_int_div_zero 0
	.end_amdhsa_kernel
	.section	.text._ZN12_GLOBAL__N_139chunk_gated_delta_rule_fwd_h_hip_kernelILi16ELb1ELb0ELb1ELb0ELb0ELb1ELb1ELb1EEEvPK12hip_bfloat16S3_S3_PKfS5_PKvPS1_S8_PvPKiSB_iiiiilll,"axG",@progbits,_ZN12_GLOBAL__N_139chunk_gated_delta_rule_fwd_h_hip_kernelILi16ELb1ELb0ELb1ELb0ELb0ELb1ELb1ELb1EEEvPK12hip_bfloat16S3_S3_PKfS5_PKvPS1_S8_PvPKiSB_iiiiilll,comdat
.Lfunc_end587:
	.size	_ZN12_GLOBAL__N_139chunk_gated_delta_rule_fwd_h_hip_kernelILi16ELb1ELb0ELb1ELb0ELb0ELb1ELb1ELb1EEEvPK12hip_bfloat16S3_S3_PKfS5_PKvPS1_S8_PvPKiSB_iiiiilll, .Lfunc_end587-_ZN12_GLOBAL__N_139chunk_gated_delta_rule_fwd_h_hip_kernelILi16ELb1ELb0ELb1ELb0ELb0ELb1ELb1ELb1EEEvPK12hip_bfloat16S3_S3_PKfS5_PKvPS1_S8_PvPKiSB_iiiiilll
                                        ; -- End function
	.section	.AMDGPU.csdata,"",@progbits
; Kernel info:
; codeLenInByte = 7620
; NumSgprs: 78
; NumVgprs: 116
; NumAgprs: 12
; TotalNumVgprs: 128
; ScratchSize: 0
; MemoryBound: 0
; FloatMode: 240
; IeeeMode: 1
; LDSByteSize: 40960 bytes/workgroup (compile time only)
; SGPRBlocks: 9
; VGPRBlocks: 15
; NumSGPRsForWavesPerEU: 78
; NumVGPRsForWavesPerEU: 128
; AccumOffset: 116
; Occupancy: 1
; WaveLimiterHint : 1
; COMPUTE_PGM_RSRC2:SCRATCH_EN: 0
; COMPUTE_PGM_RSRC2:USER_SGPR: 2
; COMPUTE_PGM_RSRC2:TRAP_HANDLER: 0
; COMPUTE_PGM_RSRC2:TGID_X_EN: 1
; COMPUTE_PGM_RSRC2:TGID_Y_EN: 1
; COMPUTE_PGM_RSRC2:TGID_Z_EN: 0
; COMPUTE_PGM_RSRC2:TIDIG_COMP_CNT: 0
; COMPUTE_PGM_RSRC3_GFX90A:ACCUM_OFFSET: 28
; COMPUTE_PGM_RSRC3_GFX90A:TG_SPLIT: 0
	.section	.text._ZN12_GLOBAL__N_139chunk_gated_delta_rule_fwd_h_hip_kernelILi16ELb1ELb0ELb0ELb0ELb0ELb1ELb1ELb1EEEvPK12hip_bfloat16S3_S3_PKfS5_PKvPS1_S8_PvPKiSB_iiiiilll,"axG",@progbits,_ZN12_GLOBAL__N_139chunk_gated_delta_rule_fwd_h_hip_kernelILi16ELb1ELb0ELb0ELb0ELb0ELb1ELb1ELb1EEEvPK12hip_bfloat16S3_S3_PKfS5_PKvPS1_S8_PvPKiSB_iiiiilll,comdat
	.globl	_ZN12_GLOBAL__N_139chunk_gated_delta_rule_fwd_h_hip_kernelILi16ELb1ELb0ELb0ELb0ELb0ELb1ELb1ELb1EEEvPK12hip_bfloat16S3_S3_PKfS5_PKvPS1_S8_PvPKiSB_iiiiilll ; -- Begin function _ZN12_GLOBAL__N_139chunk_gated_delta_rule_fwd_h_hip_kernelILi16ELb1ELb0ELb0ELb0ELb0ELb1ELb1ELb1EEEvPK12hip_bfloat16S3_S3_PKfS5_PKvPS1_S8_PvPKiSB_iiiiilll
	.p2align	8
	.type	_ZN12_GLOBAL__N_139chunk_gated_delta_rule_fwd_h_hip_kernelILi16ELb1ELb0ELb0ELb0ELb0ELb1ELb1ELb1EEEvPK12hip_bfloat16S3_S3_PKfS5_PKvPS1_S8_PvPKiSB_iiiiilll,@function
_ZN12_GLOBAL__N_139chunk_gated_delta_rule_fwd_h_hip_kernelILi16ELb1ELb0ELb0ELb0ELb0ELb1ELb1ELb1EEEvPK12hip_bfloat16S3_S3_PKfS5_PKvPS1_S8_PvPKiSB_iiiiilll: ; @_ZN12_GLOBAL__N_139chunk_gated_delta_rule_fwd_h_hip_kernelILi16ELb1ELb0ELb0ELb0ELb0ELb1ELb1ELb1EEEvPK12hip_bfloat16S3_S3_PKfS5_PKvPS1_S8_PvPKiSB_iiiiilll
; %bb.0:
	s_load_dwordx4 s[12:15], s[0:1], 0x5c
	s_load_dwordx4 s[16:19], s[0:1], 0x28
	s_abs_i32 s6, s3
	s_ashr_i32 s5, s3, 31
	v_and_b32_e32 v62, 15, v0
	s_waitcnt lgkmcnt(0)
	s_abs_i32 s4, s13
	v_cvt_f32_u32_e32 v1, s4
	s_sub_i32 s8, 0, s4
	s_ashr_i32 s7, s13, 31
	s_xor_b32 s5, s5, s7
	v_rcp_iflag_f32_e32 v1, v1
	v_lshrrev_b32_e32 v60, 6, v0
	v_bfe_u32 v61, v0, 4, 2
	v_mov_b32_e32 v5, 0
	v_mul_f32_e32 v1, 0x4f7ffffe, v1
	v_cvt_u32_f32_e32 v1, v1
	v_and_b32_e32 v45, 63, v0
	v_lshlrev_b32_e32 v63, 3, v0
	v_lshrrev_b32_e32 v64, 3, v45
	v_readfirstlane_b32 s9, v1
	s_mul_i32 s8, s8, s9
	s_mul_hi_u32 s8, s9, s8
	s_add_i32 s9, s9, s8
	s_mul_hi_u32 s8, s6, s9
	s_mul_i32 s9, s8, s4
	s_sub_i32 s6, s6, s9
	s_add_i32 s10, s8, 1
	s_sub_i32 s9, s6, s4
	s_cmp_ge_u32 s6, s4
	s_cselect_b32 s8, s10, s8
	s_cselect_b32 s6, s9, s6
	s_add_i32 s9, s8, 1
	s_cmp_ge_u32 s6, s4
	s_cselect_b32 s6, s9, s8
	s_xor_b32 s6, s6, s5
	s_sub_i32 s51, s6, s5
	s_mul_i32 s6, s51, s13
	s_sub_i32 s49, s3, s6
	s_abs_i32 s3, s14
	v_cvt_f32_u32_e32 v1, s3
	s_add_i32 s8, s12, 63
	s_ashr_i32 s9, s8, 31
	s_lshr_b32 s5, s9, 26
	v_rcp_iflag_f32_e32 v1, v1
	s_ashr_i32 s50, s12, 31
	s_add_i32 s8, s8, s5
	s_lshr_b32 s5, s50, 26
	v_mul_f32_e32 v1, 0x4f7ffffe, v1
	v_cvt_u32_f32_e32 v1, v1
	s_add_i32 s5, s12, s5
	s_ashr_i32 s54, s14, 31
	s_ashr_i32 s52, s5, 6
	s_lshl_b32 s36, s2, 4
	s_xor_b32 s2, s7, s54
	s_sub_i32 s5, 0, s3
	v_readfirstlane_b32 s7, v1
	s_mul_i32 s5, s5, s7
	s_mul_hi_u32 s5, s7, s5
	s_add_i32 s7, s7, s5
	s_mul_hi_u32 s5, s4, s7
	s_mul_i32 s7, s5, s3
	s_sub_i32 s4, s4, s7
	s_ashr_i32 s25, s8, 6
	s_add_i32 s7, s5, 1
	s_sub_i32 s8, s4, s3
	s_cmp_ge_u32 s4, s3
	s_cselect_b32 s5, s7, s5
	s_cselect_b32 s4, s8, s4
	s_add_i32 s7, s5, 1
	s_cmp_ge_u32 s4, s3
	s_cselect_b32 s3, s7, s5
	s_xor_b32 s3, s3, s2
	s_sub_i32 s2, s3, s2
	s_abs_i32 s3, s2
	v_cvt_f32_u32_e32 v1, s3
	s_sub_i32 s5, 0, s3
	s_abs_i32 s4, s49
	s_xor_b32 s2, s49, s2
	v_rcp_iflag_f32_e32 v1, v1
	s_ashr_i32 s2, s2, 31
	v_or_b32_e32 v46, s36, v62
	v_lshlrev_b32_e32 v2, 7, v46
	v_mul_f32_e32 v1, 0x4f7ffffe, v1
	v_cvt_u32_f32_e32 v1, v1
	v_ashrrev_i32_e32 v3, 31, v2
	s_mul_i32 s56, s51, s25
	v_readfirstlane_b32 s7, v1
	s_mul_i32 s5, s5, s7
	s_mul_hi_u32 s5, s7, s5
	s_add_i32 s7, s7, s5
	s_mul_hi_u32 s5, s4, s7
	s_mul_i32 s7, s5, s3
	s_sub_i32 s4, s4, s7
	s_add_i32 s7, s5, 1
	s_sub_i32 s8, s4, s3
	s_cmp_ge_u32 s4, s3
	s_cselect_b32 s5, s7, s5
	s_cselect_b32 s4, s8, s4
	s_add_i32 s7, s5, 1
	s_cmp_ge_u32 s4, s3
	s_cselect_b32 s3, s7, s5
	s_xor_b32 s3, s3, s2
	s_sub_i32 s55, s3, s2
	s_ashr_i32 s24, s51, 31
	s_ashr_i32 s53, s49, 31
	s_mul_hi_i32 s2, s51, s13
	s_add_u32 s38, s6, s49
	s_addc_u32 s39, s2, s53
	s_lshl_b64 s[2:3], s[38:39], 15
	v_lshlrev_b32_e32 v1, 4, v60
	s_add_u32 s2, s16, s2
	v_lshl_or_b32 v65, v61, 2, v1
	s_addc_u32 s3, s17, s3
	v_lshl_add_u64 v[2:3], v[2:3], 1, s[2:3]
	v_lshlrev_b32_e32 v4, 1, v65
	v_lshl_add_u64 v[2:3], v[2:3], 0, v[4:5]
	global_load_dwordx2 v[4:5], v[2:3], off
	global_load_dwordx2 v[6:7], v[2:3], off offset:128
	s_load_dwordx8 s[4:11], s[0:1], 0x0
	s_load_dwordx2 s[28:29], s[0:1], 0x80
	s_load_dwordx4 s[20:23], s[0:1], 0x70
	v_or_b32_e32 v66, 64, v65
	s_mul_hi_u32 s57, s38, s12
	s_mul_i32 s16, s38, s12
	s_mul_i32 s39, s39, s12
	s_waitcnt lgkmcnt(0)
	s_mul_i32 s33, s51, s21
	s_mul_hi_u32 s44, s51, s20
	s_mul_i32 s34, s51, s20
	s_mul_i32 s45, s49, s23
	s_mul_hi_u32 s46, s49, s22
	s_mul_i32 s48, s24, s20
	s_mul_i32 s47, s53, s22
	s_cmp_lt_i32 s12, 64
	s_mul_i32 s30, s49, s22
	s_waitcnt vmcnt(1)
	v_and_b32_e32 v51, 0xffff0000, v4
	v_lshlrev_b32_e32 v50, 16, v4
	v_and_b32_e32 v55, 0xffff0000, v5
	v_lshlrev_b32_e32 v54, 16, v5
	s_waitcnt vmcnt(0)
	v_and_b32_e32 v49, 0xffff0000, v6
	v_lshlrev_b32_e32 v48, 16, v6
	v_and_b32_e32 v53, 0xffff0000, v7
	v_lshlrev_b32_e32 v52, 16, v7
	s_cbranch_scc1 .LBB588_18
; %bb.1:
	s_add_i32 s17, s57, s39
	s_lshl_b64 s[2:3], s[16:17], 8
	v_and_b32_e32 v68, 56, v63
	s_add_u32 s20, s6, s2
	v_lshl_or_b32 v67, v60, 3, v64
	v_lshlrev_b32_e32 v2, 1, v68
	s_addc_u32 s2, s7, s3
	v_lshl_or_b32 v69, v67, 8, v2
	s_and_b32 s21, s2, 0xffff
	s_mov_b32 s23, 0x20000
	s_movk_i32 s22, 0x4000
	s_movk_i32 s2, 0x80
	v_or_b32_e32 v70, 0x2000, v69
	buffer_load_dwordx4 v[4:7], v69, s[20:23], 0 offen
	buffer_load_dwordx4 v[8:11], v69, s[20:23], s2 offen
	;; [unrolled: 1-line block ×4, first 2 shown]
	v_lshlrev_b32_e32 v3, 3, v67
	v_and_or_b32 v21, v0, 7, v3
	v_and_b32_e32 v3, 0x78, v3
	v_lshlrev_b32_e32 v21, 4, v21
	v_xor_b32_e32 v71, v21, v3
	v_mul_lo_u32 v20, v67, s15
	v_or_b32_e32 v72, 0x1000, v71
	v_xor_b32_e32 v3, 8, v71
	s_cmpk_eq_i32 s15, 0x80
	s_mov_b32 s58, s14
	v_xor_b32_e32 v21, 8, v72
	s_cselect_b64 s[2:3], -1, 0
	s_cmpk_lg_i32 s15, 0x80
	s_waitcnt vmcnt(3)
	ds_write_b64 v71, v[4:5] offset:16384
	ds_write_b64 v3, v[6:7] offset:16384
	s_waitcnt vmcnt(2)
	ds_write_b64 v71, v[8:9] offset:24576
	ds_write_b64 v3, v[10:11] offset:24576
	;; [unrolled: 3-line block ×4, first 2 shown]
	v_lshl_add_u32 v3, v20, 1, v68
	s_cbranch_scc0 .LBB588_3
; %bb.2:
	v_lshlrev_b32_e32 v5, 1, v3
	v_add_lshl_u32 v4, v3, s15, 1
	s_lshl_b32 s22, s15, 7
	s_load_dwordx2 s[40:41], s[0:1], 0x20
	v_lshl_or_b32 v2, v67, 9, v2
	s_cbranch_execz .LBB588_4
	s_branch .LBB588_5
.LBB588_3:
                                        ; implicit-def: $vgpr4
                                        ; implicit-def: $vgpr5
                                        ; implicit-def: $sgpr22
	s_load_dwordx2 s[40:41], s[0:1], 0x20
	v_lshl_or_b32 v2, v67, 9, v2
.LBB588_4:
	v_or_b32_e32 v4, 0x100, v2
	s_movk_i32 s22, 0x4000
	v_mov_b32_e32 v5, v2
.LBB588_5:
	s_mul_hi_u32 s0, s14, s12
	s_mul_i32 s1, s54, s12
	s_add_i32 s0, s0, s1
	s_mul_i32 s1, s14, s12
	s_mul_i32 s20, s1, s24
	s_mul_hi_u32 s21, s1, s51
	s_add_i32 s20, s21, s20
	s_mul_i32 s0, s0, s51
	s_add_i32 s20, s20, s0
	s_mul_i32 s1, s1, s51
	s_ashr_i32 s59, s55, 31
	s_add_u32 s0, s1, s55
	s_addc_u32 s1, s20, s59
	s_lshl_b64 s[0:1], s[0:1], 8
	s_add_u32 s20, s4, s0
	s_addc_u32 s0, s5, s1
	s_and_b32 s21, s0, 0xffff
	s_movk_i32 s60, 0x80
	buffer_load_dwordx4 v[6:9], v5, s[20:23], 0 offen
	buffer_load_dwordx4 v[10:13], v5, s[20:23], s60 offen
	;; [unrolled: 1-line block ×4, first 2 shown]
	v_and_b32_e32 v4, 6, v0
	v_lshlrev_b32_e32 v22, 2, v62
	v_lshlrev_b32_e32 v23, 3, v62
	v_xor_b32_e32 v25, v67, v4
	v_and_b32_e32 v5, 1, v0
	s_mul_i32 s24, s24, s12
	s_mul_hi_u32 s0, s51, s12
	v_lshl_or_b32 v23, v65, 5, v23
	v_xor_b32_e32 v26, v65, v22
	v_lshlrev_b32_e32 v25, 2, v25
	v_or_b32_e32 v73, 0x9000, v23
	v_or_b32_e32 v74, 0x9800, v23
	v_lshlrev_b32_e32 v23, 1, v26
	v_xor_b32_e32 v26, 0x440, v25
	v_cmp_eq_u32_e32 vcc, 0, v5
	s_add_i32 s65, s0, s24
	s_add_i32 s0, s44, s33
	v_cndmask_b32_e32 v5, v26, v25, vcc
	s_add_i32 s1, s46, s45
	s_add_i32 s35, s0, s48
	s_mov_b32 s63, 0x1000504
	v_lshlrev_b32_e32 v24, 8, v62
	s_mov_b32 s20, 0x8000
	v_xor_b32_e32 v22, v66, v22
	v_lshl_or_b32 v4, v4, 10, v5
	s_add_i32 s31, s1, s47
	s_lshl_b64 s[0:1], s[34:35], 2
	s_mov_b32 s64, 0x3020706
	v_lshlrev_b32_e32 v22, 1, v22
	v_or3_b32 v75, v23, v24, s20
	v_xor_b32_e32 v5, 8, v4
	v_xor_b32_e32 v23, 24, v4
	;; [unrolled: 1-line block ×4, first 2 shown]
	s_add_u32 s21, s10, s0
	v_or3_b32 v76, v22, v24, s20
	v_xor_b32_e32 v22, 16, v4
	v_xor_b32_e32 v24, 32, v4
	v_xor_b32_e32 v26, 48, v4
	v_add_u32_e32 v5, 0x80, v5
	v_add_u32_e32 v23, 0x80, v23
	;; [unrolled: 1-line block ×4, first 2 shown]
	s_addc_u32 s22, s11, s1
	s_lshl_b64 s[0:1], s[30:31], 2
	s_add_u32 s42, s21, s0
	s_movk_i32 s0, 0xf8
	s_addc_u32 s43, s22, s1
	s_ashr_i32 s37, s36, 31
	v_ashrrev_i32_e32 v47, 31, v46
	s_lshl_b32 s26, s15, 7
	s_mul_i32 s61, s51, s12
	s_mov_b32 s62, 0
	s_mov_b32 s35, 0x7060302
	s_movk_i32 s22, 0x4000
	v_mov_b32_e32 v96, 0x3fb8aa3b
	s_mov_b32 s66, 0
	s_waitcnt vmcnt(1)
	v_perm_b32 v28, v6, v14, s63
	s_waitcnt vmcnt(0)
	v_perm_b32 v29, v10, v18, s63
	v_perm_b32 v6, v6, v14, s64
	;; [unrolled: 1-line block ×15, first 2 shown]
	ds_write2st64_b32 v4, v28, v29 offset1:32
	ds_write2st64_b32 v5, v6, v10 offset1:32
	ds_write2st64_b32 v22, v14, v18 offset0:1 offset1:33
	ds_write2st64_b32 v23, v7, v11 offset0:1 offset1:33
	;; [unrolled: 1-line block ×6, first 2 shown]
	v_or_b32_e32 v4, v1, v62
	v_lshlrev_b32_e32 v4, 3, v4
	v_lshrrev_b32_e32 v6, 5, v45
	v_and_or_b32 v6, v4, s0, v6
	v_lshlrev_b32_e32 v6, 4, v6
	v_lshrrev_b32_e32 v5, 2, v45
	v_lshlrev_b32_e32 v11, 11, v60
	v_and_b32_e32 v4, 0x78, v4
	v_or_b32_e32 v9, 32, v6
	v_and_b32_e32 v10, 12, v5
	v_and_b32_e32 v5, 0x1000, v11
	v_xor_b32_e32 v7, v6, v4
	v_lshrrev_b32_e32 v8, 1, v45
	v_xor_b32_e32 v9, v9, v4
	v_or_b32_e32 v7, v7, v5
	v_and_b32_e32 v8, 8, v8
	v_or_b32_e32 v9, v9, v5
	v_xor_b32_e32 v77, v7, v8
	v_and_b32_e32 v7, 0x78, v63
	v_xor_b32_e32 v79, v9, v8
	v_or_b32_e32 v9, 64, v6
	v_or_b32_e32 v6, 0x60, v6
	v_lshl_or_b32 v7, v61, 7, v7
	v_xor_b32_e32 v9, v9, v4
	v_xor_b32_e32 v4, v6, v4
	v_or_b32_e32 v78, 0x9000, v7
	v_or_b32_e32 v9, v9, v5
	;; [unrolled: 1-line block ×4, first 2 shown]
	v_lshrrev_b32_e32 v6, 4, v0
	v_lshlrev_b32_e32 v7, 1, v62
	v_xor_b32_e32 v80, v9, v8
	v_xor_b32_e32 v81, v4, v8
	v_or_b32_e32 v8, 1, v7
	v_xor_b32_e32 v7, v6, v7
	s_lshl_b64 s[0:1], s[36:37], 8
	v_xor_b32_e32 v8, v8, v6
	v_lshlrev_b32_e32 v7, 3, v7
	v_lshlrev_b32_e32 v6, 8, v6
	v_lshl_add_u64 v[4:5], v[46:47], 1, s[8:9]
	s_add_u32 s0, s18, s0
	v_or3_b32 v47, v7, v6, s20
	v_lshlrev_b32_e32 v7, 3, v8
	s_addc_u32 s1, s19, s1
	v_or3_b32 v83, v7, v6, s20
	v_mov_b32_e32 v7, 0
	v_lshrrev_b32_e32 v17, 1, v0
	v_lshl_add_u64 v[8:9], s[0:1], 0, v[6:7]
	v_lshlrev_b32_e32 v6, 4, v62
	s_movk_i32 s0, 0xff
	v_lshlrev_b32_e32 v16, 3, v60
	v_and_b32_e32 v17, 24, v17
	v_lshl_add_u64 v[56:57], v[8:9], 0, v[6:7]
	v_and_b32_e32 v6, 7, v0
	v_and_b32_e32 v9, 8, v0
	v_cmp_lt_u32_e32 vcc, s0, v0
	v_xor_b32_e32 v18, v16, v17
	v_lshlrev_b32_e32 v14, 3, v6
	v_lshlrev_b32_e32 v15, 7, v6
	v_cndmask_b32_e64 v6, 0, 1, vcc
	v_or_b32_e32 v19, 0x440, v18
	v_cmp_eq_u32_e32 vcc, 0, v9
	v_or_b32_e32 v21, 64, v17
	v_xor_b32_e32 v21, v16, v21
	v_cndmask_b32_e32 v9, v19, v18, vcc
	v_or_b32_e32 v19, 32, v17
	v_or_b32_e32 v17, 0x60, v17
	v_xor_b32_e32 v19, v16, v19
	v_xor_b32_e32 v16, v16, v17
	v_or_b32_e32 v20, 0x440, v19
	v_xor_b32_e32 v22, 0x440, v21
	v_xor_b32_e32 v17, 0x440, v16
	v_cndmask_b32_e32 v19, v20, v19, vcc
	v_cndmask_b32_e32 v21, v22, v21, vcc
	;; [unrolled: 1-line block ×3, first 2 shown]
	v_or_b32_e32 v9, v9, v11
	v_or_b32_e32 v19, v19, v11
	;; [unrolled: 1-line block ×4, first 2 shown]
	v_lshlrev_b32_e32 v6, 13, v6
	v_xor_b32_e32 v9, v9, v14
	v_xor_b32_e32 v19, v19, v14
	;; [unrolled: 1-line block ×4, first 2 shown]
	v_lshlrev_b32_e32 v12, 1, v3
	v_add_lshl_u32 v3, v3, s15, 1
	v_or_b32_e32 v13, 0x100, v2
	v_or_b32_e32 v8, v10, v1
	v_add_u32_e32 v18, v6, v9
	v_add_u32_e32 v20, v6, v19
	v_add_u32_e32 v22, v6, v21
	v_add_u32_e32 v14, v6, v11
	v_or3_b32 v10, v1, v10, 64
	v_add_u32_e32 v9, 0x2000, v9
	v_add_u32_e32 v16, 0x2000, v19
	;; [unrolled: 1-line block ×4, first 2 shown]
	v_lshlrev_b32_e32 v6, 8, v65
	v_cndmask_b32_e64 v84, v12, v2, s[2:3]
	v_cndmask_b32_e64 v85, v3, v13, s[2:3]
	v_lshl_add_u64 v[58:59], v[4:5], 0, v[6:7]
	s_add_i32 s31, s61, 63
	v_lshlrev_b32_e32 v86, 2, v8
	v_add_u32_e32 v87, v18, v15
	v_add_u32_e32 v88, v20, v15
	;; [unrolled: 1-line block ×4, first 2 shown]
	v_lshlrev_b32_e32 v91, 2, v10
	v_add_u32_e32 v92, v9, v15
	v_add_u32_e32 v93, v16, v15
	v_add_u32_e32 v94, v17, v15
	v_add_u32_e32 v95, v11, v15
	s_waitcnt lgkmcnt(0)
	s_barrier
.LBB588_6:                              ; =>This Inner Loop Header: Depth=1
	s_add_i32 s37, s66, 1
	s_cmp_lt_i32 s37, s52
	s_mov_b64 s[24:25], 0
	s_cselect_b64 s[2:3], -1, 0
	s_cmp_ge_i32 s37, s52
	s_mov_b64 s[20:21], 0
	s_cbranch_scc1 .LBB588_8
; %bb.7:                                ;   in Loop: Header=BB588_6 Depth=1
	s_add_i32 s0, s62, 64
	s_add_u32 s0, s16, s0
	s_addc_u32 s1, s17, 0
	s_lshl_b64 s[0:1], s[0:1], 8
	s_add_u32 s20, s6, s0
	s_addc_u32 s21, s7, s1
.LBB588_8:                              ;   in Loop: Header=BB588_6 Depth=1
	v_cndmask_b32_e64 v2, 0, 1, s[2:3]
	v_cmp_ne_u32_e64 s[0:1], 1, v2
	s_andn2_b64 vcc, exec, s[2:3]
	s_cbranch_vccnz .LBB588_10
; %bb.9:                                ;   in Loop: Header=BB588_6 Depth=1
	s_add_i32 s2, s62, 64
	s_add_u32 s2, s61, s2
	s_addc_u32 s3, s65, 0
	s_mul_i32 s24, s2, s54
	s_mul_hi_u32 s25, s2, s58
	s_add_i32 s24, s25, s24
	s_mul_i32 s3, s3, s58
	s_add_i32 s24, s24, s3
	s_mul_i32 s2, s2, s58
	s_add_u32 s2, s2, s55
	s_addc_u32 s3, s24, s59
	s_lshl_b64 s[2:3], s[2:3], 8
	s_add_u32 s24, s4, s2
	s_addc_u32 s25, s5, s3
.LBB588_10:                             ;   in Loop: Header=BB588_6 Depth=1
	v_perm_b32 v3, v55, v54, s35
	v_perm_b32 v2, v51, v50, s35
	;; [unrolled: 1-line block ×4, first 2 shown]
	ds_write_b64 v73, v[2:3]
	ds_write_b64 v74, v[4:5]
	;; [unrolled: 1-line block ×4, first 2 shown]
	s_waitcnt lgkmcnt(0)
	s_barrier
	ds_read_b64 v[10:11], v77 offset:16384
	ds_read_b64 v[12:13], v79 offset:16384
	ds_read2st64_b64 v[2:5], v78 offset1:1
	ds_read2st64_b64 v[6:9], v78 offset0:2 offset1:3
	ds_read_b64 v[14:15], v80 offset:16384
	s_waitcnt lgkmcnt(2)
	v_mfma_f32_16x16x16_bf16 a[0:3], v[10:11], v[2:3], 0
	ds_read_b64 v[2:3], v81 offset:16384
	s_add_i32 s2, s62, 63
	s_mul_i32 s3, s2, s29
	v_mfma_f32_16x16x16_bf16 a[0:3], v[12:13], v[4:5], a[0:3]
	s_mul_hi_u32 s27, s2, s28
	s_add_i32 s3, s27, s3
	s_mul_i32 s2, s2, s28
	s_waitcnt lgkmcnt(1)
	v_mfma_f32_16x16x16_bf16 a[0:3], v[14:15], v[6:7], a[0:3]
	s_lshl_b64 s[2:3], s[2:3], 2
	s_add_u32 s2, s42, s2
	s_addc_u32 s3, s43, s3
	s_waitcnt lgkmcnt(0)
	v_mfma_f32_16x16x16_bf16 a[0:3], v[2:3], v[8:9], a[0:3]
	s_and_b64 vcc, exec, s[0:1]
	v_mov_b32_e32 v99, 0
	v_mov_b32_e32 v98, 0
	;; [unrolled: 1-line block ×19, first 2 shown]
	s_cbranch_vccnz .LBB588_12
; %bb.11:                               ;   in Loop: Header=BB588_6 Depth=1
	s_and_b32 s21, s21, 0xffff
	buffer_load_dwordx4 v[14:17], v69, s[20:23], 0 offen
	buffer_load_dwordx4 v[10:13], v69, s[20:23], s60 offen
	;; [unrolled: 1-line block ×4, first 2 shown]
	v_mov_b32_e32 v98, v71
	v_mov_b32_e32 v97, v72
.LBB588_12:                             ;   in Loop: Header=BB588_6 Depth=1
	v_add_u32_e32 v24, s62, v65
	v_ashrrev_i32_e32 v18, 31, v24
	v_mul_lo_u32 v20, v18, s28
	v_mul_lo_u32 v21, v24, s29
	v_mad_u64_u32 v[18:19], s[20:21], v24, s28, 0
	v_add3_u32 v19, v19, v21, v20
	v_add_u32_e32 v20, 1, v24
	v_ashrrev_i32_e32 v21, 31, v20
	v_mul_lo_u32 v22, v21, s28
	v_mul_lo_u32 v23, v20, s29
	v_mad_u64_u32 v[20:21], s[20:21], v20, s28, 0
	v_add3_u32 v21, v21, v23, v22
	v_add_u32_e32 v22, 2, v24
	v_ashrrev_i32_e32 v23, 31, v22
	v_mul_lo_u32 v25, v23, s28
	v_mul_lo_u32 v26, v22, s29
	v_mad_u64_u32 v[22:23], s[20:21], v22, s28, 0
	v_add_u32_e32 v24, 3, v24
	v_add3_u32 v23, v23, v26, v25
	v_ashrrev_i32_e32 v25, 31, v24
	v_mul_lo_u32 v28, v25, s28
	v_mul_lo_u32 v29, v24, s29
	v_mad_u64_u32 v[24:25], s[20:21], v24, s28, 0
	s_add_u32 s20, s16, s62
	s_addc_u32 s21, s17, 0
	s_lshl_b64 s[20:21], s[20:21], 8
	v_lshl_add_u64 v[18:19], v[18:19], 2, s[42:43]
	v_lshl_add_u64 v[20:21], v[20:21], 2, s[42:43]
	v_lshl_add_u64 v[26:27], v[58:59], 0, s[20:21]
	v_add3_u32 v25, v25, v29, v28
	v_lshl_add_u64 v[22:23], v[22:23], 2, s[42:43]
	global_load_ushort v38, v[26:27], off
	global_load_ushort v39, v[26:27], off offset:256
	global_load_ushort v40, v[26:27], off offset:512
	;; [unrolled: 1-line block ×3, first 2 shown]
	global_load_dword v42, v[18:19], off
	v_lshl_add_u64 v[18:19], v[24:25], 2, s[42:43]
	global_load_dword v43, v[20:21], off
	global_load_dword v44, v[22:23], off
	global_load_dword v101, v[18:19], off
	s_load_dword s2, s[2:3], 0x0
	ds_read2st64_b64 v[24:27], v82 offset1:1
	ds_read2st64_b64 v[28:31], v82 offset0:2 offset1:3
	ds_read_b64 v[22:23], v77 offset:24576
	ds_read_b64 v[32:33], v79 offset:24576
	;; [unrolled: 1-line block ×4, first 2 shown]
	s_waitcnt lgkmcnt(0)
	v_mfma_f32_16x16x16_bf16 a[0:3], v[22:23], v[24:25], a[0:3]
	v_mov_b32_e32 v100, 0
	v_mov_b32_e32 v18, 0
	v_mov_b32_e32 v19, 0
	v_mfma_f32_16x16x16_bf16 a[0:3], v[32:33], v[26:27], a[0:3]
	v_mov_b32_e32 v20, 0
	v_mov_b32_e32 v21, 0
	v_mov_b32_e32 v22, 0
	;; [unrolled: 4-line block ×4, first 2 shown]
	v_mov_b32_e32 v29, 0
	s_and_b64 vcc, exec, s[0:1]
	s_waitcnt vmcnt(7)
	v_lshlrev_b32_e32 v34, 16, v38
	s_waitcnt vmcnt(6)
	v_lshlrev_b32_e32 v35, 16, v39
	;; [unrolled: 2-line block ×4, first 2 shown]
	s_waitcnt vmcnt(3)
	v_sub_f32_e32 v38, s2, v42
	s_waitcnt vmcnt(2)
	v_sub_f32_e32 v39, s2, v43
	s_waitcnt vmcnt(1)
	v_sub_f32_e32 v40, s2, v44
	s_waitcnt vmcnt(0)
	v_sub_f32_e32 v41, s2, v101
	v_mul_f32_e32 v38, 0x3fb8aa3b, v38
	v_mul_f32_e32 v39, 0x3fb8aa3b, v39
	;; [unrolled: 1-line block ×4, first 2 shown]
	v_exp_f32_e32 v38, v38
	v_exp_f32_e32 v39, v39
	;; [unrolled: 1-line block ×4, first 2 shown]
	v_accvgpr_read_b32 v33, a1
	v_accvgpr_read_b32 v31, a3
	;; [unrolled: 1-line block ×4, first 2 shown]
	v_pk_add_f32 v[32:33], v[34:35], v[32:33] neg_lo:[0,1] neg_hi:[0,1]
	v_pk_add_f32 v[30:31], v[36:37], v[30:31] neg_lo:[0,1] neg_hi:[0,1]
	v_pk_mul_f32 v[32:33], v[38:39], v[32:33]
	v_pk_mul_f32 v[30:31], v[40:41], v[30:31]
	s_nop 0
	v_perm_b32 v31, v31, v30, s35
	v_perm_b32 v30, v33, v32, s35
	ds_write_b64 v74, v[30:31]
	v_mov_b32_e32 v30, 0
	v_mov_b32_e32 v31, 0
	;; [unrolled: 1-line block ×4, first 2 shown]
	s_cbranch_vccnz .LBB588_14
; %bb.13:                               ;   in Loop: Header=BB588_6 Depth=1
	s_and_b32 s25, s25, 0xffff
	s_mov_b32 s27, s23
	buffer_load_dwordx4 v[30:33], v84, s[24:27], 0 offen
	buffer_load_dwordx4 v[22:25], v84, s[24:27], s60 offen
	;; [unrolled: 1-line block ×4, first 2 shown]
	v_mov_b32_e32 v99, v68
	v_mov_b32_e32 v100, v67
.LBB588_14:                             ;   in Loop: Header=BB588_6 Depth=1
	s_waitcnt lgkmcnt(0)
	s_barrier
	ds_read_b64 v[34:35], v87
	ds_read_b64 v[40:41], v88
	ds_read2st64_b64 v[36:39], v82 offset1:1
	ds_read2st64_b64 v[102:105], v82 offset0:2 offset1:3
	ds_read_b64 v[42:43], v89
	ds_read_b64 v[110:111], v90
	s_add_i32 s3, s56, s66
	s_mul_hi_i32 s21, s3, s13
	s_mul_i32 s3, s3, s13
	s_waitcnt lgkmcnt(3)
	v_mfma_f32_16x16x16_bf16 a[0:3], v[34:35], v[36:37], 0
	ds_read_b64 v[34:35], v92
	s_add_u32 s20, s3, s49
	s_addc_u32 s21, s21, s53
	s_add_i32 s3, s31, s62
	v_mfma_f32_16x16x16_bf16 a[0:3], v[40:41], v[38:39], a[0:3]
	ds_read_b64 v[40:41], v93
	s_lshl_b64 s[20:21], s[20:21], 15
	s_mul_hi_i32 s25, s3, s13
	s_mul_i32 s3, s3, s13
	s_add_u32 s24, s3, s49
	s_addc_u32 s25, s25, s53
	s_lshl_b64 s[24:25], s[24:25], 9
	s_add_u32 s24, s40, s24
	s_waitcnt lgkmcnt(1)
	v_mfma_f32_16x16x16_bf16 a[4:7], v[34:35], v[36:37], 0
	s_addc_u32 s25, s41, s25
	s_and_b64 vcc, exec, s[0:1]
	v_mfma_f32_16x16x16_bf16 a[0:3], v[42:43], v[102:103], a[0:3]
	ds_read_b64 v[42:43], v94
	ds_read_b64 v[112:113], v95
	global_load_dwordx4 v[34:37], v91, s[24:25]
	s_waitcnt lgkmcnt(2)
	v_mfma_f32_16x16x16_bf16 a[4:7], v[40:41], v[38:39], a[4:7]
	global_load_dwordx4 v[38:41], v86, s[24:25]
	ds_read_b64 v[106:107], v47
	ds_read_b64 v[108:109], v83
	s_waitcnt lgkmcnt(3)
	v_mfma_f32_16x16x16_bf16 a[8:11], v[42:43], v[102:103], a[4:7]
	v_lshl_add_u64 v[42:43], v[56:57], 0, s[20:21]
	s_waitcnt lgkmcnt(0)
	global_store_dwordx4 v[42:43], v[106:109], off
	v_mfma_f32_16x16x16_bf16 a[4:7], v[110:111], v[104:105], a[0:3]
	s_waitcnt vmcnt(2)
	v_mov_b32_e32 v44, v37
	v_mfma_f32_16x16x16_bf16 a[0:3], v[112:113], v[104:105], a[8:11]
	v_mov_b32_e32 v43, v36
	v_mov_b32_e32 v42, v35
	s_cbranch_vccnz .LBB588_16
; %bb.15:                               ;   in Loop: Header=BB588_6 Depth=1
	v_lshrrev_b32_e32 v35, 3, v99
	v_and_b32_e32 v35, 6, v35
	v_xor_b32_e32 v36, v35, v100
	v_lshlrev_b32_e32 v36, 2, v36
	v_and_b32_e32 v37, 8, v99
	v_xor_b32_e32 v99, 0x440, v36
	v_cmp_eq_u32_e32 vcc, 0, v37
	v_perm_b32 v37, v22, v18, s63
	s_nop 0
	v_cndmask_b32_e32 v36, v99, v36, vcc
	v_lshl_or_b32 v35, v35, 10, v36
	v_perm_b32 v36, v30, v26, s63
	s_barrier
	ds_write2st64_b32 v35, v36, v37 offset1:32
	v_xor_b32_e32 v36, 8, v35
	v_perm_b32 v26, v30, v26, s64
	v_perm_b32 v18, v22, v18, s64
	v_add_u32_e32 v22, 0x80, v36
	ds_write2st64_b32 v22, v26, v18 offset1:32
	v_xor_b32_e32 v18, 16, v35
	v_perm_b32 v22, v31, v27, s63
	v_perm_b32 v26, v23, v19, s63
	ds_write2st64_b32 v18, v22, v26 offset0:1 offset1:33
	v_xor_b32_e32 v18, 24, v35
	v_perm_b32 v22, v31, v27, s64
	v_perm_b32 v19, v23, v19, s64
	v_add_u32_e32 v18, 0x80, v18
	ds_write2st64_b32 v18, v22, v19 offset0:1 offset1:33
	v_xor_b32_e32 v18, 32, v35
	v_perm_b32 v19, v32, v28, s63
	v_perm_b32 v22, v24, v20, s63
	ds_write2st64_b32 v18, v19, v22 offset0:2 offset1:34
	v_xor_b32_e32 v18, 40, v35
	v_perm_b32 v19, v32, v28, s64
	v_perm_b32 v20, v24, v20, s64
	v_add_u32_e32 v18, 0x80, v18
	ds_write2st64_b32 v18, v19, v20 offset0:2 offset1:34
	;; [unrolled: 9-line block ×3, first 2 shown]
	ds_write_b64 v98, v[14:15] offset:16384
	v_xor_b32_e32 v14, 8, v98
	ds_write_b64 v14, v[16:17] offset:16384
	ds_write_b64 v98, v[10:11] offset:24576
	;; [unrolled: 1-line block ×4, first 2 shown]
	v_xor_b32_e32 v6, 8, v97
	ds_write_b64 v6, v[8:9] offset:16384
	ds_write_b64 v97, v[2:3] offset:24576
	;; [unrolled: 1-line block ×3, first 2 shown]
.LBB588_16:                             ;   in Loop: Header=BB588_6 Depth=1
	v_mul_f32_e32 v6, s2, v96
	v_exp_f32_e32 v10, v6
	s_waitcnt vmcnt(1)
	v_mul_f32_e32 v6, 0x3fb8aa3b, v38
	v_exp_f32_e32 v12, v6
	v_mul_f32_e32 v6, 0x3fb8aa3b, v39
	v_exp_f32_e32 v13, v6
	v_mul_f32_e32 v6, 0x3fb8aa3b, v40
	v_exp_f32_e32 v14, v6
	v_mul_f32_e32 v6, 0x3fb8aa3b, v41
	v_exp_f32_e32 v15, v6
	v_accvgpr_read_b32 v2, a4
	v_accvgpr_read_b32 v3, a5
	v_pk_mul_f32 v[12:13], v[10:11], v[12:13] op_sel_hi:[0,1]
	v_pk_fma_f32 v[50:51], v[50:51], v[12:13], v[2:3]
	v_pk_mul_f32 v[2:3], v[10:11], v[14:15] op_sel_hi:[0,1]
	v_mul_f32_e32 v11, 0x3fb8aa3b, v34
	v_exp_f32_e32 v12, v11
	v_mul_f32_e32 v11, 0x3fb8aa3b, v42
	v_exp_f32_e32 v13, v11
	;; [unrolled: 2-line block ×4, first 2 shown]
	v_accvgpr_read_b32 v4, a6
	v_accvgpr_read_b32 v5, a7
	;; [unrolled: 1-line block ×5, first 2 shown]
	v_pk_fma_f32 v[54:55], v[54:55], v[2:3], v[4:5]
	v_pk_mul_f32 v[2:3], v[10:11], v[12:13] op_sel_hi:[0,1]
	v_accvgpr_read_b32 v8, a2
	v_pk_fma_f32 v[48:49], v[48:49], v[2:3], v[6:7]
	v_pk_mul_f32 v[2:3], v[10:11], v[14:15] op_sel_hi:[0,1]
	s_add_i32 s62, s62, 64
	s_cmp_eq_u32 s52, s37
	v_pk_fma_f32 v[52:53], v[52:53], v[2:3], v[8:9]
	s_cbranch_scc1 .LBB588_18
; %bb.17:                               ;   in Loop: Header=BB588_6 Depth=1
	s_mov_b32 s66, s37
	s_branch .LBB588_6
.LBB588_18:
	s_lshl_b32 s26, s52, 6
	s_sub_i32 s27, s12, s26
	s_cmp_gt_i32 s27, 0
	s_cbranch_scc0 .LBB588_75
; %bb.19:
	s_ashr_i32 s2, s26, 31
	s_cmpk_lg_i32 s15, 0x80
	s_cselect_b64 s[22:23], -1, 0
	s_and_b64 vcc, exec, s[22:23]
	s_cbranch_vccz .LBB588_21
; %bb.20:
	s_mul_i32 s1, s51, s12
	s_mul_hi_i32 s0, s51, s12
	s_add_u32 s1, s1, s26
	s_addc_u32 s0, s0, s2
	s_mul_i32 s3, s1, s54
	s_mul_hi_u32 s17, s1, s14
	s_add_i32 s3, s17, s3
	s_mul_i32 s0, s0, s14
	s_add_i32 s3, s3, s0
	s_mul_i32 s1, s1, s14
	s_ashr_i32 s0, s55, 31
	s_add_u32 s24, s1, s55
	s_addc_u32 s25, s3, s0
	s_cbranch_execz .LBB588_22
	s_branch .LBB588_23
.LBB588_21:
                                        ; implicit-def: $sgpr24_sgpr25
.LBB588_22:
	s_mul_hi_i32 s0, s51, s14
	s_mul_i32 s51, s51, s14
	s_ashr_i32 s1, s55, 31
	s_add_u32 s3, s51, s55
	s_addc_u32 s0, s0, s1
	s_mul_i32 s1, s3, s50
	s_mul_hi_u32 s14, s3, s12
	s_add_i32 s1, s14, s1
	s_mul_i32 s0, s0, s12
	s_add_i32 s1, s1, s0
	s_mul_i32 s3, s3, s12
	s_add_u32 s24, s3, s26
	s_addc_u32 s25, s1, s2
.LBB588_23:
	s_mul_i32 s0, s38, s50
	s_add_i32 s0, s57, s0
	s_add_i32 s3, s56, s52
	;; [unrolled: 1-line block ×3, first 2 shown]
	s_add_u32 s0, s16, s26
	s_addc_u32 s1, s1, s2
	s_mov_b32 s2, 0x7060302
	v_lshlrev_b32_e32 v6, 3, v62
	s_lshl_b64 s[20:21], s[0:1], 8
	v_perm_b32 v3, v55, v54, s2
	v_perm_b32 v2, v51, v50, s2
	;; [unrolled: 1-line block ×4, first 2 shown]
	v_lshlrev_b32_e32 v34, 2, v62
	v_lshl_or_b32 v6, v65, 5, v6
	s_add_u32 s0, s6, s20
	ds_write2st64_b64 v6, v[2:3], v[4:5] offset0:72 offset1:76
	v_xor_b32_e32 v6, v65, v34
	v_lshlrev_b32_e32 v7, 8, v62
	s_addc_u32 s1, s7, s21
	v_lshl_or_b32 v6, v6, 1, v7
	s_mul_hi_i32 s6, s3, s13
	s_mul_i32 s3, s3, s13
	ds_write_b64 v6, v[2:3] offset:32768
	v_xor_b32_e32 v2, v66, v34
	s_add_u32 s2, s3, s49
	v_lshl_or_b32 v2, v2, 1, v7
	s_addc_u32 s3, s6, s53
	v_lshlrev_b32_e32 v3, 1, v62
	ds_write_b64 v2, v[4:5] offset:32768
	v_lshrrev_b32_e32 v2, 4, v0
	s_ashr_i32 s37, s36, 31
	s_lshl_b64 s[2:3], s[2:3], 15
	v_or_b32_e32 v4, 1, v3
	s_add_u32 s6, s18, s2
	v_xor_b32_e32 v3, v2, v3
	v_xor_b32_e32 v4, v4, v2
	v_lshlrev_b32_e32 v6, 8, v2
	s_addc_u32 s7, s19, s3
	s_lshl_b64 s[2:3], s[36:37], 8
	v_lshl_or_b32 v2, v3, 3, v6
	v_lshl_or_b32 v4, v4, 3, v6
	s_waitcnt lgkmcnt(0)
	s_barrier
	s_add_u32 s2, s6, s2
	ds_read_b64 v[2:3], v2 offset:32768
	ds_read_b64 v[4:5], v4 offset:32768
	s_addc_u32 s3, s7, s3
	v_mov_b32_e32 v7, 0
	s_cmp_lg_u32 s27, 64
	v_lshl_add_u64 v[8:9], s[2:3], 0, v[6:7]
	v_lshlrev_b32_e32 v6, 4, v62
	s_cselect_b64 s[6:7], -1, 0
	v_lshl_or_b32 v35, v60, 3, v64
	s_mov_b32 s16, 0
	v_lshl_add_u64 v[6:7], v[8:9], 0, v[6:7]
	v_or_b32_e32 v19, 32, v35
	v_and_b32_e32 v18, 56, v63
	s_and_b64 vcc, exec, s[6:7]
	s_waitcnt lgkmcnt(0)
	global_store_dwordx4 v[6:7], v[2:5], off
	s_cbranch_vccz .LBB588_29
; %bb.24:
	s_mov_b32 s17, s16
	s_mov_b32 s18, s16
	;; [unrolled: 1-line block ×3, first 2 shown]
	v_mov_b64_e32 v[6:7], s[16:17]
	v_mov_b64_e32 v[8:9], s[18:19]
	;; [unrolled: 1-line block ×3, first 2 shown]
	v_cmp_gt_i32_e32 vcc, s27, v35
	v_mov_b64_e32 v[4:5], v[8:9]
	s_and_saveexec_b64 s[2:3], vcc
	s_cbranch_execz .LBB588_26
; %bb.25:
	v_lshlrev_b32_e32 v2, 8, v35
	v_mov_b32_e32 v3, 0
	v_lshl_add_u64 v[4:5], s[0:1], 0, v[2:3]
	v_lshlrev_b32_e32 v2, 1, v18
	v_lshl_add_u64 v[10:11], v[4:5], 0, v[2:3]
	global_load_dwordx4 v[6:9], v[10:11], off
	global_load_dwordx4 v[2:5], v[10:11], off offset:128
.LBB588_26:
	s_or_b64 exec, exec, s[2:3]
	s_mov_b32 s17, s16
	s_mov_b32 s18, s16
	;; [unrolled: 1-line block ×3, first 2 shown]
	v_mov_b64_e32 v[14:15], s[16:17]
	v_mov_b64_e32 v[16:17], s[18:19]
	;; [unrolled: 1-line block ×3, first 2 shown]
	v_cmp_gt_i32_e32 vcc, s27, v19
	v_lshlrev_b32_e32 v20, 7, v19
	v_mov_b64_e32 v[12:13], v[16:17]
	s_and_saveexec_b64 s[2:3], vcc
	s_cbranch_execz .LBB588_28
; %bb.27:
	v_lshlrev_b32_e32 v10, 1, v20
	v_mov_b32_e32 v11, 0
	v_lshl_add_u64 v[12:13], s[0:1], 0, v[10:11]
	v_lshlrev_b32_e32 v10, 1, v18
	v_lshl_add_u64 v[22:23], v[12:13], 0, v[10:11]
	global_load_dwordx4 v[14:17], v[22:23], off
	global_load_dwordx4 v[10:13], v[22:23], off offset:128
.LBB588_28:
	s_or_b64 exec, exec, s[2:3]
	v_lshrrev_b32_e32 v21, 3, v18
	v_lshlrev_b32_e32 v22, 3, v35
	v_or_b32_e32 v21, v22, v21
	v_lshlrev_b32_e32 v21, 4, v21
	v_and_b32_e32 v22, 0x78, v22
	v_xor_b32_e32 v21, v21, v22
	s_branch .LBB588_31
.LBB588_29:
                                        ; implicit-def: $vgpr21
                                        ; implicit-def: $vgpr20
                                        ; implicit-def: $vgpr6_vgpr7_vgpr8_vgpr9
                                        ; implicit-def: $vgpr2_vgpr3_vgpr4_vgpr5
                                        ; implicit-def: $vgpr14_vgpr15_vgpr16_vgpr17
                                        ; implicit-def: $vgpr10_vgpr11_vgpr12_vgpr13
	s_cbranch_execz .LBB588_31
; %bb.30:
	s_waitcnt vmcnt(0)
	v_lshlrev_b32_e32 v2, 1, v18
	v_lshl_or_b32 v20, v35, 8, v2
	s_and_b32 s1, s1, 0xffff
	s_mov_b32 s3, 0x20000
	s_movk_i32 s2, 0x4000
	v_lshl_or_b32 v21, v19, 8, v2
	s_movk_i32 s13, 0x80
	buffer_load_dwordx4 v[6:9], v20, s[0:3], 0 offen
	buffer_load_dwordx4 v[2:5], v20, s[0:3], s13 offen
	;; [unrolled: 1-line block ×4, first 2 shown]
	v_lshrrev_b32_e32 v20, 3, v18
	v_lshlrev_b32_e32 v21, 3, v35
	v_or_b32_e32 v20, v21, v20
	v_lshlrev_b32_e32 v20, 4, v20
	v_and_b32_e32 v21, 0x78, v21
	v_xor_b32_e32 v21, v20, v21
	v_lshlrev_b32_e32 v20, 7, v19
.LBB588_31:
	s_lshl_b64 s[0:1], s[24:25], 8
	s_add_u32 s4, s4, s0
	s_movk_i32 s0, 0x1000
	v_and_or_b32 v19, v20, s0, v21
	s_waitcnt vmcnt(1)
	ds_write_b64 v21, v[6:7] offset:16384
	v_xor_b32_e32 v6, 8, v21
	ds_write_b64 v6, v[8:9] offset:16384
	s_waitcnt vmcnt(0)
	ds_write_b64 v21, v[2:3] offset:24576
	ds_write_b64 v6, v[4:5] offset:24576
	;; [unrolled: 1-line block ×3, first 2 shown]
	v_xor_b32_e32 v2, 8, v19
	ds_write_b64 v2, v[16:17] offset:16384
	ds_write_b64 v19, v[10:11] offset:24576
	;; [unrolled: 1-line block ×3, first 2 shown]
	v_or_b32_e32 v2, v1, v62
	s_addc_u32 s5, s5, s1
	s_add_i32 s0, s12, -1
	v_lshlrev_b32_e32 v2, 3, v2
	v_lshrrev_b32_e32 v4, 5, v45
	s_movk_i32 s12, 0xf8
	v_and_or_b32 v4, v2, s12, v4
	v_lshlrev_b32_e32 v3, 11, v60
	v_lshlrev_b32_e32 v12, 4, v4
	v_and_b32_e32 v13, 0x78, v2
	v_and_b32_e32 v14, 0x1000, v3
	v_lshlrev_b32_e32 v3, 2, v0
	v_xor_b32_e32 v2, v12, v13
	v_lshrrev_b32_e32 v4, 1, v45
	v_and_b32_e32 v3, 60, v3
	v_or_b32_e32 v2, v2, v14
	v_and_b32_e32 v15, 8, v4
	v_xor_b32_e32 v26, v2, v15
	v_lshl_or_b32 v2, v61, 6, v3
	v_lshlrev_b32_e32 v19, 1, v2
	v_or_b32_e32 v2, 32, v12
	v_xor_b32_e32 v2, v2, v13
	s_waitcnt lgkmcnt(0)
	s_barrier
	ds_read_b64 v[10:11], v26 offset:16384
	v_or_b32_e32 v2, v2, v14
	v_xor_b32_e32 v27, v2, v15
	v_or_b32_e32 v2, 64, v12
	v_xor_b32_e32 v2, v2, v13
	v_or_b32_e32 v2, v2, v14
	v_or_b32_e32 v12, 0x60, v12
	v_xor_b32_e32 v28, v2, v15
	ds_read2st64_b64 v[2:5], v19 offset0:72 offset1:73
	ds_read2st64_b64 v[6:9], v19 offset0:74 offset1:75
	v_xor_b32_e32 v16, v12, v13
	ds_read_b64 v[12:13], v27 offset:16384
	s_add_i32 s1, s44, s33
	s_waitcnt lgkmcnt(2)
	v_mfma_f32_16x16x16_bf16 a[0:3], v[10:11], v[2:3], 0
	s_add_i32 s35, s1, s48
	s_add_i32 s1, s46, s45
	;; [unrolled: 1-line block ×3, first 2 shown]
	s_ashr_i32 s1, s0, 31
	s_mul_i32 s2, s0, s29
	s_mul_hi_u32 s3, s0, s28
	s_add_i32 s2, s3, s2
	s_mul_i32 s1, s1, s28
	v_or_b32_e32 v14, v16, v14
	s_add_i32 s1, s2, s1
	s_lshl_b64 s[2:3], s[34:35], 2
	v_xor_b32_e32 v36, v14, v15
	ds_read_b64 v[14:15], v28 offset:16384
	ds_read_b64 v[16:17], v36 offset:16384
	s_waitcnt lgkmcnt(2)
	v_mfma_f32_16x16x16_bf16 a[0:3], v[12:13], v[4:5], a[0:3]
	s_add_u32 s10, s10, s2
	s_addc_u32 s11, s11, s3
	s_lshl_b64 s[2:3], s[30:31], 2
	s_mul_i32 s0, s0, s28
	s_add_u32 s10, s10, s2
	s_addc_u32 s11, s11, s3
	s_lshl_b64 s[0:1], s[0:1], 2
	s_waitcnt lgkmcnt(1)
	v_mfma_f32_16x16x16_bf16 a[0:3], v[14:15], v[6:7], a[0:3]
	s_add_u32 s0, s10, s0
	s_addc_u32 s1, s11, s1
	s_load_dword s12, s[0:1], 0x0
	s_waitcnt lgkmcnt(0)
	v_mfma_f32_16x16x16_bf16 a[0:3], v[16:17], v[8:9], a[0:3]
	s_and_b64 vcc, exec, s[22:23]
	s_cbranch_vccz .LBB588_42
; %bb.32:
	v_lshlrev_b32_e32 v20, 1, v35
	s_and_b64 vcc, exec, s[6:7]
	s_cbranch_vccz .LBB588_43
; %bb.33:
	v_cmp_gt_i32_e32 vcc, s27, v20
	v_mov_b32_e32 v6, 0
	v_mov_b32_e32 v2, 0
	;; [unrolled: 1-line block ×5, first 2 shown]
	s_and_saveexec_b64 s[0:1], vcc
	s_cbranch_execz .LBB588_35
; %bb.34:
	v_mad_i64_i32 v[2:3], s[2:3], s15, v20, 0
	v_lshl_add_u64 v[2:3], v[2:3], 1, s[4:5]
	v_lshlrev_b32_e32 v4, 1, v18
	v_mov_b32_e32 v5, 0
	v_lshl_add_u64 v[2:3], v[2:3], 0, v[4:5]
	global_load_dwordx4 v[2:5], v[2:3], off
.LBB588_35:
	s_or_b64 exec, exec, s[0:1]
	v_or_b32_e32 v21, 1, v20
	v_cmp_gt_i32_e64 s[0:1], s27, v21
	v_mov_b32_e32 v7, 0
	v_mov_b32_e32 v8, 0
	;; [unrolled: 1-line block ×3, first 2 shown]
	s_and_saveexec_b64 s[2:3], s[0:1]
	s_cbranch_execz .LBB588_37
; %bb.36:
	v_mad_i64_i32 v[6:7], s[16:17], s15, v21, 0
	v_lshl_add_u64 v[6:7], v[6:7], 1, s[4:5]
	v_lshlrev_b32_e32 v8, 1, v18
	v_mov_b32_e32 v9, 0
	v_lshl_add_u64 v[6:7], v[6:7], 0, v[8:9]
	global_load_dwordx4 v[6:9], v[6:7], off
.LBB588_37:
	s_or_b64 exec, exec, s[2:3]
	v_mov_b32_e32 v17, 0
	v_mov_b32_e32 v10, 0
	;; [unrolled: 1-line block ×5, first 2 shown]
	s_and_saveexec_b64 s[2:3], vcc
	s_cbranch_execz .LBB588_39
; %bb.38:
	v_mad_i64_i32 v[10:11], s[16:17], s15, v20, 0
	v_lshl_add_u64 v[10:11], v[10:11], 1, s[4:5]
	v_lshlrev_b32_e32 v12, 1, v18
	v_mov_b32_e32 v13, 0
	v_lshl_add_u64 v[10:11], v[10:11], 0, v[12:13]
	global_load_dwordx4 v[10:13], v[10:11], off offset:128
.LBB588_39:
	s_or_b64 exec, exec, s[2:3]
	v_mov_b32_e32 v16, 0
	v_mov_b32_e32 v15, 0
	v_mov_b32_e32 v14, 0
	s_and_saveexec_b64 s[2:3], s[0:1]
	s_cbranch_execz .LBB588_41
; %bb.40:
	v_mad_i64_i32 v[14:15], s[0:1], s15, v21, 0
	v_lshl_add_u64 v[14:15], v[14:15], 1, s[4:5]
	v_lshlrev_b32_e32 v16, 1, v18
	v_mov_b32_e32 v17, 0
	v_lshl_add_u64 v[14:15], v[14:15], 0, v[16:17]
	global_load_dwordx4 v[14:17], v[14:15], off offset:128
.LBB588_41:
	s_or_b64 exec, exec, s[2:3]
	s_branch .LBB588_45
.LBB588_42:
                                        ; implicit-def: $vgpr5
                                        ; implicit-def: $vgpr9
                                        ; implicit-def: $vgpr13
                                        ; implicit-def: $vgpr17
	v_lshrrev_b32_e32 v37, 2, v45
	s_branch .LBB588_46
.LBB588_43:
                                        ; implicit-def: $vgpr5
                                        ; implicit-def: $vgpr9
                                        ; implicit-def: $vgpr13
                                        ; implicit-def: $vgpr17
	s_cbranch_execz .LBB588_45
; %bb.44:
	s_waitcnt vmcnt(0)
	v_mad_u64_u32 v[2:3], s[0:1], v20, s15, v[18:19]
	v_lshlrev_b32_e32 v20, 1, v2
	s_lshl_b32 s2, s15, 7
	s_and_b32 s1, s5, 0xffff
	s_mov_b32 s3, 0x20000
	s_mov_b32 s0, s4
	v_add_lshl_u32 v21, v2, s15, 1
	s_movk_i32 s13, 0x80
	buffer_load_dwordx4 v[2:5], v20, s[0:3], 0 offen
	buffer_load_dwordx4 v[10:13], v20, s[0:3], s13 offen
	;; [unrolled: 1-line block ×4, first 2 shown]
.LBB588_45:
	v_lshrrev_b32_e32 v37, 2, v45
	s_cbranch_execnz .LBB588_58
.LBB588_46:
	s_and_b64 vcc, exec, s[6:7]
	s_cbranch_vccz .LBB588_56
; %bb.47:
	s_waitcnt vmcnt(0)
	v_lshlrev_b32_e32 v7, 1, v35
	v_cmp_gt_i32_e32 vcc, s27, v7
	v_mov_b32_e32 v6, 0
	v_lshlrev_b32_e32 v14, 9, v35
	v_mov_b32_e32 v2, 0
	v_mov_b32_e32 v3, 0
	;; [unrolled: 1-line block ×4, first 2 shown]
	s_and_saveexec_b64 s[0:1], vcc
	s_cbranch_execz .LBB588_49
; %bb.48:
	v_mov_b32_e32 v15, 0
	v_lshl_add_u64 v[2:3], s[4:5], 0, v[14:15]
	v_lshlrev_b32_e32 v4, 1, v18
	v_mov_b32_e32 v5, v15
	v_lshl_add_u64 v[2:3], v[2:3], 0, v[4:5]
	global_load_dwordx4 v[2:5], v[2:3], off
.LBB588_49:
	s_or_b64 exec, exec, s[0:1]
	v_or_b32_e32 v7, 1, v7
	v_cmp_gt_i32_e64 s[0:1], s27, v7
	v_lshlrev_b32_e32 v20, 8, v7
	v_mov_b32_e32 v7, 0
	v_mov_b32_e32 v8, 0
	v_mov_b32_e32 v9, 0
	s_and_saveexec_b64 s[2:3], s[0:1]
	s_cbranch_execz .LBB588_51
; %bb.50:
	v_mov_b32_e32 v21, 0
	v_lshl_add_u64 v[6:7], s[4:5], 0, v[20:21]
	v_lshlrev_b32_e32 v8, 1, v18
	v_mov_b32_e32 v9, v21
	v_lshl_add_u64 v[6:7], v[6:7], 0, v[8:9]
	global_load_dwordx4 v[6:9], v[6:7], off
.LBB588_51:
	s_or_b64 exec, exec, s[2:3]
	v_mov_b32_e32 v17, 0
	v_mov_b32_e32 v10, 0
	;; [unrolled: 1-line block ×5, first 2 shown]
	s_and_saveexec_b64 s[2:3], vcc
	s_cbranch_execz .LBB588_53
; %bb.52:
	v_mov_b32_e32 v15, 0
	v_lshl_add_u64 v[10:11], s[4:5], 0, v[14:15]
	v_lshlrev_b32_e32 v14, 1, v18
	v_lshl_add_u64 v[10:11], v[10:11], 0, v[14:15]
	global_load_dwordx4 v[10:13], v[10:11], off offset:128
.LBB588_53:
	s_or_b64 exec, exec, s[2:3]
	v_mov_b32_e32 v16, 0
	v_mov_b32_e32 v15, 0
	v_mov_b32_e32 v14, 0
	s_and_saveexec_b64 s[2:3], s[0:1]
	s_cbranch_execz .LBB588_55
; %bb.54:
	v_mov_b32_e32 v21, 0
	v_lshl_add_u64 v[14:15], s[4:5], 0, v[20:21]
	v_lshlrev_b32_e32 v20, 1, v18
	v_lshl_add_u64 v[14:15], v[14:15], 0, v[20:21]
	global_load_dwordx4 v[14:17], v[14:15], off offset:128
.LBB588_55:
	s_or_b64 exec, exec, s[2:3]
	s_branch .LBB588_58
.LBB588_56:
                                        ; implicit-def: $vgpr5
                                        ; implicit-def: $vgpr9
                                        ; implicit-def: $vgpr13
                                        ; implicit-def: $vgpr17
	s_cbranch_execz .LBB588_58
; %bb.57:
	s_waitcnt vmcnt(0)
	v_lshlrev_b32_e32 v2, 1, v18
	v_lshl_or_b32 v18, v35, 9, v2
	s_and_b32 s5, s5, 0xffff
	s_mov_b32 s7, 0x20000
	s_movk_i32 s6, 0x4000
	s_movk_i32 s0, 0x80
	buffer_load_dwordx4 v[2:5], v18, s[4:7], 0 offen
	buffer_load_dwordx4 v[6:9], v18, s[4:7], 0 offen offset:256
	buffer_load_dwordx4 v[10:13], v18, s[4:7], s0 offen
	buffer_load_dwordx4 v[14:17], v18, s[4:7], s0 offen offset:256
.LBB588_58:
	ds_read2st64_b64 v[22:25], v19 offset0:76 offset1:77
	ds_read2st64_b64 v[18:21], v19 offset0:78 offset1:79
	ds_read_b64 v[30:31], v26 offset:24576
	ds_read_b64 v[32:33], v27 offset:24576
	;; [unrolled: 1-line block ×4, first 2 shown]
	v_and_b32_e32 v36, 6, v0
	v_xor_b32_e32 v35, v35, v36
	v_lshlrev_b32_e32 v35, 2, v35
	v_and_b32_e32 v0, 1, v0
	v_xor_b32_e32 v38, 0x440, v35
	v_cmp_eq_u32_e32 vcc, 0, v0
	s_mov_b32 s0, 0x1000504
	s_mov_b32 s1, 0x3020706
	v_cndmask_b32_e32 v0, v38, v35, vcc
	v_lshl_or_b32 v0, v36, 10, v0
	s_waitcnt vmcnt(0)
	v_perm_b32 v35, v2, v6, s0
	v_perm_b32 v36, v10, v14, s0
	ds_write2st64_b32 v0, v35, v36 offset1:32
	v_xor_b32_e32 v35, 8, v0
	v_perm_b32 v2, v2, v6, s1
	v_perm_b32 v6, v10, v14, s1
	v_add_u32_e32 v10, 0x80, v35
	ds_write2st64_b32 v10, v2, v6 offset1:32
	v_xor_b32_e32 v2, 16, v0
	v_perm_b32 v6, v3, v7, s0
	v_perm_b32 v10, v11, v15, s0
	ds_write2st64_b32 v2, v6, v10 offset0:1 offset1:33
	v_xor_b32_e32 v2, 24, v0
	v_perm_b32 v3, v3, v7, s1
	v_perm_b32 v6, v11, v15, s1
	v_add_u32_e32 v2, 0x80, v2
	ds_write2st64_b32 v2, v3, v6 offset0:1 offset1:33
	v_xor_b32_e32 v2, 32, v0
	v_perm_b32 v3, v4, v8, s0
	v_perm_b32 v6, v12, v16, s0
	ds_write2st64_b32 v2, v3, v6 offset0:2 offset1:34
	v_xor_b32_e32 v2, 40, v0
	v_perm_b32 v3, v4, v8, s1
	v_perm_b32 v4, v12, v16, s1
	v_add_u32_e32 v2, 0x80, v2
	ds_write2st64_b32 v2, v3, v4 offset0:2 offset1:34
	v_xor_b32_e32 v2, 48, v0
	v_perm_b32 v3, v5, v9, s0
	v_perm_b32 v4, v13, v17, s0
	v_xor_b32_e32 v0, 56, v0
	v_and_or_b32 v6, v37, 12, v1
	ds_write2st64_b32 v2, v3, v4 offset0:3 offset1:35
	v_perm_b32 v2, v5, v9, s1
	v_perm_b32 v3, v13, v17, s1
	v_add_u32_e32 v0, 0x80, v0
	v_cmp_gt_i32_e32 vcc, s27, v6
	v_mov_b32_e32 v7, 0
	v_mov_b32_e32 v11, 0
	ds_write2st64_b32 v0, v2, v3 offset0:3 offset1:35
	s_and_saveexec_b64 s[0:1], vcc
	s_cbranch_execz .LBB588_60
; %bb.59:
	v_add_u32_e32 v0, s26, v6
	v_ashrrev_i32_e32 v1, 31, v0
	v_mul_lo_u32 v2, v1, s28
	v_mul_lo_u32 v3, v0, s29
	v_mad_u64_u32 v[0:1], s[2:3], v0, s28, 0
	v_add3_u32 v1, v1, v3, v2
	v_lshl_add_u64 v[0:1], v[0:1], 2, s[10:11]
	global_load_dword v0, v[0:1], off
	s_waitcnt vmcnt(0)
	v_sub_f32_e32 v0, s12, v0
	v_mul_f32_e32 v0, 0x3fb8aa3b, v0
	v_exp_f32_e32 v11, v0
.LBB588_60:
	s_or_b64 exec, exec, s[0:1]
	v_or_b32_e32 v9, 1, v6
	v_cmp_gt_i32_e64 s[0:1], s27, v9
	s_and_saveexec_b64 s[2:3], s[0:1]
	s_cbranch_execz .LBB588_62
; %bb.61:
	v_add_u32_e32 v0, s26, v9
	v_ashrrev_i32_e32 v1, 31, v0
	v_mul_lo_u32 v2, v1, s28
	v_mul_lo_u32 v3, v0, s29
	v_mad_u64_u32 v[0:1], s[4:5], v0, s28, 0
	v_add3_u32 v1, v1, v3, v2
	v_lshl_add_u64 v[0:1], v[0:1], 2, s[10:11]
	global_load_dword v0, v[0:1], off
	s_waitcnt vmcnt(0)
	v_sub_f32_e32 v0, s12, v0
	v_mul_f32_e32 v0, 0x3fb8aa3b, v0
	v_exp_f32_e32 v7, v0
.LBB588_62:
	s_or_b64 exec, exec, s[2:3]
	v_or_b32_e32 v10, 2, v6
	v_cmp_gt_i32_e64 s[2:3], s27, v10
	v_mov_b32_e32 v8, 0
	v_mov_b32_e32 v13, 0
	s_and_saveexec_b64 s[4:5], s[2:3]
	s_cbranch_execz .LBB588_64
; %bb.63:
	v_add_u32_e32 v0, s26, v10
	v_ashrrev_i32_e32 v1, 31, v0
	v_mul_lo_u32 v2, v1, s28
	v_mul_lo_u32 v3, v0, s29
	v_mad_u64_u32 v[0:1], s[6:7], v0, s28, 0
	v_add3_u32 v1, v1, v3, v2
	v_lshl_add_u64 v[0:1], v[0:1], 2, s[10:11]
	global_load_dword v0, v[0:1], off
	s_waitcnt vmcnt(0)
	v_sub_f32_e32 v0, s12, v0
	v_mul_f32_e32 v0, 0x3fb8aa3b, v0
	v_exp_f32_e32 v13, v0
.LBB588_64:
	s_or_b64 exec, exec, s[4:5]
	v_or_b32_e32 v12, 3, v6
	v_cmp_gt_i32_e64 s[4:5], s27, v12
	s_and_saveexec_b64 s[6:7], s[4:5]
	s_cbranch_execz .LBB588_66
; %bb.65:
	v_add_u32_e32 v0, s26, v12
	v_ashrrev_i32_e32 v1, 31, v0
	v_mul_lo_u32 v2, v1, s28
	v_mul_lo_u32 v3, v0, s29
	v_mad_u64_u32 v[0:1], s[14:15], v0, s28, 0
	v_add3_u32 v1, v1, v3, v2
	v_lshl_add_u64 v[0:1], v[0:1], 2, s[10:11]
	global_load_dword v0, v[0:1], off
	s_waitcnt vmcnt(0)
	v_sub_f32_e32 v0, s12, v0
	v_mul_f32_e32 v0, 0x3fb8aa3b, v0
	v_exp_f32_e32 v8, v0
.LBB588_66:
	s_or_b64 exec, exec, s[6:7]
	s_waitcnt lgkmcnt(11)
	v_mfma_f32_16x16x16_bf16 a[0:3], v[30:31], v[22:23], a[0:3]
	s_add_u32 s6, s8, s20
	v_ashrrev_i32_e32 v47, 31, v46
	s_addc_u32 s7, s9, s21
	s_waitcnt lgkmcnt(10)
	v_mfma_f32_16x16x16_bf16 a[0:3], v[32:33], v[24:25], a[0:3]
	v_mov_b32_e32 v14, 0
	v_lshl_add_u64 v[4:5], v[46:47], 1, s[6:7]
	v_mov_b32_e32 v15, 0
	s_waitcnt lgkmcnt(9)
	v_mfma_f32_16x16x16_bf16 a[0:3], v[28:29], v[18:19], a[0:3]
	s_waitcnt lgkmcnt(8)
	v_mfma_f32_16x16x16_bf16 a[0:3], v[26:27], v[20:21], a[0:3]
	s_nop 6
	v_accvgpr_read_b32 v0, a0
	v_accvgpr_read_b32 v1, a1
	v_accvgpr_read_b32 v2, a2
	v_accvgpr_read_b32 v3, a3
	s_and_saveexec_b64 s[6:7], vcc
	s_cbranch_execz .LBB588_68
; %bb.67:
	v_lshlrev_b32_e32 v16, 8, v6
	v_mov_b32_e32 v17, 0
	v_lshl_add_u64 v[16:17], v[4:5], 0, v[16:17]
	global_load_ushort v15, v[16:17], off
	s_waitcnt vmcnt(0)
	v_lshlrev_b32_e32 v15, 16, v15
	v_sub_f32_e32 v0, v15, v0
	v_mul_f32_e32 v0, v11, v0
	v_lshrrev_b32_e32 v15, 16, v0
.LBB588_68:
	s_or_b64 exec, exec, s[6:7]
	s_and_saveexec_b64 s[6:7], s[0:1]
	s_cbranch_execz .LBB588_70
; %bb.69:
	v_lshlrev_b32_e32 v16, 8, v9
	v_mov_b32_e32 v17, 0
	v_lshl_add_u64 v[16:17], v[4:5], 0, v[16:17]
	global_load_ushort v0, v[16:17], off
	s_waitcnt vmcnt(0)
	v_lshlrev_b32_e32 v0, 16, v0
	v_sub_f32_e32 v0, v0, v1
	v_mul_f32_e32 v0, v7, v0
	v_lshrrev_b32_e32 v14, 16, v0
.LBB588_70:
	s_or_b64 exec, exec, s[6:7]
	v_mov_b32_e32 v0, 0
	v_mov_b32_e32 v1, 0
	s_and_saveexec_b64 s[0:1], s[2:3]
	s_cbranch_execz .LBB588_72
; %bb.71:
	v_lshlrev_b32_e32 v10, 8, v10
	v_mov_b32_e32 v11, 0
	v_lshl_add_u64 v[10:11], v[4:5], 0, v[10:11]
	global_load_ushort v1, v[10:11], off
	s_waitcnt vmcnt(0)
	v_lshlrev_b32_e32 v1, 16, v1
	v_sub_f32_e32 v1, v1, v2
	v_mul_f32_e32 v1, v13, v1
	v_lshrrev_b32_e32 v1, 16, v1
.LBB588_72:
	s_or_b64 exec, exec, s[0:1]
	s_and_saveexec_b64 s[0:1], s[4:5]
	s_cbranch_execz .LBB588_74
; %bb.73:
	v_lshlrev_b32_e32 v10, 8, v12
	v_mov_b32_e32 v11, 0
	v_lshl_add_u64 v[4:5], v[4:5], 0, v[10:11]
	global_load_ushort v0, v[4:5], off
	s_waitcnt vmcnt(0)
	v_lshlrev_b32_e32 v0, 16, v0
	v_sub_f32_e32 v0, v0, v3
	v_mul_f32_e32 v0, v8, v0
	v_lshrrev_b32_e32 v0, 16, v0
.LBB588_74:
	s_or_b64 exec, exec, s[0:1]
	s_mov_b32 s0, 0x5040100
	v_lshlrev_b32_e32 v2, 1, v34
	v_perm_b32 v1, v0, v1, s0
	v_perm_b32 v0, v14, v15, s0
	v_lshl_or_b32 v2, v6, 5, v2
	ds_write_b64 v2, v[0:1] offset:38912
	s_waitcnt lgkmcnt(0)
	s_barrier
.LBB588_75:
	s_endpgm
	.section	.rodata,"a",@progbits
	.p2align	6, 0x0
	.amdhsa_kernel _ZN12_GLOBAL__N_139chunk_gated_delta_rule_fwd_h_hip_kernelILi16ELb1ELb0ELb0ELb0ELb0ELb1ELb1ELb1EEEvPK12hip_bfloat16S3_S3_PKfS5_PKvPS1_S8_PvPKiSB_iiiiilll
		.amdhsa_group_segment_fixed_size 40960
		.amdhsa_private_segment_fixed_size 0
		.amdhsa_kernarg_size 136
		.amdhsa_user_sgpr_count 2
		.amdhsa_user_sgpr_dispatch_ptr 0
		.amdhsa_user_sgpr_queue_ptr 0
		.amdhsa_user_sgpr_kernarg_segment_ptr 1
		.amdhsa_user_sgpr_dispatch_id 0
		.amdhsa_user_sgpr_kernarg_preload_length 0
		.amdhsa_user_sgpr_kernarg_preload_offset 0
		.amdhsa_user_sgpr_private_segment_size 0
		.amdhsa_uses_dynamic_stack 0
		.amdhsa_enable_private_segment 0
		.amdhsa_system_sgpr_workgroup_id_x 1
		.amdhsa_system_sgpr_workgroup_id_y 1
		.amdhsa_system_sgpr_workgroup_id_z 0
		.amdhsa_system_sgpr_workgroup_info 0
		.amdhsa_system_vgpr_workitem_id 0
		.amdhsa_next_free_vgpr 128
		.amdhsa_next_free_sgpr 67
		.amdhsa_accum_offset 116
		.amdhsa_reserve_vcc 1
		.amdhsa_float_round_mode_32 0
		.amdhsa_float_round_mode_16_64 0
		.amdhsa_float_denorm_mode_32 3
		.amdhsa_float_denorm_mode_16_64 3
		.amdhsa_dx10_clamp 1
		.amdhsa_ieee_mode 1
		.amdhsa_fp16_overflow 0
		.amdhsa_tg_split 0
		.amdhsa_exception_fp_ieee_invalid_op 0
		.amdhsa_exception_fp_denorm_src 0
		.amdhsa_exception_fp_ieee_div_zero 0
		.amdhsa_exception_fp_ieee_overflow 0
		.amdhsa_exception_fp_ieee_underflow 0
		.amdhsa_exception_fp_ieee_inexact 0
		.amdhsa_exception_int_div_zero 0
	.end_amdhsa_kernel
	.section	.text._ZN12_GLOBAL__N_139chunk_gated_delta_rule_fwd_h_hip_kernelILi16ELb1ELb0ELb0ELb0ELb0ELb1ELb1ELb1EEEvPK12hip_bfloat16S3_S3_PKfS5_PKvPS1_S8_PvPKiSB_iiiiilll,"axG",@progbits,_ZN12_GLOBAL__N_139chunk_gated_delta_rule_fwd_h_hip_kernelILi16ELb1ELb0ELb0ELb0ELb0ELb1ELb1ELb1EEEvPK12hip_bfloat16S3_S3_PKfS5_PKvPS1_S8_PvPKiSB_iiiiilll,comdat
.Lfunc_end588:
	.size	_ZN12_GLOBAL__N_139chunk_gated_delta_rule_fwd_h_hip_kernelILi16ELb1ELb0ELb0ELb0ELb0ELb1ELb1ELb1EEEvPK12hip_bfloat16S3_S3_PKfS5_PKvPS1_S8_PvPKiSB_iiiiilll, .Lfunc_end588-_ZN12_GLOBAL__N_139chunk_gated_delta_rule_fwd_h_hip_kernelILi16ELb1ELb0ELb0ELb0ELb0ELb1ELb1ELb1EEEvPK12hip_bfloat16S3_S3_PKfS5_PKvPS1_S8_PvPKiSB_iiiiilll
                                        ; -- End function
	.section	.AMDGPU.csdata,"",@progbits
; Kernel info:
; codeLenInByte = 7460
; NumSgprs: 73
; NumVgprs: 114
; NumAgprs: 12
; TotalNumVgprs: 128
; ScratchSize: 0
; MemoryBound: 0
; FloatMode: 240
; IeeeMode: 1
; LDSByteSize: 40960 bytes/workgroup (compile time only)
; SGPRBlocks: 9
; VGPRBlocks: 15
; NumSGPRsForWavesPerEU: 73
; NumVGPRsForWavesPerEU: 128
; AccumOffset: 116
; Occupancy: 1
; WaveLimiterHint : 1
; COMPUTE_PGM_RSRC2:SCRATCH_EN: 0
; COMPUTE_PGM_RSRC2:USER_SGPR: 2
; COMPUTE_PGM_RSRC2:TRAP_HANDLER: 0
; COMPUTE_PGM_RSRC2:TGID_X_EN: 1
; COMPUTE_PGM_RSRC2:TGID_Y_EN: 1
; COMPUTE_PGM_RSRC2:TGID_Z_EN: 0
; COMPUTE_PGM_RSRC2:TIDIG_COMP_CNT: 0
; COMPUTE_PGM_RSRC3_GFX90A:ACCUM_OFFSET: 28
; COMPUTE_PGM_RSRC3_GFX90A:TG_SPLIT: 0
	.section	.text._ZN12_GLOBAL__N_139chunk_gated_delta_rule_fwd_h_hip_kernelILi16ELb0ELb1ELb1ELb0ELb0ELb1ELb1ELb1EEEvPK12hip_bfloat16S3_S3_PKfS5_PKvPS1_S8_PvPKiSB_iiiiilll,"axG",@progbits,_ZN12_GLOBAL__N_139chunk_gated_delta_rule_fwd_h_hip_kernelILi16ELb0ELb1ELb1ELb0ELb0ELb1ELb1ELb1EEEvPK12hip_bfloat16S3_S3_PKfS5_PKvPS1_S8_PvPKiSB_iiiiilll,comdat
	.globl	_ZN12_GLOBAL__N_139chunk_gated_delta_rule_fwd_h_hip_kernelILi16ELb0ELb1ELb1ELb0ELb0ELb1ELb1ELb1EEEvPK12hip_bfloat16S3_S3_PKfS5_PKvPS1_S8_PvPKiSB_iiiiilll ; -- Begin function _ZN12_GLOBAL__N_139chunk_gated_delta_rule_fwd_h_hip_kernelILi16ELb0ELb1ELb1ELb0ELb0ELb1ELb1ELb1EEEvPK12hip_bfloat16S3_S3_PKfS5_PKvPS1_S8_PvPKiSB_iiiiilll
	.p2align	8
	.type	_ZN12_GLOBAL__N_139chunk_gated_delta_rule_fwd_h_hip_kernelILi16ELb0ELb1ELb1ELb0ELb0ELb1ELb1ELb1EEEvPK12hip_bfloat16S3_S3_PKfS5_PKvPS1_S8_PvPKiSB_iiiiilll,@function
_ZN12_GLOBAL__N_139chunk_gated_delta_rule_fwd_h_hip_kernelILi16ELb0ELb1ELb1ELb0ELb0ELb1ELb1ELb1EEEvPK12hip_bfloat16S3_S3_PKfS5_PKvPS1_S8_PvPKiSB_iiiiilll: ; @_ZN12_GLOBAL__N_139chunk_gated_delta_rule_fwd_h_hip_kernelILi16ELb0ELb1ELb1ELb0ELb0ELb1ELb1ELb1EEEvPK12hip_bfloat16S3_S3_PKfS5_PKvPS1_S8_PvPKiSB_iiiiilll
; %bb.0:
	s_load_dwordx4 s[12:15], s[0:1], 0x5c
	s_load_dwordx2 s[34:35], s[0:1], 0x40
	s_abs_i32 s22, s3
	s_ashr_i32 s21, s3, 31
	s_load_dwordx8 s[4:11], s[0:1], 0x0
	s_load_dwordx2 s[36:37], s[0:1], 0x20
	s_load_dwordx4 s[16:19], s[0:1], 0x30
	s_waitcnt lgkmcnt(0)
	s_abs_i32 s20, s13
	v_cvt_f32_u32_e32 v1, s20
	s_sub_i32 s24, 0, s20
	s_ashr_i32 s23, s13, 31
	s_xor_b32 s21, s21, s23
	v_rcp_iflag_f32_e32 v1, v1
	v_lshrrev_b32_e32 v45, 6, v0
	v_bfe_u32 v62, v0, 4, 2
	v_lshlrev_b32_e32 v60, 4, v45
	v_mul_f32_e32 v1, 0x4f7ffffe, v1
	v_cvt_u32_f32_e32 v1, v1
	v_lshlrev_b32_e32 v2, 2, v62
	v_and_b32_e32 v61, 63, v0
	v_mov_b32_e32 v49, 0
	v_readfirstlane_b32 s25, v1
	s_mul_i32 s24, s24, s25
	s_mul_hi_u32 s24, s25, s24
	s_add_i32 s25, s25, s24
	s_mul_hi_u32 s24, s22, s25
	s_mul_i32 s25, s24, s20
	s_sub_i32 s22, s22, s25
	s_add_i32 s25, s24, 1
	s_sub_i32 s26, s22, s20
	s_cmp_ge_u32 s22, s20
	s_cselect_b32 s24, s25, s24
	s_cselect_b32 s22, s26, s22
	s_add_i32 s25, s24, 1
	s_cmp_ge_u32 s22, s20
	s_cselect_b32 s22, s25, s24
	s_xor_b32 s22, s22, s21
	s_sub_i32 s52, s22, s21
	s_abs_i32 s21, s14
	v_cvt_f32_u32_e32 v1, s21
	s_ashr_i32 s51, s12, 31
	s_lshr_b32 s22, s51, 26
	s_add_i32 s22, s12, s22
	v_rcp_iflag_f32_e32 v1, v1
	s_ashr_i32 s54, s14, 31
	s_ashr_i32 s53, s22, 6
	s_xor_b32 s22, s23, s54
	v_mul_f32_e32 v1, 0x4f7ffffe, v1
	v_cvt_u32_f32_e32 v1, v1
	s_sub_i32 s23, 0, s21
	s_mul_i32 s50, s52, s13
	s_sub_i32 s33, s3, s50
	v_readfirstlane_b32 s24, v1
	s_mul_i32 s23, s23, s24
	s_mul_hi_u32 s23, s24, s23
	s_add_i32 s24, s24, s23
	s_mul_hi_u32 s23, s20, s24
	s_mul_i32 s24, s23, s21
	s_sub_i32 s20, s20, s24
	s_add_i32 s3, s12, 63
	s_add_i32 s24, s23, 1
	s_sub_i32 s25, s20, s21
	s_cmp_ge_u32 s20, s21
	s_cselect_b32 s23, s24, s23
	s_cselect_b32 s20, s25, s20
	s_add_i32 s24, s23, 1
	s_cmp_ge_u32 s20, s21
	s_cselect_b32 s20, s24, s23
	s_xor_b32 s20, s20, s22
	s_sub_i32 s24, s20, s22
	s_abs_i32 s25, s24
	v_cvt_f32_u32_e32 v1, s25
	s_load_dwordx2 s[38:39], s[0:1], 0x80
	s_load_dwordx4 s[20:23], s[0:1], 0x70
	s_xor_b32 s0, s33, s24
	s_sub_i32 s24, 0, s25
	v_rcp_iflag_f32_e32 v1, v1
	s_abs_i32 s1, s33
	s_ashr_i32 s0, s0, 31
	s_mul_i32 s48, s52, s12
	v_mul_f32_e32 v1, 0x4f7ffffe, v1
	v_cvt_u32_f32_e32 v1, v1
	v_and_b32_e32 v63, 15, v0
	s_mul_hi_i32 s56, s52, s13
	v_lshrrev_b32_e32 v65, 3, v61
	v_readfirstlane_b32 s26, v1
	s_mul_i32 s24, s24, s26
	s_mul_hi_u32 s24, s26, s24
	s_add_i32 s26, s26, s24
	s_mul_hi_u32 s24, s1, s26
	s_mul_i32 s26, s24, s25
	s_sub_i32 s1, s1, s26
	s_add_i32 s26, s24, 1
	s_sub_i32 s27, s1, s25
	s_cmp_ge_u32 s1, s25
	s_cselect_b32 s24, s26, s24
	s_cselect_b32 s1, s27, s1
	s_add_i32 s26, s24, 1
	s_cmp_ge_u32 s1, s25
	s_cselect_b32 s1, s26, s24
	s_xor_b32 s1, s1, s0
	s_sub_i32 s57, s1, s0
	s_ashr_i32 s0, s3, 31
	s_lshr_b32 s0, s0, 26
	s_add_i32 s3, s3, s0
	v_or_b32_e32 v1, v2, v60
	s_ashr_i32 s0, s3, 6
	s_lshl_b32 s2, s2, 4
	s_mul_i32 s55, s52, s0
	v_or_b32_e32 v66, 64, v1
	s_cmp_lt_i32 s12, 64
	v_lshlrev_b32_e32 v64, 3, v0
	s_waitcnt lgkmcnt(0)
	s_mul_i32 s21, s52, s21
	s_mul_hi_u32 s49, s52, s20
	s_mul_i32 s40, s52, s20
	v_mov_b32_e32 v48, v49
	v_mov_b32_e32 v51, v49
	;; [unrolled: 1-line block ×7, first 2 shown]
	s_cbranch_scc1 .LBB589_18
; %bb.1:
	s_ashr_i32 s3, s52, 31
	s_ashr_i32 s59, s33, 31
	s_add_u32 s0, s50, s33
	s_addc_u32 s1, s56, s59
	s_mul_i32 s1, s12, s1
	s_mul_hi_u32 s24, s12, s0
	s_add_i32 s43, s24, s1
	s_mul_i32 s42, s12, s0
	s_lshl_b64 s[0:1], s[42:43], 8
	v_and_b32_e32 v68, 56, v64
	s_add_u32 s24, s6, s0
	v_lshl_or_b32 v67, v45, 3, v65
	v_lshlrev_b32_e32 v3, 1, v68
	s_addc_u32 s0, s7, s1
	v_lshl_or_b32 v69, v67, 8, v3
	s_and_b32 s25, s0, 0xffff
	s_mov_b32 s27, 0x20000
	s_movk_i32 s26, 0x4000
	s_movk_i32 s0, 0x80
	v_or_b32_e32 v70, 0x2000, v69
	buffer_load_dwordx4 v[4:7], v69, s[24:27], 0 offen
	buffer_load_dwordx4 v[8:11], v69, s[24:27], s0 offen
	;; [unrolled: 1-line block ×4, first 2 shown]
	v_lshlrev_b32_e32 v20, 3, v67
	v_and_or_b32 v22, v0, 7, v20
	v_and_b32_e32 v20, 0x78, v20
	v_lshlrev_b32_e32 v22, 4, v22
	v_xor_b32_e32 v71, v22, v20
	v_mul_lo_u32 v21, v67, s15
	v_or_b32_e32 v72, 0x1000, v71
	s_cmpk_eq_i32 s15, 0x80
	s_mov_b32 s58, s14
	v_xor_b32_e32 v20, 8, v71
	v_xor_b32_e32 v22, 8, v72
	s_cselect_b64 s[0:1], -1, 0
	s_cmpk_lg_i32 s15, 0x80
	s_waitcnt vmcnt(3)
	ds_write_b64 v71, v[4:5] offset:16384
	ds_write_b64 v20, v[6:7] offset:16384
	s_waitcnt vmcnt(2)
	ds_write_b64 v71, v[8:9] offset:24576
	ds_write_b64 v20, v[10:11] offset:24576
	;; [unrolled: 3-line block ×4, first 2 shown]
	v_lshl_add_u32 v4, v21, 1, v68
	s_cbranch_scc0 .LBB589_3
; %bb.2:
	v_lshlrev_b32_e32 v6, 1, v4
	v_add_lshl_u32 v5, v4, s15, 1
	s_lshl_b32 s26, s15, 7
	v_lshl_or_b32 v3, v67, 9, v3
	s_cbranch_execz .LBB589_4
	s_branch .LBB589_5
.LBB589_3:
                                        ; implicit-def: $vgpr5
                                        ; implicit-def: $vgpr6
                                        ; implicit-def: $sgpr26
	v_lshl_or_b32 v3, v67, 9, v3
.LBB589_4:
	v_or_b32_e32 v5, 0x100, v3
	s_movk_i32 s26, 0x4000
	v_mov_b32_e32 v6, v3
.LBB589_5:
	s_mul_hi_u32 s24, s14, s12
	s_mul_i32 s25, s54, s12
	s_add_i32 s24, s24, s25
	s_mul_i32 s25, s14, s12
	s_mul_i32 s27, s25, s3
	s_mul_hi_u32 s28, s25, s52
	s_add_i32 s27, s28, s27
	s_mul_i32 s24, s24, s52
	s_add_i32 s27, s27, s24
	s_mul_i32 s25, s25, s52
	s_ashr_i32 s60, s57, 31
	s_add_u32 s24, s25, s57
	s_addc_u32 s25, s27, s60
	s_lshl_b64 s[24:25], s[24:25], 8
	s_add_u32 s24, s4, s24
	s_addc_u32 s25, s5, s25
	s_and_b32 s25, s25, 0xffff
	s_mov_b32 s27, 0x20000
	s_movk_i32 s61, 0x80
	buffer_load_dwordx4 v[8:11], v6, s[24:27], 0 offen
	buffer_load_dwordx4 v[12:15], v6, s[24:27], s61 offen
	;; [unrolled: 1-line block ×4, first 2 shown]
	v_and_b32_e32 v5, 6, v0
	s_mul_i32 s24, s3, s12
	s_mul_hi_u32 s25, s52, s12
	v_lshlrev_b32_e32 v7, 2, v63
	v_lshlrev_b32_e32 v24, 3, v63
	v_xor_b32_e32 v26, v67, v5
	v_and_b32_e32 v6, 1, v0
	s_mul_i32 s3, s3, s20
	v_lshl_or_b32 v24, v1, 5, v24
	v_xor_b32_e32 v27, v1, v7
	v_lshlrev_b32_e32 v26, 2, v26
	s_add_i32 s65, s25, s24
	s_add_i32 s24, s49, s21
	s_mul_i32 s28, s33, s23
	v_or_b32_e32 v73, 0x9000, v24
	v_or_b32_e32 v74, 0x9800, v24
	v_lshlrev_b32_e32 v24, 1, v27
	v_xor_b32_e32 v27, 0x440, v26
	v_cmp_eq_u32_e32 vcc, 0, v6
	s_add_i32 s41, s24, s3
	s_mul_hi_u32 s3, s33, s22
	v_cndmask_b32_e32 v6, v27, v26, vcc
	s_add_i32 s3, s3, s28
	s_mul_i32 s24, s59, s22
	s_mov_b32 s63, 0x1000504
	v_lshlrev_b32_e32 v25, 8, v63
	s_mov_b32 s26, 0x8000
	v_xor_b32_e32 v7, v66, v7
	v_lshl_or_b32 v5, v5, 10, v6
	s_add_i32 s25, s3, s24
	s_lshl_b64 s[28:29], s[40:41], 2
	s_mov_b32 s64, 0x3020706
	v_lshlrev_b32_e32 v7, 1, v7
	v_or3_b32 v75, v24, v25, s26
	v_xor_b32_e32 v6, 8, v5
	v_xor_b32_e32 v24, 24, v5
	;; [unrolled: 1-line block ×4, first 2 shown]
	s_mul_i32 s24, s33, s22
	s_add_u32 s3, s10, s28
	v_or3_b32 v76, v7, v25, s26
	v_xor_b32_e32 v7, 16, v5
	v_xor_b32_e32 v25, 32, v5
	;; [unrolled: 1-line block ×3, first 2 shown]
	v_add_u32_e32 v6, 0x80, v6
	v_add_u32_e32 v24, 0x80, v24
	;; [unrolled: 1-line block ×4, first 2 shown]
	s_addc_u32 s28, s11, s29
	s_lshl_b64 s[24:25], s[24:25], 2
	s_add_u32 s44, s3, s24
	s_movk_i32 s3, 0xf8
	s_addc_u32 s45, s28, s25
	s_lshl_b32 s30, s15, 7
	v_mov_b32_e32 v47, 0
	s_mov_b32 s62, 0
	v_add_u32_e32 v87, v60, v2
	s_mov_b32 s41, 0x7060302
	v_mov_b32_e32 v98, 0x3fb8aa3b
	s_mov_b32 s67, 0
	v_mov_b32_e32 v52, v47
	v_mov_b32_e32 v53, v47
	;; [unrolled: 1-line block ×6, first 2 shown]
	s_waitcnt vmcnt(1)
	v_perm_b32 v29, v8, v16, s63
	s_waitcnt vmcnt(0)
	v_perm_b32 v30, v12, v20, s63
	v_perm_b32 v8, v8, v16, s64
	;; [unrolled: 1-line block ×15, first 2 shown]
	ds_write2st64_b32 v5, v29, v30 offset1:32
	ds_write2st64_b32 v6, v8, v12 offset1:32
	ds_write2st64_b32 v7, v16, v20 offset0:1 offset1:33
	ds_write2st64_b32 v24, v9, v13 offset0:1 offset1:33
	;; [unrolled: 1-line block ×6, first 2 shown]
	v_or_b32_e32 v5, v60, v63
	v_lshlrev_b32_e32 v5, 3, v5
	v_lshrrev_b32_e32 v7, 5, v61
	v_and_or_b32 v7, v5, s3, v7
	v_lshlrev_b32_e32 v7, 4, v7
	v_lshrrev_b32_e32 v6, 2, v61
	v_lshlrev_b32_e32 v11, 11, v45
	v_and_b32_e32 v5, 0x78, v5
	v_or_b32_e32 v12, 32, v7
	v_and_b32_e32 v10, 12, v6
	v_and_b32_e32 v6, 0x1000, v11
	v_lshrrev_b32_e32 v9, 1, v61
	v_xor_b32_e32 v12, v12, v5
	v_and_b32_e32 v9, 8, v9
	v_or_b32_e32 v12, v12, v6
	v_xor_b32_e32 v8, v7, v5
	v_xor_b32_e32 v79, v12, v9
	v_or_b32_e32 v12, 64, v7
	v_or_b32_e32 v7, 0x60, v7
	v_xor_b32_e32 v12, v12, v5
	v_xor_b32_e32 v5, v7, v5
	v_or_b32_e32 v5, v5, v6
	v_or_b32_e32 v12, v12, v6
	v_xor_b32_e32 v81, v5, v9
	s_ashr_i32 s3, s2, 31
	v_lshlrev_b32_e32 v5, 1, v63
	v_xor_b32_e32 v80, v12, v9
	v_lshlrev_b32_e32 v12, 1, v4
	v_add_lshl_u32 v13, v4, s15, 1
	v_lshrrev_b32_e32 v4, 4, v0
	s_lshl_b64 s[24:25], s[2:3], 8
	v_or_b32_e32 v15, 1, v5
	s_add_u32 s24, s16, s24
	v_xor_b32_e32 v5, v4, v5
	v_xor_b32_e32 v15, v15, v4
	s_addc_u32 s25, s17, s25
	v_lshlrev_b32_e32 v5, 3, v5
	v_lshlrev_b32_e32 v46, 8, v4
	;; [unrolled: 1-line block ×3, first 2 shown]
	v_lshrrev_b32_e32 v19, 1, v0
	v_or3_b32 v83, v5, v46, s26
	v_or3_b32 v84, v4, v46, s26
	v_lshl_add_u64 v[4:5], s[24:25], 0, v[46:47]
	v_lshlrev_b32_e32 v46, 4, v63
	s_movk_i32 s3, 0xff
	v_lshlrev_b32_e32 v18, 3, v45
	v_and_b32_e32 v19, 24, v19
	v_lshl_add_u64 v[54:55], v[4:5], 0, v[46:47]
	v_and_b32_e32 v5, 8, v0
	v_cmp_lt_u32_e32 vcc, s3, v0
	v_xor_b32_e32 v20, v18, v19
	v_or_b32_e32 v21, 0x440, v20
	v_cndmask_b32_e64 v17, 0, 1, vcc
	v_cmp_eq_u32_e32 vcc, 0, v5
	v_or_b32_e32 v23, 64, v19
	v_xor_b32_e32 v23, v18, v23
	v_cndmask_b32_e32 v5, v21, v20, vcc
	v_or_b32_e32 v21, 32, v19
	v_or_b32_e32 v19, 0x60, v19
	v_xor_b32_e32 v21, v18, v21
	v_xor_b32_e32 v18, v18, v19
	v_or_b32_e32 v22, 0x440, v21
	v_xor_b32_e32 v24, 0x440, v23
	v_xor_b32_e32 v19, 0x440, v18
	v_or_b32_e32 v8, v8, v6
	v_or_b32_e32 v6, s2, v63
	v_and_b32_e32 v4, 7, v0
	v_cndmask_b32_e32 v21, v22, v21, vcc
	v_cndmask_b32_e32 v23, v24, v23, vcc
	;; [unrolled: 1-line block ×3, first 2 shown]
	v_xor_b32_e32 v77, v8, v9
	v_and_b32_e32 v8, 0x78, v64
	v_ashrrev_i32_e32 v7, 31, v6
	v_lshlrev_b32_e32 v15, 3, v4
	v_or_b32_e32 v5, v5, v11
	v_or_b32_e32 v21, v21, v11
	;; [unrolled: 1-line block ×4, first 2 shown]
	v_lshl_or_b32 v8, v62, 7, v8
	v_lshlrev_b64 v[6:7], 1, v[6:7]
	v_lshlrev_b32_e32 v17, 13, v17
	v_xor_b32_e32 v5, v5, v15
	v_xor_b32_e32 v21, v21, v15
	;; [unrolled: 1-line block ×4, first 2 shown]
	v_or_b32_e32 v78, 0x9000, v8
	v_or_b32_e32 v82, 0x9800, v8
	v_lshl_add_u64 v[8:9], s[8:9], 0, v[6:7]
	v_lshl_add_u64 v[6:7], s[18:19], 0, v[6:7]
	v_or_b32_e32 v14, 0x100, v3
	v_lshlrev_b32_e32 v16, 7, v4
	v_or_b32_e32 v4, v10, v60
	v_add_u32_e32 v20, v17, v5
	v_add_u32_e32 v22, v17, v21
	;; [unrolled: 1-line block ×4, first 2 shown]
	v_or3_b32 v10, v60, v10, 64
	v_add_u32_e32 v5, 0x2000, v5
	v_add_u32_e32 v17, 0x2000, v21
	;; [unrolled: 1-line block ×4, first 2 shown]
	v_lshlrev_b32_e32 v46, 8, v1
	v_cndmask_b32_e64 v85, v12, v3, s[0:1]
	v_cndmask_b32_e64 v86, v13, v14, s[0:1]
	v_lshl_add_u64 v[56:57], v[8:9], 0, v[46:47]
	v_lshl_add_u64 v[58:59], v[6:7], 0, v[46:47]
	s_add_i32 s3, s48, 63
	s_movk_i32 s26, 0x4000
	v_lshlrev_b32_e32 v88, 2, v4
	v_add_u32_e32 v89, v20, v16
	v_add_u32_e32 v90, v22, v16
	;; [unrolled: 1-line block ×4, first 2 shown]
	v_lshlrev_b32_e32 v93, 2, v10
	v_add_u32_e32 v94, v5, v16
	v_add_u32_e32 v95, v17, v16
	v_add_u32_e32 v96, v18, v16
	v_add_u32_e32 v97, v11, v16
	v_mov_b32_e32 v46, v47
	s_waitcnt lgkmcnt(0)
	s_barrier
.LBB589_6:                              ; =>This Inner Loop Header: Depth=1
	s_add_i32 s66, s67, 1
	s_cmp_lt_i32 s66, s53
	s_mov_b64 s[28:29], 0
	s_cselect_b64 s[46:47], -1, 0
	s_cmp_ge_i32 s66, s53
	s_mov_b64 s[24:25], 0
	s_cbranch_scc1 .LBB589_8
; %bb.7:                                ;   in Loop: Header=BB589_6 Depth=1
	s_add_i32 s0, s62, 64
	s_add_u32 s0, s42, s0
	s_addc_u32 s1, s43, 0
	s_lshl_b64 s[0:1], s[0:1], 8
	s_add_u32 s24, s6, s0
	s_addc_u32 s25, s7, s1
.LBB589_8:                              ;   in Loop: Header=BB589_6 Depth=1
	v_cndmask_b32_e64 v2, 0, 1, s[46:47]
	v_cmp_ne_u32_e64 s[0:1], 1, v2
	s_andn2_b64 vcc, exec, s[46:47]
	s_cbranch_vccnz .LBB589_10
; %bb.9:                                ;   in Loop: Header=BB589_6 Depth=1
	s_add_i32 s28, s62, 64
	s_add_u32 s28, s48, s28
	s_addc_u32 s29, s65, 0
	s_mul_i32 s31, s28, s54
	s_mul_hi_u32 s46, s28, s58
	s_add_i32 s31, s46, s31
	s_mul_i32 s29, s29, s58
	s_add_i32 s31, s31, s29
	s_mul_i32 s28, s28, s58
	s_add_u32 s28, s28, s57
	s_addc_u32 s29, s31, s60
	s_lshl_b64 s[28:29], s[28:29], 8
	s_add_u32 s28, s4, s28
	s_addc_u32 s29, s5, s29
.LBB589_10:                             ;   in Loop: Header=BB589_6 Depth=1
	v_perm_b32 v3, v53, v52, s41
	v_perm_b32 v2, v47, v46, s41
	;; [unrolled: 1-line block ×4, first 2 shown]
	ds_write_b64 v73, v[2:3]
	ds_write_b64 v74, v[4:5]
	;; [unrolled: 1-line block ×4, first 2 shown]
	s_waitcnt lgkmcnt(0)
	s_barrier
	ds_read_b64 v[10:11], v77 offset:16384
	ds_read_b64 v[12:13], v79 offset:16384
	ds_read2st64_b64 v[2:5], v78 offset1:1
	ds_read2st64_b64 v[6:9], v78 offset0:2 offset1:3
	ds_read_b64 v[14:15], v80 offset:16384
	s_waitcnt lgkmcnt(2)
	v_mfma_f32_16x16x16_bf16 a[0:3], v[10:11], v[2:3], 0
	ds_read_b64 v[2:3], v81 offset:16384
	s_add_i32 s31, s62, 63
	s_mul_i32 s46, s31, s39
	v_mfma_f32_16x16x16_bf16 a[0:3], v[12:13], v[4:5], a[0:3]
	s_mul_hi_u32 s47, s31, s38
	s_add_i32 s47, s47, s46
	s_mul_i32 s46, s31, s38
	s_waitcnt lgkmcnt(1)
	v_mfma_f32_16x16x16_bf16 a[0:3], v[14:15], v[6:7], a[0:3]
	s_lshl_b64 s[46:47], s[46:47], 2
	s_add_u32 s46, s44, s46
	s_addc_u32 s47, s45, s47
	s_waitcnt lgkmcnt(0)
	v_mfma_f32_16x16x16_bf16 a[0:3], v[2:3], v[8:9], a[0:3]
	s_and_b64 vcc, exec, s[0:1]
	v_mov_b32_e32 v101, 0
	v_mov_b32_e32 v100, 0
	;; [unrolled: 1-line block ×19, first 2 shown]
	s_cbranch_vccnz .LBB589_12
; %bb.11:                               ;   in Loop: Header=BB589_6 Depth=1
	s_and_b32 s25, s25, 0xffff
	buffer_load_dwordx4 v[14:17], v69, s[24:27], 0 offen
	buffer_load_dwordx4 v[10:13], v69, s[24:27], s61 offen
	;; [unrolled: 1-line block ×4, first 2 shown]
	v_mov_b32_e32 v100, v71
	v_mov_b32_e32 v99, v72
.LBB589_12:                             ;   in Loop: Header=BB589_6 Depth=1
	v_add_u32_e32 v24, s62, v87
	v_ashrrev_i32_e32 v18, 31, v24
	v_mul_lo_u32 v20, v18, s38
	v_mul_lo_u32 v21, v24, s39
	v_mad_u64_u32 v[18:19], s[24:25], v24, s38, 0
	v_add3_u32 v19, v19, v21, v20
	v_add_u32_e32 v20, 1, v24
	v_ashrrev_i32_e32 v21, 31, v20
	v_mul_lo_u32 v22, v21, s38
	v_mul_lo_u32 v23, v20, s39
	v_mad_u64_u32 v[20:21], s[24:25], v20, s38, 0
	v_add3_u32 v21, v21, v23, v22
	v_add_u32_e32 v22, 2, v24
	v_ashrrev_i32_e32 v23, 31, v22
	v_mul_lo_u32 v25, v23, s38
	v_mul_lo_u32 v26, v22, s39
	v_mad_u64_u32 v[22:23], s[24:25], v22, s38, 0
	s_add_u32 s24, s42, s62
	v_add3_u32 v23, v23, v26, v25
	v_add_u32_e32 v26, 3, v24
	s_addc_u32 s25, s43, 0
	v_ashrrev_i32_e32 v24, 31, v26
	s_lshl_b64 s[68:69], s[24:25], 8
	v_lshl_add_u64 v[18:19], v[18:19], 2, s[44:45]
	v_mul_lo_u32 v27, v24, s38
	v_lshl_add_u64 v[24:25], v[56:57], 0, s[68:69]
	v_mul_lo_u32 v28, v26, s39
	global_load_ushort v34, v[24:25], off
	global_load_ushort v35, v[24:25], off offset:256
	global_load_ushort v36, v[24:25], off offset:512
	;; [unrolled: 1-line block ×3, first 2 shown]
	global_load_dword v38, v[18:19], off
	v_mad_u64_u32 v[18:19], s[24:25], v26, s38, 0
	v_lshl_add_u64 v[20:21], v[20:21], 2, s[44:45]
	v_add3_u32 v19, v19, v28, v27
	v_lshl_add_u64 v[22:23], v[22:23], 2, s[44:45]
	v_lshl_add_u64 v[18:19], v[18:19], 2, s[44:45]
	global_load_dword v39, v[20:21], off
	global_load_dword v40, v[22:23], off
	;; [unrolled: 1-line block ×3, first 2 shown]
	ds_read_b64 v[18:19], v77 offset:24576
	s_load_dword s24, s[46:47], 0x0
	ds_read_b64 v[28:29], v79 offset:24576
	ds_read2st64_b64 v[20:23], v82 offset1:1
	ds_read2st64_b64 v[24:27], v82 offset0:2 offset1:3
	ds_read_b64 v[30:31], v80 offset:24576
	ds_read_b64 v[32:33], v81 offset:24576
	s_waitcnt lgkmcnt(0)
	v_mfma_f32_16x16x16_bf16 a[0:3], v[18:19], v[20:21], a[0:3]
	v_mov_b32_e32 v102, 0
	v_mov_b32_e32 v18, 0
	;; [unrolled: 1-line block ×3, first 2 shown]
	v_mfma_f32_16x16x16_bf16 a[0:3], v[28:29], v[22:23], a[0:3]
	v_lshl_add_u64 v[28:29], v[58:59], 0, s[68:69]
	v_mov_b32_e32 v20, 0
	v_mov_b32_e32 v21, 0
	v_mfma_f32_16x16x16_bf16 a[0:3], v[30:31], v[24:25], a[0:3]
	v_mov_b32_e32 v22, 0
	v_mov_b32_e32 v23, 0
	;; [unrolled: 1-line block ×3, first 2 shown]
	v_mfma_f32_16x16x16_bf16 a[0:3], v[32:33], v[26:27], a[0:3]
	s_and_b64 vcc, exec, s[0:1]
	s_waitcnt vmcnt(7)
	v_lshlrev_b32_e32 v32, 16, v34
	s_nop 3
	v_accvgpr_read_b32 v31, a1
	v_accvgpr_read_b32 v27, a3
	;; [unrolled: 1-line block ×4, first 2 shown]
	s_waitcnt vmcnt(6)
	v_lshlrev_b32_e32 v33, 16, v35
	s_waitcnt vmcnt(4)
	v_lshlrev_b32_e32 v35, 16, v37
	v_lshlrev_b32_e32 v34, 16, v36
	s_waitcnt vmcnt(3)
	v_sub_f32_e32 v25, s24, v38
	v_pk_add_f32 v[30:31], v[32:33], v[30:31] neg_lo:[0,1] neg_hi:[0,1]
	v_pk_add_f32 v[26:27], v[34:35], v[26:27] neg_lo:[0,1] neg_hi:[0,1]
	v_mul_f32_e32 v25, 0x3fb8aa3b, v25
	s_waitcnt vmcnt(2)
	v_sub_f32_e32 v33, s24, v39
	s_waitcnt vmcnt(1)
	v_sub_f32_e32 v34, s24, v40
	;; [unrolled: 2-line block ×3, first 2 shown]
	v_exp_f32_e32 v32, v25
	v_mul_f32_e32 v25, 0x3fb8aa3b, v33
	v_mul_f32_e32 v34, 0x3fb8aa3b, v34
	;; [unrolled: 1-line block ×3, first 2 shown]
	v_exp_f32_e32 v33, v25
	v_exp_f32_e32 v34, v34
	;; [unrolled: 1-line block ×3, first 2 shown]
	global_store_short_d16_hi v[28:29], v30, off
	global_store_short_d16_hi v[28:29], v31, off offset:256
	global_store_short_d16_hi v[28:29], v26, off offset:512
	;; [unrolled: 1-line block ×3, first 2 shown]
	v_pk_mul_f32 v[28:29], v[32:33], v[30:31]
	v_pk_mul_f32 v[26:27], v[34:35], v[26:27]
	v_mov_b32_e32 v25, 0
	v_perm_b32 v27, v27, v26, s41
	v_perm_b32 v26, v29, v28, s41
	ds_write_b64 v74, v[26:27]
	v_mov_b32_e32 v26, 0
	v_mov_b32_e32 v27, 0
	;; [unrolled: 1-line block ×8, first 2 shown]
	s_cbranch_vccnz .LBB589_14
; %bb.13:                               ;   in Loop: Header=BB589_6 Depth=1
	s_and_b32 s29, s29, 0xffff
	s_mov_b32 s31, s27
	buffer_load_dwordx4 v[30:33], v85, s[28:31], 0 offen
	buffer_load_dwordx4 v[22:25], v85, s[28:31], s61 offen
	;; [unrolled: 1-line block ×4, first 2 shown]
	v_mov_b32_e32 v101, v68
	v_mov_b32_e32 v102, v67
.LBB589_14:                             ;   in Loop: Header=BB589_6 Depth=1
	s_waitcnt lgkmcnt(0)
	s_barrier
	ds_read_b64 v[34:35], v89
	ds_read_b64 v[40:41], v90
	ds_read2st64_b64 v[36:39], v82 offset1:1
	ds_read2st64_b64 v[104:107], v82 offset0:2 offset1:3
	ds_read_b64 v[42:43], v91
	ds_read_b64 v[112:113], v92
	s_add_i32 s25, s55, s67
	s_mul_hi_i32 s29, s25, s13
	s_mul_i32 s25, s25, s13
	s_waitcnt lgkmcnt(3)
	v_mfma_f32_16x16x16_bf16 a[0:3], v[34:35], v[36:37], 0
	ds_read_b64 v[34:35], v94
	s_add_u32 s28, s25, s33
	s_addc_u32 s29, s29, s59
	s_add_i32 s25, s3, s62
	v_mfma_f32_16x16x16_bf16 a[0:3], v[40:41], v[38:39], a[0:3]
	ds_read_b64 v[40:41], v95
	s_lshl_b64 s[28:29], s[28:29], 15
	s_mul_hi_i32 s31, s25, s13
	s_mul_i32 s25, s25, s13
	s_add_u32 s46, s25, s33
	s_addc_u32 s47, s31, s59
	s_lshl_b64 s[46:47], s[46:47], 9
	s_add_u32 s46, s36, s46
	s_waitcnt lgkmcnt(1)
	v_mfma_f32_16x16x16_bf16 a[4:7], v[34:35], v[36:37], 0
	s_addc_u32 s47, s37, s47
	s_and_b64 vcc, exec, s[0:1]
	v_mfma_f32_16x16x16_bf16 a[0:3], v[42:43], v[104:105], a[0:3]
	ds_read_b64 v[42:43], v96
	ds_read_b64 v[114:115], v97
	global_load_dwordx4 v[34:37], v93, s[46:47]
	s_waitcnt lgkmcnt(2)
	v_mfma_f32_16x16x16_bf16 a[4:7], v[40:41], v[38:39], a[4:7]
	global_load_dwordx4 v[38:41], v88, s[46:47]
	ds_read_b64 v[108:109], v83
	ds_read_b64 v[110:111], v84
	s_waitcnt lgkmcnt(3)
	v_mfma_f32_16x16x16_bf16 a[8:11], v[42:43], v[104:105], a[4:7]
	v_lshl_add_u64 v[42:43], v[54:55], 0, s[28:29]
	s_waitcnt lgkmcnt(0)
	global_store_dwordx4 v[42:43], v[108:111], off
	v_mfma_f32_16x16x16_bf16 a[4:7], v[112:113], v[106:107], a[0:3]
	s_waitcnt vmcnt(2)
	v_mov_b32_e32 v44, v37
	v_mfma_f32_16x16x16_bf16 a[0:3], v[114:115], v[106:107], a[8:11]
	v_mov_b32_e32 v43, v36
	v_mov_b32_e32 v42, v35
	s_cbranch_vccnz .LBB589_16
; %bb.15:                               ;   in Loop: Header=BB589_6 Depth=1
	v_lshrrev_b32_e32 v35, 3, v101
	v_and_b32_e32 v35, 6, v35
	v_xor_b32_e32 v36, v35, v102
	v_lshlrev_b32_e32 v36, 2, v36
	v_and_b32_e32 v37, 8, v101
	v_xor_b32_e32 v101, 0x440, v36
	v_cmp_eq_u32_e32 vcc, 0, v37
	v_perm_b32 v37, v22, v18, s63
	s_nop 0
	v_cndmask_b32_e32 v36, v101, v36, vcc
	v_lshl_or_b32 v35, v35, 10, v36
	v_perm_b32 v36, v30, v26, s63
	s_barrier
	ds_write2st64_b32 v35, v36, v37 offset1:32
	v_xor_b32_e32 v36, 8, v35
	v_perm_b32 v26, v30, v26, s64
	v_perm_b32 v18, v22, v18, s64
	v_add_u32_e32 v22, 0x80, v36
	ds_write2st64_b32 v22, v26, v18 offset1:32
	v_xor_b32_e32 v18, 16, v35
	v_perm_b32 v22, v31, v27, s63
	v_perm_b32 v26, v23, v19, s63
	ds_write2st64_b32 v18, v22, v26 offset0:1 offset1:33
	v_xor_b32_e32 v18, 24, v35
	v_perm_b32 v22, v31, v27, s64
	v_perm_b32 v19, v23, v19, s64
	v_add_u32_e32 v18, 0x80, v18
	ds_write2st64_b32 v18, v22, v19 offset0:1 offset1:33
	v_xor_b32_e32 v18, 32, v35
	v_perm_b32 v19, v32, v28, s63
	v_perm_b32 v22, v24, v20, s63
	ds_write2st64_b32 v18, v19, v22 offset0:2 offset1:34
	v_xor_b32_e32 v18, 40, v35
	v_perm_b32 v19, v32, v28, s64
	v_perm_b32 v20, v24, v20, s64
	v_add_u32_e32 v18, 0x80, v18
	ds_write2st64_b32 v18, v19, v20 offset0:2 offset1:34
	;; [unrolled: 9-line block ×3, first 2 shown]
	ds_write_b64 v100, v[14:15] offset:16384
	v_xor_b32_e32 v14, 8, v100
	ds_write_b64 v14, v[16:17] offset:16384
	ds_write_b64 v100, v[10:11] offset:24576
	;; [unrolled: 1-line block ×4, first 2 shown]
	v_xor_b32_e32 v6, 8, v99
	ds_write_b64 v6, v[8:9] offset:16384
	ds_write_b64 v99, v[2:3] offset:24576
	;; [unrolled: 1-line block ×3, first 2 shown]
.LBB589_16:                             ;   in Loop: Header=BB589_6 Depth=1
	v_mul_f32_e32 v6, s24, v98
	v_exp_f32_e32 v10, v6
	s_waitcnt vmcnt(1)
	v_mul_f32_e32 v6, 0x3fb8aa3b, v38
	v_exp_f32_e32 v12, v6
	v_mul_f32_e32 v6, 0x3fb8aa3b, v39
	v_exp_f32_e32 v13, v6
	v_mul_f32_e32 v6, 0x3fb8aa3b, v40
	v_exp_f32_e32 v14, v6
	v_mul_f32_e32 v6, 0x3fb8aa3b, v41
	v_exp_f32_e32 v15, v6
	v_accvgpr_read_b32 v2, a4
	v_accvgpr_read_b32 v3, a5
	v_pk_mul_f32 v[12:13], v[10:11], v[12:13] op_sel_hi:[0,1]
	v_pk_fma_f32 v[46:47], v[46:47], v[12:13], v[2:3]
	v_pk_mul_f32 v[2:3], v[10:11], v[14:15] op_sel_hi:[0,1]
	v_mul_f32_e32 v11, 0x3fb8aa3b, v34
	v_exp_f32_e32 v12, v11
	v_mul_f32_e32 v11, 0x3fb8aa3b, v42
	v_exp_f32_e32 v13, v11
	;; [unrolled: 2-line block ×4, first 2 shown]
	v_accvgpr_read_b32 v4, a6
	v_accvgpr_read_b32 v5, a7
	;; [unrolled: 1-line block ×5, first 2 shown]
	v_pk_fma_f32 v[52:53], v[52:53], v[2:3], v[4:5]
	v_pk_mul_f32 v[2:3], v[10:11], v[12:13] op_sel_hi:[0,1]
	v_accvgpr_read_b32 v8, a2
	v_pk_fma_f32 v[50:51], v[50:51], v[2:3], v[6:7]
	v_pk_mul_f32 v[2:3], v[10:11], v[14:15] op_sel_hi:[0,1]
	s_add_i32 s62, s62, 64
	s_cmp_eq_u32 s53, s66
	v_pk_fma_f32 v[48:49], v[48:49], v[2:3], v[8:9]
	s_cbranch_scc1 .LBB589_18
; %bb.17:                               ;   in Loop: Header=BB589_6 Depth=1
	s_mov_b32 s67, s66
	s_branch .LBB589_6
.LBB589_18:
	s_lshl_b32 s46, s53, 6
	s_sub_i32 s47, s12, s46
	s_cmp_gt_i32 s47, 0
	v_or_b32_e32 v26, s2, v63
	s_cbranch_scc1 .LBB589_20
; %bb.19:
	s_ashr_i32 s0, s33, 31
	s_add_u32 s28, s50, s33
	s_addc_u32 s29, s56, s0
	v_or_b32_e32 v2, s2, v63
	s_cbranch_execz .LBB589_21
	s_branch .LBB589_77
.LBB589_20:
                                        ; implicit-def: $sgpr28_sgpr29
                                        ; implicit-def: $vgpr2
.LBB589_21:
	s_ashr_i32 s41, s52, 31
	s_ashr_i32 s3, s46, 31
	s_cmpk_lg_i32 s15, 0x80
	s_cselect_b64 s[42:43], -1, 0
	s_and_b64 vcc, exec, s[42:43]
	s_cbranch_vccz .LBB589_23
; %bb.22:
	s_mul_hi_i32 s0, s52, s12
	s_add_u32 s1, s48, s46
	s_addc_u32 s0, s0, s3
	s_mul_i32 s24, s1, s54
	s_mul_hi_u32 s25, s1, s14
	s_add_i32 s24, s25, s24
	s_mul_i32 s0, s0, s14
	s_add_i32 s24, s24, s0
	s_mul_i32 s1, s1, s14
	s_ashr_i32 s0, s57, 31
	s_add_u32 s44, s1, s57
	s_addc_u32 s45, s24, s0
	s_cbranch_execz .LBB589_24
	s_branch .LBB589_25
.LBB589_23:
                                        ; implicit-def: $sgpr44_sgpr45
.LBB589_24:
	s_mul_hi_i32 s0, s52, s14
	s_mul_i32 s52, s52, s14
	s_ashr_i32 s1, s57, 31
	s_add_u32 s14, s52, s57
	s_addc_u32 s0, s0, s1
	s_mul_i32 s1, s14, s51
	s_mul_hi_u32 s24, s14, s12
	s_add_i32 s1, s24, s1
	s_mul_i32 s0, s0, s12
	s_add_i32 s1, s1, s0
	s_mul_i32 s14, s14, s12
	s_add_u32 s44, s14, s46
	s_addc_u32 s45, s1, s3
.LBB589_25:
	s_add_i32 s24, s55, s53
	s_ashr_i32 s14, s33, 31
	s_add_u32 s28, s50, s33
	s_addc_u32 s29, s56, s14
	s_mul_i32 s0, s28, s51
	s_mul_hi_u32 s1, s28, s12
	s_add_i32 s0, s1, s0
	s_mul_i32 s1, s29, s12
	s_add_i32 s1, s0, s1
	s_mul_i32 s0, s28, s12
	s_add_u32 s0, s0, s46
	s_addc_u32 s1, s1, s3
	s_mov_b32 s3, 0x7060302
	v_lshlrev_b32_e32 v6, 3, v63
	s_lshl_b64 s[30:31], s[0:1], 8
	v_perm_b32 v3, v53, v52, s3
	v_perm_b32 v2, v47, v46, s3
	;; [unrolled: 1-line block ×4, first 2 shown]
	v_lshlrev_b32_e32 v36, 2, v63
	v_lshl_or_b32 v6, v1, 5, v6
	s_add_u32 s0, s6, s30
	ds_write2st64_b64 v6, v[2:3], v[4:5] offset0:72 offset1:76
	v_xor_b32_e32 v6, v1, v36
	v_lshlrev_b32_e32 v7, 8, v63
	s_addc_u32 s1, s7, s31
	v_lshl_or_b32 v6, v6, 1, v7
	s_mul_hi_i32 s3, s24, s13
	s_mul_i32 s24, s24, s13
	ds_write_b64 v6, v[2:3] offset:32768
	v_xor_b32_e32 v2, v66, v36
	s_add_u32 s6, s24, s33
	v_lshl_or_b32 v2, v2, 1, v7
	s_addc_u32 s7, s3, s14
	v_lshlrev_b32_e32 v3, 1, v63
	ds_write_b64 v2, v[4:5] offset:32768
	v_lshrrev_b32_e32 v2, 4, v0
	s_ashr_i32 s3, s2, 31
	s_lshl_b64 s[6:7], s[6:7], 15
	v_or_b32_e32 v4, 1, v3
	s_add_u32 s6, s16, s6
	v_xor_b32_e32 v3, v2, v3
	v_xor_b32_e32 v4, v4, v2
	v_lshlrev_b32_e32 v6, 8, v2
	s_addc_u32 s7, s17, s7
	s_lshl_b64 s[2:3], s[2:3], 8
	v_lshl_or_b32 v2, v3, 3, v6
	v_lshl_or_b32 v4, v4, 3, v6
	s_waitcnt lgkmcnt(0)
	s_barrier
	s_add_u32 s2, s6, s2
	ds_read_b64 v[2:3], v2 offset:32768
	ds_read_b64 v[4:5], v4 offset:32768
	s_addc_u32 s3, s7, s3
	v_mov_b32_e32 v7, 0
	s_cmp_lg_u32 s47, 64
	v_lshl_add_u64 v[8:9], s[2:3], 0, v[6:7]
	v_lshlrev_b32_e32 v6, 4, v63
	s_cselect_b64 s[6:7], -1, 0
	v_lshl_or_b32 v27, v45, 3, v65
	s_mov_b32 s24, 0
	v_lshl_add_u64 v[6:7], v[8:9], 0, v[6:7]
	v_or_b32_e32 v19, 32, v27
	v_and_b32_e32 v18, 56, v64
	s_and_b64 vcc, exec, s[6:7]
	s_waitcnt lgkmcnt(0)
	global_store_dwordx4 v[6:7], v[2:5], off
	s_cbranch_vccz .LBB589_31
; %bb.26:
	s_mov_b32 s25, s24
	s_mov_b32 s26, s24
	;; [unrolled: 1-line block ×3, first 2 shown]
	v_mov_b64_e32 v[6:7], s[24:25]
	v_mov_b64_e32 v[8:9], s[26:27]
	;; [unrolled: 1-line block ×3, first 2 shown]
	v_cmp_gt_i32_e32 vcc, s47, v27
	v_mov_b64_e32 v[4:5], v[8:9]
	s_and_saveexec_b64 s[2:3], vcc
	s_cbranch_execz .LBB589_28
; %bb.27:
	v_lshlrev_b32_e32 v2, 8, v27
	v_mov_b32_e32 v3, 0
	v_lshl_add_u64 v[4:5], s[0:1], 0, v[2:3]
	v_lshlrev_b32_e32 v2, 1, v18
	v_lshl_add_u64 v[10:11], v[4:5], 0, v[2:3]
	global_load_dwordx4 v[6:9], v[10:11], off
	global_load_dwordx4 v[2:5], v[10:11], off offset:128
.LBB589_28:
	s_or_b64 exec, exec, s[2:3]
	s_mov_b32 s25, s24
	s_mov_b32 s26, s24
	;; [unrolled: 1-line block ×3, first 2 shown]
	v_mov_b64_e32 v[14:15], s[24:25]
	v_mov_b64_e32 v[16:17], s[26:27]
	;; [unrolled: 1-line block ×3, first 2 shown]
	v_cmp_gt_i32_e32 vcc, s47, v19
	v_lshlrev_b32_e32 v20, 7, v19
	v_mov_b64_e32 v[12:13], v[16:17]
	s_and_saveexec_b64 s[2:3], vcc
	s_cbranch_execz .LBB589_30
; %bb.29:
	v_lshlrev_b32_e32 v10, 1, v20
	v_mov_b32_e32 v11, 0
	v_lshl_add_u64 v[12:13], s[0:1], 0, v[10:11]
	v_lshlrev_b32_e32 v10, 1, v18
	v_lshl_add_u64 v[22:23], v[12:13], 0, v[10:11]
	global_load_dwordx4 v[14:17], v[22:23], off
	global_load_dwordx4 v[10:13], v[22:23], off offset:128
.LBB589_30:
	s_or_b64 exec, exec, s[2:3]
	v_lshrrev_b32_e32 v21, 3, v18
	v_lshlrev_b32_e32 v22, 3, v27
	v_or_b32_e32 v21, v22, v21
	v_lshlrev_b32_e32 v21, 4, v21
	v_and_b32_e32 v22, 0x78, v22
	v_xor_b32_e32 v21, v21, v22
	s_branch .LBB589_33
.LBB589_31:
                                        ; implicit-def: $vgpr21
                                        ; implicit-def: $vgpr20
                                        ; implicit-def: $vgpr6_vgpr7_vgpr8_vgpr9
                                        ; implicit-def: $vgpr2_vgpr3_vgpr4_vgpr5
                                        ; implicit-def: $vgpr14_vgpr15_vgpr16_vgpr17
                                        ; implicit-def: $vgpr10_vgpr11_vgpr12_vgpr13
	s_cbranch_execz .LBB589_33
; %bb.32:
	s_waitcnt vmcnt(0)
	v_lshlrev_b32_e32 v2, 1, v18
	v_lshl_or_b32 v20, v27, 8, v2
	s_and_b32 s1, s1, 0xffff
	s_mov_b32 s3, 0x20000
	s_movk_i32 s2, 0x4000
	v_lshl_or_b32 v21, v19, 8, v2
	s_movk_i32 s16, 0x80
	buffer_load_dwordx4 v[6:9], v20, s[0:3], 0 offen
	buffer_load_dwordx4 v[2:5], v20, s[0:3], s16 offen
	;; [unrolled: 1-line block ×4, first 2 shown]
	v_lshrrev_b32_e32 v20, 3, v18
	v_lshlrev_b32_e32 v21, 3, v27
	v_or_b32_e32 v20, v21, v20
	v_lshlrev_b32_e32 v20, 4, v20
	v_and_b32_e32 v21, 0x78, v21
	v_xor_b32_e32 v21, v20, v21
	v_lshlrev_b32_e32 v20, 7, v19
.LBB589_33:
	s_lshl_b64 s[0:1], s[44:45], 8
	s_add_u32 s4, s4, s0
	s_movk_i32 s0, 0x1000
	v_and_or_b32 v19, v20, s0, v21
	s_waitcnt vmcnt(1)
	ds_write_b64 v21, v[6:7] offset:16384
	v_xor_b32_e32 v6, 8, v21
	s_addc_u32 s5, s5, s1
	ds_write_b64 v6, v[8:9] offset:16384
	s_waitcnt vmcnt(0)
	ds_write_b64 v21, v[2:3] offset:24576
	ds_write_b64 v6, v[4:5] offset:24576
	;; [unrolled: 1-line block ×3, first 2 shown]
	v_xor_b32_e32 v2, 8, v19
	s_add_i32 s16, s12, -1
	ds_write_b64 v2, v[16:17] offset:16384
	ds_write_b64 v19, v[10:11] offset:24576
	ds_write_b64 v2, v[12:13] offset:24576
	s_mul_i32 s3, s16, s39
	s_mul_hi_u32 s12, s16, s38
	v_or_b32_e32 v2, v60, v63
	s_add_i32 s3, s12, s3
	v_lshlrev_b32_e32 v2, 3, v2
	v_lshrrev_b32_e32 v4, 5, v61
	s_movk_i32 s12, 0xf8
	v_and_or_b32 v4, v2, s12, v4
	v_lshlrev_b32_e32 v37, 11, v45
	v_lshlrev_b32_e32 v12, 4, v4
	v_and_b32_e32 v13, 0x78, v2
	v_and_b32_e32 v14, 0x1000, v37
	v_lshlrev_b32_e32 v3, 2, v0
	v_xor_b32_e32 v2, v12, v13
	v_lshrrev_b32_e32 v4, 1, v61
	v_and_b32_e32 v3, 60, v3
	v_or_b32_e32 v2, v2, v14
	v_and_b32_e32 v15, 8, v4
	v_xor_b32_e32 v28, v2, v15
	v_lshl_or_b32 v2, v62, 6, v3
	v_lshlrev_b32_e32 v38, 1, v2
	v_or_b32_e32 v2, 32, v12
	v_xor_b32_e32 v2, v2, v13
	s_waitcnt lgkmcnt(0)
	s_barrier
	ds_read_b64 v[10:11], v28 offset:16384
	v_or_b32_e32 v2, v2, v14
	v_xor_b32_e32 v29, v2, v15
	v_or_b32_e32 v2, 64, v12
	v_xor_b32_e32 v2, v2, v13
	v_or_b32_e32 v2, v2, v14
	v_or_b32_e32 v12, 0x60, v12
	v_xor_b32_e32 v30, v2, v15
	ds_read2st64_b64 v[2:5], v38 offset0:72 offset1:73
	ds_read2st64_b64 v[6:9], v38 offset0:74 offset1:75
	v_xor_b32_e32 v16, v12, v13
	ds_read_b64 v[12:13], v29 offset:16384
	s_waitcnt lgkmcnt(2)
	v_mfma_f32_16x16x16_bf16 a[0:3], v[10:11], v[2:3], 0
	s_add_i32 s0, s49, s21
	s_mul_i32 s41, s41, s20
	s_add_i32 s41, s0, s41
	s_mul_i32 s0, s33, s23
	s_mul_hi_u32 s1, s33, s22
	s_ashr_i32 s2, s16, 31
	s_add_i32 s0, s1, s0
	s_mul_i32 s1, s14, s22
	s_mul_i32 s2, s2, s38
	v_or_b32_e32 v14, v16, v14
	s_add_i32 s1, s0, s1
	s_add_i32 s3, s3, s2
	s_lshl_b64 s[20:21], s[40:41], 2
	v_xor_b32_e32 v39, v14, v15
	ds_read_b64 v[14:15], v30 offset:16384
	ds_read_b64 v[16:17], v39 offset:16384
	s_waitcnt lgkmcnt(2)
	v_mfma_f32_16x16x16_bf16 a[0:3], v[12:13], v[4:5], a[0:3]
	s_mul_i32 s0, s33, s22
	s_add_u32 s10, s10, s20
	s_addc_u32 s11, s11, s21
	s_lshl_b64 s[0:1], s[0:1], 2
	s_mul_i32 s2, s16, s38
	s_add_u32 s10, s10, s0
	s_addc_u32 s11, s11, s1
	s_lshl_b64 s[0:1], s[2:3], 2
	s_waitcnt lgkmcnt(1)
	v_mfma_f32_16x16x16_bf16 a[0:3], v[14:15], v[6:7], a[0:3]
	s_add_u32 s0, s10, s0
	s_addc_u32 s1, s11, s1
	s_load_dword s12, s[0:1], 0x0
	s_waitcnt lgkmcnt(0)
	v_mfma_f32_16x16x16_bf16 a[0:3], v[16:17], v[8:9], a[0:3]
	s_and_b64 vcc, exec, s[42:43]
	s_cbranch_vccz .LBB589_44
; %bb.34:
	v_lshlrev_b32_e32 v19, 1, v27
	s_and_b64 vcc, exec, s[6:7]
	s_cbranch_vccz .LBB589_45
; %bb.35:
	v_cmp_gt_i32_e32 vcc, s47, v19
	v_mov_b32_e32 v6, 0
	v_mov_b32_e32 v2, 0
	;; [unrolled: 1-line block ×5, first 2 shown]
	s_and_saveexec_b64 s[0:1], vcc
	s_cbranch_execz .LBB589_37
; %bb.36:
	v_mad_i64_i32 v[2:3], s[2:3], s15, v19, 0
	v_lshl_add_u64 v[2:3], v[2:3], 1, s[4:5]
	v_lshlrev_b32_e32 v4, 1, v18
	v_mov_b32_e32 v5, 0
	v_lshl_add_u64 v[2:3], v[2:3], 0, v[4:5]
	global_load_dwordx4 v[2:5], v[2:3], off
.LBB589_37:
	s_or_b64 exec, exec, s[0:1]
	v_or_b32_e32 v20, 1, v19
	v_cmp_gt_i32_e64 s[0:1], s47, v20
	v_mov_b32_e32 v7, 0
	v_mov_b32_e32 v8, 0
	;; [unrolled: 1-line block ×3, first 2 shown]
	s_and_saveexec_b64 s[2:3], s[0:1]
	s_cbranch_execz .LBB589_39
; %bb.38:
	v_mad_i64_i32 v[6:7], s[20:21], s15, v20, 0
	v_lshl_add_u64 v[6:7], v[6:7], 1, s[4:5]
	v_lshlrev_b32_e32 v8, 1, v18
	v_mov_b32_e32 v9, 0
	v_lshl_add_u64 v[6:7], v[6:7], 0, v[8:9]
	global_load_dwordx4 v[6:9], v[6:7], off
.LBB589_39:
	s_or_b64 exec, exec, s[2:3]
	v_mov_b32_e32 v17, 0
	v_mov_b32_e32 v10, 0
	;; [unrolled: 1-line block ×5, first 2 shown]
	s_and_saveexec_b64 s[2:3], vcc
	s_cbranch_execz .LBB589_41
; %bb.40:
	v_mad_i64_i32 v[10:11], s[20:21], s15, v19, 0
	v_lshl_add_u64 v[10:11], v[10:11], 1, s[4:5]
	v_lshlrev_b32_e32 v12, 1, v18
	v_mov_b32_e32 v13, 0
	v_lshl_add_u64 v[10:11], v[10:11], 0, v[12:13]
	global_load_dwordx4 v[10:13], v[10:11], off offset:128
.LBB589_41:
	s_or_b64 exec, exec, s[2:3]
	v_mov_b32_e32 v16, 0
	v_mov_b32_e32 v15, 0
	;; [unrolled: 1-line block ×3, first 2 shown]
	s_and_saveexec_b64 s[2:3], s[0:1]
	s_cbranch_execz .LBB589_43
; %bb.42:
	v_mad_i64_i32 v[14:15], s[0:1], s15, v20, 0
	v_lshl_add_u64 v[14:15], v[14:15], 1, s[4:5]
	v_lshlrev_b32_e32 v16, 1, v18
	v_mov_b32_e32 v17, 0
	v_lshl_add_u64 v[14:15], v[14:15], 0, v[16:17]
	global_load_dwordx4 v[14:17], v[14:15], off offset:128
.LBB589_43:
	s_or_b64 exec, exec, s[2:3]
	s_branch .LBB589_47
.LBB589_44:
                                        ; implicit-def: $vgpr5
                                        ; implicit-def: $vgpr9
                                        ; implicit-def: $vgpr13
                                        ; implicit-def: $vgpr17
	v_lshrrev_b32_e32 v19, 2, v61
	s_branch .LBB589_48
.LBB589_45:
                                        ; implicit-def: $vgpr5
                                        ; implicit-def: $vgpr9
                                        ; implicit-def: $vgpr13
                                        ; implicit-def: $vgpr17
	s_cbranch_execz .LBB589_47
; %bb.46:
	s_waitcnt vmcnt(0)
	v_mad_u64_u32 v[2:3], s[0:1], v19, s15, v[18:19]
	v_lshlrev_b32_e32 v19, 1, v2
	s_lshl_b32 s2, s15, 7
	s_and_b32 s1, s5, 0xffff
	s_mov_b32 s3, 0x20000
	s_mov_b32 s0, s4
	v_add_lshl_u32 v20, v2, s15, 1
	s_movk_i32 s15, 0x80
	buffer_load_dwordx4 v[2:5], v19, s[0:3], 0 offen
	buffer_load_dwordx4 v[10:13], v19, s[0:3], s15 offen
	;; [unrolled: 1-line block ×4, first 2 shown]
.LBB589_47:
	v_lshrrev_b32_e32 v19, 2, v61
	s_cbranch_execnz .LBB589_60
.LBB589_48:
	s_and_b64 vcc, exec, s[6:7]
	s_cbranch_vccz .LBB589_58
; %bb.49:
	s_waitcnt vmcnt(0)
	v_lshlrev_b32_e32 v7, 1, v27
	v_cmp_gt_i32_e32 vcc, s47, v7
	v_mov_b32_e32 v6, 0
	v_lshlrev_b32_e32 v14, 9, v27
	v_mov_b32_e32 v2, 0
	v_mov_b32_e32 v3, 0
	;; [unrolled: 1-line block ×4, first 2 shown]
	s_and_saveexec_b64 s[0:1], vcc
	s_cbranch_execz .LBB589_51
; %bb.50:
	v_mov_b32_e32 v15, 0
	v_lshl_add_u64 v[2:3], s[4:5], 0, v[14:15]
	v_lshlrev_b32_e32 v4, 1, v18
	v_mov_b32_e32 v5, v15
	v_lshl_add_u64 v[2:3], v[2:3], 0, v[4:5]
	global_load_dwordx4 v[2:5], v[2:3], off
.LBB589_51:
	s_or_b64 exec, exec, s[0:1]
	v_or_b32_e32 v7, 1, v7
	v_cmp_gt_i32_e64 s[0:1], s47, v7
	v_lshlrev_b32_e32 v20, 8, v7
	v_mov_b32_e32 v7, 0
	v_mov_b32_e32 v8, 0
	;; [unrolled: 1-line block ×3, first 2 shown]
	s_and_saveexec_b64 s[2:3], s[0:1]
	s_cbranch_execz .LBB589_53
; %bb.52:
	v_mov_b32_e32 v21, 0
	v_lshl_add_u64 v[6:7], s[4:5], 0, v[20:21]
	v_lshlrev_b32_e32 v8, 1, v18
	v_mov_b32_e32 v9, v21
	v_lshl_add_u64 v[6:7], v[6:7], 0, v[8:9]
	global_load_dwordx4 v[6:9], v[6:7], off
.LBB589_53:
	s_or_b64 exec, exec, s[2:3]
	v_mov_b32_e32 v17, 0
	v_mov_b32_e32 v10, 0
	;; [unrolled: 1-line block ×5, first 2 shown]
	s_and_saveexec_b64 s[2:3], vcc
	s_cbranch_execz .LBB589_55
; %bb.54:
	v_mov_b32_e32 v15, 0
	v_lshl_add_u64 v[10:11], s[4:5], 0, v[14:15]
	v_lshlrev_b32_e32 v14, 1, v18
	v_lshl_add_u64 v[10:11], v[10:11], 0, v[14:15]
	global_load_dwordx4 v[10:13], v[10:11], off offset:128
.LBB589_55:
	s_or_b64 exec, exec, s[2:3]
	v_mov_b32_e32 v16, 0
	v_mov_b32_e32 v15, 0
	;; [unrolled: 1-line block ×3, first 2 shown]
	s_and_saveexec_b64 s[2:3], s[0:1]
	s_cbranch_execz .LBB589_57
; %bb.56:
	v_mov_b32_e32 v21, 0
	v_lshl_add_u64 v[14:15], s[4:5], 0, v[20:21]
	v_lshlrev_b32_e32 v20, 1, v18
	v_lshl_add_u64 v[14:15], v[14:15], 0, v[20:21]
	global_load_dwordx4 v[14:17], v[14:15], off offset:128
.LBB589_57:
	s_or_b64 exec, exec, s[2:3]
	s_branch .LBB589_60
.LBB589_58:
                                        ; implicit-def: $vgpr5
                                        ; implicit-def: $vgpr9
                                        ; implicit-def: $vgpr13
                                        ; implicit-def: $vgpr17
	s_cbranch_execz .LBB589_60
; %bb.59:
	s_waitcnt vmcnt(0)
	v_lshlrev_b32_e32 v2, 1, v18
	v_lshl_or_b32 v18, v27, 9, v2
	s_and_b32 s5, s5, 0xffff
	s_mov_b32 s7, 0x20000
	s_movk_i32 s6, 0x4000
	s_movk_i32 s0, 0x80
	buffer_load_dwordx4 v[2:5], v18, s[4:7], 0 offen
	buffer_load_dwordx4 v[6:9], v18, s[4:7], 0 offen offset:256
	buffer_load_dwordx4 v[10:13], v18, s[4:7], s0 offen
	buffer_load_dwordx4 v[14:17], v18, s[4:7], s0 offen offset:256
.LBB589_60:
	v_and_b32_e32 v40, 12, v19
	ds_read2st64_b64 v[22:25], v38 offset0:76 offset1:77
	ds_read2st64_b64 v[18:21], v38 offset0:78 offset1:79
	ds_read_b64 v[34:35], v28 offset:24576
	ds_read_b64 v[32:33], v29 offset:24576
	ds_read_b64 v[30:31], v30 offset:24576
	ds_read_b64 v[28:29], v39 offset:24576
	v_and_b32_e32 v39, 6, v0
	v_xor_b32_e32 v27, v27, v39
	v_lshlrev_b32_e32 v27, 2, v27
	v_and_b32_e32 v41, 1, v0
	v_xor_b32_e32 v42, 0x440, v27
	v_cmp_eq_u32_e32 vcc, 0, v41
	s_mov_b32 s0, 0x1000504
	s_waitcnt vmcnt(0)
	v_perm_b32 v41, v10, v14, s0
	v_cndmask_b32_e32 v27, v42, v27, vcc
	v_lshl_or_b32 v27, v39, 10, v27
	v_perm_b32 v39, v2, v6, s0
	ds_write2st64_b32 v27, v39, v41 offset1:32
	v_xor_b32_e32 v39, 8, v27
	s_mov_b32 s1, 0x3020706
	v_perm_b32 v2, v2, v6, s1
	v_perm_b32 v6, v10, v14, s1
	v_add_u32_e32 v10, 0x80, v39
	ds_write2st64_b32 v10, v2, v6 offset1:32
	v_xor_b32_e32 v2, 16, v27
	v_perm_b32 v6, v3, v7, s0
	v_perm_b32 v10, v11, v15, s0
	ds_write2st64_b32 v2, v6, v10 offset0:1 offset1:33
	v_xor_b32_e32 v2, 24, v27
	v_perm_b32 v3, v3, v7, s1
	v_perm_b32 v6, v11, v15, s1
	v_add_u32_e32 v2, 0x80, v2
	ds_write2st64_b32 v2, v3, v6 offset0:1 offset1:33
	v_xor_b32_e32 v2, 32, v27
	v_perm_b32 v3, v4, v8, s0
	v_perm_b32 v6, v12, v16, s0
	ds_write2st64_b32 v2, v3, v6 offset0:2 offset1:34
	v_xor_b32_e32 v2, 40, v27
	v_perm_b32 v3, v4, v8, s1
	v_perm_b32 v4, v12, v16, s1
	v_add_u32_e32 v2, 0x80, v2
	ds_write2st64_b32 v2, v3, v4 offset0:2 offset1:34
	v_xor_b32_e32 v2, 48, v27
	v_perm_b32 v3, v5, v9, s0
	v_perm_b32 v4, v13, v17, s0
	ds_write2st64_b32 v2, v3, v4 offset0:3 offset1:35
	v_xor_b32_e32 v2, 56, v27
	v_or_b32_e32 v10, v40, v60
	v_perm_b32 v3, v5, v9, s1
	v_perm_b32 v4, v13, v17, s1
	v_add_u32_e32 v2, 0x80, v2
	v_cmp_gt_i32_e32 vcc, s47, v10
	v_mov_b32_e32 v12, 0
	v_mov_b32_e32 v16, 0
	ds_write2st64_b32 v2, v3, v4 offset0:3 offset1:35
	s_and_saveexec_b64 s[0:1], vcc
	s_cbranch_execz .LBB589_62
; %bb.61:
	v_add_u32_e32 v2, s46, v10
	v_ashrrev_i32_e32 v3, 31, v2
	v_mul_lo_u32 v4, v3, s38
	v_mul_lo_u32 v5, v2, s39
	v_mad_u64_u32 v[2:3], s[2:3], v2, s38, 0
	v_add3_u32 v3, v3, v5, v4
	v_lshl_add_u64 v[2:3], v[2:3], 2, s[10:11]
	global_load_dword v2, v[2:3], off
	s_waitcnt vmcnt(0)
	v_sub_f32_e32 v2, s12, v2
	v_mul_f32_e32 v2, 0x3fb8aa3b, v2
	v_exp_f32_e32 v16, v2
.LBB589_62:
	s_or_b64 exec, exec, s[0:1]
	v_or_b32_e32 v15, 1, v10
	v_cmp_gt_i32_e64 s[4:5], s47, v15
	s_and_saveexec_b64 s[0:1], s[4:5]
	s_cbranch_execz .LBB589_64
; %bb.63:
	v_add_u32_e32 v2, s46, v15
	v_ashrrev_i32_e32 v3, 31, v2
	v_mul_lo_u32 v4, v3, s38
	v_mul_lo_u32 v5, v2, s39
	v_mad_u64_u32 v[2:3], s[2:3], v2, s38, 0
	v_add3_u32 v3, v3, v5, v4
	v_lshl_add_u64 v[2:3], v[2:3], 2, s[10:11]
	global_load_dword v2, v[2:3], off
	s_waitcnt vmcnt(0)
	v_sub_f32_e32 v2, s12, v2
	v_mul_f32_e32 v2, 0x3fb8aa3b, v2
	v_exp_f32_e32 v12, v2
.LBB589_64:
	s_or_b64 exec, exec, s[0:1]
	v_or_b32_e32 v13, 2, v10
	v_cmp_gt_i32_e64 s[0:1], s47, v13
	v_mov_b32_e32 v11, 0
	v_mov_b32_e32 v17, 0
	s_and_saveexec_b64 s[2:3], s[0:1]
	s_cbranch_execz .LBB589_66
; %bb.65:
	v_add_u32_e32 v2, s46, v13
	v_ashrrev_i32_e32 v3, 31, v2
	v_mul_lo_u32 v4, v3, s38
	v_mul_lo_u32 v5, v2, s39
	v_mad_u64_u32 v[2:3], s[6:7], v2, s38, 0
	v_add3_u32 v3, v3, v5, v4
	v_lshl_add_u64 v[2:3], v[2:3], 2, s[10:11]
	global_load_dword v2, v[2:3], off
	s_waitcnt vmcnt(0)
	v_sub_f32_e32 v2, s12, v2
	v_mul_f32_e32 v2, 0x3fb8aa3b, v2
	v_exp_f32_e32 v17, v2
.LBB589_66:
	s_or_b64 exec, exec, s[2:3]
	v_or_b32_e32 v14, 3, v10
	v_cmp_gt_i32_e64 s[2:3], s47, v14
	s_and_saveexec_b64 s[6:7], s[2:3]
	s_cbranch_execz .LBB589_68
; %bb.67:
	v_add_u32_e32 v2, s46, v14
	v_ashrrev_i32_e32 v3, 31, v2
	v_mul_lo_u32 v4, v3, s38
	v_mul_lo_u32 v5, v2, s39
	v_mad_u64_u32 v[2:3], s[20:21], v2, s38, 0
	v_add3_u32 v3, v3, v5, v4
	v_lshl_add_u64 v[2:3], v[2:3], 2, s[10:11]
	global_load_dword v2, v[2:3], off
	s_waitcnt vmcnt(0)
	v_sub_f32_e32 v2, s12, v2
	v_mul_f32_e32 v2, 0x3fb8aa3b, v2
	v_exp_f32_e32 v11, v2
.LBB589_68:
	s_or_b64 exec, exec, s[6:7]
	s_waitcnt lgkmcnt(11)
	v_mfma_f32_16x16x16_bf16 a[0:3], v[34:35], v[22:23], a[0:3]
	s_add_u32 s6, s8, s30
	v_ashrrev_i32_e32 v27, 31, v26
	s_addc_u32 s7, s9, s31
	s_waitcnt lgkmcnt(10)
	v_mfma_f32_16x16x16_bf16 a[0:3], v[32:33], v[24:25], a[0:3]
	v_lshlrev_b64 v[2:3], 1, v[26:27]
	v_lshl_add_u64 v[6:7], s[6:7], 0, v[2:3]
	s_add_u32 s6, s18, s30
	s_waitcnt lgkmcnt(9)
	v_mfma_f32_16x16x16_bf16 a[0:3], v[30:31], v[18:19], a[0:3]
	s_addc_u32 s7, s19, s31
	v_lshl_add_u64 v[8:9], s[6:7], 0, v[2:3]
	v_mov_b32_e32 v18, 0
	s_waitcnt lgkmcnt(8)
	v_mfma_f32_16x16x16_bf16 a[0:3], v[28:29], v[20:21], a[0:3]
	v_mov_b32_e32 v19, 0
	s_nop 5
	v_accvgpr_read_b32 v5, a3
	v_accvgpr_read_b32 v4, a2
	;; [unrolled: 1-line block ×4, first 2 shown]
	s_and_saveexec_b64 s[6:7], vcc
	s_cbranch_execz .LBB589_70
; %bb.69:
	v_lshlrev_b32_e32 v20, 8, v10
	v_mov_b32_e32 v21, 0
	v_lshl_add_u64 v[22:23], v[6:7], 0, v[20:21]
	global_load_ushort v19, v[22:23], off
	v_lshl_add_u64 v[20:21], v[8:9], 0, v[20:21]
	s_waitcnt vmcnt(0)
	v_lshlrev_b32_e32 v19, 16, v19
	v_sub_f32_e32 v2, v19, v2
	global_store_short_d16_hi v[20:21], v2, off
	v_mul_f32_e32 v2, v16, v2
	v_lshrrev_b32_e32 v19, 16, v2
.LBB589_70:
	s_or_b64 exec, exec, s[6:7]
	s_and_saveexec_b64 s[6:7], s[4:5]
	s_cbranch_execz .LBB589_72
; %bb.71:
	v_lshlrev_b32_e32 v20, 8, v15
	v_mov_b32_e32 v21, 0
	v_lshl_add_u64 v[22:23], v[6:7], 0, v[20:21]
	global_load_ushort v2, v[22:23], off
	v_lshl_add_u64 v[20:21], v[8:9], 0, v[20:21]
	s_waitcnt vmcnt(0)
	v_lshlrev_b32_e32 v2, 16, v2
	v_sub_f32_e32 v2, v2, v3
	global_store_short_d16_hi v[20:21], v2, off
	v_mul_f32_e32 v2, v12, v2
	v_lshrrev_b32_e32 v18, 16, v2
.LBB589_72:
	s_or_b64 exec, exec, s[6:7]
	v_mov_b32_e32 v3, 0
	v_mov_b32_e32 v12, 0
	s_and_saveexec_b64 s[4:5], s[0:1]
	s_cbranch_execz .LBB589_74
; %bb.73:
	v_lshlrev_b32_e32 v12, 8, v13
	v_mov_b32_e32 v13, 0
	v_lshl_add_u64 v[20:21], v[6:7], 0, v[12:13]
	global_load_ushort v2, v[20:21], off
	v_lshl_add_u64 v[12:13], v[8:9], 0, v[12:13]
	s_waitcnt vmcnt(0)
	v_lshlrev_b32_e32 v2, 16, v2
	v_sub_f32_e32 v2, v2, v4
	global_store_short_d16_hi v[12:13], v2, off
	v_mul_f32_e32 v2, v17, v2
	v_lshrrev_b32_e32 v12, 16, v2
.LBB589_74:
	s_or_b64 exec, exec, s[4:5]
	v_or_b32_e32 v2, 0x9800, v38
	s_and_saveexec_b64 s[0:1], s[2:3]
	s_cbranch_execz .LBB589_76
; %bb.75:
	v_lshlrev_b32_e32 v14, 8, v14
	v_mov_b32_e32 v15, 0
	v_lshl_add_u64 v[6:7], v[6:7], 0, v[14:15]
	global_load_ushort v3, v[6:7], off
	v_lshl_add_u64 v[6:7], v[8:9], 0, v[14:15]
	s_waitcnt vmcnt(0)
	v_lshlrev_b32_e32 v3, 16, v3
	v_sub_f32_e32 v3, v3, v5
	global_store_short_d16_hi v[6:7], v3, off
	v_mul_f32_e32 v3, v11, v3
	v_lshrrev_b32_e32 v3, 16, v3
.LBB589_76:
	s_or_b64 exec, exec, s[0:1]
	s_mov_b32 s0, 0x5040100
	v_perm_b32 v5, v3, v12, s0
	v_lshlrev_b32_e32 v3, 1, v36
	v_perm_b32 v4, v18, v19, s0
	v_lshl_or_b32 v3, v10, 5, v3
	s_movk_i32 s2, 0xff
	ds_write_b64 v3, v[4:5] offset:38912
	v_and_b32_e32 v3, 7, v0
	v_cmp_lt_u32_e32 vcc, s2, v0
	v_and_b32_e32 v4, 8, v0
	v_lshlrev_b32_e32 v12, 3, v3
	v_lshlrev_b32_e32 v24, 7, v3
	v_cndmask_b32_e64 v3, 0, 1, vcc
	v_lshrrev_b32_e32 v0, 1, v0
	v_lshlrev_b32_e32 v14, 13, v3
	v_lshlrev_b32_e32 v3, 3, v45
	v_and_b32_e32 v0, 24, v0
	v_xor_b32_e32 v5, v3, v0
	v_or_b32_e32 v6, 0x440, v5
	v_cmp_eq_u32_e32 vcc, 0, v4
	s_add_i32 s0, s16, s48
	s_mul_hi_i32 s1, s0, s13
	v_cndmask_b32_e32 v4, v6, v5, vcc
	v_or_b32_e32 v4, v4, v37
	v_xor_b32_e32 v25, v4, v12
	v_or_b32_e32 v4, 32, v0
	v_xor_b32_e32 v4, v3, v4
	v_or_b32_e32 v5, 0x440, v4
	v_cndmask_b32_e32 v4, v5, v4, vcc
	v_or_b32_e32 v4, v4, v37
	v_xor_b32_e32 v27, v4, v12
	v_or_b32_e32 v4, 64, v0
	v_xor_b32_e32 v4, v3, v4
	v_xor_b32_e32 v5, 0x440, v4
	s_mul_i32 s0, s0, s13
	v_cndmask_b32_e32 v4, v5, v4, vcc
	v_or_b32_e32 v0, 0x60, v0
	s_add_u32 s0, s0, s33
	v_add3_u32 v15, v14, v25, v24
	v_or_b32_e32 v4, v4, v37
	v_xor_b32_e32 v0, v3, v0
	s_waitcnt lgkmcnt(0)
	s_barrier
	s_addc_u32 s1, s1, s14
	v_lshlrev_b32_e32 v13, 2, v10
	v_xor_b32_e32 v28, v4, v12
	ds_read2st64_b64 v[4:7], v2 offset1:1
	ds_read2st64_b64 v[8:11], v2 offset0:2 offset1:3
	ds_read_b64 v[2:3], v15
	v_xor_b32_e32 v15, 0x440, v0
	s_lshl_b64 s[0:1], s[0:1], 9
	v_cndmask_b32_e32 v0, v15, v0, vcc
	s_add_u32 s0, s36, s0
	v_or_b32_e32 v0, v0, v37
	s_addc_u32 s1, s37, s1
	v_add3_u32 v16, v14, v27, v24
	v_xor_b32_e32 v29, v0, v12
	v_add3_u32 v18, v14, v28, v24
	v_add3_u32 v0, v14, v29, v24
	ds_read_b64 v[16:17], v16
	ds_read_b64 v[20:21], v18
	;; [unrolled: 1-line block ×3, first 2 shown]
	global_load_dwordx4 v[12:15], v13, s[0:1]
	s_waitcnt lgkmcnt(3)
	v_mfma_f32_16x16x16_bf16 a[0:3], v[2:3], v[4:5], 0
	v_lshlrev_b32_e32 v0, 6, v45
	v_lshlrev_b32_e32 v2, 2, v40
	s_movk_i32 s2, 0x100
	v_or3_b32 v0, v0, v2, s2
	s_waitcnt lgkmcnt(2)
	v_mfma_f32_16x16x16_bf16 a[0:3], v[16:17], v[6:7], a[0:3]
	global_load_dwordx4 v[16:19], v0, s[0:1]
	v_mov_b32_e32 v0, 0x3fb8aa3b
	v_mul_f32_e32 v0, s12, v0
	s_waitcnt lgkmcnt(1)
	v_mfma_f32_16x16x16_bf16 a[0:3], v[20:21], v[8:9], a[0:3]
	v_exp_f32_e32 v0, v0
	v_add_u32_e32 v25, v25, v24
	v_add_u32_e32 v27, v27, v24
	s_waitcnt lgkmcnt(0)
	v_mfma_f32_16x16x16_bf16 a[0:3], v[22:23], v[10:11], a[0:3]
	ds_read_b64 v[22:23], v25 offset:8192
	s_waitcnt vmcnt(1)
	v_mul_f32_e32 v12, 0x3fb8aa3b, v12
	v_mul_f32_e32 v13, 0x3fb8aa3b, v13
	v_exp_f32_e32 v12, v12
	v_exp_f32_e32 v13, v13
	s_nop 0
	v_accvgpr_read_b32 v21, a1
	v_accvgpr_read_b32 v20, a0
	v_mul_f32_e32 v14, 0x3fb8aa3b, v14
	v_pk_mul_f32 v[12:13], v[0:1], v[12:13] op_sel_hi:[0,1]
	v_pk_fma_f32 v[46:47], v[46:47], v[12:13], v[20:21]
	ds_read_b64 v[12:13], v27 offset:8192
	v_mul_f32_e32 v15, 0x3fb8aa3b, v15
	v_exp_f32_e32 v14, v14
	v_exp_f32_e32 v15, v15
	v_accvgpr_read_b32 v3, a3
	v_accvgpr_read_b32 v2, a2
	s_waitcnt lgkmcnt(1)
	v_mfma_f32_16x16x16_bf16 a[0:3], v[22:23], v[4:5], 0
	v_pk_mul_f32 v[14:15], v[0:1], v[14:15] op_sel_hi:[0,1]
	v_pk_fma_f32 v[52:53], v[52:53], v[14:15], v[2:3]
	v_add_u32_e32 v2, v28, v24
	v_add_u32_e32 v3, v29, v24
	ds_read_b64 v[14:15], v2 offset:8192
	ds_read_b64 v[20:21], v3 offset:8192
	s_waitcnt lgkmcnt(2)
	v_mfma_f32_16x16x16_bf16 a[0:3], v[12:13], v[6:7], a[0:3]
	s_waitcnt vmcnt(0)
	v_mov_b32_e32 v2, v17
	v_mov_b32_e32 v3, v18
	;; [unrolled: 1-line block ×3, first 2 shown]
	s_waitcnt lgkmcnt(1)
	v_mfma_f32_16x16x16_bf16 a[0:3], v[14:15], v[8:9], a[0:3]
	v_mul_f32_e32 v2, 0x3fb8aa3b, v2
	v_mul_f32_e32 v5, 0x3fb8aa3b, v16
	v_exp_f32_e32 v17, v2
	v_mul_f32_e32 v2, 0x3fb8aa3b, v3
	v_mul_f32_e32 v3, 0x3fb8aa3b, v4
	s_waitcnt lgkmcnt(0)
	v_mfma_f32_16x16x16_bf16 a[0:3], v[20:21], v[10:11], a[0:3]
	v_exp_f32_e32 v16, v5
	v_exp_f32_e32 v2, v2
	;; [unrolled: 1-line block ×3, first 2 shown]
	v_pk_mul_f32 v[6:7], v[0:1], v[16:17] op_sel_hi:[0,1]
	v_pk_mul_f32 v[2:3], v[0:1], v[2:3] op_sel_hi:[0,1]
	s_nop 1
	v_accvgpr_read_b32 v9, a1
	v_accvgpr_read_b32 v5, a3
	;; [unrolled: 1-line block ×4, first 2 shown]
	v_pk_fma_f32 v[50:51], v[50:51], v[6:7], v[8:9]
	v_pk_fma_f32 v[48:49], v[48:49], v[2:3], v[4:5]
	v_mov_b32_e32 v2, v26
.LBB589_77:
	s_lshl_b64 s[0:1], s[28:29], 15
	s_add_u32 s0, s34, s0
	v_lshlrev_b32_e32 v2, 7, v2
	s_addc_u32 s1, s35, s1
	v_ashrrev_i32_e32 v3, 31, v2
	v_lshl_add_u64 v[2:3], v[2:3], 1, s[0:1]
	v_lshlrev_b32_e32 v0, 1, v1
	v_mov_b32_e32 v1, 0
	s_mov_b32 s0, 0x7060302
	v_lshl_add_u64 v[0:1], v[2:3], 0, v[0:1]
	v_perm_b32 v3, v53, v52, s0
	v_perm_b32 v2, v47, v46, s0
	global_store_dwordx2 v[0:1], v[2:3], off
	v_perm_b32 v3, v49, v48, s0
	v_perm_b32 v2, v51, v50, s0
	global_store_dwordx2 v[0:1], v[2:3], off offset:128
	s_endpgm
	.section	.rodata,"a",@progbits
	.p2align	6, 0x0
	.amdhsa_kernel _ZN12_GLOBAL__N_139chunk_gated_delta_rule_fwd_h_hip_kernelILi16ELb0ELb1ELb1ELb0ELb0ELb1ELb1ELb1EEEvPK12hip_bfloat16S3_S3_PKfS5_PKvPS1_S8_PvPKiSB_iiiiilll
		.amdhsa_group_segment_fixed_size 40960
		.amdhsa_private_segment_fixed_size 0
		.amdhsa_kernarg_size 136
		.amdhsa_user_sgpr_count 2
		.amdhsa_user_sgpr_dispatch_ptr 0
		.amdhsa_user_sgpr_queue_ptr 0
		.amdhsa_user_sgpr_kernarg_segment_ptr 1
		.amdhsa_user_sgpr_dispatch_id 0
		.amdhsa_user_sgpr_kernarg_preload_length 0
		.amdhsa_user_sgpr_kernarg_preload_offset 0
		.amdhsa_user_sgpr_private_segment_size 0
		.amdhsa_uses_dynamic_stack 0
		.amdhsa_enable_private_segment 0
		.amdhsa_system_sgpr_workgroup_id_x 1
		.amdhsa_system_sgpr_workgroup_id_y 1
		.amdhsa_system_sgpr_workgroup_id_z 0
		.amdhsa_system_sgpr_workgroup_info 0
		.amdhsa_system_vgpr_workitem_id 0
		.amdhsa_next_free_vgpr 128
		.amdhsa_next_free_sgpr 70
		.amdhsa_accum_offset 116
		.amdhsa_reserve_vcc 1
		.amdhsa_float_round_mode_32 0
		.amdhsa_float_round_mode_16_64 0
		.amdhsa_float_denorm_mode_32 3
		.amdhsa_float_denorm_mode_16_64 3
		.amdhsa_dx10_clamp 1
		.amdhsa_ieee_mode 1
		.amdhsa_fp16_overflow 0
		.amdhsa_tg_split 0
		.amdhsa_exception_fp_ieee_invalid_op 0
		.amdhsa_exception_fp_denorm_src 0
		.amdhsa_exception_fp_ieee_div_zero 0
		.amdhsa_exception_fp_ieee_overflow 0
		.amdhsa_exception_fp_ieee_underflow 0
		.amdhsa_exception_fp_ieee_inexact 0
		.amdhsa_exception_int_div_zero 0
	.end_amdhsa_kernel
	.section	.text._ZN12_GLOBAL__N_139chunk_gated_delta_rule_fwd_h_hip_kernelILi16ELb0ELb1ELb1ELb0ELb0ELb1ELb1ELb1EEEvPK12hip_bfloat16S3_S3_PKfS5_PKvPS1_S8_PvPKiSB_iiiiilll,"axG",@progbits,_ZN12_GLOBAL__N_139chunk_gated_delta_rule_fwd_h_hip_kernelILi16ELb0ELb1ELb1ELb0ELb0ELb1ELb1ELb1EEEvPK12hip_bfloat16S3_S3_PKfS5_PKvPS1_S8_PvPKiSB_iiiiilll,comdat
.Lfunc_end589:
	.size	_ZN12_GLOBAL__N_139chunk_gated_delta_rule_fwd_h_hip_kernelILi16ELb0ELb1ELb1ELb0ELb0ELb1ELb1ELb1EEEvPK12hip_bfloat16S3_S3_PKfS5_PKvPS1_S8_PvPKiSB_iiiiilll, .Lfunc_end589-_ZN12_GLOBAL__N_139chunk_gated_delta_rule_fwd_h_hip_kernelILi16ELb0ELb1ELb1ELb0ELb0ELb1ELb1ELb1EEEvPK12hip_bfloat16S3_S3_PKfS5_PKvPS1_S8_PvPKiSB_iiiiilll
                                        ; -- End function
	.section	.AMDGPU.csdata,"",@progbits
; Kernel info:
; codeLenInByte = 8476
; NumSgprs: 76
; NumVgprs: 116
; NumAgprs: 12
; TotalNumVgprs: 128
; ScratchSize: 0
; MemoryBound: 0
; FloatMode: 240
; IeeeMode: 1
; LDSByteSize: 40960 bytes/workgroup (compile time only)
; SGPRBlocks: 9
; VGPRBlocks: 15
; NumSGPRsForWavesPerEU: 76
; NumVGPRsForWavesPerEU: 128
; AccumOffset: 116
; Occupancy: 1
; WaveLimiterHint : 1
; COMPUTE_PGM_RSRC2:SCRATCH_EN: 0
; COMPUTE_PGM_RSRC2:USER_SGPR: 2
; COMPUTE_PGM_RSRC2:TRAP_HANDLER: 0
; COMPUTE_PGM_RSRC2:TGID_X_EN: 1
; COMPUTE_PGM_RSRC2:TGID_Y_EN: 1
; COMPUTE_PGM_RSRC2:TGID_Z_EN: 0
; COMPUTE_PGM_RSRC2:TIDIG_COMP_CNT: 0
; COMPUTE_PGM_RSRC3_GFX90A:ACCUM_OFFSET: 28
; COMPUTE_PGM_RSRC3_GFX90A:TG_SPLIT: 0
	.section	.text._ZN12_GLOBAL__N_139chunk_gated_delta_rule_fwd_h_hip_kernelILi16ELb0ELb1ELb0ELb0ELb0ELb1ELb1ELb1EEEvPK12hip_bfloat16S3_S3_PKfS5_PKvPS1_S8_PvPKiSB_iiiiilll,"axG",@progbits,_ZN12_GLOBAL__N_139chunk_gated_delta_rule_fwd_h_hip_kernelILi16ELb0ELb1ELb0ELb0ELb0ELb1ELb1ELb1EEEvPK12hip_bfloat16S3_S3_PKfS5_PKvPS1_S8_PvPKiSB_iiiiilll,comdat
	.globl	_ZN12_GLOBAL__N_139chunk_gated_delta_rule_fwd_h_hip_kernelILi16ELb0ELb1ELb0ELb0ELb0ELb1ELb1ELb1EEEvPK12hip_bfloat16S3_S3_PKfS5_PKvPS1_S8_PvPKiSB_iiiiilll ; -- Begin function _ZN12_GLOBAL__N_139chunk_gated_delta_rule_fwd_h_hip_kernelILi16ELb0ELb1ELb0ELb0ELb0ELb1ELb1ELb1EEEvPK12hip_bfloat16S3_S3_PKfS5_PKvPS1_S8_PvPKiSB_iiiiilll
	.p2align	8
	.type	_ZN12_GLOBAL__N_139chunk_gated_delta_rule_fwd_h_hip_kernelILi16ELb0ELb1ELb0ELb0ELb0ELb1ELb1ELb1EEEvPK12hip_bfloat16S3_S3_PKfS5_PKvPS1_S8_PvPKiSB_iiiiilll,@function
_ZN12_GLOBAL__N_139chunk_gated_delta_rule_fwd_h_hip_kernelILi16ELb0ELb1ELb0ELb0ELb0ELb1ELb1ELb1EEEvPK12hip_bfloat16S3_S3_PKfS5_PKvPS1_S8_PvPKiSB_iiiiilll: ; @_ZN12_GLOBAL__N_139chunk_gated_delta_rule_fwd_h_hip_kernelILi16ELb0ELb1ELb0ELb0ELb0ELb1ELb1ELb1EEEvPK12hip_bfloat16S3_S3_PKfS5_PKvPS1_S8_PvPKiSB_iiiiilll
; %bb.0:
	s_load_dwordx4 s[12:15], s[0:1], 0x5c
	s_load_dwordx4 s[16:19], s[0:1], 0x70
	s_abs_i32 s22, s3
	s_ashr_i32 s21, s3, 31
	s_load_dwordx8 s[4:11], s[0:1], 0x0
	s_load_dwordx2 s[30:31], s[0:1], 0x20
	s_waitcnt lgkmcnt(0)
	s_abs_i32 s20, s13
	v_cvt_f32_u32_e32 v1, s20
	s_sub_i32 s24, 0, s20
	s_ashr_i32 s23, s13, 31
	s_xor_b32 s21, s21, s23
	v_rcp_iflag_f32_e32 v1, v1
	s_load_dwordx2 s[28:29], s[0:1], 0x40
	s_load_dwordx2 s[38:39], s[0:1], 0x30
	;; [unrolled: 1-line block ×3, first 2 shown]
	v_lshrrev_b32_e32 v45, 6, v0
	v_mul_f32_e32 v1, 0x4f7ffffe, v1
	v_cvt_u32_f32_e32 v1, v1
	v_bfe_u32 v60, v0, 4, 2
	v_lshlrev_b32_e32 v58, 4, v45
	v_lshlrev_b32_e32 v2, 2, v60
	v_readfirstlane_b32 s25, v1
	s_mul_i32 s24, s24, s25
	s_mul_hi_u32 s24, s25, s24
	s_add_i32 s25, s25, s24
	s_mul_hi_u32 s24, s22, s25
	s_mul_i32 s25, s24, s20
	s_sub_i32 s22, s22, s25
	s_add_i32 s25, s24, 1
	s_sub_i32 s26, s22, s20
	s_cmp_ge_u32 s22, s20
	s_cselect_b32 s24, s25, s24
	s_cselect_b32 s22, s26, s22
	s_add_i32 s25, s24, 1
	s_cmp_ge_u32 s22, s20
	s_cselect_b32 s22, s25, s24
	s_xor_b32 s22, s22, s21
	s_sub_i32 s50, s22, s21
	s_abs_i32 s21, s14
	v_cvt_f32_u32_e32 v1, s21
	s_ashr_i32 s49, s12, 31
	s_lshr_b32 s22, s49, 26
	s_add_i32 s22, s12, s22
	v_rcp_iflag_f32_e32 v1, v1
	s_ashr_i32 s52, s14, 31
	s_ashr_i32 s51, s22, 6
	s_xor_b32 s22, s23, s52
	v_mul_f32_e32 v1, 0x4f7ffffe, v1
	v_cvt_u32_f32_e32 v1, v1
	s_sub_i32 s23, 0, s21
	s_mul_i32 s48, s50, s13
	s_sub_i32 s33, s3, s48
	v_readfirstlane_b32 s24, v1
	s_mul_i32 s23, s23, s24
	s_mul_hi_u32 s23, s24, s23
	s_add_i32 s24, s24, s23
	s_mul_hi_u32 s23, s20, s24
	s_mul_i32 s24, s23, s21
	s_sub_i32 s20, s20, s24
	s_add_i32 s3, s12, 63
	s_add_i32 s24, s23, 1
	s_sub_i32 s25, s20, s21
	s_cmp_ge_u32 s20, s21
	s_cselect_b32 s23, s24, s23
	s_cselect_b32 s20, s25, s20
	s_add_i32 s24, s23, 1
	s_cmp_ge_u32 s20, s21
	s_cselect_b32 s20, s24, s23
	s_xor_b32 s20, s20, s22
	s_sub_i32 s20, s20, s22
	s_abs_i32 s21, s20
	v_cvt_f32_u32_e32 v1, s21
	s_xor_b32 s0, s33, s20
	s_sub_i32 s20, 0, s21
	s_abs_i32 s1, s33
	v_rcp_iflag_f32_e32 v1, v1
	s_ashr_i32 s0, s0, 31
	v_and_b32_e32 v59, 63, v0
	v_mov_b32_e32 v49, 0
	v_mul_f32_e32 v1, 0x4f7ffffe, v1
	v_cvt_u32_f32_e32 v1, v1
	s_mul_i32 s46, s50, s12
	v_and_b32_e32 v61, 15, v0
	s_mul_hi_i32 s54, s50, s13
	v_readfirstlane_b32 s22, v1
	s_mul_i32 s20, s20, s22
	s_mul_hi_u32 s20, s22, s20
	s_add_i32 s22, s22, s20
	s_mul_hi_u32 s20, s1, s22
	s_mul_i32 s22, s20, s21
	s_sub_i32 s1, s1, s22
	s_add_i32 s22, s20, 1
	s_sub_i32 s23, s1, s21
	s_cmp_ge_u32 s1, s21
	s_cselect_b32 s20, s22, s20
	s_cselect_b32 s1, s23, s1
	s_add_i32 s22, s20, 1
	s_cmp_ge_u32 s1, s21
	s_cselect_b32 s1, s22, s20
	s_xor_b32 s1, s1, s0
	s_sub_i32 s55, s1, s0
	s_ashr_i32 s0, s3, 31
	s_lshr_b32 s0, s0, 26
	s_add_i32 s3, s3, s0
	v_or_b32_e32 v1, v2, v58
	s_ashr_i32 s0, s3, 6
	s_lshl_b32 s2, s2, 4
	s_mul_i32 s53, s50, s0
	v_or_b32_e32 v64, 64, v1
	s_cmp_lt_i32 s12, 64
	v_lshrrev_b32_e32 v63, 3, v59
	v_lshlrev_b32_e32 v62, 3, v0
	s_mul_i32 s17, s50, s17
	s_mul_hi_u32 s47, s50, s16
	s_mul_i32 s36, s50, s16
	v_mov_b32_e32 v48, v49
	v_mov_b32_e32 v51, v49
	;; [unrolled: 1-line block ×7, first 2 shown]
	s_cbranch_scc1 .LBB590_18
; %bb.1:
	s_ashr_i32 s3, s50, 31
	s_ashr_i32 s57, s33, 31
	s_add_u32 s0, s48, s33
	s_addc_u32 s1, s54, s57
	s_mul_i32 s1, s12, s1
	s_mul_hi_u32 s20, s12, s0
	s_add_i32 s41, s20, s1
	s_mul_i32 s40, s12, s0
	s_lshl_b64 s[0:1], s[40:41], 8
	v_and_b32_e32 v66, 56, v62
	s_add_u32 s20, s6, s0
	v_lshl_or_b32 v65, v45, 3, v63
	v_lshlrev_b32_e32 v3, 1, v66
	s_addc_u32 s0, s7, s1
	v_lshl_or_b32 v67, v65, 8, v3
	s_and_b32 s21, s0, 0xffff
	s_mov_b32 s23, 0x20000
	s_movk_i32 s22, 0x4000
	s_movk_i32 s0, 0x80
	v_or_b32_e32 v68, 0x2000, v67
	buffer_load_dwordx4 v[4:7], v67, s[20:23], 0 offen
	buffer_load_dwordx4 v[8:11], v67, s[20:23], s0 offen
	;; [unrolled: 1-line block ×4, first 2 shown]
	v_lshlrev_b32_e32 v20, 3, v65
	v_and_or_b32 v22, v0, 7, v20
	v_and_b32_e32 v20, 0x78, v20
	v_lshlrev_b32_e32 v22, 4, v22
	v_xor_b32_e32 v69, v22, v20
	v_mul_lo_u32 v21, v65, s15
	v_or_b32_e32 v70, 0x1000, v69
	s_cmpk_eq_i32 s15, 0x80
	s_mov_b32 s56, s14
	v_xor_b32_e32 v20, 8, v69
	v_xor_b32_e32 v22, 8, v70
	s_cselect_b64 s[0:1], -1, 0
	s_cmpk_lg_i32 s15, 0x80
	s_waitcnt vmcnt(3)
	ds_write_b64 v69, v[4:5] offset:16384
	ds_write_b64 v20, v[6:7] offset:16384
	s_waitcnt vmcnt(2)
	ds_write_b64 v69, v[8:9] offset:24576
	ds_write_b64 v20, v[10:11] offset:24576
	;; [unrolled: 3-line block ×4, first 2 shown]
	v_lshl_add_u32 v4, v21, 1, v66
	s_cbranch_scc0 .LBB590_3
; %bb.2:
	v_lshlrev_b32_e32 v6, 1, v4
	v_add_lshl_u32 v5, v4, s15, 1
	s_lshl_b32 s22, s15, 7
	v_lshl_or_b32 v3, v65, 9, v3
	s_cbranch_execz .LBB590_4
	s_branch .LBB590_5
.LBB590_3:
                                        ; implicit-def: $vgpr5
                                        ; implicit-def: $vgpr6
                                        ; implicit-def: $sgpr22
	v_lshl_or_b32 v3, v65, 9, v3
.LBB590_4:
	v_or_b32_e32 v5, 0x100, v3
	s_movk_i32 s22, 0x4000
	v_mov_b32_e32 v6, v3
.LBB590_5:
	s_mul_hi_u32 s20, s14, s12
	s_mul_i32 s21, s52, s12
	s_add_i32 s20, s20, s21
	s_mul_i32 s21, s14, s12
	s_mul_i32 s23, s21, s3
	s_mul_hi_u32 s24, s21, s50
	s_add_i32 s23, s24, s23
	s_mul_i32 s20, s20, s50
	s_add_i32 s23, s23, s20
	s_mul_i32 s21, s21, s50
	s_ashr_i32 s58, s55, 31
	s_add_u32 s20, s21, s55
	s_addc_u32 s21, s23, s58
	s_lshl_b64 s[20:21], s[20:21], 8
	s_add_u32 s20, s4, s20
	s_addc_u32 s21, s5, s21
	s_and_b32 s21, s21, 0xffff
	s_mov_b32 s23, 0x20000
	s_movk_i32 s59, 0x80
	buffer_load_dwordx4 v[8:11], v6, s[20:23], 0 offen
	buffer_load_dwordx4 v[12:15], v6, s[20:23], s59 offen
	;; [unrolled: 1-line block ×4, first 2 shown]
	v_and_b32_e32 v5, 6, v0
	s_mul_i32 s20, s3, s12
	s_mul_hi_u32 s21, s50, s12
	v_lshlrev_b32_e32 v7, 2, v61
	v_lshlrev_b32_e32 v24, 3, v61
	v_xor_b32_e32 v26, v65, v5
	v_and_b32_e32 v6, 1, v0
	s_mul_i32 s3, s3, s16
	v_lshl_or_b32 v24, v1, 5, v24
	v_xor_b32_e32 v27, v1, v7
	v_lshlrev_b32_e32 v26, 2, v26
	s_add_i32 s63, s21, s20
	s_add_i32 s20, s47, s17
	s_mul_i32 s24, s33, s19
	v_or_b32_e32 v71, 0x9000, v24
	v_or_b32_e32 v72, 0x9800, v24
	v_lshlrev_b32_e32 v24, 1, v27
	v_xor_b32_e32 v27, 0x440, v26
	v_cmp_eq_u32_e32 vcc, 0, v6
	s_add_i32 s37, s20, s3
	s_mul_hi_u32 s3, s33, s18
	v_cndmask_b32_e32 v6, v27, v26, vcc
	s_add_i32 s3, s3, s24
	s_mul_i32 s20, s57, s18
	s_mov_b32 s61, 0x1000504
	v_lshlrev_b32_e32 v25, 8, v61
	s_mov_b32 s22, 0x8000
	v_xor_b32_e32 v7, v64, v7
	v_lshl_or_b32 v5, v5, 10, v6
	s_add_i32 s21, s3, s20
	s_lshl_b64 s[24:25], s[36:37], 2
	s_mov_b32 s62, 0x3020706
	v_lshlrev_b32_e32 v7, 1, v7
	v_or3_b32 v73, v24, v25, s22
	v_xor_b32_e32 v6, 8, v5
	v_xor_b32_e32 v24, 24, v5
	;; [unrolled: 1-line block ×4, first 2 shown]
	s_mul_i32 s20, s33, s18
	s_add_u32 s3, s10, s24
	v_or3_b32 v74, v7, v25, s22
	v_xor_b32_e32 v7, 16, v5
	v_xor_b32_e32 v25, 32, v5
	;; [unrolled: 1-line block ×3, first 2 shown]
	v_add_u32_e32 v6, 0x80, v6
	v_add_u32_e32 v24, 0x80, v24
	v_add_u32_e32 v26, 0x80, v26
	v_add_u32_e32 v28, 0x80, v28
	s_addc_u32 s24, s11, s25
	s_lshl_b64 s[20:21], s[20:21], 2
	s_add_u32 s42, s3, s20
	s_movk_i32 s3, 0xf8
	s_addc_u32 s43, s24, s21
	s_lshl_b32 s26, s15, 7
	v_mov_b32_e32 v47, 0
	s_mov_b32 s60, 0
	v_add_u32_e32 v85, v58, v2
	s_mov_b32 s37, 0x7060302
	v_mov_b32_e32 v96, 0x3fb8aa3b
	s_mov_b32 s65, 0
	v_mov_b32_e32 v52, v47
	v_mov_b32_e32 v53, v47
	;; [unrolled: 1-line block ×6, first 2 shown]
	s_waitcnt vmcnt(1)
	v_perm_b32 v29, v8, v16, s61
	s_waitcnt vmcnt(0)
	v_perm_b32 v30, v12, v20, s61
	v_perm_b32 v8, v8, v16, s62
	;; [unrolled: 1-line block ×15, first 2 shown]
	ds_write2st64_b32 v5, v29, v30 offset1:32
	ds_write2st64_b32 v6, v8, v12 offset1:32
	ds_write2st64_b32 v7, v16, v20 offset0:1 offset1:33
	ds_write2st64_b32 v24, v9, v13 offset0:1 offset1:33
	;; [unrolled: 1-line block ×6, first 2 shown]
	v_or_b32_e32 v5, v58, v61
	v_lshlrev_b32_e32 v5, 3, v5
	v_lshrrev_b32_e32 v7, 5, v59
	v_and_or_b32 v7, v5, s3, v7
	v_lshlrev_b32_e32 v7, 4, v7
	v_lshrrev_b32_e32 v6, 2, v59
	v_lshlrev_b32_e32 v9, 11, v45
	v_and_b32_e32 v5, 0x78, v5
	v_or_b32_e32 v12, 32, v7
	v_and_b32_e32 v8, 12, v6
	v_and_b32_e32 v6, 0x1000, v9
	v_lshrrev_b32_e32 v11, 1, v59
	v_xor_b32_e32 v12, v12, v5
	v_and_b32_e32 v11, 8, v11
	v_or_b32_e32 v12, v12, v6
	v_xor_b32_e32 v10, v7, v5
	v_xor_b32_e32 v77, v12, v11
	v_or_b32_e32 v12, 64, v7
	v_or_b32_e32 v7, 0x60, v7
	;; [unrolled: 1-line block ×3, first 2 shown]
	v_xor_b32_e32 v12, v12, v5
	v_xor_b32_e32 v5, v7, v5
	;; [unrolled: 1-line block ×3, first 2 shown]
	v_and_b32_e32 v10, 0x78, v62
	v_or_b32_e32 v5, v5, v6
	v_lshl_or_b32 v10, v60, 7, v10
	v_or_b32_e32 v12, v12, v6
	v_xor_b32_e32 v79, v5, v11
	s_ashr_i32 s3, s2, 31
	v_lshlrev_b32_e32 v5, 1, v61
	v_or_b32_e32 v76, 0x9000, v10
	v_xor_b32_e32 v78, v12, v11
	v_or_b32_e32 v80, 0x9800, v10
	v_lshlrev_b32_e32 v10, 1, v4
	v_add_lshl_u32 v11, v4, s15, 1
	v_lshrrev_b32_e32 v4, 4, v0
	s_lshl_b64 s[20:21], s[2:3], 8
	v_or_b32_e32 v13, 1, v5
	s_waitcnt lgkmcnt(0)
	s_add_u32 s20, s38, s20
	v_xor_b32_e32 v5, v4, v5
	v_xor_b32_e32 v13, v13, v4
	s_addc_u32 s21, s39, s21
	v_lshlrev_b32_e32 v5, 3, v5
	v_lshlrev_b32_e32 v46, 8, v4
	;; [unrolled: 1-line block ×3, first 2 shown]
	v_lshrrev_b32_e32 v17, 1, v0
	v_or3_b32 v81, v5, v46, s22
	v_or3_b32 v82, v4, v46, s22
	v_lshl_add_u64 v[4:5], s[20:21], 0, v[46:47]
	v_lshlrev_b32_e32 v46, 4, v61
	s_movk_i32 s3, 0xff
	v_lshlrev_b32_e32 v16, 3, v45
	v_and_b32_e32 v17, 24, v17
	v_lshl_add_u64 v[54:55], v[4:5], 0, v[46:47]
	v_and_b32_e32 v5, 8, v0
	v_cmp_lt_u32_e32 vcc, s3, v0
	v_xor_b32_e32 v18, v16, v17
	v_or_b32_e32 v19, 0x440, v18
	v_cndmask_b32_e64 v15, 0, 1, vcc
	v_cmp_eq_u32_e32 vcc, 0, v5
	v_or_b32_e32 v21, 64, v17
	v_xor_b32_e32 v21, v16, v21
	v_cndmask_b32_e32 v5, v19, v18, vcc
	v_or_b32_e32 v19, 32, v17
	v_or_b32_e32 v17, 0x60, v17
	v_xor_b32_e32 v19, v16, v19
	v_xor_b32_e32 v16, v16, v17
	v_or_b32_e32 v20, 0x440, v19
	v_xor_b32_e32 v22, 0x440, v21
	v_xor_b32_e32 v17, 0x440, v16
	v_and_b32_e32 v4, 7, v0
	v_cndmask_b32_e32 v19, v20, v19, vcc
	v_cndmask_b32_e32 v21, v22, v21, vcc
	;; [unrolled: 1-line block ×3, first 2 shown]
	v_or_b32_e32 v6, s2, v61
	v_lshlrev_b32_e32 v13, 3, v4
	v_or_b32_e32 v5, v5, v9
	v_or_b32_e32 v19, v19, v9
	;; [unrolled: 1-line block ×4, first 2 shown]
	v_ashrrev_i32_e32 v7, 31, v6
	v_lshlrev_b32_e32 v15, 13, v15
	v_xor_b32_e32 v5, v5, v13
	v_xor_b32_e32 v19, v19, v13
	;; [unrolled: 1-line block ×4, first 2 shown]
	v_lshl_add_u64 v[6:7], v[6:7], 1, s[8:9]
	v_or_b32_e32 v12, 0x100, v3
	v_lshlrev_b32_e32 v14, 7, v4
	v_or_b32_e32 v4, v8, v58
	v_add_u32_e32 v18, v15, v5
	v_add_u32_e32 v20, v15, v19
	;; [unrolled: 1-line block ×4, first 2 shown]
	v_or3_b32 v8, v58, v8, 64
	v_add_u32_e32 v5, 0x2000, v5
	v_add_u32_e32 v15, 0x2000, v19
	;; [unrolled: 1-line block ×4, first 2 shown]
	v_lshlrev_b32_e32 v46, 8, v1
	v_cndmask_b32_e64 v83, v10, v3, s[0:1]
	v_cndmask_b32_e64 v84, v11, v12, s[0:1]
	v_lshl_add_u64 v[56:57], v[6:7], 0, v[46:47]
	s_add_i32 s3, s46, 63
	s_movk_i32 s22, 0x4000
	v_lshlrev_b32_e32 v86, 2, v4
	v_add_u32_e32 v87, v18, v14
	v_add_u32_e32 v88, v20, v14
	;; [unrolled: 1-line block ×4, first 2 shown]
	v_lshlrev_b32_e32 v91, 2, v8
	v_add_u32_e32 v92, v5, v14
	v_add_u32_e32 v93, v15, v14
	;; [unrolled: 1-line block ×4, first 2 shown]
	v_mov_b32_e32 v46, v47
	s_barrier
.LBB590_6:                              ; =>This Inner Loop Header: Depth=1
	s_add_i32 s64, s65, 1
	s_cmp_lt_i32 s64, s51
	s_mov_b64 s[24:25], 0
	s_cselect_b64 s[44:45], -1, 0
	s_cmp_ge_i32 s64, s51
	s_mov_b64 s[20:21], 0
	s_cbranch_scc1 .LBB590_8
; %bb.7:                                ;   in Loop: Header=BB590_6 Depth=1
	s_add_i32 s0, s60, 64
	s_add_u32 s0, s40, s0
	s_addc_u32 s1, s41, 0
	s_lshl_b64 s[0:1], s[0:1], 8
	s_add_u32 s20, s6, s0
	s_addc_u32 s21, s7, s1
.LBB590_8:                              ;   in Loop: Header=BB590_6 Depth=1
	v_cndmask_b32_e64 v2, 0, 1, s[44:45]
	v_cmp_ne_u32_e64 s[0:1], 1, v2
	s_andn2_b64 vcc, exec, s[44:45]
	s_cbranch_vccnz .LBB590_10
; %bb.9:                                ;   in Loop: Header=BB590_6 Depth=1
	s_add_i32 s24, s60, 64
	s_add_u32 s24, s46, s24
	s_addc_u32 s25, s63, 0
	s_mul_i32 s27, s24, s52
	s_mul_hi_u32 s44, s24, s56
	s_add_i32 s27, s44, s27
	s_mul_i32 s25, s25, s56
	s_add_i32 s27, s27, s25
	s_mul_i32 s24, s24, s56
	s_add_u32 s24, s24, s55
	s_addc_u32 s25, s27, s58
	s_lshl_b64 s[24:25], s[24:25], 8
	s_add_u32 s24, s4, s24
	s_addc_u32 s25, s5, s25
.LBB590_10:                             ;   in Loop: Header=BB590_6 Depth=1
	v_perm_b32 v3, v53, v52, s37
	v_perm_b32 v2, v47, v46, s37
	;; [unrolled: 1-line block ×4, first 2 shown]
	ds_write_b64 v71, v[2:3]
	ds_write_b64 v72, v[4:5]
	;; [unrolled: 1-line block ×4, first 2 shown]
	s_waitcnt lgkmcnt(0)
	s_barrier
	ds_read_b64 v[10:11], v75 offset:16384
	ds_read_b64 v[12:13], v77 offset:16384
	ds_read2st64_b64 v[2:5], v76 offset1:1
	ds_read2st64_b64 v[6:9], v76 offset0:2 offset1:3
	ds_read_b64 v[14:15], v78 offset:16384
	s_waitcnt lgkmcnt(2)
	v_mfma_f32_16x16x16_bf16 a[0:3], v[10:11], v[2:3], 0
	ds_read_b64 v[2:3], v79 offset:16384
	s_add_i32 s27, s60, 63
	s_mul_i32 s44, s27, s35
	v_mfma_f32_16x16x16_bf16 a[0:3], v[12:13], v[4:5], a[0:3]
	s_mul_hi_u32 s45, s27, s34
	s_add_i32 s45, s45, s44
	s_mul_i32 s44, s27, s34
	s_waitcnt lgkmcnt(1)
	v_mfma_f32_16x16x16_bf16 a[0:3], v[14:15], v[6:7], a[0:3]
	s_lshl_b64 s[44:45], s[44:45], 2
	s_add_u32 s44, s42, s44
	s_addc_u32 s45, s43, s45
	s_waitcnt lgkmcnt(0)
	v_mfma_f32_16x16x16_bf16 a[0:3], v[2:3], v[8:9], a[0:3]
	s_and_b64 vcc, exec, s[0:1]
	v_mov_b32_e32 v99, 0
	v_mov_b32_e32 v98, 0
	;; [unrolled: 1-line block ×19, first 2 shown]
	s_cbranch_vccnz .LBB590_12
; %bb.11:                               ;   in Loop: Header=BB590_6 Depth=1
	s_and_b32 s21, s21, 0xffff
	buffer_load_dwordx4 v[14:17], v67, s[20:23], 0 offen
	buffer_load_dwordx4 v[10:13], v67, s[20:23], s59 offen
	;; [unrolled: 1-line block ×4, first 2 shown]
	v_mov_b32_e32 v98, v69
	v_mov_b32_e32 v97, v70
.LBB590_12:                             ;   in Loop: Header=BB590_6 Depth=1
	v_add_u32_e32 v24, s60, v85
	v_ashrrev_i32_e32 v18, 31, v24
	v_mul_lo_u32 v20, v18, s34
	v_mul_lo_u32 v21, v24, s35
	v_mad_u64_u32 v[18:19], s[20:21], v24, s34, 0
	v_add3_u32 v19, v19, v21, v20
	v_add_u32_e32 v20, 1, v24
	v_ashrrev_i32_e32 v21, 31, v20
	v_mul_lo_u32 v22, v21, s34
	v_mul_lo_u32 v23, v20, s35
	v_mad_u64_u32 v[20:21], s[20:21], v20, s34, 0
	v_add3_u32 v21, v21, v23, v22
	v_add_u32_e32 v22, 2, v24
	v_ashrrev_i32_e32 v23, 31, v22
	v_mul_lo_u32 v25, v23, s34
	v_mul_lo_u32 v26, v22, s35
	v_mad_u64_u32 v[22:23], s[20:21], v22, s34, 0
	v_add_u32_e32 v24, 3, v24
	v_add3_u32 v23, v23, v26, v25
	v_ashrrev_i32_e32 v25, 31, v24
	v_mul_lo_u32 v28, v25, s34
	v_mul_lo_u32 v29, v24, s35
	v_mad_u64_u32 v[24:25], s[20:21], v24, s34, 0
	s_add_u32 s20, s40, s60
	s_addc_u32 s21, s41, 0
	s_lshl_b64 s[20:21], s[20:21], 8
	v_lshl_add_u64 v[18:19], v[18:19], 2, s[42:43]
	v_lshl_add_u64 v[20:21], v[20:21], 2, s[42:43]
	;; [unrolled: 1-line block ×3, first 2 shown]
	v_add3_u32 v25, v25, v29, v28
	v_lshl_add_u64 v[22:23], v[22:23], 2, s[42:43]
	global_load_ushort v38, v[26:27], off
	global_load_ushort v39, v[26:27], off offset:256
	global_load_ushort v40, v[26:27], off offset:512
	;; [unrolled: 1-line block ×3, first 2 shown]
	global_load_dword v42, v[18:19], off
	v_lshl_add_u64 v[18:19], v[24:25], 2, s[42:43]
	global_load_dword v43, v[20:21], off
	global_load_dword v44, v[22:23], off
	;; [unrolled: 1-line block ×3, first 2 shown]
	s_load_dword s20, s[44:45], 0x0
	ds_read2st64_b64 v[24:27], v80 offset1:1
	ds_read2st64_b64 v[28:31], v80 offset0:2 offset1:3
	ds_read_b64 v[22:23], v75 offset:24576
	ds_read_b64 v[32:33], v77 offset:24576
	;; [unrolled: 1-line block ×4, first 2 shown]
	s_waitcnt lgkmcnt(0)
	v_mfma_f32_16x16x16_bf16 a[0:3], v[22:23], v[24:25], a[0:3]
	v_mov_b32_e32 v100, 0
	v_mov_b32_e32 v18, 0
	v_mov_b32_e32 v19, 0
	v_mfma_f32_16x16x16_bf16 a[0:3], v[32:33], v[26:27], a[0:3]
	v_mov_b32_e32 v20, 0
	v_mov_b32_e32 v21, 0
	v_mov_b32_e32 v22, 0
	;; [unrolled: 4-line block ×4, first 2 shown]
	v_mov_b32_e32 v29, 0
	s_and_b64 vcc, exec, s[0:1]
	s_waitcnt vmcnt(7)
	v_lshlrev_b32_e32 v34, 16, v38
	s_waitcnt vmcnt(6)
	v_lshlrev_b32_e32 v35, 16, v39
	;; [unrolled: 2-line block ×4, first 2 shown]
	s_waitcnt vmcnt(3)
	v_sub_f32_e32 v38, s20, v42
	s_waitcnt vmcnt(2)
	v_sub_f32_e32 v39, s20, v43
	;; [unrolled: 2-line block ×4, first 2 shown]
	v_mul_f32_e32 v38, 0x3fb8aa3b, v38
	v_mul_f32_e32 v39, 0x3fb8aa3b, v39
	;; [unrolled: 1-line block ×4, first 2 shown]
	v_exp_f32_e32 v38, v38
	v_exp_f32_e32 v39, v39
	;; [unrolled: 1-line block ×4, first 2 shown]
	v_accvgpr_read_b32 v33, a1
	v_accvgpr_read_b32 v31, a3
	;; [unrolled: 1-line block ×4, first 2 shown]
	v_pk_add_f32 v[32:33], v[34:35], v[32:33] neg_lo:[0,1] neg_hi:[0,1]
	v_pk_add_f32 v[30:31], v[36:37], v[30:31] neg_lo:[0,1] neg_hi:[0,1]
	v_pk_mul_f32 v[32:33], v[38:39], v[32:33]
	v_pk_mul_f32 v[30:31], v[40:41], v[30:31]
	s_nop 0
	v_perm_b32 v31, v31, v30, s37
	v_perm_b32 v30, v33, v32, s37
	ds_write_b64 v72, v[30:31]
	v_mov_b32_e32 v30, 0
	v_mov_b32_e32 v31, 0
	;; [unrolled: 1-line block ×4, first 2 shown]
	s_cbranch_vccnz .LBB590_14
; %bb.13:                               ;   in Loop: Header=BB590_6 Depth=1
	s_and_b32 s25, s25, 0xffff
	s_mov_b32 s27, s23
	buffer_load_dwordx4 v[30:33], v83, s[24:27], 0 offen
	buffer_load_dwordx4 v[22:25], v83, s[24:27], s59 offen
	;; [unrolled: 1-line block ×4, first 2 shown]
	v_mov_b32_e32 v99, v66
	v_mov_b32_e32 v100, v65
.LBB590_14:                             ;   in Loop: Header=BB590_6 Depth=1
	s_waitcnt lgkmcnt(0)
	s_barrier
	ds_read_b64 v[34:35], v87
	ds_read_b64 v[40:41], v88
	ds_read2st64_b64 v[36:39], v80 offset1:1
	ds_read2st64_b64 v[102:105], v80 offset0:2 offset1:3
	ds_read_b64 v[42:43], v89
	ds_read_b64 v[110:111], v90
	s_add_i32 s21, s53, s65
	s_mul_hi_i32 s25, s21, s13
	s_mul_i32 s21, s21, s13
	s_waitcnt lgkmcnt(3)
	v_mfma_f32_16x16x16_bf16 a[0:3], v[34:35], v[36:37], 0
	ds_read_b64 v[34:35], v92
	s_add_u32 s24, s21, s33
	s_addc_u32 s25, s25, s57
	s_add_i32 s21, s3, s60
	v_mfma_f32_16x16x16_bf16 a[0:3], v[40:41], v[38:39], a[0:3]
	ds_read_b64 v[40:41], v93
	s_lshl_b64 s[24:25], s[24:25], 15
	s_mul_hi_i32 s27, s21, s13
	s_mul_i32 s21, s21, s13
	s_add_u32 s44, s21, s33
	s_addc_u32 s45, s27, s57
	s_lshl_b64 s[44:45], s[44:45], 9
	s_add_u32 s44, s30, s44
	s_waitcnt lgkmcnt(1)
	v_mfma_f32_16x16x16_bf16 a[4:7], v[34:35], v[36:37], 0
	s_addc_u32 s45, s31, s45
	s_and_b64 vcc, exec, s[0:1]
	v_mfma_f32_16x16x16_bf16 a[0:3], v[42:43], v[102:103], a[0:3]
	ds_read_b64 v[42:43], v94
	ds_read_b64 v[112:113], v95
	global_load_dwordx4 v[34:37], v91, s[44:45]
	s_waitcnt lgkmcnt(2)
	v_mfma_f32_16x16x16_bf16 a[4:7], v[40:41], v[38:39], a[4:7]
	global_load_dwordx4 v[38:41], v86, s[44:45]
	ds_read_b64 v[106:107], v81
	ds_read_b64 v[108:109], v82
	s_waitcnt lgkmcnt(3)
	v_mfma_f32_16x16x16_bf16 a[8:11], v[42:43], v[102:103], a[4:7]
	v_lshl_add_u64 v[42:43], v[54:55], 0, s[24:25]
	s_waitcnt lgkmcnt(0)
	global_store_dwordx4 v[42:43], v[106:109], off
	v_mfma_f32_16x16x16_bf16 a[4:7], v[110:111], v[104:105], a[0:3]
	s_waitcnt vmcnt(2)
	v_mov_b32_e32 v44, v37
	v_mfma_f32_16x16x16_bf16 a[0:3], v[112:113], v[104:105], a[8:11]
	v_mov_b32_e32 v43, v36
	v_mov_b32_e32 v42, v35
	s_cbranch_vccnz .LBB590_16
; %bb.15:                               ;   in Loop: Header=BB590_6 Depth=1
	v_lshrrev_b32_e32 v35, 3, v99
	v_and_b32_e32 v35, 6, v35
	v_xor_b32_e32 v36, v35, v100
	v_lshlrev_b32_e32 v36, 2, v36
	v_and_b32_e32 v37, 8, v99
	v_xor_b32_e32 v99, 0x440, v36
	v_cmp_eq_u32_e32 vcc, 0, v37
	v_perm_b32 v37, v22, v18, s61
	s_nop 0
	v_cndmask_b32_e32 v36, v99, v36, vcc
	v_lshl_or_b32 v35, v35, 10, v36
	v_perm_b32 v36, v30, v26, s61
	s_barrier
	ds_write2st64_b32 v35, v36, v37 offset1:32
	v_xor_b32_e32 v36, 8, v35
	v_perm_b32 v26, v30, v26, s62
	v_perm_b32 v18, v22, v18, s62
	v_add_u32_e32 v22, 0x80, v36
	ds_write2st64_b32 v22, v26, v18 offset1:32
	v_xor_b32_e32 v18, 16, v35
	v_perm_b32 v22, v31, v27, s61
	v_perm_b32 v26, v23, v19, s61
	ds_write2st64_b32 v18, v22, v26 offset0:1 offset1:33
	v_xor_b32_e32 v18, 24, v35
	v_perm_b32 v22, v31, v27, s62
	v_perm_b32 v19, v23, v19, s62
	v_add_u32_e32 v18, 0x80, v18
	ds_write2st64_b32 v18, v22, v19 offset0:1 offset1:33
	v_xor_b32_e32 v18, 32, v35
	v_perm_b32 v19, v32, v28, s61
	v_perm_b32 v22, v24, v20, s61
	ds_write2st64_b32 v18, v19, v22 offset0:2 offset1:34
	v_xor_b32_e32 v18, 40, v35
	v_perm_b32 v19, v32, v28, s62
	v_perm_b32 v20, v24, v20, s62
	v_add_u32_e32 v18, 0x80, v18
	ds_write2st64_b32 v18, v19, v20 offset0:2 offset1:34
	;; [unrolled: 9-line block ×3, first 2 shown]
	ds_write_b64 v98, v[14:15] offset:16384
	v_xor_b32_e32 v14, 8, v98
	ds_write_b64 v14, v[16:17] offset:16384
	ds_write_b64 v98, v[10:11] offset:24576
	;; [unrolled: 1-line block ×4, first 2 shown]
	v_xor_b32_e32 v6, 8, v97
	ds_write_b64 v6, v[8:9] offset:16384
	ds_write_b64 v97, v[2:3] offset:24576
	;; [unrolled: 1-line block ×3, first 2 shown]
.LBB590_16:                             ;   in Loop: Header=BB590_6 Depth=1
	v_mul_f32_e32 v6, s20, v96
	v_exp_f32_e32 v10, v6
	s_waitcnt vmcnt(1)
	v_mul_f32_e32 v6, 0x3fb8aa3b, v38
	v_exp_f32_e32 v12, v6
	v_mul_f32_e32 v6, 0x3fb8aa3b, v39
	v_exp_f32_e32 v13, v6
	;; [unrolled: 2-line block ×4, first 2 shown]
	v_accvgpr_read_b32 v2, a4
	v_accvgpr_read_b32 v3, a5
	v_pk_mul_f32 v[12:13], v[10:11], v[12:13] op_sel_hi:[0,1]
	v_pk_fma_f32 v[46:47], v[46:47], v[12:13], v[2:3]
	v_pk_mul_f32 v[2:3], v[10:11], v[14:15] op_sel_hi:[0,1]
	v_mul_f32_e32 v11, 0x3fb8aa3b, v34
	v_exp_f32_e32 v12, v11
	v_mul_f32_e32 v11, 0x3fb8aa3b, v42
	v_exp_f32_e32 v13, v11
	;; [unrolled: 2-line block ×4, first 2 shown]
	v_accvgpr_read_b32 v4, a6
	v_accvgpr_read_b32 v5, a7
	;; [unrolled: 1-line block ×5, first 2 shown]
	v_pk_fma_f32 v[52:53], v[52:53], v[2:3], v[4:5]
	v_pk_mul_f32 v[2:3], v[10:11], v[12:13] op_sel_hi:[0,1]
	v_accvgpr_read_b32 v8, a2
	v_pk_fma_f32 v[50:51], v[50:51], v[2:3], v[6:7]
	v_pk_mul_f32 v[2:3], v[10:11], v[14:15] op_sel_hi:[0,1]
	s_add_i32 s60, s60, 64
	s_cmp_eq_u32 s51, s64
	v_pk_fma_f32 v[48:49], v[48:49], v[2:3], v[8:9]
	s_cbranch_scc1 .LBB590_18
; %bb.17:                               ;   in Loop: Header=BB590_6 Depth=1
	s_mov_b32 s65, s64
	s_branch .LBB590_6
.LBB590_18:
	s_lshl_b32 s44, s51, 6
	s_sub_i32 s45, s12, s44
	s_cmp_gt_i32 s45, 0
	v_or_b32_e32 v26, s2, v61
	s_cbranch_scc1 .LBB590_20
; %bb.19:
	s_ashr_i32 s0, s33, 31
	s_add_u32 s24, s48, s33
	s_addc_u32 s25, s54, s0
	v_or_b32_e32 v2, s2, v61
	s_cbranch_execz .LBB590_21
	s_branch .LBB590_77
.LBB590_20:
                                        ; implicit-def: $sgpr24_sgpr25
                                        ; implicit-def: $vgpr2
.LBB590_21:
	s_ashr_i32 s37, s50, 31
	s_ashr_i32 s3, s44, 31
	s_cmpk_lg_i32 s15, 0x80
	s_cselect_b64 s[40:41], -1, 0
	s_and_b64 vcc, exec, s[40:41]
	s_cbranch_vccz .LBB590_23
; %bb.22:
	s_mul_hi_i32 s0, s50, s12
	s_add_u32 s1, s46, s44
	s_addc_u32 s0, s0, s3
	s_mul_i32 s20, s1, s52
	s_mul_hi_u32 s21, s1, s14
	s_add_i32 s20, s21, s20
	s_mul_i32 s0, s0, s14
	s_add_i32 s20, s20, s0
	s_mul_i32 s1, s1, s14
	s_ashr_i32 s0, s55, 31
	s_add_u32 s42, s1, s55
	s_addc_u32 s43, s20, s0
	s_cbranch_execz .LBB590_24
	s_branch .LBB590_25
.LBB590_23:
                                        ; implicit-def: $sgpr42_sgpr43
.LBB590_24:
	s_mul_hi_i32 s0, s50, s14
	s_mul_i32 s50, s50, s14
	s_ashr_i32 s1, s55, 31
	s_add_u32 s14, s50, s55
	s_addc_u32 s0, s0, s1
	s_mul_i32 s1, s14, s49
	s_mul_hi_u32 s20, s14, s12
	s_add_i32 s1, s20, s1
	s_mul_i32 s0, s0, s12
	s_add_i32 s1, s1, s0
	s_mul_i32 s14, s14, s12
	s_add_u32 s42, s14, s44
	s_addc_u32 s43, s1, s3
.LBB590_25:
	s_add_i32 s20, s53, s51
	s_ashr_i32 s14, s33, 31
	s_add_u32 s24, s48, s33
	s_addc_u32 s25, s54, s14
	s_mul_i32 s0, s24, s49
	s_mul_hi_u32 s1, s24, s12
	s_add_i32 s0, s1, s0
	s_mul_i32 s1, s25, s12
	s_add_i32 s1, s0, s1
	s_mul_i32 s0, s24, s12
	s_add_u32 s0, s0, s44
	s_addc_u32 s1, s1, s3
	s_mov_b32 s3, 0x7060302
	v_lshlrev_b32_e32 v6, 3, v61
	s_lshl_b64 s[26:27], s[0:1], 8
	v_perm_b32 v3, v53, v52, s3
	v_perm_b32 v2, v47, v46, s3
	;; [unrolled: 1-line block ×4, first 2 shown]
	v_lshlrev_b32_e32 v36, 2, v61
	v_lshl_or_b32 v6, v1, 5, v6
	s_add_u32 s0, s6, s26
	ds_write2st64_b64 v6, v[2:3], v[4:5] offset0:72 offset1:76
	v_xor_b32_e32 v6, v1, v36
	v_lshlrev_b32_e32 v7, 8, v61
	s_addc_u32 s1, s7, s27
	v_lshl_or_b32 v6, v6, 1, v7
	s_mul_hi_i32 s3, s20, s13
	s_mul_i32 s20, s20, s13
	ds_write_b64 v6, v[2:3] offset:32768
	v_xor_b32_e32 v2, v64, v36
	s_add_u32 s6, s20, s33
	v_lshl_or_b32 v2, v2, 1, v7
	s_addc_u32 s7, s3, s14
	v_lshlrev_b32_e32 v3, 1, v61
	ds_write_b64 v2, v[4:5] offset:32768
	v_lshrrev_b32_e32 v2, 4, v0
	s_ashr_i32 s3, s2, 31
	s_lshl_b64 s[6:7], s[6:7], 15
	v_or_b32_e32 v4, 1, v3
	s_waitcnt lgkmcnt(0)
	s_add_u32 s6, s38, s6
	v_xor_b32_e32 v3, v2, v3
	v_xor_b32_e32 v4, v4, v2
	v_lshlrev_b32_e32 v6, 8, v2
	s_addc_u32 s7, s39, s7
	s_lshl_b64 s[2:3], s[2:3], 8
	v_lshl_or_b32 v2, v3, 3, v6
	v_lshl_or_b32 v4, v4, 3, v6
	s_barrier
	s_add_u32 s2, s6, s2
	ds_read_b64 v[2:3], v2 offset:32768
	ds_read_b64 v[4:5], v4 offset:32768
	s_addc_u32 s3, s7, s3
	v_mov_b32_e32 v7, 0
	s_cmp_lg_u32 s45, 64
	v_lshl_add_u64 v[8:9], s[2:3], 0, v[6:7]
	v_lshlrev_b32_e32 v6, 4, v61
	s_cselect_b64 s[6:7], -1, 0
	v_lshl_or_b32 v27, v45, 3, v63
	s_mov_b32 s20, 0
	v_lshl_add_u64 v[6:7], v[8:9], 0, v[6:7]
	v_or_b32_e32 v19, 32, v27
	v_and_b32_e32 v18, 56, v62
	s_and_b64 vcc, exec, s[6:7]
	s_waitcnt lgkmcnt(0)
	global_store_dwordx4 v[6:7], v[2:5], off
	s_cbranch_vccz .LBB590_31
; %bb.26:
	s_mov_b32 s21, s20
	s_mov_b32 s22, s20
	s_mov_b32 s23, s20
	v_mov_b64_e32 v[6:7], s[20:21]
	v_mov_b64_e32 v[8:9], s[22:23]
	;; [unrolled: 1-line block ×3, first 2 shown]
	v_cmp_gt_i32_e32 vcc, s45, v27
	v_mov_b64_e32 v[4:5], v[8:9]
	s_and_saveexec_b64 s[2:3], vcc
	s_cbranch_execz .LBB590_28
; %bb.27:
	v_lshlrev_b32_e32 v2, 8, v27
	v_mov_b32_e32 v3, 0
	v_lshl_add_u64 v[4:5], s[0:1], 0, v[2:3]
	v_lshlrev_b32_e32 v2, 1, v18
	v_lshl_add_u64 v[10:11], v[4:5], 0, v[2:3]
	global_load_dwordx4 v[6:9], v[10:11], off
	global_load_dwordx4 v[2:5], v[10:11], off offset:128
.LBB590_28:
	s_or_b64 exec, exec, s[2:3]
	s_mov_b32 s21, s20
	s_mov_b32 s22, s20
	;; [unrolled: 1-line block ×3, first 2 shown]
	v_mov_b64_e32 v[14:15], s[20:21]
	v_mov_b64_e32 v[16:17], s[22:23]
	;; [unrolled: 1-line block ×3, first 2 shown]
	v_cmp_gt_i32_e32 vcc, s45, v19
	v_lshlrev_b32_e32 v20, 7, v19
	v_mov_b64_e32 v[12:13], v[16:17]
	s_and_saveexec_b64 s[2:3], vcc
	s_cbranch_execz .LBB590_30
; %bb.29:
	v_lshlrev_b32_e32 v10, 1, v20
	v_mov_b32_e32 v11, 0
	v_lshl_add_u64 v[12:13], s[0:1], 0, v[10:11]
	v_lshlrev_b32_e32 v10, 1, v18
	v_lshl_add_u64 v[22:23], v[12:13], 0, v[10:11]
	global_load_dwordx4 v[14:17], v[22:23], off
	global_load_dwordx4 v[10:13], v[22:23], off offset:128
.LBB590_30:
	s_or_b64 exec, exec, s[2:3]
	v_lshrrev_b32_e32 v21, 3, v18
	v_lshlrev_b32_e32 v22, 3, v27
	v_or_b32_e32 v21, v22, v21
	v_lshlrev_b32_e32 v21, 4, v21
	v_and_b32_e32 v22, 0x78, v22
	v_xor_b32_e32 v21, v21, v22
	s_branch .LBB590_33
.LBB590_31:
                                        ; implicit-def: $vgpr21
                                        ; implicit-def: $vgpr20
                                        ; implicit-def: $vgpr6_vgpr7_vgpr8_vgpr9
                                        ; implicit-def: $vgpr2_vgpr3_vgpr4_vgpr5
                                        ; implicit-def: $vgpr14_vgpr15_vgpr16_vgpr17
                                        ; implicit-def: $vgpr10_vgpr11_vgpr12_vgpr13
	s_cbranch_execz .LBB590_33
; %bb.32:
	s_waitcnt vmcnt(0)
	v_lshlrev_b32_e32 v2, 1, v18
	v_lshl_or_b32 v20, v27, 8, v2
	s_and_b32 s1, s1, 0xffff
	s_mov_b32 s3, 0x20000
	s_movk_i32 s2, 0x4000
	v_lshl_or_b32 v21, v19, 8, v2
	s_movk_i32 s20, 0x80
	buffer_load_dwordx4 v[6:9], v20, s[0:3], 0 offen
	buffer_load_dwordx4 v[2:5], v20, s[0:3], s20 offen
	;; [unrolled: 1-line block ×4, first 2 shown]
	v_lshrrev_b32_e32 v20, 3, v18
	v_lshlrev_b32_e32 v21, 3, v27
	v_or_b32_e32 v20, v21, v20
	v_lshlrev_b32_e32 v20, 4, v20
	v_and_b32_e32 v21, 0x78, v21
	v_xor_b32_e32 v21, v20, v21
	v_lshlrev_b32_e32 v20, 7, v19
.LBB590_33:
	s_lshl_b64 s[0:1], s[42:43], 8
	s_add_u32 s4, s4, s0
	s_movk_i32 s0, 0x1000
	v_and_or_b32 v19, v20, s0, v21
	s_waitcnt vmcnt(1)
	ds_write_b64 v21, v[6:7] offset:16384
	v_xor_b32_e32 v6, 8, v21
	s_addc_u32 s5, s5, s1
	ds_write_b64 v6, v[8:9] offset:16384
	s_waitcnt vmcnt(0)
	ds_write_b64 v21, v[2:3] offset:24576
	ds_write_b64 v6, v[4:5] offset:24576
	;; [unrolled: 1-line block ×3, first 2 shown]
	v_xor_b32_e32 v2, 8, v19
	s_add_i32 s20, s12, -1
	ds_write_b64 v2, v[16:17] offset:16384
	ds_write_b64 v19, v[10:11] offset:24576
	ds_write_b64 v2, v[12:13] offset:24576
	s_mul_i32 s3, s20, s35
	s_mul_hi_u32 s12, s20, s34
	v_or_b32_e32 v2, v58, v61
	s_add_i32 s3, s12, s3
	v_lshlrev_b32_e32 v2, 3, v2
	v_lshrrev_b32_e32 v4, 5, v59
	s_movk_i32 s12, 0xf8
	v_and_or_b32 v4, v2, s12, v4
	v_lshlrev_b32_e32 v37, 11, v45
	v_lshlrev_b32_e32 v12, 4, v4
	v_and_b32_e32 v13, 0x78, v2
	v_and_b32_e32 v14, 0x1000, v37
	v_lshlrev_b32_e32 v3, 2, v0
	v_xor_b32_e32 v2, v12, v13
	v_lshrrev_b32_e32 v4, 1, v59
	v_and_b32_e32 v3, 60, v3
	v_or_b32_e32 v2, v2, v14
	v_and_b32_e32 v15, 8, v4
	v_xor_b32_e32 v28, v2, v15
	v_lshl_or_b32 v2, v60, 6, v3
	v_lshlrev_b32_e32 v38, 1, v2
	v_or_b32_e32 v2, 32, v12
	v_xor_b32_e32 v2, v2, v13
	s_waitcnt lgkmcnt(0)
	s_barrier
	ds_read_b64 v[10:11], v28 offset:16384
	v_or_b32_e32 v2, v2, v14
	v_xor_b32_e32 v29, v2, v15
	v_or_b32_e32 v2, 64, v12
	v_xor_b32_e32 v2, v2, v13
	v_or_b32_e32 v2, v2, v14
	v_or_b32_e32 v12, 0x60, v12
	v_xor_b32_e32 v30, v2, v15
	ds_read2st64_b64 v[2:5], v38 offset0:72 offset1:73
	ds_read2st64_b64 v[6:9], v38 offset0:74 offset1:75
	v_xor_b32_e32 v16, v12, v13
	ds_read_b64 v[12:13], v29 offset:16384
	s_waitcnt lgkmcnt(2)
	v_mfma_f32_16x16x16_bf16 a[0:3], v[10:11], v[2:3], 0
	s_add_i32 s0, s47, s17
	s_mul_i32 s37, s37, s16
	s_add_i32 s37, s0, s37
	s_mul_i32 s0, s33, s19
	s_mul_hi_u32 s1, s33, s18
	s_ashr_i32 s2, s20, 31
	s_add_i32 s0, s1, s0
	s_mul_i32 s1, s14, s18
	s_mul_i32 s2, s2, s34
	v_or_b32_e32 v14, v16, v14
	s_add_i32 s1, s0, s1
	s_add_i32 s3, s3, s2
	s_lshl_b64 s[16:17], s[36:37], 2
	v_xor_b32_e32 v39, v14, v15
	ds_read_b64 v[14:15], v30 offset:16384
	ds_read_b64 v[16:17], v39 offset:16384
	s_waitcnt lgkmcnt(2)
	v_mfma_f32_16x16x16_bf16 a[0:3], v[12:13], v[4:5], a[0:3]
	s_mul_i32 s0, s33, s18
	s_add_u32 s10, s10, s16
	s_addc_u32 s11, s11, s17
	s_lshl_b64 s[0:1], s[0:1], 2
	s_mul_i32 s2, s20, s34
	s_add_u32 s10, s10, s0
	s_addc_u32 s11, s11, s1
	s_lshl_b64 s[0:1], s[2:3], 2
	s_waitcnt lgkmcnt(1)
	v_mfma_f32_16x16x16_bf16 a[0:3], v[14:15], v[6:7], a[0:3]
	s_add_u32 s0, s10, s0
	s_addc_u32 s1, s11, s1
	s_load_dword s12, s[0:1], 0x0
	s_waitcnt lgkmcnt(0)
	v_mfma_f32_16x16x16_bf16 a[0:3], v[16:17], v[8:9], a[0:3]
	s_and_b64 vcc, exec, s[40:41]
	s_cbranch_vccz .LBB590_44
; %bb.34:
	v_lshlrev_b32_e32 v19, 1, v27
	s_and_b64 vcc, exec, s[6:7]
	s_cbranch_vccz .LBB590_45
; %bb.35:
	v_cmp_gt_i32_e32 vcc, s45, v19
	v_mov_b32_e32 v6, 0
	v_mov_b32_e32 v2, 0
	;; [unrolled: 1-line block ×5, first 2 shown]
	s_and_saveexec_b64 s[0:1], vcc
	s_cbranch_execz .LBB590_37
; %bb.36:
	v_mad_i64_i32 v[2:3], s[2:3], s15, v19, 0
	v_lshl_add_u64 v[2:3], v[2:3], 1, s[4:5]
	v_lshlrev_b32_e32 v4, 1, v18
	v_mov_b32_e32 v5, 0
	v_lshl_add_u64 v[2:3], v[2:3], 0, v[4:5]
	global_load_dwordx4 v[2:5], v[2:3], off
.LBB590_37:
	s_or_b64 exec, exec, s[0:1]
	v_or_b32_e32 v20, 1, v19
	v_cmp_gt_i32_e64 s[0:1], s45, v20
	v_mov_b32_e32 v7, 0
	v_mov_b32_e32 v8, 0
	;; [unrolled: 1-line block ×3, first 2 shown]
	s_and_saveexec_b64 s[2:3], s[0:1]
	s_cbranch_execz .LBB590_39
; %bb.38:
	v_mad_i64_i32 v[6:7], s[16:17], s15, v20, 0
	v_lshl_add_u64 v[6:7], v[6:7], 1, s[4:5]
	v_lshlrev_b32_e32 v8, 1, v18
	v_mov_b32_e32 v9, 0
	v_lshl_add_u64 v[6:7], v[6:7], 0, v[8:9]
	global_load_dwordx4 v[6:9], v[6:7], off
.LBB590_39:
	s_or_b64 exec, exec, s[2:3]
	v_mov_b32_e32 v17, 0
	v_mov_b32_e32 v10, 0
	;; [unrolled: 1-line block ×5, first 2 shown]
	s_and_saveexec_b64 s[2:3], vcc
	s_cbranch_execz .LBB590_41
; %bb.40:
	v_mad_i64_i32 v[10:11], s[16:17], s15, v19, 0
	v_lshl_add_u64 v[10:11], v[10:11], 1, s[4:5]
	v_lshlrev_b32_e32 v12, 1, v18
	v_mov_b32_e32 v13, 0
	v_lshl_add_u64 v[10:11], v[10:11], 0, v[12:13]
	global_load_dwordx4 v[10:13], v[10:11], off offset:128
.LBB590_41:
	s_or_b64 exec, exec, s[2:3]
	v_mov_b32_e32 v16, 0
	v_mov_b32_e32 v15, 0
	;; [unrolled: 1-line block ×3, first 2 shown]
	s_and_saveexec_b64 s[2:3], s[0:1]
	s_cbranch_execz .LBB590_43
; %bb.42:
	v_mad_i64_i32 v[14:15], s[0:1], s15, v20, 0
	v_lshl_add_u64 v[14:15], v[14:15], 1, s[4:5]
	v_lshlrev_b32_e32 v16, 1, v18
	v_mov_b32_e32 v17, 0
	v_lshl_add_u64 v[14:15], v[14:15], 0, v[16:17]
	global_load_dwordx4 v[14:17], v[14:15], off offset:128
.LBB590_43:
	s_or_b64 exec, exec, s[2:3]
	s_branch .LBB590_47
.LBB590_44:
                                        ; implicit-def: $vgpr5
                                        ; implicit-def: $vgpr9
                                        ; implicit-def: $vgpr13
                                        ; implicit-def: $vgpr17
	v_lshrrev_b32_e32 v19, 2, v59
	s_branch .LBB590_48
.LBB590_45:
                                        ; implicit-def: $vgpr5
                                        ; implicit-def: $vgpr9
                                        ; implicit-def: $vgpr13
                                        ; implicit-def: $vgpr17
	s_cbranch_execz .LBB590_47
; %bb.46:
	s_waitcnt vmcnt(0)
	v_mad_u64_u32 v[2:3], s[0:1], v19, s15, v[18:19]
	v_lshlrev_b32_e32 v19, 1, v2
	s_lshl_b32 s2, s15, 7
	s_and_b32 s1, s5, 0xffff
	s_mov_b32 s3, 0x20000
	s_mov_b32 s0, s4
	v_add_lshl_u32 v20, v2, s15, 1
	s_movk_i32 s15, 0x80
	buffer_load_dwordx4 v[2:5], v19, s[0:3], 0 offen
	buffer_load_dwordx4 v[10:13], v19, s[0:3], s15 offen
	;; [unrolled: 1-line block ×4, first 2 shown]
.LBB590_47:
	v_lshrrev_b32_e32 v19, 2, v59
	s_cbranch_execnz .LBB590_60
.LBB590_48:
	s_and_b64 vcc, exec, s[6:7]
	s_cbranch_vccz .LBB590_58
; %bb.49:
	s_waitcnt vmcnt(0)
	v_lshlrev_b32_e32 v7, 1, v27
	v_cmp_gt_i32_e32 vcc, s45, v7
	v_mov_b32_e32 v6, 0
	v_lshlrev_b32_e32 v14, 9, v27
	v_mov_b32_e32 v2, 0
	v_mov_b32_e32 v3, 0
	;; [unrolled: 1-line block ×4, first 2 shown]
	s_and_saveexec_b64 s[0:1], vcc
	s_cbranch_execz .LBB590_51
; %bb.50:
	v_mov_b32_e32 v15, 0
	v_lshl_add_u64 v[2:3], s[4:5], 0, v[14:15]
	v_lshlrev_b32_e32 v4, 1, v18
	v_mov_b32_e32 v5, v15
	v_lshl_add_u64 v[2:3], v[2:3], 0, v[4:5]
	global_load_dwordx4 v[2:5], v[2:3], off
.LBB590_51:
	s_or_b64 exec, exec, s[0:1]
	v_or_b32_e32 v7, 1, v7
	v_cmp_gt_i32_e64 s[0:1], s45, v7
	v_lshlrev_b32_e32 v20, 8, v7
	v_mov_b32_e32 v7, 0
	v_mov_b32_e32 v8, 0
	;; [unrolled: 1-line block ×3, first 2 shown]
	s_and_saveexec_b64 s[2:3], s[0:1]
	s_cbranch_execz .LBB590_53
; %bb.52:
	v_mov_b32_e32 v21, 0
	v_lshl_add_u64 v[6:7], s[4:5], 0, v[20:21]
	v_lshlrev_b32_e32 v8, 1, v18
	v_mov_b32_e32 v9, v21
	v_lshl_add_u64 v[6:7], v[6:7], 0, v[8:9]
	global_load_dwordx4 v[6:9], v[6:7], off
.LBB590_53:
	s_or_b64 exec, exec, s[2:3]
	v_mov_b32_e32 v17, 0
	v_mov_b32_e32 v10, 0
	;; [unrolled: 1-line block ×5, first 2 shown]
	s_and_saveexec_b64 s[2:3], vcc
	s_cbranch_execz .LBB590_55
; %bb.54:
	v_mov_b32_e32 v15, 0
	v_lshl_add_u64 v[10:11], s[4:5], 0, v[14:15]
	v_lshlrev_b32_e32 v14, 1, v18
	v_lshl_add_u64 v[10:11], v[10:11], 0, v[14:15]
	global_load_dwordx4 v[10:13], v[10:11], off offset:128
.LBB590_55:
	s_or_b64 exec, exec, s[2:3]
	v_mov_b32_e32 v16, 0
	v_mov_b32_e32 v15, 0
	;; [unrolled: 1-line block ×3, first 2 shown]
	s_and_saveexec_b64 s[2:3], s[0:1]
	s_cbranch_execz .LBB590_57
; %bb.56:
	v_mov_b32_e32 v21, 0
	v_lshl_add_u64 v[14:15], s[4:5], 0, v[20:21]
	v_lshlrev_b32_e32 v20, 1, v18
	v_lshl_add_u64 v[14:15], v[14:15], 0, v[20:21]
	global_load_dwordx4 v[14:17], v[14:15], off offset:128
.LBB590_57:
	s_or_b64 exec, exec, s[2:3]
	s_branch .LBB590_60
.LBB590_58:
                                        ; implicit-def: $vgpr5
                                        ; implicit-def: $vgpr9
                                        ; implicit-def: $vgpr13
                                        ; implicit-def: $vgpr17
	s_cbranch_execz .LBB590_60
; %bb.59:
	s_waitcnt vmcnt(0)
	v_lshlrev_b32_e32 v2, 1, v18
	v_lshl_or_b32 v18, v27, 9, v2
	s_and_b32 s5, s5, 0xffff
	s_mov_b32 s7, 0x20000
	s_movk_i32 s6, 0x4000
	s_movk_i32 s0, 0x80
	buffer_load_dwordx4 v[2:5], v18, s[4:7], 0 offen
	buffer_load_dwordx4 v[6:9], v18, s[4:7], 0 offen offset:256
	buffer_load_dwordx4 v[10:13], v18, s[4:7], s0 offen
	buffer_load_dwordx4 v[14:17], v18, s[4:7], s0 offen offset:256
.LBB590_60:
	v_and_b32_e32 v40, 12, v19
	ds_read2st64_b64 v[22:25], v38 offset0:76 offset1:77
	ds_read2st64_b64 v[18:21], v38 offset0:78 offset1:79
	ds_read_b64 v[32:33], v28 offset:24576
	ds_read_b64 v[34:35], v29 offset:24576
	;; [unrolled: 1-line block ×4, first 2 shown]
	v_and_b32_e32 v39, 6, v0
	v_xor_b32_e32 v27, v27, v39
	v_lshlrev_b32_e32 v27, 2, v27
	v_and_b32_e32 v41, 1, v0
	v_xor_b32_e32 v42, 0x440, v27
	v_cmp_eq_u32_e32 vcc, 0, v41
	s_mov_b32 s0, 0x1000504
	s_waitcnt vmcnt(0)
	v_perm_b32 v41, v10, v14, s0
	v_cndmask_b32_e32 v27, v42, v27, vcc
	v_lshl_or_b32 v27, v39, 10, v27
	v_perm_b32 v39, v2, v6, s0
	ds_write2st64_b32 v27, v39, v41 offset1:32
	v_xor_b32_e32 v39, 8, v27
	s_mov_b32 s1, 0x3020706
	v_perm_b32 v2, v2, v6, s1
	v_perm_b32 v6, v10, v14, s1
	v_add_u32_e32 v10, 0x80, v39
	ds_write2st64_b32 v10, v2, v6 offset1:32
	v_xor_b32_e32 v2, 16, v27
	v_perm_b32 v6, v3, v7, s0
	v_perm_b32 v10, v11, v15, s0
	ds_write2st64_b32 v2, v6, v10 offset0:1 offset1:33
	v_xor_b32_e32 v2, 24, v27
	v_perm_b32 v3, v3, v7, s1
	v_perm_b32 v6, v11, v15, s1
	v_add_u32_e32 v2, 0x80, v2
	ds_write2st64_b32 v2, v3, v6 offset0:1 offset1:33
	v_xor_b32_e32 v2, 32, v27
	v_perm_b32 v3, v4, v8, s0
	v_perm_b32 v6, v12, v16, s0
	ds_write2st64_b32 v2, v3, v6 offset0:2 offset1:34
	v_xor_b32_e32 v2, 40, v27
	v_perm_b32 v3, v4, v8, s1
	v_perm_b32 v4, v12, v16, s1
	v_add_u32_e32 v2, 0x80, v2
	ds_write2st64_b32 v2, v3, v4 offset0:2 offset1:34
	v_xor_b32_e32 v2, 48, v27
	v_perm_b32 v3, v5, v9, s0
	v_perm_b32 v4, v13, v17, s0
	ds_write2st64_b32 v2, v3, v4 offset0:3 offset1:35
	v_xor_b32_e32 v2, 56, v27
	v_or_b32_e32 v8, v40, v58
	v_perm_b32 v3, v5, v9, s1
	v_perm_b32 v4, v13, v17, s1
	v_add_u32_e32 v2, 0x80, v2
	v_cmp_gt_i32_e32 vcc, s45, v8
	v_mov_b32_e32 v9, 0
	v_mov_b32_e32 v13, 0
	ds_write2st64_b32 v2, v3, v4 offset0:3 offset1:35
	s_and_saveexec_b64 s[0:1], vcc
	s_cbranch_execz .LBB590_62
; %bb.61:
	v_add_u32_e32 v2, s44, v8
	v_ashrrev_i32_e32 v3, 31, v2
	v_mul_lo_u32 v4, v3, s34
	v_mul_lo_u32 v5, v2, s35
	v_mad_u64_u32 v[2:3], s[2:3], v2, s34, 0
	v_add3_u32 v3, v3, v5, v4
	v_lshl_add_u64 v[2:3], v[2:3], 2, s[10:11]
	global_load_dword v2, v[2:3], off
	s_waitcnt vmcnt(0)
	v_sub_f32_e32 v2, s12, v2
	v_mul_f32_e32 v2, 0x3fb8aa3b, v2
	v_exp_f32_e32 v13, v2
.LBB590_62:
	s_or_b64 exec, exec, s[0:1]
	v_or_b32_e32 v11, 1, v8
	v_cmp_gt_i32_e64 s[0:1], s45, v11
	s_and_saveexec_b64 s[2:3], s[0:1]
	s_cbranch_execz .LBB590_64
; %bb.63:
	v_add_u32_e32 v2, s44, v11
	v_ashrrev_i32_e32 v3, 31, v2
	v_mul_lo_u32 v4, v3, s34
	v_mul_lo_u32 v5, v2, s35
	v_mad_u64_u32 v[2:3], s[4:5], v2, s34, 0
	v_add3_u32 v3, v3, v5, v4
	v_lshl_add_u64 v[2:3], v[2:3], 2, s[10:11]
	global_load_dword v2, v[2:3], off
	s_waitcnt vmcnt(0)
	v_sub_f32_e32 v2, s12, v2
	v_mul_f32_e32 v2, 0x3fb8aa3b, v2
	v_exp_f32_e32 v9, v2
.LBB590_64:
	s_or_b64 exec, exec, s[2:3]
	v_or_b32_e32 v12, 2, v8
	v_cmp_gt_i32_e64 s[2:3], s45, v12
	v_mov_b32_e32 v10, 0
	v_mov_b32_e32 v15, 0
	s_and_saveexec_b64 s[4:5], s[2:3]
	s_cbranch_execz .LBB590_66
; %bb.65:
	v_add_u32_e32 v2, s44, v12
	v_ashrrev_i32_e32 v3, 31, v2
	v_mul_lo_u32 v4, v3, s34
	v_mul_lo_u32 v5, v2, s35
	v_mad_u64_u32 v[2:3], s[6:7], v2, s34, 0
	v_add3_u32 v3, v3, v5, v4
	v_lshl_add_u64 v[2:3], v[2:3], 2, s[10:11]
	global_load_dword v2, v[2:3], off
	s_waitcnt vmcnt(0)
	v_sub_f32_e32 v2, s12, v2
	v_mul_f32_e32 v2, 0x3fb8aa3b, v2
	v_exp_f32_e32 v15, v2
.LBB590_66:
	s_or_b64 exec, exec, s[4:5]
	v_or_b32_e32 v14, 3, v8
	v_cmp_gt_i32_e64 s[4:5], s45, v14
	s_and_saveexec_b64 s[6:7], s[4:5]
	s_cbranch_execz .LBB590_68
; %bb.67:
	v_add_u32_e32 v2, s44, v14
	v_ashrrev_i32_e32 v3, 31, v2
	v_mul_lo_u32 v4, v3, s34
	v_mul_lo_u32 v5, v2, s35
	v_mad_u64_u32 v[2:3], s[16:17], v2, s34, 0
	v_add3_u32 v3, v3, v5, v4
	v_lshl_add_u64 v[2:3], v[2:3], 2, s[10:11]
	global_load_dword v2, v[2:3], off
	s_waitcnt vmcnt(0)
	v_sub_f32_e32 v2, s12, v2
	v_mul_f32_e32 v2, 0x3fb8aa3b, v2
	v_exp_f32_e32 v10, v2
.LBB590_68:
	s_or_b64 exec, exec, s[6:7]
	s_waitcnt lgkmcnt(11)
	v_mfma_f32_16x16x16_bf16 a[0:3], v[32:33], v[22:23], a[0:3]
	s_add_u32 s6, s8, s26
	v_ashrrev_i32_e32 v27, 31, v26
	s_addc_u32 s7, s9, s27
	s_waitcnt lgkmcnt(10)
	v_mfma_f32_16x16x16_bf16 a[0:3], v[34:35], v[24:25], a[0:3]
	v_mov_b32_e32 v16, 0
	v_lshl_add_u64 v[6:7], v[26:27], 1, s[6:7]
	v_mov_b32_e32 v17, 0
	s_waitcnt lgkmcnt(9)
	v_mfma_f32_16x16x16_bf16 a[0:3], v[30:31], v[18:19], a[0:3]
	s_waitcnt lgkmcnt(8)
	v_mfma_f32_16x16x16_bf16 a[0:3], v[28:29], v[20:21], a[0:3]
	s_nop 6
	v_accvgpr_read_b32 v5, a3
	v_accvgpr_read_b32 v4, a2
	;; [unrolled: 1-line block ×4, first 2 shown]
	s_and_saveexec_b64 s[6:7], vcc
	s_cbranch_execz .LBB590_70
; %bb.69:
	v_lshlrev_b32_e32 v18, 8, v8
	v_mov_b32_e32 v19, 0
	v_lshl_add_u64 v[18:19], v[6:7], 0, v[18:19]
	global_load_ushort v17, v[18:19], off
	s_waitcnt vmcnt(0)
	v_lshlrev_b32_e32 v17, 16, v17
	v_sub_f32_e32 v2, v17, v2
	v_mul_f32_e32 v2, v13, v2
	v_lshrrev_b32_e32 v17, 16, v2
.LBB590_70:
	s_or_b64 exec, exec, s[6:7]
	s_and_saveexec_b64 s[6:7], s[0:1]
	s_cbranch_execz .LBB590_72
; %bb.71:
	v_lshlrev_b32_e32 v18, 8, v11
	v_mov_b32_e32 v19, 0
	v_lshl_add_u64 v[18:19], v[6:7], 0, v[18:19]
	global_load_ushort v2, v[18:19], off
	s_waitcnt vmcnt(0)
	v_lshlrev_b32_e32 v2, 16, v2
	v_sub_f32_e32 v2, v2, v3
	v_mul_f32_e32 v2, v9, v2
	v_lshrrev_b32_e32 v16, 16, v2
.LBB590_72:
	s_or_b64 exec, exec, s[6:7]
	v_mov_b32_e32 v3, 0
	v_mov_b32_e32 v9, 0
	s_and_saveexec_b64 s[0:1], s[2:3]
	s_cbranch_execz .LBB590_74
; %bb.73:
	v_lshlrev_b32_e32 v12, 8, v12
	v_mov_b32_e32 v13, 0
	v_lshl_add_u64 v[12:13], v[6:7], 0, v[12:13]
	global_load_ushort v2, v[12:13], off
	s_waitcnt vmcnt(0)
	v_lshlrev_b32_e32 v2, 16, v2
	v_sub_f32_e32 v2, v2, v4
	v_mul_f32_e32 v2, v15, v2
	v_lshrrev_b32_e32 v9, 16, v2
.LBB590_74:
	s_or_b64 exec, exec, s[0:1]
	v_or_b32_e32 v2, 0x9800, v38
	s_and_saveexec_b64 s[0:1], s[4:5]
	s_cbranch_execz .LBB590_76
; %bb.75:
	v_lshlrev_b32_e32 v12, 8, v14
	v_mov_b32_e32 v13, 0
	v_lshl_add_u64 v[6:7], v[6:7], 0, v[12:13]
	global_load_ushort v3, v[6:7], off
	s_waitcnt vmcnt(0)
	v_lshlrev_b32_e32 v3, 16, v3
	v_sub_f32_e32 v3, v3, v5
	v_mul_f32_e32 v3, v10, v3
	v_lshrrev_b32_e32 v3, 16, v3
.LBB590_76:
	s_or_b64 exec, exec, s[0:1]
	s_mov_b32 s0, 0x5040100
	v_perm_b32 v5, v3, v9, s0
	v_lshlrev_b32_e32 v3, 1, v36
	v_perm_b32 v4, v16, v17, s0
	v_lshl_or_b32 v3, v8, 5, v3
	s_movk_i32 s2, 0xff
	ds_write_b64 v3, v[4:5] offset:38912
	v_and_b32_e32 v3, 7, v0
	v_cmp_lt_u32_e32 vcc, s2, v0
	v_and_b32_e32 v4, 8, v0
	v_lshlrev_b32_e32 v12, 3, v3
	v_lshlrev_b32_e32 v24, 7, v3
	v_cndmask_b32_e64 v3, 0, 1, vcc
	v_lshrrev_b32_e32 v0, 1, v0
	v_lshlrev_b32_e32 v14, 13, v3
	v_lshlrev_b32_e32 v3, 3, v45
	v_and_b32_e32 v0, 24, v0
	v_xor_b32_e32 v5, v3, v0
	v_or_b32_e32 v6, 0x440, v5
	v_cmp_eq_u32_e32 vcc, 0, v4
	s_add_i32 s0, s20, s46
	s_mul_hi_i32 s1, s0, s13
	v_cndmask_b32_e32 v4, v6, v5, vcc
	v_or_b32_e32 v4, v4, v37
	v_xor_b32_e32 v25, v4, v12
	v_or_b32_e32 v4, 32, v0
	v_xor_b32_e32 v4, v3, v4
	v_or_b32_e32 v5, 0x440, v4
	v_cndmask_b32_e32 v4, v5, v4, vcc
	v_or_b32_e32 v4, v4, v37
	v_xor_b32_e32 v27, v4, v12
	v_or_b32_e32 v4, 64, v0
	v_xor_b32_e32 v4, v3, v4
	v_xor_b32_e32 v5, 0x440, v4
	s_mul_i32 s0, s0, s13
	v_cndmask_b32_e32 v4, v5, v4, vcc
	v_or_b32_e32 v0, 0x60, v0
	s_add_u32 s0, s0, s33
	v_add3_u32 v15, v14, v25, v24
	v_or_b32_e32 v4, v4, v37
	v_xor_b32_e32 v0, v3, v0
	s_waitcnt lgkmcnt(0)
	s_barrier
	s_addc_u32 s1, s1, s14
	v_lshlrev_b32_e32 v13, 2, v8
	v_xor_b32_e32 v28, v4, v12
	ds_read2st64_b64 v[4:7], v2 offset1:1
	ds_read2st64_b64 v[8:11], v2 offset0:2 offset1:3
	ds_read_b64 v[2:3], v15
	v_xor_b32_e32 v15, 0x440, v0
	s_lshl_b64 s[0:1], s[0:1], 9
	v_cndmask_b32_e32 v0, v15, v0, vcc
	s_add_u32 s0, s30, s0
	v_or_b32_e32 v0, v0, v37
	s_addc_u32 s1, s31, s1
	v_add3_u32 v16, v14, v27, v24
	v_xor_b32_e32 v29, v0, v12
	v_add3_u32 v18, v14, v28, v24
	v_add3_u32 v0, v14, v29, v24
	ds_read_b64 v[16:17], v16
	ds_read_b64 v[20:21], v18
	;; [unrolled: 1-line block ×3, first 2 shown]
	global_load_dwordx4 v[12:15], v13, s[0:1]
	s_waitcnt lgkmcnt(3)
	v_mfma_f32_16x16x16_bf16 a[0:3], v[2:3], v[4:5], 0
	v_lshlrev_b32_e32 v0, 6, v45
	v_lshlrev_b32_e32 v2, 2, v40
	s_movk_i32 s2, 0x100
	v_or3_b32 v0, v0, v2, s2
	s_waitcnt lgkmcnt(2)
	v_mfma_f32_16x16x16_bf16 a[0:3], v[16:17], v[6:7], a[0:3]
	global_load_dwordx4 v[16:19], v0, s[0:1]
	v_mov_b32_e32 v0, 0x3fb8aa3b
	v_mul_f32_e32 v0, s12, v0
	s_waitcnt lgkmcnt(1)
	v_mfma_f32_16x16x16_bf16 a[0:3], v[20:21], v[8:9], a[0:3]
	v_exp_f32_e32 v0, v0
	v_add_u32_e32 v25, v25, v24
	v_add_u32_e32 v27, v27, v24
	s_waitcnt lgkmcnt(0)
	v_mfma_f32_16x16x16_bf16 a[0:3], v[22:23], v[10:11], a[0:3]
	ds_read_b64 v[22:23], v25 offset:8192
	s_waitcnt vmcnt(1)
	v_mul_f32_e32 v12, 0x3fb8aa3b, v12
	v_mul_f32_e32 v13, 0x3fb8aa3b, v13
	v_exp_f32_e32 v12, v12
	v_exp_f32_e32 v13, v13
	s_nop 0
	v_accvgpr_read_b32 v21, a1
	v_accvgpr_read_b32 v20, a0
	v_mul_f32_e32 v14, 0x3fb8aa3b, v14
	v_pk_mul_f32 v[12:13], v[0:1], v[12:13] op_sel_hi:[0,1]
	v_pk_fma_f32 v[46:47], v[46:47], v[12:13], v[20:21]
	ds_read_b64 v[12:13], v27 offset:8192
	v_mul_f32_e32 v15, 0x3fb8aa3b, v15
	v_exp_f32_e32 v14, v14
	v_exp_f32_e32 v15, v15
	v_accvgpr_read_b32 v3, a3
	v_accvgpr_read_b32 v2, a2
	s_waitcnt lgkmcnt(1)
	v_mfma_f32_16x16x16_bf16 a[0:3], v[22:23], v[4:5], 0
	v_pk_mul_f32 v[14:15], v[0:1], v[14:15] op_sel_hi:[0,1]
	v_pk_fma_f32 v[52:53], v[52:53], v[14:15], v[2:3]
	v_add_u32_e32 v2, v28, v24
	v_add_u32_e32 v3, v29, v24
	ds_read_b64 v[14:15], v2 offset:8192
	ds_read_b64 v[20:21], v3 offset:8192
	s_waitcnt lgkmcnt(2)
	v_mfma_f32_16x16x16_bf16 a[0:3], v[12:13], v[6:7], a[0:3]
	s_waitcnt vmcnt(0)
	v_mov_b32_e32 v2, v17
	v_mov_b32_e32 v3, v18
	;; [unrolled: 1-line block ×3, first 2 shown]
	s_waitcnt lgkmcnt(1)
	v_mfma_f32_16x16x16_bf16 a[0:3], v[14:15], v[8:9], a[0:3]
	v_mul_f32_e32 v2, 0x3fb8aa3b, v2
	v_mul_f32_e32 v5, 0x3fb8aa3b, v16
	v_exp_f32_e32 v17, v2
	v_mul_f32_e32 v2, 0x3fb8aa3b, v3
	v_mul_f32_e32 v3, 0x3fb8aa3b, v4
	s_waitcnt lgkmcnt(0)
	v_mfma_f32_16x16x16_bf16 a[0:3], v[20:21], v[10:11], a[0:3]
	v_exp_f32_e32 v16, v5
	v_exp_f32_e32 v2, v2
	;; [unrolled: 1-line block ×3, first 2 shown]
	v_pk_mul_f32 v[6:7], v[0:1], v[16:17] op_sel_hi:[0,1]
	v_pk_mul_f32 v[2:3], v[0:1], v[2:3] op_sel_hi:[0,1]
	s_nop 1
	v_accvgpr_read_b32 v9, a1
	v_accvgpr_read_b32 v5, a3
	;; [unrolled: 1-line block ×4, first 2 shown]
	v_pk_fma_f32 v[50:51], v[50:51], v[6:7], v[8:9]
	v_pk_fma_f32 v[48:49], v[48:49], v[2:3], v[4:5]
	v_mov_b32_e32 v2, v26
.LBB590_77:
	s_lshl_b64 s[0:1], s[24:25], 15
	s_waitcnt lgkmcnt(0)
	s_add_u32 s0, s28, s0
	v_lshlrev_b32_e32 v2, 7, v2
	s_addc_u32 s1, s29, s1
	v_ashrrev_i32_e32 v3, 31, v2
	v_lshl_add_u64 v[2:3], v[2:3], 1, s[0:1]
	v_lshlrev_b32_e32 v0, 1, v1
	v_mov_b32_e32 v1, 0
	s_mov_b32 s0, 0x7060302
	v_lshl_add_u64 v[0:1], v[2:3], 0, v[0:1]
	v_perm_b32 v3, v53, v52, s0
	v_perm_b32 v2, v47, v46, s0
	global_store_dwordx2 v[0:1], v[2:3], off
	v_perm_b32 v3, v49, v48, s0
	v_perm_b32 v2, v51, v50, s0
	global_store_dwordx2 v[0:1], v[2:3], off offset:128
	s_endpgm
	.section	.rodata,"a",@progbits
	.p2align	6, 0x0
	.amdhsa_kernel _ZN12_GLOBAL__N_139chunk_gated_delta_rule_fwd_h_hip_kernelILi16ELb0ELb1ELb0ELb0ELb0ELb1ELb1ELb1EEEvPK12hip_bfloat16S3_S3_PKfS5_PKvPS1_S8_PvPKiSB_iiiiilll
		.amdhsa_group_segment_fixed_size 40960
		.amdhsa_private_segment_fixed_size 0
		.amdhsa_kernarg_size 136
		.amdhsa_user_sgpr_count 2
		.amdhsa_user_sgpr_dispatch_ptr 0
		.amdhsa_user_sgpr_queue_ptr 0
		.amdhsa_user_sgpr_kernarg_segment_ptr 1
		.amdhsa_user_sgpr_dispatch_id 0
		.amdhsa_user_sgpr_kernarg_preload_length 0
		.amdhsa_user_sgpr_kernarg_preload_offset 0
		.amdhsa_user_sgpr_private_segment_size 0
		.amdhsa_uses_dynamic_stack 0
		.amdhsa_enable_private_segment 0
		.amdhsa_system_sgpr_workgroup_id_x 1
		.amdhsa_system_sgpr_workgroup_id_y 1
		.amdhsa_system_sgpr_workgroup_id_z 0
		.amdhsa_system_sgpr_workgroup_info 0
		.amdhsa_system_vgpr_workitem_id 0
		.amdhsa_next_free_vgpr 128
		.amdhsa_next_free_sgpr 66
		.amdhsa_accum_offset 116
		.amdhsa_reserve_vcc 1
		.amdhsa_float_round_mode_32 0
		.amdhsa_float_round_mode_16_64 0
		.amdhsa_float_denorm_mode_32 3
		.amdhsa_float_denorm_mode_16_64 3
		.amdhsa_dx10_clamp 1
		.amdhsa_ieee_mode 1
		.amdhsa_fp16_overflow 0
		.amdhsa_tg_split 0
		.amdhsa_exception_fp_ieee_invalid_op 0
		.amdhsa_exception_fp_denorm_src 0
		.amdhsa_exception_fp_ieee_div_zero 0
		.amdhsa_exception_fp_ieee_overflow 0
		.amdhsa_exception_fp_ieee_underflow 0
		.amdhsa_exception_fp_ieee_inexact 0
		.amdhsa_exception_int_div_zero 0
	.end_amdhsa_kernel
	.section	.text._ZN12_GLOBAL__N_139chunk_gated_delta_rule_fwd_h_hip_kernelILi16ELb0ELb1ELb0ELb0ELb0ELb1ELb1ELb1EEEvPK12hip_bfloat16S3_S3_PKfS5_PKvPS1_S8_PvPKiSB_iiiiilll,"axG",@progbits,_ZN12_GLOBAL__N_139chunk_gated_delta_rule_fwd_h_hip_kernelILi16ELb0ELb1ELb0ELb0ELb0ELb1ELb1ELb1EEEvPK12hip_bfloat16S3_S3_PKfS5_PKvPS1_S8_PvPKiSB_iiiiilll,comdat
.Lfunc_end590:
	.size	_ZN12_GLOBAL__N_139chunk_gated_delta_rule_fwd_h_hip_kernelILi16ELb0ELb1ELb0ELb0ELb0ELb1ELb1ELb1EEEvPK12hip_bfloat16S3_S3_PKfS5_PKvPS1_S8_PvPKiSB_iiiiilll, .Lfunc_end590-_ZN12_GLOBAL__N_139chunk_gated_delta_rule_fwd_h_hip_kernelILi16ELb0ELb1ELb0ELb0ELb0ELb1ELb1ELb1EEEvPK12hip_bfloat16S3_S3_PKfS5_PKvPS1_S8_PvPKiSB_iiiiilll
                                        ; -- End function
	.section	.AMDGPU.csdata,"",@progbits
; Kernel info:
; codeLenInByte = 8328
; NumSgprs: 72
; NumVgprs: 114
; NumAgprs: 12
; TotalNumVgprs: 128
; ScratchSize: 0
; MemoryBound: 0
; FloatMode: 240
; IeeeMode: 1
; LDSByteSize: 40960 bytes/workgroup (compile time only)
; SGPRBlocks: 8
; VGPRBlocks: 15
; NumSGPRsForWavesPerEU: 72
; NumVGPRsForWavesPerEU: 128
; AccumOffset: 116
; Occupancy: 1
; WaveLimiterHint : 1
; COMPUTE_PGM_RSRC2:SCRATCH_EN: 0
; COMPUTE_PGM_RSRC2:USER_SGPR: 2
; COMPUTE_PGM_RSRC2:TRAP_HANDLER: 0
; COMPUTE_PGM_RSRC2:TGID_X_EN: 1
; COMPUTE_PGM_RSRC2:TGID_Y_EN: 1
; COMPUTE_PGM_RSRC2:TGID_Z_EN: 0
; COMPUTE_PGM_RSRC2:TIDIG_COMP_CNT: 0
; COMPUTE_PGM_RSRC3_GFX90A:ACCUM_OFFSET: 28
; COMPUTE_PGM_RSRC3_GFX90A:TG_SPLIT: 0
	.section	.text._ZN12_GLOBAL__N_139chunk_gated_delta_rule_fwd_h_hip_kernelILi16ELb0ELb0ELb1ELb0ELb0ELb1ELb1ELb1EEEvPK12hip_bfloat16S3_S3_PKfS5_PKvPS1_S8_PvPKiSB_iiiiilll,"axG",@progbits,_ZN12_GLOBAL__N_139chunk_gated_delta_rule_fwd_h_hip_kernelILi16ELb0ELb0ELb1ELb0ELb0ELb1ELb1ELb1EEEvPK12hip_bfloat16S3_S3_PKfS5_PKvPS1_S8_PvPKiSB_iiiiilll,comdat
	.globl	_ZN12_GLOBAL__N_139chunk_gated_delta_rule_fwd_h_hip_kernelILi16ELb0ELb0ELb1ELb0ELb0ELb1ELb1ELb1EEEvPK12hip_bfloat16S3_S3_PKfS5_PKvPS1_S8_PvPKiSB_iiiiilll ; -- Begin function _ZN12_GLOBAL__N_139chunk_gated_delta_rule_fwd_h_hip_kernelILi16ELb0ELb0ELb1ELb0ELb0ELb1ELb1ELb1EEEvPK12hip_bfloat16S3_S3_PKfS5_PKvPS1_S8_PvPKiSB_iiiiilll
	.p2align	8
	.type	_ZN12_GLOBAL__N_139chunk_gated_delta_rule_fwd_h_hip_kernelILi16ELb0ELb0ELb1ELb0ELb0ELb1ELb1ELb1EEEvPK12hip_bfloat16S3_S3_PKfS5_PKvPS1_S8_PvPKiSB_iiiiilll,@function
_ZN12_GLOBAL__N_139chunk_gated_delta_rule_fwd_h_hip_kernelILi16ELb0ELb0ELb1ELb0ELb0ELb1ELb1ELb1EEEvPK12hip_bfloat16S3_S3_PKfS5_PKvPS1_S8_PvPKiSB_iiiiilll: ; @_ZN12_GLOBAL__N_139chunk_gated_delta_rule_fwd_h_hip_kernelILi16ELb0ELb0ELb1ELb0ELb0ELb1ELb1ELb1EEEvPK12hip_bfloat16S3_S3_PKfS5_PKvPS1_S8_PvPKiSB_iiiiilll
; %bb.0:
	s_load_dwordx4 s[16:19], s[0:1], 0x5c
	s_load_dwordx4 s[12:15], s[0:1], 0x30
	s_abs_i32 s22, s3
	s_ashr_i32 s21, s3, 31
	s_load_dwordx8 s[4:11], s[0:1], 0x0
	s_waitcnt lgkmcnt(0)
	s_abs_i32 s20, s17
	v_cvt_f32_u32_e32 v1, s20
	s_sub_i32 s24, 0, s20
	s_ashr_i32 s23, s17, 31
	s_xor_b32 s21, s21, s23
	v_rcp_iflag_f32_e32 v1, v1
	v_lshrrev_b32_e32 v61, 6, v0
	v_bfe_u32 v62, v0, 4, 2
	v_lshlrev_b32_e32 v45, 4, v61
	v_mul_f32_e32 v1, 0x4f7ffffe, v1
	v_cvt_u32_f32_e32 v1, v1
	v_lshlrev_b32_e32 v2, 2, v62
	v_and_b32_e32 v60, 63, v0
	v_or_b32_e32 v65, v2, v45
	v_readfirstlane_b32 s25, v1
	s_mul_i32 s24, s24, s25
	s_mul_hi_u32 s24, s25, s24
	s_add_i32 s25, s25, s24
	s_mul_hi_u32 s24, s22, s25
	s_mul_i32 s25, s24, s20
	s_sub_i32 s22, s22, s25
	s_add_i32 s26, s24, 1
	s_sub_i32 s25, s22, s20
	s_cmp_ge_u32 s22, s20
	s_cselect_b32 s24, s26, s24
	s_cselect_b32 s22, s25, s22
	s_add_i32 s25, s24, 1
	s_cmp_ge_u32 s22, s20
	s_cselect_b32 s22, s25, s24
	s_abs_i32 s24, s18
	v_cvt_f32_u32_e32 v1, s24
	s_xor_b32 s22, s22, s21
	s_ashr_i32 s48, s16, 31
	s_sub_i32 s50, s22, s21
	v_rcp_iflag_f32_e32 v1, v1
	s_lshr_b32 s21, s48, 26
	s_add_i32 s21, s16, s21
	s_ashr_i32 s51, s18, 31
	v_mul_f32_e32 v1, 0x4f7ffffe, v1
	v_cvt_u32_f32_e32 v1, v1
	s_ashr_i32 s49, s21, 6
	s_xor_b32 s21, s23, s51
	s_sub_i32 s22, 0, s24
	v_readfirstlane_b32 s23, v1
	s_mul_i32 s22, s22, s23
	s_mul_hi_u32 s22, s23, s22
	s_add_i32 s23, s23, s22
	s_mul_hi_u32 s22, s20, s23
	s_mul_i32 s23, s22, s24
	s_mul_i32 s47, s50, s17
	s_sub_i32 s20, s20, s23
	s_sub_i32 s33, s3, s47
	s_add_i32 s3, s16, 63
	s_add_i32 s23, s22, 1
	s_sub_i32 s25, s20, s24
	s_cmp_ge_u32 s20, s24
	s_cselect_b32 s22, s23, s22
	s_cselect_b32 s20, s25, s20
	s_add_i32 s23, s22, 1
	s_cmp_ge_u32 s20, s24
	s_cselect_b32 s20, s23, s22
	s_xor_b32 s20, s20, s21
	s_sub_i32 s24, s20, s21
	s_abs_i32 s25, s24
	v_cvt_f32_u32_e32 v1, s25
	s_sub_i32 s27, 0, s25
	s_abs_i32 s26, s33
	s_xor_b32 s24, s33, s24
	v_rcp_iflag_f32_e32 v1, v1
	s_ashr_i32 s24, s24, 31
	s_load_dwordx2 s[34:35], s[0:1], 0x80
	s_load_dwordx4 s[20:23], s[0:1], 0x70
	v_mov_b32_e32 v49, 0
	v_mul_f32_e32 v1, 0x4f7ffffe, v1
	v_cvt_u32_f32_e32 v1, v1
	v_or_b32_e32 v66, 64, v65
	s_mul_hi_i32 s53, s50, s17
	v_lshrrev_b32_e32 v64, 3, v60
	v_readfirstlane_b32 s28, v1
	s_mul_i32 s27, s27, s28
	s_mul_hi_u32 s27, s28, s27
	s_add_i32 s28, s28, s27
	s_mul_hi_u32 s27, s26, s28
	s_mul_i32 s28, s27, s25
	s_sub_i32 s26, s26, s28
	s_add_i32 s28, s27, 1
	s_sub_i32 s29, s26, s25
	s_cmp_ge_u32 s26, s25
	s_cselect_b32 s27, s28, s27
	s_cselect_b32 s26, s29, s26
	s_add_i32 s28, s27, 1
	s_cmp_ge_u32 s26, s25
	s_cselect_b32 s25, s28, s27
	s_xor_b32 s25, s25, s24
	s_sub_i32 s54, s25, s24
	s_ashr_i32 s24, s3, 31
	s_lshr_b32 s24, s24, 26
	s_add_i32 s3, s3, s24
	s_ashr_i32 s3, s3, 6
	s_lshl_b32 s36, s2, 4
	s_mul_i32 s52, s50, s3
	v_and_b32_e32 v1, 15, v0
	s_cmp_lt_i32 s16, 64
	v_lshlrev_b32_e32 v63, 3, v0
	s_waitcnt lgkmcnt(0)
	s_mul_i32 s21, s50, s21
	s_mul_hi_u32 s46, s50, s20
	s_mul_i32 s38, s50, s20
	v_mov_b32_e32 v48, v49
	v_mov_b32_e32 v51, v49
	;; [unrolled: 1-line block ×7, first 2 shown]
	s_cbranch_scc1 .LBB591_18
; %bb.1:
	s_ashr_i32 s28, s50, 31
	s_ashr_i32 s56, s33, 31
	s_add_u32 s2, s47, s33
	s_addc_u32 s3, s53, s56
	s_mul_i32 s3, s16, s3
	s_mul_hi_u32 s24, s16, s2
	s_add_i32 s41, s24, s3
	s_mul_i32 s40, s16, s2
	s_lshl_b64 s[2:3], s[40:41], 8
	v_and_b32_e32 v68, 56, v63
	s_add_u32 s24, s6, s2
	v_lshl_or_b32 v67, v61, 3, v64
	v_lshlrev_b32_e32 v3, 1, v68
	s_addc_u32 s2, s7, s3
	v_lshl_or_b32 v69, v67, 8, v3
	s_and_b32 s25, s2, 0xffff
	s_mov_b32 s27, 0x20000
	s_movk_i32 s26, 0x4000
	s_movk_i32 s2, 0x80
	v_or_b32_e32 v70, 0x2000, v69
	buffer_load_dwordx4 v[4:7], v69, s[24:27], 0 offen
	buffer_load_dwordx4 v[8:11], v69, s[24:27], s2 offen
	;; [unrolled: 1-line block ×4, first 2 shown]
	v_lshlrev_b32_e32 v20, 3, v67
	v_and_or_b32 v22, v0, 7, v20
	v_and_b32_e32 v20, 0x78, v20
	v_lshlrev_b32_e32 v22, 4, v22
	v_xor_b32_e32 v71, v22, v20
	v_mul_lo_u32 v21, v67, s19
	v_or_b32_e32 v72, 0x1000, v71
	s_cmpk_eq_i32 s19, 0x80
	s_mov_b32 s55, s18
	v_xor_b32_e32 v20, 8, v71
	v_xor_b32_e32 v22, 8, v72
	s_cselect_b64 s[2:3], -1, 0
	s_cmpk_lg_i32 s19, 0x80
	s_waitcnt vmcnt(3)
	ds_write_b64 v71, v[4:5] offset:16384
	ds_write_b64 v20, v[6:7] offset:16384
	s_waitcnt vmcnt(2)
	ds_write_b64 v71, v[8:9] offset:24576
	ds_write_b64 v20, v[10:11] offset:24576
	;; [unrolled: 3-line block ×4, first 2 shown]
	v_lshl_add_u32 v4, v21, 1, v68
	s_cbranch_scc0 .LBB591_3
; %bb.2:
	v_lshlrev_b32_e32 v6, 1, v4
	v_add_lshl_u32 v5, v4, s19, 1
	s_lshl_b32 s26, s19, 7
	s_load_dwordx2 s[42:43], s[0:1], 0x20
	v_lshl_or_b32 v3, v67, 9, v3
	s_cbranch_execz .LBB591_4
	s_branch .LBB591_5
.LBB591_3:
                                        ; implicit-def: $vgpr5
                                        ; implicit-def: $vgpr6
                                        ; implicit-def: $sgpr26
	s_load_dwordx2 s[42:43], s[0:1], 0x20
	v_lshl_or_b32 v3, v67, 9, v3
.LBB591_4:
	v_or_b32_e32 v5, 0x100, v3
	s_movk_i32 s26, 0x4000
	v_mov_b32_e32 v6, v3
.LBB591_5:
	s_mul_hi_u32 s0, s18, s16
	s_mul_i32 s1, s51, s16
	s_add_i32 s0, s0, s1
	s_mul_i32 s1, s18, s16
	s_mul_i32 s24, s1, s28
	s_mul_hi_u32 s25, s1, s50
	s_add_i32 s24, s25, s24
	s_mul_i32 s0, s0, s50
	s_add_i32 s24, s24, s0
	s_mul_i32 s1, s1, s50
	s_ashr_i32 s57, s54, 31
	s_add_u32 s0, s1, s54
	s_addc_u32 s1, s24, s57
	s_lshl_b64 s[0:1], s[0:1], 8
	s_add_u32 s24, s4, s0
	s_addc_u32 s0, s5, s1
	s_and_b32 s25, s0, 0xffff
	s_movk_i32 s58, 0x80
	buffer_load_dwordx4 v[8:11], v6, s[24:27], 0 offen
	buffer_load_dwordx4 v[12:15], v6, s[24:27], s58 offen
	;; [unrolled: 1-line block ×4, first 2 shown]
	v_and_b32_e32 v5, 6, v0
	s_mul_i32 s0, s28, s16
	s_mul_hi_u32 s1, s50, s16
	v_lshlrev_b32_e32 v7, 2, v1
	v_lshlrev_b32_e32 v24, 3, v1
	v_xor_b32_e32 v26, v67, v5
	v_and_b32_e32 v6, 1, v0
	s_mul_i32 s28, s28, s20
	v_lshl_or_b32 v24, v65, 5, v24
	v_xor_b32_e32 v27, v65, v7
	v_lshlrev_b32_e32 v26, 2, v26
	s_add_i32 s63, s1, s0
	s_add_i32 s0, s46, s21
	v_or_b32_e32 v73, 0x9000, v24
	v_or_b32_e32 v74, 0x9800, v24
	v_lshlrev_b32_e32 v24, 1, v27
	v_xor_b32_e32 v27, 0x440, v26
	v_cmp_eq_u32_e32 vcc, 0, v6
	s_add_i32 s39, s0, s28
	s_mul_i32 s0, s33, s23
	s_mul_hi_u32 s1, s33, s22
	v_cndmask_b32_e32 v6, v27, v26, vcc
	s_add_i32 s0, s1, s0
	s_mul_i32 s1, s56, s22
	s_mov_b32 s61, 0x1000504
	v_lshlrev_b32_e32 v25, 8, v1
	s_mov_b32 s26, 0x8000
	v_xor_b32_e32 v7, v66, v7
	v_lshl_or_b32 v5, v5, 10, v6
	s_add_i32 s1, s0, s1
	s_lshl_b64 s[24:25], s[38:39], 2
	s_mov_b32 s62, 0x3020706
	v_lshlrev_b32_e32 v7, 1, v7
	v_or3_b32 v75, v24, v25, s26
	v_xor_b32_e32 v6, 8, v5
	v_xor_b32_e32 v24, 24, v5
	;; [unrolled: 1-line block ×4, first 2 shown]
	s_mul_i32 s0, s33, s22
	s_add_u32 s24, s10, s24
	v_or3_b32 v76, v7, v25, s26
	v_xor_b32_e32 v7, 16, v5
	v_xor_b32_e32 v25, 32, v5
	;; [unrolled: 1-line block ×3, first 2 shown]
	v_add_u32_e32 v6, 0x80, v6
	v_add_u32_e32 v24, 0x80, v24
	;; [unrolled: 1-line block ×4, first 2 shown]
	s_addc_u32 s25, s11, s25
	s_lshl_b64 s[0:1], s[0:1], 2
	s_add_u32 s44, s24, s0
	s_movk_i32 s0, 0xf8
	s_addc_u32 s45, s25, s1
	s_ashr_i32 s37, s36, 31
	s_lshl_b32 s30, s19, 7
	v_mov_b32_e32 v47, 0
	s_mul_i32 s59, s50, s16
	s_mov_b32 s60, 0
	v_add_u32_e32 v87, v45, v2
	s_mov_b32 s39, 0x7060302
	v_mov_b32_e32 v98, 0x3fb8aa3b
	s_mov_b32 s65, 0
	v_mov_b32_e32 v52, v47
	v_mov_b32_e32 v53, v47
	;; [unrolled: 1-line block ×6, first 2 shown]
	s_waitcnt vmcnt(1)
	v_perm_b32 v29, v8, v16, s61
	s_waitcnt vmcnt(0)
	v_perm_b32 v30, v12, v20, s61
	v_perm_b32 v8, v8, v16, s62
	;; [unrolled: 1-line block ×15, first 2 shown]
	ds_write2st64_b32 v5, v29, v30 offset1:32
	ds_write2st64_b32 v6, v8, v12 offset1:32
	ds_write2st64_b32 v7, v16, v20 offset0:1 offset1:33
	ds_write2st64_b32 v24, v9, v13 offset0:1 offset1:33
	;; [unrolled: 1-line block ×6, first 2 shown]
	v_or_b32_e32 v5, v45, v1
	v_lshlrev_b32_e32 v5, 3, v5
	v_lshrrev_b32_e32 v7, 5, v60
	v_and_or_b32 v7, v5, s0, v7
	v_lshlrev_b32_e32 v7, 4, v7
	v_lshrrev_b32_e32 v6, 2, v60
	v_lshlrev_b32_e32 v11, 11, v61
	v_and_b32_e32 v5, 0x78, v5
	v_or_b32_e32 v12, 32, v7
	v_and_b32_e32 v10, 12, v6
	v_and_b32_e32 v6, 0x1000, v11
	v_lshrrev_b32_e32 v9, 1, v60
	v_xor_b32_e32 v12, v12, v5
	v_and_b32_e32 v9, 8, v9
	v_or_b32_e32 v12, v12, v6
	v_xor_b32_e32 v8, v7, v5
	v_xor_b32_e32 v79, v12, v9
	v_or_b32_e32 v12, 64, v7
	v_or_b32_e32 v7, 0x60, v7
	v_xor_b32_e32 v12, v12, v5
	v_xor_b32_e32 v5, v7, v5
	v_or_b32_e32 v5, v5, v6
	v_or_b32_e32 v12, v12, v6
	v_xor_b32_e32 v81, v5, v9
	v_lshlrev_b32_e32 v5, 1, v1
	v_xor_b32_e32 v80, v12, v9
	v_lshlrev_b32_e32 v12, 1, v4
	v_add_lshl_u32 v13, v4, s19, 1
	v_lshrrev_b32_e32 v4, 4, v0
	s_lshl_b64 s[0:1], s[36:37], 8
	v_or_b32_e32 v15, 1, v5
	s_add_u32 s0, s12, s0
	v_xor_b32_e32 v5, v4, v5
	v_xor_b32_e32 v15, v15, v4
	s_addc_u32 s1, s13, s1
	v_lshlrev_b32_e32 v5, 3, v5
	v_lshlrev_b32_e32 v46, 8, v4
	;; [unrolled: 1-line block ×3, first 2 shown]
	v_lshrrev_b32_e32 v19, 1, v0
	v_or3_b32 v83, v5, v46, s26
	v_or3_b32 v84, v4, v46, s26
	v_lshl_add_u64 v[4:5], s[0:1], 0, v[46:47]
	v_lshlrev_b32_e32 v46, 4, v1
	s_movk_i32 s0, 0xff
	v_lshlrev_b32_e32 v18, 3, v61
	v_and_b32_e32 v19, 24, v19
	v_lshl_add_u64 v[54:55], v[4:5], 0, v[46:47]
	v_and_b32_e32 v5, 8, v0
	v_cmp_lt_u32_e32 vcc, s0, v0
	v_xor_b32_e32 v20, v18, v19
	v_or_b32_e32 v21, 0x440, v20
	v_cndmask_b32_e64 v17, 0, 1, vcc
	v_cmp_eq_u32_e32 vcc, 0, v5
	v_or_b32_e32 v23, 64, v19
	v_xor_b32_e32 v23, v18, v23
	v_cndmask_b32_e32 v5, v21, v20, vcc
	v_or_b32_e32 v21, 32, v19
	v_or_b32_e32 v19, 0x60, v19
	v_xor_b32_e32 v21, v18, v21
	v_xor_b32_e32 v18, v18, v19
	v_or_b32_e32 v22, 0x440, v21
	v_xor_b32_e32 v24, 0x440, v23
	v_xor_b32_e32 v19, 0x440, v18
	v_or_b32_e32 v8, v8, v6
	v_or_b32_e32 v6, s36, v1
	v_and_b32_e32 v4, 7, v0
	v_cndmask_b32_e32 v21, v22, v21, vcc
	v_cndmask_b32_e32 v23, v24, v23, vcc
	;; [unrolled: 1-line block ×3, first 2 shown]
	v_xor_b32_e32 v77, v8, v9
	v_and_b32_e32 v8, 0x78, v63
	v_ashrrev_i32_e32 v7, 31, v6
	v_lshlrev_b32_e32 v15, 3, v4
	v_or_b32_e32 v5, v5, v11
	v_or_b32_e32 v21, v21, v11
	;; [unrolled: 1-line block ×4, first 2 shown]
	v_lshl_or_b32 v8, v62, 7, v8
	v_lshlrev_b64 v[6:7], 1, v[6:7]
	v_lshlrev_b32_e32 v17, 13, v17
	v_xor_b32_e32 v5, v5, v15
	v_xor_b32_e32 v21, v21, v15
	;; [unrolled: 1-line block ×4, first 2 shown]
	v_or_b32_e32 v78, 0x9000, v8
	v_or_b32_e32 v82, 0x9800, v8
	v_lshl_add_u64 v[8:9], s[8:9], 0, v[6:7]
	v_lshl_add_u64 v[6:7], s[14:15], 0, v[6:7]
	v_or_b32_e32 v14, 0x100, v3
	v_lshlrev_b32_e32 v16, 7, v4
	v_or_b32_e32 v4, v10, v45
	v_add_u32_e32 v20, v17, v5
	v_add_u32_e32 v22, v17, v21
	v_add_u32_e32 v24, v17, v23
	v_add_u32_e32 v15, v17, v11
	v_or3_b32 v10, v45, v10, 64
	v_add_u32_e32 v5, 0x2000, v5
	v_add_u32_e32 v17, 0x2000, v21
	;; [unrolled: 1-line block ×4, first 2 shown]
	v_lshlrev_b32_e32 v46, 8, v65
	v_cndmask_b32_e64 v85, v12, v3, s[2:3]
	v_cndmask_b32_e64 v86, v13, v14, s[2:3]
	v_lshl_add_u64 v[56:57], v[8:9], 0, v[46:47]
	v_lshl_add_u64 v[58:59], v[6:7], 0, v[46:47]
	s_add_i32 s37, s59, 63
	s_movk_i32 s26, 0x4000
	v_lshlrev_b32_e32 v88, 2, v4
	v_add_u32_e32 v89, v20, v16
	v_add_u32_e32 v90, v22, v16
	;; [unrolled: 1-line block ×4, first 2 shown]
	v_lshlrev_b32_e32 v93, 2, v10
	v_add_u32_e32 v94, v5, v16
	v_add_u32_e32 v95, v17, v16
	;; [unrolled: 1-line block ×4, first 2 shown]
	v_mov_b32_e32 v46, v47
	s_waitcnt lgkmcnt(0)
	s_barrier
.LBB591_6:                              ; =>This Inner Loop Header: Depth=1
	s_add_i32 s64, s65, 1
	s_cmp_lt_i32 s64, s49
	s_mov_b64 s[28:29], 0
	s_cselect_b64 s[2:3], -1, 0
	s_cmp_ge_i32 s64, s49
	s_mov_b64 s[24:25], 0
	s_cbranch_scc1 .LBB591_8
; %bb.7:                                ;   in Loop: Header=BB591_6 Depth=1
	s_add_i32 s0, s60, 64
	s_add_u32 s0, s40, s0
	s_addc_u32 s1, s41, 0
	s_lshl_b64 s[0:1], s[0:1], 8
	s_add_u32 s24, s6, s0
	s_addc_u32 s25, s7, s1
.LBB591_8:                              ;   in Loop: Header=BB591_6 Depth=1
	v_cndmask_b32_e64 v2, 0, 1, s[2:3]
	v_cmp_ne_u32_e64 s[0:1], 1, v2
	s_andn2_b64 vcc, exec, s[2:3]
	s_cbranch_vccnz .LBB591_10
; %bb.9:                                ;   in Loop: Header=BB591_6 Depth=1
	s_add_i32 s2, s60, 64
	s_add_u32 s2, s59, s2
	s_addc_u32 s3, s63, 0
	s_mul_i32 s28, s2, s51
	s_mul_hi_u32 s29, s2, s55
	s_add_i32 s28, s29, s28
	s_mul_i32 s3, s3, s55
	s_add_i32 s28, s28, s3
	s_mul_i32 s2, s2, s55
	s_add_u32 s2, s2, s54
	s_addc_u32 s3, s28, s57
	s_lshl_b64 s[2:3], s[2:3], 8
	s_add_u32 s28, s4, s2
	s_addc_u32 s29, s5, s3
.LBB591_10:                             ;   in Loop: Header=BB591_6 Depth=1
	v_perm_b32 v3, v53, v52, s39
	v_perm_b32 v2, v47, v46, s39
	;; [unrolled: 1-line block ×4, first 2 shown]
	ds_write_b64 v73, v[2:3]
	ds_write_b64 v74, v[4:5]
	;; [unrolled: 1-line block ×4, first 2 shown]
	s_waitcnt lgkmcnt(0)
	s_barrier
	ds_read_b64 v[10:11], v77 offset:16384
	ds_read_b64 v[12:13], v79 offset:16384
	ds_read2st64_b64 v[2:5], v78 offset1:1
	ds_read2st64_b64 v[6:9], v78 offset0:2 offset1:3
	ds_read_b64 v[14:15], v80 offset:16384
	s_waitcnt lgkmcnt(2)
	v_mfma_f32_16x16x16_bf16 a[0:3], v[10:11], v[2:3], 0
	ds_read_b64 v[2:3], v81 offset:16384
	s_add_i32 s2, s60, 63
	s_mul_i32 s3, s2, s35
	v_mfma_f32_16x16x16_bf16 a[0:3], v[12:13], v[4:5], a[0:3]
	s_mul_hi_u32 s31, s2, s34
	s_add_i32 s3, s31, s3
	s_mul_i32 s2, s2, s34
	s_waitcnt lgkmcnt(1)
	v_mfma_f32_16x16x16_bf16 a[0:3], v[14:15], v[6:7], a[0:3]
	s_lshl_b64 s[2:3], s[2:3], 2
	s_add_u32 s2, s44, s2
	s_addc_u32 s3, s45, s3
	s_waitcnt lgkmcnt(0)
	v_mfma_f32_16x16x16_bf16 a[0:3], v[2:3], v[8:9], a[0:3]
	s_and_b64 vcc, exec, s[0:1]
	v_mov_b32_e32 v101, 0
	v_mov_b32_e32 v100, 0
	;; [unrolled: 1-line block ×19, first 2 shown]
	s_cbranch_vccnz .LBB591_12
; %bb.11:                               ;   in Loop: Header=BB591_6 Depth=1
	s_and_b32 s25, s25, 0xffff
	buffer_load_dwordx4 v[14:17], v69, s[24:27], 0 offen
	buffer_load_dwordx4 v[10:13], v69, s[24:27], s58 offen
	buffer_load_dwordx4 v[6:9], v70, s[24:27], 0 offen
	buffer_load_dwordx4 v[2:5], v70, s[24:27], s58 offen
	v_mov_b32_e32 v100, v71
	v_mov_b32_e32 v99, v72
.LBB591_12:                             ;   in Loop: Header=BB591_6 Depth=1
	v_add_u32_e32 v24, s60, v87
	v_ashrrev_i32_e32 v18, 31, v24
	v_mul_lo_u32 v20, v18, s34
	v_mul_lo_u32 v21, v24, s35
	v_mad_u64_u32 v[18:19], s[24:25], v24, s34, 0
	v_add3_u32 v19, v19, v21, v20
	v_add_u32_e32 v20, 1, v24
	v_ashrrev_i32_e32 v21, 31, v20
	v_mul_lo_u32 v22, v21, s34
	v_mul_lo_u32 v23, v20, s35
	v_mad_u64_u32 v[20:21], s[24:25], v20, s34, 0
	v_add3_u32 v21, v21, v23, v22
	v_add_u32_e32 v22, 2, v24
	v_ashrrev_i32_e32 v23, 31, v22
	v_mul_lo_u32 v25, v23, s34
	v_mul_lo_u32 v26, v22, s35
	v_mad_u64_u32 v[22:23], s[24:25], v22, s34, 0
	s_add_u32 s24, s40, s60
	v_add3_u32 v23, v23, v26, v25
	v_add_u32_e32 v26, 3, v24
	s_addc_u32 s25, s41, 0
	v_ashrrev_i32_e32 v24, 31, v26
	s_lshl_b64 s[24:25], s[24:25], 8
	v_lshl_add_u64 v[18:19], v[18:19], 2, s[44:45]
	v_mul_lo_u32 v27, v24, s34
	v_lshl_add_u64 v[24:25], v[56:57], 0, s[24:25]
	v_mul_lo_u32 v28, v26, s35
	global_load_ushort v34, v[24:25], off
	global_load_ushort v35, v[24:25], off offset:256
	global_load_ushort v36, v[24:25], off offset:512
	;; [unrolled: 1-line block ×3, first 2 shown]
	global_load_dword v38, v[18:19], off
	v_mad_u64_u32 v[18:19], s[66:67], v26, s34, 0
	v_lshl_add_u64 v[20:21], v[20:21], 2, s[44:45]
	v_add3_u32 v19, v19, v28, v27
	v_lshl_add_u64 v[22:23], v[22:23], 2, s[44:45]
	v_lshl_add_u64 v[18:19], v[18:19], 2, s[44:45]
	global_load_dword v39, v[20:21], off
	global_load_dword v40, v[22:23], off
	;; [unrolled: 1-line block ×3, first 2 shown]
	ds_read_b64 v[18:19], v77 offset:24576
	s_load_dword s2, s[2:3], 0x0
	ds_read_b64 v[28:29], v79 offset:24576
	ds_read2st64_b64 v[20:23], v82 offset1:1
	ds_read2st64_b64 v[24:27], v82 offset0:2 offset1:3
	ds_read_b64 v[30:31], v80 offset:24576
	ds_read_b64 v[32:33], v81 offset:24576
	s_waitcnt lgkmcnt(0)
	v_mfma_f32_16x16x16_bf16 a[0:3], v[18:19], v[20:21], a[0:3]
	v_mov_b32_e32 v102, 0
	v_mov_b32_e32 v18, 0
	;; [unrolled: 1-line block ×3, first 2 shown]
	v_mfma_f32_16x16x16_bf16 a[0:3], v[28:29], v[22:23], a[0:3]
	v_lshl_add_u64 v[28:29], v[58:59], 0, s[24:25]
	v_mov_b32_e32 v20, 0
	v_mov_b32_e32 v21, 0
	v_mfma_f32_16x16x16_bf16 a[0:3], v[30:31], v[24:25], a[0:3]
	v_mov_b32_e32 v22, 0
	v_mov_b32_e32 v23, 0
	;; [unrolled: 1-line block ×3, first 2 shown]
	v_mfma_f32_16x16x16_bf16 a[0:3], v[32:33], v[26:27], a[0:3]
	s_and_b64 vcc, exec, s[0:1]
	s_waitcnt vmcnt(7)
	v_lshlrev_b32_e32 v32, 16, v34
	s_nop 3
	v_accvgpr_read_b32 v31, a1
	v_accvgpr_read_b32 v27, a3
	;; [unrolled: 1-line block ×4, first 2 shown]
	s_waitcnt vmcnt(6)
	v_lshlrev_b32_e32 v33, 16, v35
	s_waitcnt vmcnt(4)
	v_lshlrev_b32_e32 v35, 16, v37
	v_lshlrev_b32_e32 v34, 16, v36
	s_waitcnt vmcnt(3)
	v_sub_f32_e32 v25, s2, v38
	v_pk_add_f32 v[30:31], v[32:33], v[30:31] neg_lo:[0,1] neg_hi:[0,1]
	v_pk_add_f32 v[26:27], v[34:35], v[26:27] neg_lo:[0,1] neg_hi:[0,1]
	v_mul_f32_e32 v25, 0x3fb8aa3b, v25
	s_waitcnt vmcnt(2)
	v_sub_f32_e32 v33, s2, v39
	s_waitcnt vmcnt(1)
	v_sub_f32_e32 v34, s2, v40
	;; [unrolled: 2-line block ×3, first 2 shown]
	v_exp_f32_e32 v32, v25
	v_mul_f32_e32 v25, 0x3fb8aa3b, v33
	v_mul_f32_e32 v34, 0x3fb8aa3b, v34
	;; [unrolled: 1-line block ×3, first 2 shown]
	v_exp_f32_e32 v33, v25
	v_exp_f32_e32 v34, v34
	v_exp_f32_e32 v35, v35
	global_store_short_d16_hi v[28:29], v30, off
	global_store_short_d16_hi v[28:29], v31, off offset:256
	global_store_short_d16_hi v[28:29], v26, off offset:512
	;; [unrolled: 1-line block ×3, first 2 shown]
	v_pk_mul_f32 v[28:29], v[32:33], v[30:31]
	v_pk_mul_f32 v[26:27], v[34:35], v[26:27]
	v_mov_b32_e32 v25, 0
	v_perm_b32 v27, v27, v26, s39
	v_perm_b32 v26, v29, v28, s39
	ds_write_b64 v74, v[26:27]
	v_mov_b32_e32 v26, 0
	v_mov_b32_e32 v27, 0
	;; [unrolled: 1-line block ×8, first 2 shown]
	s_cbranch_vccnz .LBB591_14
; %bb.13:                               ;   in Loop: Header=BB591_6 Depth=1
	s_and_b32 s29, s29, 0xffff
	s_mov_b32 s31, s27
	buffer_load_dwordx4 v[30:33], v85, s[28:31], 0 offen
	buffer_load_dwordx4 v[22:25], v85, s[28:31], s58 offen
	;; [unrolled: 1-line block ×4, first 2 shown]
	v_mov_b32_e32 v101, v68
	v_mov_b32_e32 v102, v67
.LBB591_14:                             ;   in Loop: Header=BB591_6 Depth=1
	s_waitcnt lgkmcnt(0)
	s_barrier
	ds_read_b64 v[34:35], v89
	ds_read_b64 v[40:41], v90
	ds_read2st64_b64 v[36:39], v82 offset1:1
	ds_read2st64_b64 v[104:107], v82 offset0:2 offset1:3
	ds_read_b64 v[42:43], v91
	ds_read_b64 v[112:113], v92
	s_add_i32 s3, s52, s65
	s_mul_hi_i32 s25, s3, s17
	s_mul_i32 s3, s3, s17
	s_waitcnt lgkmcnt(3)
	v_mfma_f32_16x16x16_bf16 a[0:3], v[34:35], v[36:37], 0
	ds_read_b64 v[34:35], v94
	s_add_u32 s24, s3, s33
	s_addc_u32 s25, s25, s56
	s_add_i32 s3, s37, s60
	v_mfma_f32_16x16x16_bf16 a[0:3], v[40:41], v[38:39], a[0:3]
	ds_read_b64 v[40:41], v95
	s_lshl_b64 s[24:25], s[24:25], 15
	s_mul_hi_i32 s29, s3, s17
	s_mul_i32 s3, s3, s17
	s_add_u32 s28, s3, s33
	s_addc_u32 s29, s29, s56
	s_lshl_b64 s[28:29], s[28:29], 9
	s_add_u32 s28, s42, s28
	s_waitcnt lgkmcnt(1)
	v_mfma_f32_16x16x16_bf16 a[4:7], v[34:35], v[36:37], 0
	s_addc_u32 s29, s43, s29
	s_and_b64 vcc, exec, s[0:1]
	v_mfma_f32_16x16x16_bf16 a[0:3], v[42:43], v[104:105], a[0:3]
	ds_read_b64 v[42:43], v96
	ds_read_b64 v[114:115], v97
	global_load_dwordx4 v[34:37], v93, s[28:29]
	s_waitcnt lgkmcnt(2)
	v_mfma_f32_16x16x16_bf16 a[4:7], v[40:41], v[38:39], a[4:7]
	global_load_dwordx4 v[38:41], v88, s[28:29]
	ds_read_b64 v[108:109], v83
	ds_read_b64 v[110:111], v84
	s_waitcnt lgkmcnt(3)
	v_mfma_f32_16x16x16_bf16 a[8:11], v[42:43], v[104:105], a[4:7]
	v_lshl_add_u64 v[42:43], v[54:55], 0, s[24:25]
	s_waitcnt lgkmcnt(0)
	global_store_dwordx4 v[42:43], v[108:111], off
	v_mfma_f32_16x16x16_bf16 a[4:7], v[112:113], v[106:107], a[0:3]
	s_waitcnt vmcnt(2)
	v_mov_b32_e32 v44, v37
	v_mfma_f32_16x16x16_bf16 a[0:3], v[114:115], v[106:107], a[8:11]
	v_mov_b32_e32 v43, v36
	v_mov_b32_e32 v42, v35
	s_cbranch_vccnz .LBB591_16
; %bb.15:                               ;   in Loop: Header=BB591_6 Depth=1
	v_lshrrev_b32_e32 v35, 3, v101
	v_and_b32_e32 v35, 6, v35
	v_xor_b32_e32 v36, v35, v102
	v_lshlrev_b32_e32 v36, 2, v36
	v_and_b32_e32 v37, 8, v101
	v_xor_b32_e32 v101, 0x440, v36
	v_cmp_eq_u32_e32 vcc, 0, v37
	v_perm_b32 v37, v22, v18, s61
	s_nop 0
	v_cndmask_b32_e32 v36, v101, v36, vcc
	v_lshl_or_b32 v35, v35, 10, v36
	v_perm_b32 v36, v30, v26, s61
	s_barrier
	ds_write2st64_b32 v35, v36, v37 offset1:32
	v_xor_b32_e32 v36, 8, v35
	v_perm_b32 v26, v30, v26, s62
	v_perm_b32 v18, v22, v18, s62
	v_add_u32_e32 v22, 0x80, v36
	ds_write2st64_b32 v22, v26, v18 offset1:32
	v_xor_b32_e32 v18, 16, v35
	v_perm_b32 v22, v31, v27, s61
	v_perm_b32 v26, v23, v19, s61
	ds_write2st64_b32 v18, v22, v26 offset0:1 offset1:33
	v_xor_b32_e32 v18, 24, v35
	v_perm_b32 v22, v31, v27, s62
	v_perm_b32 v19, v23, v19, s62
	v_add_u32_e32 v18, 0x80, v18
	ds_write2st64_b32 v18, v22, v19 offset0:1 offset1:33
	v_xor_b32_e32 v18, 32, v35
	v_perm_b32 v19, v32, v28, s61
	v_perm_b32 v22, v24, v20, s61
	ds_write2st64_b32 v18, v19, v22 offset0:2 offset1:34
	v_xor_b32_e32 v18, 40, v35
	v_perm_b32 v19, v32, v28, s62
	v_perm_b32 v20, v24, v20, s62
	v_add_u32_e32 v18, 0x80, v18
	ds_write2st64_b32 v18, v19, v20 offset0:2 offset1:34
	;; [unrolled: 9-line block ×3, first 2 shown]
	ds_write_b64 v100, v[14:15] offset:16384
	v_xor_b32_e32 v14, 8, v100
	ds_write_b64 v14, v[16:17] offset:16384
	ds_write_b64 v100, v[10:11] offset:24576
	;; [unrolled: 1-line block ×4, first 2 shown]
	v_xor_b32_e32 v6, 8, v99
	ds_write_b64 v6, v[8:9] offset:16384
	ds_write_b64 v99, v[2:3] offset:24576
	ds_write_b64 v6, v[4:5] offset:24576
.LBB591_16:                             ;   in Loop: Header=BB591_6 Depth=1
	v_mul_f32_e32 v6, s2, v98
	v_exp_f32_e32 v10, v6
	s_waitcnt vmcnt(1)
	v_mul_f32_e32 v6, 0x3fb8aa3b, v38
	v_exp_f32_e32 v12, v6
	v_mul_f32_e32 v6, 0x3fb8aa3b, v39
	v_exp_f32_e32 v13, v6
	;; [unrolled: 2-line block ×4, first 2 shown]
	v_accvgpr_read_b32 v2, a4
	v_accvgpr_read_b32 v3, a5
	v_pk_mul_f32 v[12:13], v[10:11], v[12:13] op_sel_hi:[0,1]
	v_pk_fma_f32 v[46:47], v[46:47], v[12:13], v[2:3]
	v_pk_mul_f32 v[2:3], v[10:11], v[14:15] op_sel_hi:[0,1]
	v_mul_f32_e32 v11, 0x3fb8aa3b, v34
	v_exp_f32_e32 v12, v11
	v_mul_f32_e32 v11, 0x3fb8aa3b, v42
	v_exp_f32_e32 v13, v11
	;; [unrolled: 2-line block ×4, first 2 shown]
	v_accvgpr_read_b32 v4, a6
	v_accvgpr_read_b32 v5, a7
	;; [unrolled: 1-line block ×5, first 2 shown]
	v_pk_fma_f32 v[52:53], v[52:53], v[2:3], v[4:5]
	v_pk_mul_f32 v[2:3], v[10:11], v[12:13] op_sel_hi:[0,1]
	v_accvgpr_read_b32 v8, a2
	v_pk_fma_f32 v[50:51], v[50:51], v[2:3], v[6:7]
	v_pk_mul_f32 v[2:3], v[10:11], v[14:15] op_sel_hi:[0,1]
	s_add_i32 s60, s60, 64
	s_cmp_eq_u32 s49, s64
	v_pk_fma_f32 v[48:49], v[48:49], v[2:3], v[8:9]
	s_cbranch_scc1 .LBB591_18
; %bb.17:                               ;   in Loop: Header=BB591_6 Depth=1
	s_mov_b32 s65, s64
	s_branch .LBB591_6
.LBB591_18:
	s_lshl_b32 s42, s49, 6
	s_sub_i32 s43, s16, s42
	s_cmp_gt_i32 s43, 0
	s_cbranch_scc0 .LBB591_75
; %bb.19:
	s_ashr_i32 s39, s50, 31
	s_ashr_i32 s2, s42, 31
	s_cmpk_lg_i32 s19, 0x80
	s_cselect_b64 s[30:31], -1, 0
	s_and_b64 vcc, exec, s[30:31]
	s_cbranch_vccz .LBB591_21
; %bb.20:
	s_mul_i32 s1, s50, s16
	s_mul_hi_i32 s0, s50, s16
	s_add_u32 s1, s1, s42
	s_addc_u32 s0, s0, s2
	s_mul_i32 s3, s1, s51
	s_mul_hi_u32 s24, s1, s18
	s_add_i32 s3, s24, s3
	s_mul_i32 s0, s0, s18
	s_add_i32 s3, s3, s0
	s_mul_i32 s1, s1, s18
	s_ashr_i32 s0, s54, 31
	s_add_u32 s40, s1, s54
	s_addc_u32 s41, s3, s0
	s_cbranch_execz .LBB591_22
	s_branch .LBB591_23
.LBB591_21:
                                        ; implicit-def: $sgpr40_sgpr41
.LBB591_22:
	s_mul_hi_i32 s0, s50, s18
	s_mul_i32 s50, s50, s18
	s_ashr_i32 s1, s54, 31
	s_add_u32 s3, s50, s54
	s_addc_u32 s0, s0, s1
	s_mul_i32 s1, s3, s48
	s_mul_hi_u32 s18, s3, s16
	s_add_i32 s1, s18, s1
	s_mul_i32 s0, s0, s16
	s_add_i32 s1, s1, s0
	s_mul_i32 s3, s3, s16
	s_add_u32 s40, s3, s42
	s_addc_u32 s41, s1, s2
.LBB591_23:
	s_add_i32 s3, s52, s49
	s_ashr_i32 s18, s33, 31
	s_add_u32 s0, s47, s33
	s_addc_u32 s1, s53, s18
	s_mul_i32 s24, s0, s48
	s_mul_hi_u32 s25, s0, s16
	s_add_i32 s24, s25, s24
	s_mul_i32 s1, s1, s16
	s_add_i32 s24, s24, s1
	s_mul_i32 s0, s0, s16
	s_add_u32 s0, s0, s42
	s_addc_u32 s1, s24, s2
	s_mov_b32 s2, 0x7060302
	v_lshlrev_b32_e32 v6, 3, v1
	s_lshl_b64 s[28:29], s[0:1], 8
	v_perm_b32 v3, v53, v52, s2
	v_perm_b32 v2, v47, v46, s2
	;; [unrolled: 1-line block ×4, first 2 shown]
	v_lshlrev_b32_e32 v34, 2, v1
	v_lshl_or_b32 v6, v65, 5, v6
	s_add_u32 s0, s6, s28
	ds_write2st64_b64 v6, v[2:3], v[4:5] offset0:72 offset1:76
	v_xor_b32_e32 v6, v65, v34
	v_lshlrev_b32_e32 v7, 8, v1
	s_addc_u32 s1, s7, s29
	v_lshl_or_b32 v6, v6, 1, v7
	s_mul_hi_i32 s6, s3, s17
	s_mul_i32 s3, s3, s17
	ds_write_b64 v6, v[2:3] offset:32768
	v_xor_b32_e32 v2, v66, v34
	s_add_u32 s2, s3, s33
	v_lshl_or_b32 v2, v2, 1, v7
	s_addc_u32 s3, s6, s18
	v_lshlrev_b32_e32 v3, 1, v1
	ds_write_b64 v2, v[4:5] offset:32768
	v_lshrrev_b32_e32 v2, 4, v0
	s_ashr_i32 s37, s36, 31
	s_lshl_b64 s[2:3], s[2:3], 15
	v_or_b32_e32 v4, 1, v3
	s_add_u32 s6, s12, s2
	v_xor_b32_e32 v3, v2, v3
	v_xor_b32_e32 v4, v4, v2
	v_lshlrev_b32_e32 v6, 8, v2
	s_addc_u32 s7, s13, s3
	s_lshl_b64 s[2:3], s[36:37], 8
	v_lshl_or_b32 v2, v3, 3, v6
	v_lshl_or_b32 v4, v4, 3, v6
	s_waitcnt lgkmcnt(0)
	s_barrier
	s_add_u32 s2, s6, s2
	ds_read_b64 v[2:3], v2 offset:32768
	ds_read_b64 v[4:5], v4 offset:32768
	s_addc_u32 s3, s7, s3
	v_mov_b32_e32 v7, 0
	s_cmp_lg_u32 s43, 64
	v_lshl_add_u64 v[8:9], s[2:3], 0, v[6:7]
	v_lshlrev_b32_e32 v6, 4, v1
	s_cselect_b64 s[6:7], -1, 0
	v_lshl_or_b32 v35, v61, 3, v64
	s_mov_b32 s24, 0
	v_lshl_add_u64 v[6:7], v[8:9], 0, v[6:7]
	v_or_b32_e32 v19, 32, v35
	v_and_b32_e32 v18, 56, v63
	s_and_b64 vcc, exec, s[6:7]
	s_waitcnt lgkmcnt(0)
	global_store_dwordx4 v[6:7], v[2:5], off
	s_cbranch_vccz .LBB591_29
; %bb.24:
	s_mov_b32 s25, s24
	s_mov_b32 s26, s24
	;; [unrolled: 1-line block ×3, first 2 shown]
	v_mov_b64_e32 v[6:7], s[24:25]
	v_mov_b64_e32 v[8:9], s[26:27]
	;; [unrolled: 1-line block ×3, first 2 shown]
	v_cmp_gt_i32_e32 vcc, s43, v35
	v_mov_b64_e32 v[4:5], v[8:9]
	s_and_saveexec_b64 s[2:3], vcc
	s_cbranch_execz .LBB591_26
; %bb.25:
	v_lshlrev_b32_e32 v2, 8, v35
	v_mov_b32_e32 v3, 0
	v_lshl_add_u64 v[4:5], s[0:1], 0, v[2:3]
	v_lshlrev_b32_e32 v2, 1, v18
	v_lshl_add_u64 v[10:11], v[4:5], 0, v[2:3]
	global_load_dwordx4 v[6:9], v[10:11], off
	global_load_dwordx4 v[2:5], v[10:11], off offset:128
.LBB591_26:
	s_or_b64 exec, exec, s[2:3]
	s_mov_b32 s25, s24
	s_mov_b32 s26, s24
	;; [unrolled: 1-line block ×3, first 2 shown]
	v_mov_b64_e32 v[14:15], s[24:25]
	v_mov_b64_e32 v[16:17], s[26:27]
	;; [unrolled: 1-line block ×3, first 2 shown]
	v_cmp_gt_i32_e32 vcc, s43, v19
	v_lshlrev_b32_e32 v20, 7, v19
	v_mov_b64_e32 v[12:13], v[16:17]
	s_and_saveexec_b64 s[2:3], vcc
	s_cbranch_execz .LBB591_28
; %bb.27:
	v_lshlrev_b32_e32 v10, 1, v20
	v_mov_b32_e32 v11, 0
	v_lshl_add_u64 v[12:13], s[0:1], 0, v[10:11]
	v_lshlrev_b32_e32 v10, 1, v18
	v_lshl_add_u64 v[22:23], v[12:13], 0, v[10:11]
	global_load_dwordx4 v[14:17], v[22:23], off
	global_load_dwordx4 v[10:13], v[22:23], off offset:128
.LBB591_28:
	s_or_b64 exec, exec, s[2:3]
	v_lshrrev_b32_e32 v21, 3, v18
	v_lshlrev_b32_e32 v22, 3, v35
	v_or_b32_e32 v21, v22, v21
	v_lshlrev_b32_e32 v21, 4, v21
	v_and_b32_e32 v22, 0x78, v22
	v_xor_b32_e32 v21, v21, v22
	s_branch .LBB591_31
.LBB591_29:
                                        ; implicit-def: $vgpr21
                                        ; implicit-def: $vgpr20
                                        ; implicit-def: $vgpr6_vgpr7_vgpr8_vgpr9
                                        ; implicit-def: $vgpr2_vgpr3_vgpr4_vgpr5
                                        ; implicit-def: $vgpr14_vgpr15_vgpr16_vgpr17
                                        ; implicit-def: $vgpr10_vgpr11_vgpr12_vgpr13
	s_cbranch_execz .LBB591_31
; %bb.30:
	s_waitcnt vmcnt(0)
	v_lshlrev_b32_e32 v2, 1, v18
	v_lshl_or_b32 v20, v35, 8, v2
	s_and_b32 s1, s1, 0xffff
	s_mov_b32 s3, 0x20000
	s_movk_i32 s2, 0x4000
	v_lshl_or_b32 v21, v19, 8, v2
	s_movk_i32 s12, 0x80
	buffer_load_dwordx4 v[6:9], v20, s[0:3], 0 offen
	buffer_load_dwordx4 v[2:5], v20, s[0:3], s12 offen
	;; [unrolled: 1-line block ×4, first 2 shown]
	v_lshrrev_b32_e32 v20, 3, v18
	v_lshlrev_b32_e32 v21, 3, v35
	v_or_b32_e32 v20, v21, v20
	v_lshlrev_b32_e32 v20, 4, v20
	v_and_b32_e32 v21, 0x78, v21
	v_xor_b32_e32 v21, v20, v21
	v_lshlrev_b32_e32 v20, 7, v19
.LBB591_31:
	s_lshl_b64 s[0:1], s[40:41], 8
	s_add_u32 s4, s4, s0
	s_movk_i32 s0, 0x1000
	v_and_or_b32 v19, v20, s0, v21
	s_waitcnt vmcnt(1)
	ds_write_b64 v21, v[6:7] offset:16384
	v_xor_b32_e32 v6, 8, v21
	ds_write_b64 v6, v[8:9] offset:16384
	s_waitcnt vmcnt(0)
	ds_write_b64 v21, v[2:3] offset:24576
	ds_write_b64 v6, v[4:5] offset:24576
	;; [unrolled: 1-line block ×3, first 2 shown]
	v_xor_b32_e32 v2, 8, v19
	ds_write_b64 v2, v[16:17] offset:16384
	ds_write_b64 v19, v[10:11] offset:24576
	;; [unrolled: 1-line block ×3, first 2 shown]
	v_or_b32_e32 v2, v45, v1
	s_addc_u32 s5, s5, s1
	s_add_i32 s2, s16, -1
	v_lshlrev_b32_e32 v2, 3, v2
	v_lshrrev_b32_e32 v4, 5, v60
	s_movk_i32 s16, 0xf8
	v_and_or_b32 v4, v2, s16, v4
	v_lshlrev_b32_e32 v3, 11, v61
	v_lshlrev_b32_e32 v12, 4, v4
	v_and_b32_e32 v13, 0x78, v2
	v_and_b32_e32 v14, 0x1000, v3
	v_lshlrev_b32_e32 v3, 2, v0
	v_xor_b32_e32 v2, v12, v13
	v_lshrrev_b32_e32 v4, 1, v60
	v_and_b32_e32 v3, 60, v3
	v_or_b32_e32 v2, v2, v14
	v_and_b32_e32 v15, 8, v4
	v_xor_b32_e32 v26, v2, v15
	v_lshl_or_b32 v2, v62, 6, v3
	v_lshlrev_b32_e32 v19, 1, v2
	v_or_b32_e32 v2, 32, v12
	v_xor_b32_e32 v2, v2, v13
	s_waitcnt lgkmcnt(0)
	s_barrier
	ds_read_b64 v[10:11], v26 offset:16384
	v_or_b32_e32 v2, v2, v14
	v_xor_b32_e32 v27, v2, v15
	v_or_b32_e32 v2, 64, v12
	v_xor_b32_e32 v2, v2, v13
	v_or_b32_e32 v2, v2, v14
	v_or_b32_e32 v12, 0x60, v12
	v_xor_b32_e32 v28, v2, v15
	ds_read2st64_b64 v[2:5], v19 offset0:72 offset1:73
	ds_read2st64_b64 v[6:9], v19 offset0:74 offset1:75
	v_xor_b32_e32 v16, v12, v13
	ds_read_b64 v[12:13], v27 offset:16384
	s_waitcnt lgkmcnt(2)
	v_mfma_f32_16x16x16_bf16 a[0:3], v[10:11], v[2:3], 0
	s_add_i32 s0, s46, s21
	s_mul_i32 s39, s39, s20
	s_add_i32 s39, s0, s39
	s_mul_i32 s0, s33, s23
	s_mul_hi_u32 s1, s33, s22
	s_ashr_i32 s3, s2, 31
	s_mul_i32 s12, s2, s35
	s_mul_hi_u32 s13, s2, s34
	s_add_i32 s0, s1, s0
	s_mul_i32 s1, s18, s22
	s_add_i32 s12, s13, s12
	s_mul_i32 s3, s3, s34
	v_or_b32_e32 v14, v16, v14
	s_add_i32 s1, s0, s1
	s_add_i32 s3, s12, s3
	s_lshl_b64 s[12:13], s[38:39], 2
	v_xor_b32_e32 v36, v14, v15
	ds_read_b64 v[14:15], v28 offset:16384
	ds_read_b64 v[16:17], v36 offset:16384
	s_waitcnt lgkmcnt(2)
	v_mfma_f32_16x16x16_bf16 a[0:3], v[12:13], v[4:5], a[0:3]
	s_mul_i32 s0, s33, s22
	s_add_u32 s10, s10, s12
	s_addc_u32 s11, s11, s13
	s_lshl_b64 s[0:1], s[0:1], 2
	s_mul_i32 s2, s2, s34
	s_add_u32 s10, s10, s0
	s_addc_u32 s11, s11, s1
	s_lshl_b64 s[0:1], s[2:3], 2
	s_waitcnt lgkmcnt(1)
	v_mfma_f32_16x16x16_bf16 a[0:3], v[14:15], v[6:7], a[0:3]
	s_add_u32 s0, s10, s0
	s_addc_u32 s1, s11, s1
	s_load_dword s12, s[0:1], 0x0
	s_waitcnt lgkmcnt(0)
	v_mfma_f32_16x16x16_bf16 a[0:3], v[16:17], v[8:9], a[0:3]
	s_and_b64 vcc, exec, s[30:31]
	s_cbranch_vccz .LBB591_42
; %bb.32:
	v_lshlrev_b32_e32 v20, 1, v35
	s_and_b64 vcc, exec, s[6:7]
	s_cbranch_vccz .LBB591_43
; %bb.33:
	v_cmp_gt_i32_e32 vcc, s43, v20
	v_mov_b32_e32 v6, 0
	v_mov_b32_e32 v2, 0
	;; [unrolled: 1-line block ×5, first 2 shown]
	s_and_saveexec_b64 s[0:1], vcc
	s_cbranch_execz .LBB591_35
; %bb.34:
	v_mad_i64_i32 v[2:3], s[2:3], s19, v20, 0
	v_lshl_add_u64 v[2:3], v[2:3], 1, s[4:5]
	v_lshlrev_b32_e32 v4, 1, v18
	v_mov_b32_e32 v5, 0
	v_lshl_add_u64 v[2:3], v[2:3], 0, v[4:5]
	global_load_dwordx4 v[2:5], v[2:3], off
.LBB591_35:
	s_or_b64 exec, exec, s[0:1]
	v_or_b32_e32 v21, 1, v20
	v_cmp_gt_i32_e64 s[0:1], s43, v21
	v_mov_b32_e32 v7, 0
	v_mov_b32_e32 v8, 0
	;; [unrolled: 1-line block ×3, first 2 shown]
	s_and_saveexec_b64 s[2:3], s[0:1]
	s_cbranch_execz .LBB591_37
; %bb.36:
	v_mad_i64_i32 v[6:7], s[16:17], s19, v21, 0
	v_lshl_add_u64 v[6:7], v[6:7], 1, s[4:5]
	v_lshlrev_b32_e32 v8, 1, v18
	v_mov_b32_e32 v9, 0
	v_lshl_add_u64 v[6:7], v[6:7], 0, v[8:9]
	global_load_dwordx4 v[6:9], v[6:7], off
.LBB591_37:
	s_or_b64 exec, exec, s[2:3]
	v_mov_b32_e32 v17, 0
	v_mov_b32_e32 v10, 0
	;; [unrolled: 1-line block ×5, first 2 shown]
	s_and_saveexec_b64 s[2:3], vcc
	s_cbranch_execz .LBB591_39
; %bb.38:
	v_mad_i64_i32 v[10:11], s[16:17], s19, v20, 0
	v_lshl_add_u64 v[10:11], v[10:11], 1, s[4:5]
	v_lshlrev_b32_e32 v12, 1, v18
	v_mov_b32_e32 v13, 0
	v_lshl_add_u64 v[10:11], v[10:11], 0, v[12:13]
	global_load_dwordx4 v[10:13], v[10:11], off offset:128
.LBB591_39:
	s_or_b64 exec, exec, s[2:3]
	v_mov_b32_e32 v16, 0
	v_mov_b32_e32 v15, 0
	;; [unrolled: 1-line block ×3, first 2 shown]
	s_and_saveexec_b64 s[2:3], s[0:1]
	s_cbranch_execz .LBB591_41
; %bb.40:
	v_mad_i64_i32 v[14:15], s[0:1], s19, v21, 0
	v_lshl_add_u64 v[14:15], v[14:15], 1, s[4:5]
	v_lshlrev_b32_e32 v16, 1, v18
	v_mov_b32_e32 v17, 0
	v_lshl_add_u64 v[14:15], v[14:15], 0, v[16:17]
	global_load_dwordx4 v[14:17], v[14:15], off offset:128
.LBB591_41:
	s_or_b64 exec, exec, s[2:3]
	s_branch .LBB591_45
.LBB591_42:
                                        ; implicit-def: $vgpr5
                                        ; implicit-def: $vgpr9
                                        ; implicit-def: $vgpr13
                                        ; implicit-def: $vgpr17
	v_lshrrev_b32_e32 v37, 2, v60
	s_branch .LBB591_46
.LBB591_43:
                                        ; implicit-def: $vgpr5
                                        ; implicit-def: $vgpr9
                                        ; implicit-def: $vgpr13
                                        ; implicit-def: $vgpr17
	s_cbranch_execz .LBB591_45
; %bb.44:
	s_waitcnt vmcnt(0)
	v_mad_u64_u32 v[2:3], s[0:1], v20, s19, v[18:19]
	v_lshlrev_b32_e32 v20, 1, v2
	s_lshl_b32 s2, s19, 7
	s_and_b32 s1, s5, 0xffff
	s_mov_b32 s3, 0x20000
	s_mov_b32 s0, s4
	v_add_lshl_u32 v21, v2, s19, 1
	s_movk_i32 s13, 0x80
	buffer_load_dwordx4 v[2:5], v20, s[0:3], 0 offen
	buffer_load_dwordx4 v[10:13], v20, s[0:3], s13 offen
	;; [unrolled: 1-line block ×4, first 2 shown]
.LBB591_45:
	v_lshrrev_b32_e32 v37, 2, v60
	s_cbranch_execnz .LBB591_58
.LBB591_46:
	s_and_b64 vcc, exec, s[6:7]
	s_cbranch_vccz .LBB591_56
; %bb.47:
	s_waitcnt vmcnt(0)
	v_lshlrev_b32_e32 v7, 1, v35
	v_cmp_gt_i32_e32 vcc, s43, v7
	v_mov_b32_e32 v6, 0
	v_lshlrev_b32_e32 v14, 9, v35
	v_mov_b32_e32 v2, 0
	v_mov_b32_e32 v3, 0
	;; [unrolled: 1-line block ×4, first 2 shown]
	s_and_saveexec_b64 s[0:1], vcc
	s_cbranch_execz .LBB591_49
; %bb.48:
	v_mov_b32_e32 v15, 0
	v_lshl_add_u64 v[2:3], s[4:5], 0, v[14:15]
	v_lshlrev_b32_e32 v4, 1, v18
	v_mov_b32_e32 v5, v15
	v_lshl_add_u64 v[2:3], v[2:3], 0, v[4:5]
	global_load_dwordx4 v[2:5], v[2:3], off
.LBB591_49:
	s_or_b64 exec, exec, s[0:1]
	v_or_b32_e32 v7, 1, v7
	v_cmp_gt_i32_e64 s[0:1], s43, v7
	v_lshlrev_b32_e32 v20, 8, v7
	v_mov_b32_e32 v7, 0
	v_mov_b32_e32 v8, 0
	;; [unrolled: 1-line block ×3, first 2 shown]
	s_and_saveexec_b64 s[2:3], s[0:1]
	s_cbranch_execz .LBB591_51
; %bb.50:
	v_mov_b32_e32 v21, 0
	v_lshl_add_u64 v[6:7], s[4:5], 0, v[20:21]
	v_lshlrev_b32_e32 v8, 1, v18
	v_mov_b32_e32 v9, v21
	v_lshl_add_u64 v[6:7], v[6:7], 0, v[8:9]
	global_load_dwordx4 v[6:9], v[6:7], off
.LBB591_51:
	s_or_b64 exec, exec, s[2:3]
	v_mov_b32_e32 v17, 0
	v_mov_b32_e32 v10, 0
	;; [unrolled: 1-line block ×5, first 2 shown]
	s_and_saveexec_b64 s[2:3], vcc
	s_cbranch_execz .LBB591_53
; %bb.52:
	v_mov_b32_e32 v15, 0
	v_lshl_add_u64 v[10:11], s[4:5], 0, v[14:15]
	v_lshlrev_b32_e32 v14, 1, v18
	v_lshl_add_u64 v[10:11], v[10:11], 0, v[14:15]
	global_load_dwordx4 v[10:13], v[10:11], off offset:128
.LBB591_53:
	s_or_b64 exec, exec, s[2:3]
	v_mov_b32_e32 v16, 0
	v_mov_b32_e32 v15, 0
	v_mov_b32_e32 v14, 0
	s_and_saveexec_b64 s[2:3], s[0:1]
	s_cbranch_execz .LBB591_55
; %bb.54:
	v_mov_b32_e32 v21, 0
	v_lshl_add_u64 v[14:15], s[4:5], 0, v[20:21]
	v_lshlrev_b32_e32 v20, 1, v18
	v_lshl_add_u64 v[14:15], v[14:15], 0, v[20:21]
	global_load_dwordx4 v[14:17], v[14:15], off offset:128
.LBB591_55:
	s_or_b64 exec, exec, s[2:3]
	s_branch .LBB591_58
.LBB591_56:
                                        ; implicit-def: $vgpr5
                                        ; implicit-def: $vgpr9
                                        ; implicit-def: $vgpr13
                                        ; implicit-def: $vgpr17
	s_cbranch_execz .LBB591_58
; %bb.57:
	s_waitcnt vmcnt(0)
	v_lshlrev_b32_e32 v2, 1, v18
	v_lshl_or_b32 v18, v35, 9, v2
	s_and_b32 s5, s5, 0xffff
	s_mov_b32 s7, 0x20000
	s_movk_i32 s6, 0x4000
	s_movk_i32 s0, 0x80
	buffer_load_dwordx4 v[2:5], v18, s[4:7], 0 offen
	buffer_load_dwordx4 v[6:9], v18, s[4:7], 0 offen offset:256
	buffer_load_dwordx4 v[10:13], v18, s[4:7], s0 offen
	buffer_load_dwordx4 v[14:17], v18, s[4:7], s0 offen offset:256
.LBB591_58:
	ds_read2st64_b64 v[22:25], v19 offset0:76 offset1:77
	ds_read2st64_b64 v[18:21], v19 offset0:78 offset1:79
	ds_read_b64 v[32:33], v26 offset:24576
	ds_read_b64 v[30:31], v27 offset:24576
	;; [unrolled: 1-line block ×4, first 2 shown]
	v_and_b32_e32 v36, 6, v0
	v_xor_b32_e32 v35, v35, v36
	v_lshlrev_b32_e32 v35, 2, v35
	v_and_b32_e32 v0, 1, v0
	v_xor_b32_e32 v38, 0x440, v35
	v_cmp_eq_u32_e32 vcc, 0, v0
	s_mov_b32 s0, 0x1000504
	s_mov_b32 s1, 0x3020706
	v_cndmask_b32_e32 v0, v38, v35, vcc
	v_lshl_or_b32 v0, v36, 10, v0
	s_waitcnt vmcnt(0)
	v_perm_b32 v35, v2, v6, s0
	v_perm_b32 v36, v10, v14, s0
	ds_write2st64_b32 v0, v35, v36 offset1:32
	v_xor_b32_e32 v35, 8, v0
	v_perm_b32 v2, v2, v6, s1
	v_perm_b32 v6, v10, v14, s1
	v_add_u32_e32 v10, 0x80, v35
	ds_write2st64_b32 v10, v2, v6 offset1:32
	v_xor_b32_e32 v2, 16, v0
	v_perm_b32 v6, v3, v7, s0
	v_perm_b32 v10, v11, v15, s0
	ds_write2st64_b32 v2, v6, v10 offset0:1 offset1:33
	v_xor_b32_e32 v2, 24, v0
	v_perm_b32 v3, v3, v7, s1
	v_perm_b32 v6, v11, v15, s1
	v_add_u32_e32 v2, 0x80, v2
	ds_write2st64_b32 v2, v3, v6 offset0:1 offset1:33
	v_xor_b32_e32 v2, 32, v0
	v_perm_b32 v3, v4, v8, s0
	v_perm_b32 v6, v12, v16, s0
	ds_write2st64_b32 v2, v3, v6 offset0:2 offset1:34
	v_xor_b32_e32 v2, 40, v0
	v_perm_b32 v3, v4, v8, s1
	v_perm_b32 v4, v12, v16, s1
	v_add_u32_e32 v2, 0x80, v2
	ds_write2st64_b32 v2, v3, v4 offset0:2 offset1:34
	v_xor_b32_e32 v2, 48, v0
	v_perm_b32 v3, v5, v9, s0
	v_perm_b32 v4, v13, v17, s0
	v_xor_b32_e32 v0, 56, v0
	v_and_or_b32 v8, v37, 12, v45
	ds_write2st64_b32 v2, v3, v4 offset0:3 offset1:35
	v_perm_b32 v2, v5, v9, s1
	v_perm_b32 v3, v13, v17, s1
	v_add_u32_e32 v0, 0x80, v0
	v_cmp_gt_i32_e32 vcc, s43, v8
	v_mov_b32_e32 v9, 0
	v_mov_b32_e32 v14, 0
	ds_write2st64_b32 v0, v2, v3 offset0:3 offset1:35
	s_and_saveexec_b64 s[0:1], vcc
	s_cbranch_execz .LBB591_60
; %bb.59:
	v_add_u32_e32 v0, s42, v8
	v_ashrrev_i32_e32 v2, 31, v0
	v_mul_lo_u32 v4, v2, s34
	v_mul_lo_u32 v5, v0, s35
	v_mad_u64_u32 v[2:3], s[2:3], v0, s34, 0
	v_add3_u32 v3, v3, v5, v4
	v_lshl_add_u64 v[2:3], v[2:3], 2, s[10:11]
	global_load_dword v0, v[2:3], off
	s_waitcnt vmcnt(0)
	v_sub_f32_e32 v0, s12, v0
	v_mul_f32_e32 v0, 0x3fb8aa3b, v0
	v_exp_f32_e32 v14, v0
.LBB591_60:
	s_or_b64 exec, exec, s[0:1]
	v_or_b32_e32 v12, 1, v8
	v_cmp_gt_i32_e64 s[2:3], s43, v12
	s_and_saveexec_b64 s[0:1], s[2:3]
	s_cbranch_execz .LBB591_62
; %bb.61:
	v_add_u32_e32 v0, s42, v12
	v_ashrrev_i32_e32 v2, 31, v0
	v_mul_lo_u32 v4, v2, s34
	v_mul_lo_u32 v5, v0, s35
	v_mad_u64_u32 v[2:3], s[4:5], v0, s34, 0
	v_add3_u32 v3, v3, v5, v4
	v_lshl_add_u64 v[2:3], v[2:3], 2, s[10:11]
	global_load_dword v0, v[2:3], off
	s_waitcnt vmcnt(0)
	v_sub_f32_e32 v0, s12, v0
	v_mul_f32_e32 v0, 0x3fb8aa3b, v0
	v_exp_f32_e32 v9, v0
.LBB591_62:
	s_or_b64 exec, exec, s[0:1]
	v_or_b32_e32 v11, 2, v8
	v_cmp_gt_i32_e64 s[0:1], s43, v11
	v_mov_b32_e32 v10, 0
	v_mov_b32_e32 v15, 0
	s_and_saveexec_b64 s[4:5], s[0:1]
	s_cbranch_execz .LBB591_64
; %bb.63:
	v_add_u32_e32 v0, s42, v11
	v_ashrrev_i32_e32 v2, 31, v0
	v_mul_lo_u32 v4, v2, s34
	v_mul_lo_u32 v5, v0, s35
	v_mad_u64_u32 v[2:3], s[6:7], v0, s34, 0
	v_add3_u32 v3, v3, v5, v4
	v_lshl_add_u64 v[2:3], v[2:3], 2, s[10:11]
	global_load_dword v0, v[2:3], off
	s_waitcnt vmcnt(0)
	v_sub_f32_e32 v0, s12, v0
	v_mul_f32_e32 v0, 0x3fb8aa3b, v0
	v_exp_f32_e32 v15, v0
.LBB591_64:
	s_or_b64 exec, exec, s[4:5]
	v_or_b32_e32 v13, 3, v8
	v_cmp_gt_i32_e64 s[4:5], s43, v13
	s_and_saveexec_b64 s[6:7], s[4:5]
	s_cbranch_execz .LBB591_66
; %bb.65:
	v_add_u32_e32 v0, s42, v13
	v_ashrrev_i32_e32 v2, 31, v0
	v_mul_lo_u32 v4, v2, s34
	v_mul_lo_u32 v5, v0, s35
	v_mad_u64_u32 v[2:3], s[16:17], v0, s34, 0
	v_add3_u32 v3, v3, v5, v4
	v_lshl_add_u64 v[2:3], v[2:3], 2, s[10:11]
	global_load_dword v0, v[2:3], off
	s_waitcnt vmcnt(0)
	v_sub_f32_e32 v0, s12, v0
	v_mul_f32_e32 v0, 0x3fb8aa3b, v0
	v_exp_f32_e32 v10, v0
.LBB591_66:
	s_or_b64 exec, exec, s[6:7]
	s_waitcnt lgkmcnt(11)
	v_mfma_f32_16x16x16_bf16 a[0:3], v[32:33], v[22:23], a[0:3]
	v_or_b32_e32 v0, s36, v1
	s_add_u32 s6, s8, s28
	v_ashrrev_i32_e32 v1, 31, v0
	s_waitcnt lgkmcnt(10)
	v_mfma_f32_16x16x16_bf16 a[0:3], v[30:31], v[24:25], a[0:3]
	s_addc_u32 s7, s9, s29
	v_lshlrev_b64 v[0:1], 1, v[0:1]
	v_lshl_add_u64 v[4:5], s[6:7], 0, v[0:1]
	s_waitcnt lgkmcnt(9)
	v_mfma_f32_16x16x16_bf16 a[0:3], v[28:29], v[18:19], a[0:3]
	s_add_u32 s6, s14, s28
	s_addc_u32 s7, s15, s29
	v_lshl_add_u64 v[6:7], s[6:7], 0, v[0:1]
	s_waitcnt lgkmcnt(8)
	v_mfma_f32_16x16x16_bf16 a[0:3], v[26:27], v[20:21], a[0:3]
	v_mov_b32_e32 v16, 0
	v_mov_b32_e32 v17, 0
	s_nop 4
	v_accvgpr_read_b32 v0, a0
	v_accvgpr_read_b32 v1, a1
	;; [unrolled: 1-line block ×4, first 2 shown]
	s_and_saveexec_b64 s[6:7], vcc
	s_cbranch_execz .LBB591_68
; %bb.67:
	v_lshlrev_b32_e32 v18, 8, v8
	v_mov_b32_e32 v19, 0
	v_lshl_add_u64 v[20:21], v[4:5], 0, v[18:19]
	global_load_ushort v17, v[20:21], off
	v_lshl_add_u64 v[18:19], v[6:7], 0, v[18:19]
	s_waitcnt vmcnt(0)
	v_lshlrev_b32_e32 v17, 16, v17
	v_sub_f32_e32 v0, v17, v0
	global_store_short_d16_hi v[18:19], v0, off
	v_mul_f32_e32 v0, v14, v0
	v_lshrrev_b32_e32 v17, 16, v0
.LBB591_68:
	s_or_b64 exec, exec, s[6:7]
	s_and_saveexec_b64 s[6:7], s[2:3]
	s_cbranch_execz .LBB591_70
; %bb.69:
	v_lshlrev_b32_e32 v18, 8, v12
	v_mov_b32_e32 v19, 0
	v_lshl_add_u64 v[20:21], v[4:5], 0, v[18:19]
	global_load_ushort v0, v[20:21], off
	v_lshl_add_u64 v[18:19], v[6:7], 0, v[18:19]
	s_waitcnt vmcnt(0)
	v_lshlrev_b32_e32 v0, 16, v0
	v_sub_f32_e32 v0, v0, v1
	global_store_short_d16_hi v[18:19], v0, off
	v_mul_f32_e32 v0, v9, v0
	v_lshrrev_b32_e32 v16, 16, v0
.LBB591_70:
	s_or_b64 exec, exec, s[6:7]
	v_mov_b32_e32 v0, 0
	v_mov_b32_e32 v1, 0
	s_and_saveexec_b64 s[2:3], s[0:1]
	s_cbranch_execz .LBB591_72
; %bb.71:
	v_lshlrev_b32_e32 v18, 8, v11
	v_mov_b32_e32 v19, 0
	v_lshl_add_u64 v[20:21], v[4:5], 0, v[18:19]
	global_load_ushort v1, v[20:21], off
	v_lshl_add_u64 v[18:19], v[6:7], 0, v[18:19]
	s_waitcnt vmcnt(0)
	v_lshlrev_b32_e32 v1, 16, v1
	v_sub_f32_e32 v1, v1, v2
	global_store_short_d16_hi v[18:19], v1, off
	v_mul_f32_e32 v1, v15, v1
	v_lshrrev_b32_e32 v1, 16, v1
.LBB591_72:
	s_or_b64 exec, exec, s[2:3]
	s_and_saveexec_b64 s[0:1], s[4:5]
	s_cbranch_execz .LBB591_74
; %bb.73:
	v_lshlrev_b32_e32 v12, 8, v13
	v_mov_b32_e32 v13, 0
	v_lshl_add_u64 v[4:5], v[4:5], 0, v[12:13]
	global_load_ushort v0, v[4:5], off
	v_lshl_add_u64 v[4:5], v[6:7], 0, v[12:13]
	s_waitcnt vmcnt(0)
	v_lshlrev_b32_e32 v0, 16, v0
	v_sub_f32_e32 v0, v0, v3
	global_store_short_d16_hi v[4:5], v0, off
	v_mul_f32_e32 v0, v10, v0
	v_lshrrev_b32_e32 v0, 16, v0
.LBB591_74:
	s_or_b64 exec, exec, s[0:1]
	s_mov_b32 s0, 0x5040100
	v_lshlrev_b32_e32 v2, 1, v34
	v_perm_b32 v1, v0, v1, s0
	v_perm_b32 v0, v16, v17, s0
	v_lshl_or_b32 v2, v8, 5, v2
	ds_write_b64 v2, v[0:1] offset:38912
	s_waitcnt lgkmcnt(0)
	s_barrier
.LBB591_75:
	s_endpgm
	.section	.rodata,"a",@progbits
	.p2align	6, 0x0
	.amdhsa_kernel _ZN12_GLOBAL__N_139chunk_gated_delta_rule_fwd_h_hip_kernelILi16ELb0ELb0ELb1ELb0ELb0ELb1ELb1ELb1EEEvPK12hip_bfloat16S3_S3_PKfS5_PKvPS1_S8_PvPKiSB_iiiiilll
		.amdhsa_group_segment_fixed_size 40960
		.amdhsa_private_segment_fixed_size 0
		.amdhsa_kernarg_size 136
		.amdhsa_user_sgpr_count 2
		.amdhsa_user_sgpr_dispatch_ptr 0
		.amdhsa_user_sgpr_queue_ptr 0
		.amdhsa_user_sgpr_kernarg_segment_ptr 1
		.amdhsa_user_sgpr_dispatch_id 0
		.amdhsa_user_sgpr_kernarg_preload_length 0
		.amdhsa_user_sgpr_kernarg_preload_offset 0
		.amdhsa_user_sgpr_private_segment_size 0
		.amdhsa_uses_dynamic_stack 0
		.amdhsa_enable_private_segment 0
		.amdhsa_system_sgpr_workgroup_id_x 1
		.amdhsa_system_sgpr_workgroup_id_y 1
		.amdhsa_system_sgpr_workgroup_id_z 0
		.amdhsa_system_sgpr_workgroup_info 0
		.amdhsa_system_vgpr_workitem_id 0
		.amdhsa_next_free_vgpr 128
		.amdhsa_next_free_sgpr 68
		.amdhsa_accum_offset 116
		.amdhsa_reserve_vcc 1
		.amdhsa_float_round_mode_32 0
		.amdhsa_float_round_mode_16_64 0
		.amdhsa_float_denorm_mode_32 3
		.amdhsa_float_denorm_mode_16_64 3
		.amdhsa_dx10_clamp 1
		.amdhsa_ieee_mode 1
		.amdhsa_fp16_overflow 0
		.amdhsa_tg_split 0
		.amdhsa_exception_fp_ieee_invalid_op 0
		.amdhsa_exception_fp_denorm_src 0
		.amdhsa_exception_fp_ieee_div_zero 0
		.amdhsa_exception_fp_ieee_overflow 0
		.amdhsa_exception_fp_ieee_underflow 0
		.amdhsa_exception_fp_ieee_inexact 0
		.amdhsa_exception_int_div_zero 0
	.end_amdhsa_kernel
	.section	.text._ZN12_GLOBAL__N_139chunk_gated_delta_rule_fwd_h_hip_kernelILi16ELb0ELb0ELb1ELb0ELb0ELb1ELb1ELb1EEEvPK12hip_bfloat16S3_S3_PKfS5_PKvPS1_S8_PvPKiSB_iiiiilll,"axG",@progbits,_ZN12_GLOBAL__N_139chunk_gated_delta_rule_fwd_h_hip_kernelILi16ELb0ELb0ELb1ELb0ELb0ELb1ELb1ELb1EEEvPK12hip_bfloat16S3_S3_PKfS5_PKvPS1_S8_PvPKiSB_iiiiilll,comdat
.Lfunc_end591:
	.size	_ZN12_GLOBAL__N_139chunk_gated_delta_rule_fwd_h_hip_kernelILi16ELb0ELb0ELb1ELb0ELb0ELb1ELb1ELb1EEEvPK12hip_bfloat16S3_S3_PKfS5_PKvPS1_S8_PvPKiSB_iiiiilll, .Lfunc_end591-_ZN12_GLOBAL__N_139chunk_gated_delta_rule_fwd_h_hip_kernelILi16ELb0ELb0ELb1ELb0ELb0ELb1ELb1ELb1EEEvPK12hip_bfloat16S3_S3_PKfS5_PKvPS1_S8_PvPKiSB_iiiiilll
                                        ; -- End function
	.section	.AMDGPU.csdata,"",@progbits
; Kernel info:
; codeLenInByte = 7608
; NumSgprs: 74
; NumVgprs: 116
; NumAgprs: 12
; TotalNumVgprs: 128
; ScratchSize: 0
; MemoryBound: 0
; FloatMode: 240
; IeeeMode: 1
; LDSByteSize: 40960 bytes/workgroup (compile time only)
; SGPRBlocks: 9
; VGPRBlocks: 15
; NumSGPRsForWavesPerEU: 74
; NumVGPRsForWavesPerEU: 128
; AccumOffset: 116
; Occupancy: 1
; WaveLimiterHint : 1
; COMPUTE_PGM_RSRC2:SCRATCH_EN: 0
; COMPUTE_PGM_RSRC2:USER_SGPR: 2
; COMPUTE_PGM_RSRC2:TRAP_HANDLER: 0
; COMPUTE_PGM_RSRC2:TGID_X_EN: 1
; COMPUTE_PGM_RSRC2:TGID_Y_EN: 1
; COMPUTE_PGM_RSRC2:TGID_Z_EN: 0
; COMPUTE_PGM_RSRC2:TIDIG_COMP_CNT: 0
; COMPUTE_PGM_RSRC3_GFX90A:ACCUM_OFFSET: 28
; COMPUTE_PGM_RSRC3_GFX90A:TG_SPLIT: 0
	.section	.text._ZN12_GLOBAL__N_139chunk_gated_delta_rule_fwd_h_hip_kernelILi16ELb0ELb0ELb0ELb0ELb0ELb1ELb1ELb1EEEvPK12hip_bfloat16S3_S3_PKfS5_PKvPS1_S8_PvPKiSB_iiiiilll,"axG",@progbits,_ZN12_GLOBAL__N_139chunk_gated_delta_rule_fwd_h_hip_kernelILi16ELb0ELb0ELb0ELb0ELb0ELb1ELb1ELb1EEEvPK12hip_bfloat16S3_S3_PKfS5_PKvPS1_S8_PvPKiSB_iiiiilll,comdat
	.globl	_ZN12_GLOBAL__N_139chunk_gated_delta_rule_fwd_h_hip_kernelILi16ELb0ELb0ELb0ELb0ELb0ELb1ELb1ELb1EEEvPK12hip_bfloat16S3_S3_PKfS5_PKvPS1_S8_PvPKiSB_iiiiilll ; -- Begin function _ZN12_GLOBAL__N_139chunk_gated_delta_rule_fwd_h_hip_kernelILi16ELb0ELb0ELb0ELb0ELb0ELb1ELb1ELb1EEEvPK12hip_bfloat16S3_S3_PKfS5_PKvPS1_S8_PvPKiSB_iiiiilll
	.p2align	8
	.type	_ZN12_GLOBAL__N_139chunk_gated_delta_rule_fwd_h_hip_kernelILi16ELb0ELb0ELb0ELb0ELb0ELb1ELb1ELb1EEEvPK12hip_bfloat16S3_S3_PKfS5_PKvPS1_S8_PvPKiSB_iiiiilll,@function
_ZN12_GLOBAL__N_139chunk_gated_delta_rule_fwd_h_hip_kernelILi16ELb0ELb0ELb0ELb0ELb0ELb1ELb1ELb1EEEvPK12hip_bfloat16S3_S3_PKfS5_PKvPS1_S8_PvPKiSB_iiiiilll: ; @_ZN12_GLOBAL__N_139chunk_gated_delta_rule_fwd_h_hip_kernelILi16ELb0ELb0ELb0ELb0ELb0ELb1ELb1ELb1EEEvPK12hip_bfloat16S3_S3_PKfS5_PKvPS1_S8_PvPKiSB_iiiiilll
; %bb.0:
	s_load_dwordx4 s[12:15], s[0:1], 0x5c
	s_load_dwordx2 s[36:37], s[0:1], 0x30
	s_abs_i32 s18, s3
	s_ashr_i32 s17, s3, 31
	s_load_dwordx8 s[4:11], s[0:1], 0x0
	s_waitcnt lgkmcnt(0)
	s_abs_i32 s16, s13
	v_cvt_f32_u32_e32 v1, s16
	s_sub_i32 s20, 0, s16
	s_ashr_i32 s19, s13, 31
	s_xor_b32 s17, s17, s19
	v_rcp_iflag_f32_e32 v1, v1
	v_lshrrev_b32_e32 v59, 6, v0
	v_bfe_u32 v60, v0, 4, 2
	v_lshlrev_b32_e32 v45, 4, v59
	v_mul_f32_e32 v1, 0x4f7ffffe, v1
	v_cvt_u32_f32_e32 v1, v1
	v_lshlrev_b32_e32 v2, 2, v60
	v_and_b32_e32 v58, 63, v0
	v_or_b32_e32 v63, v2, v45
	v_readfirstlane_b32 s21, v1
	s_mul_i32 s20, s20, s21
	s_mul_hi_u32 s20, s21, s20
	s_add_i32 s21, s21, s20
	s_mul_hi_u32 s20, s18, s21
	s_mul_i32 s21, s20, s16
	s_sub_i32 s18, s18, s21
	s_add_i32 s22, s20, 1
	s_sub_i32 s21, s18, s16
	s_cmp_ge_u32 s18, s16
	s_cselect_b32 s20, s22, s20
	s_cselect_b32 s18, s21, s18
	s_add_i32 s21, s20, 1
	s_cmp_ge_u32 s18, s16
	s_cselect_b32 s18, s21, s20
	s_abs_i32 s20, s14
	v_cvt_f32_u32_e32 v1, s20
	s_xor_b32 s18, s18, s17
	s_ashr_i32 s46, s12, 31
	s_sub_i32 s48, s18, s17
	v_rcp_iflag_f32_e32 v1, v1
	s_lshr_b32 s17, s46, 26
	s_add_i32 s17, s12, s17
	s_ashr_i32 s49, s14, 31
	v_mul_f32_e32 v1, 0x4f7ffffe, v1
	v_cvt_u32_f32_e32 v1, v1
	s_ashr_i32 s47, s17, 6
	s_xor_b32 s17, s19, s49
	s_sub_i32 s18, 0, s20
	v_readfirstlane_b32 s19, v1
	s_mul_i32 s18, s18, s19
	s_mul_hi_u32 s18, s19, s18
	s_add_i32 s19, s19, s18
	s_mul_hi_u32 s18, s16, s19
	s_mul_i32 s19, s18, s20
	s_mul_i32 s45, s48, s13
	s_sub_i32 s16, s16, s19
	s_sub_i32 s33, s3, s45
	s_add_i32 s3, s12, 63
	s_add_i32 s19, s18, 1
	s_sub_i32 s21, s16, s20
	s_cmp_ge_u32 s16, s20
	s_cselect_b32 s18, s19, s18
	s_cselect_b32 s16, s21, s16
	s_add_i32 s19, s18, 1
	s_cmp_ge_u32 s16, s20
	s_cselect_b32 s16, s19, s18
	s_xor_b32 s16, s16, s17
	s_sub_i32 s20, s16, s17
	s_abs_i32 s21, s20
	v_cvt_f32_u32_e32 v1, s21
	s_sub_i32 s23, 0, s21
	s_abs_i32 s22, s33
	s_xor_b32 s20, s33, s20
	v_rcp_iflag_f32_e32 v1, v1
	s_ashr_i32 s20, s20, 31
	s_load_dwordx2 s[28:29], s[0:1], 0x80
	s_load_dwordx4 s[16:19], s[0:1], 0x70
	v_mov_b32_e32 v49, 0
	v_mul_f32_e32 v1, 0x4f7ffffe, v1
	v_cvt_u32_f32_e32 v1, v1
	v_or_b32_e32 v64, 64, v63
	s_mul_hi_i32 s51, s48, s13
	v_lshrrev_b32_e32 v62, 3, v58
	v_readfirstlane_b32 s24, v1
	s_mul_i32 s23, s23, s24
	s_mul_hi_u32 s23, s24, s23
	s_add_i32 s24, s24, s23
	s_mul_hi_u32 s23, s22, s24
	s_mul_i32 s24, s23, s21
	s_sub_i32 s22, s22, s24
	s_add_i32 s24, s23, 1
	s_sub_i32 s25, s22, s21
	s_cmp_ge_u32 s22, s21
	s_cselect_b32 s23, s24, s23
	s_cselect_b32 s22, s25, s22
	s_add_i32 s24, s23, 1
	s_cmp_ge_u32 s22, s21
	s_cselect_b32 s21, s24, s23
	s_xor_b32 s21, s21, s20
	s_sub_i32 s52, s21, s20
	s_ashr_i32 s20, s3, 31
	s_lshr_b32 s20, s20, 26
	s_add_i32 s3, s3, s20
	s_ashr_i32 s3, s3, 6
	s_lshl_b32 s30, s2, 4
	s_mul_i32 s50, s48, s3
	v_and_b32_e32 v1, 15, v0
	s_cmp_lt_i32 s12, 64
	v_lshlrev_b32_e32 v61, 3, v0
	s_waitcnt lgkmcnt(0)
	s_mul_i32 s17, s48, s17
	s_mul_hi_u32 s44, s48, s16
	s_mul_i32 s34, s48, s16
	v_mov_b32_e32 v48, v49
	v_mov_b32_e32 v51, v49
	;; [unrolled: 1-line block ×7, first 2 shown]
	s_cbranch_scc1 .LBB592_18
; %bb.1:
	s_ashr_i32 s24, s48, 31
	s_ashr_i32 s54, s33, 31
	s_add_u32 s2, s45, s33
	s_addc_u32 s3, s51, s54
	s_mul_i32 s3, s12, s3
	s_mul_hi_u32 s20, s12, s2
	s_add_i32 s39, s20, s3
	s_mul_i32 s38, s12, s2
	s_lshl_b64 s[2:3], s[38:39], 8
	v_and_b32_e32 v66, 56, v61
	s_add_u32 s20, s6, s2
	v_lshl_or_b32 v65, v59, 3, v62
	v_lshlrev_b32_e32 v3, 1, v66
	s_addc_u32 s2, s7, s3
	v_lshl_or_b32 v67, v65, 8, v3
	s_and_b32 s21, s2, 0xffff
	s_mov_b32 s23, 0x20000
	s_movk_i32 s22, 0x4000
	s_movk_i32 s2, 0x80
	v_or_b32_e32 v68, 0x2000, v67
	buffer_load_dwordx4 v[4:7], v67, s[20:23], 0 offen
	buffer_load_dwordx4 v[8:11], v67, s[20:23], s2 offen
	;; [unrolled: 1-line block ×4, first 2 shown]
	v_lshlrev_b32_e32 v20, 3, v65
	v_and_or_b32 v22, v0, 7, v20
	v_and_b32_e32 v20, 0x78, v20
	v_lshlrev_b32_e32 v22, 4, v22
	v_xor_b32_e32 v69, v22, v20
	v_mul_lo_u32 v21, v65, s15
	v_or_b32_e32 v70, 0x1000, v69
	s_cmpk_eq_i32 s15, 0x80
	s_mov_b32 s53, s14
	v_xor_b32_e32 v20, 8, v69
	v_xor_b32_e32 v22, 8, v70
	s_cselect_b64 s[2:3], -1, 0
	s_cmpk_lg_i32 s15, 0x80
	s_waitcnt vmcnt(3)
	ds_write_b64 v69, v[4:5] offset:16384
	ds_write_b64 v20, v[6:7] offset:16384
	s_waitcnt vmcnt(2)
	ds_write_b64 v69, v[8:9] offset:24576
	ds_write_b64 v20, v[10:11] offset:24576
	;; [unrolled: 3-line block ×4, first 2 shown]
	v_lshl_add_u32 v4, v21, 1, v66
	s_cbranch_scc0 .LBB592_3
; %bb.2:
	v_lshlrev_b32_e32 v6, 1, v4
	v_add_lshl_u32 v5, v4, s15, 1
	s_lshl_b32 s22, s15, 7
	s_load_dwordx2 s[40:41], s[0:1], 0x20
	v_lshl_or_b32 v3, v65, 9, v3
	s_cbranch_execz .LBB592_4
	s_branch .LBB592_5
.LBB592_3:
                                        ; implicit-def: $vgpr5
                                        ; implicit-def: $vgpr6
                                        ; implicit-def: $sgpr22
	s_load_dwordx2 s[40:41], s[0:1], 0x20
	v_lshl_or_b32 v3, v65, 9, v3
.LBB592_4:
	v_or_b32_e32 v5, 0x100, v3
	s_movk_i32 s22, 0x4000
	v_mov_b32_e32 v6, v3
.LBB592_5:
	s_mul_hi_u32 s0, s14, s12
	s_mul_i32 s1, s49, s12
	s_add_i32 s0, s0, s1
	s_mul_i32 s1, s14, s12
	s_mul_i32 s20, s1, s24
	s_mul_hi_u32 s21, s1, s48
	s_add_i32 s20, s21, s20
	s_mul_i32 s0, s0, s48
	s_add_i32 s20, s20, s0
	s_mul_i32 s1, s1, s48
	s_ashr_i32 s55, s52, 31
	s_add_u32 s0, s1, s52
	s_addc_u32 s1, s20, s55
	s_lshl_b64 s[0:1], s[0:1], 8
	s_add_u32 s20, s4, s0
	s_addc_u32 s0, s5, s1
	s_and_b32 s21, s0, 0xffff
	s_movk_i32 s56, 0x80
	buffer_load_dwordx4 v[8:11], v6, s[20:23], 0 offen
	buffer_load_dwordx4 v[12:15], v6, s[20:23], s56 offen
	;; [unrolled: 1-line block ×4, first 2 shown]
	v_and_b32_e32 v5, 6, v0
	s_mul_i32 s0, s24, s12
	s_mul_hi_u32 s1, s48, s12
	v_lshlrev_b32_e32 v7, 2, v1
	v_lshlrev_b32_e32 v24, 3, v1
	v_xor_b32_e32 v26, v65, v5
	v_and_b32_e32 v6, 1, v0
	s_mul_i32 s24, s24, s16
	v_lshl_or_b32 v24, v63, 5, v24
	v_xor_b32_e32 v27, v63, v7
	v_lshlrev_b32_e32 v26, 2, v26
	s_add_i32 s61, s1, s0
	s_add_i32 s0, s44, s17
	v_or_b32_e32 v71, 0x9000, v24
	v_or_b32_e32 v72, 0x9800, v24
	v_lshlrev_b32_e32 v24, 1, v27
	v_xor_b32_e32 v27, 0x440, v26
	v_cmp_eq_u32_e32 vcc, 0, v6
	s_add_i32 s35, s0, s24
	s_mul_i32 s0, s33, s19
	s_mul_hi_u32 s1, s33, s18
	v_cndmask_b32_e32 v6, v27, v26, vcc
	s_add_i32 s0, s1, s0
	s_mul_i32 s1, s54, s18
	s_mov_b32 s59, 0x1000504
	v_lshlrev_b32_e32 v25, 8, v1
	s_mov_b32 s22, 0x8000
	v_xor_b32_e32 v7, v64, v7
	v_lshl_or_b32 v5, v5, 10, v6
	s_add_i32 s1, s0, s1
	s_lshl_b64 s[20:21], s[34:35], 2
	s_mov_b32 s60, 0x3020706
	v_lshlrev_b32_e32 v7, 1, v7
	v_or3_b32 v73, v24, v25, s22
	v_xor_b32_e32 v6, 8, v5
	v_xor_b32_e32 v24, 24, v5
	;; [unrolled: 1-line block ×4, first 2 shown]
	s_mul_i32 s0, s33, s18
	s_add_u32 s20, s10, s20
	v_or3_b32 v74, v7, v25, s22
	v_xor_b32_e32 v7, 16, v5
	v_xor_b32_e32 v25, 32, v5
	;; [unrolled: 1-line block ×3, first 2 shown]
	v_add_u32_e32 v6, 0x80, v6
	v_add_u32_e32 v24, 0x80, v24
	v_add_u32_e32 v26, 0x80, v26
	v_add_u32_e32 v28, 0x80, v28
	s_addc_u32 s21, s11, s21
	s_lshl_b64 s[0:1], s[0:1], 2
	s_add_u32 s42, s20, s0
	s_movk_i32 s0, 0xf8
	s_addc_u32 s43, s21, s1
	s_ashr_i32 s31, s30, 31
	s_lshl_b32 s26, s15, 7
	v_mov_b32_e32 v47, 0
	s_mul_i32 s57, s48, s12
	s_mov_b32 s58, 0
	v_add_u32_e32 v85, v45, v2
	s_mov_b32 s35, 0x7060302
	v_mov_b32_e32 v96, 0x3fb8aa3b
	s_mov_b32 s63, 0
	v_mov_b32_e32 v52, v47
	v_mov_b32_e32 v53, v47
	;; [unrolled: 1-line block ×6, first 2 shown]
	s_waitcnt vmcnt(1)
	v_perm_b32 v29, v8, v16, s59
	s_waitcnt vmcnt(0)
	v_perm_b32 v30, v12, v20, s59
	v_perm_b32 v8, v8, v16, s60
	;; [unrolled: 1-line block ×15, first 2 shown]
	ds_write2st64_b32 v5, v29, v30 offset1:32
	ds_write2st64_b32 v6, v8, v12 offset1:32
	ds_write2st64_b32 v7, v16, v20 offset0:1 offset1:33
	ds_write2st64_b32 v24, v9, v13 offset0:1 offset1:33
	;; [unrolled: 1-line block ×6, first 2 shown]
	v_or_b32_e32 v5, v45, v1
	v_lshlrev_b32_e32 v5, 3, v5
	v_lshrrev_b32_e32 v7, 5, v58
	v_and_or_b32 v7, v5, s0, v7
	v_lshlrev_b32_e32 v7, 4, v7
	v_lshrrev_b32_e32 v6, 2, v58
	v_lshlrev_b32_e32 v9, 11, v59
	v_and_b32_e32 v5, 0x78, v5
	v_or_b32_e32 v12, 32, v7
	v_and_b32_e32 v8, 12, v6
	v_and_b32_e32 v6, 0x1000, v9
	v_lshrrev_b32_e32 v11, 1, v58
	v_xor_b32_e32 v12, v12, v5
	v_and_b32_e32 v11, 8, v11
	v_or_b32_e32 v12, v12, v6
	v_xor_b32_e32 v10, v7, v5
	v_xor_b32_e32 v77, v12, v11
	v_or_b32_e32 v12, 64, v7
	v_or_b32_e32 v7, 0x60, v7
	;; [unrolled: 1-line block ×3, first 2 shown]
	v_xor_b32_e32 v12, v12, v5
	v_xor_b32_e32 v5, v7, v5
	;; [unrolled: 1-line block ×3, first 2 shown]
	v_and_b32_e32 v10, 0x78, v61
	v_or_b32_e32 v5, v5, v6
	v_lshl_or_b32 v10, v60, 7, v10
	v_or_b32_e32 v12, v12, v6
	v_xor_b32_e32 v79, v5, v11
	v_lshlrev_b32_e32 v5, 1, v1
	v_or_b32_e32 v76, 0x9000, v10
	v_xor_b32_e32 v78, v12, v11
	v_or_b32_e32 v80, 0x9800, v10
	v_lshlrev_b32_e32 v10, 1, v4
	v_add_lshl_u32 v11, v4, s15, 1
	v_lshrrev_b32_e32 v4, 4, v0
	s_lshl_b64 s[0:1], s[30:31], 8
	v_or_b32_e32 v13, 1, v5
	s_add_u32 s0, s36, s0
	v_xor_b32_e32 v5, v4, v5
	v_xor_b32_e32 v13, v13, v4
	s_addc_u32 s1, s37, s1
	v_lshlrev_b32_e32 v5, 3, v5
	v_lshlrev_b32_e32 v46, 8, v4
	;; [unrolled: 1-line block ×3, first 2 shown]
	v_lshrrev_b32_e32 v17, 1, v0
	v_or3_b32 v81, v5, v46, s22
	v_or3_b32 v82, v4, v46, s22
	v_lshl_add_u64 v[4:5], s[0:1], 0, v[46:47]
	v_lshlrev_b32_e32 v46, 4, v1
	s_movk_i32 s0, 0xff
	v_lshlrev_b32_e32 v16, 3, v59
	v_and_b32_e32 v17, 24, v17
	v_lshl_add_u64 v[54:55], v[4:5], 0, v[46:47]
	v_and_b32_e32 v5, 8, v0
	v_cmp_lt_u32_e32 vcc, s0, v0
	v_xor_b32_e32 v18, v16, v17
	v_or_b32_e32 v19, 0x440, v18
	v_cndmask_b32_e64 v15, 0, 1, vcc
	v_cmp_eq_u32_e32 vcc, 0, v5
	v_or_b32_e32 v21, 64, v17
	v_xor_b32_e32 v21, v16, v21
	v_cndmask_b32_e32 v5, v19, v18, vcc
	v_or_b32_e32 v19, 32, v17
	v_or_b32_e32 v17, 0x60, v17
	v_xor_b32_e32 v19, v16, v19
	v_xor_b32_e32 v16, v16, v17
	v_or_b32_e32 v20, 0x440, v19
	v_xor_b32_e32 v22, 0x440, v21
	v_xor_b32_e32 v17, 0x440, v16
	v_and_b32_e32 v4, 7, v0
	v_cndmask_b32_e32 v19, v20, v19, vcc
	v_cndmask_b32_e32 v21, v22, v21, vcc
	;; [unrolled: 1-line block ×3, first 2 shown]
	v_or_b32_e32 v6, s30, v1
	v_lshlrev_b32_e32 v13, 3, v4
	v_or_b32_e32 v5, v5, v9
	v_or_b32_e32 v19, v19, v9
	;; [unrolled: 1-line block ×4, first 2 shown]
	v_ashrrev_i32_e32 v7, 31, v6
	v_lshlrev_b32_e32 v15, 13, v15
	v_xor_b32_e32 v5, v5, v13
	v_xor_b32_e32 v19, v19, v13
	;; [unrolled: 1-line block ×4, first 2 shown]
	v_lshl_add_u64 v[6:7], v[6:7], 1, s[8:9]
	v_or_b32_e32 v12, 0x100, v3
	v_lshlrev_b32_e32 v14, 7, v4
	v_or_b32_e32 v4, v8, v45
	v_add_u32_e32 v18, v15, v5
	v_add_u32_e32 v20, v15, v19
	;; [unrolled: 1-line block ×4, first 2 shown]
	v_or3_b32 v8, v45, v8, 64
	v_add_u32_e32 v5, 0x2000, v5
	v_add_u32_e32 v15, 0x2000, v19
	;; [unrolled: 1-line block ×4, first 2 shown]
	v_lshlrev_b32_e32 v46, 8, v63
	v_cndmask_b32_e64 v83, v10, v3, s[2:3]
	v_cndmask_b32_e64 v84, v11, v12, s[2:3]
	v_lshl_add_u64 v[56:57], v[6:7], 0, v[46:47]
	s_add_i32 s31, s57, 63
	s_movk_i32 s22, 0x4000
	v_lshlrev_b32_e32 v86, 2, v4
	v_add_u32_e32 v87, v18, v14
	v_add_u32_e32 v88, v20, v14
	;; [unrolled: 1-line block ×4, first 2 shown]
	v_lshlrev_b32_e32 v91, 2, v8
	v_add_u32_e32 v92, v5, v14
	v_add_u32_e32 v93, v15, v14
	;; [unrolled: 1-line block ×4, first 2 shown]
	v_mov_b32_e32 v46, v47
	s_waitcnt lgkmcnt(0)
	s_barrier
.LBB592_6:                              ; =>This Inner Loop Header: Depth=1
	s_add_i32 s62, s63, 1
	s_cmp_lt_i32 s62, s47
	s_mov_b64 s[24:25], 0
	s_cselect_b64 s[2:3], -1, 0
	s_cmp_ge_i32 s62, s47
	s_mov_b64 s[20:21], 0
	s_cbranch_scc1 .LBB592_8
; %bb.7:                                ;   in Loop: Header=BB592_6 Depth=1
	s_add_i32 s0, s58, 64
	s_add_u32 s0, s38, s0
	s_addc_u32 s1, s39, 0
	s_lshl_b64 s[0:1], s[0:1], 8
	s_add_u32 s20, s6, s0
	s_addc_u32 s21, s7, s1
.LBB592_8:                              ;   in Loop: Header=BB592_6 Depth=1
	v_cndmask_b32_e64 v2, 0, 1, s[2:3]
	v_cmp_ne_u32_e64 s[0:1], 1, v2
	s_andn2_b64 vcc, exec, s[2:3]
	s_cbranch_vccnz .LBB592_10
; %bb.9:                                ;   in Loop: Header=BB592_6 Depth=1
	s_add_i32 s2, s58, 64
	s_add_u32 s2, s57, s2
	s_addc_u32 s3, s61, 0
	s_mul_i32 s24, s2, s49
	s_mul_hi_u32 s25, s2, s53
	s_add_i32 s24, s25, s24
	s_mul_i32 s3, s3, s53
	s_add_i32 s24, s24, s3
	s_mul_i32 s2, s2, s53
	s_add_u32 s2, s2, s52
	s_addc_u32 s3, s24, s55
	s_lshl_b64 s[2:3], s[2:3], 8
	s_add_u32 s24, s4, s2
	s_addc_u32 s25, s5, s3
.LBB592_10:                             ;   in Loop: Header=BB592_6 Depth=1
	v_perm_b32 v3, v53, v52, s35
	v_perm_b32 v2, v47, v46, s35
	;; [unrolled: 1-line block ×4, first 2 shown]
	ds_write_b64 v71, v[2:3]
	ds_write_b64 v72, v[4:5]
	;; [unrolled: 1-line block ×4, first 2 shown]
	s_waitcnt lgkmcnt(0)
	s_barrier
	ds_read_b64 v[10:11], v75 offset:16384
	ds_read_b64 v[12:13], v77 offset:16384
	ds_read2st64_b64 v[2:5], v76 offset1:1
	ds_read2st64_b64 v[6:9], v76 offset0:2 offset1:3
	ds_read_b64 v[14:15], v78 offset:16384
	s_waitcnt lgkmcnt(2)
	v_mfma_f32_16x16x16_bf16 a[0:3], v[10:11], v[2:3], 0
	ds_read_b64 v[2:3], v79 offset:16384
	s_add_i32 s2, s58, 63
	s_mul_i32 s3, s2, s29
	v_mfma_f32_16x16x16_bf16 a[0:3], v[12:13], v[4:5], a[0:3]
	s_mul_hi_u32 s27, s2, s28
	s_add_i32 s3, s27, s3
	s_mul_i32 s2, s2, s28
	s_waitcnt lgkmcnt(1)
	v_mfma_f32_16x16x16_bf16 a[0:3], v[14:15], v[6:7], a[0:3]
	s_lshl_b64 s[2:3], s[2:3], 2
	s_add_u32 s2, s42, s2
	s_addc_u32 s3, s43, s3
	s_waitcnt lgkmcnt(0)
	v_mfma_f32_16x16x16_bf16 a[0:3], v[2:3], v[8:9], a[0:3]
	s_and_b64 vcc, exec, s[0:1]
	v_mov_b32_e32 v99, 0
	v_mov_b32_e32 v98, 0
	;; [unrolled: 1-line block ×19, first 2 shown]
	s_cbranch_vccnz .LBB592_12
; %bb.11:                               ;   in Loop: Header=BB592_6 Depth=1
	s_and_b32 s21, s21, 0xffff
	buffer_load_dwordx4 v[14:17], v67, s[20:23], 0 offen
	buffer_load_dwordx4 v[10:13], v67, s[20:23], s56 offen
	;; [unrolled: 1-line block ×4, first 2 shown]
	v_mov_b32_e32 v98, v69
	v_mov_b32_e32 v97, v70
.LBB592_12:                             ;   in Loop: Header=BB592_6 Depth=1
	v_add_u32_e32 v24, s58, v85
	v_ashrrev_i32_e32 v18, 31, v24
	v_mul_lo_u32 v20, v18, s28
	v_mul_lo_u32 v21, v24, s29
	v_mad_u64_u32 v[18:19], s[20:21], v24, s28, 0
	v_add3_u32 v19, v19, v21, v20
	v_add_u32_e32 v20, 1, v24
	v_ashrrev_i32_e32 v21, 31, v20
	v_mul_lo_u32 v22, v21, s28
	v_mul_lo_u32 v23, v20, s29
	v_mad_u64_u32 v[20:21], s[20:21], v20, s28, 0
	v_add3_u32 v21, v21, v23, v22
	v_add_u32_e32 v22, 2, v24
	v_ashrrev_i32_e32 v23, 31, v22
	v_mul_lo_u32 v25, v23, s28
	v_mul_lo_u32 v26, v22, s29
	v_mad_u64_u32 v[22:23], s[20:21], v22, s28, 0
	v_add_u32_e32 v24, 3, v24
	v_add3_u32 v23, v23, v26, v25
	v_ashrrev_i32_e32 v25, 31, v24
	v_mul_lo_u32 v28, v25, s28
	v_mul_lo_u32 v29, v24, s29
	v_mad_u64_u32 v[24:25], s[20:21], v24, s28, 0
	s_add_u32 s20, s38, s58
	s_addc_u32 s21, s39, 0
	s_lshl_b64 s[20:21], s[20:21], 8
	v_lshl_add_u64 v[18:19], v[18:19], 2, s[42:43]
	v_lshl_add_u64 v[20:21], v[20:21], 2, s[42:43]
	;; [unrolled: 1-line block ×3, first 2 shown]
	v_add3_u32 v25, v25, v29, v28
	v_lshl_add_u64 v[22:23], v[22:23], 2, s[42:43]
	global_load_ushort v38, v[26:27], off
	global_load_ushort v39, v[26:27], off offset:256
	global_load_ushort v40, v[26:27], off offset:512
	;; [unrolled: 1-line block ×3, first 2 shown]
	global_load_dword v42, v[18:19], off
	v_lshl_add_u64 v[18:19], v[24:25], 2, s[42:43]
	global_load_dword v43, v[20:21], off
	global_load_dword v44, v[22:23], off
	;; [unrolled: 1-line block ×3, first 2 shown]
	s_load_dword s2, s[2:3], 0x0
	ds_read2st64_b64 v[24:27], v80 offset1:1
	ds_read2st64_b64 v[28:31], v80 offset0:2 offset1:3
	ds_read_b64 v[22:23], v75 offset:24576
	ds_read_b64 v[32:33], v77 offset:24576
	;; [unrolled: 1-line block ×4, first 2 shown]
	s_waitcnt lgkmcnt(0)
	v_mfma_f32_16x16x16_bf16 a[0:3], v[22:23], v[24:25], a[0:3]
	v_mov_b32_e32 v100, 0
	v_mov_b32_e32 v18, 0
	v_mov_b32_e32 v19, 0
	v_mfma_f32_16x16x16_bf16 a[0:3], v[32:33], v[26:27], a[0:3]
	v_mov_b32_e32 v20, 0
	v_mov_b32_e32 v21, 0
	v_mov_b32_e32 v22, 0
	;; [unrolled: 4-line block ×4, first 2 shown]
	v_mov_b32_e32 v29, 0
	s_and_b64 vcc, exec, s[0:1]
	s_waitcnt vmcnt(7)
	v_lshlrev_b32_e32 v34, 16, v38
	s_waitcnt vmcnt(6)
	v_lshlrev_b32_e32 v35, 16, v39
	;; [unrolled: 2-line block ×4, first 2 shown]
	s_waitcnt vmcnt(3)
	v_sub_f32_e32 v38, s2, v42
	s_waitcnt vmcnt(2)
	v_sub_f32_e32 v39, s2, v43
	;; [unrolled: 2-line block ×4, first 2 shown]
	v_mul_f32_e32 v38, 0x3fb8aa3b, v38
	v_mul_f32_e32 v39, 0x3fb8aa3b, v39
	;; [unrolled: 1-line block ×4, first 2 shown]
	v_exp_f32_e32 v38, v38
	v_exp_f32_e32 v39, v39
	;; [unrolled: 1-line block ×4, first 2 shown]
	v_accvgpr_read_b32 v33, a1
	v_accvgpr_read_b32 v31, a3
	;; [unrolled: 1-line block ×4, first 2 shown]
	v_pk_add_f32 v[32:33], v[34:35], v[32:33] neg_lo:[0,1] neg_hi:[0,1]
	v_pk_add_f32 v[30:31], v[36:37], v[30:31] neg_lo:[0,1] neg_hi:[0,1]
	v_pk_mul_f32 v[32:33], v[38:39], v[32:33]
	v_pk_mul_f32 v[30:31], v[40:41], v[30:31]
	s_nop 0
	v_perm_b32 v31, v31, v30, s35
	v_perm_b32 v30, v33, v32, s35
	ds_write_b64 v72, v[30:31]
	v_mov_b32_e32 v30, 0
	v_mov_b32_e32 v31, 0
	;; [unrolled: 1-line block ×4, first 2 shown]
	s_cbranch_vccnz .LBB592_14
; %bb.13:                               ;   in Loop: Header=BB592_6 Depth=1
	s_and_b32 s25, s25, 0xffff
	s_mov_b32 s27, s23
	buffer_load_dwordx4 v[30:33], v83, s[24:27], 0 offen
	buffer_load_dwordx4 v[22:25], v83, s[24:27], s56 offen
	;; [unrolled: 1-line block ×4, first 2 shown]
	v_mov_b32_e32 v99, v66
	v_mov_b32_e32 v100, v65
.LBB592_14:                             ;   in Loop: Header=BB592_6 Depth=1
	s_waitcnt lgkmcnt(0)
	s_barrier
	ds_read_b64 v[34:35], v87
	ds_read_b64 v[40:41], v88
	ds_read2st64_b64 v[36:39], v80 offset1:1
	ds_read2st64_b64 v[102:105], v80 offset0:2 offset1:3
	ds_read_b64 v[42:43], v89
	ds_read_b64 v[110:111], v90
	s_add_i32 s3, s50, s63
	s_mul_hi_i32 s21, s3, s13
	s_mul_i32 s3, s3, s13
	s_waitcnt lgkmcnt(3)
	v_mfma_f32_16x16x16_bf16 a[0:3], v[34:35], v[36:37], 0
	ds_read_b64 v[34:35], v92
	s_add_u32 s20, s3, s33
	s_addc_u32 s21, s21, s54
	s_add_i32 s3, s31, s58
	v_mfma_f32_16x16x16_bf16 a[0:3], v[40:41], v[38:39], a[0:3]
	ds_read_b64 v[40:41], v93
	s_lshl_b64 s[20:21], s[20:21], 15
	s_mul_hi_i32 s25, s3, s13
	s_mul_i32 s3, s3, s13
	s_add_u32 s24, s3, s33
	s_addc_u32 s25, s25, s54
	s_lshl_b64 s[24:25], s[24:25], 9
	s_add_u32 s24, s40, s24
	s_waitcnt lgkmcnt(1)
	v_mfma_f32_16x16x16_bf16 a[4:7], v[34:35], v[36:37], 0
	s_addc_u32 s25, s41, s25
	s_and_b64 vcc, exec, s[0:1]
	v_mfma_f32_16x16x16_bf16 a[0:3], v[42:43], v[102:103], a[0:3]
	ds_read_b64 v[42:43], v94
	ds_read_b64 v[112:113], v95
	global_load_dwordx4 v[34:37], v91, s[24:25]
	s_waitcnt lgkmcnt(2)
	v_mfma_f32_16x16x16_bf16 a[4:7], v[40:41], v[38:39], a[4:7]
	global_load_dwordx4 v[38:41], v86, s[24:25]
	ds_read_b64 v[106:107], v81
	ds_read_b64 v[108:109], v82
	s_waitcnt lgkmcnt(3)
	v_mfma_f32_16x16x16_bf16 a[8:11], v[42:43], v[102:103], a[4:7]
	v_lshl_add_u64 v[42:43], v[54:55], 0, s[20:21]
	s_waitcnt lgkmcnt(0)
	global_store_dwordx4 v[42:43], v[106:109], off
	v_mfma_f32_16x16x16_bf16 a[4:7], v[110:111], v[104:105], a[0:3]
	s_waitcnt vmcnt(2)
	v_mov_b32_e32 v44, v37
	v_mfma_f32_16x16x16_bf16 a[0:3], v[112:113], v[104:105], a[8:11]
	v_mov_b32_e32 v43, v36
	v_mov_b32_e32 v42, v35
	s_cbranch_vccnz .LBB592_16
; %bb.15:                               ;   in Loop: Header=BB592_6 Depth=1
	v_lshrrev_b32_e32 v35, 3, v99
	v_and_b32_e32 v35, 6, v35
	v_xor_b32_e32 v36, v35, v100
	v_lshlrev_b32_e32 v36, 2, v36
	v_and_b32_e32 v37, 8, v99
	v_xor_b32_e32 v99, 0x440, v36
	v_cmp_eq_u32_e32 vcc, 0, v37
	v_perm_b32 v37, v22, v18, s59
	s_nop 0
	v_cndmask_b32_e32 v36, v99, v36, vcc
	v_lshl_or_b32 v35, v35, 10, v36
	v_perm_b32 v36, v30, v26, s59
	s_barrier
	ds_write2st64_b32 v35, v36, v37 offset1:32
	v_xor_b32_e32 v36, 8, v35
	v_perm_b32 v26, v30, v26, s60
	v_perm_b32 v18, v22, v18, s60
	v_add_u32_e32 v22, 0x80, v36
	ds_write2st64_b32 v22, v26, v18 offset1:32
	v_xor_b32_e32 v18, 16, v35
	v_perm_b32 v22, v31, v27, s59
	v_perm_b32 v26, v23, v19, s59
	ds_write2st64_b32 v18, v22, v26 offset0:1 offset1:33
	v_xor_b32_e32 v18, 24, v35
	v_perm_b32 v22, v31, v27, s60
	v_perm_b32 v19, v23, v19, s60
	v_add_u32_e32 v18, 0x80, v18
	ds_write2st64_b32 v18, v22, v19 offset0:1 offset1:33
	v_xor_b32_e32 v18, 32, v35
	v_perm_b32 v19, v32, v28, s59
	v_perm_b32 v22, v24, v20, s59
	ds_write2st64_b32 v18, v19, v22 offset0:2 offset1:34
	v_xor_b32_e32 v18, 40, v35
	v_perm_b32 v19, v32, v28, s60
	v_perm_b32 v20, v24, v20, s60
	v_add_u32_e32 v18, 0x80, v18
	ds_write2st64_b32 v18, v19, v20 offset0:2 offset1:34
	;; [unrolled: 9-line block ×3, first 2 shown]
	ds_write_b64 v98, v[14:15] offset:16384
	v_xor_b32_e32 v14, 8, v98
	ds_write_b64 v14, v[16:17] offset:16384
	ds_write_b64 v98, v[10:11] offset:24576
	;; [unrolled: 1-line block ×4, first 2 shown]
	v_xor_b32_e32 v6, 8, v97
	ds_write_b64 v6, v[8:9] offset:16384
	ds_write_b64 v97, v[2:3] offset:24576
	;; [unrolled: 1-line block ×3, first 2 shown]
.LBB592_16:                             ;   in Loop: Header=BB592_6 Depth=1
	v_mul_f32_e32 v6, s2, v96
	v_exp_f32_e32 v10, v6
	s_waitcnt vmcnt(1)
	v_mul_f32_e32 v6, 0x3fb8aa3b, v38
	v_exp_f32_e32 v12, v6
	v_mul_f32_e32 v6, 0x3fb8aa3b, v39
	v_exp_f32_e32 v13, v6
	;; [unrolled: 2-line block ×4, first 2 shown]
	v_accvgpr_read_b32 v2, a4
	v_accvgpr_read_b32 v3, a5
	v_pk_mul_f32 v[12:13], v[10:11], v[12:13] op_sel_hi:[0,1]
	v_pk_fma_f32 v[46:47], v[46:47], v[12:13], v[2:3]
	v_pk_mul_f32 v[2:3], v[10:11], v[14:15] op_sel_hi:[0,1]
	v_mul_f32_e32 v11, 0x3fb8aa3b, v34
	v_exp_f32_e32 v12, v11
	v_mul_f32_e32 v11, 0x3fb8aa3b, v42
	v_exp_f32_e32 v13, v11
	;; [unrolled: 2-line block ×4, first 2 shown]
	v_accvgpr_read_b32 v4, a6
	v_accvgpr_read_b32 v5, a7
	;; [unrolled: 1-line block ×5, first 2 shown]
	v_pk_fma_f32 v[52:53], v[52:53], v[2:3], v[4:5]
	v_pk_mul_f32 v[2:3], v[10:11], v[12:13] op_sel_hi:[0,1]
	v_accvgpr_read_b32 v8, a2
	v_pk_fma_f32 v[50:51], v[50:51], v[2:3], v[6:7]
	v_pk_mul_f32 v[2:3], v[10:11], v[14:15] op_sel_hi:[0,1]
	s_add_i32 s58, s58, 64
	s_cmp_eq_u32 s47, s62
	v_pk_fma_f32 v[48:49], v[48:49], v[2:3], v[8:9]
	s_cbranch_scc1 .LBB592_18
; %bb.17:                               ;   in Loop: Header=BB592_6 Depth=1
	s_mov_b32 s63, s62
	s_branch .LBB592_6
.LBB592_18:
	s_lshl_b32 s40, s47, 6
	s_sub_i32 s41, s12, s40
	s_cmp_gt_i32 s41, 0
	s_cbranch_scc0 .LBB592_75
; %bb.19:
	s_ashr_i32 s35, s48, 31
	s_ashr_i32 s2, s40, 31
	s_cmpk_lg_i32 s15, 0x80
	s_cselect_b64 s[26:27], -1, 0
	s_and_b64 vcc, exec, s[26:27]
	s_cbranch_vccz .LBB592_21
; %bb.20:
	s_mul_i32 s1, s48, s12
	s_mul_hi_i32 s0, s48, s12
	s_add_u32 s1, s1, s40
	s_addc_u32 s0, s0, s2
	s_mul_i32 s3, s1, s49
	s_mul_hi_u32 s20, s1, s14
	s_add_i32 s3, s20, s3
	s_mul_i32 s0, s0, s14
	s_add_i32 s3, s3, s0
	s_mul_i32 s1, s1, s14
	s_ashr_i32 s0, s52, 31
	s_add_u32 s38, s1, s52
	s_addc_u32 s39, s3, s0
	s_cbranch_execz .LBB592_22
	s_branch .LBB592_23
.LBB592_21:
                                        ; implicit-def: $sgpr38_sgpr39
.LBB592_22:
	s_mul_hi_i32 s0, s48, s14
	s_mul_i32 s48, s48, s14
	s_ashr_i32 s1, s52, 31
	s_add_u32 s3, s48, s52
	s_addc_u32 s0, s0, s1
	s_mul_i32 s1, s3, s46
	s_mul_hi_u32 s14, s3, s12
	s_add_i32 s1, s14, s1
	s_mul_i32 s0, s0, s12
	s_add_i32 s1, s1, s0
	s_mul_i32 s3, s3, s12
	s_add_u32 s38, s3, s40
	s_addc_u32 s39, s1, s2
.LBB592_23:
	s_add_i32 s3, s50, s47
	s_ashr_i32 s14, s33, 31
	s_add_u32 s0, s45, s33
	s_addc_u32 s1, s51, s14
	s_mul_i32 s20, s0, s46
	s_mul_hi_u32 s21, s0, s12
	s_add_i32 s20, s21, s20
	s_mul_i32 s1, s1, s12
	s_add_i32 s20, s20, s1
	s_mul_i32 s0, s0, s12
	s_add_u32 s0, s0, s40
	s_addc_u32 s1, s20, s2
	s_mov_b32 s2, 0x7060302
	v_lshlrev_b32_e32 v6, 3, v1
	s_lshl_b64 s[24:25], s[0:1], 8
	v_perm_b32 v3, v53, v52, s2
	v_perm_b32 v2, v47, v46, s2
	;; [unrolled: 1-line block ×4, first 2 shown]
	v_lshlrev_b32_e32 v34, 2, v1
	v_lshl_or_b32 v6, v63, 5, v6
	s_add_u32 s0, s6, s24
	ds_write2st64_b64 v6, v[2:3], v[4:5] offset0:72 offset1:76
	v_xor_b32_e32 v6, v63, v34
	v_lshlrev_b32_e32 v7, 8, v1
	s_addc_u32 s1, s7, s25
	v_lshl_or_b32 v6, v6, 1, v7
	s_mul_hi_i32 s6, s3, s13
	s_mul_i32 s3, s3, s13
	ds_write_b64 v6, v[2:3] offset:32768
	v_xor_b32_e32 v2, v64, v34
	s_add_u32 s2, s3, s33
	v_lshl_or_b32 v2, v2, 1, v7
	s_addc_u32 s3, s6, s14
	v_lshlrev_b32_e32 v3, 1, v1
	ds_write_b64 v2, v[4:5] offset:32768
	v_lshrrev_b32_e32 v2, 4, v0
	s_ashr_i32 s31, s30, 31
	s_lshl_b64 s[2:3], s[2:3], 15
	v_or_b32_e32 v4, 1, v3
	s_add_u32 s6, s36, s2
	v_xor_b32_e32 v3, v2, v3
	v_xor_b32_e32 v4, v4, v2
	v_lshlrev_b32_e32 v6, 8, v2
	s_addc_u32 s7, s37, s3
	s_lshl_b64 s[2:3], s[30:31], 8
	v_lshl_or_b32 v2, v3, 3, v6
	v_lshl_or_b32 v4, v4, 3, v6
	s_waitcnt lgkmcnt(0)
	s_barrier
	s_add_u32 s2, s6, s2
	ds_read_b64 v[2:3], v2 offset:32768
	ds_read_b64 v[4:5], v4 offset:32768
	s_addc_u32 s3, s7, s3
	v_mov_b32_e32 v7, 0
	s_cmp_lg_u32 s41, 64
	v_lshl_add_u64 v[8:9], s[2:3], 0, v[6:7]
	v_lshlrev_b32_e32 v6, 4, v1
	s_cselect_b64 s[6:7], -1, 0
	v_lshl_or_b32 v35, v59, 3, v62
	s_mov_b32 s20, 0
	v_lshl_add_u64 v[6:7], v[8:9], 0, v[6:7]
	v_or_b32_e32 v19, 32, v35
	v_and_b32_e32 v18, 56, v61
	s_and_b64 vcc, exec, s[6:7]
	s_waitcnt lgkmcnt(0)
	global_store_dwordx4 v[6:7], v[2:5], off
	s_cbranch_vccz .LBB592_29
; %bb.24:
	s_mov_b32 s21, s20
	s_mov_b32 s22, s20
	s_mov_b32 s23, s20
	v_mov_b64_e32 v[6:7], s[20:21]
	v_mov_b64_e32 v[8:9], s[22:23]
	;; [unrolled: 1-line block ×3, first 2 shown]
	v_cmp_gt_i32_e32 vcc, s41, v35
	v_mov_b64_e32 v[4:5], v[8:9]
	s_and_saveexec_b64 s[2:3], vcc
	s_cbranch_execz .LBB592_26
; %bb.25:
	v_lshlrev_b32_e32 v2, 8, v35
	v_mov_b32_e32 v3, 0
	v_lshl_add_u64 v[4:5], s[0:1], 0, v[2:3]
	v_lshlrev_b32_e32 v2, 1, v18
	v_lshl_add_u64 v[10:11], v[4:5], 0, v[2:3]
	global_load_dwordx4 v[6:9], v[10:11], off
	global_load_dwordx4 v[2:5], v[10:11], off offset:128
.LBB592_26:
	s_or_b64 exec, exec, s[2:3]
	s_mov_b32 s21, s20
	s_mov_b32 s22, s20
	s_mov_b32 s23, s20
	v_mov_b64_e32 v[14:15], s[20:21]
	v_mov_b64_e32 v[16:17], s[22:23]
	;; [unrolled: 1-line block ×3, first 2 shown]
	v_cmp_gt_i32_e32 vcc, s41, v19
	v_lshlrev_b32_e32 v20, 7, v19
	v_mov_b64_e32 v[12:13], v[16:17]
	s_and_saveexec_b64 s[2:3], vcc
	s_cbranch_execz .LBB592_28
; %bb.27:
	v_lshlrev_b32_e32 v10, 1, v20
	v_mov_b32_e32 v11, 0
	v_lshl_add_u64 v[12:13], s[0:1], 0, v[10:11]
	v_lshlrev_b32_e32 v10, 1, v18
	v_lshl_add_u64 v[22:23], v[12:13], 0, v[10:11]
	global_load_dwordx4 v[14:17], v[22:23], off
	global_load_dwordx4 v[10:13], v[22:23], off offset:128
.LBB592_28:
	s_or_b64 exec, exec, s[2:3]
	v_lshrrev_b32_e32 v21, 3, v18
	v_lshlrev_b32_e32 v22, 3, v35
	v_or_b32_e32 v21, v22, v21
	v_lshlrev_b32_e32 v21, 4, v21
	v_and_b32_e32 v22, 0x78, v22
	v_xor_b32_e32 v21, v21, v22
	s_branch .LBB592_31
.LBB592_29:
                                        ; implicit-def: $vgpr21
                                        ; implicit-def: $vgpr20
                                        ; implicit-def: $vgpr6_vgpr7_vgpr8_vgpr9
                                        ; implicit-def: $vgpr2_vgpr3_vgpr4_vgpr5
                                        ; implicit-def: $vgpr14_vgpr15_vgpr16_vgpr17
                                        ; implicit-def: $vgpr10_vgpr11_vgpr12_vgpr13
	s_cbranch_execz .LBB592_31
; %bb.30:
	s_waitcnt vmcnt(0)
	v_lshlrev_b32_e32 v2, 1, v18
	v_lshl_or_b32 v20, v35, 8, v2
	s_and_b32 s1, s1, 0xffff
	s_mov_b32 s3, 0x20000
	s_movk_i32 s2, 0x4000
	v_lshl_or_b32 v21, v19, 8, v2
	s_movk_i32 s13, 0x80
	buffer_load_dwordx4 v[6:9], v20, s[0:3], 0 offen
	buffer_load_dwordx4 v[2:5], v20, s[0:3], s13 offen
	;; [unrolled: 1-line block ×4, first 2 shown]
	v_lshrrev_b32_e32 v20, 3, v18
	v_lshlrev_b32_e32 v21, 3, v35
	v_or_b32_e32 v20, v21, v20
	v_lshlrev_b32_e32 v20, 4, v20
	v_and_b32_e32 v21, 0x78, v21
	v_xor_b32_e32 v21, v20, v21
	v_lshlrev_b32_e32 v20, 7, v19
.LBB592_31:
	s_lshl_b64 s[0:1], s[38:39], 8
	s_add_u32 s4, s4, s0
	s_movk_i32 s0, 0x1000
	v_and_or_b32 v19, v20, s0, v21
	s_waitcnt vmcnt(1)
	ds_write_b64 v21, v[6:7] offset:16384
	v_xor_b32_e32 v6, 8, v21
	s_addc_u32 s5, s5, s1
	ds_write_b64 v6, v[8:9] offset:16384
	s_waitcnt vmcnt(0)
	ds_write_b64 v21, v[2:3] offset:24576
	ds_write_b64 v6, v[4:5] offset:24576
	;; [unrolled: 1-line block ×3, first 2 shown]
	v_xor_b32_e32 v2, 8, v19
	s_add_i32 s0, s44, s17
	s_mul_i32 s35, s35, s16
	ds_write_b64 v2, v[16:17] offset:16384
	ds_write_b64 v19, v[10:11] offset:24576
	;; [unrolled: 1-line block ×3, first 2 shown]
	s_add_i32 s35, s0, s35
	s_mul_i32 s0, s33, s19
	s_mul_hi_u32 s1, s33, s18
	v_or_b32_e32 v2, v45, v1
	s_add_i32 s0, s1, s0
	s_mul_i32 s1, s14, s18
	v_lshlrev_b32_e32 v2, 3, v2
	v_lshrrev_b32_e32 v4, 5, v58
	s_movk_i32 s14, 0xf8
	v_and_or_b32 v4, v2, s14, v4
	v_lshlrev_b32_e32 v3, 11, v59
	v_lshlrev_b32_e32 v12, 4, v4
	v_and_b32_e32 v13, 0x78, v2
	v_and_b32_e32 v14, 0x1000, v3
	v_lshlrev_b32_e32 v3, 2, v0
	v_xor_b32_e32 v2, v12, v13
	v_lshrrev_b32_e32 v4, 1, v58
	v_and_b32_e32 v3, 60, v3
	v_or_b32_e32 v2, v2, v14
	v_and_b32_e32 v15, 8, v4
	v_xor_b32_e32 v26, v2, v15
	v_lshl_or_b32 v2, v60, 6, v3
	v_lshlrev_b32_e32 v19, 1, v2
	v_or_b32_e32 v2, 32, v12
	v_xor_b32_e32 v2, v2, v13
	s_waitcnt lgkmcnt(0)
	s_barrier
	ds_read_b64 v[10:11], v26 offset:16384
	v_or_b32_e32 v2, v2, v14
	v_xor_b32_e32 v27, v2, v15
	v_or_b32_e32 v2, 64, v12
	v_xor_b32_e32 v2, v2, v13
	v_or_b32_e32 v2, v2, v14
	v_or_b32_e32 v12, 0x60, v12
	v_xor_b32_e32 v28, v2, v15
	ds_read2st64_b64 v[2:5], v19 offset0:72 offset1:73
	ds_read2st64_b64 v[6:9], v19 offset0:74 offset1:75
	v_xor_b32_e32 v16, v12, v13
	ds_read_b64 v[12:13], v27 offset:16384
	s_waitcnt lgkmcnt(2)
	v_mfma_f32_16x16x16_bf16 a[0:3], v[10:11], v[2:3], 0
	s_add_i32 s2, s12, -1
	s_ashr_i32 s3, s2, 31
	s_mul_i32 s12, s2, s29
	s_mul_hi_u32 s13, s2, s28
	s_add_i32 s12, s13, s12
	s_mul_i32 s3, s3, s28
	v_or_b32_e32 v14, v16, v14
	s_add_i32 s1, s0, s1
	s_add_i32 s3, s12, s3
	s_lshl_b64 s[12:13], s[34:35], 2
	v_xor_b32_e32 v36, v14, v15
	ds_read_b64 v[14:15], v28 offset:16384
	ds_read_b64 v[16:17], v36 offset:16384
	s_waitcnt lgkmcnt(2)
	v_mfma_f32_16x16x16_bf16 a[0:3], v[12:13], v[4:5], a[0:3]
	s_mul_i32 s0, s33, s18
	s_add_u32 s10, s10, s12
	s_addc_u32 s11, s11, s13
	s_lshl_b64 s[0:1], s[0:1], 2
	s_mul_i32 s2, s2, s28
	s_add_u32 s10, s10, s0
	s_addc_u32 s11, s11, s1
	s_lshl_b64 s[0:1], s[2:3], 2
	s_waitcnt lgkmcnt(1)
	v_mfma_f32_16x16x16_bf16 a[0:3], v[14:15], v[6:7], a[0:3]
	s_add_u32 s0, s10, s0
	s_addc_u32 s1, s11, s1
	s_load_dword s12, s[0:1], 0x0
	s_waitcnt lgkmcnt(0)
	v_mfma_f32_16x16x16_bf16 a[0:3], v[16:17], v[8:9], a[0:3]
	s_and_b64 vcc, exec, s[26:27]
	s_cbranch_vccz .LBB592_42
; %bb.32:
	v_lshlrev_b32_e32 v20, 1, v35
	s_and_b64 vcc, exec, s[6:7]
	s_cbranch_vccz .LBB592_43
; %bb.33:
	v_cmp_gt_i32_e32 vcc, s41, v20
	v_mov_b32_e32 v6, 0
	v_mov_b32_e32 v2, 0
	;; [unrolled: 1-line block ×5, first 2 shown]
	s_and_saveexec_b64 s[0:1], vcc
	s_cbranch_execz .LBB592_35
; %bb.34:
	v_mad_i64_i32 v[2:3], s[2:3], s15, v20, 0
	v_lshl_add_u64 v[2:3], v[2:3], 1, s[4:5]
	v_lshlrev_b32_e32 v4, 1, v18
	v_mov_b32_e32 v5, 0
	v_lshl_add_u64 v[2:3], v[2:3], 0, v[4:5]
	global_load_dwordx4 v[2:5], v[2:3], off
.LBB592_35:
	s_or_b64 exec, exec, s[0:1]
	v_or_b32_e32 v21, 1, v20
	v_cmp_gt_i32_e64 s[0:1], s41, v21
	v_mov_b32_e32 v7, 0
	v_mov_b32_e32 v8, 0
	;; [unrolled: 1-line block ×3, first 2 shown]
	s_and_saveexec_b64 s[2:3], s[0:1]
	s_cbranch_execz .LBB592_37
; %bb.36:
	v_mad_i64_i32 v[6:7], s[16:17], s15, v21, 0
	v_lshl_add_u64 v[6:7], v[6:7], 1, s[4:5]
	v_lshlrev_b32_e32 v8, 1, v18
	v_mov_b32_e32 v9, 0
	v_lshl_add_u64 v[6:7], v[6:7], 0, v[8:9]
	global_load_dwordx4 v[6:9], v[6:7], off
.LBB592_37:
	s_or_b64 exec, exec, s[2:3]
	v_mov_b32_e32 v17, 0
	v_mov_b32_e32 v10, 0
	;; [unrolled: 1-line block ×5, first 2 shown]
	s_and_saveexec_b64 s[2:3], vcc
	s_cbranch_execz .LBB592_39
; %bb.38:
	v_mad_i64_i32 v[10:11], s[16:17], s15, v20, 0
	v_lshl_add_u64 v[10:11], v[10:11], 1, s[4:5]
	v_lshlrev_b32_e32 v12, 1, v18
	v_mov_b32_e32 v13, 0
	v_lshl_add_u64 v[10:11], v[10:11], 0, v[12:13]
	global_load_dwordx4 v[10:13], v[10:11], off offset:128
.LBB592_39:
	s_or_b64 exec, exec, s[2:3]
	v_mov_b32_e32 v16, 0
	v_mov_b32_e32 v15, 0
	v_mov_b32_e32 v14, 0
	s_and_saveexec_b64 s[2:3], s[0:1]
	s_cbranch_execz .LBB592_41
; %bb.40:
	v_mad_i64_i32 v[14:15], s[0:1], s15, v21, 0
	v_lshl_add_u64 v[14:15], v[14:15], 1, s[4:5]
	v_lshlrev_b32_e32 v16, 1, v18
	v_mov_b32_e32 v17, 0
	v_lshl_add_u64 v[14:15], v[14:15], 0, v[16:17]
	global_load_dwordx4 v[14:17], v[14:15], off offset:128
.LBB592_41:
	s_or_b64 exec, exec, s[2:3]
	s_branch .LBB592_45
.LBB592_42:
                                        ; implicit-def: $vgpr5
                                        ; implicit-def: $vgpr9
                                        ; implicit-def: $vgpr13
                                        ; implicit-def: $vgpr17
	v_lshrrev_b32_e32 v37, 2, v58
	s_branch .LBB592_46
.LBB592_43:
                                        ; implicit-def: $vgpr5
                                        ; implicit-def: $vgpr9
                                        ; implicit-def: $vgpr13
                                        ; implicit-def: $vgpr17
	s_cbranch_execz .LBB592_45
; %bb.44:
	s_waitcnt vmcnt(0)
	v_mad_u64_u32 v[2:3], s[0:1], v20, s15, v[18:19]
	v_lshlrev_b32_e32 v20, 1, v2
	s_lshl_b32 s2, s15, 7
	s_and_b32 s1, s5, 0xffff
	s_mov_b32 s3, 0x20000
	s_mov_b32 s0, s4
	v_add_lshl_u32 v21, v2, s15, 1
	s_movk_i32 s13, 0x80
	buffer_load_dwordx4 v[2:5], v20, s[0:3], 0 offen
	buffer_load_dwordx4 v[10:13], v20, s[0:3], s13 offen
	buffer_load_dwordx4 v[6:9], v21, s[0:3], 0 offen
	buffer_load_dwordx4 v[14:17], v21, s[0:3], s13 offen
.LBB592_45:
	v_lshrrev_b32_e32 v37, 2, v58
	s_cbranch_execnz .LBB592_58
.LBB592_46:
	s_and_b64 vcc, exec, s[6:7]
	s_cbranch_vccz .LBB592_56
; %bb.47:
	s_waitcnt vmcnt(0)
	v_lshlrev_b32_e32 v7, 1, v35
	v_cmp_gt_i32_e32 vcc, s41, v7
	v_mov_b32_e32 v6, 0
	v_lshlrev_b32_e32 v14, 9, v35
	v_mov_b32_e32 v2, 0
	v_mov_b32_e32 v3, 0
	;; [unrolled: 1-line block ×4, first 2 shown]
	s_and_saveexec_b64 s[0:1], vcc
	s_cbranch_execz .LBB592_49
; %bb.48:
	v_mov_b32_e32 v15, 0
	v_lshl_add_u64 v[2:3], s[4:5], 0, v[14:15]
	v_lshlrev_b32_e32 v4, 1, v18
	v_mov_b32_e32 v5, v15
	v_lshl_add_u64 v[2:3], v[2:3], 0, v[4:5]
	global_load_dwordx4 v[2:5], v[2:3], off
.LBB592_49:
	s_or_b64 exec, exec, s[0:1]
	v_or_b32_e32 v7, 1, v7
	v_cmp_gt_i32_e64 s[0:1], s41, v7
	v_lshlrev_b32_e32 v20, 8, v7
	v_mov_b32_e32 v7, 0
	v_mov_b32_e32 v8, 0
	;; [unrolled: 1-line block ×3, first 2 shown]
	s_and_saveexec_b64 s[2:3], s[0:1]
	s_cbranch_execz .LBB592_51
; %bb.50:
	v_mov_b32_e32 v21, 0
	v_lshl_add_u64 v[6:7], s[4:5], 0, v[20:21]
	v_lshlrev_b32_e32 v8, 1, v18
	v_mov_b32_e32 v9, v21
	v_lshl_add_u64 v[6:7], v[6:7], 0, v[8:9]
	global_load_dwordx4 v[6:9], v[6:7], off
.LBB592_51:
	s_or_b64 exec, exec, s[2:3]
	v_mov_b32_e32 v17, 0
	v_mov_b32_e32 v10, 0
	;; [unrolled: 1-line block ×5, first 2 shown]
	s_and_saveexec_b64 s[2:3], vcc
	s_cbranch_execz .LBB592_53
; %bb.52:
	v_mov_b32_e32 v15, 0
	v_lshl_add_u64 v[10:11], s[4:5], 0, v[14:15]
	v_lshlrev_b32_e32 v14, 1, v18
	v_lshl_add_u64 v[10:11], v[10:11], 0, v[14:15]
	global_load_dwordx4 v[10:13], v[10:11], off offset:128
.LBB592_53:
	s_or_b64 exec, exec, s[2:3]
	v_mov_b32_e32 v16, 0
	v_mov_b32_e32 v15, 0
	;; [unrolled: 1-line block ×3, first 2 shown]
	s_and_saveexec_b64 s[2:3], s[0:1]
	s_cbranch_execz .LBB592_55
; %bb.54:
	v_mov_b32_e32 v21, 0
	v_lshl_add_u64 v[14:15], s[4:5], 0, v[20:21]
	v_lshlrev_b32_e32 v20, 1, v18
	v_lshl_add_u64 v[14:15], v[14:15], 0, v[20:21]
	global_load_dwordx4 v[14:17], v[14:15], off offset:128
.LBB592_55:
	s_or_b64 exec, exec, s[2:3]
	s_branch .LBB592_58
.LBB592_56:
                                        ; implicit-def: $vgpr5
                                        ; implicit-def: $vgpr9
                                        ; implicit-def: $vgpr13
                                        ; implicit-def: $vgpr17
	s_cbranch_execz .LBB592_58
; %bb.57:
	s_waitcnt vmcnt(0)
	v_lshlrev_b32_e32 v2, 1, v18
	v_lshl_or_b32 v18, v35, 9, v2
	s_and_b32 s5, s5, 0xffff
	s_mov_b32 s7, 0x20000
	s_movk_i32 s6, 0x4000
	s_movk_i32 s0, 0x80
	buffer_load_dwordx4 v[2:5], v18, s[4:7], 0 offen
	buffer_load_dwordx4 v[6:9], v18, s[4:7], 0 offen offset:256
	buffer_load_dwordx4 v[10:13], v18, s[4:7], s0 offen
	buffer_load_dwordx4 v[14:17], v18, s[4:7], s0 offen offset:256
.LBB592_58:
	ds_read2st64_b64 v[22:25], v19 offset0:76 offset1:77
	ds_read2st64_b64 v[18:21], v19 offset0:78 offset1:79
	ds_read_b64 v[30:31], v26 offset:24576
	ds_read_b64 v[32:33], v27 offset:24576
	;; [unrolled: 1-line block ×4, first 2 shown]
	v_and_b32_e32 v36, 6, v0
	v_xor_b32_e32 v35, v35, v36
	v_lshlrev_b32_e32 v35, 2, v35
	v_and_b32_e32 v0, 1, v0
	v_xor_b32_e32 v38, 0x440, v35
	v_cmp_eq_u32_e32 vcc, 0, v0
	s_mov_b32 s0, 0x1000504
	s_mov_b32 s1, 0x3020706
	v_cndmask_b32_e32 v0, v38, v35, vcc
	v_lshl_or_b32 v0, v36, 10, v0
	s_waitcnt vmcnt(0)
	v_perm_b32 v35, v2, v6, s0
	v_perm_b32 v36, v10, v14, s0
	ds_write2st64_b32 v0, v35, v36 offset1:32
	v_xor_b32_e32 v35, 8, v0
	v_perm_b32 v2, v2, v6, s1
	v_perm_b32 v6, v10, v14, s1
	v_add_u32_e32 v10, 0x80, v35
	ds_write2st64_b32 v10, v2, v6 offset1:32
	v_xor_b32_e32 v2, 16, v0
	v_perm_b32 v6, v3, v7, s0
	v_perm_b32 v10, v11, v15, s0
	ds_write2st64_b32 v2, v6, v10 offset0:1 offset1:33
	v_xor_b32_e32 v2, 24, v0
	v_perm_b32 v3, v3, v7, s1
	v_perm_b32 v6, v11, v15, s1
	v_add_u32_e32 v2, 0x80, v2
	ds_write2st64_b32 v2, v3, v6 offset0:1 offset1:33
	v_xor_b32_e32 v2, 32, v0
	v_perm_b32 v3, v4, v8, s0
	v_perm_b32 v6, v12, v16, s0
	ds_write2st64_b32 v2, v3, v6 offset0:2 offset1:34
	v_xor_b32_e32 v2, 40, v0
	v_perm_b32 v3, v4, v8, s1
	v_perm_b32 v4, v12, v16, s1
	v_add_u32_e32 v2, 0x80, v2
	ds_write2st64_b32 v2, v3, v4 offset0:2 offset1:34
	v_xor_b32_e32 v2, 48, v0
	v_perm_b32 v3, v5, v9, s0
	v_perm_b32 v4, v13, v17, s0
	v_xor_b32_e32 v0, 56, v0
	v_and_or_b32 v6, v37, 12, v45
	ds_write2st64_b32 v2, v3, v4 offset0:3 offset1:35
	v_perm_b32 v2, v5, v9, s1
	v_perm_b32 v3, v13, v17, s1
	v_add_u32_e32 v0, 0x80, v0
	v_cmp_gt_i32_e32 vcc, s41, v6
	v_mov_b32_e32 v7, 0
	v_mov_b32_e32 v11, 0
	ds_write2st64_b32 v0, v2, v3 offset0:3 offset1:35
	s_and_saveexec_b64 s[0:1], vcc
	s_cbranch_execz .LBB592_60
; %bb.59:
	v_add_u32_e32 v0, s40, v6
	v_ashrrev_i32_e32 v2, 31, v0
	v_mul_lo_u32 v4, v2, s28
	v_mul_lo_u32 v5, v0, s29
	v_mad_u64_u32 v[2:3], s[2:3], v0, s28, 0
	v_add3_u32 v3, v3, v5, v4
	v_lshl_add_u64 v[2:3], v[2:3], 2, s[10:11]
	global_load_dword v0, v[2:3], off
	s_waitcnt vmcnt(0)
	v_sub_f32_e32 v0, s12, v0
	v_mul_f32_e32 v0, 0x3fb8aa3b, v0
	v_exp_f32_e32 v11, v0
.LBB592_60:
	s_or_b64 exec, exec, s[0:1]
	v_or_b32_e32 v9, 1, v6
	v_cmp_gt_i32_e64 s[0:1], s41, v9
	s_and_saveexec_b64 s[2:3], s[0:1]
	s_cbranch_execz .LBB592_62
; %bb.61:
	v_add_u32_e32 v0, s40, v9
	v_ashrrev_i32_e32 v2, 31, v0
	v_mul_lo_u32 v4, v2, s28
	v_mul_lo_u32 v5, v0, s29
	v_mad_u64_u32 v[2:3], s[4:5], v0, s28, 0
	v_add3_u32 v3, v3, v5, v4
	v_lshl_add_u64 v[2:3], v[2:3], 2, s[10:11]
	global_load_dword v0, v[2:3], off
	s_waitcnt vmcnt(0)
	v_sub_f32_e32 v0, s12, v0
	v_mul_f32_e32 v0, 0x3fb8aa3b, v0
	v_exp_f32_e32 v7, v0
.LBB592_62:
	s_or_b64 exec, exec, s[2:3]
	v_or_b32_e32 v10, 2, v6
	v_cmp_gt_i32_e64 s[2:3], s41, v10
	v_mov_b32_e32 v8, 0
	v_mov_b32_e32 v13, 0
	s_and_saveexec_b64 s[4:5], s[2:3]
	s_cbranch_execz .LBB592_64
; %bb.63:
	v_add_u32_e32 v0, s40, v10
	v_ashrrev_i32_e32 v2, 31, v0
	v_mul_lo_u32 v4, v2, s28
	v_mul_lo_u32 v5, v0, s29
	v_mad_u64_u32 v[2:3], s[6:7], v0, s28, 0
	v_add3_u32 v3, v3, v5, v4
	v_lshl_add_u64 v[2:3], v[2:3], 2, s[10:11]
	global_load_dword v0, v[2:3], off
	s_waitcnt vmcnt(0)
	v_sub_f32_e32 v0, s12, v0
	v_mul_f32_e32 v0, 0x3fb8aa3b, v0
	v_exp_f32_e32 v13, v0
.LBB592_64:
	s_or_b64 exec, exec, s[4:5]
	v_or_b32_e32 v12, 3, v6
	v_cmp_gt_i32_e64 s[4:5], s41, v12
	s_and_saveexec_b64 s[6:7], s[4:5]
	s_cbranch_execz .LBB592_66
; %bb.65:
	v_add_u32_e32 v0, s40, v12
	v_ashrrev_i32_e32 v2, 31, v0
	v_mul_lo_u32 v4, v2, s28
	v_mul_lo_u32 v5, v0, s29
	v_mad_u64_u32 v[2:3], s[14:15], v0, s28, 0
	v_add3_u32 v3, v3, v5, v4
	v_lshl_add_u64 v[2:3], v[2:3], 2, s[10:11]
	global_load_dword v0, v[2:3], off
	s_waitcnt vmcnt(0)
	v_sub_f32_e32 v0, s12, v0
	v_mul_f32_e32 v0, 0x3fb8aa3b, v0
	v_exp_f32_e32 v8, v0
.LBB592_66:
	s_or_b64 exec, exec, s[6:7]
	s_waitcnt lgkmcnt(11)
	v_mfma_f32_16x16x16_bf16 a[0:3], v[30:31], v[22:23], a[0:3]
	v_or_b32_e32 v0, s30, v1
	s_add_u32 s6, s8, s24
	s_addc_u32 s7, s9, s25
	s_waitcnt lgkmcnt(10)
	v_mfma_f32_16x16x16_bf16 a[0:3], v[32:33], v[24:25], a[0:3]
	v_ashrrev_i32_e32 v1, 31, v0
	v_lshl_add_u64 v[4:5], v[0:1], 1, s[6:7]
	v_mov_b32_e32 v14, 0
	s_waitcnt lgkmcnt(9)
	v_mfma_f32_16x16x16_bf16 a[0:3], v[28:29], v[18:19], a[0:3]
	v_mov_b32_e32 v15, 0
	s_waitcnt lgkmcnt(8)
	v_mfma_f32_16x16x16_bf16 a[0:3], v[26:27], v[20:21], a[0:3]
	s_nop 6
	v_accvgpr_read_b32 v0, a0
	v_accvgpr_read_b32 v1, a1
	;; [unrolled: 1-line block ×4, first 2 shown]
	s_and_saveexec_b64 s[6:7], vcc
	s_cbranch_execz .LBB592_68
; %bb.67:
	v_lshlrev_b32_e32 v16, 8, v6
	v_mov_b32_e32 v17, 0
	v_lshl_add_u64 v[16:17], v[4:5], 0, v[16:17]
	global_load_ushort v15, v[16:17], off
	s_waitcnt vmcnt(0)
	v_lshlrev_b32_e32 v15, 16, v15
	v_sub_f32_e32 v0, v15, v0
	v_mul_f32_e32 v0, v11, v0
	v_lshrrev_b32_e32 v15, 16, v0
.LBB592_68:
	s_or_b64 exec, exec, s[6:7]
	s_and_saveexec_b64 s[6:7], s[0:1]
	s_cbranch_execz .LBB592_70
; %bb.69:
	v_lshlrev_b32_e32 v16, 8, v9
	v_mov_b32_e32 v17, 0
	v_lshl_add_u64 v[16:17], v[4:5], 0, v[16:17]
	global_load_ushort v0, v[16:17], off
	s_waitcnt vmcnt(0)
	v_lshlrev_b32_e32 v0, 16, v0
	v_sub_f32_e32 v0, v0, v1
	v_mul_f32_e32 v0, v7, v0
	v_lshrrev_b32_e32 v14, 16, v0
.LBB592_70:
	s_or_b64 exec, exec, s[6:7]
	v_mov_b32_e32 v0, 0
	v_mov_b32_e32 v1, 0
	s_and_saveexec_b64 s[0:1], s[2:3]
	s_cbranch_execz .LBB592_72
; %bb.71:
	v_lshlrev_b32_e32 v10, 8, v10
	v_mov_b32_e32 v11, 0
	v_lshl_add_u64 v[10:11], v[4:5], 0, v[10:11]
	global_load_ushort v1, v[10:11], off
	s_waitcnt vmcnt(0)
	v_lshlrev_b32_e32 v1, 16, v1
	v_sub_f32_e32 v1, v1, v2
	v_mul_f32_e32 v1, v13, v1
	v_lshrrev_b32_e32 v1, 16, v1
.LBB592_72:
	s_or_b64 exec, exec, s[0:1]
	s_and_saveexec_b64 s[0:1], s[4:5]
	s_cbranch_execz .LBB592_74
; %bb.73:
	v_lshlrev_b32_e32 v10, 8, v12
	v_mov_b32_e32 v11, 0
	v_lshl_add_u64 v[4:5], v[4:5], 0, v[10:11]
	global_load_ushort v0, v[4:5], off
	s_waitcnt vmcnt(0)
	v_lshlrev_b32_e32 v0, 16, v0
	v_sub_f32_e32 v0, v0, v3
	v_mul_f32_e32 v0, v8, v0
	v_lshrrev_b32_e32 v0, 16, v0
.LBB592_74:
	s_or_b64 exec, exec, s[0:1]
	s_mov_b32 s0, 0x5040100
	v_lshlrev_b32_e32 v2, 1, v34
	v_perm_b32 v1, v0, v1, s0
	v_perm_b32 v0, v14, v15, s0
	v_lshl_or_b32 v2, v6, 5, v2
	ds_write_b64 v2, v[0:1] offset:38912
	s_waitcnt lgkmcnt(0)
	s_barrier
.LBB592_75:
	s_endpgm
	.section	.rodata,"a",@progbits
	.p2align	6, 0x0
	.amdhsa_kernel _ZN12_GLOBAL__N_139chunk_gated_delta_rule_fwd_h_hip_kernelILi16ELb0ELb0ELb0ELb0ELb0ELb1ELb1ELb1EEEvPK12hip_bfloat16S3_S3_PKfS5_PKvPS1_S8_PvPKiSB_iiiiilll
		.amdhsa_group_segment_fixed_size 40960
		.amdhsa_private_segment_fixed_size 0
		.amdhsa_kernarg_size 136
		.amdhsa_user_sgpr_count 2
		.amdhsa_user_sgpr_dispatch_ptr 0
		.amdhsa_user_sgpr_queue_ptr 0
		.amdhsa_user_sgpr_kernarg_segment_ptr 1
		.amdhsa_user_sgpr_dispatch_id 0
		.amdhsa_user_sgpr_kernarg_preload_length 0
		.amdhsa_user_sgpr_kernarg_preload_offset 0
		.amdhsa_user_sgpr_private_segment_size 0
		.amdhsa_uses_dynamic_stack 0
		.amdhsa_enable_private_segment 0
		.amdhsa_system_sgpr_workgroup_id_x 1
		.amdhsa_system_sgpr_workgroup_id_y 1
		.amdhsa_system_sgpr_workgroup_id_z 0
		.amdhsa_system_sgpr_workgroup_info 0
		.amdhsa_system_vgpr_workitem_id 0
		.amdhsa_next_free_vgpr 128
		.amdhsa_next_free_sgpr 64
		.amdhsa_accum_offset 116
		.amdhsa_reserve_vcc 1
		.amdhsa_float_round_mode_32 0
		.amdhsa_float_round_mode_16_64 0
		.amdhsa_float_denorm_mode_32 3
		.amdhsa_float_denorm_mode_16_64 3
		.amdhsa_dx10_clamp 1
		.amdhsa_ieee_mode 1
		.amdhsa_fp16_overflow 0
		.amdhsa_tg_split 0
		.amdhsa_exception_fp_ieee_invalid_op 0
		.amdhsa_exception_fp_denorm_src 0
		.amdhsa_exception_fp_ieee_div_zero 0
		.amdhsa_exception_fp_ieee_overflow 0
		.amdhsa_exception_fp_ieee_underflow 0
		.amdhsa_exception_fp_ieee_inexact 0
		.amdhsa_exception_int_div_zero 0
	.end_amdhsa_kernel
	.section	.text._ZN12_GLOBAL__N_139chunk_gated_delta_rule_fwd_h_hip_kernelILi16ELb0ELb0ELb0ELb0ELb0ELb1ELb1ELb1EEEvPK12hip_bfloat16S3_S3_PKfS5_PKvPS1_S8_PvPKiSB_iiiiilll,"axG",@progbits,_ZN12_GLOBAL__N_139chunk_gated_delta_rule_fwd_h_hip_kernelILi16ELb0ELb0ELb0ELb0ELb0ELb1ELb1ELb1EEEvPK12hip_bfloat16S3_S3_PKfS5_PKvPS1_S8_PvPKiSB_iiiiilll,comdat
.Lfunc_end592:
	.size	_ZN12_GLOBAL__N_139chunk_gated_delta_rule_fwd_h_hip_kernelILi16ELb0ELb0ELb0ELb0ELb0ELb1ELb1ELb1EEEvPK12hip_bfloat16S3_S3_PKfS5_PKvPS1_S8_PvPKiSB_iiiiilll, .Lfunc_end592-_ZN12_GLOBAL__N_139chunk_gated_delta_rule_fwd_h_hip_kernelILi16ELb0ELb0ELb0ELb0ELb0ELb1ELb1ELb1EEEvPK12hip_bfloat16S3_S3_PKfS5_PKvPS1_S8_PvPKiSB_iiiiilll
                                        ; -- End function
	.section	.AMDGPU.csdata,"",@progbits
; Kernel info:
; codeLenInByte = 7460
; NumSgprs: 70
; NumVgprs: 114
; NumAgprs: 12
; TotalNumVgprs: 128
; ScratchSize: 0
; MemoryBound: 0
; FloatMode: 240
; IeeeMode: 1
; LDSByteSize: 40960 bytes/workgroup (compile time only)
; SGPRBlocks: 8
; VGPRBlocks: 15
; NumSGPRsForWavesPerEU: 70
; NumVGPRsForWavesPerEU: 128
; AccumOffset: 116
; Occupancy: 1
; WaveLimiterHint : 1
; COMPUTE_PGM_RSRC2:SCRATCH_EN: 0
; COMPUTE_PGM_RSRC2:USER_SGPR: 2
; COMPUTE_PGM_RSRC2:TRAP_HANDLER: 0
; COMPUTE_PGM_RSRC2:TGID_X_EN: 1
; COMPUTE_PGM_RSRC2:TGID_Y_EN: 1
; COMPUTE_PGM_RSRC2:TGID_Z_EN: 0
; COMPUTE_PGM_RSRC2:TIDIG_COMP_CNT: 0
; COMPUTE_PGM_RSRC3_GFX90A:ACCUM_OFFSET: 28
; COMPUTE_PGM_RSRC3_GFX90A:TG_SPLIT: 0
	.section	.text._ZN12_GLOBAL__N_139chunk_gated_delta_rule_fwd_h_hip_kernelILi16ELb1ELb1ELb1ELb1ELb0ELb1ELb0ELb1EEEvPK12hip_bfloat16S3_S3_PKfS5_PKvPS1_S8_PvPKiSB_iiiiilll,"axG",@progbits,_ZN12_GLOBAL__N_139chunk_gated_delta_rule_fwd_h_hip_kernelILi16ELb1ELb1ELb1ELb1ELb0ELb1ELb0ELb1EEEvPK12hip_bfloat16S3_S3_PKfS5_PKvPS1_S8_PvPKiSB_iiiiilll,comdat
	.globl	_ZN12_GLOBAL__N_139chunk_gated_delta_rule_fwd_h_hip_kernelILi16ELb1ELb1ELb1ELb1ELb0ELb1ELb0ELb1EEEvPK12hip_bfloat16S3_S3_PKfS5_PKvPS1_S8_PvPKiSB_iiiiilll ; -- Begin function _ZN12_GLOBAL__N_139chunk_gated_delta_rule_fwd_h_hip_kernelILi16ELb1ELb1ELb1ELb1ELb0ELb1ELb0ELb1EEEvPK12hip_bfloat16S3_S3_PKfS5_PKvPS1_S8_PvPKiSB_iiiiilll
	.p2align	8
	.type	_ZN12_GLOBAL__N_139chunk_gated_delta_rule_fwd_h_hip_kernelILi16ELb1ELb1ELb1ELb1ELb0ELb1ELb0ELb1EEEvPK12hip_bfloat16S3_S3_PKfS5_PKvPS1_S8_PvPKiSB_iiiiilll,@function
_ZN12_GLOBAL__N_139chunk_gated_delta_rule_fwd_h_hip_kernelILi16ELb1ELb1ELb1ELb1ELb0ELb1ELb0ELb1EEEvPK12hip_bfloat16S3_S3_PKfS5_PKvPS1_S8_PvPKiSB_iiiiilll: ; @_ZN12_GLOBAL__N_139chunk_gated_delta_rule_fwd_h_hip_kernelILi16ELb1ELb1ELb1ELb1ELb0ELb1ELb0ELb1EEEvPK12hip_bfloat16S3_S3_PKfS5_PKvPS1_S8_PvPKiSB_iiiiilll
; %bb.0:
	s_load_dwordx4 s[28:31], s[0:1], 0x5c
	s_load_dwordx4 s[4:7], s[0:1], 0x70
	s_abs_i32 s11, s3
	s_ashr_i32 s10, s3, 31
	s_load_dwordx4 s[24:27], s[0:1], 0x40
	s_load_dwordx2 s[8:9], s[0:1], 0x50
	s_waitcnt lgkmcnt(0)
	s_abs_i32 s14, s29
	v_cvt_f32_u32_e32 v1, s14
	s_sub_i32 s12, 0, s14
	s_ashr_i32 s15, s29, 31
	s_xor_b32 s10, s10, s15
	v_rcp_iflag_f32_e32 v1, v1
	v_and_b32_e32 v67, 15, v0
	v_bfe_u32 v66, v0, 4, 2
	v_mov_b32_e32 v49, 0
	v_mul_f32_e32 v1, 0x4f7ffffe, v1
	v_cvt_u32_f32_e32 v1, v1
	v_lshlrev_b32_e32 v68, 3, v0
	v_readfirstlane_b32 s13, v1
	s_mul_i32 s12, s12, s13
	s_mul_hi_u32 s12, s13, s12
	s_add_i32 s13, s13, s12
	s_mul_hi_u32 s12, s11, s13
	s_mul_i32 s13, s12, s14
	s_sub_i32 s11, s11, s13
	s_add_i32 s16, s12, 1
	s_sub_i32 s13, s11, s14
	s_cmp_ge_u32 s11, s14
	s_cselect_b32 s12, s16, s12
	s_cselect_b32 s11, s13, s11
	s_add_i32 s13, s12, 1
	s_cmp_ge_u32 s11, s14
	s_cselect_b32 s11, s13, s12
	s_xor_b32 s11, s11, s10
	s_sub_i32 s36, s11, s10
	s_mul_i32 s16, s36, s29
	s_ashr_i32 s37, s36, 31
	s_sub_i32 s33, s3, s16
	s_lshl_b64 s[10:11], s[36:37], 2
	s_add_u32 s12, s26, s10
	s_addc_u32 s13, s27, s11
	s_add_u32 s38, s8, s10
	s_addc_u32 s39, s9, s11
	s_abs_i32 s3, s30
	v_cvt_f32_u32_e32 v1, s3
	s_load_dwordx2 s[34:35], s[12:13], 0x0
	s_sub_i32 s9, 0, s3
	s_lshl_b32 s2, s2, 4
	v_rcp_iflag_f32_e32 v1, v1
	v_or_b32_e32 v58, s2, v67
	s_waitcnt lgkmcnt(0)
	s_sub_i32 s56, s35, s34
	s_ashr_i32 s8, s56, 31
	v_mul_f32_e32 v1, 0x4f7ffffe, v1
	v_cvt_u32_f32_e32 v1, v1
	s_lshr_b32 s8, s8, 26
	s_add_i32 s8, s56, s8
	s_ashr_i32 s55, s8, 6
	v_readfirstlane_b32 s10, v1
	s_mul_i32 s9, s9, s10
	s_mul_hi_u32 s9, s10, s9
	s_add_i32 s10, s10, s9
	s_mul_hi_u32 s9, s14, s10
	s_mul_i32 s10, s9, s3
	s_ashr_i32 s8, s30, 31
	s_sub_i32 s10, s14, s10
	s_xor_b32 s8, s15, s8
	s_add_i32 s11, s9, 1
	s_sub_i32 s12, s10, s3
	s_cmp_ge_u32 s10, s3
	s_cselect_b32 s9, s11, s9
	s_cselect_b32 s10, s12, s10
	s_add_i32 s11, s9, 1
	s_cmp_ge_u32 s10, s3
	s_cselect_b32 s3, s11, s9
	s_xor_b32 s3, s3, s8
	s_sub_i32 s3, s3, s8
	s_abs_i32 s17, s3
	v_cvt_f32_u32_e32 v1, s17
	s_sub_i32 s19, 0, s17
	s_abs_i32 s18, s33
	s_xor_b32 s3, s33, s3
	v_rcp_iflag_f32_e32 v2, v1
	s_ashr_i32 s3, s3, 31
	s_load_dwordx8 s[8:15], s[0:1], 0x20
	v_lshrrev_b32_e32 v1, 6, v0
	v_mul_f32_e32 v2, 0x4f7ffffe, v2
	v_cvt_u32_f32_e32 v2, v2
	v_lshlrev_b32_e32 v45, 4, v1
	v_lshlrev_b32_e32 v46, 7, v58
	v_lshl_or_b32 v70, v66, 2, v45
	v_readfirstlane_b32 s20, v2
	s_mul_i32 s19, s19, s20
	s_mul_hi_u32 s19, s20, s19
	s_add_i32 s20, s20, s19
	s_mul_hi_u32 s19, s18, s20
	s_mul_i32 s20, s19, s17
	s_sub_i32 s18, s18, s20
	s_add_i32 s20, s19, 1
	s_sub_i32 s21, s18, s17
	s_cmp_ge_u32 s18, s17
	s_cselect_b32 s19, s20, s19
	s_cselect_b32 s18, s21, s18
	s_add_i32 s20, s19, 1
	s_cmp_ge_u32 s18, s17
	s_cselect_b32 s17, s20, s19
	s_xor_b32 s17, s17, s3
	s_sub_i32 s57, s17, s3
	s_ashr_i32 s48, s33, 31
	s_mul_hi_i32 s3, s36, s29
	s_add_u32 s16, s16, s33
	s_addc_u32 s17, s3, s48
	s_lshl_b64 s[26:27], s[16:17], 15
	s_waitcnt lgkmcnt(0)
	s_add_u32 s10, s10, s26
	s_addc_u32 s11, s11, s27
	v_ashrrev_i32_e32 v47, 31, v46
	v_lshl_add_u64 v[2:3], v[46:47], 1, s[10:11]
	v_lshlrev_b32_e32 v48, 1, v70
	v_lshl_add_u64 v[2:3], v[2:3], 0, v[48:49]
	global_load_dwordx2 v[4:5], v[2:3], off
	global_load_dwordx2 v[6:7], v[2:3], off offset:128
	s_load_dwordx8 s[16:23], s[0:1], 0x0
	s_load_dwordx2 s[10:11], s[0:1], 0x80
	s_load_dword s60, s[38:39], 0x0
	v_and_b32_e32 v49, 63, v0
	v_lshrrev_b32_e32 v69, 3, v49
	v_or_b32_e32 v71, 64, v70
	s_mul_i32 s49, s36, s5
	s_mul_hi_u32 s50, s36, s4
	s_mul_i32 s42, s36, s4
	s_mul_i32 s51, s37, s4
	s_mul_hi_i32 s58, s33, s28
	s_mul_i32 s59, s33, s28
	s_mul_i32 s52, s33, s7
	s_mul_hi_u32 s53, s33, s6
	s_mul_i32 s54, s48, s6
	s_cmp_lt_i32 s56, 64
	s_mul_i32 s40, s33, s6
	s_waitcnt vmcnt(1)
	v_and_b32_e32 v53, 0xffff0000, v4
	v_lshlrev_b32_e32 v52, 16, v4
	v_and_b32_e32 v57, 0xffff0000, v5
	v_lshlrev_b32_e32 v56, 16, v5
	s_waitcnt vmcnt(0)
	v_and_b32_e32 v51, 0xffff0000, v6
	v_lshlrev_b32_e32 v50, 16, v6
	v_and_b32_e32 v55, 0xffff0000, v7
	v_lshlrev_b32_e32 v54, 16, v7
	s_cbranch_scc1 .LBB593_18
; %bb.1:
	s_ashr_i32 s1, s34, 31
	s_add_u32 s0, s59, s34
	s_addc_u32 s1, s58, s1
	s_lshl_b64 s[0:1], s[0:1], 8
	v_and_b32_e32 v73, 56, v68
	s_waitcnt lgkmcnt(0)
	s_add_u32 s4, s18, s0
	v_lshl_or_b32 v72, v1, 3, v69
	v_lshlrev_b32_e32 v2, 1, v73
	s_addc_u32 s0, s19, s1
	v_lshl_or_b32 v74, v72, 8, v2
	s_and_b32 s5, s0, 0xffff
	s_mov_b32 s7, 0x20000
	s_movk_i32 s6, 0x4000
	s_movk_i32 s0, 0x80
	v_or_b32_e32 v75, 0x2000, v74
	buffer_load_dwordx4 v[4:7], v74, s[4:7], 0 offen
	buffer_load_dwordx4 v[8:11], v74, s[4:7], s0 offen
	;; [unrolled: 1-line block ×4, first 2 shown]
	v_lshlrev_b32_e32 v3, 3, v72
	v_and_or_b32 v21, v0, 7, v3
	v_and_b32_e32 v3, 0x78, v3
	v_lshlrev_b32_e32 v21, 4, v21
	v_xor_b32_e32 v76, v21, v3
	v_mul_lo_u32 v20, v72, s31
	v_or_b32_e32 v77, 0x1000, v76
	v_xor_b32_e32 v3, 8, v76
	s_cmpk_eq_i32 s31, 0x80
	s_mov_b32 s61, s34
	v_xor_b32_e32 v21, 8, v77
	s_cselect_b64 s[0:1], -1, 0
	s_cmpk_lg_i32 s31, 0x80
	s_waitcnt vmcnt(3)
	ds_write_b64 v76, v[4:5] offset:16384
	ds_write_b64 v3, v[6:7] offset:16384
	s_waitcnt vmcnt(2)
	ds_write_b64 v76, v[8:9] offset:24576
	ds_write_b64 v3, v[10:11] offset:24576
	;; [unrolled: 3-line block ×4, first 2 shown]
	v_lshl_add_u32 v3, v20, 1, v73
	s_cbranch_scc0 .LBB593_3
; %bb.2:
	v_lshlrev_b32_e32 v5, 1, v3
	v_add_lshl_u32 v4, v3, s31, 1
	s_lshl_b32 s6, s31, 7
	v_lshl_or_b32 v2, v72, 9, v2
	s_cbranch_execz .LBB593_4
	s_branch .LBB593_5
.LBB593_3:
                                        ; implicit-def: $vgpr4
                                        ; implicit-def: $vgpr5
                                        ; implicit-def: $sgpr6
	v_lshl_or_b32 v2, v72, 9, v2
.LBB593_4:
	v_or_b32_e32 v4, 0x100, v2
	s_movk_i32 s6, 0x4000
	v_mov_b32_e32 v5, v2
.LBB593_5:
	s_mul_i32 s4, s34, s30
	s_ashr_i32 s62, s57, 31
	s_mul_hi_i32 s3, s34, s30
	s_add_u32 s4, s4, s57
	s_addc_u32 s5, s3, s62
	s_lshl_b64 s[4:5], s[4:5], 8
	s_add_u32 s4, s16, s4
	s_addc_u32 s3, s17, s5
	s_and_b32 s5, s3, 0xffff
	s_movk_i32 s63, 0x80
	buffer_load_dwordx4 v[6:9], v5, s[4:7], 0 offen
	buffer_load_dwordx4 v[10:13], v5, s[4:7], s63 offen
	;; [unrolled: 1-line block ×4, first 2 shown]
	v_and_b32_e32 v4, 6, v0
	v_lshlrev_b32_e32 v22, 2, v67
	v_lshlrev_b32_e32 v23, 3, v67
	v_xor_b32_e32 v27, v72, v4
	v_and_b32_e32 v5, 1, v0
	v_lshl_or_b32 v23, v70, 5, v23
	v_xor_b32_e32 v28, v70, v22
	v_lshlrev_b32_e32 v27, 2, v27
	s_add_i32 s3, s50, s49
	v_or_b32_e32 v78, 0x9000, v23
	v_or_b32_e32 v79, 0x9800, v23
	v_lshlrev_b32_e32 v23, 1, v28
	v_xor_b32_e32 v28, 0x440, v27
	v_cmp_eq_u32_e32 vcc, 0, v5
	s_add_i32 s4, s53, s52
	s_add_i32 s43, s3, s51
	v_cndmask_b32_e32 v5, v28, v27, vcc
	s_add_i32 s41, s4, s54
	s_lshl_b64 s[4:5], s[42:43], 2
	s_mov_b32 s64, 0x1000504
	s_mov_b32 s65, 0x3020706
	v_lshlrev_b32_e32 v24, 8, v67
	s_mov_b32 s6, 0x8000
	v_xor_b32_e32 v22, v71, v22
	v_lshl_or_b32 v4, v4, 10, v5
	s_add_u32 s3, s22, s4
	v_or_b32_e32 v25, v45, v67
	v_lshlrev_b32_e32 v22, 1, v22
	v_or3_b32 v80, v23, v24, s6
	v_xor_b32_e32 v5, 8, v4
	v_xor_b32_e32 v23, 24, v4
	;; [unrolled: 1-line block ×4, first 2 shown]
	s_addc_u32 s36, s23, s5
	s_lshl_b64 s[4:5], s[40:41], 2
	v_or3_b32 v81, v22, v24, s6
	v_xor_b32_e32 v22, 16, v4
	v_xor_b32_e32 v24, 32, v4
	;; [unrolled: 1-line block ×3, first 2 shown]
	v_add_u32_e32 v5, 0x80, v5
	v_add_u32_e32 v23, 0x80, v23
	v_add_u32_e32 v27, 0x80, v27
	v_add_u32_e32 v29, 0x80, v29
	s_add_u32 s44, s3, s4
	s_movk_i32 s3, 0xf8
	s_addc_u32 s45, s36, s5
	v_ashrrev_i32_e32 v59, 31, v58
	s_lshl_b32 s38, s31, 7
	v_lshrrev_b32_e32 v26, 2, v49
	s_mov_b32 s66, 0
	v_mov_b32_e32 v101, 0x3fb8aa3b
	s_waitcnt vmcnt(1)
	v_perm_b32 v30, v6, v14, s64
	s_waitcnt vmcnt(0)
	v_perm_b32 v31, v10, v18, s64
	v_perm_b32 v6, v6, v14, s65
	;; [unrolled: 1-line block ×15, first 2 shown]
	ds_write2st64_b32 v4, v30, v31 offset1:32
	ds_write2st64_b32 v5, v6, v10 offset1:32
	ds_write2st64_b32 v22, v14, v18 offset0:1 offset1:33
	ds_write2st64_b32 v23, v7, v11 offset0:1 offset1:33
	;; [unrolled: 1-line block ×6, first 2 shown]
	v_lshlrev_b32_e32 v4, 3, v25
	v_lshrrev_b32_e32 v6, 5, v49
	v_and_or_b32 v6, v4, s3, v6
	v_lshlrev_b32_e32 v6, 4, v6
	v_lshlrev_b32_e32 v13, 11, v1
	v_and_b32_e32 v4, 0x78, v4
	v_or_b32_e32 v9, 32, v6
	v_and_b32_e32 v5, 0x1000, v13
	v_lshrrev_b32_e32 v8, 1, v49
	v_xor_b32_e32 v9, v9, v4
	v_and_b32_e32 v8, 8, v8
	v_or_b32_e32 v9, v9, v5
	v_xor_b32_e32 v7, v6, v4
	v_xor_b32_e32 v84, v9, v8
	v_or_b32_e32 v9, 64, v6
	v_or_b32_e32 v6, 0x60, v6
	v_xor_b32_e32 v9, v9, v4
	v_xor_b32_e32 v4, v6, v4
	v_or_b32_e32 v7, v7, v5
	v_or_b32_e32 v9, v9, v5
	v_or_b32_e32 v4, v4, v5
	v_xor_b32_e32 v82, v7, v8
	v_xor_b32_e32 v85, v9, v8
	;; [unrolled: 1-line block ×3, first 2 shown]
	v_lshrrev_b32_e32 v8, 4, v0
	v_lshlrev_b32_e32 v9, 1, v67
	s_ashr_i32 s3, s2, 31
	v_or_b32_e32 v10, 1, v9
	v_xor_b32_e32 v9, v8, v9
	s_lshl_b64 s[4:5], s[2:3], 8
	v_xor_b32_e32 v10, v10, v8
	v_lshlrev_b32_e32 v9, 3, v9
	v_lshlrev_b32_e32 v8, 8, v8
	v_lshlrev_b64 v[4:5], 1, v[58:59]
	s_add_u32 s4, s12, s4
	v_or3_b32 v59, v9, v8, s6
	v_lshlrev_b32_e32 v9, 3, v10
	s_addc_u32 s5, s13, s5
	v_or3_b32 v88, v9, v8, s6
	v_mov_b32_e32 v9, 0
	v_lshrrev_b32_e32 v19, 1, v0
	v_lshl_add_u64 v[10:11], s[4:5], 0, v[8:9]
	v_lshlrev_b32_e32 v8, 4, v67
	s_movk_i32 s3, 0xff
	v_lshlrev_b32_e32 v18, 3, v1
	v_and_b32_e32 v19, 24, v19
	v_lshl_add_u64 v[60:61], v[10:11], 0, v[8:9]
	v_and_b32_e32 v8, 7, v0
	v_and_b32_e32 v11, 8, v0
	v_cmp_lt_u32_e32 vcc, s3, v0
	v_xor_b32_e32 v20, v18, v19
	v_lshlrev_b32_e32 v16, 3, v8
	v_lshlrev_b32_e32 v17, 7, v8
	v_cndmask_b32_e64 v8, 0, 1, vcc
	v_or_b32_e32 v21, 0x440, v20
	v_cmp_eq_u32_e32 vcc, 0, v11
	v_or_b32_e32 v23, 64, v19
	v_xor_b32_e32 v23, v18, v23
	v_cndmask_b32_e32 v11, v21, v20, vcc
	v_or_b32_e32 v21, 32, v19
	v_or_b32_e32 v19, 0x60, v19
	v_xor_b32_e32 v21, v18, v21
	v_xor_b32_e32 v18, v18, v19
	v_or_b32_e32 v22, 0x440, v21
	v_xor_b32_e32 v24, 0x440, v23
	v_xor_b32_e32 v19, 0x440, v18
	v_cndmask_b32_e32 v21, v22, v21, vcc
	v_cndmask_b32_e32 v23, v24, v23, vcc
	v_cndmask_b32_e32 v18, v19, v18, vcc
	v_and_b32_e32 v7, 0x78, v68
	v_or_b32_e32 v11, v11, v13
	v_or_b32_e32 v21, v21, v13
	;; [unrolled: 1-line block ×4, first 2 shown]
	v_and_b32_e32 v12, 12, v26
	v_lshl_or_b32 v7, v66, 7, v7
	v_lshlrev_b32_e32 v8, 13, v8
	v_xor_b32_e32 v11, v11, v16
	v_xor_b32_e32 v21, v21, v16
	;; [unrolled: 1-line block ×4, first 2 shown]
	v_or_b32_e32 v83, 0x9000, v7
	v_or_b32_e32 v87, 0x9800, v7
	v_lshl_add_u64 v[6:7], s[20:21], 0, v[4:5]
	v_lshl_add_u64 v[4:5], s[14:15], 0, v[4:5]
	v_lshlrev_b32_e32 v14, 1, v3
	v_add_lshl_u32 v3, v3, s31, 1
	v_or_b32_e32 v15, 0x100, v2
	v_or_b32_e32 v10, v12, v45
	v_add_u32_e32 v20, v8, v11
	v_add_u32_e32 v22, v8, v21
	v_add_u32_e32 v24, v8, v23
	v_add_u32_e32 v16, v8, v13
	v_or3_b32 v12, v45, v12, 64
	v_add_u32_e32 v11, 0x2000, v11
	v_add_u32_e32 v18, 0x2000, v21
	v_add_u32_e32 v19, 0x2000, v23
	v_add_u32_e32 v13, 0x2000, v13
	v_lshlrev_b32_e32 v8, 8, v70
	v_cndmask_b32_e64 v89, v14, v2, s[0:1]
	v_cndmask_b32_e64 v90, v3, v15, s[0:1]
	v_lshl_add_u64 v[62:63], v[6:7], 0, v[8:9]
	v_lshl_add_u64 v[64:65], v[4:5], 0, v[8:9]
	s_mov_b32 s3, 0x7060302
	s_movk_i32 s6, 0x4000
	v_lshlrev_b32_e32 v91, 2, v10
	v_add_u32_e32 v92, v20, v17
	v_add_u32_e32 v93, v22, v17
	;; [unrolled: 1-line block ×4, first 2 shown]
	v_lshlrev_b32_e32 v96, 2, v12
	v_add_u32_e32 v97, v11, v17
	v_add_u32_e32 v98, v18, v17
	;; [unrolled: 1-line block ×4, first 2 shown]
	s_waitcnt lgkmcnt(0)
	s_barrier
.LBB593_6:                              ; =>This Inner Loop Header: Depth=1
	s_add_i32 s41, s66, 1
	s_cmp_lt_i32 s41, s55
	s_mov_b64 s[36:37], 0
	s_cselect_b64 s[46:47], -1, 0
	s_cmp_ge_i32 s41, s55
	s_mov_b64 s[4:5], 0
	s_cbranch_scc1 .LBB593_8
; %bb.7:                                ;   in Loop: Header=BB593_6 Depth=1
	s_add_i32 s0, s61, 64
	s_ashr_i32 s1, s0, 31
	s_add_u32 s0, s59, s0
	s_addc_u32 s1, s58, s1
	s_lshl_b64 s[0:1], s[0:1], 8
	s_add_u32 s4, s18, s0
	s_addc_u32 s5, s19, s1
.LBB593_8:                              ;   in Loop: Header=BB593_6 Depth=1
	v_cndmask_b32_e64 v2, 0, 1, s[46:47]
	v_cmp_ne_u32_e64 s[0:1], 1, v2
	s_andn2_b64 vcc, exec, s[46:47]
	s_cbranch_vccnz .LBB593_10
; %bb.9:                                ;   in Loop: Header=BB593_6 Depth=1
	s_add_i32 s36, s61, 64
	s_mul_hi_i32 s37, s36, s30
	s_mul_i32 s36, s36, s30
	s_add_u32 s36, s36, s57
	s_addc_u32 s37, s37, s62
	s_lshl_b64 s[36:37], s[36:37], 8
	s_add_u32 s36, s16, s36
	s_addc_u32 s37, s17, s37
.LBB593_10:                             ;   in Loop: Header=BB593_6 Depth=1
	v_perm_b32 v3, v57, v56, s3
	v_perm_b32 v2, v53, v52, s3
	;; [unrolled: 1-line block ×4, first 2 shown]
	ds_write_b64 v78, v[2:3]
	ds_write_b64 v79, v[4:5]
	;; [unrolled: 1-line block ×4, first 2 shown]
	s_waitcnt lgkmcnt(0)
	s_barrier
	ds_read_b64 v[10:11], v82 offset:16384
	ds_read_b64 v[12:13], v84 offset:16384
	ds_read2st64_b64 v[2:5], v83 offset1:1
	s_waitcnt lgkmcnt(0)
	v_mfma_f32_16x16x16_bf16 a[0:3], v[10:11], v[2:3], 0
	ds_read2st64_b64 v[6:9], v83 offset0:2 offset1:3
	ds_read_b64 v[14:15], v85 offset:16384
	ds_read_b64 v[2:3], v86 offset:16384
	s_add_i32 s43, s61, 63
	v_mfma_f32_16x16x16_bf16 a[0:3], v[12:13], v[4:5], a[0:3]
	s_ashr_i32 s39, s43, 31
	s_mul_i32 s46, s43, s11
	s_mul_hi_u32 s47, s43, s10
	s_waitcnt lgkmcnt(1)
	v_mfma_f32_16x16x16_bf16 a[0:3], v[14:15], v[6:7], a[0:3]
	s_add_i32 s46, s47, s46
	s_mul_i32 s39, s39, s10
	s_add_i32 s47, s46, s39
	s_mul_i32 s46, s43, s10
	s_waitcnt lgkmcnt(0)
	v_mfma_f32_16x16x16_bf16 a[0:3], v[2:3], v[8:9], a[0:3]
	s_lshl_b64 s[46:47], s[46:47], 2
	s_add_u32 s46, s44, s46
	s_addc_u32 s47, s45, s47
	s_and_b64 vcc, exec, s[0:1]
	v_mov_b32_e32 v104, 0
	v_mov_b32_e32 v103, 0
	;; [unrolled: 1-line block ×19, first 2 shown]
	s_cbranch_vccnz .LBB593_12
; %bb.11:                               ;   in Loop: Header=BB593_6 Depth=1
	s_and_b32 s5, s5, 0xffff
	buffer_load_dwordx4 v[14:17], v74, s[4:7], 0 offen
	buffer_load_dwordx4 v[10:13], v74, s[4:7], s63 offen
	buffer_load_dwordx4 v[6:9], v75, s[4:7], 0 offen
	buffer_load_dwordx4 v[2:5], v75, s[4:7], s63 offen
	v_mov_b32_e32 v103, v76
	v_mov_b32_e32 v102, v77
.LBB593_12:                             ;   in Loop: Header=BB593_6 Depth=1
	v_add_u32_e32 v22, s61, v70
	v_ashrrev_i32_e32 v18, 31, v22
	v_mul_lo_u32 v20, v18, s10
	v_mul_lo_u32 v21, v22, s11
	v_mad_u64_u32 v[18:19], s[4:5], v22, s10, 0
	v_add3_u32 v19, v19, v21, v20
	v_lshl_add_u64 v[18:19], v[18:19], 2, s[44:45]
	global_load_dword v34, v[18:19], off
	v_add_u32_e32 v18, 1, v22
	v_ashrrev_i32_e32 v19, 31, v18
	v_mul_lo_u32 v20, v19, s10
	v_mul_lo_u32 v21, v18, s11
	v_mad_u64_u32 v[18:19], s[4:5], v18, s10, 0
	v_add3_u32 v19, v19, v21, v20
	v_add_u32_e32 v20, 2, v22
	v_ashrrev_i32_e32 v21, 31, v20
	v_mul_lo_u32 v23, v21, s10
	v_mul_lo_u32 v24, v20, s11
	v_mad_u64_u32 v[20:21], s[4:5], v20, s10, 0
	v_add_u32_e32 v22, 3, v22
	v_add3_u32 v21, v21, v24, v23
	v_ashrrev_i32_e32 v23, 31, v22
	v_mul_lo_u32 v26, v23, s10
	v_mul_lo_u32 v27, v22, s11
	v_mad_u64_u32 v[22:23], s[4:5], v22, s10, 0
	s_ashr_i32 s5, s61, 31
	s_add_u32 s4, s59, s61
	s_addc_u32 s5, s58, s5
	s_lshl_b64 s[68:69], s[4:5], 8
	v_lshl_add_u64 v[18:19], v[18:19], 2, s[44:45]
	v_lshl_add_u64 v[24:25], v[62:63], 0, s[68:69]
	v_add3_u32 v23, v23, v27, v26
	v_lshl_add_u64 v[20:21], v[20:21], 2, s[44:45]
	global_load_ushort v35, v[24:25], off
	global_load_ushort v36, v[24:25], off offset:256
	global_load_ushort v37, v[24:25], off offset:512
	;; [unrolled: 1-line block ×3, first 2 shown]
	v_lshl_add_u64 v[22:23], v[22:23], 2, s[44:45]
	global_load_dword v39, v[18:19], off
	global_load_dword v40, v[20:21], off
	;; [unrolled: 1-line block ×3, first 2 shown]
	ds_read_b64 v[22:23], v82 offset:24576
	ds_read_b64 v[28:29], v84 offset:24576
	ds_read2st64_b64 v[18:21], v87 offset1:1
	s_waitcnt lgkmcnt(0)
	v_mfma_f32_16x16x16_bf16 a[0:3], v[22:23], v[18:19], a[0:3]
	s_load_dword s4, s[46:47], 0x0
	ds_read2st64_b64 v[24:27], v87 offset0:2 offset1:3
	ds_read_b64 v[30:31], v85 offset:24576
	ds_read_b64 v[32:33], v86 offset:24576
	v_mov_b32_e32 v105, 0
	v_mfma_f32_16x16x16_bf16 a[0:3], v[28:29], v[20:21], a[0:3]
	v_mov_b32_e32 v18, 0
	v_mov_b32_e32 v19, 0
	;; [unrolled: 1-line block ×3, first 2 shown]
	s_waitcnt lgkmcnt(0)
	v_mfma_f32_16x16x16_bf16 a[0:3], v[30:31], v[24:25], a[0:3]
	v_lshl_add_u64 v[24:25], v[64:65], 0, s[68:69]
	v_mov_b32_e32 v21, 0
	v_mov_b32_e32 v22, 0
	v_mfma_f32_16x16x16_bf16 a[0:3], v[32:33], v[26:27], a[0:3]
	v_mov_b32_e32 v23, 0
	s_and_b64 vcc, exec, s[0:1]
	s_waitcnt vmcnt(7)
	v_sub_f32_e32 v34, s4, v34
	s_nop 2
	v_accvgpr_read_b32 v29, a1
	v_accvgpr_read_b32 v27, a3
	;; [unrolled: 1-line block ×4, first 2 shown]
	v_mul_f32_e32 v34, 0x3fb8aa3b, v34
	s_waitcnt vmcnt(6)
	v_lshlrev_b32_e32 v30, 16, v35
	s_waitcnt vmcnt(5)
	v_lshlrev_b32_e32 v31, 16, v36
	;; [unrolled: 2-line block ×4, first 2 shown]
	s_waitcnt vmcnt(2)
	v_sub_f32_e32 v35, s4, v39
	s_waitcnt vmcnt(1)
	v_sub_f32_e32 v36, s4, v40
	;; [unrolled: 2-line block ×3, first 2 shown]
	v_pk_add_f32 v[28:29], v[30:31], v[28:29] neg_lo:[0,1] neg_hi:[0,1]
	v_pk_add_f32 v[26:27], v[32:33], v[26:27] neg_lo:[0,1] neg_hi:[0,1]
	v_mul_f32_e32 v31, 0x3fb8aa3b, v35
	v_mul_f32_e32 v32, 0x3fb8aa3b, v36
	;; [unrolled: 1-line block ×3, first 2 shown]
	v_exp_f32_e32 v30, v34
	v_exp_f32_e32 v31, v31
	;; [unrolled: 1-line block ×4, first 2 shown]
	global_store_short_d16_hi v[24:25], v28, off
	global_store_short_d16_hi v[24:25], v29, off offset:256
	global_store_short_d16_hi v[24:25], v26, off offset:512
	;; [unrolled: 1-line block ×3, first 2 shown]
	v_pk_mul_f32 v[24:25], v[30:31], v[28:29]
	v_pk_mul_f32 v[26:27], v[32:33], v[26:27]
	v_mov_b32_e32 v28, 0
	v_perm_b32 v27, v27, v26, s3
	v_perm_b32 v26, v25, v24, s3
	ds_write_b64 v79, v[26:27]
	v_mov_b32_e32 v24, 0
	v_mov_b32_e32 v25, 0
	;; [unrolled: 1-line block ×9, first 2 shown]
	s_cbranch_vccnz .LBB593_14
; %bb.13:                               ;   in Loop: Header=BB593_6 Depth=1
	s_and_b32 s37, s37, 0xffff
	s_mov_b32 s39, s7
	buffer_load_dwordx4 v[30:33], v89, s[36:39], 0 offen
	buffer_load_dwordx4 v[22:25], v89, s[36:39], s63 offen
	;; [unrolled: 1-line block ×4, first 2 shown]
	v_mov_b32_e32 v104, v73
	v_mov_b32_e32 v105, v72
.LBB593_14:                             ;   in Loop: Header=BB593_6 Depth=1
	s_waitcnt lgkmcnt(0)
	s_barrier
	ds_read_b64 v[34:35], v92
	ds_read_b64 v[40:41], v93
	ds_read2st64_b64 v[36:39], v87 offset1:1
	ds_read2st64_b64 v[106:109], v87 offset0:2 offset1:3
	ds_read_b64 v[42:43], v94
	ds_read_b64 v[114:115], v95
	s_add_i32 s5, s60, s66
	s_mul_hi_i32 s37, s5, s29
	s_mul_i32 s5, s5, s29
	s_waitcnt lgkmcnt(3)
	v_mfma_f32_16x16x16_bf16 a[0:3], v[34:35], v[36:37], 0
	ds_read_b64 v[34:35], v97
	s_add_u32 s36, s5, s33
	s_addc_u32 s37, s37, s48
	v_mfma_f32_16x16x16_bf16 a[0:3], v[40:41], v[38:39], a[0:3]
	ds_read_b64 v[40:41], v98
	s_lshl_b64 s[36:37], s[36:37], 15
	s_mul_i32 s39, s43, s29
	s_mul_hi_i32 s5, s43, s29
	s_add_u32 s46, s39, s33
	s_addc_u32 s47, s5, s48
	s_lshl_b64 s[46:47], s[46:47], 9
	s_add_u32 s46, s8, s46
	s_waitcnt lgkmcnt(1)
	v_mfma_f32_16x16x16_bf16 a[4:7], v[34:35], v[36:37], 0
	s_addc_u32 s47, s9, s47
	s_and_b64 vcc, exec, s[0:1]
	v_mfma_f32_16x16x16_bf16 a[0:3], v[42:43], v[106:107], a[0:3]
	ds_read_b64 v[42:43], v99
	ds_read_b64 v[116:117], v100
	global_load_dwordx4 v[34:37], v96, s[46:47]
	s_waitcnt lgkmcnt(2)
	v_mfma_f32_16x16x16_bf16 a[4:7], v[40:41], v[38:39], a[4:7]
	global_load_dwordx4 v[38:41], v91, s[46:47]
	ds_read_b64 v[110:111], v59
	ds_read_b64 v[112:113], v88
	s_waitcnt lgkmcnt(3)
	v_mfma_f32_16x16x16_bf16 a[8:11], v[42:43], v[106:107], a[4:7]
	v_lshl_add_u64 v[42:43], v[60:61], 0, s[36:37]
	s_waitcnt lgkmcnt(0)
	global_store_dwordx4 v[42:43], v[110:113], off
	v_mfma_f32_16x16x16_bf16 a[4:7], v[114:115], v[108:109], a[0:3]
	s_waitcnt vmcnt(2)
	v_mov_b32_e32 v44, v37
	v_mfma_f32_16x16x16_bf16 a[0:3], v[116:117], v[108:109], a[8:11]
	v_mov_b32_e32 v43, v36
	v_mov_b32_e32 v42, v35
	s_cbranch_vccnz .LBB593_16
; %bb.15:                               ;   in Loop: Header=BB593_6 Depth=1
	v_lshrrev_b32_e32 v35, 3, v104
	v_and_b32_e32 v35, 6, v35
	v_xor_b32_e32 v36, v35, v105
	v_lshlrev_b32_e32 v36, 2, v36
	v_and_b32_e32 v37, 8, v104
	v_xor_b32_e32 v104, 0x440, v36
	v_cmp_eq_u32_e32 vcc, 0, v37
	v_perm_b32 v37, v22, v18, s64
	s_nop 0
	v_cndmask_b32_e32 v36, v104, v36, vcc
	v_lshl_or_b32 v35, v35, 10, v36
	v_perm_b32 v36, v30, v26, s64
	s_barrier
	ds_write2st64_b32 v35, v36, v37 offset1:32
	v_xor_b32_e32 v36, 8, v35
	v_perm_b32 v26, v30, v26, s65
	v_perm_b32 v18, v22, v18, s65
	v_add_u32_e32 v22, 0x80, v36
	ds_write2st64_b32 v22, v26, v18 offset1:32
	v_xor_b32_e32 v18, 16, v35
	v_perm_b32 v22, v31, v27, s64
	v_perm_b32 v26, v23, v19, s64
	ds_write2st64_b32 v18, v22, v26 offset0:1 offset1:33
	v_xor_b32_e32 v18, 24, v35
	v_perm_b32 v22, v31, v27, s65
	v_perm_b32 v19, v23, v19, s65
	v_add_u32_e32 v18, 0x80, v18
	ds_write2st64_b32 v18, v22, v19 offset0:1 offset1:33
	v_xor_b32_e32 v18, 32, v35
	v_perm_b32 v19, v32, v28, s64
	v_perm_b32 v22, v24, v20, s64
	ds_write2st64_b32 v18, v19, v22 offset0:2 offset1:34
	v_xor_b32_e32 v18, 40, v35
	v_perm_b32 v19, v32, v28, s65
	v_perm_b32 v20, v24, v20, s65
	v_add_u32_e32 v18, 0x80, v18
	ds_write2st64_b32 v18, v19, v20 offset0:2 offset1:34
	;; [unrolled: 9-line block ×3, first 2 shown]
	ds_write_b64 v103, v[14:15] offset:16384
	v_xor_b32_e32 v14, 8, v103
	ds_write_b64 v14, v[16:17] offset:16384
	ds_write_b64 v103, v[10:11] offset:24576
	;; [unrolled: 1-line block ×4, first 2 shown]
	v_xor_b32_e32 v6, 8, v102
	ds_write_b64 v6, v[8:9] offset:16384
	ds_write_b64 v102, v[2:3] offset:24576
	;; [unrolled: 1-line block ×3, first 2 shown]
.LBB593_16:                             ;   in Loop: Header=BB593_6 Depth=1
	v_mul_f32_e32 v6, s4, v101
	v_exp_f32_e32 v10, v6
	s_waitcnt vmcnt(1)
	v_mul_f32_e32 v6, 0x3fb8aa3b, v38
	v_exp_f32_e32 v12, v6
	v_mul_f32_e32 v6, 0x3fb8aa3b, v39
	v_exp_f32_e32 v13, v6
	;; [unrolled: 2-line block ×4, first 2 shown]
	v_accvgpr_read_b32 v2, a4
	v_accvgpr_read_b32 v3, a5
	v_pk_mul_f32 v[12:13], v[10:11], v[12:13] op_sel_hi:[0,1]
	v_pk_fma_f32 v[52:53], v[52:53], v[12:13], v[2:3]
	v_pk_mul_f32 v[2:3], v[10:11], v[14:15] op_sel_hi:[0,1]
	v_mul_f32_e32 v11, 0x3fb8aa3b, v34
	v_exp_f32_e32 v12, v11
	v_mul_f32_e32 v11, 0x3fb8aa3b, v42
	v_exp_f32_e32 v13, v11
	;; [unrolled: 2-line block ×4, first 2 shown]
	v_accvgpr_read_b32 v4, a6
	v_accvgpr_read_b32 v5, a7
	v_accvgpr_read_b32 v9, a3
	v_accvgpr_read_b32 v7, a1
	v_accvgpr_read_b32 v6, a0
	v_pk_fma_f32 v[56:57], v[56:57], v[2:3], v[4:5]
	v_pk_mul_f32 v[2:3], v[10:11], v[12:13] op_sel_hi:[0,1]
	v_accvgpr_read_b32 v8, a2
	v_pk_fma_f32 v[50:51], v[50:51], v[2:3], v[6:7]
	v_pk_mul_f32 v[2:3], v[10:11], v[14:15] op_sel_hi:[0,1]
	s_add_i32 s61, s61, 64
	s_cmp_eq_u32 s55, s41
	v_pk_fma_f32 v[54:55], v[54:55], v[2:3], v[8:9]
	s_cbranch_scc1 .LBB593_18
; %bb.17:                               ;   in Loop: Header=BB593_6 Depth=1
	s_mov_b32 s66, s41
	s_branch .LBB593_6
.LBB593_18:
	s_lshl_b32 s0, s55, 6
	s_sub_i32 s46, s56, s0
	s_cmp_gt_i32 s46, 0
	s_cbranch_scc0 .LBB593_75
; %bb.19:
	s_add_i32 s34, s0, s34
	s_ashr_i32 s3, s34, 31
	s_cmpk_lg_i32 s31, 0x80
	s_cselect_b64 s[38:39], -1, 0
	s_and_b64 vcc, exec, s[38:39]
	s_cbranch_vccz .LBB593_21
; %bb.20:
	s_mul_i32 s1, s34, s30
	s_ashr_i32 s4, s57, 31
	s_mul_hi_i32 s0, s34, s30
	s_add_u32 s44, s1, s57
	s_addc_u32 s45, s0, s4
	s_cbranch_execz .LBB593_22
	s_branch .LBB593_23
.LBB593_21:
                                        ; implicit-def: $sgpr44_sgpr45
.LBB593_22:
	s_mul_i32 s1, s57, s28
	s_mul_hi_i32 s0, s57, s28
	s_add_u32 s44, s1, s34
	s_addc_u32 s45, s0, s3
.LBB593_23:
	s_waitcnt lgkmcnt(0)
	s_add_i32 s4, s55, s60
	s_add_u32 s0, s59, s34
	s_addc_u32 s1, s58, s3
	s_mov_b32 s3, 0x7060302
	v_lshlrev_b32_e32 v6, 3, v67
	s_lshl_b64 s[36:37], s[0:1], 8
	v_perm_b32 v3, v57, v56, s3
	v_perm_b32 v2, v53, v52, s3
	;; [unrolled: 1-line block ×4, first 2 shown]
	v_lshlrev_b32_e32 v34, 2, v67
	v_lshl_or_b32 v6, v70, 5, v6
	s_add_u32 s0, s18, s36
	ds_write2st64_b64 v6, v[2:3], v[4:5] offset0:72 offset1:76
	v_xor_b32_e32 v6, v70, v34
	v_lshlrev_b32_e32 v7, 8, v67
	s_addc_u32 s1, s19, s37
	v_lshl_or_b32 v6, v6, 1, v7
	s_mul_hi_i32 s3, s4, s29
	s_mul_i32 s4, s4, s29
	ds_write_b64 v6, v[2:3] offset:32768
	v_xor_b32_e32 v2, v71, v34
	s_add_u32 s4, s4, s33
	v_lshl_or_b32 v2, v2, 1, v7
	s_addc_u32 s5, s3, s48
	v_lshlrev_b32_e32 v3, 1, v67
	ds_write_b64 v2, v[4:5] offset:32768
	v_lshrrev_b32_e32 v2, 4, v0
	s_ashr_i32 s3, s2, 31
	s_lshl_b64 s[4:5], s[4:5], 15
	v_or_b32_e32 v4, 1, v3
	s_add_u32 s4, s12, s4
	v_xor_b32_e32 v3, v2, v3
	v_xor_b32_e32 v4, v4, v2
	v_lshlrev_b32_e32 v6, 8, v2
	s_addc_u32 s5, s13, s5
	s_lshl_b64 s[2:3], s[2:3], 8
	v_lshl_or_b32 v2, v3, 3, v6
	v_lshl_or_b32 v4, v4, 3, v6
	s_waitcnt lgkmcnt(0)
	s_barrier
	s_add_u32 s2, s4, s2
	ds_read_b64 v[2:3], v2 offset:32768
	ds_read_b64 v[4:5], v4 offset:32768
	s_addc_u32 s3, s5, s3
	v_mov_b32_e32 v7, 0
	s_cmp_lg_u32 s46, 64
	v_lshl_add_u64 v[8:9], s[2:3], 0, v[6:7]
	v_lshlrev_b32_e32 v6, 4, v67
	s_cselect_b64 s[18:19], -1, 0
	v_lshl_or_b32 v36, v1, 3, v69
	s_mov_b32 s4, 0
	v_lshl_add_u64 v[6:7], v[8:9], 0, v[6:7]
	v_or_b32_e32 v19, 32, v36
	v_and_b32_e32 v18, 56, v68
	s_and_b64 vcc, exec, s[18:19]
	s_waitcnt lgkmcnt(0)
	global_store_dwordx4 v[6:7], v[2:5], off
	s_cbranch_vccz .LBB593_29
; %bb.24:
	s_mov_b32 s6, s4
	s_mov_b32 s7, s4
	;; [unrolled: 1-line block ×3, first 2 shown]
	v_mov_b64_e32 v[8:9], s[6:7]
	v_mov_b64_e32 v[6:7], s[4:5]
	;; [unrolled: 1-line block ×3, first 2 shown]
	v_cmp_gt_i32_e32 vcc, s46, v36
	v_mov_b64_e32 v[4:5], v[8:9]
	s_and_saveexec_b64 s[2:3], vcc
	s_cbranch_execz .LBB593_26
; %bb.25:
	v_lshlrev_b32_e32 v2, 8, v36
	v_mov_b32_e32 v3, 0
	v_lshl_add_u64 v[4:5], s[0:1], 0, v[2:3]
	v_lshlrev_b32_e32 v2, 1, v18
	v_lshl_add_u64 v[10:11], v[4:5], 0, v[2:3]
	global_load_dwordx4 v[6:9], v[10:11], off
	global_load_dwordx4 v[2:5], v[10:11], off offset:128
.LBB593_26:
	s_or_b64 exec, exec, s[2:3]
	s_mov_b32 s6, s4
	s_mov_b32 s7, s4
	;; [unrolled: 1-line block ×3, first 2 shown]
	v_mov_b64_e32 v[16:17], s[6:7]
	v_mov_b64_e32 v[14:15], s[4:5]
	;; [unrolled: 1-line block ×3, first 2 shown]
	v_cmp_gt_i32_e32 vcc, s46, v19
	v_lshlrev_b32_e32 v20, 7, v19
	v_mov_b64_e32 v[12:13], v[16:17]
	s_and_saveexec_b64 s[2:3], vcc
	s_cbranch_execz .LBB593_28
; %bb.27:
	v_lshlrev_b32_e32 v10, 1, v20
	v_mov_b32_e32 v11, 0
	v_lshl_add_u64 v[12:13], s[0:1], 0, v[10:11]
	v_lshlrev_b32_e32 v10, 1, v18
	v_lshl_add_u64 v[22:23], v[12:13], 0, v[10:11]
	global_load_dwordx4 v[14:17], v[22:23], off
	global_load_dwordx4 v[10:13], v[22:23], off offset:128
.LBB593_28:
	s_or_b64 exec, exec, s[2:3]
	v_lshrrev_b32_e32 v21, 3, v18
	v_lshlrev_b32_e32 v22, 3, v36
	v_or_b32_e32 v21, v22, v21
	v_lshlrev_b32_e32 v21, 4, v21
	v_and_b32_e32 v22, 0x78, v22
	v_xor_b32_e32 v21, v21, v22
	s_branch .LBB593_31
.LBB593_29:
                                        ; implicit-def: $vgpr21
                                        ; implicit-def: $vgpr20
                                        ; implicit-def: $vgpr6_vgpr7_vgpr8_vgpr9
                                        ; implicit-def: $vgpr2_vgpr3_vgpr4_vgpr5
                                        ; implicit-def: $vgpr14_vgpr15_vgpr16_vgpr17
                                        ; implicit-def: $vgpr10_vgpr11_vgpr12_vgpr13
	s_cbranch_execz .LBB593_31
; %bb.30:
	s_waitcnt vmcnt(0)
	v_lshlrev_b32_e32 v2, 1, v18
	v_lshl_or_b32 v20, v36, 8, v2
	s_and_b32 s1, s1, 0xffff
	s_mov_b32 s3, 0x20000
	s_movk_i32 s2, 0x4000
	v_lshl_or_b32 v21, v19, 8, v2
	s_movk_i32 s4, 0x80
	buffer_load_dwordx4 v[6:9], v20, s[0:3], 0 offen
	buffer_load_dwordx4 v[2:5], v20, s[0:3], s4 offen
	;; [unrolled: 1-line block ×4, first 2 shown]
	v_lshrrev_b32_e32 v20, 3, v18
	v_lshlrev_b32_e32 v21, 3, v36
	v_or_b32_e32 v20, v21, v20
	v_lshlrev_b32_e32 v20, 4, v20
	v_and_b32_e32 v21, 0x78, v21
	v_xor_b32_e32 v21, v20, v21
	v_lshlrev_b32_e32 v20, 7, v19
.LBB593_31:
	s_lshl_b64 s[0:1], s[44:45], 8
	s_add_u32 s4, s16, s0
	s_movk_i32 s0, 0x1000
	v_and_or_b32 v19, v20, s0, v21
	s_waitcnt vmcnt(1)
	ds_write_b64 v21, v[6:7] offset:16384
	v_xor_b32_e32 v6, 8, v21
	ds_write_b64 v6, v[8:9] offset:16384
	s_waitcnt vmcnt(0)
	ds_write_b64 v21, v[2:3] offset:24576
	ds_write_b64 v6, v[4:5] offset:24576
	;; [unrolled: 1-line block ×3, first 2 shown]
	v_xor_b32_e32 v2, 8, v19
	ds_write_b64 v2, v[16:17] offset:16384
	ds_write_b64 v19, v[10:11] offset:24576
	;; [unrolled: 1-line block ×3, first 2 shown]
	v_or_b32_e32 v2, v45, v67
	v_lshlrev_b32_e32 v2, 3, v2
	v_lshrrev_b32_e32 v4, 5, v49
	s_movk_i32 s6, 0xf8
	v_and_or_b32 v4, v2, s6, v4
	v_lshlrev_b32_e32 v35, 11, v1
	v_lshlrev_b32_e32 v12, 4, v4
	v_and_b32_e32 v13, 0x78, v2
	v_and_b32_e32 v14, 0x1000, v35
	v_lshlrev_b32_e32 v3, 2, v0
	v_xor_b32_e32 v2, v12, v13
	v_lshrrev_b32_e32 v4, 1, v49
	v_and_b32_e32 v3, 60, v3
	v_or_b32_e32 v2, v2, v14
	v_and_b32_e32 v15, 8, v4
	v_xor_b32_e32 v26, v2, v15
	v_lshl_or_b32 v2, v66, 6, v3
	v_lshlrev_b32_e32 v37, 1, v2
	v_or_b32_e32 v2, 32, v12
	v_xor_b32_e32 v2, v2, v13
	s_waitcnt lgkmcnt(0)
	s_barrier
	ds_read_b64 v[10:11], v26 offset:16384
	v_or_b32_e32 v2, v2, v14
	v_xor_b32_e32 v27, v2, v15
	v_or_b32_e32 v2, 64, v12
	v_xor_b32_e32 v2, v2, v13
	v_or_b32_e32 v2, v2, v14
	v_or_b32_e32 v12, 0x60, v12
	v_xor_b32_e32 v28, v2, v15
	ds_read2st64_b64 v[2:5], v37 offset0:72 offset1:73
	ds_read2st64_b64 v[6:9], v37 offset0:74 offset1:75
	v_xor_b32_e32 v16, v12, v13
	ds_read_b64 v[12:13], v27 offset:16384
	s_addc_u32 s5, s17, s1
	s_add_i32 s0, s50, s49
	s_waitcnt lgkmcnt(2)
	v_mfma_f32_16x16x16_bf16 a[0:3], v[10:11], v[2:3], 0
	s_add_i32 s17, s35, -1
	s_add_i32 s43, s0, s51
	s_add_i32 s0, s53, s52
	;; [unrolled: 1-line block ×3, first 2 shown]
	s_ashr_i32 s0, s17, 31
	s_mul_i32 s1, s17, s11
	s_mul_hi_u32 s2, s17, s10
	s_add_i32 s1, s2, s1
	s_mul_i32 s0, s0, s10
	v_or_b32_e32 v14, v16, v14
	s_add_i32 s1, s1, s0
	s_lshl_b64 s[2:3], s[42:43], 2
	v_xor_b32_e32 v38, v14, v15
	ds_read_b64 v[14:15], v28 offset:16384
	ds_read_b64 v[16:17], v38 offset:16384
	s_waitcnt lgkmcnt(2)
	v_mfma_f32_16x16x16_bf16 a[0:3], v[12:13], v[4:5], a[0:3]
	s_add_u32 s6, s22, s2
	s_addc_u32 s7, s23, s3
	s_lshl_b64 s[2:3], s[40:41], 2
	s_mul_i32 s0, s17, s10
	s_add_u32 s12, s6, s2
	s_addc_u32 s13, s7, s3
	s_lshl_b64 s[0:1], s[0:1], 2
	s_waitcnt lgkmcnt(1)
	v_mfma_f32_16x16x16_bf16 a[0:3], v[14:15], v[6:7], a[0:3]
	s_add_u32 s0, s12, s0
	s_addc_u32 s1, s13, s1
	s_load_dword s16, s[0:1], 0x0
	s_waitcnt lgkmcnt(0)
	v_mfma_f32_16x16x16_bf16 a[0:3], v[16:17], v[8:9], a[0:3]
	s_and_b64 vcc, exec, s[38:39]
	s_cbranch_vccz .LBB593_42
; %bb.32:
	v_lshlrev_b32_e32 v19, 1, v36
	s_and_b64 vcc, exec, s[18:19]
	s_cbranch_vccz .LBB593_43
; %bb.33:
	v_cmp_gt_i32_e32 vcc, s46, v19
	v_mov_b32_e32 v6, 0
	v_mov_b32_e32 v2, 0
	;; [unrolled: 1-line block ×5, first 2 shown]
	s_and_saveexec_b64 s[0:1], vcc
	s_cbranch_execz .LBB593_35
; %bb.34:
	v_mad_i64_i32 v[2:3], s[2:3], s31, v19, 0
	v_lshl_add_u64 v[2:3], v[2:3], 1, s[4:5]
	v_lshlrev_b32_e32 v4, 1, v18
	v_mov_b32_e32 v5, 0
	v_lshl_add_u64 v[2:3], v[2:3], 0, v[4:5]
	global_load_dwordx4 v[2:5], v[2:3], off
.LBB593_35:
	s_or_b64 exec, exec, s[0:1]
	v_or_b32_e32 v20, 1, v19
	v_cmp_gt_i32_e64 s[0:1], s46, v20
	v_mov_b32_e32 v7, 0
	v_mov_b32_e32 v8, 0
	;; [unrolled: 1-line block ×3, first 2 shown]
	s_and_saveexec_b64 s[2:3], s[0:1]
	s_cbranch_execz .LBB593_37
; %bb.36:
	v_mad_i64_i32 v[6:7], s[6:7], s31, v20, 0
	v_lshl_add_u64 v[6:7], v[6:7], 1, s[4:5]
	v_lshlrev_b32_e32 v8, 1, v18
	v_mov_b32_e32 v9, 0
	v_lshl_add_u64 v[6:7], v[6:7], 0, v[8:9]
	global_load_dwordx4 v[6:9], v[6:7], off
.LBB593_37:
	s_or_b64 exec, exec, s[2:3]
	v_mov_b32_e32 v17, 0
	v_mov_b32_e32 v10, 0
	;; [unrolled: 1-line block ×5, first 2 shown]
	s_and_saveexec_b64 s[2:3], vcc
	s_cbranch_execz .LBB593_39
; %bb.38:
	v_mad_i64_i32 v[10:11], s[6:7], s31, v19, 0
	v_lshl_add_u64 v[10:11], v[10:11], 1, s[4:5]
	v_lshlrev_b32_e32 v12, 1, v18
	v_mov_b32_e32 v13, 0
	v_lshl_add_u64 v[10:11], v[10:11], 0, v[12:13]
	global_load_dwordx4 v[10:13], v[10:11], off offset:128
.LBB593_39:
	s_or_b64 exec, exec, s[2:3]
	v_mov_b32_e32 v16, 0
	v_mov_b32_e32 v15, 0
	;; [unrolled: 1-line block ×3, first 2 shown]
	s_and_saveexec_b64 s[2:3], s[0:1]
	s_cbranch_execz .LBB593_41
; %bb.40:
	v_mad_i64_i32 v[14:15], s[0:1], s31, v20, 0
	v_lshl_add_u64 v[14:15], v[14:15], 1, s[4:5]
	v_lshlrev_b32_e32 v16, 1, v18
	v_mov_b32_e32 v17, 0
	v_lshl_add_u64 v[14:15], v[14:15], 0, v[16:17]
	global_load_dwordx4 v[14:17], v[14:15], off offset:128
.LBB593_41:
	s_or_b64 exec, exec, s[2:3]
	s_branch .LBB593_45
.LBB593_42:
                                        ; implicit-def: $vgpr5
                                        ; implicit-def: $vgpr9
                                        ; implicit-def: $vgpr13
                                        ; implicit-def: $vgpr17
	v_lshrrev_b32_e32 v19, 2, v49
	s_branch .LBB593_46
.LBB593_43:
                                        ; implicit-def: $vgpr5
                                        ; implicit-def: $vgpr9
                                        ; implicit-def: $vgpr13
                                        ; implicit-def: $vgpr17
	s_cbranch_execz .LBB593_45
; %bb.44:
	s_waitcnt vmcnt(0)
	v_mad_u64_u32 v[2:3], s[0:1], v19, s31, v[18:19]
	v_lshlrev_b32_e32 v19, 1, v2
	s_lshl_b32 s2, s31, 7
	s_and_b32 s1, s5, 0xffff
	s_mov_b32 s3, 0x20000
	s_mov_b32 s0, s4
	v_add_lshl_u32 v20, v2, s31, 1
	s_movk_i32 s6, 0x80
	buffer_load_dwordx4 v[2:5], v19, s[0:3], 0 offen
	buffer_load_dwordx4 v[10:13], v19, s[0:3], s6 offen
	;; [unrolled: 1-line block ×4, first 2 shown]
.LBB593_45:
	v_lshrrev_b32_e32 v19, 2, v49
	s_cbranch_execnz .LBB593_58
.LBB593_46:
	s_and_b64 vcc, exec, s[18:19]
	s_cbranch_vccz .LBB593_56
; %bb.47:
	s_waitcnt vmcnt(0)
	v_lshlrev_b32_e32 v7, 1, v36
	v_cmp_gt_i32_e32 vcc, s46, v7
	v_mov_b32_e32 v6, 0
	v_lshlrev_b32_e32 v14, 9, v36
	v_mov_b32_e32 v2, 0
	v_mov_b32_e32 v3, 0
	;; [unrolled: 1-line block ×4, first 2 shown]
	s_and_saveexec_b64 s[0:1], vcc
	s_cbranch_execz .LBB593_49
; %bb.48:
	v_mov_b32_e32 v15, 0
	v_lshl_add_u64 v[2:3], s[4:5], 0, v[14:15]
	v_lshlrev_b32_e32 v4, 1, v18
	v_mov_b32_e32 v5, v15
	v_lshl_add_u64 v[2:3], v[2:3], 0, v[4:5]
	global_load_dwordx4 v[2:5], v[2:3], off
.LBB593_49:
	s_or_b64 exec, exec, s[0:1]
	v_or_b32_e32 v7, 1, v7
	v_cmp_gt_i32_e64 s[0:1], s46, v7
	v_lshlrev_b32_e32 v20, 8, v7
	v_mov_b32_e32 v7, 0
	v_mov_b32_e32 v8, 0
	;; [unrolled: 1-line block ×3, first 2 shown]
	s_and_saveexec_b64 s[2:3], s[0:1]
	s_cbranch_execz .LBB593_51
; %bb.50:
	v_mov_b32_e32 v21, 0
	v_lshl_add_u64 v[6:7], s[4:5], 0, v[20:21]
	v_lshlrev_b32_e32 v8, 1, v18
	v_mov_b32_e32 v9, v21
	v_lshl_add_u64 v[6:7], v[6:7], 0, v[8:9]
	global_load_dwordx4 v[6:9], v[6:7], off
.LBB593_51:
	s_or_b64 exec, exec, s[2:3]
	v_mov_b32_e32 v17, 0
	v_mov_b32_e32 v10, 0
	;; [unrolled: 1-line block ×5, first 2 shown]
	s_and_saveexec_b64 s[2:3], vcc
	s_cbranch_execz .LBB593_53
; %bb.52:
	v_mov_b32_e32 v15, 0
	v_lshl_add_u64 v[10:11], s[4:5], 0, v[14:15]
	v_lshlrev_b32_e32 v14, 1, v18
	v_lshl_add_u64 v[10:11], v[10:11], 0, v[14:15]
	global_load_dwordx4 v[10:13], v[10:11], off offset:128
.LBB593_53:
	s_or_b64 exec, exec, s[2:3]
	v_mov_b32_e32 v16, 0
	v_mov_b32_e32 v15, 0
	;; [unrolled: 1-line block ×3, first 2 shown]
	s_and_saveexec_b64 s[2:3], s[0:1]
	s_cbranch_execz .LBB593_55
; %bb.54:
	v_mov_b32_e32 v21, 0
	v_lshl_add_u64 v[14:15], s[4:5], 0, v[20:21]
	v_lshlrev_b32_e32 v20, 1, v18
	v_lshl_add_u64 v[14:15], v[14:15], 0, v[20:21]
	global_load_dwordx4 v[14:17], v[14:15], off offset:128
.LBB593_55:
	s_or_b64 exec, exec, s[2:3]
	s_branch .LBB593_58
.LBB593_56:
                                        ; implicit-def: $vgpr5
                                        ; implicit-def: $vgpr9
                                        ; implicit-def: $vgpr13
                                        ; implicit-def: $vgpr17
	s_cbranch_execz .LBB593_58
; %bb.57:
	s_waitcnt vmcnt(0)
	v_lshlrev_b32_e32 v2, 1, v18
	v_lshl_or_b32 v18, v36, 9, v2
	s_and_b32 s5, s5, 0xffff
	s_mov_b32 s7, 0x20000
	s_movk_i32 s6, 0x4000
	s_movk_i32 s0, 0x80
	buffer_load_dwordx4 v[2:5], v18, s[4:7], 0 offen
	buffer_load_dwordx4 v[6:9], v18, s[4:7], 0 offen offset:256
	buffer_load_dwordx4 v[10:13], v18, s[4:7], s0 offen
	buffer_load_dwordx4 v[14:17], v18, s[4:7], s0 offen offset:256
.LBB593_58:
	v_and_b32_e32 v39, 12, v19
	ds_read2st64_b64 v[22:25], v37 offset0:76 offset1:77
	ds_read2st64_b64 v[18:21], v37 offset0:78 offset1:79
	ds_read_b64 v[32:33], v26 offset:24576
	ds_read_b64 v[30:31], v27 offset:24576
	;; [unrolled: 1-line block ×4, first 2 shown]
	v_and_b32_e32 v38, 6, v0
	v_xor_b32_e32 v36, v36, v38
	v_lshlrev_b32_e32 v36, 2, v36
	v_and_b32_e32 v40, 1, v0
	v_xor_b32_e32 v41, 0x440, v36
	v_cmp_eq_u32_e32 vcc, 0, v40
	s_mov_b32 s0, 0x1000504
	s_waitcnt vmcnt(0)
	v_perm_b32 v40, v10, v14, s0
	v_cndmask_b32_e32 v36, v41, v36, vcc
	v_lshl_or_b32 v36, v38, 10, v36
	v_perm_b32 v38, v2, v6, s0
	ds_write2st64_b32 v36, v38, v40 offset1:32
	v_xor_b32_e32 v38, 8, v36
	s_mov_b32 s1, 0x3020706
	v_perm_b32 v2, v2, v6, s1
	v_perm_b32 v6, v10, v14, s1
	v_add_u32_e32 v10, 0x80, v38
	ds_write2st64_b32 v10, v2, v6 offset1:32
	v_xor_b32_e32 v2, 16, v36
	v_perm_b32 v6, v3, v7, s0
	v_perm_b32 v10, v11, v15, s0
	ds_write2st64_b32 v2, v6, v10 offset0:1 offset1:33
	v_xor_b32_e32 v2, 24, v36
	v_perm_b32 v3, v3, v7, s1
	v_perm_b32 v6, v11, v15, s1
	v_add_u32_e32 v2, 0x80, v2
	ds_write2st64_b32 v2, v3, v6 offset0:1 offset1:33
	v_xor_b32_e32 v2, 32, v36
	v_perm_b32 v3, v4, v8, s0
	v_perm_b32 v6, v12, v16, s0
	ds_write2st64_b32 v2, v3, v6 offset0:2 offset1:34
	v_xor_b32_e32 v2, 40, v36
	v_perm_b32 v3, v4, v8, s1
	v_perm_b32 v4, v12, v16, s1
	v_add_u32_e32 v2, 0x80, v2
	ds_write2st64_b32 v2, v3, v4 offset0:2 offset1:34
	v_xor_b32_e32 v2, 48, v36
	v_perm_b32 v3, v5, v9, s0
	v_perm_b32 v4, v13, v17, s0
	ds_write2st64_b32 v2, v3, v4 offset0:3 offset1:35
	v_xor_b32_e32 v2, 56, v36
	v_or_b32_e32 v10, v39, v45
	v_perm_b32 v3, v5, v9, s1
	v_perm_b32 v4, v13, v17, s1
	v_add_u32_e32 v2, 0x80, v2
	v_cmp_gt_i32_e32 vcc, s46, v10
	v_mov_b32_e32 v12, 0
	v_mov_b32_e32 v16, 0
	ds_write2st64_b32 v2, v3, v4 offset0:3 offset1:35
	s_and_saveexec_b64 s[0:1], vcc
	s_cbranch_execz .LBB593_60
; %bb.59:
	v_add_u32_e32 v2, s34, v10
	v_ashrrev_i32_e32 v3, 31, v2
	v_mul_lo_u32 v4, v3, s10
	v_mul_lo_u32 v5, v2, s11
	v_mad_u64_u32 v[2:3], s[2:3], v2, s10, 0
	v_add3_u32 v3, v3, v5, v4
	v_lshl_add_u64 v[2:3], v[2:3], 2, s[12:13]
	global_load_dword v2, v[2:3], off
	s_waitcnt vmcnt(0)
	v_sub_f32_e32 v2, s16, v2
	v_mul_f32_e32 v2, 0x3fb8aa3b, v2
	v_exp_f32_e32 v16, v2
.LBB593_60:
	s_or_b64 exec, exec, s[0:1]
	v_or_b32_e32 v15, 1, v10
	v_cmp_gt_i32_e64 s[4:5], s46, v15
	s_and_saveexec_b64 s[0:1], s[4:5]
	s_cbranch_execz .LBB593_62
; %bb.61:
	v_add_u32_e32 v2, s34, v15
	v_ashrrev_i32_e32 v3, 31, v2
	v_mul_lo_u32 v4, v3, s10
	v_mul_lo_u32 v5, v2, s11
	v_mad_u64_u32 v[2:3], s[2:3], v2, s10, 0
	v_add3_u32 v3, v3, v5, v4
	v_lshl_add_u64 v[2:3], v[2:3], 2, s[12:13]
	global_load_dword v2, v[2:3], off
	s_waitcnt vmcnt(0)
	v_sub_f32_e32 v2, s16, v2
	v_mul_f32_e32 v2, 0x3fb8aa3b, v2
	v_exp_f32_e32 v12, v2
.LBB593_62:
	s_or_b64 exec, exec, s[0:1]
	v_or_b32_e32 v13, 2, v10
	v_cmp_gt_i32_e64 s[0:1], s46, v13
	v_mov_b32_e32 v11, 0
	v_mov_b32_e32 v17, 0
	s_and_saveexec_b64 s[2:3], s[0:1]
	s_cbranch_execz .LBB593_64
; %bb.63:
	v_add_u32_e32 v2, s34, v13
	v_ashrrev_i32_e32 v3, 31, v2
	v_mul_lo_u32 v4, v3, s10
	v_mul_lo_u32 v5, v2, s11
	v_mad_u64_u32 v[2:3], s[6:7], v2, s10, 0
	v_add3_u32 v3, v3, v5, v4
	v_lshl_add_u64 v[2:3], v[2:3], 2, s[12:13]
	global_load_dword v2, v[2:3], off
	s_waitcnt vmcnt(0)
	v_sub_f32_e32 v2, s16, v2
	v_mul_f32_e32 v2, 0x3fb8aa3b, v2
	v_exp_f32_e32 v17, v2
.LBB593_64:
	s_or_b64 exec, exec, s[2:3]
	v_or_b32_e32 v14, 3, v10
	v_cmp_gt_i32_e64 s[2:3], s46, v14
	s_and_saveexec_b64 s[6:7], s[2:3]
	s_cbranch_execz .LBB593_66
; %bb.65:
	v_add_u32_e32 v2, s34, v14
	v_ashrrev_i32_e32 v3, 31, v2
	v_mul_lo_u32 v4, v3, s10
	v_mul_lo_u32 v5, v2, s11
	v_mad_u64_u32 v[2:3], s[10:11], v2, s10, 0
	v_add3_u32 v3, v3, v5, v4
	v_lshl_add_u64 v[2:3], v[2:3], 2, s[12:13]
	global_load_dword v2, v[2:3], off
	s_waitcnt vmcnt(0)
	v_sub_f32_e32 v2, s16, v2
	v_mul_f32_e32 v2, 0x3fb8aa3b, v2
	v_exp_f32_e32 v11, v2
.LBB593_66:
	s_or_b64 exec, exec, s[6:7]
	s_waitcnt lgkmcnt(11)
	v_mfma_f32_16x16x16_bf16 a[0:3], v[32:33], v[22:23], a[0:3]
	s_add_u32 s6, s20, s36
	v_ashrrev_i32_e32 v59, 31, v58
	s_addc_u32 s7, s21, s37
	s_waitcnt lgkmcnt(10)
	v_mfma_f32_16x16x16_bf16 a[0:3], v[30:31], v[24:25], a[0:3]
	v_lshlrev_b64 v[2:3], 1, v[58:59]
	v_lshl_add_u64 v[6:7], s[6:7], 0, v[2:3]
	s_add_u32 s6, s14, s36
	s_waitcnt lgkmcnt(9)
	v_mfma_f32_16x16x16_bf16 a[0:3], v[28:29], v[18:19], a[0:3]
	s_addc_u32 s7, s15, s37
	v_lshl_add_u64 v[8:9], s[6:7], 0, v[2:3]
	v_mov_b32_e32 v18, 0
	s_waitcnt lgkmcnt(8)
	v_mfma_f32_16x16x16_bf16 a[0:3], v[26:27], v[20:21], a[0:3]
	v_mov_b32_e32 v19, 0
	s_nop 5
	v_accvgpr_read_b32 v5, a3
	v_accvgpr_read_b32 v4, a2
	;; [unrolled: 1-line block ×4, first 2 shown]
	s_and_saveexec_b64 s[6:7], vcc
	s_cbranch_execz .LBB593_68
; %bb.67:
	v_lshlrev_b32_e32 v20, 8, v10
	v_mov_b32_e32 v21, 0
	v_lshl_add_u64 v[22:23], v[6:7], 0, v[20:21]
	global_load_ushort v19, v[22:23], off
	v_lshl_add_u64 v[20:21], v[8:9], 0, v[20:21]
	s_waitcnt vmcnt(0)
	v_lshlrev_b32_e32 v19, 16, v19
	v_sub_f32_e32 v2, v19, v2
	global_store_short_d16_hi v[20:21], v2, off
	v_mul_f32_e32 v2, v16, v2
	v_lshrrev_b32_e32 v19, 16, v2
.LBB593_68:
	s_or_b64 exec, exec, s[6:7]
	s_and_saveexec_b64 s[6:7], s[4:5]
	s_cbranch_execz .LBB593_70
; %bb.69:
	v_lshlrev_b32_e32 v20, 8, v15
	v_mov_b32_e32 v21, 0
	v_lshl_add_u64 v[22:23], v[6:7], 0, v[20:21]
	global_load_ushort v2, v[22:23], off
	v_lshl_add_u64 v[20:21], v[8:9], 0, v[20:21]
	s_waitcnt vmcnt(0)
	v_lshlrev_b32_e32 v2, 16, v2
	v_sub_f32_e32 v2, v2, v3
	global_store_short_d16_hi v[20:21], v2, off
	v_mul_f32_e32 v2, v12, v2
	v_lshrrev_b32_e32 v18, 16, v2
.LBB593_70:
	s_or_b64 exec, exec, s[6:7]
	v_mov_b32_e32 v3, 0
	v_mov_b32_e32 v12, 0
	s_and_saveexec_b64 s[4:5], s[0:1]
	s_cbranch_execz .LBB593_72
; %bb.71:
	v_lshlrev_b32_e32 v12, 8, v13
	v_mov_b32_e32 v13, 0
	v_lshl_add_u64 v[20:21], v[6:7], 0, v[12:13]
	global_load_ushort v2, v[20:21], off
	v_lshl_add_u64 v[12:13], v[8:9], 0, v[12:13]
	s_waitcnt vmcnt(0)
	v_lshlrev_b32_e32 v2, 16, v2
	v_sub_f32_e32 v2, v2, v4
	global_store_short_d16_hi v[12:13], v2, off
	v_mul_f32_e32 v2, v17, v2
	v_lshrrev_b32_e32 v12, 16, v2
.LBB593_72:
	s_or_b64 exec, exec, s[4:5]
	v_or_b32_e32 v2, 0x9800, v37
	s_and_saveexec_b64 s[0:1], s[2:3]
	s_cbranch_execz .LBB593_74
; %bb.73:
	v_lshlrev_b32_e32 v14, 8, v14
	v_mov_b32_e32 v15, 0
	v_lshl_add_u64 v[6:7], v[6:7], 0, v[14:15]
	global_load_ushort v3, v[6:7], off
	v_lshl_add_u64 v[6:7], v[8:9], 0, v[14:15]
	s_waitcnt vmcnt(0)
	v_lshlrev_b32_e32 v3, 16, v3
	v_sub_f32_e32 v3, v3, v5
	global_store_short_d16_hi v[6:7], v3, off
	v_mul_f32_e32 v3, v11, v3
	v_lshrrev_b32_e32 v3, 16, v3
.LBB593_74:
	s_or_b64 exec, exec, s[0:1]
	s_mov_b32 s0, 0x5040100
	v_perm_b32 v5, v3, v12, s0
	v_lshlrev_b32_e32 v3, 1, v34
	v_perm_b32 v4, v18, v19, s0
	v_lshl_or_b32 v3, v10, 5, v3
	s_movk_i32 s2, 0xff
	ds_write_b64 v3, v[4:5] offset:38912
	v_and_b32_e32 v3, 7, v0
	v_cmp_lt_u32_e32 vcc, s2, v0
	v_and_b32_e32 v4, 8, v0
	v_lshlrev_b32_e32 v12, 3, v3
	v_lshlrev_b32_e32 v24, 7, v3
	v_cndmask_b32_e64 v3, 0, 1, vcc
	v_lshrrev_b32_e32 v0, 1, v0
	v_lshlrev_b32_e32 v14, 13, v3
	v_lshlrev_b32_e32 v3, 3, v1
	v_and_b32_e32 v0, 24, v0
	v_xor_b32_e32 v5, v3, v0
	v_or_b32_e32 v6, 0x440, v5
	v_cmp_eq_u32_e32 vcc, 0, v4
	s_mul_i32 s0, s17, s29
	s_mul_hi_i32 s1, s17, s29
	v_cndmask_b32_e32 v4, v6, v5, vcc
	v_or_b32_e32 v4, v4, v35
	v_xor_b32_e32 v22, v4, v12
	v_or_b32_e32 v4, 32, v0
	v_xor_b32_e32 v4, v3, v4
	v_or_b32_e32 v5, 0x440, v4
	v_cndmask_b32_e32 v4, v5, v4, vcc
	v_or_b32_e32 v4, v4, v35
	v_xor_b32_e32 v23, v4, v12
	v_or_b32_e32 v4, 64, v0
	v_xor_b32_e32 v4, v3, v4
	v_xor_b32_e32 v5, 0x440, v4
	v_cndmask_b32_e32 v4, v5, v4, vcc
	v_or_b32_e32 v0, 0x60, v0
	s_add_u32 s0, s0, s33
	v_add3_u32 v15, v14, v22, v24
	v_or_b32_e32 v4, v4, v35
	v_xor_b32_e32 v0, v3, v0
	s_waitcnt lgkmcnt(0)
	s_barrier
	s_addc_u32 s1, s1, s48
	v_lshlrev_b32_e32 v13, 2, v10
	v_xor_b32_e32 v25, v4, v12
	ds_read2st64_b64 v[4:7], v2 offset1:1
	ds_read2st64_b64 v[8:11], v2 offset0:2 offset1:3
	ds_read_b64 v[2:3], v15
	v_xor_b32_e32 v15, 0x440, v0
	s_lshl_b64 s[0:1], s[0:1], 9
	v_cndmask_b32_e32 v0, v15, v0, vcc
	s_add_u32 s0, s8, s0
	v_or_b32_e32 v0, v0, v35
	s_addc_u32 s1, s9, s1
	v_add3_u32 v16, v14, v23, v24
	v_add3_u32 v18, v14, v25, v24
	v_xor_b32_e32 v26, v0, v12
	v_add3_u32 v0, v14, v26, v24
	ds_read_b64 v[16:17], v16
	ds_read_b64 v[18:19], v18
	;; [unrolled: 1-line block ×3, first 2 shown]
	global_load_dwordx4 v[12:15], v13, s[0:1]
	v_lshlrev_b32_e32 v0, 6, v1
	v_lshlrev_b32_e32 v1, 2, v39
	s_movk_i32 s2, 0x100
	v_or3_b32 v0, v0, v1, s2
	s_waitcnt lgkmcnt(3)
	v_mfma_f32_16x16x16_bf16 a[0:3], v[2:3], v[4:5], 0
	global_load_dwordx4 v[0:3], v0, s[0:1]
	v_add_u32_e32 v27, v23, v24
	s_waitcnt vmcnt(1)
	v_mul_f32_e32 v12, 0x3fb8aa3b, v12
	s_waitcnt lgkmcnt(2)
	v_mfma_f32_16x16x16_bf16 a[0:3], v[16:17], v[6:7], a[0:3]
	v_mov_b32_e32 v16, 0x3fb8aa3b
	v_mul_f32_e32 v16, s16, v16
	v_mul_f32_e32 v13, 0x3fb8aa3b, v13
	s_waitcnt lgkmcnt(1)
	v_mfma_f32_16x16x16_bf16 a[0:3], v[18:19], v[8:9], a[0:3]
	v_exp_f32_e32 v16, v16
	v_add_u32_e32 v17, v22, v24
	v_exp_f32_e32 v12, v12
	s_waitcnt lgkmcnt(0)
	v_mfma_f32_16x16x16_bf16 a[0:3], v[20:21], v[10:11], a[0:3]
	v_exp_f32_e32 v13, v13
	ds_read_b64 v[22:23], v17 offset:8192
	v_mul_f32_e32 v14, 0x3fb8aa3b, v14
	v_mul_f32_e32 v15, 0x3fb8aa3b, v15
	v_pk_mul_f32 v[12:13], v[16:17], v[12:13] op_sel_hi:[0,1]
	v_exp_f32_e32 v14, v14
	v_exp_f32_e32 v15, v15
	v_accvgpr_read_b32 v21, a1
	v_accvgpr_read_b32 v20, a0
	v_pk_fma_f32 v[52:53], v[52:53], v[12:13], v[20:21]
	ds_read_b64 v[12:13], v27 offset:8192
	v_accvgpr_read_b32 v19, a3
	v_accvgpr_read_b32 v18, a2
	s_waitcnt lgkmcnt(1)
	v_mfma_f32_16x16x16_bf16 a[0:3], v[22:23], v[4:5], 0
	v_pk_mul_f32 v[14:15], v[16:17], v[14:15] op_sel_hi:[0,1]
	v_pk_fma_f32 v[56:57], v[56:57], v[14:15], v[18:19]
	v_add_u32_e32 v14, v25, v24
	v_add_u32_e32 v17, v26, v24
	ds_read_b64 v[14:15], v14 offset:8192
	ds_read_b64 v[18:19], v17 offset:8192
	s_waitcnt lgkmcnt(2)
	v_mfma_f32_16x16x16_bf16 a[0:3], v[12:13], v[6:7], a[0:3]
	s_waitcnt vmcnt(0)
	v_mov_b32_e32 v4, v3
	v_mov_b32_e32 v3, v2
	;; [unrolled: 1-line block ×3, first 2 shown]
	s_waitcnt lgkmcnt(1)
	v_mfma_f32_16x16x16_bf16 a[0:3], v[14:15], v[8:9], a[0:3]
	v_mul_f32_e32 v0, 0x3fb8aa3b, v0
	v_mul_f32_e32 v1, 0x3fb8aa3b, v2
	v_exp_f32_e32 v0, v0
	s_waitcnt lgkmcnt(0)
	v_mfma_f32_16x16x16_bf16 a[0:3], v[18:19], v[10:11], a[0:3]
	v_exp_f32_e32 v1, v1
	v_mul_f32_e32 v2, 0x3fb8aa3b, v3
	v_mul_f32_e32 v3, 0x3fb8aa3b, v4
	v_exp_f32_e32 v2, v2
	v_exp_f32_e32 v3, v3
	v_pk_mul_f32 v[0:1], v[16:17], v[0:1] op_sel_hi:[0,1]
	s_nop 0
	v_accvgpr_read_b32 v7, a1
	v_accvgpr_read_b32 v6, a0
	;; [unrolled: 1-line block ×4, first 2 shown]
	v_pk_fma_f32 v[50:51], v[50:51], v[0:1], v[6:7]
	v_pk_mul_f32 v[0:1], v[16:17], v[2:3] op_sel_hi:[0,1]
	v_pk_fma_f32 v[54:55], v[54:55], v[0:1], v[4:5]
.LBB593_75:
	s_add_u32 s0, s24, s26
	s_addc_u32 s1, s25, s27
	v_lshl_add_u64 v[0:1], v[46:47], 1, s[0:1]
	v_mov_b32_e32 v49, 0
	s_mov_b32 s0, 0x7060302
	v_lshl_add_u64 v[0:1], v[0:1], 0, v[48:49]
	v_perm_b32 v3, v57, v56, s0
	v_perm_b32 v2, v53, v52, s0
	global_store_dwordx2 v[0:1], v[2:3], off
	v_perm_b32 v3, v55, v54, s0
	v_perm_b32 v2, v51, v50, s0
	global_store_dwordx2 v[0:1], v[2:3], off offset:128
	s_endpgm
	.section	.rodata,"a",@progbits
	.p2align	6, 0x0
	.amdhsa_kernel _ZN12_GLOBAL__N_139chunk_gated_delta_rule_fwd_h_hip_kernelILi16ELb1ELb1ELb1ELb1ELb0ELb1ELb0ELb1EEEvPK12hip_bfloat16S3_S3_PKfS5_PKvPS1_S8_PvPKiSB_iiiiilll
		.amdhsa_group_segment_fixed_size 40960
		.amdhsa_private_segment_fixed_size 0
		.amdhsa_kernarg_size 136
		.amdhsa_user_sgpr_count 2
		.amdhsa_user_sgpr_dispatch_ptr 0
		.amdhsa_user_sgpr_queue_ptr 0
		.amdhsa_user_sgpr_kernarg_segment_ptr 1
		.amdhsa_user_sgpr_dispatch_id 0
		.amdhsa_user_sgpr_kernarg_preload_length 0
		.amdhsa_user_sgpr_kernarg_preload_offset 0
		.amdhsa_user_sgpr_private_segment_size 0
		.amdhsa_uses_dynamic_stack 0
		.amdhsa_enable_private_segment 0
		.amdhsa_system_sgpr_workgroup_id_x 1
		.amdhsa_system_sgpr_workgroup_id_y 1
		.amdhsa_system_sgpr_workgroup_id_z 0
		.amdhsa_system_sgpr_workgroup_info 0
		.amdhsa_system_vgpr_workitem_id 0
		.amdhsa_next_free_vgpr 132
		.amdhsa_next_free_sgpr 70
		.amdhsa_accum_offset 120
		.amdhsa_reserve_vcc 1
		.amdhsa_float_round_mode_32 0
		.amdhsa_float_round_mode_16_64 0
		.amdhsa_float_denorm_mode_32 3
		.amdhsa_float_denorm_mode_16_64 3
		.amdhsa_dx10_clamp 1
		.amdhsa_ieee_mode 1
		.amdhsa_fp16_overflow 0
		.amdhsa_tg_split 0
		.amdhsa_exception_fp_ieee_invalid_op 0
		.amdhsa_exception_fp_denorm_src 0
		.amdhsa_exception_fp_ieee_div_zero 0
		.amdhsa_exception_fp_ieee_overflow 0
		.amdhsa_exception_fp_ieee_underflow 0
		.amdhsa_exception_fp_ieee_inexact 0
		.amdhsa_exception_int_div_zero 0
	.end_amdhsa_kernel
	.section	.text._ZN12_GLOBAL__N_139chunk_gated_delta_rule_fwd_h_hip_kernelILi16ELb1ELb1ELb1ELb1ELb0ELb1ELb0ELb1EEEvPK12hip_bfloat16S3_S3_PKfS5_PKvPS1_S8_PvPKiSB_iiiiilll,"axG",@progbits,_ZN12_GLOBAL__N_139chunk_gated_delta_rule_fwd_h_hip_kernelILi16ELb1ELb1ELb1ELb1ELb0ELb1ELb0ELb1EEEvPK12hip_bfloat16S3_S3_PKfS5_PKvPS1_S8_PvPKiSB_iiiiilll,comdat
.Lfunc_end593:
	.size	_ZN12_GLOBAL__N_139chunk_gated_delta_rule_fwd_h_hip_kernelILi16ELb1ELb1ELb1ELb1ELb0ELb1ELb0ELb1EEEvPK12hip_bfloat16S3_S3_PKfS5_PKvPS1_S8_PvPKiSB_iiiiilll, .Lfunc_end593-_ZN12_GLOBAL__N_139chunk_gated_delta_rule_fwd_h_hip_kernelILi16ELb1ELb1ELb1ELb1ELb0ELb1ELb0ELb1EEEvPK12hip_bfloat16S3_S3_PKfS5_PKvPS1_S8_PvPKiSB_iiiiilll
                                        ; -- End function
	.section	.AMDGPU.csdata,"",@progbits
; Kernel info:
; codeLenInByte = 8320
; NumSgprs: 76
; NumVgprs: 118
; NumAgprs: 12
; TotalNumVgprs: 132
; ScratchSize: 0
; MemoryBound: 0
; FloatMode: 240
; IeeeMode: 1
; LDSByteSize: 40960 bytes/workgroup (compile time only)
; SGPRBlocks: 9
; VGPRBlocks: 16
; NumSGPRsForWavesPerEU: 76
; NumVGPRsForWavesPerEU: 132
; AccumOffset: 120
; Occupancy: 1
; WaveLimiterHint : 1
; COMPUTE_PGM_RSRC2:SCRATCH_EN: 0
; COMPUTE_PGM_RSRC2:USER_SGPR: 2
; COMPUTE_PGM_RSRC2:TRAP_HANDLER: 0
; COMPUTE_PGM_RSRC2:TGID_X_EN: 1
; COMPUTE_PGM_RSRC2:TGID_Y_EN: 1
; COMPUTE_PGM_RSRC2:TGID_Z_EN: 0
; COMPUTE_PGM_RSRC2:TIDIG_COMP_CNT: 0
; COMPUTE_PGM_RSRC3_GFX90A:ACCUM_OFFSET: 29
; COMPUTE_PGM_RSRC3_GFX90A:TG_SPLIT: 0
	.section	.text._ZN12_GLOBAL__N_139chunk_gated_delta_rule_fwd_h_hip_kernelILi16ELb1ELb1ELb0ELb1ELb0ELb1ELb0ELb1EEEvPK12hip_bfloat16S3_S3_PKfS5_PKvPS1_S8_PvPKiSB_iiiiilll,"axG",@progbits,_ZN12_GLOBAL__N_139chunk_gated_delta_rule_fwd_h_hip_kernelILi16ELb1ELb1ELb0ELb1ELb0ELb1ELb0ELb1EEEvPK12hip_bfloat16S3_S3_PKfS5_PKvPS1_S8_PvPKiSB_iiiiilll,comdat
	.globl	_ZN12_GLOBAL__N_139chunk_gated_delta_rule_fwd_h_hip_kernelILi16ELb1ELb1ELb0ELb1ELb0ELb1ELb0ELb1EEEvPK12hip_bfloat16S3_S3_PKfS5_PKvPS1_S8_PvPKiSB_iiiiilll ; -- Begin function _ZN12_GLOBAL__N_139chunk_gated_delta_rule_fwd_h_hip_kernelILi16ELb1ELb1ELb0ELb1ELb0ELb1ELb0ELb1EEEvPK12hip_bfloat16S3_S3_PKfS5_PKvPS1_S8_PvPKiSB_iiiiilll
	.p2align	8
	.type	_ZN12_GLOBAL__N_139chunk_gated_delta_rule_fwd_h_hip_kernelILi16ELb1ELb1ELb0ELb1ELb0ELb1ELb0ELb1EEEvPK12hip_bfloat16S3_S3_PKfS5_PKvPS1_S8_PvPKiSB_iiiiilll,@function
_ZN12_GLOBAL__N_139chunk_gated_delta_rule_fwd_h_hip_kernelILi16ELb1ELb1ELb0ELb1ELb0ELb1ELb0ELb1EEEvPK12hip_bfloat16S3_S3_PKfS5_PKvPS1_S8_PvPKiSB_iiiiilll: ; @_ZN12_GLOBAL__N_139chunk_gated_delta_rule_fwd_h_hip_kernelILi16ELb1ELb1ELb0ELb1ELb0ELb1ELb0ELb1EEEvPK12hip_bfloat16S3_S3_PKfS5_PKvPS1_S8_PvPKiSB_iiiiilll
; %bb.0:
	s_load_dwordx4 s[16:19], s[0:1], 0x5c
	s_load_dwordx4 s[24:27], s[0:1], 0x70
	s_abs_i32 s7, s3
	s_ashr_i32 s6, s3, 31
	s_load_dwordx4 s[12:15], s[0:1], 0x40
	s_load_dwordx2 s[4:5], s[0:1], 0x50
	s_waitcnt lgkmcnt(0)
	s_abs_i32 s10, s17
	v_cvt_f32_u32_e32 v1, s10
	s_sub_i32 s8, 0, s10
	s_ashr_i32 s11, s17, 31
	s_xor_b32 s6, s6, s11
	v_rcp_iflag_f32_e32 v1, v1
	v_and_b32_e32 v65, 15, v0
	v_bfe_u32 v64, v0, 4, 2
	v_mov_b32_e32 v49, 0
	v_mul_f32_e32 v1, 0x4f7ffffe, v1
	v_cvt_u32_f32_e32 v1, v1
	v_lshlrev_b32_e32 v66, 3, v0
	v_readfirstlane_b32 s9, v1
	s_mul_i32 s8, s8, s9
	s_mul_hi_u32 s8, s9, s8
	s_add_i32 s9, s9, s8
	s_mul_hi_u32 s8, s7, s9
	s_mul_i32 s9, s8, s10
	s_sub_i32 s7, s7, s9
	s_add_i32 s20, s8, 1
	s_sub_i32 s9, s7, s10
	s_cmp_ge_u32 s7, s10
	s_cselect_b32 s8, s20, s8
	s_cselect_b32 s7, s9, s7
	s_add_i32 s9, s8, 1
	s_cmp_ge_u32 s7, s10
	s_cselect_b32 s7, s9, s8
	s_xor_b32 s7, s7, s6
	s_sub_i32 s28, s7, s6
	s_mul_i32 s36, s28, s17
	s_ashr_i32 s29, s28, 31
	s_sub_i32 s33, s3, s36
	s_lshl_b64 s[6:7], s[28:29], 2
	s_add_u32 s8, s14, s6
	s_addc_u32 s9, s15, s7
	s_add_u32 s30, s4, s6
	s_addc_u32 s31, s5, s7
	s_abs_i32 s3, s18
	v_cvt_f32_u32_e32 v1, s3
	s_load_dwordx2 s[34:35], s[8:9], 0x0
	s_sub_i32 s5, 0, s3
	s_lshl_b32 s2, s2, 4
	v_rcp_iflag_f32_e32 v1, v1
	s_load_dwordx4 s[20:23], s[0:1], 0x20
	s_load_dwordx2 s[40:41], s[0:1], 0x30
	s_waitcnt lgkmcnt(0)
	s_sub_i32 s54, s35, s34
	s_ashr_i32 s4, s54, 31
	v_mul_f32_e32 v1, 0x4f7ffffe, v1
	v_cvt_u32_f32_e32 v1, v1
	s_lshr_b32 s4, s4, 26
	s_add_i32 s4, s54, s4
	s_ashr_i32 s53, s4, 6
	v_readfirstlane_b32 s6, v1
	s_mul_i32 s5, s5, s6
	s_mul_hi_u32 s5, s6, s5
	s_add_i32 s6, s6, s5
	s_mul_hi_u32 s5, s10, s6
	s_mul_i32 s6, s5, s3
	s_ashr_i32 s4, s18, 31
	s_sub_i32 s6, s10, s6
	s_xor_b32 s4, s11, s4
	s_add_i32 s7, s5, 1
	s_sub_i32 s8, s6, s3
	s_cmp_ge_u32 s6, s3
	s_cselect_b32 s5, s7, s5
	s_cselect_b32 s6, s8, s6
	s_add_i32 s7, s5, 1
	s_cmp_ge_u32 s6, s3
	s_cselect_b32 s3, s7, s5
	s_xor_b32 s3, s3, s4
	s_sub_i32 s3, s3, s4
	s_abs_i32 s4, s3
	v_cvt_f32_u32_e32 v1, s4
	s_sub_i32 s6, 0, s4
	s_abs_i32 s5, s33
	s_xor_b32 s3, s33, s3
	v_rcp_iflag_f32_e32 v2, v1
	s_ashr_i32 s3, s3, 31
	v_lshrrev_b32_e32 v1, 6, v0
	v_or_b32_e32 v58, s2, v65
	v_mul_f32_e32 v2, 0x4f7ffffe, v2
	v_cvt_u32_f32_e32 v2, v2
	v_lshlrev_b32_e32 v45, 4, v1
	v_lshlrev_b32_e32 v46, 7, v58
	v_lshl_or_b32 v68, v64, 2, v45
	v_readfirstlane_b32 s7, v2
	s_mul_i32 s6, s6, s7
	s_mul_hi_u32 s6, s7, s6
	s_add_i32 s7, s7, s6
	s_mul_hi_u32 s6, s5, s7
	s_mul_i32 s7, s6, s4
	s_sub_i32 s5, s5, s7
	s_add_i32 s7, s6, 1
	s_sub_i32 s8, s5, s4
	s_cmp_ge_u32 s5, s4
	s_cselect_b32 s6, s7, s6
	s_cselect_b32 s5, s8, s5
	s_add_i32 s7, s6, 1
	s_cmp_ge_u32 s5, s4
	s_cselect_b32 s4, s7, s6
	s_xor_b32 s4, s4, s3
	s_sub_i32 s55, s4, s3
	s_ashr_i32 s46, s33, 31
	s_mul_hi_i32 s3, s28, s17
	s_add_u32 s4, s36, s33
	s_addc_u32 s5, s3, s46
	s_lshl_b64 s[14:15], s[4:5], 15
	s_add_u32 s4, s22, s14
	s_addc_u32 s5, s23, s15
	v_ashrrev_i32_e32 v47, 31, v46
	v_lshl_add_u64 v[2:3], v[46:47], 1, s[4:5]
	v_lshlrev_b32_e32 v48, 1, v68
	v_lshl_add_u64 v[2:3], v[2:3], 0, v[48:49]
	global_load_dwordx2 v[4:5], v[2:3], off
	global_load_dwordx2 v[6:7], v[2:3], off offset:128
	s_load_dwordx8 s[4:11], s[0:1], 0x0
	s_load_dwordx2 s[22:23], s[0:1], 0x80
	s_load_dword s58, s[30:31], 0x0
	v_and_b32_e32 v49, 63, v0
	v_lshrrev_b32_e32 v67, 3, v49
	v_or_b32_e32 v69, 64, v68
	s_mul_i32 s47, s28, s25
	s_mul_hi_u32 s48, s28, s24
	s_mul_i32 s38, s28, s24
	s_mul_i32 s49, s29, s24
	s_mul_hi_i32 s56, s33, s16
	s_mul_i32 s57, s33, s16
	s_mul_i32 s50, s33, s27
	s_mul_hi_u32 s51, s33, s26
	s_mul_i32 s52, s46, s26
	s_cmp_lt_i32 s54, 64
	s_mul_i32 s36, s33, s26
	s_waitcnt vmcnt(1)
	v_and_b32_e32 v53, 0xffff0000, v4
	v_lshlrev_b32_e32 v52, 16, v4
	v_and_b32_e32 v57, 0xffff0000, v5
	v_lshlrev_b32_e32 v56, 16, v5
	s_waitcnt vmcnt(0)
	v_and_b32_e32 v51, 0xffff0000, v6
	v_lshlrev_b32_e32 v50, 16, v6
	v_and_b32_e32 v55, 0xffff0000, v7
	v_lshlrev_b32_e32 v54, 16, v7
	s_cbranch_scc1 .LBB594_18
; %bb.1:
	s_ashr_i32 s1, s34, 31
	s_add_u32 s0, s57, s34
	s_addc_u32 s1, s56, s1
	s_lshl_b64 s[0:1], s[0:1], 8
	v_and_b32_e32 v71, 56, v66
	s_waitcnt lgkmcnt(0)
	s_add_u32 s24, s6, s0
	v_lshl_or_b32 v70, v1, 3, v67
	v_lshlrev_b32_e32 v2, 1, v71
	s_addc_u32 s0, s7, s1
	v_lshl_or_b32 v72, v70, 8, v2
	s_and_b32 s25, s0, 0xffff
	s_mov_b32 s27, 0x20000
	s_movk_i32 s26, 0x4000
	s_movk_i32 s0, 0x80
	v_or_b32_e32 v73, 0x2000, v72
	buffer_load_dwordx4 v[4:7], v72, s[24:27], 0 offen
	buffer_load_dwordx4 v[8:11], v72, s[24:27], s0 offen
	;; [unrolled: 1-line block ×4, first 2 shown]
	v_lshlrev_b32_e32 v3, 3, v70
	v_and_or_b32 v21, v0, 7, v3
	v_and_b32_e32 v3, 0x78, v3
	v_lshlrev_b32_e32 v21, 4, v21
	v_xor_b32_e32 v74, v21, v3
	v_mul_lo_u32 v20, v70, s19
	v_or_b32_e32 v75, 0x1000, v74
	v_xor_b32_e32 v3, 8, v74
	s_cmpk_eq_i32 s19, 0x80
	s_mov_b32 s59, s34
	v_xor_b32_e32 v21, 8, v75
	s_cselect_b64 s[0:1], -1, 0
	s_cmpk_lg_i32 s19, 0x80
	s_waitcnt vmcnt(3)
	ds_write_b64 v74, v[4:5] offset:16384
	ds_write_b64 v3, v[6:7] offset:16384
	s_waitcnt vmcnt(2)
	ds_write_b64 v74, v[8:9] offset:24576
	ds_write_b64 v3, v[10:11] offset:24576
	;; [unrolled: 3-line block ×4, first 2 shown]
	v_lshl_add_u32 v3, v20, 1, v71
	s_cbranch_scc0 .LBB594_3
; %bb.2:
	v_lshlrev_b32_e32 v5, 1, v3
	v_add_lshl_u32 v4, v3, s19, 1
	s_lshl_b32 s26, s19, 7
	v_lshl_or_b32 v2, v70, 9, v2
	s_cbranch_execz .LBB594_4
	s_branch .LBB594_5
.LBB594_3:
                                        ; implicit-def: $vgpr4
                                        ; implicit-def: $vgpr5
                                        ; implicit-def: $sgpr26
	v_lshl_or_b32 v2, v70, 9, v2
.LBB594_4:
	v_or_b32_e32 v4, 0x100, v2
	s_movk_i32 s26, 0x4000
	v_mov_b32_e32 v5, v2
.LBB594_5:
	s_mul_i32 s24, s34, s18
	s_ashr_i32 s60, s55, 31
	s_mul_hi_i32 s3, s34, s18
	s_add_u32 s24, s24, s55
	s_addc_u32 s25, s3, s60
	s_lshl_b64 s[24:25], s[24:25], 8
	s_add_u32 s24, s4, s24
	s_addc_u32 s3, s5, s25
	s_and_b32 s25, s3, 0xffff
	s_movk_i32 s61, 0x80
	buffer_load_dwordx4 v[6:9], v5, s[24:27], 0 offen
	buffer_load_dwordx4 v[10:13], v5, s[24:27], s61 offen
	;; [unrolled: 1-line block ×4, first 2 shown]
	v_and_b32_e32 v4, 6, v0
	v_lshlrev_b32_e32 v22, 2, v65
	v_lshlrev_b32_e32 v23, 3, v65
	v_xor_b32_e32 v27, v70, v4
	v_and_b32_e32 v5, 1, v0
	v_lshl_or_b32 v23, v68, 5, v23
	v_xor_b32_e32 v28, v68, v22
	v_lshlrev_b32_e32 v27, 2, v27
	s_add_i32 s3, s48, s47
	v_or_b32_e32 v76, 0x9000, v23
	v_or_b32_e32 v77, 0x9800, v23
	v_lshlrev_b32_e32 v23, 1, v28
	v_xor_b32_e32 v28, 0x440, v27
	v_cmp_eq_u32_e32 vcc, 0, v5
	s_add_i32 s24, s51, s50
	s_add_i32 s39, s3, s49
	v_cndmask_b32_e32 v5, v28, v27, vcc
	s_add_i32 s37, s24, s52
	s_lshl_b64 s[24:25], s[38:39], 2
	s_mov_b32 s62, 0x1000504
	s_mov_b32 s63, 0x3020706
	v_lshlrev_b32_e32 v24, 8, v65
	s_mov_b32 s26, 0x8000
	v_xor_b32_e32 v22, v69, v22
	v_lshl_or_b32 v4, v4, 10, v5
	s_add_u32 s3, s10, s24
	v_or_b32_e32 v25, v45, v65
	v_lshlrev_b32_e32 v22, 1, v22
	v_or3_b32 v78, v23, v24, s26
	v_xor_b32_e32 v5, 8, v4
	v_xor_b32_e32 v23, 24, v4
	;; [unrolled: 1-line block ×4, first 2 shown]
	s_addc_u32 s28, s11, s25
	s_lshl_b64 s[24:25], s[36:37], 2
	v_or3_b32 v79, v22, v24, s26
	v_xor_b32_e32 v22, 16, v4
	v_xor_b32_e32 v24, 32, v4
	;; [unrolled: 1-line block ×3, first 2 shown]
	v_add_u32_e32 v5, 0x80, v5
	v_add_u32_e32 v23, 0x80, v23
	;; [unrolled: 1-line block ×4, first 2 shown]
	s_add_u32 s42, s3, s24
	s_movk_i32 s3, 0xf8
	s_addc_u32 s43, s28, s25
	v_ashrrev_i32_e32 v59, 31, v58
	s_lshl_b32 s30, s19, 7
	v_lshrrev_b32_e32 v26, 2, v49
	s_mov_b32 s64, 0
	v_mov_b32_e32 v99, 0x3fb8aa3b
	s_waitcnt vmcnt(1)
	v_perm_b32 v30, v6, v14, s62
	s_waitcnt vmcnt(0)
	v_perm_b32 v31, v10, v18, s62
	v_perm_b32 v6, v6, v14, s63
	;; [unrolled: 1-line block ×15, first 2 shown]
	ds_write2st64_b32 v4, v30, v31 offset1:32
	ds_write2st64_b32 v5, v6, v10 offset1:32
	ds_write2st64_b32 v22, v14, v18 offset0:1 offset1:33
	ds_write2st64_b32 v23, v7, v11 offset0:1 offset1:33
	;; [unrolled: 1-line block ×6, first 2 shown]
	v_lshlrev_b32_e32 v4, 3, v25
	v_lshrrev_b32_e32 v6, 5, v49
	v_and_or_b32 v6, v4, s3, v6
	v_lshlrev_b32_e32 v6, 4, v6
	v_lshlrev_b32_e32 v11, 11, v1
	v_and_b32_e32 v4, 0x78, v4
	v_or_b32_e32 v9, 32, v6
	v_and_b32_e32 v5, 0x1000, v11
	v_xor_b32_e32 v7, v6, v4
	v_lshrrev_b32_e32 v8, 1, v49
	v_xor_b32_e32 v9, v9, v4
	v_or_b32_e32 v7, v7, v5
	v_and_b32_e32 v8, 8, v8
	v_or_b32_e32 v9, v9, v5
	v_xor_b32_e32 v80, v7, v8
	v_and_b32_e32 v7, 0x78, v66
	v_xor_b32_e32 v82, v9, v8
	v_or_b32_e32 v9, 64, v6
	v_or_b32_e32 v6, 0x60, v6
	v_lshl_or_b32 v7, v64, 7, v7
	v_xor_b32_e32 v9, v9, v4
	v_xor_b32_e32 v4, v6, v4
	v_or_b32_e32 v81, 0x9000, v7
	v_or_b32_e32 v9, v9, v5
	;; [unrolled: 1-line block ×4, first 2 shown]
	v_lshrrev_b32_e32 v6, 4, v0
	v_lshlrev_b32_e32 v7, 1, v65
	v_xor_b32_e32 v83, v9, v8
	v_xor_b32_e32 v84, v4, v8
	s_ashr_i32 s3, s2, 31
	v_or_b32_e32 v8, 1, v7
	v_xor_b32_e32 v7, v6, v7
	s_lshl_b64 s[24:25], s[2:3], 8
	v_xor_b32_e32 v8, v8, v6
	v_lshlrev_b32_e32 v7, 3, v7
	v_lshlrev_b32_e32 v6, 8, v6
	v_lshl_add_u64 v[4:5], v[58:59], 1, s[8:9]
	s_add_u32 s24, s40, s24
	v_or3_b32 v59, v7, v6, s26
	v_lshlrev_b32_e32 v7, 3, v8
	s_addc_u32 s25, s41, s25
	v_or3_b32 v86, v7, v6, s26
	v_mov_b32_e32 v7, 0
	v_lshrrev_b32_e32 v17, 1, v0
	v_lshl_add_u64 v[8:9], s[24:25], 0, v[6:7]
	v_lshlrev_b32_e32 v6, 4, v65
	s_movk_i32 s3, 0xff
	v_lshlrev_b32_e32 v16, 3, v1
	v_and_b32_e32 v17, 24, v17
	v_lshl_add_u64 v[60:61], v[8:9], 0, v[6:7]
	v_and_b32_e32 v6, 7, v0
	v_and_b32_e32 v9, 8, v0
	v_cmp_lt_u32_e32 vcc, s3, v0
	v_xor_b32_e32 v18, v16, v17
	v_lshlrev_b32_e32 v14, 3, v6
	v_lshlrev_b32_e32 v15, 7, v6
	v_cndmask_b32_e64 v6, 0, 1, vcc
	v_or_b32_e32 v19, 0x440, v18
	v_cmp_eq_u32_e32 vcc, 0, v9
	v_or_b32_e32 v21, 64, v17
	v_xor_b32_e32 v21, v16, v21
	v_cndmask_b32_e32 v9, v19, v18, vcc
	v_or_b32_e32 v19, 32, v17
	v_or_b32_e32 v17, 0x60, v17
	v_xor_b32_e32 v19, v16, v19
	v_xor_b32_e32 v16, v16, v17
	v_or_b32_e32 v20, 0x440, v19
	v_xor_b32_e32 v22, 0x440, v21
	v_xor_b32_e32 v17, 0x440, v16
	v_cndmask_b32_e32 v19, v20, v19, vcc
	v_cndmask_b32_e32 v21, v22, v21, vcc
	;; [unrolled: 1-line block ×3, first 2 shown]
	v_or_b32_e32 v9, v9, v11
	v_or_b32_e32 v19, v19, v11
	;; [unrolled: 1-line block ×4, first 2 shown]
	v_and_b32_e32 v10, 12, v26
	v_lshlrev_b32_e32 v6, 13, v6
	v_xor_b32_e32 v9, v9, v14
	v_xor_b32_e32 v19, v19, v14
	v_xor_b32_e32 v21, v21, v14
	v_xor_b32_e32 v11, v11, v14
	v_lshlrev_b32_e32 v12, 1, v3
	v_add_lshl_u32 v3, v3, s19, 1
	v_or_b32_e32 v13, 0x100, v2
	v_or_b32_e32 v8, v10, v45
	v_add_u32_e32 v18, v6, v9
	v_add_u32_e32 v20, v6, v19
	;; [unrolled: 1-line block ×4, first 2 shown]
	v_or3_b32 v10, v45, v10, 64
	v_add_u32_e32 v9, 0x2000, v9
	v_add_u32_e32 v16, 0x2000, v19
	;; [unrolled: 1-line block ×4, first 2 shown]
	v_lshlrev_b32_e32 v6, 8, v68
	v_cndmask_b32_e64 v87, v12, v2, s[0:1]
	v_cndmask_b32_e64 v88, v3, v13, s[0:1]
	v_lshl_add_u64 v[62:63], v[4:5], 0, v[6:7]
	s_mov_b32 s3, 0x7060302
	s_movk_i32 s26, 0x4000
	v_lshlrev_b32_e32 v89, 2, v8
	v_add_u32_e32 v90, v18, v15
	v_add_u32_e32 v91, v20, v15
	;; [unrolled: 1-line block ×4, first 2 shown]
	v_lshlrev_b32_e32 v94, 2, v10
	v_add_u32_e32 v95, v9, v15
	v_add_u32_e32 v96, v16, v15
	;; [unrolled: 1-line block ×4, first 2 shown]
	s_waitcnt lgkmcnt(0)
	s_barrier
.LBB594_6:                              ; =>This Inner Loop Header: Depth=1
	s_add_i32 s37, s64, 1
	s_cmp_lt_i32 s37, s53
	s_mov_b64 s[28:29], 0
	s_cselect_b64 s[44:45], -1, 0
	s_cmp_ge_i32 s37, s53
	s_mov_b64 s[24:25], 0
	s_cbranch_scc1 .LBB594_8
; %bb.7:                                ;   in Loop: Header=BB594_6 Depth=1
	s_add_i32 s0, s59, 64
	s_ashr_i32 s1, s0, 31
	s_add_u32 s0, s57, s0
	s_addc_u32 s1, s56, s1
	s_lshl_b64 s[0:1], s[0:1], 8
	s_add_u32 s24, s6, s0
	s_addc_u32 s25, s7, s1
.LBB594_8:                              ;   in Loop: Header=BB594_6 Depth=1
	v_cndmask_b32_e64 v2, 0, 1, s[44:45]
	v_cmp_ne_u32_e64 s[0:1], 1, v2
	s_andn2_b64 vcc, exec, s[44:45]
	s_cbranch_vccnz .LBB594_10
; %bb.9:                                ;   in Loop: Header=BB594_6 Depth=1
	s_add_i32 s28, s59, 64
	s_mul_hi_i32 s29, s28, s18
	s_mul_i32 s28, s28, s18
	s_add_u32 s28, s28, s55
	s_addc_u32 s29, s29, s60
	s_lshl_b64 s[28:29], s[28:29], 8
	s_add_u32 s28, s4, s28
	s_addc_u32 s29, s5, s29
.LBB594_10:                             ;   in Loop: Header=BB594_6 Depth=1
	v_perm_b32 v3, v57, v56, s3
	v_perm_b32 v2, v53, v52, s3
	;; [unrolled: 1-line block ×4, first 2 shown]
	ds_write_b64 v76, v[2:3]
	ds_write_b64 v77, v[4:5]
	ds_write_b64 v78, v[2:3]
	ds_write_b64 v79, v[4:5]
	s_waitcnt lgkmcnt(0)
	s_barrier
	ds_read_b64 v[10:11], v80 offset:16384
	ds_read_b64 v[12:13], v82 offset:16384
	ds_read2st64_b64 v[2:5], v81 offset1:1
	s_waitcnt lgkmcnt(0)
	v_mfma_f32_16x16x16_bf16 a[0:3], v[10:11], v[2:3], 0
	ds_read2st64_b64 v[6:9], v81 offset0:2 offset1:3
	ds_read_b64 v[14:15], v83 offset:16384
	ds_read_b64 v[2:3], v84 offset:16384
	s_add_i32 s39, s59, 63
	v_mfma_f32_16x16x16_bf16 a[0:3], v[12:13], v[4:5], a[0:3]
	s_ashr_i32 s31, s39, 31
	s_mul_i32 s44, s39, s23
	s_mul_hi_u32 s45, s39, s22
	s_waitcnt lgkmcnt(1)
	v_mfma_f32_16x16x16_bf16 a[0:3], v[14:15], v[6:7], a[0:3]
	s_add_i32 s44, s45, s44
	s_mul_i32 s31, s31, s22
	s_add_i32 s45, s44, s31
	s_mul_i32 s44, s39, s22
	s_waitcnt lgkmcnt(0)
	v_mfma_f32_16x16x16_bf16 a[0:3], v[2:3], v[8:9], a[0:3]
	s_lshl_b64 s[44:45], s[44:45], 2
	s_add_u32 s44, s42, s44
	s_addc_u32 s45, s43, s45
	s_and_b64 vcc, exec, s[0:1]
	v_mov_b32_e32 v102, 0
	v_mov_b32_e32 v101, 0
	;; [unrolled: 1-line block ×19, first 2 shown]
	s_cbranch_vccnz .LBB594_12
; %bb.11:                               ;   in Loop: Header=BB594_6 Depth=1
	s_and_b32 s25, s25, 0xffff
	buffer_load_dwordx4 v[14:17], v72, s[24:27], 0 offen
	buffer_load_dwordx4 v[10:13], v72, s[24:27], s61 offen
	;; [unrolled: 1-line block ×4, first 2 shown]
	v_mov_b32_e32 v101, v74
	v_mov_b32_e32 v100, v75
.LBB594_12:                             ;   in Loop: Header=BB594_6 Depth=1
	v_add_u32_e32 v22, s59, v68
	v_ashrrev_i32_e32 v18, 31, v22
	v_mul_lo_u32 v20, v18, s22
	v_mul_lo_u32 v21, v22, s23
	v_mad_u64_u32 v[18:19], s[24:25], v22, s22, 0
	v_add3_u32 v19, v19, v21, v20
	v_lshl_add_u64 v[18:19], v[18:19], 2, s[42:43]
	global_load_dword v38, v[18:19], off
	v_add_u32_e32 v18, 1, v22
	v_ashrrev_i32_e32 v19, 31, v18
	v_mul_lo_u32 v20, v19, s22
	v_mul_lo_u32 v21, v18, s23
	v_mad_u64_u32 v[18:19], s[24:25], v18, s22, 0
	v_add3_u32 v19, v19, v21, v20
	v_add_u32_e32 v20, 2, v22
	v_ashrrev_i32_e32 v21, 31, v20
	v_mul_lo_u32 v23, v21, s22
	v_mul_lo_u32 v24, v20, s23
	v_mad_u64_u32 v[20:21], s[24:25], v20, s22, 0
	v_add_u32_e32 v22, 3, v22
	v_add3_u32 v21, v21, v24, v23
	v_ashrrev_i32_e32 v23, 31, v22
	v_mul_lo_u32 v26, v23, s22
	v_mul_lo_u32 v27, v22, s23
	v_mad_u64_u32 v[22:23], s[24:25], v22, s22, 0
	s_ashr_i32 s25, s59, 31
	s_add_u32 s24, s57, s59
	s_addc_u32 s25, s56, s25
	s_lshl_b64 s[24:25], s[24:25], 8
	v_lshl_add_u64 v[18:19], v[18:19], 2, s[42:43]
	v_lshl_add_u64 v[24:25], v[62:63], 0, s[24:25]
	v_add3_u32 v23, v23, v27, v26
	v_lshl_add_u64 v[20:21], v[20:21], 2, s[42:43]
	global_load_ushort v39, v[24:25], off
	global_load_ushort v40, v[24:25], off offset:256
	global_load_ushort v41, v[24:25], off offset:512
	;; [unrolled: 1-line block ×3, first 2 shown]
	v_lshl_add_u64 v[22:23], v[22:23], 2, s[42:43]
	global_load_dword v43, v[18:19], off
	global_load_dword v44, v[20:21], off
	;; [unrolled: 1-line block ×3, first 2 shown]
	s_load_dword s24, s[44:45], 0x0
	ds_read_b64 v[26:27], v80 offset:24576
	ds_read2st64_b64 v[22:25], v85 offset1:1
	ds_read2st64_b64 v[28:31], v85 offset0:2 offset1:3
	ds_read_b64 v[32:33], v82 offset:24576
	ds_read_b64 v[34:35], v83 offset:24576
	;; [unrolled: 1-line block ×3, first 2 shown]
	s_waitcnt lgkmcnt(0)
	v_mfma_f32_16x16x16_bf16 a[0:3], v[26:27], v[22:23], a[0:3]
	v_mov_b32_e32 v103, 0
	v_mov_b32_e32 v18, 0
	v_mov_b32_e32 v19, 0
	v_mfma_f32_16x16x16_bf16 a[0:3], v[32:33], v[24:25], a[0:3]
	v_mov_b32_e32 v20, 0
	v_mov_b32_e32 v21, 0
	v_mov_b32_e32 v22, 0
	;; [unrolled: 4-line block ×4, first 2 shown]
	s_and_b64 vcc, exec, s[0:1]
	s_waitcnt vmcnt(7)
	v_sub_f32_e32 v29, s24, v38
	v_mul_f32_e32 v29, 0x3fb8aa3b, v29
	v_exp_f32_e32 v38, v29
	v_accvgpr_read_b32 v33, a1
	v_accvgpr_read_b32 v31, a3
	;; [unrolled: 1-line block ×4, first 2 shown]
	s_waitcnt vmcnt(6)
	v_lshlrev_b32_e32 v34, 16, v39
	s_waitcnt vmcnt(5)
	v_lshlrev_b32_e32 v35, 16, v40
	;; [unrolled: 2-line block ×3, first 2 shown]
	s_waitcnt vmcnt(2)
	v_sub_f32_e32 v39, s24, v43
	s_waitcnt vmcnt(1)
	v_sub_f32_e32 v40, s24, v44
	;; [unrolled: 2-line block ×3, first 2 shown]
	v_mul_f32_e32 v29, 0x3fb8aa3b, v39
	v_mul_f32_e32 v40, 0x3fb8aa3b, v40
	;; [unrolled: 1-line block ×3, first 2 shown]
	v_exp_f32_e32 v39, v29
	v_exp_f32_e32 v40, v40
	;; [unrolled: 1-line block ×3, first 2 shown]
	v_lshlrev_b32_e32 v37, 16, v42
	v_pk_add_f32 v[32:33], v[34:35], v[32:33] neg_lo:[0,1] neg_hi:[0,1]
	v_pk_add_f32 v[30:31], v[36:37], v[30:31] neg_lo:[0,1] neg_hi:[0,1]
	v_pk_mul_f32 v[32:33], v[38:39], v[32:33]
	v_pk_mul_f32 v[30:31], v[40:41], v[30:31]
	v_mov_b32_e32 v29, 0
	v_perm_b32 v31, v31, v30, s3
	v_perm_b32 v30, v33, v32, s3
	ds_write_b64 v77, v[30:31]
	v_mov_b32_e32 v30, 0
	v_mov_b32_e32 v31, 0
	;; [unrolled: 1-line block ×4, first 2 shown]
	s_cbranch_vccnz .LBB594_14
; %bb.13:                               ;   in Loop: Header=BB594_6 Depth=1
	s_and_b32 s29, s29, 0xffff
	s_mov_b32 s31, s27
	buffer_load_dwordx4 v[30:33], v87, s[28:31], 0 offen
	buffer_load_dwordx4 v[22:25], v87, s[28:31], s61 offen
	;; [unrolled: 1-line block ×4, first 2 shown]
	v_mov_b32_e32 v102, v71
	v_mov_b32_e32 v103, v70
.LBB594_14:                             ;   in Loop: Header=BB594_6 Depth=1
	s_waitcnt lgkmcnt(0)
	s_barrier
	ds_read_b64 v[34:35], v90
	ds_read_b64 v[40:41], v91
	ds_read2st64_b64 v[36:39], v85 offset1:1
	ds_read2st64_b64 v[104:107], v85 offset0:2 offset1:3
	ds_read_b64 v[42:43], v92
	ds_read_b64 v[112:113], v93
	s_add_i32 s25, s58, s64
	s_mul_hi_i32 s29, s25, s17
	s_mul_i32 s25, s25, s17
	s_waitcnt lgkmcnt(3)
	v_mfma_f32_16x16x16_bf16 a[0:3], v[34:35], v[36:37], 0
	ds_read_b64 v[34:35], v95
	s_add_u32 s28, s25, s33
	s_addc_u32 s29, s29, s46
	v_mfma_f32_16x16x16_bf16 a[0:3], v[40:41], v[38:39], a[0:3]
	ds_read_b64 v[40:41], v96
	s_lshl_b64 s[28:29], s[28:29], 15
	s_mul_i32 s31, s39, s17
	s_mul_hi_i32 s25, s39, s17
	s_add_u32 s44, s31, s33
	s_addc_u32 s45, s25, s46
	s_lshl_b64 s[44:45], s[44:45], 9
	s_add_u32 s44, s20, s44
	s_waitcnt lgkmcnt(1)
	v_mfma_f32_16x16x16_bf16 a[4:7], v[34:35], v[36:37], 0
	s_addc_u32 s45, s21, s45
	s_and_b64 vcc, exec, s[0:1]
	v_mfma_f32_16x16x16_bf16 a[0:3], v[42:43], v[104:105], a[0:3]
	ds_read_b64 v[42:43], v97
	ds_read_b64 v[114:115], v98
	global_load_dwordx4 v[34:37], v94, s[44:45]
	s_waitcnt lgkmcnt(2)
	v_mfma_f32_16x16x16_bf16 a[4:7], v[40:41], v[38:39], a[4:7]
	global_load_dwordx4 v[38:41], v89, s[44:45]
	ds_read_b64 v[108:109], v59
	ds_read_b64 v[110:111], v86
	s_waitcnt lgkmcnt(3)
	v_mfma_f32_16x16x16_bf16 a[8:11], v[42:43], v[104:105], a[4:7]
	v_lshl_add_u64 v[42:43], v[60:61], 0, s[28:29]
	s_waitcnt lgkmcnt(0)
	global_store_dwordx4 v[42:43], v[108:111], off
	v_mfma_f32_16x16x16_bf16 a[4:7], v[112:113], v[106:107], a[0:3]
	s_waitcnt vmcnt(2)
	v_mov_b32_e32 v44, v37
	v_mfma_f32_16x16x16_bf16 a[0:3], v[114:115], v[106:107], a[8:11]
	v_mov_b32_e32 v43, v36
	v_mov_b32_e32 v42, v35
	s_cbranch_vccnz .LBB594_16
; %bb.15:                               ;   in Loop: Header=BB594_6 Depth=1
	v_lshrrev_b32_e32 v35, 3, v102
	v_and_b32_e32 v35, 6, v35
	v_xor_b32_e32 v36, v35, v103
	v_lshlrev_b32_e32 v36, 2, v36
	v_and_b32_e32 v37, 8, v102
	v_xor_b32_e32 v102, 0x440, v36
	v_cmp_eq_u32_e32 vcc, 0, v37
	v_perm_b32 v37, v22, v18, s62
	s_nop 0
	v_cndmask_b32_e32 v36, v102, v36, vcc
	v_lshl_or_b32 v35, v35, 10, v36
	v_perm_b32 v36, v30, v26, s62
	s_barrier
	ds_write2st64_b32 v35, v36, v37 offset1:32
	v_xor_b32_e32 v36, 8, v35
	v_perm_b32 v26, v30, v26, s63
	v_perm_b32 v18, v22, v18, s63
	v_add_u32_e32 v22, 0x80, v36
	ds_write2st64_b32 v22, v26, v18 offset1:32
	v_xor_b32_e32 v18, 16, v35
	v_perm_b32 v22, v31, v27, s62
	v_perm_b32 v26, v23, v19, s62
	ds_write2st64_b32 v18, v22, v26 offset0:1 offset1:33
	v_xor_b32_e32 v18, 24, v35
	v_perm_b32 v22, v31, v27, s63
	v_perm_b32 v19, v23, v19, s63
	v_add_u32_e32 v18, 0x80, v18
	ds_write2st64_b32 v18, v22, v19 offset0:1 offset1:33
	v_xor_b32_e32 v18, 32, v35
	v_perm_b32 v19, v32, v28, s62
	v_perm_b32 v22, v24, v20, s62
	ds_write2st64_b32 v18, v19, v22 offset0:2 offset1:34
	v_xor_b32_e32 v18, 40, v35
	v_perm_b32 v19, v32, v28, s63
	v_perm_b32 v20, v24, v20, s63
	v_add_u32_e32 v18, 0x80, v18
	ds_write2st64_b32 v18, v19, v20 offset0:2 offset1:34
	;; [unrolled: 9-line block ×3, first 2 shown]
	ds_write_b64 v101, v[14:15] offset:16384
	v_xor_b32_e32 v14, 8, v101
	ds_write_b64 v14, v[16:17] offset:16384
	ds_write_b64 v101, v[10:11] offset:24576
	;; [unrolled: 1-line block ×4, first 2 shown]
	v_xor_b32_e32 v6, 8, v100
	ds_write_b64 v6, v[8:9] offset:16384
	ds_write_b64 v100, v[2:3] offset:24576
	;; [unrolled: 1-line block ×3, first 2 shown]
.LBB594_16:                             ;   in Loop: Header=BB594_6 Depth=1
	v_mul_f32_e32 v6, s24, v99
	v_exp_f32_e32 v10, v6
	s_waitcnt vmcnt(1)
	v_mul_f32_e32 v6, 0x3fb8aa3b, v38
	v_exp_f32_e32 v12, v6
	v_mul_f32_e32 v6, 0x3fb8aa3b, v39
	v_exp_f32_e32 v13, v6
	;; [unrolled: 2-line block ×4, first 2 shown]
	v_accvgpr_read_b32 v2, a4
	v_accvgpr_read_b32 v3, a5
	v_pk_mul_f32 v[12:13], v[10:11], v[12:13] op_sel_hi:[0,1]
	v_pk_fma_f32 v[52:53], v[52:53], v[12:13], v[2:3]
	v_pk_mul_f32 v[2:3], v[10:11], v[14:15] op_sel_hi:[0,1]
	v_mul_f32_e32 v11, 0x3fb8aa3b, v34
	v_exp_f32_e32 v12, v11
	v_mul_f32_e32 v11, 0x3fb8aa3b, v42
	v_exp_f32_e32 v13, v11
	;; [unrolled: 2-line block ×4, first 2 shown]
	v_accvgpr_read_b32 v4, a6
	v_accvgpr_read_b32 v5, a7
	;; [unrolled: 1-line block ×5, first 2 shown]
	v_pk_fma_f32 v[56:57], v[56:57], v[2:3], v[4:5]
	v_pk_mul_f32 v[2:3], v[10:11], v[12:13] op_sel_hi:[0,1]
	v_accvgpr_read_b32 v8, a2
	v_pk_fma_f32 v[50:51], v[50:51], v[2:3], v[6:7]
	v_pk_mul_f32 v[2:3], v[10:11], v[14:15] op_sel_hi:[0,1]
	s_add_i32 s59, s59, 64
	s_cmp_eq_u32 s53, s37
	v_pk_fma_f32 v[54:55], v[54:55], v[2:3], v[8:9]
	s_cbranch_scc1 .LBB594_18
; %bb.17:                               ;   in Loop: Header=BB594_6 Depth=1
	s_mov_b32 s64, s37
	s_branch .LBB594_6
.LBB594_18:
	s_lshl_b32 s0, s53, 6
	s_sub_i32 s44, s54, s0
	s_cmp_gt_i32 s44, 0
	s_cbranch_scc0 .LBB594_75
; %bb.19:
	s_add_i32 s34, s0, s34
	s_ashr_i32 s3, s34, 31
	s_cmpk_lg_i32 s19, 0x80
	s_cselect_b64 s[30:31], -1, 0
	s_and_b64 vcc, exec, s[30:31]
	s_cbranch_vccz .LBB594_21
; %bb.20:
	s_mul_hi_i32 s0, s34, s18
	s_mul_i32 s1, s34, s18
	s_ashr_i32 s18, s55, 31
	s_add_u32 s42, s1, s55
	s_addc_u32 s43, s0, s18
	s_cbranch_execz .LBB594_22
	s_branch .LBB594_23
.LBB594_21:
                                        ; implicit-def: $sgpr42_sgpr43
.LBB594_22:
	s_mul_i32 s1, s55, s16
	s_mul_hi_i32 s0, s55, s16
	s_add_u32 s42, s1, s34
	s_addc_u32 s43, s0, s3
.LBB594_23:
	s_waitcnt lgkmcnt(0)
	s_add_i32 s16, s53, s58
	s_add_u32 s0, s57, s34
	s_addc_u32 s1, s56, s3
	s_mov_b32 s3, 0x7060302
	v_lshlrev_b32_e32 v6, 3, v65
	s_lshl_b64 s[28:29], s[0:1], 8
	v_perm_b32 v3, v57, v56, s3
	v_perm_b32 v2, v53, v52, s3
	v_perm_b32 v5, v55, v54, s3
	v_perm_b32 v4, v51, v50, s3
	v_lshlrev_b32_e32 v34, 2, v65
	v_lshl_or_b32 v6, v68, 5, v6
	s_add_u32 s0, s6, s28
	ds_write2st64_b64 v6, v[2:3], v[4:5] offset0:72 offset1:76
	v_xor_b32_e32 v6, v68, v34
	v_lshlrev_b32_e32 v7, 8, v65
	s_addc_u32 s1, s7, s29
	v_lshl_or_b32 v6, v6, 1, v7
	s_mul_hi_i32 s3, s16, s17
	s_mul_i32 s16, s16, s17
	ds_write_b64 v6, v[2:3] offset:32768
	v_xor_b32_e32 v2, v69, v34
	s_add_u32 s6, s16, s33
	v_lshl_or_b32 v2, v2, 1, v7
	s_addc_u32 s7, s3, s46
	v_lshlrev_b32_e32 v3, 1, v65
	ds_write_b64 v2, v[4:5] offset:32768
	v_lshrrev_b32_e32 v2, 4, v0
	s_ashr_i32 s3, s2, 31
	s_lshl_b64 s[6:7], s[6:7], 15
	v_or_b32_e32 v4, 1, v3
	s_add_u32 s6, s40, s6
	v_xor_b32_e32 v3, v2, v3
	v_xor_b32_e32 v4, v4, v2
	v_lshlrev_b32_e32 v6, 8, v2
	s_addc_u32 s7, s41, s7
	s_lshl_b64 s[2:3], s[2:3], 8
	v_lshl_or_b32 v2, v3, 3, v6
	v_lshl_or_b32 v4, v4, 3, v6
	s_waitcnt lgkmcnt(0)
	s_barrier
	s_add_u32 s2, s6, s2
	ds_read_b64 v[2:3], v2 offset:32768
	ds_read_b64 v[4:5], v4 offset:32768
	s_addc_u32 s3, s7, s3
	v_mov_b32_e32 v7, 0
	s_cmp_lg_u32 s44, 64
	v_lshl_add_u64 v[8:9], s[2:3], 0, v[6:7]
	v_lshlrev_b32_e32 v6, 4, v65
	s_cselect_b64 s[6:7], -1, 0
	v_lshl_or_b32 v36, v1, 3, v67
	s_mov_b32 s24, 0
	v_lshl_add_u64 v[6:7], v[8:9], 0, v[6:7]
	v_or_b32_e32 v19, 32, v36
	v_and_b32_e32 v18, 56, v66
	s_and_b64 vcc, exec, s[6:7]
	s_waitcnt lgkmcnt(0)
	global_store_dwordx4 v[6:7], v[2:5], off
	s_cbranch_vccz .LBB594_29
; %bb.24:
	s_mov_b32 s25, s24
	s_mov_b32 s26, s24
	;; [unrolled: 1-line block ×3, first 2 shown]
	v_mov_b64_e32 v[6:7], s[24:25]
	v_mov_b64_e32 v[8:9], s[26:27]
	;; [unrolled: 1-line block ×3, first 2 shown]
	v_cmp_gt_i32_e32 vcc, s44, v36
	v_mov_b64_e32 v[4:5], v[8:9]
	s_and_saveexec_b64 s[2:3], vcc
	s_cbranch_execz .LBB594_26
; %bb.25:
	v_lshlrev_b32_e32 v2, 8, v36
	v_mov_b32_e32 v3, 0
	v_lshl_add_u64 v[4:5], s[0:1], 0, v[2:3]
	v_lshlrev_b32_e32 v2, 1, v18
	v_lshl_add_u64 v[10:11], v[4:5], 0, v[2:3]
	global_load_dwordx4 v[6:9], v[10:11], off
	global_load_dwordx4 v[2:5], v[10:11], off offset:128
.LBB594_26:
	s_or_b64 exec, exec, s[2:3]
	s_mov_b32 s25, s24
	s_mov_b32 s26, s24
	;; [unrolled: 1-line block ×3, first 2 shown]
	v_mov_b64_e32 v[14:15], s[24:25]
	v_mov_b64_e32 v[16:17], s[26:27]
	;; [unrolled: 1-line block ×3, first 2 shown]
	v_cmp_gt_i32_e32 vcc, s44, v19
	v_lshlrev_b32_e32 v20, 7, v19
	v_mov_b64_e32 v[12:13], v[16:17]
	s_and_saveexec_b64 s[2:3], vcc
	s_cbranch_execz .LBB594_28
; %bb.27:
	v_lshlrev_b32_e32 v10, 1, v20
	v_mov_b32_e32 v11, 0
	v_lshl_add_u64 v[12:13], s[0:1], 0, v[10:11]
	v_lshlrev_b32_e32 v10, 1, v18
	v_lshl_add_u64 v[22:23], v[12:13], 0, v[10:11]
	global_load_dwordx4 v[14:17], v[22:23], off
	global_load_dwordx4 v[10:13], v[22:23], off offset:128
.LBB594_28:
	s_or_b64 exec, exec, s[2:3]
	v_lshrrev_b32_e32 v21, 3, v18
	v_lshlrev_b32_e32 v22, 3, v36
	v_or_b32_e32 v21, v22, v21
	v_lshlrev_b32_e32 v21, 4, v21
	v_and_b32_e32 v22, 0x78, v22
	v_xor_b32_e32 v21, v21, v22
	s_branch .LBB594_31
.LBB594_29:
                                        ; implicit-def: $vgpr21
                                        ; implicit-def: $vgpr20
                                        ; implicit-def: $vgpr6_vgpr7_vgpr8_vgpr9
                                        ; implicit-def: $vgpr2_vgpr3_vgpr4_vgpr5
                                        ; implicit-def: $vgpr14_vgpr15_vgpr16_vgpr17
                                        ; implicit-def: $vgpr10_vgpr11_vgpr12_vgpr13
	s_cbranch_execz .LBB594_31
; %bb.30:
	s_waitcnt vmcnt(0)
	v_lshlrev_b32_e32 v2, 1, v18
	v_lshl_or_b32 v20, v36, 8, v2
	s_and_b32 s1, s1, 0xffff
	s_mov_b32 s3, 0x20000
	s_movk_i32 s2, 0x4000
	v_lshl_or_b32 v21, v19, 8, v2
	s_movk_i32 s16, 0x80
	buffer_load_dwordx4 v[6:9], v20, s[0:3], 0 offen
	buffer_load_dwordx4 v[2:5], v20, s[0:3], s16 offen
	;; [unrolled: 1-line block ×4, first 2 shown]
	v_lshrrev_b32_e32 v20, 3, v18
	v_lshlrev_b32_e32 v21, 3, v36
	v_or_b32_e32 v20, v21, v20
	v_lshlrev_b32_e32 v20, 4, v20
	v_and_b32_e32 v21, 0x78, v21
	v_xor_b32_e32 v21, v20, v21
	v_lshlrev_b32_e32 v20, 7, v19
.LBB594_31:
	s_lshl_b64 s[0:1], s[42:43], 8
	s_add_u32 s4, s4, s0
	s_movk_i32 s0, 0x1000
	v_and_or_b32 v19, v20, s0, v21
	s_waitcnt vmcnt(1)
	ds_write_b64 v21, v[6:7] offset:16384
	v_xor_b32_e32 v6, 8, v21
	ds_write_b64 v6, v[8:9] offset:16384
	s_waitcnt vmcnt(0)
	ds_write_b64 v21, v[2:3] offset:24576
	ds_write_b64 v6, v[4:5] offset:24576
	ds_write_b64 v19, v[14:15] offset:16384
	v_xor_b32_e32 v2, 8, v19
	ds_write_b64 v2, v[16:17] offset:16384
	ds_write_b64 v19, v[10:11] offset:24576
	;; [unrolled: 1-line block ×3, first 2 shown]
	v_or_b32_e32 v2, v45, v65
	v_lshlrev_b32_e32 v2, 3, v2
	v_lshrrev_b32_e32 v4, 5, v49
	s_movk_i32 s16, 0xf8
	v_and_or_b32 v4, v2, s16, v4
	v_lshlrev_b32_e32 v35, 11, v1
	v_lshlrev_b32_e32 v12, 4, v4
	v_and_b32_e32 v13, 0x78, v2
	v_and_b32_e32 v14, 0x1000, v35
	v_lshlrev_b32_e32 v3, 2, v0
	v_xor_b32_e32 v2, v12, v13
	v_lshrrev_b32_e32 v4, 1, v49
	v_and_b32_e32 v3, 60, v3
	v_or_b32_e32 v2, v2, v14
	v_and_b32_e32 v15, 8, v4
	v_xor_b32_e32 v26, v2, v15
	v_lshl_or_b32 v2, v64, 6, v3
	v_lshlrev_b32_e32 v37, 1, v2
	v_or_b32_e32 v2, 32, v12
	v_xor_b32_e32 v2, v2, v13
	s_waitcnt lgkmcnt(0)
	s_barrier
	ds_read_b64 v[10:11], v26 offset:16384
	v_or_b32_e32 v2, v2, v14
	v_xor_b32_e32 v27, v2, v15
	v_or_b32_e32 v2, 64, v12
	v_xor_b32_e32 v2, v2, v13
	v_or_b32_e32 v2, v2, v14
	v_or_b32_e32 v12, 0x60, v12
	v_xor_b32_e32 v28, v2, v15
	ds_read2st64_b64 v[2:5], v37 offset0:72 offset1:73
	ds_read2st64_b64 v[6:9], v37 offset0:74 offset1:75
	v_xor_b32_e32 v16, v12, v13
	ds_read_b64 v[12:13], v27 offset:16384
	s_addc_u32 s5, s5, s1
	s_add_i32 s0, s48, s47
	s_waitcnt lgkmcnt(2)
	v_mfma_f32_16x16x16_bf16 a[0:3], v[10:11], v[2:3], 0
	s_add_i32 s18, s35, -1
	s_add_i32 s39, s0, s49
	s_add_i32 s0, s51, s50
	;; [unrolled: 1-line block ×3, first 2 shown]
	s_ashr_i32 s0, s18, 31
	s_mul_i32 s1, s18, s23
	s_mul_hi_u32 s2, s18, s22
	s_add_i32 s1, s2, s1
	s_mul_i32 s0, s0, s22
	v_or_b32_e32 v14, v16, v14
	s_add_i32 s1, s1, s0
	s_lshl_b64 s[2:3], s[38:39], 2
	v_xor_b32_e32 v38, v14, v15
	ds_read_b64 v[14:15], v28 offset:16384
	ds_read_b64 v[16:17], v38 offset:16384
	s_waitcnt lgkmcnt(2)
	v_mfma_f32_16x16x16_bf16 a[0:3], v[12:13], v[4:5], a[0:3]
	s_add_u32 s10, s10, s2
	s_addc_u32 s11, s11, s3
	s_lshl_b64 s[2:3], s[36:37], 2
	s_mul_i32 s0, s18, s22
	s_add_u32 s10, s10, s2
	s_addc_u32 s11, s11, s3
	s_lshl_b64 s[0:1], s[0:1], 2
	s_waitcnt lgkmcnt(1)
	v_mfma_f32_16x16x16_bf16 a[0:3], v[14:15], v[6:7], a[0:3]
	s_add_u32 s0, s10, s0
	s_addc_u32 s1, s11, s1
	s_load_dword s16, s[0:1], 0x0
	s_waitcnt lgkmcnt(0)
	v_mfma_f32_16x16x16_bf16 a[0:3], v[16:17], v[8:9], a[0:3]
	s_and_b64 vcc, exec, s[30:31]
	s_cbranch_vccz .LBB594_42
; %bb.32:
	v_lshlrev_b32_e32 v19, 1, v36
	s_and_b64 vcc, exec, s[6:7]
	s_cbranch_vccz .LBB594_43
; %bb.33:
	v_cmp_gt_i32_e32 vcc, s44, v19
	v_mov_b32_e32 v6, 0
	v_mov_b32_e32 v2, 0
	;; [unrolled: 1-line block ×5, first 2 shown]
	s_and_saveexec_b64 s[0:1], vcc
	s_cbranch_execz .LBB594_35
; %bb.34:
	v_mad_i64_i32 v[2:3], s[2:3], s19, v19, 0
	v_lshl_add_u64 v[2:3], v[2:3], 1, s[4:5]
	v_lshlrev_b32_e32 v4, 1, v18
	v_mov_b32_e32 v5, 0
	v_lshl_add_u64 v[2:3], v[2:3], 0, v[4:5]
	global_load_dwordx4 v[2:5], v[2:3], off
.LBB594_35:
	s_or_b64 exec, exec, s[0:1]
	v_or_b32_e32 v20, 1, v19
	v_cmp_gt_i32_e64 s[0:1], s44, v20
	v_mov_b32_e32 v7, 0
	v_mov_b32_e32 v8, 0
	;; [unrolled: 1-line block ×3, first 2 shown]
	s_and_saveexec_b64 s[2:3], s[0:1]
	s_cbranch_execz .LBB594_37
; %bb.36:
	v_mad_i64_i32 v[6:7], s[24:25], s19, v20, 0
	v_lshl_add_u64 v[6:7], v[6:7], 1, s[4:5]
	v_lshlrev_b32_e32 v8, 1, v18
	v_mov_b32_e32 v9, 0
	v_lshl_add_u64 v[6:7], v[6:7], 0, v[8:9]
	global_load_dwordx4 v[6:9], v[6:7], off
.LBB594_37:
	s_or_b64 exec, exec, s[2:3]
	v_mov_b32_e32 v17, 0
	v_mov_b32_e32 v10, 0
	;; [unrolled: 1-line block ×5, first 2 shown]
	s_and_saveexec_b64 s[2:3], vcc
	s_cbranch_execz .LBB594_39
; %bb.38:
	v_mad_i64_i32 v[10:11], s[24:25], s19, v19, 0
	v_lshl_add_u64 v[10:11], v[10:11], 1, s[4:5]
	v_lshlrev_b32_e32 v12, 1, v18
	v_mov_b32_e32 v13, 0
	v_lshl_add_u64 v[10:11], v[10:11], 0, v[12:13]
	global_load_dwordx4 v[10:13], v[10:11], off offset:128
.LBB594_39:
	s_or_b64 exec, exec, s[2:3]
	v_mov_b32_e32 v16, 0
	v_mov_b32_e32 v15, 0
	;; [unrolled: 1-line block ×3, first 2 shown]
	s_and_saveexec_b64 s[2:3], s[0:1]
	s_cbranch_execz .LBB594_41
; %bb.40:
	v_mad_i64_i32 v[14:15], s[0:1], s19, v20, 0
	v_lshl_add_u64 v[14:15], v[14:15], 1, s[4:5]
	v_lshlrev_b32_e32 v16, 1, v18
	v_mov_b32_e32 v17, 0
	v_lshl_add_u64 v[14:15], v[14:15], 0, v[16:17]
	global_load_dwordx4 v[14:17], v[14:15], off offset:128
.LBB594_41:
	s_or_b64 exec, exec, s[2:3]
	s_branch .LBB594_45
.LBB594_42:
                                        ; implicit-def: $vgpr5
                                        ; implicit-def: $vgpr9
                                        ; implicit-def: $vgpr13
                                        ; implicit-def: $vgpr17
	v_lshrrev_b32_e32 v19, 2, v49
	s_branch .LBB594_46
.LBB594_43:
                                        ; implicit-def: $vgpr5
                                        ; implicit-def: $vgpr9
                                        ; implicit-def: $vgpr13
                                        ; implicit-def: $vgpr17
	s_cbranch_execz .LBB594_45
; %bb.44:
	s_waitcnt vmcnt(0)
	v_mad_u64_u32 v[2:3], s[0:1], v19, s19, v[18:19]
	v_lshlrev_b32_e32 v19, 1, v2
	s_lshl_b32 s2, s19, 7
	s_and_b32 s1, s5, 0xffff
	s_mov_b32 s3, 0x20000
	s_mov_b32 s0, s4
	v_add_lshl_u32 v20, v2, s19, 1
	s_movk_i32 s19, 0x80
	buffer_load_dwordx4 v[2:5], v19, s[0:3], 0 offen
	buffer_load_dwordx4 v[10:13], v19, s[0:3], s19 offen
	;; [unrolled: 1-line block ×4, first 2 shown]
.LBB594_45:
	v_lshrrev_b32_e32 v19, 2, v49
	s_cbranch_execnz .LBB594_58
.LBB594_46:
	s_and_b64 vcc, exec, s[6:7]
	s_cbranch_vccz .LBB594_56
; %bb.47:
	s_waitcnt vmcnt(0)
	v_lshlrev_b32_e32 v7, 1, v36
	v_cmp_gt_i32_e32 vcc, s44, v7
	v_mov_b32_e32 v6, 0
	v_lshlrev_b32_e32 v14, 9, v36
	v_mov_b32_e32 v2, 0
	v_mov_b32_e32 v3, 0
	v_mov_b32_e32 v4, 0
	v_mov_b32_e32 v5, 0
	s_and_saveexec_b64 s[0:1], vcc
	s_cbranch_execz .LBB594_49
; %bb.48:
	v_mov_b32_e32 v15, 0
	v_lshl_add_u64 v[2:3], s[4:5], 0, v[14:15]
	v_lshlrev_b32_e32 v4, 1, v18
	v_mov_b32_e32 v5, v15
	v_lshl_add_u64 v[2:3], v[2:3], 0, v[4:5]
	global_load_dwordx4 v[2:5], v[2:3], off
.LBB594_49:
	s_or_b64 exec, exec, s[0:1]
	v_or_b32_e32 v7, 1, v7
	v_cmp_gt_i32_e64 s[0:1], s44, v7
	v_lshlrev_b32_e32 v20, 8, v7
	v_mov_b32_e32 v7, 0
	v_mov_b32_e32 v8, 0
	v_mov_b32_e32 v9, 0
	s_and_saveexec_b64 s[2:3], s[0:1]
	s_cbranch_execz .LBB594_51
; %bb.50:
	v_mov_b32_e32 v21, 0
	v_lshl_add_u64 v[6:7], s[4:5], 0, v[20:21]
	v_lshlrev_b32_e32 v8, 1, v18
	v_mov_b32_e32 v9, v21
	v_lshl_add_u64 v[6:7], v[6:7], 0, v[8:9]
	global_load_dwordx4 v[6:9], v[6:7], off
.LBB594_51:
	s_or_b64 exec, exec, s[2:3]
	v_mov_b32_e32 v17, 0
	v_mov_b32_e32 v10, 0
	v_mov_b32_e32 v11, 0
	v_mov_b32_e32 v12, 0
	v_mov_b32_e32 v13, 0
	s_and_saveexec_b64 s[2:3], vcc
	s_cbranch_execz .LBB594_53
; %bb.52:
	v_mov_b32_e32 v15, 0
	v_lshl_add_u64 v[10:11], s[4:5], 0, v[14:15]
	v_lshlrev_b32_e32 v14, 1, v18
	v_lshl_add_u64 v[10:11], v[10:11], 0, v[14:15]
	global_load_dwordx4 v[10:13], v[10:11], off offset:128
.LBB594_53:
	s_or_b64 exec, exec, s[2:3]
	v_mov_b32_e32 v16, 0
	v_mov_b32_e32 v15, 0
	;; [unrolled: 1-line block ×3, first 2 shown]
	s_and_saveexec_b64 s[2:3], s[0:1]
	s_cbranch_execz .LBB594_55
; %bb.54:
	v_mov_b32_e32 v21, 0
	v_lshl_add_u64 v[14:15], s[4:5], 0, v[20:21]
	v_lshlrev_b32_e32 v20, 1, v18
	v_lshl_add_u64 v[14:15], v[14:15], 0, v[20:21]
	global_load_dwordx4 v[14:17], v[14:15], off offset:128
.LBB594_55:
	s_or_b64 exec, exec, s[2:3]
	s_branch .LBB594_58
.LBB594_56:
                                        ; implicit-def: $vgpr5
                                        ; implicit-def: $vgpr9
                                        ; implicit-def: $vgpr13
                                        ; implicit-def: $vgpr17
	s_cbranch_execz .LBB594_58
; %bb.57:
	s_waitcnt vmcnt(0)
	v_lshlrev_b32_e32 v2, 1, v18
	v_lshl_or_b32 v18, v36, 9, v2
	s_and_b32 s5, s5, 0xffff
	s_mov_b32 s7, 0x20000
	s_movk_i32 s6, 0x4000
	s_movk_i32 s0, 0x80
	buffer_load_dwordx4 v[2:5], v18, s[4:7], 0 offen
	buffer_load_dwordx4 v[6:9], v18, s[4:7], 0 offen offset:256
	buffer_load_dwordx4 v[10:13], v18, s[4:7], s0 offen
	buffer_load_dwordx4 v[14:17], v18, s[4:7], s0 offen offset:256
.LBB594_58:
	v_and_b32_e32 v39, 12, v19
	ds_read2st64_b64 v[22:25], v37 offset0:76 offset1:77
	ds_read2st64_b64 v[18:21], v37 offset0:78 offset1:79
	ds_read_b64 v[30:31], v26 offset:24576
	ds_read_b64 v[32:33], v27 offset:24576
	;; [unrolled: 1-line block ×4, first 2 shown]
	v_and_b32_e32 v38, 6, v0
	v_xor_b32_e32 v36, v36, v38
	v_lshlrev_b32_e32 v36, 2, v36
	v_and_b32_e32 v40, 1, v0
	v_xor_b32_e32 v41, 0x440, v36
	v_cmp_eq_u32_e32 vcc, 0, v40
	s_mov_b32 s0, 0x1000504
	s_waitcnt vmcnt(0)
	v_perm_b32 v40, v10, v14, s0
	v_cndmask_b32_e32 v36, v41, v36, vcc
	v_lshl_or_b32 v36, v38, 10, v36
	v_perm_b32 v38, v2, v6, s0
	ds_write2st64_b32 v36, v38, v40 offset1:32
	v_xor_b32_e32 v38, 8, v36
	s_mov_b32 s1, 0x3020706
	v_perm_b32 v2, v2, v6, s1
	v_perm_b32 v6, v10, v14, s1
	v_add_u32_e32 v10, 0x80, v38
	ds_write2st64_b32 v10, v2, v6 offset1:32
	v_xor_b32_e32 v2, 16, v36
	v_perm_b32 v6, v3, v7, s0
	v_perm_b32 v10, v11, v15, s0
	ds_write2st64_b32 v2, v6, v10 offset0:1 offset1:33
	v_xor_b32_e32 v2, 24, v36
	v_perm_b32 v3, v3, v7, s1
	v_perm_b32 v6, v11, v15, s1
	v_add_u32_e32 v2, 0x80, v2
	ds_write2st64_b32 v2, v3, v6 offset0:1 offset1:33
	v_xor_b32_e32 v2, 32, v36
	v_perm_b32 v3, v4, v8, s0
	v_perm_b32 v6, v12, v16, s0
	ds_write2st64_b32 v2, v3, v6 offset0:2 offset1:34
	v_xor_b32_e32 v2, 40, v36
	v_perm_b32 v3, v4, v8, s1
	v_perm_b32 v4, v12, v16, s1
	v_add_u32_e32 v2, 0x80, v2
	ds_write2st64_b32 v2, v3, v4 offset0:2 offset1:34
	v_xor_b32_e32 v2, 48, v36
	v_perm_b32 v3, v5, v9, s0
	v_perm_b32 v4, v13, v17, s0
	ds_write2st64_b32 v2, v3, v4 offset0:3 offset1:35
	v_xor_b32_e32 v2, 56, v36
	v_or_b32_e32 v8, v39, v45
	v_perm_b32 v3, v5, v9, s1
	v_perm_b32 v4, v13, v17, s1
	v_add_u32_e32 v2, 0x80, v2
	v_cmp_gt_i32_e32 vcc, s44, v8
	v_mov_b32_e32 v9, 0
	v_mov_b32_e32 v13, 0
	ds_write2st64_b32 v2, v3, v4 offset0:3 offset1:35
	s_and_saveexec_b64 s[0:1], vcc
	s_cbranch_execz .LBB594_60
; %bb.59:
	v_add_u32_e32 v2, s34, v8
	v_ashrrev_i32_e32 v3, 31, v2
	v_mul_lo_u32 v4, v3, s22
	v_mul_lo_u32 v5, v2, s23
	v_mad_u64_u32 v[2:3], s[2:3], v2, s22, 0
	v_add3_u32 v3, v3, v5, v4
	v_lshl_add_u64 v[2:3], v[2:3], 2, s[10:11]
	global_load_dword v2, v[2:3], off
	s_waitcnt vmcnt(0)
	v_sub_f32_e32 v2, s16, v2
	v_mul_f32_e32 v2, 0x3fb8aa3b, v2
	v_exp_f32_e32 v13, v2
.LBB594_60:
	s_or_b64 exec, exec, s[0:1]
	v_or_b32_e32 v11, 1, v8
	v_cmp_gt_i32_e64 s[0:1], s44, v11
	s_and_saveexec_b64 s[2:3], s[0:1]
	s_cbranch_execz .LBB594_62
; %bb.61:
	v_add_u32_e32 v2, s34, v11
	v_ashrrev_i32_e32 v3, 31, v2
	v_mul_lo_u32 v4, v3, s22
	v_mul_lo_u32 v5, v2, s23
	v_mad_u64_u32 v[2:3], s[4:5], v2, s22, 0
	v_add3_u32 v3, v3, v5, v4
	v_lshl_add_u64 v[2:3], v[2:3], 2, s[10:11]
	global_load_dword v2, v[2:3], off
	s_waitcnt vmcnt(0)
	v_sub_f32_e32 v2, s16, v2
	v_mul_f32_e32 v2, 0x3fb8aa3b, v2
	v_exp_f32_e32 v9, v2
.LBB594_62:
	s_or_b64 exec, exec, s[2:3]
	v_or_b32_e32 v12, 2, v8
	v_cmp_gt_i32_e64 s[2:3], s44, v12
	v_mov_b32_e32 v10, 0
	v_mov_b32_e32 v15, 0
	s_and_saveexec_b64 s[4:5], s[2:3]
	s_cbranch_execz .LBB594_64
; %bb.63:
	v_add_u32_e32 v2, s34, v12
	v_ashrrev_i32_e32 v3, 31, v2
	v_mul_lo_u32 v4, v3, s22
	v_mul_lo_u32 v5, v2, s23
	v_mad_u64_u32 v[2:3], s[6:7], v2, s22, 0
	v_add3_u32 v3, v3, v5, v4
	v_lshl_add_u64 v[2:3], v[2:3], 2, s[10:11]
	global_load_dword v2, v[2:3], off
	s_waitcnt vmcnt(0)
	v_sub_f32_e32 v2, s16, v2
	v_mul_f32_e32 v2, 0x3fb8aa3b, v2
	v_exp_f32_e32 v15, v2
.LBB594_64:
	s_or_b64 exec, exec, s[4:5]
	v_or_b32_e32 v14, 3, v8
	v_cmp_gt_i32_e64 s[4:5], s44, v14
	s_and_saveexec_b64 s[6:7], s[4:5]
	s_cbranch_execz .LBB594_66
; %bb.65:
	v_add_u32_e32 v2, s34, v14
	v_ashrrev_i32_e32 v3, 31, v2
	v_mul_lo_u32 v4, v3, s22
	v_mul_lo_u32 v5, v2, s23
	v_mad_u64_u32 v[2:3], s[22:23], v2, s22, 0
	v_add3_u32 v3, v3, v5, v4
	v_lshl_add_u64 v[2:3], v[2:3], 2, s[10:11]
	global_load_dword v2, v[2:3], off
	s_waitcnt vmcnt(0)
	v_sub_f32_e32 v2, s16, v2
	v_mul_f32_e32 v2, 0x3fb8aa3b, v2
	v_exp_f32_e32 v10, v2
.LBB594_66:
	s_or_b64 exec, exec, s[6:7]
	s_waitcnt lgkmcnt(11)
	v_mfma_f32_16x16x16_bf16 a[0:3], v[30:31], v[22:23], a[0:3]
	s_add_u32 s6, s8, s28
	v_ashrrev_i32_e32 v59, 31, v58
	s_addc_u32 s7, s9, s29
	s_waitcnt lgkmcnt(10)
	v_mfma_f32_16x16x16_bf16 a[0:3], v[32:33], v[24:25], a[0:3]
	v_mov_b32_e32 v16, 0
	v_lshl_add_u64 v[6:7], v[58:59], 1, s[6:7]
	v_mov_b32_e32 v17, 0
	s_waitcnt lgkmcnt(9)
	v_mfma_f32_16x16x16_bf16 a[0:3], v[28:29], v[18:19], a[0:3]
	s_waitcnt lgkmcnt(8)
	v_mfma_f32_16x16x16_bf16 a[0:3], v[26:27], v[20:21], a[0:3]
	s_nop 6
	v_accvgpr_read_b32 v5, a3
	v_accvgpr_read_b32 v4, a2
	;; [unrolled: 1-line block ×4, first 2 shown]
	s_and_saveexec_b64 s[6:7], vcc
	s_cbranch_execz .LBB594_68
; %bb.67:
	v_lshlrev_b32_e32 v18, 8, v8
	v_mov_b32_e32 v19, 0
	v_lshl_add_u64 v[18:19], v[6:7], 0, v[18:19]
	global_load_ushort v17, v[18:19], off
	s_waitcnt vmcnt(0)
	v_lshlrev_b32_e32 v17, 16, v17
	v_sub_f32_e32 v2, v17, v2
	v_mul_f32_e32 v2, v13, v2
	v_lshrrev_b32_e32 v17, 16, v2
.LBB594_68:
	s_or_b64 exec, exec, s[6:7]
	s_and_saveexec_b64 s[6:7], s[0:1]
	s_cbranch_execz .LBB594_70
; %bb.69:
	v_lshlrev_b32_e32 v18, 8, v11
	v_mov_b32_e32 v19, 0
	v_lshl_add_u64 v[18:19], v[6:7], 0, v[18:19]
	global_load_ushort v2, v[18:19], off
	s_waitcnt vmcnt(0)
	v_lshlrev_b32_e32 v2, 16, v2
	v_sub_f32_e32 v2, v2, v3
	v_mul_f32_e32 v2, v9, v2
	v_lshrrev_b32_e32 v16, 16, v2
.LBB594_70:
	s_or_b64 exec, exec, s[6:7]
	v_mov_b32_e32 v3, 0
	v_mov_b32_e32 v9, 0
	s_and_saveexec_b64 s[0:1], s[2:3]
	s_cbranch_execz .LBB594_72
; %bb.71:
	v_lshlrev_b32_e32 v12, 8, v12
	v_mov_b32_e32 v13, 0
	v_lshl_add_u64 v[12:13], v[6:7], 0, v[12:13]
	global_load_ushort v2, v[12:13], off
	s_waitcnt vmcnt(0)
	v_lshlrev_b32_e32 v2, 16, v2
	v_sub_f32_e32 v2, v2, v4
	v_mul_f32_e32 v2, v15, v2
	v_lshrrev_b32_e32 v9, 16, v2
.LBB594_72:
	s_or_b64 exec, exec, s[0:1]
	v_or_b32_e32 v2, 0x9800, v37
	s_and_saveexec_b64 s[0:1], s[4:5]
	s_cbranch_execz .LBB594_74
; %bb.73:
	v_lshlrev_b32_e32 v12, 8, v14
	v_mov_b32_e32 v13, 0
	v_lshl_add_u64 v[6:7], v[6:7], 0, v[12:13]
	global_load_ushort v3, v[6:7], off
	s_waitcnt vmcnt(0)
	v_lshlrev_b32_e32 v3, 16, v3
	v_sub_f32_e32 v3, v3, v5
	v_mul_f32_e32 v3, v10, v3
	v_lshrrev_b32_e32 v3, 16, v3
.LBB594_74:
	s_or_b64 exec, exec, s[0:1]
	s_mov_b32 s0, 0x5040100
	v_perm_b32 v5, v3, v9, s0
	v_lshlrev_b32_e32 v3, 1, v34
	v_perm_b32 v4, v16, v17, s0
	v_lshl_or_b32 v3, v8, 5, v3
	s_movk_i32 s2, 0xff
	ds_write_b64 v3, v[4:5] offset:38912
	v_and_b32_e32 v3, 7, v0
	v_cmp_lt_u32_e32 vcc, s2, v0
	v_and_b32_e32 v4, 8, v0
	v_lshlrev_b32_e32 v12, 3, v3
	v_lshlrev_b32_e32 v24, 7, v3
	v_cndmask_b32_e64 v3, 0, 1, vcc
	v_lshrrev_b32_e32 v0, 1, v0
	v_lshlrev_b32_e32 v14, 13, v3
	v_lshlrev_b32_e32 v3, 3, v1
	v_and_b32_e32 v0, 24, v0
	v_xor_b32_e32 v5, v3, v0
	v_or_b32_e32 v6, 0x440, v5
	v_cmp_eq_u32_e32 vcc, 0, v4
	s_mul_i32 s0, s18, s17
	s_mul_hi_i32 s1, s18, s17
	v_cndmask_b32_e32 v4, v6, v5, vcc
	v_or_b32_e32 v4, v4, v35
	v_xor_b32_e32 v22, v4, v12
	v_or_b32_e32 v4, 32, v0
	v_xor_b32_e32 v4, v3, v4
	v_or_b32_e32 v5, 0x440, v4
	v_cndmask_b32_e32 v4, v5, v4, vcc
	v_or_b32_e32 v4, v4, v35
	v_xor_b32_e32 v23, v4, v12
	v_or_b32_e32 v4, 64, v0
	v_xor_b32_e32 v4, v3, v4
	v_xor_b32_e32 v5, 0x440, v4
	v_cndmask_b32_e32 v4, v5, v4, vcc
	v_or_b32_e32 v0, 0x60, v0
	s_add_u32 s0, s0, s33
	v_add3_u32 v15, v14, v22, v24
	v_or_b32_e32 v4, v4, v35
	v_xor_b32_e32 v0, v3, v0
	s_waitcnt lgkmcnt(0)
	s_barrier
	s_addc_u32 s1, s1, s46
	v_lshlrev_b32_e32 v13, 2, v8
	v_xor_b32_e32 v25, v4, v12
	ds_read2st64_b64 v[4:7], v2 offset1:1
	ds_read2st64_b64 v[8:11], v2 offset0:2 offset1:3
	ds_read_b64 v[2:3], v15
	v_xor_b32_e32 v15, 0x440, v0
	s_lshl_b64 s[0:1], s[0:1], 9
	v_cndmask_b32_e32 v0, v15, v0, vcc
	s_add_u32 s0, s20, s0
	v_or_b32_e32 v0, v0, v35
	s_addc_u32 s1, s21, s1
	v_add3_u32 v16, v14, v23, v24
	v_add3_u32 v18, v14, v25, v24
	v_xor_b32_e32 v26, v0, v12
	v_add3_u32 v0, v14, v26, v24
	ds_read_b64 v[16:17], v16
	ds_read_b64 v[18:19], v18
	;; [unrolled: 1-line block ×3, first 2 shown]
	global_load_dwordx4 v[12:15], v13, s[0:1]
	v_lshlrev_b32_e32 v0, 6, v1
	v_lshlrev_b32_e32 v1, 2, v39
	s_movk_i32 s2, 0x100
	v_or3_b32 v0, v0, v1, s2
	s_waitcnt lgkmcnt(3)
	v_mfma_f32_16x16x16_bf16 a[0:3], v[2:3], v[4:5], 0
	global_load_dwordx4 v[0:3], v0, s[0:1]
	v_add_u32_e32 v27, v23, v24
	s_waitcnt vmcnt(1)
	v_mul_f32_e32 v12, 0x3fb8aa3b, v12
	s_waitcnt lgkmcnt(2)
	v_mfma_f32_16x16x16_bf16 a[0:3], v[16:17], v[6:7], a[0:3]
	v_mov_b32_e32 v16, 0x3fb8aa3b
	v_mul_f32_e32 v16, s16, v16
	v_mul_f32_e32 v13, 0x3fb8aa3b, v13
	s_waitcnt lgkmcnt(1)
	v_mfma_f32_16x16x16_bf16 a[0:3], v[18:19], v[8:9], a[0:3]
	v_exp_f32_e32 v16, v16
	v_add_u32_e32 v17, v22, v24
	v_exp_f32_e32 v12, v12
	s_waitcnt lgkmcnt(0)
	v_mfma_f32_16x16x16_bf16 a[0:3], v[20:21], v[10:11], a[0:3]
	v_exp_f32_e32 v13, v13
	ds_read_b64 v[22:23], v17 offset:8192
	v_mul_f32_e32 v14, 0x3fb8aa3b, v14
	v_mul_f32_e32 v15, 0x3fb8aa3b, v15
	v_pk_mul_f32 v[12:13], v[16:17], v[12:13] op_sel_hi:[0,1]
	v_exp_f32_e32 v14, v14
	v_exp_f32_e32 v15, v15
	v_accvgpr_read_b32 v21, a1
	v_accvgpr_read_b32 v20, a0
	v_pk_fma_f32 v[52:53], v[52:53], v[12:13], v[20:21]
	ds_read_b64 v[12:13], v27 offset:8192
	v_accvgpr_read_b32 v19, a3
	v_accvgpr_read_b32 v18, a2
	s_waitcnt lgkmcnt(1)
	v_mfma_f32_16x16x16_bf16 a[0:3], v[22:23], v[4:5], 0
	v_pk_mul_f32 v[14:15], v[16:17], v[14:15] op_sel_hi:[0,1]
	v_pk_fma_f32 v[56:57], v[56:57], v[14:15], v[18:19]
	v_add_u32_e32 v14, v25, v24
	v_add_u32_e32 v17, v26, v24
	ds_read_b64 v[14:15], v14 offset:8192
	ds_read_b64 v[18:19], v17 offset:8192
	s_waitcnt lgkmcnt(2)
	v_mfma_f32_16x16x16_bf16 a[0:3], v[12:13], v[6:7], a[0:3]
	s_waitcnt vmcnt(0)
	v_mov_b32_e32 v4, v3
	v_mov_b32_e32 v3, v2
	;; [unrolled: 1-line block ×3, first 2 shown]
	s_waitcnt lgkmcnt(1)
	v_mfma_f32_16x16x16_bf16 a[0:3], v[14:15], v[8:9], a[0:3]
	v_mul_f32_e32 v0, 0x3fb8aa3b, v0
	v_mul_f32_e32 v1, 0x3fb8aa3b, v2
	v_exp_f32_e32 v0, v0
	s_waitcnt lgkmcnt(0)
	v_mfma_f32_16x16x16_bf16 a[0:3], v[18:19], v[10:11], a[0:3]
	v_exp_f32_e32 v1, v1
	v_mul_f32_e32 v2, 0x3fb8aa3b, v3
	v_mul_f32_e32 v3, 0x3fb8aa3b, v4
	v_exp_f32_e32 v2, v2
	v_exp_f32_e32 v3, v3
	v_pk_mul_f32 v[0:1], v[16:17], v[0:1] op_sel_hi:[0,1]
	s_nop 0
	v_accvgpr_read_b32 v7, a1
	v_accvgpr_read_b32 v6, a0
	;; [unrolled: 1-line block ×4, first 2 shown]
	v_pk_fma_f32 v[50:51], v[50:51], v[0:1], v[6:7]
	v_pk_mul_f32 v[0:1], v[16:17], v[2:3] op_sel_hi:[0,1]
	v_pk_fma_f32 v[54:55], v[54:55], v[0:1], v[4:5]
.LBB594_75:
	s_add_u32 s0, s12, s14
	s_addc_u32 s1, s13, s15
	v_lshl_add_u64 v[0:1], v[46:47], 1, s[0:1]
	v_mov_b32_e32 v49, 0
	s_mov_b32 s0, 0x7060302
	v_lshl_add_u64 v[0:1], v[0:1], 0, v[48:49]
	v_perm_b32 v3, v57, v56, s0
	v_perm_b32 v2, v53, v52, s0
	global_store_dwordx2 v[0:1], v[2:3], off
	v_perm_b32 v3, v55, v54, s0
	v_perm_b32 v2, v51, v50, s0
	global_store_dwordx2 v[0:1], v[2:3], off offset:128
	s_endpgm
	.section	.rodata,"a",@progbits
	.p2align	6, 0x0
	.amdhsa_kernel _ZN12_GLOBAL__N_139chunk_gated_delta_rule_fwd_h_hip_kernelILi16ELb1ELb1ELb0ELb1ELb0ELb1ELb0ELb1EEEvPK12hip_bfloat16S3_S3_PKfS5_PKvPS1_S8_PvPKiSB_iiiiilll
		.amdhsa_group_segment_fixed_size 40960
		.amdhsa_private_segment_fixed_size 0
		.amdhsa_kernarg_size 136
		.amdhsa_user_sgpr_count 2
		.amdhsa_user_sgpr_dispatch_ptr 0
		.amdhsa_user_sgpr_queue_ptr 0
		.amdhsa_user_sgpr_kernarg_segment_ptr 1
		.amdhsa_user_sgpr_dispatch_id 0
		.amdhsa_user_sgpr_kernarg_preload_length 0
		.amdhsa_user_sgpr_kernarg_preload_offset 0
		.amdhsa_user_sgpr_private_segment_size 0
		.amdhsa_uses_dynamic_stack 0
		.amdhsa_enable_private_segment 0
		.amdhsa_system_sgpr_workgroup_id_x 1
		.amdhsa_system_sgpr_workgroup_id_y 1
		.amdhsa_system_sgpr_workgroup_id_z 0
		.amdhsa_system_sgpr_workgroup_info 0
		.amdhsa_system_vgpr_workitem_id 0
		.amdhsa_next_free_vgpr 128
		.amdhsa_next_free_sgpr 65
		.amdhsa_accum_offset 116
		.amdhsa_reserve_vcc 1
		.amdhsa_float_round_mode_32 0
		.amdhsa_float_round_mode_16_64 0
		.amdhsa_float_denorm_mode_32 3
		.amdhsa_float_denorm_mode_16_64 3
		.amdhsa_dx10_clamp 1
		.amdhsa_ieee_mode 1
		.amdhsa_fp16_overflow 0
		.amdhsa_tg_split 0
		.amdhsa_exception_fp_ieee_invalid_op 0
		.amdhsa_exception_fp_denorm_src 0
		.amdhsa_exception_fp_ieee_div_zero 0
		.amdhsa_exception_fp_ieee_overflow 0
		.amdhsa_exception_fp_ieee_underflow 0
		.amdhsa_exception_fp_ieee_inexact 0
		.amdhsa_exception_int_div_zero 0
	.end_amdhsa_kernel
	.section	.text._ZN12_GLOBAL__N_139chunk_gated_delta_rule_fwd_h_hip_kernelILi16ELb1ELb1ELb0ELb1ELb0ELb1ELb0ELb1EEEvPK12hip_bfloat16S3_S3_PKfS5_PKvPS1_S8_PvPKiSB_iiiiilll,"axG",@progbits,_ZN12_GLOBAL__N_139chunk_gated_delta_rule_fwd_h_hip_kernelILi16ELb1ELb1ELb0ELb1ELb0ELb1ELb0ELb1EEEvPK12hip_bfloat16S3_S3_PKfS5_PKvPS1_S8_PvPKiSB_iiiiilll,comdat
.Lfunc_end594:
	.size	_ZN12_GLOBAL__N_139chunk_gated_delta_rule_fwd_h_hip_kernelILi16ELb1ELb1ELb0ELb1ELb0ELb1ELb0ELb1EEEvPK12hip_bfloat16S3_S3_PKfS5_PKvPS1_S8_PvPKiSB_iiiiilll, .Lfunc_end594-_ZN12_GLOBAL__N_139chunk_gated_delta_rule_fwd_h_hip_kernelILi16ELb1ELb1ELb0ELb1ELb0ELb1ELb0ELb1EEEvPK12hip_bfloat16S3_S3_PKfS5_PKvPS1_S8_PvPKiSB_iiiiilll
                                        ; -- End function
	.section	.AMDGPU.csdata,"",@progbits
; Kernel info:
; codeLenInByte = 8160
; NumSgprs: 71
; NumVgprs: 116
; NumAgprs: 12
; TotalNumVgprs: 128
; ScratchSize: 0
; MemoryBound: 0
; FloatMode: 240
; IeeeMode: 1
; LDSByteSize: 40960 bytes/workgroup (compile time only)
; SGPRBlocks: 8
; VGPRBlocks: 15
; NumSGPRsForWavesPerEU: 71
; NumVGPRsForWavesPerEU: 128
; AccumOffset: 116
; Occupancy: 1
; WaveLimiterHint : 1
; COMPUTE_PGM_RSRC2:SCRATCH_EN: 0
; COMPUTE_PGM_RSRC2:USER_SGPR: 2
; COMPUTE_PGM_RSRC2:TRAP_HANDLER: 0
; COMPUTE_PGM_RSRC2:TGID_X_EN: 1
; COMPUTE_PGM_RSRC2:TGID_Y_EN: 1
; COMPUTE_PGM_RSRC2:TGID_Z_EN: 0
; COMPUTE_PGM_RSRC2:TIDIG_COMP_CNT: 0
; COMPUTE_PGM_RSRC3_GFX90A:ACCUM_OFFSET: 28
; COMPUTE_PGM_RSRC3_GFX90A:TG_SPLIT: 0
	.section	.text._ZN12_GLOBAL__N_139chunk_gated_delta_rule_fwd_h_hip_kernelILi16ELb1ELb0ELb1ELb1ELb0ELb1ELb0ELb1EEEvPK12hip_bfloat16S3_S3_PKfS5_PKvPS1_S8_PvPKiSB_iiiiilll,"axG",@progbits,_ZN12_GLOBAL__N_139chunk_gated_delta_rule_fwd_h_hip_kernelILi16ELb1ELb0ELb1ELb1ELb0ELb1ELb0ELb1EEEvPK12hip_bfloat16S3_S3_PKfS5_PKvPS1_S8_PvPKiSB_iiiiilll,comdat
	.globl	_ZN12_GLOBAL__N_139chunk_gated_delta_rule_fwd_h_hip_kernelILi16ELb1ELb0ELb1ELb1ELb0ELb1ELb0ELb1EEEvPK12hip_bfloat16S3_S3_PKfS5_PKvPS1_S8_PvPKiSB_iiiiilll ; -- Begin function _ZN12_GLOBAL__N_139chunk_gated_delta_rule_fwd_h_hip_kernelILi16ELb1ELb0ELb1ELb1ELb0ELb1ELb0ELb1EEEvPK12hip_bfloat16S3_S3_PKfS5_PKvPS1_S8_PvPKiSB_iiiiilll
	.p2align	8
	.type	_ZN12_GLOBAL__N_139chunk_gated_delta_rule_fwd_h_hip_kernelILi16ELb1ELb0ELb1ELb1ELb0ELb1ELb0ELb1EEEvPK12hip_bfloat16S3_S3_PKfS5_PKvPS1_S8_PvPKiSB_iiiiilll,@function
_ZN12_GLOBAL__N_139chunk_gated_delta_rule_fwd_h_hip_kernelILi16ELb1ELb0ELb1ELb1ELb0ELb1ELb0ELb1EEEvPK12hip_bfloat16S3_S3_PKfS5_PKvPS1_S8_PvPKiSB_iiiiilll: ; @_ZN12_GLOBAL__N_139chunk_gated_delta_rule_fwd_h_hip_kernelILi16ELb1ELb0ELb1ELb1ELb0ELb1ELb0ELb1EEEvPK12hip_bfloat16S3_S3_PKfS5_PKvPS1_S8_PvPKiSB_iiiiilll
; %bb.0:
	s_load_dwordx4 s[12:15], s[0:1], 0x5c
	s_load_dwordx4 s[4:7], s[0:1], 0x48
	s_abs_i32 s9, s3
	s_ashr_i32 s8, s3, 31
	v_and_b32_e32 v64, 15, v0
	s_waitcnt lgkmcnt(0)
	s_abs_i32 s10, s13
	v_cvt_f32_u32_e32 v1, s10
	s_sub_i32 s16, 0, s10
	s_ashr_i32 s11, s13, 31
	s_xor_b32 s8, s8, s11
	v_rcp_iflag_f32_e32 v1, v1
	v_lshrrev_b32_e32 v62, 6, v0
	v_bfe_u32 v63, v0, 4, 2
	v_mov_b32_e32 v5, 0
	v_mul_f32_e32 v1, 0x4f7ffffe, v1
	v_cvt_u32_f32_e32 v1, v1
	v_and_b32_e32 v45, 63, v0
	v_lshlrev_b32_e32 v65, 3, v0
	v_lshrrev_b32_e32 v66, 3, v45
	v_readfirstlane_b32 s17, v1
	s_mul_i32 s16, s16, s17
	s_mul_hi_u32 s16, s17, s16
	s_add_i32 s17, s17, s16
	s_mul_hi_u32 s16, s9, s17
	s_mul_i32 s17, s16, s10
	s_sub_i32 s9, s9, s17
	s_add_i32 s18, s16, 1
	s_sub_i32 s17, s9, s10
	s_cmp_ge_u32 s9, s10
	s_cselect_b32 s16, s18, s16
	s_cselect_b32 s9, s17, s9
	s_add_i32 s17, s16, 1
	s_cmp_ge_u32 s9, s10
	s_cselect_b32 s9, s17, s16
	s_xor_b32 s9, s9, s8
	s_sub_i32 s20, s9, s8
	s_mul_i32 s24, s20, s13
	s_ashr_i32 s21, s20, 31
	s_sub_i32 s49, s3, s24
	s_lshl_b64 s[8:9], s[20:21], 2
	s_add_u32 s4, s4, s8
	s_addc_u32 s5, s5, s9
	s_add_u32 s22, s6, s8
	s_addc_u32 s23, s7, s9
	s_abs_i32 s3, s14
	v_cvt_f32_u32_e32 v1, s3
	s_load_dwordx2 s[34:35], s[4:5], 0x0
	s_lshl_b32 s40, s2, 4
	s_ashr_i32 s2, s14, 31
	v_rcp_iflag_f32_e32 v1, v1
	s_xor_b32 s2, s11, s2
	s_waitcnt lgkmcnt(0)
	s_sub_i32 s52, s35, s34
	s_ashr_i32 s4, s52, 31
	v_mul_f32_e32 v1, 0x4f7ffffe, v1
	v_cvt_u32_f32_e32 v1, v1
	s_lshr_b32 s4, s4, 26
	s_add_i32 s4, s52, s4
	s_ashr_i32 s50, s4, 6
	s_sub_i32 s4, 0, s3
	v_readfirstlane_b32 s5, v1
	s_mul_i32 s4, s4, s5
	s_mul_hi_u32 s4, s5, s4
	s_add_i32 s5, s5, s4
	s_mul_hi_u32 s4, s10, s5
	s_mul_i32 s5, s4, s3
	s_sub_i32 s5, s10, s5
	s_add_i32 s6, s4, 1
	s_sub_i32 s7, s5, s3
	s_cmp_ge_u32 s5, s3
	s_cselect_b32 s4, s6, s4
	s_cselect_b32 s5, s7, s5
	s_add_i32 s6, s4, 1
	s_cmp_ge_u32 s5, s3
	s_cselect_b32 s3, s6, s4
	s_xor_b32 s3, s3, s2
	s_sub_i32 s2, s3, s2
	s_abs_i32 s3, s2
	v_cvt_f32_u32_e32 v1, s3
	s_sub_i32 s5, 0, s3
	s_abs_i32 s4, s49
	s_xor_b32 s2, s49, s2
	v_rcp_iflag_f32_e32 v1, v1
	s_ashr_i32 s2, s2, 31
	s_load_dwordx4 s[16:19], s[0:1], 0x28
	s_load_dwordx2 s[28:29], s[0:1], 0x38
	v_or_b32_e32 v46, s40, v64
	v_mul_f32_e32 v1, 0x4f7ffffe, v1
	v_cvt_u32_f32_e32 v1, v1
	v_lshlrev_b32_e32 v2, 7, v46
	v_ashrrev_i32_e32 v3, 31, v2
	s_mul_hi_i32 s54, s49, s12
	v_readfirstlane_b32 s6, v1
	s_mul_i32 s5, s5, s6
	s_mul_hi_u32 s5, s6, s5
	s_add_i32 s6, s6, s5
	s_mul_hi_u32 s5, s4, s6
	s_mul_i32 s6, s5, s3
	s_sub_i32 s4, s4, s6
	s_add_i32 s6, s5, 1
	s_sub_i32 s7, s4, s3
	s_cmp_ge_u32 s4, s3
	s_cselect_b32 s5, s6, s5
	s_cselect_b32 s4, s7, s4
	s_add_i32 s6, s5, 1
	s_cmp_ge_u32 s4, s3
	s_cselect_b32 s3, s6, s5
	s_xor_b32 s3, s3, s2
	s_sub_i32 s53, s3, s2
	s_ashr_i32 s51, s49, 31
	s_mul_hi_i32 s3, s20, s13
	s_add_u32 s2, s24, s49
	s_addc_u32 s3, s3, s51
	s_lshl_b64 s[2:3], s[2:3], 15
	v_lshlrev_b32_e32 v1, 4, v62
	s_waitcnt lgkmcnt(0)
	s_add_u32 s2, s16, s2
	v_lshl_or_b32 v67, v63, 2, v1
	s_addc_u32 s3, s17, s3
	v_lshl_add_u64 v[2:3], v[2:3], 1, s[2:3]
	v_lshlrev_b32_e32 v4, 1, v67
	v_lshl_add_u64 v[2:3], v[2:3], 0, v[4:5]
	global_load_dwordx2 v[4:5], v[2:3], off
	global_load_dwordx2 v[6:7], v[2:3], off offset:128
	s_load_dwordx8 s[4:11], s[0:1], 0x0
	s_load_dwordx2 s[30:31], s[0:1], 0x80
	s_load_dwordx4 s[24:27], s[0:1], 0x70
	s_load_dword s56, s[22:23], 0x0
	v_or_b32_e32 v68, 64, v67
	s_mul_i32 s55, s49, s12
	s_cmp_lt_i32 s52, 64
	s_waitcnt lgkmcnt(0)
	s_mul_i32 s33, s20, s25
	s_mul_hi_u32 s44, s20, s24
	s_mul_i32 s38, s20, s24
	s_mul_i32 s45, s21, s24
	;; [unrolled: 1-line block ×3, first 2 shown]
	s_mul_hi_u32 s47, s49, s26
	s_mul_i32 s48, s51, s26
	s_mul_i32 s36, s49, s26
	s_waitcnt vmcnt(1)
	v_and_b32_e32 v51, 0xffff0000, v4
	v_lshlrev_b32_e32 v50, 16, v4
	v_and_b32_e32 v55, 0xffff0000, v5
	v_lshlrev_b32_e32 v54, 16, v5
	s_waitcnt vmcnt(0)
	v_and_b32_e32 v49, 0xffff0000, v6
	v_lshlrev_b32_e32 v48, 16, v6
	v_and_b32_e32 v53, 0xffff0000, v7
	v_lshlrev_b32_e32 v52, 16, v7
	s_cbranch_scc1 .LBB595_18
; %bb.1:
	s_ashr_i32 s3, s34, 31
	s_add_u32 s2, s55, s34
	s_addc_u32 s3, s54, s3
	s_lshl_b64 s[2:3], s[2:3], 8
	v_and_b32_e32 v70, 56, v65
	s_add_u32 s20, s6, s2
	v_lshl_or_b32 v69, v62, 3, v66
	v_lshlrev_b32_e32 v2, 1, v70
	s_addc_u32 s2, s7, s3
	v_lshl_or_b32 v71, v69, 8, v2
	s_and_b32 s21, s2, 0xffff
	s_mov_b32 s23, 0x20000
	s_movk_i32 s22, 0x4000
	s_movk_i32 s2, 0x80
	v_or_b32_e32 v72, 0x2000, v71
	buffer_load_dwordx4 v[4:7], v71, s[20:23], 0 offen
	buffer_load_dwordx4 v[8:11], v71, s[20:23], s2 offen
	;; [unrolled: 1-line block ×4, first 2 shown]
	v_lshlrev_b32_e32 v3, 3, v69
	v_and_or_b32 v21, v0, 7, v3
	v_and_b32_e32 v3, 0x78, v3
	v_lshlrev_b32_e32 v21, 4, v21
	v_xor_b32_e32 v73, v21, v3
	v_mul_lo_u32 v20, v69, s15
	v_or_b32_e32 v74, 0x1000, v73
	v_xor_b32_e32 v3, 8, v73
	s_cmpk_eq_i32 s15, 0x80
	s_mov_b32 s57, s34
	v_xor_b32_e32 v21, 8, v74
	s_cselect_b64 s[2:3], -1, 0
	s_cmpk_lg_i32 s15, 0x80
	s_waitcnt vmcnt(3)
	ds_write_b64 v73, v[4:5] offset:16384
	ds_write_b64 v3, v[6:7] offset:16384
	s_waitcnt vmcnt(2)
	ds_write_b64 v73, v[8:9] offset:24576
	ds_write_b64 v3, v[10:11] offset:24576
	;; [unrolled: 3-line block ×4, first 2 shown]
	v_lshl_add_u32 v3, v20, 1, v70
	s_cbranch_scc0 .LBB595_3
; %bb.2:
	v_lshlrev_b32_e32 v5, 1, v3
	v_add_lshl_u32 v4, v3, s15, 1
	s_lshl_b32 s22, s15, 7
	s_load_dwordx2 s[16:17], s[0:1], 0x20
	v_lshl_or_b32 v2, v69, 9, v2
	s_cbranch_execz .LBB595_4
	s_branch .LBB595_5
.LBB595_3:
                                        ; implicit-def: $vgpr4
                                        ; implicit-def: $vgpr5
                                        ; implicit-def: $sgpr22
	s_load_dwordx2 s[16:17], s[0:1], 0x20
	v_lshl_or_b32 v2, v69, 9, v2
.LBB595_4:
	v_or_b32_e32 v4, 0x100, v2
	s_movk_i32 s22, 0x4000
	v_mov_b32_e32 v5, v2
.LBB595_5:
	s_mul_i32 s0, s34, s14
	s_ashr_i32 s58, s53, 31
	s_mul_hi_i32 s1, s34, s14
	s_add_u32 s0, s0, s53
	s_addc_u32 s1, s1, s58
	s_lshl_b64 s[0:1], s[0:1], 8
	s_add_u32 s20, s4, s0
	s_addc_u32 s0, s5, s1
	s_and_b32 s21, s0, 0xffff
	s_movk_i32 s59, 0x80
	buffer_load_dwordx4 v[6:9], v5, s[20:23], 0 offen
	buffer_load_dwordx4 v[10:13], v5, s[20:23], s59 offen
	;; [unrolled: 1-line block ×4, first 2 shown]
	v_and_b32_e32 v4, 6, v0
	v_lshlrev_b32_e32 v22, 2, v64
	v_lshlrev_b32_e32 v23, 3, v64
	v_xor_b32_e32 v27, v69, v4
	v_and_b32_e32 v5, 1, v0
	v_lshl_or_b32 v23, v67, 5, v23
	v_xor_b32_e32 v28, v67, v22
	v_lshlrev_b32_e32 v27, 2, v27
	s_add_i32 s0, s44, s33
	v_or_b32_e32 v75, 0x9000, v23
	v_or_b32_e32 v76, 0x9800, v23
	v_lshlrev_b32_e32 v23, 1, v28
	v_xor_b32_e32 v28, 0x440, v27
	v_cmp_eq_u32_e32 vcc, 0, v5
	s_add_i32 s1, s47, s46
	s_add_i32 s39, s0, s45
	v_cndmask_b32_e32 v5, v28, v27, vcc
	s_add_i32 s37, s1, s48
	s_lshl_b64 s[0:1], s[38:39], 2
	s_mov_b32 s60, 0x1000504
	s_mov_b32 s61, 0x3020706
	v_lshlrev_b32_e32 v24, 8, v64
	s_mov_b32 s20, 0x8000
	v_xor_b32_e32 v22, v68, v22
	v_lshl_or_b32 v4, v4, 10, v5
	s_add_u32 s21, s10, s0
	v_or_b32_e32 v25, v1, v64
	v_lshlrev_b32_e32 v22, 1, v22
	v_or3_b32 v77, v23, v24, s20
	v_xor_b32_e32 v5, 8, v4
	v_xor_b32_e32 v23, 24, v4
	;; [unrolled: 1-line block ×4, first 2 shown]
	s_addc_u32 s22, s11, s1
	s_lshl_b64 s[0:1], s[36:37], 2
	v_or3_b32 v78, v22, v24, s20
	v_xor_b32_e32 v22, 16, v4
	v_xor_b32_e32 v24, 32, v4
	;; [unrolled: 1-line block ×3, first 2 shown]
	v_add_u32_e32 v5, 0x80, v5
	v_add_u32_e32 v23, 0x80, v23
	;; [unrolled: 1-line block ×4, first 2 shown]
	s_add_u32 s42, s21, s0
	s_movk_i32 s0, 0xf8
	s_addc_u32 s43, s22, s1
	s_ashr_i32 s41, s40, 31
	v_ashrrev_i32_e32 v47, 31, v46
	s_lshl_b32 s26, s15, 7
	v_lshrrev_b32_e32 v26, 2, v45
	s_mov_b32 s62, 0
	s_mov_b32 s37, 0x7060302
	s_movk_i32 s22, 0x4000
	v_mov_b32_e32 v98, 0x3fb8aa3b
	s_waitcnt vmcnt(1)
	v_perm_b32 v30, v6, v14, s60
	s_waitcnt vmcnt(0)
	v_perm_b32 v31, v10, v18, s60
	v_perm_b32 v6, v6, v14, s61
	;; [unrolled: 1-line block ×15, first 2 shown]
	ds_write2st64_b32 v4, v30, v31 offset1:32
	ds_write2st64_b32 v5, v6, v10 offset1:32
	ds_write2st64_b32 v22, v14, v18 offset0:1 offset1:33
	ds_write2st64_b32 v23, v7, v11 offset0:1 offset1:33
	;; [unrolled: 1-line block ×6, first 2 shown]
	v_lshlrev_b32_e32 v4, 3, v25
	v_lshrrev_b32_e32 v6, 5, v45
	v_and_or_b32 v6, v4, s0, v6
	v_lshlrev_b32_e32 v6, 4, v6
	v_lshlrev_b32_e32 v13, 11, v62
	v_and_b32_e32 v4, 0x78, v4
	v_or_b32_e32 v9, 32, v6
	v_and_b32_e32 v5, 0x1000, v13
	v_lshrrev_b32_e32 v8, 1, v45
	v_xor_b32_e32 v9, v9, v4
	v_and_b32_e32 v8, 8, v8
	v_or_b32_e32 v9, v9, v5
	v_xor_b32_e32 v7, v6, v4
	v_xor_b32_e32 v81, v9, v8
	v_or_b32_e32 v9, 64, v6
	v_or_b32_e32 v6, 0x60, v6
	v_xor_b32_e32 v9, v9, v4
	v_xor_b32_e32 v4, v6, v4
	v_or_b32_e32 v7, v7, v5
	v_or_b32_e32 v9, v9, v5
	;; [unrolled: 1-line block ×3, first 2 shown]
	v_xor_b32_e32 v79, v7, v8
	v_xor_b32_e32 v82, v9, v8
	;; [unrolled: 1-line block ×3, first 2 shown]
	v_lshrrev_b32_e32 v8, 4, v0
	v_lshlrev_b32_e32 v9, 1, v64
	v_or_b32_e32 v10, 1, v9
	v_xor_b32_e32 v9, v8, v9
	s_lshl_b64 s[0:1], s[40:41], 8
	v_xor_b32_e32 v10, v10, v8
	v_lshlrev_b32_e32 v9, 3, v9
	v_lshlrev_b32_e32 v8, 8, v8
	v_lshlrev_b64 v[4:5], 1, v[46:47]
	s_add_u32 s0, s18, s0
	v_or3_b32 v47, v9, v8, s20
	v_lshlrev_b32_e32 v9, 3, v10
	s_addc_u32 s1, s19, s1
	v_or3_b32 v85, v9, v8, s20
	v_mov_b32_e32 v9, 0
	v_lshrrev_b32_e32 v19, 1, v0
	v_lshl_add_u64 v[10:11], s[0:1], 0, v[8:9]
	v_lshlrev_b32_e32 v8, 4, v64
	s_movk_i32 s0, 0xff
	v_lshlrev_b32_e32 v18, 3, v62
	v_and_b32_e32 v19, 24, v19
	v_lshl_add_u64 v[56:57], v[10:11], 0, v[8:9]
	v_and_b32_e32 v8, 7, v0
	v_and_b32_e32 v11, 8, v0
	v_cmp_lt_u32_e32 vcc, s0, v0
	v_xor_b32_e32 v20, v18, v19
	v_lshlrev_b32_e32 v16, 3, v8
	v_lshlrev_b32_e32 v17, 7, v8
	v_cndmask_b32_e64 v8, 0, 1, vcc
	v_or_b32_e32 v21, 0x440, v20
	v_cmp_eq_u32_e32 vcc, 0, v11
	v_or_b32_e32 v23, 64, v19
	v_xor_b32_e32 v23, v18, v23
	v_cndmask_b32_e32 v11, v21, v20, vcc
	v_or_b32_e32 v21, 32, v19
	v_or_b32_e32 v19, 0x60, v19
	v_xor_b32_e32 v21, v18, v21
	v_xor_b32_e32 v18, v18, v19
	v_or_b32_e32 v22, 0x440, v21
	v_xor_b32_e32 v24, 0x440, v23
	v_xor_b32_e32 v19, 0x440, v18
	v_cndmask_b32_e32 v21, v22, v21, vcc
	v_cndmask_b32_e32 v23, v24, v23, vcc
	;; [unrolled: 1-line block ×3, first 2 shown]
	v_and_b32_e32 v7, 0x78, v65
	v_or_b32_e32 v11, v11, v13
	v_or_b32_e32 v21, v21, v13
	;; [unrolled: 1-line block ×4, first 2 shown]
	v_and_b32_e32 v12, 12, v26
	v_lshl_or_b32 v7, v63, 7, v7
	v_lshlrev_b32_e32 v8, 13, v8
	v_xor_b32_e32 v11, v11, v16
	v_xor_b32_e32 v21, v21, v16
	;; [unrolled: 1-line block ×4, first 2 shown]
	v_or_b32_e32 v80, 0x9000, v7
	v_or_b32_e32 v84, 0x9800, v7
	v_lshl_add_u64 v[6:7], s[8:9], 0, v[4:5]
	v_lshl_add_u64 v[4:5], s[28:29], 0, v[4:5]
	v_lshlrev_b32_e32 v14, 1, v3
	v_add_lshl_u32 v3, v3, s15, 1
	v_or_b32_e32 v15, 0x100, v2
	v_or_b32_e32 v10, v12, v1
	v_add_u32_e32 v20, v8, v11
	v_add_u32_e32 v22, v8, v21
	;; [unrolled: 1-line block ×4, first 2 shown]
	v_or3_b32 v12, v1, v12, 64
	v_add_u32_e32 v11, 0x2000, v11
	v_add_u32_e32 v18, 0x2000, v21
	;; [unrolled: 1-line block ×4, first 2 shown]
	v_lshlrev_b32_e32 v8, 8, v67
	v_cndmask_b32_e64 v86, v14, v2, s[2:3]
	v_cndmask_b32_e64 v87, v3, v15, s[2:3]
	v_lshl_add_u64 v[58:59], v[6:7], 0, v[8:9]
	v_lshl_add_u64 v[60:61], v[4:5], 0, v[8:9]
	v_lshlrev_b32_e32 v88, 2, v10
	v_add_u32_e32 v89, v20, v17
	v_add_u32_e32 v90, v22, v17
	;; [unrolled: 1-line block ×4, first 2 shown]
	v_lshlrev_b32_e32 v93, 2, v12
	v_add_u32_e32 v94, v11, v17
	v_add_u32_e32 v95, v18, v17
	;; [unrolled: 1-line block ×4, first 2 shown]
	s_waitcnt lgkmcnt(0)
	s_barrier
.LBB595_6:                              ; =>This Inner Loop Header: Depth=1
	s_add_i32 s39, s62, 1
	s_cmp_lt_i32 s39, s50
	s_mov_b64 s[24:25], 0
	s_cselect_b64 s[2:3], -1, 0
	s_cmp_ge_i32 s39, s50
	s_mov_b64 s[20:21], 0
	s_cbranch_scc1 .LBB595_8
; %bb.7:                                ;   in Loop: Header=BB595_6 Depth=1
	s_add_i32 s0, s57, 64
	s_ashr_i32 s1, s0, 31
	s_add_u32 s0, s55, s0
	s_addc_u32 s1, s54, s1
	s_lshl_b64 s[0:1], s[0:1], 8
	s_add_u32 s20, s6, s0
	s_addc_u32 s21, s7, s1
.LBB595_8:                              ;   in Loop: Header=BB595_6 Depth=1
	v_cndmask_b32_e64 v2, 0, 1, s[2:3]
	v_cmp_ne_u32_e64 s[0:1], 1, v2
	s_andn2_b64 vcc, exec, s[2:3]
	s_cbranch_vccnz .LBB595_10
; %bb.9:                                ;   in Loop: Header=BB595_6 Depth=1
	s_add_i32 s2, s57, 64
	s_mul_hi_i32 s3, s2, s14
	s_mul_i32 s2, s2, s14
	s_add_u32 s2, s2, s53
	s_addc_u32 s3, s3, s58
	s_lshl_b64 s[2:3], s[2:3], 8
	s_add_u32 s24, s4, s2
	s_addc_u32 s25, s5, s3
.LBB595_10:                             ;   in Loop: Header=BB595_6 Depth=1
	v_perm_b32 v3, v55, v54, s37
	v_perm_b32 v2, v51, v50, s37
	;; [unrolled: 1-line block ×4, first 2 shown]
	ds_write_b64 v75, v[2:3]
	ds_write_b64 v76, v[4:5]
	;; [unrolled: 1-line block ×4, first 2 shown]
	s_waitcnt lgkmcnt(0)
	s_barrier
	ds_read_b64 v[10:11], v79 offset:16384
	ds_read_b64 v[12:13], v81 offset:16384
	ds_read2st64_b64 v[2:5], v80 offset1:1
	s_waitcnt lgkmcnt(0)
	v_mfma_f32_16x16x16_bf16 a[0:3], v[10:11], v[2:3], 0
	ds_read2st64_b64 v[6:9], v80 offset0:2 offset1:3
	ds_read_b64 v[14:15], v82 offset:16384
	ds_read_b64 v[2:3], v83 offset:16384
	s_add_i32 s41, s57, 63
	v_mfma_f32_16x16x16_bf16 a[0:3], v[12:13], v[4:5], a[0:3]
	s_ashr_i32 s2, s41, 31
	s_mul_i32 s3, s41, s31
	s_mul_hi_u32 s27, s41, s30
	s_waitcnt lgkmcnt(1)
	v_mfma_f32_16x16x16_bf16 a[0:3], v[14:15], v[6:7], a[0:3]
	s_add_i32 s3, s27, s3
	s_mul_i32 s2, s2, s30
	s_add_i32 s3, s3, s2
	s_mul_i32 s2, s41, s30
	s_waitcnt lgkmcnt(0)
	v_mfma_f32_16x16x16_bf16 a[0:3], v[2:3], v[8:9], a[0:3]
	s_lshl_b64 s[2:3], s[2:3], 2
	s_add_u32 s2, s42, s2
	s_addc_u32 s3, s43, s3
	s_and_b64 vcc, exec, s[0:1]
	v_mov_b32_e32 v101, 0
	v_mov_b32_e32 v100, 0
	;; [unrolled: 1-line block ×19, first 2 shown]
	s_cbranch_vccnz .LBB595_12
; %bb.11:                               ;   in Loop: Header=BB595_6 Depth=1
	s_and_b32 s21, s21, 0xffff
	buffer_load_dwordx4 v[14:17], v71, s[20:23], 0 offen
	buffer_load_dwordx4 v[10:13], v71, s[20:23], s59 offen
	;; [unrolled: 1-line block ×4, first 2 shown]
	v_mov_b32_e32 v100, v73
	v_mov_b32_e32 v99, v74
.LBB595_12:                             ;   in Loop: Header=BB595_6 Depth=1
	v_add_u32_e32 v22, s57, v67
	v_ashrrev_i32_e32 v18, 31, v22
	v_mul_lo_u32 v20, v18, s30
	v_mul_lo_u32 v21, v22, s31
	v_mad_u64_u32 v[18:19], s[20:21], v22, s30, 0
	v_add3_u32 v19, v19, v21, v20
	v_lshl_add_u64 v[18:19], v[18:19], 2, s[42:43]
	global_load_dword v34, v[18:19], off
	v_add_u32_e32 v18, 1, v22
	v_ashrrev_i32_e32 v19, 31, v18
	v_mul_lo_u32 v20, v19, s30
	v_mul_lo_u32 v21, v18, s31
	v_mad_u64_u32 v[18:19], s[20:21], v18, s30, 0
	v_add3_u32 v19, v19, v21, v20
	v_add_u32_e32 v20, 2, v22
	v_ashrrev_i32_e32 v21, 31, v20
	v_mul_lo_u32 v23, v21, s30
	v_mul_lo_u32 v24, v20, s31
	v_mad_u64_u32 v[20:21], s[20:21], v20, s30, 0
	v_add_u32_e32 v22, 3, v22
	v_add3_u32 v21, v21, v24, v23
	v_ashrrev_i32_e32 v23, 31, v22
	v_mul_lo_u32 v26, v23, s30
	v_mul_lo_u32 v27, v22, s31
	v_mad_u64_u32 v[22:23], s[20:21], v22, s30, 0
	s_ashr_i32 s21, s57, 31
	s_add_u32 s20, s55, s57
	s_addc_u32 s21, s54, s21
	s_lshl_b64 s[20:21], s[20:21], 8
	v_lshl_add_u64 v[18:19], v[18:19], 2, s[42:43]
	v_lshl_add_u64 v[24:25], v[58:59], 0, s[20:21]
	v_add3_u32 v23, v23, v27, v26
	v_lshl_add_u64 v[20:21], v[20:21], 2, s[42:43]
	global_load_ushort v35, v[24:25], off
	global_load_ushort v36, v[24:25], off offset:256
	global_load_ushort v37, v[24:25], off offset:512
	;; [unrolled: 1-line block ×3, first 2 shown]
	v_lshl_add_u64 v[22:23], v[22:23], 2, s[42:43]
	global_load_dword v39, v[18:19], off
	global_load_dword v40, v[20:21], off
	global_load_dword v41, v[22:23], off
	ds_read_b64 v[22:23], v79 offset:24576
	ds_read_b64 v[28:29], v81 offset:24576
	ds_read2st64_b64 v[18:21], v84 offset1:1
	s_waitcnt lgkmcnt(0)
	v_mfma_f32_16x16x16_bf16 a[0:3], v[22:23], v[18:19], a[0:3]
	s_load_dword s2, s[2:3], 0x0
	ds_read2st64_b64 v[24:27], v84 offset0:2 offset1:3
	ds_read_b64 v[30:31], v82 offset:24576
	ds_read_b64 v[32:33], v83 offset:24576
	v_mov_b32_e32 v102, 0
	v_mfma_f32_16x16x16_bf16 a[0:3], v[28:29], v[20:21], a[0:3]
	v_mov_b32_e32 v18, 0
	v_mov_b32_e32 v19, 0
	;; [unrolled: 1-line block ×3, first 2 shown]
	s_waitcnt lgkmcnt(0)
	v_mfma_f32_16x16x16_bf16 a[0:3], v[30:31], v[24:25], a[0:3]
	v_lshl_add_u64 v[24:25], v[60:61], 0, s[20:21]
	v_mov_b32_e32 v21, 0
	v_mov_b32_e32 v22, 0
	v_mfma_f32_16x16x16_bf16 a[0:3], v[32:33], v[26:27], a[0:3]
	v_mov_b32_e32 v23, 0
	s_and_b64 vcc, exec, s[0:1]
	s_waitcnt vmcnt(7)
	v_sub_f32_e32 v34, s2, v34
	s_nop 2
	v_accvgpr_read_b32 v29, a1
	v_accvgpr_read_b32 v27, a3
	;; [unrolled: 1-line block ×4, first 2 shown]
	v_mul_f32_e32 v34, 0x3fb8aa3b, v34
	s_waitcnt vmcnt(6)
	v_lshlrev_b32_e32 v30, 16, v35
	s_waitcnt vmcnt(5)
	v_lshlrev_b32_e32 v31, 16, v36
	;; [unrolled: 2-line block ×4, first 2 shown]
	s_waitcnt vmcnt(2)
	v_sub_f32_e32 v35, s2, v39
	s_waitcnt vmcnt(1)
	v_sub_f32_e32 v36, s2, v40
	;; [unrolled: 2-line block ×3, first 2 shown]
	v_pk_add_f32 v[28:29], v[30:31], v[28:29] neg_lo:[0,1] neg_hi:[0,1]
	v_pk_add_f32 v[26:27], v[32:33], v[26:27] neg_lo:[0,1] neg_hi:[0,1]
	v_mul_f32_e32 v31, 0x3fb8aa3b, v35
	v_mul_f32_e32 v32, 0x3fb8aa3b, v36
	;; [unrolled: 1-line block ×3, first 2 shown]
	v_exp_f32_e32 v30, v34
	v_exp_f32_e32 v31, v31
	;; [unrolled: 1-line block ×4, first 2 shown]
	global_store_short_d16_hi v[24:25], v28, off
	global_store_short_d16_hi v[24:25], v29, off offset:256
	global_store_short_d16_hi v[24:25], v26, off offset:512
	;; [unrolled: 1-line block ×3, first 2 shown]
	v_pk_mul_f32 v[24:25], v[30:31], v[28:29]
	v_pk_mul_f32 v[26:27], v[32:33], v[26:27]
	v_perm_b32 v24, v25, v24, s37
	v_perm_b32 v25, v27, v26, s37
	ds_write_b64 v76, v[24:25]
	v_mov_b32_e32 v24, 0
	v_mov_b32_e32 v25, 0
	;; [unrolled: 1-line block ×10, first 2 shown]
	s_cbranch_vccnz .LBB595_14
; %bb.13:                               ;   in Loop: Header=BB595_6 Depth=1
	s_and_b32 s25, s25, 0xffff
	s_mov_b32 s27, s23
	buffer_load_dwordx4 v[30:33], v86, s[24:27], 0 offen
	buffer_load_dwordx4 v[22:25], v86, s[24:27], s59 offen
	;; [unrolled: 1-line block ×4, first 2 shown]
	v_mov_b32_e32 v101, v70
	v_mov_b32_e32 v102, v69
.LBB595_14:                             ;   in Loop: Header=BB595_6 Depth=1
	s_waitcnt lgkmcnt(0)
	s_barrier
	ds_read_b64 v[34:35], v89
	ds_read_b64 v[40:41], v90
	ds_read2st64_b64 v[36:39], v84 offset1:1
	ds_read2st64_b64 v[104:107], v84 offset0:2 offset1:3
	ds_read_b64 v[42:43], v91
	ds_read_b64 v[112:113], v92
	s_add_i32 s3, s56, s62
	s_mul_hi_i32 s21, s3, s13
	s_mul_i32 s3, s3, s13
	s_waitcnt lgkmcnt(3)
	v_mfma_f32_16x16x16_bf16 a[0:3], v[34:35], v[36:37], 0
	ds_read_b64 v[34:35], v94
	s_add_u32 s20, s3, s49
	s_addc_u32 s21, s21, s51
	v_mfma_f32_16x16x16_bf16 a[0:3], v[40:41], v[38:39], a[0:3]
	ds_read_b64 v[40:41], v95
	s_lshl_b64 s[20:21], s[20:21], 15
	s_mul_i32 s24, s41, s13
	s_mul_hi_i32 s3, s41, s13
	s_add_u32 s24, s24, s49
	s_addc_u32 s25, s3, s51
	s_lshl_b64 s[24:25], s[24:25], 9
	s_add_u32 s24, s16, s24
	s_waitcnt lgkmcnt(1)
	v_mfma_f32_16x16x16_bf16 a[4:7], v[34:35], v[36:37], 0
	s_addc_u32 s25, s17, s25
	s_and_b64 vcc, exec, s[0:1]
	v_mfma_f32_16x16x16_bf16 a[0:3], v[42:43], v[104:105], a[0:3]
	ds_read_b64 v[42:43], v96
	ds_read_b64 v[114:115], v97
	global_load_dwordx4 v[34:37], v93, s[24:25]
	s_waitcnt lgkmcnt(2)
	v_mfma_f32_16x16x16_bf16 a[4:7], v[40:41], v[38:39], a[4:7]
	global_load_dwordx4 v[38:41], v88, s[24:25]
	ds_read_b64 v[108:109], v47
	ds_read_b64 v[110:111], v85
	s_waitcnt lgkmcnt(3)
	v_mfma_f32_16x16x16_bf16 a[8:11], v[42:43], v[104:105], a[4:7]
	v_lshl_add_u64 v[42:43], v[56:57], 0, s[20:21]
	s_waitcnt lgkmcnt(0)
	global_store_dwordx4 v[42:43], v[108:111], off
	v_mfma_f32_16x16x16_bf16 a[4:7], v[112:113], v[106:107], a[0:3]
	s_waitcnt vmcnt(2)
	v_mov_b32_e32 v44, v37
	v_mfma_f32_16x16x16_bf16 a[0:3], v[114:115], v[106:107], a[8:11]
	v_mov_b32_e32 v43, v36
	v_mov_b32_e32 v42, v35
	s_cbranch_vccnz .LBB595_16
; %bb.15:                               ;   in Loop: Header=BB595_6 Depth=1
	v_lshrrev_b32_e32 v35, 3, v101
	v_and_b32_e32 v35, 6, v35
	v_xor_b32_e32 v36, v35, v102
	v_lshlrev_b32_e32 v36, 2, v36
	v_and_b32_e32 v37, 8, v101
	v_xor_b32_e32 v101, 0x440, v36
	v_cmp_eq_u32_e32 vcc, 0, v37
	v_perm_b32 v37, v22, v18, s60
	s_nop 0
	v_cndmask_b32_e32 v36, v101, v36, vcc
	v_lshl_or_b32 v35, v35, 10, v36
	v_perm_b32 v36, v30, v26, s60
	s_barrier
	ds_write2st64_b32 v35, v36, v37 offset1:32
	v_xor_b32_e32 v36, 8, v35
	v_perm_b32 v26, v30, v26, s61
	v_perm_b32 v18, v22, v18, s61
	v_add_u32_e32 v22, 0x80, v36
	ds_write2st64_b32 v22, v26, v18 offset1:32
	v_xor_b32_e32 v18, 16, v35
	v_perm_b32 v22, v31, v27, s60
	v_perm_b32 v26, v23, v19, s60
	ds_write2st64_b32 v18, v22, v26 offset0:1 offset1:33
	v_xor_b32_e32 v18, 24, v35
	v_perm_b32 v22, v31, v27, s61
	v_perm_b32 v19, v23, v19, s61
	v_add_u32_e32 v18, 0x80, v18
	ds_write2st64_b32 v18, v22, v19 offset0:1 offset1:33
	v_xor_b32_e32 v18, 32, v35
	v_perm_b32 v19, v32, v28, s60
	v_perm_b32 v22, v24, v20, s60
	ds_write2st64_b32 v18, v19, v22 offset0:2 offset1:34
	v_xor_b32_e32 v18, 40, v35
	v_perm_b32 v19, v32, v28, s61
	v_perm_b32 v20, v24, v20, s61
	v_add_u32_e32 v18, 0x80, v18
	ds_write2st64_b32 v18, v19, v20 offset0:2 offset1:34
	;; [unrolled: 9-line block ×3, first 2 shown]
	ds_write_b64 v100, v[14:15] offset:16384
	v_xor_b32_e32 v14, 8, v100
	ds_write_b64 v14, v[16:17] offset:16384
	ds_write_b64 v100, v[10:11] offset:24576
	;; [unrolled: 1-line block ×4, first 2 shown]
	v_xor_b32_e32 v6, 8, v99
	ds_write_b64 v6, v[8:9] offset:16384
	ds_write_b64 v99, v[2:3] offset:24576
	;; [unrolled: 1-line block ×3, first 2 shown]
.LBB595_16:                             ;   in Loop: Header=BB595_6 Depth=1
	v_mul_f32_e32 v6, s2, v98
	v_exp_f32_e32 v10, v6
	s_waitcnt vmcnt(1)
	v_mul_f32_e32 v6, 0x3fb8aa3b, v38
	v_exp_f32_e32 v12, v6
	v_mul_f32_e32 v6, 0x3fb8aa3b, v39
	v_exp_f32_e32 v13, v6
	;; [unrolled: 2-line block ×4, first 2 shown]
	v_accvgpr_read_b32 v2, a4
	v_accvgpr_read_b32 v3, a5
	v_pk_mul_f32 v[12:13], v[10:11], v[12:13] op_sel_hi:[0,1]
	v_pk_fma_f32 v[50:51], v[50:51], v[12:13], v[2:3]
	v_pk_mul_f32 v[2:3], v[10:11], v[14:15] op_sel_hi:[0,1]
	v_mul_f32_e32 v11, 0x3fb8aa3b, v34
	v_exp_f32_e32 v12, v11
	v_mul_f32_e32 v11, 0x3fb8aa3b, v42
	v_exp_f32_e32 v13, v11
	;; [unrolled: 2-line block ×4, first 2 shown]
	v_accvgpr_read_b32 v4, a6
	v_accvgpr_read_b32 v5, a7
	;; [unrolled: 1-line block ×5, first 2 shown]
	v_pk_fma_f32 v[54:55], v[54:55], v[2:3], v[4:5]
	v_pk_mul_f32 v[2:3], v[10:11], v[12:13] op_sel_hi:[0,1]
	v_accvgpr_read_b32 v8, a2
	v_pk_fma_f32 v[48:49], v[48:49], v[2:3], v[6:7]
	v_pk_mul_f32 v[2:3], v[10:11], v[14:15] op_sel_hi:[0,1]
	s_add_i32 s57, s57, 64
	s_cmp_eq_u32 s50, s39
	v_pk_fma_f32 v[52:53], v[52:53], v[2:3], v[8:9]
	s_cbranch_scc1 .LBB595_18
; %bb.17:                               ;   in Loop: Header=BB595_6 Depth=1
	s_mov_b32 s62, s39
	s_branch .LBB595_6
.LBB595_18:
	s_lshl_b32 s26, s50, 6
	s_sub_i32 s27, s52, s26
	s_cmp_gt_i32 s27, 0
	s_cbranch_scc0 .LBB595_75
; %bb.19:
	s_add_i32 s26, s26, s34
	s_ashr_i32 s2, s26, 31
	s_cmpk_lg_i32 s15, 0x80
	s_cselect_b64 s[22:23], -1, 0
	s_and_b64 vcc, exec, s[22:23]
	s_cbranch_vccz .LBB595_21
; %bb.20:
	s_mul_i32 s1, s26, s14
	s_ashr_i32 s3, s53, 31
	s_mul_hi_i32 s0, s26, s14
	s_add_u32 s24, s1, s53
	s_addc_u32 s25, s0, s3
	s_cbranch_execz .LBB595_22
	s_branch .LBB595_23
.LBB595_21:
                                        ; implicit-def: $sgpr24_sgpr25
.LBB595_22:
	s_mul_i32 s1, s53, s12
	s_mul_hi_i32 s0, s53, s12
	s_add_u32 s24, s1, s26
	s_addc_u32 s25, s0, s2
.LBB595_23:
	s_add_i32 s3, s50, s56
	s_add_u32 s0, s55, s26
	s_addc_u32 s1, s54, s2
	s_mov_b32 s2, 0x7060302
	v_lshlrev_b32_e32 v6, 3, v64
	s_lshl_b64 s[20:21], s[0:1], 8
	v_perm_b32 v3, v55, v54, s2
	v_perm_b32 v2, v51, v50, s2
	;; [unrolled: 1-line block ×4, first 2 shown]
	v_lshlrev_b32_e32 v34, 2, v64
	v_lshl_or_b32 v6, v67, 5, v6
	s_add_u32 s0, s6, s20
	ds_write2st64_b64 v6, v[2:3], v[4:5] offset0:72 offset1:76
	v_xor_b32_e32 v6, v67, v34
	v_lshlrev_b32_e32 v7, 8, v64
	s_addc_u32 s1, s7, s21
	v_lshl_or_b32 v6, v6, 1, v7
	s_mul_hi_i32 s6, s3, s13
	s_mul_i32 s3, s3, s13
	ds_write_b64 v6, v[2:3] offset:32768
	v_xor_b32_e32 v2, v68, v34
	s_add_u32 s2, s3, s49
	v_lshl_or_b32 v2, v2, 1, v7
	s_addc_u32 s3, s6, s51
	v_lshlrev_b32_e32 v3, 1, v64
	ds_write_b64 v2, v[4:5] offset:32768
	v_lshrrev_b32_e32 v2, 4, v0
	s_ashr_i32 s41, s40, 31
	s_lshl_b64 s[2:3], s[2:3], 15
	v_or_b32_e32 v4, 1, v3
	s_add_u32 s6, s18, s2
	v_xor_b32_e32 v3, v2, v3
	v_xor_b32_e32 v4, v4, v2
	v_lshlrev_b32_e32 v6, 8, v2
	s_addc_u32 s7, s19, s3
	s_lshl_b64 s[2:3], s[40:41], 8
	v_lshl_or_b32 v2, v3, 3, v6
	v_lshl_or_b32 v4, v4, 3, v6
	s_waitcnt lgkmcnt(0)
	s_barrier
	s_add_u32 s2, s6, s2
	ds_read_b64 v[2:3], v2 offset:32768
	ds_read_b64 v[4:5], v4 offset:32768
	s_addc_u32 s3, s7, s3
	v_mov_b32_e32 v7, 0
	s_cmp_lg_u32 s27, 64
	v_lshl_add_u64 v[8:9], s[2:3], 0, v[6:7]
	v_lshlrev_b32_e32 v6, 4, v64
	s_cselect_b64 s[6:7], -1, 0
	v_lshl_or_b32 v35, v62, 3, v66
	s_mov_b32 s16, 0
	v_lshl_add_u64 v[6:7], v[8:9], 0, v[6:7]
	v_or_b32_e32 v19, 32, v35
	v_and_b32_e32 v18, 56, v65
	s_and_b64 vcc, exec, s[6:7]
	s_waitcnt lgkmcnt(0)
	global_store_dwordx4 v[6:7], v[2:5], off
	s_cbranch_vccz .LBB595_29
; %bb.24:
	s_mov_b32 s17, s16
	s_mov_b32 s18, s16
	;; [unrolled: 1-line block ×3, first 2 shown]
	v_mov_b64_e32 v[6:7], s[16:17]
	v_mov_b64_e32 v[8:9], s[18:19]
	;; [unrolled: 1-line block ×3, first 2 shown]
	v_cmp_gt_i32_e32 vcc, s27, v35
	v_mov_b64_e32 v[4:5], v[8:9]
	s_and_saveexec_b64 s[2:3], vcc
	s_cbranch_execz .LBB595_26
; %bb.25:
	v_lshlrev_b32_e32 v2, 8, v35
	v_mov_b32_e32 v3, 0
	v_lshl_add_u64 v[4:5], s[0:1], 0, v[2:3]
	v_lshlrev_b32_e32 v2, 1, v18
	v_lshl_add_u64 v[10:11], v[4:5], 0, v[2:3]
	global_load_dwordx4 v[6:9], v[10:11], off
	global_load_dwordx4 v[2:5], v[10:11], off offset:128
.LBB595_26:
	s_or_b64 exec, exec, s[2:3]
	s_mov_b32 s17, s16
	s_mov_b32 s18, s16
	;; [unrolled: 1-line block ×3, first 2 shown]
	v_mov_b64_e32 v[14:15], s[16:17]
	v_mov_b64_e32 v[16:17], s[18:19]
	;; [unrolled: 1-line block ×3, first 2 shown]
	v_cmp_gt_i32_e32 vcc, s27, v19
	v_lshlrev_b32_e32 v20, 7, v19
	v_mov_b64_e32 v[12:13], v[16:17]
	s_and_saveexec_b64 s[2:3], vcc
	s_cbranch_execz .LBB595_28
; %bb.27:
	v_lshlrev_b32_e32 v10, 1, v20
	v_mov_b32_e32 v11, 0
	v_lshl_add_u64 v[12:13], s[0:1], 0, v[10:11]
	v_lshlrev_b32_e32 v10, 1, v18
	v_lshl_add_u64 v[22:23], v[12:13], 0, v[10:11]
	global_load_dwordx4 v[14:17], v[22:23], off
	global_load_dwordx4 v[10:13], v[22:23], off offset:128
.LBB595_28:
	s_or_b64 exec, exec, s[2:3]
	v_lshrrev_b32_e32 v21, 3, v18
	v_lshlrev_b32_e32 v22, 3, v35
	v_or_b32_e32 v21, v22, v21
	v_lshlrev_b32_e32 v21, 4, v21
	v_and_b32_e32 v22, 0x78, v22
	v_xor_b32_e32 v21, v21, v22
	s_branch .LBB595_31
.LBB595_29:
                                        ; implicit-def: $vgpr21
                                        ; implicit-def: $vgpr20
                                        ; implicit-def: $vgpr6_vgpr7_vgpr8_vgpr9
                                        ; implicit-def: $vgpr2_vgpr3_vgpr4_vgpr5
                                        ; implicit-def: $vgpr14_vgpr15_vgpr16_vgpr17
                                        ; implicit-def: $vgpr10_vgpr11_vgpr12_vgpr13
	s_cbranch_execz .LBB595_31
; %bb.30:
	s_waitcnt vmcnt(0)
	v_lshlrev_b32_e32 v2, 1, v18
	v_lshl_or_b32 v20, v35, 8, v2
	s_and_b32 s1, s1, 0xffff
	s_mov_b32 s3, 0x20000
	s_movk_i32 s2, 0x4000
	v_lshl_or_b32 v21, v19, 8, v2
	s_movk_i32 s12, 0x80
	buffer_load_dwordx4 v[6:9], v20, s[0:3], 0 offen
	buffer_load_dwordx4 v[2:5], v20, s[0:3], s12 offen
	;; [unrolled: 1-line block ×4, first 2 shown]
	v_lshrrev_b32_e32 v20, 3, v18
	v_lshlrev_b32_e32 v21, 3, v35
	v_or_b32_e32 v20, v21, v20
	v_lshlrev_b32_e32 v20, 4, v20
	v_and_b32_e32 v21, 0x78, v21
	v_xor_b32_e32 v21, v20, v21
	v_lshlrev_b32_e32 v20, 7, v19
.LBB595_31:
	s_lshl_b64 s[0:1], s[24:25], 8
	s_add_u32 s4, s4, s0
	s_movk_i32 s0, 0x1000
	v_and_or_b32 v19, v20, s0, v21
	s_waitcnt vmcnt(1)
	ds_write_b64 v21, v[6:7] offset:16384
	v_xor_b32_e32 v6, 8, v21
	ds_write_b64 v6, v[8:9] offset:16384
	s_waitcnt vmcnt(0)
	ds_write_b64 v21, v[2:3] offset:24576
	ds_write_b64 v6, v[4:5] offset:24576
	;; [unrolled: 1-line block ×3, first 2 shown]
	v_xor_b32_e32 v2, 8, v19
	ds_write_b64 v2, v[16:17] offset:16384
	ds_write_b64 v19, v[10:11] offset:24576
	;; [unrolled: 1-line block ×3, first 2 shown]
	v_or_b32_e32 v2, v1, v64
	v_lshlrev_b32_e32 v2, 3, v2
	v_lshrrev_b32_e32 v4, 5, v45
	s_movk_i32 s12, 0xf8
	v_and_or_b32 v4, v2, s12, v4
	v_lshlrev_b32_e32 v3, 11, v62
	v_lshlrev_b32_e32 v12, 4, v4
	v_and_b32_e32 v13, 0x78, v2
	v_and_b32_e32 v14, 0x1000, v3
	v_lshlrev_b32_e32 v3, 2, v0
	v_xor_b32_e32 v2, v12, v13
	v_lshrrev_b32_e32 v4, 1, v45
	v_and_b32_e32 v3, 60, v3
	v_or_b32_e32 v2, v2, v14
	v_and_b32_e32 v15, 8, v4
	v_xor_b32_e32 v26, v2, v15
	v_lshl_or_b32 v2, v63, 6, v3
	v_lshlrev_b32_e32 v19, 1, v2
	v_or_b32_e32 v2, 32, v12
	v_xor_b32_e32 v2, v2, v13
	s_waitcnt lgkmcnt(0)
	s_barrier
	ds_read_b64 v[10:11], v26 offset:16384
	v_or_b32_e32 v2, v2, v14
	v_xor_b32_e32 v27, v2, v15
	v_or_b32_e32 v2, 64, v12
	v_xor_b32_e32 v2, v2, v13
	v_or_b32_e32 v2, v2, v14
	v_or_b32_e32 v12, 0x60, v12
	v_xor_b32_e32 v28, v2, v15
	ds_read2st64_b64 v[2:5], v19 offset0:72 offset1:73
	ds_read2st64_b64 v[6:9], v19 offset0:74 offset1:75
	v_xor_b32_e32 v16, v12, v13
	ds_read_b64 v[12:13], v27 offset:16384
	s_addc_u32 s5, s5, s1
	s_add_i32 s1, s44, s33
	s_waitcnt lgkmcnt(2)
	v_mfma_f32_16x16x16_bf16 a[0:3], v[10:11], v[2:3], 0
	s_add_i32 s0, s35, -1
	s_add_i32 s39, s1, s45
	s_add_i32 s1, s47, s46
	;; [unrolled: 1-line block ×3, first 2 shown]
	s_ashr_i32 s1, s0, 31
	s_mul_i32 s2, s0, s31
	s_mul_hi_u32 s3, s0, s30
	s_add_i32 s2, s3, s2
	s_mul_i32 s1, s1, s30
	v_or_b32_e32 v14, v16, v14
	s_add_i32 s1, s2, s1
	s_lshl_b64 s[2:3], s[38:39], 2
	v_xor_b32_e32 v36, v14, v15
	ds_read_b64 v[14:15], v28 offset:16384
	ds_read_b64 v[16:17], v36 offset:16384
	s_waitcnt lgkmcnt(2)
	v_mfma_f32_16x16x16_bf16 a[0:3], v[12:13], v[4:5], a[0:3]
	s_add_u32 s10, s10, s2
	s_addc_u32 s11, s11, s3
	s_lshl_b64 s[2:3], s[36:37], 2
	s_mul_i32 s0, s0, s30
	s_add_u32 s10, s10, s2
	s_addc_u32 s11, s11, s3
	s_lshl_b64 s[0:1], s[0:1], 2
	s_waitcnt lgkmcnt(1)
	v_mfma_f32_16x16x16_bf16 a[0:3], v[14:15], v[6:7], a[0:3]
	s_add_u32 s0, s10, s0
	s_addc_u32 s1, s11, s1
	s_load_dword s12, s[0:1], 0x0
	s_waitcnt lgkmcnt(0)
	v_mfma_f32_16x16x16_bf16 a[0:3], v[16:17], v[8:9], a[0:3]
	s_and_b64 vcc, exec, s[22:23]
	s_cbranch_vccz .LBB595_42
; %bb.32:
	v_lshlrev_b32_e32 v20, 1, v35
	s_and_b64 vcc, exec, s[6:7]
	s_cbranch_vccz .LBB595_43
; %bb.33:
	v_cmp_gt_i32_e32 vcc, s27, v20
	v_mov_b32_e32 v6, 0
	v_mov_b32_e32 v2, 0
	;; [unrolled: 1-line block ×5, first 2 shown]
	s_and_saveexec_b64 s[0:1], vcc
	s_cbranch_execz .LBB595_35
; %bb.34:
	v_mad_i64_i32 v[2:3], s[2:3], s15, v20, 0
	v_lshl_add_u64 v[2:3], v[2:3], 1, s[4:5]
	v_lshlrev_b32_e32 v4, 1, v18
	v_mov_b32_e32 v5, 0
	v_lshl_add_u64 v[2:3], v[2:3], 0, v[4:5]
	global_load_dwordx4 v[2:5], v[2:3], off
.LBB595_35:
	s_or_b64 exec, exec, s[0:1]
	v_or_b32_e32 v21, 1, v20
	v_cmp_gt_i32_e64 s[0:1], s27, v21
	v_mov_b32_e32 v7, 0
	v_mov_b32_e32 v8, 0
	v_mov_b32_e32 v9, 0
	s_and_saveexec_b64 s[2:3], s[0:1]
	s_cbranch_execz .LBB595_37
; %bb.36:
	v_mad_i64_i32 v[6:7], s[16:17], s15, v21, 0
	v_lshl_add_u64 v[6:7], v[6:7], 1, s[4:5]
	v_lshlrev_b32_e32 v8, 1, v18
	v_mov_b32_e32 v9, 0
	v_lshl_add_u64 v[6:7], v[6:7], 0, v[8:9]
	global_load_dwordx4 v[6:9], v[6:7], off
.LBB595_37:
	s_or_b64 exec, exec, s[2:3]
	v_mov_b32_e32 v17, 0
	v_mov_b32_e32 v10, 0
	;; [unrolled: 1-line block ×5, first 2 shown]
	s_and_saveexec_b64 s[2:3], vcc
	s_cbranch_execz .LBB595_39
; %bb.38:
	v_mad_i64_i32 v[10:11], s[16:17], s15, v20, 0
	v_lshl_add_u64 v[10:11], v[10:11], 1, s[4:5]
	v_lshlrev_b32_e32 v12, 1, v18
	v_mov_b32_e32 v13, 0
	v_lshl_add_u64 v[10:11], v[10:11], 0, v[12:13]
	global_load_dwordx4 v[10:13], v[10:11], off offset:128
.LBB595_39:
	s_or_b64 exec, exec, s[2:3]
	v_mov_b32_e32 v16, 0
	v_mov_b32_e32 v15, 0
	;; [unrolled: 1-line block ×3, first 2 shown]
	s_and_saveexec_b64 s[2:3], s[0:1]
	s_cbranch_execz .LBB595_41
; %bb.40:
	v_mad_i64_i32 v[14:15], s[0:1], s15, v21, 0
	v_lshl_add_u64 v[14:15], v[14:15], 1, s[4:5]
	v_lshlrev_b32_e32 v16, 1, v18
	v_mov_b32_e32 v17, 0
	v_lshl_add_u64 v[14:15], v[14:15], 0, v[16:17]
	global_load_dwordx4 v[14:17], v[14:15], off offset:128
.LBB595_41:
	s_or_b64 exec, exec, s[2:3]
	s_branch .LBB595_45
.LBB595_42:
                                        ; implicit-def: $vgpr5
                                        ; implicit-def: $vgpr9
                                        ; implicit-def: $vgpr13
                                        ; implicit-def: $vgpr17
	v_lshrrev_b32_e32 v37, 2, v45
	s_branch .LBB595_46
.LBB595_43:
                                        ; implicit-def: $vgpr5
                                        ; implicit-def: $vgpr9
                                        ; implicit-def: $vgpr13
                                        ; implicit-def: $vgpr17
	s_cbranch_execz .LBB595_45
; %bb.44:
	s_waitcnt vmcnt(0)
	v_mad_u64_u32 v[2:3], s[0:1], v20, s15, v[18:19]
	v_lshlrev_b32_e32 v20, 1, v2
	s_lshl_b32 s2, s15, 7
	s_and_b32 s1, s5, 0xffff
	s_mov_b32 s3, 0x20000
	s_mov_b32 s0, s4
	v_add_lshl_u32 v21, v2, s15, 1
	s_movk_i32 s13, 0x80
	buffer_load_dwordx4 v[2:5], v20, s[0:3], 0 offen
	buffer_load_dwordx4 v[10:13], v20, s[0:3], s13 offen
	;; [unrolled: 1-line block ×4, first 2 shown]
.LBB595_45:
	v_lshrrev_b32_e32 v37, 2, v45
	s_cbranch_execnz .LBB595_58
.LBB595_46:
	s_and_b64 vcc, exec, s[6:7]
	s_cbranch_vccz .LBB595_56
; %bb.47:
	s_waitcnt vmcnt(0)
	v_lshlrev_b32_e32 v7, 1, v35
	v_cmp_gt_i32_e32 vcc, s27, v7
	v_mov_b32_e32 v6, 0
	v_lshlrev_b32_e32 v14, 9, v35
	v_mov_b32_e32 v2, 0
	v_mov_b32_e32 v3, 0
	;; [unrolled: 1-line block ×4, first 2 shown]
	s_and_saveexec_b64 s[0:1], vcc
	s_cbranch_execz .LBB595_49
; %bb.48:
	v_mov_b32_e32 v15, 0
	v_lshl_add_u64 v[2:3], s[4:5], 0, v[14:15]
	v_lshlrev_b32_e32 v4, 1, v18
	v_mov_b32_e32 v5, v15
	v_lshl_add_u64 v[2:3], v[2:3], 0, v[4:5]
	global_load_dwordx4 v[2:5], v[2:3], off
.LBB595_49:
	s_or_b64 exec, exec, s[0:1]
	v_or_b32_e32 v7, 1, v7
	v_cmp_gt_i32_e64 s[0:1], s27, v7
	v_lshlrev_b32_e32 v20, 8, v7
	v_mov_b32_e32 v7, 0
	v_mov_b32_e32 v8, 0
	;; [unrolled: 1-line block ×3, first 2 shown]
	s_and_saveexec_b64 s[2:3], s[0:1]
	s_cbranch_execz .LBB595_51
; %bb.50:
	v_mov_b32_e32 v21, 0
	v_lshl_add_u64 v[6:7], s[4:5], 0, v[20:21]
	v_lshlrev_b32_e32 v8, 1, v18
	v_mov_b32_e32 v9, v21
	v_lshl_add_u64 v[6:7], v[6:7], 0, v[8:9]
	global_load_dwordx4 v[6:9], v[6:7], off
.LBB595_51:
	s_or_b64 exec, exec, s[2:3]
	v_mov_b32_e32 v17, 0
	v_mov_b32_e32 v10, 0
	;; [unrolled: 1-line block ×5, first 2 shown]
	s_and_saveexec_b64 s[2:3], vcc
	s_cbranch_execz .LBB595_53
; %bb.52:
	v_mov_b32_e32 v15, 0
	v_lshl_add_u64 v[10:11], s[4:5], 0, v[14:15]
	v_lshlrev_b32_e32 v14, 1, v18
	v_lshl_add_u64 v[10:11], v[10:11], 0, v[14:15]
	global_load_dwordx4 v[10:13], v[10:11], off offset:128
.LBB595_53:
	s_or_b64 exec, exec, s[2:3]
	v_mov_b32_e32 v16, 0
	v_mov_b32_e32 v15, 0
	;; [unrolled: 1-line block ×3, first 2 shown]
	s_and_saveexec_b64 s[2:3], s[0:1]
	s_cbranch_execz .LBB595_55
; %bb.54:
	v_mov_b32_e32 v21, 0
	v_lshl_add_u64 v[14:15], s[4:5], 0, v[20:21]
	v_lshlrev_b32_e32 v20, 1, v18
	v_lshl_add_u64 v[14:15], v[14:15], 0, v[20:21]
	global_load_dwordx4 v[14:17], v[14:15], off offset:128
.LBB595_55:
	s_or_b64 exec, exec, s[2:3]
	s_branch .LBB595_58
.LBB595_56:
                                        ; implicit-def: $vgpr5
                                        ; implicit-def: $vgpr9
                                        ; implicit-def: $vgpr13
                                        ; implicit-def: $vgpr17
	s_cbranch_execz .LBB595_58
; %bb.57:
	s_waitcnt vmcnt(0)
	v_lshlrev_b32_e32 v2, 1, v18
	v_lshl_or_b32 v18, v35, 9, v2
	s_and_b32 s5, s5, 0xffff
	s_mov_b32 s7, 0x20000
	s_movk_i32 s6, 0x4000
	s_movk_i32 s0, 0x80
	buffer_load_dwordx4 v[2:5], v18, s[4:7], 0 offen
	buffer_load_dwordx4 v[6:9], v18, s[4:7], 0 offen offset:256
	buffer_load_dwordx4 v[10:13], v18, s[4:7], s0 offen
	buffer_load_dwordx4 v[14:17], v18, s[4:7], s0 offen offset:256
.LBB595_58:
	ds_read2st64_b64 v[22:25], v19 offset0:76 offset1:77
	ds_read2st64_b64 v[18:21], v19 offset0:78 offset1:79
	ds_read_b64 v[32:33], v26 offset:24576
	ds_read_b64 v[30:31], v27 offset:24576
	;; [unrolled: 1-line block ×4, first 2 shown]
	v_and_b32_e32 v36, 6, v0
	v_xor_b32_e32 v35, v35, v36
	v_lshlrev_b32_e32 v35, 2, v35
	v_and_b32_e32 v0, 1, v0
	v_xor_b32_e32 v38, 0x440, v35
	v_cmp_eq_u32_e32 vcc, 0, v0
	s_mov_b32 s0, 0x1000504
	s_mov_b32 s1, 0x3020706
	v_cndmask_b32_e32 v0, v38, v35, vcc
	v_lshl_or_b32 v0, v36, 10, v0
	s_waitcnt vmcnt(0)
	v_perm_b32 v35, v2, v6, s0
	v_perm_b32 v36, v10, v14, s0
	ds_write2st64_b32 v0, v35, v36 offset1:32
	v_xor_b32_e32 v35, 8, v0
	v_perm_b32 v2, v2, v6, s1
	v_perm_b32 v6, v10, v14, s1
	v_add_u32_e32 v10, 0x80, v35
	ds_write2st64_b32 v10, v2, v6 offset1:32
	v_xor_b32_e32 v2, 16, v0
	v_perm_b32 v6, v3, v7, s0
	v_perm_b32 v10, v11, v15, s0
	ds_write2st64_b32 v2, v6, v10 offset0:1 offset1:33
	v_xor_b32_e32 v2, 24, v0
	v_perm_b32 v3, v3, v7, s1
	v_perm_b32 v6, v11, v15, s1
	v_add_u32_e32 v2, 0x80, v2
	ds_write2st64_b32 v2, v3, v6 offset0:1 offset1:33
	v_xor_b32_e32 v2, 32, v0
	v_perm_b32 v3, v4, v8, s0
	v_perm_b32 v6, v12, v16, s0
	ds_write2st64_b32 v2, v3, v6 offset0:2 offset1:34
	v_xor_b32_e32 v2, 40, v0
	v_perm_b32 v3, v4, v8, s1
	v_perm_b32 v4, v12, v16, s1
	v_add_u32_e32 v2, 0x80, v2
	ds_write2st64_b32 v2, v3, v4 offset0:2 offset1:34
	v_xor_b32_e32 v2, 48, v0
	v_perm_b32 v3, v5, v9, s0
	v_perm_b32 v4, v13, v17, s0
	v_xor_b32_e32 v0, 56, v0
	v_and_or_b32 v8, v37, 12, v1
	ds_write2st64_b32 v2, v3, v4 offset0:3 offset1:35
	v_perm_b32 v2, v5, v9, s1
	v_perm_b32 v3, v13, v17, s1
	v_add_u32_e32 v0, 0x80, v0
	v_cmp_gt_i32_e32 vcc, s27, v8
	v_mov_b32_e32 v9, 0
	v_mov_b32_e32 v14, 0
	ds_write2st64_b32 v0, v2, v3 offset0:3 offset1:35
	s_and_saveexec_b64 s[0:1], vcc
	s_cbranch_execz .LBB595_60
; %bb.59:
	v_add_u32_e32 v0, s26, v8
	v_ashrrev_i32_e32 v1, 31, v0
	v_mul_lo_u32 v2, v1, s30
	v_mul_lo_u32 v3, v0, s31
	v_mad_u64_u32 v[0:1], s[2:3], v0, s30, 0
	v_add3_u32 v1, v1, v3, v2
	v_lshl_add_u64 v[0:1], v[0:1], 2, s[10:11]
	global_load_dword v0, v[0:1], off
	s_waitcnt vmcnt(0)
	v_sub_f32_e32 v0, s12, v0
	v_mul_f32_e32 v0, 0x3fb8aa3b, v0
	v_exp_f32_e32 v14, v0
.LBB595_60:
	s_or_b64 exec, exec, s[0:1]
	v_or_b32_e32 v12, 1, v8
	v_cmp_gt_i32_e64 s[2:3], s27, v12
	s_and_saveexec_b64 s[0:1], s[2:3]
	s_cbranch_execz .LBB595_62
; %bb.61:
	v_add_u32_e32 v0, s26, v12
	v_ashrrev_i32_e32 v1, 31, v0
	v_mul_lo_u32 v2, v1, s30
	v_mul_lo_u32 v3, v0, s31
	v_mad_u64_u32 v[0:1], s[4:5], v0, s30, 0
	v_add3_u32 v1, v1, v3, v2
	v_lshl_add_u64 v[0:1], v[0:1], 2, s[10:11]
	global_load_dword v0, v[0:1], off
	s_waitcnt vmcnt(0)
	v_sub_f32_e32 v0, s12, v0
	v_mul_f32_e32 v0, 0x3fb8aa3b, v0
	v_exp_f32_e32 v9, v0
.LBB595_62:
	s_or_b64 exec, exec, s[0:1]
	v_or_b32_e32 v11, 2, v8
	v_cmp_gt_i32_e64 s[0:1], s27, v11
	v_mov_b32_e32 v10, 0
	v_mov_b32_e32 v15, 0
	s_and_saveexec_b64 s[4:5], s[0:1]
	s_cbranch_execz .LBB595_64
; %bb.63:
	v_add_u32_e32 v0, s26, v11
	v_ashrrev_i32_e32 v1, 31, v0
	v_mul_lo_u32 v2, v1, s30
	v_mul_lo_u32 v3, v0, s31
	v_mad_u64_u32 v[0:1], s[6:7], v0, s30, 0
	v_add3_u32 v1, v1, v3, v2
	v_lshl_add_u64 v[0:1], v[0:1], 2, s[10:11]
	global_load_dword v0, v[0:1], off
	s_waitcnt vmcnt(0)
	v_sub_f32_e32 v0, s12, v0
	v_mul_f32_e32 v0, 0x3fb8aa3b, v0
	v_exp_f32_e32 v15, v0
.LBB595_64:
	s_or_b64 exec, exec, s[4:5]
	v_or_b32_e32 v13, 3, v8
	v_cmp_gt_i32_e64 s[4:5], s27, v13
	s_and_saveexec_b64 s[6:7], s[4:5]
	s_cbranch_execz .LBB595_66
; %bb.65:
	v_add_u32_e32 v0, s26, v13
	v_ashrrev_i32_e32 v1, 31, v0
	v_mul_lo_u32 v2, v1, s30
	v_mul_lo_u32 v3, v0, s31
	v_mad_u64_u32 v[0:1], s[14:15], v0, s30, 0
	v_add3_u32 v1, v1, v3, v2
	v_lshl_add_u64 v[0:1], v[0:1], 2, s[10:11]
	global_load_dword v0, v[0:1], off
	s_waitcnt vmcnt(0)
	v_sub_f32_e32 v0, s12, v0
	v_mul_f32_e32 v0, 0x3fb8aa3b, v0
	v_exp_f32_e32 v10, v0
.LBB595_66:
	s_or_b64 exec, exec, s[6:7]
	s_waitcnt lgkmcnt(11)
	v_mfma_f32_16x16x16_bf16 a[0:3], v[32:33], v[22:23], a[0:3]
	s_add_u32 s6, s8, s20
	v_ashrrev_i32_e32 v47, 31, v46
	s_addc_u32 s7, s9, s21
	s_waitcnt lgkmcnt(10)
	v_mfma_f32_16x16x16_bf16 a[0:3], v[30:31], v[24:25], a[0:3]
	v_lshlrev_b64 v[0:1], 1, v[46:47]
	v_lshl_add_u64 v[4:5], s[6:7], 0, v[0:1]
	s_add_u32 s6, s28, s20
	s_waitcnt lgkmcnt(9)
	v_mfma_f32_16x16x16_bf16 a[0:3], v[28:29], v[18:19], a[0:3]
	s_addc_u32 s7, s29, s21
	v_lshl_add_u64 v[6:7], s[6:7], 0, v[0:1]
	v_mov_b32_e32 v16, 0
	s_waitcnt lgkmcnt(8)
	v_mfma_f32_16x16x16_bf16 a[0:3], v[26:27], v[20:21], a[0:3]
	v_mov_b32_e32 v17, 0
	s_nop 5
	v_accvgpr_read_b32 v0, a0
	v_accvgpr_read_b32 v1, a1
	;; [unrolled: 1-line block ×4, first 2 shown]
	s_and_saveexec_b64 s[6:7], vcc
	s_cbranch_execz .LBB595_68
; %bb.67:
	v_lshlrev_b32_e32 v18, 8, v8
	v_mov_b32_e32 v19, 0
	v_lshl_add_u64 v[20:21], v[4:5], 0, v[18:19]
	global_load_ushort v17, v[20:21], off
	v_lshl_add_u64 v[18:19], v[6:7], 0, v[18:19]
	s_waitcnt vmcnt(0)
	v_lshlrev_b32_e32 v17, 16, v17
	v_sub_f32_e32 v0, v17, v0
	global_store_short_d16_hi v[18:19], v0, off
	v_mul_f32_e32 v0, v14, v0
	v_lshrrev_b32_e32 v17, 16, v0
.LBB595_68:
	s_or_b64 exec, exec, s[6:7]
	s_and_saveexec_b64 s[6:7], s[2:3]
	s_cbranch_execz .LBB595_70
; %bb.69:
	v_lshlrev_b32_e32 v18, 8, v12
	v_mov_b32_e32 v19, 0
	v_lshl_add_u64 v[20:21], v[4:5], 0, v[18:19]
	global_load_ushort v0, v[20:21], off
	v_lshl_add_u64 v[18:19], v[6:7], 0, v[18:19]
	s_waitcnt vmcnt(0)
	v_lshlrev_b32_e32 v0, 16, v0
	v_sub_f32_e32 v0, v0, v1
	global_store_short_d16_hi v[18:19], v0, off
	v_mul_f32_e32 v0, v9, v0
	v_lshrrev_b32_e32 v16, 16, v0
.LBB595_70:
	s_or_b64 exec, exec, s[6:7]
	v_mov_b32_e32 v0, 0
	v_mov_b32_e32 v1, 0
	s_and_saveexec_b64 s[2:3], s[0:1]
	s_cbranch_execz .LBB595_72
; %bb.71:
	v_lshlrev_b32_e32 v18, 8, v11
	v_mov_b32_e32 v19, 0
	v_lshl_add_u64 v[20:21], v[4:5], 0, v[18:19]
	global_load_ushort v1, v[20:21], off
	v_lshl_add_u64 v[18:19], v[6:7], 0, v[18:19]
	s_waitcnt vmcnt(0)
	v_lshlrev_b32_e32 v1, 16, v1
	v_sub_f32_e32 v1, v1, v2
	global_store_short_d16_hi v[18:19], v1, off
	v_mul_f32_e32 v1, v15, v1
	v_lshrrev_b32_e32 v1, 16, v1
.LBB595_72:
	s_or_b64 exec, exec, s[2:3]
	s_and_saveexec_b64 s[0:1], s[4:5]
	s_cbranch_execz .LBB595_74
; %bb.73:
	v_lshlrev_b32_e32 v12, 8, v13
	v_mov_b32_e32 v13, 0
	v_lshl_add_u64 v[4:5], v[4:5], 0, v[12:13]
	global_load_ushort v0, v[4:5], off
	v_lshl_add_u64 v[4:5], v[6:7], 0, v[12:13]
	s_waitcnt vmcnt(0)
	v_lshlrev_b32_e32 v0, 16, v0
	v_sub_f32_e32 v0, v0, v3
	global_store_short_d16_hi v[4:5], v0, off
	v_mul_f32_e32 v0, v10, v0
	v_lshrrev_b32_e32 v0, 16, v0
.LBB595_74:
	s_or_b64 exec, exec, s[0:1]
	s_mov_b32 s0, 0x5040100
	v_lshlrev_b32_e32 v2, 1, v34
	v_perm_b32 v1, v0, v1, s0
	v_perm_b32 v0, v16, v17, s0
	v_lshl_or_b32 v2, v8, 5, v2
	ds_write_b64 v2, v[0:1] offset:38912
	s_waitcnt lgkmcnt(0)
	s_barrier
.LBB595_75:
	s_endpgm
	.section	.rodata,"a",@progbits
	.p2align	6, 0x0
	.amdhsa_kernel _ZN12_GLOBAL__N_139chunk_gated_delta_rule_fwd_h_hip_kernelILi16ELb1ELb0ELb1ELb1ELb0ELb1ELb0ELb1EEEvPK12hip_bfloat16S3_S3_PKfS5_PKvPS1_S8_PvPKiSB_iiiiilll
		.amdhsa_group_segment_fixed_size 40960
		.amdhsa_private_segment_fixed_size 0
		.amdhsa_kernarg_size 136
		.amdhsa_user_sgpr_count 2
		.amdhsa_user_sgpr_dispatch_ptr 0
		.amdhsa_user_sgpr_queue_ptr 0
		.amdhsa_user_sgpr_kernarg_segment_ptr 1
		.amdhsa_user_sgpr_dispatch_id 0
		.amdhsa_user_sgpr_kernarg_preload_length 0
		.amdhsa_user_sgpr_kernarg_preload_offset 0
		.amdhsa_user_sgpr_private_segment_size 0
		.amdhsa_uses_dynamic_stack 0
		.amdhsa_enable_private_segment 0
		.amdhsa_system_sgpr_workgroup_id_x 1
		.amdhsa_system_sgpr_workgroup_id_y 1
		.amdhsa_system_sgpr_workgroup_id_z 0
		.amdhsa_system_sgpr_workgroup_info 0
		.amdhsa_system_vgpr_workitem_id 0
		.amdhsa_next_free_vgpr 128
		.amdhsa_next_free_sgpr 63
		.amdhsa_accum_offset 116
		.amdhsa_reserve_vcc 1
		.amdhsa_float_round_mode_32 0
		.amdhsa_float_round_mode_16_64 0
		.amdhsa_float_denorm_mode_32 3
		.amdhsa_float_denorm_mode_16_64 3
		.amdhsa_dx10_clamp 1
		.amdhsa_ieee_mode 1
		.amdhsa_fp16_overflow 0
		.amdhsa_tg_split 0
		.amdhsa_exception_fp_ieee_invalid_op 0
		.amdhsa_exception_fp_denorm_src 0
		.amdhsa_exception_fp_ieee_div_zero 0
		.amdhsa_exception_fp_ieee_overflow 0
		.amdhsa_exception_fp_ieee_underflow 0
		.amdhsa_exception_fp_ieee_inexact 0
		.amdhsa_exception_int_div_zero 0
	.end_amdhsa_kernel
	.section	.text._ZN12_GLOBAL__N_139chunk_gated_delta_rule_fwd_h_hip_kernelILi16ELb1ELb0ELb1ELb1ELb0ELb1ELb0ELb1EEEvPK12hip_bfloat16S3_S3_PKfS5_PKvPS1_S8_PvPKiSB_iiiiilll,"axG",@progbits,_ZN12_GLOBAL__N_139chunk_gated_delta_rule_fwd_h_hip_kernelILi16ELb1ELb0ELb1ELb1ELb0ELb1ELb0ELb1EEEvPK12hip_bfloat16S3_S3_PKfS5_PKvPS1_S8_PvPKiSB_iiiiilll,comdat
.Lfunc_end595:
	.size	_ZN12_GLOBAL__N_139chunk_gated_delta_rule_fwd_h_hip_kernelILi16ELb1ELb0ELb1ELb1ELb0ELb1ELb0ELb1EEEvPK12hip_bfloat16S3_S3_PKfS5_PKvPS1_S8_PvPKiSB_iiiiilll, .Lfunc_end595-_ZN12_GLOBAL__N_139chunk_gated_delta_rule_fwd_h_hip_kernelILi16ELb1ELb0ELb1ELb1ELb0ELb1ELb0ELb1EEEvPK12hip_bfloat16S3_S3_PKfS5_PKvPS1_S8_PvPKiSB_iiiiilll
                                        ; -- End function
	.section	.AMDGPU.csdata,"",@progbits
; Kernel info:
; codeLenInByte = 7520
; NumSgprs: 69
; NumVgprs: 116
; NumAgprs: 12
; TotalNumVgprs: 128
; ScratchSize: 0
; MemoryBound: 0
; FloatMode: 240
; IeeeMode: 1
; LDSByteSize: 40960 bytes/workgroup (compile time only)
; SGPRBlocks: 8
; VGPRBlocks: 15
; NumSGPRsForWavesPerEU: 69
; NumVGPRsForWavesPerEU: 128
; AccumOffset: 116
; Occupancy: 1
; WaveLimiterHint : 1
; COMPUTE_PGM_RSRC2:SCRATCH_EN: 0
; COMPUTE_PGM_RSRC2:USER_SGPR: 2
; COMPUTE_PGM_RSRC2:TRAP_HANDLER: 0
; COMPUTE_PGM_RSRC2:TGID_X_EN: 1
; COMPUTE_PGM_RSRC2:TGID_Y_EN: 1
; COMPUTE_PGM_RSRC2:TGID_Z_EN: 0
; COMPUTE_PGM_RSRC2:TIDIG_COMP_CNT: 0
; COMPUTE_PGM_RSRC3_GFX90A:ACCUM_OFFSET: 28
; COMPUTE_PGM_RSRC3_GFX90A:TG_SPLIT: 0
	.section	.text._ZN12_GLOBAL__N_139chunk_gated_delta_rule_fwd_h_hip_kernelILi16ELb1ELb0ELb0ELb1ELb0ELb1ELb0ELb1EEEvPK12hip_bfloat16S3_S3_PKfS5_PKvPS1_S8_PvPKiSB_iiiiilll,"axG",@progbits,_ZN12_GLOBAL__N_139chunk_gated_delta_rule_fwd_h_hip_kernelILi16ELb1ELb0ELb0ELb1ELb0ELb1ELb0ELb1EEEvPK12hip_bfloat16S3_S3_PKfS5_PKvPS1_S8_PvPKiSB_iiiiilll,comdat
	.globl	_ZN12_GLOBAL__N_139chunk_gated_delta_rule_fwd_h_hip_kernelILi16ELb1ELb0ELb0ELb1ELb0ELb1ELb0ELb1EEEvPK12hip_bfloat16S3_S3_PKfS5_PKvPS1_S8_PvPKiSB_iiiiilll ; -- Begin function _ZN12_GLOBAL__N_139chunk_gated_delta_rule_fwd_h_hip_kernelILi16ELb1ELb0ELb0ELb1ELb0ELb1ELb0ELb1EEEvPK12hip_bfloat16S3_S3_PKfS5_PKvPS1_S8_PvPKiSB_iiiiilll
	.p2align	8
	.type	_ZN12_GLOBAL__N_139chunk_gated_delta_rule_fwd_h_hip_kernelILi16ELb1ELb0ELb0ELb1ELb0ELb1ELb0ELb1EEEvPK12hip_bfloat16S3_S3_PKfS5_PKvPS1_S8_PvPKiSB_iiiiilll,@function
_ZN12_GLOBAL__N_139chunk_gated_delta_rule_fwd_h_hip_kernelILi16ELb1ELb0ELb0ELb1ELb0ELb1ELb0ELb1EEEvPK12hip_bfloat16S3_S3_PKfS5_PKvPS1_S8_PvPKiSB_iiiiilll: ; @_ZN12_GLOBAL__N_139chunk_gated_delta_rule_fwd_h_hip_kernelILi16ELb1ELb0ELb0ELb1ELb0ELb1ELb0ELb1EEEvPK12hip_bfloat16S3_S3_PKfS5_PKvPS1_S8_PvPKiSB_iiiiilll
; %bb.0:
	s_load_dwordx4 s[12:15], s[0:1], 0x5c
	s_load_dwordx4 s[20:23], s[0:1], 0x70
	s_abs_i32 s9, s3
	s_ashr_i32 s8, s3, 31
	s_load_dwordx4 s[4:7], s[0:1], 0x48
	s_waitcnt lgkmcnt(0)
	s_abs_i32 s10, s13
	v_cvt_f32_u32_e32 v1, s10
	s_sub_i32 s16, 0, s10
	s_ashr_i32 s11, s13, 31
	s_xor_b32 s8, s8, s11
	v_rcp_iflag_f32_e32 v1, v1
	v_and_b32_e32 v62, 15, v0
	v_lshrrev_b32_e32 v60, 6, v0
	v_bfe_u32 v61, v0, 4, 2
	v_mul_f32_e32 v1, 0x4f7ffffe, v1
	v_cvt_u32_f32_e32 v1, v1
	v_mov_b32_e32 v5, 0
	v_and_b32_e32 v45, 63, v0
	v_lshlrev_b32_e32 v63, 3, v0
	v_readfirstlane_b32 s17, v1
	s_mul_i32 s16, s16, s17
	s_mul_hi_u32 s16, s17, s16
	s_add_i32 s17, s17, s16
	s_mul_hi_u32 s16, s9, s17
	s_mul_i32 s17, s16, s10
	s_sub_i32 s9, s9, s17
	s_add_i32 s18, s16, 1
	s_sub_i32 s17, s9, s10
	s_cmp_ge_u32 s9, s10
	s_cselect_b32 s16, s18, s16
	s_cselect_b32 s9, s17, s9
	s_add_i32 s17, s16, 1
	s_cmp_ge_u32 s9, s10
	s_cselect_b32 s9, s17, s16
	s_load_dwordx4 s[16:19], s[0:1], 0x28
	s_xor_b32 s9, s9, s8
	s_sub_i32 s24, s9, s8
	s_mul_i32 s28, s24, s13
	s_ashr_i32 s25, s24, 31
	s_sub_i32 s47, s3, s28
	s_lshl_b64 s[8:9], s[24:25], 2
	s_add_u32 s4, s4, s8
	s_addc_u32 s5, s5, s9
	s_add_u32 s26, s6, s8
	s_addc_u32 s27, s7, s9
	s_abs_i32 s3, s14
	v_cvt_f32_u32_e32 v1, s3
	s_load_dwordx2 s[30:31], s[4:5], 0x0
	s_lshl_b32 s38, s2, 4
	s_ashr_i32 s2, s14, 31
	v_rcp_iflag_f32_e32 v1, v1
	s_xor_b32 s2, s11, s2
	s_waitcnt lgkmcnt(0)
	s_sub_i32 s50, s31, s30
	s_ashr_i32 s4, s50, 31
	v_mul_f32_e32 v1, 0x4f7ffffe, v1
	v_cvt_u32_f32_e32 v1, v1
	s_lshr_b32 s4, s4, 26
	s_add_i32 s4, s50, s4
	s_ashr_i32 s48, s4, 6
	s_sub_i32 s4, 0, s3
	v_readfirstlane_b32 s5, v1
	s_mul_i32 s4, s4, s5
	s_mul_hi_u32 s4, s5, s4
	s_add_i32 s5, s5, s4
	s_mul_hi_u32 s4, s10, s5
	s_mul_i32 s5, s4, s3
	s_sub_i32 s5, s10, s5
	s_add_i32 s6, s4, 1
	s_sub_i32 s7, s5, s3
	s_cmp_ge_u32 s5, s3
	s_cselect_b32 s4, s6, s4
	s_cselect_b32 s5, s7, s5
	s_add_i32 s6, s4, 1
	s_cmp_ge_u32 s5, s3
	s_cselect_b32 s3, s6, s4
	s_xor_b32 s3, s3, s2
	s_sub_i32 s2, s3, s2
	s_abs_i32 s3, s2
	v_cvt_f32_u32_e32 v1, s3
	s_sub_i32 s5, 0, s3
	s_abs_i32 s4, s47
	s_xor_b32 s2, s47, s2
	v_rcp_iflag_f32_e32 v1, v1
	s_ashr_i32 s2, s2, 31
	v_or_b32_e32 v46, s38, v62
	v_lshlrev_b32_e32 v2, 7, v46
	v_mul_f32_e32 v1, 0x4f7ffffe, v1
	v_cvt_u32_f32_e32 v1, v1
	v_ashrrev_i32_e32 v3, 31, v2
	v_lshrrev_b32_e32 v64, 3, v45
	s_mul_i32 s33, s24, s21
	v_readfirstlane_b32 s6, v1
	s_mul_i32 s5, s5, s6
	s_mul_hi_u32 s5, s6, s5
	s_add_i32 s6, s6, s5
	s_mul_hi_u32 s5, s4, s6
	s_mul_i32 s6, s5, s3
	s_sub_i32 s4, s4, s6
	s_add_i32 s6, s5, 1
	s_sub_i32 s7, s4, s3
	s_cmp_ge_u32 s4, s3
	s_cselect_b32 s5, s6, s5
	s_cselect_b32 s4, s7, s4
	s_add_i32 s6, s5, 1
	s_cmp_ge_u32 s4, s3
	s_cselect_b32 s3, s6, s5
	s_xor_b32 s3, s3, s2
	s_sub_i32 s51, s3, s2
	s_ashr_i32 s49, s47, 31
	s_mul_hi_i32 s3, s24, s13
	s_add_u32 s2, s28, s47
	s_addc_u32 s3, s3, s49
	s_lshl_b64 s[2:3], s[2:3], 15
	v_lshlrev_b32_e32 v1, 4, v60
	s_add_u32 s2, s16, s2
	v_lshl_or_b32 v65, v61, 2, v1
	s_addc_u32 s3, s17, s3
	v_lshl_add_u64 v[2:3], v[2:3], 1, s[2:3]
	v_lshlrev_b32_e32 v4, 1, v65
	v_lshl_add_u64 v[2:3], v[2:3], 0, v[4:5]
	global_load_dwordx2 v[4:5], v[2:3], off
	global_load_dwordx2 v[6:7], v[2:3], off offset:128
	s_load_dwordx8 s[4:11], s[0:1], 0x0
	s_load_dwordx2 s[28:29], s[0:1], 0x80
	s_load_dword s54, s[26:27], 0x0
	v_or_b32_e32 v66, 64, v65
	s_mul_hi_u32 s42, s24, s20
	s_mul_i32 s36, s24, s20
	s_mul_i32 s43, s25, s20
	s_mul_hi_i32 s52, s47, s12
	s_mul_i32 s53, s47, s12
	s_mul_i32 s44, s47, s23
	s_mul_hi_u32 s45, s47, s22
	s_mul_i32 s46, s49, s22
	s_cmp_lt_i32 s50, 64
	s_mul_i32 s34, s47, s22
	s_waitcnt vmcnt(1)
	v_and_b32_e32 v51, 0xffff0000, v4
	v_lshlrev_b32_e32 v50, 16, v4
	v_and_b32_e32 v55, 0xffff0000, v5
	v_lshlrev_b32_e32 v54, 16, v5
	s_waitcnt vmcnt(0)
	v_and_b32_e32 v49, 0xffff0000, v6
	v_lshlrev_b32_e32 v48, 16, v6
	v_and_b32_e32 v53, 0xffff0000, v7
	v_lshlrev_b32_e32 v52, 16, v7
	s_cbranch_scc1 .LBB596_18
; %bb.1:
	s_ashr_i32 s3, s30, 31
	s_add_u32 s2, s53, s30
	s_addc_u32 s3, s52, s3
	s_lshl_b64 s[2:3], s[2:3], 8
	v_and_b32_e32 v68, 56, v63
	s_waitcnt lgkmcnt(0)
	s_add_u32 s20, s6, s2
	v_lshl_or_b32 v67, v60, 3, v64
	v_lshlrev_b32_e32 v2, 1, v68
	s_addc_u32 s2, s7, s3
	v_lshl_or_b32 v69, v67, 8, v2
	s_and_b32 s21, s2, 0xffff
	s_mov_b32 s23, 0x20000
	s_movk_i32 s22, 0x4000
	s_movk_i32 s2, 0x80
	v_or_b32_e32 v70, 0x2000, v69
	buffer_load_dwordx4 v[4:7], v69, s[20:23], 0 offen
	buffer_load_dwordx4 v[8:11], v69, s[20:23], s2 offen
	;; [unrolled: 1-line block ×4, first 2 shown]
	v_lshlrev_b32_e32 v3, 3, v67
	v_and_or_b32 v21, v0, 7, v3
	v_and_b32_e32 v3, 0x78, v3
	v_lshlrev_b32_e32 v21, 4, v21
	v_xor_b32_e32 v71, v21, v3
	v_mul_lo_u32 v20, v67, s15
	v_or_b32_e32 v72, 0x1000, v71
	v_xor_b32_e32 v3, 8, v71
	s_cmpk_eq_i32 s15, 0x80
	s_mov_b32 s55, s30
	v_xor_b32_e32 v21, 8, v72
	s_cselect_b64 s[2:3], -1, 0
	s_cmpk_lg_i32 s15, 0x80
	s_waitcnt vmcnt(3)
	ds_write_b64 v71, v[4:5] offset:16384
	ds_write_b64 v3, v[6:7] offset:16384
	s_waitcnt vmcnt(2)
	ds_write_b64 v71, v[8:9] offset:24576
	ds_write_b64 v3, v[10:11] offset:24576
	s_waitcnt vmcnt(1)
	ds_write_b64 v71, v[12:13] offset:20480
	ds_write_b64 v21, v[14:15] offset:16384
	s_waitcnt vmcnt(0)
	ds_write_b64 v71, v[16:17] offset:28672
	ds_write_b64 v21, v[18:19] offset:24576
	v_lshl_add_u32 v3, v20, 1, v68
	s_cbranch_scc0 .LBB596_3
; %bb.2:
	v_lshlrev_b32_e32 v5, 1, v3
	v_add_lshl_u32 v4, v3, s15, 1
	s_lshl_b32 s22, s15, 7
	s_load_dwordx2 s[16:17], s[0:1], 0x20
	v_lshl_or_b32 v2, v67, 9, v2
	s_cbranch_execz .LBB596_4
	s_branch .LBB596_5
.LBB596_3:
                                        ; implicit-def: $vgpr4
                                        ; implicit-def: $vgpr5
                                        ; implicit-def: $sgpr22
	s_load_dwordx2 s[16:17], s[0:1], 0x20
	v_lshl_or_b32 v2, v67, 9, v2
.LBB596_4:
	v_or_b32_e32 v4, 0x100, v2
	s_movk_i32 s22, 0x4000
	v_mov_b32_e32 v5, v2
.LBB596_5:
	s_mul_i32 s0, s30, s14
	s_ashr_i32 s56, s51, 31
	s_mul_hi_i32 s1, s30, s14
	s_add_u32 s0, s0, s51
	s_addc_u32 s1, s1, s56
	s_lshl_b64 s[0:1], s[0:1], 8
	s_add_u32 s20, s4, s0
	s_addc_u32 s0, s5, s1
	s_and_b32 s21, s0, 0xffff
	s_movk_i32 s57, 0x80
	buffer_load_dwordx4 v[6:9], v5, s[20:23], 0 offen
	buffer_load_dwordx4 v[10:13], v5, s[20:23], s57 offen
	;; [unrolled: 1-line block ×4, first 2 shown]
	v_and_b32_e32 v4, 6, v0
	v_lshlrev_b32_e32 v22, 2, v62
	v_lshlrev_b32_e32 v23, 3, v62
	v_xor_b32_e32 v27, v67, v4
	v_and_b32_e32 v5, 1, v0
	v_lshl_or_b32 v23, v65, 5, v23
	v_xor_b32_e32 v28, v65, v22
	v_lshlrev_b32_e32 v27, 2, v27
	s_add_i32 s0, s42, s33
	v_or_b32_e32 v73, 0x9000, v23
	v_or_b32_e32 v74, 0x9800, v23
	v_lshlrev_b32_e32 v23, 1, v28
	v_xor_b32_e32 v28, 0x440, v27
	v_cmp_eq_u32_e32 vcc, 0, v5
	s_add_i32 s1, s45, s44
	s_add_i32 s37, s0, s43
	v_cndmask_b32_e32 v5, v28, v27, vcc
	s_add_i32 s35, s1, s46
	s_lshl_b64 s[0:1], s[36:37], 2
	s_mov_b32 s58, 0x1000504
	s_mov_b32 s59, 0x3020706
	v_lshlrev_b32_e32 v24, 8, v62
	s_mov_b32 s20, 0x8000
	v_xor_b32_e32 v22, v66, v22
	v_lshl_or_b32 v4, v4, 10, v5
	s_add_u32 s21, s10, s0
	v_or_b32_e32 v25, v1, v62
	v_lshlrev_b32_e32 v22, 1, v22
	v_or3_b32 v75, v23, v24, s20
	v_xor_b32_e32 v5, 8, v4
	v_xor_b32_e32 v23, 24, v4
	;; [unrolled: 1-line block ×4, first 2 shown]
	s_addc_u32 s22, s11, s1
	s_lshl_b64 s[0:1], s[34:35], 2
	v_or3_b32 v76, v22, v24, s20
	v_xor_b32_e32 v22, 16, v4
	v_xor_b32_e32 v24, 32, v4
	;; [unrolled: 1-line block ×3, first 2 shown]
	v_add_u32_e32 v5, 0x80, v5
	v_add_u32_e32 v23, 0x80, v23
	;; [unrolled: 1-line block ×4, first 2 shown]
	s_add_u32 s40, s21, s0
	s_movk_i32 s0, 0xf8
	s_addc_u32 s41, s22, s1
	s_ashr_i32 s39, s38, 31
	v_ashrrev_i32_e32 v47, 31, v46
	s_lshl_b32 s26, s15, 7
	v_lshrrev_b32_e32 v26, 2, v45
	s_mov_b32 s60, 0
	s_mov_b32 s35, 0x7060302
	s_movk_i32 s22, 0x4000
	v_mov_b32_e32 v96, 0x3fb8aa3b
	s_waitcnt vmcnt(1)
	v_perm_b32 v30, v6, v14, s58
	s_waitcnt vmcnt(0)
	v_perm_b32 v31, v10, v18, s58
	v_perm_b32 v6, v6, v14, s59
	v_perm_b32 v10, v10, v18, s59
	v_perm_b32 v14, v7, v15, s58
	v_perm_b32 v18, v11, v19, s58
	v_perm_b32 v7, v7, v15, s59
	v_perm_b32 v11, v11, v19, s59
	v_perm_b32 v15, v8, v16, s58
	v_perm_b32 v19, v12, v20, s58
	v_perm_b32 v8, v8, v16, s59
	v_perm_b32 v12, v12, v20, s59
	v_perm_b32 v16, v9, v17, s58
	v_perm_b32 v20, v13, v21, s58
	v_perm_b32 v9, v9, v17, s59
	v_perm_b32 v13, v13, v21, s59
	ds_write2st64_b32 v4, v30, v31 offset1:32
	ds_write2st64_b32 v5, v6, v10 offset1:32
	ds_write2st64_b32 v22, v14, v18 offset0:1 offset1:33
	ds_write2st64_b32 v23, v7, v11 offset0:1 offset1:33
	;; [unrolled: 1-line block ×6, first 2 shown]
	v_lshlrev_b32_e32 v4, 3, v25
	v_lshrrev_b32_e32 v6, 5, v45
	v_and_or_b32 v6, v4, s0, v6
	v_lshlrev_b32_e32 v6, 4, v6
	v_lshlrev_b32_e32 v11, 11, v60
	v_and_b32_e32 v4, 0x78, v4
	v_or_b32_e32 v9, 32, v6
	v_and_b32_e32 v5, 0x1000, v11
	v_xor_b32_e32 v7, v6, v4
	v_lshrrev_b32_e32 v8, 1, v45
	v_xor_b32_e32 v9, v9, v4
	v_or_b32_e32 v7, v7, v5
	v_and_b32_e32 v8, 8, v8
	v_or_b32_e32 v9, v9, v5
	v_xor_b32_e32 v77, v7, v8
	v_and_b32_e32 v7, 0x78, v63
	v_xor_b32_e32 v79, v9, v8
	v_or_b32_e32 v9, 64, v6
	v_or_b32_e32 v6, 0x60, v6
	v_lshl_or_b32 v7, v61, 7, v7
	v_xor_b32_e32 v9, v9, v4
	v_xor_b32_e32 v4, v6, v4
	v_or_b32_e32 v78, 0x9000, v7
	v_or_b32_e32 v9, v9, v5
	;; [unrolled: 1-line block ×4, first 2 shown]
	v_lshrrev_b32_e32 v6, 4, v0
	v_lshlrev_b32_e32 v7, 1, v62
	v_xor_b32_e32 v80, v9, v8
	v_xor_b32_e32 v81, v4, v8
	v_or_b32_e32 v8, 1, v7
	v_xor_b32_e32 v7, v6, v7
	s_lshl_b64 s[0:1], s[38:39], 8
	v_xor_b32_e32 v8, v8, v6
	v_lshlrev_b32_e32 v7, 3, v7
	v_lshlrev_b32_e32 v6, 8, v6
	v_lshl_add_u64 v[4:5], v[46:47], 1, s[8:9]
	s_add_u32 s0, s18, s0
	v_or3_b32 v47, v7, v6, s20
	v_lshlrev_b32_e32 v7, 3, v8
	s_addc_u32 s1, s19, s1
	v_or3_b32 v83, v7, v6, s20
	v_mov_b32_e32 v7, 0
	v_lshrrev_b32_e32 v17, 1, v0
	v_lshl_add_u64 v[8:9], s[0:1], 0, v[6:7]
	v_lshlrev_b32_e32 v6, 4, v62
	s_movk_i32 s0, 0xff
	v_lshlrev_b32_e32 v16, 3, v60
	v_and_b32_e32 v17, 24, v17
	v_lshl_add_u64 v[56:57], v[8:9], 0, v[6:7]
	v_and_b32_e32 v6, 7, v0
	v_and_b32_e32 v9, 8, v0
	v_cmp_lt_u32_e32 vcc, s0, v0
	v_xor_b32_e32 v18, v16, v17
	v_lshlrev_b32_e32 v14, 3, v6
	v_lshlrev_b32_e32 v15, 7, v6
	v_cndmask_b32_e64 v6, 0, 1, vcc
	v_or_b32_e32 v19, 0x440, v18
	v_cmp_eq_u32_e32 vcc, 0, v9
	v_or_b32_e32 v21, 64, v17
	v_xor_b32_e32 v21, v16, v21
	v_cndmask_b32_e32 v9, v19, v18, vcc
	v_or_b32_e32 v19, 32, v17
	v_or_b32_e32 v17, 0x60, v17
	v_xor_b32_e32 v19, v16, v19
	v_xor_b32_e32 v16, v16, v17
	v_or_b32_e32 v20, 0x440, v19
	v_xor_b32_e32 v22, 0x440, v21
	v_xor_b32_e32 v17, 0x440, v16
	v_cndmask_b32_e32 v19, v20, v19, vcc
	v_cndmask_b32_e32 v21, v22, v21, vcc
	;; [unrolled: 1-line block ×3, first 2 shown]
	v_or_b32_e32 v9, v9, v11
	v_or_b32_e32 v19, v19, v11
	v_or_b32_e32 v21, v21, v11
	v_or_b32_e32 v11, v16, v11
	v_and_b32_e32 v10, 12, v26
	v_lshlrev_b32_e32 v6, 13, v6
	v_xor_b32_e32 v9, v9, v14
	v_xor_b32_e32 v19, v19, v14
	;; [unrolled: 1-line block ×4, first 2 shown]
	v_lshlrev_b32_e32 v12, 1, v3
	v_add_lshl_u32 v3, v3, s15, 1
	v_or_b32_e32 v13, 0x100, v2
	v_or_b32_e32 v8, v10, v1
	v_add_u32_e32 v18, v6, v9
	v_add_u32_e32 v20, v6, v19
	;; [unrolled: 1-line block ×4, first 2 shown]
	v_or3_b32 v10, v1, v10, 64
	v_add_u32_e32 v9, 0x2000, v9
	v_add_u32_e32 v16, 0x2000, v19
	;; [unrolled: 1-line block ×4, first 2 shown]
	v_lshlrev_b32_e32 v6, 8, v65
	v_cndmask_b32_e64 v84, v12, v2, s[2:3]
	v_cndmask_b32_e64 v85, v3, v13, s[2:3]
	v_lshl_add_u64 v[58:59], v[4:5], 0, v[6:7]
	v_lshlrev_b32_e32 v86, 2, v8
	v_add_u32_e32 v87, v18, v15
	v_add_u32_e32 v88, v20, v15
	;; [unrolled: 1-line block ×4, first 2 shown]
	v_lshlrev_b32_e32 v91, 2, v10
	v_add_u32_e32 v92, v9, v15
	v_add_u32_e32 v93, v16, v15
	;; [unrolled: 1-line block ×4, first 2 shown]
	s_waitcnt lgkmcnt(0)
	s_barrier
.LBB596_6:                              ; =>This Inner Loop Header: Depth=1
	s_add_i32 s37, s60, 1
	s_cmp_lt_i32 s37, s48
	s_mov_b64 s[24:25], 0
	s_cselect_b64 s[2:3], -1, 0
	s_cmp_ge_i32 s37, s48
	s_mov_b64 s[20:21], 0
	s_cbranch_scc1 .LBB596_8
; %bb.7:                                ;   in Loop: Header=BB596_6 Depth=1
	s_add_i32 s0, s55, 64
	s_ashr_i32 s1, s0, 31
	s_add_u32 s0, s53, s0
	s_addc_u32 s1, s52, s1
	s_lshl_b64 s[0:1], s[0:1], 8
	s_add_u32 s20, s6, s0
	s_addc_u32 s21, s7, s1
.LBB596_8:                              ;   in Loop: Header=BB596_6 Depth=1
	v_cndmask_b32_e64 v2, 0, 1, s[2:3]
	v_cmp_ne_u32_e64 s[0:1], 1, v2
	s_andn2_b64 vcc, exec, s[2:3]
	s_cbranch_vccnz .LBB596_10
; %bb.9:                                ;   in Loop: Header=BB596_6 Depth=1
	s_add_i32 s2, s55, 64
	s_mul_hi_i32 s3, s2, s14
	s_mul_i32 s2, s2, s14
	s_add_u32 s2, s2, s51
	s_addc_u32 s3, s3, s56
	s_lshl_b64 s[2:3], s[2:3], 8
	s_add_u32 s24, s4, s2
	s_addc_u32 s25, s5, s3
.LBB596_10:                             ;   in Loop: Header=BB596_6 Depth=1
	v_perm_b32 v3, v55, v54, s35
	v_perm_b32 v2, v51, v50, s35
	;; [unrolled: 1-line block ×4, first 2 shown]
	ds_write_b64 v73, v[2:3]
	ds_write_b64 v74, v[4:5]
	;; [unrolled: 1-line block ×4, first 2 shown]
	s_waitcnt lgkmcnt(0)
	s_barrier
	ds_read_b64 v[10:11], v77 offset:16384
	ds_read_b64 v[12:13], v79 offset:16384
	ds_read2st64_b64 v[2:5], v78 offset1:1
	s_waitcnt lgkmcnt(0)
	v_mfma_f32_16x16x16_bf16 a[0:3], v[10:11], v[2:3], 0
	ds_read2st64_b64 v[6:9], v78 offset0:2 offset1:3
	ds_read_b64 v[14:15], v80 offset:16384
	ds_read_b64 v[2:3], v81 offset:16384
	s_add_i32 s39, s55, 63
	v_mfma_f32_16x16x16_bf16 a[0:3], v[12:13], v[4:5], a[0:3]
	s_ashr_i32 s2, s39, 31
	s_mul_i32 s3, s39, s29
	s_mul_hi_u32 s27, s39, s28
	s_waitcnt lgkmcnt(1)
	v_mfma_f32_16x16x16_bf16 a[0:3], v[14:15], v[6:7], a[0:3]
	s_add_i32 s3, s27, s3
	s_mul_i32 s2, s2, s28
	s_add_i32 s3, s3, s2
	s_mul_i32 s2, s39, s28
	s_waitcnt lgkmcnt(0)
	v_mfma_f32_16x16x16_bf16 a[0:3], v[2:3], v[8:9], a[0:3]
	s_lshl_b64 s[2:3], s[2:3], 2
	s_add_u32 s2, s40, s2
	s_addc_u32 s3, s41, s3
	s_and_b64 vcc, exec, s[0:1]
	v_mov_b32_e32 v99, 0
	v_mov_b32_e32 v98, 0
	v_mov_b32_e32 v97, 0
	v_mov_b32_e32 v2, 0
	v_mov_b32_e32 v3, 0
	v_mov_b32_e32 v4, 0
	v_mov_b32_e32 v5, 0
	v_mov_b32_e32 v6, 0
	v_mov_b32_e32 v7, 0
	v_mov_b32_e32 v8, 0
	v_mov_b32_e32 v9, 0
	v_mov_b32_e32 v10, 0
	v_mov_b32_e32 v11, 0
	v_mov_b32_e32 v12, 0
	v_mov_b32_e32 v13, 0
	v_mov_b32_e32 v14, 0
	v_mov_b32_e32 v15, 0
	v_mov_b32_e32 v16, 0
	v_mov_b32_e32 v17, 0
	s_cbranch_vccnz .LBB596_12
; %bb.11:                               ;   in Loop: Header=BB596_6 Depth=1
	s_and_b32 s21, s21, 0xffff
	buffer_load_dwordx4 v[14:17], v69, s[20:23], 0 offen
	buffer_load_dwordx4 v[10:13], v69, s[20:23], s57 offen
	;; [unrolled: 1-line block ×4, first 2 shown]
	v_mov_b32_e32 v98, v71
	v_mov_b32_e32 v97, v72
.LBB596_12:                             ;   in Loop: Header=BB596_6 Depth=1
	v_add_u32_e32 v22, s55, v65
	v_ashrrev_i32_e32 v18, 31, v22
	v_mul_lo_u32 v20, v18, s28
	v_mul_lo_u32 v21, v22, s29
	v_mad_u64_u32 v[18:19], s[20:21], v22, s28, 0
	v_add3_u32 v19, v19, v21, v20
	v_lshl_add_u64 v[18:19], v[18:19], 2, s[40:41]
	global_load_dword v38, v[18:19], off
	v_add_u32_e32 v18, 1, v22
	v_ashrrev_i32_e32 v19, 31, v18
	v_mul_lo_u32 v20, v19, s28
	v_mul_lo_u32 v21, v18, s29
	v_mad_u64_u32 v[18:19], s[20:21], v18, s28, 0
	v_add3_u32 v19, v19, v21, v20
	v_add_u32_e32 v20, 2, v22
	v_ashrrev_i32_e32 v21, 31, v20
	v_mul_lo_u32 v23, v21, s28
	v_mul_lo_u32 v24, v20, s29
	v_mad_u64_u32 v[20:21], s[20:21], v20, s28, 0
	v_add_u32_e32 v22, 3, v22
	v_add3_u32 v21, v21, v24, v23
	v_ashrrev_i32_e32 v23, 31, v22
	v_mul_lo_u32 v26, v23, s28
	v_mul_lo_u32 v27, v22, s29
	v_mad_u64_u32 v[22:23], s[20:21], v22, s28, 0
	s_ashr_i32 s21, s55, 31
	s_add_u32 s20, s53, s55
	s_addc_u32 s21, s52, s21
	s_lshl_b64 s[20:21], s[20:21], 8
	v_lshl_add_u64 v[18:19], v[18:19], 2, s[40:41]
	v_lshl_add_u64 v[24:25], v[58:59], 0, s[20:21]
	v_add3_u32 v23, v23, v27, v26
	v_lshl_add_u64 v[20:21], v[20:21], 2, s[40:41]
	global_load_ushort v39, v[24:25], off
	global_load_ushort v40, v[24:25], off offset:256
	global_load_ushort v41, v[24:25], off offset:512
	;; [unrolled: 1-line block ×3, first 2 shown]
	v_lshl_add_u64 v[22:23], v[22:23], 2, s[40:41]
	global_load_dword v43, v[18:19], off
	global_load_dword v44, v[20:21], off
	;; [unrolled: 1-line block ×3, first 2 shown]
	s_load_dword s2, s[2:3], 0x0
	ds_read_b64 v[26:27], v77 offset:24576
	ds_read2st64_b64 v[22:25], v82 offset1:1
	ds_read2st64_b64 v[28:31], v82 offset0:2 offset1:3
	ds_read_b64 v[32:33], v79 offset:24576
	ds_read_b64 v[34:35], v80 offset:24576
	ds_read_b64 v[36:37], v81 offset:24576
	s_waitcnt lgkmcnt(0)
	v_mfma_f32_16x16x16_bf16 a[0:3], v[26:27], v[22:23], a[0:3]
	v_mov_b32_e32 v100, 0
	v_mov_b32_e32 v18, 0
	v_mov_b32_e32 v19, 0
	v_mfma_f32_16x16x16_bf16 a[0:3], v[32:33], v[24:25], a[0:3]
	v_mov_b32_e32 v20, 0
	v_mov_b32_e32 v21, 0
	v_mov_b32_e32 v22, 0
	;; [unrolled: 4-line block ×4, first 2 shown]
	s_and_b64 vcc, exec, s[0:1]
	s_waitcnt vmcnt(7)
	v_sub_f32_e32 v29, s2, v38
	v_mul_f32_e32 v29, 0x3fb8aa3b, v29
	v_exp_f32_e32 v38, v29
	v_accvgpr_read_b32 v33, a1
	v_accvgpr_read_b32 v31, a3
	;; [unrolled: 1-line block ×4, first 2 shown]
	s_waitcnt vmcnt(6)
	v_lshlrev_b32_e32 v34, 16, v39
	s_waitcnt vmcnt(5)
	v_lshlrev_b32_e32 v35, 16, v40
	;; [unrolled: 2-line block ×3, first 2 shown]
	s_waitcnt vmcnt(2)
	v_sub_f32_e32 v39, s2, v43
	s_waitcnt vmcnt(1)
	v_sub_f32_e32 v40, s2, v44
	;; [unrolled: 2-line block ×3, first 2 shown]
	v_mul_f32_e32 v29, 0x3fb8aa3b, v39
	v_mul_f32_e32 v40, 0x3fb8aa3b, v40
	v_mul_f32_e32 v41, 0x3fb8aa3b, v41
	v_exp_f32_e32 v39, v29
	v_exp_f32_e32 v40, v40
	;; [unrolled: 1-line block ×3, first 2 shown]
	v_lshlrev_b32_e32 v37, 16, v42
	v_pk_add_f32 v[32:33], v[34:35], v[32:33] neg_lo:[0,1] neg_hi:[0,1]
	v_pk_add_f32 v[30:31], v[36:37], v[30:31] neg_lo:[0,1] neg_hi:[0,1]
	v_pk_mul_f32 v[32:33], v[38:39], v[32:33]
	v_pk_mul_f32 v[30:31], v[40:41], v[30:31]
	v_mov_b32_e32 v29, 0
	v_perm_b32 v31, v31, v30, s35
	v_perm_b32 v30, v33, v32, s35
	ds_write_b64 v74, v[30:31]
	v_mov_b32_e32 v30, 0
	v_mov_b32_e32 v31, 0
	;; [unrolled: 1-line block ×4, first 2 shown]
	s_cbranch_vccnz .LBB596_14
; %bb.13:                               ;   in Loop: Header=BB596_6 Depth=1
	s_and_b32 s25, s25, 0xffff
	s_mov_b32 s27, s23
	buffer_load_dwordx4 v[30:33], v84, s[24:27], 0 offen
	buffer_load_dwordx4 v[22:25], v84, s[24:27], s57 offen
	;; [unrolled: 1-line block ×4, first 2 shown]
	v_mov_b32_e32 v99, v68
	v_mov_b32_e32 v100, v67
.LBB596_14:                             ;   in Loop: Header=BB596_6 Depth=1
	s_waitcnt lgkmcnt(0)
	s_barrier
	ds_read_b64 v[34:35], v87
	ds_read_b64 v[40:41], v88
	ds_read2st64_b64 v[36:39], v82 offset1:1
	ds_read2st64_b64 v[102:105], v82 offset0:2 offset1:3
	ds_read_b64 v[42:43], v89
	ds_read_b64 v[110:111], v90
	s_add_i32 s3, s54, s60
	s_mul_hi_i32 s21, s3, s13
	s_mul_i32 s3, s3, s13
	s_waitcnt lgkmcnt(3)
	v_mfma_f32_16x16x16_bf16 a[0:3], v[34:35], v[36:37], 0
	ds_read_b64 v[34:35], v92
	s_add_u32 s20, s3, s47
	s_addc_u32 s21, s21, s49
	v_mfma_f32_16x16x16_bf16 a[0:3], v[40:41], v[38:39], a[0:3]
	ds_read_b64 v[40:41], v93
	s_lshl_b64 s[20:21], s[20:21], 15
	s_mul_i32 s24, s39, s13
	s_mul_hi_i32 s3, s39, s13
	s_add_u32 s24, s24, s47
	s_addc_u32 s25, s3, s49
	s_lshl_b64 s[24:25], s[24:25], 9
	s_add_u32 s24, s16, s24
	s_waitcnt lgkmcnt(1)
	v_mfma_f32_16x16x16_bf16 a[4:7], v[34:35], v[36:37], 0
	s_addc_u32 s25, s17, s25
	s_and_b64 vcc, exec, s[0:1]
	v_mfma_f32_16x16x16_bf16 a[0:3], v[42:43], v[102:103], a[0:3]
	ds_read_b64 v[42:43], v94
	ds_read_b64 v[112:113], v95
	global_load_dwordx4 v[34:37], v91, s[24:25]
	s_waitcnt lgkmcnt(2)
	v_mfma_f32_16x16x16_bf16 a[4:7], v[40:41], v[38:39], a[4:7]
	global_load_dwordx4 v[38:41], v86, s[24:25]
	ds_read_b64 v[106:107], v47
	ds_read_b64 v[108:109], v83
	s_waitcnt lgkmcnt(3)
	v_mfma_f32_16x16x16_bf16 a[8:11], v[42:43], v[102:103], a[4:7]
	v_lshl_add_u64 v[42:43], v[56:57], 0, s[20:21]
	s_waitcnt lgkmcnt(0)
	global_store_dwordx4 v[42:43], v[106:109], off
	v_mfma_f32_16x16x16_bf16 a[4:7], v[110:111], v[104:105], a[0:3]
	s_waitcnt vmcnt(2)
	v_mov_b32_e32 v44, v37
	v_mfma_f32_16x16x16_bf16 a[0:3], v[112:113], v[104:105], a[8:11]
	v_mov_b32_e32 v43, v36
	v_mov_b32_e32 v42, v35
	s_cbranch_vccnz .LBB596_16
; %bb.15:                               ;   in Loop: Header=BB596_6 Depth=1
	v_lshrrev_b32_e32 v35, 3, v99
	v_and_b32_e32 v35, 6, v35
	v_xor_b32_e32 v36, v35, v100
	v_lshlrev_b32_e32 v36, 2, v36
	v_and_b32_e32 v37, 8, v99
	v_xor_b32_e32 v99, 0x440, v36
	v_cmp_eq_u32_e32 vcc, 0, v37
	v_perm_b32 v37, v22, v18, s58
	s_nop 0
	v_cndmask_b32_e32 v36, v99, v36, vcc
	v_lshl_or_b32 v35, v35, 10, v36
	v_perm_b32 v36, v30, v26, s58
	s_barrier
	ds_write2st64_b32 v35, v36, v37 offset1:32
	v_xor_b32_e32 v36, 8, v35
	v_perm_b32 v26, v30, v26, s59
	v_perm_b32 v18, v22, v18, s59
	v_add_u32_e32 v22, 0x80, v36
	ds_write2st64_b32 v22, v26, v18 offset1:32
	v_xor_b32_e32 v18, 16, v35
	v_perm_b32 v22, v31, v27, s58
	v_perm_b32 v26, v23, v19, s58
	ds_write2st64_b32 v18, v22, v26 offset0:1 offset1:33
	v_xor_b32_e32 v18, 24, v35
	v_perm_b32 v22, v31, v27, s59
	v_perm_b32 v19, v23, v19, s59
	v_add_u32_e32 v18, 0x80, v18
	ds_write2st64_b32 v18, v22, v19 offset0:1 offset1:33
	v_xor_b32_e32 v18, 32, v35
	v_perm_b32 v19, v32, v28, s58
	v_perm_b32 v22, v24, v20, s58
	ds_write2st64_b32 v18, v19, v22 offset0:2 offset1:34
	v_xor_b32_e32 v18, 40, v35
	v_perm_b32 v19, v32, v28, s59
	v_perm_b32 v20, v24, v20, s59
	v_add_u32_e32 v18, 0x80, v18
	ds_write2st64_b32 v18, v19, v20 offset0:2 offset1:34
	;; [unrolled: 9-line block ×3, first 2 shown]
	ds_write_b64 v98, v[14:15] offset:16384
	v_xor_b32_e32 v14, 8, v98
	ds_write_b64 v14, v[16:17] offset:16384
	ds_write_b64 v98, v[10:11] offset:24576
	;; [unrolled: 1-line block ×4, first 2 shown]
	v_xor_b32_e32 v6, 8, v97
	ds_write_b64 v6, v[8:9] offset:16384
	ds_write_b64 v97, v[2:3] offset:24576
	;; [unrolled: 1-line block ×3, first 2 shown]
.LBB596_16:                             ;   in Loop: Header=BB596_6 Depth=1
	v_mul_f32_e32 v6, s2, v96
	v_exp_f32_e32 v10, v6
	s_waitcnt vmcnt(1)
	v_mul_f32_e32 v6, 0x3fb8aa3b, v38
	v_exp_f32_e32 v12, v6
	v_mul_f32_e32 v6, 0x3fb8aa3b, v39
	v_exp_f32_e32 v13, v6
	;; [unrolled: 2-line block ×4, first 2 shown]
	v_accvgpr_read_b32 v2, a4
	v_accvgpr_read_b32 v3, a5
	v_pk_mul_f32 v[12:13], v[10:11], v[12:13] op_sel_hi:[0,1]
	v_pk_fma_f32 v[50:51], v[50:51], v[12:13], v[2:3]
	v_pk_mul_f32 v[2:3], v[10:11], v[14:15] op_sel_hi:[0,1]
	v_mul_f32_e32 v11, 0x3fb8aa3b, v34
	v_exp_f32_e32 v12, v11
	v_mul_f32_e32 v11, 0x3fb8aa3b, v42
	v_exp_f32_e32 v13, v11
	;; [unrolled: 2-line block ×4, first 2 shown]
	v_accvgpr_read_b32 v4, a6
	v_accvgpr_read_b32 v5, a7
	v_accvgpr_read_b32 v9, a3
	v_accvgpr_read_b32 v7, a1
	v_accvgpr_read_b32 v6, a0
	v_pk_fma_f32 v[54:55], v[54:55], v[2:3], v[4:5]
	v_pk_mul_f32 v[2:3], v[10:11], v[12:13] op_sel_hi:[0,1]
	v_accvgpr_read_b32 v8, a2
	v_pk_fma_f32 v[48:49], v[48:49], v[2:3], v[6:7]
	v_pk_mul_f32 v[2:3], v[10:11], v[14:15] op_sel_hi:[0,1]
	s_add_i32 s55, s55, 64
	s_cmp_eq_u32 s48, s37
	v_pk_fma_f32 v[52:53], v[52:53], v[2:3], v[8:9]
	s_cbranch_scc1 .LBB596_18
; %bb.17:                               ;   in Loop: Header=BB596_6 Depth=1
	s_mov_b32 s60, s37
	s_branch .LBB596_6
.LBB596_18:
	s_lshl_b32 s26, s48, 6
	s_sub_i32 s27, s50, s26
	s_cmp_gt_i32 s27, 0
	s_cbranch_scc0 .LBB596_75
; %bb.19:
	s_add_i32 s26, s26, s30
	s_ashr_i32 s2, s26, 31
	s_cmpk_lg_i32 s15, 0x80
	s_cselect_b64 s[22:23], -1, 0
	s_and_b64 vcc, exec, s[22:23]
	s_cbranch_vccz .LBB596_21
; %bb.20:
	s_mul_i32 s1, s26, s14
	s_ashr_i32 s3, s51, 31
	s_mul_hi_i32 s0, s26, s14
	s_add_u32 s24, s1, s51
	s_addc_u32 s25, s0, s3
	s_cbranch_execz .LBB596_22
	s_branch .LBB596_23
.LBB596_21:
                                        ; implicit-def: $sgpr24_sgpr25
.LBB596_22:
	s_mul_i32 s1, s51, s12
	s_mul_hi_i32 s0, s51, s12
	s_add_u32 s24, s1, s26
	s_addc_u32 s25, s0, s2
.LBB596_23:
	s_waitcnt lgkmcnt(0)
	s_add_i32 s3, s48, s54
	s_add_u32 s0, s53, s26
	s_addc_u32 s1, s52, s2
	s_mov_b32 s2, 0x7060302
	v_lshlrev_b32_e32 v6, 3, v62
	s_lshl_b64 s[20:21], s[0:1], 8
	v_perm_b32 v3, v55, v54, s2
	v_perm_b32 v2, v51, v50, s2
	;; [unrolled: 1-line block ×4, first 2 shown]
	v_lshlrev_b32_e32 v34, 2, v62
	v_lshl_or_b32 v6, v65, 5, v6
	s_add_u32 s0, s6, s20
	ds_write2st64_b64 v6, v[2:3], v[4:5] offset0:72 offset1:76
	v_xor_b32_e32 v6, v65, v34
	v_lshlrev_b32_e32 v7, 8, v62
	s_addc_u32 s1, s7, s21
	v_lshl_or_b32 v6, v6, 1, v7
	s_mul_hi_i32 s6, s3, s13
	s_mul_i32 s3, s3, s13
	ds_write_b64 v6, v[2:3] offset:32768
	v_xor_b32_e32 v2, v66, v34
	s_add_u32 s2, s3, s47
	v_lshl_or_b32 v2, v2, 1, v7
	s_addc_u32 s3, s6, s49
	v_lshlrev_b32_e32 v3, 1, v62
	ds_write_b64 v2, v[4:5] offset:32768
	v_lshrrev_b32_e32 v2, 4, v0
	s_ashr_i32 s39, s38, 31
	s_lshl_b64 s[2:3], s[2:3], 15
	v_or_b32_e32 v4, 1, v3
	s_add_u32 s6, s18, s2
	v_xor_b32_e32 v3, v2, v3
	v_xor_b32_e32 v4, v4, v2
	v_lshlrev_b32_e32 v6, 8, v2
	s_addc_u32 s7, s19, s3
	s_lshl_b64 s[2:3], s[38:39], 8
	v_lshl_or_b32 v2, v3, 3, v6
	v_lshl_or_b32 v4, v4, 3, v6
	s_waitcnt lgkmcnt(0)
	s_barrier
	s_add_u32 s2, s6, s2
	ds_read_b64 v[2:3], v2 offset:32768
	ds_read_b64 v[4:5], v4 offset:32768
	s_addc_u32 s3, s7, s3
	v_mov_b32_e32 v7, 0
	s_cmp_lg_u32 s27, 64
	v_lshl_add_u64 v[8:9], s[2:3], 0, v[6:7]
	v_lshlrev_b32_e32 v6, 4, v62
	s_cselect_b64 s[6:7], -1, 0
	v_lshl_or_b32 v35, v60, 3, v64
	s_mov_b32 s16, 0
	v_lshl_add_u64 v[6:7], v[8:9], 0, v[6:7]
	v_or_b32_e32 v19, 32, v35
	v_and_b32_e32 v18, 56, v63
	s_and_b64 vcc, exec, s[6:7]
	s_waitcnt lgkmcnt(0)
	global_store_dwordx4 v[6:7], v[2:5], off
	s_cbranch_vccz .LBB596_29
; %bb.24:
	s_mov_b32 s17, s16
	s_mov_b32 s18, s16
	;; [unrolled: 1-line block ×3, first 2 shown]
	v_mov_b64_e32 v[6:7], s[16:17]
	v_mov_b64_e32 v[8:9], s[18:19]
	;; [unrolled: 1-line block ×3, first 2 shown]
	v_cmp_gt_i32_e32 vcc, s27, v35
	v_mov_b64_e32 v[4:5], v[8:9]
	s_and_saveexec_b64 s[2:3], vcc
	s_cbranch_execz .LBB596_26
; %bb.25:
	v_lshlrev_b32_e32 v2, 8, v35
	v_mov_b32_e32 v3, 0
	v_lshl_add_u64 v[4:5], s[0:1], 0, v[2:3]
	v_lshlrev_b32_e32 v2, 1, v18
	v_lshl_add_u64 v[10:11], v[4:5], 0, v[2:3]
	global_load_dwordx4 v[6:9], v[10:11], off
	global_load_dwordx4 v[2:5], v[10:11], off offset:128
.LBB596_26:
	s_or_b64 exec, exec, s[2:3]
	s_mov_b32 s17, s16
	s_mov_b32 s18, s16
	;; [unrolled: 1-line block ×3, first 2 shown]
	v_mov_b64_e32 v[14:15], s[16:17]
	v_mov_b64_e32 v[16:17], s[18:19]
	;; [unrolled: 1-line block ×3, first 2 shown]
	v_cmp_gt_i32_e32 vcc, s27, v19
	v_lshlrev_b32_e32 v20, 7, v19
	v_mov_b64_e32 v[12:13], v[16:17]
	s_and_saveexec_b64 s[2:3], vcc
	s_cbranch_execz .LBB596_28
; %bb.27:
	v_lshlrev_b32_e32 v10, 1, v20
	v_mov_b32_e32 v11, 0
	v_lshl_add_u64 v[12:13], s[0:1], 0, v[10:11]
	v_lshlrev_b32_e32 v10, 1, v18
	v_lshl_add_u64 v[22:23], v[12:13], 0, v[10:11]
	global_load_dwordx4 v[14:17], v[22:23], off
	global_load_dwordx4 v[10:13], v[22:23], off offset:128
.LBB596_28:
	s_or_b64 exec, exec, s[2:3]
	v_lshrrev_b32_e32 v21, 3, v18
	v_lshlrev_b32_e32 v22, 3, v35
	v_or_b32_e32 v21, v22, v21
	v_lshlrev_b32_e32 v21, 4, v21
	v_and_b32_e32 v22, 0x78, v22
	v_xor_b32_e32 v21, v21, v22
	s_branch .LBB596_31
.LBB596_29:
                                        ; implicit-def: $vgpr21
                                        ; implicit-def: $vgpr20
                                        ; implicit-def: $vgpr6_vgpr7_vgpr8_vgpr9
                                        ; implicit-def: $vgpr2_vgpr3_vgpr4_vgpr5
                                        ; implicit-def: $vgpr14_vgpr15_vgpr16_vgpr17
                                        ; implicit-def: $vgpr10_vgpr11_vgpr12_vgpr13
	s_cbranch_execz .LBB596_31
; %bb.30:
	s_waitcnt vmcnt(0)
	v_lshlrev_b32_e32 v2, 1, v18
	v_lshl_or_b32 v20, v35, 8, v2
	s_and_b32 s1, s1, 0xffff
	s_mov_b32 s3, 0x20000
	s_movk_i32 s2, 0x4000
	v_lshl_or_b32 v21, v19, 8, v2
	s_movk_i32 s12, 0x80
	buffer_load_dwordx4 v[6:9], v20, s[0:3], 0 offen
	buffer_load_dwordx4 v[2:5], v20, s[0:3], s12 offen
	;; [unrolled: 1-line block ×4, first 2 shown]
	v_lshrrev_b32_e32 v20, 3, v18
	v_lshlrev_b32_e32 v21, 3, v35
	v_or_b32_e32 v20, v21, v20
	v_lshlrev_b32_e32 v20, 4, v20
	v_and_b32_e32 v21, 0x78, v21
	v_xor_b32_e32 v21, v20, v21
	v_lshlrev_b32_e32 v20, 7, v19
.LBB596_31:
	s_lshl_b64 s[0:1], s[24:25], 8
	s_add_u32 s4, s4, s0
	s_movk_i32 s0, 0x1000
	v_and_or_b32 v19, v20, s0, v21
	s_waitcnt vmcnt(1)
	ds_write_b64 v21, v[6:7] offset:16384
	v_xor_b32_e32 v6, 8, v21
	ds_write_b64 v6, v[8:9] offset:16384
	s_waitcnt vmcnt(0)
	ds_write_b64 v21, v[2:3] offset:24576
	ds_write_b64 v6, v[4:5] offset:24576
	;; [unrolled: 1-line block ×3, first 2 shown]
	v_xor_b32_e32 v2, 8, v19
	ds_write_b64 v2, v[16:17] offset:16384
	ds_write_b64 v19, v[10:11] offset:24576
	;; [unrolled: 1-line block ×3, first 2 shown]
	v_or_b32_e32 v2, v1, v62
	v_lshlrev_b32_e32 v2, 3, v2
	v_lshrrev_b32_e32 v4, 5, v45
	s_movk_i32 s12, 0xf8
	v_and_or_b32 v4, v2, s12, v4
	v_lshlrev_b32_e32 v3, 11, v60
	v_lshlrev_b32_e32 v12, 4, v4
	v_and_b32_e32 v13, 0x78, v2
	v_and_b32_e32 v14, 0x1000, v3
	v_lshlrev_b32_e32 v3, 2, v0
	v_xor_b32_e32 v2, v12, v13
	v_lshrrev_b32_e32 v4, 1, v45
	v_and_b32_e32 v3, 60, v3
	v_or_b32_e32 v2, v2, v14
	v_and_b32_e32 v15, 8, v4
	v_xor_b32_e32 v26, v2, v15
	v_lshl_or_b32 v2, v61, 6, v3
	v_lshlrev_b32_e32 v19, 1, v2
	v_or_b32_e32 v2, 32, v12
	v_xor_b32_e32 v2, v2, v13
	s_waitcnt lgkmcnt(0)
	s_barrier
	ds_read_b64 v[10:11], v26 offset:16384
	v_or_b32_e32 v2, v2, v14
	v_xor_b32_e32 v27, v2, v15
	v_or_b32_e32 v2, 64, v12
	v_xor_b32_e32 v2, v2, v13
	v_or_b32_e32 v2, v2, v14
	v_or_b32_e32 v12, 0x60, v12
	v_xor_b32_e32 v28, v2, v15
	ds_read2st64_b64 v[2:5], v19 offset0:72 offset1:73
	ds_read2st64_b64 v[6:9], v19 offset0:74 offset1:75
	v_xor_b32_e32 v16, v12, v13
	ds_read_b64 v[12:13], v27 offset:16384
	s_addc_u32 s5, s5, s1
	s_add_i32 s1, s42, s33
	s_waitcnt lgkmcnt(2)
	v_mfma_f32_16x16x16_bf16 a[0:3], v[10:11], v[2:3], 0
	s_add_i32 s0, s31, -1
	s_add_i32 s37, s1, s43
	s_add_i32 s1, s45, s44
	;; [unrolled: 1-line block ×3, first 2 shown]
	s_ashr_i32 s1, s0, 31
	s_mul_i32 s2, s0, s29
	s_mul_hi_u32 s3, s0, s28
	s_add_i32 s2, s3, s2
	s_mul_i32 s1, s1, s28
	v_or_b32_e32 v14, v16, v14
	s_add_i32 s1, s2, s1
	s_lshl_b64 s[2:3], s[36:37], 2
	v_xor_b32_e32 v36, v14, v15
	ds_read_b64 v[14:15], v28 offset:16384
	ds_read_b64 v[16:17], v36 offset:16384
	s_waitcnt lgkmcnt(2)
	v_mfma_f32_16x16x16_bf16 a[0:3], v[12:13], v[4:5], a[0:3]
	s_add_u32 s10, s10, s2
	s_addc_u32 s11, s11, s3
	s_lshl_b64 s[2:3], s[34:35], 2
	s_mul_i32 s0, s0, s28
	s_add_u32 s10, s10, s2
	s_addc_u32 s11, s11, s3
	s_lshl_b64 s[0:1], s[0:1], 2
	s_waitcnt lgkmcnt(1)
	v_mfma_f32_16x16x16_bf16 a[0:3], v[14:15], v[6:7], a[0:3]
	s_add_u32 s0, s10, s0
	s_addc_u32 s1, s11, s1
	s_load_dword s12, s[0:1], 0x0
	s_waitcnt lgkmcnt(0)
	v_mfma_f32_16x16x16_bf16 a[0:3], v[16:17], v[8:9], a[0:3]
	s_and_b64 vcc, exec, s[22:23]
	s_cbranch_vccz .LBB596_42
; %bb.32:
	v_lshlrev_b32_e32 v20, 1, v35
	s_and_b64 vcc, exec, s[6:7]
	s_cbranch_vccz .LBB596_43
; %bb.33:
	v_cmp_gt_i32_e32 vcc, s27, v20
	v_mov_b32_e32 v6, 0
	v_mov_b32_e32 v2, 0
	;; [unrolled: 1-line block ×5, first 2 shown]
	s_and_saveexec_b64 s[0:1], vcc
	s_cbranch_execz .LBB596_35
; %bb.34:
	v_mad_i64_i32 v[2:3], s[2:3], s15, v20, 0
	v_lshl_add_u64 v[2:3], v[2:3], 1, s[4:5]
	v_lshlrev_b32_e32 v4, 1, v18
	v_mov_b32_e32 v5, 0
	v_lshl_add_u64 v[2:3], v[2:3], 0, v[4:5]
	global_load_dwordx4 v[2:5], v[2:3], off
.LBB596_35:
	s_or_b64 exec, exec, s[0:1]
	v_or_b32_e32 v21, 1, v20
	v_cmp_gt_i32_e64 s[0:1], s27, v21
	v_mov_b32_e32 v7, 0
	v_mov_b32_e32 v8, 0
	;; [unrolled: 1-line block ×3, first 2 shown]
	s_and_saveexec_b64 s[2:3], s[0:1]
	s_cbranch_execz .LBB596_37
; %bb.36:
	v_mad_i64_i32 v[6:7], s[16:17], s15, v21, 0
	v_lshl_add_u64 v[6:7], v[6:7], 1, s[4:5]
	v_lshlrev_b32_e32 v8, 1, v18
	v_mov_b32_e32 v9, 0
	v_lshl_add_u64 v[6:7], v[6:7], 0, v[8:9]
	global_load_dwordx4 v[6:9], v[6:7], off
.LBB596_37:
	s_or_b64 exec, exec, s[2:3]
	v_mov_b32_e32 v17, 0
	v_mov_b32_e32 v10, 0
	;; [unrolled: 1-line block ×5, first 2 shown]
	s_and_saveexec_b64 s[2:3], vcc
	s_cbranch_execz .LBB596_39
; %bb.38:
	v_mad_i64_i32 v[10:11], s[16:17], s15, v20, 0
	v_lshl_add_u64 v[10:11], v[10:11], 1, s[4:5]
	v_lshlrev_b32_e32 v12, 1, v18
	v_mov_b32_e32 v13, 0
	v_lshl_add_u64 v[10:11], v[10:11], 0, v[12:13]
	global_load_dwordx4 v[10:13], v[10:11], off offset:128
.LBB596_39:
	s_or_b64 exec, exec, s[2:3]
	v_mov_b32_e32 v16, 0
	v_mov_b32_e32 v15, 0
	;; [unrolled: 1-line block ×3, first 2 shown]
	s_and_saveexec_b64 s[2:3], s[0:1]
	s_cbranch_execz .LBB596_41
; %bb.40:
	v_mad_i64_i32 v[14:15], s[0:1], s15, v21, 0
	v_lshl_add_u64 v[14:15], v[14:15], 1, s[4:5]
	v_lshlrev_b32_e32 v16, 1, v18
	v_mov_b32_e32 v17, 0
	v_lshl_add_u64 v[14:15], v[14:15], 0, v[16:17]
	global_load_dwordx4 v[14:17], v[14:15], off offset:128
.LBB596_41:
	s_or_b64 exec, exec, s[2:3]
	s_branch .LBB596_45
.LBB596_42:
                                        ; implicit-def: $vgpr5
                                        ; implicit-def: $vgpr9
                                        ; implicit-def: $vgpr13
                                        ; implicit-def: $vgpr17
	v_lshrrev_b32_e32 v37, 2, v45
	s_branch .LBB596_46
.LBB596_43:
                                        ; implicit-def: $vgpr5
                                        ; implicit-def: $vgpr9
                                        ; implicit-def: $vgpr13
                                        ; implicit-def: $vgpr17
	s_cbranch_execz .LBB596_45
; %bb.44:
	s_waitcnt vmcnt(0)
	v_mad_u64_u32 v[2:3], s[0:1], v20, s15, v[18:19]
	v_lshlrev_b32_e32 v20, 1, v2
	s_lshl_b32 s2, s15, 7
	s_and_b32 s1, s5, 0xffff
	s_mov_b32 s3, 0x20000
	s_mov_b32 s0, s4
	v_add_lshl_u32 v21, v2, s15, 1
	s_movk_i32 s13, 0x80
	buffer_load_dwordx4 v[2:5], v20, s[0:3], 0 offen
	buffer_load_dwordx4 v[10:13], v20, s[0:3], s13 offen
	;; [unrolled: 1-line block ×4, first 2 shown]
.LBB596_45:
	v_lshrrev_b32_e32 v37, 2, v45
	s_cbranch_execnz .LBB596_58
.LBB596_46:
	s_and_b64 vcc, exec, s[6:7]
	s_cbranch_vccz .LBB596_56
; %bb.47:
	s_waitcnt vmcnt(0)
	v_lshlrev_b32_e32 v7, 1, v35
	v_cmp_gt_i32_e32 vcc, s27, v7
	v_mov_b32_e32 v6, 0
	v_lshlrev_b32_e32 v14, 9, v35
	v_mov_b32_e32 v2, 0
	v_mov_b32_e32 v3, 0
	;; [unrolled: 1-line block ×4, first 2 shown]
	s_and_saveexec_b64 s[0:1], vcc
	s_cbranch_execz .LBB596_49
; %bb.48:
	v_mov_b32_e32 v15, 0
	v_lshl_add_u64 v[2:3], s[4:5], 0, v[14:15]
	v_lshlrev_b32_e32 v4, 1, v18
	v_mov_b32_e32 v5, v15
	v_lshl_add_u64 v[2:3], v[2:3], 0, v[4:5]
	global_load_dwordx4 v[2:5], v[2:3], off
.LBB596_49:
	s_or_b64 exec, exec, s[0:1]
	v_or_b32_e32 v7, 1, v7
	v_cmp_gt_i32_e64 s[0:1], s27, v7
	v_lshlrev_b32_e32 v20, 8, v7
	v_mov_b32_e32 v7, 0
	v_mov_b32_e32 v8, 0
	;; [unrolled: 1-line block ×3, first 2 shown]
	s_and_saveexec_b64 s[2:3], s[0:1]
	s_cbranch_execz .LBB596_51
; %bb.50:
	v_mov_b32_e32 v21, 0
	v_lshl_add_u64 v[6:7], s[4:5], 0, v[20:21]
	v_lshlrev_b32_e32 v8, 1, v18
	v_mov_b32_e32 v9, v21
	v_lshl_add_u64 v[6:7], v[6:7], 0, v[8:9]
	global_load_dwordx4 v[6:9], v[6:7], off
.LBB596_51:
	s_or_b64 exec, exec, s[2:3]
	v_mov_b32_e32 v17, 0
	v_mov_b32_e32 v10, 0
	;; [unrolled: 1-line block ×5, first 2 shown]
	s_and_saveexec_b64 s[2:3], vcc
	s_cbranch_execz .LBB596_53
; %bb.52:
	v_mov_b32_e32 v15, 0
	v_lshl_add_u64 v[10:11], s[4:5], 0, v[14:15]
	v_lshlrev_b32_e32 v14, 1, v18
	v_lshl_add_u64 v[10:11], v[10:11], 0, v[14:15]
	global_load_dwordx4 v[10:13], v[10:11], off offset:128
.LBB596_53:
	s_or_b64 exec, exec, s[2:3]
	v_mov_b32_e32 v16, 0
	v_mov_b32_e32 v15, 0
	;; [unrolled: 1-line block ×3, first 2 shown]
	s_and_saveexec_b64 s[2:3], s[0:1]
	s_cbranch_execz .LBB596_55
; %bb.54:
	v_mov_b32_e32 v21, 0
	v_lshl_add_u64 v[14:15], s[4:5], 0, v[20:21]
	v_lshlrev_b32_e32 v20, 1, v18
	v_lshl_add_u64 v[14:15], v[14:15], 0, v[20:21]
	global_load_dwordx4 v[14:17], v[14:15], off offset:128
.LBB596_55:
	s_or_b64 exec, exec, s[2:3]
	s_branch .LBB596_58
.LBB596_56:
                                        ; implicit-def: $vgpr5
                                        ; implicit-def: $vgpr9
                                        ; implicit-def: $vgpr13
                                        ; implicit-def: $vgpr17
	s_cbranch_execz .LBB596_58
; %bb.57:
	s_waitcnt vmcnt(0)
	v_lshlrev_b32_e32 v2, 1, v18
	v_lshl_or_b32 v18, v35, 9, v2
	s_and_b32 s5, s5, 0xffff
	s_mov_b32 s7, 0x20000
	s_movk_i32 s6, 0x4000
	s_movk_i32 s0, 0x80
	buffer_load_dwordx4 v[2:5], v18, s[4:7], 0 offen
	buffer_load_dwordx4 v[6:9], v18, s[4:7], 0 offen offset:256
	buffer_load_dwordx4 v[10:13], v18, s[4:7], s0 offen
	buffer_load_dwordx4 v[14:17], v18, s[4:7], s0 offen offset:256
.LBB596_58:
	ds_read2st64_b64 v[22:25], v19 offset0:76 offset1:77
	ds_read2st64_b64 v[18:21], v19 offset0:78 offset1:79
	ds_read_b64 v[30:31], v26 offset:24576
	ds_read_b64 v[32:33], v27 offset:24576
	;; [unrolled: 1-line block ×4, first 2 shown]
	v_and_b32_e32 v36, 6, v0
	v_xor_b32_e32 v35, v35, v36
	v_lshlrev_b32_e32 v35, 2, v35
	v_and_b32_e32 v0, 1, v0
	v_xor_b32_e32 v38, 0x440, v35
	v_cmp_eq_u32_e32 vcc, 0, v0
	s_mov_b32 s0, 0x1000504
	s_mov_b32 s1, 0x3020706
	v_cndmask_b32_e32 v0, v38, v35, vcc
	v_lshl_or_b32 v0, v36, 10, v0
	s_waitcnt vmcnt(0)
	v_perm_b32 v35, v2, v6, s0
	v_perm_b32 v36, v10, v14, s0
	ds_write2st64_b32 v0, v35, v36 offset1:32
	v_xor_b32_e32 v35, 8, v0
	v_perm_b32 v2, v2, v6, s1
	v_perm_b32 v6, v10, v14, s1
	v_add_u32_e32 v10, 0x80, v35
	ds_write2st64_b32 v10, v2, v6 offset1:32
	v_xor_b32_e32 v2, 16, v0
	v_perm_b32 v6, v3, v7, s0
	v_perm_b32 v10, v11, v15, s0
	ds_write2st64_b32 v2, v6, v10 offset0:1 offset1:33
	v_xor_b32_e32 v2, 24, v0
	v_perm_b32 v3, v3, v7, s1
	v_perm_b32 v6, v11, v15, s1
	v_add_u32_e32 v2, 0x80, v2
	ds_write2st64_b32 v2, v3, v6 offset0:1 offset1:33
	v_xor_b32_e32 v2, 32, v0
	v_perm_b32 v3, v4, v8, s0
	v_perm_b32 v6, v12, v16, s0
	ds_write2st64_b32 v2, v3, v6 offset0:2 offset1:34
	v_xor_b32_e32 v2, 40, v0
	v_perm_b32 v3, v4, v8, s1
	v_perm_b32 v4, v12, v16, s1
	v_add_u32_e32 v2, 0x80, v2
	ds_write2st64_b32 v2, v3, v4 offset0:2 offset1:34
	v_xor_b32_e32 v2, 48, v0
	v_perm_b32 v3, v5, v9, s0
	v_perm_b32 v4, v13, v17, s0
	v_xor_b32_e32 v0, 56, v0
	v_and_or_b32 v6, v37, 12, v1
	ds_write2st64_b32 v2, v3, v4 offset0:3 offset1:35
	v_perm_b32 v2, v5, v9, s1
	v_perm_b32 v3, v13, v17, s1
	v_add_u32_e32 v0, 0x80, v0
	v_cmp_gt_i32_e32 vcc, s27, v6
	v_mov_b32_e32 v7, 0
	v_mov_b32_e32 v11, 0
	ds_write2st64_b32 v0, v2, v3 offset0:3 offset1:35
	s_and_saveexec_b64 s[0:1], vcc
	s_cbranch_execz .LBB596_60
; %bb.59:
	v_add_u32_e32 v0, s26, v6
	v_ashrrev_i32_e32 v1, 31, v0
	v_mul_lo_u32 v2, v1, s28
	v_mul_lo_u32 v3, v0, s29
	v_mad_u64_u32 v[0:1], s[2:3], v0, s28, 0
	v_add3_u32 v1, v1, v3, v2
	v_lshl_add_u64 v[0:1], v[0:1], 2, s[10:11]
	global_load_dword v0, v[0:1], off
	s_waitcnt vmcnt(0)
	v_sub_f32_e32 v0, s12, v0
	v_mul_f32_e32 v0, 0x3fb8aa3b, v0
	v_exp_f32_e32 v11, v0
.LBB596_60:
	s_or_b64 exec, exec, s[0:1]
	v_or_b32_e32 v9, 1, v6
	v_cmp_gt_i32_e64 s[0:1], s27, v9
	s_and_saveexec_b64 s[2:3], s[0:1]
	s_cbranch_execz .LBB596_62
; %bb.61:
	v_add_u32_e32 v0, s26, v9
	v_ashrrev_i32_e32 v1, 31, v0
	v_mul_lo_u32 v2, v1, s28
	v_mul_lo_u32 v3, v0, s29
	v_mad_u64_u32 v[0:1], s[4:5], v0, s28, 0
	v_add3_u32 v1, v1, v3, v2
	v_lshl_add_u64 v[0:1], v[0:1], 2, s[10:11]
	global_load_dword v0, v[0:1], off
	s_waitcnt vmcnt(0)
	v_sub_f32_e32 v0, s12, v0
	v_mul_f32_e32 v0, 0x3fb8aa3b, v0
	v_exp_f32_e32 v7, v0
.LBB596_62:
	s_or_b64 exec, exec, s[2:3]
	v_or_b32_e32 v10, 2, v6
	v_cmp_gt_i32_e64 s[2:3], s27, v10
	v_mov_b32_e32 v8, 0
	v_mov_b32_e32 v13, 0
	s_and_saveexec_b64 s[4:5], s[2:3]
	s_cbranch_execz .LBB596_64
; %bb.63:
	v_add_u32_e32 v0, s26, v10
	v_ashrrev_i32_e32 v1, 31, v0
	v_mul_lo_u32 v2, v1, s28
	v_mul_lo_u32 v3, v0, s29
	v_mad_u64_u32 v[0:1], s[6:7], v0, s28, 0
	v_add3_u32 v1, v1, v3, v2
	v_lshl_add_u64 v[0:1], v[0:1], 2, s[10:11]
	global_load_dword v0, v[0:1], off
	s_waitcnt vmcnt(0)
	v_sub_f32_e32 v0, s12, v0
	v_mul_f32_e32 v0, 0x3fb8aa3b, v0
	v_exp_f32_e32 v13, v0
.LBB596_64:
	s_or_b64 exec, exec, s[4:5]
	v_or_b32_e32 v12, 3, v6
	v_cmp_gt_i32_e64 s[4:5], s27, v12
	s_and_saveexec_b64 s[6:7], s[4:5]
	s_cbranch_execz .LBB596_66
; %bb.65:
	v_add_u32_e32 v0, s26, v12
	v_ashrrev_i32_e32 v1, 31, v0
	v_mul_lo_u32 v2, v1, s28
	v_mul_lo_u32 v3, v0, s29
	v_mad_u64_u32 v[0:1], s[14:15], v0, s28, 0
	v_add3_u32 v1, v1, v3, v2
	v_lshl_add_u64 v[0:1], v[0:1], 2, s[10:11]
	global_load_dword v0, v[0:1], off
	s_waitcnt vmcnt(0)
	v_sub_f32_e32 v0, s12, v0
	v_mul_f32_e32 v0, 0x3fb8aa3b, v0
	v_exp_f32_e32 v8, v0
.LBB596_66:
	s_or_b64 exec, exec, s[6:7]
	s_waitcnt lgkmcnt(11)
	v_mfma_f32_16x16x16_bf16 a[0:3], v[30:31], v[22:23], a[0:3]
	s_add_u32 s6, s8, s20
	v_ashrrev_i32_e32 v47, 31, v46
	s_addc_u32 s7, s9, s21
	s_waitcnt lgkmcnt(10)
	v_mfma_f32_16x16x16_bf16 a[0:3], v[32:33], v[24:25], a[0:3]
	v_mov_b32_e32 v14, 0
	v_lshl_add_u64 v[4:5], v[46:47], 1, s[6:7]
	v_mov_b32_e32 v15, 0
	s_waitcnt lgkmcnt(9)
	v_mfma_f32_16x16x16_bf16 a[0:3], v[28:29], v[18:19], a[0:3]
	s_waitcnt lgkmcnt(8)
	v_mfma_f32_16x16x16_bf16 a[0:3], v[26:27], v[20:21], a[0:3]
	s_nop 6
	v_accvgpr_read_b32 v0, a0
	v_accvgpr_read_b32 v1, a1
	;; [unrolled: 1-line block ×4, first 2 shown]
	s_and_saveexec_b64 s[6:7], vcc
	s_cbranch_execz .LBB596_68
; %bb.67:
	v_lshlrev_b32_e32 v16, 8, v6
	v_mov_b32_e32 v17, 0
	v_lshl_add_u64 v[16:17], v[4:5], 0, v[16:17]
	global_load_ushort v15, v[16:17], off
	s_waitcnt vmcnt(0)
	v_lshlrev_b32_e32 v15, 16, v15
	v_sub_f32_e32 v0, v15, v0
	v_mul_f32_e32 v0, v11, v0
	v_lshrrev_b32_e32 v15, 16, v0
.LBB596_68:
	s_or_b64 exec, exec, s[6:7]
	s_and_saveexec_b64 s[6:7], s[0:1]
	s_cbranch_execz .LBB596_70
; %bb.69:
	v_lshlrev_b32_e32 v16, 8, v9
	v_mov_b32_e32 v17, 0
	v_lshl_add_u64 v[16:17], v[4:5], 0, v[16:17]
	global_load_ushort v0, v[16:17], off
	s_waitcnt vmcnt(0)
	v_lshlrev_b32_e32 v0, 16, v0
	v_sub_f32_e32 v0, v0, v1
	v_mul_f32_e32 v0, v7, v0
	v_lshrrev_b32_e32 v14, 16, v0
.LBB596_70:
	s_or_b64 exec, exec, s[6:7]
	v_mov_b32_e32 v0, 0
	v_mov_b32_e32 v1, 0
	s_and_saveexec_b64 s[0:1], s[2:3]
	s_cbranch_execz .LBB596_72
; %bb.71:
	v_lshlrev_b32_e32 v10, 8, v10
	v_mov_b32_e32 v11, 0
	v_lshl_add_u64 v[10:11], v[4:5], 0, v[10:11]
	global_load_ushort v1, v[10:11], off
	s_waitcnt vmcnt(0)
	v_lshlrev_b32_e32 v1, 16, v1
	v_sub_f32_e32 v1, v1, v2
	v_mul_f32_e32 v1, v13, v1
	v_lshrrev_b32_e32 v1, 16, v1
.LBB596_72:
	s_or_b64 exec, exec, s[0:1]
	s_and_saveexec_b64 s[0:1], s[4:5]
	s_cbranch_execz .LBB596_74
; %bb.73:
	v_lshlrev_b32_e32 v10, 8, v12
	v_mov_b32_e32 v11, 0
	v_lshl_add_u64 v[4:5], v[4:5], 0, v[10:11]
	global_load_ushort v0, v[4:5], off
	s_waitcnt vmcnt(0)
	v_lshlrev_b32_e32 v0, 16, v0
	v_sub_f32_e32 v0, v0, v3
	v_mul_f32_e32 v0, v8, v0
	v_lshrrev_b32_e32 v0, 16, v0
.LBB596_74:
	s_or_b64 exec, exec, s[0:1]
	s_mov_b32 s0, 0x5040100
	v_lshlrev_b32_e32 v2, 1, v34
	v_perm_b32 v1, v0, v1, s0
	v_perm_b32 v0, v14, v15, s0
	v_lshl_or_b32 v2, v6, 5, v2
	ds_write_b64 v2, v[0:1] offset:38912
	s_waitcnt lgkmcnt(0)
	s_barrier
.LBB596_75:
	s_endpgm
	.section	.rodata,"a",@progbits
	.p2align	6, 0x0
	.amdhsa_kernel _ZN12_GLOBAL__N_139chunk_gated_delta_rule_fwd_h_hip_kernelILi16ELb1ELb0ELb0ELb1ELb0ELb1ELb0ELb1EEEvPK12hip_bfloat16S3_S3_PKfS5_PKvPS1_S8_PvPKiSB_iiiiilll
		.amdhsa_group_segment_fixed_size 40960
		.amdhsa_private_segment_fixed_size 0
		.amdhsa_kernarg_size 136
		.amdhsa_user_sgpr_count 2
		.amdhsa_user_sgpr_dispatch_ptr 0
		.amdhsa_user_sgpr_queue_ptr 0
		.amdhsa_user_sgpr_kernarg_segment_ptr 1
		.amdhsa_user_sgpr_dispatch_id 0
		.amdhsa_user_sgpr_kernarg_preload_length 0
		.amdhsa_user_sgpr_kernarg_preload_offset 0
		.amdhsa_user_sgpr_private_segment_size 0
		.amdhsa_uses_dynamic_stack 0
		.amdhsa_enable_private_segment 0
		.amdhsa_system_sgpr_workgroup_id_x 1
		.amdhsa_system_sgpr_workgroup_id_y 1
		.amdhsa_system_sgpr_workgroup_id_z 0
		.amdhsa_system_sgpr_workgroup_info 0
		.amdhsa_system_vgpr_workitem_id 0
		.amdhsa_next_free_vgpr 128
		.amdhsa_next_free_sgpr 61
		.amdhsa_accum_offset 116
		.amdhsa_reserve_vcc 1
		.amdhsa_float_round_mode_32 0
		.amdhsa_float_round_mode_16_64 0
		.amdhsa_float_denorm_mode_32 3
		.amdhsa_float_denorm_mode_16_64 3
		.amdhsa_dx10_clamp 1
		.amdhsa_ieee_mode 1
		.amdhsa_fp16_overflow 0
		.amdhsa_tg_split 0
		.amdhsa_exception_fp_ieee_invalid_op 0
		.amdhsa_exception_fp_denorm_src 0
		.amdhsa_exception_fp_ieee_div_zero 0
		.amdhsa_exception_fp_ieee_overflow 0
		.amdhsa_exception_fp_ieee_underflow 0
		.amdhsa_exception_fp_ieee_inexact 0
		.amdhsa_exception_int_div_zero 0
	.end_amdhsa_kernel
	.section	.text._ZN12_GLOBAL__N_139chunk_gated_delta_rule_fwd_h_hip_kernelILi16ELb1ELb0ELb0ELb1ELb0ELb1ELb0ELb1EEEvPK12hip_bfloat16S3_S3_PKfS5_PKvPS1_S8_PvPKiSB_iiiiilll,"axG",@progbits,_ZN12_GLOBAL__N_139chunk_gated_delta_rule_fwd_h_hip_kernelILi16ELb1ELb0ELb0ELb1ELb0ELb1ELb0ELb1EEEvPK12hip_bfloat16S3_S3_PKfS5_PKvPS1_S8_PvPKiSB_iiiiilll,comdat
.Lfunc_end596:
	.size	_ZN12_GLOBAL__N_139chunk_gated_delta_rule_fwd_h_hip_kernelILi16ELb1ELb0ELb0ELb1ELb0ELb1ELb0ELb1EEEvPK12hip_bfloat16S3_S3_PKfS5_PKvPS1_S8_PvPKiSB_iiiiilll, .Lfunc_end596-_ZN12_GLOBAL__N_139chunk_gated_delta_rule_fwd_h_hip_kernelILi16ELb1ELb0ELb0ELb1ELb0ELb1ELb0ELb1EEEvPK12hip_bfloat16S3_S3_PKfS5_PKvPS1_S8_PvPKiSB_iiiiilll
                                        ; -- End function
	.section	.AMDGPU.csdata,"",@progbits
; Kernel info:
; codeLenInByte = 7348
; NumSgprs: 67
; NumVgprs: 114
; NumAgprs: 12
; TotalNumVgprs: 128
; ScratchSize: 0
; MemoryBound: 0
; FloatMode: 240
; IeeeMode: 1
; LDSByteSize: 40960 bytes/workgroup (compile time only)
; SGPRBlocks: 8
; VGPRBlocks: 15
; NumSGPRsForWavesPerEU: 67
; NumVGPRsForWavesPerEU: 128
; AccumOffset: 116
; Occupancy: 1
; WaveLimiterHint : 1
; COMPUTE_PGM_RSRC2:SCRATCH_EN: 0
; COMPUTE_PGM_RSRC2:USER_SGPR: 2
; COMPUTE_PGM_RSRC2:TRAP_HANDLER: 0
; COMPUTE_PGM_RSRC2:TGID_X_EN: 1
; COMPUTE_PGM_RSRC2:TGID_Y_EN: 1
; COMPUTE_PGM_RSRC2:TGID_Z_EN: 0
; COMPUTE_PGM_RSRC2:TIDIG_COMP_CNT: 0
; COMPUTE_PGM_RSRC3_GFX90A:ACCUM_OFFSET: 28
; COMPUTE_PGM_RSRC3_GFX90A:TG_SPLIT: 0
	.section	.text._ZN12_GLOBAL__N_139chunk_gated_delta_rule_fwd_h_hip_kernelILi16ELb0ELb1ELb1ELb1ELb0ELb1ELb0ELb1EEEvPK12hip_bfloat16S3_S3_PKfS5_PKvPS1_S8_PvPKiSB_iiiiilll,"axG",@progbits,_ZN12_GLOBAL__N_139chunk_gated_delta_rule_fwd_h_hip_kernelILi16ELb0ELb1ELb1ELb1ELb0ELb1ELb0ELb1EEEvPK12hip_bfloat16S3_S3_PKfS5_PKvPS1_S8_PvPKiSB_iiiiilll,comdat
	.globl	_ZN12_GLOBAL__N_139chunk_gated_delta_rule_fwd_h_hip_kernelILi16ELb0ELb1ELb1ELb1ELb0ELb1ELb0ELb1EEEvPK12hip_bfloat16S3_S3_PKfS5_PKvPS1_S8_PvPKiSB_iiiiilll ; -- Begin function _ZN12_GLOBAL__N_139chunk_gated_delta_rule_fwd_h_hip_kernelILi16ELb0ELb1ELb1ELb1ELb0ELb1ELb0ELb1EEEvPK12hip_bfloat16S3_S3_PKfS5_PKvPS1_S8_PvPKiSB_iiiiilll
	.p2align	8
	.type	_ZN12_GLOBAL__N_139chunk_gated_delta_rule_fwd_h_hip_kernelILi16ELb0ELb1ELb1ELb1ELb0ELb1ELb0ELb1EEEvPK12hip_bfloat16S3_S3_PKfS5_PKvPS1_S8_PvPKiSB_iiiiilll,@function
_ZN12_GLOBAL__N_139chunk_gated_delta_rule_fwd_h_hip_kernelILi16ELb0ELb1ELb1ELb1ELb0ELb1ELb0ELb1EEEvPK12hip_bfloat16S3_S3_PKfS5_PKvPS1_S8_PvPKiSB_iiiiilll: ; @_ZN12_GLOBAL__N_139chunk_gated_delta_rule_fwd_h_hip_kernelILi16ELb0ELb1ELb1ELb1ELb0ELb1ELb0ELb1EEEvPK12hip_bfloat16S3_S3_PKfS5_PKvPS1_S8_PvPKiSB_iiiiilll
; %bb.0:
	s_load_dwordx4 s[20:23], s[0:1], 0x5c
	s_load_dwordx2 s[40:41], s[0:1], 0x20
	s_abs_i32 s27, s3
	s_ashr_i32 s26, s3, 31
	s_load_dwordx2 s[24:25], s[0:1], 0x50
	s_load_dwordx8 s[4:11], s[0:1], 0x30
	s_load_dwordx8 s[12:19], s[0:1], 0x0
	s_waitcnt lgkmcnt(0)
	s_abs_i32 s30, s21
	v_cvt_f32_u32_e32 v1, s30
	s_sub_i32 s28, 0, s30
	s_ashr_i32 s33, s21, 31
	s_xor_b32 s26, s26, s33
	v_rcp_iflag_f32_e32 v1, v1
	v_lshrrev_b32_e32 v45, 6, v0
	v_bfe_u32 v62, v0, 4, 2
	v_lshlrev_b32_e32 v60, 4, v45
	v_mul_f32_e32 v1, 0x4f7ffffe, v1
	v_cvt_u32_f32_e32 v1, v1
	v_lshlrev_b32_e32 v2, 2, v62
	v_and_b32_e32 v61, 63, v0
	v_mov_b32_e32 v49, 0
	v_readfirstlane_b32 s29, v1
	s_mul_i32 s28, s28, s29
	s_mul_hi_u32 s28, s29, s28
	s_add_i32 s29, s29, s28
	s_mul_hi_u32 s28, s27, s29
	s_mul_i32 s29, s28, s30
	s_sub_i32 s27, s27, s29
	s_add_i32 s31, s28, 1
	s_sub_i32 s29, s27, s30
	s_cmp_ge_u32 s27, s30
	s_cselect_b32 s28, s31, s28
	s_cselect_b32 s27, s29, s27
	s_add_i32 s29, s28, 1
	s_cmp_ge_u32 s27, s30
	s_cselect_b32 s27, s29, s28
	s_xor_b32 s27, s27, s26
	s_sub_i32 s34, s27, s26
	s_mul_i32 s26, s34, s21
	s_ashr_i32 s35, s34, 31
	s_sub_i32 s48, s3, s26
	s_lshl_b64 s[26:27], s[34:35], 2
	s_add_u32 s10, s10, s26
	s_addc_u32 s11, s11, s27
	s_add_u32 s28, s24, s26
	s_addc_u32 s29, s25, s27
	s_abs_i32 s3, s22
	v_cvt_f32_u32_e32 v1, s3
	s_load_dwordx2 s[42:43], s[10:11], 0x0
	s_sub_i32 s11, 0, s3
	s_mov_b32 s49, s21
	v_rcp_iflag_f32_e32 v1, v1
	v_and_b32_e32 v63, 15, v0
	s_waitcnt lgkmcnt(0)
	s_sub_i32 s54, s43, s42
	s_ashr_i32 s10, s54, 31
	v_mul_f32_e32 v1, 0x4f7ffffe, v1
	v_cvt_u32_f32_e32 v1, v1
	s_lshr_b32 s10, s10, 26
	s_add_i32 s10, s54, s10
	s_ashr_i32 s53, s10, 6
	v_readfirstlane_b32 s24, v1
	s_mul_i32 s11, s11, s24
	s_mul_hi_u32 s11, s24, s11
	s_add_i32 s24, s24, s11
	s_mul_hi_u32 s11, s30, s24
	s_mul_i32 s24, s11, s3
	s_ashr_i32 s10, s22, 31
	s_sub_i32 s24, s30, s24
	s_xor_b32 s10, s33, s10
	s_add_i32 s25, s11, 1
	s_sub_i32 s26, s24, s3
	s_cmp_ge_u32 s24, s3
	s_cselect_b32 s11, s25, s11
	s_cselect_b32 s24, s26, s24
	s_add_i32 s25, s11, 1
	s_cmp_ge_u32 s24, s3
	s_cselect_b32 s3, s25, s11
	s_xor_b32 s3, s3, s10
	s_sub_i32 s3, s3, s10
	s_abs_i32 s30, s3
	v_cvt_f32_u32_e32 v1, s30
	s_load_dwordx2 s[10:11], s[0:1], 0x80
	s_load_dwordx4 s[24:27], s[0:1], 0x70
	s_load_dword s55, s[28:29], 0x0
	s_xor_b32 s0, s48, s3
	v_rcp_iflag_f32_e32 v1, v1
	s_sub_i32 s3, 0, s30
	s_abs_i32 s1, s48
	s_ashr_i32 s0, s0, 31
	v_mul_f32_e32 v1, 0x4f7ffffe, v1
	v_cvt_u32_f32_e32 v1, v1
	s_mul_hi_i32 s56, s48, s20
	s_mul_i32 s57, s48, s20
	v_lshrrev_b32_e32 v65, 3, v61
	v_readfirstlane_b32 s28, v1
	s_mul_i32 s3, s3, s28
	s_mul_hi_u32 s3, s28, s3
	s_add_i32 s28, s28, s3
	s_mul_hi_u32 s3, s1, s28
	s_mul_i32 s28, s3, s30
	s_sub_i32 s1, s1, s28
	s_add_i32 s28, s3, 1
	s_sub_i32 s29, s1, s30
	s_cmp_ge_u32 s1, s30
	s_cselect_b32 s3, s28, s3
	s_cselect_b32 s1, s29, s1
	s_add_i32 s28, s3, 1
	s_cmp_ge_u32 s1, s30
	s_cselect_b32 s1, s28, s3
	s_xor_b32 s1, s1, s0
	s_sub_i32 s58, s1, s0
	v_or_b32_e32 v1, v2, v60
	s_lshl_b32 s2, s2, 4
	v_or_b32_e32 v66, 64, v1
	s_cmp_lt_i32 s54, 64
	v_lshlrev_b32_e32 v64, 3, v0
	s_waitcnt lgkmcnt(0)
	s_mul_i32 s50, s34, s25
	s_mul_hi_u32 s51, s34, s24
	s_mul_i32 s52, s35, s24
	s_mul_i32 s44, s34, s24
	v_mov_b32_e32 v48, v49
	v_mov_b32_e32 v51, v49
	;; [unrolled: 1-line block ×7, first 2 shown]
	s_cbranch_scc1 .LBB597_18
; %bb.1:
	s_ashr_i32 s60, s48, 31
	s_ashr_i32 s1, s42, 31
	s_add_u32 s0, s57, s42
	s_addc_u32 s1, s56, s1
	s_lshl_b64 s[0:1], s[0:1], 8
	v_and_b32_e32 v68, 56, v64
	s_add_u32 s28, s14, s0
	v_lshl_or_b32 v67, v45, 3, v65
	v_lshlrev_b32_e32 v3, 1, v68
	s_addc_u32 s0, s15, s1
	v_lshl_or_b32 v69, v67, 8, v3
	s_and_b32 s29, s0, 0xffff
	s_mov_b32 s31, 0x20000
	s_movk_i32 s30, 0x4000
	s_movk_i32 s0, 0x80
	v_or_b32_e32 v70, 0x2000, v69
	buffer_load_dwordx4 v[4:7], v69, s[28:31], 0 offen
	buffer_load_dwordx4 v[8:11], v69, s[28:31], s0 offen
	;; [unrolled: 1-line block ×4, first 2 shown]
	v_lshlrev_b32_e32 v20, 3, v67
	v_and_or_b32 v22, v0, 7, v20
	v_and_b32_e32 v20, 0x78, v20
	v_lshlrev_b32_e32 v22, 4, v22
	v_xor_b32_e32 v71, v22, v20
	v_mul_lo_u32 v21, v67, s23
	v_or_b32_e32 v72, 0x1000, v71
	s_cmpk_eq_i32 s23, 0x80
	s_mov_b32 s59, s42
	v_xor_b32_e32 v20, 8, v71
	v_xor_b32_e32 v22, 8, v72
	s_cselect_b64 s[0:1], -1, 0
	s_cmpk_lg_i32 s23, 0x80
	s_waitcnt vmcnt(3)
	ds_write_b64 v71, v[4:5] offset:16384
	ds_write_b64 v20, v[6:7] offset:16384
	s_waitcnt vmcnt(2)
	ds_write_b64 v71, v[8:9] offset:24576
	ds_write_b64 v20, v[10:11] offset:24576
	;; [unrolled: 3-line block ×4, first 2 shown]
	v_lshl_add_u32 v4, v21, 1, v68
	s_cbranch_scc0 .LBB597_3
; %bb.2:
	v_lshlrev_b32_e32 v6, 1, v4
	v_add_lshl_u32 v5, v4, s23, 1
	s_lshl_b32 s30, s23, 7
	v_lshl_or_b32 v3, v67, 9, v3
	s_cbranch_execz .LBB597_4
	s_branch .LBB597_5
.LBB597_3:
                                        ; implicit-def: $vgpr5
                                        ; implicit-def: $vgpr6
                                        ; implicit-def: $sgpr30
	v_lshl_or_b32 v3, v67, 9, v3
.LBB597_4:
	v_or_b32_e32 v5, 0x100, v3
	s_movk_i32 s30, 0x4000
	v_mov_b32_e32 v6, v3
.LBB597_5:
	s_mul_i32 s24, s42, s22
	s_ashr_i32 s61, s58, 31
	s_mul_hi_i32 s3, s42, s22
	s_add_u32 s24, s24, s58
	s_addc_u32 s25, s3, s61
	s_lshl_b64 s[24:25], s[24:25], 8
	s_add_u32 s28, s12, s24
	s_addc_u32 s3, s13, s25
	s_and_b32 s29, s3, 0xffff
	s_movk_i32 s62, 0x80
	buffer_load_dwordx4 v[8:11], v6, s[28:31], 0 offen
	buffer_load_dwordx4 v[12:15], v6, s[28:31], s62 offen
	;; [unrolled: 1-line block ×4, first 2 shown]
	v_and_b32_e32 v5, 6, v0
	v_lshlrev_b32_e32 v7, 2, v63
	v_lshlrev_b32_e32 v24, 3, v63
	v_xor_b32_e32 v26, v67, v5
	v_and_b32_e32 v6, 1, v0
	v_lshl_or_b32 v24, v1, 5, v24
	v_xor_b32_e32 v27, v1, v7
	v_lshlrev_b32_e32 v26, 2, v26
	s_mul_i32 s3, s48, s27
	s_mul_hi_u32 s25, s48, s26
	v_or_b32_e32 v73, 0x9000, v24
	v_or_b32_e32 v74, 0x9800, v24
	v_lshlrev_b32_e32 v24, 1, v27
	v_xor_b32_e32 v27, 0x440, v26
	v_cmp_eq_u32_e32 vcc, 0, v6
	s_add_i32 s29, s51, s50
	s_mul_i32 s28, s60, s26
	v_cndmask_b32_e32 v6, v27, v26, vcc
	s_add_i32 s3, s25, s3
	s_add_i32 s45, s29, s52
	s_mov_b32 s63, 0x1000504
	v_lshlrev_b32_e32 v25, 8, v63
	s_mov_b32 s30, 0x8000
	v_xor_b32_e32 v7, v66, v7
	v_lshl_or_b32 v5, v5, 10, v6
	s_add_i32 s25, s3, s28
	s_lshl_b64 s[28:29], s[44:45], 2
	s_mov_b32 s64, 0x3020706
	s_mul_i32 s24, s48, s26
	v_lshlrev_b32_e32 v7, 1, v7
	v_or3_b32 v75, v24, v25, s30
	v_xor_b32_e32 v6, 8, v5
	v_xor_b32_e32 v24, 24, v5
	;; [unrolled: 1-line block ×4, first 2 shown]
	s_add_u32 s3, s18, s28
	v_or3_b32 v76, v7, v25, s30
	v_xor_b32_e32 v7, 16, v5
	v_xor_b32_e32 v25, 32, v5
	;; [unrolled: 1-line block ×3, first 2 shown]
	v_add_u32_e32 v6, 0x80, v6
	v_add_u32_e32 v24, 0x80, v24
	;; [unrolled: 1-line block ×4, first 2 shown]
	s_addc_u32 s28, s19, s29
	s_lshl_b64 s[24:25], s[24:25], 2
	s_add_u32 s24, s3, s24
	s_movk_i32 s3, 0xf8
	s_addc_u32 s25, s28, s25
	s_lshl_b32 s38, s23, 7
	v_mov_b32_e32 v47, 0
	s_mov_b32 s65, 0
	v_add_u32_e32 v87, v60, v2
	v_mov_b32_e32 v98, 0x3fb8aa3b
	v_mov_b32_e32 v52, v47
	;; [unrolled: 1-line block ×7, first 2 shown]
	s_waitcnt vmcnt(1)
	v_perm_b32 v29, v8, v16, s63
	s_waitcnt vmcnt(0)
	v_perm_b32 v30, v12, v20, s63
	v_perm_b32 v8, v8, v16, s64
	;; [unrolled: 1-line block ×15, first 2 shown]
	ds_write2st64_b32 v5, v29, v30 offset1:32
	ds_write2st64_b32 v6, v8, v12 offset1:32
	ds_write2st64_b32 v7, v16, v20 offset0:1 offset1:33
	ds_write2st64_b32 v24, v9, v13 offset0:1 offset1:33
	;; [unrolled: 1-line block ×6, first 2 shown]
	v_or_b32_e32 v5, v60, v63
	v_lshlrev_b32_e32 v5, 3, v5
	v_lshrrev_b32_e32 v7, 5, v61
	v_and_or_b32 v7, v5, s3, v7
	v_lshlrev_b32_e32 v7, 4, v7
	v_lshrrev_b32_e32 v6, 2, v61
	v_lshlrev_b32_e32 v11, 11, v45
	v_and_b32_e32 v5, 0x78, v5
	v_or_b32_e32 v12, 32, v7
	v_and_b32_e32 v10, 12, v6
	v_and_b32_e32 v6, 0x1000, v11
	v_lshrrev_b32_e32 v9, 1, v61
	v_xor_b32_e32 v12, v12, v5
	v_and_b32_e32 v9, 8, v9
	v_or_b32_e32 v12, v12, v6
	v_xor_b32_e32 v8, v7, v5
	v_xor_b32_e32 v79, v12, v9
	v_or_b32_e32 v12, 64, v7
	v_or_b32_e32 v7, 0x60, v7
	v_xor_b32_e32 v12, v12, v5
	v_xor_b32_e32 v5, v7, v5
	v_or_b32_e32 v5, v5, v6
	v_or_b32_e32 v12, v12, v6
	v_xor_b32_e32 v81, v5, v9
	s_ashr_i32 s3, s2, 31
	v_lshlrev_b32_e32 v5, 1, v63
	v_xor_b32_e32 v80, v12, v9
	v_lshlrev_b32_e32 v12, 1, v4
	v_add_lshl_u32 v13, v4, s23, 1
	v_lshrrev_b32_e32 v4, 4, v0
	s_lshl_b64 s[28:29], s[2:3], 8
	v_or_b32_e32 v15, 1, v5
	s_add_u32 s28, s4, s28
	v_xor_b32_e32 v5, v4, v5
	v_xor_b32_e32 v15, v15, v4
	s_addc_u32 s29, s5, s29
	v_lshlrev_b32_e32 v5, 3, v5
	v_lshlrev_b32_e32 v46, 8, v4
	;; [unrolled: 1-line block ×3, first 2 shown]
	v_lshrrev_b32_e32 v19, 1, v0
	v_or3_b32 v83, v5, v46, s30
	v_or3_b32 v84, v4, v46, s30
	v_lshl_add_u64 v[4:5], s[28:29], 0, v[46:47]
	v_lshlrev_b32_e32 v46, 4, v63
	s_movk_i32 s3, 0xff
	v_lshlrev_b32_e32 v18, 3, v45
	v_and_b32_e32 v19, 24, v19
	v_lshl_add_u64 v[54:55], v[4:5], 0, v[46:47]
	v_and_b32_e32 v5, 8, v0
	v_cmp_lt_u32_e32 vcc, s3, v0
	v_xor_b32_e32 v20, v18, v19
	v_or_b32_e32 v21, 0x440, v20
	v_cndmask_b32_e64 v17, 0, 1, vcc
	v_cmp_eq_u32_e32 vcc, 0, v5
	v_or_b32_e32 v23, 64, v19
	v_xor_b32_e32 v23, v18, v23
	v_cndmask_b32_e32 v5, v21, v20, vcc
	v_or_b32_e32 v21, 32, v19
	v_or_b32_e32 v19, 0x60, v19
	v_xor_b32_e32 v21, v18, v21
	v_xor_b32_e32 v18, v18, v19
	v_or_b32_e32 v22, 0x440, v21
	v_xor_b32_e32 v24, 0x440, v23
	v_xor_b32_e32 v19, 0x440, v18
	v_or_b32_e32 v8, v8, v6
	v_or_b32_e32 v6, s2, v63
	v_and_b32_e32 v4, 7, v0
	v_cndmask_b32_e32 v21, v22, v21, vcc
	v_cndmask_b32_e32 v23, v24, v23, vcc
	;; [unrolled: 1-line block ×3, first 2 shown]
	v_xor_b32_e32 v77, v8, v9
	v_and_b32_e32 v8, 0x78, v64
	v_ashrrev_i32_e32 v7, 31, v6
	v_lshlrev_b32_e32 v15, 3, v4
	v_or_b32_e32 v5, v5, v11
	v_or_b32_e32 v21, v21, v11
	;; [unrolled: 1-line block ×4, first 2 shown]
	v_lshl_or_b32 v8, v62, 7, v8
	v_lshlrev_b64 v[6:7], 1, v[6:7]
	v_lshlrev_b32_e32 v17, 13, v17
	v_xor_b32_e32 v5, v5, v15
	v_xor_b32_e32 v21, v21, v15
	;; [unrolled: 1-line block ×4, first 2 shown]
	v_or_b32_e32 v78, 0x9000, v8
	v_or_b32_e32 v82, 0x9800, v8
	v_lshl_add_u64 v[8:9], s[16:17], 0, v[6:7]
	v_lshl_add_u64 v[6:7], s[6:7], 0, v[6:7]
	v_or_b32_e32 v14, 0x100, v3
	v_lshlrev_b32_e32 v16, 7, v4
	v_or_b32_e32 v4, v10, v60
	v_add_u32_e32 v20, v17, v5
	v_add_u32_e32 v22, v17, v21
	;; [unrolled: 1-line block ×4, first 2 shown]
	v_or3_b32 v10, v60, v10, 64
	v_add_u32_e32 v5, 0x2000, v5
	v_add_u32_e32 v17, 0x2000, v21
	;; [unrolled: 1-line block ×4, first 2 shown]
	v_lshlrev_b32_e32 v46, 8, v1
	v_cndmask_b32_e64 v85, v12, v3, s[0:1]
	v_cndmask_b32_e64 v86, v13, v14, s[0:1]
	v_lshl_add_u64 v[56:57], v[8:9], 0, v[46:47]
	v_lshl_add_u64 v[58:59], v[6:7], 0, v[46:47]
	s_mov_b32 s3, 0x7060302
	s_movk_i32 s30, 0x4000
	v_lshlrev_b32_e32 v88, 2, v4
	v_add_u32_e32 v89, v20, v16
	v_add_u32_e32 v90, v22, v16
	;; [unrolled: 1-line block ×4, first 2 shown]
	v_lshlrev_b32_e32 v93, 2, v10
	v_add_u32_e32 v94, v5, v16
	v_add_u32_e32 v95, v17, v16
	;; [unrolled: 1-line block ×4, first 2 shown]
	v_mov_b32_e32 v46, v47
	s_waitcnt lgkmcnt(0)
	s_barrier
.LBB597_6:                              ; =>This Inner Loop Header: Depth=1
	s_add_i32 s45, s65, 1
	s_cmp_lt_i32 s45, s53
	s_mov_b64 s[36:37], 0
	s_cselect_b64 s[46:47], -1, 0
	s_cmp_ge_i32 s45, s53
	s_mov_b64 s[28:29], 0
	s_cbranch_scc1 .LBB597_8
; %bb.7:                                ;   in Loop: Header=BB597_6 Depth=1
	s_add_i32 s0, s59, 64
	s_ashr_i32 s1, s0, 31
	s_add_u32 s0, s57, s0
	s_addc_u32 s1, s56, s1
	s_lshl_b64 s[0:1], s[0:1], 8
	s_add_u32 s28, s14, s0
	s_addc_u32 s29, s15, s1
.LBB597_8:                              ;   in Loop: Header=BB597_6 Depth=1
	v_cndmask_b32_e64 v2, 0, 1, s[46:47]
	v_cmp_ne_u32_e64 s[0:1], 1, v2
	s_andn2_b64 vcc, exec, s[46:47]
	s_cbranch_vccnz .LBB597_10
; %bb.9:                                ;   in Loop: Header=BB597_6 Depth=1
	s_add_i32 s36, s59, 64
	s_mul_hi_i32 s37, s36, s22
	s_mul_i32 s36, s36, s22
	s_add_u32 s36, s36, s58
	s_addc_u32 s37, s37, s61
	s_lshl_b64 s[36:37], s[36:37], 8
	s_add_u32 s36, s12, s36
	s_addc_u32 s37, s13, s37
.LBB597_10:                             ;   in Loop: Header=BB597_6 Depth=1
	v_perm_b32 v3, v53, v52, s3
	v_perm_b32 v2, v47, v46, s3
	;; [unrolled: 1-line block ×4, first 2 shown]
	ds_write_b64 v73, v[2:3]
	ds_write_b64 v74, v[4:5]
	;; [unrolled: 1-line block ×4, first 2 shown]
	s_waitcnt lgkmcnt(0)
	s_barrier
	ds_read_b64 v[10:11], v77 offset:16384
	ds_read_b64 v[12:13], v79 offset:16384
	ds_read2st64_b64 v[2:5], v78 offset1:1
	s_waitcnt lgkmcnt(0)
	v_mfma_f32_16x16x16_bf16 a[0:3], v[10:11], v[2:3], 0
	ds_read2st64_b64 v[6:9], v78 offset0:2 offset1:3
	ds_read_b64 v[14:15], v80 offset:16384
	ds_read_b64 v[2:3], v81 offset:16384
	s_add_i32 s66, s59, 63
	v_mfma_f32_16x16x16_bf16 a[0:3], v[12:13], v[4:5], a[0:3]
	s_ashr_i32 s39, s66, 31
	s_mul_i32 s46, s66, s11
	s_mul_hi_u32 s47, s66, s10
	s_waitcnt lgkmcnt(1)
	v_mfma_f32_16x16x16_bf16 a[0:3], v[14:15], v[6:7], a[0:3]
	s_add_i32 s46, s47, s46
	s_mul_i32 s39, s39, s10
	s_add_i32 s47, s46, s39
	s_mul_i32 s46, s66, s10
	s_waitcnt lgkmcnt(0)
	v_mfma_f32_16x16x16_bf16 a[0:3], v[2:3], v[8:9], a[0:3]
	s_lshl_b64 s[46:47], s[46:47], 2
	s_add_u32 s46, s24, s46
	s_addc_u32 s47, s25, s47
	s_and_b64 vcc, exec, s[0:1]
	v_mov_b32_e32 v101, 0
	v_mov_b32_e32 v100, 0
	;; [unrolled: 1-line block ×19, first 2 shown]
	s_cbranch_vccnz .LBB597_12
; %bb.11:                               ;   in Loop: Header=BB597_6 Depth=1
	s_and_b32 s29, s29, 0xffff
	buffer_load_dwordx4 v[14:17], v69, s[28:31], 0 offen
	buffer_load_dwordx4 v[10:13], v69, s[28:31], s62 offen
	;; [unrolled: 1-line block ×4, first 2 shown]
	v_mov_b32_e32 v100, v71
	v_mov_b32_e32 v99, v72
.LBB597_12:                             ;   in Loop: Header=BB597_6 Depth=1
	v_add_u32_e32 v22, s59, v87
	v_ashrrev_i32_e32 v18, 31, v22
	v_mul_lo_u32 v20, v18, s10
	v_mul_lo_u32 v21, v22, s11
	v_mad_u64_u32 v[18:19], s[28:29], v22, s10, 0
	v_add3_u32 v19, v19, v21, v20
	v_lshl_add_u64 v[18:19], v[18:19], 2, s[24:25]
	global_load_dword v34, v[18:19], off
	v_add_u32_e32 v18, 1, v22
	v_ashrrev_i32_e32 v19, 31, v18
	v_mul_lo_u32 v20, v19, s10
	v_mul_lo_u32 v21, v18, s11
	v_mad_u64_u32 v[18:19], s[28:29], v18, s10, 0
	v_add3_u32 v19, v19, v21, v20
	v_add_u32_e32 v20, 2, v22
	v_ashrrev_i32_e32 v21, 31, v20
	v_mul_lo_u32 v23, v21, s10
	v_mul_lo_u32 v24, v20, s11
	v_mad_u64_u32 v[20:21], s[28:29], v20, s10, 0
	v_add_u32_e32 v22, 3, v22
	v_add3_u32 v21, v21, v24, v23
	v_ashrrev_i32_e32 v23, 31, v22
	v_mul_lo_u32 v26, v23, s10
	v_mul_lo_u32 v27, v22, s11
	v_mad_u64_u32 v[22:23], s[28:29], v22, s10, 0
	s_ashr_i32 s29, s59, 31
	s_add_u32 s28, s57, s59
	s_addc_u32 s29, s56, s29
	s_lshl_b64 s[68:69], s[28:29], 8
	v_lshl_add_u64 v[18:19], v[18:19], 2, s[24:25]
	v_lshl_add_u64 v[24:25], v[56:57], 0, s[68:69]
	v_add3_u32 v23, v23, v27, v26
	v_lshl_add_u64 v[20:21], v[20:21], 2, s[24:25]
	global_load_ushort v35, v[24:25], off
	global_load_ushort v36, v[24:25], off offset:256
	global_load_ushort v37, v[24:25], off offset:512
	;; [unrolled: 1-line block ×3, first 2 shown]
	v_lshl_add_u64 v[22:23], v[22:23], 2, s[24:25]
	global_load_dword v39, v[18:19], off
	global_load_dword v40, v[20:21], off
	;; [unrolled: 1-line block ×3, first 2 shown]
	ds_read_b64 v[22:23], v77 offset:24576
	ds_read_b64 v[28:29], v79 offset:24576
	ds_read2st64_b64 v[18:21], v82 offset1:1
	s_waitcnt lgkmcnt(0)
	v_mfma_f32_16x16x16_bf16 a[0:3], v[22:23], v[18:19], a[0:3]
	s_load_dword s28, s[46:47], 0x0
	ds_read2st64_b64 v[24:27], v82 offset0:2 offset1:3
	ds_read_b64 v[30:31], v80 offset:24576
	ds_read_b64 v[32:33], v81 offset:24576
	v_mov_b32_e32 v102, 0
	v_mfma_f32_16x16x16_bf16 a[0:3], v[28:29], v[20:21], a[0:3]
	v_mov_b32_e32 v18, 0
	v_mov_b32_e32 v19, 0
	;; [unrolled: 1-line block ×3, first 2 shown]
	s_waitcnt lgkmcnt(0)
	v_mfma_f32_16x16x16_bf16 a[0:3], v[30:31], v[24:25], a[0:3]
	v_lshl_add_u64 v[24:25], v[58:59], 0, s[68:69]
	v_mov_b32_e32 v21, 0
	v_mov_b32_e32 v22, 0
	v_mfma_f32_16x16x16_bf16 a[0:3], v[32:33], v[26:27], a[0:3]
	v_mov_b32_e32 v23, 0
	s_and_b64 vcc, exec, s[0:1]
	s_waitcnt vmcnt(7)
	v_sub_f32_e32 v34, s28, v34
	s_nop 2
	v_accvgpr_read_b32 v29, a1
	v_accvgpr_read_b32 v27, a3
	;; [unrolled: 1-line block ×4, first 2 shown]
	v_mul_f32_e32 v34, 0x3fb8aa3b, v34
	s_waitcnt vmcnt(6)
	v_lshlrev_b32_e32 v30, 16, v35
	s_waitcnt vmcnt(5)
	v_lshlrev_b32_e32 v31, 16, v36
	;; [unrolled: 2-line block ×4, first 2 shown]
	s_waitcnt vmcnt(2)
	v_sub_f32_e32 v35, s28, v39
	s_waitcnt vmcnt(1)
	v_sub_f32_e32 v36, s28, v40
	s_waitcnt vmcnt(0)
	v_sub_f32_e32 v37, s28, v41
	v_pk_add_f32 v[28:29], v[30:31], v[28:29] neg_lo:[0,1] neg_hi:[0,1]
	v_pk_add_f32 v[26:27], v[32:33], v[26:27] neg_lo:[0,1] neg_hi:[0,1]
	v_mul_f32_e32 v31, 0x3fb8aa3b, v35
	v_mul_f32_e32 v32, 0x3fb8aa3b, v36
	;; [unrolled: 1-line block ×3, first 2 shown]
	v_exp_f32_e32 v30, v34
	v_exp_f32_e32 v31, v31
	;; [unrolled: 1-line block ×4, first 2 shown]
	global_store_short_d16_hi v[24:25], v28, off
	global_store_short_d16_hi v[24:25], v29, off offset:256
	global_store_short_d16_hi v[24:25], v26, off offset:512
	;; [unrolled: 1-line block ×3, first 2 shown]
	v_pk_mul_f32 v[24:25], v[30:31], v[28:29]
	v_pk_mul_f32 v[26:27], v[32:33], v[26:27]
	v_perm_b32 v24, v25, v24, s3
	v_perm_b32 v25, v27, v26, s3
	ds_write_b64 v74, v[24:25]
	v_mov_b32_e32 v24, 0
	v_mov_b32_e32 v25, 0
	;; [unrolled: 1-line block ×10, first 2 shown]
	s_cbranch_vccnz .LBB597_14
; %bb.13:                               ;   in Loop: Header=BB597_6 Depth=1
	s_and_b32 s37, s37, 0xffff
	s_mov_b32 s39, s31
	buffer_load_dwordx4 v[30:33], v85, s[36:39], 0 offen
	buffer_load_dwordx4 v[22:25], v85, s[36:39], s62 offen
	;; [unrolled: 1-line block ×4, first 2 shown]
	v_mov_b32_e32 v101, v68
	v_mov_b32_e32 v102, v67
.LBB597_14:                             ;   in Loop: Header=BB597_6 Depth=1
	s_waitcnt lgkmcnt(0)
	s_barrier
	ds_read_b64 v[34:35], v89
	ds_read_b64 v[40:41], v90
	ds_read2st64_b64 v[36:39], v82 offset1:1
	ds_read2st64_b64 v[104:107], v82 offset0:2 offset1:3
	ds_read_b64 v[42:43], v91
	ds_read_b64 v[112:113], v92
	s_add_i32 s29, s55, s65
	s_mul_hi_i32 s37, s29, s49
	s_mul_i32 s29, s29, s49
	s_waitcnt lgkmcnt(3)
	v_mfma_f32_16x16x16_bf16 a[0:3], v[34:35], v[36:37], 0
	ds_read_b64 v[34:35], v94
	s_add_u32 s36, s29, s48
	s_addc_u32 s37, s37, s60
	v_mfma_f32_16x16x16_bf16 a[0:3], v[40:41], v[38:39], a[0:3]
	ds_read_b64 v[40:41], v95
	s_lshl_b64 s[36:37], s[36:37], 15
	s_mul_i32 s39, s66, s49
	s_mul_hi_i32 s29, s66, s49
	s_add_u32 s46, s39, s48
	s_addc_u32 s47, s29, s60
	s_lshl_b64 s[46:47], s[46:47], 9
	s_add_u32 s46, s40, s46
	s_waitcnt lgkmcnt(1)
	v_mfma_f32_16x16x16_bf16 a[4:7], v[34:35], v[36:37], 0
	s_addc_u32 s47, s41, s47
	s_and_b64 vcc, exec, s[0:1]
	v_mfma_f32_16x16x16_bf16 a[0:3], v[42:43], v[104:105], a[0:3]
	ds_read_b64 v[42:43], v96
	ds_read_b64 v[114:115], v97
	global_load_dwordx4 v[34:37], v93, s[46:47]
	s_waitcnt lgkmcnt(2)
	v_mfma_f32_16x16x16_bf16 a[4:7], v[40:41], v[38:39], a[4:7]
	global_load_dwordx4 v[38:41], v88, s[46:47]
	ds_read_b64 v[108:109], v83
	ds_read_b64 v[110:111], v84
	s_waitcnt lgkmcnt(3)
	v_mfma_f32_16x16x16_bf16 a[8:11], v[42:43], v[104:105], a[4:7]
	v_lshl_add_u64 v[42:43], v[54:55], 0, s[36:37]
	s_waitcnt lgkmcnt(0)
	global_store_dwordx4 v[42:43], v[108:111], off
	v_mfma_f32_16x16x16_bf16 a[4:7], v[112:113], v[106:107], a[0:3]
	s_waitcnt vmcnt(2)
	v_mov_b32_e32 v44, v37
	v_mfma_f32_16x16x16_bf16 a[0:3], v[114:115], v[106:107], a[8:11]
	v_mov_b32_e32 v43, v36
	v_mov_b32_e32 v42, v35
	s_cbranch_vccnz .LBB597_16
; %bb.15:                               ;   in Loop: Header=BB597_6 Depth=1
	v_lshrrev_b32_e32 v35, 3, v101
	v_and_b32_e32 v35, 6, v35
	v_xor_b32_e32 v36, v35, v102
	v_lshlrev_b32_e32 v36, 2, v36
	v_and_b32_e32 v37, 8, v101
	v_xor_b32_e32 v101, 0x440, v36
	v_cmp_eq_u32_e32 vcc, 0, v37
	v_perm_b32 v37, v22, v18, s63
	s_nop 0
	v_cndmask_b32_e32 v36, v101, v36, vcc
	v_lshl_or_b32 v35, v35, 10, v36
	v_perm_b32 v36, v30, v26, s63
	s_barrier
	ds_write2st64_b32 v35, v36, v37 offset1:32
	v_xor_b32_e32 v36, 8, v35
	v_perm_b32 v26, v30, v26, s64
	v_perm_b32 v18, v22, v18, s64
	v_add_u32_e32 v22, 0x80, v36
	ds_write2st64_b32 v22, v26, v18 offset1:32
	v_xor_b32_e32 v18, 16, v35
	v_perm_b32 v22, v31, v27, s63
	v_perm_b32 v26, v23, v19, s63
	ds_write2st64_b32 v18, v22, v26 offset0:1 offset1:33
	v_xor_b32_e32 v18, 24, v35
	v_perm_b32 v22, v31, v27, s64
	v_perm_b32 v19, v23, v19, s64
	v_add_u32_e32 v18, 0x80, v18
	ds_write2st64_b32 v18, v22, v19 offset0:1 offset1:33
	v_xor_b32_e32 v18, 32, v35
	v_perm_b32 v19, v32, v28, s63
	v_perm_b32 v22, v24, v20, s63
	ds_write2st64_b32 v18, v19, v22 offset0:2 offset1:34
	v_xor_b32_e32 v18, 40, v35
	v_perm_b32 v19, v32, v28, s64
	v_perm_b32 v20, v24, v20, s64
	v_add_u32_e32 v18, 0x80, v18
	ds_write2st64_b32 v18, v19, v20 offset0:2 offset1:34
	;; [unrolled: 9-line block ×3, first 2 shown]
	ds_write_b64 v100, v[14:15] offset:16384
	v_xor_b32_e32 v14, 8, v100
	ds_write_b64 v14, v[16:17] offset:16384
	ds_write_b64 v100, v[10:11] offset:24576
	;; [unrolled: 1-line block ×4, first 2 shown]
	v_xor_b32_e32 v6, 8, v99
	ds_write_b64 v6, v[8:9] offset:16384
	ds_write_b64 v99, v[2:3] offset:24576
	;; [unrolled: 1-line block ×3, first 2 shown]
.LBB597_16:                             ;   in Loop: Header=BB597_6 Depth=1
	v_mul_f32_e32 v6, s28, v98
	v_exp_f32_e32 v10, v6
	s_waitcnt vmcnt(1)
	v_mul_f32_e32 v6, 0x3fb8aa3b, v38
	v_exp_f32_e32 v12, v6
	v_mul_f32_e32 v6, 0x3fb8aa3b, v39
	v_exp_f32_e32 v13, v6
	;; [unrolled: 2-line block ×4, first 2 shown]
	v_accvgpr_read_b32 v2, a4
	v_accvgpr_read_b32 v3, a5
	v_pk_mul_f32 v[12:13], v[10:11], v[12:13] op_sel_hi:[0,1]
	v_pk_fma_f32 v[46:47], v[46:47], v[12:13], v[2:3]
	v_pk_mul_f32 v[2:3], v[10:11], v[14:15] op_sel_hi:[0,1]
	v_mul_f32_e32 v11, 0x3fb8aa3b, v34
	v_exp_f32_e32 v12, v11
	v_mul_f32_e32 v11, 0x3fb8aa3b, v42
	v_exp_f32_e32 v13, v11
	;; [unrolled: 2-line block ×4, first 2 shown]
	v_accvgpr_read_b32 v4, a6
	v_accvgpr_read_b32 v5, a7
	;; [unrolled: 1-line block ×5, first 2 shown]
	v_pk_fma_f32 v[52:53], v[52:53], v[2:3], v[4:5]
	v_pk_mul_f32 v[2:3], v[10:11], v[12:13] op_sel_hi:[0,1]
	v_accvgpr_read_b32 v8, a2
	v_pk_fma_f32 v[50:51], v[50:51], v[2:3], v[6:7]
	v_pk_mul_f32 v[2:3], v[10:11], v[14:15] op_sel_hi:[0,1]
	s_add_i32 s59, s59, 64
	s_cmp_eq_u32 s53, s45
	v_pk_fma_f32 v[48:49], v[48:49], v[2:3], v[8:9]
	s_cbranch_scc1 .LBB597_18
; %bb.17:                               ;   in Loop: Header=BB597_6 Depth=1
	s_mov_b32 s65, s45
	s_branch .LBB597_6
.LBB597_18:
	s_lshl_b32 s3, s53, 6
	s_sub_i32 s54, s54, s3
	s_cmp_gt_i32 s54, 0
	v_or_b32_e32 v26, s2, v63
	s_cbranch_scc1 .LBB597_20
; %bb.19:
	s_ashr_i32 s25, s48, 31
	v_or_b32_e32 v2, s2, v63
	s_cbranch_execz .LBB597_21
	s_branch .LBB597_77
.LBB597_20:
                                        ; implicit-def: $vgpr2
                                        ; implicit-def: $sgpr24_sgpr25
.LBB597_21:
	s_add_i32 s24, s3, s42
	s_ashr_i32 s3, s24, 31
	s_cmpk_lg_i32 s23, 0x80
	s_cselect_b64 s[38:39], -1, 0
	s_and_b64 vcc, exec, s[38:39]
	s_cbranch_vccz .LBB597_23
; %bb.22:
	s_mul_hi_i32 s0, s24, s22
	s_mul_i32 s1, s24, s22
	s_ashr_i32 s22, s58, 31
	s_add_u32 s46, s1, s58
	s_addc_u32 s47, s0, s22
	s_cbranch_execz .LBB597_24
	s_branch .LBB597_25
.LBB597_23:
                                        ; implicit-def: $sgpr46_sgpr47
.LBB597_24:
	s_mul_i32 s1, s58, s20
	s_mul_hi_i32 s0, s58, s20
	s_add_u32 s46, s1, s24
	s_addc_u32 s47, s0, s3
.LBB597_25:
	s_add_i32 s20, s53, s55
	s_ashr_i32 s25, s48, 31
	s_add_u32 s0, s57, s24
	s_addc_u32 s1, s56, s3
	s_mov_b32 s3, 0x7060302
	v_lshlrev_b32_e32 v6, 3, v63
	s_lshl_b64 s[36:37], s[0:1], 8
	v_perm_b32 v3, v53, v52, s3
	v_perm_b32 v2, v47, v46, s3
	;; [unrolled: 1-line block ×4, first 2 shown]
	v_lshlrev_b32_e32 v36, 2, v63
	v_lshl_or_b32 v6, v1, 5, v6
	s_add_u32 s0, s14, s36
	ds_write2st64_b64 v6, v[2:3], v[4:5] offset0:72 offset1:76
	v_xor_b32_e32 v6, v1, v36
	v_lshlrev_b32_e32 v7, 8, v63
	s_addc_u32 s1, s15, s37
	v_lshl_or_b32 v6, v6, 1, v7
	s_mul_hi_i32 s3, s20, s21
	s_mul_i32 s20, s20, s21
	ds_write_b64 v6, v[2:3] offset:32768
	v_xor_b32_e32 v2, v66, v36
	s_add_u32 s14, s20, s48
	v_lshl_or_b32 v2, v2, 1, v7
	s_addc_u32 s15, s3, s25
	v_lshlrev_b32_e32 v3, 1, v63
	ds_write_b64 v2, v[4:5] offset:32768
	v_lshrrev_b32_e32 v2, 4, v0
	s_ashr_i32 s3, s2, 31
	s_lshl_b64 s[14:15], s[14:15], 15
	v_or_b32_e32 v4, 1, v3
	s_add_u32 s4, s4, s14
	v_xor_b32_e32 v3, v2, v3
	v_xor_b32_e32 v4, v4, v2
	v_lshlrev_b32_e32 v6, 8, v2
	s_addc_u32 s5, s5, s15
	s_lshl_b64 s[2:3], s[2:3], 8
	v_lshl_or_b32 v2, v3, 3, v6
	v_lshl_or_b32 v4, v4, 3, v6
	s_waitcnt lgkmcnt(0)
	s_barrier
	s_add_u32 s2, s4, s2
	ds_read_b64 v[2:3], v2 offset:32768
	ds_read_b64 v[4:5], v4 offset:32768
	s_addc_u32 s3, s5, s3
	v_mov_b32_e32 v7, 0
	s_cmp_lg_u32 s54, 64
	v_lshl_add_u64 v[8:9], s[2:3], 0, v[6:7]
	v_lshlrev_b32_e32 v6, 4, v63
	s_cselect_b64 s[4:5], -1, 0
	v_lshl_or_b32 v27, v45, 3, v65
	s_mov_b32 s28, 0
	v_lshl_add_u64 v[6:7], v[8:9], 0, v[6:7]
	v_or_b32_e32 v19, 32, v27
	v_and_b32_e32 v18, 56, v64
	s_and_b64 vcc, exec, s[4:5]
	s_waitcnt lgkmcnt(0)
	global_store_dwordx4 v[6:7], v[2:5], off
	s_cbranch_vccz .LBB597_31
; %bb.26:
	s_mov_b32 s29, s28
	s_mov_b32 s30, s28
	;; [unrolled: 1-line block ×3, first 2 shown]
	v_mov_b64_e32 v[6:7], s[28:29]
	v_mov_b64_e32 v[8:9], s[30:31]
	;; [unrolled: 1-line block ×3, first 2 shown]
	v_cmp_gt_i32_e32 vcc, s54, v27
	v_mov_b64_e32 v[4:5], v[8:9]
	s_and_saveexec_b64 s[2:3], vcc
	s_cbranch_execz .LBB597_28
; %bb.27:
	v_lshlrev_b32_e32 v2, 8, v27
	v_mov_b32_e32 v3, 0
	v_lshl_add_u64 v[4:5], s[0:1], 0, v[2:3]
	v_lshlrev_b32_e32 v2, 1, v18
	v_lshl_add_u64 v[10:11], v[4:5], 0, v[2:3]
	global_load_dwordx4 v[6:9], v[10:11], off
	global_load_dwordx4 v[2:5], v[10:11], off offset:128
.LBB597_28:
	s_or_b64 exec, exec, s[2:3]
	s_mov_b32 s29, s28
	s_mov_b32 s30, s28
	;; [unrolled: 1-line block ×3, first 2 shown]
	v_mov_b64_e32 v[14:15], s[28:29]
	v_mov_b64_e32 v[16:17], s[30:31]
	;; [unrolled: 1-line block ×3, first 2 shown]
	v_cmp_gt_i32_e32 vcc, s54, v19
	v_lshlrev_b32_e32 v20, 7, v19
	v_mov_b64_e32 v[12:13], v[16:17]
	s_and_saveexec_b64 s[2:3], vcc
	s_cbranch_execz .LBB597_30
; %bb.29:
	v_lshlrev_b32_e32 v10, 1, v20
	v_mov_b32_e32 v11, 0
	v_lshl_add_u64 v[12:13], s[0:1], 0, v[10:11]
	v_lshlrev_b32_e32 v10, 1, v18
	v_lshl_add_u64 v[22:23], v[12:13], 0, v[10:11]
	global_load_dwordx4 v[14:17], v[22:23], off
	global_load_dwordx4 v[10:13], v[22:23], off offset:128
.LBB597_30:
	s_or_b64 exec, exec, s[2:3]
	v_lshrrev_b32_e32 v21, 3, v18
	v_lshlrev_b32_e32 v22, 3, v27
	v_or_b32_e32 v21, v22, v21
	v_lshlrev_b32_e32 v21, 4, v21
	v_and_b32_e32 v22, 0x78, v22
	v_xor_b32_e32 v21, v21, v22
	s_branch .LBB597_33
.LBB597_31:
                                        ; implicit-def: $vgpr21
                                        ; implicit-def: $vgpr20
                                        ; implicit-def: $vgpr6_vgpr7_vgpr8_vgpr9
                                        ; implicit-def: $vgpr2_vgpr3_vgpr4_vgpr5
                                        ; implicit-def: $vgpr14_vgpr15_vgpr16_vgpr17
                                        ; implicit-def: $vgpr10_vgpr11_vgpr12_vgpr13
	s_cbranch_execz .LBB597_33
; %bb.32:
	s_waitcnt vmcnt(0)
	v_lshlrev_b32_e32 v2, 1, v18
	v_lshl_or_b32 v20, v27, 8, v2
	s_and_b32 s1, s1, 0xffff
	s_mov_b32 s3, 0x20000
	s_movk_i32 s2, 0x4000
	v_lshl_or_b32 v21, v19, 8, v2
	s_movk_i32 s14, 0x80
	buffer_load_dwordx4 v[6:9], v20, s[0:3], 0 offen
	buffer_load_dwordx4 v[2:5], v20, s[0:3], s14 offen
	;; [unrolled: 1-line block ×4, first 2 shown]
	v_lshrrev_b32_e32 v20, 3, v18
	v_lshlrev_b32_e32 v21, 3, v27
	v_or_b32_e32 v20, v21, v20
	v_lshlrev_b32_e32 v20, 4, v20
	v_and_b32_e32 v21, 0x78, v21
	v_xor_b32_e32 v21, v20, v21
	v_lshlrev_b32_e32 v20, 7, v19
.LBB597_33:
	s_lshl_b64 s[0:1], s[46:47], 8
	s_add_u32 s12, s12, s0
	s_movk_i32 s0, 0x1000
	v_and_or_b32 v19, v20, s0, v21
	s_waitcnt vmcnt(1)
	ds_write_b64 v21, v[6:7] offset:16384
	v_xor_b32_e32 v6, 8, v21
	ds_write_b64 v6, v[8:9] offset:16384
	s_waitcnt vmcnt(0)
	ds_write_b64 v21, v[2:3] offset:24576
	ds_write_b64 v6, v[4:5] offset:24576
	;; [unrolled: 1-line block ×3, first 2 shown]
	v_xor_b32_e32 v2, 8, v19
	ds_write_b64 v2, v[16:17] offset:16384
	ds_write_b64 v19, v[10:11] offset:24576
	;; [unrolled: 1-line block ×3, first 2 shown]
	v_or_b32_e32 v2, v60, v63
	v_lshlrev_b32_e32 v2, 3, v2
	v_lshrrev_b32_e32 v4, 5, v61
	s_movk_i32 s20, 0xf8
	v_and_or_b32 v4, v2, s20, v4
	v_lshlrev_b32_e32 v37, 11, v45
	v_lshlrev_b32_e32 v12, 4, v4
	v_and_b32_e32 v13, 0x78, v2
	v_and_b32_e32 v14, 0x1000, v37
	v_lshlrev_b32_e32 v3, 2, v0
	v_xor_b32_e32 v2, v12, v13
	v_lshrrev_b32_e32 v4, 1, v61
	v_and_b32_e32 v3, 60, v3
	v_or_b32_e32 v2, v2, v14
	v_and_b32_e32 v15, 8, v4
	v_xor_b32_e32 v28, v2, v15
	v_lshl_or_b32 v2, v62, 6, v3
	v_lshlrev_b32_e32 v38, 1, v2
	v_or_b32_e32 v2, 32, v12
	v_xor_b32_e32 v2, v2, v13
	s_waitcnt lgkmcnt(0)
	s_barrier
	ds_read_b64 v[10:11], v28 offset:16384
	v_or_b32_e32 v2, v2, v14
	v_xor_b32_e32 v29, v2, v15
	v_or_b32_e32 v2, 64, v12
	v_xor_b32_e32 v2, v2, v13
	v_or_b32_e32 v2, v2, v14
	v_or_b32_e32 v12, 0x60, v12
	v_xor_b32_e32 v30, v2, v15
	ds_read2st64_b64 v[2:5], v38 offset0:72 offset1:73
	ds_read2st64_b64 v[6:9], v38 offset0:74 offset1:75
	v_xor_b32_e32 v16, v12, v13
	ds_read_b64 v[12:13], v29 offset:16384
	s_waitcnt lgkmcnt(2)
	v_mfma_f32_16x16x16_bf16 a[0:3], v[10:11], v[2:3], 0
	s_addc_u32 s13, s13, s1
	s_add_i32 s22, s43, -1
	s_add_i32 s0, s51, s50
	s_add_i32 s45, s0, s52
	s_mul_i32 s0, s48, s27
	s_mul_hi_u32 s1, s48, s26
	s_ashr_i32 s2, s22, 31
	s_mul_i32 s3, s22, s11
	s_mul_hi_u32 s14, s22, s10
	s_add_i32 s0, s1, s0
	s_mul_i32 s1, s25, s26
	s_add_i32 s3, s14, s3
	s_mul_i32 s2, s2, s10
	v_or_b32_e32 v14, v16, v14
	s_add_i32 s1, s0, s1
	s_add_i32 s3, s3, s2
	s_lshl_b64 s[14:15], s[44:45], 2
	v_xor_b32_e32 v39, v14, v15
	ds_read_b64 v[14:15], v30 offset:16384
	ds_read_b64 v[16:17], v39 offset:16384
	s_waitcnt lgkmcnt(2)
	v_mfma_f32_16x16x16_bf16 a[0:3], v[12:13], v[4:5], a[0:3]
	s_mul_i32 s0, s48, s26
	s_add_u32 s14, s18, s14
	s_addc_u32 s15, s19, s15
	s_lshl_b64 s[0:1], s[0:1], 2
	s_mul_i32 s2, s22, s10
	s_add_u32 s18, s14, s0
	s_addc_u32 s19, s15, s1
	s_lshl_b64 s[0:1], s[2:3], 2
	s_waitcnt lgkmcnt(1)
	v_mfma_f32_16x16x16_bf16 a[0:3], v[14:15], v[6:7], a[0:3]
	s_add_u32 s0, s18, s0
	s_addc_u32 s1, s19, s1
	s_load_dword s20, s[0:1], 0x0
	s_waitcnt lgkmcnt(0)
	v_mfma_f32_16x16x16_bf16 a[0:3], v[16:17], v[8:9], a[0:3]
	s_and_b64 vcc, exec, s[38:39]
	s_cbranch_vccz .LBB597_44
; %bb.34:
	v_lshlrev_b32_e32 v19, 1, v27
	s_and_b64 vcc, exec, s[4:5]
	s_cbranch_vccz .LBB597_45
; %bb.35:
	v_cmp_gt_i32_e32 vcc, s54, v19
	v_mov_b32_e32 v6, 0
	v_mov_b32_e32 v2, 0
	v_mov_b32_e32 v3, 0
	v_mov_b32_e32 v4, 0
	v_mov_b32_e32 v5, 0
	s_and_saveexec_b64 s[0:1], vcc
	s_cbranch_execz .LBB597_37
; %bb.36:
	v_mad_i64_i32 v[2:3], s[2:3], s23, v19, 0
	v_lshl_add_u64 v[2:3], v[2:3], 1, s[12:13]
	v_lshlrev_b32_e32 v4, 1, v18
	v_mov_b32_e32 v5, 0
	v_lshl_add_u64 v[2:3], v[2:3], 0, v[4:5]
	global_load_dwordx4 v[2:5], v[2:3], off
.LBB597_37:
	s_or_b64 exec, exec, s[0:1]
	v_or_b32_e32 v20, 1, v19
	v_cmp_gt_i32_e64 s[0:1], s54, v20
	v_mov_b32_e32 v7, 0
	v_mov_b32_e32 v8, 0
	;; [unrolled: 1-line block ×3, first 2 shown]
	s_and_saveexec_b64 s[2:3], s[0:1]
	s_cbranch_execz .LBB597_39
; %bb.38:
	v_mad_i64_i32 v[6:7], s[14:15], s23, v20, 0
	v_lshl_add_u64 v[6:7], v[6:7], 1, s[12:13]
	v_lshlrev_b32_e32 v8, 1, v18
	v_mov_b32_e32 v9, 0
	v_lshl_add_u64 v[6:7], v[6:7], 0, v[8:9]
	global_load_dwordx4 v[6:9], v[6:7], off
.LBB597_39:
	s_or_b64 exec, exec, s[2:3]
	v_mov_b32_e32 v17, 0
	v_mov_b32_e32 v10, 0
	;; [unrolled: 1-line block ×5, first 2 shown]
	s_and_saveexec_b64 s[2:3], vcc
	s_cbranch_execz .LBB597_41
; %bb.40:
	v_mad_i64_i32 v[10:11], s[14:15], s23, v19, 0
	v_lshl_add_u64 v[10:11], v[10:11], 1, s[12:13]
	v_lshlrev_b32_e32 v12, 1, v18
	v_mov_b32_e32 v13, 0
	v_lshl_add_u64 v[10:11], v[10:11], 0, v[12:13]
	global_load_dwordx4 v[10:13], v[10:11], off offset:128
.LBB597_41:
	s_or_b64 exec, exec, s[2:3]
	v_mov_b32_e32 v16, 0
	v_mov_b32_e32 v15, 0
	;; [unrolled: 1-line block ×3, first 2 shown]
	s_and_saveexec_b64 s[2:3], s[0:1]
	s_cbranch_execz .LBB597_43
; %bb.42:
	v_mad_i64_i32 v[14:15], s[0:1], s23, v20, 0
	v_lshl_add_u64 v[14:15], v[14:15], 1, s[12:13]
	v_lshlrev_b32_e32 v16, 1, v18
	v_mov_b32_e32 v17, 0
	v_lshl_add_u64 v[14:15], v[14:15], 0, v[16:17]
	global_load_dwordx4 v[14:17], v[14:15], off offset:128
.LBB597_43:
	s_or_b64 exec, exec, s[2:3]
	s_branch .LBB597_47
.LBB597_44:
                                        ; implicit-def: $vgpr5
                                        ; implicit-def: $vgpr9
                                        ; implicit-def: $vgpr13
                                        ; implicit-def: $vgpr17
	v_lshrrev_b32_e32 v19, 2, v61
	s_branch .LBB597_48
.LBB597_45:
                                        ; implicit-def: $vgpr5
                                        ; implicit-def: $vgpr9
                                        ; implicit-def: $vgpr13
                                        ; implicit-def: $vgpr17
	s_cbranch_execz .LBB597_47
; %bb.46:
	s_waitcnt vmcnt(0)
	v_mad_u64_u32 v[2:3], s[0:1], v19, s23, v[18:19]
	v_lshlrev_b32_e32 v19, 1, v2
	s_lshl_b32 s2, s23, 7
	s_and_b32 s1, s13, 0xffff
	s_mov_b32 s3, 0x20000
	s_mov_b32 s0, s12
	v_add_lshl_u32 v20, v2, s23, 1
	s_movk_i32 s14, 0x80
	buffer_load_dwordx4 v[2:5], v19, s[0:3], 0 offen
	buffer_load_dwordx4 v[10:13], v19, s[0:3], s14 offen
	;; [unrolled: 1-line block ×4, first 2 shown]
.LBB597_47:
	v_lshrrev_b32_e32 v19, 2, v61
	s_cbranch_execnz .LBB597_60
.LBB597_48:
	s_and_b64 vcc, exec, s[4:5]
	s_cbranch_vccz .LBB597_58
; %bb.49:
	s_waitcnt vmcnt(0)
	v_lshlrev_b32_e32 v7, 1, v27
	v_cmp_gt_i32_e32 vcc, s54, v7
	v_mov_b32_e32 v6, 0
	v_lshlrev_b32_e32 v14, 9, v27
	v_mov_b32_e32 v2, 0
	v_mov_b32_e32 v3, 0
	;; [unrolled: 1-line block ×4, first 2 shown]
	s_and_saveexec_b64 s[0:1], vcc
	s_cbranch_execz .LBB597_51
; %bb.50:
	v_mov_b32_e32 v15, 0
	v_lshl_add_u64 v[2:3], s[12:13], 0, v[14:15]
	v_lshlrev_b32_e32 v4, 1, v18
	v_mov_b32_e32 v5, v15
	v_lshl_add_u64 v[2:3], v[2:3], 0, v[4:5]
	global_load_dwordx4 v[2:5], v[2:3], off
.LBB597_51:
	s_or_b64 exec, exec, s[0:1]
	v_or_b32_e32 v7, 1, v7
	v_cmp_gt_i32_e64 s[0:1], s54, v7
	v_lshlrev_b32_e32 v20, 8, v7
	v_mov_b32_e32 v7, 0
	v_mov_b32_e32 v8, 0
	;; [unrolled: 1-line block ×3, first 2 shown]
	s_and_saveexec_b64 s[2:3], s[0:1]
	s_cbranch_execz .LBB597_53
; %bb.52:
	v_mov_b32_e32 v21, 0
	v_lshl_add_u64 v[6:7], s[12:13], 0, v[20:21]
	v_lshlrev_b32_e32 v8, 1, v18
	v_mov_b32_e32 v9, v21
	v_lshl_add_u64 v[6:7], v[6:7], 0, v[8:9]
	global_load_dwordx4 v[6:9], v[6:7], off
.LBB597_53:
	s_or_b64 exec, exec, s[2:3]
	v_mov_b32_e32 v17, 0
	v_mov_b32_e32 v10, 0
	v_mov_b32_e32 v11, 0
	v_mov_b32_e32 v12, 0
	v_mov_b32_e32 v13, 0
	s_and_saveexec_b64 s[2:3], vcc
	s_cbranch_execz .LBB597_55
; %bb.54:
	v_mov_b32_e32 v15, 0
	v_lshl_add_u64 v[10:11], s[12:13], 0, v[14:15]
	v_lshlrev_b32_e32 v14, 1, v18
	v_lshl_add_u64 v[10:11], v[10:11], 0, v[14:15]
	global_load_dwordx4 v[10:13], v[10:11], off offset:128
.LBB597_55:
	s_or_b64 exec, exec, s[2:3]
	v_mov_b32_e32 v16, 0
	v_mov_b32_e32 v15, 0
	;; [unrolled: 1-line block ×3, first 2 shown]
	s_and_saveexec_b64 s[2:3], s[0:1]
	s_cbranch_execz .LBB597_57
; %bb.56:
	v_mov_b32_e32 v21, 0
	v_lshl_add_u64 v[14:15], s[12:13], 0, v[20:21]
	v_lshlrev_b32_e32 v20, 1, v18
	v_lshl_add_u64 v[14:15], v[14:15], 0, v[20:21]
	global_load_dwordx4 v[14:17], v[14:15], off offset:128
.LBB597_57:
	s_or_b64 exec, exec, s[2:3]
	s_branch .LBB597_60
.LBB597_58:
                                        ; implicit-def: $vgpr5
                                        ; implicit-def: $vgpr9
                                        ; implicit-def: $vgpr13
                                        ; implicit-def: $vgpr17
	s_cbranch_execz .LBB597_60
; %bb.59:
	s_waitcnt vmcnt(0)
	v_lshlrev_b32_e32 v2, 1, v18
	v_lshl_or_b32 v18, v27, 9, v2
	s_and_b32 s13, s13, 0xffff
	s_mov_b32 s15, 0x20000
	s_movk_i32 s14, 0x4000
	s_movk_i32 s0, 0x80
	buffer_load_dwordx4 v[2:5], v18, s[12:15], 0 offen
	buffer_load_dwordx4 v[6:9], v18, s[12:15], 0 offen offset:256
	buffer_load_dwordx4 v[10:13], v18, s[12:15], s0 offen
	buffer_load_dwordx4 v[14:17], v18, s[12:15], s0 offen offset:256
.LBB597_60:
	v_and_b32_e32 v40, 12, v19
	ds_read2st64_b64 v[22:25], v38 offset0:76 offset1:77
	ds_read2st64_b64 v[18:21], v38 offset0:78 offset1:79
	ds_read_b64 v[34:35], v28 offset:24576
	ds_read_b64 v[32:33], v29 offset:24576
	;; [unrolled: 1-line block ×4, first 2 shown]
	v_and_b32_e32 v39, 6, v0
	v_xor_b32_e32 v27, v27, v39
	v_lshlrev_b32_e32 v27, 2, v27
	v_and_b32_e32 v41, 1, v0
	v_xor_b32_e32 v42, 0x440, v27
	v_cmp_eq_u32_e32 vcc, 0, v41
	s_mov_b32 s0, 0x1000504
	s_waitcnt vmcnt(0)
	v_perm_b32 v41, v10, v14, s0
	v_cndmask_b32_e32 v27, v42, v27, vcc
	v_lshl_or_b32 v27, v39, 10, v27
	v_perm_b32 v39, v2, v6, s0
	ds_write2st64_b32 v27, v39, v41 offset1:32
	v_xor_b32_e32 v39, 8, v27
	s_mov_b32 s1, 0x3020706
	v_perm_b32 v2, v2, v6, s1
	v_perm_b32 v6, v10, v14, s1
	v_add_u32_e32 v10, 0x80, v39
	ds_write2st64_b32 v10, v2, v6 offset1:32
	v_xor_b32_e32 v2, 16, v27
	v_perm_b32 v6, v3, v7, s0
	v_perm_b32 v10, v11, v15, s0
	ds_write2st64_b32 v2, v6, v10 offset0:1 offset1:33
	v_xor_b32_e32 v2, 24, v27
	v_perm_b32 v3, v3, v7, s1
	v_perm_b32 v6, v11, v15, s1
	v_add_u32_e32 v2, 0x80, v2
	ds_write2st64_b32 v2, v3, v6 offset0:1 offset1:33
	v_xor_b32_e32 v2, 32, v27
	v_perm_b32 v3, v4, v8, s0
	v_perm_b32 v6, v12, v16, s0
	ds_write2st64_b32 v2, v3, v6 offset0:2 offset1:34
	v_xor_b32_e32 v2, 40, v27
	v_perm_b32 v3, v4, v8, s1
	v_perm_b32 v4, v12, v16, s1
	v_add_u32_e32 v2, 0x80, v2
	ds_write2st64_b32 v2, v3, v4 offset0:2 offset1:34
	v_xor_b32_e32 v2, 48, v27
	v_perm_b32 v3, v5, v9, s0
	v_perm_b32 v4, v13, v17, s0
	ds_write2st64_b32 v2, v3, v4 offset0:3 offset1:35
	v_xor_b32_e32 v2, 56, v27
	v_or_b32_e32 v10, v40, v60
	v_perm_b32 v3, v5, v9, s1
	v_perm_b32 v4, v13, v17, s1
	v_add_u32_e32 v2, 0x80, v2
	v_cmp_gt_i32_e64 s[0:1], s54, v10
	v_mov_b32_e32 v12, 0
	v_mov_b32_e32 v16, 0
	ds_write2st64_b32 v2, v3, v4 offset0:3 offset1:35
	s_and_saveexec_b64 s[2:3], s[0:1]
	s_cbranch_execz .LBB597_62
; %bb.61:
	v_add_u32_e32 v2, s24, v10
	v_ashrrev_i32_e32 v3, 31, v2
	v_mul_lo_u32 v4, v3, s10
	v_mul_lo_u32 v5, v2, s11
	v_mad_u64_u32 v[2:3], s[4:5], v2, s10, 0
	v_add3_u32 v3, v3, v5, v4
	v_lshl_add_u64 v[2:3], v[2:3], 2, s[18:19]
	global_load_dword v2, v[2:3], off
	s_waitcnt vmcnt(0)
	v_sub_f32_e32 v2, s20, v2
	v_mul_f32_e32 v2, 0x3fb8aa3b, v2
	v_exp_f32_e32 v16, v2
.LBB597_62:
	s_or_b64 exec, exec, s[2:3]
	v_or_b32_e32 v15, 1, v10
	v_cmp_gt_i32_e64 s[4:5], s54, v15
	s_and_saveexec_b64 s[2:3], s[4:5]
	s_cbranch_execz .LBB597_64
; %bb.63:
	v_add_u32_e32 v2, s24, v15
	v_ashrrev_i32_e32 v3, 31, v2
	v_mul_lo_u32 v4, v3, s10
	v_mul_lo_u32 v5, v2, s11
	v_mad_u64_u32 v[2:3], s[12:13], v2, s10, 0
	v_add3_u32 v3, v3, v5, v4
	v_lshl_add_u64 v[2:3], v[2:3], 2, s[18:19]
	global_load_dword v2, v[2:3], off
	s_waitcnt vmcnt(0)
	v_sub_f32_e32 v2, s20, v2
	v_mul_f32_e32 v2, 0x3fb8aa3b, v2
	v_exp_f32_e32 v12, v2
.LBB597_64:
	s_or_b64 exec, exec, s[2:3]
	v_or_b32_e32 v14, 2, v10
	v_cmp_gt_i32_e64 s[2:3], s54, v14
	v_mov_b32_e32 v11, 0
	v_mov_b32_e32 v17, 0
	s_and_saveexec_b64 s[12:13], s[2:3]
	s_cbranch_execz .LBB597_66
; %bb.65:
	v_add_u32_e32 v2, s24, v14
	v_ashrrev_i32_e32 v3, 31, v2
	v_mul_lo_u32 v4, v3, s10
	v_mul_lo_u32 v5, v2, s11
	v_mad_u64_u32 v[2:3], s[14:15], v2, s10, 0
	v_add3_u32 v3, v3, v5, v4
	v_lshl_add_u64 v[2:3], v[2:3], 2, s[18:19]
	global_load_dword v2, v[2:3], off
	s_waitcnt vmcnt(0)
	v_sub_f32_e32 v2, s20, v2
	v_mul_f32_e32 v2, 0x3fb8aa3b, v2
	v_exp_f32_e32 v17, v2
.LBB597_66:
	s_or_b64 exec, exec, s[12:13]
	v_or_b32_e32 v13, 3, v10
	v_cmp_gt_i32_e32 vcc, s54, v13
	s_and_saveexec_b64 s[12:13], vcc
	s_cbranch_execz .LBB597_68
; %bb.67:
	v_add_u32_e32 v2, s24, v13
	v_ashrrev_i32_e32 v3, 31, v2
	v_mul_lo_u32 v4, v3, s10
	v_mul_lo_u32 v5, v2, s11
	v_mad_u64_u32 v[2:3], s[10:11], v2, s10, 0
	v_add3_u32 v3, v3, v5, v4
	v_lshl_add_u64 v[2:3], v[2:3], 2, s[18:19]
	global_load_dword v2, v[2:3], off
	s_waitcnt vmcnt(0)
	v_sub_f32_e32 v2, s20, v2
	v_mul_f32_e32 v2, 0x3fb8aa3b, v2
	v_exp_f32_e32 v11, v2
.LBB597_68:
	s_or_b64 exec, exec, s[12:13]
	s_waitcnt lgkmcnt(11)
	v_mfma_f32_16x16x16_bf16 a[0:3], v[34:35], v[22:23], a[0:3]
	s_add_u32 s10, s16, s36
	s_addc_u32 s11, s17, s37
	v_ashrrev_i32_e32 v27, 31, v26
	s_waitcnt lgkmcnt(10)
	v_mfma_f32_16x16x16_bf16 a[0:3], v[32:33], v[24:25], a[0:3]
	s_add_u32 s6, s6, s36
	v_lshlrev_b64 v[2:3], 1, v[26:27]
	s_addc_u32 s7, s7, s37
	s_waitcnt lgkmcnt(9)
	v_mfma_f32_16x16x16_bf16 a[0:3], v[30:31], v[18:19], a[0:3]
	v_lshl_add_u64 v[6:7], s[10:11], 0, v[2:3]
	v_lshl_add_u64 v[8:9], s[6:7], 0, v[2:3]
	v_mov_b32_e32 v18, 0
	s_waitcnt lgkmcnt(8)
	v_mfma_f32_16x16x16_bf16 a[0:3], v[28:29], v[20:21], a[0:3]
	v_mov_b32_e32 v19, 0
	s_nop 5
	v_accvgpr_read_b32 v5, a3
	v_accvgpr_read_b32 v4, a2
	;; [unrolled: 1-line block ×4, first 2 shown]
	s_and_saveexec_b64 s[6:7], s[0:1]
	s_cbranch_execz .LBB597_70
; %bb.69:
	v_lshlrev_b32_e32 v20, 8, v10
	v_mov_b32_e32 v21, 0
	v_lshl_add_u64 v[22:23], v[6:7], 0, v[20:21]
	global_load_ushort v19, v[22:23], off
	v_lshl_add_u64 v[20:21], v[8:9], 0, v[20:21]
	s_waitcnt vmcnt(0)
	v_lshlrev_b32_e32 v19, 16, v19
	v_sub_f32_e32 v2, v19, v2
	global_store_short_d16_hi v[20:21], v2, off
	v_mul_f32_e32 v2, v16, v2
	v_lshrrev_b32_e32 v19, 16, v2
.LBB597_70:
	s_or_b64 exec, exec, s[6:7]
	s_and_saveexec_b64 s[0:1], s[4:5]
	s_cbranch_execz .LBB597_72
; %bb.71:
	v_lshlrev_b32_e32 v20, 8, v15
	v_mov_b32_e32 v21, 0
	v_lshl_add_u64 v[22:23], v[6:7], 0, v[20:21]
	global_load_ushort v2, v[22:23], off
	v_lshl_add_u64 v[20:21], v[8:9], 0, v[20:21]
	s_waitcnt vmcnt(0)
	v_lshlrev_b32_e32 v2, 16, v2
	v_sub_f32_e32 v2, v2, v3
	global_store_short_d16_hi v[20:21], v2, off
	v_mul_f32_e32 v2, v12, v2
	v_lshrrev_b32_e32 v18, 16, v2
.LBB597_72:
	s_or_b64 exec, exec, s[0:1]
	v_mov_b32_e32 v3, 0
	v_mov_b32_e32 v12, 0
	s_and_saveexec_b64 s[0:1], s[2:3]
	s_cbranch_execz .LBB597_74
; %bb.73:
	v_lshlrev_b32_e32 v14, 8, v14
	v_mov_b32_e32 v15, 0
	v_lshl_add_u64 v[20:21], v[6:7], 0, v[14:15]
	global_load_ushort v2, v[20:21], off
	v_lshl_add_u64 v[14:15], v[8:9], 0, v[14:15]
	s_waitcnt vmcnt(0)
	v_lshlrev_b32_e32 v2, 16, v2
	v_sub_f32_e32 v2, v2, v4
	global_store_short_d16_hi v[14:15], v2, off
	v_mul_f32_e32 v2, v17, v2
	v_lshrrev_b32_e32 v12, 16, v2
.LBB597_74:
	s_or_b64 exec, exec, s[0:1]
	v_or_b32_e32 v2, 0x9800, v38
	s_and_saveexec_b64 s[0:1], vcc
	s_cbranch_execz .LBB597_76
; %bb.75:
	v_lshlrev_b32_e32 v14, 8, v13
	v_mov_b32_e32 v15, 0
	v_lshl_add_u64 v[6:7], v[6:7], 0, v[14:15]
	global_load_ushort v3, v[6:7], off
	v_lshl_add_u64 v[6:7], v[8:9], 0, v[14:15]
	s_waitcnt vmcnt(0)
	v_lshlrev_b32_e32 v3, 16, v3
	v_sub_f32_e32 v3, v3, v5
	global_store_short_d16_hi v[6:7], v3, off
	v_mul_f32_e32 v3, v11, v3
	v_lshrrev_b32_e32 v3, 16, v3
.LBB597_76:
	s_or_b64 exec, exec, s[0:1]
	s_mov_b32 s0, 0x5040100
	v_perm_b32 v5, v3, v12, s0
	v_lshlrev_b32_e32 v3, 1, v36
	v_perm_b32 v4, v18, v19, s0
	v_lshl_or_b32 v3, v10, 5, v3
	s_movk_i32 s2, 0xff
	ds_write_b64 v3, v[4:5] offset:38912
	v_and_b32_e32 v3, 7, v0
	v_cmp_lt_u32_e32 vcc, s2, v0
	v_and_b32_e32 v4, 8, v0
	v_lshlrev_b32_e32 v12, 3, v3
	v_lshlrev_b32_e32 v24, 7, v3
	v_cndmask_b32_e64 v3, 0, 1, vcc
	v_lshrrev_b32_e32 v0, 1, v0
	v_lshlrev_b32_e32 v14, 13, v3
	v_lshlrev_b32_e32 v3, 3, v45
	v_and_b32_e32 v0, 24, v0
	v_xor_b32_e32 v5, v3, v0
	v_or_b32_e32 v6, 0x440, v5
	v_cmp_eq_u32_e32 vcc, 0, v4
	s_mul_i32 s0, s22, s21
	s_mul_hi_i32 s1, s22, s21
	v_cndmask_b32_e32 v4, v6, v5, vcc
	v_or_b32_e32 v4, v4, v37
	v_xor_b32_e32 v25, v4, v12
	v_or_b32_e32 v4, 32, v0
	v_xor_b32_e32 v4, v3, v4
	v_or_b32_e32 v5, 0x440, v4
	v_cndmask_b32_e32 v4, v5, v4, vcc
	v_or_b32_e32 v4, v4, v37
	v_xor_b32_e32 v27, v4, v12
	v_or_b32_e32 v4, 64, v0
	v_xor_b32_e32 v4, v3, v4
	v_xor_b32_e32 v5, 0x440, v4
	v_cndmask_b32_e32 v4, v5, v4, vcc
	v_or_b32_e32 v0, 0x60, v0
	s_add_u32 s0, s0, s48
	v_add3_u32 v15, v14, v25, v24
	v_or_b32_e32 v4, v4, v37
	v_xor_b32_e32 v0, v3, v0
	s_waitcnt lgkmcnt(0)
	s_barrier
	s_addc_u32 s1, s1, s25
	v_lshlrev_b32_e32 v13, 2, v10
	v_xor_b32_e32 v28, v4, v12
	ds_read2st64_b64 v[4:7], v2 offset1:1
	ds_read2st64_b64 v[8:11], v2 offset0:2 offset1:3
	ds_read_b64 v[2:3], v15
	v_xor_b32_e32 v15, 0x440, v0
	s_lshl_b64 s[0:1], s[0:1], 9
	v_cndmask_b32_e32 v0, v15, v0, vcc
	s_add_u32 s0, s40, s0
	v_or_b32_e32 v0, v0, v37
	s_addc_u32 s1, s41, s1
	v_add3_u32 v16, v14, v27, v24
	v_xor_b32_e32 v29, v0, v12
	v_add3_u32 v18, v14, v28, v24
	v_add3_u32 v0, v14, v29, v24
	ds_read_b64 v[16:17], v16
	ds_read_b64 v[20:21], v18
	;; [unrolled: 1-line block ×3, first 2 shown]
	global_load_dwordx4 v[12:15], v13, s[0:1]
	s_waitcnt lgkmcnt(3)
	v_mfma_f32_16x16x16_bf16 a[0:3], v[2:3], v[4:5], 0
	v_lshlrev_b32_e32 v0, 6, v45
	v_lshlrev_b32_e32 v2, 2, v40
	s_movk_i32 s2, 0x100
	v_or3_b32 v0, v0, v2, s2
	s_waitcnt lgkmcnt(2)
	v_mfma_f32_16x16x16_bf16 a[0:3], v[16:17], v[6:7], a[0:3]
	global_load_dwordx4 v[16:19], v0, s[0:1]
	v_mov_b32_e32 v0, 0x3fb8aa3b
	v_mul_f32_e32 v0, s20, v0
	s_waitcnt lgkmcnt(1)
	v_mfma_f32_16x16x16_bf16 a[0:3], v[20:21], v[8:9], a[0:3]
	v_exp_f32_e32 v0, v0
	v_add_u32_e32 v25, v25, v24
	v_add_u32_e32 v27, v27, v24
	s_waitcnt lgkmcnt(0)
	v_mfma_f32_16x16x16_bf16 a[0:3], v[22:23], v[10:11], a[0:3]
	ds_read_b64 v[22:23], v25 offset:8192
	s_waitcnt vmcnt(1)
	v_mul_f32_e32 v12, 0x3fb8aa3b, v12
	v_mul_f32_e32 v13, 0x3fb8aa3b, v13
	v_exp_f32_e32 v12, v12
	v_exp_f32_e32 v13, v13
	s_nop 0
	v_accvgpr_read_b32 v21, a1
	v_accvgpr_read_b32 v20, a0
	v_mul_f32_e32 v14, 0x3fb8aa3b, v14
	v_pk_mul_f32 v[12:13], v[0:1], v[12:13] op_sel_hi:[0,1]
	v_pk_fma_f32 v[46:47], v[46:47], v[12:13], v[20:21]
	ds_read_b64 v[12:13], v27 offset:8192
	v_mul_f32_e32 v15, 0x3fb8aa3b, v15
	v_exp_f32_e32 v14, v14
	v_exp_f32_e32 v15, v15
	v_accvgpr_read_b32 v3, a3
	v_accvgpr_read_b32 v2, a2
	s_waitcnt lgkmcnt(1)
	v_mfma_f32_16x16x16_bf16 a[0:3], v[22:23], v[4:5], 0
	v_pk_mul_f32 v[14:15], v[0:1], v[14:15] op_sel_hi:[0,1]
	v_pk_fma_f32 v[52:53], v[52:53], v[14:15], v[2:3]
	v_add_u32_e32 v2, v28, v24
	v_add_u32_e32 v3, v29, v24
	ds_read_b64 v[14:15], v2 offset:8192
	ds_read_b64 v[20:21], v3 offset:8192
	s_waitcnt lgkmcnt(2)
	v_mfma_f32_16x16x16_bf16 a[0:3], v[12:13], v[6:7], a[0:3]
	s_waitcnt vmcnt(0)
	v_mov_b32_e32 v2, v17
	v_mov_b32_e32 v3, v18
	;; [unrolled: 1-line block ×3, first 2 shown]
	s_waitcnt lgkmcnt(1)
	v_mfma_f32_16x16x16_bf16 a[0:3], v[14:15], v[8:9], a[0:3]
	v_mul_f32_e32 v2, 0x3fb8aa3b, v2
	v_mul_f32_e32 v5, 0x3fb8aa3b, v16
	v_exp_f32_e32 v17, v2
	v_mul_f32_e32 v2, 0x3fb8aa3b, v3
	v_mul_f32_e32 v3, 0x3fb8aa3b, v4
	s_waitcnt lgkmcnt(0)
	v_mfma_f32_16x16x16_bf16 a[0:3], v[20:21], v[10:11], a[0:3]
	v_exp_f32_e32 v16, v5
	v_exp_f32_e32 v2, v2
	;; [unrolled: 1-line block ×3, first 2 shown]
	v_pk_mul_f32 v[6:7], v[0:1], v[16:17] op_sel_hi:[0,1]
	v_pk_mul_f32 v[2:3], v[0:1], v[2:3] op_sel_hi:[0,1]
	s_nop 1
	v_accvgpr_read_b32 v9, a1
	v_accvgpr_read_b32 v5, a3
	;; [unrolled: 1-line block ×4, first 2 shown]
	v_pk_fma_f32 v[50:51], v[50:51], v[6:7], v[8:9]
	v_pk_fma_f32 v[48:49], v[48:49], v[2:3], v[4:5]
	v_mov_b32_e32 v2, v26
.LBB597_77:
	s_mul_i32 s0, s49, s35
	s_mul_hi_u32 s1, s49, s34
	s_add_i32 s0, s1, s0
	s_mul_i32 s1, s33, s34
	s_add_i32 s1, s0, s1
	s_mul_i32 s0, s49, s34
	s_add_u32 s0, s0, s48
	s_addc_u32 s1, s1, s25
	s_lshl_b64 s[0:1], s[0:1], 15
	s_add_u32 s0, s8, s0
	v_lshlrev_b32_e32 v2, 7, v2
	s_addc_u32 s1, s9, s1
	v_ashrrev_i32_e32 v3, 31, v2
	v_lshl_add_u64 v[2:3], v[2:3], 1, s[0:1]
	v_lshlrev_b32_e32 v0, 1, v1
	v_mov_b32_e32 v1, 0
	s_mov_b32 s0, 0x7060302
	v_lshl_add_u64 v[0:1], v[2:3], 0, v[0:1]
	v_perm_b32 v3, v53, v52, s0
	v_perm_b32 v2, v47, v46, s0
	global_store_dwordx2 v[0:1], v[2:3], off
	v_perm_b32 v3, v49, v48, s0
	v_perm_b32 v2, v51, v50, s0
	global_store_dwordx2 v[0:1], v[2:3], off offset:128
	s_endpgm
	.section	.rodata,"a",@progbits
	.p2align	6, 0x0
	.amdhsa_kernel _ZN12_GLOBAL__N_139chunk_gated_delta_rule_fwd_h_hip_kernelILi16ELb0ELb1ELb1ELb1ELb0ELb1ELb0ELb1EEEvPK12hip_bfloat16S3_S3_PKfS5_PKvPS1_S8_PvPKiSB_iiiiilll
		.amdhsa_group_segment_fixed_size 40960
		.amdhsa_private_segment_fixed_size 0
		.amdhsa_kernarg_size 136
		.amdhsa_user_sgpr_count 2
		.amdhsa_user_sgpr_dispatch_ptr 0
		.amdhsa_user_sgpr_queue_ptr 0
		.amdhsa_user_sgpr_kernarg_segment_ptr 1
		.amdhsa_user_sgpr_dispatch_id 0
		.amdhsa_user_sgpr_kernarg_preload_length 0
		.amdhsa_user_sgpr_kernarg_preload_offset 0
		.amdhsa_user_sgpr_private_segment_size 0
		.amdhsa_uses_dynamic_stack 0
		.amdhsa_enable_private_segment 0
		.amdhsa_system_sgpr_workgroup_id_x 1
		.amdhsa_system_sgpr_workgroup_id_y 1
		.amdhsa_system_sgpr_workgroup_id_z 0
		.amdhsa_system_sgpr_workgroup_info 0
		.amdhsa_system_vgpr_workitem_id 0
		.amdhsa_next_free_vgpr 128
		.amdhsa_next_free_sgpr 70
		.amdhsa_accum_offset 116
		.amdhsa_reserve_vcc 1
		.amdhsa_float_round_mode_32 0
		.amdhsa_float_round_mode_16_64 0
		.amdhsa_float_denorm_mode_32 3
		.amdhsa_float_denorm_mode_16_64 3
		.amdhsa_dx10_clamp 1
		.amdhsa_ieee_mode 1
		.amdhsa_fp16_overflow 0
		.amdhsa_tg_split 0
		.amdhsa_exception_fp_ieee_invalid_op 0
		.amdhsa_exception_fp_denorm_src 0
		.amdhsa_exception_fp_ieee_div_zero 0
		.amdhsa_exception_fp_ieee_overflow 0
		.amdhsa_exception_fp_ieee_underflow 0
		.amdhsa_exception_fp_ieee_inexact 0
		.amdhsa_exception_int_div_zero 0
	.end_amdhsa_kernel
	.section	.text._ZN12_GLOBAL__N_139chunk_gated_delta_rule_fwd_h_hip_kernelILi16ELb0ELb1ELb1ELb1ELb0ELb1ELb0ELb1EEEvPK12hip_bfloat16S3_S3_PKfS5_PKvPS1_S8_PvPKiSB_iiiiilll,"axG",@progbits,_ZN12_GLOBAL__N_139chunk_gated_delta_rule_fwd_h_hip_kernelILi16ELb0ELb1ELb1ELb1ELb0ELb1ELb0ELb1EEEvPK12hip_bfloat16S3_S3_PKfS5_PKvPS1_S8_PvPKiSB_iiiiilll,comdat
.Lfunc_end597:
	.size	_ZN12_GLOBAL__N_139chunk_gated_delta_rule_fwd_h_hip_kernelILi16ELb0ELb1ELb1ELb1ELb0ELb1ELb0ELb1EEEvPK12hip_bfloat16S3_S3_PKfS5_PKvPS1_S8_PvPKiSB_iiiiilll, .Lfunc_end597-_ZN12_GLOBAL__N_139chunk_gated_delta_rule_fwd_h_hip_kernelILi16ELb0ELb1ELb1ELb1ELb0ELb1ELb0ELb1EEEvPK12hip_bfloat16S3_S3_PKfS5_PKvPS1_S8_PvPKiSB_iiiiilll
                                        ; -- End function
	.section	.AMDGPU.csdata,"",@progbits
; Kernel info:
; codeLenInByte = 8348
; NumSgprs: 76
; NumVgprs: 116
; NumAgprs: 12
; TotalNumVgprs: 128
; ScratchSize: 0
; MemoryBound: 0
; FloatMode: 240
; IeeeMode: 1
; LDSByteSize: 40960 bytes/workgroup (compile time only)
; SGPRBlocks: 9
; VGPRBlocks: 15
; NumSGPRsForWavesPerEU: 76
; NumVGPRsForWavesPerEU: 128
; AccumOffset: 116
; Occupancy: 1
; WaveLimiterHint : 1
; COMPUTE_PGM_RSRC2:SCRATCH_EN: 0
; COMPUTE_PGM_RSRC2:USER_SGPR: 2
; COMPUTE_PGM_RSRC2:TRAP_HANDLER: 0
; COMPUTE_PGM_RSRC2:TGID_X_EN: 1
; COMPUTE_PGM_RSRC2:TGID_Y_EN: 1
; COMPUTE_PGM_RSRC2:TGID_Z_EN: 0
; COMPUTE_PGM_RSRC2:TIDIG_COMP_CNT: 0
; COMPUTE_PGM_RSRC3_GFX90A:ACCUM_OFFSET: 28
; COMPUTE_PGM_RSRC3_GFX90A:TG_SPLIT: 0
	.section	.text._ZN12_GLOBAL__N_139chunk_gated_delta_rule_fwd_h_hip_kernelILi16ELb0ELb1ELb0ELb1ELb0ELb1ELb0ELb1EEEvPK12hip_bfloat16S3_S3_PKfS5_PKvPS1_S8_PvPKiSB_iiiiilll,"axG",@progbits,_ZN12_GLOBAL__N_139chunk_gated_delta_rule_fwd_h_hip_kernelILi16ELb0ELb1ELb0ELb1ELb0ELb1ELb0ELb1EEEvPK12hip_bfloat16S3_S3_PKfS5_PKvPS1_S8_PvPKiSB_iiiiilll,comdat
	.globl	_ZN12_GLOBAL__N_139chunk_gated_delta_rule_fwd_h_hip_kernelILi16ELb0ELb1ELb0ELb1ELb0ELb1ELb0ELb1EEEvPK12hip_bfloat16S3_S3_PKfS5_PKvPS1_S8_PvPKiSB_iiiiilll ; -- Begin function _ZN12_GLOBAL__N_139chunk_gated_delta_rule_fwd_h_hip_kernelILi16ELb0ELb1ELb0ELb1ELb0ELb1ELb0ELb1EEEvPK12hip_bfloat16S3_S3_PKfS5_PKvPS1_S8_PvPKiSB_iiiiilll
	.p2align	8
	.type	_ZN12_GLOBAL__N_139chunk_gated_delta_rule_fwd_h_hip_kernelILi16ELb0ELb1ELb0ELb1ELb0ELb1ELb0ELb1EEEvPK12hip_bfloat16S3_S3_PKfS5_PKvPS1_S8_PvPKiSB_iiiiilll,@function
_ZN12_GLOBAL__N_139chunk_gated_delta_rule_fwd_h_hip_kernelILi16ELb0ELb1ELb0ELb1ELb0ELb1ELb0ELb1EEEvPK12hip_bfloat16S3_S3_PKfS5_PKvPS1_S8_PvPKiSB_iiiiilll: ; @_ZN12_GLOBAL__N_139chunk_gated_delta_rule_fwd_h_hip_kernelILi16ELb0ELb1ELb0ELb1ELb0ELb1ELb0ELb1EEEvPK12hip_bfloat16S3_S3_PKfS5_PKvPS1_S8_PvPKiSB_iiiiilll
; %bb.0:
	s_load_dwordx4 s[16:19], s[0:1], 0x5c
	s_load_dwordx4 s[20:23], s[0:1], 0x70
	s_abs_i32 s27, s3
	s_ashr_i32 s26, s3, 31
	s_load_dwordx8 s[4:11], s[0:1], 0x0
	s_load_dwordx2 s[36:37], s[0:1], 0x20
	s_load_dwordx2 s[42:43], s[0:1], 0x30
	s_waitcnt lgkmcnt(0)
	s_abs_i32 s28, s17
	v_cvt_f32_u32_e32 v1, s28
	s_sub_i32 s29, 0, s28
	s_ashr_i32 s33, s17, 31
	s_xor_b32 s26, s26, s33
	v_rcp_iflag_f32_e32 v1, v1
	s_load_dwordx4 s[12:15], s[0:1], 0x40
	s_load_dwordx2 s[24:25], s[0:1], 0x50
	v_lshrrev_b32_e32 v45, 6, v0
	v_bfe_u32 v60, v0, 4, 2
	v_mul_f32_e32 v1, 0x4f7ffffe, v1
	v_cvt_u32_f32_e32 v1, v1
	v_lshlrev_b32_e32 v58, 4, v45
	v_lshlrev_b32_e32 v2, 2, v60
	v_and_b32_e32 v59, 63, v0
	v_readfirstlane_b32 s30, v1
	s_mul_i32 s29, s29, s30
	s_mul_hi_u32 s29, s30, s29
	s_add_i32 s30, s30, s29
	s_mul_hi_u32 s29, s27, s30
	s_mul_i32 s30, s29, s28
	s_sub_i32 s27, s27, s30
	s_add_i32 s30, s29, 1
	s_sub_i32 s31, s27, s28
	s_cmp_ge_u32 s27, s28
	s_cselect_b32 s29, s30, s29
	s_cselect_b32 s27, s31, s27
	s_add_i32 s30, s29, 1
	s_cmp_ge_u32 s27, s28
	s_cselect_b32 s27, s30, s29
	s_xor_b32 s27, s27, s26
	s_sub_i32 s34, s27, s26
	s_mul_i32 s26, s34, s17
	s_ashr_i32 s35, s34, 31
	s_sub_i32 s46, s3, s26
	s_lshl_b64 s[26:27], s[34:35], 2
	s_waitcnt lgkmcnt(0)
	s_add_u32 s14, s14, s26
	s_addc_u32 s15, s15, s27
	s_add_u32 s24, s24, s26
	s_addc_u32 s25, s25, s27
	s_abs_i32 s3, s18
	v_cvt_f32_u32_e32 v1, s3
	s_load_dwordx2 s[38:39], s[14:15], 0x0
	s_sub_i32 s15, 0, s3
	s_load_dword s53, s[24:25], 0x0
	v_rcp_iflag_f32_e32 v1, v1
	v_mov_b32_e32 v49, 0
	s_waitcnt lgkmcnt(0)
	s_sub_i32 s51, s39, s38
	s_ashr_i32 s14, s51, 31
	v_mul_f32_e32 v1, 0x4f7ffffe, v1
	v_cvt_u32_f32_e32 v1, v1
	s_lshr_b32 s14, s14, 26
	s_add_i32 s14, s51, s14
	s_ashr_i32 s52, s14, 6
	v_readfirstlane_b32 s26, v1
	s_mul_i32 s15, s15, s26
	s_mul_hi_u32 s15, s26, s15
	s_add_i32 s26, s26, s15
	s_mul_hi_u32 s15, s28, s26
	s_mul_i32 s26, s15, s3
	s_ashr_i32 s14, s18, 31
	s_sub_i32 s26, s28, s26
	s_xor_b32 s14, s33, s14
	s_add_i32 s27, s15, 1
	s_sub_i32 s28, s26, s3
	s_cmp_ge_u32 s26, s3
	s_cselect_b32 s15, s27, s15
	s_cselect_b32 s26, s28, s26
	s_add_i32 s27, s15, 1
	s_cmp_ge_u32 s26, s3
	s_cselect_b32 s3, s27, s15
	s_xor_b32 s3, s3, s14
	s_sub_i32 s3, s3, s14
	s_abs_i32 s26, s3
	v_cvt_f32_u32_e32 v1, s26
	s_load_dwordx2 s[14:15], s[0:1], 0x80
	s_xor_b32 s0, s46, s3
	s_sub_i32 s3, 0, s26
	v_rcp_iflag_f32_e32 v1, v1
	s_abs_i32 s1, s46
	s_ashr_i32 s0, s0, 31
	s_mov_b32 s47, s17
	v_mul_f32_e32 v1, 0x4f7ffffe, v1
	v_cvt_u32_f32_e32 v1, v1
	v_and_b32_e32 v61, 15, v0
	s_mul_hi_i32 s54, s46, s16
	s_mul_i32 s55, s46, s16
	v_readfirstlane_b32 s24, v1
	s_mul_i32 s3, s3, s24
	s_mul_hi_u32 s3, s24, s3
	s_add_i32 s24, s24, s3
	s_mul_hi_u32 s3, s1, s24
	s_mul_i32 s24, s3, s26
	s_sub_i32 s1, s1, s24
	s_add_i32 s24, s3, 1
	s_sub_i32 s25, s1, s26
	s_cmp_ge_u32 s1, s26
	s_cselect_b32 s3, s24, s3
	s_cselect_b32 s1, s25, s1
	s_add_i32 s24, s3, 1
	s_cmp_ge_u32 s1, s26
	s_cselect_b32 s1, s24, s3
	s_xor_b32 s1, s1, s0
	s_sub_i32 s56, s1, s0
	v_or_b32_e32 v1, v2, v58
	s_lshl_b32 s2, s2, 4
	v_or_b32_e32 v64, 64, v1
	s_cmp_lt_i32 s51, 64
	v_lshrrev_b32_e32 v63, 3, v59
	v_lshlrev_b32_e32 v62, 3, v0
	s_mul_i32 s48, s34, s21
	s_mul_hi_u32 s49, s34, s20
	s_mul_i32 s50, s35, s20
	s_mul_i32 s40, s34, s20
	v_mov_b32_e32 v48, v49
	v_mov_b32_e32 v51, v49
	;; [unrolled: 1-line block ×7, first 2 shown]
	s_cbranch_scc1 .LBB598_18
; %bb.1:
	s_ashr_i32 s58, s46, 31
	s_ashr_i32 s1, s38, 31
	s_add_u32 s0, s55, s38
	s_addc_u32 s1, s54, s1
	s_lshl_b64 s[0:1], s[0:1], 8
	v_and_b32_e32 v66, 56, v62
	s_add_u32 s24, s6, s0
	v_lshl_or_b32 v65, v45, 3, v63
	v_lshlrev_b32_e32 v3, 1, v66
	s_addc_u32 s0, s7, s1
	v_lshl_or_b32 v67, v65, 8, v3
	s_and_b32 s25, s0, 0xffff
	s_mov_b32 s27, 0x20000
	s_movk_i32 s26, 0x4000
	s_movk_i32 s0, 0x80
	v_or_b32_e32 v68, 0x2000, v67
	buffer_load_dwordx4 v[4:7], v67, s[24:27], 0 offen
	buffer_load_dwordx4 v[8:11], v67, s[24:27], s0 offen
	;; [unrolled: 1-line block ×4, first 2 shown]
	v_lshlrev_b32_e32 v20, 3, v65
	v_and_or_b32 v22, v0, 7, v20
	v_and_b32_e32 v20, 0x78, v20
	v_lshlrev_b32_e32 v22, 4, v22
	v_xor_b32_e32 v69, v22, v20
	v_mul_lo_u32 v21, v65, s19
	v_or_b32_e32 v70, 0x1000, v69
	s_cmpk_eq_i32 s19, 0x80
	s_mov_b32 s57, s38
	v_xor_b32_e32 v20, 8, v69
	v_xor_b32_e32 v22, 8, v70
	s_cselect_b64 s[0:1], -1, 0
	s_cmpk_lg_i32 s19, 0x80
	s_waitcnt vmcnt(3)
	ds_write_b64 v69, v[4:5] offset:16384
	ds_write_b64 v20, v[6:7] offset:16384
	s_waitcnt vmcnt(2)
	ds_write_b64 v69, v[8:9] offset:24576
	ds_write_b64 v20, v[10:11] offset:24576
	;; [unrolled: 3-line block ×4, first 2 shown]
	v_lshl_add_u32 v4, v21, 1, v66
	s_cbranch_scc0 .LBB598_3
; %bb.2:
	v_lshlrev_b32_e32 v6, 1, v4
	v_add_lshl_u32 v5, v4, s19, 1
	s_lshl_b32 s26, s19, 7
	v_lshl_or_b32 v3, v65, 9, v3
	s_cbranch_execz .LBB598_4
	s_branch .LBB598_5
.LBB598_3:
                                        ; implicit-def: $vgpr5
                                        ; implicit-def: $vgpr6
                                        ; implicit-def: $sgpr26
	v_lshl_or_b32 v3, v65, 9, v3
.LBB598_4:
	v_or_b32_e32 v5, 0x100, v3
	s_movk_i32 s26, 0x4000
	v_mov_b32_e32 v6, v3
.LBB598_5:
	s_mul_i32 s20, s38, s18
	s_ashr_i32 s59, s56, 31
	s_mul_hi_i32 s3, s38, s18
	s_add_u32 s20, s20, s56
	s_addc_u32 s21, s3, s59
	s_lshl_b64 s[20:21], s[20:21], 8
	s_add_u32 s24, s4, s20
	s_addc_u32 s3, s5, s21
	s_and_b32 s25, s3, 0xffff
	s_movk_i32 s60, 0x80
	buffer_load_dwordx4 v[8:11], v6, s[24:27], 0 offen
	buffer_load_dwordx4 v[12:15], v6, s[24:27], s60 offen
	;; [unrolled: 1-line block ×4, first 2 shown]
	v_and_b32_e32 v5, 6, v0
	v_lshlrev_b32_e32 v7, 2, v61
	v_lshlrev_b32_e32 v24, 3, v61
	v_xor_b32_e32 v26, v65, v5
	v_and_b32_e32 v6, 1, v0
	v_lshl_or_b32 v24, v1, 5, v24
	v_xor_b32_e32 v27, v1, v7
	v_lshlrev_b32_e32 v26, 2, v26
	s_mul_i32 s3, s46, s23
	s_mul_hi_u32 s21, s46, s22
	v_or_b32_e32 v71, 0x9000, v24
	v_or_b32_e32 v72, 0x9800, v24
	v_lshlrev_b32_e32 v24, 1, v27
	v_xor_b32_e32 v27, 0x440, v26
	v_cmp_eq_u32_e32 vcc, 0, v6
	s_add_i32 s25, s49, s48
	s_mul_i32 s24, s58, s22
	v_cndmask_b32_e32 v6, v27, v26, vcc
	s_add_i32 s3, s21, s3
	s_add_i32 s41, s25, s50
	s_mov_b32 s61, 0x1000504
	v_lshlrev_b32_e32 v25, 8, v61
	s_mov_b32 s26, 0x8000
	v_xor_b32_e32 v7, v64, v7
	v_lshl_or_b32 v5, v5, 10, v6
	s_add_i32 s21, s3, s24
	s_lshl_b64 s[24:25], s[40:41], 2
	s_mov_b32 s62, 0x3020706
	s_mul_i32 s20, s46, s22
	v_lshlrev_b32_e32 v7, 1, v7
	v_or3_b32 v73, v24, v25, s26
	v_xor_b32_e32 v6, 8, v5
	v_xor_b32_e32 v24, 24, v5
	;; [unrolled: 1-line block ×4, first 2 shown]
	s_add_u32 s3, s10, s24
	v_or3_b32 v74, v7, v25, s26
	v_xor_b32_e32 v7, 16, v5
	v_xor_b32_e32 v25, 32, v5
	;; [unrolled: 1-line block ×3, first 2 shown]
	v_add_u32_e32 v6, 0x80, v6
	v_add_u32_e32 v24, 0x80, v24
	;; [unrolled: 1-line block ×4, first 2 shown]
	s_addc_u32 s24, s11, s25
	s_lshl_b64 s[20:21], s[20:21], 2
	s_add_u32 s20, s3, s20
	s_movk_i32 s3, 0xf8
	s_addc_u32 s21, s24, s21
	s_lshl_b32 s30, s19, 7
	v_mov_b32_e32 v47, 0
	s_mov_b32 s63, 0
	v_add_u32_e32 v85, v58, v2
	v_mov_b32_e32 v96, 0x3fb8aa3b
	v_mov_b32_e32 v52, v47
	;; [unrolled: 1-line block ×7, first 2 shown]
	s_waitcnt vmcnt(1)
	v_perm_b32 v29, v8, v16, s61
	s_waitcnt vmcnt(0)
	v_perm_b32 v30, v12, v20, s61
	v_perm_b32 v8, v8, v16, s62
	;; [unrolled: 1-line block ×15, first 2 shown]
	ds_write2st64_b32 v5, v29, v30 offset1:32
	ds_write2st64_b32 v6, v8, v12 offset1:32
	ds_write2st64_b32 v7, v16, v20 offset0:1 offset1:33
	ds_write2st64_b32 v24, v9, v13 offset0:1 offset1:33
	;; [unrolled: 1-line block ×6, first 2 shown]
	v_or_b32_e32 v5, v58, v61
	v_lshlrev_b32_e32 v5, 3, v5
	v_lshrrev_b32_e32 v7, 5, v59
	v_and_or_b32 v7, v5, s3, v7
	v_lshlrev_b32_e32 v7, 4, v7
	v_lshrrev_b32_e32 v6, 2, v59
	v_lshlrev_b32_e32 v9, 11, v45
	v_and_b32_e32 v5, 0x78, v5
	v_or_b32_e32 v12, 32, v7
	v_and_b32_e32 v8, 12, v6
	v_and_b32_e32 v6, 0x1000, v9
	v_lshrrev_b32_e32 v11, 1, v59
	v_xor_b32_e32 v12, v12, v5
	v_and_b32_e32 v11, 8, v11
	v_or_b32_e32 v12, v12, v6
	v_xor_b32_e32 v10, v7, v5
	v_xor_b32_e32 v77, v12, v11
	v_or_b32_e32 v12, 64, v7
	v_or_b32_e32 v7, 0x60, v7
	;; [unrolled: 1-line block ×3, first 2 shown]
	v_xor_b32_e32 v12, v12, v5
	v_xor_b32_e32 v5, v7, v5
	;; [unrolled: 1-line block ×3, first 2 shown]
	v_and_b32_e32 v10, 0x78, v62
	v_or_b32_e32 v5, v5, v6
	v_lshl_or_b32 v10, v60, 7, v10
	v_or_b32_e32 v12, v12, v6
	v_xor_b32_e32 v79, v5, v11
	s_ashr_i32 s3, s2, 31
	v_lshlrev_b32_e32 v5, 1, v61
	v_or_b32_e32 v76, 0x9000, v10
	v_xor_b32_e32 v78, v12, v11
	v_or_b32_e32 v80, 0x9800, v10
	v_lshlrev_b32_e32 v10, 1, v4
	v_add_lshl_u32 v11, v4, s19, 1
	v_lshrrev_b32_e32 v4, 4, v0
	s_lshl_b64 s[24:25], s[2:3], 8
	v_or_b32_e32 v13, 1, v5
	s_add_u32 s24, s42, s24
	v_xor_b32_e32 v5, v4, v5
	v_xor_b32_e32 v13, v13, v4
	s_addc_u32 s25, s43, s25
	v_lshlrev_b32_e32 v5, 3, v5
	v_lshlrev_b32_e32 v46, 8, v4
	;; [unrolled: 1-line block ×3, first 2 shown]
	v_lshrrev_b32_e32 v17, 1, v0
	v_or3_b32 v81, v5, v46, s26
	v_or3_b32 v82, v4, v46, s26
	v_lshl_add_u64 v[4:5], s[24:25], 0, v[46:47]
	v_lshlrev_b32_e32 v46, 4, v61
	s_movk_i32 s3, 0xff
	v_lshlrev_b32_e32 v16, 3, v45
	v_and_b32_e32 v17, 24, v17
	v_lshl_add_u64 v[54:55], v[4:5], 0, v[46:47]
	v_and_b32_e32 v5, 8, v0
	v_cmp_lt_u32_e32 vcc, s3, v0
	v_xor_b32_e32 v18, v16, v17
	v_or_b32_e32 v19, 0x440, v18
	v_cndmask_b32_e64 v15, 0, 1, vcc
	v_cmp_eq_u32_e32 vcc, 0, v5
	v_or_b32_e32 v21, 64, v17
	v_xor_b32_e32 v21, v16, v21
	v_cndmask_b32_e32 v5, v19, v18, vcc
	v_or_b32_e32 v19, 32, v17
	v_or_b32_e32 v17, 0x60, v17
	v_xor_b32_e32 v19, v16, v19
	v_xor_b32_e32 v16, v16, v17
	v_or_b32_e32 v20, 0x440, v19
	v_xor_b32_e32 v22, 0x440, v21
	v_xor_b32_e32 v17, 0x440, v16
	v_and_b32_e32 v4, 7, v0
	v_cndmask_b32_e32 v19, v20, v19, vcc
	v_cndmask_b32_e32 v21, v22, v21, vcc
	;; [unrolled: 1-line block ×3, first 2 shown]
	v_or_b32_e32 v6, s2, v61
	v_lshlrev_b32_e32 v13, 3, v4
	v_or_b32_e32 v5, v5, v9
	v_or_b32_e32 v19, v19, v9
	;; [unrolled: 1-line block ×4, first 2 shown]
	v_ashrrev_i32_e32 v7, 31, v6
	v_lshlrev_b32_e32 v15, 13, v15
	v_xor_b32_e32 v5, v5, v13
	v_xor_b32_e32 v19, v19, v13
	;; [unrolled: 1-line block ×4, first 2 shown]
	v_lshl_add_u64 v[6:7], v[6:7], 1, s[8:9]
	v_or_b32_e32 v12, 0x100, v3
	v_lshlrev_b32_e32 v14, 7, v4
	v_or_b32_e32 v4, v8, v58
	v_add_u32_e32 v18, v15, v5
	v_add_u32_e32 v20, v15, v19
	v_add_u32_e32 v22, v15, v21
	v_add_u32_e32 v13, v15, v9
	v_or3_b32 v8, v58, v8, 64
	v_add_u32_e32 v5, 0x2000, v5
	v_add_u32_e32 v15, 0x2000, v19
	;; [unrolled: 1-line block ×4, first 2 shown]
	v_lshlrev_b32_e32 v46, 8, v1
	v_cndmask_b32_e64 v83, v10, v3, s[0:1]
	v_cndmask_b32_e64 v84, v11, v12, s[0:1]
	v_lshl_add_u64 v[56:57], v[6:7], 0, v[46:47]
	s_mov_b32 s3, 0x7060302
	s_movk_i32 s26, 0x4000
	v_lshlrev_b32_e32 v86, 2, v4
	v_add_u32_e32 v87, v18, v14
	v_add_u32_e32 v88, v20, v14
	;; [unrolled: 1-line block ×4, first 2 shown]
	v_lshlrev_b32_e32 v91, 2, v8
	v_add_u32_e32 v92, v5, v14
	v_add_u32_e32 v93, v15, v14
	;; [unrolled: 1-line block ×4, first 2 shown]
	v_mov_b32_e32 v46, v47
	s_waitcnt lgkmcnt(0)
	s_barrier
.LBB598_6:                              ; =>This Inner Loop Header: Depth=1
	s_add_i32 s41, s63, 1
	s_cmp_lt_i32 s41, s52
	s_mov_b64 s[28:29], 0
	s_cselect_b64 s[44:45], -1, 0
	s_cmp_ge_i32 s41, s52
	s_mov_b64 s[24:25], 0
	s_cbranch_scc1 .LBB598_8
; %bb.7:                                ;   in Loop: Header=BB598_6 Depth=1
	s_add_i32 s0, s57, 64
	s_ashr_i32 s1, s0, 31
	s_add_u32 s0, s55, s0
	s_addc_u32 s1, s54, s1
	s_lshl_b64 s[0:1], s[0:1], 8
	s_add_u32 s24, s6, s0
	s_addc_u32 s25, s7, s1
.LBB598_8:                              ;   in Loop: Header=BB598_6 Depth=1
	v_cndmask_b32_e64 v2, 0, 1, s[44:45]
	v_cmp_ne_u32_e64 s[0:1], 1, v2
	s_andn2_b64 vcc, exec, s[44:45]
	s_cbranch_vccnz .LBB598_10
; %bb.9:                                ;   in Loop: Header=BB598_6 Depth=1
	s_add_i32 s28, s57, 64
	s_mul_hi_i32 s29, s28, s18
	s_mul_i32 s28, s28, s18
	s_add_u32 s28, s28, s56
	s_addc_u32 s29, s29, s59
	s_lshl_b64 s[28:29], s[28:29], 8
	s_add_u32 s28, s4, s28
	s_addc_u32 s29, s5, s29
.LBB598_10:                             ;   in Loop: Header=BB598_6 Depth=1
	v_perm_b32 v3, v53, v52, s3
	v_perm_b32 v2, v47, v46, s3
	;; [unrolled: 1-line block ×4, first 2 shown]
	ds_write_b64 v71, v[2:3]
	ds_write_b64 v72, v[4:5]
	;; [unrolled: 1-line block ×4, first 2 shown]
	s_waitcnt lgkmcnt(0)
	s_barrier
	ds_read_b64 v[10:11], v75 offset:16384
	ds_read_b64 v[12:13], v77 offset:16384
	ds_read2st64_b64 v[2:5], v76 offset1:1
	s_waitcnt lgkmcnt(0)
	v_mfma_f32_16x16x16_bf16 a[0:3], v[10:11], v[2:3], 0
	ds_read2st64_b64 v[6:9], v76 offset0:2 offset1:3
	ds_read_b64 v[14:15], v78 offset:16384
	ds_read_b64 v[2:3], v79 offset:16384
	s_add_i32 s64, s57, 63
	v_mfma_f32_16x16x16_bf16 a[0:3], v[12:13], v[4:5], a[0:3]
	s_ashr_i32 s31, s64, 31
	s_mul_i32 s44, s64, s15
	s_mul_hi_u32 s45, s64, s14
	s_waitcnt lgkmcnt(1)
	v_mfma_f32_16x16x16_bf16 a[0:3], v[14:15], v[6:7], a[0:3]
	s_add_i32 s44, s45, s44
	s_mul_i32 s31, s31, s14
	s_add_i32 s45, s44, s31
	s_mul_i32 s44, s64, s14
	s_waitcnt lgkmcnt(0)
	v_mfma_f32_16x16x16_bf16 a[0:3], v[2:3], v[8:9], a[0:3]
	s_lshl_b64 s[44:45], s[44:45], 2
	s_add_u32 s44, s20, s44
	s_addc_u32 s45, s21, s45
	s_and_b64 vcc, exec, s[0:1]
	v_mov_b32_e32 v99, 0
	v_mov_b32_e32 v98, 0
	;; [unrolled: 1-line block ×19, first 2 shown]
	s_cbranch_vccnz .LBB598_12
; %bb.11:                               ;   in Loop: Header=BB598_6 Depth=1
	s_and_b32 s25, s25, 0xffff
	buffer_load_dwordx4 v[14:17], v67, s[24:27], 0 offen
	buffer_load_dwordx4 v[10:13], v67, s[24:27], s60 offen
	;; [unrolled: 1-line block ×4, first 2 shown]
	v_mov_b32_e32 v98, v69
	v_mov_b32_e32 v97, v70
.LBB598_12:                             ;   in Loop: Header=BB598_6 Depth=1
	v_add_u32_e32 v22, s57, v85
	v_ashrrev_i32_e32 v18, 31, v22
	v_mul_lo_u32 v20, v18, s14
	v_mul_lo_u32 v21, v22, s15
	v_mad_u64_u32 v[18:19], s[24:25], v22, s14, 0
	v_add3_u32 v19, v19, v21, v20
	v_lshl_add_u64 v[18:19], v[18:19], 2, s[20:21]
	global_load_dword v38, v[18:19], off
	v_add_u32_e32 v18, 1, v22
	v_ashrrev_i32_e32 v19, 31, v18
	v_mul_lo_u32 v20, v19, s14
	v_mul_lo_u32 v21, v18, s15
	v_mad_u64_u32 v[18:19], s[24:25], v18, s14, 0
	v_add3_u32 v19, v19, v21, v20
	v_add_u32_e32 v20, 2, v22
	v_ashrrev_i32_e32 v21, 31, v20
	v_mul_lo_u32 v23, v21, s14
	v_mul_lo_u32 v24, v20, s15
	v_mad_u64_u32 v[20:21], s[24:25], v20, s14, 0
	v_add_u32_e32 v22, 3, v22
	v_add3_u32 v21, v21, v24, v23
	v_ashrrev_i32_e32 v23, 31, v22
	v_mul_lo_u32 v26, v23, s14
	v_mul_lo_u32 v27, v22, s15
	v_mad_u64_u32 v[22:23], s[24:25], v22, s14, 0
	s_ashr_i32 s25, s57, 31
	s_add_u32 s24, s55, s57
	s_addc_u32 s25, s54, s25
	s_lshl_b64 s[24:25], s[24:25], 8
	v_lshl_add_u64 v[18:19], v[18:19], 2, s[20:21]
	v_lshl_add_u64 v[24:25], v[56:57], 0, s[24:25]
	v_add3_u32 v23, v23, v27, v26
	v_lshl_add_u64 v[20:21], v[20:21], 2, s[20:21]
	global_load_ushort v39, v[24:25], off
	global_load_ushort v40, v[24:25], off offset:256
	global_load_ushort v41, v[24:25], off offset:512
	;; [unrolled: 1-line block ×3, first 2 shown]
	v_lshl_add_u64 v[22:23], v[22:23], 2, s[20:21]
	global_load_dword v43, v[18:19], off
	global_load_dword v44, v[20:21], off
	;; [unrolled: 1-line block ×3, first 2 shown]
	s_load_dword s24, s[44:45], 0x0
	ds_read_b64 v[26:27], v75 offset:24576
	ds_read2st64_b64 v[22:25], v80 offset1:1
	ds_read2st64_b64 v[28:31], v80 offset0:2 offset1:3
	ds_read_b64 v[32:33], v77 offset:24576
	ds_read_b64 v[34:35], v78 offset:24576
	;; [unrolled: 1-line block ×3, first 2 shown]
	s_waitcnt lgkmcnt(0)
	v_mfma_f32_16x16x16_bf16 a[0:3], v[26:27], v[22:23], a[0:3]
	v_mov_b32_e32 v100, 0
	v_mov_b32_e32 v18, 0
	v_mov_b32_e32 v19, 0
	v_mfma_f32_16x16x16_bf16 a[0:3], v[32:33], v[24:25], a[0:3]
	v_mov_b32_e32 v20, 0
	v_mov_b32_e32 v21, 0
	v_mov_b32_e32 v22, 0
	;; [unrolled: 4-line block ×4, first 2 shown]
	s_and_b64 vcc, exec, s[0:1]
	s_waitcnt vmcnt(7)
	v_sub_f32_e32 v29, s24, v38
	v_mul_f32_e32 v29, 0x3fb8aa3b, v29
	v_exp_f32_e32 v38, v29
	v_accvgpr_read_b32 v33, a1
	v_accvgpr_read_b32 v31, a3
	;; [unrolled: 1-line block ×4, first 2 shown]
	s_waitcnt vmcnt(6)
	v_lshlrev_b32_e32 v34, 16, v39
	s_waitcnt vmcnt(5)
	v_lshlrev_b32_e32 v35, 16, v40
	;; [unrolled: 2-line block ×3, first 2 shown]
	s_waitcnt vmcnt(2)
	v_sub_f32_e32 v39, s24, v43
	s_waitcnt vmcnt(1)
	v_sub_f32_e32 v40, s24, v44
	;; [unrolled: 2-line block ×3, first 2 shown]
	v_mul_f32_e32 v29, 0x3fb8aa3b, v39
	v_mul_f32_e32 v40, 0x3fb8aa3b, v40
	;; [unrolled: 1-line block ×3, first 2 shown]
	v_exp_f32_e32 v39, v29
	v_exp_f32_e32 v40, v40
	;; [unrolled: 1-line block ×3, first 2 shown]
	v_lshlrev_b32_e32 v37, 16, v42
	v_pk_add_f32 v[32:33], v[34:35], v[32:33] neg_lo:[0,1] neg_hi:[0,1]
	v_pk_add_f32 v[30:31], v[36:37], v[30:31] neg_lo:[0,1] neg_hi:[0,1]
	v_pk_mul_f32 v[32:33], v[38:39], v[32:33]
	v_pk_mul_f32 v[30:31], v[40:41], v[30:31]
	v_mov_b32_e32 v29, 0
	v_perm_b32 v31, v31, v30, s3
	v_perm_b32 v30, v33, v32, s3
	ds_write_b64 v72, v[30:31]
	v_mov_b32_e32 v30, 0
	v_mov_b32_e32 v31, 0
	;; [unrolled: 1-line block ×4, first 2 shown]
	s_cbranch_vccnz .LBB598_14
; %bb.13:                               ;   in Loop: Header=BB598_6 Depth=1
	s_and_b32 s29, s29, 0xffff
	s_mov_b32 s31, s27
	buffer_load_dwordx4 v[30:33], v83, s[28:31], 0 offen
	buffer_load_dwordx4 v[22:25], v83, s[28:31], s60 offen
	;; [unrolled: 1-line block ×4, first 2 shown]
	v_mov_b32_e32 v99, v66
	v_mov_b32_e32 v100, v65
.LBB598_14:                             ;   in Loop: Header=BB598_6 Depth=1
	s_waitcnt lgkmcnt(0)
	s_barrier
	ds_read_b64 v[34:35], v87
	ds_read_b64 v[40:41], v88
	ds_read2st64_b64 v[36:39], v80 offset1:1
	ds_read2st64_b64 v[102:105], v80 offset0:2 offset1:3
	ds_read_b64 v[42:43], v89
	ds_read_b64 v[110:111], v90
	s_add_i32 s25, s53, s63
	s_mul_hi_i32 s29, s25, s47
	s_mul_i32 s25, s25, s47
	s_waitcnt lgkmcnt(3)
	v_mfma_f32_16x16x16_bf16 a[0:3], v[34:35], v[36:37], 0
	ds_read_b64 v[34:35], v92
	s_add_u32 s28, s25, s46
	s_addc_u32 s29, s29, s58
	v_mfma_f32_16x16x16_bf16 a[0:3], v[40:41], v[38:39], a[0:3]
	ds_read_b64 v[40:41], v93
	s_lshl_b64 s[28:29], s[28:29], 15
	s_mul_i32 s31, s64, s47
	s_mul_hi_i32 s25, s64, s47
	s_add_u32 s44, s31, s46
	s_addc_u32 s45, s25, s58
	s_lshl_b64 s[44:45], s[44:45], 9
	s_add_u32 s44, s36, s44
	s_waitcnt lgkmcnt(1)
	v_mfma_f32_16x16x16_bf16 a[4:7], v[34:35], v[36:37], 0
	s_addc_u32 s45, s37, s45
	s_and_b64 vcc, exec, s[0:1]
	v_mfma_f32_16x16x16_bf16 a[0:3], v[42:43], v[102:103], a[0:3]
	ds_read_b64 v[42:43], v94
	ds_read_b64 v[112:113], v95
	global_load_dwordx4 v[34:37], v91, s[44:45]
	s_waitcnt lgkmcnt(2)
	v_mfma_f32_16x16x16_bf16 a[4:7], v[40:41], v[38:39], a[4:7]
	global_load_dwordx4 v[38:41], v86, s[44:45]
	ds_read_b64 v[106:107], v81
	ds_read_b64 v[108:109], v82
	s_waitcnt lgkmcnt(3)
	v_mfma_f32_16x16x16_bf16 a[8:11], v[42:43], v[102:103], a[4:7]
	v_lshl_add_u64 v[42:43], v[54:55], 0, s[28:29]
	s_waitcnt lgkmcnt(0)
	global_store_dwordx4 v[42:43], v[106:109], off
	v_mfma_f32_16x16x16_bf16 a[4:7], v[110:111], v[104:105], a[0:3]
	s_waitcnt vmcnt(2)
	v_mov_b32_e32 v44, v37
	v_mfma_f32_16x16x16_bf16 a[0:3], v[112:113], v[104:105], a[8:11]
	v_mov_b32_e32 v43, v36
	v_mov_b32_e32 v42, v35
	s_cbranch_vccnz .LBB598_16
; %bb.15:                               ;   in Loop: Header=BB598_6 Depth=1
	v_lshrrev_b32_e32 v35, 3, v99
	v_and_b32_e32 v35, 6, v35
	v_xor_b32_e32 v36, v35, v100
	v_lshlrev_b32_e32 v36, 2, v36
	v_and_b32_e32 v37, 8, v99
	v_xor_b32_e32 v99, 0x440, v36
	v_cmp_eq_u32_e32 vcc, 0, v37
	v_perm_b32 v37, v22, v18, s61
	s_nop 0
	v_cndmask_b32_e32 v36, v99, v36, vcc
	v_lshl_or_b32 v35, v35, 10, v36
	v_perm_b32 v36, v30, v26, s61
	s_barrier
	ds_write2st64_b32 v35, v36, v37 offset1:32
	v_xor_b32_e32 v36, 8, v35
	v_perm_b32 v26, v30, v26, s62
	v_perm_b32 v18, v22, v18, s62
	v_add_u32_e32 v22, 0x80, v36
	ds_write2st64_b32 v22, v26, v18 offset1:32
	v_xor_b32_e32 v18, 16, v35
	v_perm_b32 v22, v31, v27, s61
	v_perm_b32 v26, v23, v19, s61
	ds_write2st64_b32 v18, v22, v26 offset0:1 offset1:33
	v_xor_b32_e32 v18, 24, v35
	v_perm_b32 v22, v31, v27, s62
	v_perm_b32 v19, v23, v19, s62
	v_add_u32_e32 v18, 0x80, v18
	ds_write2st64_b32 v18, v22, v19 offset0:1 offset1:33
	v_xor_b32_e32 v18, 32, v35
	v_perm_b32 v19, v32, v28, s61
	v_perm_b32 v22, v24, v20, s61
	ds_write2st64_b32 v18, v19, v22 offset0:2 offset1:34
	v_xor_b32_e32 v18, 40, v35
	v_perm_b32 v19, v32, v28, s62
	v_perm_b32 v20, v24, v20, s62
	v_add_u32_e32 v18, 0x80, v18
	ds_write2st64_b32 v18, v19, v20 offset0:2 offset1:34
	;; [unrolled: 9-line block ×3, first 2 shown]
	ds_write_b64 v98, v[14:15] offset:16384
	v_xor_b32_e32 v14, 8, v98
	ds_write_b64 v14, v[16:17] offset:16384
	ds_write_b64 v98, v[10:11] offset:24576
	;; [unrolled: 1-line block ×4, first 2 shown]
	v_xor_b32_e32 v6, 8, v97
	ds_write_b64 v6, v[8:9] offset:16384
	ds_write_b64 v97, v[2:3] offset:24576
	;; [unrolled: 1-line block ×3, first 2 shown]
.LBB598_16:                             ;   in Loop: Header=BB598_6 Depth=1
	v_mul_f32_e32 v6, s24, v96
	v_exp_f32_e32 v10, v6
	s_waitcnt vmcnt(1)
	v_mul_f32_e32 v6, 0x3fb8aa3b, v38
	v_exp_f32_e32 v12, v6
	v_mul_f32_e32 v6, 0x3fb8aa3b, v39
	v_exp_f32_e32 v13, v6
	;; [unrolled: 2-line block ×4, first 2 shown]
	v_accvgpr_read_b32 v2, a4
	v_accvgpr_read_b32 v3, a5
	v_pk_mul_f32 v[12:13], v[10:11], v[12:13] op_sel_hi:[0,1]
	v_pk_fma_f32 v[46:47], v[46:47], v[12:13], v[2:3]
	v_pk_mul_f32 v[2:3], v[10:11], v[14:15] op_sel_hi:[0,1]
	v_mul_f32_e32 v11, 0x3fb8aa3b, v34
	v_exp_f32_e32 v12, v11
	v_mul_f32_e32 v11, 0x3fb8aa3b, v42
	v_exp_f32_e32 v13, v11
	;; [unrolled: 2-line block ×4, first 2 shown]
	v_accvgpr_read_b32 v4, a6
	v_accvgpr_read_b32 v5, a7
	;; [unrolled: 1-line block ×5, first 2 shown]
	v_pk_fma_f32 v[52:53], v[52:53], v[2:3], v[4:5]
	v_pk_mul_f32 v[2:3], v[10:11], v[12:13] op_sel_hi:[0,1]
	v_accvgpr_read_b32 v8, a2
	v_pk_fma_f32 v[50:51], v[50:51], v[2:3], v[6:7]
	v_pk_mul_f32 v[2:3], v[10:11], v[14:15] op_sel_hi:[0,1]
	s_add_i32 s57, s57, 64
	s_cmp_eq_u32 s52, s41
	v_pk_fma_f32 v[48:49], v[48:49], v[2:3], v[8:9]
	s_cbranch_scc1 .LBB598_18
; %bb.17:                               ;   in Loop: Header=BB598_6 Depth=1
	s_mov_b32 s63, s41
	s_branch .LBB598_6
.LBB598_18:
	s_lshl_b32 s3, s52, 6
	s_sub_i32 s51, s51, s3
	s_cmp_gt_i32 s51, 0
	v_or_b32_e32 v26, s2, v61
	s_cbranch_scc1 .LBB598_20
; %bb.19:
	s_ashr_i32 s21, s46, 31
	v_or_b32_e32 v2, s2, v61
	s_cbranch_execz .LBB598_21
	s_branch .LBB598_77
.LBB598_20:
                                        ; implicit-def: $vgpr2
                                        ; implicit-def: $sgpr20_sgpr21
.LBB598_21:
	s_add_i32 s20, s3, s38
	s_ashr_i32 s3, s20, 31
	s_cmpk_lg_i32 s19, 0x80
	s_cselect_b64 s[30:31], -1, 0
	s_and_b64 vcc, exec, s[30:31]
	s_cbranch_vccz .LBB598_23
; %bb.22:
	s_mul_hi_i32 s0, s20, s18
	s_mul_i32 s1, s20, s18
	s_ashr_i32 s18, s56, 31
	s_add_u32 s44, s1, s56
	s_addc_u32 s45, s0, s18
	s_cbranch_execz .LBB598_24
	s_branch .LBB598_25
.LBB598_23:
                                        ; implicit-def: $sgpr44_sgpr45
.LBB598_24:
	s_mul_i32 s1, s56, s16
	s_mul_hi_i32 s0, s56, s16
	s_add_u32 s44, s1, s20
	s_addc_u32 s45, s0, s3
.LBB598_25:
	s_add_i32 s16, s52, s53
	s_ashr_i32 s21, s46, 31
	s_add_u32 s0, s55, s20
	s_addc_u32 s1, s54, s3
	s_mov_b32 s3, 0x7060302
	v_lshlrev_b32_e32 v6, 3, v61
	s_lshl_b64 s[28:29], s[0:1], 8
	v_perm_b32 v3, v53, v52, s3
	v_perm_b32 v2, v47, v46, s3
	;; [unrolled: 1-line block ×4, first 2 shown]
	v_lshlrev_b32_e32 v36, 2, v61
	v_lshl_or_b32 v6, v1, 5, v6
	s_add_u32 s0, s6, s28
	ds_write2st64_b64 v6, v[2:3], v[4:5] offset0:72 offset1:76
	v_xor_b32_e32 v6, v1, v36
	v_lshlrev_b32_e32 v7, 8, v61
	s_addc_u32 s1, s7, s29
	v_lshl_or_b32 v6, v6, 1, v7
	s_mul_hi_i32 s3, s16, s17
	s_mul_i32 s16, s16, s17
	ds_write_b64 v6, v[2:3] offset:32768
	v_xor_b32_e32 v2, v64, v36
	s_add_u32 s6, s16, s46
	v_lshl_or_b32 v2, v2, 1, v7
	s_addc_u32 s7, s3, s21
	v_lshlrev_b32_e32 v3, 1, v61
	ds_write_b64 v2, v[4:5] offset:32768
	v_lshrrev_b32_e32 v2, 4, v0
	s_ashr_i32 s3, s2, 31
	s_lshl_b64 s[6:7], s[6:7], 15
	v_or_b32_e32 v4, 1, v3
	s_add_u32 s6, s42, s6
	v_xor_b32_e32 v3, v2, v3
	v_xor_b32_e32 v4, v4, v2
	v_lshlrev_b32_e32 v6, 8, v2
	s_addc_u32 s7, s43, s7
	s_lshl_b64 s[2:3], s[2:3], 8
	v_lshl_or_b32 v2, v3, 3, v6
	v_lshl_or_b32 v4, v4, 3, v6
	s_waitcnt lgkmcnt(0)
	s_barrier
	s_add_u32 s2, s6, s2
	ds_read_b64 v[2:3], v2 offset:32768
	ds_read_b64 v[4:5], v4 offset:32768
	s_addc_u32 s3, s7, s3
	v_mov_b32_e32 v7, 0
	s_cmp_lg_u32 s51, 64
	v_lshl_add_u64 v[8:9], s[2:3], 0, v[6:7]
	v_lshlrev_b32_e32 v6, 4, v61
	s_cselect_b64 s[6:7], -1, 0
	v_lshl_or_b32 v27, v45, 3, v63
	s_mov_b32 s24, 0
	v_lshl_add_u64 v[6:7], v[8:9], 0, v[6:7]
	v_or_b32_e32 v19, 32, v27
	v_and_b32_e32 v18, 56, v62
	s_and_b64 vcc, exec, s[6:7]
	s_waitcnt lgkmcnt(0)
	global_store_dwordx4 v[6:7], v[2:5], off
	s_cbranch_vccz .LBB598_31
; %bb.26:
	s_mov_b32 s25, s24
	s_mov_b32 s26, s24
	;; [unrolled: 1-line block ×3, first 2 shown]
	v_mov_b64_e32 v[6:7], s[24:25]
	v_mov_b64_e32 v[8:9], s[26:27]
	;; [unrolled: 1-line block ×3, first 2 shown]
	v_cmp_gt_i32_e32 vcc, s51, v27
	v_mov_b64_e32 v[4:5], v[8:9]
	s_and_saveexec_b64 s[2:3], vcc
	s_cbranch_execz .LBB598_28
; %bb.27:
	v_lshlrev_b32_e32 v2, 8, v27
	v_mov_b32_e32 v3, 0
	v_lshl_add_u64 v[4:5], s[0:1], 0, v[2:3]
	v_lshlrev_b32_e32 v2, 1, v18
	v_lshl_add_u64 v[10:11], v[4:5], 0, v[2:3]
	global_load_dwordx4 v[6:9], v[10:11], off
	global_load_dwordx4 v[2:5], v[10:11], off offset:128
.LBB598_28:
	s_or_b64 exec, exec, s[2:3]
	s_mov_b32 s25, s24
	s_mov_b32 s26, s24
	;; [unrolled: 1-line block ×3, first 2 shown]
	v_mov_b64_e32 v[14:15], s[24:25]
	v_mov_b64_e32 v[16:17], s[26:27]
	;; [unrolled: 1-line block ×3, first 2 shown]
	v_cmp_gt_i32_e32 vcc, s51, v19
	v_lshlrev_b32_e32 v20, 7, v19
	v_mov_b64_e32 v[12:13], v[16:17]
	s_and_saveexec_b64 s[2:3], vcc
	s_cbranch_execz .LBB598_30
; %bb.29:
	v_lshlrev_b32_e32 v10, 1, v20
	v_mov_b32_e32 v11, 0
	v_lshl_add_u64 v[12:13], s[0:1], 0, v[10:11]
	v_lshlrev_b32_e32 v10, 1, v18
	v_lshl_add_u64 v[22:23], v[12:13], 0, v[10:11]
	global_load_dwordx4 v[14:17], v[22:23], off
	global_load_dwordx4 v[10:13], v[22:23], off offset:128
.LBB598_30:
	s_or_b64 exec, exec, s[2:3]
	v_lshrrev_b32_e32 v21, 3, v18
	v_lshlrev_b32_e32 v22, 3, v27
	v_or_b32_e32 v21, v22, v21
	v_lshlrev_b32_e32 v21, 4, v21
	v_and_b32_e32 v22, 0x78, v22
	v_xor_b32_e32 v21, v21, v22
	s_branch .LBB598_33
.LBB598_31:
                                        ; implicit-def: $vgpr21
                                        ; implicit-def: $vgpr20
                                        ; implicit-def: $vgpr6_vgpr7_vgpr8_vgpr9
                                        ; implicit-def: $vgpr2_vgpr3_vgpr4_vgpr5
                                        ; implicit-def: $vgpr14_vgpr15_vgpr16_vgpr17
                                        ; implicit-def: $vgpr10_vgpr11_vgpr12_vgpr13
	s_cbranch_execz .LBB598_33
; %bb.32:
	s_waitcnt vmcnt(0)
	v_lshlrev_b32_e32 v2, 1, v18
	v_lshl_or_b32 v20, v27, 8, v2
	s_and_b32 s1, s1, 0xffff
	s_mov_b32 s3, 0x20000
	s_movk_i32 s2, 0x4000
	v_lshl_or_b32 v21, v19, 8, v2
	s_movk_i32 s16, 0x80
	buffer_load_dwordx4 v[6:9], v20, s[0:3], 0 offen
	buffer_load_dwordx4 v[2:5], v20, s[0:3], s16 offen
	;; [unrolled: 1-line block ×4, first 2 shown]
	v_lshrrev_b32_e32 v20, 3, v18
	v_lshlrev_b32_e32 v21, 3, v27
	v_or_b32_e32 v20, v21, v20
	v_lshlrev_b32_e32 v20, 4, v20
	v_and_b32_e32 v21, 0x78, v21
	v_xor_b32_e32 v21, v20, v21
	v_lshlrev_b32_e32 v20, 7, v19
.LBB598_33:
	s_lshl_b64 s[0:1], s[44:45], 8
	s_add_u32 s4, s4, s0
	s_movk_i32 s0, 0x1000
	v_and_or_b32 v19, v20, s0, v21
	s_waitcnt vmcnt(1)
	ds_write_b64 v21, v[6:7] offset:16384
	v_xor_b32_e32 v6, 8, v21
	s_addc_u32 s5, s5, s1
	ds_write_b64 v6, v[8:9] offset:16384
	s_waitcnt vmcnt(0)
	ds_write_b64 v21, v[2:3] offset:24576
	ds_write_b64 v6, v[4:5] offset:24576
	;; [unrolled: 1-line block ×3, first 2 shown]
	v_xor_b32_e32 v2, 8, v19
	s_add_i32 s18, s39, -1
	ds_write_b64 v2, v[16:17] offset:16384
	ds_write_b64 v19, v[10:11] offset:24576
	;; [unrolled: 1-line block ×3, first 2 shown]
	s_mul_i32 s3, s18, s15
	s_mul_hi_u32 s16, s18, s14
	v_or_b32_e32 v2, v58, v61
	s_add_i32 s3, s16, s3
	v_lshlrev_b32_e32 v2, 3, v2
	v_lshrrev_b32_e32 v4, 5, v59
	s_movk_i32 s16, 0xf8
	v_and_or_b32 v4, v2, s16, v4
	v_lshlrev_b32_e32 v37, 11, v45
	v_lshlrev_b32_e32 v12, 4, v4
	v_and_b32_e32 v13, 0x78, v2
	v_and_b32_e32 v14, 0x1000, v37
	v_lshlrev_b32_e32 v3, 2, v0
	v_xor_b32_e32 v2, v12, v13
	v_lshrrev_b32_e32 v4, 1, v59
	v_and_b32_e32 v3, 60, v3
	v_or_b32_e32 v2, v2, v14
	v_and_b32_e32 v15, 8, v4
	v_xor_b32_e32 v28, v2, v15
	v_lshl_or_b32 v2, v60, 6, v3
	v_lshlrev_b32_e32 v38, 1, v2
	v_or_b32_e32 v2, 32, v12
	v_xor_b32_e32 v2, v2, v13
	s_waitcnt lgkmcnt(0)
	s_barrier
	ds_read_b64 v[10:11], v28 offset:16384
	v_or_b32_e32 v2, v2, v14
	v_xor_b32_e32 v29, v2, v15
	v_or_b32_e32 v2, 64, v12
	v_xor_b32_e32 v2, v2, v13
	v_or_b32_e32 v2, v2, v14
	v_or_b32_e32 v12, 0x60, v12
	v_xor_b32_e32 v30, v2, v15
	ds_read2st64_b64 v[2:5], v38 offset0:72 offset1:73
	ds_read2st64_b64 v[6:9], v38 offset0:74 offset1:75
	v_xor_b32_e32 v16, v12, v13
	ds_read_b64 v[12:13], v29 offset:16384
	s_waitcnt lgkmcnt(2)
	v_mfma_f32_16x16x16_bf16 a[0:3], v[10:11], v[2:3], 0
	s_add_i32 s0, s49, s48
	s_add_i32 s41, s0, s50
	s_mul_i32 s0, s46, s23
	s_mul_hi_u32 s1, s46, s22
	s_ashr_i32 s2, s18, 31
	s_add_i32 s0, s1, s0
	s_mul_i32 s1, s21, s22
	s_mul_i32 s2, s2, s14
	v_or_b32_e32 v14, v16, v14
	s_add_i32 s1, s0, s1
	s_mul_i32 s0, s46, s22
	s_add_i32 s3, s3, s2
	s_lshl_b64 s[22:23], s[40:41], 2
	v_xor_b32_e32 v39, v14, v15
	ds_read_b64 v[14:15], v30 offset:16384
	ds_read_b64 v[16:17], v39 offset:16384
	s_waitcnt lgkmcnt(2)
	v_mfma_f32_16x16x16_bf16 a[0:3], v[12:13], v[4:5], a[0:3]
	s_add_u32 s10, s10, s22
	s_addc_u32 s11, s11, s23
	s_lshl_b64 s[0:1], s[0:1], 2
	s_mul_i32 s2, s18, s14
	s_add_u32 s10, s10, s0
	s_addc_u32 s11, s11, s1
	s_lshl_b64 s[0:1], s[2:3], 2
	s_waitcnt lgkmcnt(1)
	v_mfma_f32_16x16x16_bf16 a[0:3], v[14:15], v[6:7], a[0:3]
	s_add_u32 s0, s10, s0
	s_addc_u32 s1, s11, s1
	s_load_dword s16, s[0:1], 0x0
	s_waitcnt lgkmcnt(0)
	v_mfma_f32_16x16x16_bf16 a[0:3], v[16:17], v[8:9], a[0:3]
	s_and_b64 vcc, exec, s[30:31]
	s_cbranch_vccz .LBB598_44
; %bb.34:
	v_lshlrev_b32_e32 v19, 1, v27
	s_and_b64 vcc, exec, s[6:7]
	s_cbranch_vccz .LBB598_45
; %bb.35:
	v_cmp_gt_i32_e32 vcc, s51, v19
	v_mov_b32_e32 v6, 0
	v_mov_b32_e32 v2, 0
	;; [unrolled: 1-line block ×5, first 2 shown]
	s_and_saveexec_b64 s[0:1], vcc
	s_cbranch_execz .LBB598_37
; %bb.36:
	v_mad_i64_i32 v[2:3], s[2:3], s19, v19, 0
	v_lshl_add_u64 v[2:3], v[2:3], 1, s[4:5]
	v_lshlrev_b32_e32 v4, 1, v18
	v_mov_b32_e32 v5, 0
	v_lshl_add_u64 v[2:3], v[2:3], 0, v[4:5]
	global_load_dwordx4 v[2:5], v[2:3], off
.LBB598_37:
	s_or_b64 exec, exec, s[0:1]
	v_or_b32_e32 v20, 1, v19
	v_cmp_gt_i32_e64 s[0:1], s51, v20
	v_mov_b32_e32 v7, 0
	v_mov_b32_e32 v8, 0
	;; [unrolled: 1-line block ×3, first 2 shown]
	s_and_saveexec_b64 s[2:3], s[0:1]
	s_cbranch_execz .LBB598_39
; %bb.38:
	v_mad_i64_i32 v[6:7], s[22:23], s19, v20, 0
	v_lshl_add_u64 v[6:7], v[6:7], 1, s[4:5]
	v_lshlrev_b32_e32 v8, 1, v18
	v_mov_b32_e32 v9, 0
	v_lshl_add_u64 v[6:7], v[6:7], 0, v[8:9]
	global_load_dwordx4 v[6:9], v[6:7], off
.LBB598_39:
	s_or_b64 exec, exec, s[2:3]
	v_mov_b32_e32 v17, 0
	v_mov_b32_e32 v10, 0
	;; [unrolled: 1-line block ×5, first 2 shown]
	s_and_saveexec_b64 s[2:3], vcc
	s_cbranch_execz .LBB598_41
; %bb.40:
	v_mad_i64_i32 v[10:11], s[22:23], s19, v19, 0
	v_lshl_add_u64 v[10:11], v[10:11], 1, s[4:5]
	v_lshlrev_b32_e32 v12, 1, v18
	v_mov_b32_e32 v13, 0
	v_lshl_add_u64 v[10:11], v[10:11], 0, v[12:13]
	global_load_dwordx4 v[10:13], v[10:11], off offset:128
.LBB598_41:
	s_or_b64 exec, exec, s[2:3]
	v_mov_b32_e32 v16, 0
	v_mov_b32_e32 v15, 0
	;; [unrolled: 1-line block ×3, first 2 shown]
	s_and_saveexec_b64 s[2:3], s[0:1]
	s_cbranch_execz .LBB598_43
; %bb.42:
	v_mad_i64_i32 v[14:15], s[0:1], s19, v20, 0
	v_lshl_add_u64 v[14:15], v[14:15], 1, s[4:5]
	v_lshlrev_b32_e32 v16, 1, v18
	v_mov_b32_e32 v17, 0
	v_lshl_add_u64 v[14:15], v[14:15], 0, v[16:17]
	global_load_dwordx4 v[14:17], v[14:15], off offset:128
.LBB598_43:
	s_or_b64 exec, exec, s[2:3]
	s_branch .LBB598_47
.LBB598_44:
                                        ; implicit-def: $vgpr5
                                        ; implicit-def: $vgpr9
                                        ; implicit-def: $vgpr13
                                        ; implicit-def: $vgpr17
	v_lshrrev_b32_e32 v19, 2, v59
	s_branch .LBB598_48
.LBB598_45:
                                        ; implicit-def: $vgpr5
                                        ; implicit-def: $vgpr9
                                        ; implicit-def: $vgpr13
                                        ; implicit-def: $vgpr17
	s_cbranch_execz .LBB598_47
; %bb.46:
	s_waitcnt vmcnt(0)
	v_mad_u64_u32 v[2:3], s[0:1], v19, s19, v[18:19]
	v_lshlrev_b32_e32 v19, 1, v2
	s_lshl_b32 s2, s19, 7
	s_and_b32 s1, s5, 0xffff
	s_mov_b32 s3, 0x20000
	s_mov_b32 s0, s4
	v_add_lshl_u32 v20, v2, s19, 1
	s_movk_i32 s19, 0x80
	buffer_load_dwordx4 v[2:5], v19, s[0:3], 0 offen
	buffer_load_dwordx4 v[10:13], v19, s[0:3], s19 offen
	;; [unrolled: 1-line block ×4, first 2 shown]
.LBB598_47:
	v_lshrrev_b32_e32 v19, 2, v59
	s_cbranch_execnz .LBB598_60
.LBB598_48:
	s_and_b64 vcc, exec, s[6:7]
	s_cbranch_vccz .LBB598_58
; %bb.49:
	s_waitcnt vmcnt(0)
	v_lshlrev_b32_e32 v7, 1, v27
	v_cmp_gt_i32_e32 vcc, s51, v7
	v_mov_b32_e32 v6, 0
	v_lshlrev_b32_e32 v14, 9, v27
	v_mov_b32_e32 v2, 0
	v_mov_b32_e32 v3, 0
	v_mov_b32_e32 v4, 0
	v_mov_b32_e32 v5, 0
	s_and_saveexec_b64 s[0:1], vcc
	s_cbranch_execz .LBB598_51
; %bb.50:
	v_mov_b32_e32 v15, 0
	v_lshl_add_u64 v[2:3], s[4:5], 0, v[14:15]
	v_lshlrev_b32_e32 v4, 1, v18
	v_mov_b32_e32 v5, v15
	v_lshl_add_u64 v[2:3], v[2:3], 0, v[4:5]
	global_load_dwordx4 v[2:5], v[2:3], off
.LBB598_51:
	s_or_b64 exec, exec, s[0:1]
	v_or_b32_e32 v7, 1, v7
	v_cmp_gt_i32_e64 s[0:1], s51, v7
	v_lshlrev_b32_e32 v20, 8, v7
	v_mov_b32_e32 v7, 0
	v_mov_b32_e32 v8, 0
	;; [unrolled: 1-line block ×3, first 2 shown]
	s_and_saveexec_b64 s[2:3], s[0:1]
	s_cbranch_execz .LBB598_53
; %bb.52:
	v_mov_b32_e32 v21, 0
	v_lshl_add_u64 v[6:7], s[4:5], 0, v[20:21]
	v_lshlrev_b32_e32 v8, 1, v18
	v_mov_b32_e32 v9, v21
	v_lshl_add_u64 v[6:7], v[6:7], 0, v[8:9]
	global_load_dwordx4 v[6:9], v[6:7], off
.LBB598_53:
	s_or_b64 exec, exec, s[2:3]
	v_mov_b32_e32 v17, 0
	v_mov_b32_e32 v10, 0
	;; [unrolled: 1-line block ×5, first 2 shown]
	s_and_saveexec_b64 s[2:3], vcc
	s_cbranch_execz .LBB598_55
; %bb.54:
	v_mov_b32_e32 v15, 0
	v_lshl_add_u64 v[10:11], s[4:5], 0, v[14:15]
	v_lshlrev_b32_e32 v14, 1, v18
	v_lshl_add_u64 v[10:11], v[10:11], 0, v[14:15]
	global_load_dwordx4 v[10:13], v[10:11], off offset:128
.LBB598_55:
	s_or_b64 exec, exec, s[2:3]
	v_mov_b32_e32 v16, 0
	v_mov_b32_e32 v15, 0
	;; [unrolled: 1-line block ×3, first 2 shown]
	s_and_saveexec_b64 s[2:3], s[0:1]
	s_cbranch_execz .LBB598_57
; %bb.56:
	v_mov_b32_e32 v21, 0
	v_lshl_add_u64 v[14:15], s[4:5], 0, v[20:21]
	v_lshlrev_b32_e32 v20, 1, v18
	v_lshl_add_u64 v[14:15], v[14:15], 0, v[20:21]
	global_load_dwordx4 v[14:17], v[14:15], off offset:128
.LBB598_57:
	s_or_b64 exec, exec, s[2:3]
	s_branch .LBB598_60
.LBB598_58:
                                        ; implicit-def: $vgpr5
                                        ; implicit-def: $vgpr9
                                        ; implicit-def: $vgpr13
                                        ; implicit-def: $vgpr17
	s_cbranch_execz .LBB598_60
; %bb.59:
	s_waitcnt vmcnt(0)
	v_lshlrev_b32_e32 v2, 1, v18
	v_lshl_or_b32 v18, v27, 9, v2
	s_and_b32 s5, s5, 0xffff
	s_mov_b32 s7, 0x20000
	s_movk_i32 s6, 0x4000
	s_movk_i32 s0, 0x80
	buffer_load_dwordx4 v[2:5], v18, s[4:7], 0 offen
	buffer_load_dwordx4 v[6:9], v18, s[4:7], 0 offen offset:256
	buffer_load_dwordx4 v[10:13], v18, s[4:7], s0 offen
	buffer_load_dwordx4 v[14:17], v18, s[4:7], s0 offen offset:256
.LBB598_60:
	v_and_b32_e32 v40, 12, v19
	ds_read2st64_b64 v[22:25], v38 offset0:76 offset1:77
	ds_read2st64_b64 v[18:21], v38 offset0:78 offset1:79
	ds_read_b64 v[32:33], v28 offset:24576
	ds_read_b64 v[34:35], v29 offset:24576
	;; [unrolled: 1-line block ×4, first 2 shown]
	v_and_b32_e32 v39, 6, v0
	v_xor_b32_e32 v27, v27, v39
	v_lshlrev_b32_e32 v27, 2, v27
	v_and_b32_e32 v41, 1, v0
	v_xor_b32_e32 v42, 0x440, v27
	v_cmp_eq_u32_e32 vcc, 0, v41
	s_mov_b32 s0, 0x1000504
	s_waitcnt vmcnt(0)
	v_perm_b32 v41, v10, v14, s0
	v_cndmask_b32_e32 v27, v42, v27, vcc
	v_lshl_or_b32 v27, v39, 10, v27
	v_perm_b32 v39, v2, v6, s0
	ds_write2st64_b32 v27, v39, v41 offset1:32
	v_xor_b32_e32 v39, 8, v27
	s_mov_b32 s1, 0x3020706
	v_perm_b32 v2, v2, v6, s1
	v_perm_b32 v6, v10, v14, s1
	v_add_u32_e32 v10, 0x80, v39
	ds_write2st64_b32 v10, v2, v6 offset1:32
	v_xor_b32_e32 v2, 16, v27
	v_perm_b32 v6, v3, v7, s0
	v_perm_b32 v10, v11, v15, s0
	ds_write2st64_b32 v2, v6, v10 offset0:1 offset1:33
	v_xor_b32_e32 v2, 24, v27
	v_perm_b32 v3, v3, v7, s1
	v_perm_b32 v6, v11, v15, s1
	v_add_u32_e32 v2, 0x80, v2
	ds_write2st64_b32 v2, v3, v6 offset0:1 offset1:33
	v_xor_b32_e32 v2, 32, v27
	v_perm_b32 v3, v4, v8, s0
	v_perm_b32 v6, v12, v16, s0
	ds_write2st64_b32 v2, v3, v6 offset0:2 offset1:34
	v_xor_b32_e32 v2, 40, v27
	v_perm_b32 v3, v4, v8, s1
	v_perm_b32 v4, v12, v16, s1
	v_add_u32_e32 v2, 0x80, v2
	ds_write2st64_b32 v2, v3, v4 offset0:2 offset1:34
	v_xor_b32_e32 v2, 48, v27
	v_perm_b32 v3, v5, v9, s0
	v_perm_b32 v4, v13, v17, s0
	ds_write2st64_b32 v2, v3, v4 offset0:3 offset1:35
	v_xor_b32_e32 v2, 56, v27
	v_or_b32_e32 v8, v40, v58
	v_perm_b32 v3, v5, v9, s1
	v_perm_b32 v4, v13, v17, s1
	v_add_u32_e32 v2, 0x80, v2
	v_cmp_gt_i32_e32 vcc, s51, v8
	v_mov_b32_e32 v9, 0
	v_mov_b32_e32 v13, 0
	ds_write2st64_b32 v2, v3, v4 offset0:3 offset1:35
	s_and_saveexec_b64 s[0:1], vcc
	s_cbranch_execz .LBB598_62
; %bb.61:
	v_add_u32_e32 v2, s20, v8
	v_ashrrev_i32_e32 v3, 31, v2
	v_mul_lo_u32 v4, v3, s14
	v_mul_lo_u32 v5, v2, s15
	v_mad_u64_u32 v[2:3], s[2:3], v2, s14, 0
	v_add3_u32 v3, v3, v5, v4
	v_lshl_add_u64 v[2:3], v[2:3], 2, s[10:11]
	global_load_dword v2, v[2:3], off
	s_waitcnt vmcnt(0)
	v_sub_f32_e32 v2, s16, v2
	v_mul_f32_e32 v2, 0x3fb8aa3b, v2
	v_exp_f32_e32 v13, v2
.LBB598_62:
	s_or_b64 exec, exec, s[0:1]
	v_or_b32_e32 v11, 1, v8
	v_cmp_gt_i32_e64 s[0:1], s51, v11
	s_and_saveexec_b64 s[2:3], s[0:1]
	s_cbranch_execz .LBB598_64
; %bb.63:
	v_add_u32_e32 v2, s20, v11
	v_ashrrev_i32_e32 v3, 31, v2
	v_mul_lo_u32 v4, v3, s14
	v_mul_lo_u32 v5, v2, s15
	v_mad_u64_u32 v[2:3], s[4:5], v2, s14, 0
	v_add3_u32 v3, v3, v5, v4
	v_lshl_add_u64 v[2:3], v[2:3], 2, s[10:11]
	global_load_dword v2, v[2:3], off
	s_waitcnt vmcnt(0)
	v_sub_f32_e32 v2, s16, v2
	v_mul_f32_e32 v2, 0x3fb8aa3b, v2
	v_exp_f32_e32 v9, v2
.LBB598_64:
	s_or_b64 exec, exec, s[2:3]
	v_or_b32_e32 v12, 2, v8
	v_cmp_gt_i32_e64 s[2:3], s51, v12
	v_mov_b32_e32 v10, 0
	v_mov_b32_e32 v15, 0
	s_and_saveexec_b64 s[4:5], s[2:3]
	s_cbranch_execz .LBB598_66
; %bb.65:
	v_add_u32_e32 v2, s20, v12
	v_ashrrev_i32_e32 v3, 31, v2
	v_mul_lo_u32 v4, v3, s14
	v_mul_lo_u32 v5, v2, s15
	v_mad_u64_u32 v[2:3], s[6:7], v2, s14, 0
	v_add3_u32 v3, v3, v5, v4
	v_lshl_add_u64 v[2:3], v[2:3], 2, s[10:11]
	global_load_dword v2, v[2:3], off
	s_waitcnt vmcnt(0)
	v_sub_f32_e32 v2, s16, v2
	v_mul_f32_e32 v2, 0x3fb8aa3b, v2
	v_exp_f32_e32 v15, v2
.LBB598_66:
	s_or_b64 exec, exec, s[4:5]
	v_or_b32_e32 v14, 3, v8
	v_cmp_gt_i32_e64 s[4:5], s51, v14
	s_and_saveexec_b64 s[6:7], s[4:5]
	s_cbranch_execz .LBB598_68
; %bb.67:
	v_add_u32_e32 v2, s20, v14
	v_ashrrev_i32_e32 v3, 31, v2
	v_mul_lo_u32 v4, v3, s14
	v_mul_lo_u32 v5, v2, s15
	v_mad_u64_u32 v[2:3], s[14:15], v2, s14, 0
	v_add3_u32 v3, v3, v5, v4
	v_lshl_add_u64 v[2:3], v[2:3], 2, s[10:11]
	global_load_dword v2, v[2:3], off
	s_waitcnt vmcnt(0)
	v_sub_f32_e32 v2, s16, v2
	v_mul_f32_e32 v2, 0x3fb8aa3b, v2
	v_exp_f32_e32 v10, v2
.LBB598_68:
	s_or_b64 exec, exec, s[6:7]
	s_waitcnt lgkmcnt(11)
	v_mfma_f32_16x16x16_bf16 a[0:3], v[32:33], v[22:23], a[0:3]
	s_add_u32 s6, s8, s28
	v_ashrrev_i32_e32 v27, 31, v26
	s_addc_u32 s7, s9, s29
	s_waitcnt lgkmcnt(10)
	v_mfma_f32_16x16x16_bf16 a[0:3], v[34:35], v[24:25], a[0:3]
	v_mov_b32_e32 v16, 0
	v_lshl_add_u64 v[6:7], v[26:27], 1, s[6:7]
	v_mov_b32_e32 v17, 0
	s_waitcnt lgkmcnt(9)
	v_mfma_f32_16x16x16_bf16 a[0:3], v[30:31], v[18:19], a[0:3]
	s_waitcnt lgkmcnt(8)
	v_mfma_f32_16x16x16_bf16 a[0:3], v[28:29], v[20:21], a[0:3]
	s_nop 6
	v_accvgpr_read_b32 v5, a3
	v_accvgpr_read_b32 v4, a2
	;; [unrolled: 1-line block ×4, first 2 shown]
	s_and_saveexec_b64 s[6:7], vcc
	s_cbranch_execz .LBB598_70
; %bb.69:
	v_lshlrev_b32_e32 v18, 8, v8
	v_mov_b32_e32 v19, 0
	v_lshl_add_u64 v[18:19], v[6:7], 0, v[18:19]
	global_load_ushort v17, v[18:19], off
	s_waitcnt vmcnt(0)
	v_lshlrev_b32_e32 v17, 16, v17
	v_sub_f32_e32 v2, v17, v2
	v_mul_f32_e32 v2, v13, v2
	v_lshrrev_b32_e32 v17, 16, v2
.LBB598_70:
	s_or_b64 exec, exec, s[6:7]
	s_and_saveexec_b64 s[6:7], s[0:1]
	s_cbranch_execz .LBB598_72
; %bb.71:
	v_lshlrev_b32_e32 v18, 8, v11
	v_mov_b32_e32 v19, 0
	v_lshl_add_u64 v[18:19], v[6:7], 0, v[18:19]
	global_load_ushort v2, v[18:19], off
	s_waitcnt vmcnt(0)
	v_lshlrev_b32_e32 v2, 16, v2
	v_sub_f32_e32 v2, v2, v3
	v_mul_f32_e32 v2, v9, v2
	v_lshrrev_b32_e32 v16, 16, v2
.LBB598_72:
	s_or_b64 exec, exec, s[6:7]
	v_mov_b32_e32 v3, 0
	v_mov_b32_e32 v9, 0
	s_and_saveexec_b64 s[0:1], s[2:3]
	s_cbranch_execz .LBB598_74
; %bb.73:
	v_lshlrev_b32_e32 v12, 8, v12
	v_mov_b32_e32 v13, 0
	v_lshl_add_u64 v[12:13], v[6:7], 0, v[12:13]
	global_load_ushort v2, v[12:13], off
	s_waitcnt vmcnt(0)
	v_lshlrev_b32_e32 v2, 16, v2
	v_sub_f32_e32 v2, v2, v4
	v_mul_f32_e32 v2, v15, v2
	v_lshrrev_b32_e32 v9, 16, v2
.LBB598_74:
	s_or_b64 exec, exec, s[0:1]
	v_or_b32_e32 v2, 0x9800, v38
	s_and_saveexec_b64 s[0:1], s[4:5]
	s_cbranch_execz .LBB598_76
; %bb.75:
	v_lshlrev_b32_e32 v12, 8, v14
	v_mov_b32_e32 v13, 0
	v_lshl_add_u64 v[6:7], v[6:7], 0, v[12:13]
	global_load_ushort v3, v[6:7], off
	s_waitcnt vmcnt(0)
	v_lshlrev_b32_e32 v3, 16, v3
	v_sub_f32_e32 v3, v3, v5
	v_mul_f32_e32 v3, v10, v3
	v_lshrrev_b32_e32 v3, 16, v3
.LBB598_76:
	s_or_b64 exec, exec, s[0:1]
	s_mov_b32 s0, 0x5040100
	v_perm_b32 v5, v3, v9, s0
	v_lshlrev_b32_e32 v3, 1, v36
	v_perm_b32 v4, v16, v17, s0
	v_lshl_or_b32 v3, v8, 5, v3
	s_movk_i32 s2, 0xff
	ds_write_b64 v3, v[4:5] offset:38912
	v_and_b32_e32 v3, 7, v0
	v_cmp_lt_u32_e32 vcc, s2, v0
	v_and_b32_e32 v4, 8, v0
	v_lshlrev_b32_e32 v12, 3, v3
	v_lshlrev_b32_e32 v24, 7, v3
	v_cndmask_b32_e64 v3, 0, 1, vcc
	v_lshrrev_b32_e32 v0, 1, v0
	v_lshlrev_b32_e32 v14, 13, v3
	v_lshlrev_b32_e32 v3, 3, v45
	v_and_b32_e32 v0, 24, v0
	v_xor_b32_e32 v5, v3, v0
	v_or_b32_e32 v6, 0x440, v5
	v_cmp_eq_u32_e32 vcc, 0, v4
	s_mul_i32 s0, s18, s17
	s_mul_hi_i32 s1, s18, s17
	v_cndmask_b32_e32 v4, v6, v5, vcc
	v_or_b32_e32 v4, v4, v37
	v_xor_b32_e32 v25, v4, v12
	v_or_b32_e32 v4, 32, v0
	v_xor_b32_e32 v4, v3, v4
	v_or_b32_e32 v5, 0x440, v4
	v_cndmask_b32_e32 v4, v5, v4, vcc
	v_or_b32_e32 v4, v4, v37
	v_xor_b32_e32 v27, v4, v12
	v_or_b32_e32 v4, 64, v0
	v_xor_b32_e32 v4, v3, v4
	v_xor_b32_e32 v5, 0x440, v4
	v_cndmask_b32_e32 v4, v5, v4, vcc
	v_or_b32_e32 v0, 0x60, v0
	s_add_u32 s0, s0, s46
	v_add3_u32 v15, v14, v25, v24
	v_or_b32_e32 v4, v4, v37
	v_xor_b32_e32 v0, v3, v0
	s_waitcnt lgkmcnt(0)
	s_barrier
	s_addc_u32 s1, s1, s21
	v_lshlrev_b32_e32 v13, 2, v8
	v_xor_b32_e32 v28, v4, v12
	ds_read2st64_b64 v[4:7], v2 offset1:1
	ds_read2st64_b64 v[8:11], v2 offset0:2 offset1:3
	ds_read_b64 v[2:3], v15
	v_xor_b32_e32 v15, 0x440, v0
	s_lshl_b64 s[0:1], s[0:1], 9
	v_cndmask_b32_e32 v0, v15, v0, vcc
	s_add_u32 s0, s36, s0
	v_or_b32_e32 v0, v0, v37
	s_addc_u32 s1, s37, s1
	v_add3_u32 v16, v14, v27, v24
	v_xor_b32_e32 v29, v0, v12
	v_add3_u32 v18, v14, v28, v24
	v_add3_u32 v0, v14, v29, v24
	ds_read_b64 v[16:17], v16
	ds_read_b64 v[20:21], v18
	;; [unrolled: 1-line block ×3, first 2 shown]
	global_load_dwordx4 v[12:15], v13, s[0:1]
	s_waitcnt lgkmcnt(3)
	v_mfma_f32_16x16x16_bf16 a[0:3], v[2:3], v[4:5], 0
	v_lshlrev_b32_e32 v0, 6, v45
	v_lshlrev_b32_e32 v2, 2, v40
	s_movk_i32 s2, 0x100
	v_or3_b32 v0, v0, v2, s2
	s_waitcnt lgkmcnt(2)
	v_mfma_f32_16x16x16_bf16 a[0:3], v[16:17], v[6:7], a[0:3]
	global_load_dwordx4 v[16:19], v0, s[0:1]
	v_mov_b32_e32 v0, 0x3fb8aa3b
	v_mul_f32_e32 v0, s16, v0
	s_waitcnt lgkmcnt(1)
	v_mfma_f32_16x16x16_bf16 a[0:3], v[20:21], v[8:9], a[0:3]
	v_exp_f32_e32 v0, v0
	v_add_u32_e32 v25, v25, v24
	v_add_u32_e32 v27, v27, v24
	s_waitcnt lgkmcnt(0)
	v_mfma_f32_16x16x16_bf16 a[0:3], v[22:23], v[10:11], a[0:3]
	ds_read_b64 v[22:23], v25 offset:8192
	s_waitcnt vmcnt(1)
	v_mul_f32_e32 v12, 0x3fb8aa3b, v12
	v_mul_f32_e32 v13, 0x3fb8aa3b, v13
	v_exp_f32_e32 v12, v12
	v_exp_f32_e32 v13, v13
	s_nop 0
	v_accvgpr_read_b32 v21, a1
	v_accvgpr_read_b32 v20, a0
	v_mul_f32_e32 v14, 0x3fb8aa3b, v14
	v_pk_mul_f32 v[12:13], v[0:1], v[12:13] op_sel_hi:[0,1]
	v_pk_fma_f32 v[46:47], v[46:47], v[12:13], v[20:21]
	ds_read_b64 v[12:13], v27 offset:8192
	v_mul_f32_e32 v15, 0x3fb8aa3b, v15
	v_exp_f32_e32 v14, v14
	v_exp_f32_e32 v15, v15
	v_accvgpr_read_b32 v3, a3
	v_accvgpr_read_b32 v2, a2
	s_waitcnt lgkmcnt(1)
	v_mfma_f32_16x16x16_bf16 a[0:3], v[22:23], v[4:5], 0
	v_pk_mul_f32 v[14:15], v[0:1], v[14:15] op_sel_hi:[0,1]
	v_pk_fma_f32 v[52:53], v[52:53], v[14:15], v[2:3]
	v_add_u32_e32 v2, v28, v24
	v_add_u32_e32 v3, v29, v24
	ds_read_b64 v[14:15], v2 offset:8192
	ds_read_b64 v[20:21], v3 offset:8192
	s_waitcnt lgkmcnt(2)
	v_mfma_f32_16x16x16_bf16 a[0:3], v[12:13], v[6:7], a[0:3]
	s_waitcnt vmcnt(0)
	v_mov_b32_e32 v2, v17
	v_mov_b32_e32 v3, v18
	;; [unrolled: 1-line block ×3, first 2 shown]
	s_waitcnt lgkmcnt(1)
	v_mfma_f32_16x16x16_bf16 a[0:3], v[14:15], v[8:9], a[0:3]
	v_mul_f32_e32 v2, 0x3fb8aa3b, v2
	v_mul_f32_e32 v5, 0x3fb8aa3b, v16
	v_exp_f32_e32 v17, v2
	v_mul_f32_e32 v2, 0x3fb8aa3b, v3
	v_mul_f32_e32 v3, 0x3fb8aa3b, v4
	s_waitcnt lgkmcnt(0)
	v_mfma_f32_16x16x16_bf16 a[0:3], v[20:21], v[10:11], a[0:3]
	v_exp_f32_e32 v16, v5
	v_exp_f32_e32 v2, v2
	v_exp_f32_e32 v3, v3
	v_pk_mul_f32 v[6:7], v[0:1], v[16:17] op_sel_hi:[0,1]
	v_pk_mul_f32 v[2:3], v[0:1], v[2:3] op_sel_hi:[0,1]
	s_nop 1
	v_accvgpr_read_b32 v9, a1
	v_accvgpr_read_b32 v5, a3
	;; [unrolled: 1-line block ×4, first 2 shown]
	v_pk_fma_f32 v[50:51], v[50:51], v[6:7], v[8:9]
	v_pk_fma_f32 v[48:49], v[48:49], v[2:3], v[4:5]
	v_mov_b32_e32 v2, v26
.LBB598_77:
	s_mul_i32 s0, s47, s35
	s_mul_hi_u32 s1, s47, s34
	s_add_i32 s0, s1, s0
	s_mul_i32 s1, s33, s34
	s_add_i32 s1, s0, s1
	s_mul_i32 s0, s47, s34
	s_add_u32 s0, s0, s46
	s_addc_u32 s1, s1, s21
	s_lshl_b64 s[0:1], s[0:1], 15
	s_add_u32 s0, s12, s0
	v_lshlrev_b32_e32 v2, 7, v2
	s_addc_u32 s1, s13, s1
	v_ashrrev_i32_e32 v3, 31, v2
	v_lshl_add_u64 v[2:3], v[2:3], 1, s[0:1]
	v_lshlrev_b32_e32 v0, 1, v1
	v_mov_b32_e32 v1, 0
	s_mov_b32 s0, 0x7060302
	v_lshl_add_u64 v[0:1], v[2:3], 0, v[0:1]
	v_perm_b32 v3, v53, v52, s0
	v_perm_b32 v2, v47, v46, s0
	global_store_dwordx2 v[0:1], v[2:3], off
	v_perm_b32 v3, v49, v48, s0
	v_perm_b32 v2, v51, v50, s0
	global_store_dwordx2 v[0:1], v[2:3], off offset:128
	s_endpgm
	.section	.rodata,"a",@progbits
	.p2align	6, 0x0
	.amdhsa_kernel _ZN12_GLOBAL__N_139chunk_gated_delta_rule_fwd_h_hip_kernelILi16ELb0ELb1ELb0ELb1ELb0ELb1ELb0ELb1EEEvPK12hip_bfloat16S3_S3_PKfS5_PKvPS1_S8_PvPKiSB_iiiiilll
		.amdhsa_group_segment_fixed_size 40960
		.amdhsa_private_segment_fixed_size 0
		.amdhsa_kernarg_size 136
		.amdhsa_user_sgpr_count 2
		.amdhsa_user_sgpr_dispatch_ptr 0
		.amdhsa_user_sgpr_queue_ptr 0
		.amdhsa_user_sgpr_kernarg_segment_ptr 1
		.amdhsa_user_sgpr_dispatch_id 0
		.amdhsa_user_sgpr_kernarg_preload_length 0
		.amdhsa_user_sgpr_kernarg_preload_offset 0
		.amdhsa_user_sgpr_private_segment_size 0
		.amdhsa_uses_dynamic_stack 0
		.amdhsa_enable_private_segment 0
		.amdhsa_system_sgpr_workgroup_id_x 1
		.amdhsa_system_sgpr_workgroup_id_y 1
		.amdhsa_system_sgpr_workgroup_id_z 0
		.amdhsa_system_sgpr_workgroup_info 0
		.amdhsa_system_vgpr_workitem_id 0
		.amdhsa_next_free_vgpr 128
		.amdhsa_next_free_sgpr 65
		.amdhsa_accum_offset 116
		.amdhsa_reserve_vcc 1
		.amdhsa_float_round_mode_32 0
		.amdhsa_float_round_mode_16_64 0
		.amdhsa_float_denorm_mode_32 3
		.amdhsa_float_denorm_mode_16_64 3
		.amdhsa_dx10_clamp 1
		.amdhsa_ieee_mode 1
		.amdhsa_fp16_overflow 0
		.amdhsa_tg_split 0
		.amdhsa_exception_fp_ieee_invalid_op 0
		.amdhsa_exception_fp_denorm_src 0
		.amdhsa_exception_fp_ieee_div_zero 0
		.amdhsa_exception_fp_ieee_overflow 0
		.amdhsa_exception_fp_ieee_underflow 0
		.amdhsa_exception_fp_ieee_inexact 0
		.amdhsa_exception_int_div_zero 0
	.end_amdhsa_kernel
	.section	.text._ZN12_GLOBAL__N_139chunk_gated_delta_rule_fwd_h_hip_kernelILi16ELb0ELb1ELb0ELb1ELb0ELb1ELb0ELb1EEEvPK12hip_bfloat16S3_S3_PKfS5_PKvPS1_S8_PvPKiSB_iiiiilll,"axG",@progbits,_ZN12_GLOBAL__N_139chunk_gated_delta_rule_fwd_h_hip_kernelILi16ELb0ELb1ELb0ELb1ELb0ELb1ELb0ELb1EEEvPK12hip_bfloat16S3_S3_PKfS5_PKvPS1_S8_PvPKiSB_iiiiilll,comdat
.Lfunc_end598:
	.size	_ZN12_GLOBAL__N_139chunk_gated_delta_rule_fwd_h_hip_kernelILi16ELb0ELb1ELb0ELb1ELb0ELb1ELb0ELb1EEEvPK12hip_bfloat16S3_S3_PKfS5_PKvPS1_S8_PvPKiSB_iiiiilll, .Lfunc_end598-_ZN12_GLOBAL__N_139chunk_gated_delta_rule_fwd_h_hip_kernelILi16ELb0ELb1ELb0ELb1ELb0ELb1ELb0ELb1EEEvPK12hip_bfloat16S3_S3_PKfS5_PKvPS1_S8_PvPKiSB_iiiiilll
                                        ; -- End function
	.section	.AMDGPU.csdata,"",@progbits
; Kernel info:
; codeLenInByte = 8192
; NumSgprs: 71
; NumVgprs: 114
; NumAgprs: 12
; TotalNumVgprs: 128
; ScratchSize: 0
; MemoryBound: 0
; FloatMode: 240
; IeeeMode: 1
; LDSByteSize: 40960 bytes/workgroup (compile time only)
; SGPRBlocks: 8
; VGPRBlocks: 15
; NumSGPRsForWavesPerEU: 71
; NumVGPRsForWavesPerEU: 128
; AccumOffset: 116
; Occupancy: 1
; WaveLimiterHint : 1
; COMPUTE_PGM_RSRC2:SCRATCH_EN: 0
; COMPUTE_PGM_RSRC2:USER_SGPR: 2
; COMPUTE_PGM_RSRC2:TRAP_HANDLER: 0
; COMPUTE_PGM_RSRC2:TGID_X_EN: 1
; COMPUTE_PGM_RSRC2:TGID_Y_EN: 1
; COMPUTE_PGM_RSRC2:TGID_Z_EN: 0
; COMPUTE_PGM_RSRC2:TIDIG_COMP_CNT: 0
; COMPUTE_PGM_RSRC3_GFX90A:ACCUM_OFFSET: 28
; COMPUTE_PGM_RSRC3_GFX90A:TG_SPLIT: 0
	.section	.text._ZN12_GLOBAL__N_139chunk_gated_delta_rule_fwd_h_hip_kernelILi16ELb0ELb0ELb1ELb1ELb0ELb1ELb0ELb1EEEvPK12hip_bfloat16S3_S3_PKfS5_PKvPS1_S8_PvPKiSB_iiiiilll,"axG",@progbits,_ZN12_GLOBAL__N_139chunk_gated_delta_rule_fwd_h_hip_kernelILi16ELb0ELb0ELb1ELb1ELb0ELb1ELb0ELb1EEEvPK12hip_bfloat16S3_S3_PKfS5_PKvPS1_S8_PvPKiSB_iiiiilll,comdat
	.globl	_ZN12_GLOBAL__N_139chunk_gated_delta_rule_fwd_h_hip_kernelILi16ELb0ELb0ELb1ELb1ELb0ELb1ELb0ELb1EEEvPK12hip_bfloat16S3_S3_PKfS5_PKvPS1_S8_PvPKiSB_iiiiilll ; -- Begin function _ZN12_GLOBAL__N_139chunk_gated_delta_rule_fwd_h_hip_kernelILi16ELb0ELb0ELb1ELb1ELb0ELb1ELb0ELb1EEEvPK12hip_bfloat16S3_S3_PKfS5_PKvPS1_S8_PvPKiSB_iiiiilll
	.p2align	8
	.type	_ZN12_GLOBAL__N_139chunk_gated_delta_rule_fwd_h_hip_kernelILi16ELb0ELb0ELb1ELb1ELb0ELb1ELb0ELb1EEEvPK12hip_bfloat16S3_S3_PKfS5_PKvPS1_S8_PvPKiSB_iiiiilll,@function
_ZN12_GLOBAL__N_139chunk_gated_delta_rule_fwd_h_hip_kernelILi16ELb0ELb0ELb1ELb1ELb0ELb1ELb0ELb1EEEvPK12hip_bfloat16S3_S3_PKfS5_PKvPS1_S8_PvPKiSB_iiiiilll: ; @_ZN12_GLOBAL__N_139chunk_gated_delta_rule_fwd_h_hip_kernelILi16ELb0ELb0ELb1ELb1ELb0ELb1ELb0ELb1EEEvPK12hip_bfloat16S3_S3_PKfS5_PKvPS1_S8_PvPKiSB_iiiiilll
; %bb.0:
	s_load_dwordx4 s[16:19], s[0:1], 0x5c
	s_load_dwordx4 s[20:23], s[0:1], 0x70
	s_abs_i32 s25, s3
	s_ashr_i32 s24, s3, 31
	s_load_dwordx4 s[12:15], s[0:1], 0x30
	s_load_dwordx4 s[28:31], s[0:1], 0x48
	s_waitcnt lgkmcnt(0)
	s_abs_i32 s34, s17
	v_cvt_f32_u32_e32 v1, s34
	s_sub_i32 s26, 0, s34
	s_ashr_i32 s35, s17, 31
	s_xor_b32 s24, s24, s35
	v_rcp_iflag_f32_e32 v1, v1
	s_load_dwordx8 s[4:11], s[0:1], 0x0
	v_lshrrev_b32_e32 v61, 6, v0
	v_bfe_u32 v62, v0, 4, 2
	v_mul_f32_e32 v1, 0x4f7ffffe, v1
	v_cvt_u32_f32_e32 v1, v1
	v_lshlrev_b32_e32 v45, 4, v61
	v_lshlrev_b32_e32 v2, 2, v62
	v_and_b32_e32 v60, 63, v0
	v_readfirstlane_b32 s27, v1
	s_mul_i32 s26, s26, s27
	s_mul_hi_u32 s26, s27, s26
	s_add_i32 s27, s27, s26
	s_mul_hi_u32 s26, s25, s27
	s_mul_i32 s27, s26, s34
	s_sub_i32 s25, s25, s27
	s_add_i32 s33, s26, 1
	s_sub_i32 s27, s25, s34
	s_cmp_ge_u32 s25, s34
	s_cselect_b32 s26, s33, s26
	s_cselect_b32 s25, s27, s25
	s_add_i32 s27, s26, 1
	s_cmp_ge_u32 s25, s34
	s_cselect_b32 s25, s27, s26
	s_xor_b32 s25, s25, s24
	s_sub_i32 s24, s25, s24
	s_mul_i32 s25, s24, s17
	s_sub_i32 s33, s3, s25
	s_ashr_i32 s25, s24, 31
	s_lshl_b64 s[26:27], s[24:25], 2
	s_add_u32 s28, s28, s26
	s_addc_u32 s29, s29, s27
	s_add_u32 s26, s30, s26
	s_addc_u32 s27, s31, s27
	s_abs_i32 s3, s18
	v_cvt_f32_u32_e32 v1, s3
	s_load_dwordx2 s[38:39], s[28:29], 0x0
	s_sub_i32 s29, 0, s3
	s_load_dword s48, s[26:27], 0x0
	v_rcp_iflag_f32_e32 v1, v1
	v_or_b32_e32 v66, v2, v45
	s_waitcnt lgkmcnt(0)
	s_sub_i32 s49, s39, s38
	s_ashr_i32 s28, s49, 31
	v_mul_f32_e32 v1, 0x4f7ffffe, v1
	v_cvt_u32_f32_e32 v1, v1
	s_lshr_b32 s28, s28, 26
	s_add_i32 s28, s49, s28
	s_ashr_i32 s47, s28, 6
	v_readfirstlane_b32 s30, v1
	s_mul_i32 s29, s29, s30
	s_mul_hi_u32 s29, s30, s29
	s_add_i32 s30, s30, s29
	s_mul_hi_u32 s29, s34, s30
	s_mul_i32 s30, s29, s3
	s_ashr_i32 s28, s18, 31
	s_sub_i32 s30, s34, s30
	s_xor_b32 s28, s35, s28
	s_add_i32 s31, s29, 1
	s_sub_i32 s34, s30, s3
	s_cmp_ge_u32 s30, s3
	s_cselect_b32 s29, s31, s29
	s_cselect_b32 s30, s34, s30
	s_add_i32 s31, s29, 1
	s_cmp_ge_u32 s30, s3
	s_cselect_b32 s3, s31, s29
	s_xor_b32 s3, s3, s28
	s_sub_i32 s3, s3, s28
	s_abs_i32 s28, s3
	v_cvt_f32_u32_e32 v1, s28
	s_sub_i32 s27, 0, s28
	s_abs_i32 s26, s33
	s_xor_b32 s3, s33, s3
	v_rcp_iflag_f32_e32 v1, v1
	s_ashr_i32 s3, s3, 31
	s_load_dwordx2 s[34:35], s[0:1], 0x80
	v_mov_b32_e32 v49, 0
	v_mul_f32_e32 v1, 0x4f7ffffe, v1
	v_cvt_u32_f32_e32 v1, v1
	v_or_b32_e32 v65, 64, v66
	s_mul_hi_i32 s50, s33, s16
	s_mul_i32 s51, s33, s16
	v_readfirstlane_b32 s29, v1
	s_mul_i32 s27, s27, s29
	s_mul_hi_u32 s27, s29, s27
	s_add_i32 s29, s29, s27
	s_mul_hi_u32 s27, s26, s29
	s_mul_i32 s29, s27, s28
	s_sub_i32 s26, s26, s29
	s_add_i32 s29, s27, 1
	s_sub_i32 s30, s26, s28
	s_cmp_ge_u32 s26, s28
	s_cselect_b32 s27, s29, s27
	s_cselect_b32 s26, s30, s26
	s_add_i32 s29, s27, 1
	s_cmp_ge_u32 s26, s28
	s_cselect_b32 s26, s29, s27
	s_xor_b32 s26, s26, s3
	s_sub_i32 s53, s26, s3
	s_lshl_b32 s36, s2, 4
	v_and_b32_e32 v1, 15, v0
	s_cmp_lt_i32 s49, 64
	v_lshrrev_b32_e32 v64, 3, v60
	v_lshlrev_b32_e32 v63, 3, v0
	s_mul_i32 s44, s24, s21
	s_mul_hi_u32 s45, s24, s20
	s_mul_i32 s46, s25, s20
	s_mul_i32 s20, s24, s20
	v_mov_b32_e32 v48, v49
	v_mov_b32_e32 v51, v49
	;; [unrolled: 1-line block ×7, first 2 shown]
	s_cbranch_scc1 .LBB599_18
; %bb.1:
	s_ashr_i32 s55, s33, 31
	s_ashr_i32 s3, s38, 31
	s_add_u32 s2, s51, s38
	s_addc_u32 s3, s50, s3
	s_lshl_b64 s[2:3], s[2:3], 8
	v_and_b32_e32 v68, 56, v63
	s_add_u32 s24, s6, s2
	v_lshl_or_b32 v67, v61, 3, v64
	v_lshlrev_b32_e32 v3, 1, v68
	s_addc_u32 s2, s7, s3
	v_lshl_or_b32 v69, v67, 8, v3
	s_and_b32 s25, s2, 0xffff
	s_mov_b32 s27, 0x20000
	s_movk_i32 s26, 0x4000
	s_movk_i32 s2, 0x80
	v_or_b32_e32 v70, 0x2000, v69
	buffer_load_dwordx4 v[4:7], v69, s[24:27], 0 offen
	buffer_load_dwordx4 v[8:11], v69, s[24:27], s2 offen
	;; [unrolled: 1-line block ×4, first 2 shown]
	v_lshlrev_b32_e32 v20, 3, v67
	v_and_or_b32 v22, v0, 7, v20
	v_and_b32_e32 v20, 0x78, v20
	v_lshlrev_b32_e32 v22, 4, v22
	v_xor_b32_e32 v71, v22, v20
	v_mul_lo_u32 v21, v67, s19
	v_or_b32_e32 v72, 0x1000, v71
	s_cmpk_eq_i32 s19, 0x80
	s_mov_b32 s52, s17
	s_mov_b32 s54, s38
	v_xor_b32_e32 v20, 8, v71
	v_xor_b32_e32 v22, 8, v72
	s_cselect_b64 s[2:3], -1, 0
	s_cmpk_lg_i32 s19, 0x80
	s_waitcnt vmcnt(3)
	ds_write_b64 v71, v[4:5] offset:16384
	ds_write_b64 v20, v[6:7] offset:16384
	s_waitcnt vmcnt(2)
	ds_write_b64 v71, v[8:9] offset:24576
	ds_write_b64 v20, v[10:11] offset:24576
	;; [unrolled: 3-line block ×4, first 2 shown]
	v_lshl_add_u32 v4, v21, 1, v68
	s_cbranch_scc0 .LBB599_3
; %bb.2:
	v_lshlrev_b32_e32 v6, 1, v4
	v_add_lshl_u32 v5, v4, s19, 1
	s_lshl_b32 s26, s19, 7
	s_load_dwordx2 s[40:41], s[0:1], 0x20
	v_lshl_or_b32 v3, v67, 9, v3
	s_cbranch_execz .LBB599_4
	s_branch .LBB599_5
.LBB599_3:
                                        ; implicit-def: $vgpr5
                                        ; implicit-def: $vgpr6
                                        ; implicit-def: $sgpr26
	s_load_dwordx2 s[40:41], s[0:1], 0x20
	v_lshl_or_b32 v3, v67, 9, v3
.LBB599_4:
	v_or_b32_e32 v5, 0x100, v3
	s_movk_i32 s26, 0x4000
	v_mov_b32_e32 v6, v3
.LBB599_5:
	s_mul_i32 s0, s38, s18
	s_ashr_i32 s56, s53, 31
	s_mul_hi_i32 s1, s38, s18
	s_add_u32 s0, s0, s53
	s_addc_u32 s1, s1, s56
	s_lshl_b64 s[0:1], s[0:1], 8
	s_add_u32 s24, s4, s0
	s_addc_u32 s0, s5, s1
	s_and_b32 s25, s0, 0xffff
	s_movk_i32 s57, 0x80
	buffer_load_dwordx4 v[8:11], v6, s[24:27], 0 offen
	buffer_load_dwordx4 v[12:15], v6, s[24:27], s57 offen
	;; [unrolled: 1-line block ×4, first 2 shown]
	v_and_b32_e32 v5, 6, v0
	v_lshlrev_b32_e32 v7, 2, v1
	v_lshlrev_b32_e32 v24, 3, v1
	v_xor_b32_e32 v26, v67, v5
	v_and_b32_e32 v6, 1, v0
	v_lshl_or_b32 v24, v66, 5, v24
	v_xor_b32_e32 v27, v66, v7
	v_lshlrev_b32_e32 v26, 2, v26
	s_mul_i32 s1, s33, s23
	s_mul_hi_u32 s21, s33, s22
	v_or_b32_e32 v73, 0x9000, v24
	v_or_b32_e32 v74, 0x9800, v24
	v_lshlrev_b32_e32 v24, 1, v27
	v_xor_b32_e32 v27, 0x440, v26
	v_cmp_eq_u32_e32 vcc, 0, v6
	s_add_i32 s25, s45, s44
	s_mul_i32 s24, s55, s22
	v_cndmask_b32_e32 v6, v27, v26, vcc
	s_add_i32 s1, s21, s1
	s_add_i32 s21, s25, s46
	s_mov_b32 s58, 0x1000504
	v_lshlrev_b32_e32 v25, 8, v1
	s_mov_b32 s26, 0x8000
	v_xor_b32_e32 v7, v65, v7
	v_lshl_or_b32 v5, v5, 10, v6
	s_add_i32 s1, s1, s24
	s_lshl_b64 s[24:25], s[20:21], 2
	s_mov_b32 s59, 0x3020706
	s_mul_i32 s0, s33, s22
	v_lshlrev_b32_e32 v7, 1, v7
	v_or3_b32 v75, v24, v25, s26
	v_xor_b32_e32 v6, 8, v5
	v_xor_b32_e32 v24, 24, v5
	;; [unrolled: 1-line block ×4, first 2 shown]
	s_add_u32 s21, s10, s24
	v_or3_b32 v76, v7, v25, s26
	v_xor_b32_e32 v7, 16, v5
	v_xor_b32_e32 v25, 32, v5
	;; [unrolled: 1-line block ×3, first 2 shown]
	v_add_u32_e32 v6, 0x80, v6
	v_add_u32_e32 v24, 0x80, v24
	;; [unrolled: 1-line block ×4, first 2 shown]
	s_addc_u32 s24, s11, s25
	s_lshl_b64 s[0:1], s[0:1], 2
	s_add_u32 s42, s21, s0
	s_movk_i32 s0, 0xf8
	s_addc_u32 s43, s24, s1
	s_ashr_i32 s37, s36, 31
	s_lshl_b32 s30, s19, 7
	v_mov_b32_e32 v47, 0
	s_mov_b32 s60, 0
	v_add_u32_e32 v87, v45, v2
	s_mov_b32 s21, 0x7060302
	v_mov_b32_e32 v98, 0x3fb8aa3b
	v_mov_b32_e32 v52, v47
	;; [unrolled: 1-line block ×7, first 2 shown]
	s_waitcnt vmcnt(1)
	v_perm_b32 v29, v8, v16, s58
	s_waitcnt vmcnt(0)
	v_perm_b32 v30, v12, v20, s58
	v_perm_b32 v8, v8, v16, s59
	;; [unrolled: 1-line block ×15, first 2 shown]
	ds_write2st64_b32 v5, v29, v30 offset1:32
	ds_write2st64_b32 v6, v8, v12 offset1:32
	ds_write2st64_b32 v7, v16, v20 offset0:1 offset1:33
	ds_write2st64_b32 v24, v9, v13 offset0:1 offset1:33
	;; [unrolled: 1-line block ×6, first 2 shown]
	v_or_b32_e32 v5, v45, v1
	v_lshlrev_b32_e32 v5, 3, v5
	v_lshrrev_b32_e32 v7, 5, v60
	v_and_or_b32 v7, v5, s0, v7
	v_lshlrev_b32_e32 v7, 4, v7
	v_lshrrev_b32_e32 v6, 2, v60
	v_lshlrev_b32_e32 v11, 11, v61
	v_and_b32_e32 v5, 0x78, v5
	v_or_b32_e32 v12, 32, v7
	v_and_b32_e32 v10, 12, v6
	v_and_b32_e32 v6, 0x1000, v11
	v_lshrrev_b32_e32 v9, 1, v60
	v_xor_b32_e32 v12, v12, v5
	v_and_b32_e32 v9, 8, v9
	v_or_b32_e32 v12, v12, v6
	v_xor_b32_e32 v8, v7, v5
	v_xor_b32_e32 v79, v12, v9
	v_or_b32_e32 v12, 64, v7
	v_or_b32_e32 v7, 0x60, v7
	v_xor_b32_e32 v12, v12, v5
	v_xor_b32_e32 v5, v7, v5
	v_or_b32_e32 v5, v5, v6
	v_or_b32_e32 v12, v12, v6
	v_xor_b32_e32 v81, v5, v9
	v_lshlrev_b32_e32 v5, 1, v1
	v_xor_b32_e32 v80, v12, v9
	v_lshlrev_b32_e32 v12, 1, v4
	v_add_lshl_u32 v13, v4, s19, 1
	v_lshrrev_b32_e32 v4, 4, v0
	s_lshl_b64 s[0:1], s[36:37], 8
	v_or_b32_e32 v15, 1, v5
	s_add_u32 s0, s12, s0
	v_xor_b32_e32 v5, v4, v5
	v_xor_b32_e32 v15, v15, v4
	s_addc_u32 s1, s13, s1
	v_lshlrev_b32_e32 v5, 3, v5
	v_lshlrev_b32_e32 v46, 8, v4
	;; [unrolled: 1-line block ×3, first 2 shown]
	v_lshrrev_b32_e32 v19, 1, v0
	v_or3_b32 v83, v5, v46, s26
	v_or3_b32 v84, v4, v46, s26
	v_lshl_add_u64 v[4:5], s[0:1], 0, v[46:47]
	v_lshlrev_b32_e32 v46, 4, v1
	s_movk_i32 s0, 0xff
	v_lshlrev_b32_e32 v18, 3, v61
	v_and_b32_e32 v19, 24, v19
	v_lshl_add_u64 v[54:55], v[4:5], 0, v[46:47]
	v_and_b32_e32 v5, 8, v0
	v_cmp_lt_u32_e32 vcc, s0, v0
	v_xor_b32_e32 v20, v18, v19
	v_or_b32_e32 v21, 0x440, v20
	v_cndmask_b32_e64 v17, 0, 1, vcc
	v_cmp_eq_u32_e32 vcc, 0, v5
	v_or_b32_e32 v23, 64, v19
	v_xor_b32_e32 v23, v18, v23
	v_cndmask_b32_e32 v5, v21, v20, vcc
	v_or_b32_e32 v21, 32, v19
	v_or_b32_e32 v19, 0x60, v19
	v_xor_b32_e32 v21, v18, v21
	v_xor_b32_e32 v18, v18, v19
	v_or_b32_e32 v22, 0x440, v21
	v_xor_b32_e32 v24, 0x440, v23
	v_xor_b32_e32 v19, 0x440, v18
	v_or_b32_e32 v8, v8, v6
	v_or_b32_e32 v6, s36, v1
	v_and_b32_e32 v4, 7, v0
	v_cndmask_b32_e32 v21, v22, v21, vcc
	v_cndmask_b32_e32 v23, v24, v23, vcc
	;; [unrolled: 1-line block ×3, first 2 shown]
	v_xor_b32_e32 v77, v8, v9
	v_and_b32_e32 v8, 0x78, v63
	v_ashrrev_i32_e32 v7, 31, v6
	v_lshlrev_b32_e32 v15, 3, v4
	v_or_b32_e32 v5, v5, v11
	v_or_b32_e32 v21, v21, v11
	;; [unrolled: 1-line block ×4, first 2 shown]
	v_lshl_or_b32 v8, v62, 7, v8
	v_lshlrev_b64 v[6:7], 1, v[6:7]
	v_lshlrev_b32_e32 v17, 13, v17
	v_xor_b32_e32 v5, v5, v15
	v_xor_b32_e32 v21, v21, v15
	;; [unrolled: 1-line block ×4, first 2 shown]
	v_or_b32_e32 v78, 0x9000, v8
	v_or_b32_e32 v82, 0x9800, v8
	v_lshl_add_u64 v[8:9], s[8:9], 0, v[6:7]
	v_lshl_add_u64 v[6:7], s[14:15], 0, v[6:7]
	v_or_b32_e32 v14, 0x100, v3
	v_lshlrev_b32_e32 v16, 7, v4
	v_or_b32_e32 v4, v10, v45
	v_add_u32_e32 v20, v17, v5
	v_add_u32_e32 v22, v17, v21
	v_add_u32_e32 v24, v17, v23
	v_add_u32_e32 v15, v17, v11
	v_or3_b32 v10, v45, v10, 64
	v_add_u32_e32 v5, 0x2000, v5
	v_add_u32_e32 v17, 0x2000, v21
	;; [unrolled: 1-line block ×4, first 2 shown]
	v_lshlrev_b32_e32 v46, 8, v66
	v_cndmask_b32_e64 v85, v12, v3, s[2:3]
	v_cndmask_b32_e64 v86, v13, v14, s[2:3]
	v_lshl_add_u64 v[56:57], v[8:9], 0, v[46:47]
	v_lshl_add_u64 v[58:59], v[6:7], 0, v[46:47]
	s_movk_i32 s26, 0x4000
	v_lshlrev_b32_e32 v88, 2, v4
	v_add_u32_e32 v89, v20, v16
	v_add_u32_e32 v90, v22, v16
	v_add_u32_e32 v91, v24, v16
	v_add_u32_e32 v92, v15, v16
	v_lshlrev_b32_e32 v93, 2, v10
	v_add_u32_e32 v94, v5, v16
	v_add_u32_e32 v95, v17, v16
	;; [unrolled: 1-line block ×4, first 2 shown]
	v_mov_b32_e32 v46, v47
	s_waitcnt lgkmcnt(0)
	s_barrier
.LBB599_6:                              ; =>This Inner Loop Header: Depth=1
	s_add_i32 s37, s60, 1
	s_cmp_lt_i32 s37, s47
	s_mov_b64 s[28:29], 0
	s_cselect_b64 s[2:3], -1, 0
	s_cmp_ge_i32 s37, s47
	s_mov_b64 s[24:25], 0
	s_cbranch_scc1 .LBB599_8
; %bb.7:                                ;   in Loop: Header=BB599_6 Depth=1
	s_add_i32 s0, s54, 64
	s_ashr_i32 s1, s0, 31
	s_add_u32 s0, s51, s0
	s_addc_u32 s1, s50, s1
	s_lshl_b64 s[0:1], s[0:1], 8
	s_add_u32 s24, s6, s0
	s_addc_u32 s25, s7, s1
.LBB599_8:                              ;   in Loop: Header=BB599_6 Depth=1
	v_cndmask_b32_e64 v2, 0, 1, s[2:3]
	v_cmp_ne_u32_e64 s[0:1], 1, v2
	s_andn2_b64 vcc, exec, s[2:3]
	s_cbranch_vccnz .LBB599_10
; %bb.9:                                ;   in Loop: Header=BB599_6 Depth=1
	s_add_i32 s2, s54, 64
	s_mul_hi_i32 s3, s2, s18
	s_mul_i32 s2, s2, s18
	s_add_u32 s2, s2, s53
	s_addc_u32 s3, s3, s56
	s_lshl_b64 s[2:3], s[2:3], 8
	s_add_u32 s28, s4, s2
	s_addc_u32 s29, s5, s3
.LBB599_10:                             ;   in Loop: Header=BB599_6 Depth=1
	v_perm_b32 v3, v53, v52, s21
	v_perm_b32 v2, v47, v46, s21
	;; [unrolled: 1-line block ×4, first 2 shown]
	ds_write_b64 v73, v[2:3]
	ds_write_b64 v74, v[4:5]
	;; [unrolled: 1-line block ×4, first 2 shown]
	s_waitcnt lgkmcnt(0)
	s_barrier
	ds_read_b64 v[10:11], v77 offset:16384
	ds_read_b64 v[12:13], v79 offset:16384
	ds_read2st64_b64 v[2:5], v78 offset1:1
	s_waitcnt lgkmcnt(0)
	v_mfma_f32_16x16x16_bf16 a[0:3], v[10:11], v[2:3], 0
	ds_read2st64_b64 v[6:9], v78 offset0:2 offset1:3
	ds_read_b64 v[14:15], v80 offset:16384
	ds_read_b64 v[2:3], v81 offset:16384
	s_add_i32 s61, s54, 63
	v_mfma_f32_16x16x16_bf16 a[0:3], v[12:13], v[4:5], a[0:3]
	s_ashr_i32 s2, s61, 31
	s_mul_i32 s3, s61, s35
	s_mul_hi_u32 s31, s61, s34
	s_waitcnt lgkmcnt(1)
	v_mfma_f32_16x16x16_bf16 a[0:3], v[14:15], v[6:7], a[0:3]
	s_add_i32 s3, s31, s3
	s_mul_i32 s2, s2, s34
	s_add_i32 s3, s3, s2
	s_mul_i32 s2, s61, s34
	s_waitcnt lgkmcnt(0)
	v_mfma_f32_16x16x16_bf16 a[0:3], v[2:3], v[8:9], a[0:3]
	s_lshl_b64 s[2:3], s[2:3], 2
	s_add_u32 s2, s42, s2
	s_addc_u32 s3, s43, s3
	s_and_b64 vcc, exec, s[0:1]
	v_mov_b32_e32 v101, 0
	v_mov_b32_e32 v100, 0
	;; [unrolled: 1-line block ×19, first 2 shown]
	s_cbranch_vccnz .LBB599_12
; %bb.11:                               ;   in Loop: Header=BB599_6 Depth=1
	s_and_b32 s25, s25, 0xffff
	buffer_load_dwordx4 v[14:17], v69, s[24:27], 0 offen
	buffer_load_dwordx4 v[10:13], v69, s[24:27], s57 offen
	;; [unrolled: 1-line block ×4, first 2 shown]
	v_mov_b32_e32 v100, v71
	v_mov_b32_e32 v99, v72
.LBB599_12:                             ;   in Loop: Header=BB599_6 Depth=1
	v_add_u32_e32 v22, s54, v87
	v_ashrrev_i32_e32 v18, 31, v22
	v_mul_lo_u32 v20, v18, s34
	v_mul_lo_u32 v21, v22, s35
	v_mad_u64_u32 v[18:19], s[24:25], v22, s34, 0
	v_add3_u32 v19, v19, v21, v20
	v_lshl_add_u64 v[18:19], v[18:19], 2, s[42:43]
	global_load_dword v34, v[18:19], off
	v_add_u32_e32 v18, 1, v22
	v_ashrrev_i32_e32 v19, 31, v18
	v_mul_lo_u32 v20, v19, s34
	v_mul_lo_u32 v21, v18, s35
	v_mad_u64_u32 v[18:19], s[24:25], v18, s34, 0
	v_add3_u32 v19, v19, v21, v20
	v_add_u32_e32 v20, 2, v22
	v_ashrrev_i32_e32 v21, 31, v20
	v_mul_lo_u32 v23, v21, s34
	v_mul_lo_u32 v24, v20, s35
	v_mad_u64_u32 v[20:21], s[24:25], v20, s34, 0
	v_add_u32_e32 v22, 3, v22
	v_add3_u32 v21, v21, v24, v23
	v_ashrrev_i32_e32 v23, 31, v22
	v_mul_lo_u32 v26, v23, s34
	v_mul_lo_u32 v27, v22, s35
	v_mad_u64_u32 v[22:23], s[24:25], v22, s34, 0
	s_ashr_i32 s25, s54, 31
	s_add_u32 s24, s51, s54
	s_addc_u32 s25, s50, s25
	s_lshl_b64 s[24:25], s[24:25], 8
	v_lshl_add_u64 v[18:19], v[18:19], 2, s[42:43]
	v_lshl_add_u64 v[24:25], v[56:57], 0, s[24:25]
	v_add3_u32 v23, v23, v27, v26
	v_lshl_add_u64 v[20:21], v[20:21], 2, s[42:43]
	global_load_ushort v35, v[24:25], off
	global_load_ushort v36, v[24:25], off offset:256
	global_load_ushort v37, v[24:25], off offset:512
	;; [unrolled: 1-line block ×3, first 2 shown]
	v_lshl_add_u64 v[22:23], v[22:23], 2, s[42:43]
	global_load_dword v39, v[18:19], off
	global_load_dword v40, v[20:21], off
	global_load_dword v41, v[22:23], off
	ds_read_b64 v[22:23], v77 offset:24576
	ds_read_b64 v[28:29], v79 offset:24576
	ds_read2st64_b64 v[18:21], v82 offset1:1
	s_waitcnt lgkmcnt(0)
	v_mfma_f32_16x16x16_bf16 a[0:3], v[22:23], v[18:19], a[0:3]
	s_load_dword s2, s[2:3], 0x0
	ds_read2st64_b64 v[24:27], v82 offset0:2 offset1:3
	ds_read_b64 v[30:31], v80 offset:24576
	ds_read_b64 v[32:33], v81 offset:24576
	v_mov_b32_e32 v102, 0
	v_mfma_f32_16x16x16_bf16 a[0:3], v[28:29], v[20:21], a[0:3]
	v_mov_b32_e32 v18, 0
	v_mov_b32_e32 v19, 0
	v_mov_b32_e32 v20, 0
	s_waitcnt lgkmcnt(0)
	v_mfma_f32_16x16x16_bf16 a[0:3], v[30:31], v[24:25], a[0:3]
	v_lshl_add_u64 v[24:25], v[58:59], 0, s[24:25]
	v_mov_b32_e32 v21, 0
	v_mov_b32_e32 v22, 0
	v_mfma_f32_16x16x16_bf16 a[0:3], v[32:33], v[26:27], a[0:3]
	v_mov_b32_e32 v23, 0
	s_and_b64 vcc, exec, s[0:1]
	s_waitcnt vmcnt(7)
	v_sub_f32_e32 v34, s2, v34
	s_nop 2
	v_accvgpr_read_b32 v29, a1
	v_accvgpr_read_b32 v27, a3
	;; [unrolled: 1-line block ×4, first 2 shown]
	v_mul_f32_e32 v34, 0x3fb8aa3b, v34
	s_waitcnt vmcnt(6)
	v_lshlrev_b32_e32 v30, 16, v35
	s_waitcnt vmcnt(5)
	v_lshlrev_b32_e32 v31, 16, v36
	;; [unrolled: 2-line block ×4, first 2 shown]
	s_waitcnt vmcnt(2)
	v_sub_f32_e32 v35, s2, v39
	s_waitcnt vmcnt(1)
	v_sub_f32_e32 v36, s2, v40
	;; [unrolled: 2-line block ×3, first 2 shown]
	v_pk_add_f32 v[28:29], v[30:31], v[28:29] neg_lo:[0,1] neg_hi:[0,1]
	v_pk_add_f32 v[26:27], v[32:33], v[26:27] neg_lo:[0,1] neg_hi:[0,1]
	v_mul_f32_e32 v31, 0x3fb8aa3b, v35
	v_mul_f32_e32 v32, 0x3fb8aa3b, v36
	;; [unrolled: 1-line block ×3, first 2 shown]
	v_exp_f32_e32 v30, v34
	v_exp_f32_e32 v31, v31
	;; [unrolled: 1-line block ×4, first 2 shown]
	global_store_short_d16_hi v[24:25], v28, off
	global_store_short_d16_hi v[24:25], v29, off offset:256
	global_store_short_d16_hi v[24:25], v26, off offset:512
	;; [unrolled: 1-line block ×3, first 2 shown]
	v_pk_mul_f32 v[24:25], v[30:31], v[28:29]
	v_pk_mul_f32 v[26:27], v[32:33], v[26:27]
	v_perm_b32 v24, v25, v24, s21
	v_perm_b32 v25, v27, v26, s21
	ds_write_b64 v74, v[24:25]
	v_mov_b32_e32 v24, 0
	v_mov_b32_e32 v25, 0
	v_mov_b32_e32 v26, 0
	v_mov_b32_e32 v27, 0
	v_mov_b32_e32 v28, 0
	v_mov_b32_e32 v29, 0
	v_mov_b32_e32 v30, 0
	v_mov_b32_e32 v31, 0
	v_mov_b32_e32 v32, 0
	v_mov_b32_e32 v33, 0
	s_cbranch_vccnz .LBB599_14
; %bb.13:                               ;   in Loop: Header=BB599_6 Depth=1
	s_and_b32 s29, s29, 0xffff
	s_mov_b32 s31, s27
	buffer_load_dwordx4 v[30:33], v85, s[28:31], 0 offen
	buffer_load_dwordx4 v[22:25], v85, s[28:31], s57 offen
	;; [unrolled: 1-line block ×4, first 2 shown]
	v_mov_b32_e32 v101, v68
	v_mov_b32_e32 v102, v67
.LBB599_14:                             ;   in Loop: Header=BB599_6 Depth=1
	s_waitcnt lgkmcnt(0)
	s_barrier
	ds_read_b64 v[34:35], v89
	ds_read_b64 v[40:41], v90
	ds_read2st64_b64 v[36:39], v82 offset1:1
	ds_read2st64_b64 v[104:107], v82 offset0:2 offset1:3
	ds_read_b64 v[42:43], v91
	ds_read_b64 v[112:113], v92
	s_add_i32 s3, s48, s60
	s_mul_hi_i32 s25, s3, s52
	s_mul_i32 s3, s3, s52
	s_waitcnt lgkmcnt(3)
	v_mfma_f32_16x16x16_bf16 a[0:3], v[34:35], v[36:37], 0
	ds_read_b64 v[34:35], v94
	s_add_u32 s24, s3, s33
	s_addc_u32 s25, s25, s55
	v_mfma_f32_16x16x16_bf16 a[0:3], v[40:41], v[38:39], a[0:3]
	ds_read_b64 v[40:41], v95
	s_lshl_b64 s[24:25], s[24:25], 15
	s_mul_i32 s28, s61, s52
	s_mul_hi_i32 s3, s61, s52
	s_add_u32 s28, s28, s33
	s_addc_u32 s29, s3, s55
	s_lshl_b64 s[28:29], s[28:29], 9
	s_add_u32 s28, s40, s28
	s_waitcnt lgkmcnt(1)
	v_mfma_f32_16x16x16_bf16 a[4:7], v[34:35], v[36:37], 0
	s_addc_u32 s29, s41, s29
	s_and_b64 vcc, exec, s[0:1]
	v_mfma_f32_16x16x16_bf16 a[0:3], v[42:43], v[104:105], a[0:3]
	ds_read_b64 v[42:43], v96
	ds_read_b64 v[114:115], v97
	global_load_dwordx4 v[34:37], v93, s[28:29]
	s_waitcnt lgkmcnt(2)
	v_mfma_f32_16x16x16_bf16 a[4:7], v[40:41], v[38:39], a[4:7]
	global_load_dwordx4 v[38:41], v88, s[28:29]
	ds_read_b64 v[108:109], v83
	ds_read_b64 v[110:111], v84
	s_waitcnt lgkmcnt(3)
	v_mfma_f32_16x16x16_bf16 a[8:11], v[42:43], v[104:105], a[4:7]
	v_lshl_add_u64 v[42:43], v[54:55], 0, s[24:25]
	s_waitcnt lgkmcnt(0)
	global_store_dwordx4 v[42:43], v[108:111], off
	v_mfma_f32_16x16x16_bf16 a[4:7], v[112:113], v[106:107], a[0:3]
	s_waitcnt vmcnt(2)
	v_mov_b32_e32 v44, v37
	v_mfma_f32_16x16x16_bf16 a[0:3], v[114:115], v[106:107], a[8:11]
	v_mov_b32_e32 v43, v36
	v_mov_b32_e32 v42, v35
	s_cbranch_vccnz .LBB599_16
; %bb.15:                               ;   in Loop: Header=BB599_6 Depth=1
	v_lshrrev_b32_e32 v35, 3, v101
	v_and_b32_e32 v35, 6, v35
	v_xor_b32_e32 v36, v35, v102
	v_lshlrev_b32_e32 v36, 2, v36
	v_and_b32_e32 v37, 8, v101
	v_xor_b32_e32 v101, 0x440, v36
	v_cmp_eq_u32_e32 vcc, 0, v37
	v_perm_b32 v37, v22, v18, s58
	s_nop 0
	v_cndmask_b32_e32 v36, v101, v36, vcc
	v_lshl_or_b32 v35, v35, 10, v36
	v_perm_b32 v36, v30, v26, s58
	s_barrier
	ds_write2st64_b32 v35, v36, v37 offset1:32
	v_xor_b32_e32 v36, 8, v35
	v_perm_b32 v26, v30, v26, s59
	v_perm_b32 v18, v22, v18, s59
	v_add_u32_e32 v22, 0x80, v36
	ds_write2st64_b32 v22, v26, v18 offset1:32
	v_xor_b32_e32 v18, 16, v35
	v_perm_b32 v22, v31, v27, s58
	v_perm_b32 v26, v23, v19, s58
	ds_write2st64_b32 v18, v22, v26 offset0:1 offset1:33
	v_xor_b32_e32 v18, 24, v35
	v_perm_b32 v22, v31, v27, s59
	v_perm_b32 v19, v23, v19, s59
	v_add_u32_e32 v18, 0x80, v18
	ds_write2st64_b32 v18, v22, v19 offset0:1 offset1:33
	v_xor_b32_e32 v18, 32, v35
	v_perm_b32 v19, v32, v28, s58
	v_perm_b32 v22, v24, v20, s58
	ds_write2st64_b32 v18, v19, v22 offset0:2 offset1:34
	v_xor_b32_e32 v18, 40, v35
	v_perm_b32 v19, v32, v28, s59
	v_perm_b32 v20, v24, v20, s59
	v_add_u32_e32 v18, 0x80, v18
	ds_write2st64_b32 v18, v19, v20 offset0:2 offset1:34
	;; [unrolled: 9-line block ×3, first 2 shown]
	ds_write_b64 v100, v[14:15] offset:16384
	v_xor_b32_e32 v14, 8, v100
	ds_write_b64 v14, v[16:17] offset:16384
	ds_write_b64 v100, v[10:11] offset:24576
	ds_write_b64 v14, v[12:13] offset:24576
	ds_write_b64 v99, v[6:7] offset:16384
	v_xor_b32_e32 v6, 8, v99
	ds_write_b64 v6, v[8:9] offset:16384
	ds_write_b64 v99, v[2:3] offset:24576
	;; [unrolled: 1-line block ×3, first 2 shown]
.LBB599_16:                             ;   in Loop: Header=BB599_6 Depth=1
	v_mul_f32_e32 v6, s2, v98
	v_exp_f32_e32 v10, v6
	s_waitcnt vmcnt(1)
	v_mul_f32_e32 v6, 0x3fb8aa3b, v38
	v_exp_f32_e32 v12, v6
	v_mul_f32_e32 v6, 0x3fb8aa3b, v39
	v_exp_f32_e32 v13, v6
	;; [unrolled: 2-line block ×4, first 2 shown]
	v_accvgpr_read_b32 v2, a4
	v_accvgpr_read_b32 v3, a5
	v_pk_mul_f32 v[12:13], v[10:11], v[12:13] op_sel_hi:[0,1]
	v_pk_fma_f32 v[46:47], v[46:47], v[12:13], v[2:3]
	v_pk_mul_f32 v[2:3], v[10:11], v[14:15] op_sel_hi:[0,1]
	v_mul_f32_e32 v11, 0x3fb8aa3b, v34
	v_exp_f32_e32 v12, v11
	v_mul_f32_e32 v11, 0x3fb8aa3b, v42
	v_exp_f32_e32 v13, v11
	;; [unrolled: 2-line block ×4, first 2 shown]
	v_accvgpr_read_b32 v4, a6
	v_accvgpr_read_b32 v5, a7
	;; [unrolled: 1-line block ×5, first 2 shown]
	v_pk_fma_f32 v[52:53], v[52:53], v[2:3], v[4:5]
	v_pk_mul_f32 v[2:3], v[10:11], v[12:13] op_sel_hi:[0,1]
	v_accvgpr_read_b32 v8, a2
	v_pk_fma_f32 v[50:51], v[50:51], v[2:3], v[6:7]
	v_pk_mul_f32 v[2:3], v[10:11], v[14:15] op_sel_hi:[0,1]
	s_add_i32 s54, s54, 64
	s_cmp_eq_u32 s47, s37
	v_pk_fma_f32 v[48:49], v[48:49], v[2:3], v[8:9]
	s_cbranch_scc1 .LBB599_18
; %bb.17:                               ;   in Loop: Header=BB599_6 Depth=1
	s_mov_b32 s60, s37
	s_branch .LBB599_6
.LBB599_18:
	s_lshl_b32 s0, s47, 6
	s_sub_i32 s42, s49, s0
	s_cmp_gt_i32 s42, 0
	s_cbranch_scc0 .LBB599_75
; %bb.19:
	s_add_i32 s38, s0, s38
	s_ashr_i32 s2, s38, 31
	s_cmpk_lg_i32 s19, 0x80
	s_cselect_b64 s[30:31], -1, 0
	s_and_b64 vcc, exec, s[30:31]
	s_cbranch_vccz .LBB599_21
; %bb.20:
	s_mul_i32 s1, s38, s18
	s_ashr_i32 s3, s53, 31
	s_mul_hi_i32 s0, s38, s18
	s_add_u32 s40, s1, s53
	s_addc_u32 s41, s0, s3
	s_cbranch_execz .LBB599_22
	s_branch .LBB599_23
.LBB599_21:
                                        ; implicit-def: $sgpr40_sgpr41
.LBB599_22:
	s_mul_i32 s1, s53, s16
	s_mul_hi_i32 s0, s53, s16
	s_add_u32 s40, s1, s38
	s_addc_u32 s41, s0, s2
.LBB599_23:
	s_add_i32 s3, s47, s48
	s_ashr_i32 s16, s33, 31
	s_add_u32 s0, s51, s38
	s_addc_u32 s1, s50, s2
	s_mov_b32 s2, 0x7060302
	v_lshlrev_b32_e32 v6, 3, v1
	s_lshl_b64 s[28:29], s[0:1], 8
	v_perm_b32 v3, v53, v52, s2
	v_perm_b32 v2, v47, v46, s2
	;; [unrolled: 1-line block ×4, first 2 shown]
	v_lshlrev_b32_e32 v34, 2, v1
	v_lshl_or_b32 v6, v66, 5, v6
	s_add_u32 s0, s6, s28
	ds_write2st64_b64 v6, v[2:3], v[4:5] offset0:72 offset1:76
	v_xor_b32_e32 v6, v66, v34
	v_lshlrev_b32_e32 v7, 8, v1
	s_addc_u32 s1, s7, s29
	v_lshl_or_b32 v6, v6, 1, v7
	s_mul_hi_i32 s6, s3, s17
	s_mul_i32 s3, s3, s17
	ds_write_b64 v6, v[2:3] offset:32768
	v_xor_b32_e32 v2, v65, v34
	s_add_u32 s2, s3, s33
	v_lshl_or_b32 v2, v2, 1, v7
	s_addc_u32 s3, s6, s16
	v_lshlrev_b32_e32 v3, 1, v1
	ds_write_b64 v2, v[4:5] offset:32768
	v_lshrrev_b32_e32 v2, 4, v0
	s_ashr_i32 s37, s36, 31
	s_lshl_b64 s[2:3], s[2:3], 15
	v_or_b32_e32 v4, 1, v3
	s_add_u32 s6, s12, s2
	v_xor_b32_e32 v3, v2, v3
	v_xor_b32_e32 v4, v4, v2
	v_lshlrev_b32_e32 v6, 8, v2
	s_addc_u32 s7, s13, s3
	s_lshl_b64 s[2:3], s[36:37], 8
	v_lshl_or_b32 v2, v3, 3, v6
	v_lshl_or_b32 v4, v4, 3, v6
	s_waitcnt lgkmcnt(0)
	s_barrier
	s_add_u32 s2, s6, s2
	ds_read_b64 v[2:3], v2 offset:32768
	ds_read_b64 v[4:5], v4 offset:32768
	s_addc_u32 s3, s7, s3
	v_mov_b32_e32 v7, 0
	s_cmp_lg_u32 s42, 64
	v_lshl_add_u64 v[8:9], s[2:3], 0, v[6:7]
	v_lshlrev_b32_e32 v6, 4, v1
	s_cselect_b64 s[6:7], -1, 0
	v_lshl_or_b32 v35, v61, 3, v64
	s_mov_b32 s24, 0
	v_lshl_add_u64 v[6:7], v[8:9], 0, v[6:7]
	v_or_b32_e32 v19, 32, v35
	v_and_b32_e32 v18, 56, v63
	s_and_b64 vcc, exec, s[6:7]
	s_waitcnt lgkmcnt(0)
	global_store_dwordx4 v[6:7], v[2:5], off
	s_cbranch_vccz .LBB599_29
; %bb.24:
	s_mov_b32 s25, s24
	s_mov_b32 s26, s24
	;; [unrolled: 1-line block ×3, first 2 shown]
	v_mov_b64_e32 v[6:7], s[24:25]
	v_mov_b64_e32 v[8:9], s[26:27]
	v_mov_b64_e32 v[2:3], v[6:7]
	v_cmp_gt_i32_e32 vcc, s42, v35
	v_mov_b64_e32 v[4:5], v[8:9]
	s_and_saveexec_b64 s[2:3], vcc
	s_cbranch_execz .LBB599_26
; %bb.25:
	v_lshlrev_b32_e32 v2, 8, v35
	v_mov_b32_e32 v3, 0
	v_lshl_add_u64 v[4:5], s[0:1], 0, v[2:3]
	v_lshlrev_b32_e32 v2, 1, v18
	v_lshl_add_u64 v[10:11], v[4:5], 0, v[2:3]
	global_load_dwordx4 v[6:9], v[10:11], off
	global_load_dwordx4 v[2:5], v[10:11], off offset:128
.LBB599_26:
	s_or_b64 exec, exec, s[2:3]
	s_mov_b32 s25, s24
	s_mov_b32 s26, s24
	;; [unrolled: 1-line block ×3, first 2 shown]
	v_mov_b64_e32 v[14:15], s[24:25]
	v_mov_b64_e32 v[16:17], s[26:27]
	;; [unrolled: 1-line block ×3, first 2 shown]
	v_cmp_gt_i32_e32 vcc, s42, v19
	v_lshlrev_b32_e32 v20, 7, v19
	v_mov_b64_e32 v[12:13], v[16:17]
	s_and_saveexec_b64 s[2:3], vcc
	s_cbranch_execz .LBB599_28
; %bb.27:
	v_lshlrev_b32_e32 v10, 1, v20
	v_mov_b32_e32 v11, 0
	v_lshl_add_u64 v[12:13], s[0:1], 0, v[10:11]
	v_lshlrev_b32_e32 v10, 1, v18
	v_lshl_add_u64 v[22:23], v[12:13], 0, v[10:11]
	global_load_dwordx4 v[14:17], v[22:23], off
	global_load_dwordx4 v[10:13], v[22:23], off offset:128
.LBB599_28:
	s_or_b64 exec, exec, s[2:3]
	v_lshrrev_b32_e32 v21, 3, v18
	v_lshlrev_b32_e32 v22, 3, v35
	v_or_b32_e32 v21, v22, v21
	v_lshlrev_b32_e32 v21, 4, v21
	v_and_b32_e32 v22, 0x78, v22
	v_xor_b32_e32 v21, v21, v22
	s_branch .LBB599_31
.LBB599_29:
                                        ; implicit-def: $vgpr21
                                        ; implicit-def: $vgpr20
                                        ; implicit-def: $vgpr6_vgpr7_vgpr8_vgpr9
                                        ; implicit-def: $vgpr2_vgpr3_vgpr4_vgpr5
                                        ; implicit-def: $vgpr14_vgpr15_vgpr16_vgpr17
                                        ; implicit-def: $vgpr10_vgpr11_vgpr12_vgpr13
	s_cbranch_execz .LBB599_31
; %bb.30:
	s_waitcnt vmcnt(0)
	v_lshlrev_b32_e32 v2, 1, v18
	v_lshl_or_b32 v20, v35, 8, v2
	s_and_b32 s1, s1, 0xffff
	s_mov_b32 s3, 0x20000
	s_movk_i32 s2, 0x4000
	v_lshl_or_b32 v21, v19, 8, v2
	s_movk_i32 s12, 0x80
	buffer_load_dwordx4 v[6:9], v20, s[0:3], 0 offen
	buffer_load_dwordx4 v[2:5], v20, s[0:3], s12 offen
	;; [unrolled: 1-line block ×4, first 2 shown]
	v_lshrrev_b32_e32 v20, 3, v18
	v_lshlrev_b32_e32 v21, 3, v35
	v_or_b32_e32 v20, v21, v20
	v_lshlrev_b32_e32 v20, 4, v20
	v_and_b32_e32 v21, 0x78, v21
	v_xor_b32_e32 v21, v20, v21
	v_lshlrev_b32_e32 v20, 7, v19
.LBB599_31:
	s_lshl_b64 s[0:1], s[40:41], 8
	s_add_u32 s4, s4, s0
	s_movk_i32 s0, 0x1000
	v_and_or_b32 v19, v20, s0, v21
	s_waitcnt vmcnt(1)
	ds_write_b64 v21, v[6:7] offset:16384
	v_xor_b32_e32 v6, 8, v21
	s_addc_u32 s5, s5, s1
	ds_write_b64 v6, v[8:9] offset:16384
	s_waitcnt vmcnt(0)
	ds_write_b64 v21, v[2:3] offset:24576
	ds_write_b64 v6, v[4:5] offset:24576
	;; [unrolled: 1-line block ×3, first 2 shown]
	v_xor_b32_e32 v2, 8, v19
	s_add_i32 s0, s45, s44
	ds_write_b64 v2, v[16:17] offset:16384
	ds_write_b64 v19, v[10:11] offset:24576
	;; [unrolled: 1-line block ×3, first 2 shown]
	s_add_i32 s21, s0, s46
	s_mul_i32 s0, s33, s23
	s_mul_hi_u32 s1, s33, s22
	v_or_b32_e32 v2, v45, v1
	s_add_i32 s0, s1, s0
	s_mul_i32 s1, s16, s22
	v_lshlrev_b32_e32 v2, 3, v2
	v_lshrrev_b32_e32 v4, 5, v60
	s_movk_i32 s16, 0xf8
	v_and_or_b32 v4, v2, s16, v4
	v_lshlrev_b32_e32 v3, 11, v61
	v_lshlrev_b32_e32 v12, 4, v4
	v_and_b32_e32 v13, 0x78, v2
	v_and_b32_e32 v14, 0x1000, v3
	v_lshlrev_b32_e32 v3, 2, v0
	v_xor_b32_e32 v2, v12, v13
	v_lshrrev_b32_e32 v4, 1, v60
	v_and_b32_e32 v3, 60, v3
	v_or_b32_e32 v2, v2, v14
	v_and_b32_e32 v15, 8, v4
	v_xor_b32_e32 v26, v2, v15
	v_lshl_or_b32 v2, v62, 6, v3
	v_lshlrev_b32_e32 v19, 1, v2
	v_or_b32_e32 v2, 32, v12
	v_xor_b32_e32 v2, v2, v13
	s_waitcnt lgkmcnt(0)
	s_barrier
	ds_read_b64 v[10:11], v26 offset:16384
	v_or_b32_e32 v2, v2, v14
	v_xor_b32_e32 v27, v2, v15
	v_or_b32_e32 v2, 64, v12
	v_xor_b32_e32 v2, v2, v13
	v_or_b32_e32 v2, v2, v14
	v_or_b32_e32 v12, 0x60, v12
	v_xor_b32_e32 v28, v2, v15
	ds_read2st64_b64 v[2:5], v19 offset0:72 offset1:73
	ds_read2st64_b64 v[6:9], v19 offset0:74 offset1:75
	v_xor_b32_e32 v16, v12, v13
	ds_read_b64 v[12:13], v27 offset:16384
	s_waitcnt lgkmcnt(2)
	v_mfma_f32_16x16x16_bf16 a[0:3], v[10:11], v[2:3], 0
	s_add_i32 s2, s39, -1
	s_ashr_i32 s3, s2, 31
	s_mul_i32 s12, s2, s35
	s_mul_hi_u32 s13, s2, s34
	s_add_i32 s12, s13, s12
	s_mul_i32 s3, s3, s34
	v_or_b32_e32 v14, v16, v14
	s_add_i32 s1, s0, s1
	s_add_i32 s3, s12, s3
	s_lshl_b64 s[12:13], s[20:21], 2
	v_xor_b32_e32 v36, v14, v15
	ds_read_b64 v[14:15], v28 offset:16384
	ds_read_b64 v[16:17], v36 offset:16384
	s_waitcnt lgkmcnt(2)
	v_mfma_f32_16x16x16_bf16 a[0:3], v[12:13], v[4:5], a[0:3]
	s_mul_i32 s0, s33, s22
	s_add_u32 s10, s10, s12
	s_addc_u32 s11, s11, s13
	s_lshl_b64 s[0:1], s[0:1], 2
	s_mul_i32 s2, s2, s34
	s_add_u32 s10, s10, s0
	s_addc_u32 s11, s11, s1
	s_lshl_b64 s[0:1], s[2:3], 2
	s_waitcnt lgkmcnt(1)
	v_mfma_f32_16x16x16_bf16 a[0:3], v[14:15], v[6:7], a[0:3]
	s_add_u32 s0, s10, s0
	s_addc_u32 s1, s11, s1
	s_load_dword s12, s[0:1], 0x0
	s_waitcnt lgkmcnt(0)
	v_mfma_f32_16x16x16_bf16 a[0:3], v[16:17], v[8:9], a[0:3]
	s_and_b64 vcc, exec, s[30:31]
	s_cbranch_vccz .LBB599_42
; %bb.32:
	v_lshlrev_b32_e32 v20, 1, v35
	s_and_b64 vcc, exec, s[6:7]
	s_cbranch_vccz .LBB599_43
; %bb.33:
	v_cmp_gt_i32_e32 vcc, s42, v20
	v_mov_b32_e32 v6, 0
	v_mov_b32_e32 v2, 0
	;; [unrolled: 1-line block ×5, first 2 shown]
	s_and_saveexec_b64 s[0:1], vcc
	s_cbranch_execz .LBB599_35
; %bb.34:
	v_mad_i64_i32 v[2:3], s[2:3], s19, v20, 0
	v_lshl_add_u64 v[2:3], v[2:3], 1, s[4:5]
	v_lshlrev_b32_e32 v4, 1, v18
	v_mov_b32_e32 v5, 0
	v_lshl_add_u64 v[2:3], v[2:3], 0, v[4:5]
	global_load_dwordx4 v[2:5], v[2:3], off
.LBB599_35:
	s_or_b64 exec, exec, s[0:1]
	v_or_b32_e32 v21, 1, v20
	v_cmp_gt_i32_e64 s[0:1], s42, v21
	v_mov_b32_e32 v7, 0
	v_mov_b32_e32 v8, 0
	;; [unrolled: 1-line block ×3, first 2 shown]
	s_and_saveexec_b64 s[2:3], s[0:1]
	s_cbranch_execz .LBB599_37
; %bb.36:
	v_mad_i64_i32 v[6:7], s[16:17], s19, v21, 0
	v_lshl_add_u64 v[6:7], v[6:7], 1, s[4:5]
	v_lshlrev_b32_e32 v8, 1, v18
	v_mov_b32_e32 v9, 0
	v_lshl_add_u64 v[6:7], v[6:7], 0, v[8:9]
	global_load_dwordx4 v[6:9], v[6:7], off
.LBB599_37:
	s_or_b64 exec, exec, s[2:3]
	v_mov_b32_e32 v17, 0
	v_mov_b32_e32 v10, 0
	;; [unrolled: 1-line block ×5, first 2 shown]
	s_and_saveexec_b64 s[2:3], vcc
	s_cbranch_execz .LBB599_39
; %bb.38:
	v_mad_i64_i32 v[10:11], s[16:17], s19, v20, 0
	v_lshl_add_u64 v[10:11], v[10:11], 1, s[4:5]
	v_lshlrev_b32_e32 v12, 1, v18
	v_mov_b32_e32 v13, 0
	v_lshl_add_u64 v[10:11], v[10:11], 0, v[12:13]
	global_load_dwordx4 v[10:13], v[10:11], off offset:128
.LBB599_39:
	s_or_b64 exec, exec, s[2:3]
	v_mov_b32_e32 v16, 0
	v_mov_b32_e32 v15, 0
	;; [unrolled: 1-line block ×3, first 2 shown]
	s_and_saveexec_b64 s[2:3], s[0:1]
	s_cbranch_execz .LBB599_41
; %bb.40:
	v_mad_i64_i32 v[14:15], s[0:1], s19, v21, 0
	v_lshl_add_u64 v[14:15], v[14:15], 1, s[4:5]
	v_lshlrev_b32_e32 v16, 1, v18
	v_mov_b32_e32 v17, 0
	v_lshl_add_u64 v[14:15], v[14:15], 0, v[16:17]
	global_load_dwordx4 v[14:17], v[14:15], off offset:128
.LBB599_41:
	s_or_b64 exec, exec, s[2:3]
	s_branch .LBB599_45
.LBB599_42:
                                        ; implicit-def: $vgpr5
                                        ; implicit-def: $vgpr9
                                        ; implicit-def: $vgpr13
                                        ; implicit-def: $vgpr17
	v_lshrrev_b32_e32 v37, 2, v60
	s_branch .LBB599_46
.LBB599_43:
                                        ; implicit-def: $vgpr5
                                        ; implicit-def: $vgpr9
                                        ; implicit-def: $vgpr13
                                        ; implicit-def: $vgpr17
	s_cbranch_execz .LBB599_45
; %bb.44:
	s_waitcnt vmcnt(0)
	v_mad_u64_u32 v[2:3], s[0:1], v20, s19, v[18:19]
	v_lshlrev_b32_e32 v20, 1, v2
	s_lshl_b32 s2, s19, 7
	s_and_b32 s1, s5, 0xffff
	s_mov_b32 s3, 0x20000
	s_mov_b32 s0, s4
	v_add_lshl_u32 v21, v2, s19, 1
	s_movk_i32 s13, 0x80
	buffer_load_dwordx4 v[2:5], v20, s[0:3], 0 offen
	buffer_load_dwordx4 v[10:13], v20, s[0:3], s13 offen
	;; [unrolled: 1-line block ×4, first 2 shown]
.LBB599_45:
	v_lshrrev_b32_e32 v37, 2, v60
	s_cbranch_execnz .LBB599_58
.LBB599_46:
	s_and_b64 vcc, exec, s[6:7]
	s_cbranch_vccz .LBB599_56
; %bb.47:
	s_waitcnt vmcnt(0)
	v_lshlrev_b32_e32 v7, 1, v35
	v_cmp_gt_i32_e32 vcc, s42, v7
	v_mov_b32_e32 v6, 0
	v_lshlrev_b32_e32 v14, 9, v35
	v_mov_b32_e32 v2, 0
	v_mov_b32_e32 v3, 0
	;; [unrolled: 1-line block ×4, first 2 shown]
	s_and_saveexec_b64 s[0:1], vcc
	s_cbranch_execz .LBB599_49
; %bb.48:
	v_mov_b32_e32 v15, 0
	v_lshl_add_u64 v[2:3], s[4:5], 0, v[14:15]
	v_lshlrev_b32_e32 v4, 1, v18
	v_mov_b32_e32 v5, v15
	v_lshl_add_u64 v[2:3], v[2:3], 0, v[4:5]
	global_load_dwordx4 v[2:5], v[2:3], off
.LBB599_49:
	s_or_b64 exec, exec, s[0:1]
	v_or_b32_e32 v7, 1, v7
	v_cmp_gt_i32_e64 s[0:1], s42, v7
	v_lshlrev_b32_e32 v20, 8, v7
	v_mov_b32_e32 v7, 0
	v_mov_b32_e32 v8, 0
	;; [unrolled: 1-line block ×3, first 2 shown]
	s_and_saveexec_b64 s[2:3], s[0:1]
	s_cbranch_execz .LBB599_51
; %bb.50:
	v_mov_b32_e32 v21, 0
	v_lshl_add_u64 v[6:7], s[4:5], 0, v[20:21]
	v_lshlrev_b32_e32 v8, 1, v18
	v_mov_b32_e32 v9, v21
	v_lshl_add_u64 v[6:7], v[6:7], 0, v[8:9]
	global_load_dwordx4 v[6:9], v[6:7], off
.LBB599_51:
	s_or_b64 exec, exec, s[2:3]
	v_mov_b32_e32 v17, 0
	v_mov_b32_e32 v10, 0
	;; [unrolled: 1-line block ×5, first 2 shown]
	s_and_saveexec_b64 s[2:3], vcc
	s_cbranch_execz .LBB599_53
; %bb.52:
	v_mov_b32_e32 v15, 0
	v_lshl_add_u64 v[10:11], s[4:5], 0, v[14:15]
	v_lshlrev_b32_e32 v14, 1, v18
	v_lshl_add_u64 v[10:11], v[10:11], 0, v[14:15]
	global_load_dwordx4 v[10:13], v[10:11], off offset:128
.LBB599_53:
	s_or_b64 exec, exec, s[2:3]
	v_mov_b32_e32 v16, 0
	v_mov_b32_e32 v15, 0
	;; [unrolled: 1-line block ×3, first 2 shown]
	s_and_saveexec_b64 s[2:3], s[0:1]
	s_cbranch_execz .LBB599_55
; %bb.54:
	v_mov_b32_e32 v21, 0
	v_lshl_add_u64 v[14:15], s[4:5], 0, v[20:21]
	v_lshlrev_b32_e32 v20, 1, v18
	v_lshl_add_u64 v[14:15], v[14:15], 0, v[20:21]
	global_load_dwordx4 v[14:17], v[14:15], off offset:128
.LBB599_55:
	s_or_b64 exec, exec, s[2:3]
	s_branch .LBB599_58
.LBB599_56:
                                        ; implicit-def: $vgpr5
                                        ; implicit-def: $vgpr9
                                        ; implicit-def: $vgpr13
                                        ; implicit-def: $vgpr17
	s_cbranch_execz .LBB599_58
; %bb.57:
	s_waitcnt vmcnt(0)
	v_lshlrev_b32_e32 v2, 1, v18
	v_lshl_or_b32 v18, v35, 9, v2
	s_and_b32 s5, s5, 0xffff
	s_mov_b32 s7, 0x20000
	s_movk_i32 s6, 0x4000
	s_movk_i32 s0, 0x80
	buffer_load_dwordx4 v[2:5], v18, s[4:7], 0 offen
	buffer_load_dwordx4 v[6:9], v18, s[4:7], 0 offen offset:256
	buffer_load_dwordx4 v[10:13], v18, s[4:7], s0 offen
	buffer_load_dwordx4 v[14:17], v18, s[4:7], s0 offen offset:256
.LBB599_58:
	ds_read2st64_b64 v[22:25], v19 offset0:76 offset1:77
	ds_read2st64_b64 v[18:21], v19 offset0:78 offset1:79
	ds_read_b64 v[32:33], v26 offset:24576
	ds_read_b64 v[30:31], v27 offset:24576
	;; [unrolled: 1-line block ×4, first 2 shown]
	v_and_b32_e32 v36, 6, v0
	v_xor_b32_e32 v35, v35, v36
	v_lshlrev_b32_e32 v35, 2, v35
	v_and_b32_e32 v0, 1, v0
	v_xor_b32_e32 v38, 0x440, v35
	v_cmp_eq_u32_e32 vcc, 0, v0
	s_mov_b32 s0, 0x1000504
	s_mov_b32 s1, 0x3020706
	v_cndmask_b32_e32 v0, v38, v35, vcc
	v_lshl_or_b32 v0, v36, 10, v0
	s_waitcnt vmcnt(0)
	v_perm_b32 v35, v2, v6, s0
	v_perm_b32 v36, v10, v14, s0
	ds_write2st64_b32 v0, v35, v36 offset1:32
	v_xor_b32_e32 v35, 8, v0
	v_perm_b32 v2, v2, v6, s1
	v_perm_b32 v6, v10, v14, s1
	v_add_u32_e32 v10, 0x80, v35
	ds_write2st64_b32 v10, v2, v6 offset1:32
	v_xor_b32_e32 v2, 16, v0
	v_perm_b32 v6, v3, v7, s0
	v_perm_b32 v10, v11, v15, s0
	ds_write2st64_b32 v2, v6, v10 offset0:1 offset1:33
	v_xor_b32_e32 v2, 24, v0
	v_perm_b32 v3, v3, v7, s1
	v_perm_b32 v6, v11, v15, s1
	v_add_u32_e32 v2, 0x80, v2
	ds_write2st64_b32 v2, v3, v6 offset0:1 offset1:33
	v_xor_b32_e32 v2, 32, v0
	v_perm_b32 v3, v4, v8, s0
	v_perm_b32 v6, v12, v16, s0
	ds_write2st64_b32 v2, v3, v6 offset0:2 offset1:34
	v_xor_b32_e32 v2, 40, v0
	v_perm_b32 v3, v4, v8, s1
	v_perm_b32 v4, v12, v16, s1
	v_add_u32_e32 v2, 0x80, v2
	ds_write2st64_b32 v2, v3, v4 offset0:2 offset1:34
	v_xor_b32_e32 v2, 48, v0
	v_perm_b32 v3, v5, v9, s0
	v_perm_b32 v4, v13, v17, s0
	v_xor_b32_e32 v0, 56, v0
	v_and_or_b32 v8, v37, 12, v45
	ds_write2st64_b32 v2, v3, v4 offset0:3 offset1:35
	v_perm_b32 v2, v5, v9, s1
	v_perm_b32 v3, v13, v17, s1
	v_add_u32_e32 v0, 0x80, v0
	v_cmp_gt_i32_e32 vcc, s42, v8
	v_mov_b32_e32 v9, 0
	v_mov_b32_e32 v14, 0
	ds_write2st64_b32 v0, v2, v3 offset0:3 offset1:35
	s_and_saveexec_b64 s[0:1], vcc
	s_cbranch_execz .LBB599_60
; %bb.59:
	v_add_u32_e32 v0, s38, v8
	v_ashrrev_i32_e32 v2, 31, v0
	v_mul_lo_u32 v4, v2, s34
	v_mul_lo_u32 v5, v0, s35
	v_mad_u64_u32 v[2:3], s[2:3], v0, s34, 0
	v_add3_u32 v3, v3, v5, v4
	v_lshl_add_u64 v[2:3], v[2:3], 2, s[10:11]
	global_load_dword v0, v[2:3], off
	s_waitcnt vmcnt(0)
	v_sub_f32_e32 v0, s12, v0
	v_mul_f32_e32 v0, 0x3fb8aa3b, v0
	v_exp_f32_e32 v14, v0
.LBB599_60:
	s_or_b64 exec, exec, s[0:1]
	v_or_b32_e32 v12, 1, v8
	v_cmp_gt_i32_e64 s[2:3], s42, v12
	s_and_saveexec_b64 s[0:1], s[2:3]
	s_cbranch_execz .LBB599_62
; %bb.61:
	v_add_u32_e32 v0, s38, v12
	v_ashrrev_i32_e32 v2, 31, v0
	v_mul_lo_u32 v4, v2, s34
	v_mul_lo_u32 v5, v0, s35
	v_mad_u64_u32 v[2:3], s[4:5], v0, s34, 0
	v_add3_u32 v3, v3, v5, v4
	v_lshl_add_u64 v[2:3], v[2:3], 2, s[10:11]
	global_load_dword v0, v[2:3], off
	s_waitcnt vmcnt(0)
	v_sub_f32_e32 v0, s12, v0
	v_mul_f32_e32 v0, 0x3fb8aa3b, v0
	v_exp_f32_e32 v9, v0
.LBB599_62:
	s_or_b64 exec, exec, s[0:1]
	v_or_b32_e32 v11, 2, v8
	v_cmp_gt_i32_e64 s[0:1], s42, v11
	v_mov_b32_e32 v10, 0
	v_mov_b32_e32 v15, 0
	s_and_saveexec_b64 s[4:5], s[0:1]
	s_cbranch_execz .LBB599_64
; %bb.63:
	v_add_u32_e32 v0, s38, v11
	v_ashrrev_i32_e32 v2, 31, v0
	v_mul_lo_u32 v4, v2, s34
	v_mul_lo_u32 v5, v0, s35
	v_mad_u64_u32 v[2:3], s[6:7], v0, s34, 0
	v_add3_u32 v3, v3, v5, v4
	v_lshl_add_u64 v[2:3], v[2:3], 2, s[10:11]
	global_load_dword v0, v[2:3], off
	s_waitcnt vmcnt(0)
	v_sub_f32_e32 v0, s12, v0
	v_mul_f32_e32 v0, 0x3fb8aa3b, v0
	v_exp_f32_e32 v15, v0
.LBB599_64:
	s_or_b64 exec, exec, s[4:5]
	v_or_b32_e32 v13, 3, v8
	v_cmp_gt_i32_e64 s[4:5], s42, v13
	s_and_saveexec_b64 s[6:7], s[4:5]
	s_cbranch_execz .LBB599_66
; %bb.65:
	v_add_u32_e32 v0, s38, v13
	v_ashrrev_i32_e32 v2, 31, v0
	v_mul_lo_u32 v4, v2, s34
	v_mul_lo_u32 v5, v0, s35
	v_mad_u64_u32 v[2:3], s[16:17], v0, s34, 0
	v_add3_u32 v3, v3, v5, v4
	v_lshl_add_u64 v[2:3], v[2:3], 2, s[10:11]
	global_load_dword v0, v[2:3], off
	s_waitcnt vmcnt(0)
	v_sub_f32_e32 v0, s12, v0
	v_mul_f32_e32 v0, 0x3fb8aa3b, v0
	v_exp_f32_e32 v10, v0
.LBB599_66:
	s_or_b64 exec, exec, s[6:7]
	s_waitcnt lgkmcnt(11)
	v_mfma_f32_16x16x16_bf16 a[0:3], v[32:33], v[22:23], a[0:3]
	v_or_b32_e32 v0, s36, v1
	s_add_u32 s6, s8, s28
	v_ashrrev_i32_e32 v1, 31, v0
	s_waitcnt lgkmcnt(10)
	v_mfma_f32_16x16x16_bf16 a[0:3], v[30:31], v[24:25], a[0:3]
	s_addc_u32 s7, s9, s29
	v_lshlrev_b64 v[0:1], 1, v[0:1]
	v_lshl_add_u64 v[4:5], s[6:7], 0, v[0:1]
	s_waitcnt lgkmcnt(9)
	v_mfma_f32_16x16x16_bf16 a[0:3], v[28:29], v[18:19], a[0:3]
	s_add_u32 s6, s14, s28
	s_addc_u32 s7, s15, s29
	v_lshl_add_u64 v[6:7], s[6:7], 0, v[0:1]
	s_waitcnt lgkmcnt(8)
	v_mfma_f32_16x16x16_bf16 a[0:3], v[26:27], v[20:21], a[0:3]
	v_mov_b32_e32 v16, 0
	v_mov_b32_e32 v17, 0
	s_nop 4
	v_accvgpr_read_b32 v0, a0
	v_accvgpr_read_b32 v1, a1
	;; [unrolled: 1-line block ×4, first 2 shown]
	s_and_saveexec_b64 s[6:7], vcc
	s_cbranch_execz .LBB599_68
; %bb.67:
	v_lshlrev_b32_e32 v18, 8, v8
	v_mov_b32_e32 v19, 0
	v_lshl_add_u64 v[20:21], v[4:5], 0, v[18:19]
	global_load_ushort v17, v[20:21], off
	v_lshl_add_u64 v[18:19], v[6:7], 0, v[18:19]
	s_waitcnt vmcnt(0)
	v_lshlrev_b32_e32 v17, 16, v17
	v_sub_f32_e32 v0, v17, v0
	global_store_short_d16_hi v[18:19], v0, off
	v_mul_f32_e32 v0, v14, v0
	v_lshrrev_b32_e32 v17, 16, v0
.LBB599_68:
	s_or_b64 exec, exec, s[6:7]
	s_and_saveexec_b64 s[6:7], s[2:3]
	s_cbranch_execz .LBB599_70
; %bb.69:
	v_lshlrev_b32_e32 v18, 8, v12
	v_mov_b32_e32 v19, 0
	v_lshl_add_u64 v[20:21], v[4:5], 0, v[18:19]
	global_load_ushort v0, v[20:21], off
	v_lshl_add_u64 v[18:19], v[6:7], 0, v[18:19]
	s_waitcnt vmcnt(0)
	v_lshlrev_b32_e32 v0, 16, v0
	v_sub_f32_e32 v0, v0, v1
	global_store_short_d16_hi v[18:19], v0, off
	v_mul_f32_e32 v0, v9, v0
	v_lshrrev_b32_e32 v16, 16, v0
.LBB599_70:
	s_or_b64 exec, exec, s[6:7]
	v_mov_b32_e32 v0, 0
	v_mov_b32_e32 v1, 0
	s_and_saveexec_b64 s[2:3], s[0:1]
	s_cbranch_execz .LBB599_72
; %bb.71:
	v_lshlrev_b32_e32 v18, 8, v11
	v_mov_b32_e32 v19, 0
	v_lshl_add_u64 v[20:21], v[4:5], 0, v[18:19]
	global_load_ushort v1, v[20:21], off
	v_lshl_add_u64 v[18:19], v[6:7], 0, v[18:19]
	s_waitcnt vmcnt(0)
	v_lshlrev_b32_e32 v1, 16, v1
	v_sub_f32_e32 v1, v1, v2
	global_store_short_d16_hi v[18:19], v1, off
	v_mul_f32_e32 v1, v15, v1
	v_lshrrev_b32_e32 v1, 16, v1
.LBB599_72:
	s_or_b64 exec, exec, s[2:3]
	s_and_saveexec_b64 s[0:1], s[4:5]
	s_cbranch_execz .LBB599_74
; %bb.73:
	v_lshlrev_b32_e32 v12, 8, v13
	v_mov_b32_e32 v13, 0
	v_lshl_add_u64 v[4:5], v[4:5], 0, v[12:13]
	global_load_ushort v0, v[4:5], off
	v_lshl_add_u64 v[4:5], v[6:7], 0, v[12:13]
	s_waitcnt vmcnt(0)
	v_lshlrev_b32_e32 v0, 16, v0
	v_sub_f32_e32 v0, v0, v3
	global_store_short_d16_hi v[4:5], v0, off
	v_mul_f32_e32 v0, v10, v0
	v_lshrrev_b32_e32 v0, 16, v0
.LBB599_74:
	s_or_b64 exec, exec, s[0:1]
	s_mov_b32 s0, 0x5040100
	v_lshlrev_b32_e32 v2, 1, v34
	v_perm_b32 v1, v0, v1, s0
	v_perm_b32 v0, v16, v17, s0
	v_lshl_or_b32 v2, v8, 5, v2
	ds_write_b64 v2, v[0:1] offset:38912
	s_waitcnt lgkmcnt(0)
	s_barrier
.LBB599_75:
	s_endpgm
	.section	.rodata,"a",@progbits
	.p2align	6, 0x0
	.amdhsa_kernel _ZN12_GLOBAL__N_139chunk_gated_delta_rule_fwd_h_hip_kernelILi16ELb0ELb0ELb1ELb1ELb0ELb1ELb0ELb1EEEvPK12hip_bfloat16S3_S3_PKfS5_PKvPS1_S8_PvPKiSB_iiiiilll
		.amdhsa_group_segment_fixed_size 40960
		.amdhsa_private_segment_fixed_size 0
		.amdhsa_kernarg_size 136
		.amdhsa_user_sgpr_count 2
		.amdhsa_user_sgpr_dispatch_ptr 0
		.amdhsa_user_sgpr_queue_ptr 0
		.amdhsa_user_sgpr_kernarg_segment_ptr 1
		.amdhsa_user_sgpr_dispatch_id 0
		.amdhsa_user_sgpr_kernarg_preload_length 0
		.amdhsa_user_sgpr_kernarg_preload_offset 0
		.amdhsa_user_sgpr_private_segment_size 0
		.amdhsa_uses_dynamic_stack 0
		.amdhsa_enable_private_segment 0
		.amdhsa_system_sgpr_workgroup_id_x 1
		.amdhsa_system_sgpr_workgroup_id_y 1
		.amdhsa_system_sgpr_workgroup_id_z 0
		.amdhsa_system_sgpr_workgroup_info 0
		.amdhsa_system_vgpr_workitem_id 0
		.amdhsa_next_free_vgpr 128
		.amdhsa_next_free_sgpr 62
		.amdhsa_accum_offset 116
		.amdhsa_reserve_vcc 1
		.amdhsa_float_round_mode_32 0
		.amdhsa_float_round_mode_16_64 0
		.amdhsa_float_denorm_mode_32 3
		.amdhsa_float_denorm_mode_16_64 3
		.amdhsa_dx10_clamp 1
		.amdhsa_ieee_mode 1
		.amdhsa_fp16_overflow 0
		.amdhsa_tg_split 0
		.amdhsa_exception_fp_ieee_invalid_op 0
		.amdhsa_exception_fp_denorm_src 0
		.amdhsa_exception_fp_ieee_div_zero 0
		.amdhsa_exception_fp_ieee_overflow 0
		.amdhsa_exception_fp_ieee_underflow 0
		.amdhsa_exception_fp_ieee_inexact 0
		.amdhsa_exception_int_div_zero 0
	.end_amdhsa_kernel
	.section	.text._ZN12_GLOBAL__N_139chunk_gated_delta_rule_fwd_h_hip_kernelILi16ELb0ELb0ELb1ELb1ELb0ELb1ELb0ELb1EEEvPK12hip_bfloat16S3_S3_PKfS5_PKvPS1_S8_PvPKiSB_iiiiilll,"axG",@progbits,_ZN12_GLOBAL__N_139chunk_gated_delta_rule_fwd_h_hip_kernelILi16ELb0ELb0ELb1ELb1ELb0ELb1ELb0ELb1EEEvPK12hip_bfloat16S3_S3_PKfS5_PKvPS1_S8_PvPKiSB_iiiiilll,comdat
.Lfunc_end599:
	.size	_ZN12_GLOBAL__N_139chunk_gated_delta_rule_fwd_h_hip_kernelILi16ELb0ELb0ELb1ELb1ELb0ELb1ELb0ELb1EEEvPK12hip_bfloat16S3_S3_PKfS5_PKvPS1_S8_PvPKiSB_iiiiilll, .Lfunc_end599-_ZN12_GLOBAL__N_139chunk_gated_delta_rule_fwd_h_hip_kernelILi16ELb0ELb0ELb1ELb1ELb0ELb1ELb0ELb1EEEvPK12hip_bfloat16S3_S3_PKfS5_PKvPS1_S8_PvPKiSB_iiiiilll
                                        ; -- End function
	.section	.AMDGPU.csdata,"",@progbits
; Kernel info:
; codeLenInByte = 7468
; NumSgprs: 68
; NumVgprs: 116
; NumAgprs: 12
; TotalNumVgprs: 128
; ScratchSize: 0
; MemoryBound: 0
; FloatMode: 240
; IeeeMode: 1
; LDSByteSize: 40960 bytes/workgroup (compile time only)
; SGPRBlocks: 8
; VGPRBlocks: 15
; NumSGPRsForWavesPerEU: 68
; NumVGPRsForWavesPerEU: 128
; AccumOffset: 116
; Occupancy: 1
; WaveLimiterHint : 1
; COMPUTE_PGM_RSRC2:SCRATCH_EN: 0
; COMPUTE_PGM_RSRC2:USER_SGPR: 2
; COMPUTE_PGM_RSRC2:TRAP_HANDLER: 0
; COMPUTE_PGM_RSRC2:TGID_X_EN: 1
; COMPUTE_PGM_RSRC2:TGID_Y_EN: 1
; COMPUTE_PGM_RSRC2:TGID_Z_EN: 0
; COMPUTE_PGM_RSRC2:TIDIG_COMP_CNT: 0
; COMPUTE_PGM_RSRC3_GFX90A:ACCUM_OFFSET: 28
; COMPUTE_PGM_RSRC3_GFX90A:TG_SPLIT: 0
	.section	.text._ZN12_GLOBAL__N_139chunk_gated_delta_rule_fwd_h_hip_kernelILi16ELb0ELb0ELb0ELb1ELb0ELb1ELb0ELb1EEEvPK12hip_bfloat16S3_S3_PKfS5_PKvPS1_S8_PvPKiSB_iiiiilll,"axG",@progbits,_ZN12_GLOBAL__N_139chunk_gated_delta_rule_fwd_h_hip_kernelILi16ELb0ELb0ELb0ELb1ELb0ELb1ELb0ELb1EEEvPK12hip_bfloat16S3_S3_PKfS5_PKvPS1_S8_PvPKiSB_iiiiilll,comdat
	.globl	_ZN12_GLOBAL__N_139chunk_gated_delta_rule_fwd_h_hip_kernelILi16ELb0ELb0ELb0ELb1ELb0ELb1ELb0ELb1EEEvPK12hip_bfloat16S3_S3_PKfS5_PKvPS1_S8_PvPKiSB_iiiiilll ; -- Begin function _ZN12_GLOBAL__N_139chunk_gated_delta_rule_fwd_h_hip_kernelILi16ELb0ELb0ELb0ELb1ELb0ELb1ELb0ELb1EEEvPK12hip_bfloat16S3_S3_PKfS5_PKvPS1_S8_PvPKiSB_iiiiilll
	.p2align	8
	.type	_ZN12_GLOBAL__N_139chunk_gated_delta_rule_fwd_h_hip_kernelILi16ELb0ELb0ELb0ELb1ELb0ELb1ELb0ELb1EEEvPK12hip_bfloat16S3_S3_PKfS5_PKvPS1_S8_PvPKiSB_iiiiilll,@function
_ZN12_GLOBAL__N_139chunk_gated_delta_rule_fwd_h_hip_kernelILi16ELb0ELb0ELb0ELb1ELb0ELb1ELb0ELb1EEEvPK12hip_bfloat16S3_S3_PKfS5_PKvPS1_S8_PvPKiSB_iiiiilll: ; @_ZN12_GLOBAL__N_139chunk_gated_delta_rule_fwd_h_hip_kernelILi16ELb0ELb0ELb0ELb1ELb0ELb1ELb0ELb1EEEvPK12hip_bfloat16S3_S3_PKfS5_PKvPS1_S8_PvPKiSB_iiiiilll
; %bb.0:
	s_load_dwordx4 s[12:15], s[0:1], 0x5c
	s_load_dwordx4 s[16:19], s[0:1], 0x70
	s_abs_i32 s21, s3
	s_ashr_i32 s20, s3, 31
	s_load_dwordx2 s[36:37], s[0:1], 0x30
	s_load_dwordx4 s[24:27], s[0:1], 0x48
	s_waitcnt lgkmcnt(0)
	s_abs_i32 s28, s13
	v_cvt_f32_u32_e32 v1, s28
	s_sub_i32 s22, 0, s28
	s_ashr_i32 s29, s13, 31
	s_xor_b32 s20, s20, s29
	v_rcp_iflag_f32_e32 v1, v1
	s_load_dwordx8 s[4:11], s[0:1], 0x0
	v_lshrrev_b32_e32 v59, 6, v0
	v_bfe_u32 v60, v0, 4, 2
	v_mul_f32_e32 v1, 0x4f7ffffe, v1
	v_cvt_u32_f32_e32 v1, v1
	v_lshlrev_b32_e32 v45, 4, v59
	v_lshlrev_b32_e32 v2, 2, v60
	v_and_b32_e32 v58, 63, v0
	v_readfirstlane_b32 s23, v1
	s_mul_i32 s22, s22, s23
	s_mul_hi_u32 s22, s23, s22
	s_add_i32 s23, s23, s22
	s_mul_hi_u32 s22, s21, s23
	s_mul_i32 s23, s22, s28
	s_sub_i32 s21, s21, s23
	s_add_i32 s30, s22, 1
	s_sub_i32 s23, s21, s28
	s_cmp_ge_u32 s21, s28
	s_cselect_b32 s22, s30, s22
	s_cselect_b32 s21, s23, s21
	s_add_i32 s23, s22, 1
	s_cmp_ge_u32 s21, s28
	s_cselect_b32 s21, s23, s22
	s_xor_b32 s21, s21, s20
	s_sub_i32 s20, s21, s20
	s_mul_i32 s21, s20, s13
	s_sub_i32 s33, s3, s21
	s_ashr_i32 s21, s20, 31
	s_lshl_b64 s[22:23], s[20:21], 2
	s_add_u32 s24, s24, s22
	s_addc_u32 s25, s25, s23
	s_add_u32 s22, s26, s22
	s_addc_u32 s23, s27, s23
	s_abs_i32 s3, s14
	v_cvt_f32_u32_e32 v1, s3
	s_load_dwordx2 s[34:35], s[24:25], 0x0
	s_sub_i32 s25, 0, s3
	s_load_dword s46, s[22:23], 0x0
	v_rcp_iflag_f32_e32 v1, v1
	v_or_b32_e32 v64, v2, v45
	s_waitcnt lgkmcnt(0)
	s_sub_i32 s47, s35, s34
	s_ashr_i32 s24, s47, 31
	v_mul_f32_e32 v1, 0x4f7ffffe, v1
	v_cvt_u32_f32_e32 v1, v1
	s_lshr_b32 s24, s24, 26
	s_add_i32 s24, s47, s24
	s_ashr_i32 s45, s24, 6
	v_readfirstlane_b32 s26, v1
	s_mul_i32 s25, s25, s26
	s_mul_hi_u32 s25, s26, s25
	s_add_i32 s26, s26, s25
	s_mul_hi_u32 s25, s28, s26
	s_mul_i32 s26, s25, s3
	s_ashr_i32 s24, s14, 31
	s_sub_i32 s26, s28, s26
	s_xor_b32 s24, s29, s24
	s_add_i32 s27, s25, 1
	s_sub_i32 s28, s26, s3
	s_cmp_ge_u32 s26, s3
	s_cselect_b32 s25, s27, s25
	s_cselect_b32 s26, s28, s26
	s_add_i32 s27, s25, 1
	s_cmp_ge_u32 s26, s3
	s_cselect_b32 s3, s27, s25
	s_xor_b32 s3, s3, s24
	s_sub_i32 s3, s3, s24
	s_abs_i32 s24, s3
	v_cvt_f32_u32_e32 v1, s24
	s_sub_i32 s23, 0, s24
	s_abs_i32 s22, s33
	s_xor_b32 s3, s33, s3
	v_rcp_iflag_f32_e32 v1, v1
	s_ashr_i32 s3, s3, 31
	s_load_dwordx2 s[28:29], s[0:1], 0x80
	v_mov_b32_e32 v49, 0
	v_mul_f32_e32 v1, 0x4f7ffffe, v1
	v_cvt_u32_f32_e32 v1, v1
	v_or_b32_e32 v63, 64, v64
	s_mul_hi_i32 s48, s33, s12
	s_mul_i32 s49, s33, s12
	v_readfirstlane_b32 s25, v1
	s_mul_i32 s23, s23, s25
	s_mul_hi_u32 s23, s25, s23
	s_add_i32 s25, s25, s23
	s_mul_hi_u32 s23, s22, s25
	s_mul_i32 s25, s23, s24
	s_sub_i32 s22, s22, s25
	s_add_i32 s25, s23, 1
	s_sub_i32 s26, s22, s24
	s_cmp_ge_u32 s22, s24
	s_cselect_b32 s23, s25, s23
	s_cselect_b32 s22, s26, s22
	s_add_i32 s25, s23, 1
	s_cmp_ge_u32 s22, s24
	s_cselect_b32 s22, s25, s23
	s_xor_b32 s22, s22, s3
	s_sub_i32 s51, s22, s3
	s_lshl_b32 s30, s2, 4
	v_and_b32_e32 v1, 15, v0
	s_cmp_lt_i32 s47, 64
	v_lshrrev_b32_e32 v62, 3, v58
	v_lshlrev_b32_e32 v61, 3, v0
	s_mul_i32 s42, s20, s17
	s_mul_hi_u32 s43, s20, s16
	s_mul_i32 s44, s21, s16
	s_mul_i32 s16, s20, s16
	v_mov_b32_e32 v48, v49
	v_mov_b32_e32 v51, v49
	;; [unrolled: 1-line block ×7, first 2 shown]
	s_cbranch_scc1 .LBB600_18
; %bb.1:
	s_ashr_i32 s53, s33, 31
	s_ashr_i32 s3, s34, 31
	s_add_u32 s2, s49, s34
	s_addc_u32 s3, s48, s3
	s_lshl_b64 s[2:3], s[2:3], 8
	v_and_b32_e32 v66, 56, v61
	s_add_u32 s20, s6, s2
	v_lshl_or_b32 v65, v59, 3, v62
	v_lshlrev_b32_e32 v3, 1, v66
	s_addc_u32 s2, s7, s3
	v_lshl_or_b32 v67, v65, 8, v3
	s_and_b32 s21, s2, 0xffff
	s_mov_b32 s23, 0x20000
	s_movk_i32 s22, 0x4000
	s_movk_i32 s2, 0x80
	v_or_b32_e32 v68, 0x2000, v67
	buffer_load_dwordx4 v[4:7], v67, s[20:23], 0 offen
	buffer_load_dwordx4 v[8:11], v67, s[20:23], s2 offen
	;; [unrolled: 1-line block ×4, first 2 shown]
	v_lshlrev_b32_e32 v20, 3, v65
	v_and_or_b32 v22, v0, 7, v20
	v_and_b32_e32 v20, 0x78, v20
	v_lshlrev_b32_e32 v22, 4, v22
	v_xor_b32_e32 v69, v22, v20
	v_mul_lo_u32 v21, v65, s15
	v_or_b32_e32 v70, 0x1000, v69
	s_cmpk_eq_i32 s15, 0x80
	s_mov_b32 s50, s13
	s_mov_b32 s52, s34
	v_xor_b32_e32 v20, 8, v69
	v_xor_b32_e32 v22, 8, v70
	s_cselect_b64 s[2:3], -1, 0
	s_cmpk_lg_i32 s15, 0x80
	s_waitcnt vmcnt(3)
	ds_write_b64 v69, v[4:5] offset:16384
	ds_write_b64 v20, v[6:7] offset:16384
	s_waitcnt vmcnt(2)
	ds_write_b64 v69, v[8:9] offset:24576
	ds_write_b64 v20, v[10:11] offset:24576
	;; [unrolled: 3-line block ×4, first 2 shown]
	v_lshl_add_u32 v4, v21, 1, v66
	s_cbranch_scc0 .LBB600_3
; %bb.2:
	v_lshlrev_b32_e32 v6, 1, v4
	v_add_lshl_u32 v5, v4, s15, 1
	s_lshl_b32 s22, s15, 7
	s_load_dwordx2 s[38:39], s[0:1], 0x20
	v_lshl_or_b32 v3, v65, 9, v3
	s_cbranch_execz .LBB600_4
	s_branch .LBB600_5
.LBB600_3:
                                        ; implicit-def: $vgpr5
                                        ; implicit-def: $vgpr6
                                        ; implicit-def: $sgpr22
	s_load_dwordx2 s[38:39], s[0:1], 0x20
	v_lshl_or_b32 v3, v65, 9, v3
.LBB600_4:
	v_or_b32_e32 v5, 0x100, v3
	s_movk_i32 s22, 0x4000
	v_mov_b32_e32 v6, v3
.LBB600_5:
	s_mul_i32 s0, s34, s14
	s_ashr_i32 s54, s51, 31
	s_mul_hi_i32 s1, s34, s14
	s_add_u32 s0, s0, s51
	s_addc_u32 s1, s1, s54
	s_lshl_b64 s[0:1], s[0:1], 8
	s_add_u32 s20, s4, s0
	s_addc_u32 s0, s5, s1
	s_and_b32 s21, s0, 0xffff
	s_movk_i32 s55, 0x80
	buffer_load_dwordx4 v[8:11], v6, s[20:23], 0 offen
	buffer_load_dwordx4 v[12:15], v6, s[20:23], s55 offen
	;; [unrolled: 1-line block ×4, first 2 shown]
	v_and_b32_e32 v5, 6, v0
	v_lshlrev_b32_e32 v7, 2, v1
	v_lshlrev_b32_e32 v24, 3, v1
	v_xor_b32_e32 v26, v65, v5
	v_and_b32_e32 v6, 1, v0
	v_lshl_or_b32 v24, v64, 5, v24
	v_xor_b32_e32 v27, v64, v7
	v_lshlrev_b32_e32 v26, 2, v26
	s_mul_i32 s1, s33, s19
	s_mul_hi_u32 s17, s33, s18
	v_or_b32_e32 v71, 0x9000, v24
	v_or_b32_e32 v72, 0x9800, v24
	v_lshlrev_b32_e32 v24, 1, v27
	v_xor_b32_e32 v27, 0x440, v26
	v_cmp_eq_u32_e32 vcc, 0, v6
	s_add_i32 s21, s43, s42
	s_mul_i32 s20, s53, s18
	v_cndmask_b32_e32 v6, v27, v26, vcc
	s_add_i32 s1, s17, s1
	s_add_i32 s17, s21, s44
	s_mov_b32 s56, 0x1000504
	v_lshlrev_b32_e32 v25, 8, v1
	s_mov_b32 s22, 0x8000
	v_xor_b32_e32 v7, v63, v7
	v_lshl_or_b32 v5, v5, 10, v6
	s_add_i32 s1, s1, s20
	s_lshl_b64 s[20:21], s[16:17], 2
	s_mov_b32 s57, 0x3020706
	s_mul_i32 s0, s33, s18
	v_lshlrev_b32_e32 v7, 1, v7
	v_or3_b32 v73, v24, v25, s22
	v_xor_b32_e32 v6, 8, v5
	v_xor_b32_e32 v24, 24, v5
	;; [unrolled: 1-line block ×4, first 2 shown]
	s_add_u32 s17, s10, s20
	v_or3_b32 v74, v7, v25, s22
	v_xor_b32_e32 v7, 16, v5
	v_xor_b32_e32 v25, 32, v5
	;; [unrolled: 1-line block ×3, first 2 shown]
	v_add_u32_e32 v6, 0x80, v6
	v_add_u32_e32 v24, 0x80, v24
	v_add_u32_e32 v26, 0x80, v26
	v_add_u32_e32 v28, 0x80, v28
	s_addc_u32 s20, s11, s21
	s_lshl_b64 s[0:1], s[0:1], 2
	s_add_u32 s40, s17, s0
	s_movk_i32 s0, 0xf8
	s_addc_u32 s41, s20, s1
	s_ashr_i32 s31, s30, 31
	s_lshl_b32 s26, s15, 7
	v_mov_b32_e32 v47, 0
	s_mov_b32 s58, 0
	v_add_u32_e32 v85, v45, v2
	s_mov_b32 s17, 0x7060302
	v_mov_b32_e32 v96, 0x3fb8aa3b
	v_mov_b32_e32 v52, v47
	;; [unrolled: 1-line block ×7, first 2 shown]
	s_waitcnt vmcnt(1)
	v_perm_b32 v29, v8, v16, s56
	s_waitcnt vmcnt(0)
	v_perm_b32 v30, v12, v20, s56
	v_perm_b32 v8, v8, v16, s57
	;; [unrolled: 1-line block ×15, first 2 shown]
	ds_write2st64_b32 v5, v29, v30 offset1:32
	ds_write2st64_b32 v6, v8, v12 offset1:32
	ds_write2st64_b32 v7, v16, v20 offset0:1 offset1:33
	ds_write2st64_b32 v24, v9, v13 offset0:1 offset1:33
	;; [unrolled: 1-line block ×6, first 2 shown]
	v_or_b32_e32 v5, v45, v1
	v_lshlrev_b32_e32 v5, 3, v5
	v_lshrrev_b32_e32 v7, 5, v58
	v_and_or_b32 v7, v5, s0, v7
	v_lshlrev_b32_e32 v7, 4, v7
	v_lshrrev_b32_e32 v6, 2, v58
	v_lshlrev_b32_e32 v9, 11, v59
	v_and_b32_e32 v5, 0x78, v5
	v_or_b32_e32 v12, 32, v7
	v_and_b32_e32 v8, 12, v6
	v_and_b32_e32 v6, 0x1000, v9
	v_lshrrev_b32_e32 v11, 1, v58
	v_xor_b32_e32 v12, v12, v5
	v_and_b32_e32 v11, 8, v11
	v_or_b32_e32 v12, v12, v6
	v_xor_b32_e32 v10, v7, v5
	v_xor_b32_e32 v77, v12, v11
	v_or_b32_e32 v12, 64, v7
	v_or_b32_e32 v7, 0x60, v7
	;; [unrolled: 1-line block ×3, first 2 shown]
	v_xor_b32_e32 v12, v12, v5
	v_xor_b32_e32 v5, v7, v5
	;; [unrolled: 1-line block ×3, first 2 shown]
	v_and_b32_e32 v10, 0x78, v61
	v_or_b32_e32 v5, v5, v6
	v_lshl_or_b32 v10, v60, 7, v10
	v_or_b32_e32 v12, v12, v6
	v_xor_b32_e32 v79, v5, v11
	v_lshlrev_b32_e32 v5, 1, v1
	v_or_b32_e32 v76, 0x9000, v10
	v_xor_b32_e32 v78, v12, v11
	v_or_b32_e32 v80, 0x9800, v10
	v_lshlrev_b32_e32 v10, 1, v4
	v_add_lshl_u32 v11, v4, s15, 1
	v_lshrrev_b32_e32 v4, 4, v0
	s_lshl_b64 s[0:1], s[30:31], 8
	v_or_b32_e32 v13, 1, v5
	s_add_u32 s0, s36, s0
	v_xor_b32_e32 v5, v4, v5
	v_xor_b32_e32 v13, v13, v4
	s_addc_u32 s1, s37, s1
	v_lshlrev_b32_e32 v5, 3, v5
	v_lshlrev_b32_e32 v46, 8, v4
	;; [unrolled: 1-line block ×3, first 2 shown]
	v_lshrrev_b32_e32 v17, 1, v0
	v_or3_b32 v81, v5, v46, s22
	v_or3_b32 v82, v4, v46, s22
	v_lshl_add_u64 v[4:5], s[0:1], 0, v[46:47]
	v_lshlrev_b32_e32 v46, 4, v1
	s_movk_i32 s0, 0xff
	v_lshlrev_b32_e32 v16, 3, v59
	v_and_b32_e32 v17, 24, v17
	v_lshl_add_u64 v[54:55], v[4:5], 0, v[46:47]
	v_and_b32_e32 v5, 8, v0
	v_cmp_lt_u32_e32 vcc, s0, v0
	v_xor_b32_e32 v18, v16, v17
	v_or_b32_e32 v19, 0x440, v18
	v_cndmask_b32_e64 v15, 0, 1, vcc
	v_cmp_eq_u32_e32 vcc, 0, v5
	v_or_b32_e32 v21, 64, v17
	v_xor_b32_e32 v21, v16, v21
	v_cndmask_b32_e32 v5, v19, v18, vcc
	v_or_b32_e32 v19, 32, v17
	v_or_b32_e32 v17, 0x60, v17
	v_xor_b32_e32 v19, v16, v19
	v_xor_b32_e32 v16, v16, v17
	v_or_b32_e32 v20, 0x440, v19
	v_xor_b32_e32 v22, 0x440, v21
	v_xor_b32_e32 v17, 0x440, v16
	v_and_b32_e32 v4, 7, v0
	v_cndmask_b32_e32 v19, v20, v19, vcc
	v_cndmask_b32_e32 v21, v22, v21, vcc
	;; [unrolled: 1-line block ×3, first 2 shown]
	v_or_b32_e32 v6, s30, v1
	v_lshlrev_b32_e32 v13, 3, v4
	v_or_b32_e32 v5, v5, v9
	v_or_b32_e32 v19, v19, v9
	;; [unrolled: 1-line block ×4, first 2 shown]
	v_ashrrev_i32_e32 v7, 31, v6
	v_lshlrev_b32_e32 v15, 13, v15
	v_xor_b32_e32 v5, v5, v13
	v_xor_b32_e32 v19, v19, v13
	;; [unrolled: 1-line block ×4, first 2 shown]
	v_lshl_add_u64 v[6:7], v[6:7], 1, s[8:9]
	v_or_b32_e32 v12, 0x100, v3
	v_lshlrev_b32_e32 v14, 7, v4
	v_or_b32_e32 v4, v8, v45
	v_add_u32_e32 v18, v15, v5
	v_add_u32_e32 v20, v15, v19
	;; [unrolled: 1-line block ×4, first 2 shown]
	v_or3_b32 v8, v45, v8, 64
	v_add_u32_e32 v5, 0x2000, v5
	v_add_u32_e32 v15, 0x2000, v19
	;; [unrolled: 1-line block ×4, first 2 shown]
	v_lshlrev_b32_e32 v46, 8, v64
	v_cndmask_b32_e64 v83, v10, v3, s[2:3]
	v_cndmask_b32_e64 v84, v11, v12, s[2:3]
	v_lshl_add_u64 v[56:57], v[6:7], 0, v[46:47]
	s_movk_i32 s22, 0x4000
	v_lshlrev_b32_e32 v86, 2, v4
	v_add_u32_e32 v87, v18, v14
	v_add_u32_e32 v88, v20, v14
	;; [unrolled: 1-line block ×4, first 2 shown]
	v_lshlrev_b32_e32 v91, 2, v8
	v_add_u32_e32 v92, v5, v14
	v_add_u32_e32 v93, v15, v14
	;; [unrolled: 1-line block ×4, first 2 shown]
	v_mov_b32_e32 v46, v47
	s_waitcnt lgkmcnt(0)
	s_barrier
.LBB600_6:                              ; =>This Inner Loop Header: Depth=1
	s_add_i32 s31, s58, 1
	s_cmp_lt_i32 s31, s45
	s_mov_b64 s[24:25], 0
	s_cselect_b64 s[2:3], -1, 0
	s_cmp_ge_i32 s31, s45
	s_mov_b64 s[20:21], 0
	s_cbranch_scc1 .LBB600_8
; %bb.7:                                ;   in Loop: Header=BB600_6 Depth=1
	s_add_i32 s0, s52, 64
	s_ashr_i32 s1, s0, 31
	s_add_u32 s0, s49, s0
	s_addc_u32 s1, s48, s1
	s_lshl_b64 s[0:1], s[0:1], 8
	s_add_u32 s20, s6, s0
	s_addc_u32 s21, s7, s1
.LBB600_8:                              ;   in Loop: Header=BB600_6 Depth=1
	v_cndmask_b32_e64 v2, 0, 1, s[2:3]
	v_cmp_ne_u32_e64 s[0:1], 1, v2
	s_andn2_b64 vcc, exec, s[2:3]
	s_cbranch_vccnz .LBB600_10
; %bb.9:                                ;   in Loop: Header=BB600_6 Depth=1
	s_add_i32 s2, s52, 64
	s_mul_hi_i32 s3, s2, s14
	s_mul_i32 s2, s2, s14
	s_add_u32 s2, s2, s51
	s_addc_u32 s3, s3, s54
	s_lshl_b64 s[2:3], s[2:3], 8
	s_add_u32 s24, s4, s2
	s_addc_u32 s25, s5, s3
.LBB600_10:                             ;   in Loop: Header=BB600_6 Depth=1
	v_perm_b32 v3, v53, v52, s17
	v_perm_b32 v2, v47, v46, s17
	;; [unrolled: 1-line block ×4, first 2 shown]
	ds_write_b64 v71, v[2:3]
	ds_write_b64 v72, v[4:5]
	ds_write_b64 v73, v[2:3]
	ds_write_b64 v74, v[4:5]
	s_waitcnt lgkmcnt(0)
	s_barrier
	ds_read_b64 v[10:11], v75 offset:16384
	ds_read_b64 v[12:13], v77 offset:16384
	ds_read2st64_b64 v[2:5], v76 offset1:1
	s_waitcnt lgkmcnt(0)
	v_mfma_f32_16x16x16_bf16 a[0:3], v[10:11], v[2:3], 0
	ds_read2st64_b64 v[6:9], v76 offset0:2 offset1:3
	ds_read_b64 v[14:15], v78 offset:16384
	ds_read_b64 v[2:3], v79 offset:16384
	s_add_i32 s59, s52, 63
	v_mfma_f32_16x16x16_bf16 a[0:3], v[12:13], v[4:5], a[0:3]
	s_ashr_i32 s2, s59, 31
	s_mul_i32 s3, s59, s29
	s_mul_hi_u32 s27, s59, s28
	s_waitcnt lgkmcnt(1)
	v_mfma_f32_16x16x16_bf16 a[0:3], v[14:15], v[6:7], a[0:3]
	s_add_i32 s3, s27, s3
	s_mul_i32 s2, s2, s28
	s_add_i32 s3, s3, s2
	s_mul_i32 s2, s59, s28
	s_waitcnt lgkmcnt(0)
	v_mfma_f32_16x16x16_bf16 a[0:3], v[2:3], v[8:9], a[0:3]
	s_lshl_b64 s[2:3], s[2:3], 2
	s_add_u32 s2, s40, s2
	s_addc_u32 s3, s41, s3
	s_and_b64 vcc, exec, s[0:1]
	v_mov_b32_e32 v99, 0
	v_mov_b32_e32 v98, 0
	;; [unrolled: 1-line block ×19, first 2 shown]
	s_cbranch_vccnz .LBB600_12
; %bb.11:                               ;   in Loop: Header=BB600_6 Depth=1
	s_and_b32 s21, s21, 0xffff
	buffer_load_dwordx4 v[14:17], v67, s[20:23], 0 offen
	buffer_load_dwordx4 v[10:13], v67, s[20:23], s55 offen
	;; [unrolled: 1-line block ×4, first 2 shown]
	v_mov_b32_e32 v98, v69
	v_mov_b32_e32 v97, v70
.LBB600_12:                             ;   in Loop: Header=BB600_6 Depth=1
	v_add_u32_e32 v22, s52, v85
	v_ashrrev_i32_e32 v18, 31, v22
	v_mul_lo_u32 v20, v18, s28
	v_mul_lo_u32 v21, v22, s29
	v_mad_u64_u32 v[18:19], s[20:21], v22, s28, 0
	v_add3_u32 v19, v19, v21, v20
	v_lshl_add_u64 v[18:19], v[18:19], 2, s[40:41]
	global_load_dword v38, v[18:19], off
	v_add_u32_e32 v18, 1, v22
	v_ashrrev_i32_e32 v19, 31, v18
	v_mul_lo_u32 v20, v19, s28
	v_mul_lo_u32 v21, v18, s29
	v_mad_u64_u32 v[18:19], s[20:21], v18, s28, 0
	v_add3_u32 v19, v19, v21, v20
	v_add_u32_e32 v20, 2, v22
	v_ashrrev_i32_e32 v21, 31, v20
	v_mul_lo_u32 v23, v21, s28
	v_mul_lo_u32 v24, v20, s29
	v_mad_u64_u32 v[20:21], s[20:21], v20, s28, 0
	v_add_u32_e32 v22, 3, v22
	v_add3_u32 v21, v21, v24, v23
	v_ashrrev_i32_e32 v23, 31, v22
	v_mul_lo_u32 v26, v23, s28
	v_mul_lo_u32 v27, v22, s29
	v_mad_u64_u32 v[22:23], s[20:21], v22, s28, 0
	s_ashr_i32 s21, s52, 31
	s_add_u32 s20, s49, s52
	s_addc_u32 s21, s48, s21
	s_lshl_b64 s[20:21], s[20:21], 8
	v_lshl_add_u64 v[18:19], v[18:19], 2, s[40:41]
	v_lshl_add_u64 v[24:25], v[56:57], 0, s[20:21]
	v_add3_u32 v23, v23, v27, v26
	v_lshl_add_u64 v[20:21], v[20:21], 2, s[40:41]
	global_load_ushort v39, v[24:25], off
	global_load_ushort v40, v[24:25], off offset:256
	global_load_ushort v41, v[24:25], off offset:512
	;; [unrolled: 1-line block ×3, first 2 shown]
	v_lshl_add_u64 v[22:23], v[22:23], 2, s[40:41]
	global_load_dword v43, v[18:19], off
	global_load_dword v44, v[20:21], off
	;; [unrolled: 1-line block ×3, first 2 shown]
	s_load_dword s2, s[2:3], 0x0
	ds_read_b64 v[26:27], v75 offset:24576
	ds_read2st64_b64 v[22:25], v80 offset1:1
	ds_read2st64_b64 v[28:31], v80 offset0:2 offset1:3
	ds_read_b64 v[32:33], v77 offset:24576
	ds_read_b64 v[34:35], v78 offset:24576
	;; [unrolled: 1-line block ×3, first 2 shown]
	s_waitcnt lgkmcnt(0)
	v_mfma_f32_16x16x16_bf16 a[0:3], v[26:27], v[22:23], a[0:3]
	v_mov_b32_e32 v100, 0
	v_mov_b32_e32 v18, 0
	v_mov_b32_e32 v19, 0
	v_mfma_f32_16x16x16_bf16 a[0:3], v[32:33], v[24:25], a[0:3]
	v_mov_b32_e32 v20, 0
	v_mov_b32_e32 v21, 0
	v_mov_b32_e32 v22, 0
	;; [unrolled: 4-line block ×4, first 2 shown]
	s_and_b64 vcc, exec, s[0:1]
	s_waitcnt vmcnt(7)
	v_sub_f32_e32 v29, s2, v38
	v_mul_f32_e32 v29, 0x3fb8aa3b, v29
	v_exp_f32_e32 v38, v29
	v_accvgpr_read_b32 v33, a1
	v_accvgpr_read_b32 v31, a3
	;; [unrolled: 1-line block ×4, first 2 shown]
	s_waitcnt vmcnt(6)
	v_lshlrev_b32_e32 v34, 16, v39
	s_waitcnt vmcnt(5)
	v_lshlrev_b32_e32 v35, 16, v40
	;; [unrolled: 2-line block ×3, first 2 shown]
	s_waitcnt vmcnt(2)
	v_sub_f32_e32 v39, s2, v43
	s_waitcnt vmcnt(1)
	v_sub_f32_e32 v40, s2, v44
	;; [unrolled: 2-line block ×3, first 2 shown]
	v_mul_f32_e32 v29, 0x3fb8aa3b, v39
	v_mul_f32_e32 v40, 0x3fb8aa3b, v40
	;; [unrolled: 1-line block ×3, first 2 shown]
	v_exp_f32_e32 v39, v29
	v_exp_f32_e32 v40, v40
	;; [unrolled: 1-line block ×3, first 2 shown]
	v_lshlrev_b32_e32 v37, 16, v42
	v_pk_add_f32 v[32:33], v[34:35], v[32:33] neg_lo:[0,1] neg_hi:[0,1]
	v_pk_add_f32 v[30:31], v[36:37], v[30:31] neg_lo:[0,1] neg_hi:[0,1]
	v_pk_mul_f32 v[32:33], v[38:39], v[32:33]
	v_pk_mul_f32 v[30:31], v[40:41], v[30:31]
	v_mov_b32_e32 v29, 0
	v_perm_b32 v31, v31, v30, s17
	v_perm_b32 v30, v33, v32, s17
	ds_write_b64 v72, v[30:31]
	v_mov_b32_e32 v30, 0
	v_mov_b32_e32 v31, 0
	;; [unrolled: 1-line block ×4, first 2 shown]
	s_cbranch_vccnz .LBB600_14
; %bb.13:                               ;   in Loop: Header=BB600_6 Depth=1
	s_and_b32 s25, s25, 0xffff
	s_mov_b32 s27, s23
	buffer_load_dwordx4 v[30:33], v83, s[24:27], 0 offen
	buffer_load_dwordx4 v[22:25], v83, s[24:27], s55 offen
	;; [unrolled: 1-line block ×4, first 2 shown]
	v_mov_b32_e32 v99, v66
	v_mov_b32_e32 v100, v65
.LBB600_14:                             ;   in Loop: Header=BB600_6 Depth=1
	s_waitcnt lgkmcnt(0)
	s_barrier
	ds_read_b64 v[34:35], v87
	ds_read_b64 v[40:41], v88
	ds_read2st64_b64 v[36:39], v80 offset1:1
	ds_read2st64_b64 v[102:105], v80 offset0:2 offset1:3
	ds_read_b64 v[42:43], v89
	ds_read_b64 v[110:111], v90
	s_add_i32 s3, s46, s58
	s_mul_hi_i32 s21, s3, s50
	s_mul_i32 s3, s3, s50
	s_waitcnt lgkmcnt(3)
	v_mfma_f32_16x16x16_bf16 a[0:3], v[34:35], v[36:37], 0
	ds_read_b64 v[34:35], v92
	s_add_u32 s20, s3, s33
	s_addc_u32 s21, s21, s53
	v_mfma_f32_16x16x16_bf16 a[0:3], v[40:41], v[38:39], a[0:3]
	ds_read_b64 v[40:41], v93
	s_lshl_b64 s[20:21], s[20:21], 15
	s_mul_i32 s24, s59, s50
	s_mul_hi_i32 s3, s59, s50
	s_add_u32 s24, s24, s33
	s_addc_u32 s25, s3, s53
	s_lshl_b64 s[24:25], s[24:25], 9
	s_add_u32 s24, s38, s24
	s_waitcnt lgkmcnt(1)
	v_mfma_f32_16x16x16_bf16 a[4:7], v[34:35], v[36:37], 0
	s_addc_u32 s25, s39, s25
	s_and_b64 vcc, exec, s[0:1]
	v_mfma_f32_16x16x16_bf16 a[0:3], v[42:43], v[102:103], a[0:3]
	ds_read_b64 v[42:43], v94
	ds_read_b64 v[112:113], v95
	global_load_dwordx4 v[34:37], v91, s[24:25]
	s_waitcnt lgkmcnt(2)
	v_mfma_f32_16x16x16_bf16 a[4:7], v[40:41], v[38:39], a[4:7]
	global_load_dwordx4 v[38:41], v86, s[24:25]
	ds_read_b64 v[106:107], v81
	ds_read_b64 v[108:109], v82
	s_waitcnt lgkmcnt(3)
	v_mfma_f32_16x16x16_bf16 a[8:11], v[42:43], v[102:103], a[4:7]
	v_lshl_add_u64 v[42:43], v[54:55], 0, s[20:21]
	s_waitcnt lgkmcnt(0)
	global_store_dwordx4 v[42:43], v[106:109], off
	v_mfma_f32_16x16x16_bf16 a[4:7], v[110:111], v[104:105], a[0:3]
	s_waitcnt vmcnt(2)
	v_mov_b32_e32 v44, v37
	v_mfma_f32_16x16x16_bf16 a[0:3], v[112:113], v[104:105], a[8:11]
	v_mov_b32_e32 v43, v36
	v_mov_b32_e32 v42, v35
	s_cbranch_vccnz .LBB600_16
; %bb.15:                               ;   in Loop: Header=BB600_6 Depth=1
	v_lshrrev_b32_e32 v35, 3, v99
	v_and_b32_e32 v35, 6, v35
	v_xor_b32_e32 v36, v35, v100
	v_lshlrev_b32_e32 v36, 2, v36
	v_and_b32_e32 v37, 8, v99
	v_xor_b32_e32 v99, 0x440, v36
	v_cmp_eq_u32_e32 vcc, 0, v37
	v_perm_b32 v37, v22, v18, s56
	s_nop 0
	v_cndmask_b32_e32 v36, v99, v36, vcc
	v_lshl_or_b32 v35, v35, 10, v36
	v_perm_b32 v36, v30, v26, s56
	s_barrier
	ds_write2st64_b32 v35, v36, v37 offset1:32
	v_xor_b32_e32 v36, 8, v35
	v_perm_b32 v26, v30, v26, s57
	v_perm_b32 v18, v22, v18, s57
	v_add_u32_e32 v22, 0x80, v36
	ds_write2st64_b32 v22, v26, v18 offset1:32
	v_xor_b32_e32 v18, 16, v35
	v_perm_b32 v22, v31, v27, s56
	v_perm_b32 v26, v23, v19, s56
	ds_write2st64_b32 v18, v22, v26 offset0:1 offset1:33
	v_xor_b32_e32 v18, 24, v35
	v_perm_b32 v22, v31, v27, s57
	v_perm_b32 v19, v23, v19, s57
	v_add_u32_e32 v18, 0x80, v18
	ds_write2st64_b32 v18, v22, v19 offset0:1 offset1:33
	v_xor_b32_e32 v18, 32, v35
	v_perm_b32 v19, v32, v28, s56
	v_perm_b32 v22, v24, v20, s56
	ds_write2st64_b32 v18, v19, v22 offset0:2 offset1:34
	v_xor_b32_e32 v18, 40, v35
	v_perm_b32 v19, v32, v28, s57
	v_perm_b32 v20, v24, v20, s57
	v_add_u32_e32 v18, 0x80, v18
	ds_write2st64_b32 v18, v19, v20 offset0:2 offset1:34
	;; [unrolled: 9-line block ×3, first 2 shown]
	ds_write_b64 v98, v[14:15] offset:16384
	v_xor_b32_e32 v14, 8, v98
	ds_write_b64 v14, v[16:17] offset:16384
	ds_write_b64 v98, v[10:11] offset:24576
	;; [unrolled: 1-line block ×4, first 2 shown]
	v_xor_b32_e32 v6, 8, v97
	ds_write_b64 v6, v[8:9] offset:16384
	ds_write_b64 v97, v[2:3] offset:24576
	;; [unrolled: 1-line block ×3, first 2 shown]
.LBB600_16:                             ;   in Loop: Header=BB600_6 Depth=1
	v_mul_f32_e32 v6, s2, v96
	v_exp_f32_e32 v10, v6
	s_waitcnt vmcnt(1)
	v_mul_f32_e32 v6, 0x3fb8aa3b, v38
	v_exp_f32_e32 v12, v6
	v_mul_f32_e32 v6, 0x3fb8aa3b, v39
	v_exp_f32_e32 v13, v6
	;; [unrolled: 2-line block ×4, first 2 shown]
	v_accvgpr_read_b32 v2, a4
	v_accvgpr_read_b32 v3, a5
	v_pk_mul_f32 v[12:13], v[10:11], v[12:13] op_sel_hi:[0,1]
	v_pk_fma_f32 v[46:47], v[46:47], v[12:13], v[2:3]
	v_pk_mul_f32 v[2:3], v[10:11], v[14:15] op_sel_hi:[0,1]
	v_mul_f32_e32 v11, 0x3fb8aa3b, v34
	v_exp_f32_e32 v12, v11
	v_mul_f32_e32 v11, 0x3fb8aa3b, v42
	v_exp_f32_e32 v13, v11
	;; [unrolled: 2-line block ×4, first 2 shown]
	v_accvgpr_read_b32 v4, a6
	v_accvgpr_read_b32 v5, a7
	;; [unrolled: 1-line block ×5, first 2 shown]
	v_pk_fma_f32 v[52:53], v[52:53], v[2:3], v[4:5]
	v_pk_mul_f32 v[2:3], v[10:11], v[12:13] op_sel_hi:[0,1]
	v_accvgpr_read_b32 v8, a2
	v_pk_fma_f32 v[50:51], v[50:51], v[2:3], v[6:7]
	v_pk_mul_f32 v[2:3], v[10:11], v[14:15] op_sel_hi:[0,1]
	s_add_i32 s52, s52, 64
	s_cmp_eq_u32 s45, s31
	v_pk_fma_f32 v[48:49], v[48:49], v[2:3], v[8:9]
	s_cbranch_scc1 .LBB600_18
; %bb.17:                               ;   in Loop: Header=BB600_6 Depth=1
	s_mov_b32 s58, s31
	s_branch .LBB600_6
.LBB600_18:
	s_lshl_b32 s0, s45, 6
	s_sub_i32 s40, s47, s0
	s_cmp_gt_i32 s40, 0
	s_cbranch_scc0 .LBB600_75
; %bb.19:
	s_add_i32 s34, s0, s34
	s_ashr_i32 s2, s34, 31
	s_cmpk_lg_i32 s15, 0x80
	s_cselect_b64 s[26:27], -1, 0
	s_and_b64 vcc, exec, s[26:27]
	s_cbranch_vccz .LBB600_21
; %bb.20:
	s_mul_i32 s1, s34, s14
	s_ashr_i32 s3, s51, 31
	s_mul_hi_i32 s0, s34, s14
	s_add_u32 s38, s1, s51
	s_addc_u32 s39, s0, s3
	s_cbranch_execz .LBB600_22
	s_branch .LBB600_23
.LBB600_21:
                                        ; implicit-def: $sgpr38_sgpr39
.LBB600_22:
	s_mul_i32 s1, s51, s12
	s_mul_hi_i32 s0, s51, s12
	s_add_u32 s38, s1, s34
	s_addc_u32 s39, s0, s2
.LBB600_23:
	s_add_i32 s3, s45, s46
	s_ashr_i32 s12, s33, 31
	s_add_u32 s0, s49, s34
	s_addc_u32 s1, s48, s2
	s_mov_b32 s2, 0x7060302
	v_lshlrev_b32_e32 v6, 3, v1
	s_lshl_b64 s[24:25], s[0:1], 8
	v_perm_b32 v3, v53, v52, s2
	v_perm_b32 v2, v47, v46, s2
	;; [unrolled: 1-line block ×4, first 2 shown]
	v_lshlrev_b32_e32 v34, 2, v1
	v_lshl_or_b32 v6, v64, 5, v6
	s_add_u32 s0, s6, s24
	ds_write2st64_b64 v6, v[2:3], v[4:5] offset0:72 offset1:76
	v_xor_b32_e32 v6, v64, v34
	v_lshlrev_b32_e32 v7, 8, v1
	s_addc_u32 s1, s7, s25
	v_lshl_or_b32 v6, v6, 1, v7
	s_mul_hi_i32 s6, s3, s13
	s_mul_i32 s3, s3, s13
	ds_write_b64 v6, v[2:3] offset:32768
	v_xor_b32_e32 v2, v63, v34
	s_add_u32 s2, s3, s33
	v_lshl_or_b32 v2, v2, 1, v7
	s_addc_u32 s3, s6, s12
	v_lshlrev_b32_e32 v3, 1, v1
	ds_write_b64 v2, v[4:5] offset:32768
	v_lshrrev_b32_e32 v2, 4, v0
	s_ashr_i32 s31, s30, 31
	s_lshl_b64 s[2:3], s[2:3], 15
	v_or_b32_e32 v4, 1, v3
	s_add_u32 s6, s36, s2
	v_xor_b32_e32 v3, v2, v3
	v_xor_b32_e32 v4, v4, v2
	v_lshlrev_b32_e32 v6, 8, v2
	s_addc_u32 s7, s37, s3
	s_lshl_b64 s[2:3], s[30:31], 8
	v_lshl_or_b32 v2, v3, 3, v6
	v_lshl_or_b32 v4, v4, 3, v6
	s_waitcnt lgkmcnt(0)
	s_barrier
	s_add_u32 s2, s6, s2
	ds_read_b64 v[2:3], v2 offset:32768
	ds_read_b64 v[4:5], v4 offset:32768
	s_addc_u32 s3, s7, s3
	v_mov_b32_e32 v7, 0
	s_cmp_lg_u32 s40, 64
	v_lshl_add_u64 v[8:9], s[2:3], 0, v[6:7]
	v_lshlrev_b32_e32 v6, 4, v1
	s_cselect_b64 s[6:7], -1, 0
	v_lshl_or_b32 v35, v59, 3, v62
	s_mov_b32 s20, 0
	v_lshl_add_u64 v[6:7], v[8:9], 0, v[6:7]
	v_or_b32_e32 v19, 32, v35
	v_and_b32_e32 v18, 56, v61
	s_and_b64 vcc, exec, s[6:7]
	s_waitcnt lgkmcnt(0)
	global_store_dwordx4 v[6:7], v[2:5], off
	s_cbranch_vccz .LBB600_29
; %bb.24:
	s_mov_b32 s21, s20
	s_mov_b32 s22, s20
	s_mov_b32 s23, s20
	v_mov_b64_e32 v[6:7], s[20:21]
	v_mov_b64_e32 v[8:9], s[22:23]
	;; [unrolled: 1-line block ×3, first 2 shown]
	v_cmp_gt_i32_e32 vcc, s40, v35
	v_mov_b64_e32 v[4:5], v[8:9]
	s_and_saveexec_b64 s[2:3], vcc
	s_cbranch_execz .LBB600_26
; %bb.25:
	v_lshlrev_b32_e32 v2, 8, v35
	v_mov_b32_e32 v3, 0
	v_lshl_add_u64 v[4:5], s[0:1], 0, v[2:3]
	v_lshlrev_b32_e32 v2, 1, v18
	v_lshl_add_u64 v[10:11], v[4:5], 0, v[2:3]
	global_load_dwordx4 v[6:9], v[10:11], off
	global_load_dwordx4 v[2:5], v[10:11], off offset:128
.LBB600_26:
	s_or_b64 exec, exec, s[2:3]
	s_mov_b32 s21, s20
	s_mov_b32 s22, s20
	;; [unrolled: 1-line block ×3, first 2 shown]
	v_mov_b64_e32 v[14:15], s[20:21]
	v_mov_b64_e32 v[16:17], s[22:23]
	;; [unrolled: 1-line block ×3, first 2 shown]
	v_cmp_gt_i32_e32 vcc, s40, v19
	v_lshlrev_b32_e32 v20, 7, v19
	v_mov_b64_e32 v[12:13], v[16:17]
	s_and_saveexec_b64 s[2:3], vcc
	s_cbranch_execz .LBB600_28
; %bb.27:
	v_lshlrev_b32_e32 v10, 1, v20
	v_mov_b32_e32 v11, 0
	v_lshl_add_u64 v[12:13], s[0:1], 0, v[10:11]
	v_lshlrev_b32_e32 v10, 1, v18
	v_lshl_add_u64 v[22:23], v[12:13], 0, v[10:11]
	global_load_dwordx4 v[14:17], v[22:23], off
	global_load_dwordx4 v[10:13], v[22:23], off offset:128
.LBB600_28:
	s_or_b64 exec, exec, s[2:3]
	v_lshrrev_b32_e32 v21, 3, v18
	v_lshlrev_b32_e32 v22, 3, v35
	v_or_b32_e32 v21, v22, v21
	v_lshlrev_b32_e32 v21, 4, v21
	v_and_b32_e32 v22, 0x78, v22
	v_xor_b32_e32 v21, v21, v22
	s_branch .LBB600_31
.LBB600_29:
                                        ; implicit-def: $vgpr21
                                        ; implicit-def: $vgpr20
                                        ; implicit-def: $vgpr6_vgpr7_vgpr8_vgpr9
                                        ; implicit-def: $vgpr2_vgpr3_vgpr4_vgpr5
                                        ; implicit-def: $vgpr14_vgpr15_vgpr16_vgpr17
                                        ; implicit-def: $vgpr10_vgpr11_vgpr12_vgpr13
	s_cbranch_execz .LBB600_31
; %bb.30:
	s_waitcnt vmcnt(0)
	v_lshlrev_b32_e32 v2, 1, v18
	v_lshl_or_b32 v20, v35, 8, v2
	s_and_b32 s1, s1, 0xffff
	s_mov_b32 s3, 0x20000
	s_movk_i32 s2, 0x4000
	v_lshl_or_b32 v21, v19, 8, v2
	s_movk_i32 s13, 0x80
	buffer_load_dwordx4 v[6:9], v20, s[0:3], 0 offen
	buffer_load_dwordx4 v[2:5], v20, s[0:3], s13 offen
	;; [unrolled: 1-line block ×4, first 2 shown]
	v_lshrrev_b32_e32 v20, 3, v18
	v_lshlrev_b32_e32 v21, 3, v35
	v_or_b32_e32 v20, v21, v20
	v_lshlrev_b32_e32 v20, 4, v20
	v_and_b32_e32 v21, 0x78, v21
	v_xor_b32_e32 v21, v20, v21
	v_lshlrev_b32_e32 v20, 7, v19
.LBB600_31:
	s_lshl_b64 s[0:1], s[38:39], 8
	s_add_u32 s4, s4, s0
	s_movk_i32 s0, 0x1000
	v_and_or_b32 v19, v20, s0, v21
	s_waitcnt vmcnt(1)
	ds_write_b64 v21, v[6:7] offset:16384
	v_xor_b32_e32 v6, 8, v21
	ds_write_b64 v6, v[8:9] offset:16384
	s_waitcnt vmcnt(0)
	ds_write_b64 v21, v[2:3] offset:24576
	ds_write_b64 v6, v[4:5] offset:24576
	ds_write_b64 v19, v[14:15] offset:16384
	v_xor_b32_e32 v2, 8, v19
	ds_write_b64 v2, v[16:17] offset:16384
	ds_write_b64 v19, v[10:11] offset:24576
	;; [unrolled: 1-line block ×3, first 2 shown]
	v_or_b32_e32 v2, v45, v1
	v_lshlrev_b32_e32 v2, 3, v2
	v_lshrrev_b32_e32 v4, 5, v58
	s_movk_i32 s14, 0xf8
	v_and_or_b32 v4, v2, s14, v4
	v_lshlrev_b32_e32 v3, 11, v59
	v_lshlrev_b32_e32 v12, 4, v4
	v_and_b32_e32 v13, 0x78, v2
	v_and_b32_e32 v14, 0x1000, v3
	v_lshlrev_b32_e32 v3, 2, v0
	v_xor_b32_e32 v2, v12, v13
	v_lshrrev_b32_e32 v4, 1, v58
	v_and_b32_e32 v3, 60, v3
	v_or_b32_e32 v2, v2, v14
	v_and_b32_e32 v15, 8, v4
	v_xor_b32_e32 v26, v2, v15
	v_lshl_or_b32 v2, v60, 6, v3
	v_lshlrev_b32_e32 v19, 1, v2
	v_or_b32_e32 v2, 32, v12
	v_xor_b32_e32 v2, v2, v13
	s_waitcnt lgkmcnt(0)
	s_barrier
	ds_read_b64 v[10:11], v26 offset:16384
	v_or_b32_e32 v2, v2, v14
	v_xor_b32_e32 v27, v2, v15
	v_or_b32_e32 v2, 64, v12
	v_xor_b32_e32 v2, v2, v13
	v_or_b32_e32 v2, v2, v14
	v_or_b32_e32 v12, 0x60, v12
	v_xor_b32_e32 v28, v2, v15
	ds_read2st64_b64 v[2:5], v19 offset0:72 offset1:73
	ds_read2st64_b64 v[6:9], v19 offset0:74 offset1:75
	v_xor_b32_e32 v16, v12, v13
	ds_read_b64 v[12:13], v27 offset:16384
	s_addc_u32 s5, s5, s1
	s_add_i32 s0, s43, s42
	s_waitcnt lgkmcnt(2)
	v_mfma_f32_16x16x16_bf16 a[0:3], v[10:11], v[2:3], 0
	s_add_i32 s2, s35, -1
	s_add_i32 s17, s0, s44
	s_mul_i32 s0, s33, s19
	s_mul_hi_u32 s1, s33, s18
	s_add_i32 s0, s1, s0
	s_mul_i32 s1, s12, s18
	s_ashr_i32 s3, s2, 31
	s_mul_i32 s12, s2, s29
	s_mul_hi_u32 s13, s2, s28
	s_add_i32 s12, s13, s12
	s_mul_i32 s3, s3, s28
	v_or_b32_e32 v14, v16, v14
	s_add_i32 s1, s0, s1
	s_add_i32 s3, s12, s3
	s_lshl_b64 s[12:13], s[16:17], 2
	v_xor_b32_e32 v36, v14, v15
	ds_read_b64 v[14:15], v28 offset:16384
	ds_read_b64 v[16:17], v36 offset:16384
	s_waitcnt lgkmcnt(2)
	v_mfma_f32_16x16x16_bf16 a[0:3], v[12:13], v[4:5], a[0:3]
	s_mul_i32 s0, s33, s18
	s_add_u32 s10, s10, s12
	s_addc_u32 s11, s11, s13
	s_lshl_b64 s[0:1], s[0:1], 2
	s_mul_i32 s2, s2, s28
	s_add_u32 s10, s10, s0
	s_addc_u32 s11, s11, s1
	s_lshl_b64 s[0:1], s[2:3], 2
	s_waitcnt lgkmcnt(1)
	v_mfma_f32_16x16x16_bf16 a[0:3], v[14:15], v[6:7], a[0:3]
	s_add_u32 s0, s10, s0
	s_addc_u32 s1, s11, s1
	s_load_dword s12, s[0:1], 0x0
	s_waitcnt lgkmcnt(0)
	v_mfma_f32_16x16x16_bf16 a[0:3], v[16:17], v[8:9], a[0:3]
	s_and_b64 vcc, exec, s[26:27]
	s_cbranch_vccz .LBB600_42
; %bb.32:
	v_lshlrev_b32_e32 v20, 1, v35
	s_and_b64 vcc, exec, s[6:7]
	s_cbranch_vccz .LBB600_43
; %bb.33:
	v_cmp_gt_i32_e32 vcc, s40, v20
	v_mov_b32_e32 v6, 0
	v_mov_b32_e32 v2, 0
	;; [unrolled: 1-line block ×5, first 2 shown]
	s_and_saveexec_b64 s[0:1], vcc
	s_cbranch_execz .LBB600_35
; %bb.34:
	v_mad_i64_i32 v[2:3], s[2:3], s15, v20, 0
	v_lshl_add_u64 v[2:3], v[2:3], 1, s[4:5]
	v_lshlrev_b32_e32 v4, 1, v18
	v_mov_b32_e32 v5, 0
	v_lshl_add_u64 v[2:3], v[2:3], 0, v[4:5]
	global_load_dwordx4 v[2:5], v[2:3], off
.LBB600_35:
	s_or_b64 exec, exec, s[0:1]
	v_or_b32_e32 v21, 1, v20
	v_cmp_gt_i32_e64 s[0:1], s40, v21
	v_mov_b32_e32 v7, 0
	v_mov_b32_e32 v8, 0
	;; [unrolled: 1-line block ×3, first 2 shown]
	s_and_saveexec_b64 s[2:3], s[0:1]
	s_cbranch_execz .LBB600_37
; %bb.36:
	v_mad_i64_i32 v[6:7], s[16:17], s15, v21, 0
	v_lshl_add_u64 v[6:7], v[6:7], 1, s[4:5]
	v_lshlrev_b32_e32 v8, 1, v18
	v_mov_b32_e32 v9, 0
	v_lshl_add_u64 v[6:7], v[6:7], 0, v[8:9]
	global_load_dwordx4 v[6:9], v[6:7], off
.LBB600_37:
	s_or_b64 exec, exec, s[2:3]
	v_mov_b32_e32 v17, 0
	v_mov_b32_e32 v10, 0
	;; [unrolled: 1-line block ×5, first 2 shown]
	s_and_saveexec_b64 s[2:3], vcc
	s_cbranch_execz .LBB600_39
; %bb.38:
	v_mad_i64_i32 v[10:11], s[16:17], s15, v20, 0
	v_lshl_add_u64 v[10:11], v[10:11], 1, s[4:5]
	v_lshlrev_b32_e32 v12, 1, v18
	v_mov_b32_e32 v13, 0
	v_lshl_add_u64 v[10:11], v[10:11], 0, v[12:13]
	global_load_dwordx4 v[10:13], v[10:11], off offset:128
.LBB600_39:
	s_or_b64 exec, exec, s[2:3]
	v_mov_b32_e32 v16, 0
	v_mov_b32_e32 v15, 0
	;; [unrolled: 1-line block ×3, first 2 shown]
	s_and_saveexec_b64 s[2:3], s[0:1]
	s_cbranch_execz .LBB600_41
; %bb.40:
	v_mad_i64_i32 v[14:15], s[0:1], s15, v21, 0
	v_lshl_add_u64 v[14:15], v[14:15], 1, s[4:5]
	v_lshlrev_b32_e32 v16, 1, v18
	v_mov_b32_e32 v17, 0
	v_lshl_add_u64 v[14:15], v[14:15], 0, v[16:17]
	global_load_dwordx4 v[14:17], v[14:15], off offset:128
.LBB600_41:
	s_or_b64 exec, exec, s[2:3]
	s_branch .LBB600_45
.LBB600_42:
                                        ; implicit-def: $vgpr5
                                        ; implicit-def: $vgpr9
                                        ; implicit-def: $vgpr13
                                        ; implicit-def: $vgpr17
	v_lshrrev_b32_e32 v37, 2, v58
	s_branch .LBB600_46
.LBB600_43:
                                        ; implicit-def: $vgpr5
                                        ; implicit-def: $vgpr9
                                        ; implicit-def: $vgpr13
                                        ; implicit-def: $vgpr17
	s_cbranch_execz .LBB600_45
; %bb.44:
	s_waitcnt vmcnt(0)
	v_mad_u64_u32 v[2:3], s[0:1], v20, s15, v[18:19]
	v_lshlrev_b32_e32 v20, 1, v2
	s_lshl_b32 s2, s15, 7
	s_and_b32 s1, s5, 0xffff
	s_mov_b32 s3, 0x20000
	s_mov_b32 s0, s4
	v_add_lshl_u32 v21, v2, s15, 1
	s_movk_i32 s13, 0x80
	buffer_load_dwordx4 v[2:5], v20, s[0:3], 0 offen
	buffer_load_dwordx4 v[10:13], v20, s[0:3], s13 offen
	;; [unrolled: 1-line block ×4, first 2 shown]
.LBB600_45:
	v_lshrrev_b32_e32 v37, 2, v58
	s_cbranch_execnz .LBB600_58
.LBB600_46:
	s_and_b64 vcc, exec, s[6:7]
	s_cbranch_vccz .LBB600_56
; %bb.47:
	s_waitcnt vmcnt(0)
	v_lshlrev_b32_e32 v7, 1, v35
	v_cmp_gt_i32_e32 vcc, s40, v7
	v_mov_b32_e32 v6, 0
	v_lshlrev_b32_e32 v14, 9, v35
	v_mov_b32_e32 v2, 0
	v_mov_b32_e32 v3, 0
	;; [unrolled: 1-line block ×4, first 2 shown]
	s_and_saveexec_b64 s[0:1], vcc
	s_cbranch_execz .LBB600_49
; %bb.48:
	v_mov_b32_e32 v15, 0
	v_lshl_add_u64 v[2:3], s[4:5], 0, v[14:15]
	v_lshlrev_b32_e32 v4, 1, v18
	v_mov_b32_e32 v5, v15
	v_lshl_add_u64 v[2:3], v[2:3], 0, v[4:5]
	global_load_dwordx4 v[2:5], v[2:3], off
.LBB600_49:
	s_or_b64 exec, exec, s[0:1]
	v_or_b32_e32 v7, 1, v7
	v_cmp_gt_i32_e64 s[0:1], s40, v7
	v_lshlrev_b32_e32 v20, 8, v7
	v_mov_b32_e32 v7, 0
	v_mov_b32_e32 v8, 0
	;; [unrolled: 1-line block ×3, first 2 shown]
	s_and_saveexec_b64 s[2:3], s[0:1]
	s_cbranch_execz .LBB600_51
; %bb.50:
	v_mov_b32_e32 v21, 0
	v_lshl_add_u64 v[6:7], s[4:5], 0, v[20:21]
	v_lshlrev_b32_e32 v8, 1, v18
	v_mov_b32_e32 v9, v21
	v_lshl_add_u64 v[6:7], v[6:7], 0, v[8:9]
	global_load_dwordx4 v[6:9], v[6:7], off
.LBB600_51:
	s_or_b64 exec, exec, s[2:3]
	v_mov_b32_e32 v17, 0
	v_mov_b32_e32 v10, 0
	;; [unrolled: 1-line block ×5, first 2 shown]
	s_and_saveexec_b64 s[2:3], vcc
	s_cbranch_execz .LBB600_53
; %bb.52:
	v_mov_b32_e32 v15, 0
	v_lshl_add_u64 v[10:11], s[4:5], 0, v[14:15]
	v_lshlrev_b32_e32 v14, 1, v18
	v_lshl_add_u64 v[10:11], v[10:11], 0, v[14:15]
	global_load_dwordx4 v[10:13], v[10:11], off offset:128
.LBB600_53:
	s_or_b64 exec, exec, s[2:3]
	v_mov_b32_e32 v16, 0
	v_mov_b32_e32 v15, 0
	;; [unrolled: 1-line block ×3, first 2 shown]
	s_and_saveexec_b64 s[2:3], s[0:1]
	s_cbranch_execz .LBB600_55
; %bb.54:
	v_mov_b32_e32 v21, 0
	v_lshl_add_u64 v[14:15], s[4:5], 0, v[20:21]
	v_lshlrev_b32_e32 v20, 1, v18
	v_lshl_add_u64 v[14:15], v[14:15], 0, v[20:21]
	global_load_dwordx4 v[14:17], v[14:15], off offset:128
.LBB600_55:
	s_or_b64 exec, exec, s[2:3]
	s_branch .LBB600_58
.LBB600_56:
                                        ; implicit-def: $vgpr5
                                        ; implicit-def: $vgpr9
                                        ; implicit-def: $vgpr13
                                        ; implicit-def: $vgpr17
	s_cbranch_execz .LBB600_58
; %bb.57:
	s_waitcnt vmcnt(0)
	v_lshlrev_b32_e32 v2, 1, v18
	v_lshl_or_b32 v18, v35, 9, v2
	s_and_b32 s5, s5, 0xffff
	s_mov_b32 s7, 0x20000
	s_movk_i32 s6, 0x4000
	s_movk_i32 s0, 0x80
	buffer_load_dwordx4 v[2:5], v18, s[4:7], 0 offen
	buffer_load_dwordx4 v[6:9], v18, s[4:7], 0 offen offset:256
	buffer_load_dwordx4 v[10:13], v18, s[4:7], s0 offen
	buffer_load_dwordx4 v[14:17], v18, s[4:7], s0 offen offset:256
.LBB600_58:
	ds_read2st64_b64 v[22:25], v19 offset0:76 offset1:77
	ds_read2st64_b64 v[18:21], v19 offset0:78 offset1:79
	ds_read_b64 v[30:31], v26 offset:24576
	ds_read_b64 v[32:33], v27 offset:24576
	;; [unrolled: 1-line block ×4, first 2 shown]
	v_and_b32_e32 v36, 6, v0
	v_xor_b32_e32 v35, v35, v36
	v_lshlrev_b32_e32 v35, 2, v35
	v_and_b32_e32 v0, 1, v0
	v_xor_b32_e32 v38, 0x440, v35
	v_cmp_eq_u32_e32 vcc, 0, v0
	s_mov_b32 s0, 0x1000504
	s_mov_b32 s1, 0x3020706
	v_cndmask_b32_e32 v0, v38, v35, vcc
	v_lshl_or_b32 v0, v36, 10, v0
	s_waitcnt vmcnt(0)
	v_perm_b32 v35, v2, v6, s0
	v_perm_b32 v36, v10, v14, s0
	ds_write2st64_b32 v0, v35, v36 offset1:32
	v_xor_b32_e32 v35, 8, v0
	v_perm_b32 v2, v2, v6, s1
	v_perm_b32 v6, v10, v14, s1
	v_add_u32_e32 v10, 0x80, v35
	ds_write2st64_b32 v10, v2, v6 offset1:32
	v_xor_b32_e32 v2, 16, v0
	v_perm_b32 v6, v3, v7, s0
	v_perm_b32 v10, v11, v15, s0
	ds_write2st64_b32 v2, v6, v10 offset0:1 offset1:33
	v_xor_b32_e32 v2, 24, v0
	v_perm_b32 v3, v3, v7, s1
	v_perm_b32 v6, v11, v15, s1
	v_add_u32_e32 v2, 0x80, v2
	ds_write2st64_b32 v2, v3, v6 offset0:1 offset1:33
	v_xor_b32_e32 v2, 32, v0
	v_perm_b32 v3, v4, v8, s0
	v_perm_b32 v6, v12, v16, s0
	ds_write2st64_b32 v2, v3, v6 offset0:2 offset1:34
	v_xor_b32_e32 v2, 40, v0
	v_perm_b32 v3, v4, v8, s1
	v_perm_b32 v4, v12, v16, s1
	v_add_u32_e32 v2, 0x80, v2
	ds_write2st64_b32 v2, v3, v4 offset0:2 offset1:34
	v_xor_b32_e32 v2, 48, v0
	v_perm_b32 v3, v5, v9, s0
	v_perm_b32 v4, v13, v17, s0
	v_xor_b32_e32 v0, 56, v0
	v_and_or_b32 v6, v37, 12, v45
	ds_write2st64_b32 v2, v3, v4 offset0:3 offset1:35
	v_perm_b32 v2, v5, v9, s1
	v_perm_b32 v3, v13, v17, s1
	v_add_u32_e32 v0, 0x80, v0
	v_cmp_gt_i32_e32 vcc, s40, v6
	v_mov_b32_e32 v7, 0
	v_mov_b32_e32 v11, 0
	ds_write2st64_b32 v0, v2, v3 offset0:3 offset1:35
	s_and_saveexec_b64 s[0:1], vcc
	s_cbranch_execz .LBB600_60
; %bb.59:
	v_add_u32_e32 v0, s34, v6
	v_ashrrev_i32_e32 v2, 31, v0
	v_mul_lo_u32 v4, v2, s28
	v_mul_lo_u32 v5, v0, s29
	v_mad_u64_u32 v[2:3], s[2:3], v0, s28, 0
	v_add3_u32 v3, v3, v5, v4
	v_lshl_add_u64 v[2:3], v[2:3], 2, s[10:11]
	global_load_dword v0, v[2:3], off
	s_waitcnt vmcnt(0)
	v_sub_f32_e32 v0, s12, v0
	v_mul_f32_e32 v0, 0x3fb8aa3b, v0
	v_exp_f32_e32 v11, v0
.LBB600_60:
	s_or_b64 exec, exec, s[0:1]
	v_or_b32_e32 v9, 1, v6
	v_cmp_gt_i32_e64 s[0:1], s40, v9
	s_and_saveexec_b64 s[2:3], s[0:1]
	s_cbranch_execz .LBB600_62
; %bb.61:
	v_add_u32_e32 v0, s34, v9
	v_ashrrev_i32_e32 v2, 31, v0
	v_mul_lo_u32 v4, v2, s28
	v_mul_lo_u32 v5, v0, s29
	v_mad_u64_u32 v[2:3], s[4:5], v0, s28, 0
	v_add3_u32 v3, v3, v5, v4
	v_lshl_add_u64 v[2:3], v[2:3], 2, s[10:11]
	global_load_dword v0, v[2:3], off
	s_waitcnt vmcnt(0)
	v_sub_f32_e32 v0, s12, v0
	v_mul_f32_e32 v0, 0x3fb8aa3b, v0
	v_exp_f32_e32 v7, v0
.LBB600_62:
	s_or_b64 exec, exec, s[2:3]
	v_or_b32_e32 v10, 2, v6
	v_cmp_gt_i32_e64 s[2:3], s40, v10
	v_mov_b32_e32 v8, 0
	v_mov_b32_e32 v13, 0
	s_and_saveexec_b64 s[4:5], s[2:3]
	s_cbranch_execz .LBB600_64
; %bb.63:
	v_add_u32_e32 v0, s34, v10
	v_ashrrev_i32_e32 v2, 31, v0
	v_mul_lo_u32 v4, v2, s28
	v_mul_lo_u32 v5, v0, s29
	v_mad_u64_u32 v[2:3], s[6:7], v0, s28, 0
	v_add3_u32 v3, v3, v5, v4
	v_lshl_add_u64 v[2:3], v[2:3], 2, s[10:11]
	global_load_dword v0, v[2:3], off
	s_waitcnt vmcnt(0)
	v_sub_f32_e32 v0, s12, v0
	v_mul_f32_e32 v0, 0x3fb8aa3b, v0
	v_exp_f32_e32 v13, v0
.LBB600_64:
	s_or_b64 exec, exec, s[4:5]
	v_or_b32_e32 v12, 3, v6
	v_cmp_gt_i32_e64 s[4:5], s40, v12
	s_and_saveexec_b64 s[6:7], s[4:5]
	s_cbranch_execz .LBB600_66
; %bb.65:
	v_add_u32_e32 v0, s34, v12
	v_ashrrev_i32_e32 v2, 31, v0
	v_mul_lo_u32 v4, v2, s28
	v_mul_lo_u32 v5, v0, s29
	v_mad_u64_u32 v[2:3], s[14:15], v0, s28, 0
	v_add3_u32 v3, v3, v5, v4
	v_lshl_add_u64 v[2:3], v[2:3], 2, s[10:11]
	global_load_dword v0, v[2:3], off
	s_waitcnt vmcnt(0)
	v_sub_f32_e32 v0, s12, v0
	v_mul_f32_e32 v0, 0x3fb8aa3b, v0
	v_exp_f32_e32 v8, v0
.LBB600_66:
	s_or_b64 exec, exec, s[6:7]
	s_waitcnt lgkmcnt(11)
	v_mfma_f32_16x16x16_bf16 a[0:3], v[30:31], v[22:23], a[0:3]
	v_or_b32_e32 v0, s30, v1
	s_add_u32 s6, s8, s24
	s_addc_u32 s7, s9, s25
	s_waitcnt lgkmcnt(10)
	v_mfma_f32_16x16x16_bf16 a[0:3], v[32:33], v[24:25], a[0:3]
	v_ashrrev_i32_e32 v1, 31, v0
	v_lshl_add_u64 v[4:5], v[0:1], 1, s[6:7]
	v_mov_b32_e32 v14, 0
	s_waitcnt lgkmcnt(9)
	v_mfma_f32_16x16x16_bf16 a[0:3], v[28:29], v[18:19], a[0:3]
	v_mov_b32_e32 v15, 0
	s_waitcnt lgkmcnt(8)
	v_mfma_f32_16x16x16_bf16 a[0:3], v[26:27], v[20:21], a[0:3]
	s_nop 6
	v_accvgpr_read_b32 v0, a0
	v_accvgpr_read_b32 v1, a1
	;; [unrolled: 1-line block ×4, first 2 shown]
	s_and_saveexec_b64 s[6:7], vcc
	s_cbranch_execz .LBB600_68
; %bb.67:
	v_lshlrev_b32_e32 v16, 8, v6
	v_mov_b32_e32 v17, 0
	v_lshl_add_u64 v[16:17], v[4:5], 0, v[16:17]
	global_load_ushort v15, v[16:17], off
	s_waitcnt vmcnt(0)
	v_lshlrev_b32_e32 v15, 16, v15
	v_sub_f32_e32 v0, v15, v0
	v_mul_f32_e32 v0, v11, v0
	v_lshrrev_b32_e32 v15, 16, v0
.LBB600_68:
	s_or_b64 exec, exec, s[6:7]
	s_and_saveexec_b64 s[6:7], s[0:1]
	s_cbranch_execz .LBB600_70
; %bb.69:
	v_lshlrev_b32_e32 v16, 8, v9
	v_mov_b32_e32 v17, 0
	v_lshl_add_u64 v[16:17], v[4:5], 0, v[16:17]
	global_load_ushort v0, v[16:17], off
	s_waitcnt vmcnt(0)
	v_lshlrev_b32_e32 v0, 16, v0
	v_sub_f32_e32 v0, v0, v1
	v_mul_f32_e32 v0, v7, v0
	v_lshrrev_b32_e32 v14, 16, v0
.LBB600_70:
	s_or_b64 exec, exec, s[6:7]
	v_mov_b32_e32 v0, 0
	v_mov_b32_e32 v1, 0
	s_and_saveexec_b64 s[0:1], s[2:3]
	s_cbranch_execz .LBB600_72
; %bb.71:
	v_lshlrev_b32_e32 v10, 8, v10
	v_mov_b32_e32 v11, 0
	v_lshl_add_u64 v[10:11], v[4:5], 0, v[10:11]
	global_load_ushort v1, v[10:11], off
	s_waitcnt vmcnt(0)
	v_lshlrev_b32_e32 v1, 16, v1
	v_sub_f32_e32 v1, v1, v2
	v_mul_f32_e32 v1, v13, v1
	v_lshrrev_b32_e32 v1, 16, v1
.LBB600_72:
	s_or_b64 exec, exec, s[0:1]
	s_and_saveexec_b64 s[0:1], s[4:5]
	s_cbranch_execz .LBB600_74
; %bb.73:
	v_lshlrev_b32_e32 v10, 8, v12
	v_mov_b32_e32 v11, 0
	v_lshl_add_u64 v[4:5], v[4:5], 0, v[10:11]
	global_load_ushort v0, v[4:5], off
	s_waitcnt vmcnt(0)
	v_lshlrev_b32_e32 v0, 16, v0
	v_sub_f32_e32 v0, v0, v3
	v_mul_f32_e32 v0, v8, v0
	v_lshrrev_b32_e32 v0, 16, v0
.LBB600_74:
	s_or_b64 exec, exec, s[0:1]
	s_mov_b32 s0, 0x5040100
	v_lshlrev_b32_e32 v2, 1, v34
	v_perm_b32 v1, v0, v1, s0
	v_perm_b32 v0, v14, v15, s0
	v_lshl_or_b32 v2, v6, 5, v2
	ds_write_b64 v2, v[0:1] offset:38912
	s_waitcnt lgkmcnt(0)
	s_barrier
.LBB600_75:
	s_endpgm
	.section	.rodata,"a",@progbits
	.p2align	6, 0x0
	.amdhsa_kernel _ZN12_GLOBAL__N_139chunk_gated_delta_rule_fwd_h_hip_kernelILi16ELb0ELb0ELb0ELb1ELb0ELb1ELb0ELb1EEEvPK12hip_bfloat16S3_S3_PKfS5_PKvPS1_S8_PvPKiSB_iiiiilll
		.amdhsa_group_segment_fixed_size 40960
		.amdhsa_private_segment_fixed_size 0
		.amdhsa_kernarg_size 136
		.amdhsa_user_sgpr_count 2
		.amdhsa_user_sgpr_dispatch_ptr 0
		.amdhsa_user_sgpr_queue_ptr 0
		.amdhsa_user_sgpr_kernarg_segment_ptr 1
		.amdhsa_user_sgpr_dispatch_id 0
		.amdhsa_user_sgpr_kernarg_preload_length 0
		.amdhsa_user_sgpr_kernarg_preload_offset 0
		.amdhsa_user_sgpr_private_segment_size 0
		.amdhsa_uses_dynamic_stack 0
		.amdhsa_enable_private_segment 0
		.amdhsa_system_sgpr_workgroup_id_x 1
		.amdhsa_system_sgpr_workgroup_id_y 1
		.amdhsa_system_sgpr_workgroup_id_z 0
		.amdhsa_system_sgpr_workgroup_info 0
		.amdhsa_system_vgpr_workitem_id 0
		.amdhsa_next_free_vgpr 128
		.amdhsa_next_free_sgpr 60
		.amdhsa_accum_offset 116
		.amdhsa_reserve_vcc 1
		.amdhsa_float_round_mode_32 0
		.amdhsa_float_round_mode_16_64 0
		.amdhsa_float_denorm_mode_32 3
		.amdhsa_float_denorm_mode_16_64 3
		.amdhsa_dx10_clamp 1
		.amdhsa_ieee_mode 1
		.amdhsa_fp16_overflow 0
		.amdhsa_tg_split 0
		.amdhsa_exception_fp_ieee_invalid_op 0
		.amdhsa_exception_fp_denorm_src 0
		.amdhsa_exception_fp_ieee_div_zero 0
		.amdhsa_exception_fp_ieee_overflow 0
		.amdhsa_exception_fp_ieee_underflow 0
		.amdhsa_exception_fp_ieee_inexact 0
		.amdhsa_exception_int_div_zero 0
	.end_amdhsa_kernel
	.section	.text._ZN12_GLOBAL__N_139chunk_gated_delta_rule_fwd_h_hip_kernelILi16ELb0ELb0ELb0ELb1ELb0ELb1ELb0ELb1EEEvPK12hip_bfloat16S3_S3_PKfS5_PKvPS1_S8_PvPKiSB_iiiiilll,"axG",@progbits,_ZN12_GLOBAL__N_139chunk_gated_delta_rule_fwd_h_hip_kernelILi16ELb0ELb0ELb0ELb1ELb0ELb1ELb0ELb1EEEvPK12hip_bfloat16S3_S3_PKfS5_PKvPS1_S8_PvPKiSB_iiiiilll,comdat
.Lfunc_end600:
	.size	_ZN12_GLOBAL__N_139chunk_gated_delta_rule_fwd_h_hip_kernelILi16ELb0ELb0ELb0ELb1ELb0ELb1ELb0ELb1EEEvPK12hip_bfloat16S3_S3_PKfS5_PKvPS1_S8_PvPKiSB_iiiiilll, .Lfunc_end600-_ZN12_GLOBAL__N_139chunk_gated_delta_rule_fwd_h_hip_kernelILi16ELb0ELb0ELb0ELb1ELb0ELb1ELb0ELb1EEEvPK12hip_bfloat16S3_S3_PKfS5_PKvPS1_S8_PvPKiSB_iiiiilll
                                        ; -- End function
	.section	.AMDGPU.csdata,"",@progbits
; Kernel info:
; codeLenInByte = 7304
; NumSgprs: 66
; NumVgprs: 114
; NumAgprs: 12
; TotalNumVgprs: 128
; ScratchSize: 0
; MemoryBound: 0
; FloatMode: 240
; IeeeMode: 1
; LDSByteSize: 40960 bytes/workgroup (compile time only)
; SGPRBlocks: 8
; VGPRBlocks: 15
; NumSGPRsForWavesPerEU: 66
; NumVGPRsForWavesPerEU: 128
; AccumOffset: 116
; Occupancy: 1
; WaveLimiterHint : 1
; COMPUTE_PGM_RSRC2:SCRATCH_EN: 0
; COMPUTE_PGM_RSRC2:USER_SGPR: 2
; COMPUTE_PGM_RSRC2:TRAP_HANDLER: 0
; COMPUTE_PGM_RSRC2:TGID_X_EN: 1
; COMPUTE_PGM_RSRC2:TGID_Y_EN: 1
; COMPUTE_PGM_RSRC2:TGID_Z_EN: 0
; COMPUTE_PGM_RSRC2:TIDIG_COMP_CNT: 0
; COMPUTE_PGM_RSRC3_GFX90A:ACCUM_OFFSET: 28
; COMPUTE_PGM_RSRC3_GFX90A:TG_SPLIT: 0
	.section	.text._ZN12_GLOBAL__N_139chunk_gated_delta_rule_fwd_h_hip_kernelILi16ELb1ELb1ELb1ELb0ELb0ELb1ELb0ELb1EEEvPK12hip_bfloat16S3_S3_PKfS5_PKvPS1_S8_PvPKiSB_iiiiilll,"axG",@progbits,_ZN12_GLOBAL__N_139chunk_gated_delta_rule_fwd_h_hip_kernelILi16ELb1ELb1ELb1ELb0ELb0ELb1ELb0ELb1EEEvPK12hip_bfloat16S3_S3_PKfS5_PKvPS1_S8_PvPKiSB_iiiiilll,comdat
	.globl	_ZN12_GLOBAL__N_139chunk_gated_delta_rule_fwd_h_hip_kernelILi16ELb1ELb1ELb1ELb0ELb0ELb1ELb0ELb1EEEvPK12hip_bfloat16S3_S3_PKfS5_PKvPS1_S8_PvPKiSB_iiiiilll ; -- Begin function _ZN12_GLOBAL__N_139chunk_gated_delta_rule_fwd_h_hip_kernelILi16ELb1ELb1ELb1ELb0ELb0ELb1ELb0ELb1EEEvPK12hip_bfloat16S3_S3_PKfS5_PKvPS1_S8_PvPKiSB_iiiiilll
	.p2align	8
	.type	_ZN12_GLOBAL__N_139chunk_gated_delta_rule_fwd_h_hip_kernelILi16ELb1ELb1ELb1ELb0ELb0ELb1ELb0ELb1EEEvPK12hip_bfloat16S3_S3_PKfS5_PKvPS1_S8_PvPKiSB_iiiiilll,@function
_ZN12_GLOBAL__N_139chunk_gated_delta_rule_fwd_h_hip_kernelILi16ELb1ELb1ELb1ELb0ELb0ELb1ELb0ELb1EEEvPK12hip_bfloat16S3_S3_PKfS5_PKvPS1_S8_PvPKiSB_iiiiilll: ; @_ZN12_GLOBAL__N_139chunk_gated_delta_rule_fwd_h_hip_kernelILi16ELb1ELb1ELb1ELb0ELb0ELb1ELb0ELb1EEEvPK12hip_bfloat16S3_S3_PKfS5_PKvPS1_S8_PvPKiSB_iiiiilll
; %bb.0:
	s_load_dwordx4 s[24:27], s[0:1], 0x5c
	s_abs_i32 s6, s3
	s_ashr_i32 s5, s3, 31
	v_and_b32_e32 v67, 15, v0
	v_bfe_u32 v66, v0, 4, 2
	s_waitcnt lgkmcnt(0)
	s_abs_i32 s4, s25
	v_cvt_f32_u32_e32 v1, s4
	s_sub_i32 s8, 0, s4
	s_ashr_i32 s7, s25, 31
	s_xor_b32 s5, s5, s7
	v_rcp_iflag_f32_e32 v1, v1
	v_mov_b32_e32 v49, 0
	v_lshlrev_b32_e32 v68, 3, v0
	v_mul_f32_e32 v1, 0x4f7ffffe, v1
	v_cvt_u32_f32_e32 v1, v1
	s_nop 0
	v_readfirstlane_b32 s9, v1
	s_mul_i32 s8, s8, s9
	s_mul_hi_u32 s8, s9, s8
	s_add_i32 s9, s9, s8
	s_mul_hi_u32 s8, s6, s9
	s_mul_i32 s9, s8, s4
	s_sub_i32 s6, s6, s9
	s_add_i32 s10, s8, 1
	s_sub_i32 s9, s6, s4
	s_cmp_ge_u32 s6, s4
	s_cselect_b32 s8, s10, s8
	s_cselect_b32 s6, s9, s6
	s_add_i32 s9, s8, 1
	s_cmp_ge_u32 s6, s4
	s_cselect_b32 s6, s9, s8
	s_xor_b32 s6, s6, s5
	s_sub_i32 s59, s6, s5
	s_mul_i32 s6, s59, s25
	s_sub_i32 s33, s3, s6
	s_abs_i32 s3, s26
	v_cvt_f32_u32_e32 v1, s3
	s_add_i32 s8, s24, 63
	s_ashr_i32 s9, s8, 31
	s_lshr_b32 s5, s9, 26
	v_rcp_iflag_f32_e32 v1, v1
	s_ashr_i32 s58, s24, 31
	s_add_i32 s8, s8, s5
	s_lshr_b32 s5, s58, 26
	v_mul_f32_e32 v1, 0x4f7ffffe, v1
	v_cvt_u32_f32_e32 v1, v1
	s_add_i32 s5, s24, s5
	s_ashr_i32 s61, s26, 31
	s_ashr_i32 s28, s8, 6
	;; [unrolled: 1-line block ×3, first 2 shown]
	s_xor_b32 s5, s7, s61
	s_sub_i32 s7, 0, s3
	v_readfirstlane_b32 s8, v1
	s_mul_i32 s7, s7, s8
	s_mul_hi_u32 s7, s8, s7
	s_add_i32 s8, s8, s7
	s_mul_hi_u32 s7, s4, s8
	s_mul_i32 s8, s7, s3
	s_sub_i32 s4, s4, s8
	s_lshl_b32 s2, s2, 4
	s_add_i32 s8, s7, 1
	s_sub_i32 s9, s4, s3
	s_cmp_ge_u32 s4, s3
	s_cselect_b32 s7, s8, s7
	s_cselect_b32 s4, s9, s4
	s_add_i32 s8, s7, 1
	s_cmp_ge_u32 s4, s3
	s_cselect_b32 s3, s8, s7
	s_xor_b32 s3, s3, s5
	s_sub_i32 s3, s3, s5
	s_abs_i32 s4, s3
	v_cvt_f32_u32_e32 v1, s4
	s_sub_i32 s7, 0, s4
	s_abs_i32 s5, s33
	s_xor_b32 s3, s33, s3
	v_rcp_iflag_f32_e32 v2, v1
	s_ashr_i32 s3, s3, 31
	s_load_dwordx8 s[8:15], s[0:1], 0x20
	v_lshrrev_b32_e32 v1, 6, v0
	v_mul_f32_e32 v2, 0x4f7ffffe, v2
	v_cvt_u32_f32_e32 v2, v2
	v_or_b32_e32 v58, s2, v67
	v_lshlrev_b32_e32 v45, 4, v1
	v_lshlrev_b32_e32 v46, 7, v58
	v_readfirstlane_b32 s16, v2
	s_mul_i32 s7, s7, s16
	s_mul_hi_u32 s7, s16, s7
	s_add_i32 s16, s16, s7
	s_mul_hi_u32 s7, s5, s16
	s_mul_i32 s16, s7, s4
	s_sub_i32 s5, s5, s16
	s_add_i32 s16, s7, 1
	s_sub_i32 s17, s5, s4
	s_cmp_ge_u32 s5, s4
	s_cselect_b32 s7, s16, s7
	s_cselect_b32 s5, s17, s5
	s_add_i32 s16, s7, 1
	s_cmp_ge_u32 s5, s4
	s_cselect_b32 s4, s16, s7
	s_xor_b32 s4, s4, s3
	s_sub_i32 s62, s4, s3
	s_ashr_i32 s3, s59, 31
	s_ashr_i32 s50, s33, 31
	s_mul_hi_i32 s4, s59, s25
	s_add_u32 s42, s6, s33
	s_addc_u32 s43, s4, s50
	s_lshl_b64 s[34:35], s[42:43], 15
	s_waitcnt lgkmcnt(0)
	s_add_u32 s4, s10, s34
	v_lshl_or_b32 v70, v66, 2, v45
	s_addc_u32 s5, s11, s35
	v_ashrrev_i32_e32 v47, 31, v46
	v_lshl_add_u64 v[2:3], v[46:47], 1, s[4:5]
	v_lshlrev_b32_e32 v48, 1, v70
	v_lshl_add_u64 v[2:3], v[2:3], 0, v[48:49]
	global_load_dwordx2 v[4:5], v[2:3], off
	global_load_dwordx2 v[6:7], v[2:3], off offset:128
	s_load_dwordx2 s[10:11], s[0:1], 0x40
	s_load_dwordx8 s[16:23], s[0:1], 0x0
	s_load_dwordx2 s[36:37], s[0:1], 0x80
	s_load_dwordx4 s[4:7], s[0:1], 0x70
	v_and_b32_e32 v49, 63, v0
	v_lshrrev_b32_e32 v69, 3, v49
	v_or_b32_e32 v71, 64, v70
	s_mul_i32 s51, s59, s24
	s_waitcnt lgkmcnt(0)
	s_mul_i32 s52, s59, s5
	s_mul_hi_u32 s53, s59, s4
	s_mul_i32 s40, s59, s4
	s_mul_i32 s63, s59, s28
	;; [unrolled: 1-line block ×3, first 2 shown]
	s_mul_hi_u32 s55, s33, s6
	s_mul_i32 s57, s3, s4
	s_mul_i32 s56, s50, s6
	s_mul_hi_u32 s64, s42, s24
	s_mul_i32 s44, s42, s24
	s_mul_i32 s65, s43, s24
	s_cmp_lt_i32 s24, 64
	s_mul_i32 s38, s33, s6
	s_waitcnt vmcnt(1)
	v_and_b32_e32 v53, 0xffff0000, v4
	v_lshlrev_b32_e32 v52, 16, v4
	v_and_b32_e32 v57, 0xffff0000, v5
	v_lshlrev_b32_e32 v56, 16, v5
	s_waitcnt vmcnt(0)
	v_and_b32_e32 v51, 0xffff0000, v6
	v_lshlrev_b32_e32 v50, 16, v6
	v_and_b32_e32 v55, 0xffff0000, v7
	v_lshlrev_b32_e32 v54, 16, v7
	s_cbranch_scc1 .LBB601_18
; %bb.1:
	s_add_i32 s45, s64, s65
	s_lshl_b64 s[0:1], s[44:45], 8
	v_and_b32_e32 v73, 56, v68
	s_add_u32 s4, s18, s0
	v_lshl_or_b32 v72, v1, 3, v69
	v_lshlrev_b32_e32 v2, 1, v73
	s_addc_u32 s0, s19, s1
	v_lshl_or_b32 v74, v72, 8, v2
	s_and_b32 s5, s0, 0xffff
	s_mov_b32 s7, 0x20000
	s_movk_i32 s6, 0x4000
	s_movk_i32 s0, 0x80
	v_or_b32_e32 v75, 0x2000, v74
	buffer_load_dwordx4 v[4:7], v74, s[4:7], 0 offen
	buffer_load_dwordx4 v[8:11], v74, s[4:7], s0 offen
	;; [unrolled: 1-line block ×4, first 2 shown]
	v_lshlrev_b32_e32 v3, 3, v72
	v_and_or_b32 v21, v0, 7, v3
	v_and_b32_e32 v3, 0x78, v3
	v_lshlrev_b32_e32 v21, 4, v21
	v_xor_b32_e32 v76, v21, v3
	v_mul_lo_u32 v20, v72, s27
	v_or_b32_e32 v77, 0x1000, v76
	v_xor_b32_e32 v3, 8, v76
	s_cmpk_eq_i32 s27, 0x80
	s_mov_b32 s66, s26
	v_xor_b32_e32 v21, 8, v77
	s_cselect_b64 s[0:1], -1, 0
	s_cmpk_lg_i32 s27, 0x80
	s_waitcnt vmcnt(3)
	ds_write_b64 v76, v[4:5] offset:16384
	ds_write_b64 v3, v[6:7] offset:16384
	s_waitcnt vmcnt(2)
	ds_write_b64 v76, v[8:9] offset:24576
	ds_write_b64 v3, v[10:11] offset:24576
	;; [unrolled: 3-line block ×4, first 2 shown]
	v_lshl_add_u32 v3, v20, 1, v73
	s_cbranch_scc0 .LBB601_3
; %bb.2:
	v_lshlrev_b32_e32 v5, 1, v3
	v_add_lshl_u32 v4, v3, s27, 1
	s_lshl_b32 s6, s27, 7
	v_lshl_or_b32 v2, v72, 9, v2
	s_cbranch_execz .LBB601_4
	s_branch .LBB601_5
.LBB601_3:
                                        ; implicit-def: $vgpr4
                                        ; implicit-def: $vgpr5
                                        ; implicit-def: $sgpr6
	v_lshl_or_b32 v2, v72, 9, v2
.LBB601_4:
	v_or_b32_e32 v4, 0x100, v2
	s_movk_i32 s6, 0x4000
	v_mov_b32_e32 v5, v2
.LBB601_5:
	s_mul_hi_u32 s4, s26, s24
	s_mul_i32 s5, s61, s24
	s_add_i32 s4, s4, s5
	s_mul_i32 s5, s26, s24
	s_mul_i32 s7, s5, s3
	s_mul_hi_u32 s28, s5, s59
	s_add_i32 s7, s28, s7
	s_mul_i32 s4, s4, s59
	s_add_i32 s7, s7, s4
	s_mul_i32 s5, s5, s59
	s_ashr_i32 s43, s62, 31
	s_add_u32 s4, s5, s62
	s_addc_u32 s5, s7, s43
	s_lshl_b64 s[4:5], s[4:5], 8
	s_add_u32 s4, s16, s4
	s_addc_u32 s5, s17, s5
	s_and_b32 s5, s5, 0xffff
	s_mov_b32 s7, 0x20000
	s_movk_i32 s67, 0x80
	buffer_load_dwordx4 v[6:9], v5, s[4:7], 0 offen
	buffer_load_dwordx4 v[10:13], v5, s[4:7], s67 offen
	;; [unrolled: 1-line block ×4, first 2 shown]
	v_and_b32_e32 v4, 6, v0
	v_lshlrev_b32_e32 v22, 2, v67
	v_lshlrev_b32_e32 v23, 3, v67
	v_xor_b32_e32 v25, v72, v4
	v_and_b32_e32 v5, 1, v0
	s_mul_i32 s3, s3, s24
	s_mul_hi_u32 s4, s59, s24
	v_lshl_or_b32 v23, v70, 5, v23
	v_xor_b32_e32 v26, v70, v22
	v_lshlrev_b32_e32 v25, 2, v25
	v_or_b32_e32 v78, 0x9000, v23
	v_or_b32_e32 v79, 0x9800, v23
	v_lshlrev_b32_e32 v23, 1, v26
	v_xor_b32_e32 v26, 0x440, v25
	v_cmp_eq_u32_e32 vcc, 0, v5
	s_add_i32 s71, s4, s3
	s_add_i32 s3, s53, s52
	v_cndmask_b32_e32 v5, v26, v25, vcc
	s_add_i32 s4, s55, s54
	s_add_i32 s41, s3, s57
	s_mov_b32 s69, 0x1000504
	v_lshlrev_b32_e32 v24, 8, v67
	s_mov_b32 s6, 0x8000
	v_xor_b32_e32 v22, v71, v22
	v_lshl_or_b32 v4, v4, 10, v5
	s_add_i32 s39, s4, s56
	s_lshl_b64 s[4:5], s[40:41], 2
	s_mov_b32 s70, 0x3020706
	v_lshlrev_b32_e32 v22, 1, v22
	v_or3_b32 v80, v23, v24, s6
	v_xor_b32_e32 v5, 8, v4
	v_xor_b32_e32 v23, 24, v4
	;; [unrolled: 1-line block ×4, first 2 shown]
	s_add_u32 s3, s22, s4
	v_or3_b32 v81, v22, v24, s6
	v_xor_b32_e32 v22, 16, v4
	v_xor_b32_e32 v24, 32, v4
	;; [unrolled: 1-line block ×3, first 2 shown]
	v_add_u32_e32 v5, 0x80, v5
	v_add_u32_e32 v23, 0x80, v23
	v_add_u32_e32 v25, 0x80, v25
	v_add_u32_e32 v27, 0x80, v27
	s_addc_u32 s28, s23, s5
	s_lshl_b64 s[4:5], s[38:39], 2
	s_add_u32 s46, s3, s4
	s_movk_i32 s3, 0xf8
	s_addc_u32 s47, s28, s5
	v_ashrrev_i32_e32 v59, 31, v58
	s_lshl_b32 s30, s27, 7
	s_mov_b32 s68, 0
	s_mov_b32 s39, 0x7060302
	v_mov_b32_e32 v101, 0x3fb8aa3b
	s_mov_b32 s72, 0
	s_waitcnt vmcnt(1)
	v_perm_b32 v28, v6, v14, s69
	s_waitcnt vmcnt(0)
	v_perm_b32 v29, v10, v18, s69
	v_perm_b32 v6, v6, v14, s70
	;; [unrolled: 1-line block ×15, first 2 shown]
	ds_write2st64_b32 v4, v28, v29 offset1:32
	ds_write2st64_b32 v5, v6, v10 offset1:32
	ds_write2st64_b32 v22, v14, v18 offset0:1 offset1:33
	ds_write2st64_b32 v23, v7, v11 offset0:1 offset1:33
	;; [unrolled: 1-line block ×6, first 2 shown]
	v_or_b32_e32 v4, v45, v67
	v_lshlrev_b32_e32 v4, 3, v4
	v_lshrrev_b32_e32 v6, 5, v49
	v_and_or_b32 v6, v4, s3, v6
	v_lshlrev_b32_e32 v6, 4, v6
	v_lshrrev_b32_e32 v5, 2, v49
	v_lshlrev_b32_e32 v13, 11, v1
	v_and_b32_e32 v4, 0x78, v4
	v_or_b32_e32 v9, 32, v6
	v_and_b32_e32 v12, 12, v5
	v_and_b32_e32 v5, 0x1000, v13
	v_lshrrev_b32_e32 v8, 1, v49
	v_xor_b32_e32 v9, v9, v4
	v_and_b32_e32 v8, 8, v8
	v_or_b32_e32 v9, v9, v5
	v_xor_b32_e32 v7, v6, v4
	v_xor_b32_e32 v84, v9, v8
	v_or_b32_e32 v9, 64, v6
	v_or_b32_e32 v6, 0x60, v6
	v_xor_b32_e32 v9, v9, v4
	v_xor_b32_e32 v4, v6, v4
	v_or_b32_e32 v7, v7, v5
	v_or_b32_e32 v9, v9, v5
	;; [unrolled: 1-line block ×3, first 2 shown]
	v_xor_b32_e32 v82, v7, v8
	v_xor_b32_e32 v85, v9, v8
	;; [unrolled: 1-line block ×3, first 2 shown]
	v_lshrrev_b32_e32 v8, 4, v0
	v_lshlrev_b32_e32 v9, 1, v67
	s_ashr_i32 s3, s2, 31
	v_or_b32_e32 v10, 1, v9
	v_xor_b32_e32 v9, v8, v9
	s_lshl_b64 s[4:5], s[2:3], 8
	v_xor_b32_e32 v10, v10, v8
	v_lshlrev_b32_e32 v9, 3, v9
	v_lshlrev_b32_e32 v8, 8, v8
	v_lshlrev_b64 v[4:5], 1, v[58:59]
	s_add_u32 s4, s12, s4
	v_or3_b32 v59, v9, v8, s6
	v_lshlrev_b32_e32 v9, 3, v10
	s_addc_u32 s5, s13, s5
	v_or3_b32 v88, v9, v8, s6
	v_mov_b32_e32 v9, 0
	v_lshrrev_b32_e32 v19, 1, v0
	v_lshl_add_u64 v[10:11], s[4:5], 0, v[8:9]
	v_lshlrev_b32_e32 v8, 4, v67
	s_movk_i32 s3, 0xff
	v_lshlrev_b32_e32 v18, 3, v1
	v_and_b32_e32 v19, 24, v19
	v_lshl_add_u64 v[60:61], v[10:11], 0, v[8:9]
	v_and_b32_e32 v8, 7, v0
	v_and_b32_e32 v11, 8, v0
	v_cmp_lt_u32_e32 vcc, s3, v0
	v_xor_b32_e32 v20, v18, v19
	v_lshlrev_b32_e32 v16, 3, v8
	v_lshlrev_b32_e32 v17, 7, v8
	v_cndmask_b32_e64 v8, 0, 1, vcc
	v_or_b32_e32 v21, 0x440, v20
	v_cmp_eq_u32_e32 vcc, 0, v11
	v_or_b32_e32 v23, 64, v19
	v_xor_b32_e32 v23, v18, v23
	v_cndmask_b32_e32 v11, v21, v20, vcc
	v_or_b32_e32 v21, 32, v19
	v_or_b32_e32 v19, 0x60, v19
	v_xor_b32_e32 v21, v18, v21
	v_xor_b32_e32 v18, v18, v19
	v_or_b32_e32 v22, 0x440, v21
	v_xor_b32_e32 v24, 0x440, v23
	v_xor_b32_e32 v19, 0x440, v18
	v_cndmask_b32_e32 v21, v22, v21, vcc
	v_cndmask_b32_e32 v23, v24, v23, vcc
	;; [unrolled: 1-line block ×3, first 2 shown]
	v_and_b32_e32 v7, 0x78, v68
	v_or_b32_e32 v11, v11, v13
	v_or_b32_e32 v21, v21, v13
	;; [unrolled: 1-line block ×4, first 2 shown]
	v_lshl_or_b32 v7, v66, 7, v7
	v_lshlrev_b32_e32 v8, 13, v8
	v_xor_b32_e32 v11, v11, v16
	v_xor_b32_e32 v21, v21, v16
	;; [unrolled: 1-line block ×4, first 2 shown]
	v_or_b32_e32 v83, 0x9000, v7
	v_or_b32_e32 v87, 0x9800, v7
	v_lshl_add_u64 v[6:7], s[20:21], 0, v[4:5]
	v_lshl_add_u64 v[4:5], s[14:15], 0, v[4:5]
	v_lshlrev_b32_e32 v14, 1, v3
	v_add_lshl_u32 v3, v3, s27, 1
	v_or_b32_e32 v15, 0x100, v2
	v_or_b32_e32 v10, v12, v45
	v_add_u32_e32 v20, v8, v11
	v_add_u32_e32 v22, v8, v21
	;; [unrolled: 1-line block ×4, first 2 shown]
	v_or3_b32 v12, v45, v12, 64
	v_add_u32_e32 v11, 0x2000, v11
	v_add_u32_e32 v18, 0x2000, v21
	;; [unrolled: 1-line block ×4, first 2 shown]
	v_lshlrev_b32_e32 v8, 8, v70
	v_cndmask_b32_e64 v89, v14, v2, s[0:1]
	v_cndmask_b32_e64 v90, v3, v15, s[0:1]
	v_lshl_add_u64 v[62:63], v[6:7], 0, v[8:9]
	v_lshl_add_u64 v[64:65], v[4:5], 0, v[8:9]
	s_add_i32 s3, s51, 63
	s_movk_i32 s6, 0x4000
	v_lshlrev_b32_e32 v91, 2, v10
	v_add_u32_e32 v92, v20, v17
	v_add_u32_e32 v93, v22, v17
	;; [unrolled: 1-line block ×4, first 2 shown]
	v_lshlrev_b32_e32 v96, 2, v12
	v_add_u32_e32 v97, v11, v17
	v_add_u32_e32 v98, v18, v17
	;; [unrolled: 1-line block ×4, first 2 shown]
	s_waitcnt lgkmcnt(0)
	s_barrier
.LBB601_6:                              ; =>This Inner Loop Header: Depth=1
	s_add_i32 s41, s72, 1
	s_cmp_lt_i32 s41, s60
	s_mov_b64 s[28:29], 0
	s_cselect_b64 s[48:49], -1, 0
	s_cmp_ge_i32 s41, s60
	s_mov_b64 s[4:5], 0
	s_cbranch_scc1 .LBB601_8
; %bb.7:                                ;   in Loop: Header=BB601_6 Depth=1
	s_add_i32 s0, s68, 64
	s_add_u32 s0, s44, s0
	s_addc_u32 s1, s45, 0
	s_lshl_b64 s[0:1], s[0:1], 8
	s_add_u32 s4, s18, s0
	s_addc_u32 s5, s19, s1
.LBB601_8:                              ;   in Loop: Header=BB601_6 Depth=1
	v_cndmask_b32_e64 v2, 0, 1, s[48:49]
	v_cmp_ne_u32_e64 s[0:1], 1, v2
	s_andn2_b64 vcc, exec, s[48:49]
	s_cbranch_vccnz .LBB601_10
; %bb.9:                                ;   in Loop: Header=BB601_6 Depth=1
	s_add_i32 s28, s68, 64
	s_add_u32 s28, s51, s28
	s_addc_u32 s29, s71, 0
	s_mul_i32 s31, s28, s61
	s_mul_hi_u32 s48, s28, s66
	s_add_i32 s31, s48, s31
	s_mul_i32 s29, s29, s66
	s_add_i32 s31, s31, s29
	s_mul_i32 s28, s28, s66
	s_add_u32 s28, s28, s62
	s_addc_u32 s29, s31, s43
	s_lshl_b64 s[28:29], s[28:29], 8
	s_add_u32 s28, s16, s28
	s_addc_u32 s29, s17, s29
.LBB601_10:                             ;   in Loop: Header=BB601_6 Depth=1
	v_perm_b32 v3, v57, v56, s39
	v_perm_b32 v2, v53, v52, s39
	;; [unrolled: 1-line block ×4, first 2 shown]
	ds_write_b64 v78, v[2:3]
	ds_write_b64 v79, v[4:5]
	;; [unrolled: 1-line block ×4, first 2 shown]
	s_waitcnt lgkmcnt(0)
	s_barrier
	ds_read_b64 v[10:11], v82 offset:16384
	ds_read_b64 v[12:13], v84 offset:16384
	ds_read2st64_b64 v[2:5], v83 offset1:1
	ds_read2st64_b64 v[6:9], v83 offset0:2 offset1:3
	ds_read_b64 v[14:15], v85 offset:16384
	s_waitcnt lgkmcnt(2)
	v_mfma_f32_16x16x16_bf16 a[0:3], v[10:11], v[2:3], 0
	ds_read_b64 v[2:3], v86 offset:16384
	s_add_i32 s31, s68, 63
	s_mul_i32 s48, s31, s37
	v_mfma_f32_16x16x16_bf16 a[0:3], v[12:13], v[4:5], a[0:3]
	s_mul_hi_u32 s49, s31, s36
	s_add_i32 s49, s49, s48
	s_mul_i32 s48, s31, s36
	s_waitcnt lgkmcnt(1)
	v_mfma_f32_16x16x16_bf16 a[0:3], v[14:15], v[6:7], a[0:3]
	s_lshl_b64 s[48:49], s[48:49], 2
	s_add_u32 s48, s46, s48
	s_addc_u32 s49, s47, s49
	s_waitcnt lgkmcnt(0)
	v_mfma_f32_16x16x16_bf16 a[0:3], v[2:3], v[8:9], a[0:3]
	s_and_b64 vcc, exec, s[0:1]
	v_mov_b32_e32 v104, 0
	v_mov_b32_e32 v103, 0
	;; [unrolled: 1-line block ×19, first 2 shown]
	s_cbranch_vccnz .LBB601_12
; %bb.11:                               ;   in Loop: Header=BB601_6 Depth=1
	s_and_b32 s5, s5, 0xffff
	buffer_load_dwordx4 v[14:17], v74, s[4:7], 0 offen
	buffer_load_dwordx4 v[10:13], v74, s[4:7], s67 offen
	;; [unrolled: 1-line block ×4, first 2 shown]
	v_mov_b32_e32 v103, v76
	v_mov_b32_e32 v102, v77
.LBB601_12:                             ;   in Loop: Header=BB601_6 Depth=1
	v_add_u32_e32 v24, s68, v70
	v_ashrrev_i32_e32 v18, 31, v24
	v_mul_lo_u32 v20, v18, s36
	v_mul_lo_u32 v21, v24, s37
	v_mad_u64_u32 v[18:19], s[4:5], v24, s36, 0
	v_add3_u32 v19, v19, v21, v20
	v_add_u32_e32 v20, 1, v24
	v_ashrrev_i32_e32 v21, 31, v20
	v_mul_lo_u32 v22, v21, s36
	v_mul_lo_u32 v23, v20, s37
	v_mad_u64_u32 v[20:21], s[4:5], v20, s36, 0
	v_add3_u32 v21, v21, v23, v22
	v_add_u32_e32 v22, 2, v24
	v_ashrrev_i32_e32 v23, 31, v22
	v_mul_lo_u32 v25, v23, s36
	v_mul_lo_u32 v26, v22, s37
	v_mad_u64_u32 v[22:23], s[4:5], v22, s36, 0
	s_add_u32 s4, s44, s68
	v_add3_u32 v23, v23, v26, v25
	v_add_u32_e32 v26, 3, v24
	s_addc_u32 s5, s45, 0
	v_ashrrev_i32_e32 v24, 31, v26
	s_lshl_b64 s[74:75], s[4:5], 8
	v_lshl_add_u64 v[18:19], v[18:19], 2, s[46:47]
	v_mul_lo_u32 v27, v24, s36
	v_lshl_add_u64 v[24:25], v[62:63], 0, s[74:75]
	v_mul_lo_u32 v28, v26, s37
	global_load_ushort v34, v[24:25], off
	global_load_ushort v35, v[24:25], off offset:256
	global_load_ushort v36, v[24:25], off offset:512
	;; [unrolled: 1-line block ×3, first 2 shown]
	global_load_dword v38, v[18:19], off
	v_mad_u64_u32 v[18:19], s[4:5], v26, s36, 0
	v_lshl_add_u64 v[20:21], v[20:21], 2, s[46:47]
	v_add3_u32 v19, v19, v28, v27
	v_lshl_add_u64 v[22:23], v[22:23], 2, s[46:47]
	v_lshl_add_u64 v[18:19], v[18:19], 2, s[46:47]
	global_load_dword v39, v[20:21], off
	global_load_dword v40, v[22:23], off
	;; [unrolled: 1-line block ×3, first 2 shown]
	ds_read_b64 v[18:19], v82 offset:24576
	s_load_dword s4, s[48:49], 0x0
	ds_read_b64 v[28:29], v84 offset:24576
	ds_read2st64_b64 v[20:23], v87 offset1:1
	ds_read2st64_b64 v[24:27], v87 offset0:2 offset1:3
	ds_read_b64 v[30:31], v85 offset:24576
	ds_read_b64 v[32:33], v86 offset:24576
	s_waitcnt lgkmcnt(0)
	v_mfma_f32_16x16x16_bf16 a[0:3], v[18:19], v[20:21], a[0:3]
	v_mov_b32_e32 v105, 0
	v_mov_b32_e32 v18, 0
	;; [unrolled: 1-line block ×3, first 2 shown]
	v_mfma_f32_16x16x16_bf16 a[0:3], v[28:29], v[22:23], a[0:3]
	v_lshl_add_u64 v[28:29], v[64:65], 0, s[74:75]
	v_mov_b32_e32 v20, 0
	v_mov_b32_e32 v21, 0
	v_mfma_f32_16x16x16_bf16 a[0:3], v[30:31], v[24:25], a[0:3]
	v_mov_b32_e32 v22, 0
	v_mov_b32_e32 v23, 0
	;; [unrolled: 1-line block ×3, first 2 shown]
	v_mfma_f32_16x16x16_bf16 a[0:3], v[32:33], v[26:27], a[0:3]
	s_and_b64 vcc, exec, s[0:1]
	s_waitcnt vmcnt(7)
	v_lshlrev_b32_e32 v32, 16, v34
	s_nop 3
	v_accvgpr_read_b32 v31, a1
	v_accvgpr_read_b32 v27, a3
	;; [unrolled: 1-line block ×4, first 2 shown]
	s_waitcnt vmcnt(6)
	v_lshlrev_b32_e32 v33, 16, v35
	s_waitcnt vmcnt(4)
	v_lshlrev_b32_e32 v35, 16, v37
	v_lshlrev_b32_e32 v34, 16, v36
	s_waitcnt vmcnt(3)
	v_sub_f32_e32 v25, s4, v38
	v_pk_add_f32 v[30:31], v[32:33], v[30:31] neg_lo:[0,1] neg_hi:[0,1]
	v_pk_add_f32 v[26:27], v[34:35], v[26:27] neg_lo:[0,1] neg_hi:[0,1]
	v_mul_f32_e32 v25, 0x3fb8aa3b, v25
	s_waitcnt vmcnt(2)
	v_sub_f32_e32 v33, s4, v39
	s_waitcnt vmcnt(1)
	v_sub_f32_e32 v34, s4, v40
	;; [unrolled: 2-line block ×3, first 2 shown]
	v_exp_f32_e32 v32, v25
	v_mul_f32_e32 v25, 0x3fb8aa3b, v33
	v_mul_f32_e32 v34, 0x3fb8aa3b, v34
	v_mul_f32_e32 v35, 0x3fb8aa3b, v35
	v_exp_f32_e32 v33, v25
	v_exp_f32_e32 v34, v34
	;; [unrolled: 1-line block ×3, first 2 shown]
	global_store_short_d16_hi v[28:29], v30, off
	global_store_short_d16_hi v[28:29], v31, off offset:256
	global_store_short_d16_hi v[28:29], v26, off offset:512
	global_store_short_d16_hi v[28:29], v27, off offset:768
	v_pk_mul_f32 v[28:29], v[32:33], v[30:31]
	v_pk_mul_f32 v[26:27], v[34:35], v[26:27]
	v_mov_b32_e32 v25, 0
	v_perm_b32 v27, v27, v26, s39
	v_perm_b32 v26, v29, v28, s39
	ds_write_b64 v79, v[26:27]
	v_mov_b32_e32 v26, 0
	v_mov_b32_e32 v27, 0
	;; [unrolled: 1-line block ×8, first 2 shown]
	s_cbranch_vccnz .LBB601_14
; %bb.13:                               ;   in Loop: Header=BB601_6 Depth=1
	s_and_b32 s29, s29, 0xffff
	s_mov_b32 s31, s7
	buffer_load_dwordx4 v[30:33], v89, s[28:31], 0 offen
	buffer_load_dwordx4 v[22:25], v89, s[28:31], s67 offen
	;; [unrolled: 1-line block ×4, first 2 shown]
	v_mov_b32_e32 v104, v73
	v_mov_b32_e32 v105, v72
.LBB601_14:                             ;   in Loop: Header=BB601_6 Depth=1
	s_waitcnt lgkmcnt(0)
	s_barrier
	ds_read_b64 v[34:35], v92
	ds_read_b64 v[40:41], v93
	ds_read2st64_b64 v[36:39], v87 offset1:1
	ds_read2st64_b64 v[106:109], v87 offset0:2 offset1:3
	ds_read_b64 v[42:43], v94
	ds_read_b64 v[114:115], v95
	s_add_i32 s5, s63, s72
	s_mul_hi_i32 s29, s5, s25
	s_mul_i32 s5, s5, s25
	s_waitcnt lgkmcnt(3)
	v_mfma_f32_16x16x16_bf16 a[0:3], v[34:35], v[36:37], 0
	ds_read_b64 v[34:35], v97
	s_add_u32 s28, s5, s33
	s_addc_u32 s29, s29, s50
	s_add_i32 s5, s3, s68
	v_mfma_f32_16x16x16_bf16 a[0:3], v[40:41], v[38:39], a[0:3]
	ds_read_b64 v[40:41], v98
	s_lshl_b64 s[28:29], s[28:29], 15
	s_mul_hi_i32 s31, s5, s25
	s_mul_i32 s5, s5, s25
	s_add_u32 s48, s5, s33
	s_addc_u32 s49, s31, s50
	s_lshl_b64 s[48:49], s[48:49], 9
	s_add_u32 s48, s8, s48
	s_waitcnt lgkmcnt(1)
	v_mfma_f32_16x16x16_bf16 a[4:7], v[34:35], v[36:37], 0
	s_addc_u32 s49, s9, s49
	s_and_b64 vcc, exec, s[0:1]
	v_mfma_f32_16x16x16_bf16 a[0:3], v[42:43], v[106:107], a[0:3]
	ds_read_b64 v[42:43], v99
	ds_read_b64 v[116:117], v100
	global_load_dwordx4 v[34:37], v96, s[48:49]
	s_waitcnt lgkmcnt(2)
	v_mfma_f32_16x16x16_bf16 a[4:7], v[40:41], v[38:39], a[4:7]
	global_load_dwordx4 v[38:41], v91, s[48:49]
	ds_read_b64 v[110:111], v59
	ds_read_b64 v[112:113], v88
	s_waitcnt lgkmcnt(3)
	v_mfma_f32_16x16x16_bf16 a[8:11], v[42:43], v[106:107], a[4:7]
	v_lshl_add_u64 v[42:43], v[60:61], 0, s[28:29]
	s_waitcnt lgkmcnt(0)
	global_store_dwordx4 v[42:43], v[110:113], off
	v_mfma_f32_16x16x16_bf16 a[4:7], v[114:115], v[108:109], a[0:3]
	s_waitcnt vmcnt(2)
	v_mov_b32_e32 v44, v37
	v_mfma_f32_16x16x16_bf16 a[0:3], v[116:117], v[108:109], a[8:11]
	v_mov_b32_e32 v43, v36
	v_mov_b32_e32 v42, v35
	s_cbranch_vccnz .LBB601_16
; %bb.15:                               ;   in Loop: Header=BB601_6 Depth=1
	v_lshrrev_b32_e32 v35, 3, v104
	v_and_b32_e32 v35, 6, v35
	v_xor_b32_e32 v36, v35, v105
	v_lshlrev_b32_e32 v36, 2, v36
	v_and_b32_e32 v37, 8, v104
	v_xor_b32_e32 v104, 0x440, v36
	v_cmp_eq_u32_e32 vcc, 0, v37
	v_perm_b32 v37, v22, v18, s69
	s_nop 0
	v_cndmask_b32_e32 v36, v104, v36, vcc
	v_lshl_or_b32 v35, v35, 10, v36
	v_perm_b32 v36, v30, v26, s69
	s_barrier
	ds_write2st64_b32 v35, v36, v37 offset1:32
	v_xor_b32_e32 v36, 8, v35
	v_perm_b32 v26, v30, v26, s70
	v_perm_b32 v18, v22, v18, s70
	v_add_u32_e32 v22, 0x80, v36
	ds_write2st64_b32 v22, v26, v18 offset1:32
	v_xor_b32_e32 v18, 16, v35
	v_perm_b32 v22, v31, v27, s69
	v_perm_b32 v26, v23, v19, s69
	ds_write2st64_b32 v18, v22, v26 offset0:1 offset1:33
	v_xor_b32_e32 v18, 24, v35
	v_perm_b32 v22, v31, v27, s70
	v_perm_b32 v19, v23, v19, s70
	v_add_u32_e32 v18, 0x80, v18
	ds_write2st64_b32 v18, v22, v19 offset0:1 offset1:33
	v_xor_b32_e32 v18, 32, v35
	v_perm_b32 v19, v32, v28, s69
	v_perm_b32 v22, v24, v20, s69
	ds_write2st64_b32 v18, v19, v22 offset0:2 offset1:34
	v_xor_b32_e32 v18, 40, v35
	v_perm_b32 v19, v32, v28, s70
	v_perm_b32 v20, v24, v20, s70
	v_add_u32_e32 v18, 0x80, v18
	ds_write2st64_b32 v18, v19, v20 offset0:2 offset1:34
	;; [unrolled: 9-line block ×3, first 2 shown]
	ds_write_b64 v103, v[14:15] offset:16384
	v_xor_b32_e32 v14, 8, v103
	ds_write_b64 v14, v[16:17] offset:16384
	ds_write_b64 v103, v[10:11] offset:24576
	;; [unrolled: 1-line block ×4, first 2 shown]
	v_xor_b32_e32 v6, 8, v102
	ds_write_b64 v6, v[8:9] offset:16384
	ds_write_b64 v102, v[2:3] offset:24576
	;; [unrolled: 1-line block ×3, first 2 shown]
.LBB601_16:                             ;   in Loop: Header=BB601_6 Depth=1
	v_mul_f32_e32 v6, s4, v101
	v_exp_f32_e32 v10, v6
	s_waitcnt vmcnt(1)
	v_mul_f32_e32 v6, 0x3fb8aa3b, v38
	v_exp_f32_e32 v12, v6
	v_mul_f32_e32 v6, 0x3fb8aa3b, v39
	v_exp_f32_e32 v13, v6
	;; [unrolled: 2-line block ×4, first 2 shown]
	v_accvgpr_read_b32 v2, a4
	v_accvgpr_read_b32 v3, a5
	v_pk_mul_f32 v[12:13], v[10:11], v[12:13] op_sel_hi:[0,1]
	v_pk_fma_f32 v[52:53], v[52:53], v[12:13], v[2:3]
	v_pk_mul_f32 v[2:3], v[10:11], v[14:15] op_sel_hi:[0,1]
	v_mul_f32_e32 v11, 0x3fb8aa3b, v34
	v_exp_f32_e32 v12, v11
	v_mul_f32_e32 v11, 0x3fb8aa3b, v42
	v_exp_f32_e32 v13, v11
	;; [unrolled: 2-line block ×4, first 2 shown]
	v_accvgpr_read_b32 v4, a6
	v_accvgpr_read_b32 v5, a7
	;; [unrolled: 1-line block ×5, first 2 shown]
	v_pk_fma_f32 v[56:57], v[56:57], v[2:3], v[4:5]
	v_pk_mul_f32 v[2:3], v[10:11], v[12:13] op_sel_hi:[0,1]
	v_accvgpr_read_b32 v8, a2
	v_pk_fma_f32 v[50:51], v[50:51], v[2:3], v[6:7]
	v_pk_mul_f32 v[2:3], v[10:11], v[14:15] op_sel_hi:[0,1]
	s_add_i32 s68, s68, 64
	s_cmp_eq_u32 s60, s41
	v_pk_fma_f32 v[54:55], v[54:55], v[2:3], v[8:9]
	s_cbranch_scc1 .LBB601_18
; %bb.17:                               ;   in Loop: Header=BB601_6 Depth=1
	s_mov_b32 s72, s41
	s_branch .LBB601_6
.LBB601_18:
	s_lshl_b32 s43, s60, 6
	s_sub_i32 s45, s24, s43
	s_cmp_gt_i32 s45, 0
	s_cbranch_scc0 .LBB601_75
; %bb.19:
	s_ashr_i32 s3, s43, 31
	s_cmpk_lg_i32 s27, 0x80
	s_cselect_b64 s[30:31], -1, 0
	s_and_b64 vcc, exec, s[30:31]
	s_cbranch_vccz .LBB601_21
; %bb.20:
	s_mul_hi_i32 s0, s59, s24
	s_add_u32 s1, s51, s43
	s_addc_u32 s0, s0, s3
	s_mul_i32 s4, s1, s61
	s_mul_hi_u32 s5, s1, s26
	s_add_i32 s4, s5, s4
	s_mul_i32 s0, s0, s26
	s_add_i32 s4, s4, s0
	s_mul_i32 s1, s1, s26
	s_ashr_i32 s0, s62, 31
	s_add_u32 s46, s1, s62
	s_addc_u32 s47, s4, s0
	s_cbranch_execz .LBB601_22
	s_branch .LBB601_23
.LBB601_21:
                                        ; implicit-def: $sgpr46_sgpr47
.LBB601_22:
	s_mul_hi_i32 s0, s59, s26
	s_mul_i32 s59, s59, s26
	s_ashr_i32 s1, s62, 31
	s_add_u32 s4, s59, s62
	s_addc_u32 s0, s0, s1
	s_mul_i32 s1, s4, s58
	s_mul_hi_u32 s5, s4, s24
	s_add_i32 s1, s5, s1
	s_mul_i32 s0, s0, s24
	s_add_i32 s1, s1, s0
	s_mul_i32 s4, s4, s24
	s_add_u32 s46, s4, s43
	s_addc_u32 s47, s1, s3
.LBB601_23:
	s_mul_i32 s0, s42, s58
	s_add_i32 s0, s64, s0
	s_add_i32 s4, s63, s60
	;; [unrolled: 1-line block ×3, first 2 shown]
	s_add_u32 s0, s44, s43
	s_addc_u32 s1, s1, s3
	s_mov_b32 s3, 0x7060302
	v_lshlrev_b32_e32 v6, 3, v67
	s_lshl_b64 s[28:29], s[0:1], 8
	v_perm_b32 v3, v57, v56, s3
	v_perm_b32 v2, v53, v52, s3
	;; [unrolled: 1-line block ×4, first 2 shown]
	v_lshlrev_b32_e32 v34, 2, v67
	v_lshl_or_b32 v6, v70, 5, v6
	s_add_u32 s0, s18, s28
	ds_write2st64_b64 v6, v[2:3], v[4:5] offset0:72 offset1:76
	v_xor_b32_e32 v6, v70, v34
	v_lshlrev_b32_e32 v7, 8, v67
	s_addc_u32 s1, s19, s29
	v_lshl_or_b32 v6, v6, 1, v7
	s_mul_hi_i32 s3, s4, s25
	s_mul_i32 s4, s4, s25
	ds_write_b64 v6, v[2:3] offset:32768
	v_xor_b32_e32 v2, v71, v34
	s_add_u32 s4, s4, s33
	v_lshl_or_b32 v2, v2, 1, v7
	s_addc_u32 s5, s3, s50
	v_lshlrev_b32_e32 v3, 1, v67
	ds_write_b64 v2, v[4:5] offset:32768
	v_lshrrev_b32_e32 v2, 4, v0
	s_ashr_i32 s3, s2, 31
	s_lshl_b64 s[4:5], s[4:5], 15
	v_or_b32_e32 v4, 1, v3
	s_add_u32 s4, s12, s4
	v_xor_b32_e32 v3, v2, v3
	v_xor_b32_e32 v4, v4, v2
	v_lshlrev_b32_e32 v6, 8, v2
	s_addc_u32 s5, s13, s5
	s_lshl_b64 s[2:3], s[2:3], 8
	v_lshl_or_b32 v2, v3, 3, v6
	v_lshl_or_b32 v4, v4, 3, v6
	s_waitcnt lgkmcnt(0)
	s_barrier
	s_add_u32 s2, s4, s2
	ds_read_b64 v[2:3], v2 offset:32768
	ds_read_b64 v[4:5], v4 offset:32768
	s_addc_u32 s3, s5, s3
	v_mov_b32_e32 v7, 0
	s_cmp_lg_u32 s45, 64
	v_lshl_add_u64 v[8:9], s[2:3], 0, v[6:7]
	v_lshlrev_b32_e32 v6, 4, v67
	s_cselect_b64 s[18:19], -1, 0
	v_lshl_or_b32 v36, v1, 3, v69
	s_mov_b32 s4, 0
	v_lshl_add_u64 v[6:7], v[8:9], 0, v[6:7]
	v_or_b32_e32 v19, 32, v36
	v_and_b32_e32 v18, 56, v68
	s_and_b64 vcc, exec, s[18:19]
	s_waitcnt lgkmcnt(0)
	global_store_dwordx4 v[6:7], v[2:5], off
	s_cbranch_vccz .LBB601_29
; %bb.24:
	s_mov_b32 s6, s4
	s_mov_b32 s7, s4
	;; [unrolled: 1-line block ×3, first 2 shown]
	v_mov_b64_e32 v[8:9], s[6:7]
	v_mov_b64_e32 v[6:7], s[4:5]
	;; [unrolled: 1-line block ×3, first 2 shown]
	v_cmp_gt_i32_e32 vcc, s45, v36
	v_mov_b64_e32 v[4:5], v[8:9]
	s_and_saveexec_b64 s[2:3], vcc
	s_cbranch_execz .LBB601_26
; %bb.25:
	v_lshlrev_b32_e32 v2, 8, v36
	v_mov_b32_e32 v3, 0
	v_lshl_add_u64 v[4:5], s[0:1], 0, v[2:3]
	v_lshlrev_b32_e32 v2, 1, v18
	v_lshl_add_u64 v[10:11], v[4:5], 0, v[2:3]
	global_load_dwordx4 v[6:9], v[10:11], off
	global_load_dwordx4 v[2:5], v[10:11], off offset:128
.LBB601_26:
	s_or_b64 exec, exec, s[2:3]
	s_mov_b32 s6, s4
	s_mov_b32 s7, s4
	;; [unrolled: 1-line block ×3, first 2 shown]
	v_mov_b64_e32 v[16:17], s[6:7]
	v_mov_b64_e32 v[14:15], s[4:5]
	;; [unrolled: 1-line block ×3, first 2 shown]
	v_cmp_gt_i32_e32 vcc, s45, v19
	v_lshlrev_b32_e32 v20, 7, v19
	v_mov_b64_e32 v[12:13], v[16:17]
	s_and_saveexec_b64 s[2:3], vcc
	s_cbranch_execz .LBB601_28
; %bb.27:
	v_lshlrev_b32_e32 v10, 1, v20
	v_mov_b32_e32 v11, 0
	v_lshl_add_u64 v[12:13], s[0:1], 0, v[10:11]
	v_lshlrev_b32_e32 v10, 1, v18
	v_lshl_add_u64 v[22:23], v[12:13], 0, v[10:11]
	global_load_dwordx4 v[14:17], v[22:23], off
	global_load_dwordx4 v[10:13], v[22:23], off offset:128
.LBB601_28:
	s_or_b64 exec, exec, s[2:3]
	v_lshrrev_b32_e32 v21, 3, v18
	v_lshlrev_b32_e32 v22, 3, v36
	v_or_b32_e32 v21, v22, v21
	v_lshlrev_b32_e32 v21, 4, v21
	v_and_b32_e32 v22, 0x78, v22
	v_xor_b32_e32 v21, v21, v22
	s_branch .LBB601_31
.LBB601_29:
                                        ; implicit-def: $vgpr21
                                        ; implicit-def: $vgpr20
                                        ; implicit-def: $vgpr6_vgpr7_vgpr8_vgpr9
                                        ; implicit-def: $vgpr2_vgpr3_vgpr4_vgpr5
                                        ; implicit-def: $vgpr14_vgpr15_vgpr16_vgpr17
                                        ; implicit-def: $vgpr10_vgpr11_vgpr12_vgpr13
	s_cbranch_execz .LBB601_31
; %bb.30:
	s_waitcnt vmcnt(0)
	v_lshlrev_b32_e32 v2, 1, v18
	v_lshl_or_b32 v20, v36, 8, v2
	s_and_b32 s1, s1, 0xffff
	s_mov_b32 s3, 0x20000
	s_movk_i32 s2, 0x4000
	v_lshl_or_b32 v21, v19, 8, v2
	s_movk_i32 s4, 0x80
	buffer_load_dwordx4 v[6:9], v20, s[0:3], 0 offen
	buffer_load_dwordx4 v[2:5], v20, s[0:3], s4 offen
	buffer_load_dwordx4 v[14:17], v21, s[0:3], 0 offen
	buffer_load_dwordx4 v[10:13], v21, s[0:3], s4 offen
	v_lshrrev_b32_e32 v20, 3, v18
	v_lshlrev_b32_e32 v21, 3, v36
	v_or_b32_e32 v20, v21, v20
	v_lshlrev_b32_e32 v20, 4, v20
	v_and_b32_e32 v21, 0x78, v21
	v_xor_b32_e32 v21, v20, v21
	v_lshlrev_b32_e32 v20, 7, v19
.LBB601_31:
	s_lshl_b64 s[0:1], s[46:47], 8
	s_add_u32 s4, s16, s0
	s_movk_i32 s0, 0x1000
	v_and_or_b32 v19, v20, s0, v21
	s_waitcnt vmcnt(1)
	ds_write_b64 v21, v[6:7] offset:16384
	v_xor_b32_e32 v6, 8, v21
	ds_write_b64 v6, v[8:9] offset:16384
	s_waitcnt vmcnt(0)
	ds_write_b64 v21, v[2:3] offset:24576
	ds_write_b64 v6, v[4:5] offset:24576
	;; [unrolled: 1-line block ×3, first 2 shown]
	v_xor_b32_e32 v2, 8, v19
	ds_write_b64 v2, v[16:17] offset:16384
	ds_write_b64 v19, v[10:11] offset:24576
	;; [unrolled: 1-line block ×3, first 2 shown]
	v_or_b32_e32 v2, v45, v67
	v_lshlrev_b32_e32 v2, 3, v2
	v_lshrrev_b32_e32 v4, 5, v49
	s_movk_i32 s6, 0xf8
	v_and_or_b32 v4, v2, s6, v4
	v_lshlrev_b32_e32 v35, 11, v1
	v_lshlrev_b32_e32 v12, 4, v4
	v_and_b32_e32 v13, 0x78, v2
	v_and_b32_e32 v14, 0x1000, v35
	v_lshlrev_b32_e32 v3, 2, v0
	v_xor_b32_e32 v2, v12, v13
	v_lshrrev_b32_e32 v4, 1, v49
	v_and_b32_e32 v3, 60, v3
	v_or_b32_e32 v2, v2, v14
	v_and_b32_e32 v15, 8, v4
	v_xor_b32_e32 v26, v2, v15
	v_lshl_or_b32 v2, v66, 6, v3
	v_lshlrev_b32_e32 v37, 1, v2
	v_or_b32_e32 v2, 32, v12
	v_xor_b32_e32 v2, v2, v13
	s_waitcnt lgkmcnt(0)
	s_barrier
	ds_read_b64 v[10:11], v26 offset:16384
	v_or_b32_e32 v2, v2, v14
	v_xor_b32_e32 v27, v2, v15
	v_or_b32_e32 v2, 64, v12
	v_xor_b32_e32 v2, v2, v13
	v_or_b32_e32 v2, v2, v14
	v_or_b32_e32 v12, 0x60, v12
	v_xor_b32_e32 v28, v2, v15
	ds_read2st64_b64 v[2:5], v37 offset0:72 offset1:73
	ds_read2st64_b64 v[6:9], v37 offset0:74 offset1:75
	v_xor_b32_e32 v16, v12, v13
	ds_read_b64 v[12:13], v27 offset:16384
	s_addc_u32 s5, s17, s1
	s_add_i32 s0, s53, s52
	s_waitcnt lgkmcnt(2)
	v_mfma_f32_16x16x16_bf16 a[0:3], v[10:11], v[2:3], 0
	s_add_i32 s17, s24, -1
	s_add_i32 s41, s0, s57
	s_add_i32 s0, s55, s54
	;; [unrolled: 1-line block ×3, first 2 shown]
	s_ashr_i32 s0, s17, 31
	s_mul_i32 s1, s17, s37
	s_mul_hi_u32 s2, s17, s36
	s_add_i32 s1, s2, s1
	s_mul_i32 s0, s0, s36
	v_or_b32_e32 v14, v16, v14
	s_add_i32 s1, s1, s0
	s_lshl_b64 s[2:3], s[40:41], 2
	v_xor_b32_e32 v38, v14, v15
	ds_read_b64 v[14:15], v28 offset:16384
	ds_read_b64 v[16:17], v38 offset:16384
	s_waitcnt lgkmcnt(2)
	v_mfma_f32_16x16x16_bf16 a[0:3], v[12:13], v[4:5], a[0:3]
	s_add_u32 s6, s22, s2
	s_addc_u32 s7, s23, s3
	s_lshl_b64 s[2:3], s[38:39], 2
	s_mul_i32 s0, s17, s36
	s_add_u32 s12, s6, s2
	s_addc_u32 s13, s7, s3
	s_lshl_b64 s[0:1], s[0:1], 2
	s_waitcnt lgkmcnt(1)
	v_mfma_f32_16x16x16_bf16 a[0:3], v[14:15], v[6:7], a[0:3]
	s_add_u32 s0, s12, s0
	s_addc_u32 s1, s13, s1
	s_load_dword s16, s[0:1], 0x0
	s_waitcnt lgkmcnt(0)
	v_mfma_f32_16x16x16_bf16 a[0:3], v[16:17], v[8:9], a[0:3]
	s_and_b64 vcc, exec, s[30:31]
	s_cbranch_vccz .LBB601_42
; %bb.32:
	v_lshlrev_b32_e32 v19, 1, v36
	s_and_b64 vcc, exec, s[18:19]
	s_cbranch_vccz .LBB601_43
; %bb.33:
	v_cmp_gt_i32_e32 vcc, s45, v19
	v_mov_b32_e32 v6, 0
	v_mov_b32_e32 v2, 0
	;; [unrolled: 1-line block ×5, first 2 shown]
	s_and_saveexec_b64 s[0:1], vcc
	s_cbranch_execz .LBB601_35
; %bb.34:
	v_mad_i64_i32 v[2:3], s[2:3], s27, v19, 0
	v_lshl_add_u64 v[2:3], v[2:3], 1, s[4:5]
	v_lshlrev_b32_e32 v4, 1, v18
	v_mov_b32_e32 v5, 0
	v_lshl_add_u64 v[2:3], v[2:3], 0, v[4:5]
	global_load_dwordx4 v[2:5], v[2:3], off
.LBB601_35:
	s_or_b64 exec, exec, s[0:1]
	v_or_b32_e32 v20, 1, v19
	v_cmp_gt_i32_e64 s[0:1], s45, v20
	v_mov_b32_e32 v7, 0
	v_mov_b32_e32 v8, 0
	;; [unrolled: 1-line block ×3, first 2 shown]
	s_and_saveexec_b64 s[2:3], s[0:1]
	s_cbranch_execz .LBB601_37
; %bb.36:
	v_mad_i64_i32 v[6:7], s[6:7], s27, v20, 0
	v_lshl_add_u64 v[6:7], v[6:7], 1, s[4:5]
	v_lshlrev_b32_e32 v8, 1, v18
	v_mov_b32_e32 v9, 0
	v_lshl_add_u64 v[6:7], v[6:7], 0, v[8:9]
	global_load_dwordx4 v[6:9], v[6:7], off
.LBB601_37:
	s_or_b64 exec, exec, s[2:3]
	v_mov_b32_e32 v17, 0
	v_mov_b32_e32 v10, 0
	v_mov_b32_e32 v11, 0
	v_mov_b32_e32 v12, 0
	v_mov_b32_e32 v13, 0
	s_and_saveexec_b64 s[2:3], vcc
	s_cbranch_execz .LBB601_39
; %bb.38:
	v_mad_i64_i32 v[10:11], s[6:7], s27, v19, 0
	v_lshl_add_u64 v[10:11], v[10:11], 1, s[4:5]
	v_lshlrev_b32_e32 v12, 1, v18
	v_mov_b32_e32 v13, 0
	v_lshl_add_u64 v[10:11], v[10:11], 0, v[12:13]
	global_load_dwordx4 v[10:13], v[10:11], off offset:128
.LBB601_39:
	s_or_b64 exec, exec, s[2:3]
	v_mov_b32_e32 v16, 0
	v_mov_b32_e32 v15, 0
	;; [unrolled: 1-line block ×3, first 2 shown]
	s_and_saveexec_b64 s[2:3], s[0:1]
	s_cbranch_execz .LBB601_41
; %bb.40:
	v_mad_i64_i32 v[14:15], s[0:1], s27, v20, 0
	v_lshl_add_u64 v[14:15], v[14:15], 1, s[4:5]
	v_lshlrev_b32_e32 v16, 1, v18
	v_mov_b32_e32 v17, 0
	v_lshl_add_u64 v[14:15], v[14:15], 0, v[16:17]
	global_load_dwordx4 v[14:17], v[14:15], off offset:128
.LBB601_41:
	s_or_b64 exec, exec, s[2:3]
	s_branch .LBB601_45
.LBB601_42:
                                        ; implicit-def: $vgpr5
                                        ; implicit-def: $vgpr9
                                        ; implicit-def: $vgpr13
                                        ; implicit-def: $vgpr17
	v_lshrrev_b32_e32 v19, 2, v49
	s_branch .LBB601_46
.LBB601_43:
                                        ; implicit-def: $vgpr5
                                        ; implicit-def: $vgpr9
                                        ; implicit-def: $vgpr13
                                        ; implicit-def: $vgpr17
	s_cbranch_execz .LBB601_45
; %bb.44:
	s_waitcnt vmcnt(0)
	v_mad_u64_u32 v[2:3], s[0:1], v19, s27, v[18:19]
	v_lshlrev_b32_e32 v19, 1, v2
	s_lshl_b32 s2, s27, 7
	s_and_b32 s1, s5, 0xffff
	s_mov_b32 s3, 0x20000
	s_mov_b32 s0, s4
	v_add_lshl_u32 v20, v2, s27, 1
	s_movk_i32 s6, 0x80
	buffer_load_dwordx4 v[2:5], v19, s[0:3], 0 offen
	buffer_load_dwordx4 v[10:13], v19, s[0:3], s6 offen
	;; [unrolled: 1-line block ×4, first 2 shown]
.LBB601_45:
	v_lshrrev_b32_e32 v19, 2, v49
	s_cbranch_execnz .LBB601_58
.LBB601_46:
	s_and_b64 vcc, exec, s[18:19]
	s_cbranch_vccz .LBB601_56
; %bb.47:
	s_waitcnt vmcnt(0)
	v_lshlrev_b32_e32 v7, 1, v36
	v_cmp_gt_i32_e32 vcc, s45, v7
	v_mov_b32_e32 v6, 0
	v_lshlrev_b32_e32 v14, 9, v36
	v_mov_b32_e32 v2, 0
	v_mov_b32_e32 v3, 0
	;; [unrolled: 1-line block ×4, first 2 shown]
	s_and_saveexec_b64 s[0:1], vcc
	s_cbranch_execz .LBB601_49
; %bb.48:
	v_mov_b32_e32 v15, 0
	v_lshl_add_u64 v[2:3], s[4:5], 0, v[14:15]
	v_lshlrev_b32_e32 v4, 1, v18
	v_mov_b32_e32 v5, v15
	v_lshl_add_u64 v[2:3], v[2:3], 0, v[4:5]
	global_load_dwordx4 v[2:5], v[2:3], off
.LBB601_49:
	s_or_b64 exec, exec, s[0:1]
	v_or_b32_e32 v7, 1, v7
	v_cmp_gt_i32_e64 s[0:1], s45, v7
	v_lshlrev_b32_e32 v20, 8, v7
	v_mov_b32_e32 v7, 0
	v_mov_b32_e32 v8, 0
	;; [unrolled: 1-line block ×3, first 2 shown]
	s_and_saveexec_b64 s[2:3], s[0:1]
	s_cbranch_execz .LBB601_51
; %bb.50:
	v_mov_b32_e32 v21, 0
	v_lshl_add_u64 v[6:7], s[4:5], 0, v[20:21]
	v_lshlrev_b32_e32 v8, 1, v18
	v_mov_b32_e32 v9, v21
	v_lshl_add_u64 v[6:7], v[6:7], 0, v[8:9]
	global_load_dwordx4 v[6:9], v[6:7], off
.LBB601_51:
	s_or_b64 exec, exec, s[2:3]
	v_mov_b32_e32 v17, 0
	v_mov_b32_e32 v10, 0
	;; [unrolled: 1-line block ×5, first 2 shown]
	s_and_saveexec_b64 s[2:3], vcc
	s_cbranch_execz .LBB601_53
; %bb.52:
	v_mov_b32_e32 v15, 0
	v_lshl_add_u64 v[10:11], s[4:5], 0, v[14:15]
	v_lshlrev_b32_e32 v14, 1, v18
	v_lshl_add_u64 v[10:11], v[10:11], 0, v[14:15]
	global_load_dwordx4 v[10:13], v[10:11], off offset:128
.LBB601_53:
	s_or_b64 exec, exec, s[2:3]
	v_mov_b32_e32 v16, 0
	v_mov_b32_e32 v15, 0
	v_mov_b32_e32 v14, 0
	s_and_saveexec_b64 s[2:3], s[0:1]
	s_cbranch_execz .LBB601_55
; %bb.54:
	v_mov_b32_e32 v21, 0
	v_lshl_add_u64 v[14:15], s[4:5], 0, v[20:21]
	v_lshlrev_b32_e32 v20, 1, v18
	v_lshl_add_u64 v[14:15], v[14:15], 0, v[20:21]
	global_load_dwordx4 v[14:17], v[14:15], off offset:128
.LBB601_55:
	s_or_b64 exec, exec, s[2:3]
	s_branch .LBB601_58
.LBB601_56:
                                        ; implicit-def: $vgpr5
                                        ; implicit-def: $vgpr9
                                        ; implicit-def: $vgpr13
                                        ; implicit-def: $vgpr17
	s_cbranch_execz .LBB601_58
; %bb.57:
	s_waitcnt vmcnt(0)
	v_lshlrev_b32_e32 v2, 1, v18
	v_lshl_or_b32 v18, v36, 9, v2
	s_and_b32 s5, s5, 0xffff
	s_mov_b32 s7, 0x20000
	s_movk_i32 s6, 0x4000
	s_movk_i32 s0, 0x80
	buffer_load_dwordx4 v[2:5], v18, s[4:7], 0 offen
	buffer_load_dwordx4 v[6:9], v18, s[4:7], 0 offen offset:256
	buffer_load_dwordx4 v[10:13], v18, s[4:7], s0 offen
	buffer_load_dwordx4 v[14:17], v18, s[4:7], s0 offen offset:256
.LBB601_58:
	v_and_b32_e32 v39, 12, v19
	ds_read2st64_b64 v[22:25], v37 offset0:76 offset1:77
	ds_read2st64_b64 v[18:21], v37 offset0:78 offset1:79
	ds_read_b64 v[32:33], v26 offset:24576
	ds_read_b64 v[30:31], v27 offset:24576
	ds_read_b64 v[28:29], v28 offset:24576
	ds_read_b64 v[26:27], v38 offset:24576
	v_and_b32_e32 v38, 6, v0
	v_xor_b32_e32 v36, v36, v38
	v_lshlrev_b32_e32 v36, 2, v36
	v_and_b32_e32 v40, 1, v0
	v_xor_b32_e32 v41, 0x440, v36
	v_cmp_eq_u32_e32 vcc, 0, v40
	s_mov_b32 s0, 0x1000504
	s_waitcnt vmcnt(0)
	v_perm_b32 v40, v10, v14, s0
	v_cndmask_b32_e32 v36, v41, v36, vcc
	v_lshl_or_b32 v36, v38, 10, v36
	v_perm_b32 v38, v2, v6, s0
	ds_write2st64_b32 v36, v38, v40 offset1:32
	v_xor_b32_e32 v38, 8, v36
	s_mov_b32 s1, 0x3020706
	v_perm_b32 v2, v2, v6, s1
	v_perm_b32 v6, v10, v14, s1
	v_add_u32_e32 v10, 0x80, v38
	ds_write2st64_b32 v10, v2, v6 offset1:32
	v_xor_b32_e32 v2, 16, v36
	v_perm_b32 v6, v3, v7, s0
	v_perm_b32 v10, v11, v15, s0
	ds_write2st64_b32 v2, v6, v10 offset0:1 offset1:33
	v_xor_b32_e32 v2, 24, v36
	v_perm_b32 v3, v3, v7, s1
	v_perm_b32 v6, v11, v15, s1
	v_add_u32_e32 v2, 0x80, v2
	ds_write2st64_b32 v2, v3, v6 offset0:1 offset1:33
	v_xor_b32_e32 v2, 32, v36
	v_perm_b32 v3, v4, v8, s0
	v_perm_b32 v6, v12, v16, s0
	ds_write2st64_b32 v2, v3, v6 offset0:2 offset1:34
	v_xor_b32_e32 v2, 40, v36
	v_perm_b32 v3, v4, v8, s1
	v_perm_b32 v4, v12, v16, s1
	v_add_u32_e32 v2, 0x80, v2
	ds_write2st64_b32 v2, v3, v4 offset0:2 offset1:34
	v_xor_b32_e32 v2, 48, v36
	v_perm_b32 v3, v5, v9, s0
	v_perm_b32 v4, v13, v17, s0
	ds_write2st64_b32 v2, v3, v4 offset0:3 offset1:35
	v_xor_b32_e32 v2, 56, v36
	v_or_b32_e32 v10, v39, v45
	v_perm_b32 v3, v5, v9, s1
	v_perm_b32 v4, v13, v17, s1
	v_add_u32_e32 v2, 0x80, v2
	v_cmp_gt_i32_e32 vcc, s45, v10
	v_mov_b32_e32 v12, 0
	v_mov_b32_e32 v16, 0
	ds_write2st64_b32 v2, v3, v4 offset0:3 offset1:35
	s_and_saveexec_b64 s[0:1], vcc
	s_cbranch_execz .LBB601_60
; %bb.59:
	v_add_u32_e32 v2, s43, v10
	v_ashrrev_i32_e32 v3, 31, v2
	v_mul_lo_u32 v4, v3, s36
	v_mul_lo_u32 v5, v2, s37
	v_mad_u64_u32 v[2:3], s[2:3], v2, s36, 0
	v_add3_u32 v3, v3, v5, v4
	v_lshl_add_u64 v[2:3], v[2:3], 2, s[12:13]
	global_load_dword v2, v[2:3], off
	s_waitcnt vmcnt(0)
	v_sub_f32_e32 v2, s16, v2
	v_mul_f32_e32 v2, 0x3fb8aa3b, v2
	v_exp_f32_e32 v16, v2
.LBB601_60:
	s_or_b64 exec, exec, s[0:1]
	v_or_b32_e32 v15, 1, v10
	v_cmp_gt_i32_e64 s[4:5], s45, v15
	s_and_saveexec_b64 s[0:1], s[4:5]
	s_cbranch_execz .LBB601_62
; %bb.61:
	v_add_u32_e32 v2, s43, v15
	v_ashrrev_i32_e32 v3, 31, v2
	v_mul_lo_u32 v4, v3, s36
	v_mul_lo_u32 v5, v2, s37
	v_mad_u64_u32 v[2:3], s[2:3], v2, s36, 0
	v_add3_u32 v3, v3, v5, v4
	v_lshl_add_u64 v[2:3], v[2:3], 2, s[12:13]
	global_load_dword v2, v[2:3], off
	s_waitcnt vmcnt(0)
	v_sub_f32_e32 v2, s16, v2
	v_mul_f32_e32 v2, 0x3fb8aa3b, v2
	v_exp_f32_e32 v12, v2
.LBB601_62:
	s_or_b64 exec, exec, s[0:1]
	v_or_b32_e32 v13, 2, v10
	v_cmp_gt_i32_e64 s[0:1], s45, v13
	v_mov_b32_e32 v11, 0
	v_mov_b32_e32 v17, 0
	s_and_saveexec_b64 s[2:3], s[0:1]
	s_cbranch_execz .LBB601_64
; %bb.63:
	v_add_u32_e32 v2, s43, v13
	v_ashrrev_i32_e32 v3, 31, v2
	v_mul_lo_u32 v4, v3, s36
	v_mul_lo_u32 v5, v2, s37
	v_mad_u64_u32 v[2:3], s[6:7], v2, s36, 0
	v_add3_u32 v3, v3, v5, v4
	v_lshl_add_u64 v[2:3], v[2:3], 2, s[12:13]
	global_load_dword v2, v[2:3], off
	s_waitcnt vmcnt(0)
	v_sub_f32_e32 v2, s16, v2
	v_mul_f32_e32 v2, 0x3fb8aa3b, v2
	v_exp_f32_e32 v17, v2
.LBB601_64:
	s_or_b64 exec, exec, s[2:3]
	v_or_b32_e32 v14, 3, v10
	v_cmp_gt_i32_e64 s[2:3], s45, v14
	s_and_saveexec_b64 s[6:7], s[2:3]
	s_cbranch_execz .LBB601_66
; %bb.65:
	v_add_u32_e32 v2, s43, v14
	v_ashrrev_i32_e32 v3, 31, v2
	v_mul_lo_u32 v4, v3, s36
	v_mul_lo_u32 v5, v2, s37
	v_mad_u64_u32 v[2:3], s[18:19], v2, s36, 0
	v_add3_u32 v3, v3, v5, v4
	v_lshl_add_u64 v[2:3], v[2:3], 2, s[12:13]
	global_load_dword v2, v[2:3], off
	s_waitcnt vmcnt(0)
	v_sub_f32_e32 v2, s16, v2
	v_mul_f32_e32 v2, 0x3fb8aa3b, v2
	v_exp_f32_e32 v11, v2
.LBB601_66:
	s_or_b64 exec, exec, s[6:7]
	s_waitcnt lgkmcnt(11)
	v_mfma_f32_16x16x16_bf16 a[0:3], v[32:33], v[22:23], a[0:3]
	s_add_u32 s6, s20, s28
	v_ashrrev_i32_e32 v59, 31, v58
	s_addc_u32 s7, s21, s29
	s_waitcnt lgkmcnt(10)
	v_mfma_f32_16x16x16_bf16 a[0:3], v[30:31], v[24:25], a[0:3]
	v_lshlrev_b64 v[2:3], 1, v[58:59]
	v_lshl_add_u64 v[6:7], s[6:7], 0, v[2:3]
	s_add_u32 s6, s14, s28
	s_waitcnt lgkmcnt(9)
	v_mfma_f32_16x16x16_bf16 a[0:3], v[28:29], v[18:19], a[0:3]
	s_addc_u32 s7, s15, s29
	v_lshl_add_u64 v[8:9], s[6:7], 0, v[2:3]
	v_mov_b32_e32 v18, 0
	s_waitcnt lgkmcnt(8)
	v_mfma_f32_16x16x16_bf16 a[0:3], v[26:27], v[20:21], a[0:3]
	v_mov_b32_e32 v19, 0
	s_nop 5
	v_accvgpr_read_b32 v5, a3
	v_accvgpr_read_b32 v4, a2
	;; [unrolled: 1-line block ×4, first 2 shown]
	s_and_saveexec_b64 s[6:7], vcc
	s_cbranch_execz .LBB601_68
; %bb.67:
	v_lshlrev_b32_e32 v20, 8, v10
	v_mov_b32_e32 v21, 0
	v_lshl_add_u64 v[22:23], v[6:7], 0, v[20:21]
	global_load_ushort v19, v[22:23], off
	v_lshl_add_u64 v[20:21], v[8:9], 0, v[20:21]
	s_waitcnt vmcnt(0)
	v_lshlrev_b32_e32 v19, 16, v19
	v_sub_f32_e32 v2, v19, v2
	global_store_short_d16_hi v[20:21], v2, off
	v_mul_f32_e32 v2, v16, v2
	v_lshrrev_b32_e32 v19, 16, v2
.LBB601_68:
	s_or_b64 exec, exec, s[6:7]
	s_and_saveexec_b64 s[6:7], s[4:5]
	s_cbranch_execz .LBB601_70
; %bb.69:
	v_lshlrev_b32_e32 v20, 8, v15
	v_mov_b32_e32 v21, 0
	v_lshl_add_u64 v[22:23], v[6:7], 0, v[20:21]
	global_load_ushort v2, v[22:23], off
	v_lshl_add_u64 v[20:21], v[8:9], 0, v[20:21]
	s_waitcnt vmcnt(0)
	v_lshlrev_b32_e32 v2, 16, v2
	v_sub_f32_e32 v2, v2, v3
	global_store_short_d16_hi v[20:21], v2, off
	v_mul_f32_e32 v2, v12, v2
	v_lshrrev_b32_e32 v18, 16, v2
.LBB601_70:
	s_or_b64 exec, exec, s[6:7]
	v_mov_b32_e32 v3, 0
	v_mov_b32_e32 v12, 0
	s_and_saveexec_b64 s[4:5], s[0:1]
	s_cbranch_execz .LBB601_72
; %bb.71:
	v_lshlrev_b32_e32 v12, 8, v13
	v_mov_b32_e32 v13, 0
	v_lshl_add_u64 v[20:21], v[6:7], 0, v[12:13]
	global_load_ushort v2, v[20:21], off
	v_lshl_add_u64 v[12:13], v[8:9], 0, v[12:13]
	s_waitcnt vmcnt(0)
	v_lshlrev_b32_e32 v2, 16, v2
	v_sub_f32_e32 v2, v2, v4
	global_store_short_d16_hi v[12:13], v2, off
	v_mul_f32_e32 v2, v17, v2
	v_lshrrev_b32_e32 v12, 16, v2
.LBB601_72:
	s_or_b64 exec, exec, s[4:5]
	v_or_b32_e32 v2, 0x9800, v37
	s_and_saveexec_b64 s[0:1], s[2:3]
	s_cbranch_execz .LBB601_74
; %bb.73:
	v_lshlrev_b32_e32 v14, 8, v14
	v_mov_b32_e32 v15, 0
	v_lshl_add_u64 v[6:7], v[6:7], 0, v[14:15]
	global_load_ushort v3, v[6:7], off
	v_lshl_add_u64 v[6:7], v[8:9], 0, v[14:15]
	s_waitcnt vmcnt(0)
	v_lshlrev_b32_e32 v3, 16, v3
	v_sub_f32_e32 v3, v3, v5
	global_store_short_d16_hi v[6:7], v3, off
	v_mul_f32_e32 v3, v11, v3
	v_lshrrev_b32_e32 v3, 16, v3
.LBB601_74:
	s_or_b64 exec, exec, s[0:1]
	s_mov_b32 s0, 0x5040100
	v_perm_b32 v5, v3, v12, s0
	v_lshlrev_b32_e32 v3, 1, v34
	v_perm_b32 v4, v18, v19, s0
	v_lshl_or_b32 v3, v10, 5, v3
	s_movk_i32 s2, 0xff
	ds_write_b64 v3, v[4:5] offset:38912
	v_and_b32_e32 v3, 7, v0
	v_cmp_lt_u32_e32 vcc, s2, v0
	v_and_b32_e32 v4, 8, v0
	v_lshlrev_b32_e32 v12, 3, v3
	v_lshlrev_b32_e32 v24, 7, v3
	v_cndmask_b32_e64 v3, 0, 1, vcc
	v_lshrrev_b32_e32 v0, 1, v0
	v_lshlrev_b32_e32 v14, 13, v3
	v_lshlrev_b32_e32 v3, 3, v1
	v_and_b32_e32 v0, 24, v0
	v_xor_b32_e32 v5, v3, v0
	v_or_b32_e32 v6, 0x440, v5
	v_cmp_eq_u32_e32 vcc, 0, v4
	s_add_i32 s0, s17, s51
	s_mul_hi_i32 s1, s0, s25
	v_cndmask_b32_e32 v4, v6, v5, vcc
	v_or_b32_e32 v4, v4, v35
	v_xor_b32_e32 v22, v4, v12
	v_or_b32_e32 v4, 32, v0
	v_xor_b32_e32 v4, v3, v4
	v_or_b32_e32 v5, 0x440, v4
	v_cndmask_b32_e32 v4, v5, v4, vcc
	v_or_b32_e32 v4, v4, v35
	v_xor_b32_e32 v23, v4, v12
	v_or_b32_e32 v4, 64, v0
	v_xor_b32_e32 v4, v3, v4
	v_xor_b32_e32 v5, 0x440, v4
	s_mul_i32 s0, s0, s25
	v_cndmask_b32_e32 v4, v5, v4, vcc
	v_or_b32_e32 v0, 0x60, v0
	s_add_u32 s0, s0, s33
	v_add3_u32 v15, v14, v22, v24
	v_or_b32_e32 v4, v4, v35
	v_xor_b32_e32 v0, v3, v0
	s_waitcnt lgkmcnt(0)
	s_barrier
	s_addc_u32 s1, s1, s50
	v_lshlrev_b32_e32 v13, 2, v10
	v_xor_b32_e32 v25, v4, v12
	ds_read2st64_b64 v[4:7], v2 offset1:1
	ds_read2st64_b64 v[8:11], v2 offset0:2 offset1:3
	ds_read_b64 v[2:3], v15
	v_xor_b32_e32 v15, 0x440, v0
	s_lshl_b64 s[0:1], s[0:1], 9
	v_cndmask_b32_e32 v0, v15, v0, vcc
	s_add_u32 s0, s8, s0
	v_or_b32_e32 v0, v0, v35
	s_addc_u32 s1, s9, s1
	v_add3_u32 v16, v14, v23, v24
	v_add3_u32 v18, v14, v25, v24
	v_xor_b32_e32 v26, v0, v12
	v_add3_u32 v0, v14, v26, v24
	ds_read_b64 v[16:17], v16
	ds_read_b64 v[18:19], v18
	;; [unrolled: 1-line block ×3, first 2 shown]
	global_load_dwordx4 v[12:15], v13, s[0:1]
	v_lshlrev_b32_e32 v0, 6, v1
	v_lshlrev_b32_e32 v1, 2, v39
	s_movk_i32 s2, 0x100
	v_or3_b32 v0, v0, v1, s2
	s_waitcnt lgkmcnt(3)
	v_mfma_f32_16x16x16_bf16 a[0:3], v[2:3], v[4:5], 0
	global_load_dwordx4 v[0:3], v0, s[0:1]
	v_add_u32_e32 v27, v23, v24
	s_waitcnt vmcnt(1)
	v_mul_f32_e32 v12, 0x3fb8aa3b, v12
	s_waitcnt lgkmcnt(2)
	v_mfma_f32_16x16x16_bf16 a[0:3], v[16:17], v[6:7], a[0:3]
	v_mov_b32_e32 v16, 0x3fb8aa3b
	v_mul_f32_e32 v16, s16, v16
	v_mul_f32_e32 v13, 0x3fb8aa3b, v13
	s_waitcnt lgkmcnt(1)
	v_mfma_f32_16x16x16_bf16 a[0:3], v[18:19], v[8:9], a[0:3]
	v_exp_f32_e32 v16, v16
	v_add_u32_e32 v17, v22, v24
	v_exp_f32_e32 v12, v12
	s_waitcnt lgkmcnt(0)
	v_mfma_f32_16x16x16_bf16 a[0:3], v[20:21], v[10:11], a[0:3]
	v_exp_f32_e32 v13, v13
	ds_read_b64 v[22:23], v17 offset:8192
	v_mul_f32_e32 v14, 0x3fb8aa3b, v14
	v_mul_f32_e32 v15, 0x3fb8aa3b, v15
	v_pk_mul_f32 v[12:13], v[16:17], v[12:13] op_sel_hi:[0,1]
	v_exp_f32_e32 v14, v14
	v_exp_f32_e32 v15, v15
	v_accvgpr_read_b32 v21, a1
	v_accvgpr_read_b32 v20, a0
	v_pk_fma_f32 v[52:53], v[52:53], v[12:13], v[20:21]
	ds_read_b64 v[12:13], v27 offset:8192
	v_accvgpr_read_b32 v19, a3
	v_accvgpr_read_b32 v18, a2
	s_waitcnt lgkmcnt(1)
	v_mfma_f32_16x16x16_bf16 a[0:3], v[22:23], v[4:5], 0
	v_pk_mul_f32 v[14:15], v[16:17], v[14:15] op_sel_hi:[0,1]
	v_pk_fma_f32 v[56:57], v[56:57], v[14:15], v[18:19]
	v_add_u32_e32 v14, v25, v24
	v_add_u32_e32 v17, v26, v24
	ds_read_b64 v[14:15], v14 offset:8192
	ds_read_b64 v[18:19], v17 offset:8192
	s_waitcnt lgkmcnt(2)
	v_mfma_f32_16x16x16_bf16 a[0:3], v[12:13], v[6:7], a[0:3]
	s_waitcnt vmcnt(0)
	v_mov_b32_e32 v4, v3
	v_mov_b32_e32 v3, v2
	;; [unrolled: 1-line block ×3, first 2 shown]
	s_waitcnt lgkmcnt(1)
	v_mfma_f32_16x16x16_bf16 a[0:3], v[14:15], v[8:9], a[0:3]
	v_mul_f32_e32 v0, 0x3fb8aa3b, v0
	v_mul_f32_e32 v1, 0x3fb8aa3b, v2
	v_exp_f32_e32 v0, v0
	s_waitcnt lgkmcnt(0)
	v_mfma_f32_16x16x16_bf16 a[0:3], v[18:19], v[10:11], a[0:3]
	v_exp_f32_e32 v1, v1
	v_mul_f32_e32 v2, 0x3fb8aa3b, v3
	v_mul_f32_e32 v3, 0x3fb8aa3b, v4
	v_exp_f32_e32 v2, v2
	v_exp_f32_e32 v3, v3
	v_pk_mul_f32 v[0:1], v[16:17], v[0:1] op_sel_hi:[0,1]
	s_nop 0
	v_accvgpr_read_b32 v7, a1
	v_accvgpr_read_b32 v6, a0
	;; [unrolled: 1-line block ×4, first 2 shown]
	v_pk_fma_f32 v[50:51], v[50:51], v[0:1], v[6:7]
	v_pk_mul_f32 v[0:1], v[16:17], v[2:3] op_sel_hi:[0,1]
	v_pk_fma_f32 v[54:55], v[54:55], v[0:1], v[4:5]
.LBB601_75:
	s_add_u32 s0, s10, s34
	s_addc_u32 s1, s11, s35
	v_lshl_add_u64 v[0:1], v[46:47], 1, s[0:1]
	v_mov_b32_e32 v49, 0
	s_mov_b32 s0, 0x7060302
	v_lshl_add_u64 v[0:1], v[0:1], 0, v[48:49]
	v_perm_b32 v3, v57, v56, s0
	v_perm_b32 v2, v53, v52, s0
	global_store_dwordx2 v[0:1], v[2:3], off
	v_perm_b32 v3, v55, v54, s0
	v_perm_b32 v2, v51, v50, s0
	global_store_dwordx2 v[0:1], v[2:3], off offset:128
	s_endpgm
	.section	.rodata,"a",@progbits
	.p2align	6, 0x0
	.amdhsa_kernel _ZN12_GLOBAL__N_139chunk_gated_delta_rule_fwd_h_hip_kernelILi16ELb1ELb1ELb1ELb0ELb0ELb1ELb0ELb1EEEvPK12hip_bfloat16S3_S3_PKfS5_PKvPS1_S8_PvPKiSB_iiiiilll
		.amdhsa_group_segment_fixed_size 40960
		.amdhsa_private_segment_fixed_size 0
		.amdhsa_kernarg_size 136
		.amdhsa_user_sgpr_count 2
		.amdhsa_user_sgpr_dispatch_ptr 0
		.amdhsa_user_sgpr_queue_ptr 0
		.amdhsa_user_sgpr_kernarg_segment_ptr 1
		.amdhsa_user_sgpr_dispatch_id 0
		.amdhsa_user_sgpr_kernarg_preload_length 0
		.amdhsa_user_sgpr_kernarg_preload_offset 0
		.amdhsa_user_sgpr_private_segment_size 0
		.amdhsa_uses_dynamic_stack 0
		.amdhsa_enable_private_segment 0
		.amdhsa_system_sgpr_workgroup_id_x 1
		.amdhsa_system_sgpr_workgroup_id_y 1
		.amdhsa_system_sgpr_workgroup_id_z 0
		.amdhsa_system_sgpr_workgroup_info 0
		.amdhsa_system_vgpr_workitem_id 0
		.amdhsa_next_free_vgpr 132
		.amdhsa_next_free_sgpr 76
		.amdhsa_accum_offset 120
		.amdhsa_reserve_vcc 1
		.amdhsa_float_round_mode_32 0
		.amdhsa_float_round_mode_16_64 0
		.amdhsa_float_denorm_mode_32 3
		.amdhsa_float_denorm_mode_16_64 3
		.amdhsa_dx10_clamp 1
		.amdhsa_ieee_mode 1
		.amdhsa_fp16_overflow 0
		.amdhsa_tg_split 0
		.amdhsa_exception_fp_ieee_invalid_op 0
		.amdhsa_exception_fp_denorm_src 0
		.amdhsa_exception_fp_ieee_div_zero 0
		.amdhsa_exception_fp_ieee_overflow 0
		.amdhsa_exception_fp_ieee_underflow 0
		.amdhsa_exception_fp_ieee_inexact 0
		.amdhsa_exception_int_div_zero 0
	.end_amdhsa_kernel
	.section	.text._ZN12_GLOBAL__N_139chunk_gated_delta_rule_fwd_h_hip_kernelILi16ELb1ELb1ELb1ELb0ELb0ELb1ELb0ELb1EEEvPK12hip_bfloat16S3_S3_PKfS5_PKvPS1_S8_PvPKiSB_iiiiilll,"axG",@progbits,_ZN12_GLOBAL__N_139chunk_gated_delta_rule_fwd_h_hip_kernelILi16ELb1ELb1ELb1ELb0ELb0ELb1ELb0ELb1EEEvPK12hip_bfloat16S3_S3_PKfS5_PKvPS1_S8_PvPKiSB_iiiiilll,comdat
.Lfunc_end601:
	.size	_ZN12_GLOBAL__N_139chunk_gated_delta_rule_fwd_h_hip_kernelILi16ELb1ELb1ELb1ELb0ELb0ELb1ELb0ELb1EEEvPK12hip_bfloat16S3_S3_PKfS5_PKvPS1_S8_PvPKiSB_iiiiilll, .Lfunc_end601-_ZN12_GLOBAL__N_139chunk_gated_delta_rule_fwd_h_hip_kernelILi16ELb1ELb1ELb1ELb0ELb0ELb1ELb0ELb1EEEvPK12hip_bfloat16S3_S3_PKfS5_PKvPS1_S8_PvPKiSB_iiiiilll
                                        ; -- End function
	.section	.AMDGPU.csdata,"",@progbits
; Kernel info:
; codeLenInByte = 8428
; NumSgprs: 82
; NumVgprs: 118
; NumAgprs: 12
; TotalNumVgprs: 132
; ScratchSize: 0
; MemoryBound: 0
; FloatMode: 240
; IeeeMode: 1
; LDSByteSize: 40960 bytes/workgroup (compile time only)
; SGPRBlocks: 10
; VGPRBlocks: 16
; NumSGPRsForWavesPerEU: 82
; NumVGPRsForWavesPerEU: 132
; AccumOffset: 120
; Occupancy: 1
; WaveLimiterHint : 1
; COMPUTE_PGM_RSRC2:SCRATCH_EN: 0
; COMPUTE_PGM_RSRC2:USER_SGPR: 2
; COMPUTE_PGM_RSRC2:TRAP_HANDLER: 0
; COMPUTE_PGM_RSRC2:TGID_X_EN: 1
; COMPUTE_PGM_RSRC2:TGID_Y_EN: 1
; COMPUTE_PGM_RSRC2:TGID_Z_EN: 0
; COMPUTE_PGM_RSRC2:TIDIG_COMP_CNT: 0
; COMPUTE_PGM_RSRC3_GFX90A:ACCUM_OFFSET: 29
; COMPUTE_PGM_RSRC3_GFX90A:TG_SPLIT: 0
	.section	.text._ZN12_GLOBAL__N_139chunk_gated_delta_rule_fwd_h_hip_kernelILi16ELb1ELb1ELb0ELb0ELb0ELb1ELb0ELb1EEEvPK12hip_bfloat16S3_S3_PKfS5_PKvPS1_S8_PvPKiSB_iiiiilll,"axG",@progbits,_ZN12_GLOBAL__N_139chunk_gated_delta_rule_fwd_h_hip_kernelILi16ELb1ELb1ELb0ELb0ELb0ELb1ELb0ELb1EEEvPK12hip_bfloat16S3_S3_PKfS5_PKvPS1_S8_PvPKiSB_iiiiilll,comdat
	.globl	_ZN12_GLOBAL__N_139chunk_gated_delta_rule_fwd_h_hip_kernelILi16ELb1ELb1ELb0ELb0ELb0ELb1ELb0ELb1EEEvPK12hip_bfloat16S3_S3_PKfS5_PKvPS1_S8_PvPKiSB_iiiiilll ; -- Begin function _ZN12_GLOBAL__N_139chunk_gated_delta_rule_fwd_h_hip_kernelILi16ELb1ELb1ELb0ELb0ELb0ELb1ELb0ELb1EEEvPK12hip_bfloat16S3_S3_PKfS5_PKvPS1_S8_PvPKiSB_iiiiilll
	.p2align	8
	.type	_ZN12_GLOBAL__N_139chunk_gated_delta_rule_fwd_h_hip_kernelILi16ELb1ELb1ELb0ELb0ELb0ELb1ELb0ELb1EEEvPK12hip_bfloat16S3_S3_PKfS5_PKvPS1_S8_PvPKiSB_iiiiilll,@function
_ZN12_GLOBAL__N_139chunk_gated_delta_rule_fwd_h_hip_kernelILi16ELb1ELb1ELb0ELb0ELb0ELb1ELb0ELb1EEEvPK12hip_bfloat16S3_S3_PKfS5_PKvPS1_S8_PvPKiSB_iiiiilll: ; @_ZN12_GLOBAL__N_139chunk_gated_delta_rule_fwd_h_hip_kernelILi16ELb1ELb1ELb0ELb0ELb0ELb1ELb0ELb1EEEvPK12hip_bfloat16S3_S3_PKfS5_PKvPS1_S8_PvPKiSB_iiiiilll
; %bb.0:
	s_load_dwordx4 s[12:15], s[0:1], 0x5c
	s_abs_i32 s6, s3
	s_ashr_i32 s5, s3, 31
	s_load_dwordx4 s[16:19], s[0:1], 0x20
	s_load_dwordx2 s[38:39], s[0:1], 0x30
	v_and_b32_e32 v65, 15, v0
	s_waitcnt lgkmcnt(0)
	s_abs_i32 s4, s13
	v_cvt_f32_u32_e32 v1, s4
	s_sub_i32 s8, 0, s4
	s_ashr_i32 s7, s13, 31
	s_xor_b32 s5, s5, s7
	v_rcp_iflag_f32_e32 v1, v1
	v_bfe_u32 v64, v0, 4, 2
	v_mov_b32_e32 v49, 0
	v_lshlrev_b32_e32 v66, 3, v0
	v_mul_f32_e32 v1, 0x4f7ffffe, v1
	v_cvt_u32_f32_e32 v1, v1
	s_nop 0
	v_readfirstlane_b32 s9, v1
	s_mul_i32 s8, s8, s9
	s_mul_hi_u32 s8, s9, s8
	s_add_i32 s9, s9, s8
	s_mul_hi_u32 s8, s6, s9
	s_mul_i32 s9, s8, s4
	s_sub_i32 s6, s6, s9
	s_add_i32 s10, s8, 1
	s_sub_i32 s9, s6, s4
	s_cmp_ge_u32 s6, s4
	s_cselect_b32 s8, s10, s8
	s_cselect_b32 s6, s9, s6
	s_add_i32 s9, s8, 1
	s_cmp_ge_u32 s6, s4
	s_cselect_b32 s6, s9, s8
	s_xor_b32 s6, s6, s5
	s_sub_i32 s57, s6, s5
	s_mul_i32 s6, s57, s13
	s_sub_i32 s33, s3, s6
	s_abs_i32 s3, s14
	v_cvt_f32_u32_e32 v1, s3
	s_add_i32 s8, s12, 63
	s_ashr_i32 s9, s8, 31
	s_lshr_b32 s5, s9, 26
	v_rcp_iflag_f32_e32 v1, v1
	s_ashr_i32 s56, s12, 31
	s_add_i32 s8, s8, s5
	s_lshr_b32 s5, s56, 26
	v_mul_f32_e32 v1, 0x4f7ffffe, v1
	v_cvt_u32_f32_e32 v1, v1
	s_add_i32 s5, s12, s5
	s_ashr_i32 s59, s14, 31
	s_ashr_i32 s24, s8, 6
	;; [unrolled: 1-line block ×3, first 2 shown]
	s_xor_b32 s5, s7, s59
	s_sub_i32 s7, 0, s3
	v_readfirstlane_b32 s8, v1
	s_mul_i32 s7, s7, s8
	s_mul_hi_u32 s7, s8, s7
	s_add_i32 s8, s8, s7
	s_mul_hi_u32 s7, s4, s8
	s_mul_i32 s8, s7, s3
	s_sub_i32 s4, s4, s8
	s_lshl_b32 s2, s2, 4
	s_add_i32 s8, s7, 1
	s_sub_i32 s9, s4, s3
	s_cmp_ge_u32 s4, s3
	s_cselect_b32 s7, s8, s7
	s_cselect_b32 s4, s9, s4
	s_add_i32 s8, s7, 1
	s_cmp_ge_u32 s4, s3
	s_cselect_b32 s3, s8, s7
	s_xor_b32 s3, s3, s5
	s_sub_i32 s3, s3, s5
	s_abs_i32 s4, s3
	v_cvt_f32_u32_e32 v1, s4
	s_sub_i32 s7, 0, s4
	s_abs_i32 s5, s33
	s_xor_b32 s3, s33, s3
	v_rcp_iflag_f32_e32 v2, v1
	s_ashr_i32 s3, s3, 31
	v_lshrrev_b32_e32 v1, 6, v0
	v_or_b32_e32 v58, s2, v65
	v_mul_f32_e32 v2, 0x4f7ffffe, v2
	v_cvt_u32_f32_e32 v2, v2
	v_lshlrev_b32_e32 v45, 4, v1
	v_lshlrev_b32_e32 v46, 7, v58
	v_lshl_or_b32 v68, v64, 2, v45
	v_readfirstlane_b32 s8, v2
	s_mul_i32 s7, s7, s8
	s_mul_hi_u32 s7, s8, s7
	s_add_i32 s8, s8, s7
	s_mul_hi_u32 s7, s5, s8
	s_mul_i32 s8, s7, s4
	s_sub_i32 s5, s5, s8
	s_add_i32 s8, s7, 1
	s_sub_i32 s9, s5, s4
	s_cmp_ge_u32 s5, s4
	s_cselect_b32 s7, s8, s7
	s_cselect_b32 s5, s9, s5
	s_add_i32 s8, s7, 1
	s_cmp_ge_u32 s5, s4
	s_cselect_b32 s4, s8, s7
	s_xor_b32 s4, s4, s3
	s_sub_i32 s60, s4, s3
	s_ashr_i32 s3, s57, 31
	s_ashr_i32 s48, s33, 31
	s_mul_hi_i32 s4, s57, s13
	s_add_u32 s40, s6, s33
	s_addc_u32 s41, s4, s48
	s_lshl_b64 s[28:29], s[40:41], 15
	s_add_u32 s4, s18, s28
	s_addc_u32 s5, s19, s29
	v_ashrrev_i32_e32 v47, 31, v46
	v_lshl_add_u64 v[2:3], v[46:47], 1, s[4:5]
	v_lshlrev_b32_e32 v48, 1, v68
	v_lshl_add_u64 v[2:3], v[2:3], 0, v[48:49]
	global_load_dwordx2 v[4:5], v[2:3], off
	global_load_dwordx2 v[6:7], v[2:3], off offset:128
	s_load_dwordx2 s[18:19], s[0:1], 0x40
	s_load_dwordx8 s[4:11], s[0:1], 0x0
	s_load_dwordx2 s[30:31], s[0:1], 0x80
	s_load_dwordx4 s[20:23], s[0:1], 0x70
	v_and_b32_e32 v49, 63, v0
	v_lshrrev_b32_e32 v67, 3, v49
	v_or_b32_e32 v69, 64, v68
	s_mul_i32 s49, s57, s12
	s_waitcnt lgkmcnt(0)
	s_mul_i32 s50, s57, s21
	s_mul_hi_u32 s51, s57, s20
	s_mul_i32 s36, s57, s20
	s_mul_i32 s61, s57, s24
	;; [unrolled: 1-line block ×3, first 2 shown]
	s_mul_hi_u32 s53, s33, s22
	s_mul_i32 s55, s3, s20
	s_mul_i32 s54, s48, s22
	s_mul_hi_u32 s62, s40, s12
	s_mul_i32 s42, s40, s12
	s_mul_i32 s63, s41, s12
	s_cmp_lt_i32 s12, 64
	s_mul_i32 s34, s33, s22
	s_waitcnt vmcnt(1)
	v_and_b32_e32 v53, 0xffff0000, v4
	v_lshlrev_b32_e32 v52, 16, v4
	v_and_b32_e32 v57, 0xffff0000, v5
	v_lshlrev_b32_e32 v56, 16, v5
	s_waitcnt vmcnt(0)
	v_and_b32_e32 v51, 0xffff0000, v6
	v_lshlrev_b32_e32 v50, 16, v6
	v_and_b32_e32 v55, 0xffff0000, v7
	v_lshlrev_b32_e32 v54, 16, v7
	s_cbranch_scc1 .LBB602_18
; %bb.1:
	s_add_i32 s43, s62, s63
	s_lshl_b64 s[0:1], s[42:43], 8
	v_and_b32_e32 v71, 56, v66
	s_add_u32 s20, s6, s0
	v_lshl_or_b32 v70, v1, 3, v67
	v_lshlrev_b32_e32 v2, 1, v71
	s_addc_u32 s0, s7, s1
	v_lshl_or_b32 v72, v70, 8, v2
	s_and_b32 s21, s0, 0xffff
	s_mov_b32 s23, 0x20000
	s_movk_i32 s22, 0x4000
	s_movk_i32 s0, 0x80
	v_or_b32_e32 v73, 0x2000, v72
	buffer_load_dwordx4 v[4:7], v72, s[20:23], 0 offen
	buffer_load_dwordx4 v[8:11], v72, s[20:23], s0 offen
	;; [unrolled: 1-line block ×4, first 2 shown]
	v_lshlrev_b32_e32 v3, 3, v70
	v_and_or_b32 v21, v0, 7, v3
	v_and_b32_e32 v3, 0x78, v3
	v_lshlrev_b32_e32 v21, 4, v21
	v_xor_b32_e32 v74, v21, v3
	v_mul_lo_u32 v20, v70, s15
	v_or_b32_e32 v75, 0x1000, v74
	v_xor_b32_e32 v3, 8, v74
	s_cmpk_eq_i32 s15, 0x80
	s_mov_b32 s64, s14
	v_xor_b32_e32 v21, 8, v75
	s_cselect_b64 s[0:1], -1, 0
	s_cmpk_lg_i32 s15, 0x80
	s_waitcnt vmcnt(3)
	ds_write_b64 v74, v[4:5] offset:16384
	ds_write_b64 v3, v[6:7] offset:16384
	s_waitcnt vmcnt(2)
	ds_write_b64 v74, v[8:9] offset:24576
	ds_write_b64 v3, v[10:11] offset:24576
	;; [unrolled: 3-line block ×4, first 2 shown]
	v_lshl_add_u32 v3, v20, 1, v71
	s_cbranch_scc0 .LBB602_3
; %bb.2:
	v_lshlrev_b32_e32 v5, 1, v3
	v_add_lshl_u32 v4, v3, s15, 1
	s_lshl_b32 s22, s15, 7
	v_lshl_or_b32 v2, v70, 9, v2
	s_cbranch_execz .LBB602_4
	s_branch .LBB602_5
.LBB602_3:
                                        ; implicit-def: $vgpr4
                                        ; implicit-def: $vgpr5
                                        ; implicit-def: $sgpr22
	v_lshl_or_b32 v2, v70, 9, v2
.LBB602_4:
	v_or_b32_e32 v4, 0x100, v2
	s_movk_i32 s22, 0x4000
	v_mov_b32_e32 v5, v2
.LBB602_5:
	s_mul_hi_u32 s20, s14, s12
	s_mul_i32 s21, s59, s12
	s_add_i32 s20, s20, s21
	s_mul_i32 s21, s14, s12
	s_mul_i32 s23, s21, s3
	s_mul_hi_u32 s24, s21, s57
	s_add_i32 s23, s24, s23
	s_mul_i32 s20, s20, s57
	s_add_i32 s23, s23, s20
	s_mul_i32 s21, s21, s57
	s_ashr_i32 s41, s60, 31
	s_add_u32 s20, s21, s60
	s_addc_u32 s21, s23, s41
	s_lshl_b64 s[20:21], s[20:21], 8
	s_add_u32 s20, s4, s20
	s_addc_u32 s21, s5, s21
	s_and_b32 s21, s21, 0xffff
	s_mov_b32 s23, 0x20000
	s_movk_i32 s65, 0x80
	buffer_load_dwordx4 v[6:9], v5, s[20:23], 0 offen
	buffer_load_dwordx4 v[10:13], v5, s[20:23], s65 offen
	;; [unrolled: 1-line block ×4, first 2 shown]
	v_and_b32_e32 v4, 6, v0
	v_lshlrev_b32_e32 v22, 2, v65
	v_lshlrev_b32_e32 v23, 3, v65
	v_xor_b32_e32 v25, v70, v4
	v_and_b32_e32 v5, 1, v0
	s_mul_i32 s3, s3, s12
	s_mul_hi_u32 s20, s57, s12
	v_lshl_or_b32 v23, v68, 5, v23
	v_xor_b32_e32 v26, v68, v22
	v_lshlrev_b32_e32 v25, 2, v25
	v_or_b32_e32 v76, 0x9000, v23
	v_or_b32_e32 v77, 0x9800, v23
	v_lshlrev_b32_e32 v23, 1, v26
	v_xor_b32_e32 v26, 0x440, v25
	v_cmp_eq_u32_e32 vcc, 0, v5
	s_add_i32 s69, s20, s3
	s_add_i32 s3, s51, s50
	v_cndmask_b32_e32 v5, v26, v25, vcc
	s_add_i32 s20, s53, s52
	s_add_i32 s37, s3, s55
	s_mov_b32 s67, 0x1000504
	v_lshlrev_b32_e32 v24, 8, v65
	s_mov_b32 s22, 0x8000
	v_xor_b32_e32 v22, v69, v22
	v_lshl_or_b32 v4, v4, 10, v5
	s_add_i32 s35, s20, s54
	s_lshl_b64 s[20:21], s[36:37], 2
	s_mov_b32 s68, 0x3020706
	v_lshlrev_b32_e32 v22, 1, v22
	v_or3_b32 v78, v23, v24, s22
	v_xor_b32_e32 v5, 8, v4
	v_xor_b32_e32 v23, 24, v4
	;; [unrolled: 1-line block ×4, first 2 shown]
	s_add_u32 s3, s10, s20
	v_or3_b32 v79, v22, v24, s22
	v_xor_b32_e32 v22, 16, v4
	v_xor_b32_e32 v24, 32, v4
	;; [unrolled: 1-line block ×3, first 2 shown]
	v_add_u32_e32 v5, 0x80, v5
	v_add_u32_e32 v23, 0x80, v23
	;; [unrolled: 1-line block ×4, first 2 shown]
	s_addc_u32 s24, s11, s21
	s_lshl_b64 s[20:21], s[34:35], 2
	s_add_u32 s44, s3, s20
	s_movk_i32 s3, 0xf8
	s_addc_u32 s45, s24, s21
	v_ashrrev_i32_e32 v59, 31, v58
	s_lshl_b32 s26, s15, 7
	s_mov_b32 s66, 0
	s_mov_b32 s35, 0x7060302
	v_mov_b32_e32 v99, 0x3fb8aa3b
	s_mov_b32 s70, 0
	s_waitcnt vmcnt(1)
	v_perm_b32 v28, v6, v14, s67
	s_waitcnt vmcnt(0)
	v_perm_b32 v29, v10, v18, s67
	v_perm_b32 v6, v6, v14, s68
	;; [unrolled: 1-line block ×15, first 2 shown]
	ds_write2st64_b32 v4, v28, v29 offset1:32
	ds_write2st64_b32 v5, v6, v10 offset1:32
	ds_write2st64_b32 v22, v14, v18 offset0:1 offset1:33
	ds_write2st64_b32 v23, v7, v11 offset0:1 offset1:33
	;; [unrolled: 1-line block ×6, first 2 shown]
	v_or_b32_e32 v4, v45, v65
	v_lshlrev_b32_e32 v4, 3, v4
	v_lshrrev_b32_e32 v6, 5, v49
	v_and_or_b32 v6, v4, s3, v6
	v_lshlrev_b32_e32 v6, 4, v6
	v_lshrrev_b32_e32 v5, 2, v49
	v_lshlrev_b32_e32 v11, 11, v1
	v_and_b32_e32 v4, 0x78, v4
	v_or_b32_e32 v9, 32, v6
	v_and_b32_e32 v10, 12, v5
	v_and_b32_e32 v5, 0x1000, v11
	v_xor_b32_e32 v7, v6, v4
	v_lshrrev_b32_e32 v8, 1, v49
	v_xor_b32_e32 v9, v9, v4
	v_or_b32_e32 v7, v7, v5
	v_and_b32_e32 v8, 8, v8
	v_or_b32_e32 v9, v9, v5
	v_xor_b32_e32 v80, v7, v8
	v_and_b32_e32 v7, 0x78, v66
	v_xor_b32_e32 v82, v9, v8
	v_or_b32_e32 v9, 64, v6
	v_or_b32_e32 v6, 0x60, v6
	v_lshl_or_b32 v7, v64, 7, v7
	v_xor_b32_e32 v9, v9, v4
	v_xor_b32_e32 v4, v6, v4
	v_or_b32_e32 v81, 0x9000, v7
	v_or_b32_e32 v9, v9, v5
	v_or_b32_e32 v4, v4, v5
	v_or_b32_e32 v85, 0x9800, v7
	v_lshrrev_b32_e32 v6, 4, v0
	v_lshlrev_b32_e32 v7, 1, v65
	v_xor_b32_e32 v83, v9, v8
	v_xor_b32_e32 v84, v4, v8
	s_ashr_i32 s3, s2, 31
	v_or_b32_e32 v8, 1, v7
	v_xor_b32_e32 v7, v6, v7
	s_lshl_b64 s[20:21], s[2:3], 8
	v_xor_b32_e32 v8, v8, v6
	v_lshlrev_b32_e32 v7, 3, v7
	v_lshlrev_b32_e32 v6, 8, v6
	v_lshl_add_u64 v[4:5], v[58:59], 1, s[8:9]
	s_add_u32 s20, s38, s20
	v_or3_b32 v59, v7, v6, s22
	v_lshlrev_b32_e32 v7, 3, v8
	s_addc_u32 s21, s39, s21
	v_or3_b32 v86, v7, v6, s22
	v_mov_b32_e32 v7, 0
	v_lshrrev_b32_e32 v17, 1, v0
	v_lshl_add_u64 v[8:9], s[20:21], 0, v[6:7]
	v_lshlrev_b32_e32 v6, 4, v65
	s_movk_i32 s3, 0xff
	v_lshlrev_b32_e32 v16, 3, v1
	v_and_b32_e32 v17, 24, v17
	v_lshl_add_u64 v[60:61], v[8:9], 0, v[6:7]
	v_and_b32_e32 v6, 7, v0
	v_and_b32_e32 v9, 8, v0
	v_cmp_lt_u32_e32 vcc, s3, v0
	v_xor_b32_e32 v18, v16, v17
	v_lshlrev_b32_e32 v14, 3, v6
	v_lshlrev_b32_e32 v15, 7, v6
	v_cndmask_b32_e64 v6, 0, 1, vcc
	v_or_b32_e32 v19, 0x440, v18
	v_cmp_eq_u32_e32 vcc, 0, v9
	v_or_b32_e32 v21, 64, v17
	v_xor_b32_e32 v21, v16, v21
	v_cndmask_b32_e32 v9, v19, v18, vcc
	v_or_b32_e32 v19, 32, v17
	v_or_b32_e32 v17, 0x60, v17
	v_xor_b32_e32 v19, v16, v19
	v_xor_b32_e32 v16, v16, v17
	v_or_b32_e32 v20, 0x440, v19
	v_xor_b32_e32 v22, 0x440, v21
	v_xor_b32_e32 v17, 0x440, v16
	v_cndmask_b32_e32 v19, v20, v19, vcc
	v_cndmask_b32_e32 v21, v22, v21, vcc
	;; [unrolled: 1-line block ×3, first 2 shown]
	v_or_b32_e32 v9, v9, v11
	v_or_b32_e32 v19, v19, v11
	;; [unrolled: 1-line block ×4, first 2 shown]
	v_lshlrev_b32_e32 v6, 13, v6
	v_xor_b32_e32 v9, v9, v14
	v_xor_b32_e32 v19, v19, v14
	;; [unrolled: 1-line block ×4, first 2 shown]
	v_lshlrev_b32_e32 v12, 1, v3
	v_add_lshl_u32 v3, v3, s15, 1
	v_or_b32_e32 v13, 0x100, v2
	v_or_b32_e32 v8, v10, v45
	v_add_u32_e32 v18, v6, v9
	v_add_u32_e32 v20, v6, v19
	;; [unrolled: 1-line block ×4, first 2 shown]
	v_or3_b32 v10, v45, v10, 64
	v_add_u32_e32 v9, 0x2000, v9
	v_add_u32_e32 v16, 0x2000, v19
	;; [unrolled: 1-line block ×4, first 2 shown]
	v_lshlrev_b32_e32 v6, 8, v68
	v_cndmask_b32_e64 v87, v12, v2, s[0:1]
	v_cndmask_b32_e64 v88, v3, v13, s[0:1]
	v_lshl_add_u64 v[62:63], v[4:5], 0, v[6:7]
	s_add_i32 s3, s49, 63
	s_movk_i32 s22, 0x4000
	v_lshlrev_b32_e32 v89, 2, v8
	v_add_u32_e32 v90, v18, v15
	v_add_u32_e32 v91, v20, v15
	;; [unrolled: 1-line block ×4, first 2 shown]
	v_lshlrev_b32_e32 v94, 2, v10
	v_add_u32_e32 v95, v9, v15
	v_add_u32_e32 v96, v16, v15
	;; [unrolled: 1-line block ×4, first 2 shown]
	s_waitcnt lgkmcnt(0)
	s_barrier
.LBB602_6:                              ; =>This Inner Loop Header: Depth=1
	s_add_i32 s37, s70, 1
	s_cmp_lt_i32 s37, s58
	s_mov_b64 s[24:25], 0
	s_cselect_b64 s[46:47], -1, 0
	s_cmp_ge_i32 s37, s58
	s_mov_b64 s[20:21], 0
	s_cbranch_scc1 .LBB602_8
; %bb.7:                                ;   in Loop: Header=BB602_6 Depth=1
	s_add_i32 s0, s66, 64
	s_add_u32 s0, s42, s0
	s_addc_u32 s1, s43, 0
	s_lshl_b64 s[0:1], s[0:1], 8
	s_add_u32 s20, s6, s0
	s_addc_u32 s21, s7, s1
.LBB602_8:                              ;   in Loop: Header=BB602_6 Depth=1
	v_cndmask_b32_e64 v2, 0, 1, s[46:47]
	v_cmp_ne_u32_e64 s[0:1], 1, v2
	s_andn2_b64 vcc, exec, s[46:47]
	s_cbranch_vccnz .LBB602_10
; %bb.9:                                ;   in Loop: Header=BB602_6 Depth=1
	s_add_i32 s24, s66, 64
	s_add_u32 s24, s49, s24
	s_addc_u32 s25, s69, 0
	s_mul_i32 s27, s24, s59
	s_mul_hi_u32 s46, s24, s64
	s_add_i32 s27, s46, s27
	s_mul_i32 s25, s25, s64
	s_add_i32 s27, s27, s25
	s_mul_i32 s24, s24, s64
	s_add_u32 s24, s24, s60
	s_addc_u32 s25, s27, s41
	s_lshl_b64 s[24:25], s[24:25], 8
	s_add_u32 s24, s4, s24
	s_addc_u32 s25, s5, s25
.LBB602_10:                             ;   in Loop: Header=BB602_6 Depth=1
	v_perm_b32 v3, v57, v56, s35
	v_perm_b32 v2, v53, v52, s35
	;; [unrolled: 1-line block ×4, first 2 shown]
	ds_write_b64 v76, v[2:3]
	ds_write_b64 v77, v[4:5]
	;; [unrolled: 1-line block ×4, first 2 shown]
	s_waitcnt lgkmcnt(0)
	s_barrier
	ds_read_b64 v[10:11], v80 offset:16384
	ds_read_b64 v[12:13], v82 offset:16384
	ds_read2st64_b64 v[2:5], v81 offset1:1
	ds_read2st64_b64 v[6:9], v81 offset0:2 offset1:3
	ds_read_b64 v[14:15], v83 offset:16384
	s_waitcnt lgkmcnt(2)
	v_mfma_f32_16x16x16_bf16 a[0:3], v[10:11], v[2:3], 0
	ds_read_b64 v[2:3], v84 offset:16384
	s_add_i32 s27, s66, 63
	s_mul_i32 s46, s27, s31
	v_mfma_f32_16x16x16_bf16 a[0:3], v[12:13], v[4:5], a[0:3]
	s_mul_hi_u32 s47, s27, s30
	s_add_i32 s47, s47, s46
	s_mul_i32 s46, s27, s30
	s_waitcnt lgkmcnt(1)
	v_mfma_f32_16x16x16_bf16 a[0:3], v[14:15], v[6:7], a[0:3]
	s_lshl_b64 s[46:47], s[46:47], 2
	s_add_u32 s46, s44, s46
	s_addc_u32 s47, s45, s47
	s_waitcnt lgkmcnt(0)
	v_mfma_f32_16x16x16_bf16 a[0:3], v[2:3], v[8:9], a[0:3]
	s_and_b64 vcc, exec, s[0:1]
	v_mov_b32_e32 v102, 0
	v_mov_b32_e32 v101, 0
	;; [unrolled: 1-line block ×19, first 2 shown]
	s_cbranch_vccnz .LBB602_12
; %bb.11:                               ;   in Loop: Header=BB602_6 Depth=1
	s_and_b32 s21, s21, 0xffff
	buffer_load_dwordx4 v[14:17], v72, s[20:23], 0 offen
	buffer_load_dwordx4 v[10:13], v72, s[20:23], s65 offen
	;; [unrolled: 1-line block ×4, first 2 shown]
	v_mov_b32_e32 v101, v74
	v_mov_b32_e32 v100, v75
.LBB602_12:                             ;   in Loop: Header=BB602_6 Depth=1
	v_add_u32_e32 v24, s66, v68
	v_ashrrev_i32_e32 v18, 31, v24
	v_mul_lo_u32 v20, v18, s30
	v_mul_lo_u32 v21, v24, s31
	v_mad_u64_u32 v[18:19], s[20:21], v24, s30, 0
	v_add3_u32 v19, v19, v21, v20
	v_add_u32_e32 v20, 1, v24
	v_ashrrev_i32_e32 v21, 31, v20
	v_mul_lo_u32 v22, v21, s30
	v_mul_lo_u32 v23, v20, s31
	v_mad_u64_u32 v[20:21], s[20:21], v20, s30, 0
	v_add3_u32 v21, v21, v23, v22
	v_add_u32_e32 v22, 2, v24
	v_ashrrev_i32_e32 v23, 31, v22
	v_mul_lo_u32 v25, v23, s30
	v_mul_lo_u32 v26, v22, s31
	v_mad_u64_u32 v[22:23], s[20:21], v22, s30, 0
	v_add_u32_e32 v24, 3, v24
	v_add3_u32 v23, v23, v26, v25
	v_ashrrev_i32_e32 v25, 31, v24
	v_mul_lo_u32 v28, v25, s30
	v_mul_lo_u32 v29, v24, s31
	v_mad_u64_u32 v[24:25], s[20:21], v24, s30, 0
	s_add_u32 s20, s42, s66
	s_addc_u32 s21, s43, 0
	s_lshl_b64 s[20:21], s[20:21], 8
	v_lshl_add_u64 v[18:19], v[18:19], 2, s[44:45]
	v_lshl_add_u64 v[20:21], v[20:21], 2, s[44:45]
	;; [unrolled: 1-line block ×3, first 2 shown]
	v_add3_u32 v25, v25, v29, v28
	v_lshl_add_u64 v[22:23], v[22:23], 2, s[44:45]
	global_load_ushort v38, v[26:27], off
	global_load_ushort v39, v[26:27], off offset:256
	global_load_ushort v40, v[26:27], off offset:512
	;; [unrolled: 1-line block ×3, first 2 shown]
	global_load_dword v42, v[18:19], off
	v_lshl_add_u64 v[18:19], v[24:25], 2, s[44:45]
	global_load_dword v43, v[20:21], off
	global_load_dword v44, v[22:23], off
	;; [unrolled: 1-line block ×3, first 2 shown]
	s_load_dword s20, s[46:47], 0x0
	ds_read2st64_b64 v[24:27], v85 offset1:1
	ds_read2st64_b64 v[28:31], v85 offset0:2 offset1:3
	ds_read_b64 v[22:23], v80 offset:24576
	ds_read_b64 v[32:33], v82 offset:24576
	;; [unrolled: 1-line block ×4, first 2 shown]
	s_waitcnt lgkmcnt(0)
	v_mfma_f32_16x16x16_bf16 a[0:3], v[22:23], v[24:25], a[0:3]
	v_mov_b32_e32 v103, 0
	v_mov_b32_e32 v18, 0
	v_mov_b32_e32 v19, 0
	v_mfma_f32_16x16x16_bf16 a[0:3], v[32:33], v[26:27], a[0:3]
	v_mov_b32_e32 v20, 0
	v_mov_b32_e32 v21, 0
	v_mov_b32_e32 v22, 0
	;; [unrolled: 4-line block ×4, first 2 shown]
	v_mov_b32_e32 v29, 0
	s_and_b64 vcc, exec, s[0:1]
	s_waitcnt vmcnt(7)
	v_lshlrev_b32_e32 v34, 16, v38
	s_waitcnt vmcnt(6)
	v_lshlrev_b32_e32 v35, 16, v39
	;; [unrolled: 2-line block ×4, first 2 shown]
	s_waitcnt vmcnt(3)
	v_sub_f32_e32 v38, s20, v42
	s_waitcnt vmcnt(2)
	v_sub_f32_e32 v39, s20, v43
	s_waitcnt vmcnt(1)
	v_sub_f32_e32 v40, s20, v44
	s_waitcnt vmcnt(0)
	v_sub_f32_e32 v41, s20, v104
	v_mul_f32_e32 v38, 0x3fb8aa3b, v38
	v_mul_f32_e32 v39, 0x3fb8aa3b, v39
	;; [unrolled: 1-line block ×4, first 2 shown]
	v_exp_f32_e32 v38, v38
	v_exp_f32_e32 v39, v39
	;; [unrolled: 1-line block ×4, first 2 shown]
	v_accvgpr_read_b32 v33, a1
	v_accvgpr_read_b32 v31, a3
	;; [unrolled: 1-line block ×4, first 2 shown]
	v_pk_add_f32 v[32:33], v[34:35], v[32:33] neg_lo:[0,1] neg_hi:[0,1]
	v_pk_add_f32 v[30:31], v[36:37], v[30:31] neg_lo:[0,1] neg_hi:[0,1]
	v_pk_mul_f32 v[32:33], v[38:39], v[32:33]
	v_pk_mul_f32 v[30:31], v[40:41], v[30:31]
	s_nop 0
	v_perm_b32 v31, v31, v30, s35
	v_perm_b32 v30, v33, v32, s35
	ds_write_b64 v77, v[30:31]
	v_mov_b32_e32 v30, 0
	v_mov_b32_e32 v31, 0
	;; [unrolled: 1-line block ×4, first 2 shown]
	s_cbranch_vccnz .LBB602_14
; %bb.13:                               ;   in Loop: Header=BB602_6 Depth=1
	s_and_b32 s25, s25, 0xffff
	s_mov_b32 s27, s23
	buffer_load_dwordx4 v[30:33], v87, s[24:27], 0 offen
	buffer_load_dwordx4 v[22:25], v87, s[24:27], s65 offen
	;; [unrolled: 1-line block ×4, first 2 shown]
	v_mov_b32_e32 v102, v71
	v_mov_b32_e32 v103, v70
.LBB602_14:                             ;   in Loop: Header=BB602_6 Depth=1
	s_waitcnt lgkmcnt(0)
	s_barrier
	ds_read_b64 v[34:35], v90
	ds_read_b64 v[40:41], v91
	ds_read2st64_b64 v[36:39], v85 offset1:1
	ds_read2st64_b64 v[104:107], v85 offset0:2 offset1:3
	ds_read_b64 v[42:43], v92
	ds_read_b64 v[112:113], v93
	s_add_i32 s21, s61, s70
	s_mul_hi_i32 s25, s21, s13
	s_mul_i32 s21, s21, s13
	s_waitcnt lgkmcnt(3)
	v_mfma_f32_16x16x16_bf16 a[0:3], v[34:35], v[36:37], 0
	ds_read_b64 v[34:35], v95
	s_add_u32 s24, s21, s33
	s_addc_u32 s25, s25, s48
	s_add_i32 s21, s3, s66
	v_mfma_f32_16x16x16_bf16 a[0:3], v[40:41], v[38:39], a[0:3]
	ds_read_b64 v[40:41], v96
	s_lshl_b64 s[24:25], s[24:25], 15
	s_mul_hi_i32 s27, s21, s13
	s_mul_i32 s21, s21, s13
	s_add_u32 s46, s21, s33
	s_addc_u32 s47, s27, s48
	s_lshl_b64 s[46:47], s[46:47], 9
	s_add_u32 s46, s16, s46
	s_waitcnt lgkmcnt(1)
	v_mfma_f32_16x16x16_bf16 a[4:7], v[34:35], v[36:37], 0
	s_addc_u32 s47, s17, s47
	s_and_b64 vcc, exec, s[0:1]
	v_mfma_f32_16x16x16_bf16 a[0:3], v[42:43], v[104:105], a[0:3]
	ds_read_b64 v[42:43], v97
	ds_read_b64 v[114:115], v98
	global_load_dwordx4 v[34:37], v94, s[46:47]
	s_waitcnt lgkmcnt(2)
	v_mfma_f32_16x16x16_bf16 a[4:7], v[40:41], v[38:39], a[4:7]
	global_load_dwordx4 v[38:41], v89, s[46:47]
	ds_read_b64 v[108:109], v59
	ds_read_b64 v[110:111], v86
	s_waitcnt lgkmcnt(3)
	v_mfma_f32_16x16x16_bf16 a[8:11], v[42:43], v[104:105], a[4:7]
	v_lshl_add_u64 v[42:43], v[60:61], 0, s[24:25]
	s_waitcnt lgkmcnt(0)
	global_store_dwordx4 v[42:43], v[108:111], off
	v_mfma_f32_16x16x16_bf16 a[4:7], v[112:113], v[106:107], a[0:3]
	s_waitcnt vmcnt(2)
	v_mov_b32_e32 v44, v37
	v_mfma_f32_16x16x16_bf16 a[0:3], v[114:115], v[106:107], a[8:11]
	v_mov_b32_e32 v43, v36
	v_mov_b32_e32 v42, v35
	s_cbranch_vccnz .LBB602_16
; %bb.15:                               ;   in Loop: Header=BB602_6 Depth=1
	v_lshrrev_b32_e32 v35, 3, v102
	v_and_b32_e32 v35, 6, v35
	v_xor_b32_e32 v36, v35, v103
	v_lshlrev_b32_e32 v36, 2, v36
	v_and_b32_e32 v37, 8, v102
	v_xor_b32_e32 v102, 0x440, v36
	v_cmp_eq_u32_e32 vcc, 0, v37
	v_perm_b32 v37, v22, v18, s67
	s_nop 0
	v_cndmask_b32_e32 v36, v102, v36, vcc
	v_lshl_or_b32 v35, v35, 10, v36
	v_perm_b32 v36, v30, v26, s67
	s_barrier
	ds_write2st64_b32 v35, v36, v37 offset1:32
	v_xor_b32_e32 v36, 8, v35
	v_perm_b32 v26, v30, v26, s68
	v_perm_b32 v18, v22, v18, s68
	v_add_u32_e32 v22, 0x80, v36
	ds_write2st64_b32 v22, v26, v18 offset1:32
	v_xor_b32_e32 v18, 16, v35
	v_perm_b32 v22, v31, v27, s67
	v_perm_b32 v26, v23, v19, s67
	ds_write2st64_b32 v18, v22, v26 offset0:1 offset1:33
	v_xor_b32_e32 v18, 24, v35
	v_perm_b32 v22, v31, v27, s68
	v_perm_b32 v19, v23, v19, s68
	v_add_u32_e32 v18, 0x80, v18
	ds_write2st64_b32 v18, v22, v19 offset0:1 offset1:33
	v_xor_b32_e32 v18, 32, v35
	v_perm_b32 v19, v32, v28, s67
	v_perm_b32 v22, v24, v20, s67
	ds_write2st64_b32 v18, v19, v22 offset0:2 offset1:34
	v_xor_b32_e32 v18, 40, v35
	v_perm_b32 v19, v32, v28, s68
	v_perm_b32 v20, v24, v20, s68
	v_add_u32_e32 v18, 0x80, v18
	ds_write2st64_b32 v18, v19, v20 offset0:2 offset1:34
	v_xor_b32_e32 v18, 48, v35
	v_perm_b32 v19, v33, v29, s67
	v_perm_b32 v20, v25, v21, s67
	ds_write2st64_b32 v18, v19, v20 offset0:3 offset1:35
	v_xor_b32_e32 v18, 56, v35
	v_perm_b32 v19, v33, v29, s68
	v_perm_b32 v20, v25, v21, s68
	v_add_u32_e32 v18, 0x80, v18
	ds_write2st64_b32 v18, v19, v20 offset0:3 offset1:35
	ds_write_b64 v101, v[14:15] offset:16384
	v_xor_b32_e32 v14, 8, v101
	ds_write_b64 v14, v[16:17] offset:16384
	ds_write_b64 v101, v[10:11] offset:24576
	;; [unrolled: 1-line block ×4, first 2 shown]
	v_xor_b32_e32 v6, 8, v100
	ds_write_b64 v6, v[8:9] offset:16384
	ds_write_b64 v100, v[2:3] offset:24576
	;; [unrolled: 1-line block ×3, first 2 shown]
.LBB602_16:                             ;   in Loop: Header=BB602_6 Depth=1
	v_mul_f32_e32 v6, s20, v99
	v_exp_f32_e32 v10, v6
	s_waitcnt vmcnt(1)
	v_mul_f32_e32 v6, 0x3fb8aa3b, v38
	v_exp_f32_e32 v12, v6
	v_mul_f32_e32 v6, 0x3fb8aa3b, v39
	v_exp_f32_e32 v13, v6
	;; [unrolled: 2-line block ×4, first 2 shown]
	v_accvgpr_read_b32 v2, a4
	v_accvgpr_read_b32 v3, a5
	v_pk_mul_f32 v[12:13], v[10:11], v[12:13] op_sel_hi:[0,1]
	v_pk_fma_f32 v[52:53], v[52:53], v[12:13], v[2:3]
	v_pk_mul_f32 v[2:3], v[10:11], v[14:15] op_sel_hi:[0,1]
	v_mul_f32_e32 v11, 0x3fb8aa3b, v34
	v_exp_f32_e32 v12, v11
	v_mul_f32_e32 v11, 0x3fb8aa3b, v42
	v_exp_f32_e32 v13, v11
	;; [unrolled: 2-line block ×4, first 2 shown]
	v_accvgpr_read_b32 v4, a6
	v_accvgpr_read_b32 v5, a7
	;; [unrolled: 1-line block ×5, first 2 shown]
	v_pk_fma_f32 v[56:57], v[56:57], v[2:3], v[4:5]
	v_pk_mul_f32 v[2:3], v[10:11], v[12:13] op_sel_hi:[0,1]
	v_accvgpr_read_b32 v8, a2
	v_pk_fma_f32 v[50:51], v[50:51], v[2:3], v[6:7]
	v_pk_mul_f32 v[2:3], v[10:11], v[14:15] op_sel_hi:[0,1]
	s_add_i32 s66, s66, 64
	s_cmp_eq_u32 s58, s37
	v_pk_fma_f32 v[54:55], v[54:55], v[2:3], v[8:9]
	s_cbranch_scc1 .LBB602_18
; %bb.17:                               ;   in Loop: Header=BB602_6 Depth=1
	s_mov_b32 s70, s37
	s_branch .LBB602_6
.LBB602_18:
	s_lshl_b32 s41, s58, 6
	s_sub_i32 s43, s12, s41
	s_cmp_gt_i32 s43, 0
	s_cbranch_scc0 .LBB602_75
; %bb.19:
	s_ashr_i32 s3, s41, 31
	s_cmpk_lg_i32 s15, 0x80
	s_cselect_b64 s[26:27], -1, 0
	s_and_b64 vcc, exec, s[26:27]
	s_cbranch_vccz .LBB602_21
; %bb.20:
	s_mul_hi_i32 s0, s57, s12
	s_add_u32 s1, s49, s41
	s_addc_u32 s0, s0, s3
	s_mul_i32 s20, s1, s59
	s_mul_hi_u32 s21, s1, s14
	s_add_i32 s20, s21, s20
	s_mul_i32 s0, s0, s14
	s_add_i32 s20, s20, s0
	s_mul_i32 s1, s1, s14
	s_ashr_i32 s0, s60, 31
	s_add_u32 s44, s1, s60
	s_addc_u32 s45, s20, s0
	s_cbranch_execz .LBB602_22
	s_branch .LBB602_23
.LBB602_21:
                                        ; implicit-def: $sgpr44_sgpr45
.LBB602_22:
	s_mul_hi_i32 s0, s57, s14
	s_mul_i32 s57, s57, s14
	s_ashr_i32 s1, s60, 31
	s_add_u32 s14, s57, s60
	s_addc_u32 s0, s0, s1
	s_mul_i32 s1, s14, s56
	s_mul_hi_u32 s20, s14, s12
	s_add_i32 s1, s20, s1
	s_mul_i32 s0, s0, s12
	s_add_i32 s1, s1, s0
	s_mul_i32 s14, s14, s12
	s_add_u32 s44, s14, s41
	s_addc_u32 s45, s1, s3
.LBB602_23:
	s_mul_i32 s0, s40, s56
	s_add_i32 s0, s62, s0
	s_add_i32 s14, s61, s58
	;; [unrolled: 1-line block ×3, first 2 shown]
	s_add_u32 s0, s42, s41
	s_addc_u32 s1, s1, s3
	s_mov_b32 s3, 0x7060302
	v_lshlrev_b32_e32 v6, 3, v65
	s_lshl_b64 s[24:25], s[0:1], 8
	v_perm_b32 v3, v57, v56, s3
	v_perm_b32 v2, v53, v52, s3
	;; [unrolled: 1-line block ×4, first 2 shown]
	v_lshlrev_b32_e32 v34, 2, v65
	v_lshl_or_b32 v6, v68, 5, v6
	s_add_u32 s0, s6, s24
	ds_write2st64_b64 v6, v[2:3], v[4:5] offset0:72 offset1:76
	v_xor_b32_e32 v6, v68, v34
	v_lshlrev_b32_e32 v7, 8, v65
	s_addc_u32 s1, s7, s25
	v_lshl_or_b32 v6, v6, 1, v7
	s_mul_hi_i32 s3, s14, s13
	s_mul_i32 s14, s14, s13
	ds_write_b64 v6, v[2:3] offset:32768
	v_xor_b32_e32 v2, v69, v34
	s_add_u32 s6, s14, s33
	v_lshl_or_b32 v2, v2, 1, v7
	s_addc_u32 s7, s3, s48
	v_lshlrev_b32_e32 v3, 1, v65
	ds_write_b64 v2, v[4:5] offset:32768
	v_lshrrev_b32_e32 v2, 4, v0
	s_ashr_i32 s3, s2, 31
	s_lshl_b64 s[6:7], s[6:7], 15
	v_or_b32_e32 v4, 1, v3
	s_add_u32 s6, s38, s6
	v_xor_b32_e32 v3, v2, v3
	v_xor_b32_e32 v4, v4, v2
	v_lshlrev_b32_e32 v6, 8, v2
	s_addc_u32 s7, s39, s7
	s_lshl_b64 s[2:3], s[2:3], 8
	v_lshl_or_b32 v2, v3, 3, v6
	v_lshl_or_b32 v4, v4, 3, v6
	s_waitcnt lgkmcnt(0)
	s_barrier
	s_add_u32 s2, s6, s2
	ds_read_b64 v[2:3], v2 offset:32768
	ds_read_b64 v[4:5], v4 offset:32768
	s_addc_u32 s3, s7, s3
	v_mov_b32_e32 v7, 0
	s_cmp_lg_u32 s43, 64
	v_lshl_add_u64 v[8:9], s[2:3], 0, v[6:7]
	v_lshlrev_b32_e32 v6, 4, v65
	s_cselect_b64 s[6:7], -1, 0
	v_lshl_or_b32 v36, v1, 3, v67
	s_mov_b32 s20, 0
	v_lshl_add_u64 v[6:7], v[8:9], 0, v[6:7]
	v_or_b32_e32 v19, 32, v36
	v_and_b32_e32 v18, 56, v66
	s_and_b64 vcc, exec, s[6:7]
	s_waitcnt lgkmcnt(0)
	global_store_dwordx4 v[6:7], v[2:5], off
	s_cbranch_vccz .LBB602_29
; %bb.24:
	s_mov_b32 s21, s20
	s_mov_b32 s22, s20
	;; [unrolled: 1-line block ×3, first 2 shown]
	v_mov_b64_e32 v[6:7], s[20:21]
	v_mov_b64_e32 v[8:9], s[22:23]
	;; [unrolled: 1-line block ×3, first 2 shown]
	v_cmp_gt_i32_e32 vcc, s43, v36
	v_mov_b64_e32 v[4:5], v[8:9]
	s_and_saveexec_b64 s[2:3], vcc
	s_cbranch_execz .LBB602_26
; %bb.25:
	v_lshlrev_b32_e32 v2, 8, v36
	v_mov_b32_e32 v3, 0
	v_lshl_add_u64 v[4:5], s[0:1], 0, v[2:3]
	v_lshlrev_b32_e32 v2, 1, v18
	v_lshl_add_u64 v[10:11], v[4:5], 0, v[2:3]
	global_load_dwordx4 v[6:9], v[10:11], off
	global_load_dwordx4 v[2:5], v[10:11], off offset:128
.LBB602_26:
	s_or_b64 exec, exec, s[2:3]
	s_mov_b32 s21, s20
	s_mov_b32 s22, s20
	;; [unrolled: 1-line block ×3, first 2 shown]
	v_mov_b64_e32 v[14:15], s[20:21]
	v_mov_b64_e32 v[16:17], s[22:23]
	v_mov_b64_e32 v[10:11], v[14:15]
	v_cmp_gt_i32_e32 vcc, s43, v19
	v_lshlrev_b32_e32 v20, 7, v19
	v_mov_b64_e32 v[12:13], v[16:17]
	s_and_saveexec_b64 s[2:3], vcc
	s_cbranch_execz .LBB602_28
; %bb.27:
	v_lshlrev_b32_e32 v10, 1, v20
	v_mov_b32_e32 v11, 0
	v_lshl_add_u64 v[12:13], s[0:1], 0, v[10:11]
	v_lshlrev_b32_e32 v10, 1, v18
	v_lshl_add_u64 v[22:23], v[12:13], 0, v[10:11]
	global_load_dwordx4 v[14:17], v[22:23], off
	global_load_dwordx4 v[10:13], v[22:23], off offset:128
.LBB602_28:
	s_or_b64 exec, exec, s[2:3]
	v_lshrrev_b32_e32 v21, 3, v18
	v_lshlrev_b32_e32 v22, 3, v36
	v_or_b32_e32 v21, v22, v21
	v_lshlrev_b32_e32 v21, 4, v21
	v_and_b32_e32 v22, 0x78, v22
	v_xor_b32_e32 v21, v21, v22
	s_branch .LBB602_31
.LBB602_29:
                                        ; implicit-def: $vgpr21
                                        ; implicit-def: $vgpr20
                                        ; implicit-def: $vgpr6_vgpr7_vgpr8_vgpr9
                                        ; implicit-def: $vgpr2_vgpr3_vgpr4_vgpr5
                                        ; implicit-def: $vgpr14_vgpr15_vgpr16_vgpr17
                                        ; implicit-def: $vgpr10_vgpr11_vgpr12_vgpr13
	s_cbranch_execz .LBB602_31
; %bb.30:
	s_waitcnt vmcnt(0)
	v_lshlrev_b32_e32 v2, 1, v18
	v_lshl_or_b32 v20, v36, 8, v2
	s_and_b32 s1, s1, 0xffff
	s_mov_b32 s3, 0x20000
	s_movk_i32 s2, 0x4000
	v_lshl_or_b32 v21, v19, 8, v2
	s_movk_i32 s14, 0x80
	buffer_load_dwordx4 v[6:9], v20, s[0:3], 0 offen
	buffer_load_dwordx4 v[2:5], v20, s[0:3], s14 offen
	;; [unrolled: 1-line block ×4, first 2 shown]
	v_lshrrev_b32_e32 v20, 3, v18
	v_lshlrev_b32_e32 v21, 3, v36
	v_or_b32_e32 v20, v21, v20
	v_lshlrev_b32_e32 v20, 4, v20
	v_and_b32_e32 v21, 0x78, v21
	v_xor_b32_e32 v21, v20, v21
	v_lshlrev_b32_e32 v20, 7, v19
.LBB602_31:
	s_lshl_b64 s[0:1], s[44:45], 8
	s_add_u32 s4, s4, s0
	s_movk_i32 s0, 0x1000
	v_and_or_b32 v19, v20, s0, v21
	s_waitcnt vmcnt(1)
	ds_write_b64 v21, v[6:7] offset:16384
	v_xor_b32_e32 v6, 8, v21
	ds_write_b64 v6, v[8:9] offset:16384
	s_waitcnt vmcnt(0)
	ds_write_b64 v21, v[2:3] offset:24576
	ds_write_b64 v6, v[4:5] offset:24576
	;; [unrolled: 1-line block ×3, first 2 shown]
	v_xor_b32_e32 v2, 8, v19
	ds_write_b64 v2, v[16:17] offset:16384
	ds_write_b64 v19, v[10:11] offset:24576
	;; [unrolled: 1-line block ×3, first 2 shown]
	v_or_b32_e32 v2, v45, v65
	s_addc_u32 s5, s5, s1
	s_add_i32 s14, s12, -1
	v_lshlrev_b32_e32 v2, 3, v2
	v_lshrrev_b32_e32 v4, 5, v49
	s_movk_i32 s12, 0xf8
	v_and_or_b32 v4, v2, s12, v4
	v_lshlrev_b32_e32 v35, 11, v1
	v_lshlrev_b32_e32 v12, 4, v4
	v_and_b32_e32 v13, 0x78, v2
	v_and_b32_e32 v14, 0x1000, v35
	v_lshlrev_b32_e32 v3, 2, v0
	v_xor_b32_e32 v2, v12, v13
	v_lshrrev_b32_e32 v4, 1, v49
	v_and_b32_e32 v3, 60, v3
	v_or_b32_e32 v2, v2, v14
	v_and_b32_e32 v15, 8, v4
	v_xor_b32_e32 v26, v2, v15
	v_lshl_or_b32 v2, v64, 6, v3
	v_lshlrev_b32_e32 v37, 1, v2
	v_or_b32_e32 v2, 32, v12
	v_xor_b32_e32 v2, v2, v13
	s_waitcnt lgkmcnt(0)
	s_barrier
	ds_read_b64 v[10:11], v26 offset:16384
	v_or_b32_e32 v2, v2, v14
	v_xor_b32_e32 v27, v2, v15
	v_or_b32_e32 v2, 64, v12
	v_xor_b32_e32 v2, v2, v13
	v_or_b32_e32 v2, v2, v14
	v_or_b32_e32 v12, 0x60, v12
	v_xor_b32_e32 v28, v2, v15
	ds_read2st64_b64 v[2:5], v37 offset0:72 offset1:73
	ds_read2st64_b64 v[6:9], v37 offset0:74 offset1:75
	v_xor_b32_e32 v16, v12, v13
	ds_read_b64 v[12:13], v27 offset:16384
	s_add_i32 s0, s51, s50
	s_waitcnt lgkmcnt(2)
	v_mfma_f32_16x16x16_bf16 a[0:3], v[10:11], v[2:3], 0
	s_add_i32 s37, s0, s55
	s_add_i32 s0, s53, s52
	;; [unrolled: 1-line block ×3, first 2 shown]
	s_ashr_i32 s0, s14, 31
	s_mul_i32 s1, s14, s31
	s_mul_hi_u32 s2, s14, s30
	s_add_i32 s1, s2, s1
	s_mul_i32 s0, s0, s30
	v_or_b32_e32 v14, v16, v14
	s_add_i32 s1, s1, s0
	s_lshl_b64 s[2:3], s[36:37], 2
	v_xor_b32_e32 v38, v14, v15
	ds_read_b64 v[14:15], v28 offset:16384
	ds_read_b64 v[16:17], v38 offset:16384
	s_waitcnt lgkmcnt(2)
	v_mfma_f32_16x16x16_bf16 a[0:3], v[12:13], v[4:5], a[0:3]
	s_add_u32 s10, s10, s2
	s_addc_u32 s11, s11, s3
	s_lshl_b64 s[2:3], s[34:35], 2
	s_mul_i32 s0, s14, s30
	s_add_u32 s10, s10, s2
	s_addc_u32 s11, s11, s3
	s_lshl_b64 s[0:1], s[0:1], 2
	s_waitcnt lgkmcnt(1)
	v_mfma_f32_16x16x16_bf16 a[0:3], v[14:15], v[6:7], a[0:3]
	s_add_u32 s0, s10, s0
	s_addc_u32 s1, s11, s1
	s_load_dword s12, s[0:1], 0x0
	s_waitcnt lgkmcnt(0)
	v_mfma_f32_16x16x16_bf16 a[0:3], v[16:17], v[8:9], a[0:3]
	s_and_b64 vcc, exec, s[26:27]
	s_cbranch_vccz .LBB602_42
; %bb.32:
	v_lshlrev_b32_e32 v19, 1, v36
	s_and_b64 vcc, exec, s[6:7]
	s_cbranch_vccz .LBB602_43
; %bb.33:
	v_cmp_gt_i32_e32 vcc, s43, v19
	v_mov_b32_e32 v6, 0
	v_mov_b32_e32 v2, 0
	;; [unrolled: 1-line block ×5, first 2 shown]
	s_and_saveexec_b64 s[0:1], vcc
	s_cbranch_execz .LBB602_35
; %bb.34:
	v_mad_i64_i32 v[2:3], s[2:3], s15, v19, 0
	v_lshl_add_u64 v[2:3], v[2:3], 1, s[4:5]
	v_lshlrev_b32_e32 v4, 1, v18
	v_mov_b32_e32 v5, 0
	v_lshl_add_u64 v[2:3], v[2:3], 0, v[4:5]
	global_load_dwordx4 v[2:5], v[2:3], off
.LBB602_35:
	s_or_b64 exec, exec, s[0:1]
	v_or_b32_e32 v20, 1, v19
	v_cmp_gt_i32_e64 s[0:1], s43, v20
	v_mov_b32_e32 v7, 0
	v_mov_b32_e32 v8, 0
	;; [unrolled: 1-line block ×3, first 2 shown]
	s_and_saveexec_b64 s[2:3], s[0:1]
	s_cbranch_execz .LBB602_37
; %bb.36:
	v_mad_i64_i32 v[6:7], s[20:21], s15, v20, 0
	v_lshl_add_u64 v[6:7], v[6:7], 1, s[4:5]
	v_lshlrev_b32_e32 v8, 1, v18
	v_mov_b32_e32 v9, 0
	v_lshl_add_u64 v[6:7], v[6:7], 0, v[8:9]
	global_load_dwordx4 v[6:9], v[6:7], off
.LBB602_37:
	s_or_b64 exec, exec, s[2:3]
	v_mov_b32_e32 v17, 0
	v_mov_b32_e32 v10, 0
	;; [unrolled: 1-line block ×5, first 2 shown]
	s_and_saveexec_b64 s[2:3], vcc
	s_cbranch_execz .LBB602_39
; %bb.38:
	v_mad_i64_i32 v[10:11], s[20:21], s15, v19, 0
	v_lshl_add_u64 v[10:11], v[10:11], 1, s[4:5]
	v_lshlrev_b32_e32 v12, 1, v18
	v_mov_b32_e32 v13, 0
	v_lshl_add_u64 v[10:11], v[10:11], 0, v[12:13]
	global_load_dwordx4 v[10:13], v[10:11], off offset:128
.LBB602_39:
	s_or_b64 exec, exec, s[2:3]
	v_mov_b32_e32 v16, 0
	v_mov_b32_e32 v15, 0
	v_mov_b32_e32 v14, 0
	s_and_saveexec_b64 s[2:3], s[0:1]
	s_cbranch_execz .LBB602_41
; %bb.40:
	v_mad_i64_i32 v[14:15], s[0:1], s15, v20, 0
	v_lshl_add_u64 v[14:15], v[14:15], 1, s[4:5]
	v_lshlrev_b32_e32 v16, 1, v18
	v_mov_b32_e32 v17, 0
	v_lshl_add_u64 v[14:15], v[14:15], 0, v[16:17]
	global_load_dwordx4 v[14:17], v[14:15], off offset:128
.LBB602_41:
	s_or_b64 exec, exec, s[2:3]
	s_branch .LBB602_45
.LBB602_42:
                                        ; implicit-def: $vgpr5
                                        ; implicit-def: $vgpr9
                                        ; implicit-def: $vgpr13
                                        ; implicit-def: $vgpr17
	v_lshrrev_b32_e32 v19, 2, v49
	s_branch .LBB602_46
.LBB602_43:
                                        ; implicit-def: $vgpr5
                                        ; implicit-def: $vgpr9
                                        ; implicit-def: $vgpr13
                                        ; implicit-def: $vgpr17
	s_cbranch_execz .LBB602_45
; %bb.44:
	s_waitcnt vmcnt(0)
	v_mad_u64_u32 v[2:3], s[0:1], v19, s15, v[18:19]
	v_lshlrev_b32_e32 v19, 1, v2
	s_lshl_b32 s2, s15, 7
	s_and_b32 s1, s5, 0xffff
	s_mov_b32 s3, 0x20000
	s_mov_b32 s0, s4
	v_add_lshl_u32 v20, v2, s15, 1
	s_movk_i32 s15, 0x80
	buffer_load_dwordx4 v[2:5], v19, s[0:3], 0 offen
	buffer_load_dwordx4 v[10:13], v19, s[0:3], s15 offen
	;; [unrolled: 1-line block ×4, first 2 shown]
.LBB602_45:
	v_lshrrev_b32_e32 v19, 2, v49
	s_cbranch_execnz .LBB602_58
.LBB602_46:
	s_and_b64 vcc, exec, s[6:7]
	s_cbranch_vccz .LBB602_56
; %bb.47:
	s_waitcnt vmcnt(0)
	v_lshlrev_b32_e32 v7, 1, v36
	v_cmp_gt_i32_e32 vcc, s43, v7
	v_mov_b32_e32 v6, 0
	v_lshlrev_b32_e32 v14, 9, v36
	v_mov_b32_e32 v2, 0
	v_mov_b32_e32 v3, 0
	v_mov_b32_e32 v4, 0
	v_mov_b32_e32 v5, 0
	s_and_saveexec_b64 s[0:1], vcc
	s_cbranch_execz .LBB602_49
; %bb.48:
	v_mov_b32_e32 v15, 0
	v_lshl_add_u64 v[2:3], s[4:5], 0, v[14:15]
	v_lshlrev_b32_e32 v4, 1, v18
	v_mov_b32_e32 v5, v15
	v_lshl_add_u64 v[2:3], v[2:3], 0, v[4:5]
	global_load_dwordx4 v[2:5], v[2:3], off
.LBB602_49:
	s_or_b64 exec, exec, s[0:1]
	v_or_b32_e32 v7, 1, v7
	v_cmp_gt_i32_e64 s[0:1], s43, v7
	v_lshlrev_b32_e32 v20, 8, v7
	v_mov_b32_e32 v7, 0
	v_mov_b32_e32 v8, 0
	;; [unrolled: 1-line block ×3, first 2 shown]
	s_and_saveexec_b64 s[2:3], s[0:1]
	s_cbranch_execz .LBB602_51
; %bb.50:
	v_mov_b32_e32 v21, 0
	v_lshl_add_u64 v[6:7], s[4:5], 0, v[20:21]
	v_lshlrev_b32_e32 v8, 1, v18
	v_mov_b32_e32 v9, v21
	v_lshl_add_u64 v[6:7], v[6:7], 0, v[8:9]
	global_load_dwordx4 v[6:9], v[6:7], off
.LBB602_51:
	s_or_b64 exec, exec, s[2:3]
	v_mov_b32_e32 v17, 0
	v_mov_b32_e32 v10, 0
	;; [unrolled: 1-line block ×5, first 2 shown]
	s_and_saveexec_b64 s[2:3], vcc
	s_cbranch_execz .LBB602_53
; %bb.52:
	v_mov_b32_e32 v15, 0
	v_lshl_add_u64 v[10:11], s[4:5], 0, v[14:15]
	v_lshlrev_b32_e32 v14, 1, v18
	v_lshl_add_u64 v[10:11], v[10:11], 0, v[14:15]
	global_load_dwordx4 v[10:13], v[10:11], off offset:128
.LBB602_53:
	s_or_b64 exec, exec, s[2:3]
	v_mov_b32_e32 v16, 0
	v_mov_b32_e32 v15, 0
	;; [unrolled: 1-line block ×3, first 2 shown]
	s_and_saveexec_b64 s[2:3], s[0:1]
	s_cbranch_execz .LBB602_55
; %bb.54:
	v_mov_b32_e32 v21, 0
	v_lshl_add_u64 v[14:15], s[4:5], 0, v[20:21]
	v_lshlrev_b32_e32 v20, 1, v18
	v_lshl_add_u64 v[14:15], v[14:15], 0, v[20:21]
	global_load_dwordx4 v[14:17], v[14:15], off offset:128
.LBB602_55:
	s_or_b64 exec, exec, s[2:3]
	s_branch .LBB602_58
.LBB602_56:
                                        ; implicit-def: $vgpr5
                                        ; implicit-def: $vgpr9
                                        ; implicit-def: $vgpr13
                                        ; implicit-def: $vgpr17
	s_cbranch_execz .LBB602_58
; %bb.57:
	s_waitcnt vmcnt(0)
	v_lshlrev_b32_e32 v2, 1, v18
	v_lshl_or_b32 v18, v36, 9, v2
	s_and_b32 s5, s5, 0xffff
	s_mov_b32 s7, 0x20000
	s_movk_i32 s6, 0x4000
	s_movk_i32 s0, 0x80
	buffer_load_dwordx4 v[2:5], v18, s[4:7], 0 offen
	buffer_load_dwordx4 v[6:9], v18, s[4:7], 0 offen offset:256
	buffer_load_dwordx4 v[10:13], v18, s[4:7], s0 offen
	buffer_load_dwordx4 v[14:17], v18, s[4:7], s0 offen offset:256
.LBB602_58:
	v_and_b32_e32 v39, 12, v19
	ds_read2st64_b64 v[22:25], v37 offset0:76 offset1:77
	ds_read2st64_b64 v[18:21], v37 offset0:78 offset1:79
	ds_read_b64 v[30:31], v26 offset:24576
	ds_read_b64 v[32:33], v27 offset:24576
	;; [unrolled: 1-line block ×4, first 2 shown]
	v_and_b32_e32 v38, 6, v0
	v_xor_b32_e32 v36, v36, v38
	v_lshlrev_b32_e32 v36, 2, v36
	v_and_b32_e32 v40, 1, v0
	v_xor_b32_e32 v41, 0x440, v36
	v_cmp_eq_u32_e32 vcc, 0, v40
	s_mov_b32 s0, 0x1000504
	s_waitcnt vmcnt(0)
	v_perm_b32 v40, v10, v14, s0
	v_cndmask_b32_e32 v36, v41, v36, vcc
	v_lshl_or_b32 v36, v38, 10, v36
	v_perm_b32 v38, v2, v6, s0
	ds_write2st64_b32 v36, v38, v40 offset1:32
	v_xor_b32_e32 v38, 8, v36
	s_mov_b32 s1, 0x3020706
	v_perm_b32 v2, v2, v6, s1
	v_perm_b32 v6, v10, v14, s1
	v_add_u32_e32 v10, 0x80, v38
	ds_write2st64_b32 v10, v2, v6 offset1:32
	v_xor_b32_e32 v2, 16, v36
	v_perm_b32 v6, v3, v7, s0
	v_perm_b32 v10, v11, v15, s0
	ds_write2st64_b32 v2, v6, v10 offset0:1 offset1:33
	v_xor_b32_e32 v2, 24, v36
	v_perm_b32 v3, v3, v7, s1
	v_perm_b32 v6, v11, v15, s1
	v_add_u32_e32 v2, 0x80, v2
	ds_write2st64_b32 v2, v3, v6 offset0:1 offset1:33
	v_xor_b32_e32 v2, 32, v36
	v_perm_b32 v3, v4, v8, s0
	v_perm_b32 v6, v12, v16, s0
	ds_write2st64_b32 v2, v3, v6 offset0:2 offset1:34
	v_xor_b32_e32 v2, 40, v36
	v_perm_b32 v3, v4, v8, s1
	v_perm_b32 v4, v12, v16, s1
	v_add_u32_e32 v2, 0x80, v2
	ds_write2st64_b32 v2, v3, v4 offset0:2 offset1:34
	v_xor_b32_e32 v2, 48, v36
	v_perm_b32 v3, v5, v9, s0
	v_perm_b32 v4, v13, v17, s0
	ds_write2st64_b32 v2, v3, v4 offset0:3 offset1:35
	v_xor_b32_e32 v2, 56, v36
	v_or_b32_e32 v8, v39, v45
	v_perm_b32 v3, v5, v9, s1
	v_perm_b32 v4, v13, v17, s1
	v_add_u32_e32 v2, 0x80, v2
	v_cmp_gt_i32_e32 vcc, s43, v8
	v_mov_b32_e32 v9, 0
	v_mov_b32_e32 v13, 0
	ds_write2st64_b32 v2, v3, v4 offset0:3 offset1:35
	s_and_saveexec_b64 s[0:1], vcc
	s_cbranch_execz .LBB602_60
; %bb.59:
	v_add_u32_e32 v2, s41, v8
	v_ashrrev_i32_e32 v3, 31, v2
	v_mul_lo_u32 v4, v3, s30
	v_mul_lo_u32 v5, v2, s31
	v_mad_u64_u32 v[2:3], s[2:3], v2, s30, 0
	v_add3_u32 v3, v3, v5, v4
	v_lshl_add_u64 v[2:3], v[2:3], 2, s[10:11]
	global_load_dword v2, v[2:3], off
	s_waitcnt vmcnt(0)
	v_sub_f32_e32 v2, s12, v2
	v_mul_f32_e32 v2, 0x3fb8aa3b, v2
	v_exp_f32_e32 v13, v2
.LBB602_60:
	s_or_b64 exec, exec, s[0:1]
	v_or_b32_e32 v11, 1, v8
	v_cmp_gt_i32_e64 s[0:1], s43, v11
	s_and_saveexec_b64 s[2:3], s[0:1]
	s_cbranch_execz .LBB602_62
; %bb.61:
	v_add_u32_e32 v2, s41, v11
	v_ashrrev_i32_e32 v3, 31, v2
	v_mul_lo_u32 v4, v3, s30
	v_mul_lo_u32 v5, v2, s31
	v_mad_u64_u32 v[2:3], s[4:5], v2, s30, 0
	v_add3_u32 v3, v3, v5, v4
	v_lshl_add_u64 v[2:3], v[2:3], 2, s[10:11]
	global_load_dword v2, v[2:3], off
	s_waitcnt vmcnt(0)
	v_sub_f32_e32 v2, s12, v2
	v_mul_f32_e32 v2, 0x3fb8aa3b, v2
	v_exp_f32_e32 v9, v2
.LBB602_62:
	s_or_b64 exec, exec, s[2:3]
	v_or_b32_e32 v12, 2, v8
	v_cmp_gt_i32_e64 s[2:3], s43, v12
	v_mov_b32_e32 v10, 0
	v_mov_b32_e32 v15, 0
	s_and_saveexec_b64 s[4:5], s[2:3]
	s_cbranch_execz .LBB602_64
; %bb.63:
	v_add_u32_e32 v2, s41, v12
	v_ashrrev_i32_e32 v3, 31, v2
	v_mul_lo_u32 v4, v3, s30
	v_mul_lo_u32 v5, v2, s31
	v_mad_u64_u32 v[2:3], s[6:7], v2, s30, 0
	v_add3_u32 v3, v3, v5, v4
	v_lshl_add_u64 v[2:3], v[2:3], 2, s[10:11]
	global_load_dword v2, v[2:3], off
	s_waitcnt vmcnt(0)
	v_sub_f32_e32 v2, s12, v2
	v_mul_f32_e32 v2, 0x3fb8aa3b, v2
	v_exp_f32_e32 v15, v2
.LBB602_64:
	s_or_b64 exec, exec, s[4:5]
	v_or_b32_e32 v14, 3, v8
	v_cmp_gt_i32_e64 s[4:5], s43, v14
	s_and_saveexec_b64 s[6:7], s[4:5]
	s_cbranch_execz .LBB602_66
; %bb.65:
	v_add_u32_e32 v2, s41, v14
	v_ashrrev_i32_e32 v3, 31, v2
	v_mul_lo_u32 v4, v3, s30
	v_mul_lo_u32 v5, v2, s31
	v_mad_u64_u32 v[2:3], s[20:21], v2, s30, 0
	v_add3_u32 v3, v3, v5, v4
	v_lshl_add_u64 v[2:3], v[2:3], 2, s[10:11]
	global_load_dword v2, v[2:3], off
	s_waitcnt vmcnt(0)
	v_sub_f32_e32 v2, s12, v2
	v_mul_f32_e32 v2, 0x3fb8aa3b, v2
	v_exp_f32_e32 v10, v2
.LBB602_66:
	s_or_b64 exec, exec, s[6:7]
	s_waitcnt lgkmcnt(11)
	v_mfma_f32_16x16x16_bf16 a[0:3], v[30:31], v[22:23], a[0:3]
	s_add_u32 s6, s8, s24
	v_ashrrev_i32_e32 v59, 31, v58
	s_addc_u32 s7, s9, s25
	s_waitcnt lgkmcnt(10)
	v_mfma_f32_16x16x16_bf16 a[0:3], v[32:33], v[24:25], a[0:3]
	v_mov_b32_e32 v16, 0
	v_lshl_add_u64 v[6:7], v[58:59], 1, s[6:7]
	v_mov_b32_e32 v17, 0
	s_waitcnt lgkmcnt(9)
	v_mfma_f32_16x16x16_bf16 a[0:3], v[28:29], v[18:19], a[0:3]
	s_waitcnt lgkmcnt(8)
	v_mfma_f32_16x16x16_bf16 a[0:3], v[26:27], v[20:21], a[0:3]
	s_nop 6
	v_accvgpr_read_b32 v5, a3
	v_accvgpr_read_b32 v4, a2
	;; [unrolled: 1-line block ×4, first 2 shown]
	s_and_saveexec_b64 s[6:7], vcc
	s_cbranch_execz .LBB602_68
; %bb.67:
	v_lshlrev_b32_e32 v18, 8, v8
	v_mov_b32_e32 v19, 0
	v_lshl_add_u64 v[18:19], v[6:7], 0, v[18:19]
	global_load_ushort v17, v[18:19], off
	s_waitcnt vmcnt(0)
	v_lshlrev_b32_e32 v17, 16, v17
	v_sub_f32_e32 v2, v17, v2
	v_mul_f32_e32 v2, v13, v2
	v_lshrrev_b32_e32 v17, 16, v2
.LBB602_68:
	s_or_b64 exec, exec, s[6:7]
	s_and_saveexec_b64 s[6:7], s[0:1]
	s_cbranch_execz .LBB602_70
; %bb.69:
	v_lshlrev_b32_e32 v18, 8, v11
	v_mov_b32_e32 v19, 0
	v_lshl_add_u64 v[18:19], v[6:7], 0, v[18:19]
	global_load_ushort v2, v[18:19], off
	s_waitcnt vmcnt(0)
	v_lshlrev_b32_e32 v2, 16, v2
	v_sub_f32_e32 v2, v2, v3
	v_mul_f32_e32 v2, v9, v2
	v_lshrrev_b32_e32 v16, 16, v2
.LBB602_70:
	s_or_b64 exec, exec, s[6:7]
	v_mov_b32_e32 v3, 0
	v_mov_b32_e32 v9, 0
	s_and_saveexec_b64 s[0:1], s[2:3]
	s_cbranch_execz .LBB602_72
; %bb.71:
	v_lshlrev_b32_e32 v12, 8, v12
	v_mov_b32_e32 v13, 0
	v_lshl_add_u64 v[12:13], v[6:7], 0, v[12:13]
	global_load_ushort v2, v[12:13], off
	s_waitcnt vmcnt(0)
	v_lshlrev_b32_e32 v2, 16, v2
	v_sub_f32_e32 v2, v2, v4
	v_mul_f32_e32 v2, v15, v2
	v_lshrrev_b32_e32 v9, 16, v2
.LBB602_72:
	s_or_b64 exec, exec, s[0:1]
	v_or_b32_e32 v2, 0x9800, v37
	s_and_saveexec_b64 s[0:1], s[4:5]
	s_cbranch_execz .LBB602_74
; %bb.73:
	v_lshlrev_b32_e32 v12, 8, v14
	v_mov_b32_e32 v13, 0
	v_lshl_add_u64 v[6:7], v[6:7], 0, v[12:13]
	global_load_ushort v3, v[6:7], off
	s_waitcnt vmcnt(0)
	v_lshlrev_b32_e32 v3, 16, v3
	v_sub_f32_e32 v3, v3, v5
	v_mul_f32_e32 v3, v10, v3
	v_lshrrev_b32_e32 v3, 16, v3
.LBB602_74:
	s_or_b64 exec, exec, s[0:1]
	s_mov_b32 s0, 0x5040100
	v_perm_b32 v5, v3, v9, s0
	v_lshlrev_b32_e32 v3, 1, v34
	v_perm_b32 v4, v16, v17, s0
	v_lshl_or_b32 v3, v8, 5, v3
	s_movk_i32 s2, 0xff
	ds_write_b64 v3, v[4:5] offset:38912
	v_and_b32_e32 v3, 7, v0
	v_cmp_lt_u32_e32 vcc, s2, v0
	v_and_b32_e32 v4, 8, v0
	v_lshlrev_b32_e32 v12, 3, v3
	v_lshlrev_b32_e32 v24, 7, v3
	v_cndmask_b32_e64 v3, 0, 1, vcc
	v_lshrrev_b32_e32 v0, 1, v0
	v_lshlrev_b32_e32 v14, 13, v3
	v_lshlrev_b32_e32 v3, 3, v1
	v_and_b32_e32 v0, 24, v0
	v_xor_b32_e32 v5, v3, v0
	v_or_b32_e32 v6, 0x440, v5
	v_cmp_eq_u32_e32 vcc, 0, v4
	s_add_i32 s0, s14, s49
	s_mul_hi_i32 s1, s0, s13
	v_cndmask_b32_e32 v4, v6, v5, vcc
	v_or_b32_e32 v4, v4, v35
	v_xor_b32_e32 v22, v4, v12
	v_or_b32_e32 v4, 32, v0
	v_xor_b32_e32 v4, v3, v4
	v_or_b32_e32 v5, 0x440, v4
	v_cndmask_b32_e32 v4, v5, v4, vcc
	v_or_b32_e32 v4, v4, v35
	v_xor_b32_e32 v23, v4, v12
	v_or_b32_e32 v4, 64, v0
	v_xor_b32_e32 v4, v3, v4
	v_xor_b32_e32 v5, 0x440, v4
	s_mul_i32 s0, s0, s13
	v_cndmask_b32_e32 v4, v5, v4, vcc
	v_or_b32_e32 v0, 0x60, v0
	s_add_u32 s0, s0, s33
	v_add3_u32 v15, v14, v22, v24
	v_or_b32_e32 v4, v4, v35
	v_xor_b32_e32 v0, v3, v0
	s_waitcnt lgkmcnt(0)
	s_barrier
	s_addc_u32 s1, s1, s48
	v_lshlrev_b32_e32 v13, 2, v8
	v_xor_b32_e32 v25, v4, v12
	ds_read2st64_b64 v[4:7], v2 offset1:1
	ds_read2st64_b64 v[8:11], v2 offset0:2 offset1:3
	ds_read_b64 v[2:3], v15
	v_xor_b32_e32 v15, 0x440, v0
	s_lshl_b64 s[0:1], s[0:1], 9
	v_cndmask_b32_e32 v0, v15, v0, vcc
	s_add_u32 s0, s16, s0
	v_or_b32_e32 v0, v0, v35
	s_addc_u32 s1, s17, s1
	v_add3_u32 v16, v14, v23, v24
	v_add3_u32 v18, v14, v25, v24
	v_xor_b32_e32 v26, v0, v12
	v_add3_u32 v0, v14, v26, v24
	ds_read_b64 v[16:17], v16
	ds_read_b64 v[18:19], v18
	;; [unrolled: 1-line block ×3, first 2 shown]
	global_load_dwordx4 v[12:15], v13, s[0:1]
	v_lshlrev_b32_e32 v0, 6, v1
	v_lshlrev_b32_e32 v1, 2, v39
	s_movk_i32 s2, 0x100
	v_or3_b32 v0, v0, v1, s2
	s_waitcnt lgkmcnt(3)
	v_mfma_f32_16x16x16_bf16 a[0:3], v[2:3], v[4:5], 0
	global_load_dwordx4 v[0:3], v0, s[0:1]
	v_add_u32_e32 v27, v23, v24
	s_waitcnt vmcnt(1)
	v_mul_f32_e32 v12, 0x3fb8aa3b, v12
	s_waitcnt lgkmcnt(2)
	v_mfma_f32_16x16x16_bf16 a[0:3], v[16:17], v[6:7], a[0:3]
	v_mov_b32_e32 v16, 0x3fb8aa3b
	v_mul_f32_e32 v16, s12, v16
	v_mul_f32_e32 v13, 0x3fb8aa3b, v13
	s_waitcnt lgkmcnt(1)
	v_mfma_f32_16x16x16_bf16 a[0:3], v[18:19], v[8:9], a[0:3]
	v_exp_f32_e32 v16, v16
	v_add_u32_e32 v17, v22, v24
	v_exp_f32_e32 v12, v12
	s_waitcnt lgkmcnt(0)
	v_mfma_f32_16x16x16_bf16 a[0:3], v[20:21], v[10:11], a[0:3]
	v_exp_f32_e32 v13, v13
	ds_read_b64 v[22:23], v17 offset:8192
	v_mul_f32_e32 v14, 0x3fb8aa3b, v14
	v_mul_f32_e32 v15, 0x3fb8aa3b, v15
	v_pk_mul_f32 v[12:13], v[16:17], v[12:13] op_sel_hi:[0,1]
	v_exp_f32_e32 v14, v14
	v_exp_f32_e32 v15, v15
	v_accvgpr_read_b32 v21, a1
	v_accvgpr_read_b32 v20, a0
	v_pk_fma_f32 v[52:53], v[52:53], v[12:13], v[20:21]
	ds_read_b64 v[12:13], v27 offset:8192
	v_accvgpr_read_b32 v19, a3
	v_accvgpr_read_b32 v18, a2
	s_waitcnt lgkmcnt(1)
	v_mfma_f32_16x16x16_bf16 a[0:3], v[22:23], v[4:5], 0
	v_pk_mul_f32 v[14:15], v[16:17], v[14:15] op_sel_hi:[0,1]
	v_pk_fma_f32 v[56:57], v[56:57], v[14:15], v[18:19]
	v_add_u32_e32 v14, v25, v24
	v_add_u32_e32 v17, v26, v24
	ds_read_b64 v[14:15], v14 offset:8192
	ds_read_b64 v[18:19], v17 offset:8192
	s_waitcnt lgkmcnt(2)
	v_mfma_f32_16x16x16_bf16 a[0:3], v[12:13], v[6:7], a[0:3]
	s_waitcnt vmcnt(0)
	v_mov_b32_e32 v4, v3
	v_mov_b32_e32 v3, v2
	;; [unrolled: 1-line block ×3, first 2 shown]
	s_waitcnt lgkmcnt(1)
	v_mfma_f32_16x16x16_bf16 a[0:3], v[14:15], v[8:9], a[0:3]
	v_mul_f32_e32 v0, 0x3fb8aa3b, v0
	v_mul_f32_e32 v1, 0x3fb8aa3b, v2
	v_exp_f32_e32 v0, v0
	s_waitcnt lgkmcnt(0)
	v_mfma_f32_16x16x16_bf16 a[0:3], v[18:19], v[10:11], a[0:3]
	v_exp_f32_e32 v1, v1
	v_mul_f32_e32 v2, 0x3fb8aa3b, v3
	v_mul_f32_e32 v3, 0x3fb8aa3b, v4
	v_exp_f32_e32 v2, v2
	v_exp_f32_e32 v3, v3
	v_pk_mul_f32 v[0:1], v[16:17], v[0:1] op_sel_hi:[0,1]
	s_nop 0
	v_accvgpr_read_b32 v7, a1
	v_accvgpr_read_b32 v6, a0
	v_accvgpr_read_b32 v5, a3
	v_accvgpr_read_b32 v4, a2
	v_pk_fma_f32 v[50:51], v[50:51], v[0:1], v[6:7]
	v_pk_mul_f32 v[0:1], v[16:17], v[2:3] op_sel_hi:[0,1]
	v_pk_fma_f32 v[54:55], v[54:55], v[0:1], v[4:5]
.LBB602_75:
	s_add_u32 s0, s18, s28
	s_addc_u32 s1, s19, s29
	v_lshl_add_u64 v[0:1], v[46:47], 1, s[0:1]
	v_mov_b32_e32 v49, 0
	s_mov_b32 s0, 0x7060302
	v_lshl_add_u64 v[0:1], v[0:1], 0, v[48:49]
	v_perm_b32 v3, v57, v56, s0
	v_perm_b32 v2, v53, v52, s0
	global_store_dwordx2 v[0:1], v[2:3], off
	v_perm_b32 v3, v55, v54, s0
	v_perm_b32 v2, v51, v50, s0
	global_store_dwordx2 v[0:1], v[2:3], off offset:128
	s_endpgm
	.section	.rodata,"a",@progbits
	.p2align	6, 0x0
	.amdhsa_kernel _ZN12_GLOBAL__N_139chunk_gated_delta_rule_fwd_h_hip_kernelILi16ELb1ELb1ELb0ELb0ELb0ELb1ELb0ELb1EEEvPK12hip_bfloat16S3_S3_PKfS5_PKvPS1_S8_PvPKiSB_iiiiilll
		.amdhsa_group_segment_fixed_size 40960
		.amdhsa_private_segment_fixed_size 0
		.amdhsa_kernarg_size 136
		.amdhsa_user_sgpr_count 2
		.amdhsa_user_sgpr_dispatch_ptr 0
		.amdhsa_user_sgpr_queue_ptr 0
		.amdhsa_user_sgpr_kernarg_segment_ptr 1
		.amdhsa_user_sgpr_dispatch_id 0
		.amdhsa_user_sgpr_kernarg_preload_length 0
		.amdhsa_user_sgpr_kernarg_preload_offset 0
		.amdhsa_user_sgpr_private_segment_size 0
		.amdhsa_uses_dynamic_stack 0
		.amdhsa_enable_private_segment 0
		.amdhsa_system_sgpr_workgroup_id_x 1
		.amdhsa_system_sgpr_workgroup_id_y 1
		.amdhsa_system_sgpr_workgroup_id_z 0
		.amdhsa_system_sgpr_workgroup_info 0
		.amdhsa_system_vgpr_workitem_id 0
		.amdhsa_next_free_vgpr 128
		.amdhsa_next_free_sgpr 71
		.amdhsa_accum_offset 116
		.amdhsa_reserve_vcc 1
		.amdhsa_float_round_mode_32 0
		.amdhsa_float_round_mode_16_64 0
		.amdhsa_float_denorm_mode_32 3
		.amdhsa_float_denorm_mode_16_64 3
		.amdhsa_dx10_clamp 1
		.amdhsa_ieee_mode 1
		.amdhsa_fp16_overflow 0
		.amdhsa_tg_split 0
		.amdhsa_exception_fp_ieee_invalid_op 0
		.amdhsa_exception_fp_denorm_src 0
		.amdhsa_exception_fp_ieee_div_zero 0
		.amdhsa_exception_fp_ieee_overflow 0
		.amdhsa_exception_fp_ieee_underflow 0
		.amdhsa_exception_fp_ieee_inexact 0
		.amdhsa_exception_int_div_zero 0
	.end_amdhsa_kernel
	.section	.text._ZN12_GLOBAL__N_139chunk_gated_delta_rule_fwd_h_hip_kernelILi16ELb1ELb1ELb0ELb0ELb0ELb1ELb0ELb1EEEvPK12hip_bfloat16S3_S3_PKfS5_PKvPS1_S8_PvPKiSB_iiiiilll,"axG",@progbits,_ZN12_GLOBAL__N_139chunk_gated_delta_rule_fwd_h_hip_kernelILi16ELb1ELb1ELb0ELb0ELb0ELb1ELb0ELb1EEEvPK12hip_bfloat16S3_S3_PKfS5_PKvPS1_S8_PvPKiSB_iiiiilll,comdat
.Lfunc_end602:
	.size	_ZN12_GLOBAL__N_139chunk_gated_delta_rule_fwd_h_hip_kernelILi16ELb1ELb1ELb0ELb0ELb0ELb1ELb0ELb1EEEvPK12hip_bfloat16S3_S3_PKfS5_PKvPS1_S8_PvPKiSB_iiiiilll, .Lfunc_end602-_ZN12_GLOBAL__N_139chunk_gated_delta_rule_fwd_h_hip_kernelILi16ELb1ELb1ELb0ELb0ELb0ELb1ELb0ELb1EEEvPK12hip_bfloat16S3_S3_PKfS5_PKvPS1_S8_PvPKiSB_iiiiilll
                                        ; -- End function
	.section	.AMDGPU.csdata,"",@progbits
; Kernel info:
; codeLenInByte = 8284
; NumSgprs: 77
; NumVgprs: 116
; NumAgprs: 12
; TotalNumVgprs: 128
; ScratchSize: 0
; MemoryBound: 0
; FloatMode: 240
; IeeeMode: 1
; LDSByteSize: 40960 bytes/workgroup (compile time only)
; SGPRBlocks: 9
; VGPRBlocks: 15
; NumSGPRsForWavesPerEU: 77
; NumVGPRsForWavesPerEU: 128
; AccumOffset: 116
; Occupancy: 1
; WaveLimiterHint : 1
; COMPUTE_PGM_RSRC2:SCRATCH_EN: 0
; COMPUTE_PGM_RSRC2:USER_SGPR: 2
; COMPUTE_PGM_RSRC2:TRAP_HANDLER: 0
; COMPUTE_PGM_RSRC2:TGID_X_EN: 1
; COMPUTE_PGM_RSRC2:TGID_Y_EN: 1
; COMPUTE_PGM_RSRC2:TGID_Z_EN: 0
; COMPUTE_PGM_RSRC2:TIDIG_COMP_CNT: 0
; COMPUTE_PGM_RSRC3_GFX90A:ACCUM_OFFSET: 28
; COMPUTE_PGM_RSRC3_GFX90A:TG_SPLIT: 0
	.section	.text._ZN12_GLOBAL__N_139chunk_gated_delta_rule_fwd_h_hip_kernelILi16ELb1ELb0ELb1ELb0ELb0ELb1ELb0ELb1EEEvPK12hip_bfloat16S3_S3_PKfS5_PKvPS1_S8_PvPKiSB_iiiiilll,"axG",@progbits,_ZN12_GLOBAL__N_139chunk_gated_delta_rule_fwd_h_hip_kernelILi16ELb1ELb0ELb1ELb0ELb0ELb1ELb0ELb1EEEvPK12hip_bfloat16S3_S3_PKfS5_PKvPS1_S8_PvPKiSB_iiiiilll,comdat
	.globl	_ZN12_GLOBAL__N_139chunk_gated_delta_rule_fwd_h_hip_kernelILi16ELb1ELb0ELb1ELb0ELb0ELb1ELb0ELb1EEEvPK12hip_bfloat16S3_S3_PKfS5_PKvPS1_S8_PvPKiSB_iiiiilll ; -- Begin function _ZN12_GLOBAL__N_139chunk_gated_delta_rule_fwd_h_hip_kernelILi16ELb1ELb0ELb1ELb0ELb0ELb1ELb0ELb1EEEvPK12hip_bfloat16S3_S3_PKfS5_PKvPS1_S8_PvPKiSB_iiiiilll
	.p2align	8
	.type	_ZN12_GLOBAL__N_139chunk_gated_delta_rule_fwd_h_hip_kernelILi16ELb1ELb0ELb1ELb0ELb0ELb1ELb0ELb1EEEvPK12hip_bfloat16S3_S3_PKfS5_PKvPS1_S8_PvPKiSB_iiiiilll,@function
_ZN12_GLOBAL__N_139chunk_gated_delta_rule_fwd_h_hip_kernelILi16ELb1ELb0ELb1ELb0ELb0ELb1ELb0ELb1EEEvPK12hip_bfloat16S3_S3_PKfS5_PKvPS1_S8_PvPKiSB_iiiiilll: ; @_ZN12_GLOBAL__N_139chunk_gated_delta_rule_fwd_h_hip_kernelILi16ELb1ELb0ELb1ELb0ELb0ELb1ELb0ELb1EEEvPK12hip_bfloat16S3_S3_PKfS5_PKvPS1_S8_PvPKiSB_iiiiilll
; %bb.0:
	s_load_dwordx4 s[12:15], s[0:1], 0x5c
	s_load_dwordx4 s[20:23], s[0:1], 0x70
	s_abs_i32 s6, s3
	s_ashr_i32 s5, s3, 31
	s_load_dwordx4 s[16:19], s[0:1], 0x28
	s_load_dwordx2 s[28:29], s[0:1], 0x38
	s_waitcnt lgkmcnt(0)
	s_abs_i32 s4, s13
	v_cvt_f32_u32_e32 v1, s4
	s_sub_i32 s8, 0, s4
	s_ashr_i32 s7, s13, 31
	s_xor_b32 s5, s5, s7
	v_rcp_iflag_f32_e32 v1, v1
	v_and_b32_e32 v64, 15, v0
	v_lshrrev_b32_e32 v62, 6, v0
	v_bfe_u32 v63, v0, 4, 2
	v_mul_f32_e32 v1, 0x4f7ffffe, v1
	v_cvt_u32_f32_e32 v1, v1
	v_mov_b32_e32 v5, 0
	v_and_b32_e32 v45, 63, v0
	v_lshlrev_b32_e32 v65, 3, v0
	v_readfirstlane_b32 s9, v1
	s_mul_i32 s8, s8, s9
	s_mul_hi_u32 s8, s9, s8
	s_add_i32 s9, s9, s8
	s_mul_hi_u32 s8, s6, s9
	s_mul_i32 s9, s8, s4
	s_sub_i32 s6, s6, s9
	s_add_i32 s10, s8, 1
	s_sub_i32 s9, s6, s4
	s_cmp_ge_u32 s6, s4
	s_cselect_b32 s8, s10, s8
	s_cselect_b32 s6, s9, s6
	s_add_i32 s9, s8, 1
	s_cmp_ge_u32 s6, s4
	s_cselect_b32 s6, s9, s8
	s_xor_b32 s6, s6, s5
	s_add_i32 s8, s12, 63
	s_sub_i32 s53, s6, s5
	s_ashr_i32 s9, s8, 31
	s_mul_i32 s5, s53, s13
	s_sub_i32 s51, s3, s5
	s_lshr_b32 s3, s9, 26
	s_add_i32 s8, s8, s3
	s_abs_i32 s3, s14
	v_cvt_f32_u32_e32 v1, s3
	s_ashr_i32 s52, s12, 31
	s_lshr_b32 s6, s52, 26
	s_add_i32 s6, s12, s6
	v_rcp_iflag_f32_e32 v1, v1
	s_ashr_i32 s56, s14, 31
	s_ashr_i32 s54, s6, 6
	s_lshl_b32 s38, s2, 4
	v_mul_f32_e32 v1, 0x4f7ffffe, v1
	v_cvt_u32_f32_e32 v1, v1
	s_xor_b32 s2, s7, s56
	s_sub_i32 s6, 0, s3
	s_ashr_i32 s25, s8, 6
	v_readfirstlane_b32 s7, v1
	s_mul_i32 s6, s6, s7
	s_mul_hi_u32 s6, s7, s6
	s_add_i32 s7, s7, s6
	s_mul_hi_u32 s6, s4, s7
	s_mul_i32 s7, s6, s3
	s_sub_i32 s4, s4, s7
	s_add_i32 s7, s6, 1
	s_sub_i32 s8, s4, s3
	s_cmp_ge_u32 s4, s3
	s_cselect_b32 s6, s7, s6
	s_cselect_b32 s4, s8, s4
	s_add_i32 s7, s6, 1
	s_cmp_ge_u32 s4, s3
	s_cselect_b32 s3, s7, s6
	s_xor_b32 s3, s3, s2
	s_sub_i32 s2, s3, s2
	s_abs_i32 s3, s2
	v_cvt_f32_u32_e32 v1, s3
	s_sub_i32 s6, 0, s3
	s_abs_i32 s4, s51
	s_xor_b32 s2, s51, s2
	v_rcp_iflag_f32_e32 v1, v1
	s_ashr_i32 s2, s2, 31
	v_or_b32_e32 v46, s38, v64
	v_lshlrev_b32_e32 v2, 7, v46
	v_mul_f32_e32 v1, 0x4f7ffffe, v1
	v_cvt_u32_f32_e32 v1, v1
	v_ashrrev_i32_e32 v3, 31, v2
	v_lshrrev_b32_e32 v66, 3, v45
	s_mul_i32 s33, s53, s21
	v_readfirstlane_b32 s7, v1
	s_mul_i32 s6, s6, s7
	s_mul_hi_u32 s6, s7, s6
	s_add_i32 s7, s7, s6
	s_mul_hi_u32 s6, s4, s7
	s_mul_i32 s7, s6, s3
	s_sub_i32 s4, s4, s7
	s_add_i32 s7, s6, 1
	s_sub_i32 s8, s4, s3
	s_cmp_ge_u32 s4, s3
	s_cselect_b32 s6, s7, s6
	s_cselect_b32 s4, s8, s4
	s_add_i32 s7, s6, 1
	s_cmp_ge_u32 s4, s3
	s_cselect_b32 s3, s7, s6
	s_xor_b32 s3, s3, s2
	s_sub_i32 s57, s3, s2
	s_ashr_i32 s24, s53, 31
	s_ashr_i32 s55, s51, 31
	s_mul_hi_i32 s2, s53, s13
	s_add_u32 s40, s5, s51
	s_addc_u32 s41, s2, s55
	s_lshl_b64 s[2:3], s[40:41], 15
	v_lshlrev_b32_e32 v1, 4, v62
	s_add_u32 s2, s16, s2
	v_lshl_or_b32 v67, v63, 2, v1
	s_addc_u32 s3, s17, s3
	v_lshl_add_u64 v[2:3], v[2:3], 1, s[2:3]
	v_lshlrev_b32_e32 v4, 1, v67
	v_lshl_add_u64 v[2:3], v[2:3], 0, v[4:5]
	global_load_dwordx2 v[4:5], v[2:3], off
	global_load_dwordx2 v[6:7], v[2:3], off offset:128
	s_load_dwordx8 s[4:11], s[0:1], 0x0
	s_load_dwordx2 s[30:31], s[0:1], 0x80
	v_or_b32_e32 v68, 64, v67
	s_mul_hi_u32 s46, s53, s20
	s_mul_i32 s36, s53, s20
	s_mul_i32 s58, s53, s25
	;; [unrolled: 1-line block ×3, first 2 shown]
	s_mul_hi_u32 s48, s51, s22
	s_mul_i32 s50, s24, s20
	s_mul_i32 s49, s55, s22
	s_mul_hi_u32 s59, s40, s12
	s_mul_i32 s16, s40, s12
	s_mul_i32 s41, s41, s12
	s_cmp_lt_i32 s12, 64
	s_mul_i32 s34, s51, s22
	s_waitcnt vmcnt(1)
	v_and_b32_e32 v51, 0xffff0000, v4
	v_lshlrev_b32_e32 v50, 16, v4
	v_and_b32_e32 v55, 0xffff0000, v5
	v_lshlrev_b32_e32 v54, 16, v5
	s_waitcnt vmcnt(0)
	v_and_b32_e32 v49, 0xffff0000, v6
	v_lshlrev_b32_e32 v48, 16, v6
	v_and_b32_e32 v53, 0xffff0000, v7
	v_lshlrev_b32_e32 v52, 16, v7
	s_cbranch_scc1 .LBB603_18
; %bb.1:
	s_add_i32 s17, s59, s41
	s_lshl_b64 s[2:3], s[16:17], 8
	v_and_b32_e32 v70, 56, v65
	s_waitcnt lgkmcnt(0)
	s_add_u32 s20, s6, s2
	v_lshl_or_b32 v69, v62, 3, v66
	v_lshlrev_b32_e32 v2, 1, v70
	s_addc_u32 s2, s7, s3
	v_lshl_or_b32 v71, v69, 8, v2
	s_and_b32 s21, s2, 0xffff
	s_mov_b32 s23, 0x20000
	s_movk_i32 s22, 0x4000
	s_movk_i32 s2, 0x80
	v_or_b32_e32 v72, 0x2000, v71
	buffer_load_dwordx4 v[4:7], v71, s[20:23], 0 offen
	buffer_load_dwordx4 v[8:11], v71, s[20:23], s2 offen
	;; [unrolled: 1-line block ×4, first 2 shown]
	v_lshlrev_b32_e32 v3, 3, v69
	v_and_or_b32 v21, v0, 7, v3
	v_and_b32_e32 v3, 0x78, v3
	v_lshlrev_b32_e32 v21, 4, v21
	v_xor_b32_e32 v73, v21, v3
	v_mul_lo_u32 v20, v69, s15
	v_or_b32_e32 v74, 0x1000, v73
	v_xor_b32_e32 v3, 8, v73
	s_cmpk_eq_i32 s15, 0x80
	s_mov_b32 s60, s14
	v_xor_b32_e32 v21, 8, v74
	s_cselect_b64 s[2:3], -1, 0
	s_cmpk_lg_i32 s15, 0x80
	s_waitcnt vmcnt(3)
	ds_write_b64 v73, v[4:5] offset:16384
	ds_write_b64 v3, v[6:7] offset:16384
	s_waitcnt vmcnt(2)
	ds_write_b64 v73, v[8:9] offset:24576
	ds_write_b64 v3, v[10:11] offset:24576
	;; [unrolled: 3-line block ×4, first 2 shown]
	v_lshl_add_u32 v3, v20, 1, v70
	s_cbranch_scc0 .LBB603_3
; %bb.2:
	v_lshlrev_b32_e32 v5, 1, v3
	v_add_lshl_u32 v4, v3, s15, 1
	s_lshl_b32 s22, s15, 7
	s_load_dwordx2 s[42:43], s[0:1], 0x20
	v_lshl_or_b32 v2, v69, 9, v2
	s_cbranch_execz .LBB603_4
	s_branch .LBB603_5
.LBB603_3:
                                        ; implicit-def: $vgpr4
                                        ; implicit-def: $vgpr5
                                        ; implicit-def: $sgpr22
	s_load_dwordx2 s[42:43], s[0:1], 0x20
	v_lshl_or_b32 v2, v69, 9, v2
.LBB603_4:
	v_or_b32_e32 v4, 0x100, v2
	s_movk_i32 s22, 0x4000
	v_mov_b32_e32 v5, v2
.LBB603_5:
	s_mul_hi_u32 s0, s14, s12
	s_mul_i32 s1, s56, s12
	s_add_i32 s0, s0, s1
	s_mul_i32 s1, s14, s12
	s_mul_i32 s20, s1, s24
	s_mul_hi_u32 s21, s1, s53
	s_add_i32 s20, s21, s20
	s_mul_i32 s0, s0, s53
	s_add_i32 s20, s20, s0
	s_mul_i32 s1, s1, s53
	s_ashr_i32 s61, s57, 31
	s_add_u32 s0, s1, s57
	s_addc_u32 s1, s20, s61
	s_lshl_b64 s[0:1], s[0:1], 8
	s_add_u32 s20, s4, s0
	s_addc_u32 s0, s5, s1
	s_and_b32 s21, s0, 0xffff
	s_movk_i32 s62, 0x80
	buffer_load_dwordx4 v[6:9], v5, s[20:23], 0 offen
	buffer_load_dwordx4 v[10:13], v5, s[20:23], s62 offen
	buffer_load_dwordx4 v[14:17], v4, s[20:23], 0 offen
	buffer_load_dwordx4 v[18:21], v4, s[20:23], s62 offen
	v_and_b32_e32 v4, 6, v0
	v_lshlrev_b32_e32 v22, 2, v64
	v_lshlrev_b32_e32 v23, 3, v64
	v_xor_b32_e32 v25, v69, v4
	v_and_b32_e32 v5, 1, v0
	s_mul_i32 s24, s24, s12
	s_mul_hi_u32 s0, s53, s12
	v_lshl_or_b32 v23, v67, 5, v23
	v_xor_b32_e32 v26, v67, v22
	v_lshlrev_b32_e32 v25, 2, v25
	v_or_b32_e32 v75, 0x9000, v23
	v_or_b32_e32 v76, 0x9800, v23
	v_lshlrev_b32_e32 v23, 1, v26
	v_xor_b32_e32 v26, 0x440, v25
	v_cmp_eq_u32_e32 vcc, 0, v5
	s_add_i32 s67, s0, s24
	s_add_i32 s0, s46, s33
	v_cndmask_b32_e32 v5, v26, v25, vcc
	s_add_i32 s1, s48, s47
	s_add_i32 s37, s0, s50
	s_mov_b32 s65, 0x1000504
	v_lshlrev_b32_e32 v24, 8, v64
	s_mov_b32 s20, 0x8000
	v_xor_b32_e32 v22, v68, v22
	v_lshl_or_b32 v4, v4, 10, v5
	s_add_i32 s35, s1, s49
	s_lshl_b64 s[0:1], s[36:37], 2
	s_mov_b32 s66, 0x3020706
	v_lshlrev_b32_e32 v22, 1, v22
	v_or3_b32 v77, v23, v24, s20
	v_xor_b32_e32 v5, 8, v4
	v_xor_b32_e32 v23, 24, v4
	;; [unrolled: 1-line block ×4, first 2 shown]
	s_add_u32 s21, s10, s0
	v_or3_b32 v78, v22, v24, s20
	v_xor_b32_e32 v22, 16, v4
	v_xor_b32_e32 v24, 32, v4
	v_xor_b32_e32 v26, 48, v4
	v_add_u32_e32 v5, 0x80, v5
	v_add_u32_e32 v23, 0x80, v23
	v_add_u32_e32 v25, 0x80, v25
	v_add_u32_e32 v27, 0x80, v27
	s_addc_u32 s22, s11, s1
	s_lshl_b64 s[0:1], s[34:35], 2
	s_add_u32 s44, s21, s0
	s_movk_i32 s0, 0xf8
	s_addc_u32 s45, s22, s1
	s_ashr_i32 s39, s38, 31
	v_ashrrev_i32_e32 v47, 31, v46
	s_lshl_b32 s26, s15, 7
	s_mul_i32 s63, s53, s12
	s_mov_b32 s64, 0
	s_mov_b32 s37, 0x7060302
	s_movk_i32 s22, 0x4000
	v_mov_b32_e32 v98, 0x3fb8aa3b
	s_mov_b32 s68, 0
	s_waitcnt vmcnt(1)
	v_perm_b32 v28, v6, v14, s65
	s_waitcnt vmcnt(0)
	v_perm_b32 v29, v10, v18, s65
	v_perm_b32 v6, v6, v14, s66
	v_perm_b32 v10, v10, v18, s66
	v_perm_b32 v14, v7, v15, s65
	v_perm_b32 v18, v11, v19, s65
	v_perm_b32 v7, v7, v15, s66
	v_perm_b32 v11, v11, v19, s66
	v_perm_b32 v15, v8, v16, s65
	v_perm_b32 v19, v12, v20, s65
	v_perm_b32 v8, v8, v16, s66
	v_perm_b32 v12, v12, v20, s66
	v_perm_b32 v16, v9, v17, s65
	v_perm_b32 v20, v13, v21, s65
	v_perm_b32 v9, v9, v17, s66
	v_perm_b32 v13, v13, v21, s66
	ds_write2st64_b32 v4, v28, v29 offset1:32
	ds_write2st64_b32 v5, v6, v10 offset1:32
	ds_write2st64_b32 v22, v14, v18 offset0:1 offset1:33
	ds_write2st64_b32 v23, v7, v11 offset0:1 offset1:33
	;; [unrolled: 1-line block ×6, first 2 shown]
	v_or_b32_e32 v4, v1, v64
	v_lshlrev_b32_e32 v4, 3, v4
	v_lshrrev_b32_e32 v6, 5, v45
	v_and_or_b32 v6, v4, s0, v6
	v_lshlrev_b32_e32 v6, 4, v6
	v_lshrrev_b32_e32 v5, 2, v45
	v_lshlrev_b32_e32 v13, 11, v62
	v_and_b32_e32 v4, 0x78, v4
	v_or_b32_e32 v9, 32, v6
	v_and_b32_e32 v12, 12, v5
	v_and_b32_e32 v5, 0x1000, v13
	v_lshrrev_b32_e32 v8, 1, v45
	v_xor_b32_e32 v9, v9, v4
	v_and_b32_e32 v8, 8, v8
	v_or_b32_e32 v9, v9, v5
	v_xor_b32_e32 v7, v6, v4
	v_xor_b32_e32 v81, v9, v8
	v_or_b32_e32 v9, 64, v6
	v_or_b32_e32 v6, 0x60, v6
	v_xor_b32_e32 v9, v9, v4
	v_xor_b32_e32 v4, v6, v4
	v_or_b32_e32 v7, v7, v5
	v_or_b32_e32 v9, v9, v5
	;; [unrolled: 1-line block ×3, first 2 shown]
	v_xor_b32_e32 v79, v7, v8
	v_xor_b32_e32 v82, v9, v8
	;; [unrolled: 1-line block ×3, first 2 shown]
	v_lshrrev_b32_e32 v8, 4, v0
	v_lshlrev_b32_e32 v9, 1, v64
	v_or_b32_e32 v10, 1, v9
	v_xor_b32_e32 v9, v8, v9
	s_lshl_b64 s[0:1], s[38:39], 8
	v_xor_b32_e32 v10, v10, v8
	v_lshlrev_b32_e32 v9, 3, v9
	v_lshlrev_b32_e32 v8, 8, v8
	v_lshlrev_b64 v[4:5], 1, v[46:47]
	s_add_u32 s0, s18, s0
	v_or3_b32 v47, v9, v8, s20
	v_lshlrev_b32_e32 v9, 3, v10
	s_addc_u32 s1, s19, s1
	v_or3_b32 v85, v9, v8, s20
	v_mov_b32_e32 v9, 0
	v_lshrrev_b32_e32 v19, 1, v0
	v_lshl_add_u64 v[10:11], s[0:1], 0, v[8:9]
	v_lshlrev_b32_e32 v8, 4, v64
	s_movk_i32 s0, 0xff
	v_lshlrev_b32_e32 v18, 3, v62
	v_and_b32_e32 v19, 24, v19
	v_lshl_add_u64 v[56:57], v[10:11], 0, v[8:9]
	v_and_b32_e32 v8, 7, v0
	v_and_b32_e32 v11, 8, v0
	v_cmp_lt_u32_e32 vcc, s0, v0
	v_xor_b32_e32 v20, v18, v19
	v_lshlrev_b32_e32 v16, 3, v8
	v_lshlrev_b32_e32 v17, 7, v8
	v_cndmask_b32_e64 v8, 0, 1, vcc
	v_or_b32_e32 v21, 0x440, v20
	v_cmp_eq_u32_e32 vcc, 0, v11
	v_or_b32_e32 v23, 64, v19
	v_xor_b32_e32 v23, v18, v23
	v_cndmask_b32_e32 v11, v21, v20, vcc
	v_or_b32_e32 v21, 32, v19
	v_or_b32_e32 v19, 0x60, v19
	v_xor_b32_e32 v21, v18, v21
	v_xor_b32_e32 v18, v18, v19
	v_or_b32_e32 v22, 0x440, v21
	v_xor_b32_e32 v24, 0x440, v23
	v_xor_b32_e32 v19, 0x440, v18
	v_cndmask_b32_e32 v21, v22, v21, vcc
	v_cndmask_b32_e32 v23, v24, v23, vcc
	;; [unrolled: 1-line block ×3, first 2 shown]
	v_and_b32_e32 v7, 0x78, v65
	v_or_b32_e32 v11, v11, v13
	v_or_b32_e32 v21, v21, v13
	;; [unrolled: 1-line block ×4, first 2 shown]
	v_lshl_or_b32 v7, v63, 7, v7
	v_lshlrev_b32_e32 v8, 13, v8
	v_xor_b32_e32 v11, v11, v16
	v_xor_b32_e32 v21, v21, v16
	;; [unrolled: 1-line block ×4, first 2 shown]
	v_or_b32_e32 v80, 0x9000, v7
	v_or_b32_e32 v84, 0x9800, v7
	v_lshl_add_u64 v[6:7], s[8:9], 0, v[4:5]
	v_lshl_add_u64 v[4:5], s[28:29], 0, v[4:5]
	v_lshlrev_b32_e32 v14, 1, v3
	v_add_lshl_u32 v3, v3, s15, 1
	v_or_b32_e32 v15, 0x100, v2
	v_or_b32_e32 v10, v12, v1
	v_add_u32_e32 v20, v8, v11
	v_add_u32_e32 v22, v8, v21
	;; [unrolled: 1-line block ×4, first 2 shown]
	v_or3_b32 v12, v1, v12, 64
	v_add_u32_e32 v11, 0x2000, v11
	v_add_u32_e32 v18, 0x2000, v21
	;; [unrolled: 1-line block ×4, first 2 shown]
	v_lshlrev_b32_e32 v8, 8, v67
	v_cndmask_b32_e64 v86, v14, v2, s[2:3]
	v_cndmask_b32_e64 v87, v3, v15, s[2:3]
	v_lshl_add_u64 v[58:59], v[6:7], 0, v[8:9]
	v_lshl_add_u64 v[60:61], v[4:5], 0, v[8:9]
	s_add_i32 s35, s63, 63
	v_lshlrev_b32_e32 v88, 2, v10
	v_add_u32_e32 v89, v20, v17
	v_add_u32_e32 v90, v22, v17
	v_add_u32_e32 v91, v24, v17
	v_add_u32_e32 v92, v16, v17
	v_lshlrev_b32_e32 v93, 2, v12
	v_add_u32_e32 v94, v11, v17
	v_add_u32_e32 v95, v18, v17
	;; [unrolled: 1-line block ×4, first 2 shown]
	s_waitcnt lgkmcnt(0)
	s_barrier
.LBB603_6:                              ; =>This Inner Loop Header: Depth=1
	s_add_i32 s39, s68, 1
	s_cmp_lt_i32 s39, s54
	s_mov_b64 s[24:25], 0
	s_cselect_b64 s[2:3], -1, 0
	s_cmp_ge_i32 s39, s54
	s_mov_b64 s[20:21], 0
	s_cbranch_scc1 .LBB603_8
; %bb.7:                                ;   in Loop: Header=BB603_6 Depth=1
	s_add_i32 s0, s64, 64
	s_add_u32 s0, s16, s0
	s_addc_u32 s1, s17, 0
	s_lshl_b64 s[0:1], s[0:1], 8
	s_add_u32 s20, s6, s0
	s_addc_u32 s21, s7, s1
.LBB603_8:                              ;   in Loop: Header=BB603_6 Depth=1
	v_cndmask_b32_e64 v2, 0, 1, s[2:3]
	v_cmp_ne_u32_e64 s[0:1], 1, v2
	s_andn2_b64 vcc, exec, s[2:3]
	s_cbranch_vccnz .LBB603_10
; %bb.9:                                ;   in Loop: Header=BB603_6 Depth=1
	s_add_i32 s2, s64, 64
	s_add_u32 s2, s63, s2
	s_addc_u32 s3, s67, 0
	s_mul_i32 s24, s2, s56
	s_mul_hi_u32 s25, s2, s60
	s_add_i32 s24, s25, s24
	s_mul_i32 s3, s3, s60
	s_add_i32 s24, s24, s3
	s_mul_i32 s2, s2, s60
	s_add_u32 s2, s2, s57
	s_addc_u32 s3, s24, s61
	s_lshl_b64 s[2:3], s[2:3], 8
	s_add_u32 s24, s4, s2
	s_addc_u32 s25, s5, s3
.LBB603_10:                             ;   in Loop: Header=BB603_6 Depth=1
	v_perm_b32 v3, v55, v54, s37
	v_perm_b32 v2, v51, v50, s37
	v_perm_b32 v5, v53, v52, s37
	v_perm_b32 v4, v49, v48, s37
	ds_write_b64 v75, v[2:3]
	ds_write_b64 v76, v[4:5]
	;; [unrolled: 1-line block ×4, first 2 shown]
	s_waitcnt lgkmcnt(0)
	s_barrier
	ds_read_b64 v[10:11], v79 offset:16384
	ds_read_b64 v[12:13], v81 offset:16384
	ds_read2st64_b64 v[2:5], v80 offset1:1
	ds_read2st64_b64 v[6:9], v80 offset0:2 offset1:3
	ds_read_b64 v[14:15], v82 offset:16384
	s_waitcnt lgkmcnt(2)
	v_mfma_f32_16x16x16_bf16 a[0:3], v[10:11], v[2:3], 0
	ds_read_b64 v[2:3], v83 offset:16384
	s_add_i32 s2, s64, 63
	s_mul_i32 s3, s2, s31
	v_mfma_f32_16x16x16_bf16 a[0:3], v[12:13], v[4:5], a[0:3]
	s_mul_hi_u32 s27, s2, s30
	s_add_i32 s3, s27, s3
	s_mul_i32 s2, s2, s30
	s_waitcnt lgkmcnt(1)
	v_mfma_f32_16x16x16_bf16 a[0:3], v[14:15], v[6:7], a[0:3]
	s_lshl_b64 s[2:3], s[2:3], 2
	s_add_u32 s2, s44, s2
	s_addc_u32 s3, s45, s3
	s_waitcnt lgkmcnt(0)
	v_mfma_f32_16x16x16_bf16 a[0:3], v[2:3], v[8:9], a[0:3]
	s_and_b64 vcc, exec, s[0:1]
	v_mov_b32_e32 v101, 0
	v_mov_b32_e32 v100, 0
	;; [unrolled: 1-line block ×19, first 2 shown]
	s_cbranch_vccnz .LBB603_12
; %bb.11:                               ;   in Loop: Header=BB603_6 Depth=1
	s_and_b32 s21, s21, 0xffff
	buffer_load_dwordx4 v[14:17], v71, s[20:23], 0 offen
	buffer_load_dwordx4 v[10:13], v71, s[20:23], s62 offen
	;; [unrolled: 1-line block ×4, first 2 shown]
	v_mov_b32_e32 v100, v73
	v_mov_b32_e32 v99, v74
.LBB603_12:                             ;   in Loop: Header=BB603_6 Depth=1
	v_add_u32_e32 v24, s64, v67
	v_ashrrev_i32_e32 v18, 31, v24
	v_mul_lo_u32 v20, v18, s30
	v_mul_lo_u32 v21, v24, s31
	v_mad_u64_u32 v[18:19], s[20:21], v24, s30, 0
	v_add3_u32 v19, v19, v21, v20
	v_add_u32_e32 v20, 1, v24
	v_ashrrev_i32_e32 v21, 31, v20
	v_mul_lo_u32 v22, v21, s30
	v_mul_lo_u32 v23, v20, s31
	v_mad_u64_u32 v[20:21], s[20:21], v20, s30, 0
	v_add3_u32 v21, v21, v23, v22
	v_add_u32_e32 v22, 2, v24
	v_ashrrev_i32_e32 v23, 31, v22
	v_mul_lo_u32 v25, v23, s30
	v_mul_lo_u32 v26, v22, s31
	v_mad_u64_u32 v[22:23], s[20:21], v22, s30, 0
	s_add_u32 s20, s16, s64
	v_add3_u32 v23, v23, v26, v25
	v_add_u32_e32 v26, 3, v24
	s_addc_u32 s21, s17, 0
	v_ashrrev_i32_e32 v24, 31, v26
	s_lshl_b64 s[20:21], s[20:21], 8
	v_lshl_add_u64 v[18:19], v[18:19], 2, s[44:45]
	v_mul_lo_u32 v27, v24, s30
	v_lshl_add_u64 v[24:25], v[58:59], 0, s[20:21]
	v_mul_lo_u32 v28, v26, s31
	global_load_ushort v34, v[24:25], off
	global_load_ushort v35, v[24:25], off offset:256
	global_load_ushort v36, v[24:25], off offset:512
	;; [unrolled: 1-line block ×3, first 2 shown]
	global_load_dword v38, v[18:19], off
	v_mad_u64_u32 v[18:19], s[70:71], v26, s30, 0
	v_lshl_add_u64 v[20:21], v[20:21], 2, s[44:45]
	v_add3_u32 v19, v19, v28, v27
	v_lshl_add_u64 v[22:23], v[22:23], 2, s[44:45]
	v_lshl_add_u64 v[18:19], v[18:19], 2, s[44:45]
	global_load_dword v39, v[20:21], off
	global_load_dword v40, v[22:23], off
	global_load_dword v41, v[18:19], off
	ds_read_b64 v[18:19], v79 offset:24576
	s_load_dword s2, s[2:3], 0x0
	ds_read_b64 v[28:29], v81 offset:24576
	ds_read2st64_b64 v[20:23], v84 offset1:1
	ds_read2st64_b64 v[24:27], v84 offset0:2 offset1:3
	ds_read_b64 v[30:31], v82 offset:24576
	ds_read_b64 v[32:33], v83 offset:24576
	s_waitcnt lgkmcnt(0)
	v_mfma_f32_16x16x16_bf16 a[0:3], v[18:19], v[20:21], a[0:3]
	v_mov_b32_e32 v102, 0
	v_mov_b32_e32 v18, 0
	;; [unrolled: 1-line block ×3, first 2 shown]
	v_mfma_f32_16x16x16_bf16 a[0:3], v[28:29], v[22:23], a[0:3]
	v_lshl_add_u64 v[28:29], v[60:61], 0, s[20:21]
	v_mov_b32_e32 v20, 0
	v_mov_b32_e32 v21, 0
	v_mfma_f32_16x16x16_bf16 a[0:3], v[30:31], v[24:25], a[0:3]
	v_mov_b32_e32 v22, 0
	v_mov_b32_e32 v23, 0
	;; [unrolled: 1-line block ×3, first 2 shown]
	v_mfma_f32_16x16x16_bf16 a[0:3], v[32:33], v[26:27], a[0:3]
	s_and_b64 vcc, exec, s[0:1]
	s_waitcnt vmcnt(7)
	v_lshlrev_b32_e32 v32, 16, v34
	s_nop 3
	v_accvgpr_read_b32 v31, a1
	v_accvgpr_read_b32 v27, a3
	;; [unrolled: 1-line block ×4, first 2 shown]
	s_waitcnt vmcnt(6)
	v_lshlrev_b32_e32 v33, 16, v35
	s_waitcnt vmcnt(4)
	v_lshlrev_b32_e32 v35, 16, v37
	v_lshlrev_b32_e32 v34, 16, v36
	s_waitcnt vmcnt(3)
	v_sub_f32_e32 v25, s2, v38
	v_pk_add_f32 v[30:31], v[32:33], v[30:31] neg_lo:[0,1] neg_hi:[0,1]
	v_pk_add_f32 v[26:27], v[34:35], v[26:27] neg_lo:[0,1] neg_hi:[0,1]
	v_mul_f32_e32 v25, 0x3fb8aa3b, v25
	s_waitcnt vmcnt(2)
	v_sub_f32_e32 v33, s2, v39
	s_waitcnt vmcnt(1)
	v_sub_f32_e32 v34, s2, v40
	;; [unrolled: 2-line block ×3, first 2 shown]
	v_exp_f32_e32 v32, v25
	v_mul_f32_e32 v25, 0x3fb8aa3b, v33
	v_mul_f32_e32 v34, 0x3fb8aa3b, v34
	;; [unrolled: 1-line block ×3, first 2 shown]
	v_exp_f32_e32 v33, v25
	v_exp_f32_e32 v34, v34
	;; [unrolled: 1-line block ×3, first 2 shown]
	global_store_short_d16_hi v[28:29], v30, off
	global_store_short_d16_hi v[28:29], v31, off offset:256
	global_store_short_d16_hi v[28:29], v26, off offset:512
	;; [unrolled: 1-line block ×3, first 2 shown]
	v_pk_mul_f32 v[28:29], v[32:33], v[30:31]
	v_pk_mul_f32 v[26:27], v[34:35], v[26:27]
	v_mov_b32_e32 v25, 0
	v_perm_b32 v27, v27, v26, s37
	v_perm_b32 v26, v29, v28, s37
	ds_write_b64 v76, v[26:27]
	v_mov_b32_e32 v26, 0
	v_mov_b32_e32 v27, 0
	;; [unrolled: 1-line block ×8, first 2 shown]
	s_cbranch_vccnz .LBB603_14
; %bb.13:                               ;   in Loop: Header=BB603_6 Depth=1
	s_and_b32 s25, s25, 0xffff
	s_mov_b32 s27, s23
	buffer_load_dwordx4 v[30:33], v86, s[24:27], 0 offen
	buffer_load_dwordx4 v[22:25], v86, s[24:27], s62 offen
	;; [unrolled: 1-line block ×4, first 2 shown]
	v_mov_b32_e32 v101, v70
	v_mov_b32_e32 v102, v69
.LBB603_14:                             ;   in Loop: Header=BB603_6 Depth=1
	s_waitcnt lgkmcnt(0)
	s_barrier
	ds_read_b64 v[34:35], v89
	ds_read_b64 v[40:41], v90
	ds_read2st64_b64 v[36:39], v84 offset1:1
	ds_read2st64_b64 v[104:107], v84 offset0:2 offset1:3
	ds_read_b64 v[42:43], v91
	ds_read_b64 v[112:113], v92
	s_add_i32 s3, s58, s68
	s_mul_hi_i32 s21, s3, s13
	s_mul_i32 s3, s3, s13
	s_waitcnt lgkmcnt(3)
	v_mfma_f32_16x16x16_bf16 a[0:3], v[34:35], v[36:37], 0
	ds_read_b64 v[34:35], v94
	s_add_u32 s20, s3, s51
	s_addc_u32 s21, s21, s55
	s_add_i32 s3, s35, s64
	v_mfma_f32_16x16x16_bf16 a[0:3], v[40:41], v[38:39], a[0:3]
	ds_read_b64 v[40:41], v95
	s_lshl_b64 s[20:21], s[20:21], 15
	s_mul_hi_i32 s25, s3, s13
	s_mul_i32 s3, s3, s13
	s_add_u32 s24, s3, s51
	s_addc_u32 s25, s25, s55
	s_lshl_b64 s[24:25], s[24:25], 9
	s_add_u32 s24, s42, s24
	s_waitcnt lgkmcnt(1)
	v_mfma_f32_16x16x16_bf16 a[4:7], v[34:35], v[36:37], 0
	s_addc_u32 s25, s43, s25
	s_and_b64 vcc, exec, s[0:1]
	v_mfma_f32_16x16x16_bf16 a[0:3], v[42:43], v[104:105], a[0:3]
	ds_read_b64 v[42:43], v96
	ds_read_b64 v[114:115], v97
	global_load_dwordx4 v[34:37], v93, s[24:25]
	s_waitcnt lgkmcnt(2)
	v_mfma_f32_16x16x16_bf16 a[4:7], v[40:41], v[38:39], a[4:7]
	global_load_dwordx4 v[38:41], v88, s[24:25]
	ds_read_b64 v[108:109], v47
	ds_read_b64 v[110:111], v85
	s_waitcnt lgkmcnt(3)
	v_mfma_f32_16x16x16_bf16 a[8:11], v[42:43], v[104:105], a[4:7]
	v_lshl_add_u64 v[42:43], v[56:57], 0, s[20:21]
	s_waitcnt lgkmcnt(0)
	global_store_dwordx4 v[42:43], v[108:111], off
	v_mfma_f32_16x16x16_bf16 a[4:7], v[112:113], v[106:107], a[0:3]
	s_waitcnt vmcnt(2)
	v_mov_b32_e32 v44, v37
	v_mfma_f32_16x16x16_bf16 a[0:3], v[114:115], v[106:107], a[8:11]
	v_mov_b32_e32 v43, v36
	v_mov_b32_e32 v42, v35
	s_cbranch_vccnz .LBB603_16
; %bb.15:                               ;   in Loop: Header=BB603_6 Depth=1
	v_lshrrev_b32_e32 v35, 3, v101
	v_and_b32_e32 v35, 6, v35
	v_xor_b32_e32 v36, v35, v102
	v_lshlrev_b32_e32 v36, 2, v36
	v_and_b32_e32 v37, 8, v101
	v_xor_b32_e32 v101, 0x440, v36
	v_cmp_eq_u32_e32 vcc, 0, v37
	v_perm_b32 v37, v22, v18, s65
	s_nop 0
	v_cndmask_b32_e32 v36, v101, v36, vcc
	v_lshl_or_b32 v35, v35, 10, v36
	v_perm_b32 v36, v30, v26, s65
	s_barrier
	ds_write2st64_b32 v35, v36, v37 offset1:32
	v_xor_b32_e32 v36, 8, v35
	v_perm_b32 v26, v30, v26, s66
	v_perm_b32 v18, v22, v18, s66
	v_add_u32_e32 v22, 0x80, v36
	ds_write2st64_b32 v22, v26, v18 offset1:32
	v_xor_b32_e32 v18, 16, v35
	v_perm_b32 v22, v31, v27, s65
	v_perm_b32 v26, v23, v19, s65
	ds_write2st64_b32 v18, v22, v26 offset0:1 offset1:33
	v_xor_b32_e32 v18, 24, v35
	v_perm_b32 v22, v31, v27, s66
	v_perm_b32 v19, v23, v19, s66
	v_add_u32_e32 v18, 0x80, v18
	ds_write2st64_b32 v18, v22, v19 offset0:1 offset1:33
	v_xor_b32_e32 v18, 32, v35
	v_perm_b32 v19, v32, v28, s65
	v_perm_b32 v22, v24, v20, s65
	ds_write2st64_b32 v18, v19, v22 offset0:2 offset1:34
	v_xor_b32_e32 v18, 40, v35
	v_perm_b32 v19, v32, v28, s66
	v_perm_b32 v20, v24, v20, s66
	v_add_u32_e32 v18, 0x80, v18
	ds_write2st64_b32 v18, v19, v20 offset0:2 offset1:34
	;; [unrolled: 9-line block ×3, first 2 shown]
	ds_write_b64 v100, v[14:15] offset:16384
	v_xor_b32_e32 v14, 8, v100
	ds_write_b64 v14, v[16:17] offset:16384
	ds_write_b64 v100, v[10:11] offset:24576
	;; [unrolled: 1-line block ×4, first 2 shown]
	v_xor_b32_e32 v6, 8, v99
	ds_write_b64 v6, v[8:9] offset:16384
	ds_write_b64 v99, v[2:3] offset:24576
	;; [unrolled: 1-line block ×3, first 2 shown]
.LBB603_16:                             ;   in Loop: Header=BB603_6 Depth=1
	v_mul_f32_e32 v6, s2, v98
	v_exp_f32_e32 v10, v6
	s_waitcnt vmcnt(1)
	v_mul_f32_e32 v6, 0x3fb8aa3b, v38
	v_exp_f32_e32 v12, v6
	v_mul_f32_e32 v6, 0x3fb8aa3b, v39
	v_exp_f32_e32 v13, v6
	;; [unrolled: 2-line block ×4, first 2 shown]
	v_accvgpr_read_b32 v2, a4
	v_accvgpr_read_b32 v3, a5
	v_pk_mul_f32 v[12:13], v[10:11], v[12:13] op_sel_hi:[0,1]
	v_pk_fma_f32 v[50:51], v[50:51], v[12:13], v[2:3]
	v_pk_mul_f32 v[2:3], v[10:11], v[14:15] op_sel_hi:[0,1]
	v_mul_f32_e32 v11, 0x3fb8aa3b, v34
	v_exp_f32_e32 v12, v11
	v_mul_f32_e32 v11, 0x3fb8aa3b, v42
	v_exp_f32_e32 v13, v11
	;; [unrolled: 2-line block ×4, first 2 shown]
	v_accvgpr_read_b32 v4, a6
	v_accvgpr_read_b32 v5, a7
	;; [unrolled: 1-line block ×5, first 2 shown]
	v_pk_fma_f32 v[54:55], v[54:55], v[2:3], v[4:5]
	v_pk_mul_f32 v[2:3], v[10:11], v[12:13] op_sel_hi:[0,1]
	v_accvgpr_read_b32 v8, a2
	v_pk_fma_f32 v[48:49], v[48:49], v[2:3], v[6:7]
	v_pk_mul_f32 v[2:3], v[10:11], v[14:15] op_sel_hi:[0,1]
	s_add_i32 s64, s64, 64
	s_cmp_eq_u32 s54, s39
	v_pk_fma_f32 v[52:53], v[52:53], v[2:3], v[8:9]
	s_cbranch_scc1 .LBB603_18
; %bb.17:                               ;   in Loop: Header=BB603_6 Depth=1
	s_mov_b32 s68, s39
	s_branch .LBB603_6
.LBB603_18:
	s_lshl_b32 s26, s54, 6
	s_sub_i32 s27, s12, s26
	s_cmp_gt_i32 s27, 0
	s_cbranch_scc0 .LBB603_75
; %bb.19:
	s_ashr_i32 s2, s26, 31
	s_cmpk_lg_i32 s15, 0x80
	s_cselect_b64 s[22:23], -1, 0
	s_and_b64 vcc, exec, s[22:23]
	s_cbranch_vccz .LBB603_21
; %bb.20:
	s_mul_i32 s1, s53, s12
	s_mul_hi_i32 s0, s53, s12
	s_add_u32 s1, s1, s26
	s_addc_u32 s0, s0, s2
	s_mul_i32 s3, s1, s56
	s_mul_hi_u32 s17, s1, s14
	s_add_i32 s3, s17, s3
	s_mul_i32 s0, s0, s14
	s_add_i32 s3, s3, s0
	s_mul_i32 s1, s1, s14
	s_ashr_i32 s0, s57, 31
	s_add_u32 s24, s1, s57
	s_addc_u32 s25, s3, s0
	s_cbranch_execz .LBB603_22
	s_branch .LBB603_23
.LBB603_21:
                                        ; implicit-def: $sgpr24_sgpr25
.LBB603_22:
	s_mul_hi_i32 s0, s53, s14
	s_mul_i32 s53, s53, s14
	s_ashr_i32 s1, s57, 31
	s_add_u32 s3, s53, s57
	s_addc_u32 s0, s0, s1
	s_mul_i32 s1, s3, s52
	s_mul_hi_u32 s14, s3, s12
	s_add_i32 s1, s14, s1
	s_mul_i32 s0, s0, s12
	s_add_i32 s1, s1, s0
	s_mul_i32 s3, s3, s12
	s_add_u32 s24, s3, s26
	s_addc_u32 s25, s1, s2
.LBB603_23:
	s_mul_i32 s0, s40, s52
	s_add_i32 s0, s59, s0
	s_add_i32 s3, s58, s54
	;; [unrolled: 1-line block ×3, first 2 shown]
	s_add_u32 s0, s16, s26
	s_addc_u32 s1, s1, s2
	s_mov_b32 s2, 0x7060302
	v_lshlrev_b32_e32 v6, 3, v64
	s_lshl_b64 s[20:21], s[0:1], 8
	v_perm_b32 v3, v55, v54, s2
	v_perm_b32 v2, v51, v50, s2
	;; [unrolled: 1-line block ×4, first 2 shown]
	v_lshlrev_b32_e32 v34, 2, v64
	v_lshl_or_b32 v6, v67, 5, v6
	s_waitcnt lgkmcnt(0)
	s_add_u32 s0, s6, s20
	ds_write2st64_b64 v6, v[2:3], v[4:5] offset0:72 offset1:76
	v_xor_b32_e32 v6, v67, v34
	v_lshlrev_b32_e32 v7, 8, v64
	s_addc_u32 s1, s7, s21
	v_lshl_or_b32 v6, v6, 1, v7
	s_mul_hi_i32 s6, s3, s13
	s_mul_i32 s3, s3, s13
	ds_write_b64 v6, v[2:3] offset:32768
	v_xor_b32_e32 v2, v68, v34
	s_add_u32 s2, s3, s51
	v_lshl_or_b32 v2, v2, 1, v7
	s_addc_u32 s3, s6, s55
	v_lshlrev_b32_e32 v3, 1, v64
	ds_write_b64 v2, v[4:5] offset:32768
	v_lshrrev_b32_e32 v2, 4, v0
	s_ashr_i32 s39, s38, 31
	s_lshl_b64 s[2:3], s[2:3], 15
	v_or_b32_e32 v4, 1, v3
	s_add_u32 s6, s18, s2
	v_xor_b32_e32 v3, v2, v3
	v_xor_b32_e32 v4, v4, v2
	v_lshlrev_b32_e32 v6, 8, v2
	s_addc_u32 s7, s19, s3
	s_lshl_b64 s[2:3], s[38:39], 8
	v_lshl_or_b32 v2, v3, 3, v6
	v_lshl_or_b32 v4, v4, 3, v6
	s_waitcnt lgkmcnt(0)
	s_barrier
	s_add_u32 s2, s6, s2
	ds_read_b64 v[2:3], v2 offset:32768
	ds_read_b64 v[4:5], v4 offset:32768
	s_addc_u32 s3, s7, s3
	v_mov_b32_e32 v7, 0
	s_cmp_lg_u32 s27, 64
	v_lshl_add_u64 v[8:9], s[2:3], 0, v[6:7]
	v_lshlrev_b32_e32 v6, 4, v64
	s_cselect_b64 s[6:7], -1, 0
	v_lshl_or_b32 v35, v62, 3, v66
	s_mov_b32 s16, 0
	v_lshl_add_u64 v[6:7], v[8:9], 0, v[6:7]
	v_or_b32_e32 v19, 32, v35
	v_and_b32_e32 v18, 56, v65
	s_and_b64 vcc, exec, s[6:7]
	s_waitcnt lgkmcnt(0)
	global_store_dwordx4 v[6:7], v[2:5], off
	s_cbranch_vccz .LBB603_29
; %bb.24:
	s_mov_b32 s17, s16
	s_mov_b32 s18, s16
	;; [unrolled: 1-line block ×3, first 2 shown]
	v_mov_b64_e32 v[6:7], s[16:17]
	v_mov_b64_e32 v[8:9], s[18:19]
	v_mov_b64_e32 v[2:3], v[6:7]
	v_cmp_gt_i32_e32 vcc, s27, v35
	v_mov_b64_e32 v[4:5], v[8:9]
	s_and_saveexec_b64 s[2:3], vcc
	s_cbranch_execz .LBB603_26
; %bb.25:
	v_lshlrev_b32_e32 v2, 8, v35
	v_mov_b32_e32 v3, 0
	v_lshl_add_u64 v[4:5], s[0:1], 0, v[2:3]
	v_lshlrev_b32_e32 v2, 1, v18
	v_lshl_add_u64 v[10:11], v[4:5], 0, v[2:3]
	global_load_dwordx4 v[6:9], v[10:11], off
	global_load_dwordx4 v[2:5], v[10:11], off offset:128
.LBB603_26:
	s_or_b64 exec, exec, s[2:3]
	s_mov_b32 s17, s16
	s_mov_b32 s18, s16
	;; [unrolled: 1-line block ×3, first 2 shown]
	v_mov_b64_e32 v[14:15], s[16:17]
	v_mov_b64_e32 v[16:17], s[18:19]
	;; [unrolled: 1-line block ×3, first 2 shown]
	v_cmp_gt_i32_e32 vcc, s27, v19
	v_lshlrev_b32_e32 v20, 7, v19
	v_mov_b64_e32 v[12:13], v[16:17]
	s_and_saveexec_b64 s[2:3], vcc
	s_cbranch_execz .LBB603_28
; %bb.27:
	v_lshlrev_b32_e32 v10, 1, v20
	v_mov_b32_e32 v11, 0
	v_lshl_add_u64 v[12:13], s[0:1], 0, v[10:11]
	v_lshlrev_b32_e32 v10, 1, v18
	v_lshl_add_u64 v[22:23], v[12:13], 0, v[10:11]
	global_load_dwordx4 v[14:17], v[22:23], off
	global_load_dwordx4 v[10:13], v[22:23], off offset:128
.LBB603_28:
	s_or_b64 exec, exec, s[2:3]
	v_lshrrev_b32_e32 v21, 3, v18
	v_lshlrev_b32_e32 v22, 3, v35
	v_or_b32_e32 v21, v22, v21
	v_lshlrev_b32_e32 v21, 4, v21
	v_and_b32_e32 v22, 0x78, v22
	v_xor_b32_e32 v21, v21, v22
	s_branch .LBB603_31
.LBB603_29:
                                        ; implicit-def: $vgpr21
                                        ; implicit-def: $vgpr20
                                        ; implicit-def: $vgpr6_vgpr7_vgpr8_vgpr9
                                        ; implicit-def: $vgpr2_vgpr3_vgpr4_vgpr5
                                        ; implicit-def: $vgpr14_vgpr15_vgpr16_vgpr17
                                        ; implicit-def: $vgpr10_vgpr11_vgpr12_vgpr13
	s_cbranch_execz .LBB603_31
; %bb.30:
	s_waitcnt vmcnt(0)
	v_lshlrev_b32_e32 v2, 1, v18
	v_lshl_or_b32 v20, v35, 8, v2
	s_and_b32 s1, s1, 0xffff
	s_mov_b32 s3, 0x20000
	s_movk_i32 s2, 0x4000
	v_lshl_or_b32 v21, v19, 8, v2
	s_movk_i32 s13, 0x80
	buffer_load_dwordx4 v[6:9], v20, s[0:3], 0 offen
	buffer_load_dwordx4 v[2:5], v20, s[0:3], s13 offen
	;; [unrolled: 1-line block ×4, first 2 shown]
	v_lshrrev_b32_e32 v20, 3, v18
	v_lshlrev_b32_e32 v21, 3, v35
	v_or_b32_e32 v20, v21, v20
	v_lshlrev_b32_e32 v20, 4, v20
	v_and_b32_e32 v21, 0x78, v21
	v_xor_b32_e32 v21, v20, v21
	v_lshlrev_b32_e32 v20, 7, v19
.LBB603_31:
	s_lshl_b64 s[0:1], s[24:25], 8
	s_add_u32 s4, s4, s0
	s_movk_i32 s0, 0x1000
	v_and_or_b32 v19, v20, s0, v21
	s_waitcnt vmcnt(1)
	ds_write_b64 v21, v[6:7] offset:16384
	v_xor_b32_e32 v6, 8, v21
	ds_write_b64 v6, v[8:9] offset:16384
	s_waitcnt vmcnt(0)
	ds_write_b64 v21, v[2:3] offset:24576
	ds_write_b64 v6, v[4:5] offset:24576
	;; [unrolled: 1-line block ×3, first 2 shown]
	v_xor_b32_e32 v2, 8, v19
	ds_write_b64 v2, v[16:17] offset:16384
	ds_write_b64 v19, v[10:11] offset:24576
	;; [unrolled: 1-line block ×3, first 2 shown]
	v_or_b32_e32 v2, v1, v64
	s_addc_u32 s5, s5, s1
	s_add_i32 s0, s12, -1
	v_lshlrev_b32_e32 v2, 3, v2
	v_lshrrev_b32_e32 v4, 5, v45
	s_movk_i32 s12, 0xf8
	v_and_or_b32 v4, v2, s12, v4
	v_lshlrev_b32_e32 v3, 11, v62
	v_lshlrev_b32_e32 v12, 4, v4
	v_and_b32_e32 v13, 0x78, v2
	v_and_b32_e32 v14, 0x1000, v3
	v_lshlrev_b32_e32 v3, 2, v0
	v_xor_b32_e32 v2, v12, v13
	v_lshrrev_b32_e32 v4, 1, v45
	v_and_b32_e32 v3, 60, v3
	v_or_b32_e32 v2, v2, v14
	v_and_b32_e32 v15, 8, v4
	v_xor_b32_e32 v26, v2, v15
	v_lshl_or_b32 v2, v63, 6, v3
	v_lshlrev_b32_e32 v19, 1, v2
	v_or_b32_e32 v2, 32, v12
	v_xor_b32_e32 v2, v2, v13
	s_waitcnt lgkmcnt(0)
	s_barrier
	ds_read_b64 v[10:11], v26 offset:16384
	v_or_b32_e32 v2, v2, v14
	v_xor_b32_e32 v27, v2, v15
	v_or_b32_e32 v2, 64, v12
	v_xor_b32_e32 v2, v2, v13
	v_or_b32_e32 v2, v2, v14
	v_or_b32_e32 v12, 0x60, v12
	v_xor_b32_e32 v28, v2, v15
	ds_read2st64_b64 v[2:5], v19 offset0:72 offset1:73
	ds_read2st64_b64 v[6:9], v19 offset0:74 offset1:75
	v_xor_b32_e32 v16, v12, v13
	ds_read_b64 v[12:13], v27 offset:16384
	s_add_i32 s1, s46, s33
	s_waitcnt lgkmcnt(2)
	v_mfma_f32_16x16x16_bf16 a[0:3], v[10:11], v[2:3], 0
	s_add_i32 s37, s1, s50
	s_add_i32 s1, s48, s47
	;; [unrolled: 1-line block ×3, first 2 shown]
	s_ashr_i32 s1, s0, 31
	s_mul_i32 s2, s0, s31
	s_mul_hi_u32 s3, s0, s30
	s_add_i32 s2, s3, s2
	s_mul_i32 s1, s1, s30
	v_or_b32_e32 v14, v16, v14
	s_add_i32 s1, s2, s1
	s_lshl_b64 s[2:3], s[36:37], 2
	v_xor_b32_e32 v36, v14, v15
	ds_read_b64 v[14:15], v28 offset:16384
	ds_read_b64 v[16:17], v36 offset:16384
	s_waitcnt lgkmcnt(2)
	v_mfma_f32_16x16x16_bf16 a[0:3], v[12:13], v[4:5], a[0:3]
	s_add_u32 s10, s10, s2
	s_addc_u32 s11, s11, s3
	s_lshl_b64 s[2:3], s[34:35], 2
	s_mul_i32 s0, s0, s30
	s_add_u32 s10, s10, s2
	s_addc_u32 s11, s11, s3
	s_lshl_b64 s[0:1], s[0:1], 2
	s_waitcnt lgkmcnt(1)
	v_mfma_f32_16x16x16_bf16 a[0:3], v[14:15], v[6:7], a[0:3]
	s_add_u32 s0, s10, s0
	s_addc_u32 s1, s11, s1
	s_load_dword s12, s[0:1], 0x0
	s_waitcnt lgkmcnt(0)
	v_mfma_f32_16x16x16_bf16 a[0:3], v[16:17], v[8:9], a[0:3]
	s_and_b64 vcc, exec, s[22:23]
	s_cbranch_vccz .LBB603_42
; %bb.32:
	v_lshlrev_b32_e32 v20, 1, v35
	s_and_b64 vcc, exec, s[6:7]
	s_cbranch_vccz .LBB603_43
; %bb.33:
	v_cmp_gt_i32_e32 vcc, s27, v20
	v_mov_b32_e32 v6, 0
	v_mov_b32_e32 v2, 0
	;; [unrolled: 1-line block ×5, first 2 shown]
	s_and_saveexec_b64 s[0:1], vcc
	s_cbranch_execz .LBB603_35
; %bb.34:
	v_mad_i64_i32 v[2:3], s[2:3], s15, v20, 0
	v_lshl_add_u64 v[2:3], v[2:3], 1, s[4:5]
	v_lshlrev_b32_e32 v4, 1, v18
	v_mov_b32_e32 v5, 0
	v_lshl_add_u64 v[2:3], v[2:3], 0, v[4:5]
	global_load_dwordx4 v[2:5], v[2:3], off
.LBB603_35:
	s_or_b64 exec, exec, s[0:1]
	v_or_b32_e32 v21, 1, v20
	v_cmp_gt_i32_e64 s[0:1], s27, v21
	v_mov_b32_e32 v7, 0
	v_mov_b32_e32 v8, 0
	;; [unrolled: 1-line block ×3, first 2 shown]
	s_and_saveexec_b64 s[2:3], s[0:1]
	s_cbranch_execz .LBB603_37
; %bb.36:
	v_mad_i64_i32 v[6:7], s[16:17], s15, v21, 0
	v_lshl_add_u64 v[6:7], v[6:7], 1, s[4:5]
	v_lshlrev_b32_e32 v8, 1, v18
	v_mov_b32_e32 v9, 0
	v_lshl_add_u64 v[6:7], v[6:7], 0, v[8:9]
	global_load_dwordx4 v[6:9], v[6:7], off
.LBB603_37:
	s_or_b64 exec, exec, s[2:3]
	v_mov_b32_e32 v17, 0
	v_mov_b32_e32 v10, 0
	;; [unrolled: 1-line block ×5, first 2 shown]
	s_and_saveexec_b64 s[2:3], vcc
	s_cbranch_execz .LBB603_39
; %bb.38:
	v_mad_i64_i32 v[10:11], s[16:17], s15, v20, 0
	v_lshl_add_u64 v[10:11], v[10:11], 1, s[4:5]
	v_lshlrev_b32_e32 v12, 1, v18
	v_mov_b32_e32 v13, 0
	v_lshl_add_u64 v[10:11], v[10:11], 0, v[12:13]
	global_load_dwordx4 v[10:13], v[10:11], off offset:128
.LBB603_39:
	s_or_b64 exec, exec, s[2:3]
	v_mov_b32_e32 v16, 0
	v_mov_b32_e32 v15, 0
	;; [unrolled: 1-line block ×3, first 2 shown]
	s_and_saveexec_b64 s[2:3], s[0:1]
	s_cbranch_execz .LBB603_41
; %bb.40:
	v_mad_i64_i32 v[14:15], s[0:1], s15, v21, 0
	v_lshl_add_u64 v[14:15], v[14:15], 1, s[4:5]
	v_lshlrev_b32_e32 v16, 1, v18
	v_mov_b32_e32 v17, 0
	v_lshl_add_u64 v[14:15], v[14:15], 0, v[16:17]
	global_load_dwordx4 v[14:17], v[14:15], off offset:128
.LBB603_41:
	s_or_b64 exec, exec, s[2:3]
	s_branch .LBB603_45
.LBB603_42:
                                        ; implicit-def: $vgpr5
                                        ; implicit-def: $vgpr9
                                        ; implicit-def: $vgpr13
                                        ; implicit-def: $vgpr17
	v_lshrrev_b32_e32 v37, 2, v45
	s_branch .LBB603_46
.LBB603_43:
                                        ; implicit-def: $vgpr5
                                        ; implicit-def: $vgpr9
                                        ; implicit-def: $vgpr13
                                        ; implicit-def: $vgpr17
	s_cbranch_execz .LBB603_45
; %bb.44:
	s_waitcnt vmcnt(0)
	v_mad_u64_u32 v[2:3], s[0:1], v20, s15, v[18:19]
	v_lshlrev_b32_e32 v20, 1, v2
	s_lshl_b32 s2, s15, 7
	s_and_b32 s1, s5, 0xffff
	s_mov_b32 s3, 0x20000
	s_mov_b32 s0, s4
	v_add_lshl_u32 v21, v2, s15, 1
	s_movk_i32 s13, 0x80
	buffer_load_dwordx4 v[2:5], v20, s[0:3], 0 offen
	buffer_load_dwordx4 v[10:13], v20, s[0:3], s13 offen
	;; [unrolled: 1-line block ×4, first 2 shown]
.LBB603_45:
	v_lshrrev_b32_e32 v37, 2, v45
	s_cbranch_execnz .LBB603_58
.LBB603_46:
	s_and_b64 vcc, exec, s[6:7]
	s_cbranch_vccz .LBB603_56
; %bb.47:
	s_waitcnt vmcnt(0)
	v_lshlrev_b32_e32 v7, 1, v35
	v_cmp_gt_i32_e32 vcc, s27, v7
	v_mov_b32_e32 v6, 0
	v_lshlrev_b32_e32 v14, 9, v35
	v_mov_b32_e32 v2, 0
	v_mov_b32_e32 v3, 0
	;; [unrolled: 1-line block ×4, first 2 shown]
	s_and_saveexec_b64 s[0:1], vcc
	s_cbranch_execz .LBB603_49
; %bb.48:
	v_mov_b32_e32 v15, 0
	v_lshl_add_u64 v[2:3], s[4:5], 0, v[14:15]
	v_lshlrev_b32_e32 v4, 1, v18
	v_mov_b32_e32 v5, v15
	v_lshl_add_u64 v[2:3], v[2:3], 0, v[4:5]
	global_load_dwordx4 v[2:5], v[2:3], off
.LBB603_49:
	s_or_b64 exec, exec, s[0:1]
	v_or_b32_e32 v7, 1, v7
	v_cmp_gt_i32_e64 s[0:1], s27, v7
	v_lshlrev_b32_e32 v20, 8, v7
	v_mov_b32_e32 v7, 0
	v_mov_b32_e32 v8, 0
	;; [unrolled: 1-line block ×3, first 2 shown]
	s_and_saveexec_b64 s[2:3], s[0:1]
	s_cbranch_execz .LBB603_51
; %bb.50:
	v_mov_b32_e32 v21, 0
	v_lshl_add_u64 v[6:7], s[4:5], 0, v[20:21]
	v_lshlrev_b32_e32 v8, 1, v18
	v_mov_b32_e32 v9, v21
	v_lshl_add_u64 v[6:7], v[6:7], 0, v[8:9]
	global_load_dwordx4 v[6:9], v[6:7], off
.LBB603_51:
	s_or_b64 exec, exec, s[2:3]
	v_mov_b32_e32 v17, 0
	v_mov_b32_e32 v10, 0
	;; [unrolled: 1-line block ×5, first 2 shown]
	s_and_saveexec_b64 s[2:3], vcc
	s_cbranch_execz .LBB603_53
; %bb.52:
	v_mov_b32_e32 v15, 0
	v_lshl_add_u64 v[10:11], s[4:5], 0, v[14:15]
	v_lshlrev_b32_e32 v14, 1, v18
	v_lshl_add_u64 v[10:11], v[10:11], 0, v[14:15]
	global_load_dwordx4 v[10:13], v[10:11], off offset:128
.LBB603_53:
	s_or_b64 exec, exec, s[2:3]
	v_mov_b32_e32 v16, 0
	v_mov_b32_e32 v15, 0
	;; [unrolled: 1-line block ×3, first 2 shown]
	s_and_saveexec_b64 s[2:3], s[0:1]
	s_cbranch_execz .LBB603_55
; %bb.54:
	v_mov_b32_e32 v21, 0
	v_lshl_add_u64 v[14:15], s[4:5], 0, v[20:21]
	v_lshlrev_b32_e32 v20, 1, v18
	v_lshl_add_u64 v[14:15], v[14:15], 0, v[20:21]
	global_load_dwordx4 v[14:17], v[14:15], off offset:128
.LBB603_55:
	s_or_b64 exec, exec, s[2:3]
	s_branch .LBB603_58
.LBB603_56:
                                        ; implicit-def: $vgpr5
                                        ; implicit-def: $vgpr9
                                        ; implicit-def: $vgpr13
                                        ; implicit-def: $vgpr17
	s_cbranch_execz .LBB603_58
; %bb.57:
	s_waitcnt vmcnt(0)
	v_lshlrev_b32_e32 v2, 1, v18
	v_lshl_or_b32 v18, v35, 9, v2
	s_and_b32 s5, s5, 0xffff
	s_mov_b32 s7, 0x20000
	s_movk_i32 s6, 0x4000
	s_movk_i32 s0, 0x80
	buffer_load_dwordx4 v[2:5], v18, s[4:7], 0 offen
	buffer_load_dwordx4 v[6:9], v18, s[4:7], 0 offen offset:256
	buffer_load_dwordx4 v[10:13], v18, s[4:7], s0 offen
	buffer_load_dwordx4 v[14:17], v18, s[4:7], s0 offen offset:256
.LBB603_58:
	ds_read2st64_b64 v[22:25], v19 offset0:76 offset1:77
	ds_read2st64_b64 v[18:21], v19 offset0:78 offset1:79
	ds_read_b64 v[32:33], v26 offset:24576
	ds_read_b64 v[30:31], v27 offset:24576
	;; [unrolled: 1-line block ×4, first 2 shown]
	v_and_b32_e32 v36, 6, v0
	v_xor_b32_e32 v35, v35, v36
	v_lshlrev_b32_e32 v35, 2, v35
	v_and_b32_e32 v0, 1, v0
	v_xor_b32_e32 v38, 0x440, v35
	v_cmp_eq_u32_e32 vcc, 0, v0
	s_mov_b32 s0, 0x1000504
	s_mov_b32 s1, 0x3020706
	v_cndmask_b32_e32 v0, v38, v35, vcc
	v_lshl_or_b32 v0, v36, 10, v0
	s_waitcnt vmcnt(0)
	v_perm_b32 v35, v2, v6, s0
	v_perm_b32 v36, v10, v14, s0
	ds_write2st64_b32 v0, v35, v36 offset1:32
	v_xor_b32_e32 v35, 8, v0
	v_perm_b32 v2, v2, v6, s1
	v_perm_b32 v6, v10, v14, s1
	v_add_u32_e32 v10, 0x80, v35
	ds_write2st64_b32 v10, v2, v6 offset1:32
	v_xor_b32_e32 v2, 16, v0
	v_perm_b32 v6, v3, v7, s0
	v_perm_b32 v10, v11, v15, s0
	ds_write2st64_b32 v2, v6, v10 offset0:1 offset1:33
	v_xor_b32_e32 v2, 24, v0
	v_perm_b32 v3, v3, v7, s1
	v_perm_b32 v6, v11, v15, s1
	v_add_u32_e32 v2, 0x80, v2
	ds_write2st64_b32 v2, v3, v6 offset0:1 offset1:33
	v_xor_b32_e32 v2, 32, v0
	v_perm_b32 v3, v4, v8, s0
	v_perm_b32 v6, v12, v16, s0
	ds_write2st64_b32 v2, v3, v6 offset0:2 offset1:34
	v_xor_b32_e32 v2, 40, v0
	v_perm_b32 v3, v4, v8, s1
	v_perm_b32 v4, v12, v16, s1
	v_add_u32_e32 v2, 0x80, v2
	ds_write2st64_b32 v2, v3, v4 offset0:2 offset1:34
	v_xor_b32_e32 v2, 48, v0
	v_perm_b32 v3, v5, v9, s0
	v_perm_b32 v4, v13, v17, s0
	v_xor_b32_e32 v0, 56, v0
	v_and_or_b32 v8, v37, 12, v1
	ds_write2st64_b32 v2, v3, v4 offset0:3 offset1:35
	v_perm_b32 v2, v5, v9, s1
	v_perm_b32 v3, v13, v17, s1
	v_add_u32_e32 v0, 0x80, v0
	v_cmp_gt_i32_e32 vcc, s27, v8
	v_mov_b32_e32 v9, 0
	v_mov_b32_e32 v14, 0
	ds_write2st64_b32 v0, v2, v3 offset0:3 offset1:35
	s_and_saveexec_b64 s[0:1], vcc
	s_cbranch_execz .LBB603_60
; %bb.59:
	v_add_u32_e32 v0, s26, v8
	v_ashrrev_i32_e32 v1, 31, v0
	v_mul_lo_u32 v2, v1, s30
	v_mul_lo_u32 v3, v0, s31
	v_mad_u64_u32 v[0:1], s[2:3], v0, s30, 0
	v_add3_u32 v1, v1, v3, v2
	v_lshl_add_u64 v[0:1], v[0:1], 2, s[10:11]
	global_load_dword v0, v[0:1], off
	s_waitcnt vmcnt(0)
	v_sub_f32_e32 v0, s12, v0
	v_mul_f32_e32 v0, 0x3fb8aa3b, v0
	v_exp_f32_e32 v14, v0
.LBB603_60:
	s_or_b64 exec, exec, s[0:1]
	v_or_b32_e32 v12, 1, v8
	v_cmp_gt_i32_e64 s[2:3], s27, v12
	s_and_saveexec_b64 s[0:1], s[2:3]
	s_cbranch_execz .LBB603_62
; %bb.61:
	v_add_u32_e32 v0, s26, v12
	v_ashrrev_i32_e32 v1, 31, v0
	v_mul_lo_u32 v2, v1, s30
	v_mul_lo_u32 v3, v0, s31
	v_mad_u64_u32 v[0:1], s[4:5], v0, s30, 0
	v_add3_u32 v1, v1, v3, v2
	v_lshl_add_u64 v[0:1], v[0:1], 2, s[10:11]
	global_load_dword v0, v[0:1], off
	s_waitcnt vmcnt(0)
	v_sub_f32_e32 v0, s12, v0
	v_mul_f32_e32 v0, 0x3fb8aa3b, v0
	v_exp_f32_e32 v9, v0
.LBB603_62:
	s_or_b64 exec, exec, s[0:1]
	v_or_b32_e32 v11, 2, v8
	v_cmp_gt_i32_e64 s[0:1], s27, v11
	v_mov_b32_e32 v10, 0
	v_mov_b32_e32 v15, 0
	s_and_saveexec_b64 s[4:5], s[0:1]
	s_cbranch_execz .LBB603_64
; %bb.63:
	v_add_u32_e32 v0, s26, v11
	v_ashrrev_i32_e32 v1, 31, v0
	v_mul_lo_u32 v2, v1, s30
	v_mul_lo_u32 v3, v0, s31
	v_mad_u64_u32 v[0:1], s[6:7], v0, s30, 0
	v_add3_u32 v1, v1, v3, v2
	v_lshl_add_u64 v[0:1], v[0:1], 2, s[10:11]
	global_load_dword v0, v[0:1], off
	s_waitcnt vmcnt(0)
	v_sub_f32_e32 v0, s12, v0
	v_mul_f32_e32 v0, 0x3fb8aa3b, v0
	v_exp_f32_e32 v15, v0
.LBB603_64:
	s_or_b64 exec, exec, s[4:5]
	v_or_b32_e32 v13, 3, v8
	v_cmp_gt_i32_e64 s[4:5], s27, v13
	s_and_saveexec_b64 s[6:7], s[4:5]
	s_cbranch_execz .LBB603_66
; %bb.65:
	v_add_u32_e32 v0, s26, v13
	v_ashrrev_i32_e32 v1, 31, v0
	v_mul_lo_u32 v2, v1, s30
	v_mul_lo_u32 v3, v0, s31
	v_mad_u64_u32 v[0:1], s[14:15], v0, s30, 0
	v_add3_u32 v1, v1, v3, v2
	v_lshl_add_u64 v[0:1], v[0:1], 2, s[10:11]
	global_load_dword v0, v[0:1], off
	s_waitcnt vmcnt(0)
	v_sub_f32_e32 v0, s12, v0
	v_mul_f32_e32 v0, 0x3fb8aa3b, v0
	v_exp_f32_e32 v10, v0
.LBB603_66:
	s_or_b64 exec, exec, s[6:7]
	s_waitcnt lgkmcnt(11)
	v_mfma_f32_16x16x16_bf16 a[0:3], v[32:33], v[22:23], a[0:3]
	s_add_u32 s6, s8, s20
	v_ashrrev_i32_e32 v47, 31, v46
	s_addc_u32 s7, s9, s21
	s_waitcnt lgkmcnt(10)
	v_mfma_f32_16x16x16_bf16 a[0:3], v[30:31], v[24:25], a[0:3]
	v_lshlrev_b64 v[0:1], 1, v[46:47]
	v_lshl_add_u64 v[4:5], s[6:7], 0, v[0:1]
	s_add_u32 s6, s28, s20
	s_waitcnt lgkmcnt(9)
	v_mfma_f32_16x16x16_bf16 a[0:3], v[28:29], v[18:19], a[0:3]
	s_addc_u32 s7, s29, s21
	v_lshl_add_u64 v[6:7], s[6:7], 0, v[0:1]
	v_mov_b32_e32 v16, 0
	s_waitcnt lgkmcnt(8)
	v_mfma_f32_16x16x16_bf16 a[0:3], v[26:27], v[20:21], a[0:3]
	v_mov_b32_e32 v17, 0
	s_nop 5
	v_accvgpr_read_b32 v0, a0
	v_accvgpr_read_b32 v1, a1
	;; [unrolled: 1-line block ×4, first 2 shown]
	s_and_saveexec_b64 s[6:7], vcc
	s_cbranch_execz .LBB603_68
; %bb.67:
	v_lshlrev_b32_e32 v18, 8, v8
	v_mov_b32_e32 v19, 0
	v_lshl_add_u64 v[20:21], v[4:5], 0, v[18:19]
	global_load_ushort v17, v[20:21], off
	v_lshl_add_u64 v[18:19], v[6:7], 0, v[18:19]
	s_waitcnt vmcnt(0)
	v_lshlrev_b32_e32 v17, 16, v17
	v_sub_f32_e32 v0, v17, v0
	global_store_short_d16_hi v[18:19], v0, off
	v_mul_f32_e32 v0, v14, v0
	v_lshrrev_b32_e32 v17, 16, v0
.LBB603_68:
	s_or_b64 exec, exec, s[6:7]
	s_and_saveexec_b64 s[6:7], s[2:3]
	s_cbranch_execz .LBB603_70
; %bb.69:
	v_lshlrev_b32_e32 v18, 8, v12
	v_mov_b32_e32 v19, 0
	v_lshl_add_u64 v[20:21], v[4:5], 0, v[18:19]
	global_load_ushort v0, v[20:21], off
	v_lshl_add_u64 v[18:19], v[6:7], 0, v[18:19]
	s_waitcnt vmcnt(0)
	v_lshlrev_b32_e32 v0, 16, v0
	v_sub_f32_e32 v0, v0, v1
	global_store_short_d16_hi v[18:19], v0, off
	v_mul_f32_e32 v0, v9, v0
	v_lshrrev_b32_e32 v16, 16, v0
.LBB603_70:
	s_or_b64 exec, exec, s[6:7]
	v_mov_b32_e32 v0, 0
	v_mov_b32_e32 v1, 0
	s_and_saveexec_b64 s[2:3], s[0:1]
	s_cbranch_execz .LBB603_72
; %bb.71:
	v_lshlrev_b32_e32 v18, 8, v11
	v_mov_b32_e32 v19, 0
	v_lshl_add_u64 v[20:21], v[4:5], 0, v[18:19]
	global_load_ushort v1, v[20:21], off
	v_lshl_add_u64 v[18:19], v[6:7], 0, v[18:19]
	s_waitcnt vmcnt(0)
	v_lshlrev_b32_e32 v1, 16, v1
	v_sub_f32_e32 v1, v1, v2
	global_store_short_d16_hi v[18:19], v1, off
	v_mul_f32_e32 v1, v15, v1
	v_lshrrev_b32_e32 v1, 16, v1
.LBB603_72:
	s_or_b64 exec, exec, s[2:3]
	s_and_saveexec_b64 s[0:1], s[4:5]
	s_cbranch_execz .LBB603_74
; %bb.73:
	v_lshlrev_b32_e32 v12, 8, v13
	v_mov_b32_e32 v13, 0
	v_lshl_add_u64 v[4:5], v[4:5], 0, v[12:13]
	global_load_ushort v0, v[4:5], off
	v_lshl_add_u64 v[4:5], v[6:7], 0, v[12:13]
	s_waitcnt vmcnt(0)
	v_lshlrev_b32_e32 v0, 16, v0
	v_sub_f32_e32 v0, v0, v3
	global_store_short_d16_hi v[4:5], v0, off
	v_mul_f32_e32 v0, v10, v0
	v_lshrrev_b32_e32 v0, 16, v0
.LBB603_74:
	s_or_b64 exec, exec, s[0:1]
	s_mov_b32 s0, 0x5040100
	v_lshlrev_b32_e32 v2, 1, v34
	v_perm_b32 v1, v0, v1, s0
	v_perm_b32 v0, v16, v17, s0
	v_lshl_or_b32 v2, v8, 5, v2
	ds_write_b64 v2, v[0:1] offset:38912
	s_waitcnt lgkmcnt(0)
	s_barrier
.LBB603_75:
	s_endpgm
	.section	.rodata,"a",@progbits
	.p2align	6, 0x0
	.amdhsa_kernel _ZN12_GLOBAL__N_139chunk_gated_delta_rule_fwd_h_hip_kernelILi16ELb1ELb0ELb1ELb0ELb0ELb1ELb0ELb1EEEvPK12hip_bfloat16S3_S3_PKfS5_PKvPS1_S8_PvPKiSB_iiiiilll
		.amdhsa_group_segment_fixed_size 40960
		.amdhsa_private_segment_fixed_size 0
		.amdhsa_kernarg_size 136
		.amdhsa_user_sgpr_count 2
		.amdhsa_user_sgpr_dispatch_ptr 0
		.amdhsa_user_sgpr_queue_ptr 0
		.amdhsa_user_sgpr_kernarg_segment_ptr 1
		.amdhsa_user_sgpr_dispatch_id 0
		.amdhsa_user_sgpr_kernarg_preload_length 0
		.amdhsa_user_sgpr_kernarg_preload_offset 0
		.amdhsa_user_sgpr_private_segment_size 0
		.amdhsa_uses_dynamic_stack 0
		.amdhsa_enable_private_segment 0
		.amdhsa_system_sgpr_workgroup_id_x 1
		.amdhsa_system_sgpr_workgroup_id_y 1
		.amdhsa_system_sgpr_workgroup_id_z 0
		.amdhsa_system_sgpr_workgroup_info 0
		.amdhsa_system_vgpr_workitem_id 0
		.amdhsa_next_free_vgpr 128
		.amdhsa_next_free_sgpr 72
		.amdhsa_accum_offset 116
		.amdhsa_reserve_vcc 1
		.amdhsa_float_round_mode_32 0
		.amdhsa_float_round_mode_16_64 0
		.amdhsa_float_denorm_mode_32 3
		.amdhsa_float_denorm_mode_16_64 3
		.amdhsa_dx10_clamp 1
		.amdhsa_ieee_mode 1
		.amdhsa_fp16_overflow 0
		.amdhsa_tg_split 0
		.amdhsa_exception_fp_ieee_invalid_op 0
		.amdhsa_exception_fp_denorm_src 0
		.amdhsa_exception_fp_ieee_div_zero 0
		.amdhsa_exception_fp_ieee_overflow 0
		.amdhsa_exception_fp_ieee_underflow 0
		.amdhsa_exception_fp_ieee_inexact 0
		.amdhsa_exception_int_div_zero 0
	.end_amdhsa_kernel
	.section	.text._ZN12_GLOBAL__N_139chunk_gated_delta_rule_fwd_h_hip_kernelILi16ELb1ELb0ELb1ELb0ELb0ELb1ELb0ELb1EEEvPK12hip_bfloat16S3_S3_PKfS5_PKvPS1_S8_PvPKiSB_iiiiilll,"axG",@progbits,_ZN12_GLOBAL__N_139chunk_gated_delta_rule_fwd_h_hip_kernelILi16ELb1ELb0ELb1ELb0ELb0ELb1ELb0ELb1EEEvPK12hip_bfloat16S3_S3_PKfS5_PKvPS1_S8_PvPKiSB_iiiiilll,comdat
.Lfunc_end603:
	.size	_ZN12_GLOBAL__N_139chunk_gated_delta_rule_fwd_h_hip_kernelILi16ELb1ELb0ELb1ELb0ELb0ELb1ELb0ELb1EEEvPK12hip_bfloat16S3_S3_PKfS5_PKvPS1_S8_PvPKiSB_iiiiilll, .Lfunc_end603-_ZN12_GLOBAL__N_139chunk_gated_delta_rule_fwd_h_hip_kernelILi16ELb1ELb0ELb1ELb0ELb0ELb1ELb0ELb1EEEvPK12hip_bfloat16S3_S3_PKfS5_PKvPS1_S8_PvPKiSB_iiiiilll
                                        ; -- End function
	.section	.AMDGPU.csdata,"",@progbits
; Kernel info:
; codeLenInByte = 7620
; NumSgprs: 78
; NumVgprs: 116
; NumAgprs: 12
; TotalNumVgprs: 128
; ScratchSize: 0
; MemoryBound: 0
; FloatMode: 240
; IeeeMode: 1
; LDSByteSize: 40960 bytes/workgroup (compile time only)
; SGPRBlocks: 9
; VGPRBlocks: 15
; NumSGPRsForWavesPerEU: 78
; NumVGPRsForWavesPerEU: 128
; AccumOffset: 116
; Occupancy: 1
; WaveLimiterHint : 1
; COMPUTE_PGM_RSRC2:SCRATCH_EN: 0
; COMPUTE_PGM_RSRC2:USER_SGPR: 2
; COMPUTE_PGM_RSRC2:TRAP_HANDLER: 0
; COMPUTE_PGM_RSRC2:TGID_X_EN: 1
; COMPUTE_PGM_RSRC2:TGID_Y_EN: 1
; COMPUTE_PGM_RSRC2:TGID_Z_EN: 0
; COMPUTE_PGM_RSRC2:TIDIG_COMP_CNT: 0
; COMPUTE_PGM_RSRC3_GFX90A:ACCUM_OFFSET: 28
; COMPUTE_PGM_RSRC3_GFX90A:TG_SPLIT: 0
	.section	.text._ZN12_GLOBAL__N_139chunk_gated_delta_rule_fwd_h_hip_kernelILi16ELb1ELb0ELb0ELb0ELb0ELb1ELb0ELb1EEEvPK12hip_bfloat16S3_S3_PKfS5_PKvPS1_S8_PvPKiSB_iiiiilll,"axG",@progbits,_ZN12_GLOBAL__N_139chunk_gated_delta_rule_fwd_h_hip_kernelILi16ELb1ELb0ELb0ELb0ELb0ELb1ELb0ELb1EEEvPK12hip_bfloat16S3_S3_PKfS5_PKvPS1_S8_PvPKiSB_iiiiilll,comdat
	.globl	_ZN12_GLOBAL__N_139chunk_gated_delta_rule_fwd_h_hip_kernelILi16ELb1ELb0ELb0ELb0ELb0ELb1ELb0ELb1EEEvPK12hip_bfloat16S3_S3_PKfS5_PKvPS1_S8_PvPKiSB_iiiiilll ; -- Begin function _ZN12_GLOBAL__N_139chunk_gated_delta_rule_fwd_h_hip_kernelILi16ELb1ELb0ELb0ELb0ELb0ELb1ELb0ELb1EEEvPK12hip_bfloat16S3_S3_PKfS5_PKvPS1_S8_PvPKiSB_iiiiilll
	.p2align	8
	.type	_ZN12_GLOBAL__N_139chunk_gated_delta_rule_fwd_h_hip_kernelILi16ELb1ELb0ELb0ELb0ELb0ELb1ELb0ELb1EEEvPK12hip_bfloat16S3_S3_PKfS5_PKvPS1_S8_PvPKiSB_iiiiilll,@function
_ZN12_GLOBAL__N_139chunk_gated_delta_rule_fwd_h_hip_kernelILi16ELb1ELb0ELb0ELb0ELb0ELb1ELb0ELb1EEEvPK12hip_bfloat16S3_S3_PKfS5_PKvPS1_S8_PvPKiSB_iiiiilll: ; @_ZN12_GLOBAL__N_139chunk_gated_delta_rule_fwd_h_hip_kernelILi16ELb1ELb0ELb0ELb0ELb0ELb1ELb0ELb1EEEvPK12hip_bfloat16S3_S3_PKfS5_PKvPS1_S8_PvPKiSB_iiiiilll
; %bb.0:
	s_load_dwordx4 s[12:15], s[0:1], 0x5c
	s_load_dwordx4 s[16:19], s[0:1], 0x28
	s_abs_i32 s6, s3
	s_ashr_i32 s5, s3, 31
	v_and_b32_e32 v62, 15, v0
	s_waitcnt lgkmcnt(0)
	s_abs_i32 s4, s13
	v_cvt_f32_u32_e32 v1, s4
	s_sub_i32 s8, 0, s4
	s_ashr_i32 s7, s13, 31
	s_xor_b32 s5, s5, s7
	v_rcp_iflag_f32_e32 v1, v1
	v_lshrrev_b32_e32 v60, 6, v0
	v_bfe_u32 v61, v0, 4, 2
	v_mov_b32_e32 v5, 0
	v_mul_f32_e32 v1, 0x4f7ffffe, v1
	v_cvt_u32_f32_e32 v1, v1
	v_and_b32_e32 v45, 63, v0
	v_lshlrev_b32_e32 v63, 3, v0
	v_lshrrev_b32_e32 v64, 3, v45
	v_readfirstlane_b32 s9, v1
	s_mul_i32 s8, s8, s9
	s_mul_hi_u32 s8, s9, s8
	s_add_i32 s9, s9, s8
	s_mul_hi_u32 s8, s6, s9
	s_mul_i32 s9, s8, s4
	s_sub_i32 s6, s6, s9
	s_add_i32 s10, s8, 1
	s_sub_i32 s9, s6, s4
	s_cmp_ge_u32 s6, s4
	s_cselect_b32 s8, s10, s8
	s_cselect_b32 s6, s9, s6
	s_add_i32 s9, s8, 1
	s_cmp_ge_u32 s6, s4
	s_cselect_b32 s6, s9, s8
	s_xor_b32 s6, s6, s5
	s_sub_i32 s51, s6, s5
	s_mul_i32 s6, s51, s13
	s_sub_i32 s49, s3, s6
	s_abs_i32 s3, s14
	v_cvt_f32_u32_e32 v1, s3
	s_add_i32 s8, s12, 63
	s_ashr_i32 s9, s8, 31
	s_lshr_b32 s5, s9, 26
	v_rcp_iflag_f32_e32 v1, v1
	s_ashr_i32 s50, s12, 31
	s_add_i32 s8, s8, s5
	s_lshr_b32 s5, s50, 26
	v_mul_f32_e32 v1, 0x4f7ffffe, v1
	v_cvt_u32_f32_e32 v1, v1
	s_add_i32 s5, s12, s5
	s_ashr_i32 s54, s14, 31
	s_ashr_i32 s52, s5, 6
	s_lshl_b32 s36, s2, 4
	s_xor_b32 s2, s7, s54
	s_sub_i32 s5, 0, s3
	v_readfirstlane_b32 s7, v1
	s_mul_i32 s5, s5, s7
	s_mul_hi_u32 s5, s7, s5
	s_add_i32 s7, s7, s5
	s_mul_hi_u32 s5, s4, s7
	s_mul_i32 s7, s5, s3
	s_sub_i32 s4, s4, s7
	s_ashr_i32 s25, s8, 6
	s_add_i32 s7, s5, 1
	s_sub_i32 s8, s4, s3
	s_cmp_ge_u32 s4, s3
	s_cselect_b32 s5, s7, s5
	s_cselect_b32 s4, s8, s4
	s_add_i32 s7, s5, 1
	s_cmp_ge_u32 s4, s3
	s_cselect_b32 s3, s7, s5
	s_xor_b32 s3, s3, s2
	s_sub_i32 s2, s3, s2
	s_abs_i32 s3, s2
	v_cvt_f32_u32_e32 v1, s3
	s_sub_i32 s5, 0, s3
	s_abs_i32 s4, s49
	s_xor_b32 s2, s49, s2
	v_rcp_iflag_f32_e32 v1, v1
	s_ashr_i32 s2, s2, 31
	v_or_b32_e32 v46, s36, v62
	v_lshlrev_b32_e32 v2, 7, v46
	v_mul_f32_e32 v1, 0x4f7ffffe, v1
	v_cvt_u32_f32_e32 v1, v1
	v_ashrrev_i32_e32 v3, 31, v2
	s_mul_i32 s56, s51, s25
	v_readfirstlane_b32 s7, v1
	s_mul_i32 s5, s5, s7
	s_mul_hi_u32 s5, s7, s5
	s_add_i32 s7, s7, s5
	s_mul_hi_u32 s5, s4, s7
	s_mul_i32 s7, s5, s3
	s_sub_i32 s4, s4, s7
	s_add_i32 s7, s5, 1
	s_sub_i32 s8, s4, s3
	s_cmp_ge_u32 s4, s3
	s_cselect_b32 s5, s7, s5
	s_cselect_b32 s4, s8, s4
	s_add_i32 s7, s5, 1
	s_cmp_ge_u32 s4, s3
	s_cselect_b32 s3, s7, s5
	s_xor_b32 s3, s3, s2
	s_sub_i32 s55, s3, s2
	s_ashr_i32 s24, s51, 31
	s_ashr_i32 s53, s49, 31
	s_mul_hi_i32 s2, s51, s13
	s_add_u32 s38, s6, s49
	s_addc_u32 s39, s2, s53
	s_lshl_b64 s[2:3], s[38:39], 15
	v_lshlrev_b32_e32 v1, 4, v60
	s_add_u32 s2, s16, s2
	v_lshl_or_b32 v65, v61, 2, v1
	s_addc_u32 s3, s17, s3
	v_lshl_add_u64 v[2:3], v[2:3], 1, s[2:3]
	v_lshlrev_b32_e32 v4, 1, v65
	v_lshl_add_u64 v[2:3], v[2:3], 0, v[4:5]
	global_load_dwordx2 v[4:5], v[2:3], off
	global_load_dwordx2 v[6:7], v[2:3], off offset:128
	s_load_dwordx8 s[4:11], s[0:1], 0x0
	s_load_dwordx2 s[28:29], s[0:1], 0x80
	s_load_dwordx4 s[20:23], s[0:1], 0x70
	v_or_b32_e32 v66, 64, v65
	s_mul_hi_u32 s57, s38, s12
	s_mul_i32 s16, s38, s12
	s_mul_i32 s39, s39, s12
	s_waitcnt lgkmcnt(0)
	s_mul_i32 s33, s51, s21
	s_mul_hi_u32 s44, s51, s20
	s_mul_i32 s34, s51, s20
	s_mul_i32 s45, s49, s23
	s_mul_hi_u32 s46, s49, s22
	s_mul_i32 s48, s24, s20
	s_mul_i32 s47, s53, s22
	s_cmp_lt_i32 s12, 64
	s_mul_i32 s30, s49, s22
	s_waitcnt vmcnt(1)
	v_and_b32_e32 v51, 0xffff0000, v4
	v_lshlrev_b32_e32 v50, 16, v4
	v_and_b32_e32 v55, 0xffff0000, v5
	v_lshlrev_b32_e32 v54, 16, v5
	s_waitcnt vmcnt(0)
	v_and_b32_e32 v49, 0xffff0000, v6
	v_lshlrev_b32_e32 v48, 16, v6
	v_and_b32_e32 v53, 0xffff0000, v7
	v_lshlrev_b32_e32 v52, 16, v7
	s_cbranch_scc1 .LBB604_18
; %bb.1:
	s_add_i32 s17, s57, s39
	s_lshl_b64 s[2:3], s[16:17], 8
	v_and_b32_e32 v68, 56, v63
	s_add_u32 s20, s6, s2
	v_lshl_or_b32 v67, v60, 3, v64
	v_lshlrev_b32_e32 v2, 1, v68
	s_addc_u32 s2, s7, s3
	v_lshl_or_b32 v69, v67, 8, v2
	s_and_b32 s21, s2, 0xffff
	s_mov_b32 s23, 0x20000
	s_movk_i32 s22, 0x4000
	s_movk_i32 s2, 0x80
	v_or_b32_e32 v70, 0x2000, v69
	buffer_load_dwordx4 v[4:7], v69, s[20:23], 0 offen
	buffer_load_dwordx4 v[8:11], v69, s[20:23], s2 offen
	;; [unrolled: 1-line block ×4, first 2 shown]
	v_lshlrev_b32_e32 v3, 3, v67
	v_and_or_b32 v21, v0, 7, v3
	v_and_b32_e32 v3, 0x78, v3
	v_lshlrev_b32_e32 v21, 4, v21
	v_xor_b32_e32 v71, v21, v3
	v_mul_lo_u32 v20, v67, s15
	v_or_b32_e32 v72, 0x1000, v71
	v_xor_b32_e32 v3, 8, v71
	s_cmpk_eq_i32 s15, 0x80
	s_mov_b32 s58, s14
	v_xor_b32_e32 v21, 8, v72
	s_cselect_b64 s[2:3], -1, 0
	s_cmpk_lg_i32 s15, 0x80
	s_waitcnt vmcnt(3)
	ds_write_b64 v71, v[4:5] offset:16384
	ds_write_b64 v3, v[6:7] offset:16384
	s_waitcnt vmcnt(2)
	ds_write_b64 v71, v[8:9] offset:24576
	ds_write_b64 v3, v[10:11] offset:24576
	;; [unrolled: 3-line block ×4, first 2 shown]
	v_lshl_add_u32 v3, v20, 1, v68
	s_cbranch_scc0 .LBB604_3
; %bb.2:
	v_lshlrev_b32_e32 v5, 1, v3
	v_add_lshl_u32 v4, v3, s15, 1
	s_lshl_b32 s22, s15, 7
	s_load_dwordx2 s[40:41], s[0:1], 0x20
	v_lshl_or_b32 v2, v67, 9, v2
	s_cbranch_execz .LBB604_4
	s_branch .LBB604_5
.LBB604_3:
                                        ; implicit-def: $vgpr4
                                        ; implicit-def: $vgpr5
                                        ; implicit-def: $sgpr22
	s_load_dwordx2 s[40:41], s[0:1], 0x20
	v_lshl_or_b32 v2, v67, 9, v2
.LBB604_4:
	v_or_b32_e32 v4, 0x100, v2
	s_movk_i32 s22, 0x4000
	v_mov_b32_e32 v5, v2
.LBB604_5:
	s_mul_hi_u32 s0, s14, s12
	s_mul_i32 s1, s54, s12
	s_add_i32 s0, s0, s1
	s_mul_i32 s1, s14, s12
	s_mul_i32 s20, s1, s24
	s_mul_hi_u32 s21, s1, s51
	s_add_i32 s20, s21, s20
	s_mul_i32 s0, s0, s51
	s_add_i32 s20, s20, s0
	s_mul_i32 s1, s1, s51
	s_ashr_i32 s59, s55, 31
	s_add_u32 s0, s1, s55
	s_addc_u32 s1, s20, s59
	s_lshl_b64 s[0:1], s[0:1], 8
	s_add_u32 s20, s4, s0
	s_addc_u32 s0, s5, s1
	s_and_b32 s21, s0, 0xffff
	s_movk_i32 s60, 0x80
	buffer_load_dwordx4 v[6:9], v5, s[20:23], 0 offen
	buffer_load_dwordx4 v[10:13], v5, s[20:23], s60 offen
	;; [unrolled: 1-line block ×4, first 2 shown]
	v_and_b32_e32 v4, 6, v0
	v_lshlrev_b32_e32 v22, 2, v62
	v_lshlrev_b32_e32 v23, 3, v62
	v_xor_b32_e32 v25, v67, v4
	v_and_b32_e32 v5, 1, v0
	s_mul_i32 s24, s24, s12
	s_mul_hi_u32 s0, s51, s12
	v_lshl_or_b32 v23, v65, 5, v23
	v_xor_b32_e32 v26, v65, v22
	v_lshlrev_b32_e32 v25, 2, v25
	v_or_b32_e32 v73, 0x9000, v23
	v_or_b32_e32 v74, 0x9800, v23
	v_lshlrev_b32_e32 v23, 1, v26
	v_xor_b32_e32 v26, 0x440, v25
	v_cmp_eq_u32_e32 vcc, 0, v5
	s_add_i32 s65, s0, s24
	s_add_i32 s0, s44, s33
	v_cndmask_b32_e32 v5, v26, v25, vcc
	s_add_i32 s1, s46, s45
	s_add_i32 s35, s0, s48
	s_mov_b32 s63, 0x1000504
	v_lshlrev_b32_e32 v24, 8, v62
	s_mov_b32 s20, 0x8000
	v_xor_b32_e32 v22, v66, v22
	v_lshl_or_b32 v4, v4, 10, v5
	s_add_i32 s31, s1, s47
	s_lshl_b64 s[0:1], s[34:35], 2
	s_mov_b32 s64, 0x3020706
	v_lshlrev_b32_e32 v22, 1, v22
	v_or3_b32 v75, v23, v24, s20
	v_xor_b32_e32 v5, 8, v4
	v_xor_b32_e32 v23, 24, v4
	;; [unrolled: 1-line block ×4, first 2 shown]
	s_add_u32 s21, s10, s0
	v_or3_b32 v76, v22, v24, s20
	v_xor_b32_e32 v22, 16, v4
	v_xor_b32_e32 v24, 32, v4
	v_xor_b32_e32 v26, 48, v4
	v_add_u32_e32 v5, 0x80, v5
	v_add_u32_e32 v23, 0x80, v23
	;; [unrolled: 1-line block ×4, first 2 shown]
	s_addc_u32 s22, s11, s1
	s_lshl_b64 s[0:1], s[30:31], 2
	s_add_u32 s42, s21, s0
	s_movk_i32 s0, 0xf8
	s_addc_u32 s43, s22, s1
	s_ashr_i32 s37, s36, 31
	v_ashrrev_i32_e32 v47, 31, v46
	s_lshl_b32 s26, s15, 7
	s_mul_i32 s61, s51, s12
	s_mov_b32 s62, 0
	s_mov_b32 s35, 0x7060302
	s_movk_i32 s22, 0x4000
	v_mov_b32_e32 v96, 0x3fb8aa3b
	s_mov_b32 s66, 0
	s_waitcnt vmcnt(1)
	v_perm_b32 v28, v6, v14, s63
	s_waitcnt vmcnt(0)
	v_perm_b32 v29, v10, v18, s63
	v_perm_b32 v6, v6, v14, s64
	;; [unrolled: 1-line block ×15, first 2 shown]
	ds_write2st64_b32 v4, v28, v29 offset1:32
	ds_write2st64_b32 v5, v6, v10 offset1:32
	ds_write2st64_b32 v22, v14, v18 offset0:1 offset1:33
	ds_write2st64_b32 v23, v7, v11 offset0:1 offset1:33
	;; [unrolled: 1-line block ×6, first 2 shown]
	v_or_b32_e32 v4, v1, v62
	v_lshlrev_b32_e32 v4, 3, v4
	v_lshrrev_b32_e32 v6, 5, v45
	v_and_or_b32 v6, v4, s0, v6
	v_lshlrev_b32_e32 v6, 4, v6
	v_lshrrev_b32_e32 v5, 2, v45
	v_lshlrev_b32_e32 v11, 11, v60
	v_and_b32_e32 v4, 0x78, v4
	v_or_b32_e32 v9, 32, v6
	v_and_b32_e32 v10, 12, v5
	v_and_b32_e32 v5, 0x1000, v11
	v_xor_b32_e32 v7, v6, v4
	v_lshrrev_b32_e32 v8, 1, v45
	v_xor_b32_e32 v9, v9, v4
	v_or_b32_e32 v7, v7, v5
	v_and_b32_e32 v8, 8, v8
	v_or_b32_e32 v9, v9, v5
	v_xor_b32_e32 v77, v7, v8
	v_and_b32_e32 v7, 0x78, v63
	v_xor_b32_e32 v79, v9, v8
	v_or_b32_e32 v9, 64, v6
	v_or_b32_e32 v6, 0x60, v6
	v_lshl_or_b32 v7, v61, 7, v7
	v_xor_b32_e32 v9, v9, v4
	v_xor_b32_e32 v4, v6, v4
	v_or_b32_e32 v78, 0x9000, v7
	v_or_b32_e32 v9, v9, v5
	;; [unrolled: 1-line block ×4, first 2 shown]
	v_lshrrev_b32_e32 v6, 4, v0
	v_lshlrev_b32_e32 v7, 1, v62
	v_xor_b32_e32 v80, v9, v8
	v_xor_b32_e32 v81, v4, v8
	v_or_b32_e32 v8, 1, v7
	v_xor_b32_e32 v7, v6, v7
	s_lshl_b64 s[0:1], s[36:37], 8
	v_xor_b32_e32 v8, v8, v6
	v_lshlrev_b32_e32 v7, 3, v7
	v_lshlrev_b32_e32 v6, 8, v6
	v_lshl_add_u64 v[4:5], v[46:47], 1, s[8:9]
	s_add_u32 s0, s18, s0
	v_or3_b32 v47, v7, v6, s20
	v_lshlrev_b32_e32 v7, 3, v8
	s_addc_u32 s1, s19, s1
	v_or3_b32 v83, v7, v6, s20
	v_mov_b32_e32 v7, 0
	v_lshrrev_b32_e32 v17, 1, v0
	v_lshl_add_u64 v[8:9], s[0:1], 0, v[6:7]
	v_lshlrev_b32_e32 v6, 4, v62
	s_movk_i32 s0, 0xff
	v_lshlrev_b32_e32 v16, 3, v60
	v_and_b32_e32 v17, 24, v17
	v_lshl_add_u64 v[56:57], v[8:9], 0, v[6:7]
	v_and_b32_e32 v6, 7, v0
	v_and_b32_e32 v9, 8, v0
	v_cmp_lt_u32_e32 vcc, s0, v0
	v_xor_b32_e32 v18, v16, v17
	v_lshlrev_b32_e32 v14, 3, v6
	v_lshlrev_b32_e32 v15, 7, v6
	v_cndmask_b32_e64 v6, 0, 1, vcc
	v_or_b32_e32 v19, 0x440, v18
	v_cmp_eq_u32_e32 vcc, 0, v9
	v_or_b32_e32 v21, 64, v17
	v_xor_b32_e32 v21, v16, v21
	v_cndmask_b32_e32 v9, v19, v18, vcc
	v_or_b32_e32 v19, 32, v17
	v_or_b32_e32 v17, 0x60, v17
	v_xor_b32_e32 v19, v16, v19
	v_xor_b32_e32 v16, v16, v17
	v_or_b32_e32 v20, 0x440, v19
	v_xor_b32_e32 v22, 0x440, v21
	v_xor_b32_e32 v17, 0x440, v16
	v_cndmask_b32_e32 v19, v20, v19, vcc
	v_cndmask_b32_e32 v21, v22, v21, vcc
	v_cndmask_b32_e32 v16, v17, v16, vcc
	v_or_b32_e32 v9, v9, v11
	v_or_b32_e32 v19, v19, v11
	;; [unrolled: 1-line block ×4, first 2 shown]
	v_lshlrev_b32_e32 v6, 13, v6
	v_xor_b32_e32 v9, v9, v14
	v_xor_b32_e32 v19, v19, v14
	v_xor_b32_e32 v21, v21, v14
	v_xor_b32_e32 v11, v11, v14
	v_lshlrev_b32_e32 v12, 1, v3
	v_add_lshl_u32 v3, v3, s15, 1
	v_or_b32_e32 v13, 0x100, v2
	v_or_b32_e32 v8, v10, v1
	v_add_u32_e32 v18, v6, v9
	v_add_u32_e32 v20, v6, v19
	;; [unrolled: 1-line block ×4, first 2 shown]
	v_or3_b32 v10, v1, v10, 64
	v_add_u32_e32 v9, 0x2000, v9
	v_add_u32_e32 v16, 0x2000, v19
	;; [unrolled: 1-line block ×4, first 2 shown]
	v_lshlrev_b32_e32 v6, 8, v65
	v_cndmask_b32_e64 v84, v12, v2, s[2:3]
	v_cndmask_b32_e64 v85, v3, v13, s[2:3]
	v_lshl_add_u64 v[58:59], v[4:5], 0, v[6:7]
	s_add_i32 s31, s61, 63
	v_lshlrev_b32_e32 v86, 2, v8
	v_add_u32_e32 v87, v18, v15
	v_add_u32_e32 v88, v20, v15
	;; [unrolled: 1-line block ×4, first 2 shown]
	v_lshlrev_b32_e32 v91, 2, v10
	v_add_u32_e32 v92, v9, v15
	v_add_u32_e32 v93, v16, v15
	;; [unrolled: 1-line block ×4, first 2 shown]
	s_waitcnt lgkmcnt(0)
	s_barrier
.LBB604_6:                              ; =>This Inner Loop Header: Depth=1
	s_add_i32 s37, s66, 1
	s_cmp_lt_i32 s37, s52
	s_mov_b64 s[24:25], 0
	s_cselect_b64 s[2:3], -1, 0
	s_cmp_ge_i32 s37, s52
	s_mov_b64 s[20:21], 0
	s_cbranch_scc1 .LBB604_8
; %bb.7:                                ;   in Loop: Header=BB604_6 Depth=1
	s_add_i32 s0, s62, 64
	s_add_u32 s0, s16, s0
	s_addc_u32 s1, s17, 0
	s_lshl_b64 s[0:1], s[0:1], 8
	s_add_u32 s20, s6, s0
	s_addc_u32 s21, s7, s1
.LBB604_8:                              ;   in Loop: Header=BB604_6 Depth=1
	v_cndmask_b32_e64 v2, 0, 1, s[2:3]
	v_cmp_ne_u32_e64 s[0:1], 1, v2
	s_andn2_b64 vcc, exec, s[2:3]
	s_cbranch_vccnz .LBB604_10
; %bb.9:                                ;   in Loop: Header=BB604_6 Depth=1
	s_add_i32 s2, s62, 64
	s_add_u32 s2, s61, s2
	s_addc_u32 s3, s65, 0
	s_mul_i32 s24, s2, s54
	s_mul_hi_u32 s25, s2, s58
	s_add_i32 s24, s25, s24
	s_mul_i32 s3, s3, s58
	s_add_i32 s24, s24, s3
	s_mul_i32 s2, s2, s58
	s_add_u32 s2, s2, s55
	s_addc_u32 s3, s24, s59
	s_lshl_b64 s[2:3], s[2:3], 8
	s_add_u32 s24, s4, s2
	s_addc_u32 s25, s5, s3
.LBB604_10:                             ;   in Loop: Header=BB604_6 Depth=1
	v_perm_b32 v3, v55, v54, s35
	v_perm_b32 v2, v51, v50, s35
	;; [unrolled: 1-line block ×4, first 2 shown]
	ds_write_b64 v73, v[2:3]
	ds_write_b64 v74, v[4:5]
	;; [unrolled: 1-line block ×4, first 2 shown]
	s_waitcnt lgkmcnt(0)
	s_barrier
	ds_read_b64 v[10:11], v77 offset:16384
	ds_read_b64 v[12:13], v79 offset:16384
	ds_read2st64_b64 v[2:5], v78 offset1:1
	ds_read2st64_b64 v[6:9], v78 offset0:2 offset1:3
	ds_read_b64 v[14:15], v80 offset:16384
	s_waitcnt lgkmcnt(2)
	v_mfma_f32_16x16x16_bf16 a[0:3], v[10:11], v[2:3], 0
	ds_read_b64 v[2:3], v81 offset:16384
	s_add_i32 s2, s62, 63
	s_mul_i32 s3, s2, s29
	v_mfma_f32_16x16x16_bf16 a[0:3], v[12:13], v[4:5], a[0:3]
	s_mul_hi_u32 s27, s2, s28
	s_add_i32 s3, s27, s3
	s_mul_i32 s2, s2, s28
	s_waitcnt lgkmcnt(1)
	v_mfma_f32_16x16x16_bf16 a[0:3], v[14:15], v[6:7], a[0:3]
	s_lshl_b64 s[2:3], s[2:3], 2
	s_add_u32 s2, s42, s2
	s_addc_u32 s3, s43, s3
	s_waitcnt lgkmcnt(0)
	v_mfma_f32_16x16x16_bf16 a[0:3], v[2:3], v[8:9], a[0:3]
	s_and_b64 vcc, exec, s[0:1]
	v_mov_b32_e32 v99, 0
	v_mov_b32_e32 v98, 0
	;; [unrolled: 1-line block ×19, first 2 shown]
	s_cbranch_vccnz .LBB604_12
; %bb.11:                               ;   in Loop: Header=BB604_6 Depth=1
	s_and_b32 s21, s21, 0xffff
	buffer_load_dwordx4 v[14:17], v69, s[20:23], 0 offen
	buffer_load_dwordx4 v[10:13], v69, s[20:23], s60 offen
	;; [unrolled: 1-line block ×4, first 2 shown]
	v_mov_b32_e32 v98, v71
	v_mov_b32_e32 v97, v72
.LBB604_12:                             ;   in Loop: Header=BB604_6 Depth=1
	v_add_u32_e32 v24, s62, v65
	v_ashrrev_i32_e32 v18, 31, v24
	v_mul_lo_u32 v20, v18, s28
	v_mul_lo_u32 v21, v24, s29
	v_mad_u64_u32 v[18:19], s[20:21], v24, s28, 0
	v_add3_u32 v19, v19, v21, v20
	v_add_u32_e32 v20, 1, v24
	v_ashrrev_i32_e32 v21, 31, v20
	v_mul_lo_u32 v22, v21, s28
	v_mul_lo_u32 v23, v20, s29
	v_mad_u64_u32 v[20:21], s[20:21], v20, s28, 0
	v_add3_u32 v21, v21, v23, v22
	v_add_u32_e32 v22, 2, v24
	v_ashrrev_i32_e32 v23, 31, v22
	v_mul_lo_u32 v25, v23, s28
	v_mul_lo_u32 v26, v22, s29
	v_mad_u64_u32 v[22:23], s[20:21], v22, s28, 0
	v_add_u32_e32 v24, 3, v24
	v_add3_u32 v23, v23, v26, v25
	v_ashrrev_i32_e32 v25, 31, v24
	v_mul_lo_u32 v28, v25, s28
	v_mul_lo_u32 v29, v24, s29
	v_mad_u64_u32 v[24:25], s[20:21], v24, s28, 0
	s_add_u32 s20, s16, s62
	s_addc_u32 s21, s17, 0
	s_lshl_b64 s[20:21], s[20:21], 8
	v_lshl_add_u64 v[18:19], v[18:19], 2, s[42:43]
	v_lshl_add_u64 v[20:21], v[20:21], 2, s[42:43]
	;; [unrolled: 1-line block ×3, first 2 shown]
	v_add3_u32 v25, v25, v29, v28
	v_lshl_add_u64 v[22:23], v[22:23], 2, s[42:43]
	global_load_ushort v38, v[26:27], off
	global_load_ushort v39, v[26:27], off offset:256
	global_load_ushort v40, v[26:27], off offset:512
	;; [unrolled: 1-line block ×3, first 2 shown]
	global_load_dword v42, v[18:19], off
	v_lshl_add_u64 v[18:19], v[24:25], 2, s[42:43]
	global_load_dword v43, v[20:21], off
	global_load_dword v44, v[22:23], off
	;; [unrolled: 1-line block ×3, first 2 shown]
	s_load_dword s2, s[2:3], 0x0
	ds_read2st64_b64 v[24:27], v82 offset1:1
	ds_read2st64_b64 v[28:31], v82 offset0:2 offset1:3
	ds_read_b64 v[22:23], v77 offset:24576
	ds_read_b64 v[32:33], v79 offset:24576
	;; [unrolled: 1-line block ×4, first 2 shown]
	s_waitcnt lgkmcnt(0)
	v_mfma_f32_16x16x16_bf16 a[0:3], v[22:23], v[24:25], a[0:3]
	v_mov_b32_e32 v100, 0
	v_mov_b32_e32 v18, 0
	v_mov_b32_e32 v19, 0
	v_mfma_f32_16x16x16_bf16 a[0:3], v[32:33], v[26:27], a[0:3]
	v_mov_b32_e32 v20, 0
	v_mov_b32_e32 v21, 0
	v_mov_b32_e32 v22, 0
	;; [unrolled: 4-line block ×4, first 2 shown]
	v_mov_b32_e32 v29, 0
	s_and_b64 vcc, exec, s[0:1]
	s_waitcnt vmcnt(7)
	v_lshlrev_b32_e32 v34, 16, v38
	s_waitcnt vmcnt(6)
	v_lshlrev_b32_e32 v35, 16, v39
	;; [unrolled: 2-line block ×4, first 2 shown]
	s_waitcnt vmcnt(3)
	v_sub_f32_e32 v38, s2, v42
	s_waitcnt vmcnt(2)
	v_sub_f32_e32 v39, s2, v43
	;; [unrolled: 2-line block ×4, first 2 shown]
	v_mul_f32_e32 v38, 0x3fb8aa3b, v38
	v_mul_f32_e32 v39, 0x3fb8aa3b, v39
	;; [unrolled: 1-line block ×4, first 2 shown]
	v_exp_f32_e32 v38, v38
	v_exp_f32_e32 v39, v39
	;; [unrolled: 1-line block ×4, first 2 shown]
	v_accvgpr_read_b32 v33, a1
	v_accvgpr_read_b32 v31, a3
	;; [unrolled: 1-line block ×4, first 2 shown]
	v_pk_add_f32 v[32:33], v[34:35], v[32:33] neg_lo:[0,1] neg_hi:[0,1]
	v_pk_add_f32 v[30:31], v[36:37], v[30:31] neg_lo:[0,1] neg_hi:[0,1]
	v_pk_mul_f32 v[32:33], v[38:39], v[32:33]
	v_pk_mul_f32 v[30:31], v[40:41], v[30:31]
	s_nop 0
	v_perm_b32 v31, v31, v30, s35
	v_perm_b32 v30, v33, v32, s35
	ds_write_b64 v74, v[30:31]
	v_mov_b32_e32 v30, 0
	v_mov_b32_e32 v31, 0
	;; [unrolled: 1-line block ×4, first 2 shown]
	s_cbranch_vccnz .LBB604_14
; %bb.13:                               ;   in Loop: Header=BB604_6 Depth=1
	s_and_b32 s25, s25, 0xffff
	s_mov_b32 s27, s23
	buffer_load_dwordx4 v[30:33], v84, s[24:27], 0 offen
	buffer_load_dwordx4 v[22:25], v84, s[24:27], s60 offen
	;; [unrolled: 1-line block ×4, first 2 shown]
	v_mov_b32_e32 v99, v68
	v_mov_b32_e32 v100, v67
.LBB604_14:                             ;   in Loop: Header=BB604_6 Depth=1
	s_waitcnt lgkmcnt(0)
	s_barrier
	ds_read_b64 v[34:35], v87
	ds_read_b64 v[40:41], v88
	ds_read2st64_b64 v[36:39], v82 offset1:1
	ds_read2st64_b64 v[102:105], v82 offset0:2 offset1:3
	ds_read_b64 v[42:43], v89
	ds_read_b64 v[110:111], v90
	s_add_i32 s3, s56, s66
	s_mul_hi_i32 s21, s3, s13
	s_mul_i32 s3, s3, s13
	s_waitcnt lgkmcnt(3)
	v_mfma_f32_16x16x16_bf16 a[0:3], v[34:35], v[36:37], 0
	ds_read_b64 v[34:35], v92
	s_add_u32 s20, s3, s49
	s_addc_u32 s21, s21, s53
	s_add_i32 s3, s31, s62
	v_mfma_f32_16x16x16_bf16 a[0:3], v[40:41], v[38:39], a[0:3]
	ds_read_b64 v[40:41], v93
	s_lshl_b64 s[20:21], s[20:21], 15
	s_mul_hi_i32 s25, s3, s13
	s_mul_i32 s3, s3, s13
	s_add_u32 s24, s3, s49
	s_addc_u32 s25, s25, s53
	s_lshl_b64 s[24:25], s[24:25], 9
	s_add_u32 s24, s40, s24
	s_waitcnt lgkmcnt(1)
	v_mfma_f32_16x16x16_bf16 a[4:7], v[34:35], v[36:37], 0
	s_addc_u32 s25, s41, s25
	s_and_b64 vcc, exec, s[0:1]
	v_mfma_f32_16x16x16_bf16 a[0:3], v[42:43], v[102:103], a[0:3]
	ds_read_b64 v[42:43], v94
	ds_read_b64 v[112:113], v95
	global_load_dwordx4 v[34:37], v91, s[24:25]
	s_waitcnt lgkmcnt(2)
	v_mfma_f32_16x16x16_bf16 a[4:7], v[40:41], v[38:39], a[4:7]
	global_load_dwordx4 v[38:41], v86, s[24:25]
	ds_read_b64 v[106:107], v47
	ds_read_b64 v[108:109], v83
	s_waitcnt lgkmcnt(3)
	v_mfma_f32_16x16x16_bf16 a[8:11], v[42:43], v[102:103], a[4:7]
	v_lshl_add_u64 v[42:43], v[56:57], 0, s[20:21]
	s_waitcnt lgkmcnt(0)
	global_store_dwordx4 v[42:43], v[106:109], off
	v_mfma_f32_16x16x16_bf16 a[4:7], v[110:111], v[104:105], a[0:3]
	s_waitcnt vmcnt(2)
	v_mov_b32_e32 v44, v37
	v_mfma_f32_16x16x16_bf16 a[0:3], v[112:113], v[104:105], a[8:11]
	v_mov_b32_e32 v43, v36
	v_mov_b32_e32 v42, v35
	s_cbranch_vccnz .LBB604_16
; %bb.15:                               ;   in Loop: Header=BB604_6 Depth=1
	v_lshrrev_b32_e32 v35, 3, v99
	v_and_b32_e32 v35, 6, v35
	v_xor_b32_e32 v36, v35, v100
	v_lshlrev_b32_e32 v36, 2, v36
	v_and_b32_e32 v37, 8, v99
	v_xor_b32_e32 v99, 0x440, v36
	v_cmp_eq_u32_e32 vcc, 0, v37
	v_perm_b32 v37, v22, v18, s63
	s_nop 0
	v_cndmask_b32_e32 v36, v99, v36, vcc
	v_lshl_or_b32 v35, v35, 10, v36
	v_perm_b32 v36, v30, v26, s63
	s_barrier
	ds_write2st64_b32 v35, v36, v37 offset1:32
	v_xor_b32_e32 v36, 8, v35
	v_perm_b32 v26, v30, v26, s64
	v_perm_b32 v18, v22, v18, s64
	v_add_u32_e32 v22, 0x80, v36
	ds_write2st64_b32 v22, v26, v18 offset1:32
	v_xor_b32_e32 v18, 16, v35
	v_perm_b32 v22, v31, v27, s63
	v_perm_b32 v26, v23, v19, s63
	ds_write2st64_b32 v18, v22, v26 offset0:1 offset1:33
	v_xor_b32_e32 v18, 24, v35
	v_perm_b32 v22, v31, v27, s64
	v_perm_b32 v19, v23, v19, s64
	v_add_u32_e32 v18, 0x80, v18
	ds_write2st64_b32 v18, v22, v19 offset0:1 offset1:33
	v_xor_b32_e32 v18, 32, v35
	v_perm_b32 v19, v32, v28, s63
	v_perm_b32 v22, v24, v20, s63
	ds_write2st64_b32 v18, v19, v22 offset0:2 offset1:34
	v_xor_b32_e32 v18, 40, v35
	v_perm_b32 v19, v32, v28, s64
	v_perm_b32 v20, v24, v20, s64
	v_add_u32_e32 v18, 0x80, v18
	ds_write2st64_b32 v18, v19, v20 offset0:2 offset1:34
	v_xor_b32_e32 v18, 48, v35
	v_perm_b32 v19, v33, v29, s63
	v_perm_b32 v20, v25, v21, s63
	ds_write2st64_b32 v18, v19, v20 offset0:3 offset1:35
	v_xor_b32_e32 v18, 56, v35
	v_perm_b32 v19, v33, v29, s64
	v_perm_b32 v20, v25, v21, s64
	v_add_u32_e32 v18, 0x80, v18
	ds_write2st64_b32 v18, v19, v20 offset0:3 offset1:35
	ds_write_b64 v98, v[14:15] offset:16384
	v_xor_b32_e32 v14, 8, v98
	ds_write_b64 v14, v[16:17] offset:16384
	ds_write_b64 v98, v[10:11] offset:24576
	;; [unrolled: 1-line block ×4, first 2 shown]
	v_xor_b32_e32 v6, 8, v97
	ds_write_b64 v6, v[8:9] offset:16384
	ds_write_b64 v97, v[2:3] offset:24576
	;; [unrolled: 1-line block ×3, first 2 shown]
.LBB604_16:                             ;   in Loop: Header=BB604_6 Depth=1
	v_mul_f32_e32 v6, s2, v96
	v_exp_f32_e32 v10, v6
	s_waitcnt vmcnt(1)
	v_mul_f32_e32 v6, 0x3fb8aa3b, v38
	v_exp_f32_e32 v12, v6
	v_mul_f32_e32 v6, 0x3fb8aa3b, v39
	v_exp_f32_e32 v13, v6
	;; [unrolled: 2-line block ×4, first 2 shown]
	v_accvgpr_read_b32 v2, a4
	v_accvgpr_read_b32 v3, a5
	v_pk_mul_f32 v[12:13], v[10:11], v[12:13] op_sel_hi:[0,1]
	v_pk_fma_f32 v[50:51], v[50:51], v[12:13], v[2:3]
	v_pk_mul_f32 v[2:3], v[10:11], v[14:15] op_sel_hi:[0,1]
	v_mul_f32_e32 v11, 0x3fb8aa3b, v34
	v_exp_f32_e32 v12, v11
	v_mul_f32_e32 v11, 0x3fb8aa3b, v42
	v_exp_f32_e32 v13, v11
	;; [unrolled: 2-line block ×4, first 2 shown]
	v_accvgpr_read_b32 v4, a6
	v_accvgpr_read_b32 v5, a7
	;; [unrolled: 1-line block ×5, first 2 shown]
	v_pk_fma_f32 v[54:55], v[54:55], v[2:3], v[4:5]
	v_pk_mul_f32 v[2:3], v[10:11], v[12:13] op_sel_hi:[0,1]
	v_accvgpr_read_b32 v8, a2
	v_pk_fma_f32 v[48:49], v[48:49], v[2:3], v[6:7]
	v_pk_mul_f32 v[2:3], v[10:11], v[14:15] op_sel_hi:[0,1]
	s_add_i32 s62, s62, 64
	s_cmp_eq_u32 s52, s37
	v_pk_fma_f32 v[52:53], v[52:53], v[2:3], v[8:9]
	s_cbranch_scc1 .LBB604_18
; %bb.17:                               ;   in Loop: Header=BB604_6 Depth=1
	s_mov_b32 s66, s37
	s_branch .LBB604_6
.LBB604_18:
	s_lshl_b32 s26, s52, 6
	s_sub_i32 s27, s12, s26
	s_cmp_gt_i32 s27, 0
	s_cbranch_scc0 .LBB604_75
; %bb.19:
	s_ashr_i32 s2, s26, 31
	s_cmpk_lg_i32 s15, 0x80
	s_cselect_b64 s[22:23], -1, 0
	s_and_b64 vcc, exec, s[22:23]
	s_cbranch_vccz .LBB604_21
; %bb.20:
	s_mul_i32 s1, s51, s12
	s_mul_hi_i32 s0, s51, s12
	s_add_u32 s1, s1, s26
	s_addc_u32 s0, s0, s2
	s_mul_i32 s3, s1, s54
	s_mul_hi_u32 s17, s1, s14
	s_add_i32 s3, s17, s3
	s_mul_i32 s0, s0, s14
	s_add_i32 s3, s3, s0
	s_mul_i32 s1, s1, s14
	s_ashr_i32 s0, s55, 31
	s_add_u32 s24, s1, s55
	s_addc_u32 s25, s3, s0
	s_cbranch_execz .LBB604_22
	s_branch .LBB604_23
.LBB604_21:
                                        ; implicit-def: $sgpr24_sgpr25
.LBB604_22:
	s_mul_hi_i32 s0, s51, s14
	s_mul_i32 s51, s51, s14
	s_ashr_i32 s1, s55, 31
	s_add_u32 s3, s51, s55
	s_addc_u32 s0, s0, s1
	s_mul_i32 s1, s3, s50
	s_mul_hi_u32 s14, s3, s12
	s_add_i32 s1, s14, s1
	s_mul_i32 s0, s0, s12
	s_add_i32 s1, s1, s0
	s_mul_i32 s3, s3, s12
	s_add_u32 s24, s3, s26
	s_addc_u32 s25, s1, s2
.LBB604_23:
	s_mul_i32 s0, s38, s50
	s_add_i32 s0, s57, s0
	s_add_i32 s3, s56, s52
	;; [unrolled: 1-line block ×3, first 2 shown]
	s_add_u32 s0, s16, s26
	s_addc_u32 s1, s1, s2
	s_mov_b32 s2, 0x7060302
	v_lshlrev_b32_e32 v6, 3, v62
	s_lshl_b64 s[20:21], s[0:1], 8
	v_perm_b32 v3, v55, v54, s2
	v_perm_b32 v2, v51, v50, s2
	v_perm_b32 v5, v53, v52, s2
	v_perm_b32 v4, v49, v48, s2
	v_lshlrev_b32_e32 v34, 2, v62
	v_lshl_or_b32 v6, v65, 5, v6
	s_add_u32 s0, s6, s20
	ds_write2st64_b64 v6, v[2:3], v[4:5] offset0:72 offset1:76
	v_xor_b32_e32 v6, v65, v34
	v_lshlrev_b32_e32 v7, 8, v62
	s_addc_u32 s1, s7, s21
	v_lshl_or_b32 v6, v6, 1, v7
	s_mul_hi_i32 s6, s3, s13
	s_mul_i32 s3, s3, s13
	ds_write_b64 v6, v[2:3] offset:32768
	v_xor_b32_e32 v2, v66, v34
	s_add_u32 s2, s3, s49
	v_lshl_or_b32 v2, v2, 1, v7
	s_addc_u32 s3, s6, s53
	v_lshlrev_b32_e32 v3, 1, v62
	ds_write_b64 v2, v[4:5] offset:32768
	v_lshrrev_b32_e32 v2, 4, v0
	s_ashr_i32 s37, s36, 31
	s_lshl_b64 s[2:3], s[2:3], 15
	v_or_b32_e32 v4, 1, v3
	s_add_u32 s6, s18, s2
	v_xor_b32_e32 v3, v2, v3
	v_xor_b32_e32 v4, v4, v2
	v_lshlrev_b32_e32 v6, 8, v2
	s_addc_u32 s7, s19, s3
	s_lshl_b64 s[2:3], s[36:37], 8
	v_lshl_or_b32 v2, v3, 3, v6
	v_lshl_or_b32 v4, v4, 3, v6
	s_waitcnt lgkmcnt(0)
	s_barrier
	s_add_u32 s2, s6, s2
	ds_read_b64 v[2:3], v2 offset:32768
	ds_read_b64 v[4:5], v4 offset:32768
	s_addc_u32 s3, s7, s3
	v_mov_b32_e32 v7, 0
	s_cmp_lg_u32 s27, 64
	v_lshl_add_u64 v[8:9], s[2:3], 0, v[6:7]
	v_lshlrev_b32_e32 v6, 4, v62
	s_cselect_b64 s[6:7], -1, 0
	v_lshl_or_b32 v35, v60, 3, v64
	s_mov_b32 s16, 0
	v_lshl_add_u64 v[6:7], v[8:9], 0, v[6:7]
	v_or_b32_e32 v19, 32, v35
	v_and_b32_e32 v18, 56, v63
	s_and_b64 vcc, exec, s[6:7]
	s_waitcnt lgkmcnt(0)
	global_store_dwordx4 v[6:7], v[2:5], off
	s_cbranch_vccz .LBB604_29
; %bb.24:
	s_mov_b32 s17, s16
	s_mov_b32 s18, s16
	;; [unrolled: 1-line block ×3, first 2 shown]
	v_mov_b64_e32 v[6:7], s[16:17]
	v_mov_b64_e32 v[8:9], s[18:19]
	;; [unrolled: 1-line block ×3, first 2 shown]
	v_cmp_gt_i32_e32 vcc, s27, v35
	v_mov_b64_e32 v[4:5], v[8:9]
	s_and_saveexec_b64 s[2:3], vcc
	s_cbranch_execz .LBB604_26
; %bb.25:
	v_lshlrev_b32_e32 v2, 8, v35
	v_mov_b32_e32 v3, 0
	v_lshl_add_u64 v[4:5], s[0:1], 0, v[2:3]
	v_lshlrev_b32_e32 v2, 1, v18
	v_lshl_add_u64 v[10:11], v[4:5], 0, v[2:3]
	global_load_dwordx4 v[6:9], v[10:11], off
	global_load_dwordx4 v[2:5], v[10:11], off offset:128
.LBB604_26:
	s_or_b64 exec, exec, s[2:3]
	s_mov_b32 s17, s16
	s_mov_b32 s18, s16
	;; [unrolled: 1-line block ×3, first 2 shown]
	v_mov_b64_e32 v[14:15], s[16:17]
	v_mov_b64_e32 v[16:17], s[18:19]
	;; [unrolled: 1-line block ×3, first 2 shown]
	v_cmp_gt_i32_e32 vcc, s27, v19
	v_lshlrev_b32_e32 v20, 7, v19
	v_mov_b64_e32 v[12:13], v[16:17]
	s_and_saveexec_b64 s[2:3], vcc
	s_cbranch_execz .LBB604_28
; %bb.27:
	v_lshlrev_b32_e32 v10, 1, v20
	v_mov_b32_e32 v11, 0
	v_lshl_add_u64 v[12:13], s[0:1], 0, v[10:11]
	v_lshlrev_b32_e32 v10, 1, v18
	v_lshl_add_u64 v[22:23], v[12:13], 0, v[10:11]
	global_load_dwordx4 v[14:17], v[22:23], off
	global_load_dwordx4 v[10:13], v[22:23], off offset:128
.LBB604_28:
	s_or_b64 exec, exec, s[2:3]
	v_lshrrev_b32_e32 v21, 3, v18
	v_lshlrev_b32_e32 v22, 3, v35
	v_or_b32_e32 v21, v22, v21
	v_lshlrev_b32_e32 v21, 4, v21
	v_and_b32_e32 v22, 0x78, v22
	v_xor_b32_e32 v21, v21, v22
	s_branch .LBB604_31
.LBB604_29:
                                        ; implicit-def: $vgpr21
                                        ; implicit-def: $vgpr20
                                        ; implicit-def: $vgpr6_vgpr7_vgpr8_vgpr9
                                        ; implicit-def: $vgpr2_vgpr3_vgpr4_vgpr5
                                        ; implicit-def: $vgpr14_vgpr15_vgpr16_vgpr17
                                        ; implicit-def: $vgpr10_vgpr11_vgpr12_vgpr13
	s_cbranch_execz .LBB604_31
; %bb.30:
	s_waitcnt vmcnt(0)
	v_lshlrev_b32_e32 v2, 1, v18
	v_lshl_or_b32 v20, v35, 8, v2
	s_and_b32 s1, s1, 0xffff
	s_mov_b32 s3, 0x20000
	s_movk_i32 s2, 0x4000
	v_lshl_or_b32 v21, v19, 8, v2
	s_movk_i32 s13, 0x80
	buffer_load_dwordx4 v[6:9], v20, s[0:3], 0 offen
	buffer_load_dwordx4 v[2:5], v20, s[0:3], s13 offen
	;; [unrolled: 1-line block ×4, first 2 shown]
	v_lshrrev_b32_e32 v20, 3, v18
	v_lshlrev_b32_e32 v21, 3, v35
	v_or_b32_e32 v20, v21, v20
	v_lshlrev_b32_e32 v20, 4, v20
	v_and_b32_e32 v21, 0x78, v21
	v_xor_b32_e32 v21, v20, v21
	v_lshlrev_b32_e32 v20, 7, v19
.LBB604_31:
	s_lshl_b64 s[0:1], s[24:25], 8
	s_add_u32 s4, s4, s0
	s_movk_i32 s0, 0x1000
	v_and_or_b32 v19, v20, s0, v21
	s_waitcnt vmcnt(1)
	ds_write_b64 v21, v[6:7] offset:16384
	v_xor_b32_e32 v6, 8, v21
	ds_write_b64 v6, v[8:9] offset:16384
	s_waitcnt vmcnt(0)
	ds_write_b64 v21, v[2:3] offset:24576
	ds_write_b64 v6, v[4:5] offset:24576
	;; [unrolled: 1-line block ×3, first 2 shown]
	v_xor_b32_e32 v2, 8, v19
	ds_write_b64 v2, v[16:17] offset:16384
	ds_write_b64 v19, v[10:11] offset:24576
	;; [unrolled: 1-line block ×3, first 2 shown]
	v_or_b32_e32 v2, v1, v62
	s_addc_u32 s5, s5, s1
	s_add_i32 s0, s12, -1
	v_lshlrev_b32_e32 v2, 3, v2
	v_lshrrev_b32_e32 v4, 5, v45
	s_movk_i32 s12, 0xf8
	v_and_or_b32 v4, v2, s12, v4
	v_lshlrev_b32_e32 v3, 11, v60
	v_lshlrev_b32_e32 v12, 4, v4
	v_and_b32_e32 v13, 0x78, v2
	v_and_b32_e32 v14, 0x1000, v3
	v_lshlrev_b32_e32 v3, 2, v0
	v_xor_b32_e32 v2, v12, v13
	v_lshrrev_b32_e32 v4, 1, v45
	v_and_b32_e32 v3, 60, v3
	v_or_b32_e32 v2, v2, v14
	v_and_b32_e32 v15, 8, v4
	v_xor_b32_e32 v26, v2, v15
	v_lshl_or_b32 v2, v61, 6, v3
	v_lshlrev_b32_e32 v19, 1, v2
	v_or_b32_e32 v2, 32, v12
	v_xor_b32_e32 v2, v2, v13
	s_waitcnt lgkmcnt(0)
	s_barrier
	ds_read_b64 v[10:11], v26 offset:16384
	v_or_b32_e32 v2, v2, v14
	v_xor_b32_e32 v27, v2, v15
	v_or_b32_e32 v2, 64, v12
	v_xor_b32_e32 v2, v2, v13
	v_or_b32_e32 v2, v2, v14
	v_or_b32_e32 v12, 0x60, v12
	v_xor_b32_e32 v28, v2, v15
	ds_read2st64_b64 v[2:5], v19 offset0:72 offset1:73
	ds_read2st64_b64 v[6:9], v19 offset0:74 offset1:75
	v_xor_b32_e32 v16, v12, v13
	ds_read_b64 v[12:13], v27 offset:16384
	s_add_i32 s1, s44, s33
	s_waitcnt lgkmcnt(2)
	v_mfma_f32_16x16x16_bf16 a[0:3], v[10:11], v[2:3], 0
	s_add_i32 s35, s1, s48
	s_add_i32 s1, s46, s45
	;; [unrolled: 1-line block ×3, first 2 shown]
	s_ashr_i32 s1, s0, 31
	s_mul_i32 s2, s0, s29
	s_mul_hi_u32 s3, s0, s28
	s_add_i32 s2, s3, s2
	s_mul_i32 s1, s1, s28
	v_or_b32_e32 v14, v16, v14
	s_add_i32 s1, s2, s1
	s_lshl_b64 s[2:3], s[34:35], 2
	v_xor_b32_e32 v36, v14, v15
	ds_read_b64 v[14:15], v28 offset:16384
	ds_read_b64 v[16:17], v36 offset:16384
	s_waitcnt lgkmcnt(2)
	v_mfma_f32_16x16x16_bf16 a[0:3], v[12:13], v[4:5], a[0:3]
	s_add_u32 s10, s10, s2
	s_addc_u32 s11, s11, s3
	s_lshl_b64 s[2:3], s[30:31], 2
	s_mul_i32 s0, s0, s28
	s_add_u32 s10, s10, s2
	s_addc_u32 s11, s11, s3
	s_lshl_b64 s[0:1], s[0:1], 2
	s_waitcnt lgkmcnt(1)
	v_mfma_f32_16x16x16_bf16 a[0:3], v[14:15], v[6:7], a[0:3]
	s_add_u32 s0, s10, s0
	s_addc_u32 s1, s11, s1
	s_load_dword s12, s[0:1], 0x0
	s_waitcnt lgkmcnt(0)
	v_mfma_f32_16x16x16_bf16 a[0:3], v[16:17], v[8:9], a[0:3]
	s_and_b64 vcc, exec, s[22:23]
	s_cbranch_vccz .LBB604_42
; %bb.32:
	v_lshlrev_b32_e32 v20, 1, v35
	s_and_b64 vcc, exec, s[6:7]
	s_cbranch_vccz .LBB604_43
; %bb.33:
	v_cmp_gt_i32_e32 vcc, s27, v20
	v_mov_b32_e32 v6, 0
	v_mov_b32_e32 v2, 0
	v_mov_b32_e32 v3, 0
	v_mov_b32_e32 v4, 0
	v_mov_b32_e32 v5, 0
	s_and_saveexec_b64 s[0:1], vcc
	s_cbranch_execz .LBB604_35
; %bb.34:
	v_mad_i64_i32 v[2:3], s[2:3], s15, v20, 0
	v_lshl_add_u64 v[2:3], v[2:3], 1, s[4:5]
	v_lshlrev_b32_e32 v4, 1, v18
	v_mov_b32_e32 v5, 0
	v_lshl_add_u64 v[2:3], v[2:3], 0, v[4:5]
	global_load_dwordx4 v[2:5], v[2:3], off
.LBB604_35:
	s_or_b64 exec, exec, s[0:1]
	v_or_b32_e32 v21, 1, v20
	v_cmp_gt_i32_e64 s[0:1], s27, v21
	v_mov_b32_e32 v7, 0
	v_mov_b32_e32 v8, 0
	;; [unrolled: 1-line block ×3, first 2 shown]
	s_and_saveexec_b64 s[2:3], s[0:1]
	s_cbranch_execz .LBB604_37
; %bb.36:
	v_mad_i64_i32 v[6:7], s[16:17], s15, v21, 0
	v_lshl_add_u64 v[6:7], v[6:7], 1, s[4:5]
	v_lshlrev_b32_e32 v8, 1, v18
	v_mov_b32_e32 v9, 0
	v_lshl_add_u64 v[6:7], v[6:7], 0, v[8:9]
	global_load_dwordx4 v[6:9], v[6:7], off
.LBB604_37:
	s_or_b64 exec, exec, s[2:3]
	v_mov_b32_e32 v17, 0
	v_mov_b32_e32 v10, 0
	;; [unrolled: 1-line block ×5, first 2 shown]
	s_and_saveexec_b64 s[2:3], vcc
	s_cbranch_execz .LBB604_39
; %bb.38:
	v_mad_i64_i32 v[10:11], s[16:17], s15, v20, 0
	v_lshl_add_u64 v[10:11], v[10:11], 1, s[4:5]
	v_lshlrev_b32_e32 v12, 1, v18
	v_mov_b32_e32 v13, 0
	v_lshl_add_u64 v[10:11], v[10:11], 0, v[12:13]
	global_load_dwordx4 v[10:13], v[10:11], off offset:128
.LBB604_39:
	s_or_b64 exec, exec, s[2:3]
	v_mov_b32_e32 v16, 0
	v_mov_b32_e32 v15, 0
	;; [unrolled: 1-line block ×3, first 2 shown]
	s_and_saveexec_b64 s[2:3], s[0:1]
	s_cbranch_execz .LBB604_41
; %bb.40:
	v_mad_i64_i32 v[14:15], s[0:1], s15, v21, 0
	v_lshl_add_u64 v[14:15], v[14:15], 1, s[4:5]
	v_lshlrev_b32_e32 v16, 1, v18
	v_mov_b32_e32 v17, 0
	v_lshl_add_u64 v[14:15], v[14:15], 0, v[16:17]
	global_load_dwordx4 v[14:17], v[14:15], off offset:128
.LBB604_41:
	s_or_b64 exec, exec, s[2:3]
	s_branch .LBB604_45
.LBB604_42:
                                        ; implicit-def: $vgpr5
                                        ; implicit-def: $vgpr9
                                        ; implicit-def: $vgpr13
                                        ; implicit-def: $vgpr17
	v_lshrrev_b32_e32 v37, 2, v45
	s_branch .LBB604_46
.LBB604_43:
                                        ; implicit-def: $vgpr5
                                        ; implicit-def: $vgpr9
                                        ; implicit-def: $vgpr13
                                        ; implicit-def: $vgpr17
	s_cbranch_execz .LBB604_45
; %bb.44:
	s_waitcnt vmcnt(0)
	v_mad_u64_u32 v[2:3], s[0:1], v20, s15, v[18:19]
	v_lshlrev_b32_e32 v20, 1, v2
	s_lshl_b32 s2, s15, 7
	s_and_b32 s1, s5, 0xffff
	s_mov_b32 s3, 0x20000
	s_mov_b32 s0, s4
	v_add_lshl_u32 v21, v2, s15, 1
	s_movk_i32 s13, 0x80
	buffer_load_dwordx4 v[2:5], v20, s[0:3], 0 offen
	buffer_load_dwordx4 v[10:13], v20, s[0:3], s13 offen
	;; [unrolled: 1-line block ×4, first 2 shown]
.LBB604_45:
	v_lshrrev_b32_e32 v37, 2, v45
	s_cbranch_execnz .LBB604_58
.LBB604_46:
	s_and_b64 vcc, exec, s[6:7]
	s_cbranch_vccz .LBB604_56
; %bb.47:
	s_waitcnt vmcnt(0)
	v_lshlrev_b32_e32 v7, 1, v35
	v_cmp_gt_i32_e32 vcc, s27, v7
	v_mov_b32_e32 v6, 0
	v_lshlrev_b32_e32 v14, 9, v35
	v_mov_b32_e32 v2, 0
	v_mov_b32_e32 v3, 0
	;; [unrolled: 1-line block ×4, first 2 shown]
	s_and_saveexec_b64 s[0:1], vcc
	s_cbranch_execz .LBB604_49
; %bb.48:
	v_mov_b32_e32 v15, 0
	v_lshl_add_u64 v[2:3], s[4:5], 0, v[14:15]
	v_lshlrev_b32_e32 v4, 1, v18
	v_mov_b32_e32 v5, v15
	v_lshl_add_u64 v[2:3], v[2:3], 0, v[4:5]
	global_load_dwordx4 v[2:5], v[2:3], off
.LBB604_49:
	s_or_b64 exec, exec, s[0:1]
	v_or_b32_e32 v7, 1, v7
	v_cmp_gt_i32_e64 s[0:1], s27, v7
	v_lshlrev_b32_e32 v20, 8, v7
	v_mov_b32_e32 v7, 0
	v_mov_b32_e32 v8, 0
	v_mov_b32_e32 v9, 0
	s_and_saveexec_b64 s[2:3], s[0:1]
	s_cbranch_execz .LBB604_51
; %bb.50:
	v_mov_b32_e32 v21, 0
	v_lshl_add_u64 v[6:7], s[4:5], 0, v[20:21]
	v_lshlrev_b32_e32 v8, 1, v18
	v_mov_b32_e32 v9, v21
	v_lshl_add_u64 v[6:7], v[6:7], 0, v[8:9]
	global_load_dwordx4 v[6:9], v[6:7], off
.LBB604_51:
	s_or_b64 exec, exec, s[2:3]
	v_mov_b32_e32 v17, 0
	v_mov_b32_e32 v10, 0
	;; [unrolled: 1-line block ×5, first 2 shown]
	s_and_saveexec_b64 s[2:3], vcc
	s_cbranch_execz .LBB604_53
; %bb.52:
	v_mov_b32_e32 v15, 0
	v_lshl_add_u64 v[10:11], s[4:5], 0, v[14:15]
	v_lshlrev_b32_e32 v14, 1, v18
	v_lshl_add_u64 v[10:11], v[10:11], 0, v[14:15]
	global_load_dwordx4 v[10:13], v[10:11], off offset:128
.LBB604_53:
	s_or_b64 exec, exec, s[2:3]
	v_mov_b32_e32 v16, 0
	v_mov_b32_e32 v15, 0
	;; [unrolled: 1-line block ×3, first 2 shown]
	s_and_saveexec_b64 s[2:3], s[0:1]
	s_cbranch_execz .LBB604_55
; %bb.54:
	v_mov_b32_e32 v21, 0
	v_lshl_add_u64 v[14:15], s[4:5], 0, v[20:21]
	v_lshlrev_b32_e32 v20, 1, v18
	v_lshl_add_u64 v[14:15], v[14:15], 0, v[20:21]
	global_load_dwordx4 v[14:17], v[14:15], off offset:128
.LBB604_55:
	s_or_b64 exec, exec, s[2:3]
	s_branch .LBB604_58
.LBB604_56:
                                        ; implicit-def: $vgpr5
                                        ; implicit-def: $vgpr9
                                        ; implicit-def: $vgpr13
                                        ; implicit-def: $vgpr17
	s_cbranch_execz .LBB604_58
; %bb.57:
	s_waitcnt vmcnt(0)
	v_lshlrev_b32_e32 v2, 1, v18
	v_lshl_or_b32 v18, v35, 9, v2
	s_and_b32 s5, s5, 0xffff
	s_mov_b32 s7, 0x20000
	s_movk_i32 s6, 0x4000
	s_movk_i32 s0, 0x80
	buffer_load_dwordx4 v[2:5], v18, s[4:7], 0 offen
	buffer_load_dwordx4 v[6:9], v18, s[4:7], 0 offen offset:256
	buffer_load_dwordx4 v[10:13], v18, s[4:7], s0 offen
	buffer_load_dwordx4 v[14:17], v18, s[4:7], s0 offen offset:256
.LBB604_58:
	ds_read2st64_b64 v[22:25], v19 offset0:76 offset1:77
	ds_read2st64_b64 v[18:21], v19 offset0:78 offset1:79
	ds_read_b64 v[30:31], v26 offset:24576
	ds_read_b64 v[32:33], v27 offset:24576
	;; [unrolled: 1-line block ×4, first 2 shown]
	v_and_b32_e32 v36, 6, v0
	v_xor_b32_e32 v35, v35, v36
	v_lshlrev_b32_e32 v35, 2, v35
	v_and_b32_e32 v0, 1, v0
	v_xor_b32_e32 v38, 0x440, v35
	v_cmp_eq_u32_e32 vcc, 0, v0
	s_mov_b32 s0, 0x1000504
	s_mov_b32 s1, 0x3020706
	v_cndmask_b32_e32 v0, v38, v35, vcc
	v_lshl_or_b32 v0, v36, 10, v0
	s_waitcnt vmcnt(0)
	v_perm_b32 v35, v2, v6, s0
	v_perm_b32 v36, v10, v14, s0
	ds_write2st64_b32 v0, v35, v36 offset1:32
	v_xor_b32_e32 v35, 8, v0
	v_perm_b32 v2, v2, v6, s1
	v_perm_b32 v6, v10, v14, s1
	v_add_u32_e32 v10, 0x80, v35
	ds_write2st64_b32 v10, v2, v6 offset1:32
	v_xor_b32_e32 v2, 16, v0
	v_perm_b32 v6, v3, v7, s0
	v_perm_b32 v10, v11, v15, s0
	ds_write2st64_b32 v2, v6, v10 offset0:1 offset1:33
	v_xor_b32_e32 v2, 24, v0
	v_perm_b32 v3, v3, v7, s1
	v_perm_b32 v6, v11, v15, s1
	v_add_u32_e32 v2, 0x80, v2
	ds_write2st64_b32 v2, v3, v6 offset0:1 offset1:33
	v_xor_b32_e32 v2, 32, v0
	v_perm_b32 v3, v4, v8, s0
	v_perm_b32 v6, v12, v16, s0
	ds_write2st64_b32 v2, v3, v6 offset0:2 offset1:34
	v_xor_b32_e32 v2, 40, v0
	v_perm_b32 v3, v4, v8, s1
	v_perm_b32 v4, v12, v16, s1
	v_add_u32_e32 v2, 0x80, v2
	ds_write2st64_b32 v2, v3, v4 offset0:2 offset1:34
	v_xor_b32_e32 v2, 48, v0
	v_perm_b32 v3, v5, v9, s0
	v_perm_b32 v4, v13, v17, s0
	v_xor_b32_e32 v0, 56, v0
	v_and_or_b32 v6, v37, 12, v1
	ds_write2st64_b32 v2, v3, v4 offset0:3 offset1:35
	v_perm_b32 v2, v5, v9, s1
	v_perm_b32 v3, v13, v17, s1
	v_add_u32_e32 v0, 0x80, v0
	v_cmp_gt_i32_e32 vcc, s27, v6
	v_mov_b32_e32 v7, 0
	v_mov_b32_e32 v11, 0
	ds_write2st64_b32 v0, v2, v3 offset0:3 offset1:35
	s_and_saveexec_b64 s[0:1], vcc
	s_cbranch_execz .LBB604_60
; %bb.59:
	v_add_u32_e32 v0, s26, v6
	v_ashrrev_i32_e32 v1, 31, v0
	v_mul_lo_u32 v2, v1, s28
	v_mul_lo_u32 v3, v0, s29
	v_mad_u64_u32 v[0:1], s[2:3], v0, s28, 0
	v_add3_u32 v1, v1, v3, v2
	v_lshl_add_u64 v[0:1], v[0:1], 2, s[10:11]
	global_load_dword v0, v[0:1], off
	s_waitcnt vmcnt(0)
	v_sub_f32_e32 v0, s12, v0
	v_mul_f32_e32 v0, 0x3fb8aa3b, v0
	v_exp_f32_e32 v11, v0
.LBB604_60:
	s_or_b64 exec, exec, s[0:1]
	v_or_b32_e32 v9, 1, v6
	v_cmp_gt_i32_e64 s[0:1], s27, v9
	s_and_saveexec_b64 s[2:3], s[0:1]
	s_cbranch_execz .LBB604_62
; %bb.61:
	v_add_u32_e32 v0, s26, v9
	v_ashrrev_i32_e32 v1, 31, v0
	v_mul_lo_u32 v2, v1, s28
	v_mul_lo_u32 v3, v0, s29
	v_mad_u64_u32 v[0:1], s[4:5], v0, s28, 0
	v_add3_u32 v1, v1, v3, v2
	v_lshl_add_u64 v[0:1], v[0:1], 2, s[10:11]
	global_load_dword v0, v[0:1], off
	s_waitcnt vmcnt(0)
	v_sub_f32_e32 v0, s12, v0
	v_mul_f32_e32 v0, 0x3fb8aa3b, v0
	v_exp_f32_e32 v7, v0
.LBB604_62:
	s_or_b64 exec, exec, s[2:3]
	v_or_b32_e32 v10, 2, v6
	v_cmp_gt_i32_e64 s[2:3], s27, v10
	v_mov_b32_e32 v8, 0
	v_mov_b32_e32 v13, 0
	s_and_saveexec_b64 s[4:5], s[2:3]
	s_cbranch_execz .LBB604_64
; %bb.63:
	v_add_u32_e32 v0, s26, v10
	v_ashrrev_i32_e32 v1, 31, v0
	v_mul_lo_u32 v2, v1, s28
	v_mul_lo_u32 v3, v0, s29
	v_mad_u64_u32 v[0:1], s[6:7], v0, s28, 0
	v_add3_u32 v1, v1, v3, v2
	v_lshl_add_u64 v[0:1], v[0:1], 2, s[10:11]
	global_load_dword v0, v[0:1], off
	s_waitcnt vmcnt(0)
	v_sub_f32_e32 v0, s12, v0
	v_mul_f32_e32 v0, 0x3fb8aa3b, v0
	v_exp_f32_e32 v13, v0
.LBB604_64:
	s_or_b64 exec, exec, s[4:5]
	v_or_b32_e32 v12, 3, v6
	v_cmp_gt_i32_e64 s[4:5], s27, v12
	s_and_saveexec_b64 s[6:7], s[4:5]
	s_cbranch_execz .LBB604_66
; %bb.65:
	v_add_u32_e32 v0, s26, v12
	v_ashrrev_i32_e32 v1, 31, v0
	v_mul_lo_u32 v2, v1, s28
	v_mul_lo_u32 v3, v0, s29
	v_mad_u64_u32 v[0:1], s[14:15], v0, s28, 0
	v_add3_u32 v1, v1, v3, v2
	v_lshl_add_u64 v[0:1], v[0:1], 2, s[10:11]
	global_load_dword v0, v[0:1], off
	s_waitcnt vmcnt(0)
	v_sub_f32_e32 v0, s12, v0
	v_mul_f32_e32 v0, 0x3fb8aa3b, v0
	v_exp_f32_e32 v8, v0
.LBB604_66:
	s_or_b64 exec, exec, s[6:7]
	s_waitcnt lgkmcnt(11)
	v_mfma_f32_16x16x16_bf16 a[0:3], v[30:31], v[22:23], a[0:3]
	s_add_u32 s6, s8, s20
	v_ashrrev_i32_e32 v47, 31, v46
	s_addc_u32 s7, s9, s21
	s_waitcnt lgkmcnt(10)
	v_mfma_f32_16x16x16_bf16 a[0:3], v[32:33], v[24:25], a[0:3]
	v_mov_b32_e32 v14, 0
	v_lshl_add_u64 v[4:5], v[46:47], 1, s[6:7]
	v_mov_b32_e32 v15, 0
	s_waitcnt lgkmcnt(9)
	v_mfma_f32_16x16x16_bf16 a[0:3], v[28:29], v[18:19], a[0:3]
	s_waitcnt lgkmcnt(8)
	v_mfma_f32_16x16x16_bf16 a[0:3], v[26:27], v[20:21], a[0:3]
	s_nop 6
	v_accvgpr_read_b32 v0, a0
	v_accvgpr_read_b32 v1, a1
	;; [unrolled: 1-line block ×4, first 2 shown]
	s_and_saveexec_b64 s[6:7], vcc
	s_cbranch_execz .LBB604_68
; %bb.67:
	v_lshlrev_b32_e32 v16, 8, v6
	v_mov_b32_e32 v17, 0
	v_lshl_add_u64 v[16:17], v[4:5], 0, v[16:17]
	global_load_ushort v15, v[16:17], off
	s_waitcnt vmcnt(0)
	v_lshlrev_b32_e32 v15, 16, v15
	v_sub_f32_e32 v0, v15, v0
	v_mul_f32_e32 v0, v11, v0
	v_lshrrev_b32_e32 v15, 16, v0
.LBB604_68:
	s_or_b64 exec, exec, s[6:7]
	s_and_saveexec_b64 s[6:7], s[0:1]
	s_cbranch_execz .LBB604_70
; %bb.69:
	v_lshlrev_b32_e32 v16, 8, v9
	v_mov_b32_e32 v17, 0
	v_lshl_add_u64 v[16:17], v[4:5], 0, v[16:17]
	global_load_ushort v0, v[16:17], off
	s_waitcnt vmcnt(0)
	v_lshlrev_b32_e32 v0, 16, v0
	v_sub_f32_e32 v0, v0, v1
	v_mul_f32_e32 v0, v7, v0
	v_lshrrev_b32_e32 v14, 16, v0
.LBB604_70:
	s_or_b64 exec, exec, s[6:7]
	v_mov_b32_e32 v0, 0
	v_mov_b32_e32 v1, 0
	s_and_saveexec_b64 s[0:1], s[2:3]
	s_cbranch_execz .LBB604_72
; %bb.71:
	v_lshlrev_b32_e32 v10, 8, v10
	v_mov_b32_e32 v11, 0
	v_lshl_add_u64 v[10:11], v[4:5], 0, v[10:11]
	global_load_ushort v1, v[10:11], off
	s_waitcnt vmcnt(0)
	v_lshlrev_b32_e32 v1, 16, v1
	v_sub_f32_e32 v1, v1, v2
	v_mul_f32_e32 v1, v13, v1
	v_lshrrev_b32_e32 v1, 16, v1
.LBB604_72:
	s_or_b64 exec, exec, s[0:1]
	s_and_saveexec_b64 s[0:1], s[4:5]
	s_cbranch_execz .LBB604_74
; %bb.73:
	v_lshlrev_b32_e32 v10, 8, v12
	v_mov_b32_e32 v11, 0
	v_lshl_add_u64 v[4:5], v[4:5], 0, v[10:11]
	global_load_ushort v0, v[4:5], off
	s_waitcnt vmcnt(0)
	v_lshlrev_b32_e32 v0, 16, v0
	v_sub_f32_e32 v0, v0, v3
	v_mul_f32_e32 v0, v8, v0
	v_lshrrev_b32_e32 v0, 16, v0
.LBB604_74:
	s_or_b64 exec, exec, s[0:1]
	s_mov_b32 s0, 0x5040100
	v_lshlrev_b32_e32 v2, 1, v34
	v_perm_b32 v1, v0, v1, s0
	v_perm_b32 v0, v14, v15, s0
	v_lshl_or_b32 v2, v6, 5, v2
	ds_write_b64 v2, v[0:1] offset:38912
	s_waitcnt lgkmcnt(0)
	s_barrier
.LBB604_75:
	s_endpgm
	.section	.rodata,"a",@progbits
	.p2align	6, 0x0
	.amdhsa_kernel _ZN12_GLOBAL__N_139chunk_gated_delta_rule_fwd_h_hip_kernelILi16ELb1ELb0ELb0ELb0ELb0ELb1ELb0ELb1EEEvPK12hip_bfloat16S3_S3_PKfS5_PKvPS1_S8_PvPKiSB_iiiiilll
		.amdhsa_group_segment_fixed_size 40960
		.amdhsa_private_segment_fixed_size 0
		.amdhsa_kernarg_size 136
		.amdhsa_user_sgpr_count 2
		.amdhsa_user_sgpr_dispatch_ptr 0
		.amdhsa_user_sgpr_queue_ptr 0
		.amdhsa_user_sgpr_kernarg_segment_ptr 1
		.amdhsa_user_sgpr_dispatch_id 0
		.amdhsa_user_sgpr_kernarg_preload_length 0
		.amdhsa_user_sgpr_kernarg_preload_offset 0
		.amdhsa_user_sgpr_private_segment_size 0
		.amdhsa_uses_dynamic_stack 0
		.amdhsa_enable_private_segment 0
		.amdhsa_system_sgpr_workgroup_id_x 1
		.amdhsa_system_sgpr_workgroup_id_y 1
		.amdhsa_system_sgpr_workgroup_id_z 0
		.amdhsa_system_sgpr_workgroup_info 0
		.amdhsa_system_vgpr_workitem_id 0
		.amdhsa_next_free_vgpr 128
		.amdhsa_next_free_sgpr 67
		.amdhsa_accum_offset 116
		.amdhsa_reserve_vcc 1
		.amdhsa_float_round_mode_32 0
		.amdhsa_float_round_mode_16_64 0
		.amdhsa_float_denorm_mode_32 3
		.amdhsa_float_denorm_mode_16_64 3
		.amdhsa_dx10_clamp 1
		.amdhsa_ieee_mode 1
		.amdhsa_fp16_overflow 0
		.amdhsa_tg_split 0
		.amdhsa_exception_fp_ieee_invalid_op 0
		.amdhsa_exception_fp_denorm_src 0
		.amdhsa_exception_fp_ieee_div_zero 0
		.amdhsa_exception_fp_ieee_overflow 0
		.amdhsa_exception_fp_ieee_underflow 0
		.amdhsa_exception_fp_ieee_inexact 0
		.amdhsa_exception_int_div_zero 0
	.end_amdhsa_kernel
	.section	.text._ZN12_GLOBAL__N_139chunk_gated_delta_rule_fwd_h_hip_kernelILi16ELb1ELb0ELb0ELb0ELb0ELb1ELb0ELb1EEEvPK12hip_bfloat16S3_S3_PKfS5_PKvPS1_S8_PvPKiSB_iiiiilll,"axG",@progbits,_ZN12_GLOBAL__N_139chunk_gated_delta_rule_fwd_h_hip_kernelILi16ELb1ELb0ELb0ELb0ELb0ELb1ELb0ELb1EEEvPK12hip_bfloat16S3_S3_PKfS5_PKvPS1_S8_PvPKiSB_iiiiilll,comdat
.Lfunc_end604:
	.size	_ZN12_GLOBAL__N_139chunk_gated_delta_rule_fwd_h_hip_kernelILi16ELb1ELb0ELb0ELb0ELb0ELb1ELb0ELb1EEEvPK12hip_bfloat16S3_S3_PKfS5_PKvPS1_S8_PvPKiSB_iiiiilll, .Lfunc_end604-_ZN12_GLOBAL__N_139chunk_gated_delta_rule_fwd_h_hip_kernelILi16ELb1ELb0ELb0ELb0ELb0ELb1ELb0ELb1EEEvPK12hip_bfloat16S3_S3_PKfS5_PKvPS1_S8_PvPKiSB_iiiiilll
                                        ; -- End function
	.section	.AMDGPU.csdata,"",@progbits
; Kernel info:
; codeLenInByte = 7460
; NumSgprs: 73
; NumVgprs: 114
; NumAgprs: 12
; TotalNumVgprs: 128
; ScratchSize: 0
; MemoryBound: 0
; FloatMode: 240
; IeeeMode: 1
; LDSByteSize: 40960 bytes/workgroup (compile time only)
; SGPRBlocks: 9
; VGPRBlocks: 15
; NumSGPRsForWavesPerEU: 73
; NumVGPRsForWavesPerEU: 128
; AccumOffset: 116
; Occupancy: 1
; WaveLimiterHint : 1
; COMPUTE_PGM_RSRC2:SCRATCH_EN: 0
; COMPUTE_PGM_RSRC2:USER_SGPR: 2
; COMPUTE_PGM_RSRC2:TRAP_HANDLER: 0
; COMPUTE_PGM_RSRC2:TGID_X_EN: 1
; COMPUTE_PGM_RSRC2:TGID_Y_EN: 1
; COMPUTE_PGM_RSRC2:TGID_Z_EN: 0
; COMPUTE_PGM_RSRC2:TIDIG_COMP_CNT: 0
; COMPUTE_PGM_RSRC3_GFX90A:ACCUM_OFFSET: 28
; COMPUTE_PGM_RSRC3_GFX90A:TG_SPLIT: 0
	.section	.text._ZN12_GLOBAL__N_139chunk_gated_delta_rule_fwd_h_hip_kernelILi16ELb0ELb1ELb1ELb0ELb0ELb1ELb0ELb1EEEvPK12hip_bfloat16S3_S3_PKfS5_PKvPS1_S8_PvPKiSB_iiiiilll,"axG",@progbits,_ZN12_GLOBAL__N_139chunk_gated_delta_rule_fwd_h_hip_kernelILi16ELb0ELb1ELb1ELb0ELb0ELb1ELb0ELb1EEEvPK12hip_bfloat16S3_S3_PKfS5_PKvPS1_S8_PvPKiSB_iiiiilll,comdat
	.globl	_ZN12_GLOBAL__N_139chunk_gated_delta_rule_fwd_h_hip_kernelILi16ELb0ELb1ELb1ELb0ELb0ELb1ELb0ELb1EEEvPK12hip_bfloat16S3_S3_PKfS5_PKvPS1_S8_PvPKiSB_iiiiilll ; -- Begin function _ZN12_GLOBAL__N_139chunk_gated_delta_rule_fwd_h_hip_kernelILi16ELb0ELb1ELb1ELb0ELb0ELb1ELb0ELb1EEEvPK12hip_bfloat16S3_S3_PKfS5_PKvPS1_S8_PvPKiSB_iiiiilll
	.p2align	8
	.type	_ZN12_GLOBAL__N_139chunk_gated_delta_rule_fwd_h_hip_kernelILi16ELb0ELb1ELb1ELb0ELb0ELb1ELb0ELb1EEEvPK12hip_bfloat16S3_S3_PKfS5_PKvPS1_S8_PvPKiSB_iiiiilll,@function
_ZN12_GLOBAL__N_139chunk_gated_delta_rule_fwd_h_hip_kernelILi16ELb0ELb1ELb1ELb0ELb0ELb1ELb0ELb1EEEvPK12hip_bfloat16S3_S3_PKfS5_PKvPS1_S8_PvPKiSB_iiiiilll: ; @_ZN12_GLOBAL__N_139chunk_gated_delta_rule_fwd_h_hip_kernelILi16ELb0ELb1ELb1ELb0ELb0ELb1ELb0ELb1EEEvPK12hip_bfloat16S3_S3_PKfS5_PKvPS1_S8_PvPKiSB_iiiiilll
; %bb.0:
	s_load_dwordx4 s[12:15], s[0:1], 0x5c
	s_load_dwordx2 s[34:35], s[0:1], 0x40
	s_abs_i32 s22, s3
	s_ashr_i32 s21, s3, 31
	s_load_dwordx8 s[4:11], s[0:1], 0x0
	s_load_dwordx2 s[36:37], s[0:1], 0x20
	s_load_dwordx4 s[16:19], s[0:1], 0x30
	s_waitcnt lgkmcnt(0)
	s_abs_i32 s20, s13
	v_cvt_f32_u32_e32 v1, s20
	s_sub_i32 s24, 0, s20
	s_ashr_i32 s23, s13, 31
	s_xor_b32 s21, s21, s23
	v_rcp_iflag_f32_e32 v1, v1
	v_lshrrev_b32_e32 v45, 6, v0
	v_bfe_u32 v62, v0, 4, 2
	v_lshlrev_b32_e32 v60, 4, v45
	v_mul_f32_e32 v1, 0x4f7ffffe, v1
	v_cvt_u32_f32_e32 v1, v1
	v_lshlrev_b32_e32 v2, 2, v62
	v_and_b32_e32 v61, 63, v0
	v_mov_b32_e32 v49, 0
	v_readfirstlane_b32 s25, v1
	s_mul_i32 s24, s24, s25
	s_mul_hi_u32 s24, s25, s24
	s_add_i32 s25, s25, s24
	s_mul_hi_u32 s24, s22, s25
	s_mul_i32 s25, s24, s20
	s_sub_i32 s22, s22, s25
	s_add_i32 s25, s24, 1
	s_sub_i32 s26, s22, s20
	s_cmp_ge_u32 s22, s20
	s_cselect_b32 s24, s25, s24
	s_cselect_b32 s22, s26, s22
	s_add_i32 s25, s24, 1
	s_cmp_ge_u32 s22, s20
	s_cselect_b32 s22, s25, s24
	s_xor_b32 s22, s22, s21
	s_sub_i32 s52, s22, s21
	s_abs_i32 s21, s14
	v_cvt_f32_u32_e32 v1, s21
	s_ashr_i32 s51, s12, 31
	s_lshr_b32 s22, s51, 26
	s_add_i32 s22, s12, s22
	v_rcp_iflag_f32_e32 v1, v1
	s_ashr_i32 s54, s14, 31
	s_ashr_i32 s53, s22, 6
	s_xor_b32 s22, s23, s54
	v_mul_f32_e32 v1, 0x4f7ffffe, v1
	v_cvt_u32_f32_e32 v1, v1
	s_sub_i32 s23, 0, s21
	s_mul_i32 s50, s52, s13
	s_sub_i32 s33, s3, s50
	v_readfirstlane_b32 s24, v1
	s_mul_i32 s23, s23, s24
	s_mul_hi_u32 s23, s24, s23
	s_add_i32 s24, s24, s23
	s_mul_hi_u32 s23, s20, s24
	s_mul_i32 s24, s23, s21
	s_sub_i32 s20, s20, s24
	s_add_i32 s3, s12, 63
	s_add_i32 s24, s23, 1
	s_sub_i32 s25, s20, s21
	s_cmp_ge_u32 s20, s21
	s_cselect_b32 s23, s24, s23
	s_cselect_b32 s20, s25, s20
	s_add_i32 s24, s23, 1
	s_cmp_ge_u32 s20, s21
	s_cselect_b32 s20, s24, s23
	s_xor_b32 s20, s20, s22
	s_sub_i32 s24, s20, s22
	s_abs_i32 s25, s24
	v_cvt_f32_u32_e32 v1, s25
	s_load_dwordx2 s[38:39], s[0:1], 0x80
	s_load_dwordx4 s[20:23], s[0:1], 0x70
	s_xor_b32 s0, s33, s24
	s_sub_i32 s24, 0, s25
	v_rcp_iflag_f32_e32 v1, v1
	s_abs_i32 s1, s33
	s_ashr_i32 s0, s0, 31
	s_mul_i32 s48, s52, s12
	v_mul_f32_e32 v1, 0x4f7ffffe, v1
	v_cvt_u32_f32_e32 v1, v1
	v_and_b32_e32 v63, 15, v0
	s_mul_hi_i32 s56, s52, s13
	v_lshrrev_b32_e32 v65, 3, v61
	v_readfirstlane_b32 s26, v1
	s_mul_i32 s24, s24, s26
	s_mul_hi_u32 s24, s26, s24
	s_add_i32 s26, s26, s24
	s_mul_hi_u32 s24, s1, s26
	s_mul_i32 s26, s24, s25
	s_sub_i32 s1, s1, s26
	s_add_i32 s26, s24, 1
	s_sub_i32 s27, s1, s25
	s_cmp_ge_u32 s1, s25
	s_cselect_b32 s24, s26, s24
	s_cselect_b32 s1, s27, s1
	s_add_i32 s26, s24, 1
	s_cmp_ge_u32 s1, s25
	s_cselect_b32 s1, s26, s24
	s_xor_b32 s1, s1, s0
	s_sub_i32 s57, s1, s0
	s_ashr_i32 s0, s3, 31
	s_lshr_b32 s0, s0, 26
	s_add_i32 s3, s3, s0
	v_or_b32_e32 v1, v2, v60
	s_ashr_i32 s0, s3, 6
	s_lshl_b32 s2, s2, 4
	s_mul_i32 s55, s52, s0
	v_or_b32_e32 v66, 64, v1
	s_cmp_lt_i32 s12, 64
	v_lshlrev_b32_e32 v64, 3, v0
	s_waitcnt lgkmcnt(0)
	s_mul_i32 s21, s52, s21
	s_mul_hi_u32 s49, s52, s20
	s_mul_i32 s40, s52, s20
	v_mov_b32_e32 v48, v49
	v_mov_b32_e32 v51, v49
	;; [unrolled: 1-line block ×7, first 2 shown]
	s_cbranch_scc1 .LBB605_18
; %bb.1:
	s_ashr_i32 s3, s52, 31
	s_ashr_i32 s59, s33, 31
	s_add_u32 s0, s50, s33
	s_addc_u32 s1, s56, s59
	s_mul_i32 s1, s12, s1
	s_mul_hi_u32 s24, s12, s0
	s_add_i32 s43, s24, s1
	s_mul_i32 s42, s12, s0
	s_lshl_b64 s[0:1], s[42:43], 8
	v_and_b32_e32 v68, 56, v64
	s_add_u32 s24, s6, s0
	v_lshl_or_b32 v67, v45, 3, v65
	v_lshlrev_b32_e32 v3, 1, v68
	s_addc_u32 s0, s7, s1
	v_lshl_or_b32 v69, v67, 8, v3
	s_and_b32 s25, s0, 0xffff
	s_mov_b32 s27, 0x20000
	s_movk_i32 s26, 0x4000
	s_movk_i32 s0, 0x80
	v_or_b32_e32 v70, 0x2000, v69
	buffer_load_dwordx4 v[4:7], v69, s[24:27], 0 offen
	buffer_load_dwordx4 v[8:11], v69, s[24:27], s0 offen
	;; [unrolled: 1-line block ×4, first 2 shown]
	v_lshlrev_b32_e32 v20, 3, v67
	v_and_or_b32 v22, v0, 7, v20
	v_and_b32_e32 v20, 0x78, v20
	v_lshlrev_b32_e32 v22, 4, v22
	v_xor_b32_e32 v71, v22, v20
	v_mul_lo_u32 v21, v67, s15
	v_or_b32_e32 v72, 0x1000, v71
	s_cmpk_eq_i32 s15, 0x80
	s_mov_b32 s58, s14
	v_xor_b32_e32 v20, 8, v71
	v_xor_b32_e32 v22, 8, v72
	s_cselect_b64 s[0:1], -1, 0
	s_cmpk_lg_i32 s15, 0x80
	s_waitcnt vmcnt(3)
	ds_write_b64 v71, v[4:5] offset:16384
	ds_write_b64 v20, v[6:7] offset:16384
	s_waitcnt vmcnt(2)
	ds_write_b64 v71, v[8:9] offset:24576
	ds_write_b64 v20, v[10:11] offset:24576
	;; [unrolled: 3-line block ×4, first 2 shown]
	v_lshl_add_u32 v4, v21, 1, v68
	s_cbranch_scc0 .LBB605_3
; %bb.2:
	v_lshlrev_b32_e32 v6, 1, v4
	v_add_lshl_u32 v5, v4, s15, 1
	s_lshl_b32 s26, s15, 7
	v_lshl_or_b32 v3, v67, 9, v3
	s_cbranch_execz .LBB605_4
	s_branch .LBB605_5
.LBB605_3:
                                        ; implicit-def: $vgpr5
                                        ; implicit-def: $vgpr6
                                        ; implicit-def: $sgpr26
	v_lshl_or_b32 v3, v67, 9, v3
.LBB605_4:
	v_or_b32_e32 v5, 0x100, v3
	s_movk_i32 s26, 0x4000
	v_mov_b32_e32 v6, v3
.LBB605_5:
	s_mul_hi_u32 s24, s14, s12
	s_mul_i32 s25, s54, s12
	s_add_i32 s24, s24, s25
	s_mul_i32 s25, s14, s12
	s_mul_i32 s27, s25, s3
	s_mul_hi_u32 s28, s25, s52
	s_add_i32 s27, s28, s27
	s_mul_i32 s24, s24, s52
	s_add_i32 s27, s27, s24
	s_mul_i32 s25, s25, s52
	s_ashr_i32 s60, s57, 31
	s_add_u32 s24, s25, s57
	s_addc_u32 s25, s27, s60
	s_lshl_b64 s[24:25], s[24:25], 8
	s_add_u32 s24, s4, s24
	s_addc_u32 s25, s5, s25
	s_and_b32 s25, s25, 0xffff
	s_mov_b32 s27, 0x20000
	s_movk_i32 s61, 0x80
	buffer_load_dwordx4 v[8:11], v6, s[24:27], 0 offen
	buffer_load_dwordx4 v[12:15], v6, s[24:27], s61 offen
	;; [unrolled: 1-line block ×4, first 2 shown]
	v_and_b32_e32 v5, 6, v0
	s_mul_i32 s24, s3, s12
	s_mul_hi_u32 s25, s52, s12
	v_lshlrev_b32_e32 v7, 2, v63
	v_lshlrev_b32_e32 v24, 3, v63
	v_xor_b32_e32 v26, v67, v5
	v_and_b32_e32 v6, 1, v0
	s_mul_i32 s3, s3, s20
	v_lshl_or_b32 v24, v1, 5, v24
	v_xor_b32_e32 v27, v1, v7
	v_lshlrev_b32_e32 v26, 2, v26
	s_add_i32 s65, s25, s24
	s_add_i32 s24, s49, s21
	s_mul_i32 s28, s33, s23
	v_or_b32_e32 v73, 0x9000, v24
	v_or_b32_e32 v74, 0x9800, v24
	v_lshlrev_b32_e32 v24, 1, v27
	v_xor_b32_e32 v27, 0x440, v26
	v_cmp_eq_u32_e32 vcc, 0, v6
	s_add_i32 s41, s24, s3
	s_mul_hi_u32 s3, s33, s22
	v_cndmask_b32_e32 v6, v27, v26, vcc
	s_add_i32 s3, s3, s28
	s_mul_i32 s24, s59, s22
	s_mov_b32 s63, 0x1000504
	v_lshlrev_b32_e32 v25, 8, v63
	s_mov_b32 s26, 0x8000
	v_xor_b32_e32 v7, v66, v7
	v_lshl_or_b32 v5, v5, 10, v6
	s_add_i32 s25, s3, s24
	s_lshl_b64 s[28:29], s[40:41], 2
	s_mov_b32 s64, 0x3020706
	v_lshlrev_b32_e32 v7, 1, v7
	v_or3_b32 v75, v24, v25, s26
	v_xor_b32_e32 v6, 8, v5
	v_xor_b32_e32 v24, 24, v5
	;; [unrolled: 1-line block ×4, first 2 shown]
	s_mul_i32 s24, s33, s22
	s_add_u32 s3, s10, s28
	v_or3_b32 v76, v7, v25, s26
	v_xor_b32_e32 v7, 16, v5
	v_xor_b32_e32 v25, 32, v5
	;; [unrolled: 1-line block ×3, first 2 shown]
	v_add_u32_e32 v6, 0x80, v6
	v_add_u32_e32 v24, 0x80, v24
	;; [unrolled: 1-line block ×4, first 2 shown]
	s_addc_u32 s28, s11, s29
	s_lshl_b64 s[24:25], s[24:25], 2
	s_add_u32 s44, s3, s24
	s_movk_i32 s3, 0xf8
	s_addc_u32 s45, s28, s25
	s_lshl_b32 s30, s15, 7
	v_mov_b32_e32 v47, 0
	s_mov_b32 s62, 0
	v_add_u32_e32 v87, v60, v2
	s_mov_b32 s41, 0x7060302
	v_mov_b32_e32 v98, 0x3fb8aa3b
	s_mov_b32 s67, 0
	v_mov_b32_e32 v52, v47
	v_mov_b32_e32 v53, v47
	;; [unrolled: 1-line block ×6, first 2 shown]
	s_waitcnt vmcnt(1)
	v_perm_b32 v29, v8, v16, s63
	s_waitcnt vmcnt(0)
	v_perm_b32 v30, v12, v20, s63
	v_perm_b32 v8, v8, v16, s64
	;; [unrolled: 1-line block ×15, first 2 shown]
	ds_write2st64_b32 v5, v29, v30 offset1:32
	ds_write2st64_b32 v6, v8, v12 offset1:32
	ds_write2st64_b32 v7, v16, v20 offset0:1 offset1:33
	ds_write2st64_b32 v24, v9, v13 offset0:1 offset1:33
	;; [unrolled: 1-line block ×6, first 2 shown]
	v_or_b32_e32 v5, v60, v63
	v_lshlrev_b32_e32 v5, 3, v5
	v_lshrrev_b32_e32 v7, 5, v61
	v_and_or_b32 v7, v5, s3, v7
	v_lshlrev_b32_e32 v7, 4, v7
	v_lshrrev_b32_e32 v6, 2, v61
	v_lshlrev_b32_e32 v11, 11, v45
	v_and_b32_e32 v5, 0x78, v5
	v_or_b32_e32 v12, 32, v7
	v_and_b32_e32 v10, 12, v6
	v_and_b32_e32 v6, 0x1000, v11
	v_lshrrev_b32_e32 v9, 1, v61
	v_xor_b32_e32 v12, v12, v5
	v_and_b32_e32 v9, 8, v9
	v_or_b32_e32 v12, v12, v6
	v_xor_b32_e32 v8, v7, v5
	v_xor_b32_e32 v79, v12, v9
	v_or_b32_e32 v12, 64, v7
	v_or_b32_e32 v7, 0x60, v7
	v_xor_b32_e32 v12, v12, v5
	v_xor_b32_e32 v5, v7, v5
	v_or_b32_e32 v5, v5, v6
	v_or_b32_e32 v12, v12, v6
	v_xor_b32_e32 v81, v5, v9
	s_ashr_i32 s3, s2, 31
	v_lshlrev_b32_e32 v5, 1, v63
	v_xor_b32_e32 v80, v12, v9
	v_lshlrev_b32_e32 v12, 1, v4
	v_add_lshl_u32 v13, v4, s15, 1
	v_lshrrev_b32_e32 v4, 4, v0
	s_lshl_b64 s[24:25], s[2:3], 8
	v_or_b32_e32 v15, 1, v5
	s_add_u32 s24, s16, s24
	v_xor_b32_e32 v5, v4, v5
	v_xor_b32_e32 v15, v15, v4
	s_addc_u32 s25, s17, s25
	v_lshlrev_b32_e32 v5, 3, v5
	v_lshlrev_b32_e32 v46, 8, v4
	;; [unrolled: 1-line block ×3, first 2 shown]
	v_lshrrev_b32_e32 v19, 1, v0
	v_or3_b32 v83, v5, v46, s26
	v_or3_b32 v84, v4, v46, s26
	v_lshl_add_u64 v[4:5], s[24:25], 0, v[46:47]
	v_lshlrev_b32_e32 v46, 4, v63
	s_movk_i32 s3, 0xff
	v_lshlrev_b32_e32 v18, 3, v45
	v_and_b32_e32 v19, 24, v19
	v_lshl_add_u64 v[54:55], v[4:5], 0, v[46:47]
	v_and_b32_e32 v5, 8, v0
	v_cmp_lt_u32_e32 vcc, s3, v0
	v_xor_b32_e32 v20, v18, v19
	v_or_b32_e32 v21, 0x440, v20
	v_cndmask_b32_e64 v17, 0, 1, vcc
	v_cmp_eq_u32_e32 vcc, 0, v5
	v_or_b32_e32 v23, 64, v19
	v_xor_b32_e32 v23, v18, v23
	v_cndmask_b32_e32 v5, v21, v20, vcc
	v_or_b32_e32 v21, 32, v19
	v_or_b32_e32 v19, 0x60, v19
	v_xor_b32_e32 v21, v18, v21
	v_xor_b32_e32 v18, v18, v19
	v_or_b32_e32 v22, 0x440, v21
	v_xor_b32_e32 v24, 0x440, v23
	v_xor_b32_e32 v19, 0x440, v18
	v_or_b32_e32 v8, v8, v6
	v_or_b32_e32 v6, s2, v63
	v_and_b32_e32 v4, 7, v0
	v_cndmask_b32_e32 v21, v22, v21, vcc
	v_cndmask_b32_e32 v23, v24, v23, vcc
	;; [unrolled: 1-line block ×3, first 2 shown]
	v_xor_b32_e32 v77, v8, v9
	v_and_b32_e32 v8, 0x78, v64
	v_ashrrev_i32_e32 v7, 31, v6
	v_lshlrev_b32_e32 v15, 3, v4
	v_or_b32_e32 v5, v5, v11
	v_or_b32_e32 v21, v21, v11
	;; [unrolled: 1-line block ×4, first 2 shown]
	v_lshl_or_b32 v8, v62, 7, v8
	v_lshlrev_b64 v[6:7], 1, v[6:7]
	v_lshlrev_b32_e32 v17, 13, v17
	v_xor_b32_e32 v5, v5, v15
	v_xor_b32_e32 v21, v21, v15
	;; [unrolled: 1-line block ×4, first 2 shown]
	v_or_b32_e32 v78, 0x9000, v8
	v_or_b32_e32 v82, 0x9800, v8
	v_lshl_add_u64 v[8:9], s[8:9], 0, v[6:7]
	v_lshl_add_u64 v[6:7], s[18:19], 0, v[6:7]
	v_or_b32_e32 v14, 0x100, v3
	v_lshlrev_b32_e32 v16, 7, v4
	v_or_b32_e32 v4, v10, v60
	v_add_u32_e32 v20, v17, v5
	v_add_u32_e32 v22, v17, v21
	v_add_u32_e32 v24, v17, v23
	v_add_u32_e32 v15, v17, v11
	v_or3_b32 v10, v60, v10, 64
	v_add_u32_e32 v5, 0x2000, v5
	v_add_u32_e32 v17, 0x2000, v21
	;; [unrolled: 1-line block ×4, first 2 shown]
	v_lshlrev_b32_e32 v46, 8, v1
	v_cndmask_b32_e64 v85, v12, v3, s[0:1]
	v_cndmask_b32_e64 v86, v13, v14, s[0:1]
	v_lshl_add_u64 v[56:57], v[8:9], 0, v[46:47]
	v_lshl_add_u64 v[58:59], v[6:7], 0, v[46:47]
	s_add_i32 s3, s48, 63
	s_movk_i32 s26, 0x4000
	v_lshlrev_b32_e32 v88, 2, v4
	v_add_u32_e32 v89, v20, v16
	v_add_u32_e32 v90, v22, v16
	;; [unrolled: 1-line block ×4, first 2 shown]
	v_lshlrev_b32_e32 v93, 2, v10
	v_add_u32_e32 v94, v5, v16
	v_add_u32_e32 v95, v17, v16
	;; [unrolled: 1-line block ×4, first 2 shown]
	v_mov_b32_e32 v46, v47
	s_waitcnt lgkmcnt(0)
	s_barrier
.LBB605_6:                              ; =>This Inner Loop Header: Depth=1
	s_add_i32 s66, s67, 1
	s_cmp_lt_i32 s66, s53
	s_mov_b64 s[28:29], 0
	s_cselect_b64 s[46:47], -1, 0
	s_cmp_ge_i32 s66, s53
	s_mov_b64 s[24:25], 0
	s_cbranch_scc1 .LBB605_8
; %bb.7:                                ;   in Loop: Header=BB605_6 Depth=1
	s_add_i32 s0, s62, 64
	s_add_u32 s0, s42, s0
	s_addc_u32 s1, s43, 0
	s_lshl_b64 s[0:1], s[0:1], 8
	s_add_u32 s24, s6, s0
	s_addc_u32 s25, s7, s1
.LBB605_8:                              ;   in Loop: Header=BB605_6 Depth=1
	v_cndmask_b32_e64 v2, 0, 1, s[46:47]
	v_cmp_ne_u32_e64 s[0:1], 1, v2
	s_andn2_b64 vcc, exec, s[46:47]
	s_cbranch_vccnz .LBB605_10
; %bb.9:                                ;   in Loop: Header=BB605_6 Depth=1
	s_add_i32 s28, s62, 64
	s_add_u32 s28, s48, s28
	s_addc_u32 s29, s65, 0
	s_mul_i32 s31, s28, s54
	s_mul_hi_u32 s46, s28, s58
	s_add_i32 s31, s46, s31
	s_mul_i32 s29, s29, s58
	s_add_i32 s31, s31, s29
	s_mul_i32 s28, s28, s58
	s_add_u32 s28, s28, s57
	s_addc_u32 s29, s31, s60
	s_lshl_b64 s[28:29], s[28:29], 8
	s_add_u32 s28, s4, s28
	s_addc_u32 s29, s5, s29
.LBB605_10:                             ;   in Loop: Header=BB605_6 Depth=1
	v_perm_b32 v3, v53, v52, s41
	v_perm_b32 v2, v47, v46, s41
	v_perm_b32 v5, v49, v48, s41
	v_perm_b32 v4, v51, v50, s41
	ds_write_b64 v73, v[2:3]
	ds_write_b64 v74, v[4:5]
	;; [unrolled: 1-line block ×4, first 2 shown]
	s_waitcnt lgkmcnt(0)
	s_barrier
	ds_read_b64 v[10:11], v77 offset:16384
	ds_read_b64 v[12:13], v79 offset:16384
	ds_read2st64_b64 v[2:5], v78 offset1:1
	ds_read2st64_b64 v[6:9], v78 offset0:2 offset1:3
	ds_read_b64 v[14:15], v80 offset:16384
	s_waitcnt lgkmcnt(2)
	v_mfma_f32_16x16x16_bf16 a[0:3], v[10:11], v[2:3], 0
	ds_read_b64 v[2:3], v81 offset:16384
	s_add_i32 s31, s62, 63
	s_mul_i32 s46, s31, s39
	v_mfma_f32_16x16x16_bf16 a[0:3], v[12:13], v[4:5], a[0:3]
	s_mul_hi_u32 s47, s31, s38
	s_add_i32 s47, s47, s46
	s_mul_i32 s46, s31, s38
	s_waitcnt lgkmcnt(1)
	v_mfma_f32_16x16x16_bf16 a[0:3], v[14:15], v[6:7], a[0:3]
	s_lshl_b64 s[46:47], s[46:47], 2
	s_add_u32 s46, s44, s46
	s_addc_u32 s47, s45, s47
	s_waitcnt lgkmcnt(0)
	v_mfma_f32_16x16x16_bf16 a[0:3], v[2:3], v[8:9], a[0:3]
	s_and_b64 vcc, exec, s[0:1]
	v_mov_b32_e32 v101, 0
	v_mov_b32_e32 v100, 0
	;; [unrolled: 1-line block ×19, first 2 shown]
	s_cbranch_vccnz .LBB605_12
; %bb.11:                               ;   in Loop: Header=BB605_6 Depth=1
	s_and_b32 s25, s25, 0xffff
	buffer_load_dwordx4 v[14:17], v69, s[24:27], 0 offen
	buffer_load_dwordx4 v[10:13], v69, s[24:27], s61 offen
	;; [unrolled: 1-line block ×4, first 2 shown]
	v_mov_b32_e32 v100, v71
	v_mov_b32_e32 v99, v72
.LBB605_12:                             ;   in Loop: Header=BB605_6 Depth=1
	v_add_u32_e32 v24, s62, v87
	v_ashrrev_i32_e32 v18, 31, v24
	v_mul_lo_u32 v20, v18, s38
	v_mul_lo_u32 v21, v24, s39
	v_mad_u64_u32 v[18:19], s[24:25], v24, s38, 0
	v_add3_u32 v19, v19, v21, v20
	v_add_u32_e32 v20, 1, v24
	v_ashrrev_i32_e32 v21, 31, v20
	v_mul_lo_u32 v22, v21, s38
	v_mul_lo_u32 v23, v20, s39
	v_mad_u64_u32 v[20:21], s[24:25], v20, s38, 0
	v_add3_u32 v21, v21, v23, v22
	v_add_u32_e32 v22, 2, v24
	v_ashrrev_i32_e32 v23, 31, v22
	v_mul_lo_u32 v25, v23, s38
	v_mul_lo_u32 v26, v22, s39
	v_mad_u64_u32 v[22:23], s[24:25], v22, s38, 0
	s_add_u32 s24, s42, s62
	v_add3_u32 v23, v23, v26, v25
	v_add_u32_e32 v26, 3, v24
	s_addc_u32 s25, s43, 0
	v_ashrrev_i32_e32 v24, 31, v26
	s_lshl_b64 s[68:69], s[24:25], 8
	v_lshl_add_u64 v[18:19], v[18:19], 2, s[44:45]
	v_mul_lo_u32 v27, v24, s38
	v_lshl_add_u64 v[24:25], v[56:57], 0, s[68:69]
	v_mul_lo_u32 v28, v26, s39
	global_load_ushort v34, v[24:25], off
	global_load_ushort v35, v[24:25], off offset:256
	global_load_ushort v36, v[24:25], off offset:512
	;; [unrolled: 1-line block ×3, first 2 shown]
	global_load_dword v38, v[18:19], off
	v_mad_u64_u32 v[18:19], s[24:25], v26, s38, 0
	v_lshl_add_u64 v[20:21], v[20:21], 2, s[44:45]
	v_add3_u32 v19, v19, v28, v27
	v_lshl_add_u64 v[22:23], v[22:23], 2, s[44:45]
	v_lshl_add_u64 v[18:19], v[18:19], 2, s[44:45]
	global_load_dword v39, v[20:21], off
	global_load_dword v40, v[22:23], off
	;; [unrolled: 1-line block ×3, first 2 shown]
	ds_read_b64 v[18:19], v77 offset:24576
	s_load_dword s24, s[46:47], 0x0
	ds_read_b64 v[28:29], v79 offset:24576
	ds_read2st64_b64 v[20:23], v82 offset1:1
	ds_read2st64_b64 v[24:27], v82 offset0:2 offset1:3
	ds_read_b64 v[30:31], v80 offset:24576
	ds_read_b64 v[32:33], v81 offset:24576
	s_waitcnt lgkmcnt(0)
	v_mfma_f32_16x16x16_bf16 a[0:3], v[18:19], v[20:21], a[0:3]
	v_mov_b32_e32 v102, 0
	v_mov_b32_e32 v18, 0
	;; [unrolled: 1-line block ×3, first 2 shown]
	v_mfma_f32_16x16x16_bf16 a[0:3], v[28:29], v[22:23], a[0:3]
	v_lshl_add_u64 v[28:29], v[58:59], 0, s[68:69]
	v_mov_b32_e32 v20, 0
	v_mov_b32_e32 v21, 0
	v_mfma_f32_16x16x16_bf16 a[0:3], v[30:31], v[24:25], a[0:3]
	v_mov_b32_e32 v22, 0
	v_mov_b32_e32 v23, 0
	;; [unrolled: 1-line block ×3, first 2 shown]
	v_mfma_f32_16x16x16_bf16 a[0:3], v[32:33], v[26:27], a[0:3]
	s_and_b64 vcc, exec, s[0:1]
	s_waitcnt vmcnt(7)
	v_lshlrev_b32_e32 v32, 16, v34
	s_nop 3
	v_accvgpr_read_b32 v31, a1
	v_accvgpr_read_b32 v27, a3
	;; [unrolled: 1-line block ×4, first 2 shown]
	s_waitcnt vmcnt(6)
	v_lshlrev_b32_e32 v33, 16, v35
	s_waitcnt vmcnt(4)
	v_lshlrev_b32_e32 v35, 16, v37
	v_lshlrev_b32_e32 v34, 16, v36
	s_waitcnt vmcnt(3)
	v_sub_f32_e32 v25, s24, v38
	v_pk_add_f32 v[30:31], v[32:33], v[30:31] neg_lo:[0,1] neg_hi:[0,1]
	v_pk_add_f32 v[26:27], v[34:35], v[26:27] neg_lo:[0,1] neg_hi:[0,1]
	v_mul_f32_e32 v25, 0x3fb8aa3b, v25
	s_waitcnt vmcnt(2)
	v_sub_f32_e32 v33, s24, v39
	s_waitcnt vmcnt(1)
	v_sub_f32_e32 v34, s24, v40
	;; [unrolled: 2-line block ×3, first 2 shown]
	v_exp_f32_e32 v32, v25
	v_mul_f32_e32 v25, 0x3fb8aa3b, v33
	v_mul_f32_e32 v34, 0x3fb8aa3b, v34
	;; [unrolled: 1-line block ×3, first 2 shown]
	v_exp_f32_e32 v33, v25
	v_exp_f32_e32 v34, v34
	;; [unrolled: 1-line block ×3, first 2 shown]
	global_store_short_d16_hi v[28:29], v30, off
	global_store_short_d16_hi v[28:29], v31, off offset:256
	global_store_short_d16_hi v[28:29], v26, off offset:512
	;; [unrolled: 1-line block ×3, first 2 shown]
	v_pk_mul_f32 v[28:29], v[32:33], v[30:31]
	v_pk_mul_f32 v[26:27], v[34:35], v[26:27]
	v_mov_b32_e32 v25, 0
	v_perm_b32 v27, v27, v26, s41
	v_perm_b32 v26, v29, v28, s41
	ds_write_b64 v74, v[26:27]
	v_mov_b32_e32 v26, 0
	v_mov_b32_e32 v27, 0
	;; [unrolled: 1-line block ×8, first 2 shown]
	s_cbranch_vccnz .LBB605_14
; %bb.13:                               ;   in Loop: Header=BB605_6 Depth=1
	s_and_b32 s29, s29, 0xffff
	s_mov_b32 s31, s27
	buffer_load_dwordx4 v[30:33], v85, s[28:31], 0 offen
	buffer_load_dwordx4 v[22:25], v85, s[28:31], s61 offen
	;; [unrolled: 1-line block ×4, first 2 shown]
	v_mov_b32_e32 v101, v68
	v_mov_b32_e32 v102, v67
.LBB605_14:                             ;   in Loop: Header=BB605_6 Depth=1
	s_waitcnt lgkmcnt(0)
	s_barrier
	ds_read_b64 v[34:35], v89
	ds_read_b64 v[40:41], v90
	ds_read2st64_b64 v[36:39], v82 offset1:1
	ds_read2st64_b64 v[104:107], v82 offset0:2 offset1:3
	ds_read_b64 v[42:43], v91
	ds_read_b64 v[112:113], v92
	s_add_i32 s25, s55, s67
	s_mul_hi_i32 s29, s25, s13
	s_mul_i32 s25, s25, s13
	s_waitcnt lgkmcnt(3)
	v_mfma_f32_16x16x16_bf16 a[0:3], v[34:35], v[36:37], 0
	ds_read_b64 v[34:35], v94
	s_add_u32 s28, s25, s33
	s_addc_u32 s29, s29, s59
	s_add_i32 s25, s3, s62
	v_mfma_f32_16x16x16_bf16 a[0:3], v[40:41], v[38:39], a[0:3]
	ds_read_b64 v[40:41], v95
	s_lshl_b64 s[28:29], s[28:29], 15
	s_mul_hi_i32 s31, s25, s13
	s_mul_i32 s25, s25, s13
	s_add_u32 s46, s25, s33
	s_addc_u32 s47, s31, s59
	s_lshl_b64 s[46:47], s[46:47], 9
	s_add_u32 s46, s36, s46
	s_waitcnt lgkmcnt(1)
	v_mfma_f32_16x16x16_bf16 a[4:7], v[34:35], v[36:37], 0
	s_addc_u32 s47, s37, s47
	s_and_b64 vcc, exec, s[0:1]
	v_mfma_f32_16x16x16_bf16 a[0:3], v[42:43], v[104:105], a[0:3]
	ds_read_b64 v[42:43], v96
	ds_read_b64 v[114:115], v97
	global_load_dwordx4 v[34:37], v93, s[46:47]
	s_waitcnt lgkmcnt(2)
	v_mfma_f32_16x16x16_bf16 a[4:7], v[40:41], v[38:39], a[4:7]
	global_load_dwordx4 v[38:41], v88, s[46:47]
	ds_read_b64 v[108:109], v83
	ds_read_b64 v[110:111], v84
	s_waitcnt lgkmcnt(3)
	v_mfma_f32_16x16x16_bf16 a[8:11], v[42:43], v[104:105], a[4:7]
	v_lshl_add_u64 v[42:43], v[54:55], 0, s[28:29]
	s_waitcnt lgkmcnt(0)
	global_store_dwordx4 v[42:43], v[108:111], off
	v_mfma_f32_16x16x16_bf16 a[4:7], v[112:113], v[106:107], a[0:3]
	s_waitcnt vmcnt(2)
	v_mov_b32_e32 v44, v37
	v_mfma_f32_16x16x16_bf16 a[0:3], v[114:115], v[106:107], a[8:11]
	v_mov_b32_e32 v43, v36
	v_mov_b32_e32 v42, v35
	s_cbranch_vccnz .LBB605_16
; %bb.15:                               ;   in Loop: Header=BB605_6 Depth=1
	v_lshrrev_b32_e32 v35, 3, v101
	v_and_b32_e32 v35, 6, v35
	v_xor_b32_e32 v36, v35, v102
	v_lshlrev_b32_e32 v36, 2, v36
	v_and_b32_e32 v37, 8, v101
	v_xor_b32_e32 v101, 0x440, v36
	v_cmp_eq_u32_e32 vcc, 0, v37
	v_perm_b32 v37, v22, v18, s63
	s_nop 0
	v_cndmask_b32_e32 v36, v101, v36, vcc
	v_lshl_or_b32 v35, v35, 10, v36
	v_perm_b32 v36, v30, v26, s63
	s_barrier
	ds_write2st64_b32 v35, v36, v37 offset1:32
	v_xor_b32_e32 v36, 8, v35
	v_perm_b32 v26, v30, v26, s64
	v_perm_b32 v18, v22, v18, s64
	v_add_u32_e32 v22, 0x80, v36
	ds_write2st64_b32 v22, v26, v18 offset1:32
	v_xor_b32_e32 v18, 16, v35
	v_perm_b32 v22, v31, v27, s63
	v_perm_b32 v26, v23, v19, s63
	ds_write2st64_b32 v18, v22, v26 offset0:1 offset1:33
	v_xor_b32_e32 v18, 24, v35
	v_perm_b32 v22, v31, v27, s64
	v_perm_b32 v19, v23, v19, s64
	v_add_u32_e32 v18, 0x80, v18
	ds_write2st64_b32 v18, v22, v19 offset0:1 offset1:33
	v_xor_b32_e32 v18, 32, v35
	v_perm_b32 v19, v32, v28, s63
	v_perm_b32 v22, v24, v20, s63
	ds_write2st64_b32 v18, v19, v22 offset0:2 offset1:34
	v_xor_b32_e32 v18, 40, v35
	v_perm_b32 v19, v32, v28, s64
	v_perm_b32 v20, v24, v20, s64
	v_add_u32_e32 v18, 0x80, v18
	ds_write2st64_b32 v18, v19, v20 offset0:2 offset1:34
	;; [unrolled: 9-line block ×3, first 2 shown]
	ds_write_b64 v100, v[14:15] offset:16384
	v_xor_b32_e32 v14, 8, v100
	ds_write_b64 v14, v[16:17] offset:16384
	ds_write_b64 v100, v[10:11] offset:24576
	;; [unrolled: 1-line block ×4, first 2 shown]
	v_xor_b32_e32 v6, 8, v99
	ds_write_b64 v6, v[8:9] offset:16384
	ds_write_b64 v99, v[2:3] offset:24576
	;; [unrolled: 1-line block ×3, first 2 shown]
.LBB605_16:                             ;   in Loop: Header=BB605_6 Depth=1
	v_mul_f32_e32 v6, s24, v98
	v_exp_f32_e32 v10, v6
	s_waitcnt vmcnt(1)
	v_mul_f32_e32 v6, 0x3fb8aa3b, v38
	v_exp_f32_e32 v12, v6
	v_mul_f32_e32 v6, 0x3fb8aa3b, v39
	v_exp_f32_e32 v13, v6
	v_mul_f32_e32 v6, 0x3fb8aa3b, v40
	v_exp_f32_e32 v14, v6
	v_mul_f32_e32 v6, 0x3fb8aa3b, v41
	v_exp_f32_e32 v15, v6
	v_accvgpr_read_b32 v2, a4
	v_accvgpr_read_b32 v3, a5
	v_pk_mul_f32 v[12:13], v[10:11], v[12:13] op_sel_hi:[0,1]
	v_pk_fma_f32 v[46:47], v[46:47], v[12:13], v[2:3]
	v_pk_mul_f32 v[2:3], v[10:11], v[14:15] op_sel_hi:[0,1]
	v_mul_f32_e32 v11, 0x3fb8aa3b, v34
	v_exp_f32_e32 v12, v11
	v_mul_f32_e32 v11, 0x3fb8aa3b, v42
	v_exp_f32_e32 v13, v11
	;; [unrolled: 2-line block ×4, first 2 shown]
	v_accvgpr_read_b32 v4, a6
	v_accvgpr_read_b32 v5, a7
	;; [unrolled: 1-line block ×5, first 2 shown]
	v_pk_fma_f32 v[52:53], v[52:53], v[2:3], v[4:5]
	v_pk_mul_f32 v[2:3], v[10:11], v[12:13] op_sel_hi:[0,1]
	v_accvgpr_read_b32 v8, a2
	v_pk_fma_f32 v[50:51], v[50:51], v[2:3], v[6:7]
	v_pk_mul_f32 v[2:3], v[10:11], v[14:15] op_sel_hi:[0,1]
	s_add_i32 s62, s62, 64
	s_cmp_eq_u32 s53, s66
	v_pk_fma_f32 v[48:49], v[48:49], v[2:3], v[8:9]
	s_cbranch_scc1 .LBB605_18
; %bb.17:                               ;   in Loop: Header=BB605_6 Depth=1
	s_mov_b32 s67, s66
	s_branch .LBB605_6
.LBB605_18:
	s_lshl_b32 s46, s53, 6
	s_sub_i32 s47, s12, s46
	s_cmp_gt_i32 s47, 0
	v_or_b32_e32 v26, s2, v63
	s_cbranch_scc1 .LBB605_20
; %bb.19:
	s_ashr_i32 s0, s33, 31
	s_add_u32 s28, s50, s33
	s_addc_u32 s29, s56, s0
	v_or_b32_e32 v2, s2, v63
	s_cbranch_execz .LBB605_21
	s_branch .LBB605_77
.LBB605_20:
                                        ; implicit-def: $sgpr28_sgpr29
                                        ; implicit-def: $vgpr2
.LBB605_21:
	s_ashr_i32 s41, s52, 31
	s_ashr_i32 s3, s46, 31
	s_cmpk_lg_i32 s15, 0x80
	s_cselect_b64 s[42:43], -1, 0
	s_and_b64 vcc, exec, s[42:43]
	s_cbranch_vccz .LBB605_23
; %bb.22:
	s_mul_hi_i32 s0, s52, s12
	s_add_u32 s1, s48, s46
	s_addc_u32 s0, s0, s3
	s_mul_i32 s24, s1, s54
	s_mul_hi_u32 s25, s1, s14
	s_add_i32 s24, s25, s24
	s_mul_i32 s0, s0, s14
	s_add_i32 s24, s24, s0
	s_mul_i32 s1, s1, s14
	s_ashr_i32 s0, s57, 31
	s_add_u32 s44, s1, s57
	s_addc_u32 s45, s24, s0
	s_cbranch_execz .LBB605_24
	s_branch .LBB605_25
.LBB605_23:
                                        ; implicit-def: $sgpr44_sgpr45
.LBB605_24:
	s_mul_hi_i32 s0, s52, s14
	s_mul_i32 s52, s52, s14
	s_ashr_i32 s1, s57, 31
	s_add_u32 s14, s52, s57
	s_addc_u32 s0, s0, s1
	s_mul_i32 s1, s14, s51
	s_mul_hi_u32 s24, s14, s12
	s_add_i32 s1, s24, s1
	s_mul_i32 s0, s0, s12
	s_add_i32 s1, s1, s0
	s_mul_i32 s14, s14, s12
	s_add_u32 s44, s14, s46
	s_addc_u32 s45, s1, s3
.LBB605_25:
	s_add_i32 s24, s55, s53
	s_ashr_i32 s14, s33, 31
	s_add_u32 s28, s50, s33
	s_addc_u32 s29, s56, s14
	s_mul_i32 s0, s28, s51
	s_mul_hi_u32 s1, s28, s12
	s_add_i32 s0, s1, s0
	s_mul_i32 s1, s29, s12
	s_add_i32 s1, s0, s1
	s_mul_i32 s0, s28, s12
	s_add_u32 s0, s0, s46
	s_addc_u32 s1, s1, s3
	s_mov_b32 s3, 0x7060302
	v_lshlrev_b32_e32 v6, 3, v63
	s_lshl_b64 s[30:31], s[0:1], 8
	v_perm_b32 v3, v53, v52, s3
	v_perm_b32 v2, v47, v46, s3
	;; [unrolled: 1-line block ×4, first 2 shown]
	v_lshlrev_b32_e32 v36, 2, v63
	v_lshl_or_b32 v6, v1, 5, v6
	s_add_u32 s0, s6, s30
	ds_write2st64_b64 v6, v[2:3], v[4:5] offset0:72 offset1:76
	v_xor_b32_e32 v6, v1, v36
	v_lshlrev_b32_e32 v7, 8, v63
	s_addc_u32 s1, s7, s31
	v_lshl_or_b32 v6, v6, 1, v7
	s_mul_hi_i32 s3, s24, s13
	s_mul_i32 s24, s24, s13
	ds_write_b64 v6, v[2:3] offset:32768
	v_xor_b32_e32 v2, v66, v36
	s_add_u32 s6, s24, s33
	v_lshl_or_b32 v2, v2, 1, v7
	s_addc_u32 s7, s3, s14
	v_lshlrev_b32_e32 v3, 1, v63
	ds_write_b64 v2, v[4:5] offset:32768
	v_lshrrev_b32_e32 v2, 4, v0
	s_ashr_i32 s3, s2, 31
	s_lshl_b64 s[6:7], s[6:7], 15
	v_or_b32_e32 v4, 1, v3
	s_add_u32 s6, s16, s6
	v_xor_b32_e32 v3, v2, v3
	v_xor_b32_e32 v4, v4, v2
	v_lshlrev_b32_e32 v6, 8, v2
	s_addc_u32 s7, s17, s7
	s_lshl_b64 s[2:3], s[2:3], 8
	v_lshl_or_b32 v2, v3, 3, v6
	v_lshl_or_b32 v4, v4, 3, v6
	s_waitcnt lgkmcnt(0)
	s_barrier
	s_add_u32 s2, s6, s2
	ds_read_b64 v[2:3], v2 offset:32768
	ds_read_b64 v[4:5], v4 offset:32768
	s_addc_u32 s3, s7, s3
	v_mov_b32_e32 v7, 0
	s_cmp_lg_u32 s47, 64
	v_lshl_add_u64 v[8:9], s[2:3], 0, v[6:7]
	v_lshlrev_b32_e32 v6, 4, v63
	s_cselect_b64 s[6:7], -1, 0
	v_lshl_or_b32 v27, v45, 3, v65
	s_mov_b32 s24, 0
	v_lshl_add_u64 v[6:7], v[8:9], 0, v[6:7]
	v_or_b32_e32 v19, 32, v27
	v_and_b32_e32 v18, 56, v64
	s_and_b64 vcc, exec, s[6:7]
	s_waitcnt lgkmcnt(0)
	global_store_dwordx4 v[6:7], v[2:5], off
	s_cbranch_vccz .LBB605_31
; %bb.26:
	s_mov_b32 s25, s24
	s_mov_b32 s26, s24
	;; [unrolled: 1-line block ×3, first 2 shown]
	v_mov_b64_e32 v[6:7], s[24:25]
	v_mov_b64_e32 v[8:9], s[26:27]
	;; [unrolled: 1-line block ×3, first 2 shown]
	v_cmp_gt_i32_e32 vcc, s47, v27
	v_mov_b64_e32 v[4:5], v[8:9]
	s_and_saveexec_b64 s[2:3], vcc
	s_cbranch_execz .LBB605_28
; %bb.27:
	v_lshlrev_b32_e32 v2, 8, v27
	v_mov_b32_e32 v3, 0
	v_lshl_add_u64 v[4:5], s[0:1], 0, v[2:3]
	v_lshlrev_b32_e32 v2, 1, v18
	v_lshl_add_u64 v[10:11], v[4:5], 0, v[2:3]
	global_load_dwordx4 v[6:9], v[10:11], off
	global_load_dwordx4 v[2:5], v[10:11], off offset:128
.LBB605_28:
	s_or_b64 exec, exec, s[2:3]
	s_mov_b32 s25, s24
	s_mov_b32 s26, s24
	s_mov_b32 s27, s24
	v_mov_b64_e32 v[14:15], s[24:25]
	v_mov_b64_e32 v[16:17], s[26:27]
	v_mov_b64_e32 v[10:11], v[14:15]
	v_cmp_gt_i32_e32 vcc, s47, v19
	v_lshlrev_b32_e32 v20, 7, v19
	v_mov_b64_e32 v[12:13], v[16:17]
	s_and_saveexec_b64 s[2:3], vcc
	s_cbranch_execz .LBB605_30
; %bb.29:
	v_lshlrev_b32_e32 v10, 1, v20
	v_mov_b32_e32 v11, 0
	v_lshl_add_u64 v[12:13], s[0:1], 0, v[10:11]
	v_lshlrev_b32_e32 v10, 1, v18
	v_lshl_add_u64 v[22:23], v[12:13], 0, v[10:11]
	global_load_dwordx4 v[14:17], v[22:23], off
	global_load_dwordx4 v[10:13], v[22:23], off offset:128
.LBB605_30:
	s_or_b64 exec, exec, s[2:3]
	v_lshrrev_b32_e32 v21, 3, v18
	v_lshlrev_b32_e32 v22, 3, v27
	v_or_b32_e32 v21, v22, v21
	v_lshlrev_b32_e32 v21, 4, v21
	v_and_b32_e32 v22, 0x78, v22
	v_xor_b32_e32 v21, v21, v22
	s_branch .LBB605_33
.LBB605_31:
                                        ; implicit-def: $vgpr21
                                        ; implicit-def: $vgpr20
                                        ; implicit-def: $vgpr6_vgpr7_vgpr8_vgpr9
                                        ; implicit-def: $vgpr2_vgpr3_vgpr4_vgpr5
                                        ; implicit-def: $vgpr14_vgpr15_vgpr16_vgpr17
                                        ; implicit-def: $vgpr10_vgpr11_vgpr12_vgpr13
	s_cbranch_execz .LBB605_33
; %bb.32:
	s_waitcnt vmcnt(0)
	v_lshlrev_b32_e32 v2, 1, v18
	v_lshl_or_b32 v20, v27, 8, v2
	s_and_b32 s1, s1, 0xffff
	s_mov_b32 s3, 0x20000
	s_movk_i32 s2, 0x4000
	v_lshl_or_b32 v21, v19, 8, v2
	s_movk_i32 s16, 0x80
	buffer_load_dwordx4 v[6:9], v20, s[0:3], 0 offen
	buffer_load_dwordx4 v[2:5], v20, s[0:3], s16 offen
	;; [unrolled: 1-line block ×4, first 2 shown]
	v_lshrrev_b32_e32 v20, 3, v18
	v_lshlrev_b32_e32 v21, 3, v27
	v_or_b32_e32 v20, v21, v20
	v_lshlrev_b32_e32 v20, 4, v20
	v_and_b32_e32 v21, 0x78, v21
	v_xor_b32_e32 v21, v20, v21
	v_lshlrev_b32_e32 v20, 7, v19
.LBB605_33:
	s_lshl_b64 s[0:1], s[44:45], 8
	s_add_u32 s4, s4, s0
	s_movk_i32 s0, 0x1000
	v_and_or_b32 v19, v20, s0, v21
	s_waitcnt vmcnt(1)
	ds_write_b64 v21, v[6:7] offset:16384
	v_xor_b32_e32 v6, 8, v21
	s_addc_u32 s5, s5, s1
	ds_write_b64 v6, v[8:9] offset:16384
	s_waitcnt vmcnt(0)
	ds_write_b64 v21, v[2:3] offset:24576
	ds_write_b64 v6, v[4:5] offset:24576
	ds_write_b64 v19, v[14:15] offset:16384
	v_xor_b32_e32 v2, 8, v19
	s_add_i32 s16, s12, -1
	ds_write_b64 v2, v[16:17] offset:16384
	ds_write_b64 v19, v[10:11] offset:24576
	;; [unrolled: 1-line block ×3, first 2 shown]
	s_mul_i32 s3, s16, s39
	s_mul_hi_u32 s12, s16, s38
	v_or_b32_e32 v2, v60, v63
	s_add_i32 s3, s12, s3
	v_lshlrev_b32_e32 v2, 3, v2
	v_lshrrev_b32_e32 v4, 5, v61
	s_movk_i32 s12, 0xf8
	v_and_or_b32 v4, v2, s12, v4
	v_lshlrev_b32_e32 v37, 11, v45
	v_lshlrev_b32_e32 v12, 4, v4
	v_and_b32_e32 v13, 0x78, v2
	v_and_b32_e32 v14, 0x1000, v37
	v_lshlrev_b32_e32 v3, 2, v0
	v_xor_b32_e32 v2, v12, v13
	v_lshrrev_b32_e32 v4, 1, v61
	v_and_b32_e32 v3, 60, v3
	v_or_b32_e32 v2, v2, v14
	v_and_b32_e32 v15, 8, v4
	v_xor_b32_e32 v28, v2, v15
	v_lshl_or_b32 v2, v62, 6, v3
	v_lshlrev_b32_e32 v38, 1, v2
	v_or_b32_e32 v2, 32, v12
	v_xor_b32_e32 v2, v2, v13
	s_waitcnt lgkmcnt(0)
	s_barrier
	ds_read_b64 v[10:11], v28 offset:16384
	v_or_b32_e32 v2, v2, v14
	v_xor_b32_e32 v29, v2, v15
	v_or_b32_e32 v2, 64, v12
	v_xor_b32_e32 v2, v2, v13
	v_or_b32_e32 v2, v2, v14
	v_or_b32_e32 v12, 0x60, v12
	v_xor_b32_e32 v30, v2, v15
	ds_read2st64_b64 v[2:5], v38 offset0:72 offset1:73
	ds_read2st64_b64 v[6:9], v38 offset0:74 offset1:75
	v_xor_b32_e32 v16, v12, v13
	ds_read_b64 v[12:13], v29 offset:16384
	s_waitcnt lgkmcnt(2)
	v_mfma_f32_16x16x16_bf16 a[0:3], v[10:11], v[2:3], 0
	s_add_i32 s0, s49, s21
	s_mul_i32 s41, s41, s20
	s_add_i32 s41, s0, s41
	s_mul_i32 s0, s33, s23
	s_mul_hi_u32 s1, s33, s22
	s_ashr_i32 s2, s16, 31
	s_add_i32 s0, s1, s0
	s_mul_i32 s1, s14, s22
	s_mul_i32 s2, s2, s38
	v_or_b32_e32 v14, v16, v14
	s_add_i32 s1, s0, s1
	s_add_i32 s3, s3, s2
	s_lshl_b64 s[20:21], s[40:41], 2
	v_xor_b32_e32 v39, v14, v15
	ds_read_b64 v[14:15], v30 offset:16384
	ds_read_b64 v[16:17], v39 offset:16384
	s_waitcnt lgkmcnt(2)
	v_mfma_f32_16x16x16_bf16 a[0:3], v[12:13], v[4:5], a[0:3]
	s_mul_i32 s0, s33, s22
	s_add_u32 s10, s10, s20
	s_addc_u32 s11, s11, s21
	s_lshl_b64 s[0:1], s[0:1], 2
	s_mul_i32 s2, s16, s38
	s_add_u32 s10, s10, s0
	s_addc_u32 s11, s11, s1
	s_lshl_b64 s[0:1], s[2:3], 2
	s_waitcnt lgkmcnt(1)
	v_mfma_f32_16x16x16_bf16 a[0:3], v[14:15], v[6:7], a[0:3]
	s_add_u32 s0, s10, s0
	s_addc_u32 s1, s11, s1
	s_load_dword s12, s[0:1], 0x0
	s_waitcnt lgkmcnt(0)
	v_mfma_f32_16x16x16_bf16 a[0:3], v[16:17], v[8:9], a[0:3]
	s_and_b64 vcc, exec, s[42:43]
	s_cbranch_vccz .LBB605_44
; %bb.34:
	v_lshlrev_b32_e32 v19, 1, v27
	s_and_b64 vcc, exec, s[6:7]
	s_cbranch_vccz .LBB605_45
; %bb.35:
	v_cmp_gt_i32_e32 vcc, s47, v19
	v_mov_b32_e32 v6, 0
	v_mov_b32_e32 v2, 0
	v_mov_b32_e32 v3, 0
	v_mov_b32_e32 v4, 0
	v_mov_b32_e32 v5, 0
	s_and_saveexec_b64 s[0:1], vcc
	s_cbranch_execz .LBB605_37
; %bb.36:
	v_mad_i64_i32 v[2:3], s[2:3], s15, v19, 0
	v_lshl_add_u64 v[2:3], v[2:3], 1, s[4:5]
	v_lshlrev_b32_e32 v4, 1, v18
	v_mov_b32_e32 v5, 0
	v_lshl_add_u64 v[2:3], v[2:3], 0, v[4:5]
	global_load_dwordx4 v[2:5], v[2:3], off
.LBB605_37:
	s_or_b64 exec, exec, s[0:1]
	v_or_b32_e32 v20, 1, v19
	v_cmp_gt_i32_e64 s[0:1], s47, v20
	v_mov_b32_e32 v7, 0
	v_mov_b32_e32 v8, 0
	;; [unrolled: 1-line block ×3, first 2 shown]
	s_and_saveexec_b64 s[2:3], s[0:1]
	s_cbranch_execz .LBB605_39
; %bb.38:
	v_mad_i64_i32 v[6:7], s[20:21], s15, v20, 0
	v_lshl_add_u64 v[6:7], v[6:7], 1, s[4:5]
	v_lshlrev_b32_e32 v8, 1, v18
	v_mov_b32_e32 v9, 0
	v_lshl_add_u64 v[6:7], v[6:7], 0, v[8:9]
	global_load_dwordx4 v[6:9], v[6:7], off
.LBB605_39:
	s_or_b64 exec, exec, s[2:3]
	v_mov_b32_e32 v17, 0
	v_mov_b32_e32 v10, 0
	v_mov_b32_e32 v11, 0
	v_mov_b32_e32 v12, 0
	v_mov_b32_e32 v13, 0
	s_and_saveexec_b64 s[2:3], vcc
	s_cbranch_execz .LBB605_41
; %bb.40:
	v_mad_i64_i32 v[10:11], s[20:21], s15, v19, 0
	v_lshl_add_u64 v[10:11], v[10:11], 1, s[4:5]
	v_lshlrev_b32_e32 v12, 1, v18
	v_mov_b32_e32 v13, 0
	v_lshl_add_u64 v[10:11], v[10:11], 0, v[12:13]
	global_load_dwordx4 v[10:13], v[10:11], off offset:128
.LBB605_41:
	s_or_b64 exec, exec, s[2:3]
	v_mov_b32_e32 v16, 0
	v_mov_b32_e32 v15, 0
	;; [unrolled: 1-line block ×3, first 2 shown]
	s_and_saveexec_b64 s[2:3], s[0:1]
	s_cbranch_execz .LBB605_43
; %bb.42:
	v_mad_i64_i32 v[14:15], s[0:1], s15, v20, 0
	v_lshl_add_u64 v[14:15], v[14:15], 1, s[4:5]
	v_lshlrev_b32_e32 v16, 1, v18
	v_mov_b32_e32 v17, 0
	v_lshl_add_u64 v[14:15], v[14:15], 0, v[16:17]
	global_load_dwordx4 v[14:17], v[14:15], off offset:128
.LBB605_43:
	s_or_b64 exec, exec, s[2:3]
	s_branch .LBB605_47
.LBB605_44:
                                        ; implicit-def: $vgpr5
                                        ; implicit-def: $vgpr9
                                        ; implicit-def: $vgpr13
                                        ; implicit-def: $vgpr17
	v_lshrrev_b32_e32 v19, 2, v61
	s_branch .LBB605_48
.LBB605_45:
                                        ; implicit-def: $vgpr5
                                        ; implicit-def: $vgpr9
                                        ; implicit-def: $vgpr13
                                        ; implicit-def: $vgpr17
	s_cbranch_execz .LBB605_47
; %bb.46:
	s_waitcnt vmcnt(0)
	v_mad_u64_u32 v[2:3], s[0:1], v19, s15, v[18:19]
	v_lshlrev_b32_e32 v19, 1, v2
	s_lshl_b32 s2, s15, 7
	s_and_b32 s1, s5, 0xffff
	s_mov_b32 s3, 0x20000
	s_mov_b32 s0, s4
	v_add_lshl_u32 v20, v2, s15, 1
	s_movk_i32 s15, 0x80
	buffer_load_dwordx4 v[2:5], v19, s[0:3], 0 offen
	buffer_load_dwordx4 v[10:13], v19, s[0:3], s15 offen
	;; [unrolled: 1-line block ×4, first 2 shown]
.LBB605_47:
	v_lshrrev_b32_e32 v19, 2, v61
	s_cbranch_execnz .LBB605_60
.LBB605_48:
	s_and_b64 vcc, exec, s[6:7]
	s_cbranch_vccz .LBB605_58
; %bb.49:
	s_waitcnt vmcnt(0)
	v_lshlrev_b32_e32 v7, 1, v27
	v_cmp_gt_i32_e32 vcc, s47, v7
	v_mov_b32_e32 v6, 0
	v_lshlrev_b32_e32 v14, 9, v27
	v_mov_b32_e32 v2, 0
	v_mov_b32_e32 v3, 0
	;; [unrolled: 1-line block ×4, first 2 shown]
	s_and_saveexec_b64 s[0:1], vcc
	s_cbranch_execz .LBB605_51
; %bb.50:
	v_mov_b32_e32 v15, 0
	v_lshl_add_u64 v[2:3], s[4:5], 0, v[14:15]
	v_lshlrev_b32_e32 v4, 1, v18
	v_mov_b32_e32 v5, v15
	v_lshl_add_u64 v[2:3], v[2:3], 0, v[4:5]
	global_load_dwordx4 v[2:5], v[2:3], off
.LBB605_51:
	s_or_b64 exec, exec, s[0:1]
	v_or_b32_e32 v7, 1, v7
	v_cmp_gt_i32_e64 s[0:1], s47, v7
	v_lshlrev_b32_e32 v20, 8, v7
	v_mov_b32_e32 v7, 0
	v_mov_b32_e32 v8, 0
	v_mov_b32_e32 v9, 0
	s_and_saveexec_b64 s[2:3], s[0:1]
	s_cbranch_execz .LBB605_53
; %bb.52:
	v_mov_b32_e32 v21, 0
	v_lshl_add_u64 v[6:7], s[4:5], 0, v[20:21]
	v_lshlrev_b32_e32 v8, 1, v18
	v_mov_b32_e32 v9, v21
	v_lshl_add_u64 v[6:7], v[6:7], 0, v[8:9]
	global_load_dwordx4 v[6:9], v[6:7], off
.LBB605_53:
	s_or_b64 exec, exec, s[2:3]
	v_mov_b32_e32 v17, 0
	v_mov_b32_e32 v10, 0
	;; [unrolled: 1-line block ×5, first 2 shown]
	s_and_saveexec_b64 s[2:3], vcc
	s_cbranch_execz .LBB605_55
; %bb.54:
	v_mov_b32_e32 v15, 0
	v_lshl_add_u64 v[10:11], s[4:5], 0, v[14:15]
	v_lshlrev_b32_e32 v14, 1, v18
	v_lshl_add_u64 v[10:11], v[10:11], 0, v[14:15]
	global_load_dwordx4 v[10:13], v[10:11], off offset:128
.LBB605_55:
	s_or_b64 exec, exec, s[2:3]
	v_mov_b32_e32 v16, 0
	v_mov_b32_e32 v15, 0
	;; [unrolled: 1-line block ×3, first 2 shown]
	s_and_saveexec_b64 s[2:3], s[0:1]
	s_cbranch_execz .LBB605_57
; %bb.56:
	v_mov_b32_e32 v21, 0
	v_lshl_add_u64 v[14:15], s[4:5], 0, v[20:21]
	v_lshlrev_b32_e32 v20, 1, v18
	v_lshl_add_u64 v[14:15], v[14:15], 0, v[20:21]
	global_load_dwordx4 v[14:17], v[14:15], off offset:128
.LBB605_57:
	s_or_b64 exec, exec, s[2:3]
	s_branch .LBB605_60
.LBB605_58:
                                        ; implicit-def: $vgpr5
                                        ; implicit-def: $vgpr9
                                        ; implicit-def: $vgpr13
                                        ; implicit-def: $vgpr17
	s_cbranch_execz .LBB605_60
; %bb.59:
	s_waitcnt vmcnt(0)
	v_lshlrev_b32_e32 v2, 1, v18
	v_lshl_or_b32 v18, v27, 9, v2
	s_and_b32 s5, s5, 0xffff
	s_mov_b32 s7, 0x20000
	s_movk_i32 s6, 0x4000
	s_movk_i32 s0, 0x80
	buffer_load_dwordx4 v[2:5], v18, s[4:7], 0 offen
	buffer_load_dwordx4 v[6:9], v18, s[4:7], 0 offen offset:256
	buffer_load_dwordx4 v[10:13], v18, s[4:7], s0 offen
	buffer_load_dwordx4 v[14:17], v18, s[4:7], s0 offen offset:256
.LBB605_60:
	v_and_b32_e32 v40, 12, v19
	ds_read2st64_b64 v[22:25], v38 offset0:76 offset1:77
	ds_read2st64_b64 v[18:21], v38 offset0:78 offset1:79
	ds_read_b64 v[34:35], v28 offset:24576
	ds_read_b64 v[32:33], v29 offset:24576
	;; [unrolled: 1-line block ×4, first 2 shown]
	v_and_b32_e32 v39, 6, v0
	v_xor_b32_e32 v27, v27, v39
	v_lshlrev_b32_e32 v27, 2, v27
	v_and_b32_e32 v41, 1, v0
	v_xor_b32_e32 v42, 0x440, v27
	v_cmp_eq_u32_e32 vcc, 0, v41
	s_mov_b32 s0, 0x1000504
	s_waitcnt vmcnt(0)
	v_perm_b32 v41, v10, v14, s0
	v_cndmask_b32_e32 v27, v42, v27, vcc
	v_lshl_or_b32 v27, v39, 10, v27
	v_perm_b32 v39, v2, v6, s0
	ds_write2st64_b32 v27, v39, v41 offset1:32
	v_xor_b32_e32 v39, 8, v27
	s_mov_b32 s1, 0x3020706
	v_perm_b32 v2, v2, v6, s1
	v_perm_b32 v6, v10, v14, s1
	v_add_u32_e32 v10, 0x80, v39
	ds_write2st64_b32 v10, v2, v6 offset1:32
	v_xor_b32_e32 v2, 16, v27
	v_perm_b32 v6, v3, v7, s0
	v_perm_b32 v10, v11, v15, s0
	ds_write2st64_b32 v2, v6, v10 offset0:1 offset1:33
	v_xor_b32_e32 v2, 24, v27
	v_perm_b32 v3, v3, v7, s1
	v_perm_b32 v6, v11, v15, s1
	v_add_u32_e32 v2, 0x80, v2
	ds_write2st64_b32 v2, v3, v6 offset0:1 offset1:33
	v_xor_b32_e32 v2, 32, v27
	v_perm_b32 v3, v4, v8, s0
	v_perm_b32 v6, v12, v16, s0
	ds_write2st64_b32 v2, v3, v6 offset0:2 offset1:34
	v_xor_b32_e32 v2, 40, v27
	v_perm_b32 v3, v4, v8, s1
	v_perm_b32 v4, v12, v16, s1
	v_add_u32_e32 v2, 0x80, v2
	ds_write2st64_b32 v2, v3, v4 offset0:2 offset1:34
	v_xor_b32_e32 v2, 48, v27
	v_perm_b32 v3, v5, v9, s0
	v_perm_b32 v4, v13, v17, s0
	ds_write2st64_b32 v2, v3, v4 offset0:3 offset1:35
	v_xor_b32_e32 v2, 56, v27
	v_or_b32_e32 v10, v40, v60
	v_perm_b32 v3, v5, v9, s1
	v_perm_b32 v4, v13, v17, s1
	v_add_u32_e32 v2, 0x80, v2
	v_cmp_gt_i32_e32 vcc, s47, v10
	v_mov_b32_e32 v12, 0
	v_mov_b32_e32 v16, 0
	ds_write2st64_b32 v2, v3, v4 offset0:3 offset1:35
	s_and_saveexec_b64 s[0:1], vcc
	s_cbranch_execz .LBB605_62
; %bb.61:
	v_add_u32_e32 v2, s46, v10
	v_ashrrev_i32_e32 v3, 31, v2
	v_mul_lo_u32 v4, v3, s38
	v_mul_lo_u32 v5, v2, s39
	v_mad_u64_u32 v[2:3], s[2:3], v2, s38, 0
	v_add3_u32 v3, v3, v5, v4
	v_lshl_add_u64 v[2:3], v[2:3], 2, s[10:11]
	global_load_dword v2, v[2:3], off
	s_waitcnt vmcnt(0)
	v_sub_f32_e32 v2, s12, v2
	v_mul_f32_e32 v2, 0x3fb8aa3b, v2
	v_exp_f32_e32 v16, v2
.LBB605_62:
	s_or_b64 exec, exec, s[0:1]
	v_or_b32_e32 v15, 1, v10
	v_cmp_gt_i32_e64 s[4:5], s47, v15
	s_and_saveexec_b64 s[0:1], s[4:5]
	s_cbranch_execz .LBB605_64
; %bb.63:
	v_add_u32_e32 v2, s46, v15
	v_ashrrev_i32_e32 v3, 31, v2
	v_mul_lo_u32 v4, v3, s38
	v_mul_lo_u32 v5, v2, s39
	v_mad_u64_u32 v[2:3], s[2:3], v2, s38, 0
	v_add3_u32 v3, v3, v5, v4
	v_lshl_add_u64 v[2:3], v[2:3], 2, s[10:11]
	global_load_dword v2, v[2:3], off
	s_waitcnt vmcnt(0)
	v_sub_f32_e32 v2, s12, v2
	v_mul_f32_e32 v2, 0x3fb8aa3b, v2
	v_exp_f32_e32 v12, v2
.LBB605_64:
	s_or_b64 exec, exec, s[0:1]
	v_or_b32_e32 v13, 2, v10
	v_cmp_gt_i32_e64 s[0:1], s47, v13
	v_mov_b32_e32 v11, 0
	v_mov_b32_e32 v17, 0
	s_and_saveexec_b64 s[2:3], s[0:1]
	s_cbranch_execz .LBB605_66
; %bb.65:
	v_add_u32_e32 v2, s46, v13
	v_ashrrev_i32_e32 v3, 31, v2
	v_mul_lo_u32 v4, v3, s38
	v_mul_lo_u32 v5, v2, s39
	v_mad_u64_u32 v[2:3], s[6:7], v2, s38, 0
	v_add3_u32 v3, v3, v5, v4
	v_lshl_add_u64 v[2:3], v[2:3], 2, s[10:11]
	global_load_dword v2, v[2:3], off
	s_waitcnt vmcnt(0)
	v_sub_f32_e32 v2, s12, v2
	v_mul_f32_e32 v2, 0x3fb8aa3b, v2
	v_exp_f32_e32 v17, v2
.LBB605_66:
	s_or_b64 exec, exec, s[2:3]
	v_or_b32_e32 v14, 3, v10
	v_cmp_gt_i32_e64 s[2:3], s47, v14
	s_and_saveexec_b64 s[6:7], s[2:3]
	s_cbranch_execz .LBB605_68
; %bb.67:
	v_add_u32_e32 v2, s46, v14
	v_ashrrev_i32_e32 v3, 31, v2
	v_mul_lo_u32 v4, v3, s38
	v_mul_lo_u32 v5, v2, s39
	v_mad_u64_u32 v[2:3], s[20:21], v2, s38, 0
	v_add3_u32 v3, v3, v5, v4
	v_lshl_add_u64 v[2:3], v[2:3], 2, s[10:11]
	global_load_dword v2, v[2:3], off
	s_waitcnt vmcnt(0)
	v_sub_f32_e32 v2, s12, v2
	v_mul_f32_e32 v2, 0x3fb8aa3b, v2
	v_exp_f32_e32 v11, v2
.LBB605_68:
	s_or_b64 exec, exec, s[6:7]
	s_waitcnt lgkmcnt(11)
	v_mfma_f32_16x16x16_bf16 a[0:3], v[34:35], v[22:23], a[0:3]
	s_add_u32 s6, s8, s30
	v_ashrrev_i32_e32 v27, 31, v26
	s_addc_u32 s7, s9, s31
	s_waitcnt lgkmcnt(10)
	v_mfma_f32_16x16x16_bf16 a[0:3], v[32:33], v[24:25], a[0:3]
	v_lshlrev_b64 v[2:3], 1, v[26:27]
	v_lshl_add_u64 v[6:7], s[6:7], 0, v[2:3]
	s_add_u32 s6, s18, s30
	s_waitcnt lgkmcnt(9)
	v_mfma_f32_16x16x16_bf16 a[0:3], v[30:31], v[18:19], a[0:3]
	s_addc_u32 s7, s19, s31
	v_lshl_add_u64 v[8:9], s[6:7], 0, v[2:3]
	v_mov_b32_e32 v18, 0
	s_waitcnt lgkmcnt(8)
	v_mfma_f32_16x16x16_bf16 a[0:3], v[28:29], v[20:21], a[0:3]
	v_mov_b32_e32 v19, 0
	s_nop 5
	v_accvgpr_read_b32 v5, a3
	v_accvgpr_read_b32 v4, a2
	;; [unrolled: 1-line block ×4, first 2 shown]
	s_and_saveexec_b64 s[6:7], vcc
	s_cbranch_execz .LBB605_70
; %bb.69:
	v_lshlrev_b32_e32 v20, 8, v10
	v_mov_b32_e32 v21, 0
	v_lshl_add_u64 v[22:23], v[6:7], 0, v[20:21]
	global_load_ushort v19, v[22:23], off
	v_lshl_add_u64 v[20:21], v[8:9], 0, v[20:21]
	s_waitcnt vmcnt(0)
	v_lshlrev_b32_e32 v19, 16, v19
	v_sub_f32_e32 v2, v19, v2
	global_store_short_d16_hi v[20:21], v2, off
	v_mul_f32_e32 v2, v16, v2
	v_lshrrev_b32_e32 v19, 16, v2
.LBB605_70:
	s_or_b64 exec, exec, s[6:7]
	s_and_saveexec_b64 s[6:7], s[4:5]
	s_cbranch_execz .LBB605_72
; %bb.71:
	v_lshlrev_b32_e32 v20, 8, v15
	v_mov_b32_e32 v21, 0
	v_lshl_add_u64 v[22:23], v[6:7], 0, v[20:21]
	global_load_ushort v2, v[22:23], off
	v_lshl_add_u64 v[20:21], v[8:9], 0, v[20:21]
	s_waitcnt vmcnt(0)
	v_lshlrev_b32_e32 v2, 16, v2
	v_sub_f32_e32 v2, v2, v3
	global_store_short_d16_hi v[20:21], v2, off
	v_mul_f32_e32 v2, v12, v2
	v_lshrrev_b32_e32 v18, 16, v2
.LBB605_72:
	s_or_b64 exec, exec, s[6:7]
	v_mov_b32_e32 v3, 0
	v_mov_b32_e32 v12, 0
	s_and_saveexec_b64 s[4:5], s[0:1]
	s_cbranch_execz .LBB605_74
; %bb.73:
	v_lshlrev_b32_e32 v12, 8, v13
	v_mov_b32_e32 v13, 0
	v_lshl_add_u64 v[20:21], v[6:7], 0, v[12:13]
	global_load_ushort v2, v[20:21], off
	v_lshl_add_u64 v[12:13], v[8:9], 0, v[12:13]
	s_waitcnt vmcnt(0)
	v_lshlrev_b32_e32 v2, 16, v2
	v_sub_f32_e32 v2, v2, v4
	global_store_short_d16_hi v[12:13], v2, off
	v_mul_f32_e32 v2, v17, v2
	v_lshrrev_b32_e32 v12, 16, v2
.LBB605_74:
	s_or_b64 exec, exec, s[4:5]
	v_or_b32_e32 v2, 0x9800, v38
	s_and_saveexec_b64 s[0:1], s[2:3]
	s_cbranch_execz .LBB605_76
; %bb.75:
	v_lshlrev_b32_e32 v14, 8, v14
	v_mov_b32_e32 v15, 0
	v_lshl_add_u64 v[6:7], v[6:7], 0, v[14:15]
	global_load_ushort v3, v[6:7], off
	v_lshl_add_u64 v[6:7], v[8:9], 0, v[14:15]
	s_waitcnt vmcnt(0)
	v_lshlrev_b32_e32 v3, 16, v3
	v_sub_f32_e32 v3, v3, v5
	global_store_short_d16_hi v[6:7], v3, off
	v_mul_f32_e32 v3, v11, v3
	v_lshrrev_b32_e32 v3, 16, v3
.LBB605_76:
	s_or_b64 exec, exec, s[0:1]
	s_mov_b32 s0, 0x5040100
	v_perm_b32 v5, v3, v12, s0
	v_lshlrev_b32_e32 v3, 1, v36
	v_perm_b32 v4, v18, v19, s0
	v_lshl_or_b32 v3, v10, 5, v3
	s_movk_i32 s2, 0xff
	ds_write_b64 v3, v[4:5] offset:38912
	v_and_b32_e32 v3, 7, v0
	v_cmp_lt_u32_e32 vcc, s2, v0
	v_and_b32_e32 v4, 8, v0
	v_lshlrev_b32_e32 v12, 3, v3
	v_lshlrev_b32_e32 v24, 7, v3
	v_cndmask_b32_e64 v3, 0, 1, vcc
	v_lshrrev_b32_e32 v0, 1, v0
	v_lshlrev_b32_e32 v14, 13, v3
	v_lshlrev_b32_e32 v3, 3, v45
	v_and_b32_e32 v0, 24, v0
	v_xor_b32_e32 v5, v3, v0
	v_or_b32_e32 v6, 0x440, v5
	v_cmp_eq_u32_e32 vcc, 0, v4
	s_add_i32 s0, s16, s48
	s_mul_hi_i32 s1, s0, s13
	v_cndmask_b32_e32 v4, v6, v5, vcc
	v_or_b32_e32 v4, v4, v37
	v_xor_b32_e32 v25, v4, v12
	v_or_b32_e32 v4, 32, v0
	v_xor_b32_e32 v4, v3, v4
	v_or_b32_e32 v5, 0x440, v4
	v_cndmask_b32_e32 v4, v5, v4, vcc
	v_or_b32_e32 v4, v4, v37
	v_xor_b32_e32 v27, v4, v12
	v_or_b32_e32 v4, 64, v0
	v_xor_b32_e32 v4, v3, v4
	v_xor_b32_e32 v5, 0x440, v4
	s_mul_i32 s0, s0, s13
	v_cndmask_b32_e32 v4, v5, v4, vcc
	v_or_b32_e32 v0, 0x60, v0
	s_add_u32 s0, s0, s33
	v_add3_u32 v15, v14, v25, v24
	v_or_b32_e32 v4, v4, v37
	v_xor_b32_e32 v0, v3, v0
	s_waitcnt lgkmcnt(0)
	s_barrier
	s_addc_u32 s1, s1, s14
	v_lshlrev_b32_e32 v13, 2, v10
	v_xor_b32_e32 v28, v4, v12
	ds_read2st64_b64 v[4:7], v2 offset1:1
	ds_read2st64_b64 v[8:11], v2 offset0:2 offset1:3
	ds_read_b64 v[2:3], v15
	v_xor_b32_e32 v15, 0x440, v0
	s_lshl_b64 s[0:1], s[0:1], 9
	v_cndmask_b32_e32 v0, v15, v0, vcc
	s_add_u32 s0, s36, s0
	v_or_b32_e32 v0, v0, v37
	s_addc_u32 s1, s37, s1
	v_add3_u32 v16, v14, v27, v24
	v_xor_b32_e32 v29, v0, v12
	v_add3_u32 v18, v14, v28, v24
	v_add3_u32 v0, v14, v29, v24
	ds_read_b64 v[16:17], v16
	ds_read_b64 v[20:21], v18
	;; [unrolled: 1-line block ×3, first 2 shown]
	global_load_dwordx4 v[12:15], v13, s[0:1]
	s_waitcnt lgkmcnt(3)
	v_mfma_f32_16x16x16_bf16 a[0:3], v[2:3], v[4:5], 0
	v_lshlrev_b32_e32 v0, 6, v45
	v_lshlrev_b32_e32 v2, 2, v40
	s_movk_i32 s2, 0x100
	v_or3_b32 v0, v0, v2, s2
	s_waitcnt lgkmcnt(2)
	v_mfma_f32_16x16x16_bf16 a[0:3], v[16:17], v[6:7], a[0:3]
	global_load_dwordx4 v[16:19], v0, s[0:1]
	v_mov_b32_e32 v0, 0x3fb8aa3b
	v_mul_f32_e32 v0, s12, v0
	s_waitcnt lgkmcnt(1)
	v_mfma_f32_16x16x16_bf16 a[0:3], v[20:21], v[8:9], a[0:3]
	v_exp_f32_e32 v0, v0
	v_add_u32_e32 v25, v25, v24
	v_add_u32_e32 v27, v27, v24
	s_waitcnt lgkmcnt(0)
	v_mfma_f32_16x16x16_bf16 a[0:3], v[22:23], v[10:11], a[0:3]
	ds_read_b64 v[22:23], v25 offset:8192
	s_waitcnt vmcnt(1)
	v_mul_f32_e32 v12, 0x3fb8aa3b, v12
	v_mul_f32_e32 v13, 0x3fb8aa3b, v13
	v_exp_f32_e32 v12, v12
	v_exp_f32_e32 v13, v13
	s_nop 0
	v_accvgpr_read_b32 v21, a1
	v_accvgpr_read_b32 v20, a0
	v_mul_f32_e32 v14, 0x3fb8aa3b, v14
	v_pk_mul_f32 v[12:13], v[0:1], v[12:13] op_sel_hi:[0,1]
	v_pk_fma_f32 v[46:47], v[46:47], v[12:13], v[20:21]
	ds_read_b64 v[12:13], v27 offset:8192
	v_mul_f32_e32 v15, 0x3fb8aa3b, v15
	v_exp_f32_e32 v14, v14
	v_exp_f32_e32 v15, v15
	v_accvgpr_read_b32 v3, a3
	v_accvgpr_read_b32 v2, a2
	s_waitcnt lgkmcnt(1)
	v_mfma_f32_16x16x16_bf16 a[0:3], v[22:23], v[4:5], 0
	v_pk_mul_f32 v[14:15], v[0:1], v[14:15] op_sel_hi:[0,1]
	v_pk_fma_f32 v[52:53], v[52:53], v[14:15], v[2:3]
	v_add_u32_e32 v2, v28, v24
	v_add_u32_e32 v3, v29, v24
	ds_read_b64 v[14:15], v2 offset:8192
	ds_read_b64 v[20:21], v3 offset:8192
	s_waitcnt lgkmcnt(2)
	v_mfma_f32_16x16x16_bf16 a[0:3], v[12:13], v[6:7], a[0:3]
	s_waitcnt vmcnt(0)
	v_mov_b32_e32 v2, v17
	v_mov_b32_e32 v3, v18
	;; [unrolled: 1-line block ×3, first 2 shown]
	s_waitcnt lgkmcnt(1)
	v_mfma_f32_16x16x16_bf16 a[0:3], v[14:15], v[8:9], a[0:3]
	v_mul_f32_e32 v2, 0x3fb8aa3b, v2
	v_mul_f32_e32 v5, 0x3fb8aa3b, v16
	v_exp_f32_e32 v17, v2
	v_mul_f32_e32 v2, 0x3fb8aa3b, v3
	v_mul_f32_e32 v3, 0x3fb8aa3b, v4
	s_waitcnt lgkmcnt(0)
	v_mfma_f32_16x16x16_bf16 a[0:3], v[20:21], v[10:11], a[0:3]
	v_exp_f32_e32 v16, v5
	v_exp_f32_e32 v2, v2
	;; [unrolled: 1-line block ×3, first 2 shown]
	v_pk_mul_f32 v[6:7], v[0:1], v[16:17] op_sel_hi:[0,1]
	v_pk_mul_f32 v[2:3], v[0:1], v[2:3] op_sel_hi:[0,1]
	s_nop 1
	v_accvgpr_read_b32 v9, a1
	v_accvgpr_read_b32 v5, a3
	;; [unrolled: 1-line block ×4, first 2 shown]
	v_pk_fma_f32 v[50:51], v[50:51], v[6:7], v[8:9]
	v_pk_fma_f32 v[48:49], v[48:49], v[2:3], v[4:5]
	v_mov_b32_e32 v2, v26
.LBB605_77:
	s_lshl_b64 s[0:1], s[28:29], 15
	s_add_u32 s0, s34, s0
	v_lshlrev_b32_e32 v2, 7, v2
	s_addc_u32 s1, s35, s1
	v_ashrrev_i32_e32 v3, 31, v2
	v_lshl_add_u64 v[2:3], v[2:3], 1, s[0:1]
	v_lshlrev_b32_e32 v0, 1, v1
	v_mov_b32_e32 v1, 0
	s_mov_b32 s0, 0x7060302
	v_lshl_add_u64 v[0:1], v[2:3], 0, v[0:1]
	v_perm_b32 v3, v53, v52, s0
	v_perm_b32 v2, v47, v46, s0
	global_store_dwordx2 v[0:1], v[2:3], off
	v_perm_b32 v3, v49, v48, s0
	v_perm_b32 v2, v51, v50, s0
	global_store_dwordx2 v[0:1], v[2:3], off offset:128
	s_endpgm
	.section	.rodata,"a",@progbits
	.p2align	6, 0x0
	.amdhsa_kernel _ZN12_GLOBAL__N_139chunk_gated_delta_rule_fwd_h_hip_kernelILi16ELb0ELb1ELb1ELb0ELb0ELb1ELb0ELb1EEEvPK12hip_bfloat16S3_S3_PKfS5_PKvPS1_S8_PvPKiSB_iiiiilll
		.amdhsa_group_segment_fixed_size 40960
		.amdhsa_private_segment_fixed_size 0
		.amdhsa_kernarg_size 136
		.amdhsa_user_sgpr_count 2
		.amdhsa_user_sgpr_dispatch_ptr 0
		.amdhsa_user_sgpr_queue_ptr 0
		.amdhsa_user_sgpr_kernarg_segment_ptr 1
		.amdhsa_user_sgpr_dispatch_id 0
		.amdhsa_user_sgpr_kernarg_preload_length 0
		.amdhsa_user_sgpr_kernarg_preload_offset 0
		.amdhsa_user_sgpr_private_segment_size 0
		.amdhsa_uses_dynamic_stack 0
		.amdhsa_enable_private_segment 0
		.amdhsa_system_sgpr_workgroup_id_x 1
		.amdhsa_system_sgpr_workgroup_id_y 1
		.amdhsa_system_sgpr_workgroup_id_z 0
		.amdhsa_system_sgpr_workgroup_info 0
		.amdhsa_system_vgpr_workitem_id 0
		.amdhsa_next_free_vgpr 128
		.amdhsa_next_free_sgpr 70
		.amdhsa_accum_offset 116
		.amdhsa_reserve_vcc 1
		.amdhsa_float_round_mode_32 0
		.amdhsa_float_round_mode_16_64 0
		.amdhsa_float_denorm_mode_32 3
		.amdhsa_float_denorm_mode_16_64 3
		.amdhsa_dx10_clamp 1
		.amdhsa_ieee_mode 1
		.amdhsa_fp16_overflow 0
		.amdhsa_tg_split 0
		.amdhsa_exception_fp_ieee_invalid_op 0
		.amdhsa_exception_fp_denorm_src 0
		.amdhsa_exception_fp_ieee_div_zero 0
		.amdhsa_exception_fp_ieee_overflow 0
		.amdhsa_exception_fp_ieee_underflow 0
		.amdhsa_exception_fp_ieee_inexact 0
		.amdhsa_exception_int_div_zero 0
	.end_amdhsa_kernel
	.section	.text._ZN12_GLOBAL__N_139chunk_gated_delta_rule_fwd_h_hip_kernelILi16ELb0ELb1ELb1ELb0ELb0ELb1ELb0ELb1EEEvPK12hip_bfloat16S3_S3_PKfS5_PKvPS1_S8_PvPKiSB_iiiiilll,"axG",@progbits,_ZN12_GLOBAL__N_139chunk_gated_delta_rule_fwd_h_hip_kernelILi16ELb0ELb1ELb1ELb0ELb0ELb1ELb0ELb1EEEvPK12hip_bfloat16S3_S3_PKfS5_PKvPS1_S8_PvPKiSB_iiiiilll,comdat
.Lfunc_end605:
	.size	_ZN12_GLOBAL__N_139chunk_gated_delta_rule_fwd_h_hip_kernelILi16ELb0ELb1ELb1ELb0ELb0ELb1ELb0ELb1EEEvPK12hip_bfloat16S3_S3_PKfS5_PKvPS1_S8_PvPKiSB_iiiiilll, .Lfunc_end605-_ZN12_GLOBAL__N_139chunk_gated_delta_rule_fwd_h_hip_kernelILi16ELb0ELb1ELb1ELb0ELb0ELb1ELb0ELb1EEEvPK12hip_bfloat16S3_S3_PKfS5_PKvPS1_S8_PvPKiSB_iiiiilll
                                        ; -- End function
	.section	.AMDGPU.csdata,"",@progbits
; Kernel info:
; codeLenInByte = 8476
; NumSgprs: 76
; NumVgprs: 116
; NumAgprs: 12
; TotalNumVgprs: 128
; ScratchSize: 0
; MemoryBound: 0
; FloatMode: 240
; IeeeMode: 1
; LDSByteSize: 40960 bytes/workgroup (compile time only)
; SGPRBlocks: 9
; VGPRBlocks: 15
; NumSGPRsForWavesPerEU: 76
; NumVGPRsForWavesPerEU: 128
; AccumOffset: 116
; Occupancy: 1
; WaveLimiterHint : 1
; COMPUTE_PGM_RSRC2:SCRATCH_EN: 0
; COMPUTE_PGM_RSRC2:USER_SGPR: 2
; COMPUTE_PGM_RSRC2:TRAP_HANDLER: 0
; COMPUTE_PGM_RSRC2:TGID_X_EN: 1
; COMPUTE_PGM_RSRC2:TGID_Y_EN: 1
; COMPUTE_PGM_RSRC2:TGID_Z_EN: 0
; COMPUTE_PGM_RSRC2:TIDIG_COMP_CNT: 0
; COMPUTE_PGM_RSRC3_GFX90A:ACCUM_OFFSET: 28
; COMPUTE_PGM_RSRC3_GFX90A:TG_SPLIT: 0
	.section	.text._ZN12_GLOBAL__N_139chunk_gated_delta_rule_fwd_h_hip_kernelILi16ELb0ELb1ELb0ELb0ELb0ELb1ELb0ELb1EEEvPK12hip_bfloat16S3_S3_PKfS5_PKvPS1_S8_PvPKiSB_iiiiilll,"axG",@progbits,_ZN12_GLOBAL__N_139chunk_gated_delta_rule_fwd_h_hip_kernelILi16ELb0ELb1ELb0ELb0ELb0ELb1ELb0ELb1EEEvPK12hip_bfloat16S3_S3_PKfS5_PKvPS1_S8_PvPKiSB_iiiiilll,comdat
	.globl	_ZN12_GLOBAL__N_139chunk_gated_delta_rule_fwd_h_hip_kernelILi16ELb0ELb1ELb0ELb0ELb0ELb1ELb0ELb1EEEvPK12hip_bfloat16S3_S3_PKfS5_PKvPS1_S8_PvPKiSB_iiiiilll ; -- Begin function _ZN12_GLOBAL__N_139chunk_gated_delta_rule_fwd_h_hip_kernelILi16ELb0ELb1ELb0ELb0ELb0ELb1ELb0ELb1EEEvPK12hip_bfloat16S3_S3_PKfS5_PKvPS1_S8_PvPKiSB_iiiiilll
	.p2align	8
	.type	_ZN12_GLOBAL__N_139chunk_gated_delta_rule_fwd_h_hip_kernelILi16ELb0ELb1ELb0ELb0ELb0ELb1ELb0ELb1EEEvPK12hip_bfloat16S3_S3_PKfS5_PKvPS1_S8_PvPKiSB_iiiiilll,@function
_ZN12_GLOBAL__N_139chunk_gated_delta_rule_fwd_h_hip_kernelILi16ELb0ELb1ELb0ELb0ELb0ELb1ELb0ELb1EEEvPK12hip_bfloat16S3_S3_PKfS5_PKvPS1_S8_PvPKiSB_iiiiilll: ; @_ZN12_GLOBAL__N_139chunk_gated_delta_rule_fwd_h_hip_kernelILi16ELb0ELb1ELb0ELb0ELb0ELb1ELb0ELb1EEEvPK12hip_bfloat16S3_S3_PKfS5_PKvPS1_S8_PvPKiSB_iiiiilll
; %bb.0:
	s_load_dwordx4 s[12:15], s[0:1], 0x5c
	s_load_dwordx4 s[16:19], s[0:1], 0x70
	s_abs_i32 s22, s3
	s_ashr_i32 s21, s3, 31
	s_load_dwordx8 s[4:11], s[0:1], 0x0
	s_load_dwordx2 s[30:31], s[0:1], 0x20
	s_waitcnt lgkmcnt(0)
	s_abs_i32 s20, s13
	v_cvt_f32_u32_e32 v1, s20
	s_sub_i32 s24, 0, s20
	s_ashr_i32 s23, s13, 31
	s_xor_b32 s21, s21, s23
	v_rcp_iflag_f32_e32 v1, v1
	s_load_dwordx2 s[28:29], s[0:1], 0x40
	s_load_dwordx2 s[38:39], s[0:1], 0x30
	;; [unrolled: 1-line block ×3, first 2 shown]
	v_lshrrev_b32_e32 v45, 6, v0
	v_mul_f32_e32 v1, 0x4f7ffffe, v1
	v_cvt_u32_f32_e32 v1, v1
	v_bfe_u32 v60, v0, 4, 2
	v_lshlrev_b32_e32 v58, 4, v45
	v_lshlrev_b32_e32 v2, 2, v60
	v_readfirstlane_b32 s25, v1
	s_mul_i32 s24, s24, s25
	s_mul_hi_u32 s24, s25, s24
	s_add_i32 s25, s25, s24
	s_mul_hi_u32 s24, s22, s25
	s_mul_i32 s25, s24, s20
	s_sub_i32 s22, s22, s25
	s_add_i32 s25, s24, 1
	s_sub_i32 s26, s22, s20
	s_cmp_ge_u32 s22, s20
	s_cselect_b32 s24, s25, s24
	s_cselect_b32 s22, s26, s22
	s_add_i32 s25, s24, 1
	s_cmp_ge_u32 s22, s20
	s_cselect_b32 s22, s25, s24
	s_xor_b32 s22, s22, s21
	s_sub_i32 s50, s22, s21
	s_abs_i32 s21, s14
	v_cvt_f32_u32_e32 v1, s21
	s_ashr_i32 s49, s12, 31
	s_lshr_b32 s22, s49, 26
	s_add_i32 s22, s12, s22
	v_rcp_iflag_f32_e32 v1, v1
	s_ashr_i32 s52, s14, 31
	s_ashr_i32 s51, s22, 6
	s_xor_b32 s22, s23, s52
	v_mul_f32_e32 v1, 0x4f7ffffe, v1
	v_cvt_u32_f32_e32 v1, v1
	s_sub_i32 s23, 0, s21
	s_mul_i32 s48, s50, s13
	s_sub_i32 s33, s3, s48
	v_readfirstlane_b32 s24, v1
	s_mul_i32 s23, s23, s24
	s_mul_hi_u32 s23, s24, s23
	s_add_i32 s24, s24, s23
	s_mul_hi_u32 s23, s20, s24
	s_mul_i32 s24, s23, s21
	s_sub_i32 s20, s20, s24
	s_add_i32 s3, s12, 63
	s_add_i32 s24, s23, 1
	s_sub_i32 s25, s20, s21
	s_cmp_ge_u32 s20, s21
	s_cselect_b32 s23, s24, s23
	s_cselect_b32 s20, s25, s20
	s_add_i32 s24, s23, 1
	s_cmp_ge_u32 s20, s21
	s_cselect_b32 s20, s24, s23
	s_xor_b32 s20, s20, s22
	s_sub_i32 s20, s20, s22
	s_abs_i32 s21, s20
	v_cvt_f32_u32_e32 v1, s21
	s_xor_b32 s0, s33, s20
	s_sub_i32 s20, 0, s21
	s_abs_i32 s1, s33
	v_rcp_iflag_f32_e32 v1, v1
	s_ashr_i32 s0, s0, 31
	v_and_b32_e32 v59, 63, v0
	v_mov_b32_e32 v49, 0
	v_mul_f32_e32 v1, 0x4f7ffffe, v1
	v_cvt_u32_f32_e32 v1, v1
	s_mul_i32 s46, s50, s12
	v_and_b32_e32 v61, 15, v0
	s_mul_hi_i32 s54, s50, s13
	v_readfirstlane_b32 s22, v1
	s_mul_i32 s20, s20, s22
	s_mul_hi_u32 s20, s22, s20
	s_add_i32 s22, s22, s20
	s_mul_hi_u32 s20, s1, s22
	s_mul_i32 s22, s20, s21
	s_sub_i32 s1, s1, s22
	s_add_i32 s22, s20, 1
	s_sub_i32 s23, s1, s21
	s_cmp_ge_u32 s1, s21
	s_cselect_b32 s20, s22, s20
	s_cselect_b32 s1, s23, s1
	s_add_i32 s22, s20, 1
	s_cmp_ge_u32 s1, s21
	s_cselect_b32 s1, s22, s20
	s_xor_b32 s1, s1, s0
	s_sub_i32 s55, s1, s0
	s_ashr_i32 s0, s3, 31
	s_lshr_b32 s0, s0, 26
	s_add_i32 s3, s3, s0
	v_or_b32_e32 v1, v2, v58
	s_ashr_i32 s0, s3, 6
	s_lshl_b32 s2, s2, 4
	s_mul_i32 s53, s50, s0
	v_or_b32_e32 v64, 64, v1
	s_cmp_lt_i32 s12, 64
	v_lshrrev_b32_e32 v63, 3, v59
	v_lshlrev_b32_e32 v62, 3, v0
	s_mul_i32 s17, s50, s17
	s_mul_hi_u32 s47, s50, s16
	s_mul_i32 s36, s50, s16
	v_mov_b32_e32 v48, v49
	v_mov_b32_e32 v51, v49
	;; [unrolled: 1-line block ×7, first 2 shown]
	s_cbranch_scc1 .LBB606_18
; %bb.1:
	s_ashr_i32 s3, s50, 31
	s_ashr_i32 s57, s33, 31
	s_add_u32 s0, s48, s33
	s_addc_u32 s1, s54, s57
	s_mul_i32 s1, s12, s1
	s_mul_hi_u32 s20, s12, s0
	s_add_i32 s41, s20, s1
	s_mul_i32 s40, s12, s0
	s_lshl_b64 s[0:1], s[40:41], 8
	v_and_b32_e32 v66, 56, v62
	s_add_u32 s20, s6, s0
	v_lshl_or_b32 v65, v45, 3, v63
	v_lshlrev_b32_e32 v3, 1, v66
	s_addc_u32 s0, s7, s1
	v_lshl_or_b32 v67, v65, 8, v3
	s_and_b32 s21, s0, 0xffff
	s_mov_b32 s23, 0x20000
	s_movk_i32 s22, 0x4000
	s_movk_i32 s0, 0x80
	v_or_b32_e32 v68, 0x2000, v67
	buffer_load_dwordx4 v[4:7], v67, s[20:23], 0 offen
	buffer_load_dwordx4 v[8:11], v67, s[20:23], s0 offen
	;; [unrolled: 1-line block ×4, first 2 shown]
	v_lshlrev_b32_e32 v20, 3, v65
	v_and_or_b32 v22, v0, 7, v20
	v_and_b32_e32 v20, 0x78, v20
	v_lshlrev_b32_e32 v22, 4, v22
	v_xor_b32_e32 v69, v22, v20
	v_mul_lo_u32 v21, v65, s15
	v_or_b32_e32 v70, 0x1000, v69
	s_cmpk_eq_i32 s15, 0x80
	s_mov_b32 s56, s14
	v_xor_b32_e32 v20, 8, v69
	v_xor_b32_e32 v22, 8, v70
	s_cselect_b64 s[0:1], -1, 0
	s_cmpk_lg_i32 s15, 0x80
	s_waitcnt vmcnt(3)
	ds_write_b64 v69, v[4:5] offset:16384
	ds_write_b64 v20, v[6:7] offset:16384
	s_waitcnt vmcnt(2)
	ds_write_b64 v69, v[8:9] offset:24576
	ds_write_b64 v20, v[10:11] offset:24576
	;; [unrolled: 3-line block ×4, first 2 shown]
	v_lshl_add_u32 v4, v21, 1, v66
	s_cbranch_scc0 .LBB606_3
; %bb.2:
	v_lshlrev_b32_e32 v6, 1, v4
	v_add_lshl_u32 v5, v4, s15, 1
	s_lshl_b32 s22, s15, 7
	v_lshl_or_b32 v3, v65, 9, v3
	s_cbranch_execz .LBB606_4
	s_branch .LBB606_5
.LBB606_3:
                                        ; implicit-def: $vgpr5
                                        ; implicit-def: $vgpr6
                                        ; implicit-def: $sgpr22
	v_lshl_or_b32 v3, v65, 9, v3
.LBB606_4:
	v_or_b32_e32 v5, 0x100, v3
	s_movk_i32 s22, 0x4000
	v_mov_b32_e32 v6, v3
.LBB606_5:
	s_mul_hi_u32 s20, s14, s12
	s_mul_i32 s21, s52, s12
	s_add_i32 s20, s20, s21
	s_mul_i32 s21, s14, s12
	s_mul_i32 s23, s21, s3
	s_mul_hi_u32 s24, s21, s50
	s_add_i32 s23, s24, s23
	s_mul_i32 s20, s20, s50
	s_add_i32 s23, s23, s20
	s_mul_i32 s21, s21, s50
	s_ashr_i32 s58, s55, 31
	s_add_u32 s20, s21, s55
	s_addc_u32 s21, s23, s58
	s_lshl_b64 s[20:21], s[20:21], 8
	s_add_u32 s20, s4, s20
	s_addc_u32 s21, s5, s21
	s_and_b32 s21, s21, 0xffff
	s_mov_b32 s23, 0x20000
	s_movk_i32 s59, 0x80
	buffer_load_dwordx4 v[8:11], v6, s[20:23], 0 offen
	buffer_load_dwordx4 v[12:15], v6, s[20:23], s59 offen
	;; [unrolled: 1-line block ×4, first 2 shown]
	v_and_b32_e32 v5, 6, v0
	s_mul_i32 s20, s3, s12
	s_mul_hi_u32 s21, s50, s12
	v_lshlrev_b32_e32 v7, 2, v61
	v_lshlrev_b32_e32 v24, 3, v61
	v_xor_b32_e32 v26, v65, v5
	v_and_b32_e32 v6, 1, v0
	s_mul_i32 s3, s3, s16
	v_lshl_or_b32 v24, v1, 5, v24
	v_xor_b32_e32 v27, v1, v7
	v_lshlrev_b32_e32 v26, 2, v26
	s_add_i32 s63, s21, s20
	s_add_i32 s20, s47, s17
	s_mul_i32 s24, s33, s19
	v_or_b32_e32 v71, 0x9000, v24
	v_or_b32_e32 v72, 0x9800, v24
	v_lshlrev_b32_e32 v24, 1, v27
	v_xor_b32_e32 v27, 0x440, v26
	v_cmp_eq_u32_e32 vcc, 0, v6
	s_add_i32 s37, s20, s3
	s_mul_hi_u32 s3, s33, s18
	v_cndmask_b32_e32 v6, v27, v26, vcc
	s_add_i32 s3, s3, s24
	s_mul_i32 s20, s57, s18
	s_mov_b32 s61, 0x1000504
	v_lshlrev_b32_e32 v25, 8, v61
	s_mov_b32 s22, 0x8000
	v_xor_b32_e32 v7, v64, v7
	v_lshl_or_b32 v5, v5, 10, v6
	s_add_i32 s21, s3, s20
	s_lshl_b64 s[24:25], s[36:37], 2
	s_mov_b32 s62, 0x3020706
	v_lshlrev_b32_e32 v7, 1, v7
	v_or3_b32 v73, v24, v25, s22
	v_xor_b32_e32 v6, 8, v5
	v_xor_b32_e32 v24, 24, v5
	;; [unrolled: 1-line block ×4, first 2 shown]
	s_mul_i32 s20, s33, s18
	s_add_u32 s3, s10, s24
	v_or3_b32 v74, v7, v25, s22
	v_xor_b32_e32 v7, 16, v5
	v_xor_b32_e32 v25, 32, v5
	;; [unrolled: 1-line block ×3, first 2 shown]
	v_add_u32_e32 v6, 0x80, v6
	v_add_u32_e32 v24, 0x80, v24
	;; [unrolled: 1-line block ×4, first 2 shown]
	s_addc_u32 s24, s11, s25
	s_lshl_b64 s[20:21], s[20:21], 2
	s_add_u32 s42, s3, s20
	s_movk_i32 s3, 0xf8
	s_addc_u32 s43, s24, s21
	s_lshl_b32 s26, s15, 7
	v_mov_b32_e32 v47, 0
	s_mov_b32 s60, 0
	v_add_u32_e32 v85, v58, v2
	s_mov_b32 s37, 0x7060302
	v_mov_b32_e32 v96, 0x3fb8aa3b
	s_mov_b32 s65, 0
	v_mov_b32_e32 v52, v47
	v_mov_b32_e32 v53, v47
	;; [unrolled: 1-line block ×6, first 2 shown]
	s_waitcnt vmcnt(1)
	v_perm_b32 v29, v8, v16, s61
	s_waitcnt vmcnt(0)
	v_perm_b32 v30, v12, v20, s61
	v_perm_b32 v8, v8, v16, s62
	;; [unrolled: 1-line block ×15, first 2 shown]
	ds_write2st64_b32 v5, v29, v30 offset1:32
	ds_write2st64_b32 v6, v8, v12 offset1:32
	ds_write2st64_b32 v7, v16, v20 offset0:1 offset1:33
	ds_write2st64_b32 v24, v9, v13 offset0:1 offset1:33
	;; [unrolled: 1-line block ×6, first 2 shown]
	v_or_b32_e32 v5, v58, v61
	v_lshlrev_b32_e32 v5, 3, v5
	v_lshrrev_b32_e32 v7, 5, v59
	v_and_or_b32 v7, v5, s3, v7
	v_lshlrev_b32_e32 v7, 4, v7
	v_lshrrev_b32_e32 v6, 2, v59
	v_lshlrev_b32_e32 v9, 11, v45
	v_and_b32_e32 v5, 0x78, v5
	v_or_b32_e32 v12, 32, v7
	v_and_b32_e32 v8, 12, v6
	v_and_b32_e32 v6, 0x1000, v9
	v_lshrrev_b32_e32 v11, 1, v59
	v_xor_b32_e32 v12, v12, v5
	v_and_b32_e32 v11, 8, v11
	v_or_b32_e32 v12, v12, v6
	v_xor_b32_e32 v10, v7, v5
	v_xor_b32_e32 v77, v12, v11
	v_or_b32_e32 v12, 64, v7
	v_or_b32_e32 v7, 0x60, v7
	;; [unrolled: 1-line block ×3, first 2 shown]
	v_xor_b32_e32 v12, v12, v5
	v_xor_b32_e32 v5, v7, v5
	;; [unrolled: 1-line block ×3, first 2 shown]
	v_and_b32_e32 v10, 0x78, v62
	v_or_b32_e32 v5, v5, v6
	v_lshl_or_b32 v10, v60, 7, v10
	v_or_b32_e32 v12, v12, v6
	v_xor_b32_e32 v79, v5, v11
	s_ashr_i32 s3, s2, 31
	v_lshlrev_b32_e32 v5, 1, v61
	v_or_b32_e32 v76, 0x9000, v10
	v_xor_b32_e32 v78, v12, v11
	v_or_b32_e32 v80, 0x9800, v10
	v_lshlrev_b32_e32 v10, 1, v4
	v_add_lshl_u32 v11, v4, s15, 1
	v_lshrrev_b32_e32 v4, 4, v0
	s_lshl_b64 s[20:21], s[2:3], 8
	v_or_b32_e32 v13, 1, v5
	s_waitcnt lgkmcnt(0)
	s_add_u32 s20, s38, s20
	v_xor_b32_e32 v5, v4, v5
	v_xor_b32_e32 v13, v13, v4
	s_addc_u32 s21, s39, s21
	v_lshlrev_b32_e32 v5, 3, v5
	v_lshlrev_b32_e32 v46, 8, v4
	;; [unrolled: 1-line block ×3, first 2 shown]
	v_lshrrev_b32_e32 v17, 1, v0
	v_or3_b32 v81, v5, v46, s22
	v_or3_b32 v82, v4, v46, s22
	v_lshl_add_u64 v[4:5], s[20:21], 0, v[46:47]
	v_lshlrev_b32_e32 v46, 4, v61
	s_movk_i32 s3, 0xff
	v_lshlrev_b32_e32 v16, 3, v45
	v_and_b32_e32 v17, 24, v17
	v_lshl_add_u64 v[54:55], v[4:5], 0, v[46:47]
	v_and_b32_e32 v5, 8, v0
	v_cmp_lt_u32_e32 vcc, s3, v0
	v_xor_b32_e32 v18, v16, v17
	v_or_b32_e32 v19, 0x440, v18
	v_cndmask_b32_e64 v15, 0, 1, vcc
	v_cmp_eq_u32_e32 vcc, 0, v5
	v_or_b32_e32 v21, 64, v17
	v_xor_b32_e32 v21, v16, v21
	v_cndmask_b32_e32 v5, v19, v18, vcc
	v_or_b32_e32 v19, 32, v17
	v_or_b32_e32 v17, 0x60, v17
	v_xor_b32_e32 v19, v16, v19
	v_xor_b32_e32 v16, v16, v17
	v_or_b32_e32 v20, 0x440, v19
	v_xor_b32_e32 v22, 0x440, v21
	v_xor_b32_e32 v17, 0x440, v16
	v_and_b32_e32 v4, 7, v0
	v_cndmask_b32_e32 v19, v20, v19, vcc
	v_cndmask_b32_e32 v21, v22, v21, vcc
	;; [unrolled: 1-line block ×3, first 2 shown]
	v_or_b32_e32 v6, s2, v61
	v_lshlrev_b32_e32 v13, 3, v4
	v_or_b32_e32 v5, v5, v9
	v_or_b32_e32 v19, v19, v9
	;; [unrolled: 1-line block ×4, first 2 shown]
	v_ashrrev_i32_e32 v7, 31, v6
	v_lshlrev_b32_e32 v15, 13, v15
	v_xor_b32_e32 v5, v5, v13
	v_xor_b32_e32 v19, v19, v13
	;; [unrolled: 1-line block ×4, first 2 shown]
	v_lshl_add_u64 v[6:7], v[6:7], 1, s[8:9]
	v_or_b32_e32 v12, 0x100, v3
	v_lshlrev_b32_e32 v14, 7, v4
	v_or_b32_e32 v4, v8, v58
	v_add_u32_e32 v18, v15, v5
	v_add_u32_e32 v20, v15, v19
	;; [unrolled: 1-line block ×4, first 2 shown]
	v_or3_b32 v8, v58, v8, 64
	v_add_u32_e32 v5, 0x2000, v5
	v_add_u32_e32 v15, 0x2000, v19
	;; [unrolled: 1-line block ×4, first 2 shown]
	v_lshlrev_b32_e32 v46, 8, v1
	v_cndmask_b32_e64 v83, v10, v3, s[0:1]
	v_cndmask_b32_e64 v84, v11, v12, s[0:1]
	v_lshl_add_u64 v[56:57], v[6:7], 0, v[46:47]
	s_add_i32 s3, s46, 63
	s_movk_i32 s22, 0x4000
	v_lshlrev_b32_e32 v86, 2, v4
	v_add_u32_e32 v87, v18, v14
	v_add_u32_e32 v88, v20, v14
	;; [unrolled: 1-line block ×4, first 2 shown]
	v_lshlrev_b32_e32 v91, 2, v8
	v_add_u32_e32 v92, v5, v14
	v_add_u32_e32 v93, v15, v14
	;; [unrolled: 1-line block ×4, first 2 shown]
	v_mov_b32_e32 v46, v47
	s_barrier
.LBB606_6:                              ; =>This Inner Loop Header: Depth=1
	s_add_i32 s64, s65, 1
	s_cmp_lt_i32 s64, s51
	s_mov_b64 s[24:25], 0
	s_cselect_b64 s[44:45], -1, 0
	s_cmp_ge_i32 s64, s51
	s_mov_b64 s[20:21], 0
	s_cbranch_scc1 .LBB606_8
; %bb.7:                                ;   in Loop: Header=BB606_6 Depth=1
	s_add_i32 s0, s60, 64
	s_add_u32 s0, s40, s0
	s_addc_u32 s1, s41, 0
	s_lshl_b64 s[0:1], s[0:1], 8
	s_add_u32 s20, s6, s0
	s_addc_u32 s21, s7, s1
.LBB606_8:                              ;   in Loop: Header=BB606_6 Depth=1
	v_cndmask_b32_e64 v2, 0, 1, s[44:45]
	v_cmp_ne_u32_e64 s[0:1], 1, v2
	s_andn2_b64 vcc, exec, s[44:45]
	s_cbranch_vccnz .LBB606_10
; %bb.9:                                ;   in Loop: Header=BB606_6 Depth=1
	s_add_i32 s24, s60, 64
	s_add_u32 s24, s46, s24
	s_addc_u32 s25, s63, 0
	s_mul_i32 s27, s24, s52
	s_mul_hi_u32 s44, s24, s56
	s_add_i32 s27, s44, s27
	s_mul_i32 s25, s25, s56
	s_add_i32 s27, s27, s25
	s_mul_i32 s24, s24, s56
	s_add_u32 s24, s24, s55
	s_addc_u32 s25, s27, s58
	s_lshl_b64 s[24:25], s[24:25], 8
	s_add_u32 s24, s4, s24
	s_addc_u32 s25, s5, s25
.LBB606_10:                             ;   in Loop: Header=BB606_6 Depth=1
	v_perm_b32 v3, v53, v52, s37
	v_perm_b32 v2, v47, v46, s37
	v_perm_b32 v5, v49, v48, s37
	v_perm_b32 v4, v51, v50, s37
	ds_write_b64 v71, v[2:3]
	ds_write_b64 v72, v[4:5]
	;; [unrolled: 1-line block ×4, first 2 shown]
	s_waitcnt lgkmcnt(0)
	s_barrier
	ds_read_b64 v[10:11], v75 offset:16384
	ds_read_b64 v[12:13], v77 offset:16384
	ds_read2st64_b64 v[2:5], v76 offset1:1
	ds_read2st64_b64 v[6:9], v76 offset0:2 offset1:3
	ds_read_b64 v[14:15], v78 offset:16384
	s_waitcnt lgkmcnt(2)
	v_mfma_f32_16x16x16_bf16 a[0:3], v[10:11], v[2:3], 0
	ds_read_b64 v[2:3], v79 offset:16384
	s_add_i32 s27, s60, 63
	s_mul_i32 s44, s27, s35
	v_mfma_f32_16x16x16_bf16 a[0:3], v[12:13], v[4:5], a[0:3]
	s_mul_hi_u32 s45, s27, s34
	s_add_i32 s45, s45, s44
	s_mul_i32 s44, s27, s34
	s_waitcnt lgkmcnt(1)
	v_mfma_f32_16x16x16_bf16 a[0:3], v[14:15], v[6:7], a[0:3]
	s_lshl_b64 s[44:45], s[44:45], 2
	s_add_u32 s44, s42, s44
	s_addc_u32 s45, s43, s45
	s_waitcnt lgkmcnt(0)
	v_mfma_f32_16x16x16_bf16 a[0:3], v[2:3], v[8:9], a[0:3]
	s_and_b64 vcc, exec, s[0:1]
	v_mov_b32_e32 v99, 0
	v_mov_b32_e32 v98, 0
	v_mov_b32_e32 v97, 0
	v_mov_b32_e32 v2, 0
	v_mov_b32_e32 v3, 0
	v_mov_b32_e32 v4, 0
	v_mov_b32_e32 v5, 0
	v_mov_b32_e32 v6, 0
	v_mov_b32_e32 v7, 0
	v_mov_b32_e32 v8, 0
	v_mov_b32_e32 v9, 0
	v_mov_b32_e32 v10, 0
	v_mov_b32_e32 v11, 0
	v_mov_b32_e32 v12, 0
	v_mov_b32_e32 v13, 0
	v_mov_b32_e32 v14, 0
	v_mov_b32_e32 v15, 0
	v_mov_b32_e32 v16, 0
	v_mov_b32_e32 v17, 0
	s_cbranch_vccnz .LBB606_12
; %bb.11:                               ;   in Loop: Header=BB606_6 Depth=1
	s_and_b32 s21, s21, 0xffff
	buffer_load_dwordx4 v[14:17], v67, s[20:23], 0 offen
	buffer_load_dwordx4 v[10:13], v67, s[20:23], s59 offen
	;; [unrolled: 1-line block ×4, first 2 shown]
	v_mov_b32_e32 v98, v69
	v_mov_b32_e32 v97, v70
.LBB606_12:                             ;   in Loop: Header=BB606_6 Depth=1
	v_add_u32_e32 v24, s60, v85
	v_ashrrev_i32_e32 v18, 31, v24
	v_mul_lo_u32 v20, v18, s34
	v_mul_lo_u32 v21, v24, s35
	v_mad_u64_u32 v[18:19], s[20:21], v24, s34, 0
	v_add3_u32 v19, v19, v21, v20
	v_add_u32_e32 v20, 1, v24
	v_ashrrev_i32_e32 v21, 31, v20
	v_mul_lo_u32 v22, v21, s34
	v_mul_lo_u32 v23, v20, s35
	v_mad_u64_u32 v[20:21], s[20:21], v20, s34, 0
	v_add3_u32 v21, v21, v23, v22
	v_add_u32_e32 v22, 2, v24
	v_ashrrev_i32_e32 v23, 31, v22
	v_mul_lo_u32 v25, v23, s34
	v_mul_lo_u32 v26, v22, s35
	v_mad_u64_u32 v[22:23], s[20:21], v22, s34, 0
	v_add_u32_e32 v24, 3, v24
	v_add3_u32 v23, v23, v26, v25
	v_ashrrev_i32_e32 v25, 31, v24
	v_mul_lo_u32 v28, v25, s34
	v_mul_lo_u32 v29, v24, s35
	v_mad_u64_u32 v[24:25], s[20:21], v24, s34, 0
	s_add_u32 s20, s40, s60
	s_addc_u32 s21, s41, 0
	s_lshl_b64 s[20:21], s[20:21], 8
	v_lshl_add_u64 v[18:19], v[18:19], 2, s[42:43]
	v_lshl_add_u64 v[20:21], v[20:21], 2, s[42:43]
	;; [unrolled: 1-line block ×3, first 2 shown]
	v_add3_u32 v25, v25, v29, v28
	v_lshl_add_u64 v[22:23], v[22:23], 2, s[42:43]
	global_load_ushort v38, v[26:27], off
	global_load_ushort v39, v[26:27], off offset:256
	global_load_ushort v40, v[26:27], off offset:512
	;; [unrolled: 1-line block ×3, first 2 shown]
	global_load_dword v42, v[18:19], off
	v_lshl_add_u64 v[18:19], v[24:25], 2, s[42:43]
	global_load_dword v43, v[20:21], off
	global_load_dword v44, v[22:23], off
	;; [unrolled: 1-line block ×3, first 2 shown]
	s_load_dword s20, s[44:45], 0x0
	ds_read2st64_b64 v[24:27], v80 offset1:1
	ds_read2st64_b64 v[28:31], v80 offset0:2 offset1:3
	ds_read_b64 v[22:23], v75 offset:24576
	ds_read_b64 v[32:33], v77 offset:24576
	;; [unrolled: 1-line block ×4, first 2 shown]
	s_waitcnt lgkmcnt(0)
	v_mfma_f32_16x16x16_bf16 a[0:3], v[22:23], v[24:25], a[0:3]
	v_mov_b32_e32 v100, 0
	v_mov_b32_e32 v18, 0
	v_mov_b32_e32 v19, 0
	v_mfma_f32_16x16x16_bf16 a[0:3], v[32:33], v[26:27], a[0:3]
	v_mov_b32_e32 v20, 0
	v_mov_b32_e32 v21, 0
	v_mov_b32_e32 v22, 0
	;; [unrolled: 4-line block ×4, first 2 shown]
	v_mov_b32_e32 v29, 0
	s_and_b64 vcc, exec, s[0:1]
	s_waitcnt vmcnt(7)
	v_lshlrev_b32_e32 v34, 16, v38
	s_waitcnt vmcnt(6)
	v_lshlrev_b32_e32 v35, 16, v39
	;; [unrolled: 2-line block ×4, first 2 shown]
	s_waitcnt vmcnt(3)
	v_sub_f32_e32 v38, s20, v42
	s_waitcnt vmcnt(2)
	v_sub_f32_e32 v39, s20, v43
	;; [unrolled: 2-line block ×4, first 2 shown]
	v_mul_f32_e32 v38, 0x3fb8aa3b, v38
	v_mul_f32_e32 v39, 0x3fb8aa3b, v39
	;; [unrolled: 1-line block ×4, first 2 shown]
	v_exp_f32_e32 v38, v38
	v_exp_f32_e32 v39, v39
	;; [unrolled: 1-line block ×4, first 2 shown]
	v_accvgpr_read_b32 v33, a1
	v_accvgpr_read_b32 v31, a3
	;; [unrolled: 1-line block ×4, first 2 shown]
	v_pk_add_f32 v[32:33], v[34:35], v[32:33] neg_lo:[0,1] neg_hi:[0,1]
	v_pk_add_f32 v[30:31], v[36:37], v[30:31] neg_lo:[0,1] neg_hi:[0,1]
	v_pk_mul_f32 v[32:33], v[38:39], v[32:33]
	v_pk_mul_f32 v[30:31], v[40:41], v[30:31]
	s_nop 0
	v_perm_b32 v31, v31, v30, s37
	v_perm_b32 v30, v33, v32, s37
	ds_write_b64 v72, v[30:31]
	v_mov_b32_e32 v30, 0
	v_mov_b32_e32 v31, 0
	;; [unrolled: 1-line block ×4, first 2 shown]
	s_cbranch_vccnz .LBB606_14
; %bb.13:                               ;   in Loop: Header=BB606_6 Depth=1
	s_and_b32 s25, s25, 0xffff
	s_mov_b32 s27, s23
	buffer_load_dwordx4 v[30:33], v83, s[24:27], 0 offen
	buffer_load_dwordx4 v[22:25], v83, s[24:27], s59 offen
	buffer_load_dwordx4 v[26:29], v84, s[24:27], 0 offen
	buffer_load_dwordx4 v[18:21], v84, s[24:27], s59 offen
	v_mov_b32_e32 v99, v66
	v_mov_b32_e32 v100, v65
.LBB606_14:                             ;   in Loop: Header=BB606_6 Depth=1
	s_waitcnt lgkmcnt(0)
	s_barrier
	ds_read_b64 v[34:35], v87
	ds_read_b64 v[40:41], v88
	ds_read2st64_b64 v[36:39], v80 offset1:1
	ds_read2st64_b64 v[102:105], v80 offset0:2 offset1:3
	ds_read_b64 v[42:43], v89
	ds_read_b64 v[110:111], v90
	s_add_i32 s21, s53, s65
	s_mul_hi_i32 s25, s21, s13
	s_mul_i32 s21, s21, s13
	s_waitcnt lgkmcnt(3)
	v_mfma_f32_16x16x16_bf16 a[0:3], v[34:35], v[36:37], 0
	ds_read_b64 v[34:35], v92
	s_add_u32 s24, s21, s33
	s_addc_u32 s25, s25, s57
	s_add_i32 s21, s3, s60
	v_mfma_f32_16x16x16_bf16 a[0:3], v[40:41], v[38:39], a[0:3]
	ds_read_b64 v[40:41], v93
	s_lshl_b64 s[24:25], s[24:25], 15
	s_mul_hi_i32 s27, s21, s13
	s_mul_i32 s21, s21, s13
	s_add_u32 s44, s21, s33
	s_addc_u32 s45, s27, s57
	s_lshl_b64 s[44:45], s[44:45], 9
	s_add_u32 s44, s30, s44
	s_waitcnt lgkmcnt(1)
	v_mfma_f32_16x16x16_bf16 a[4:7], v[34:35], v[36:37], 0
	s_addc_u32 s45, s31, s45
	s_and_b64 vcc, exec, s[0:1]
	v_mfma_f32_16x16x16_bf16 a[0:3], v[42:43], v[102:103], a[0:3]
	ds_read_b64 v[42:43], v94
	ds_read_b64 v[112:113], v95
	global_load_dwordx4 v[34:37], v91, s[44:45]
	s_waitcnt lgkmcnt(2)
	v_mfma_f32_16x16x16_bf16 a[4:7], v[40:41], v[38:39], a[4:7]
	global_load_dwordx4 v[38:41], v86, s[44:45]
	ds_read_b64 v[106:107], v81
	ds_read_b64 v[108:109], v82
	s_waitcnt lgkmcnt(3)
	v_mfma_f32_16x16x16_bf16 a[8:11], v[42:43], v[102:103], a[4:7]
	v_lshl_add_u64 v[42:43], v[54:55], 0, s[24:25]
	s_waitcnt lgkmcnt(0)
	global_store_dwordx4 v[42:43], v[106:109], off
	v_mfma_f32_16x16x16_bf16 a[4:7], v[110:111], v[104:105], a[0:3]
	s_waitcnt vmcnt(2)
	v_mov_b32_e32 v44, v37
	v_mfma_f32_16x16x16_bf16 a[0:3], v[112:113], v[104:105], a[8:11]
	v_mov_b32_e32 v43, v36
	v_mov_b32_e32 v42, v35
	s_cbranch_vccnz .LBB606_16
; %bb.15:                               ;   in Loop: Header=BB606_6 Depth=1
	v_lshrrev_b32_e32 v35, 3, v99
	v_and_b32_e32 v35, 6, v35
	v_xor_b32_e32 v36, v35, v100
	v_lshlrev_b32_e32 v36, 2, v36
	v_and_b32_e32 v37, 8, v99
	v_xor_b32_e32 v99, 0x440, v36
	v_cmp_eq_u32_e32 vcc, 0, v37
	v_perm_b32 v37, v22, v18, s61
	s_nop 0
	v_cndmask_b32_e32 v36, v99, v36, vcc
	v_lshl_or_b32 v35, v35, 10, v36
	v_perm_b32 v36, v30, v26, s61
	s_barrier
	ds_write2st64_b32 v35, v36, v37 offset1:32
	v_xor_b32_e32 v36, 8, v35
	v_perm_b32 v26, v30, v26, s62
	v_perm_b32 v18, v22, v18, s62
	v_add_u32_e32 v22, 0x80, v36
	ds_write2st64_b32 v22, v26, v18 offset1:32
	v_xor_b32_e32 v18, 16, v35
	v_perm_b32 v22, v31, v27, s61
	v_perm_b32 v26, v23, v19, s61
	ds_write2st64_b32 v18, v22, v26 offset0:1 offset1:33
	v_xor_b32_e32 v18, 24, v35
	v_perm_b32 v22, v31, v27, s62
	v_perm_b32 v19, v23, v19, s62
	v_add_u32_e32 v18, 0x80, v18
	ds_write2st64_b32 v18, v22, v19 offset0:1 offset1:33
	v_xor_b32_e32 v18, 32, v35
	v_perm_b32 v19, v32, v28, s61
	v_perm_b32 v22, v24, v20, s61
	ds_write2st64_b32 v18, v19, v22 offset0:2 offset1:34
	v_xor_b32_e32 v18, 40, v35
	v_perm_b32 v19, v32, v28, s62
	v_perm_b32 v20, v24, v20, s62
	v_add_u32_e32 v18, 0x80, v18
	ds_write2st64_b32 v18, v19, v20 offset0:2 offset1:34
	v_xor_b32_e32 v18, 48, v35
	v_perm_b32 v19, v33, v29, s61
	v_perm_b32 v20, v25, v21, s61
	ds_write2st64_b32 v18, v19, v20 offset0:3 offset1:35
	v_xor_b32_e32 v18, 56, v35
	v_perm_b32 v19, v33, v29, s62
	v_perm_b32 v20, v25, v21, s62
	v_add_u32_e32 v18, 0x80, v18
	ds_write2st64_b32 v18, v19, v20 offset0:3 offset1:35
	ds_write_b64 v98, v[14:15] offset:16384
	v_xor_b32_e32 v14, 8, v98
	ds_write_b64 v14, v[16:17] offset:16384
	ds_write_b64 v98, v[10:11] offset:24576
	;; [unrolled: 1-line block ×4, first 2 shown]
	v_xor_b32_e32 v6, 8, v97
	ds_write_b64 v6, v[8:9] offset:16384
	ds_write_b64 v97, v[2:3] offset:24576
	;; [unrolled: 1-line block ×3, first 2 shown]
.LBB606_16:                             ;   in Loop: Header=BB606_6 Depth=1
	v_mul_f32_e32 v6, s20, v96
	v_exp_f32_e32 v10, v6
	s_waitcnt vmcnt(1)
	v_mul_f32_e32 v6, 0x3fb8aa3b, v38
	v_exp_f32_e32 v12, v6
	v_mul_f32_e32 v6, 0x3fb8aa3b, v39
	v_exp_f32_e32 v13, v6
	;; [unrolled: 2-line block ×4, first 2 shown]
	v_accvgpr_read_b32 v2, a4
	v_accvgpr_read_b32 v3, a5
	v_pk_mul_f32 v[12:13], v[10:11], v[12:13] op_sel_hi:[0,1]
	v_pk_fma_f32 v[46:47], v[46:47], v[12:13], v[2:3]
	v_pk_mul_f32 v[2:3], v[10:11], v[14:15] op_sel_hi:[0,1]
	v_mul_f32_e32 v11, 0x3fb8aa3b, v34
	v_exp_f32_e32 v12, v11
	v_mul_f32_e32 v11, 0x3fb8aa3b, v42
	v_exp_f32_e32 v13, v11
	;; [unrolled: 2-line block ×4, first 2 shown]
	v_accvgpr_read_b32 v4, a6
	v_accvgpr_read_b32 v5, a7
	v_accvgpr_read_b32 v9, a3
	v_accvgpr_read_b32 v7, a1
	v_accvgpr_read_b32 v6, a0
	v_pk_fma_f32 v[52:53], v[52:53], v[2:3], v[4:5]
	v_pk_mul_f32 v[2:3], v[10:11], v[12:13] op_sel_hi:[0,1]
	v_accvgpr_read_b32 v8, a2
	v_pk_fma_f32 v[50:51], v[50:51], v[2:3], v[6:7]
	v_pk_mul_f32 v[2:3], v[10:11], v[14:15] op_sel_hi:[0,1]
	s_add_i32 s60, s60, 64
	s_cmp_eq_u32 s51, s64
	v_pk_fma_f32 v[48:49], v[48:49], v[2:3], v[8:9]
	s_cbranch_scc1 .LBB606_18
; %bb.17:                               ;   in Loop: Header=BB606_6 Depth=1
	s_mov_b32 s65, s64
	s_branch .LBB606_6
.LBB606_18:
	s_lshl_b32 s44, s51, 6
	s_sub_i32 s45, s12, s44
	s_cmp_gt_i32 s45, 0
	v_or_b32_e32 v26, s2, v61
	s_cbranch_scc1 .LBB606_20
; %bb.19:
	s_ashr_i32 s0, s33, 31
	s_add_u32 s24, s48, s33
	s_addc_u32 s25, s54, s0
	v_or_b32_e32 v2, s2, v61
	s_cbranch_execz .LBB606_21
	s_branch .LBB606_77
.LBB606_20:
                                        ; implicit-def: $sgpr24_sgpr25
                                        ; implicit-def: $vgpr2
.LBB606_21:
	s_ashr_i32 s37, s50, 31
	s_ashr_i32 s3, s44, 31
	s_cmpk_lg_i32 s15, 0x80
	s_cselect_b64 s[40:41], -1, 0
	s_and_b64 vcc, exec, s[40:41]
	s_cbranch_vccz .LBB606_23
; %bb.22:
	s_mul_hi_i32 s0, s50, s12
	s_add_u32 s1, s46, s44
	s_addc_u32 s0, s0, s3
	s_mul_i32 s20, s1, s52
	s_mul_hi_u32 s21, s1, s14
	s_add_i32 s20, s21, s20
	s_mul_i32 s0, s0, s14
	s_add_i32 s20, s20, s0
	s_mul_i32 s1, s1, s14
	s_ashr_i32 s0, s55, 31
	s_add_u32 s42, s1, s55
	s_addc_u32 s43, s20, s0
	s_cbranch_execz .LBB606_24
	s_branch .LBB606_25
.LBB606_23:
                                        ; implicit-def: $sgpr42_sgpr43
.LBB606_24:
	s_mul_hi_i32 s0, s50, s14
	s_mul_i32 s50, s50, s14
	s_ashr_i32 s1, s55, 31
	s_add_u32 s14, s50, s55
	s_addc_u32 s0, s0, s1
	s_mul_i32 s1, s14, s49
	s_mul_hi_u32 s20, s14, s12
	s_add_i32 s1, s20, s1
	s_mul_i32 s0, s0, s12
	s_add_i32 s1, s1, s0
	s_mul_i32 s14, s14, s12
	s_add_u32 s42, s14, s44
	s_addc_u32 s43, s1, s3
.LBB606_25:
	s_add_i32 s20, s53, s51
	s_ashr_i32 s14, s33, 31
	s_add_u32 s24, s48, s33
	s_addc_u32 s25, s54, s14
	s_mul_i32 s0, s24, s49
	s_mul_hi_u32 s1, s24, s12
	s_add_i32 s0, s1, s0
	s_mul_i32 s1, s25, s12
	s_add_i32 s1, s0, s1
	s_mul_i32 s0, s24, s12
	s_add_u32 s0, s0, s44
	s_addc_u32 s1, s1, s3
	s_mov_b32 s3, 0x7060302
	v_lshlrev_b32_e32 v6, 3, v61
	s_lshl_b64 s[26:27], s[0:1], 8
	v_perm_b32 v3, v53, v52, s3
	v_perm_b32 v2, v47, v46, s3
	;; [unrolled: 1-line block ×4, first 2 shown]
	v_lshlrev_b32_e32 v36, 2, v61
	v_lshl_or_b32 v6, v1, 5, v6
	s_add_u32 s0, s6, s26
	ds_write2st64_b64 v6, v[2:3], v[4:5] offset0:72 offset1:76
	v_xor_b32_e32 v6, v1, v36
	v_lshlrev_b32_e32 v7, 8, v61
	s_addc_u32 s1, s7, s27
	v_lshl_or_b32 v6, v6, 1, v7
	s_mul_hi_i32 s3, s20, s13
	s_mul_i32 s20, s20, s13
	ds_write_b64 v6, v[2:3] offset:32768
	v_xor_b32_e32 v2, v64, v36
	s_add_u32 s6, s20, s33
	v_lshl_or_b32 v2, v2, 1, v7
	s_addc_u32 s7, s3, s14
	v_lshlrev_b32_e32 v3, 1, v61
	ds_write_b64 v2, v[4:5] offset:32768
	v_lshrrev_b32_e32 v2, 4, v0
	s_ashr_i32 s3, s2, 31
	s_lshl_b64 s[6:7], s[6:7], 15
	v_or_b32_e32 v4, 1, v3
	s_waitcnt lgkmcnt(0)
	s_add_u32 s6, s38, s6
	v_xor_b32_e32 v3, v2, v3
	v_xor_b32_e32 v4, v4, v2
	v_lshlrev_b32_e32 v6, 8, v2
	s_addc_u32 s7, s39, s7
	s_lshl_b64 s[2:3], s[2:3], 8
	v_lshl_or_b32 v2, v3, 3, v6
	v_lshl_or_b32 v4, v4, 3, v6
	s_barrier
	s_add_u32 s2, s6, s2
	ds_read_b64 v[2:3], v2 offset:32768
	ds_read_b64 v[4:5], v4 offset:32768
	s_addc_u32 s3, s7, s3
	v_mov_b32_e32 v7, 0
	s_cmp_lg_u32 s45, 64
	v_lshl_add_u64 v[8:9], s[2:3], 0, v[6:7]
	v_lshlrev_b32_e32 v6, 4, v61
	s_cselect_b64 s[6:7], -1, 0
	v_lshl_or_b32 v27, v45, 3, v63
	s_mov_b32 s20, 0
	v_lshl_add_u64 v[6:7], v[8:9], 0, v[6:7]
	v_or_b32_e32 v19, 32, v27
	v_and_b32_e32 v18, 56, v62
	s_and_b64 vcc, exec, s[6:7]
	s_waitcnt lgkmcnt(0)
	global_store_dwordx4 v[6:7], v[2:5], off
	s_cbranch_vccz .LBB606_31
; %bb.26:
	s_mov_b32 s21, s20
	s_mov_b32 s22, s20
	;; [unrolled: 1-line block ×3, first 2 shown]
	v_mov_b64_e32 v[6:7], s[20:21]
	v_mov_b64_e32 v[8:9], s[22:23]
	;; [unrolled: 1-line block ×3, first 2 shown]
	v_cmp_gt_i32_e32 vcc, s45, v27
	v_mov_b64_e32 v[4:5], v[8:9]
	s_and_saveexec_b64 s[2:3], vcc
	s_cbranch_execz .LBB606_28
; %bb.27:
	v_lshlrev_b32_e32 v2, 8, v27
	v_mov_b32_e32 v3, 0
	v_lshl_add_u64 v[4:5], s[0:1], 0, v[2:3]
	v_lshlrev_b32_e32 v2, 1, v18
	v_lshl_add_u64 v[10:11], v[4:5], 0, v[2:3]
	global_load_dwordx4 v[6:9], v[10:11], off
	global_load_dwordx4 v[2:5], v[10:11], off offset:128
.LBB606_28:
	s_or_b64 exec, exec, s[2:3]
	s_mov_b32 s21, s20
	s_mov_b32 s22, s20
	;; [unrolled: 1-line block ×3, first 2 shown]
	v_mov_b64_e32 v[14:15], s[20:21]
	v_mov_b64_e32 v[16:17], s[22:23]
	;; [unrolled: 1-line block ×3, first 2 shown]
	v_cmp_gt_i32_e32 vcc, s45, v19
	v_lshlrev_b32_e32 v20, 7, v19
	v_mov_b64_e32 v[12:13], v[16:17]
	s_and_saveexec_b64 s[2:3], vcc
	s_cbranch_execz .LBB606_30
; %bb.29:
	v_lshlrev_b32_e32 v10, 1, v20
	v_mov_b32_e32 v11, 0
	v_lshl_add_u64 v[12:13], s[0:1], 0, v[10:11]
	v_lshlrev_b32_e32 v10, 1, v18
	v_lshl_add_u64 v[22:23], v[12:13], 0, v[10:11]
	global_load_dwordx4 v[14:17], v[22:23], off
	global_load_dwordx4 v[10:13], v[22:23], off offset:128
.LBB606_30:
	s_or_b64 exec, exec, s[2:3]
	v_lshrrev_b32_e32 v21, 3, v18
	v_lshlrev_b32_e32 v22, 3, v27
	v_or_b32_e32 v21, v22, v21
	v_lshlrev_b32_e32 v21, 4, v21
	v_and_b32_e32 v22, 0x78, v22
	v_xor_b32_e32 v21, v21, v22
	s_branch .LBB606_33
.LBB606_31:
                                        ; implicit-def: $vgpr21
                                        ; implicit-def: $vgpr20
                                        ; implicit-def: $vgpr6_vgpr7_vgpr8_vgpr9
                                        ; implicit-def: $vgpr2_vgpr3_vgpr4_vgpr5
                                        ; implicit-def: $vgpr14_vgpr15_vgpr16_vgpr17
                                        ; implicit-def: $vgpr10_vgpr11_vgpr12_vgpr13
	s_cbranch_execz .LBB606_33
; %bb.32:
	s_waitcnt vmcnt(0)
	v_lshlrev_b32_e32 v2, 1, v18
	v_lshl_or_b32 v20, v27, 8, v2
	s_and_b32 s1, s1, 0xffff
	s_mov_b32 s3, 0x20000
	s_movk_i32 s2, 0x4000
	v_lshl_or_b32 v21, v19, 8, v2
	s_movk_i32 s20, 0x80
	buffer_load_dwordx4 v[6:9], v20, s[0:3], 0 offen
	buffer_load_dwordx4 v[2:5], v20, s[0:3], s20 offen
	;; [unrolled: 1-line block ×4, first 2 shown]
	v_lshrrev_b32_e32 v20, 3, v18
	v_lshlrev_b32_e32 v21, 3, v27
	v_or_b32_e32 v20, v21, v20
	v_lshlrev_b32_e32 v20, 4, v20
	v_and_b32_e32 v21, 0x78, v21
	v_xor_b32_e32 v21, v20, v21
	v_lshlrev_b32_e32 v20, 7, v19
.LBB606_33:
	s_lshl_b64 s[0:1], s[42:43], 8
	s_add_u32 s4, s4, s0
	s_movk_i32 s0, 0x1000
	v_and_or_b32 v19, v20, s0, v21
	s_waitcnt vmcnt(1)
	ds_write_b64 v21, v[6:7] offset:16384
	v_xor_b32_e32 v6, 8, v21
	s_addc_u32 s5, s5, s1
	ds_write_b64 v6, v[8:9] offset:16384
	s_waitcnt vmcnt(0)
	ds_write_b64 v21, v[2:3] offset:24576
	ds_write_b64 v6, v[4:5] offset:24576
	;; [unrolled: 1-line block ×3, first 2 shown]
	v_xor_b32_e32 v2, 8, v19
	s_add_i32 s20, s12, -1
	ds_write_b64 v2, v[16:17] offset:16384
	ds_write_b64 v19, v[10:11] offset:24576
	ds_write_b64 v2, v[12:13] offset:24576
	s_mul_i32 s3, s20, s35
	s_mul_hi_u32 s12, s20, s34
	v_or_b32_e32 v2, v58, v61
	s_add_i32 s3, s12, s3
	v_lshlrev_b32_e32 v2, 3, v2
	v_lshrrev_b32_e32 v4, 5, v59
	s_movk_i32 s12, 0xf8
	v_and_or_b32 v4, v2, s12, v4
	v_lshlrev_b32_e32 v37, 11, v45
	v_lshlrev_b32_e32 v12, 4, v4
	v_and_b32_e32 v13, 0x78, v2
	v_and_b32_e32 v14, 0x1000, v37
	v_lshlrev_b32_e32 v3, 2, v0
	v_xor_b32_e32 v2, v12, v13
	v_lshrrev_b32_e32 v4, 1, v59
	v_and_b32_e32 v3, 60, v3
	v_or_b32_e32 v2, v2, v14
	v_and_b32_e32 v15, 8, v4
	v_xor_b32_e32 v28, v2, v15
	v_lshl_or_b32 v2, v60, 6, v3
	v_lshlrev_b32_e32 v38, 1, v2
	v_or_b32_e32 v2, 32, v12
	v_xor_b32_e32 v2, v2, v13
	s_waitcnt lgkmcnt(0)
	s_barrier
	ds_read_b64 v[10:11], v28 offset:16384
	v_or_b32_e32 v2, v2, v14
	v_xor_b32_e32 v29, v2, v15
	v_or_b32_e32 v2, 64, v12
	v_xor_b32_e32 v2, v2, v13
	v_or_b32_e32 v2, v2, v14
	v_or_b32_e32 v12, 0x60, v12
	v_xor_b32_e32 v30, v2, v15
	ds_read2st64_b64 v[2:5], v38 offset0:72 offset1:73
	ds_read2st64_b64 v[6:9], v38 offset0:74 offset1:75
	v_xor_b32_e32 v16, v12, v13
	ds_read_b64 v[12:13], v29 offset:16384
	s_waitcnt lgkmcnt(2)
	v_mfma_f32_16x16x16_bf16 a[0:3], v[10:11], v[2:3], 0
	s_add_i32 s0, s47, s17
	s_mul_i32 s37, s37, s16
	s_add_i32 s37, s0, s37
	s_mul_i32 s0, s33, s19
	s_mul_hi_u32 s1, s33, s18
	s_ashr_i32 s2, s20, 31
	s_add_i32 s0, s1, s0
	s_mul_i32 s1, s14, s18
	s_mul_i32 s2, s2, s34
	v_or_b32_e32 v14, v16, v14
	s_add_i32 s1, s0, s1
	s_add_i32 s3, s3, s2
	s_lshl_b64 s[16:17], s[36:37], 2
	v_xor_b32_e32 v39, v14, v15
	ds_read_b64 v[14:15], v30 offset:16384
	ds_read_b64 v[16:17], v39 offset:16384
	s_waitcnt lgkmcnt(2)
	v_mfma_f32_16x16x16_bf16 a[0:3], v[12:13], v[4:5], a[0:3]
	s_mul_i32 s0, s33, s18
	s_add_u32 s10, s10, s16
	s_addc_u32 s11, s11, s17
	s_lshl_b64 s[0:1], s[0:1], 2
	s_mul_i32 s2, s20, s34
	s_add_u32 s10, s10, s0
	s_addc_u32 s11, s11, s1
	s_lshl_b64 s[0:1], s[2:3], 2
	s_waitcnt lgkmcnt(1)
	v_mfma_f32_16x16x16_bf16 a[0:3], v[14:15], v[6:7], a[0:3]
	s_add_u32 s0, s10, s0
	s_addc_u32 s1, s11, s1
	s_load_dword s12, s[0:1], 0x0
	s_waitcnt lgkmcnt(0)
	v_mfma_f32_16x16x16_bf16 a[0:3], v[16:17], v[8:9], a[0:3]
	s_and_b64 vcc, exec, s[40:41]
	s_cbranch_vccz .LBB606_44
; %bb.34:
	v_lshlrev_b32_e32 v19, 1, v27
	s_and_b64 vcc, exec, s[6:7]
	s_cbranch_vccz .LBB606_45
; %bb.35:
	v_cmp_gt_i32_e32 vcc, s45, v19
	v_mov_b32_e32 v6, 0
	v_mov_b32_e32 v2, 0
	v_mov_b32_e32 v3, 0
	v_mov_b32_e32 v4, 0
	v_mov_b32_e32 v5, 0
	s_and_saveexec_b64 s[0:1], vcc
	s_cbranch_execz .LBB606_37
; %bb.36:
	v_mad_i64_i32 v[2:3], s[2:3], s15, v19, 0
	v_lshl_add_u64 v[2:3], v[2:3], 1, s[4:5]
	v_lshlrev_b32_e32 v4, 1, v18
	v_mov_b32_e32 v5, 0
	v_lshl_add_u64 v[2:3], v[2:3], 0, v[4:5]
	global_load_dwordx4 v[2:5], v[2:3], off
.LBB606_37:
	s_or_b64 exec, exec, s[0:1]
	v_or_b32_e32 v20, 1, v19
	v_cmp_gt_i32_e64 s[0:1], s45, v20
	v_mov_b32_e32 v7, 0
	v_mov_b32_e32 v8, 0
	;; [unrolled: 1-line block ×3, first 2 shown]
	s_and_saveexec_b64 s[2:3], s[0:1]
	s_cbranch_execz .LBB606_39
; %bb.38:
	v_mad_i64_i32 v[6:7], s[16:17], s15, v20, 0
	v_lshl_add_u64 v[6:7], v[6:7], 1, s[4:5]
	v_lshlrev_b32_e32 v8, 1, v18
	v_mov_b32_e32 v9, 0
	v_lshl_add_u64 v[6:7], v[6:7], 0, v[8:9]
	global_load_dwordx4 v[6:9], v[6:7], off
.LBB606_39:
	s_or_b64 exec, exec, s[2:3]
	v_mov_b32_e32 v17, 0
	v_mov_b32_e32 v10, 0
	;; [unrolled: 1-line block ×5, first 2 shown]
	s_and_saveexec_b64 s[2:3], vcc
	s_cbranch_execz .LBB606_41
; %bb.40:
	v_mad_i64_i32 v[10:11], s[16:17], s15, v19, 0
	v_lshl_add_u64 v[10:11], v[10:11], 1, s[4:5]
	v_lshlrev_b32_e32 v12, 1, v18
	v_mov_b32_e32 v13, 0
	v_lshl_add_u64 v[10:11], v[10:11], 0, v[12:13]
	global_load_dwordx4 v[10:13], v[10:11], off offset:128
.LBB606_41:
	s_or_b64 exec, exec, s[2:3]
	v_mov_b32_e32 v16, 0
	v_mov_b32_e32 v15, 0
	;; [unrolled: 1-line block ×3, first 2 shown]
	s_and_saveexec_b64 s[2:3], s[0:1]
	s_cbranch_execz .LBB606_43
; %bb.42:
	v_mad_i64_i32 v[14:15], s[0:1], s15, v20, 0
	v_lshl_add_u64 v[14:15], v[14:15], 1, s[4:5]
	v_lshlrev_b32_e32 v16, 1, v18
	v_mov_b32_e32 v17, 0
	v_lshl_add_u64 v[14:15], v[14:15], 0, v[16:17]
	global_load_dwordx4 v[14:17], v[14:15], off offset:128
.LBB606_43:
	s_or_b64 exec, exec, s[2:3]
	s_branch .LBB606_47
.LBB606_44:
                                        ; implicit-def: $vgpr5
                                        ; implicit-def: $vgpr9
                                        ; implicit-def: $vgpr13
                                        ; implicit-def: $vgpr17
	v_lshrrev_b32_e32 v19, 2, v59
	s_branch .LBB606_48
.LBB606_45:
                                        ; implicit-def: $vgpr5
                                        ; implicit-def: $vgpr9
                                        ; implicit-def: $vgpr13
                                        ; implicit-def: $vgpr17
	s_cbranch_execz .LBB606_47
; %bb.46:
	s_waitcnt vmcnt(0)
	v_mad_u64_u32 v[2:3], s[0:1], v19, s15, v[18:19]
	v_lshlrev_b32_e32 v19, 1, v2
	s_lshl_b32 s2, s15, 7
	s_and_b32 s1, s5, 0xffff
	s_mov_b32 s3, 0x20000
	s_mov_b32 s0, s4
	v_add_lshl_u32 v20, v2, s15, 1
	s_movk_i32 s15, 0x80
	buffer_load_dwordx4 v[2:5], v19, s[0:3], 0 offen
	buffer_load_dwordx4 v[10:13], v19, s[0:3], s15 offen
	;; [unrolled: 1-line block ×4, first 2 shown]
.LBB606_47:
	v_lshrrev_b32_e32 v19, 2, v59
	s_cbranch_execnz .LBB606_60
.LBB606_48:
	s_and_b64 vcc, exec, s[6:7]
	s_cbranch_vccz .LBB606_58
; %bb.49:
	s_waitcnt vmcnt(0)
	v_lshlrev_b32_e32 v7, 1, v27
	v_cmp_gt_i32_e32 vcc, s45, v7
	v_mov_b32_e32 v6, 0
	v_lshlrev_b32_e32 v14, 9, v27
	v_mov_b32_e32 v2, 0
	v_mov_b32_e32 v3, 0
	;; [unrolled: 1-line block ×4, first 2 shown]
	s_and_saveexec_b64 s[0:1], vcc
	s_cbranch_execz .LBB606_51
; %bb.50:
	v_mov_b32_e32 v15, 0
	v_lshl_add_u64 v[2:3], s[4:5], 0, v[14:15]
	v_lshlrev_b32_e32 v4, 1, v18
	v_mov_b32_e32 v5, v15
	v_lshl_add_u64 v[2:3], v[2:3], 0, v[4:5]
	global_load_dwordx4 v[2:5], v[2:3], off
.LBB606_51:
	s_or_b64 exec, exec, s[0:1]
	v_or_b32_e32 v7, 1, v7
	v_cmp_gt_i32_e64 s[0:1], s45, v7
	v_lshlrev_b32_e32 v20, 8, v7
	v_mov_b32_e32 v7, 0
	v_mov_b32_e32 v8, 0
	;; [unrolled: 1-line block ×3, first 2 shown]
	s_and_saveexec_b64 s[2:3], s[0:1]
	s_cbranch_execz .LBB606_53
; %bb.52:
	v_mov_b32_e32 v21, 0
	v_lshl_add_u64 v[6:7], s[4:5], 0, v[20:21]
	v_lshlrev_b32_e32 v8, 1, v18
	v_mov_b32_e32 v9, v21
	v_lshl_add_u64 v[6:7], v[6:7], 0, v[8:9]
	global_load_dwordx4 v[6:9], v[6:7], off
.LBB606_53:
	s_or_b64 exec, exec, s[2:3]
	v_mov_b32_e32 v17, 0
	v_mov_b32_e32 v10, 0
	;; [unrolled: 1-line block ×5, first 2 shown]
	s_and_saveexec_b64 s[2:3], vcc
	s_cbranch_execz .LBB606_55
; %bb.54:
	v_mov_b32_e32 v15, 0
	v_lshl_add_u64 v[10:11], s[4:5], 0, v[14:15]
	v_lshlrev_b32_e32 v14, 1, v18
	v_lshl_add_u64 v[10:11], v[10:11], 0, v[14:15]
	global_load_dwordx4 v[10:13], v[10:11], off offset:128
.LBB606_55:
	s_or_b64 exec, exec, s[2:3]
	v_mov_b32_e32 v16, 0
	v_mov_b32_e32 v15, 0
	;; [unrolled: 1-line block ×3, first 2 shown]
	s_and_saveexec_b64 s[2:3], s[0:1]
	s_cbranch_execz .LBB606_57
; %bb.56:
	v_mov_b32_e32 v21, 0
	v_lshl_add_u64 v[14:15], s[4:5], 0, v[20:21]
	v_lshlrev_b32_e32 v20, 1, v18
	v_lshl_add_u64 v[14:15], v[14:15], 0, v[20:21]
	global_load_dwordx4 v[14:17], v[14:15], off offset:128
.LBB606_57:
	s_or_b64 exec, exec, s[2:3]
	s_branch .LBB606_60
.LBB606_58:
                                        ; implicit-def: $vgpr5
                                        ; implicit-def: $vgpr9
                                        ; implicit-def: $vgpr13
                                        ; implicit-def: $vgpr17
	s_cbranch_execz .LBB606_60
; %bb.59:
	s_waitcnt vmcnt(0)
	v_lshlrev_b32_e32 v2, 1, v18
	v_lshl_or_b32 v18, v27, 9, v2
	s_and_b32 s5, s5, 0xffff
	s_mov_b32 s7, 0x20000
	s_movk_i32 s6, 0x4000
	s_movk_i32 s0, 0x80
	buffer_load_dwordx4 v[2:5], v18, s[4:7], 0 offen
	buffer_load_dwordx4 v[6:9], v18, s[4:7], 0 offen offset:256
	buffer_load_dwordx4 v[10:13], v18, s[4:7], s0 offen
	buffer_load_dwordx4 v[14:17], v18, s[4:7], s0 offen offset:256
.LBB606_60:
	v_and_b32_e32 v40, 12, v19
	ds_read2st64_b64 v[22:25], v38 offset0:76 offset1:77
	ds_read2st64_b64 v[18:21], v38 offset0:78 offset1:79
	ds_read_b64 v[32:33], v28 offset:24576
	ds_read_b64 v[34:35], v29 offset:24576
	;; [unrolled: 1-line block ×4, first 2 shown]
	v_and_b32_e32 v39, 6, v0
	v_xor_b32_e32 v27, v27, v39
	v_lshlrev_b32_e32 v27, 2, v27
	v_and_b32_e32 v41, 1, v0
	v_xor_b32_e32 v42, 0x440, v27
	v_cmp_eq_u32_e32 vcc, 0, v41
	s_mov_b32 s0, 0x1000504
	s_waitcnt vmcnt(0)
	v_perm_b32 v41, v10, v14, s0
	v_cndmask_b32_e32 v27, v42, v27, vcc
	v_lshl_or_b32 v27, v39, 10, v27
	v_perm_b32 v39, v2, v6, s0
	ds_write2st64_b32 v27, v39, v41 offset1:32
	v_xor_b32_e32 v39, 8, v27
	s_mov_b32 s1, 0x3020706
	v_perm_b32 v2, v2, v6, s1
	v_perm_b32 v6, v10, v14, s1
	v_add_u32_e32 v10, 0x80, v39
	ds_write2st64_b32 v10, v2, v6 offset1:32
	v_xor_b32_e32 v2, 16, v27
	v_perm_b32 v6, v3, v7, s0
	v_perm_b32 v10, v11, v15, s0
	ds_write2st64_b32 v2, v6, v10 offset0:1 offset1:33
	v_xor_b32_e32 v2, 24, v27
	v_perm_b32 v3, v3, v7, s1
	v_perm_b32 v6, v11, v15, s1
	v_add_u32_e32 v2, 0x80, v2
	ds_write2st64_b32 v2, v3, v6 offset0:1 offset1:33
	v_xor_b32_e32 v2, 32, v27
	v_perm_b32 v3, v4, v8, s0
	v_perm_b32 v6, v12, v16, s0
	ds_write2st64_b32 v2, v3, v6 offset0:2 offset1:34
	v_xor_b32_e32 v2, 40, v27
	v_perm_b32 v3, v4, v8, s1
	v_perm_b32 v4, v12, v16, s1
	v_add_u32_e32 v2, 0x80, v2
	ds_write2st64_b32 v2, v3, v4 offset0:2 offset1:34
	v_xor_b32_e32 v2, 48, v27
	v_perm_b32 v3, v5, v9, s0
	v_perm_b32 v4, v13, v17, s0
	ds_write2st64_b32 v2, v3, v4 offset0:3 offset1:35
	v_xor_b32_e32 v2, 56, v27
	v_or_b32_e32 v8, v40, v58
	v_perm_b32 v3, v5, v9, s1
	v_perm_b32 v4, v13, v17, s1
	v_add_u32_e32 v2, 0x80, v2
	v_cmp_gt_i32_e32 vcc, s45, v8
	v_mov_b32_e32 v9, 0
	v_mov_b32_e32 v13, 0
	ds_write2st64_b32 v2, v3, v4 offset0:3 offset1:35
	s_and_saveexec_b64 s[0:1], vcc
	s_cbranch_execz .LBB606_62
; %bb.61:
	v_add_u32_e32 v2, s44, v8
	v_ashrrev_i32_e32 v3, 31, v2
	v_mul_lo_u32 v4, v3, s34
	v_mul_lo_u32 v5, v2, s35
	v_mad_u64_u32 v[2:3], s[2:3], v2, s34, 0
	v_add3_u32 v3, v3, v5, v4
	v_lshl_add_u64 v[2:3], v[2:3], 2, s[10:11]
	global_load_dword v2, v[2:3], off
	s_waitcnt vmcnt(0)
	v_sub_f32_e32 v2, s12, v2
	v_mul_f32_e32 v2, 0x3fb8aa3b, v2
	v_exp_f32_e32 v13, v2
.LBB606_62:
	s_or_b64 exec, exec, s[0:1]
	v_or_b32_e32 v11, 1, v8
	v_cmp_gt_i32_e64 s[0:1], s45, v11
	s_and_saveexec_b64 s[2:3], s[0:1]
	s_cbranch_execz .LBB606_64
; %bb.63:
	v_add_u32_e32 v2, s44, v11
	v_ashrrev_i32_e32 v3, 31, v2
	v_mul_lo_u32 v4, v3, s34
	v_mul_lo_u32 v5, v2, s35
	v_mad_u64_u32 v[2:3], s[4:5], v2, s34, 0
	v_add3_u32 v3, v3, v5, v4
	v_lshl_add_u64 v[2:3], v[2:3], 2, s[10:11]
	global_load_dword v2, v[2:3], off
	s_waitcnt vmcnt(0)
	v_sub_f32_e32 v2, s12, v2
	v_mul_f32_e32 v2, 0x3fb8aa3b, v2
	v_exp_f32_e32 v9, v2
.LBB606_64:
	s_or_b64 exec, exec, s[2:3]
	v_or_b32_e32 v12, 2, v8
	v_cmp_gt_i32_e64 s[2:3], s45, v12
	v_mov_b32_e32 v10, 0
	v_mov_b32_e32 v15, 0
	s_and_saveexec_b64 s[4:5], s[2:3]
	s_cbranch_execz .LBB606_66
; %bb.65:
	v_add_u32_e32 v2, s44, v12
	v_ashrrev_i32_e32 v3, 31, v2
	v_mul_lo_u32 v4, v3, s34
	v_mul_lo_u32 v5, v2, s35
	v_mad_u64_u32 v[2:3], s[6:7], v2, s34, 0
	v_add3_u32 v3, v3, v5, v4
	v_lshl_add_u64 v[2:3], v[2:3], 2, s[10:11]
	global_load_dword v2, v[2:3], off
	s_waitcnt vmcnt(0)
	v_sub_f32_e32 v2, s12, v2
	v_mul_f32_e32 v2, 0x3fb8aa3b, v2
	v_exp_f32_e32 v15, v2
.LBB606_66:
	s_or_b64 exec, exec, s[4:5]
	v_or_b32_e32 v14, 3, v8
	v_cmp_gt_i32_e64 s[4:5], s45, v14
	s_and_saveexec_b64 s[6:7], s[4:5]
	s_cbranch_execz .LBB606_68
; %bb.67:
	v_add_u32_e32 v2, s44, v14
	v_ashrrev_i32_e32 v3, 31, v2
	v_mul_lo_u32 v4, v3, s34
	v_mul_lo_u32 v5, v2, s35
	v_mad_u64_u32 v[2:3], s[16:17], v2, s34, 0
	v_add3_u32 v3, v3, v5, v4
	v_lshl_add_u64 v[2:3], v[2:3], 2, s[10:11]
	global_load_dword v2, v[2:3], off
	s_waitcnt vmcnt(0)
	v_sub_f32_e32 v2, s12, v2
	v_mul_f32_e32 v2, 0x3fb8aa3b, v2
	v_exp_f32_e32 v10, v2
.LBB606_68:
	s_or_b64 exec, exec, s[6:7]
	s_waitcnt lgkmcnt(11)
	v_mfma_f32_16x16x16_bf16 a[0:3], v[32:33], v[22:23], a[0:3]
	s_add_u32 s6, s8, s26
	v_ashrrev_i32_e32 v27, 31, v26
	s_addc_u32 s7, s9, s27
	s_waitcnt lgkmcnt(10)
	v_mfma_f32_16x16x16_bf16 a[0:3], v[34:35], v[24:25], a[0:3]
	v_mov_b32_e32 v16, 0
	v_lshl_add_u64 v[6:7], v[26:27], 1, s[6:7]
	v_mov_b32_e32 v17, 0
	s_waitcnt lgkmcnt(9)
	v_mfma_f32_16x16x16_bf16 a[0:3], v[30:31], v[18:19], a[0:3]
	s_waitcnt lgkmcnt(8)
	v_mfma_f32_16x16x16_bf16 a[0:3], v[28:29], v[20:21], a[0:3]
	s_nop 6
	v_accvgpr_read_b32 v5, a3
	v_accvgpr_read_b32 v4, a2
	v_accvgpr_read_b32 v3, a1
	v_accvgpr_read_b32 v2, a0
	s_and_saveexec_b64 s[6:7], vcc
	s_cbranch_execz .LBB606_70
; %bb.69:
	v_lshlrev_b32_e32 v18, 8, v8
	v_mov_b32_e32 v19, 0
	v_lshl_add_u64 v[18:19], v[6:7], 0, v[18:19]
	global_load_ushort v17, v[18:19], off
	s_waitcnt vmcnt(0)
	v_lshlrev_b32_e32 v17, 16, v17
	v_sub_f32_e32 v2, v17, v2
	v_mul_f32_e32 v2, v13, v2
	v_lshrrev_b32_e32 v17, 16, v2
.LBB606_70:
	s_or_b64 exec, exec, s[6:7]
	s_and_saveexec_b64 s[6:7], s[0:1]
	s_cbranch_execz .LBB606_72
; %bb.71:
	v_lshlrev_b32_e32 v18, 8, v11
	v_mov_b32_e32 v19, 0
	v_lshl_add_u64 v[18:19], v[6:7], 0, v[18:19]
	global_load_ushort v2, v[18:19], off
	s_waitcnt vmcnt(0)
	v_lshlrev_b32_e32 v2, 16, v2
	v_sub_f32_e32 v2, v2, v3
	v_mul_f32_e32 v2, v9, v2
	v_lshrrev_b32_e32 v16, 16, v2
.LBB606_72:
	s_or_b64 exec, exec, s[6:7]
	v_mov_b32_e32 v3, 0
	v_mov_b32_e32 v9, 0
	s_and_saveexec_b64 s[0:1], s[2:3]
	s_cbranch_execz .LBB606_74
; %bb.73:
	v_lshlrev_b32_e32 v12, 8, v12
	v_mov_b32_e32 v13, 0
	v_lshl_add_u64 v[12:13], v[6:7], 0, v[12:13]
	global_load_ushort v2, v[12:13], off
	s_waitcnt vmcnt(0)
	v_lshlrev_b32_e32 v2, 16, v2
	v_sub_f32_e32 v2, v2, v4
	v_mul_f32_e32 v2, v15, v2
	v_lshrrev_b32_e32 v9, 16, v2
.LBB606_74:
	s_or_b64 exec, exec, s[0:1]
	v_or_b32_e32 v2, 0x9800, v38
	s_and_saveexec_b64 s[0:1], s[4:5]
	s_cbranch_execz .LBB606_76
; %bb.75:
	v_lshlrev_b32_e32 v12, 8, v14
	v_mov_b32_e32 v13, 0
	v_lshl_add_u64 v[6:7], v[6:7], 0, v[12:13]
	global_load_ushort v3, v[6:7], off
	s_waitcnt vmcnt(0)
	v_lshlrev_b32_e32 v3, 16, v3
	v_sub_f32_e32 v3, v3, v5
	v_mul_f32_e32 v3, v10, v3
	v_lshrrev_b32_e32 v3, 16, v3
.LBB606_76:
	s_or_b64 exec, exec, s[0:1]
	s_mov_b32 s0, 0x5040100
	v_perm_b32 v5, v3, v9, s0
	v_lshlrev_b32_e32 v3, 1, v36
	v_perm_b32 v4, v16, v17, s0
	v_lshl_or_b32 v3, v8, 5, v3
	s_movk_i32 s2, 0xff
	ds_write_b64 v3, v[4:5] offset:38912
	v_and_b32_e32 v3, 7, v0
	v_cmp_lt_u32_e32 vcc, s2, v0
	v_and_b32_e32 v4, 8, v0
	v_lshlrev_b32_e32 v12, 3, v3
	v_lshlrev_b32_e32 v24, 7, v3
	v_cndmask_b32_e64 v3, 0, 1, vcc
	v_lshrrev_b32_e32 v0, 1, v0
	v_lshlrev_b32_e32 v14, 13, v3
	v_lshlrev_b32_e32 v3, 3, v45
	v_and_b32_e32 v0, 24, v0
	v_xor_b32_e32 v5, v3, v0
	v_or_b32_e32 v6, 0x440, v5
	v_cmp_eq_u32_e32 vcc, 0, v4
	s_add_i32 s0, s20, s46
	s_mul_hi_i32 s1, s0, s13
	v_cndmask_b32_e32 v4, v6, v5, vcc
	v_or_b32_e32 v4, v4, v37
	v_xor_b32_e32 v25, v4, v12
	v_or_b32_e32 v4, 32, v0
	v_xor_b32_e32 v4, v3, v4
	v_or_b32_e32 v5, 0x440, v4
	v_cndmask_b32_e32 v4, v5, v4, vcc
	v_or_b32_e32 v4, v4, v37
	v_xor_b32_e32 v27, v4, v12
	v_or_b32_e32 v4, 64, v0
	v_xor_b32_e32 v4, v3, v4
	v_xor_b32_e32 v5, 0x440, v4
	s_mul_i32 s0, s0, s13
	v_cndmask_b32_e32 v4, v5, v4, vcc
	v_or_b32_e32 v0, 0x60, v0
	s_add_u32 s0, s0, s33
	v_add3_u32 v15, v14, v25, v24
	v_or_b32_e32 v4, v4, v37
	v_xor_b32_e32 v0, v3, v0
	s_waitcnt lgkmcnt(0)
	s_barrier
	s_addc_u32 s1, s1, s14
	v_lshlrev_b32_e32 v13, 2, v8
	v_xor_b32_e32 v28, v4, v12
	ds_read2st64_b64 v[4:7], v2 offset1:1
	ds_read2st64_b64 v[8:11], v2 offset0:2 offset1:3
	ds_read_b64 v[2:3], v15
	v_xor_b32_e32 v15, 0x440, v0
	s_lshl_b64 s[0:1], s[0:1], 9
	v_cndmask_b32_e32 v0, v15, v0, vcc
	s_add_u32 s0, s30, s0
	v_or_b32_e32 v0, v0, v37
	s_addc_u32 s1, s31, s1
	v_add3_u32 v16, v14, v27, v24
	v_xor_b32_e32 v29, v0, v12
	v_add3_u32 v18, v14, v28, v24
	v_add3_u32 v0, v14, v29, v24
	ds_read_b64 v[16:17], v16
	ds_read_b64 v[20:21], v18
	ds_read_b64 v[22:23], v0
	global_load_dwordx4 v[12:15], v13, s[0:1]
	s_waitcnt lgkmcnt(3)
	v_mfma_f32_16x16x16_bf16 a[0:3], v[2:3], v[4:5], 0
	v_lshlrev_b32_e32 v0, 6, v45
	v_lshlrev_b32_e32 v2, 2, v40
	s_movk_i32 s2, 0x100
	v_or3_b32 v0, v0, v2, s2
	s_waitcnt lgkmcnt(2)
	v_mfma_f32_16x16x16_bf16 a[0:3], v[16:17], v[6:7], a[0:3]
	global_load_dwordx4 v[16:19], v0, s[0:1]
	v_mov_b32_e32 v0, 0x3fb8aa3b
	v_mul_f32_e32 v0, s12, v0
	s_waitcnt lgkmcnt(1)
	v_mfma_f32_16x16x16_bf16 a[0:3], v[20:21], v[8:9], a[0:3]
	v_exp_f32_e32 v0, v0
	v_add_u32_e32 v25, v25, v24
	v_add_u32_e32 v27, v27, v24
	s_waitcnt lgkmcnt(0)
	v_mfma_f32_16x16x16_bf16 a[0:3], v[22:23], v[10:11], a[0:3]
	ds_read_b64 v[22:23], v25 offset:8192
	s_waitcnt vmcnt(1)
	v_mul_f32_e32 v12, 0x3fb8aa3b, v12
	v_mul_f32_e32 v13, 0x3fb8aa3b, v13
	v_exp_f32_e32 v12, v12
	v_exp_f32_e32 v13, v13
	s_nop 0
	v_accvgpr_read_b32 v21, a1
	v_accvgpr_read_b32 v20, a0
	v_mul_f32_e32 v14, 0x3fb8aa3b, v14
	v_pk_mul_f32 v[12:13], v[0:1], v[12:13] op_sel_hi:[0,1]
	v_pk_fma_f32 v[46:47], v[46:47], v[12:13], v[20:21]
	ds_read_b64 v[12:13], v27 offset:8192
	v_mul_f32_e32 v15, 0x3fb8aa3b, v15
	v_exp_f32_e32 v14, v14
	v_exp_f32_e32 v15, v15
	v_accvgpr_read_b32 v3, a3
	v_accvgpr_read_b32 v2, a2
	s_waitcnt lgkmcnt(1)
	v_mfma_f32_16x16x16_bf16 a[0:3], v[22:23], v[4:5], 0
	v_pk_mul_f32 v[14:15], v[0:1], v[14:15] op_sel_hi:[0,1]
	v_pk_fma_f32 v[52:53], v[52:53], v[14:15], v[2:3]
	v_add_u32_e32 v2, v28, v24
	v_add_u32_e32 v3, v29, v24
	ds_read_b64 v[14:15], v2 offset:8192
	ds_read_b64 v[20:21], v3 offset:8192
	s_waitcnt lgkmcnt(2)
	v_mfma_f32_16x16x16_bf16 a[0:3], v[12:13], v[6:7], a[0:3]
	s_waitcnt vmcnt(0)
	v_mov_b32_e32 v2, v17
	v_mov_b32_e32 v3, v18
	;; [unrolled: 1-line block ×3, first 2 shown]
	s_waitcnt lgkmcnt(1)
	v_mfma_f32_16x16x16_bf16 a[0:3], v[14:15], v[8:9], a[0:3]
	v_mul_f32_e32 v2, 0x3fb8aa3b, v2
	v_mul_f32_e32 v5, 0x3fb8aa3b, v16
	v_exp_f32_e32 v17, v2
	v_mul_f32_e32 v2, 0x3fb8aa3b, v3
	v_mul_f32_e32 v3, 0x3fb8aa3b, v4
	s_waitcnt lgkmcnt(0)
	v_mfma_f32_16x16x16_bf16 a[0:3], v[20:21], v[10:11], a[0:3]
	v_exp_f32_e32 v16, v5
	v_exp_f32_e32 v2, v2
	;; [unrolled: 1-line block ×3, first 2 shown]
	v_pk_mul_f32 v[6:7], v[0:1], v[16:17] op_sel_hi:[0,1]
	v_pk_mul_f32 v[2:3], v[0:1], v[2:3] op_sel_hi:[0,1]
	s_nop 1
	v_accvgpr_read_b32 v9, a1
	v_accvgpr_read_b32 v5, a3
	;; [unrolled: 1-line block ×4, first 2 shown]
	v_pk_fma_f32 v[50:51], v[50:51], v[6:7], v[8:9]
	v_pk_fma_f32 v[48:49], v[48:49], v[2:3], v[4:5]
	v_mov_b32_e32 v2, v26
.LBB606_77:
	s_lshl_b64 s[0:1], s[24:25], 15
	s_waitcnt lgkmcnt(0)
	s_add_u32 s0, s28, s0
	v_lshlrev_b32_e32 v2, 7, v2
	s_addc_u32 s1, s29, s1
	v_ashrrev_i32_e32 v3, 31, v2
	v_lshl_add_u64 v[2:3], v[2:3], 1, s[0:1]
	v_lshlrev_b32_e32 v0, 1, v1
	v_mov_b32_e32 v1, 0
	s_mov_b32 s0, 0x7060302
	v_lshl_add_u64 v[0:1], v[2:3], 0, v[0:1]
	v_perm_b32 v3, v53, v52, s0
	v_perm_b32 v2, v47, v46, s0
	global_store_dwordx2 v[0:1], v[2:3], off
	v_perm_b32 v3, v49, v48, s0
	v_perm_b32 v2, v51, v50, s0
	global_store_dwordx2 v[0:1], v[2:3], off offset:128
	s_endpgm
	.section	.rodata,"a",@progbits
	.p2align	6, 0x0
	.amdhsa_kernel _ZN12_GLOBAL__N_139chunk_gated_delta_rule_fwd_h_hip_kernelILi16ELb0ELb1ELb0ELb0ELb0ELb1ELb0ELb1EEEvPK12hip_bfloat16S3_S3_PKfS5_PKvPS1_S8_PvPKiSB_iiiiilll
		.amdhsa_group_segment_fixed_size 40960
		.amdhsa_private_segment_fixed_size 0
		.amdhsa_kernarg_size 136
		.amdhsa_user_sgpr_count 2
		.amdhsa_user_sgpr_dispatch_ptr 0
		.amdhsa_user_sgpr_queue_ptr 0
		.amdhsa_user_sgpr_kernarg_segment_ptr 1
		.amdhsa_user_sgpr_dispatch_id 0
		.amdhsa_user_sgpr_kernarg_preload_length 0
		.amdhsa_user_sgpr_kernarg_preload_offset 0
		.amdhsa_user_sgpr_private_segment_size 0
		.amdhsa_uses_dynamic_stack 0
		.amdhsa_enable_private_segment 0
		.amdhsa_system_sgpr_workgroup_id_x 1
		.amdhsa_system_sgpr_workgroup_id_y 1
		.amdhsa_system_sgpr_workgroup_id_z 0
		.amdhsa_system_sgpr_workgroup_info 0
		.amdhsa_system_vgpr_workitem_id 0
		.amdhsa_next_free_vgpr 128
		.amdhsa_next_free_sgpr 66
		.amdhsa_accum_offset 116
		.amdhsa_reserve_vcc 1
		.amdhsa_float_round_mode_32 0
		.amdhsa_float_round_mode_16_64 0
		.amdhsa_float_denorm_mode_32 3
		.amdhsa_float_denorm_mode_16_64 3
		.amdhsa_dx10_clamp 1
		.amdhsa_ieee_mode 1
		.amdhsa_fp16_overflow 0
		.amdhsa_tg_split 0
		.amdhsa_exception_fp_ieee_invalid_op 0
		.amdhsa_exception_fp_denorm_src 0
		.amdhsa_exception_fp_ieee_div_zero 0
		.amdhsa_exception_fp_ieee_overflow 0
		.amdhsa_exception_fp_ieee_underflow 0
		.amdhsa_exception_fp_ieee_inexact 0
		.amdhsa_exception_int_div_zero 0
	.end_amdhsa_kernel
	.section	.text._ZN12_GLOBAL__N_139chunk_gated_delta_rule_fwd_h_hip_kernelILi16ELb0ELb1ELb0ELb0ELb0ELb1ELb0ELb1EEEvPK12hip_bfloat16S3_S3_PKfS5_PKvPS1_S8_PvPKiSB_iiiiilll,"axG",@progbits,_ZN12_GLOBAL__N_139chunk_gated_delta_rule_fwd_h_hip_kernelILi16ELb0ELb1ELb0ELb0ELb0ELb1ELb0ELb1EEEvPK12hip_bfloat16S3_S3_PKfS5_PKvPS1_S8_PvPKiSB_iiiiilll,comdat
.Lfunc_end606:
	.size	_ZN12_GLOBAL__N_139chunk_gated_delta_rule_fwd_h_hip_kernelILi16ELb0ELb1ELb0ELb0ELb0ELb1ELb0ELb1EEEvPK12hip_bfloat16S3_S3_PKfS5_PKvPS1_S8_PvPKiSB_iiiiilll, .Lfunc_end606-_ZN12_GLOBAL__N_139chunk_gated_delta_rule_fwd_h_hip_kernelILi16ELb0ELb1ELb0ELb0ELb0ELb1ELb0ELb1EEEvPK12hip_bfloat16S3_S3_PKfS5_PKvPS1_S8_PvPKiSB_iiiiilll
                                        ; -- End function
	.section	.AMDGPU.csdata,"",@progbits
; Kernel info:
; codeLenInByte = 8328
; NumSgprs: 72
; NumVgprs: 114
; NumAgprs: 12
; TotalNumVgprs: 128
; ScratchSize: 0
; MemoryBound: 0
; FloatMode: 240
; IeeeMode: 1
; LDSByteSize: 40960 bytes/workgroup (compile time only)
; SGPRBlocks: 8
; VGPRBlocks: 15
; NumSGPRsForWavesPerEU: 72
; NumVGPRsForWavesPerEU: 128
; AccumOffset: 116
; Occupancy: 1
; WaveLimiterHint : 1
; COMPUTE_PGM_RSRC2:SCRATCH_EN: 0
; COMPUTE_PGM_RSRC2:USER_SGPR: 2
; COMPUTE_PGM_RSRC2:TRAP_HANDLER: 0
; COMPUTE_PGM_RSRC2:TGID_X_EN: 1
; COMPUTE_PGM_RSRC2:TGID_Y_EN: 1
; COMPUTE_PGM_RSRC2:TGID_Z_EN: 0
; COMPUTE_PGM_RSRC2:TIDIG_COMP_CNT: 0
; COMPUTE_PGM_RSRC3_GFX90A:ACCUM_OFFSET: 28
; COMPUTE_PGM_RSRC3_GFX90A:TG_SPLIT: 0
	.section	.text._ZN12_GLOBAL__N_139chunk_gated_delta_rule_fwd_h_hip_kernelILi16ELb0ELb0ELb1ELb0ELb0ELb1ELb0ELb1EEEvPK12hip_bfloat16S3_S3_PKfS5_PKvPS1_S8_PvPKiSB_iiiiilll,"axG",@progbits,_ZN12_GLOBAL__N_139chunk_gated_delta_rule_fwd_h_hip_kernelILi16ELb0ELb0ELb1ELb0ELb0ELb1ELb0ELb1EEEvPK12hip_bfloat16S3_S3_PKfS5_PKvPS1_S8_PvPKiSB_iiiiilll,comdat
	.globl	_ZN12_GLOBAL__N_139chunk_gated_delta_rule_fwd_h_hip_kernelILi16ELb0ELb0ELb1ELb0ELb0ELb1ELb0ELb1EEEvPK12hip_bfloat16S3_S3_PKfS5_PKvPS1_S8_PvPKiSB_iiiiilll ; -- Begin function _ZN12_GLOBAL__N_139chunk_gated_delta_rule_fwd_h_hip_kernelILi16ELb0ELb0ELb1ELb0ELb0ELb1ELb0ELb1EEEvPK12hip_bfloat16S3_S3_PKfS5_PKvPS1_S8_PvPKiSB_iiiiilll
	.p2align	8
	.type	_ZN12_GLOBAL__N_139chunk_gated_delta_rule_fwd_h_hip_kernelILi16ELb0ELb0ELb1ELb0ELb0ELb1ELb0ELb1EEEvPK12hip_bfloat16S3_S3_PKfS5_PKvPS1_S8_PvPKiSB_iiiiilll,@function
_ZN12_GLOBAL__N_139chunk_gated_delta_rule_fwd_h_hip_kernelILi16ELb0ELb0ELb1ELb0ELb0ELb1ELb0ELb1EEEvPK12hip_bfloat16S3_S3_PKfS5_PKvPS1_S8_PvPKiSB_iiiiilll: ; @_ZN12_GLOBAL__N_139chunk_gated_delta_rule_fwd_h_hip_kernelILi16ELb0ELb0ELb1ELb0ELb0ELb1ELb0ELb1EEEvPK12hip_bfloat16S3_S3_PKfS5_PKvPS1_S8_PvPKiSB_iiiiilll
; %bb.0:
	s_load_dwordx4 s[16:19], s[0:1], 0x5c
	s_load_dwordx4 s[12:15], s[0:1], 0x30
	s_abs_i32 s22, s3
	s_ashr_i32 s21, s3, 31
	s_load_dwordx8 s[4:11], s[0:1], 0x0
	s_waitcnt lgkmcnt(0)
	s_abs_i32 s20, s17
	v_cvt_f32_u32_e32 v1, s20
	s_sub_i32 s24, 0, s20
	s_ashr_i32 s23, s17, 31
	s_xor_b32 s21, s21, s23
	v_rcp_iflag_f32_e32 v1, v1
	v_lshrrev_b32_e32 v61, 6, v0
	v_bfe_u32 v62, v0, 4, 2
	v_lshlrev_b32_e32 v45, 4, v61
	v_mul_f32_e32 v1, 0x4f7ffffe, v1
	v_cvt_u32_f32_e32 v1, v1
	v_lshlrev_b32_e32 v2, 2, v62
	v_and_b32_e32 v60, 63, v0
	v_or_b32_e32 v65, v2, v45
	v_readfirstlane_b32 s25, v1
	s_mul_i32 s24, s24, s25
	s_mul_hi_u32 s24, s25, s24
	s_add_i32 s25, s25, s24
	s_mul_hi_u32 s24, s22, s25
	s_mul_i32 s25, s24, s20
	s_sub_i32 s22, s22, s25
	s_add_i32 s26, s24, 1
	s_sub_i32 s25, s22, s20
	s_cmp_ge_u32 s22, s20
	s_cselect_b32 s24, s26, s24
	s_cselect_b32 s22, s25, s22
	s_add_i32 s25, s24, 1
	s_cmp_ge_u32 s22, s20
	s_cselect_b32 s22, s25, s24
	s_abs_i32 s24, s18
	v_cvt_f32_u32_e32 v1, s24
	s_xor_b32 s22, s22, s21
	s_ashr_i32 s48, s16, 31
	s_sub_i32 s50, s22, s21
	v_rcp_iflag_f32_e32 v1, v1
	s_lshr_b32 s21, s48, 26
	s_add_i32 s21, s16, s21
	s_ashr_i32 s51, s18, 31
	v_mul_f32_e32 v1, 0x4f7ffffe, v1
	v_cvt_u32_f32_e32 v1, v1
	s_ashr_i32 s49, s21, 6
	s_xor_b32 s21, s23, s51
	s_sub_i32 s22, 0, s24
	v_readfirstlane_b32 s23, v1
	s_mul_i32 s22, s22, s23
	s_mul_hi_u32 s22, s23, s22
	s_add_i32 s23, s23, s22
	s_mul_hi_u32 s22, s20, s23
	s_mul_i32 s23, s22, s24
	s_mul_i32 s47, s50, s17
	s_sub_i32 s20, s20, s23
	s_sub_i32 s33, s3, s47
	s_add_i32 s3, s16, 63
	s_add_i32 s23, s22, 1
	s_sub_i32 s25, s20, s24
	s_cmp_ge_u32 s20, s24
	s_cselect_b32 s22, s23, s22
	s_cselect_b32 s20, s25, s20
	s_add_i32 s23, s22, 1
	s_cmp_ge_u32 s20, s24
	s_cselect_b32 s20, s23, s22
	s_xor_b32 s20, s20, s21
	s_sub_i32 s24, s20, s21
	s_abs_i32 s25, s24
	v_cvt_f32_u32_e32 v1, s25
	s_sub_i32 s27, 0, s25
	s_abs_i32 s26, s33
	s_xor_b32 s24, s33, s24
	v_rcp_iflag_f32_e32 v1, v1
	s_ashr_i32 s24, s24, 31
	s_load_dwordx2 s[34:35], s[0:1], 0x80
	s_load_dwordx4 s[20:23], s[0:1], 0x70
	v_mov_b32_e32 v49, 0
	v_mul_f32_e32 v1, 0x4f7ffffe, v1
	v_cvt_u32_f32_e32 v1, v1
	v_or_b32_e32 v66, 64, v65
	s_mul_hi_i32 s53, s50, s17
	v_lshrrev_b32_e32 v64, 3, v60
	v_readfirstlane_b32 s28, v1
	s_mul_i32 s27, s27, s28
	s_mul_hi_u32 s27, s28, s27
	s_add_i32 s28, s28, s27
	s_mul_hi_u32 s27, s26, s28
	s_mul_i32 s28, s27, s25
	s_sub_i32 s26, s26, s28
	s_add_i32 s28, s27, 1
	s_sub_i32 s29, s26, s25
	s_cmp_ge_u32 s26, s25
	s_cselect_b32 s27, s28, s27
	s_cselect_b32 s26, s29, s26
	s_add_i32 s28, s27, 1
	s_cmp_ge_u32 s26, s25
	s_cselect_b32 s25, s28, s27
	s_xor_b32 s25, s25, s24
	s_sub_i32 s54, s25, s24
	s_ashr_i32 s24, s3, 31
	s_lshr_b32 s24, s24, 26
	s_add_i32 s3, s3, s24
	s_ashr_i32 s3, s3, 6
	s_lshl_b32 s36, s2, 4
	s_mul_i32 s52, s50, s3
	v_and_b32_e32 v1, 15, v0
	s_cmp_lt_i32 s16, 64
	v_lshlrev_b32_e32 v63, 3, v0
	s_waitcnt lgkmcnt(0)
	s_mul_i32 s21, s50, s21
	s_mul_hi_u32 s46, s50, s20
	s_mul_i32 s38, s50, s20
	v_mov_b32_e32 v48, v49
	v_mov_b32_e32 v51, v49
	;; [unrolled: 1-line block ×7, first 2 shown]
	s_cbranch_scc1 .LBB607_18
; %bb.1:
	s_ashr_i32 s28, s50, 31
	s_ashr_i32 s56, s33, 31
	s_add_u32 s2, s47, s33
	s_addc_u32 s3, s53, s56
	s_mul_i32 s3, s16, s3
	s_mul_hi_u32 s24, s16, s2
	s_add_i32 s41, s24, s3
	s_mul_i32 s40, s16, s2
	s_lshl_b64 s[2:3], s[40:41], 8
	v_and_b32_e32 v68, 56, v63
	s_add_u32 s24, s6, s2
	v_lshl_or_b32 v67, v61, 3, v64
	v_lshlrev_b32_e32 v3, 1, v68
	s_addc_u32 s2, s7, s3
	v_lshl_or_b32 v69, v67, 8, v3
	s_and_b32 s25, s2, 0xffff
	s_mov_b32 s27, 0x20000
	s_movk_i32 s26, 0x4000
	s_movk_i32 s2, 0x80
	v_or_b32_e32 v70, 0x2000, v69
	buffer_load_dwordx4 v[4:7], v69, s[24:27], 0 offen
	buffer_load_dwordx4 v[8:11], v69, s[24:27], s2 offen
	;; [unrolled: 1-line block ×4, first 2 shown]
	v_lshlrev_b32_e32 v20, 3, v67
	v_and_or_b32 v22, v0, 7, v20
	v_and_b32_e32 v20, 0x78, v20
	v_lshlrev_b32_e32 v22, 4, v22
	v_xor_b32_e32 v71, v22, v20
	v_mul_lo_u32 v21, v67, s19
	v_or_b32_e32 v72, 0x1000, v71
	s_cmpk_eq_i32 s19, 0x80
	s_mov_b32 s55, s18
	v_xor_b32_e32 v20, 8, v71
	v_xor_b32_e32 v22, 8, v72
	s_cselect_b64 s[2:3], -1, 0
	s_cmpk_lg_i32 s19, 0x80
	s_waitcnt vmcnt(3)
	ds_write_b64 v71, v[4:5] offset:16384
	ds_write_b64 v20, v[6:7] offset:16384
	s_waitcnt vmcnt(2)
	ds_write_b64 v71, v[8:9] offset:24576
	ds_write_b64 v20, v[10:11] offset:24576
	;; [unrolled: 3-line block ×4, first 2 shown]
	v_lshl_add_u32 v4, v21, 1, v68
	s_cbranch_scc0 .LBB607_3
; %bb.2:
	v_lshlrev_b32_e32 v6, 1, v4
	v_add_lshl_u32 v5, v4, s19, 1
	s_lshl_b32 s26, s19, 7
	s_load_dwordx2 s[42:43], s[0:1], 0x20
	v_lshl_or_b32 v3, v67, 9, v3
	s_cbranch_execz .LBB607_4
	s_branch .LBB607_5
.LBB607_3:
                                        ; implicit-def: $vgpr5
                                        ; implicit-def: $vgpr6
                                        ; implicit-def: $sgpr26
	s_load_dwordx2 s[42:43], s[0:1], 0x20
	v_lshl_or_b32 v3, v67, 9, v3
.LBB607_4:
	v_or_b32_e32 v5, 0x100, v3
	s_movk_i32 s26, 0x4000
	v_mov_b32_e32 v6, v3
.LBB607_5:
	s_mul_hi_u32 s0, s18, s16
	s_mul_i32 s1, s51, s16
	s_add_i32 s0, s0, s1
	s_mul_i32 s1, s18, s16
	s_mul_i32 s24, s1, s28
	s_mul_hi_u32 s25, s1, s50
	s_add_i32 s24, s25, s24
	s_mul_i32 s0, s0, s50
	s_add_i32 s24, s24, s0
	s_mul_i32 s1, s1, s50
	s_ashr_i32 s57, s54, 31
	s_add_u32 s0, s1, s54
	s_addc_u32 s1, s24, s57
	s_lshl_b64 s[0:1], s[0:1], 8
	s_add_u32 s24, s4, s0
	s_addc_u32 s0, s5, s1
	s_and_b32 s25, s0, 0xffff
	s_movk_i32 s58, 0x80
	buffer_load_dwordx4 v[8:11], v6, s[24:27], 0 offen
	buffer_load_dwordx4 v[12:15], v6, s[24:27], s58 offen
	;; [unrolled: 1-line block ×4, first 2 shown]
	v_and_b32_e32 v5, 6, v0
	s_mul_i32 s0, s28, s16
	s_mul_hi_u32 s1, s50, s16
	v_lshlrev_b32_e32 v7, 2, v1
	v_lshlrev_b32_e32 v24, 3, v1
	v_xor_b32_e32 v26, v67, v5
	v_and_b32_e32 v6, 1, v0
	s_mul_i32 s28, s28, s20
	v_lshl_or_b32 v24, v65, 5, v24
	v_xor_b32_e32 v27, v65, v7
	v_lshlrev_b32_e32 v26, 2, v26
	s_add_i32 s63, s1, s0
	s_add_i32 s0, s46, s21
	v_or_b32_e32 v73, 0x9000, v24
	v_or_b32_e32 v74, 0x9800, v24
	v_lshlrev_b32_e32 v24, 1, v27
	v_xor_b32_e32 v27, 0x440, v26
	v_cmp_eq_u32_e32 vcc, 0, v6
	s_add_i32 s39, s0, s28
	s_mul_i32 s0, s33, s23
	s_mul_hi_u32 s1, s33, s22
	v_cndmask_b32_e32 v6, v27, v26, vcc
	s_add_i32 s0, s1, s0
	s_mul_i32 s1, s56, s22
	s_mov_b32 s61, 0x1000504
	v_lshlrev_b32_e32 v25, 8, v1
	s_mov_b32 s26, 0x8000
	v_xor_b32_e32 v7, v66, v7
	v_lshl_or_b32 v5, v5, 10, v6
	s_add_i32 s1, s0, s1
	s_lshl_b64 s[24:25], s[38:39], 2
	s_mov_b32 s62, 0x3020706
	v_lshlrev_b32_e32 v7, 1, v7
	v_or3_b32 v75, v24, v25, s26
	v_xor_b32_e32 v6, 8, v5
	v_xor_b32_e32 v24, 24, v5
	;; [unrolled: 1-line block ×4, first 2 shown]
	s_mul_i32 s0, s33, s22
	s_add_u32 s24, s10, s24
	v_or3_b32 v76, v7, v25, s26
	v_xor_b32_e32 v7, 16, v5
	v_xor_b32_e32 v25, 32, v5
	;; [unrolled: 1-line block ×3, first 2 shown]
	v_add_u32_e32 v6, 0x80, v6
	v_add_u32_e32 v24, 0x80, v24
	;; [unrolled: 1-line block ×4, first 2 shown]
	s_addc_u32 s25, s11, s25
	s_lshl_b64 s[0:1], s[0:1], 2
	s_add_u32 s44, s24, s0
	s_movk_i32 s0, 0xf8
	s_addc_u32 s45, s25, s1
	s_ashr_i32 s37, s36, 31
	s_lshl_b32 s30, s19, 7
	v_mov_b32_e32 v47, 0
	s_mul_i32 s59, s50, s16
	s_mov_b32 s60, 0
	v_add_u32_e32 v87, v45, v2
	s_mov_b32 s39, 0x7060302
	v_mov_b32_e32 v98, 0x3fb8aa3b
	s_mov_b32 s65, 0
	v_mov_b32_e32 v52, v47
	v_mov_b32_e32 v53, v47
	;; [unrolled: 1-line block ×6, first 2 shown]
	s_waitcnt vmcnt(1)
	v_perm_b32 v29, v8, v16, s61
	s_waitcnt vmcnt(0)
	v_perm_b32 v30, v12, v20, s61
	v_perm_b32 v8, v8, v16, s62
	;; [unrolled: 1-line block ×15, first 2 shown]
	ds_write2st64_b32 v5, v29, v30 offset1:32
	ds_write2st64_b32 v6, v8, v12 offset1:32
	ds_write2st64_b32 v7, v16, v20 offset0:1 offset1:33
	ds_write2st64_b32 v24, v9, v13 offset0:1 offset1:33
	;; [unrolled: 1-line block ×6, first 2 shown]
	v_or_b32_e32 v5, v45, v1
	v_lshlrev_b32_e32 v5, 3, v5
	v_lshrrev_b32_e32 v7, 5, v60
	v_and_or_b32 v7, v5, s0, v7
	v_lshlrev_b32_e32 v7, 4, v7
	v_lshrrev_b32_e32 v6, 2, v60
	v_lshlrev_b32_e32 v11, 11, v61
	v_and_b32_e32 v5, 0x78, v5
	v_or_b32_e32 v12, 32, v7
	v_and_b32_e32 v10, 12, v6
	v_and_b32_e32 v6, 0x1000, v11
	v_lshrrev_b32_e32 v9, 1, v60
	v_xor_b32_e32 v12, v12, v5
	v_and_b32_e32 v9, 8, v9
	v_or_b32_e32 v12, v12, v6
	v_xor_b32_e32 v8, v7, v5
	v_xor_b32_e32 v79, v12, v9
	v_or_b32_e32 v12, 64, v7
	v_or_b32_e32 v7, 0x60, v7
	v_xor_b32_e32 v12, v12, v5
	v_xor_b32_e32 v5, v7, v5
	v_or_b32_e32 v5, v5, v6
	v_or_b32_e32 v12, v12, v6
	v_xor_b32_e32 v81, v5, v9
	v_lshlrev_b32_e32 v5, 1, v1
	v_xor_b32_e32 v80, v12, v9
	v_lshlrev_b32_e32 v12, 1, v4
	v_add_lshl_u32 v13, v4, s19, 1
	v_lshrrev_b32_e32 v4, 4, v0
	s_lshl_b64 s[0:1], s[36:37], 8
	v_or_b32_e32 v15, 1, v5
	s_add_u32 s0, s12, s0
	v_xor_b32_e32 v5, v4, v5
	v_xor_b32_e32 v15, v15, v4
	s_addc_u32 s1, s13, s1
	v_lshlrev_b32_e32 v5, 3, v5
	v_lshlrev_b32_e32 v46, 8, v4
	;; [unrolled: 1-line block ×3, first 2 shown]
	v_lshrrev_b32_e32 v19, 1, v0
	v_or3_b32 v83, v5, v46, s26
	v_or3_b32 v84, v4, v46, s26
	v_lshl_add_u64 v[4:5], s[0:1], 0, v[46:47]
	v_lshlrev_b32_e32 v46, 4, v1
	s_movk_i32 s0, 0xff
	v_lshlrev_b32_e32 v18, 3, v61
	v_and_b32_e32 v19, 24, v19
	v_lshl_add_u64 v[54:55], v[4:5], 0, v[46:47]
	v_and_b32_e32 v5, 8, v0
	v_cmp_lt_u32_e32 vcc, s0, v0
	v_xor_b32_e32 v20, v18, v19
	v_or_b32_e32 v21, 0x440, v20
	v_cndmask_b32_e64 v17, 0, 1, vcc
	v_cmp_eq_u32_e32 vcc, 0, v5
	v_or_b32_e32 v23, 64, v19
	v_xor_b32_e32 v23, v18, v23
	v_cndmask_b32_e32 v5, v21, v20, vcc
	v_or_b32_e32 v21, 32, v19
	v_or_b32_e32 v19, 0x60, v19
	v_xor_b32_e32 v21, v18, v21
	v_xor_b32_e32 v18, v18, v19
	v_or_b32_e32 v22, 0x440, v21
	v_xor_b32_e32 v24, 0x440, v23
	v_xor_b32_e32 v19, 0x440, v18
	v_or_b32_e32 v8, v8, v6
	v_or_b32_e32 v6, s36, v1
	v_and_b32_e32 v4, 7, v0
	v_cndmask_b32_e32 v21, v22, v21, vcc
	v_cndmask_b32_e32 v23, v24, v23, vcc
	;; [unrolled: 1-line block ×3, first 2 shown]
	v_xor_b32_e32 v77, v8, v9
	v_and_b32_e32 v8, 0x78, v63
	v_ashrrev_i32_e32 v7, 31, v6
	v_lshlrev_b32_e32 v15, 3, v4
	v_or_b32_e32 v5, v5, v11
	v_or_b32_e32 v21, v21, v11
	;; [unrolled: 1-line block ×4, first 2 shown]
	v_lshl_or_b32 v8, v62, 7, v8
	v_lshlrev_b64 v[6:7], 1, v[6:7]
	v_lshlrev_b32_e32 v17, 13, v17
	v_xor_b32_e32 v5, v5, v15
	v_xor_b32_e32 v21, v21, v15
	;; [unrolled: 1-line block ×4, first 2 shown]
	v_or_b32_e32 v78, 0x9000, v8
	v_or_b32_e32 v82, 0x9800, v8
	v_lshl_add_u64 v[8:9], s[8:9], 0, v[6:7]
	v_lshl_add_u64 v[6:7], s[14:15], 0, v[6:7]
	v_or_b32_e32 v14, 0x100, v3
	v_lshlrev_b32_e32 v16, 7, v4
	v_or_b32_e32 v4, v10, v45
	v_add_u32_e32 v20, v17, v5
	v_add_u32_e32 v22, v17, v21
	;; [unrolled: 1-line block ×4, first 2 shown]
	v_or3_b32 v10, v45, v10, 64
	v_add_u32_e32 v5, 0x2000, v5
	v_add_u32_e32 v17, 0x2000, v21
	v_add_u32_e32 v18, 0x2000, v23
	v_add_u32_e32 v11, 0x2000, v11
	v_lshlrev_b32_e32 v46, 8, v65
	v_cndmask_b32_e64 v85, v12, v3, s[2:3]
	v_cndmask_b32_e64 v86, v13, v14, s[2:3]
	v_lshl_add_u64 v[56:57], v[8:9], 0, v[46:47]
	v_lshl_add_u64 v[58:59], v[6:7], 0, v[46:47]
	s_add_i32 s37, s59, 63
	s_movk_i32 s26, 0x4000
	v_lshlrev_b32_e32 v88, 2, v4
	v_add_u32_e32 v89, v20, v16
	v_add_u32_e32 v90, v22, v16
	;; [unrolled: 1-line block ×4, first 2 shown]
	v_lshlrev_b32_e32 v93, 2, v10
	v_add_u32_e32 v94, v5, v16
	v_add_u32_e32 v95, v17, v16
	;; [unrolled: 1-line block ×4, first 2 shown]
	v_mov_b32_e32 v46, v47
	s_waitcnt lgkmcnt(0)
	s_barrier
.LBB607_6:                              ; =>This Inner Loop Header: Depth=1
	s_add_i32 s64, s65, 1
	s_cmp_lt_i32 s64, s49
	s_mov_b64 s[28:29], 0
	s_cselect_b64 s[2:3], -1, 0
	s_cmp_ge_i32 s64, s49
	s_mov_b64 s[24:25], 0
	s_cbranch_scc1 .LBB607_8
; %bb.7:                                ;   in Loop: Header=BB607_6 Depth=1
	s_add_i32 s0, s60, 64
	s_add_u32 s0, s40, s0
	s_addc_u32 s1, s41, 0
	s_lshl_b64 s[0:1], s[0:1], 8
	s_add_u32 s24, s6, s0
	s_addc_u32 s25, s7, s1
.LBB607_8:                              ;   in Loop: Header=BB607_6 Depth=1
	v_cndmask_b32_e64 v2, 0, 1, s[2:3]
	v_cmp_ne_u32_e64 s[0:1], 1, v2
	s_andn2_b64 vcc, exec, s[2:3]
	s_cbranch_vccnz .LBB607_10
; %bb.9:                                ;   in Loop: Header=BB607_6 Depth=1
	s_add_i32 s2, s60, 64
	s_add_u32 s2, s59, s2
	s_addc_u32 s3, s63, 0
	s_mul_i32 s28, s2, s51
	s_mul_hi_u32 s29, s2, s55
	s_add_i32 s28, s29, s28
	s_mul_i32 s3, s3, s55
	s_add_i32 s28, s28, s3
	s_mul_i32 s2, s2, s55
	s_add_u32 s2, s2, s54
	s_addc_u32 s3, s28, s57
	s_lshl_b64 s[2:3], s[2:3], 8
	s_add_u32 s28, s4, s2
	s_addc_u32 s29, s5, s3
.LBB607_10:                             ;   in Loop: Header=BB607_6 Depth=1
	v_perm_b32 v3, v53, v52, s39
	v_perm_b32 v2, v47, v46, s39
	v_perm_b32 v5, v49, v48, s39
	v_perm_b32 v4, v51, v50, s39
	ds_write_b64 v73, v[2:3]
	ds_write_b64 v74, v[4:5]
	;; [unrolled: 1-line block ×4, first 2 shown]
	s_waitcnt lgkmcnt(0)
	s_barrier
	ds_read_b64 v[10:11], v77 offset:16384
	ds_read_b64 v[12:13], v79 offset:16384
	ds_read2st64_b64 v[2:5], v78 offset1:1
	ds_read2st64_b64 v[6:9], v78 offset0:2 offset1:3
	ds_read_b64 v[14:15], v80 offset:16384
	s_waitcnt lgkmcnt(2)
	v_mfma_f32_16x16x16_bf16 a[0:3], v[10:11], v[2:3], 0
	ds_read_b64 v[2:3], v81 offset:16384
	s_add_i32 s2, s60, 63
	s_mul_i32 s3, s2, s35
	v_mfma_f32_16x16x16_bf16 a[0:3], v[12:13], v[4:5], a[0:3]
	s_mul_hi_u32 s31, s2, s34
	s_add_i32 s3, s31, s3
	s_mul_i32 s2, s2, s34
	s_waitcnt lgkmcnt(1)
	v_mfma_f32_16x16x16_bf16 a[0:3], v[14:15], v[6:7], a[0:3]
	s_lshl_b64 s[2:3], s[2:3], 2
	s_add_u32 s2, s44, s2
	s_addc_u32 s3, s45, s3
	s_waitcnt lgkmcnt(0)
	v_mfma_f32_16x16x16_bf16 a[0:3], v[2:3], v[8:9], a[0:3]
	s_and_b64 vcc, exec, s[0:1]
	v_mov_b32_e32 v101, 0
	v_mov_b32_e32 v100, 0
	;; [unrolled: 1-line block ×19, first 2 shown]
	s_cbranch_vccnz .LBB607_12
; %bb.11:                               ;   in Loop: Header=BB607_6 Depth=1
	s_and_b32 s25, s25, 0xffff
	buffer_load_dwordx4 v[14:17], v69, s[24:27], 0 offen
	buffer_load_dwordx4 v[10:13], v69, s[24:27], s58 offen
	;; [unrolled: 1-line block ×4, first 2 shown]
	v_mov_b32_e32 v100, v71
	v_mov_b32_e32 v99, v72
.LBB607_12:                             ;   in Loop: Header=BB607_6 Depth=1
	v_add_u32_e32 v24, s60, v87
	v_ashrrev_i32_e32 v18, 31, v24
	v_mul_lo_u32 v20, v18, s34
	v_mul_lo_u32 v21, v24, s35
	v_mad_u64_u32 v[18:19], s[24:25], v24, s34, 0
	v_add3_u32 v19, v19, v21, v20
	v_add_u32_e32 v20, 1, v24
	v_ashrrev_i32_e32 v21, 31, v20
	v_mul_lo_u32 v22, v21, s34
	v_mul_lo_u32 v23, v20, s35
	v_mad_u64_u32 v[20:21], s[24:25], v20, s34, 0
	v_add3_u32 v21, v21, v23, v22
	v_add_u32_e32 v22, 2, v24
	v_ashrrev_i32_e32 v23, 31, v22
	v_mul_lo_u32 v25, v23, s34
	v_mul_lo_u32 v26, v22, s35
	v_mad_u64_u32 v[22:23], s[24:25], v22, s34, 0
	s_add_u32 s24, s40, s60
	v_add3_u32 v23, v23, v26, v25
	v_add_u32_e32 v26, 3, v24
	s_addc_u32 s25, s41, 0
	v_ashrrev_i32_e32 v24, 31, v26
	s_lshl_b64 s[24:25], s[24:25], 8
	v_lshl_add_u64 v[18:19], v[18:19], 2, s[44:45]
	v_mul_lo_u32 v27, v24, s34
	v_lshl_add_u64 v[24:25], v[56:57], 0, s[24:25]
	v_mul_lo_u32 v28, v26, s35
	global_load_ushort v34, v[24:25], off
	global_load_ushort v35, v[24:25], off offset:256
	global_load_ushort v36, v[24:25], off offset:512
	;; [unrolled: 1-line block ×3, first 2 shown]
	global_load_dword v38, v[18:19], off
	v_mad_u64_u32 v[18:19], s[66:67], v26, s34, 0
	v_lshl_add_u64 v[20:21], v[20:21], 2, s[44:45]
	v_add3_u32 v19, v19, v28, v27
	v_lshl_add_u64 v[22:23], v[22:23], 2, s[44:45]
	v_lshl_add_u64 v[18:19], v[18:19], 2, s[44:45]
	global_load_dword v39, v[20:21], off
	global_load_dword v40, v[22:23], off
	;; [unrolled: 1-line block ×3, first 2 shown]
	ds_read_b64 v[18:19], v77 offset:24576
	s_load_dword s2, s[2:3], 0x0
	ds_read_b64 v[28:29], v79 offset:24576
	ds_read2st64_b64 v[20:23], v82 offset1:1
	ds_read2st64_b64 v[24:27], v82 offset0:2 offset1:3
	ds_read_b64 v[30:31], v80 offset:24576
	ds_read_b64 v[32:33], v81 offset:24576
	s_waitcnt lgkmcnt(0)
	v_mfma_f32_16x16x16_bf16 a[0:3], v[18:19], v[20:21], a[0:3]
	v_mov_b32_e32 v102, 0
	v_mov_b32_e32 v18, 0
	;; [unrolled: 1-line block ×3, first 2 shown]
	v_mfma_f32_16x16x16_bf16 a[0:3], v[28:29], v[22:23], a[0:3]
	v_lshl_add_u64 v[28:29], v[58:59], 0, s[24:25]
	v_mov_b32_e32 v20, 0
	v_mov_b32_e32 v21, 0
	v_mfma_f32_16x16x16_bf16 a[0:3], v[30:31], v[24:25], a[0:3]
	v_mov_b32_e32 v22, 0
	v_mov_b32_e32 v23, 0
	;; [unrolled: 1-line block ×3, first 2 shown]
	v_mfma_f32_16x16x16_bf16 a[0:3], v[32:33], v[26:27], a[0:3]
	s_and_b64 vcc, exec, s[0:1]
	s_waitcnt vmcnt(7)
	v_lshlrev_b32_e32 v32, 16, v34
	s_nop 3
	v_accvgpr_read_b32 v31, a1
	v_accvgpr_read_b32 v27, a3
	;; [unrolled: 1-line block ×4, first 2 shown]
	s_waitcnt vmcnt(6)
	v_lshlrev_b32_e32 v33, 16, v35
	s_waitcnt vmcnt(4)
	v_lshlrev_b32_e32 v35, 16, v37
	v_lshlrev_b32_e32 v34, 16, v36
	s_waitcnt vmcnt(3)
	v_sub_f32_e32 v25, s2, v38
	v_pk_add_f32 v[30:31], v[32:33], v[30:31] neg_lo:[0,1] neg_hi:[0,1]
	v_pk_add_f32 v[26:27], v[34:35], v[26:27] neg_lo:[0,1] neg_hi:[0,1]
	v_mul_f32_e32 v25, 0x3fb8aa3b, v25
	s_waitcnt vmcnt(2)
	v_sub_f32_e32 v33, s2, v39
	s_waitcnt vmcnt(1)
	v_sub_f32_e32 v34, s2, v40
	;; [unrolled: 2-line block ×3, first 2 shown]
	v_exp_f32_e32 v32, v25
	v_mul_f32_e32 v25, 0x3fb8aa3b, v33
	v_mul_f32_e32 v34, 0x3fb8aa3b, v34
	;; [unrolled: 1-line block ×3, first 2 shown]
	v_exp_f32_e32 v33, v25
	v_exp_f32_e32 v34, v34
	v_exp_f32_e32 v35, v35
	global_store_short_d16_hi v[28:29], v30, off
	global_store_short_d16_hi v[28:29], v31, off offset:256
	global_store_short_d16_hi v[28:29], v26, off offset:512
	;; [unrolled: 1-line block ×3, first 2 shown]
	v_pk_mul_f32 v[28:29], v[32:33], v[30:31]
	v_pk_mul_f32 v[26:27], v[34:35], v[26:27]
	v_mov_b32_e32 v25, 0
	v_perm_b32 v27, v27, v26, s39
	v_perm_b32 v26, v29, v28, s39
	ds_write_b64 v74, v[26:27]
	v_mov_b32_e32 v26, 0
	v_mov_b32_e32 v27, 0
	;; [unrolled: 1-line block ×8, first 2 shown]
	s_cbranch_vccnz .LBB607_14
; %bb.13:                               ;   in Loop: Header=BB607_6 Depth=1
	s_and_b32 s29, s29, 0xffff
	s_mov_b32 s31, s27
	buffer_load_dwordx4 v[30:33], v85, s[28:31], 0 offen
	buffer_load_dwordx4 v[22:25], v85, s[28:31], s58 offen
	;; [unrolled: 1-line block ×4, first 2 shown]
	v_mov_b32_e32 v101, v68
	v_mov_b32_e32 v102, v67
.LBB607_14:                             ;   in Loop: Header=BB607_6 Depth=1
	s_waitcnt lgkmcnt(0)
	s_barrier
	ds_read_b64 v[34:35], v89
	ds_read_b64 v[40:41], v90
	ds_read2st64_b64 v[36:39], v82 offset1:1
	ds_read2st64_b64 v[104:107], v82 offset0:2 offset1:3
	ds_read_b64 v[42:43], v91
	ds_read_b64 v[112:113], v92
	s_add_i32 s3, s52, s65
	s_mul_hi_i32 s25, s3, s17
	s_mul_i32 s3, s3, s17
	s_waitcnt lgkmcnt(3)
	v_mfma_f32_16x16x16_bf16 a[0:3], v[34:35], v[36:37], 0
	ds_read_b64 v[34:35], v94
	s_add_u32 s24, s3, s33
	s_addc_u32 s25, s25, s56
	s_add_i32 s3, s37, s60
	v_mfma_f32_16x16x16_bf16 a[0:3], v[40:41], v[38:39], a[0:3]
	ds_read_b64 v[40:41], v95
	s_lshl_b64 s[24:25], s[24:25], 15
	s_mul_hi_i32 s29, s3, s17
	s_mul_i32 s3, s3, s17
	s_add_u32 s28, s3, s33
	s_addc_u32 s29, s29, s56
	s_lshl_b64 s[28:29], s[28:29], 9
	s_add_u32 s28, s42, s28
	s_waitcnt lgkmcnt(1)
	v_mfma_f32_16x16x16_bf16 a[4:7], v[34:35], v[36:37], 0
	s_addc_u32 s29, s43, s29
	s_and_b64 vcc, exec, s[0:1]
	v_mfma_f32_16x16x16_bf16 a[0:3], v[42:43], v[104:105], a[0:3]
	ds_read_b64 v[42:43], v96
	ds_read_b64 v[114:115], v97
	global_load_dwordx4 v[34:37], v93, s[28:29]
	s_waitcnt lgkmcnt(2)
	v_mfma_f32_16x16x16_bf16 a[4:7], v[40:41], v[38:39], a[4:7]
	global_load_dwordx4 v[38:41], v88, s[28:29]
	ds_read_b64 v[108:109], v83
	ds_read_b64 v[110:111], v84
	s_waitcnt lgkmcnt(3)
	v_mfma_f32_16x16x16_bf16 a[8:11], v[42:43], v[104:105], a[4:7]
	v_lshl_add_u64 v[42:43], v[54:55], 0, s[24:25]
	s_waitcnt lgkmcnt(0)
	global_store_dwordx4 v[42:43], v[108:111], off
	v_mfma_f32_16x16x16_bf16 a[4:7], v[112:113], v[106:107], a[0:3]
	s_waitcnt vmcnt(2)
	v_mov_b32_e32 v44, v37
	v_mfma_f32_16x16x16_bf16 a[0:3], v[114:115], v[106:107], a[8:11]
	v_mov_b32_e32 v43, v36
	v_mov_b32_e32 v42, v35
	s_cbranch_vccnz .LBB607_16
; %bb.15:                               ;   in Loop: Header=BB607_6 Depth=1
	v_lshrrev_b32_e32 v35, 3, v101
	v_and_b32_e32 v35, 6, v35
	v_xor_b32_e32 v36, v35, v102
	v_lshlrev_b32_e32 v36, 2, v36
	v_and_b32_e32 v37, 8, v101
	v_xor_b32_e32 v101, 0x440, v36
	v_cmp_eq_u32_e32 vcc, 0, v37
	v_perm_b32 v37, v22, v18, s61
	s_nop 0
	v_cndmask_b32_e32 v36, v101, v36, vcc
	v_lshl_or_b32 v35, v35, 10, v36
	v_perm_b32 v36, v30, v26, s61
	s_barrier
	ds_write2st64_b32 v35, v36, v37 offset1:32
	v_xor_b32_e32 v36, 8, v35
	v_perm_b32 v26, v30, v26, s62
	v_perm_b32 v18, v22, v18, s62
	v_add_u32_e32 v22, 0x80, v36
	ds_write2st64_b32 v22, v26, v18 offset1:32
	v_xor_b32_e32 v18, 16, v35
	v_perm_b32 v22, v31, v27, s61
	v_perm_b32 v26, v23, v19, s61
	ds_write2st64_b32 v18, v22, v26 offset0:1 offset1:33
	v_xor_b32_e32 v18, 24, v35
	v_perm_b32 v22, v31, v27, s62
	v_perm_b32 v19, v23, v19, s62
	v_add_u32_e32 v18, 0x80, v18
	ds_write2st64_b32 v18, v22, v19 offset0:1 offset1:33
	v_xor_b32_e32 v18, 32, v35
	v_perm_b32 v19, v32, v28, s61
	v_perm_b32 v22, v24, v20, s61
	ds_write2st64_b32 v18, v19, v22 offset0:2 offset1:34
	v_xor_b32_e32 v18, 40, v35
	v_perm_b32 v19, v32, v28, s62
	v_perm_b32 v20, v24, v20, s62
	v_add_u32_e32 v18, 0x80, v18
	ds_write2st64_b32 v18, v19, v20 offset0:2 offset1:34
	;; [unrolled: 9-line block ×3, first 2 shown]
	ds_write_b64 v100, v[14:15] offset:16384
	v_xor_b32_e32 v14, 8, v100
	ds_write_b64 v14, v[16:17] offset:16384
	ds_write_b64 v100, v[10:11] offset:24576
	;; [unrolled: 1-line block ×4, first 2 shown]
	v_xor_b32_e32 v6, 8, v99
	ds_write_b64 v6, v[8:9] offset:16384
	ds_write_b64 v99, v[2:3] offset:24576
	;; [unrolled: 1-line block ×3, first 2 shown]
.LBB607_16:                             ;   in Loop: Header=BB607_6 Depth=1
	v_mul_f32_e32 v6, s2, v98
	v_exp_f32_e32 v10, v6
	s_waitcnt vmcnt(1)
	v_mul_f32_e32 v6, 0x3fb8aa3b, v38
	v_exp_f32_e32 v12, v6
	v_mul_f32_e32 v6, 0x3fb8aa3b, v39
	v_exp_f32_e32 v13, v6
	;; [unrolled: 2-line block ×4, first 2 shown]
	v_accvgpr_read_b32 v2, a4
	v_accvgpr_read_b32 v3, a5
	v_pk_mul_f32 v[12:13], v[10:11], v[12:13] op_sel_hi:[0,1]
	v_pk_fma_f32 v[46:47], v[46:47], v[12:13], v[2:3]
	v_pk_mul_f32 v[2:3], v[10:11], v[14:15] op_sel_hi:[0,1]
	v_mul_f32_e32 v11, 0x3fb8aa3b, v34
	v_exp_f32_e32 v12, v11
	v_mul_f32_e32 v11, 0x3fb8aa3b, v42
	v_exp_f32_e32 v13, v11
	;; [unrolled: 2-line block ×4, first 2 shown]
	v_accvgpr_read_b32 v4, a6
	v_accvgpr_read_b32 v5, a7
	;; [unrolled: 1-line block ×5, first 2 shown]
	v_pk_fma_f32 v[52:53], v[52:53], v[2:3], v[4:5]
	v_pk_mul_f32 v[2:3], v[10:11], v[12:13] op_sel_hi:[0,1]
	v_accvgpr_read_b32 v8, a2
	v_pk_fma_f32 v[50:51], v[50:51], v[2:3], v[6:7]
	v_pk_mul_f32 v[2:3], v[10:11], v[14:15] op_sel_hi:[0,1]
	s_add_i32 s60, s60, 64
	s_cmp_eq_u32 s49, s64
	v_pk_fma_f32 v[48:49], v[48:49], v[2:3], v[8:9]
	s_cbranch_scc1 .LBB607_18
; %bb.17:                               ;   in Loop: Header=BB607_6 Depth=1
	s_mov_b32 s65, s64
	s_branch .LBB607_6
.LBB607_18:
	s_lshl_b32 s42, s49, 6
	s_sub_i32 s43, s16, s42
	s_cmp_gt_i32 s43, 0
	s_cbranch_scc0 .LBB607_75
; %bb.19:
	s_ashr_i32 s39, s50, 31
	s_ashr_i32 s2, s42, 31
	s_cmpk_lg_i32 s19, 0x80
	s_cselect_b64 s[30:31], -1, 0
	s_and_b64 vcc, exec, s[30:31]
	s_cbranch_vccz .LBB607_21
; %bb.20:
	s_mul_i32 s1, s50, s16
	s_mul_hi_i32 s0, s50, s16
	s_add_u32 s1, s1, s42
	s_addc_u32 s0, s0, s2
	s_mul_i32 s3, s1, s51
	s_mul_hi_u32 s24, s1, s18
	s_add_i32 s3, s24, s3
	s_mul_i32 s0, s0, s18
	s_add_i32 s3, s3, s0
	s_mul_i32 s1, s1, s18
	s_ashr_i32 s0, s54, 31
	s_add_u32 s40, s1, s54
	s_addc_u32 s41, s3, s0
	s_cbranch_execz .LBB607_22
	s_branch .LBB607_23
.LBB607_21:
                                        ; implicit-def: $sgpr40_sgpr41
.LBB607_22:
	s_mul_hi_i32 s0, s50, s18
	s_mul_i32 s50, s50, s18
	s_ashr_i32 s1, s54, 31
	s_add_u32 s3, s50, s54
	s_addc_u32 s0, s0, s1
	s_mul_i32 s1, s3, s48
	s_mul_hi_u32 s18, s3, s16
	s_add_i32 s1, s18, s1
	s_mul_i32 s0, s0, s16
	s_add_i32 s1, s1, s0
	s_mul_i32 s3, s3, s16
	s_add_u32 s40, s3, s42
	s_addc_u32 s41, s1, s2
.LBB607_23:
	s_add_i32 s3, s52, s49
	s_ashr_i32 s18, s33, 31
	s_add_u32 s0, s47, s33
	s_addc_u32 s1, s53, s18
	s_mul_i32 s24, s0, s48
	s_mul_hi_u32 s25, s0, s16
	s_add_i32 s24, s25, s24
	s_mul_i32 s1, s1, s16
	s_add_i32 s24, s24, s1
	s_mul_i32 s0, s0, s16
	s_add_u32 s0, s0, s42
	s_addc_u32 s1, s24, s2
	s_mov_b32 s2, 0x7060302
	v_lshlrev_b32_e32 v6, 3, v1
	s_lshl_b64 s[28:29], s[0:1], 8
	v_perm_b32 v3, v53, v52, s2
	v_perm_b32 v2, v47, v46, s2
	;; [unrolled: 1-line block ×4, first 2 shown]
	v_lshlrev_b32_e32 v34, 2, v1
	v_lshl_or_b32 v6, v65, 5, v6
	s_add_u32 s0, s6, s28
	ds_write2st64_b64 v6, v[2:3], v[4:5] offset0:72 offset1:76
	v_xor_b32_e32 v6, v65, v34
	v_lshlrev_b32_e32 v7, 8, v1
	s_addc_u32 s1, s7, s29
	v_lshl_or_b32 v6, v6, 1, v7
	s_mul_hi_i32 s6, s3, s17
	s_mul_i32 s3, s3, s17
	ds_write_b64 v6, v[2:3] offset:32768
	v_xor_b32_e32 v2, v66, v34
	s_add_u32 s2, s3, s33
	v_lshl_or_b32 v2, v2, 1, v7
	s_addc_u32 s3, s6, s18
	v_lshlrev_b32_e32 v3, 1, v1
	ds_write_b64 v2, v[4:5] offset:32768
	v_lshrrev_b32_e32 v2, 4, v0
	s_ashr_i32 s37, s36, 31
	s_lshl_b64 s[2:3], s[2:3], 15
	v_or_b32_e32 v4, 1, v3
	s_add_u32 s6, s12, s2
	v_xor_b32_e32 v3, v2, v3
	v_xor_b32_e32 v4, v4, v2
	v_lshlrev_b32_e32 v6, 8, v2
	s_addc_u32 s7, s13, s3
	s_lshl_b64 s[2:3], s[36:37], 8
	v_lshl_or_b32 v2, v3, 3, v6
	v_lshl_or_b32 v4, v4, 3, v6
	s_waitcnt lgkmcnt(0)
	s_barrier
	s_add_u32 s2, s6, s2
	ds_read_b64 v[2:3], v2 offset:32768
	ds_read_b64 v[4:5], v4 offset:32768
	s_addc_u32 s3, s7, s3
	v_mov_b32_e32 v7, 0
	s_cmp_lg_u32 s43, 64
	v_lshl_add_u64 v[8:9], s[2:3], 0, v[6:7]
	v_lshlrev_b32_e32 v6, 4, v1
	s_cselect_b64 s[6:7], -1, 0
	v_lshl_or_b32 v35, v61, 3, v64
	s_mov_b32 s24, 0
	v_lshl_add_u64 v[6:7], v[8:9], 0, v[6:7]
	v_or_b32_e32 v19, 32, v35
	v_and_b32_e32 v18, 56, v63
	s_and_b64 vcc, exec, s[6:7]
	s_waitcnt lgkmcnt(0)
	global_store_dwordx4 v[6:7], v[2:5], off
	s_cbranch_vccz .LBB607_29
; %bb.24:
	s_mov_b32 s25, s24
	s_mov_b32 s26, s24
	;; [unrolled: 1-line block ×3, first 2 shown]
	v_mov_b64_e32 v[6:7], s[24:25]
	v_mov_b64_e32 v[8:9], s[26:27]
	;; [unrolled: 1-line block ×3, first 2 shown]
	v_cmp_gt_i32_e32 vcc, s43, v35
	v_mov_b64_e32 v[4:5], v[8:9]
	s_and_saveexec_b64 s[2:3], vcc
	s_cbranch_execz .LBB607_26
; %bb.25:
	v_lshlrev_b32_e32 v2, 8, v35
	v_mov_b32_e32 v3, 0
	v_lshl_add_u64 v[4:5], s[0:1], 0, v[2:3]
	v_lshlrev_b32_e32 v2, 1, v18
	v_lshl_add_u64 v[10:11], v[4:5], 0, v[2:3]
	global_load_dwordx4 v[6:9], v[10:11], off
	global_load_dwordx4 v[2:5], v[10:11], off offset:128
.LBB607_26:
	s_or_b64 exec, exec, s[2:3]
	s_mov_b32 s25, s24
	s_mov_b32 s26, s24
	;; [unrolled: 1-line block ×3, first 2 shown]
	v_mov_b64_e32 v[14:15], s[24:25]
	v_mov_b64_e32 v[16:17], s[26:27]
	;; [unrolled: 1-line block ×3, first 2 shown]
	v_cmp_gt_i32_e32 vcc, s43, v19
	v_lshlrev_b32_e32 v20, 7, v19
	v_mov_b64_e32 v[12:13], v[16:17]
	s_and_saveexec_b64 s[2:3], vcc
	s_cbranch_execz .LBB607_28
; %bb.27:
	v_lshlrev_b32_e32 v10, 1, v20
	v_mov_b32_e32 v11, 0
	v_lshl_add_u64 v[12:13], s[0:1], 0, v[10:11]
	v_lshlrev_b32_e32 v10, 1, v18
	v_lshl_add_u64 v[22:23], v[12:13], 0, v[10:11]
	global_load_dwordx4 v[14:17], v[22:23], off
	global_load_dwordx4 v[10:13], v[22:23], off offset:128
.LBB607_28:
	s_or_b64 exec, exec, s[2:3]
	v_lshrrev_b32_e32 v21, 3, v18
	v_lshlrev_b32_e32 v22, 3, v35
	v_or_b32_e32 v21, v22, v21
	v_lshlrev_b32_e32 v21, 4, v21
	v_and_b32_e32 v22, 0x78, v22
	v_xor_b32_e32 v21, v21, v22
	s_branch .LBB607_31
.LBB607_29:
                                        ; implicit-def: $vgpr21
                                        ; implicit-def: $vgpr20
                                        ; implicit-def: $vgpr6_vgpr7_vgpr8_vgpr9
                                        ; implicit-def: $vgpr2_vgpr3_vgpr4_vgpr5
                                        ; implicit-def: $vgpr14_vgpr15_vgpr16_vgpr17
                                        ; implicit-def: $vgpr10_vgpr11_vgpr12_vgpr13
	s_cbranch_execz .LBB607_31
; %bb.30:
	s_waitcnt vmcnt(0)
	v_lshlrev_b32_e32 v2, 1, v18
	v_lshl_or_b32 v20, v35, 8, v2
	s_and_b32 s1, s1, 0xffff
	s_mov_b32 s3, 0x20000
	s_movk_i32 s2, 0x4000
	v_lshl_or_b32 v21, v19, 8, v2
	s_movk_i32 s12, 0x80
	buffer_load_dwordx4 v[6:9], v20, s[0:3], 0 offen
	buffer_load_dwordx4 v[2:5], v20, s[0:3], s12 offen
	;; [unrolled: 1-line block ×4, first 2 shown]
	v_lshrrev_b32_e32 v20, 3, v18
	v_lshlrev_b32_e32 v21, 3, v35
	v_or_b32_e32 v20, v21, v20
	v_lshlrev_b32_e32 v20, 4, v20
	v_and_b32_e32 v21, 0x78, v21
	v_xor_b32_e32 v21, v20, v21
	v_lshlrev_b32_e32 v20, 7, v19
.LBB607_31:
	s_lshl_b64 s[0:1], s[40:41], 8
	s_add_u32 s4, s4, s0
	s_movk_i32 s0, 0x1000
	v_and_or_b32 v19, v20, s0, v21
	s_waitcnt vmcnt(1)
	ds_write_b64 v21, v[6:7] offset:16384
	v_xor_b32_e32 v6, 8, v21
	ds_write_b64 v6, v[8:9] offset:16384
	s_waitcnt vmcnt(0)
	ds_write_b64 v21, v[2:3] offset:24576
	ds_write_b64 v6, v[4:5] offset:24576
	;; [unrolled: 1-line block ×3, first 2 shown]
	v_xor_b32_e32 v2, 8, v19
	ds_write_b64 v2, v[16:17] offset:16384
	ds_write_b64 v19, v[10:11] offset:24576
	;; [unrolled: 1-line block ×3, first 2 shown]
	v_or_b32_e32 v2, v45, v1
	s_addc_u32 s5, s5, s1
	s_add_i32 s2, s16, -1
	v_lshlrev_b32_e32 v2, 3, v2
	v_lshrrev_b32_e32 v4, 5, v60
	s_movk_i32 s16, 0xf8
	v_and_or_b32 v4, v2, s16, v4
	v_lshlrev_b32_e32 v3, 11, v61
	v_lshlrev_b32_e32 v12, 4, v4
	v_and_b32_e32 v13, 0x78, v2
	v_and_b32_e32 v14, 0x1000, v3
	v_lshlrev_b32_e32 v3, 2, v0
	v_xor_b32_e32 v2, v12, v13
	v_lshrrev_b32_e32 v4, 1, v60
	v_and_b32_e32 v3, 60, v3
	v_or_b32_e32 v2, v2, v14
	v_and_b32_e32 v15, 8, v4
	v_xor_b32_e32 v26, v2, v15
	v_lshl_or_b32 v2, v62, 6, v3
	v_lshlrev_b32_e32 v19, 1, v2
	v_or_b32_e32 v2, 32, v12
	v_xor_b32_e32 v2, v2, v13
	s_waitcnt lgkmcnt(0)
	s_barrier
	ds_read_b64 v[10:11], v26 offset:16384
	v_or_b32_e32 v2, v2, v14
	v_xor_b32_e32 v27, v2, v15
	v_or_b32_e32 v2, 64, v12
	v_xor_b32_e32 v2, v2, v13
	v_or_b32_e32 v2, v2, v14
	v_or_b32_e32 v12, 0x60, v12
	v_xor_b32_e32 v28, v2, v15
	ds_read2st64_b64 v[2:5], v19 offset0:72 offset1:73
	ds_read2st64_b64 v[6:9], v19 offset0:74 offset1:75
	v_xor_b32_e32 v16, v12, v13
	ds_read_b64 v[12:13], v27 offset:16384
	s_waitcnt lgkmcnt(2)
	v_mfma_f32_16x16x16_bf16 a[0:3], v[10:11], v[2:3], 0
	s_add_i32 s0, s46, s21
	s_mul_i32 s39, s39, s20
	s_add_i32 s39, s0, s39
	s_mul_i32 s0, s33, s23
	s_mul_hi_u32 s1, s33, s22
	s_ashr_i32 s3, s2, 31
	s_mul_i32 s12, s2, s35
	s_mul_hi_u32 s13, s2, s34
	s_add_i32 s0, s1, s0
	s_mul_i32 s1, s18, s22
	s_add_i32 s12, s13, s12
	s_mul_i32 s3, s3, s34
	v_or_b32_e32 v14, v16, v14
	s_add_i32 s1, s0, s1
	s_add_i32 s3, s12, s3
	s_lshl_b64 s[12:13], s[38:39], 2
	v_xor_b32_e32 v36, v14, v15
	ds_read_b64 v[14:15], v28 offset:16384
	ds_read_b64 v[16:17], v36 offset:16384
	s_waitcnt lgkmcnt(2)
	v_mfma_f32_16x16x16_bf16 a[0:3], v[12:13], v[4:5], a[0:3]
	s_mul_i32 s0, s33, s22
	s_add_u32 s10, s10, s12
	s_addc_u32 s11, s11, s13
	s_lshl_b64 s[0:1], s[0:1], 2
	s_mul_i32 s2, s2, s34
	s_add_u32 s10, s10, s0
	s_addc_u32 s11, s11, s1
	s_lshl_b64 s[0:1], s[2:3], 2
	s_waitcnt lgkmcnt(1)
	v_mfma_f32_16x16x16_bf16 a[0:3], v[14:15], v[6:7], a[0:3]
	s_add_u32 s0, s10, s0
	s_addc_u32 s1, s11, s1
	s_load_dword s12, s[0:1], 0x0
	s_waitcnt lgkmcnt(0)
	v_mfma_f32_16x16x16_bf16 a[0:3], v[16:17], v[8:9], a[0:3]
	s_and_b64 vcc, exec, s[30:31]
	s_cbranch_vccz .LBB607_42
; %bb.32:
	v_lshlrev_b32_e32 v20, 1, v35
	s_and_b64 vcc, exec, s[6:7]
	s_cbranch_vccz .LBB607_43
; %bb.33:
	v_cmp_gt_i32_e32 vcc, s43, v20
	v_mov_b32_e32 v6, 0
	v_mov_b32_e32 v2, 0
	;; [unrolled: 1-line block ×5, first 2 shown]
	s_and_saveexec_b64 s[0:1], vcc
	s_cbranch_execz .LBB607_35
; %bb.34:
	v_mad_i64_i32 v[2:3], s[2:3], s19, v20, 0
	v_lshl_add_u64 v[2:3], v[2:3], 1, s[4:5]
	v_lshlrev_b32_e32 v4, 1, v18
	v_mov_b32_e32 v5, 0
	v_lshl_add_u64 v[2:3], v[2:3], 0, v[4:5]
	global_load_dwordx4 v[2:5], v[2:3], off
.LBB607_35:
	s_or_b64 exec, exec, s[0:1]
	v_or_b32_e32 v21, 1, v20
	v_cmp_gt_i32_e64 s[0:1], s43, v21
	v_mov_b32_e32 v7, 0
	v_mov_b32_e32 v8, 0
	;; [unrolled: 1-line block ×3, first 2 shown]
	s_and_saveexec_b64 s[2:3], s[0:1]
	s_cbranch_execz .LBB607_37
; %bb.36:
	v_mad_i64_i32 v[6:7], s[16:17], s19, v21, 0
	v_lshl_add_u64 v[6:7], v[6:7], 1, s[4:5]
	v_lshlrev_b32_e32 v8, 1, v18
	v_mov_b32_e32 v9, 0
	v_lshl_add_u64 v[6:7], v[6:7], 0, v[8:9]
	global_load_dwordx4 v[6:9], v[6:7], off
.LBB607_37:
	s_or_b64 exec, exec, s[2:3]
	v_mov_b32_e32 v17, 0
	v_mov_b32_e32 v10, 0
	;; [unrolled: 1-line block ×5, first 2 shown]
	s_and_saveexec_b64 s[2:3], vcc
	s_cbranch_execz .LBB607_39
; %bb.38:
	v_mad_i64_i32 v[10:11], s[16:17], s19, v20, 0
	v_lshl_add_u64 v[10:11], v[10:11], 1, s[4:5]
	v_lshlrev_b32_e32 v12, 1, v18
	v_mov_b32_e32 v13, 0
	v_lshl_add_u64 v[10:11], v[10:11], 0, v[12:13]
	global_load_dwordx4 v[10:13], v[10:11], off offset:128
.LBB607_39:
	s_or_b64 exec, exec, s[2:3]
	v_mov_b32_e32 v16, 0
	v_mov_b32_e32 v15, 0
	v_mov_b32_e32 v14, 0
	s_and_saveexec_b64 s[2:3], s[0:1]
	s_cbranch_execz .LBB607_41
; %bb.40:
	v_mad_i64_i32 v[14:15], s[0:1], s19, v21, 0
	v_lshl_add_u64 v[14:15], v[14:15], 1, s[4:5]
	v_lshlrev_b32_e32 v16, 1, v18
	v_mov_b32_e32 v17, 0
	v_lshl_add_u64 v[14:15], v[14:15], 0, v[16:17]
	global_load_dwordx4 v[14:17], v[14:15], off offset:128
.LBB607_41:
	s_or_b64 exec, exec, s[2:3]
	s_branch .LBB607_45
.LBB607_42:
                                        ; implicit-def: $vgpr5
                                        ; implicit-def: $vgpr9
                                        ; implicit-def: $vgpr13
                                        ; implicit-def: $vgpr17
	v_lshrrev_b32_e32 v37, 2, v60
	s_branch .LBB607_46
.LBB607_43:
                                        ; implicit-def: $vgpr5
                                        ; implicit-def: $vgpr9
                                        ; implicit-def: $vgpr13
                                        ; implicit-def: $vgpr17
	s_cbranch_execz .LBB607_45
; %bb.44:
	s_waitcnt vmcnt(0)
	v_mad_u64_u32 v[2:3], s[0:1], v20, s19, v[18:19]
	v_lshlrev_b32_e32 v20, 1, v2
	s_lshl_b32 s2, s19, 7
	s_and_b32 s1, s5, 0xffff
	s_mov_b32 s3, 0x20000
	s_mov_b32 s0, s4
	v_add_lshl_u32 v21, v2, s19, 1
	s_movk_i32 s13, 0x80
	buffer_load_dwordx4 v[2:5], v20, s[0:3], 0 offen
	buffer_load_dwordx4 v[10:13], v20, s[0:3], s13 offen
	;; [unrolled: 1-line block ×4, first 2 shown]
.LBB607_45:
	v_lshrrev_b32_e32 v37, 2, v60
	s_cbranch_execnz .LBB607_58
.LBB607_46:
	s_and_b64 vcc, exec, s[6:7]
	s_cbranch_vccz .LBB607_56
; %bb.47:
	s_waitcnt vmcnt(0)
	v_lshlrev_b32_e32 v7, 1, v35
	v_cmp_gt_i32_e32 vcc, s43, v7
	v_mov_b32_e32 v6, 0
	v_lshlrev_b32_e32 v14, 9, v35
	v_mov_b32_e32 v2, 0
	v_mov_b32_e32 v3, 0
	;; [unrolled: 1-line block ×4, first 2 shown]
	s_and_saveexec_b64 s[0:1], vcc
	s_cbranch_execz .LBB607_49
; %bb.48:
	v_mov_b32_e32 v15, 0
	v_lshl_add_u64 v[2:3], s[4:5], 0, v[14:15]
	v_lshlrev_b32_e32 v4, 1, v18
	v_mov_b32_e32 v5, v15
	v_lshl_add_u64 v[2:3], v[2:3], 0, v[4:5]
	global_load_dwordx4 v[2:5], v[2:3], off
.LBB607_49:
	s_or_b64 exec, exec, s[0:1]
	v_or_b32_e32 v7, 1, v7
	v_cmp_gt_i32_e64 s[0:1], s43, v7
	v_lshlrev_b32_e32 v20, 8, v7
	v_mov_b32_e32 v7, 0
	v_mov_b32_e32 v8, 0
	;; [unrolled: 1-line block ×3, first 2 shown]
	s_and_saveexec_b64 s[2:3], s[0:1]
	s_cbranch_execz .LBB607_51
; %bb.50:
	v_mov_b32_e32 v21, 0
	v_lshl_add_u64 v[6:7], s[4:5], 0, v[20:21]
	v_lshlrev_b32_e32 v8, 1, v18
	v_mov_b32_e32 v9, v21
	v_lshl_add_u64 v[6:7], v[6:7], 0, v[8:9]
	global_load_dwordx4 v[6:9], v[6:7], off
.LBB607_51:
	s_or_b64 exec, exec, s[2:3]
	v_mov_b32_e32 v17, 0
	v_mov_b32_e32 v10, 0
	;; [unrolled: 1-line block ×5, first 2 shown]
	s_and_saveexec_b64 s[2:3], vcc
	s_cbranch_execz .LBB607_53
; %bb.52:
	v_mov_b32_e32 v15, 0
	v_lshl_add_u64 v[10:11], s[4:5], 0, v[14:15]
	v_lshlrev_b32_e32 v14, 1, v18
	v_lshl_add_u64 v[10:11], v[10:11], 0, v[14:15]
	global_load_dwordx4 v[10:13], v[10:11], off offset:128
.LBB607_53:
	s_or_b64 exec, exec, s[2:3]
	v_mov_b32_e32 v16, 0
	v_mov_b32_e32 v15, 0
	;; [unrolled: 1-line block ×3, first 2 shown]
	s_and_saveexec_b64 s[2:3], s[0:1]
	s_cbranch_execz .LBB607_55
; %bb.54:
	v_mov_b32_e32 v21, 0
	v_lshl_add_u64 v[14:15], s[4:5], 0, v[20:21]
	v_lshlrev_b32_e32 v20, 1, v18
	v_lshl_add_u64 v[14:15], v[14:15], 0, v[20:21]
	global_load_dwordx4 v[14:17], v[14:15], off offset:128
.LBB607_55:
	s_or_b64 exec, exec, s[2:3]
	s_branch .LBB607_58
.LBB607_56:
                                        ; implicit-def: $vgpr5
                                        ; implicit-def: $vgpr9
                                        ; implicit-def: $vgpr13
                                        ; implicit-def: $vgpr17
	s_cbranch_execz .LBB607_58
; %bb.57:
	s_waitcnt vmcnt(0)
	v_lshlrev_b32_e32 v2, 1, v18
	v_lshl_or_b32 v18, v35, 9, v2
	s_and_b32 s5, s5, 0xffff
	s_mov_b32 s7, 0x20000
	s_movk_i32 s6, 0x4000
	s_movk_i32 s0, 0x80
	buffer_load_dwordx4 v[2:5], v18, s[4:7], 0 offen
	buffer_load_dwordx4 v[6:9], v18, s[4:7], 0 offen offset:256
	buffer_load_dwordx4 v[10:13], v18, s[4:7], s0 offen
	buffer_load_dwordx4 v[14:17], v18, s[4:7], s0 offen offset:256
.LBB607_58:
	ds_read2st64_b64 v[22:25], v19 offset0:76 offset1:77
	ds_read2st64_b64 v[18:21], v19 offset0:78 offset1:79
	ds_read_b64 v[32:33], v26 offset:24576
	ds_read_b64 v[30:31], v27 offset:24576
	;; [unrolled: 1-line block ×4, first 2 shown]
	v_and_b32_e32 v36, 6, v0
	v_xor_b32_e32 v35, v35, v36
	v_lshlrev_b32_e32 v35, 2, v35
	v_and_b32_e32 v0, 1, v0
	v_xor_b32_e32 v38, 0x440, v35
	v_cmp_eq_u32_e32 vcc, 0, v0
	s_mov_b32 s0, 0x1000504
	s_mov_b32 s1, 0x3020706
	v_cndmask_b32_e32 v0, v38, v35, vcc
	v_lshl_or_b32 v0, v36, 10, v0
	s_waitcnt vmcnt(0)
	v_perm_b32 v35, v2, v6, s0
	v_perm_b32 v36, v10, v14, s0
	ds_write2st64_b32 v0, v35, v36 offset1:32
	v_xor_b32_e32 v35, 8, v0
	v_perm_b32 v2, v2, v6, s1
	v_perm_b32 v6, v10, v14, s1
	v_add_u32_e32 v10, 0x80, v35
	ds_write2st64_b32 v10, v2, v6 offset1:32
	v_xor_b32_e32 v2, 16, v0
	v_perm_b32 v6, v3, v7, s0
	v_perm_b32 v10, v11, v15, s0
	ds_write2st64_b32 v2, v6, v10 offset0:1 offset1:33
	v_xor_b32_e32 v2, 24, v0
	v_perm_b32 v3, v3, v7, s1
	v_perm_b32 v6, v11, v15, s1
	v_add_u32_e32 v2, 0x80, v2
	ds_write2st64_b32 v2, v3, v6 offset0:1 offset1:33
	v_xor_b32_e32 v2, 32, v0
	v_perm_b32 v3, v4, v8, s0
	v_perm_b32 v6, v12, v16, s0
	ds_write2st64_b32 v2, v3, v6 offset0:2 offset1:34
	v_xor_b32_e32 v2, 40, v0
	v_perm_b32 v3, v4, v8, s1
	v_perm_b32 v4, v12, v16, s1
	v_add_u32_e32 v2, 0x80, v2
	ds_write2st64_b32 v2, v3, v4 offset0:2 offset1:34
	v_xor_b32_e32 v2, 48, v0
	v_perm_b32 v3, v5, v9, s0
	v_perm_b32 v4, v13, v17, s0
	v_xor_b32_e32 v0, 56, v0
	v_and_or_b32 v8, v37, 12, v45
	ds_write2st64_b32 v2, v3, v4 offset0:3 offset1:35
	v_perm_b32 v2, v5, v9, s1
	v_perm_b32 v3, v13, v17, s1
	v_add_u32_e32 v0, 0x80, v0
	v_cmp_gt_i32_e32 vcc, s43, v8
	v_mov_b32_e32 v9, 0
	v_mov_b32_e32 v14, 0
	ds_write2st64_b32 v0, v2, v3 offset0:3 offset1:35
	s_and_saveexec_b64 s[0:1], vcc
	s_cbranch_execz .LBB607_60
; %bb.59:
	v_add_u32_e32 v0, s42, v8
	v_ashrrev_i32_e32 v2, 31, v0
	v_mul_lo_u32 v4, v2, s34
	v_mul_lo_u32 v5, v0, s35
	v_mad_u64_u32 v[2:3], s[2:3], v0, s34, 0
	v_add3_u32 v3, v3, v5, v4
	v_lshl_add_u64 v[2:3], v[2:3], 2, s[10:11]
	global_load_dword v0, v[2:3], off
	s_waitcnt vmcnt(0)
	v_sub_f32_e32 v0, s12, v0
	v_mul_f32_e32 v0, 0x3fb8aa3b, v0
	v_exp_f32_e32 v14, v0
.LBB607_60:
	s_or_b64 exec, exec, s[0:1]
	v_or_b32_e32 v12, 1, v8
	v_cmp_gt_i32_e64 s[2:3], s43, v12
	s_and_saveexec_b64 s[0:1], s[2:3]
	s_cbranch_execz .LBB607_62
; %bb.61:
	v_add_u32_e32 v0, s42, v12
	v_ashrrev_i32_e32 v2, 31, v0
	v_mul_lo_u32 v4, v2, s34
	v_mul_lo_u32 v5, v0, s35
	v_mad_u64_u32 v[2:3], s[4:5], v0, s34, 0
	v_add3_u32 v3, v3, v5, v4
	v_lshl_add_u64 v[2:3], v[2:3], 2, s[10:11]
	global_load_dword v0, v[2:3], off
	s_waitcnt vmcnt(0)
	v_sub_f32_e32 v0, s12, v0
	v_mul_f32_e32 v0, 0x3fb8aa3b, v0
	v_exp_f32_e32 v9, v0
.LBB607_62:
	s_or_b64 exec, exec, s[0:1]
	v_or_b32_e32 v11, 2, v8
	v_cmp_gt_i32_e64 s[0:1], s43, v11
	v_mov_b32_e32 v10, 0
	v_mov_b32_e32 v15, 0
	s_and_saveexec_b64 s[4:5], s[0:1]
	s_cbranch_execz .LBB607_64
; %bb.63:
	v_add_u32_e32 v0, s42, v11
	v_ashrrev_i32_e32 v2, 31, v0
	v_mul_lo_u32 v4, v2, s34
	v_mul_lo_u32 v5, v0, s35
	v_mad_u64_u32 v[2:3], s[6:7], v0, s34, 0
	v_add3_u32 v3, v3, v5, v4
	v_lshl_add_u64 v[2:3], v[2:3], 2, s[10:11]
	global_load_dword v0, v[2:3], off
	s_waitcnt vmcnt(0)
	v_sub_f32_e32 v0, s12, v0
	v_mul_f32_e32 v0, 0x3fb8aa3b, v0
	v_exp_f32_e32 v15, v0
.LBB607_64:
	s_or_b64 exec, exec, s[4:5]
	v_or_b32_e32 v13, 3, v8
	v_cmp_gt_i32_e64 s[4:5], s43, v13
	s_and_saveexec_b64 s[6:7], s[4:5]
	s_cbranch_execz .LBB607_66
; %bb.65:
	v_add_u32_e32 v0, s42, v13
	v_ashrrev_i32_e32 v2, 31, v0
	v_mul_lo_u32 v4, v2, s34
	v_mul_lo_u32 v5, v0, s35
	v_mad_u64_u32 v[2:3], s[16:17], v0, s34, 0
	v_add3_u32 v3, v3, v5, v4
	v_lshl_add_u64 v[2:3], v[2:3], 2, s[10:11]
	global_load_dword v0, v[2:3], off
	s_waitcnt vmcnt(0)
	v_sub_f32_e32 v0, s12, v0
	v_mul_f32_e32 v0, 0x3fb8aa3b, v0
	v_exp_f32_e32 v10, v0
.LBB607_66:
	s_or_b64 exec, exec, s[6:7]
	s_waitcnt lgkmcnt(11)
	v_mfma_f32_16x16x16_bf16 a[0:3], v[32:33], v[22:23], a[0:3]
	v_or_b32_e32 v0, s36, v1
	s_add_u32 s6, s8, s28
	v_ashrrev_i32_e32 v1, 31, v0
	s_waitcnt lgkmcnt(10)
	v_mfma_f32_16x16x16_bf16 a[0:3], v[30:31], v[24:25], a[0:3]
	s_addc_u32 s7, s9, s29
	v_lshlrev_b64 v[0:1], 1, v[0:1]
	v_lshl_add_u64 v[4:5], s[6:7], 0, v[0:1]
	s_waitcnt lgkmcnt(9)
	v_mfma_f32_16x16x16_bf16 a[0:3], v[28:29], v[18:19], a[0:3]
	s_add_u32 s6, s14, s28
	s_addc_u32 s7, s15, s29
	v_lshl_add_u64 v[6:7], s[6:7], 0, v[0:1]
	s_waitcnt lgkmcnt(8)
	v_mfma_f32_16x16x16_bf16 a[0:3], v[26:27], v[20:21], a[0:3]
	v_mov_b32_e32 v16, 0
	v_mov_b32_e32 v17, 0
	s_nop 4
	v_accvgpr_read_b32 v0, a0
	v_accvgpr_read_b32 v1, a1
	;; [unrolled: 1-line block ×4, first 2 shown]
	s_and_saveexec_b64 s[6:7], vcc
	s_cbranch_execz .LBB607_68
; %bb.67:
	v_lshlrev_b32_e32 v18, 8, v8
	v_mov_b32_e32 v19, 0
	v_lshl_add_u64 v[20:21], v[4:5], 0, v[18:19]
	global_load_ushort v17, v[20:21], off
	v_lshl_add_u64 v[18:19], v[6:7], 0, v[18:19]
	s_waitcnt vmcnt(0)
	v_lshlrev_b32_e32 v17, 16, v17
	v_sub_f32_e32 v0, v17, v0
	global_store_short_d16_hi v[18:19], v0, off
	v_mul_f32_e32 v0, v14, v0
	v_lshrrev_b32_e32 v17, 16, v0
.LBB607_68:
	s_or_b64 exec, exec, s[6:7]
	s_and_saveexec_b64 s[6:7], s[2:3]
	s_cbranch_execz .LBB607_70
; %bb.69:
	v_lshlrev_b32_e32 v18, 8, v12
	v_mov_b32_e32 v19, 0
	v_lshl_add_u64 v[20:21], v[4:5], 0, v[18:19]
	global_load_ushort v0, v[20:21], off
	v_lshl_add_u64 v[18:19], v[6:7], 0, v[18:19]
	s_waitcnt vmcnt(0)
	v_lshlrev_b32_e32 v0, 16, v0
	v_sub_f32_e32 v0, v0, v1
	global_store_short_d16_hi v[18:19], v0, off
	v_mul_f32_e32 v0, v9, v0
	v_lshrrev_b32_e32 v16, 16, v0
.LBB607_70:
	s_or_b64 exec, exec, s[6:7]
	v_mov_b32_e32 v0, 0
	v_mov_b32_e32 v1, 0
	s_and_saveexec_b64 s[2:3], s[0:1]
	s_cbranch_execz .LBB607_72
; %bb.71:
	v_lshlrev_b32_e32 v18, 8, v11
	v_mov_b32_e32 v19, 0
	v_lshl_add_u64 v[20:21], v[4:5], 0, v[18:19]
	global_load_ushort v1, v[20:21], off
	v_lshl_add_u64 v[18:19], v[6:7], 0, v[18:19]
	s_waitcnt vmcnt(0)
	v_lshlrev_b32_e32 v1, 16, v1
	v_sub_f32_e32 v1, v1, v2
	global_store_short_d16_hi v[18:19], v1, off
	v_mul_f32_e32 v1, v15, v1
	v_lshrrev_b32_e32 v1, 16, v1
.LBB607_72:
	s_or_b64 exec, exec, s[2:3]
	s_and_saveexec_b64 s[0:1], s[4:5]
	s_cbranch_execz .LBB607_74
; %bb.73:
	v_lshlrev_b32_e32 v12, 8, v13
	v_mov_b32_e32 v13, 0
	v_lshl_add_u64 v[4:5], v[4:5], 0, v[12:13]
	global_load_ushort v0, v[4:5], off
	v_lshl_add_u64 v[4:5], v[6:7], 0, v[12:13]
	s_waitcnt vmcnt(0)
	v_lshlrev_b32_e32 v0, 16, v0
	v_sub_f32_e32 v0, v0, v3
	global_store_short_d16_hi v[4:5], v0, off
	v_mul_f32_e32 v0, v10, v0
	v_lshrrev_b32_e32 v0, 16, v0
.LBB607_74:
	s_or_b64 exec, exec, s[0:1]
	s_mov_b32 s0, 0x5040100
	v_lshlrev_b32_e32 v2, 1, v34
	v_perm_b32 v1, v0, v1, s0
	v_perm_b32 v0, v16, v17, s0
	v_lshl_or_b32 v2, v8, 5, v2
	ds_write_b64 v2, v[0:1] offset:38912
	s_waitcnt lgkmcnt(0)
	s_barrier
.LBB607_75:
	s_endpgm
	.section	.rodata,"a",@progbits
	.p2align	6, 0x0
	.amdhsa_kernel _ZN12_GLOBAL__N_139chunk_gated_delta_rule_fwd_h_hip_kernelILi16ELb0ELb0ELb1ELb0ELb0ELb1ELb0ELb1EEEvPK12hip_bfloat16S3_S3_PKfS5_PKvPS1_S8_PvPKiSB_iiiiilll
		.amdhsa_group_segment_fixed_size 40960
		.amdhsa_private_segment_fixed_size 0
		.amdhsa_kernarg_size 136
		.amdhsa_user_sgpr_count 2
		.amdhsa_user_sgpr_dispatch_ptr 0
		.amdhsa_user_sgpr_queue_ptr 0
		.amdhsa_user_sgpr_kernarg_segment_ptr 1
		.amdhsa_user_sgpr_dispatch_id 0
		.amdhsa_user_sgpr_kernarg_preload_length 0
		.amdhsa_user_sgpr_kernarg_preload_offset 0
		.amdhsa_user_sgpr_private_segment_size 0
		.amdhsa_uses_dynamic_stack 0
		.amdhsa_enable_private_segment 0
		.amdhsa_system_sgpr_workgroup_id_x 1
		.amdhsa_system_sgpr_workgroup_id_y 1
		.amdhsa_system_sgpr_workgroup_id_z 0
		.amdhsa_system_sgpr_workgroup_info 0
		.amdhsa_system_vgpr_workitem_id 0
		.amdhsa_next_free_vgpr 128
		.amdhsa_next_free_sgpr 68
		.amdhsa_accum_offset 116
		.amdhsa_reserve_vcc 1
		.amdhsa_float_round_mode_32 0
		.amdhsa_float_round_mode_16_64 0
		.amdhsa_float_denorm_mode_32 3
		.amdhsa_float_denorm_mode_16_64 3
		.amdhsa_dx10_clamp 1
		.amdhsa_ieee_mode 1
		.amdhsa_fp16_overflow 0
		.amdhsa_tg_split 0
		.amdhsa_exception_fp_ieee_invalid_op 0
		.amdhsa_exception_fp_denorm_src 0
		.amdhsa_exception_fp_ieee_div_zero 0
		.amdhsa_exception_fp_ieee_overflow 0
		.amdhsa_exception_fp_ieee_underflow 0
		.amdhsa_exception_fp_ieee_inexact 0
		.amdhsa_exception_int_div_zero 0
	.end_amdhsa_kernel
	.section	.text._ZN12_GLOBAL__N_139chunk_gated_delta_rule_fwd_h_hip_kernelILi16ELb0ELb0ELb1ELb0ELb0ELb1ELb0ELb1EEEvPK12hip_bfloat16S3_S3_PKfS5_PKvPS1_S8_PvPKiSB_iiiiilll,"axG",@progbits,_ZN12_GLOBAL__N_139chunk_gated_delta_rule_fwd_h_hip_kernelILi16ELb0ELb0ELb1ELb0ELb0ELb1ELb0ELb1EEEvPK12hip_bfloat16S3_S3_PKfS5_PKvPS1_S8_PvPKiSB_iiiiilll,comdat
.Lfunc_end607:
	.size	_ZN12_GLOBAL__N_139chunk_gated_delta_rule_fwd_h_hip_kernelILi16ELb0ELb0ELb1ELb0ELb0ELb1ELb0ELb1EEEvPK12hip_bfloat16S3_S3_PKfS5_PKvPS1_S8_PvPKiSB_iiiiilll, .Lfunc_end607-_ZN12_GLOBAL__N_139chunk_gated_delta_rule_fwd_h_hip_kernelILi16ELb0ELb0ELb1ELb0ELb0ELb1ELb0ELb1EEEvPK12hip_bfloat16S3_S3_PKfS5_PKvPS1_S8_PvPKiSB_iiiiilll
                                        ; -- End function
	.section	.AMDGPU.csdata,"",@progbits
; Kernel info:
; codeLenInByte = 7608
; NumSgprs: 74
; NumVgprs: 116
; NumAgprs: 12
; TotalNumVgprs: 128
; ScratchSize: 0
; MemoryBound: 0
; FloatMode: 240
; IeeeMode: 1
; LDSByteSize: 40960 bytes/workgroup (compile time only)
; SGPRBlocks: 9
; VGPRBlocks: 15
; NumSGPRsForWavesPerEU: 74
; NumVGPRsForWavesPerEU: 128
; AccumOffset: 116
; Occupancy: 1
; WaveLimiterHint : 1
; COMPUTE_PGM_RSRC2:SCRATCH_EN: 0
; COMPUTE_PGM_RSRC2:USER_SGPR: 2
; COMPUTE_PGM_RSRC2:TRAP_HANDLER: 0
; COMPUTE_PGM_RSRC2:TGID_X_EN: 1
; COMPUTE_PGM_RSRC2:TGID_Y_EN: 1
; COMPUTE_PGM_RSRC2:TGID_Z_EN: 0
; COMPUTE_PGM_RSRC2:TIDIG_COMP_CNT: 0
; COMPUTE_PGM_RSRC3_GFX90A:ACCUM_OFFSET: 28
; COMPUTE_PGM_RSRC3_GFX90A:TG_SPLIT: 0
	.section	.text._ZN12_GLOBAL__N_139chunk_gated_delta_rule_fwd_h_hip_kernelILi16ELb0ELb0ELb0ELb0ELb0ELb1ELb0ELb1EEEvPK12hip_bfloat16S3_S3_PKfS5_PKvPS1_S8_PvPKiSB_iiiiilll,"axG",@progbits,_ZN12_GLOBAL__N_139chunk_gated_delta_rule_fwd_h_hip_kernelILi16ELb0ELb0ELb0ELb0ELb0ELb1ELb0ELb1EEEvPK12hip_bfloat16S3_S3_PKfS5_PKvPS1_S8_PvPKiSB_iiiiilll,comdat
	.globl	_ZN12_GLOBAL__N_139chunk_gated_delta_rule_fwd_h_hip_kernelILi16ELb0ELb0ELb0ELb0ELb0ELb1ELb0ELb1EEEvPK12hip_bfloat16S3_S3_PKfS5_PKvPS1_S8_PvPKiSB_iiiiilll ; -- Begin function _ZN12_GLOBAL__N_139chunk_gated_delta_rule_fwd_h_hip_kernelILi16ELb0ELb0ELb0ELb0ELb0ELb1ELb0ELb1EEEvPK12hip_bfloat16S3_S3_PKfS5_PKvPS1_S8_PvPKiSB_iiiiilll
	.p2align	8
	.type	_ZN12_GLOBAL__N_139chunk_gated_delta_rule_fwd_h_hip_kernelILi16ELb0ELb0ELb0ELb0ELb0ELb1ELb0ELb1EEEvPK12hip_bfloat16S3_S3_PKfS5_PKvPS1_S8_PvPKiSB_iiiiilll,@function
_ZN12_GLOBAL__N_139chunk_gated_delta_rule_fwd_h_hip_kernelILi16ELb0ELb0ELb0ELb0ELb0ELb1ELb0ELb1EEEvPK12hip_bfloat16S3_S3_PKfS5_PKvPS1_S8_PvPKiSB_iiiiilll: ; @_ZN12_GLOBAL__N_139chunk_gated_delta_rule_fwd_h_hip_kernelILi16ELb0ELb0ELb0ELb0ELb0ELb1ELb0ELb1EEEvPK12hip_bfloat16S3_S3_PKfS5_PKvPS1_S8_PvPKiSB_iiiiilll
; %bb.0:
	s_load_dwordx4 s[12:15], s[0:1], 0x5c
	s_load_dwordx2 s[36:37], s[0:1], 0x30
	s_abs_i32 s18, s3
	s_ashr_i32 s17, s3, 31
	s_load_dwordx8 s[4:11], s[0:1], 0x0
	s_waitcnt lgkmcnt(0)
	s_abs_i32 s16, s13
	v_cvt_f32_u32_e32 v1, s16
	s_sub_i32 s20, 0, s16
	s_ashr_i32 s19, s13, 31
	s_xor_b32 s17, s17, s19
	v_rcp_iflag_f32_e32 v1, v1
	v_lshrrev_b32_e32 v59, 6, v0
	v_bfe_u32 v60, v0, 4, 2
	v_lshlrev_b32_e32 v45, 4, v59
	v_mul_f32_e32 v1, 0x4f7ffffe, v1
	v_cvt_u32_f32_e32 v1, v1
	v_lshlrev_b32_e32 v2, 2, v60
	v_and_b32_e32 v58, 63, v0
	v_or_b32_e32 v63, v2, v45
	v_readfirstlane_b32 s21, v1
	s_mul_i32 s20, s20, s21
	s_mul_hi_u32 s20, s21, s20
	s_add_i32 s21, s21, s20
	s_mul_hi_u32 s20, s18, s21
	s_mul_i32 s21, s20, s16
	s_sub_i32 s18, s18, s21
	s_add_i32 s22, s20, 1
	s_sub_i32 s21, s18, s16
	s_cmp_ge_u32 s18, s16
	s_cselect_b32 s20, s22, s20
	s_cselect_b32 s18, s21, s18
	s_add_i32 s21, s20, 1
	s_cmp_ge_u32 s18, s16
	s_cselect_b32 s18, s21, s20
	s_abs_i32 s20, s14
	v_cvt_f32_u32_e32 v1, s20
	s_xor_b32 s18, s18, s17
	s_ashr_i32 s46, s12, 31
	s_sub_i32 s48, s18, s17
	v_rcp_iflag_f32_e32 v1, v1
	s_lshr_b32 s17, s46, 26
	s_add_i32 s17, s12, s17
	s_ashr_i32 s49, s14, 31
	v_mul_f32_e32 v1, 0x4f7ffffe, v1
	v_cvt_u32_f32_e32 v1, v1
	s_ashr_i32 s47, s17, 6
	s_xor_b32 s17, s19, s49
	s_sub_i32 s18, 0, s20
	v_readfirstlane_b32 s19, v1
	s_mul_i32 s18, s18, s19
	s_mul_hi_u32 s18, s19, s18
	s_add_i32 s19, s19, s18
	s_mul_hi_u32 s18, s16, s19
	s_mul_i32 s19, s18, s20
	s_mul_i32 s45, s48, s13
	s_sub_i32 s16, s16, s19
	s_sub_i32 s33, s3, s45
	s_add_i32 s3, s12, 63
	s_add_i32 s19, s18, 1
	s_sub_i32 s21, s16, s20
	s_cmp_ge_u32 s16, s20
	s_cselect_b32 s18, s19, s18
	s_cselect_b32 s16, s21, s16
	s_add_i32 s19, s18, 1
	s_cmp_ge_u32 s16, s20
	s_cselect_b32 s16, s19, s18
	s_xor_b32 s16, s16, s17
	s_sub_i32 s20, s16, s17
	s_abs_i32 s21, s20
	v_cvt_f32_u32_e32 v1, s21
	s_sub_i32 s23, 0, s21
	s_abs_i32 s22, s33
	s_xor_b32 s20, s33, s20
	v_rcp_iflag_f32_e32 v1, v1
	s_ashr_i32 s20, s20, 31
	s_load_dwordx2 s[28:29], s[0:1], 0x80
	s_load_dwordx4 s[16:19], s[0:1], 0x70
	v_mov_b32_e32 v49, 0
	v_mul_f32_e32 v1, 0x4f7ffffe, v1
	v_cvt_u32_f32_e32 v1, v1
	v_or_b32_e32 v64, 64, v63
	s_mul_hi_i32 s51, s48, s13
	v_lshrrev_b32_e32 v62, 3, v58
	v_readfirstlane_b32 s24, v1
	s_mul_i32 s23, s23, s24
	s_mul_hi_u32 s23, s24, s23
	s_add_i32 s24, s24, s23
	s_mul_hi_u32 s23, s22, s24
	s_mul_i32 s24, s23, s21
	s_sub_i32 s22, s22, s24
	s_add_i32 s24, s23, 1
	s_sub_i32 s25, s22, s21
	s_cmp_ge_u32 s22, s21
	s_cselect_b32 s23, s24, s23
	s_cselect_b32 s22, s25, s22
	s_add_i32 s24, s23, 1
	s_cmp_ge_u32 s22, s21
	s_cselect_b32 s21, s24, s23
	s_xor_b32 s21, s21, s20
	s_sub_i32 s52, s21, s20
	s_ashr_i32 s20, s3, 31
	s_lshr_b32 s20, s20, 26
	s_add_i32 s3, s3, s20
	s_ashr_i32 s3, s3, 6
	s_lshl_b32 s30, s2, 4
	s_mul_i32 s50, s48, s3
	v_and_b32_e32 v1, 15, v0
	s_cmp_lt_i32 s12, 64
	v_lshlrev_b32_e32 v61, 3, v0
	s_waitcnt lgkmcnt(0)
	s_mul_i32 s17, s48, s17
	s_mul_hi_u32 s44, s48, s16
	s_mul_i32 s34, s48, s16
	v_mov_b32_e32 v48, v49
	v_mov_b32_e32 v51, v49
	;; [unrolled: 1-line block ×7, first 2 shown]
	s_cbranch_scc1 .LBB608_18
; %bb.1:
	s_ashr_i32 s24, s48, 31
	s_ashr_i32 s54, s33, 31
	s_add_u32 s2, s45, s33
	s_addc_u32 s3, s51, s54
	s_mul_i32 s3, s12, s3
	s_mul_hi_u32 s20, s12, s2
	s_add_i32 s39, s20, s3
	s_mul_i32 s38, s12, s2
	s_lshl_b64 s[2:3], s[38:39], 8
	v_and_b32_e32 v66, 56, v61
	s_add_u32 s20, s6, s2
	v_lshl_or_b32 v65, v59, 3, v62
	v_lshlrev_b32_e32 v3, 1, v66
	s_addc_u32 s2, s7, s3
	v_lshl_or_b32 v67, v65, 8, v3
	s_and_b32 s21, s2, 0xffff
	s_mov_b32 s23, 0x20000
	s_movk_i32 s22, 0x4000
	s_movk_i32 s2, 0x80
	v_or_b32_e32 v68, 0x2000, v67
	buffer_load_dwordx4 v[4:7], v67, s[20:23], 0 offen
	buffer_load_dwordx4 v[8:11], v67, s[20:23], s2 offen
	;; [unrolled: 1-line block ×4, first 2 shown]
	v_lshlrev_b32_e32 v20, 3, v65
	v_and_or_b32 v22, v0, 7, v20
	v_and_b32_e32 v20, 0x78, v20
	v_lshlrev_b32_e32 v22, 4, v22
	v_xor_b32_e32 v69, v22, v20
	v_mul_lo_u32 v21, v65, s15
	v_or_b32_e32 v70, 0x1000, v69
	s_cmpk_eq_i32 s15, 0x80
	s_mov_b32 s53, s14
	v_xor_b32_e32 v20, 8, v69
	v_xor_b32_e32 v22, 8, v70
	s_cselect_b64 s[2:3], -1, 0
	s_cmpk_lg_i32 s15, 0x80
	s_waitcnt vmcnt(3)
	ds_write_b64 v69, v[4:5] offset:16384
	ds_write_b64 v20, v[6:7] offset:16384
	s_waitcnt vmcnt(2)
	ds_write_b64 v69, v[8:9] offset:24576
	ds_write_b64 v20, v[10:11] offset:24576
	;; [unrolled: 3-line block ×4, first 2 shown]
	v_lshl_add_u32 v4, v21, 1, v66
	s_cbranch_scc0 .LBB608_3
; %bb.2:
	v_lshlrev_b32_e32 v6, 1, v4
	v_add_lshl_u32 v5, v4, s15, 1
	s_lshl_b32 s22, s15, 7
	s_load_dwordx2 s[40:41], s[0:1], 0x20
	v_lshl_or_b32 v3, v65, 9, v3
	s_cbranch_execz .LBB608_4
	s_branch .LBB608_5
.LBB608_3:
                                        ; implicit-def: $vgpr5
                                        ; implicit-def: $vgpr6
                                        ; implicit-def: $sgpr22
	s_load_dwordx2 s[40:41], s[0:1], 0x20
	v_lshl_or_b32 v3, v65, 9, v3
.LBB608_4:
	v_or_b32_e32 v5, 0x100, v3
	s_movk_i32 s22, 0x4000
	v_mov_b32_e32 v6, v3
.LBB608_5:
	s_mul_hi_u32 s0, s14, s12
	s_mul_i32 s1, s49, s12
	s_add_i32 s0, s0, s1
	s_mul_i32 s1, s14, s12
	s_mul_i32 s20, s1, s24
	s_mul_hi_u32 s21, s1, s48
	s_add_i32 s20, s21, s20
	s_mul_i32 s0, s0, s48
	s_add_i32 s20, s20, s0
	s_mul_i32 s1, s1, s48
	s_ashr_i32 s55, s52, 31
	s_add_u32 s0, s1, s52
	s_addc_u32 s1, s20, s55
	s_lshl_b64 s[0:1], s[0:1], 8
	s_add_u32 s20, s4, s0
	s_addc_u32 s0, s5, s1
	s_and_b32 s21, s0, 0xffff
	s_movk_i32 s56, 0x80
	buffer_load_dwordx4 v[8:11], v6, s[20:23], 0 offen
	buffer_load_dwordx4 v[12:15], v6, s[20:23], s56 offen
	;; [unrolled: 1-line block ×4, first 2 shown]
	v_and_b32_e32 v5, 6, v0
	s_mul_i32 s0, s24, s12
	s_mul_hi_u32 s1, s48, s12
	v_lshlrev_b32_e32 v7, 2, v1
	v_lshlrev_b32_e32 v24, 3, v1
	v_xor_b32_e32 v26, v65, v5
	v_and_b32_e32 v6, 1, v0
	s_mul_i32 s24, s24, s16
	v_lshl_or_b32 v24, v63, 5, v24
	v_xor_b32_e32 v27, v63, v7
	v_lshlrev_b32_e32 v26, 2, v26
	s_add_i32 s61, s1, s0
	s_add_i32 s0, s44, s17
	v_or_b32_e32 v71, 0x9000, v24
	v_or_b32_e32 v72, 0x9800, v24
	v_lshlrev_b32_e32 v24, 1, v27
	v_xor_b32_e32 v27, 0x440, v26
	v_cmp_eq_u32_e32 vcc, 0, v6
	s_add_i32 s35, s0, s24
	s_mul_i32 s0, s33, s19
	s_mul_hi_u32 s1, s33, s18
	v_cndmask_b32_e32 v6, v27, v26, vcc
	s_add_i32 s0, s1, s0
	s_mul_i32 s1, s54, s18
	s_mov_b32 s59, 0x1000504
	v_lshlrev_b32_e32 v25, 8, v1
	s_mov_b32 s22, 0x8000
	v_xor_b32_e32 v7, v64, v7
	v_lshl_or_b32 v5, v5, 10, v6
	s_add_i32 s1, s0, s1
	s_lshl_b64 s[20:21], s[34:35], 2
	s_mov_b32 s60, 0x3020706
	v_lshlrev_b32_e32 v7, 1, v7
	v_or3_b32 v73, v24, v25, s22
	v_xor_b32_e32 v6, 8, v5
	v_xor_b32_e32 v24, 24, v5
	;; [unrolled: 1-line block ×4, first 2 shown]
	s_mul_i32 s0, s33, s18
	s_add_u32 s20, s10, s20
	v_or3_b32 v74, v7, v25, s22
	v_xor_b32_e32 v7, 16, v5
	v_xor_b32_e32 v25, 32, v5
	;; [unrolled: 1-line block ×3, first 2 shown]
	v_add_u32_e32 v6, 0x80, v6
	v_add_u32_e32 v24, 0x80, v24
	;; [unrolled: 1-line block ×4, first 2 shown]
	s_addc_u32 s21, s11, s21
	s_lshl_b64 s[0:1], s[0:1], 2
	s_add_u32 s42, s20, s0
	s_movk_i32 s0, 0xf8
	s_addc_u32 s43, s21, s1
	s_ashr_i32 s31, s30, 31
	s_lshl_b32 s26, s15, 7
	v_mov_b32_e32 v47, 0
	s_mul_i32 s57, s48, s12
	s_mov_b32 s58, 0
	v_add_u32_e32 v85, v45, v2
	s_mov_b32 s35, 0x7060302
	v_mov_b32_e32 v96, 0x3fb8aa3b
	s_mov_b32 s63, 0
	v_mov_b32_e32 v52, v47
	v_mov_b32_e32 v53, v47
	;; [unrolled: 1-line block ×6, first 2 shown]
	s_waitcnt vmcnt(1)
	v_perm_b32 v29, v8, v16, s59
	s_waitcnt vmcnt(0)
	v_perm_b32 v30, v12, v20, s59
	v_perm_b32 v8, v8, v16, s60
	;; [unrolled: 1-line block ×15, first 2 shown]
	ds_write2st64_b32 v5, v29, v30 offset1:32
	ds_write2st64_b32 v6, v8, v12 offset1:32
	ds_write2st64_b32 v7, v16, v20 offset0:1 offset1:33
	ds_write2st64_b32 v24, v9, v13 offset0:1 offset1:33
	ds_write2st64_b32 v25, v17, v21 offset0:2 offset1:34
	ds_write2st64_b32 v26, v10, v14 offset0:2 offset1:34
	ds_write2st64_b32 v27, v18, v22 offset0:3 offset1:35
	ds_write2st64_b32 v28, v11, v15 offset0:3 offset1:35
	v_or_b32_e32 v5, v45, v1
	v_lshlrev_b32_e32 v5, 3, v5
	v_lshrrev_b32_e32 v7, 5, v58
	v_and_or_b32 v7, v5, s0, v7
	v_lshlrev_b32_e32 v7, 4, v7
	v_lshrrev_b32_e32 v6, 2, v58
	v_lshlrev_b32_e32 v9, 11, v59
	v_and_b32_e32 v5, 0x78, v5
	v_or_b32_e32 v12, 32, v7
	v_and_b32_e32 v8, 12, v6
	v_and_b32_e32 v6, 0x1000, v9
	v_lshrrev_b32_e32 v11, 1, v58
	v_xor_b32_e32 v12, v12, v5
	v_and_b32_e32 v11, 8, v11
	v_or_b32_e32 v12, v12, v6
	v_xor_b32_e32 v10, v7, v5
	v_xor_b32_e32 v77, v12, v11
	v_or_b32_e32 v12, 64, v7
	v_or_b32_e32 v7, 0x60, v7
	;; [unrolled: 1-line block ×3, first 2 shown]
	v_xor_b32_e32 v12, v12, v5
	v_xor_b32_e32 v5, v7, v5
	;; [unrolled: 1-line block ×3, first 2 shown]
	v_and_b32_e32 v10, 0x78, v61
	v_or_b32_e32 v5, v5, v6
	v_lshl_or_b32 v10, v60, 7, v10
	v_or_b32_e32 v12, v12, v6
	v_xor_b32_e32 v79, v5, v11
	v_lshlrev_b32_e32 v5, 1, v1
	v_or_b32_e32 v76, 0x9000, v10
	v_xor_b32_e32 v78, v12, v11
	v_or_b32_e32 v80, 0x9800, v10
	v_lshlrev_b32_e32 v10, 1, v4
	v_add_lshl_u32 v11, v4, s15, 1
	v_lshrrev_b32_e32 v4, 4, v0
	s_lshl_b64 s[0:1], s[30:31], 8
	v_or_b32_e32 v13, 1, v5
	s_add_u32 s0, s36, s0
	v_xor_b32_e32 v5, v4, v5
	v_xor_b32_e32 v13, v13, v4
	s_addc_u32 s1, s37, s1
	v_lshlrev_b32_e32 v5, 3, v5
	v_lshlrev_b32_e32 v46, 8, v4
	;; [unrolled: 1-line block ×3, first 2 shown]
	v_lshrrev_b32_e32 v17, 1, v0
	v_or3_b32 v81, v5, v46, s22
	v_or3_b32 v82, v4, v46, s22
	v_lshl_add_u64 v[4:5], s[0:1], 0, v[46:47]
	v_lshlrev_b32_e32 v46, 4, v1
	s_movk_i32 s0, 0xff
	v_lshlrev_b32_e32 v16, 3, v59
	v_and_b32_e32 v17, 24, v17
	v_lshl_add_u64 v[54:55], v[4:5], 0, v[46:47]
	v_and_b32_e32 v5, 8, v0
	v_cmp_lt_u32_e32 vcc, s0, v0
	v_xor_b32_e32 v18, v16, v17
	v_or_b32_e32 v19, 0x440, v18
	v_cndmask_b32_e64 v15, 0, 1, vcc
	v_cmp_eq_u32_e32 vcc, 0, v5
	v_or_b32_e32 v21, 64, v17
	v_xor_b32_e32 v21, v16, v21
	v_cndmask_b32_e32 v5, v19, v18, vcc
	v_or_b32_e32 v19, 32, v17
	v_or_b32_e32 v17, 0x60, v17
	v_xor_b32_e32 v19, v16, v19
	v_xor_b32_e32 v16, v16, v17
	v_or_b32_e32 v20, 0x440, v19
	v_xor_b32_e32 v22, 0x440, v21
	v_xor_b32_e32 v17, 0x440, v16
	v_and_b32_e32 v4, 7, v0
	v_cndmask_b32_e32 v19, v20, v19, vcc
	v_cndmask_b32_e32 v21, v22, v21, vcc
	v_cndmask_b32_e32 v16, v17, v16, vcc
	v_or_b32_e32 v6, s30, v1
	v_lshlrev_b32_e32 v13, 3, v4
	v_or_b32_e32 v5, v5, v9
	v_or_b32_e32 v19, v19, v9
	;; [unrolled: 1-line block ×4, first 2 shown]
	v_ashrrev_i32_e32 v7, 31, v6
	v_lshlrev_b32_e32 v15, 13, v15
	v_xor_b32_e32 v5, v5, v13
	v_xor_b32_e32 v19, v19, v13
	;; [unrolled: 1-line block ×4, first 2 shown]
	v_lshl_add_u64 v[6:7], v[6:7], 1, s[8:9]
	v_or_b32_e32 v12, 0x100, v3
	v_lshlrev_b32_e32 v14, 7, v4
	v_or_b32_e32 v4, v8, v45
	v_add_u32_e32 v18, v15, v5
	v_add_u32_e32 v20, v15, v19
	;; [unrolled: 1-line block ×4, first 2 shown]
	v_or3_b32 v8, v45, v8, 64
	v_add_u32_e32 v5, 0x2000, v5
	v_add_u32_e32 v15, 0x2000, v19
	;; [unrolled: 1-line block ×4, first 2 shown]
	v_lshlrev_b32_e32 v46, 8, v63
	v_cndmask_b32_e64 v83, v10, v3, s[2:3]
	v_cndmask_b32_e64 v84, v11, v12, s[2:3]
	v_lshl_add_u64 v[56:57], v[6:7], 0, v[46:47]
	s_add_i32 s31, s57, 63
	s_movk_i32 s22, 0x4000
	v_lshlrev_b32_e32 v86, 2, v4
	v_add_u32_e32 v87, v18, v14
	v_add_u32_e32 v88, v20, v14
	;; [unrolled: 1-line block ×4, first 2 shown]
	v_lshlrev_b32_e32 v91, 2, v8
	v_add_u32_e32 v92, v5, v14
	v_add_u32_e32 v93, v15, v14
	;; [unrolled: 1-line block ×4, first 2 shown]
	v_mov_b32_e32 v46, v47
	s_waitcnt lgkmcnt(0)
	s_barrier
.LBB608_6:                              ; =>This Inner Loop Header: Depth=1
	s_add_i32 s62, s63, 1
	s_cmp_lt_i32 s62, s47
	s_mov_b64 s[24:25], 0
	s_cselect_b64 s[2:3], -1, 0
	s_cmp_ge_i32 s62, s47
	s_mov_b64 s[20:21], 0
	s_cbranch_scc1 .LBB608_8
; %bb.7:                                ;   in Loop: Header=BB608_6 Depth=1
	s_add_i32 s0, s58, 64
	s_add_u32 s0, s38, s0
	s_addc_u32 s1, s39, 0
	s_lshl_b64 s[0:1], s[0:1], 8
	s_add_u32 s20, s6, s0
	s_addc_u32 s21, s7, s1
.LBB608_8:                              ;   in Loop: Header=BB608_6 Depth=1
	v_cndmask_b32_e64 v2, 0, 1, s[2:3]
	v_cmp_ne_u32_e64 s[0:1], 1, v2
	s_andn2_b64 vcc, exec, s[2:3]
	s_cbranch_vccnz .LBB608_10
; %bb.9:                                ;   in Loop: Header=BB608_6 Depth=1
	s_add_i32 s2, s58, 64
	s_add_u32 s2, s57, s2
	s_addc_u32 s3, s61, 0
	s_mul_i32 s24, s2, s49
	s_mul_hi_u32 s25, s2, s53
	s_add_i32 s24, s25, s24
	s_mul_i32 s3, s3, s53
	s_add_i32 s24, s24, s3
	s_mul_i32 s2, s2, s53
	s_add_u32 s2, s2, s52
	s_addc_u32 s3, s24, s55
	s_lshl_b64 s[2:3], s[2:3], 8
	s_add_u32 s24, s4, s2
	s_addc_u32 s25, s5, s3
.LBB608_10:                             ;   in Loop: Header=BB608_6 Depth=1
	v_perm_b32 v3, v53, v52, s35
	v_perm_b32 v2, v47, v46, s35
	;; [unrolled: 1-line block ×4, first 2 shown]
	ds_write_b64 v71, v[2:3]
	ds_write_b64 v72, v[4:5]
	;; [unrolled: 1-line block ×4, first 2 shown]
	s_waitcnt lgkmcnt(0)
	s_barrier
	ds_read_b64 v[10:11], v75 offset:16384
	ds_read_b64 v[12:13], v77 offset:16384
	ds_read2st64_b64 v[2:5], v76 offset1:1
	ds_read2st64_b64 v[6:9], v76 offset0:2 offset1:3
	ds_read_b64 v[14:15], v78 offset:16384
	s_waitcnt lgkmcnt(2)
	v_mfma_f32_16x16x16_bf16 a[0:3], v[10:11], v[2:3], 0
	ds_read_b64 v[2:3], v79 offset:16384
	s_add_i32 s2, s58, 63
	s_mul_i32 s3, s2, s29
	v_mfma_f32_16x16x16_bf16 a[0:3], v[12:13], v[4:5], a[0:3]
	s_mul_hi_u32 s27, s2, s28
	s_add_i32 s3, s27, s3
	s_mul_i32 s2, s2, s28
	s_waitcnt lgkmcnt(1)
	v_mfma_f32_16x16x16_bf16 a[0:3], v[14:15], v[6:7], a[0:3]
	s_lshl_b64 s[2:3], s[2:3], 2
	s_add_u32 s2, s42, s2
	s_addc_u32 s3, s43, s3
	s_waitcnt lgkmcnt(0)
	v_mfma_f32_16x16x16_bf16 a[0:3], v[2:3], v[8:9], a[0:3]
	s_and_b64 vcc, exec, s[0:1]
	v_mov_b32_e32 v99, 0
	v_mov_b32_e32 v98, 0
	;; [unrolled: 1-line block ×19, first 2 shown]
	s_cbranch_vccnz .LBB608_12
; %bb.11:                               ;   in Loop: Header=BB608_6 Depth=1
	s_and_b32 s21, s21, 0xffff
	buffer_load_dwordx4 v[14:17], v67, s[20:23], 0 offen
	buffer_load_dwordx4 v[10:13], v67, s[20:23], s56 offen
	;; [unrolled: 1-line block ×4, first 2 shown]
	v_mov_b32_e32 v98, v69
	v_mov_b32_e32 v97, v70
.LBB608_12:                             ;   in Loop: Header=BB608_6 Depth=1
	v_add_u32_e32 v24, s58, v85
	v_ashrrev_i32_e32 v18, 31, v24
	v_mul_lo_u32 v20, v18, s28
	v_mul_lo_u32 v21, v24, s29
	v_mad_u64_u32 v[18:19], s[20:21], v24, s28, 0
	v_add3_u32 v19, v19, v21, v20
	v_add_u32_e32 v20, 1, v24
	v_ashrrev_i32_e32 v21, 31, v20
	v_mul_lo_u32 v22, v21, s28
	v_mul_lo_u32 v23, v20, s29
	v_mad_u64_u32 v[20:21], s[20:21], v20, s28, 0
	v_add3_u32 v21, v21, v23, v22
	v_add_u32_e32 v22, 2, v24
	v_ashrrev_i32_e32 v23, 31, v22
	v_mul_lo_u32 v25, v23, s28
	v_mul_lo_u32 v26, v22, s29
	v_mad_u64_u32 v[22:23], s[20:21], v22, s28, 0
	v_add_u32_e32 v24, 3, v24
	v_add3_u32 v23, v23, v26, v25
	v_ashrrev_i32_e32 v25, 31, v24
	v_mul_lo_u32 v28, v25, s28
	v_mul_lo_u32 v29, v24, s29
	v_mad_u64_u32 v[24:25], s[20:21], v24, s28, 0
	s_add_u32 s20, s38, s58
	s_addc_u32 s21, s39, 0
	s_lshl_b64 s[20:21], s[20:21], 8
	v_lshl_add_u64 v[18:19], v[18:19], 2, s[42:43]
	v_lshl_add_u64 v[20:21], v[20:21], 2, s[42:43]
	;; [unrolled: 1-line block ×3, first 2 shown]
	v_add3_u32 v25, v25, v29, v28
	v_lshl_add_u64 v[22:23], v[22:23], 2, s[42:43]
	global_load_ushort v38, v[26:27], off
	global_load_ushort v39, v[26:27], off offset:256
	global_load_ushort v40, v[26:27], off offset:512
	;; [unrolled: 1-line block ×3, first 2 shown]
	global_load_dword v42, v[18:19], off
	v_lshl_add_u64 v[18:19], v[24:25], 2, s[42:43]
	global_load_dword v43, v[20:21], off
	global_load_dword v44, v[22:23], off
	;; [unrolled: 1-line block ×3, first 2 shown]
	s_load_dword s2, s[2:3], 0x0
	ds_read2st64_b64 v[24:27], v80 offset1:1
	ds_read2st64_b64 v[28:31], v80 offset0:2 offset1:3
	ds_read_b64 v[22:23], v75 offset:24576
	ds_read_b64 v[32:33], v77 offset:24576
	;; [unrolled: 1-line block ×4, first 2 shown]
	s_waitcnt lgkmcnt(0)
	v_mfma_f32_16x16x16_bf16 a[0:3], v[22:23], v[24:25], a[0:3]
	v_mov_b32_e32 v100, 0
	v_mov_b32_e32 v18, 0
	v_mov_b32_e32 v19, 0
	v_mfma_f32_16x16x16_bf16 a[0:3], v[32:33], v[26:27], a[0:3]
	v_mov_b32_e32 v20, 0
	v_mov_b32_e32 v21, 0
	v_mov_b32_e32 v22, 0
	;; [unrolled: 4-line block ×4, first 2 shown]
	v_mov_b32_e32 v29, 0
	s_and_b64 vcc, exec, s[0:1]
	s_waitcnt vmcnt(7)
	v_lshlrev_b32_e32 v34, 16, v38
	s_waitcnt vmcnt(6)
	v_lshlrev_b32_e32 v35, 16, v39
	;; [unrolled: 2-line block ×4, first 2 shown]
	s_waitcnt vmcnt(3)
	v_sub_f32_e32 v38, s2, v42
	s_waitcnt vmcnt(2)
	v_sub_f32_e32 v39, s2, v43
	;; [unrolled: 2-line block ×4, first 2 shown]
	v_mul_f32_e32 v38, 0x3fb8aa3b, v38
	v_mul_f32_e32 v39, 0x3fb8aa3b, v39
	;; [unrolled: 1-line block ×4, first 2 shown]
	v_exp_f32_e32 v38, v38
	v_exp_f32_e32 v39, v39
	;; [unrolled: 1-line block ×4, first 2 shown]
	v_accvgpr_read_b32 v33, a1
	v_accvgpr_read_b32 v31, a3
	;; [unrolled: 1-line block ×4, first 2 shown]
	v_pk_add_f32 v[32:33], v[34:35], v[32:33] neg_lo:[0,1] neg_hi:[0,1]
	v_pk_add_f32 v[30:31], v[36:37], v[30:31] neg_lo:[0,1] neg_hi:[0,1]
	v_pk_mul_f32 v[32:33], v[38:39], v[32:33]
	v_pk_mul_f32 v[30:31], v[40:41], v[30:31]
	s_nop 0
	v_perm_b32 v31, v31, v30, s35
	v_perm_b32 v30, v33, v32, s35
	ds_write_b64 v72, v[30:31]
	v_mov_b32_e32 v30, 0
	v_mov_b32_e32 v31, 0
	v_mov_b32_e32 v32, 0
	v_mov_b32_e32 v33, 0
	s_cbranch_vccnz .LBB608_14
; %bb.13:                               ;   in Loop: Header=BB608_6 Depth=1
	s_and_b32 s25, s25, 0xffff
	s_mov_b32 s27, s23
	buffer_load_dwordx4 v[30:33], v83, s[24:27], 0 offen
	buffer_load_dwordx4 v[22:25], v83, s[24:27], s56 offen
	buffer_load_dwordx4 v[26:29], v84, s[24:27], 0 offen
	buffer_load_dwordx4 v[18:21], v84, s[24:27], s56 offen
	v_mov_b32_e32 v99, v66
	v_mov_b32_e32 v100, v65
.LBB608_14:                             ;   in Loop: Header=BB608_6 Depth=1
	s_waitcnt lgkmcnt(0)
	s_barrier
	ds_read_b64 v[34:35], v87
	ds_read_b64 v[40:41], v88
	ds_read2st64_b64 v[36:39], v80 offset1:1
	ds_read2st64_b64 v[102:105], v80 offset0:2 offset1:3
	ds_read_b64 v[42:43], v89
	ds_read_b64 v[110:111], v90
	s_add_i32 s3, s50, s63
	s_mul_hi_i32 s21, s3, s13
	s_mul_i32 s3, s3, s13
	s_waitcnt lgkmcnt(3)
	v_mfma_f32_16x16x16_bf16 a[0:3], v[34:35], v[36:37], 0
	ds_read_b64 v[34:35], v92
	s_add_u32 s20, s3, s33
	s_addc_u32 s21, s21, s54
	s_add_i32 s3, s31, s58
	v_mfma_f32_16x16x16_bf16 a[0:3], v[40:41], v[38:39], a[0:3]
	ds_read_b64 v[40:41], v93
	s_lshl_b64 s[20:21], s[20:21], 15
	s_mul_hi_i32 s25, s3, s13
	s_mul_i32 s3, s3, s13
	s_add_u32 s24, s3, s33
	s_addc_u32 s25, s25, s54
	s_lshl_b64 s[24:25], s[24:25], 9
	s_add_u32 s24, s40, s24
	s_waitcnt lgkmcnt(1)
	v_mfma_f32_16x16x16_bf16 a[4:7], v[34:35], v[36:37], 0
	s_addc_u32 s25, s41, s25
	s_and_b64 vcc, exec, s[0:1]
	v_mfma_f32_16x16x16_bf16 a[0:3], v[42:43], v[102:103], a[0:3]
	ds_read_b64 v[42:43], v94
	ds_read_b64 v[112:113], v95
	global_load_dwordx4 v[34:37], v91, s[24:25]
	s_waitcnt lgkmcnt(2)
	v_mfma_f32_16x16x16_bf16 a[4:7], v[40:41], v[38:39], a[4:7]
	global_load_dwordx4 v[38:41], v86, s[24:25]
	ds_read_b64 v[106:107], v81
	ds_read_b64 v[108:109], v82
	s_waitcnt lgkmcnt(3)
	v_mfma_f32_16x16x16_bf16 a[8:11], v[42:43], v[102:103], a[4:7]
	v_lshl_add_u64 v[42:43], v[54:55], 0, s[20:21]
	s_waitcnt lgkmcnt(0)
	global_store_dwordx4 v[42:43], v[106:109], off
	v_mfma_f32_16x16x16_bf16 a[4:7], v[110:111], v[104:105], a[0:3]
	s_waitcnt vmcnt(2)
	v_mov_b32_e32 v44, v37
	v_mfma_f32_16x16x16_bf16 a[0:3], v[112:113], v[104:105], a[8:11]
	v_mov_b32_e32 v43, v36
	v_mov_b32_e32 v42, v35
	s_cbranch_vccnz .LBB608_16
; %bb.15:                               ;   in Loop: Header=BB608_6 Depth=1
	v_lshrrev_b32_e32 v35, 3, v99
	v_and_b32_e32 v35, 6, v35
	v_xor_b32_e32 v36, v35, v100
	v_lshlrev_b32_e32 v36, 2, v36
	v_and_b32_e32 v37, 8, v99
	v_xor_b32_e32 v99, 0x440, v36
	v_cmp_eq_u32_e32 vcc, 0, v37
	v_perm_b32 v37, v22, v18, s59
	s_nop 0
	v_cndmask_b32_e32 v36, v99, v36, vcc
	v_lshl_or_b32 v35, v35, 10, v36
	v_perm_b32 v36, v30, v26, s59
	s_barrier
	ds_write2st64_b32 v35, v36, v37 offset1:32
	v_xor_b32_e32 v36, 8, v35
	v_perm_b32 v26, v30, v26, s60
	v_perm_b32 v18, v22, v18, s60
	v_add_u32_e32 v22, 0x80, v36
	ds_write2st64_b32 v22, v26, v18 offset1:32
	v_xor_b32_e32 v18, 16, v35
	v_perm_b32 v22, v31, v27, s59
	v_perm_b32 v26, v23, v19, s59
	ds_write2st64_b32 v18, v22, v26 offset0:1 offset1:33
	v_xor_b32_e32 v18, 24, v35
	v_perm_b32 v22, v31, v27, s60
	v_perm_b32 v19, v23, v19, s60
	v_add_u32_e32 v18, 0x80, v18
	ds_write2st64_b32 v18, v22, v19 offset0:1 offset1:33
	v_xor_b32_e32 v18, 32, v35
	v_perm_b32 v19, v32, v28, s59
	v_perm_b32 v22, v24, v20, s59
	ds_write2st64_b32 v18, v19, v22 offset0:2 offset1:34
	v_xor_b32_e32 v18, 40, v35
	v_perm_b32 v19, v32, v28, s60
	v_perm_b32 v20, v24, v20, s60
	v_add_u32_e32 v18, 0x80, v18
	ds_write2st64_b32 v18, v19, v20 offset0:2 offset1:34
	;; [unrolled: 9-line block ×3, first 2 shown]
	ds_write_b64 v98, v[14:15] offset:16384
	v_xor_b32_e32 v14, 8, v98
	ds_write_b64 v14, v[16:17] offset:16384
	ds_write_b64 v98, v[10:11] offset:24576
	;; [unrolled: 1-line block ×4, first 2 shown]
	v_xor_b32_e32 v6, 8, v97
	ds_write_b64 v6, v[8:9] offset:16384
	ds_write_b64 v97, v[2:3] offset:24576
	;; [unrolled: 1-line block ×3, first 2 shown]
.LBB608_16:                             ;   in Loop: Header=BB608_6 Depth=1
	v_mul_f32_e32 v6, s2, v96
	v_exp_f32_e32 v10, v6
	s_waitcnt vmcnt(1)
	v_mul_f32_e32 v6, 0x3fb8aa3b, v38
	v_exp_f32_e32 v12, v6
	v_mul_f32_e32 v6, 0x3fb8aa3b, v39
	v_exp_f32_e32 v13, v6
	;; [unrolled: 2-line block ×4, first 2 shown]
	v_accvgpr_read_b32 v2, a4
	v_accvgpr_read_b32 v3, a5
	v_pk_mul_f32 v[12:13], v[10:11], v[12:13] op_sel_hi:[0,1]
	v_pk_fma_f32 v[46:47], v[46:47], v[12:13], v[2:3]
	v_pk_mul_f32 v[2:3], v[10:11], v[14:15] op_sel_hi:[0,1]
	v_mul_f32_e32 v11, 0x3fb8aa3b, v34
	v_exp_f32_e32 v12, v11
	v_mul_f32_e32 v11, 0x3fb8aa3b, v42
	v_exp_f32_e32 v13, v11
	;; [unrolled: 2-line block ×4, first 2 shown]
	v_accvgpr_read_b32 v4, a6
	v_accvgpr_read_b32 v5, a7
	;; [unrolled: 1-line block ×5, first 2 shown]
	v_pk_fma_f32 v[52:53], v[52:53], v[2:3], v[4:5]
	v_pk_mul_f32 v[2:3], v[10:11], v[12:13] op_sel_hi:[0,1]
	v_accvgpr_read_b32 v8, a2
	v_pk_fma_f32 v[50:51], v[50:51], v[2:3], v[6:7]
	v_pk_mul_f32 v[2:3], v[10:11], v[14:15] op_sel_hi:[0,1]
	s_add_i32 s58, s58, 64
	s_cmp_eq_u32 s47, s62
	v_pk_fma_f32 v[48:49], v[48:49], v[2:3], v[8:9]
	s_cbranch_scc1 .LBB608_18
; %bb.17:                               ;   in Loop: Header=BB608_6 Depth=1
	s_mov_b32 s63, s62
	s_branch .LBB608_6
.LBB608_18:
	s_lshl_b32 s40, s47, 6
	s_sub_i32 s41, s12, s40
	s_cmp_gt_i32 s41, 0
	s_cbranch_scc0 .LBB608_75
; %bb.19:
	s_ashr_i32 s35, s48, 31
	s_ashr_i32 s2, s40, 31
	s_cmpk_lg_i32 s15, 0x80
	s_cselect_b64 s[26:27], -1, 0
	s_and_b64 vcc, exec, s[26:27]
	s_cbranch_vccz .LBB608_21
; %bb.20:
	s_mul_i32 s1, s48, s12
	s_mul_hi_i32 s0, s48, s12
	s_add_u32 s1, s1, s40
	s_addc_u32 s0, s0, s2
	s_mul_i32 s3, s1, s49
	s_mul_hi_u32 s20, s1, s14
	s_add_i32 s3, s20, s3
	s_mul_i32 s0, s0, s14
	s_add_i32 s3, s3, s0
	s_mul_i32 s1, s1, s14
	s_ashr_i32 s0, s52, 31
	s_add_u32 s38, s1, s52
	s_addc_u32 s39, s3, s0
	s_cbranch_execz .LBB608_22
	s_branch .LBB608_23
.LBB608_21:
                                        ; implicit-def: $sgpr38_sgpr39
.LBB608_22:
	s_mul_hi_i32 s0, s48, s14
	s_mul_i32 s48, s48, s14
	s_ashr_i32 s1, s52, 31
	s_add_u32 s3, s48, s52
	s_addc_u32 s0, s0, s1
	s_mul_i32 s1, s3, s46
	s_mul_hi_u32 s14, s3, s12
	s_add_i32 s1, s14, s1
	s_mul_i32 s0, s0, s12
	s_add_i32 s1, s1, s0
	s_mul_i32 s3, s3, s12
	s_add_u32 s38, s3, s40
	s_addc_u32 s39, s1, s2
.LBB608_23:
	s_add_i32 s3, s50, s47
	s_ashr_i32 s14, s33, 31
	s_add_u32 s0, s45, s33
	s_addc_u32 s1, s51, s14
	s_mul_i32 s20, s0, s46
	s_mul_hi_u32 s21, s0, s12
	s_add_i32 s20, s21, s20
	s_mul_i32 s1, s1, s12
	s_add_i32 s20, s20, s1
	s_mul_i32 s0, s0, s12
	s_add_u32 s0, s0, s40
	s_addc_u32 s1, s20, s2
	s_mov_b32 s2, 0x7060302
	v_lshlrev_b32_e32 v6, 3, v1
	s_lshl_b64 s[24:25], s[0:1], 8
	v_perm_b32 v3, v53, v52, s2
	v_perm_b32 v2, v47, v46, s2
	;; [unrolled: 1-line block ×4, first 2 shown]
	v_lshlrev_b32_e32 v34, 2, v1
	v_lshl_or_b32 v6, v63, 5, v6
	s_add_u32 s0, s6, s24
	ds_write2st64_b64 v6, v[2:3], v[4:5] offset0:72 offset1:76
	v_xor_b32_e32 v6, v63, v34
	v_lshlrev_b32_e32 v7, 8, v1
	s_addc_u32 s1, s7, s25
	v_lshl_or_b32 v6, v6, 1, v7
	s_mul_hi_i32 s6, s3, s13
	s_mul_i32 s3, s3, s13
	ds_write_b64 v6, v[2:3] offset:32768
	v_xor_b32_e32 v2, v64, v34
	s_add_u32 s2, s3, s33
	v_lshl_or_b32 v2, v2, 1, v7
	s_addc_u32 s3, s6, s14
	v_lshlrev_b32_e32 v3, 1, v1
	ds_write_b64 v2, v[4:5] offset:32768
	v_lshrrev_b32_e32 v2, 4, v0
	s_ashr_i32 s31, s30, 31
	s_lshl_b64 s[2:3], s[2:3], 15
	v_or_b32_e32 v4, 1, v3
	s_add_u32 s6, s36, s2
	v_xor_b32_e32 v3, v2, v3
	v_xor_b32_e32 v4, v4, v2
	v_lshlrev_b32_e32 v6, 8, v2
	s_addc_u32 s7, s37, s3
	s_lshl_b64 s[2:3], s[30:31], 8
	v_lshl_or_b32 v2, v3, 3, v6
	v_lshl_or_b32 v4, v4, 3, v6
	s_waitcnt lgkmcnt(0)
	s_barrier
	s_add_u32 s2, s6, s2
	ds_read_b64 v[2:3], v2 offset:32768
	ds_read_b64 v[4:5], v4 offset:32768
	s_addc_u32 s3, s7, s3
	v_mov_b32_e32 v7, 0
	s_cmp_lg_u32 s41, 64
	v_lshl_add_u64 v[8:9], s[2:3], 0, v[6:7]
	v_lshlrev_b32_e32 v6, 4, v1
	s_cselect_b64 s[6:7], -1, 0
	v_lshl_or_b32 v35, v59, 3, v62
	s_mov_b32 s20, 0
	v_lshl_add_u64 v[6:7], v[8:9], 0, v[6:7]
	v_or_b32_e32 v19, 32, v35
	v_and_b32_e32 v18, 56, v61
	s_and_b64 vcc, exec, s[6:7]
	s_waitcnt lgkmcnt(0)
	global_store_dwordx4 v[6:7], v[2:5], off
	s_cbranch_vccz .LBB608_29
; %bb.24:
	s_mov_b32 s21, s20
	s_mov_b32 s22, s20
	s_mov_b32 s23, s20
	v_mov_b64_e32 v[6:7], s[20:21]
	v_mov_b64_e32 v[8:9], s[22:23]
	;; [unrolled: 1-line block ×3, first 2 shown]
	v_cmp_gt_i32_e32 vcc, s41, v35
	v_mov_b64_e32 v[4:5], v[8:9]
	s_and_saveexec_b64 s[2:3], vcc
	s_cbranch_execz .LBB608_26
; %bb.25:
	v_lshlrev_b32_e32 v2, 8, v35
	v_mov_b32_e32 v3, 0
	v_lshl_add_u64 v[4:5], s[0:1], 0, v[2:3]
	v_lshlrev_b32_e32 v2, 1, v18
	v_lshl_add_u64 v[10:11], v[4:5], 0, v[2:3]
	global_load_dwordx4 v[6:9], v[10:11], off
	global_load_dwordx4 v[2:5], v[10:11], off offset:128
.LBB608_26:
	s_or_b64 exec, exec, s[2:3]
	s_mov_b32 s21, s20
	s_mov_b32 s22, s20
	;; [unrolled: 1-line block ×3, first 2 shown]
	v_mov_b64_e32 v[14:15], s[20:21]
	v_mov_b64_e32 v[16:17], s[22:23]
	;; [unrolled: 1-line block ×3, first 2 shown]
	v_cmp_gt_i32_e32 vcc, s41, v19
	v_lshlrev_b32_e32 v20, 7, v19
	v_mov_b64_e32 v[12:13], v[16:17]
	s_and_saveexec_b64 s[2:3], vcc
	s_cbranch_execz .LBB608_28
; %bb.27:
	v_lshlrev_b32_e32 v10, 1, v20
	v_mov_b32_e32 v11, 0
	v_lshl_add_u64 v[12:13], s[0:1], 0, v[10:11]
	v_lshlrev_b32_e32 v10, 1, v18
	v_lshl_add_u64 v[22:23], v[12:13], 0, v[10:11]
	global_load_dwordx4 v[14:17], v[22:23], off
	global_load_dwordx4 v[10:13], v[22:23], off offset:128
.LBB608_28:
	s_or_b64 exec, exec, s[2:3]
	v_lshrrev_b32_e32 v21, 3, v18
	v_lshlrev_b32_e32 v22, 3, v35
	v_or_b32_e32 v21, v22, v21
	v_lshlrev_b32_e32 v21, 4, v21
	v_and_b32_e32 v22, 0x78, v22
	v_xor_b32_e32 v21, v21, v22
	s_branch .LBB608_31
.LBB608_29:
                                        ; implicit-def: $vgpr21
                                        ; implicit-def: $vgpr20
                                        ; implicit-def: $vgpr6_vgpr7_vgpr8_vgpr9
                                        ; implicit-def: $vgpr2_vgpr3_vgpr4_vgpr5
                                        ; implicit-def: $vgpr14_vgpr15_vgpr16_vgpr17
                                        ; implicit-def: $vgpr10_vgpr11_vgpr12_vgpr13
	s_cbranch_execz .LBB608_31
; %bb.30:
	s_waitcnt vmcnt(0)
	v_lshlrev_b32_e32 v2, 1, v18
	v_lshl_or_b32 v20, v35, 8, v2
	s_and_b32 s1, s1, 0xffff
	s_mov_b32 s3, 0x20000
	s_movk_i32 s2, 0x4000
	v_lshl_or_b32 v21, v19, 8, v2
	s_movk_i32 s13, 0x80
	buffer_load_dwordx4 v[6:9], v20, s[0:3], 0 offen
	buffer_load_dwordx4 v[2:5], v20, s[0:3], s13 offen
	;; [unrolled: 1-line block ×4, first 2 shown]
	v_lshrrev_b32_e32 v20, 3, v18
	v_lshlrev_b32_e32 v21, 3, v35
	v_or_b32_e32 v20, v21, v20
	v_lshlrev_b32_e32 v20, 4, v20
	v_and_b32_e32 v21, 0x78, v21
	v_xor_b32_e32 v21, v20, v21
	v_lshlrev_b32_e32 v20, 7, v19
.LBB608_31:
	s_lshl_b64 s[0:1], s[38:39], 8
	s_add_u32 s4, s4, s0
	s_movk_i32 s0, 0x1000
	v_and_or_b32 v19, v20, s0, v21
	s_waitcnt vmcnt(1)
	ds_write_b64 v21, v[6:7] offset:16384
	v_xor_b32_e32 v6, 8, v21
	s_addc_u32 s5, s5, s1
	ds_write_b64 v6, v[8:9] offset:16384
	s_waitcnt vmcnt(0)
	ds_write_b64 v21, v[2:3] offset:24576
	ds_write_b64 v6, v[4:5] offset:24576
	;; [unrolled: 1-line block ×3, first 2 shown]
	v_xor_b32_e32 v2, 8, v19
	s_add_i32 s0, s44, s17
	s_mul_i32 s35, s35, s16
	ds_write_b64 v2, v[16:17] offset:16384
	ds_write_b64 v19, v[10:11] offset:24576
	;; [unrolled: 1-line block ×3, first 2 shown]
	s_add_i32 s35, s0, s35
	s_mul_i32 s0, s33, s19
	s_mul_hi_u32 s1, s33, s18
	v_or_b32_e32 v2, v45, v1
	s_add_i32 s0, s1, s0
	s_mul_i32 s1, s14, s18
	v_lshlrev_b32_e32 v2, 3, v2
	v_lshrrev_b32_e32 v4, 5, v58
	s_movk_i32 s14, 0xf8
	v_and_or_b32 v4, v2, s14, v4
	v_lshlrev_b32_e32 v3, 11, v59
	v_lshlrev_b32_e32 v12, 4, v4
	v_and_b32_e32 v13, 0x78, v2
	v_and_b32_e32 v14, 0x1000, v3
	v_lshlrev_b32_e32 v3, 2, v0
	v_xor_b32_e32 v2, v12, v13
	v_lshrrev_b32_e32 v4, 1, v58
	v_and_b32_e32 v3, 60, v3
	v_or_b32_e32 v2, v2, v14
	v_and_b32_e32 v15, 8, v4
	v_xor_b32_e32 v26, v2, v15
	v_lshl_or_b32 v2, v60, 6, v3
	v_lshlrev_b32_e32 v19, 1, v2
	v_or_b32_e32 v2, 32, v12
	v_xor_b32_e32 v2, v2, v13
	s_waitcnt lgkmcnt(0)
	s_barrier
	ds_read_b64 v[10:11], v26 offset:16384
	v_or_b32_e32 v2, v2, v14
	v_xor_b32_e32 v27, v2, v15
	v_or_b32_e32 v2, 64, v12
	v_xor_b32_e32 v2, v2, v13
	v_or_b32_e32 v2, v2, v14
	v_or_b32_e32 v12, 0x60, v12
	v_xor_b32_e32 v28, v2, v15
	ds_read2st64_b64 v[2:5], v19 offset0:72 offset1:73
	ds_read2st64_b64 v[6:9], v19 offset0:74 offset1:75
	v_xor_b32_e32 v16, v12, v13
	ds_read_b64 v[12:13], v27 offset:16384
	s_waitcnt lgkmcnt(2)
	v_mfma_f32_16x16x16_bf16 a[0:3], v[10:11], v[2:3], 0
	s_add_i32 s2, s12, -1
	s_ashr_i32 s3, s2, 31
	s_mul_i32 s12, s2, s29
	s_mul_hi_u32 s13, s2, s28
	s_add_i32 s12, s13, s12
	s_mul_i32 s3, s3, s28
	v_or_b32_e32 v14, v16, v14
	s_add_i32 s1, s0, s1
	s_add_i32 s3, s12, s3
	s_lshl_b64 s[12:13], s[34:35], 2
	v_xor_b32_e32 v36, v14, v15
	ds_read_b64 v[14:15], v28 offset:16384
	ds_read_b64 v[16:17], v36 offset:16384
	s_waitcnt lgkmcnt(2)
	v_mfma_f32_16x16x16_bf16 a[0:3], v[12:13], v[4:5], a[0:3]
	s_mul_i32 s0, s33, s18
	s_add_u32 s10, s10, s12
	s_addc_u32 s11, s11, s13
	s_lshl_b64 s[0:1], s[0:1], 2
	s_mul_i32 s2, s2, s28
	s_add_u32 s10, s10, s0
	s_addc_u32 s11, s11, s1
	s_lshl_b64 s[0:1], s[2:3], 2
	s_waitcnt lgkmcnt(1)
	v_mfma_f32_16x16x16_bf16 a[0:3], v[14:15], v[6:7], a[0:3]
	s_add_u32 s0, s10, s0
	s_addc_u32 s1, s11, s1
	s_load_dword s12, s[0:1], 0x0
	s_waitcnt lgkmcnt(0)
	v_mfma_f32_16x16x16_bf16 a[0:3], v[16:17], v[8:9], a[0:3]
	s_and_b64 vcc, exec, s[26:27]
	s_cbranch_vccz .LBB608_42
; %bb.32:
	v_lshlrev_b32_e32 v20, 1, v35
	s_and_b64 vcc, exec, s[6:7]
	s_cbranch_vccz .LBB608_43
; %bb.33:
	v_cmp_gt_i32_e32 vcc, s41, v20
	v_mov_b32_e32 v6, 0
	v_mov_b32_e32 v2, 0
	;; [unrolled: 1-line block ×5, first 2 shown]
	s_and_saveexec_b64 s[0:1], vcc
	s_cbranch_execz .LBB608_35
; %bb.34:
	v_mad_i64_i32 v[2:3], s[2:3], s15, v20, 0
	v_lshl_add_u64 v[2:3], v[2:3], 1, s[4:5]
	v_lshlrev_b32_e32 v4, 1, v18
	v_mov_b32_e32 v5, 0
	v_lshl_add_u64 v[2:3], v[2:3], 0, v[4:5]
	global_load_dwordx4 v[2:5], v[2:3], off
.LBB608_35:
	s_or_b64 exec, exec, s[0:1]
	v_or_b32_e32 v21, 1, v20
	v_cmp_gt_i32_e64 s[0:1], s41, v21
	v_mov_b32_e32 v7, 0
	v_mov_b32_e32 v8, 0
	;; [unrolled: 1-line block ×3, first 2 shown]
	s_and_saveexec_b64 s[2:3], s[0:1]
	s_cbranch_execz .LBB608_37
; %bb.36:
	v_mad_i64_i32 v[6:7], s[16:17], s15, v21, 0
	v_lshl_add_u64 v[6:7], v[6:7], 1, s[4:5]
	v_lshlrev_b32_e32 v8, 1, v18
	v_mov_b32_e32 v9, 0
	v_lshl_add_u64 v[6:7], v[6:7], 0, v[8:9]
	global_load_dwordx4 v[6:9], v[6:7], off
.LBB608_37:
	s_or_b64 exec, exec, s[2:3]
	v_mov_b32_e32 v17, 0
	v_mov_b32_e32 v10, 0
	;; [unrolled: 1-line block ×5, first 2 shown]
	s_and_saveexec_b64 s[2:3], vcc
	s_cbranch_execz .LBB608_39
; %bb.38:
	v_mad_i64_i32 v[10:11], s[16:17], s15, v20, 0
	v_lshl_add_u64 v[10:11], v[10:11], 1, s[4:5]
	v_lshlrev_b32_e32 v12, 1, v18
	v_mov_b32_e32 v13, 0
	v_lshl_add_u64 v[10:11], v[10:11], 0, v[12:13]
	global_load_dwordx4 v[10:13], v[10:11], off offset:128
.LBB608_39:
	s_or_b64 exec, exec, s[2:3]
	v_mov_b32_e32 v16, 0
	v_mov_b32_e32 v15, 0
	;; [unrolled: 1-line block ×3, first 2 shown]
	s_and_saveexec_b64 s[2:3], s[0:1]
	s_cbranch_execz .LBB608_41
; %bb.40:
	v_mad_i64_i32 v[14:15], s[0:1], s15, v21, 0
	v_lshl_add_u64 v[14:15], v[14:15], 1, s[4:5]
	v_lshlrev_b32_e32 v16, 1, v18
	v_mov_b32_e32 v17, 0
	v_lshl_add_u64 v[14:15], v[14:15], 0, v[16:17]
	global_load_dwordx4 v[14:17], v[14:15], off offset:128
.LBB608_41:
	s_or_b64 exec, exec, s[2:3]
	s_branch .LBB608_45
.LBB608_42:
                                        ; implicit-def: $vgpr5
                                        ; implicit-def: $vgpr9
                                        ; implicit-def: $vgpr13
                                        ; implicit-def: $vgpr17
	v_lshrrev_b32_e32 v37, 2, v58
	s_branch .LBB608_46
.LBB608_43:
                                        ; implicit-def: $vgpr5
                                        ; implicit-def: $vgpr9
                                        ; implicit-def: $vgpr13
                                        ; implicit-def: $vgpr17
	s_cbranch_execz .LBB608_45
; %bb.44:
	s_waitcnt vmcnt(0)
	v_mad_u64_u32 v[2:3], s[0:1], v20, s15, v[18:19]
	v_lshlrev_b32_e32 v20, 1, v2
	s_lshl_b32 s2, s15, 7
	s_and_b32 s1, s5, 0xffff
	s_mov_b32 s3, 0x20000
	s_mov_b32 s0, s4
	v_add_lshl_u32 v21, v2, s15, 1
	s_movk_i32 s13, 0x80
	buffer_load_dwordx4 v[2:5], v20, s[0:3], 0 offen
	buffer_load_dwordx4 v[10:13], v20, s[0:3], s13 offen
	;; [unrolled: 1-line block ×4, first 2 shown]
.LBB608_45:
	v_lshrrev_b32_e32 v37, 2, v58
	s_cbranch_execnz .LBB608_58
.LBB608_46:
	s_and_b64 vcc, exec, s[6:7]
	s_cbranch_vccz .LBB608_56
; %bb.47:
	s_waitcnt vmcnt(0)
	v_lshlrev_b32_e32 v7, 1, v35
	v_cmp_gt_i32_e32 vcc, s41, v7
	v_mov_b32_e32 v6, 0
	v_lshlrev_b32_e32 v14, 9, v35
	v_mov_b32_e32 v2, 0
	v_mov_b32_e32 v3, 0
	;; [unrolled: 1-line block ×4, first 2 shown]
	s_and_saveexec_b64 s[0:1], vcc
	s_cbranch_execz .LBB608_49
; %bb.48:
	v_mov_b32_e32 v15, 0
	v_lshl_add_u64 v[2:3], s[4:5], 0, v[14:15]
	v_lshlrev_b32_e32 v4, 1, v18
	v_mov_b32_e32 v5, v15
	v_lshl_add_u64 v[2:3], v[2:3], 0, v[4:5]
	global_load_dwordx4 v[2:5], v[2:3], off
.LBB608_49:
	s_or_b64 exec, exec, s[0:1]
	v_or_b32_e32 v7, 1, v7
	v_cmp_gt_i32_e64 s[0:1], s41, v7
	v_lshlrev_b32_e32 v20, 8, v7
	v_mov_b32_e32 v7, 0
	v_mov_b32_e32 v8, 0
	;; [unrolled: 1-line block ×3, first 2 shown]
	s_and_saveexec_b64 s[2:3], s[0:1]
	s_cbranch_execz .LBB608_51
; %bb.50:
	v_mov_b32_e32 v21, 0
	v_lshl_add_u64 v[6:7], s[4:5], 0, v[20:21]
	v_lshlrev_b32_e32 v8, 1, v18
	v_mov_b32_e32 v9, v21
	v_lshl_add_u64 v[6:7], v[6:7], 0, v[8:9]
	global_load_dwordx4 v[6:9], v[6:7], off
.LBB608_51:
	s_or_b64 exec, exec, s[2:3]
	v_mov_b32_e32 v17, 0
	v_mov_b32_e32 v10, 0
	;; [unrolled: 1-line block ×5, first 2 shown]
	s_and_saveexec_b64 s[2:3], vcc
	s_cbranch_execz .LBB608_53
; %bb.52:
	v_mov_b32_e32 v15, 0
	v_lshl_add_u64 v[10:11], s[4:5], 0, v[14:15]
	v_lshlrev_b32_e32 v14, 1, v18
	v_lshl_add_u64 v[10:11], v[10:11], 0, v[14:15]
	global_load_dwordx4 v[10:13], v[10:11], off offset:128
.LBB608_53:
	s_or_b64 exec, exec, s[2:3]
	v_mov_b32_e32 v16, 0
	v_mov_b32_e32 v15, 0
	v_mov_b32_e32 v14, 0
	s_and_saveexec_b64 s[2:3], s[0:1]
	s_cbranch_execz .LBB608_55
; %bb.54:
	v_mov_b32_e32 v21, 0
	v_lshl_add_u64 v[14:15], s[4:5], 0, v[20:21]
	v_lshlrev_b32_e32 v20, 1, v18
	v_lshl_add_u64 v[14:15], v[14:15], 0, v[20:21]
	global_load_dwordx4 v[14:17], v[14:15], off offset:128
.LBB608_55:
	s_or_b64 exec, exec, s[2:3]
	s_branch .LBB608_58
.LBB608_56:
                                        ; implicit-def: $vgpr5
                                        ; implicit-def: $vgpr9
                                        ; implicit-def: $vgpr13
                                        ; implicit-def: $vgpr17
	s_cbranch_execz .LBB608_58
; %bb.57:
	s_waitcnt vmcnt(0)
	v_lshlrev_b32_e32 v2, 1, v18
	v_lshl_or_b32 v18, v35, 9, v2
	s_and_b32 s5, s5, 0xffff
	s_mov_b32 s7, 0x20000
	s_movk_i32 s6, 0x4000
	s_movk_i32 s0, 0x80
	buffer_load_dwordx4 v[2:5], v18, s[4:7], 0 offen
	buffer_load_dwordx4 v[6:9], v18, s[4:7], 0 offen offset:256
	buffer_load_dwordx4 v[10:13], v18, s[4:7], s0 offen
	buffer_load_dwordx4 v[14:17], v18, s[4:7], s0 offen offset:256
.LBB608_58:
	ds_read2st64_b64 v[22:25], v19 offset0:76 offset1:77
	ds_read2st64_b64 v[18:21], v19 offset0:78 offset1:79
	ds_read_b64 v[30:31], v26 offset:24576
	ds_read_b64 v[32:33], v27 offset:24576
	;; [unrolled: 1-line block ×4, first 2 shown]
	v_and_b32_e32 v36, 6, v0
	v_xor_b32_e32 v35, v35, v36
	v_lshlrev_b32_e32 v35, 2, v35
	v_and_b32_e32 v0, 1, v0
	v_xor_b32_e32 v38, 0x440, v35
	v_cmp_eq_u32_e32 vcc, 0, v0
	s_mov_b32 s0, 0x1000504
	s_mov_b32 s1, 0x3020706
	v_cndmask_b32_e32 v0, v38, v35, vcc
	v_lshl_or_b32 v0, v36, 10, v0
	s_waitcnt vmcnt(0)
	v_perm_b32 v35, v2, v6, s0
	v_perm_b32 v36, v10, v14, s0
	ds_write2st64_b32 v0, v35, v36 offset1:32
	v_xor_b32_e32 v35, 8, v0
	v_perm_b32 v2, v2, v6, s1
	v_perm_b32 v6, v10, v14, s1
	v_add_u32_e32 v10, 0x80, v35
	ds_write2st64_b32 v10, v2, v6 offset1:32
	v_xor_b32_e32 v2, 16, v0
	v_perm_b32 v6, v3, v7, s0
	v_perm_b32 v10, v11, v15, s0
	ds_write2st64_b32 v2, v6, v10 offset0:1 offset1:33
	v_xor_b32_e32 v2, 24, v0
	v_perm_b32 v3, v3, v7, s1
	v_perm_b32 v6, v11, v15, s1
	v_add_u32_e32 v2, 0x80, v2
	ds_write2st64_b32 v2, v3, v6 offset0:1 offset1:33
	v_xor_b32_e32 v2, 32, v0
	v_perm_b32 v3, v4, v8, s0
	v_perm_b32 v6, v12, v16, s0
	ds_write2st64_b32 v2, v3, v6 offset0:2 offset1:34
	v_xor_b32_e32 v2, 40, v0
	v_perm_b32 v3, v4, v8, s1
	v_perm_b32 v4, v12, v16, s1
	v_add_u32_e32 v2, 0x80, v2
	ds_write2st64_b32 v2, v3, v4 offset0:2 offset1:34
	v_xor_b32_e32 v2, 48, v0
	v_perm_b32 v3, v5, v9, s0
	v_perm_b32 v4, v13, v17, s0
	v_xor_b32_e32 v0, 56, v0
	v_and_or_b32 v6, v37, 12, v45
	ds_write2st64_b32 v2, v3, v4 offset0:3 offset1:35
	v_perm_b32 v2, v5, v9, s1
	v_perm_b32 v3, v13, v17, s1
	v_add_u32_e32 v0, 0x80, v0
	v_cmp_gt_i32_e32 vcc, s41, v6
	v_mov_b32_e32 v7, 0
	v_mov_b32_e32 v11, 0
	ds_write2st64_b32 v0, v2, v3 offset0:3 offset1:35
	s_and_saveexec_b64 s[0:1], vcc
	s_cbranch_execz .LBB608_60
; %bb.59:
	v_add_u32_e32 v0, s40, v6
	v_ashrrev_i32_e32 v2, 31, v0
	v_mul_lo_u32 v4, v2, s28
	v_mul_lo_u32 v5, v0, s29
	v_mad_u64_u32 v[2:3], s[2:3], v0, s28, 0
	v_add3_u32 v3, v3, v5, v4
	v_lshl_add_u64 v[2:3], v[2:3], 2, s[10:11]
	global_load_dword v0, v[2:3], off
	s_waitcnt vmcnt(0)
	v_sub_f32_e32 v0, s12, v0
	v_mul_f32_e32 v0, 0x3fb8aa3b, v0
	v_exp_f32_e32 v11, v0
.LBB608_60:
	s_or_b64 exec, exec, s[0:1]
	v_or_b32_e32 v9, 1, v6
	v_cmp_gt_i32_e64 s[0:1], s41, v9
	s_and_saveexec_b64 s[2:3], s[0:1]
	s_cbranch_execz .LBB608_62
; %bb.61:
	v_add_u32_e32 v0, s40, v9
	v_ashrrev_i32_e32 v2, 31, v0
	v_mul_lo_u32 v4, v2, s28
	v_mul_lo_u32 v5, v0, s29
	v_mad_u64_u32 v[2:3], s[4:5], v0, s28, 0
	v_add3_u32 v3, v3, v5, v4
	v_lshl_add_u64 v[2:3], v[2:3], 2, s[10:11]
	global_load_dword v0, v[2:3], off
	s_waitcnt vmcnt(0)
	v_sub_f32_e32 v0, s12, v0
	v_mul_f32_e32 v0, 0x3fb8aa3b, v0
	v_exp_f32_e32 v7, v0
.LBB608_62:
	s_or_b64 exec, exec, s[2:3]
	v_or_b32_e32 v10, 2, v6
	v_cmp_gt_i32_e64 s[2:3], s41, v10
	v_mov_b32_e32 v8, 0
	v_mov_b32_e32 v13, 0
	s_and_saveexec_b64 s[4:5], s[2:3]
	s_cbranch_execz .LBB608_64
; %bb.63:
	v_add_u32_e32 v0, s40, v10
	v_ashrrev_i32_e32 v2, 31, v0
	v_mul_lo_u32 v4, v2, s28
	v_mul_lo_u32 v5, v0, s29
	v_mad_u64_u32 v[2:3], s[6:7], v0, s28, 0
	v_add3_u32 v3, v3, v5, v4
	v_lshl_add_u64 v[2:3], v[2:3], 2, s[10:11]
	global_load_dword v0, v[2:3], off
	s_waitcnt vmcnt(0)
	v_sub_f32_e32 v0, s12, v0
	v_mul_f32_e32 v0, 0x3fb8aa3b, v0
	v_exp_f32_e32 v13, v0
.LBB608_64:
	s_or_b64 exec, exec, s[4:5]
	v_or_b32_e32 v12, 3, v6
	v_cmp_gt_i32_e64 s[4:5], s41, v12
	s_and_saveexec_b64 s[6:7], s[4:5]
	s_cbranch_execz .LBB608_66
; %bb.65:
	v_add_u32_e32 v0, s40, v12
	v_ashrrev_i32_e32 v2, 31, v0
	v_mul_lo_u32 v4, v2, s28
	v_mul_lo_u32 v5, v0, s29
	v_mad_u64_u32 v[2:3], s[14:15], v0, s28, 0
	v_add3_u32 v3, v3, v5, v4
	v_lshl_add_u64 v[2:3], v[2:3], 2, s[10:11]
	global_load_dword v0, v[2:3], off
	s_waitcnt vmcnt(0)
	v_sub_f32_e32 v0, s12, v0
	v_mul_f32_e32 v0, 0x3fb8aa3b, v0
	v_exp_f32_e32 v8, v0
.LBB608_66:
	s_or_b64 exec, exec, s[6:7]
	s_waitcnt lgkmcnt(11)
	v_mfma_f32_16x16x16_bf16 a[0:3], v[30:31], v[22:23], a[0:3]
	v_or_b32_e32 v0, s30, v1
	s_add_u32 s6, s8, s24
	s_addc_u32 s7, s9, s25
	s_waitcnt lgkmcnt(10)
	v_mfma_f32_16x16x16_bf16 a[0:3], v[32:33], v[24:25], a[0:3]
	v_ashrrev_i32_e32 v1, 31, v0
	v_lshl_add_u64 v[4:5], v[0:1], 1, s[6:7]
	v_mov_b32_e32 v14, 0
	s_waitcnt lgkmcnt(9)
	v_mfma_f32_16x16x16_bf16 a[0:3], v[28:29], v[18:19], a[0:3]
	v_mov_b32_e32 v15, 0
	s_waitcnt lgkmcnt(8)
	v_mfma_f32_16x16x16_bf16 a[0:3], v[26:27], v[20:21], a[0:3]
	s_nop 6
	v_accvgpr_read_b32 v0, a0
	v_accvgpr_read_b32 v1, a1
	v_accvgpr_read_b32 v2, a2
	v_accvgpr_read_b32 v3, a3
	s_and_saveexec_b64 s[6:7], vcc
	s_cbranch_execz .LBB608_68
; %bb.67:
	v_lshlrev_b32_e32 v16, 8, v6
	v_mov_b32_e32 v17, 0
	v_lshl_add_u64 v[16:17], v[4:5], 0, v[16:17]
	global_load_ushort v15, v[16:17], off
	s_waitcnt vmcnt(0)
	v_lshlrev_b32_e32 v15, 16, v15
	v_sub_f32_e32 v0, v15, v0
	v_mul_f32_e32 v0, v11, v0
	v_lshrrev_b32_e32 v15, 16, v0
.LBB608_68:
	s_or_b64 exec, exec, s[6:7]
	s_and_saveexec_b64 s[6:7], s[0:1]
	s_cbranch_execz .LBB608_70
; %bb.69:
	v_lshlrev_b32_e32 v16, 8, v9
	v_mov_b32_e32 v17, 0
	v_lshl_add_u64 v[16:17], v[4:5], 0, v[16:17]
	global_load_ushort v0, v[16:17], off
	s_waitcnt vmcnt(0)
	v_lshlrev_b32_e32 v0, 16, v0
	v_sub_f32_e32 v0, v0, v1
	v_mul_f32_e32 v0, v7, v0
	v_lshrrev_b32_e32 v14, 16, v0
.LBB608_70:
	s_or_b64 exec, exec, s[6:7]
	v_mov_b32_e32 v0, 0
	v_mov_b32_e32 v1, 0
	s_and_saveexec_b64 s[0:1], s[2:3]
	s_cbranch_execz .LBB608_72
; %bb.71:
	v_lshlrev_b32_e32 v10, 8, v10
	v_mov_b32_e32 v11, 0
	v_lshl_add_u64 v[10:11], v[4:5], 0, v[10:11]
	global_load_ushort v1, v[10:11], off
	s_waitcnt vmcnt(0)
	v_lshlrev_b32_e32 v1, 16, v1
	v_sub_f32_e32 v1, v1, v2
	v_mul_f32_e32 v1, v13, v1
	v_lshrrev_b32_e32 v1, 16, v1
.LBB608_72:
	s_or_b64 exec, exec, s[0:1]
	s_and_saveexec_b64 s[0:1], s[4:5]
	s_cbranch_execz .LBB608_74
; %bb.73:
	v_lshlrev_b32_e32 v10, 8, v12
	v_mov_b32_e32 v11, 0
	v_lshl_add_u64 v[4:5], v[4:5], 0, v[10:11]
	global_load_ushort v0, v[4:5], off
	s_waitcnt vmcnt(0)
	v_lshlrev_b32_e32 v0, 16, v0
	v_sub_f32_e32 v0, v0, v3
	v_mul_f32_e32 v0, v8, v0
	v_lshrrev_b32_e32 v0, 16, v0
.LBB608_74:
	s_or_b64 exec, exec, s[0:1]
	s_mov_b32 s0, 0x5040100
	v_lshlrev_b32_e32 v2, 1, v34
	v_perm_b32 v1, v0, v1, s0
	v_perm_b32 v0, v14, v15, s0
	v_lshl_or_b32 v2, v6, 5, v2
	ds_write_b64 v2, v[0:1] offset:38912
	s_waitcnt lgkmcnt(0)
	s_barrier
.LBB608_75:
	s_endpgm
	.section	.rodata,"a",@progbits
	.p2align	6, 0x0
	.amdhsa_kernel _ZN12_GLOBAL__N_139chunk_gated_delta_rule_fwd_h_hip_kernelILi16ELb0ELb0ELb0ELb0ELb0ELb1ELb0ELb1EEEvPK12hip_bfloat16S3_S3_PKfS5_PKvPS1_S8_PvPKiSB_iiiiilll
		.amdhsa_group_segment_fixed_size 40960
		.amdhsa_private_segment_fixed_size 0
		.amdhsa_kernarg_size 136
		.amdhsa_user_sgpr_count 2
		.amdhsa_user_sgpr_dispatch_ptr 0
		.amdhsa_user_sgpr_queue_ptr 0
		.amdhsa_user_sgpr_kernarg_segment_ptr 1
		.amdhsa_user_sgpr_dispatch_id 0
		.amdhsa_user_sgpr_kernarg_preload_length 0
		.amdhsa_user_sgpr_kernarg_preload_offset 0
		.amdhsa_user_sgpr_private_segment_size 0
		.amdhsa_uses_dynamic_stack 0
		.amdhsa_enable_private_segment 0
		.amdhsa_system_sgpr_workgroup_id_x 1
		.amdhsa_system_sgpr_workgroup_id_y 1
		.amdhsa_system_sgpr_workgroup_id_z 0
		.amdhsa_system_sgpr_workgroup_info 0
		.amdhsa_system_vgpr_workitem_id 0
		.amdhsa_next_free_vgpr 128
		.amdhsa_next_free_sgpr 64
		.amdhsa_accum_offset 116
		.amdhsa_reserve_vcc 1
		.amdhsa_float_round_mode_32 0
		.amdhsa_float_round_mode_16_64 0
		.amdhsa_float_denorm_mode_32 3
		.amdhsa_float_denorm_mode_16_64 3
		.amdhsa_dx10_clamp 1
		.amdhsa_ieee_mode 1
		.amdhsa_fp16_overflow 0
		.amdhsa_tg_split 0
		.amdhsa_exception_fp_ieee_invalid_op 0
		.amdhsa_exception_fp_denorm_src 0
		.amdhsa_exception_fp_ieee_div_zero 0
		.amdhsa_exception_fp_ieee_overflow 0
		.amdhsa_exception_fp_ieee_underflow 0
		.amdhsa_exception_fp_ieee_inexact 0
		.amdhsa_exception_int_div_zero 0
	.end_amdhsa_kernel
	.section	.text._ZN12_GLOBAL__N_139chunk_gated_delta_rule_fwd_h_hip_kernelILi16ELb0ELb0ELb0ELb0ELb0ELb1ELb0ELb1EEEvPK12hip_bfloat16S3_S3_PKfS5_PKvPS1_S8_PvPKiSB_iiiiilll,"axG",@progbits,_ZN12_GLOBAL__N_139chunk_gated_delta_rule_fwd_h_hip_kernelILi16ELb0ELb0ELb0ELb0ELb0ELb1ELb0ELb1EEEvPK12hip_bfloat16S3_S3_PKfS5_PKvPS1_S8_PvPKiSB_iiiiilll,comdat
.Lfunc_end608:
	.size	_ZN12_GLOBAL__N_139chunk_gated_delta_rule_fwd_h_hip_kernelILi16ELb0ELb0ELb0ELb0ELb0ELb1ELb0ELb1EEEvPK12hip_bfloat16S3_S3_PKfS5_PKvPS1_S8_PvPKiSB_iiiiilll, .Lfunc_end608-_ZN12_GLOBAL__N_139chunk_gated_delta_rule_fwd_h_hip_kernelILi16ELb0ELb0ELb0ELb0ELb0ELb1ELb0ELb1EEEvPK12hip_bfloat16S3_S3_PKfS5_PKvPS1_S8_PvPKiSB_iiiiilll
                                        ; -- End function
	.section	.AMDGPU.csdata,"",@progbits
; Kernel info:
; codeLenInByte = 7460
; NumSgprs: 70
; NumVgprs: 114
; NumAgprs: 12
; TotalNumVgprs: 128
; ScratchSize: 0
; MemoryBound: 0
; FloatMode: 240
; IeeeMode: 1
; LDSByteSize: 40960 bytes/workgroup (compile time only)
; SGPRBlocks: 8
; VGPRBlocks: 15
; NumSGPRsForWavesPerEU: 70
; NumVGPRsForWavesPerEU: 128
; AccumOffset: 116
; Occupancy: 1
; WaveLimiterHint : 1
; COMPUTE_PGM_RSRC2:SCRATCH_EN: 0
; COMPUTE_PGM_RSRC2:USER_SGPR: 2
; COMPUTE_PGM_RSRC2:TRAP_HANDLER: 0
; COMPUTE_PGM_RSRC2:TGID_X_EN: 1
; COMPUTE_PGM_RSRC2:TGID_Y_EN: 1
; COMPUTE_PGM_RSRC2:TGID_Z_EN: 0
; COMPUTE_PGM_RSRC2:TIDIG_COMP_CNT: 0
; COMPUTE_PGM_RSRC3_GFX90A:ACCUM_OFFSET: 28
; COMPUTE_PGM_RSRC3_GFX90A:TG_SPLIT: 0
	.section	.text._ZN12_GLOBAL__N_139chunk_gated_delta_rule_fwd_h_hip_kernelILi16ELb1ELb1ELb1ELb1ELb0ELb0ELb1ELb1EEEvPK12hip_bfloat16S3_S3_PKfS5_PKvPS1_S8_PvPKiSB_iiiiilll,"axG",@progbits,_ZN12_GLOBAL__N_139chunk_gated_delta_rule_fwd_h_hip_kernelILi16ELb1ELb1ELb1ELb1ELb0ELb0ELb1ELb1EEEvPK12hip_bfloat16S3_S3_PKfS5_PKvPS1_S8_PvPKiSB_iiiiilll,comdat
	.globl	_ZN12_GLOBAL__N_139chunk_gated_delta_rule_fwd_h_hip_kernelILi16ELb1ELb1ELb1ELb1ELb0ELb0ELb1ELb1EEEvPK12hip_bfloat16S3_S3_PKfS5_PKvPS1_S8_PvPKiSB_iiiiilll ; -- Begin function _ZN12_GLOBAL__N_139chunk_gated_delta_rule_fwd_h_hip_kernelILi16ELb1ELb1ELb1ELb1ELb0ELb0ELb1ELb1EEEvPK12hip_bfloat16S3_S3_PKfS5_PKvPS1_S8_PvPKiSB_iiiiilll
	.p2align	8
	.type	_ZN12_GLOBAL__N_139chunk_gated_delta_rule_fwd_h_hip_kernelILi16ELb1ELb1ELb1ELb1ELb0ELb0ELb1ELb1EEEvPK12hip_bfloat16S3_S3_PKfS5_PKvPS1_S8_PvPKiSB_iiiiilll,@function
_ZN12_GLOBAL__N_139chunk_gated_delta_rule_fwd_h_hip_kernelILi16ELb1ELb1ELb1ELb1ELb0ELb0ELb1ELb1EEEvPK12hip_bfloat16S3_S3_PKfS5_PKvPS1_S8_PvPKiSB_iiiiilll: ; @_ZN12_GLOBAL__N_139chunk_gated_delta_rule_fwd_h_hip_kernelILi16ELb1ELb1ELb1ELb1ELb0ELb0ELb1ELb1EEEvPK12hip_bfloat16S3_S3_PKfS5_PKvPS1_S8_PvPKiSB_iiiiilll
; %bb.0:
	s_load_dwordx4 s[20:23], s[0:1], 0x5c
	s_load_dwordx4 s[4:7], s[0:1], 0x48
	s_abs_i32 s9, s3
	s_ashr_i32 s8, s3, 31
	v_and_b32_e32 v56, 15, v0
	s_waitcnt lgkmcnt(0)
	s_abs_i32 s10, s21
	v_cvt_f32_u32_e32 v1, s10
	s_sub_i32 s12, 0, s10
	s_ashr_i32 s11, s21, 31
	s_xor_b32 s8, s8, s11
	v_rcp_iflag_f32_e32 v1, v1
	v_bfe_u32 v55, v0, 4, 2
	v_mov_b32_e32 v45, 0
	v_lshlrev_b32_e32 v57, 3, v0
	v_mul_f32_e32 v1, 0x4f7ffffe, v1
	v_cvt_u32_f32_e32 v1, v1
	s_nop 0
	v_readfirstlane_b32 s13, v1
	s_mul_i32 s12, s12, s13
	s_mul_hi_u32 s12, s13, s12
	s_add_i32 s13, s13, s12
	s_mul_hi_u32 s12, s9, s13
	s_mul_i32 s13, s12, s10
	s_sub_i32 s9, s9, s13
	s_add_i32 s14, s12, 1
	s_sub_i32 s13, s9, s10
	s_cmp_ge_u32 s9, s10
	s_cselect_b32 s12, s14, s12
	s_cselect_b32 s9, s13, s9
	s_add_i32 s13, s12, 1
	s_cmp_ge_u32 s9, s10
	s_cselect_b32 s9, s13, s12
	s_xor_b32 s9, s9, s8
	s_sub_i32 s24, s9, s8
	s_mul_i32 s12, s24, s21
	s_ashr_i32 s25, s24, 31
	s_sub_i32 s51, s3, s12
	s_lshl_b64 s[8:9], s[24:25], 2
	s_add_u32 s4, s4, s8
	s_addc_u32 s5, s5, s9
	s_add_u32 s26, s6, s8
	s_addc_u32 s27, s7, s9
	s_abs_i32 s3, s22
	v_cvt_f32_u32_e32 v1, s3
	s_load_dwordx2 s[38:39], s[4:5], 0x0
	s_sub_i32 s5, 0, s3
	s_lshl_b32 s2, s2, 4
	v_rcp_iflag_f32_e32 v1, v1
	v_or_b32_e32 v46, s2, v56
	s_waitcnt lgkmcnt(0)
	s_sub_i32 s54, s39, s38
	s_ashr_i32 s4, s54, 31
	v_mul_f32_e32 v1, 0x4f7ffffe, v1
	v_cvt_u32_f32_e32 v1, v1
	s_lshr_b32 s4, s4, 26
	s_add_i32 s4, s54, s4
	s_ashr_i32 s52, s4, 6
	v_readfirstlane_b32 s6, v1
	s_mul_i32 s5, s5, s6
	s_mul_hi_u32 s5, s6, s5
	s_add_i32 s6, s6, s5
	s_mul_hi_u32 s5, s10, s6
	s_mul_i32 s6, s5, s3
	s_ashr_i32 s4, s22, 31
	s_sub_i32 s6, s10, s6
	s_xor_b32 s4, s11, s4
	s_add_i32 s7, s5, 1
	s_sub_i32 s8, s6, s3
	s_cmp_ge_u32 s6, s3
	s_cselect_b32 s5, s7, s5
	s_cselect_b32 s6, s8, s6
	s_add_i32 s7, s5, 1
	s_cmp_ge_u32 s6, s3
	s_cselect_b32 s3, s7, s5
	s_xor_b32 s3, s3, s4
	s_sub_i32 s3, s3, s4
	s_abs_i32 s13, s3
	v_cvt_f32_u32_e32 v1, s13
	s_sub_i32 s15, 0, s13
	s_abs_i32 s14, s51
	s_xor_b32 s3, s51, s3
	v_rcp_iflag_f32_e32 v2, v1
	s_ashr_i32 s3, s3, 31
	s_load_dwordx8 s[4:11], s[0:1], 0x28
	v_lshrrev_b32_e32 v1, 6, v0
	v_mul_f32_e32 v2, 0x4f7ffffe, v2
	v_cvt_u32_f32_e32 v2, v2
	v_lshlrev_b32_e32 v54, 4, v1
	v_lshlrev_b32_e32 v42, 7, v46
	v_lshl_or_b32 v59, v55, 2, v54
	v_readfirstlane_b32 s16, v2
	s_mul_i32 s15, s15, s16
	s_mul_hi_u32 s15, s16, s15
	s_add_i32 s16, s16, s15
	s_mul_hi_u32 s15, s14, s16
	s_mul_i32 s16, s15, s13
	s_sub_i32 s14, s14, s16
	s_add_i32 s16, s15, 1
	s_sub_i32 s17, s14, s13
	s_cmp_ge_u32 s14, s13
	s_cselect_b32 s15, s16, s15
	s_cselect_b32 s14, s17, s14
	s_add_i32 s16, s15, 1
	s_cmp_ge_u32 s14, s13
	s_cselect_b32 s13, s16, s15
	s_xor_b32 s13, s13, s3
	s_sub_i32 s55, s13, s3
	s_ashr_i32 s53, s51, 31
	s_mul_hi_i32 s3, s24, s21
	s_add_u32 s12, s12, s51
	s_addc_u32 s13, s3, s53
	s_lshl_b64 s[34:35], s[12:13], 15
	s_waitcnt lgkmcnt(0)
	s_add_u32 s4, s4, s34
	s_addc_u32 s5, s5, s35
	v_ashrrev_i32_e32 v43, 31, v42
	v_lshl_add_u64 v[2:3], v[42:43], 1, s[4:5]
	v_lshlrev_b32_e32 v44, 1, v59
	v_lshl_add_u64 v[2:3], v[2:3], 0, v[44:45]
	global_load_dwordx2 v[4:5], v[2:3], off
	global_load_dwordx2 v[8:9], v[2:3], off offset:128
	s_load_dwordx8 s[12:19], s[0:1], 0x0
	s_load_dwordx2 s[36:37], s[0:1], 0x80
	s_load_dwordx4 s[28:31], s[0:1], 0x70
	s_load_dword s58, s[26:27], 0x0
	v_and_b32_e32 v45, 63, v0
	v_lshrrev_b32_e32 v58, 3, v45
	v_or_b32_e32 v60, 64, v59
	s_waitcnt lgkmcnt(0)
	s_mul_i32 s33, s24, s29
	s_mul_hi_u32 s46, s24, s28
	s_mul_i32 s42, s24, s28
	s_mul_i32 s47, s25, s28
	s_mul_hi_i32 s56, s51, s20
	s_mul_i32 s57, s51, s20
	s_mul_i32 s48, s51, s31
	s_mul_hi_u32 s49, s51, s30
	s_mul_i32 s50, s53, s30
	s_cmp_lt_i32 s54, 64
	s_mul_i32 s40, s51, s30
	s_waitcnt vmcnt(1)
	v_and_b32_e32 v3, 0xffff0000, v4
	v_lshlrev_b32_e32 v2, 16, v4
	v_and_b32_e32 v61, 0xffff0000, v5
	v_lshlrev_b32_e32 v4, 16, v5
	s_waitcnt vmcnt(0)
	v_and_b32_e32 v7, 0xffff0000, v8
	v_lshlrev_b32_e32 v6, 16, v8
	v_and_b32_e32 v62, 0xffff0000, v9
	v_lshlrev_b32_e32 v8, 16, v9
	s_cbranch_scc1 .LBB609_3
; %bb.1:
	s_ashr_i32 s1, s38, 31
	s_add_u32 s0, s57, s38
	s_addc_u32 s1, s56, s1
	s_lshl_b64 s[0:1], s[0:1], 8
	v_and_b32_e32 v64, 56, v57
	s_add_u32 s24, s14, s0
	v_lshl_or_b32 v63, v1, 3, v58
	v_lshlrev_b32_e32 v5, 1, v64
	s_addc_u32 s0, s15, s1
	v_lshl_or_b32 v65, v63, 8, v5
	s_and_b32 s25, s0, 0xffff
	s_mov_b32 s27, 0x20000
	s_movk_i32 s26, 0x4000
	s_movk_i32 s0, 0x80
	v_or_b32_e32 v66, 0x2000, v65
	buffer_load_dwordx4 v[10:13], v65, s[24:27], 0 offen
	buffer_load_dwordx4 v[14:17], v65, s[24:27], s0 offen
	;; [unrolled: 1-line block ×4, first 2 shown]
	v_lshlrev_b32_e32 v9, 3, v63
	v_and_or_b32 v27, v0, 7, v9
	v_and_b32_e32 v9, 0x78, v9
	v_lshlrev_b32_e32 v27, 4, v27
	v_xor_b32_e32 v67, v27, v9
	v_mul_lo_u32 v26, v63, s23
	v_or_b32_e32 v68, 0x1000, v67
	v_xor_b32_e32 v9, 8, v67
	s_cmpk_eq_i32 s23, 0x80
	s_mov_b32 s59, s38
	v_xor_b32_e32 v27, 8, v68
	s_cselect_b64 s[0:1], -1, 0
	s_cmpk_lg_i32 s23, 0x80
	s_waitcnt vmcnt(3)
	ds_write_b64 v67, v[10:11] offset:16384
	ds_write_b64 v9, v[12:13] offset:16384
	s_waitcnt vmcnt(2)
	ds_write_b64 v67, v[14:15] offset:24576
	ds_write_b64 v9, v[16:17] offset:24576
	;; [unrolled: 3-line block ×4, first 2 shown]
	v_lshl_add_u32 v9, v26, 1, v64
	s_cbranch_scc0 .LBB609_29
; %bb.2:
	v_lshlrev_b32_e32 v11, 1, v9
	v_add_lshl_u32 v10, v9, s23, 1
	s_lshl_b32 s26, s23, 7
	v_lshl_or_b32 v5, v63, 9, v5
	s_cbranch_execz .LBB609_30
	s_branch .LBB609_31
.LBB609_3:
	v_mov_b32_e32 v9, v62
	v_mov_b32_e32 v5, v61
.LBB609_4:
	s_lshl_b32 s31, s52, 6
	s_sub_i32 s30, s54, s31
	s_cmp_gt_i32 s30, 0
	s_cbranch_scc0 .LBB609_76
; %bb.5:
	s_add_i32 s31, s31, s38
	s_ashr_i32 s3, s31, 31
	s_cmpk_lg_i32 s23, 0x80
	s_cselect_b64 s[26:27], -1, 0
	s_and_b64 vcc, exec, s[26:27]
	s_cbranch_vccz .LBB609_7
; %bb.6:
	s_mul_i32 s1, s31, s22
	s_ashr_i32 s4, s55, 31
	s_mul_hi_i32 s0, s31, s22
	s_add_u32 s28, s1, s55
	s_addc_u32 s29, s0, s4
	s_cbranch_execz .LBB609_8
	s_branch .LBB609_9
.LBB609_7:
                                        ; implicit-def: $sgpr28_sgpr29
.LBB609_8:
	s_mul_i32 s1, s55, s20
	s_mul_hi_i32 s0, s55, s20
	s_add_u32 s28, s1, s31
	s_addc_u32 s29, s0, s3
.LBB609_9:
	s_add_i32 s4, s52, s58
	s_add_u32 s0, s57, s31
	s_addc_u32 s1, s56, s3
	s_mov_b32 s3, 0x7060302
	v_lshlrev_b32_e32 v14, 3, v56
	s_lshl_b64 s[24:25], s[0:1], 8
	v_perm_b32 v11, v5, v4, s3
	v_perm_b32 v10, v3, v2, s3
	;; [unrolled: 1-line block ×4, first 2 shown]
	v_lshlrev_b32_e32 v48, 2, v56
	v_lshl_or_b32 v14, v59, 5, v14
	s_add_u32 s0, s14, s24
	ds_write2st64_b64 v14, v[10:11], v[12:13] offset0:72 offset1:76
	v_xor_b32_e32 v14, v59, v48
	v_lshlrev_b32_e32 v15, 8, v56
	s_addc_u32 s1, s15, s25
	v_lshl_or_b32 v14, v14, 1, v15
	s_mul_hi_i32 s3, s4, s21
	s_mul_i32 s4, s4, s21
	ds_write_b64 v14, v[10:11] offset:32768
	v_xor_b32_e32 v10, v60, v48
	s_add_u32 s4, s4, s51
	v_lshl_or_b32 v10, v10, 1, v15
	s_addc_u32 s5, s3, s53
	v_lshlrev_b32_e32 v11, 1, v56
	ds_write_b64 v10, v[12:13] offset:32768
	v_lshrrev_b32_e32 v10, 4, v0
	s_ashr_i32 s3, s2, 31
	s_lshl_b64 s[4:5], s[4:5], 15
	v_or_b32_e32 v12, 1, v11
	s_add_u32 s4, s6, s4
	v_xor_b32_e32 v11, v10, v11
	v_xor_b32_e32 v12, v12, v10
	v_lshlrev_b32_e32 v14, 8, v10
	s_addc_u32 s5, s7, s5
	s_lshl_b64 s[2:3], s[2:3], 8
	v_lshl_or_b32 v10, v11, 3, v14
	v_lshl_or_b32 v12, v12, 3, v14
	s_waitcnt lgkmcnt(0)
	s_barrier
	s_add_u32 s2, s4, s2
	ds_read_b64 v[10:11], v10 offset:32768
	ds_read_b64 v[12:13], v12 offset:32768
	s_addc_u32 s3, s5, s3
	v_mov_b32_e32 v15, 0
	s_cmp_lg_u32 s30, 64
	v_lshl_add_u64 v[16:17], s[2:3], 0, v[14:15]
	v_lshlrev_b32_e32 v14, 4, v56
	s_cselect_b64 s[14:15], -1, 0
	v_lshl_or_b32 v47, v1, 3, v58
	s_mov_b32 s4, 0
	v_lshl_add_u64 v[14:15], v[16:17], 0, v[14:15]
	s_waitcnt vmcnt(1)
	v_or_b32_e32 v27, 32, v47
	v_and_b32_e32 v26, 56, v57
	s_and_b64 vcc, exec, s[14:15]
	s_waitcnt lgkmcnt(0)
	global_store_dwordx4 v[14:15], v[10:13], off
	s_cbranch_vccz .LBB609_15
; %bb.10:
	s_mov_b32 s6, s4
	s_mov_b32 s7, s4
	;; [unrolled: 1-line block ×3, first 2 shown]
	v_mov_b64_e32 v[16:17], s[6:7]
	v_mov_b64_e32 v[14:15], s[4:5]
	;; [unrolled: 1-line block ×3, first 2 shown]
	v_cmp_gt_i32_e32 vcc, s30, v47
	v_mov_b64_e32 v[12:13], v[16:17]
	s_and_saveexec_b64 s[2:3], vcc
	s_cbranch_execz .LBB609_12
; %bb.11:
	v_lshlrev_b32_e32 v10, 8, v47
	v_mov_b32_e32 v11, 0
	v_lshl_add_u64 v[12:13], s[0:1], 0, v[10:11]
	v_lshlrev_b32_e32 v10, 1, v26
	v_lshl_add_u64 v[18:19], v[12:13], 0, v[10:11]
	global_load_dwordx4 v[14:17], v[18:19], off
	global_load_dwordx4 v[10:13], v[18:19], off offset:128
.LBB609_12:
	s_or_b64 exec, exec, s[2:3]
	s_mov_b32 s6, s4
	s_mov_b32 s7, s4
	;; [unrolled: 1-line block ×3, first 2 shown]
	v_mov_b64_e32 v[24:25], s[6:7]
	v_mov_b64_e32 v[22:23], s[4:5]
	;; [unrolled: 1-line block ×3, first 2 shown]
	v_cmp_gt_i32_e32 vcc, s30, v27
	v_lshlrev_b32_e32 v28, 7, v27
	v_mov_b64_e32 v[20:21], v[24:25]
	s_and_saveexec_b64 s[2:3], vcc
	s_cbranch_execz .LBB609_14
; %bb.13:
	v_lshlrev_b32_e32 v18, 1, v28
	v_mov_b32_e32 v19, 0
	v_lshl_add_u64 v[20:21], s[0:1], 0, v[18:19]
	v_lshlrev_b32_e32 v18, 1, v26
	v_lshl_add_u64 v[30:31], v[20:21], 0, v[18:19]
	global_load_dwordx4 v[22:25], v[30:31], off
	global_load_dwordx4 v[18:21], v[30:31], off offset:128
.LBB609_14:
	s_or_b64 exec, exec, s[2:3]
	v_lshrrev_b32_e32 v29, 3, v26
	v_lshlrev_b32_e32 v30, 3, v47
	v_or_b32_e32 v29, v30, v29
	v_lshlrev_b32_e32 v29, 4, v29
	v_and_b32_e32 v30, 0x78, v30
	v_xor_b32_e32 v29, v29, v30
	s_branch .LBB609_17
.LBB609_15:
                                        ; implicit-def: $vgpr29
                                        ; implicit-def: $vgpr28
                                        ; implicit-def: $vgpr14_vgpr15_vgpr16_vgpr17
                                        ; implicit-def: $vgpr10_vgpr11_vgpr12_vgpr13
                                        ; implicit-def: $vgpr22_vgpr23_vgpr24_vgpr25
                                        ; implicit-def: $vgpr18_vgpr19_vgpr20_vgpr21
	s_cbranch_execz .LBB609_17
; %bb.16:
	s_waitcnt vmcnt(0)
	v_lshlrev_b32_e32 v10, 1, v26
	v_lshl_or_b32 v28, v47, 8, v10
	s_and_b32 s1, s1, 0xffff
	s_mov_b32 s3, 0x20000
	s_movk_i32 s2, 0x4000
	v_lshl_or_b32 v29, v27, 8, v10
	s_movk_i32 s4, 0x80
	buffer_load_dwordx4 v[14:17], v28, s[0:3], 0 offen
	buffer_load_dwordx4 v[10:13], v28, s[0:3], s4 offen
	;; [unrolled: 1-line block ×4, first 2 shown]
	v_lshrrev_b32_e32 v28, 3, v26
	v_lshlrev_b32_e32 v29, 3, v47
	v_or_b32_e32 v28, v29, v28
	v_lshlrev_b32_e32 v28, 4, v28
	v_and_b32_e32 v29, 0x78, v29
	v_xor_b32_e32 v29, v28, v29
	v_lshlrev_b32_e32 v28, 7, v27
.LBB609_17:
	s_lshl_b64 s[0:1], s[28:29], 8
	s_add_u32 s4, s12, s0
	s_movk_i32 s0, 0x1000
	v_and_or_b32 v27, v28, s0, v29
	s_waitcnt vmcnt(1)
	ds_write_b64 v29, v[14:15] offset:16384
	v_xor_b32_e32 v14, 8, v29
	ds_write_b64 v14, v[16:17] offset:16384
	s_waitcnt vmcnt(0)
	ds_write_b64 v29, v[10:11] offset:24576
	ds_write_b64 v14, v[12:13] offset:24576
	;; [unrolled: 1-line block ×3, first 2 shown]
	v_xor_b32_e32 v10, 8, v27
	ds_write_b64 v10, v[24:25] offset:16384
	ds_write_b64 v27, v[18:19] offset:24576
	;; [unrolled: 1-line block ×3, first 2 shown]
	v_or_b32_e32 v10, v54, v56
	v_lshlrev_b32_e32 v10, 3, v10
	v_lshrrev_b32_e32 v12, 5, v45
	s_movk_i32 s6, 0xf8
	v_and_or_b32 v12, v10, s6, v12
	v_lshlrev_b32_e32 v49, 11, v1
	v_lshlrev_b32_e32 v20, 4, v12
	v_and_b32_e32 v21, 0x78, v10
	v_and_b32_e32 v22, 0x1000, v49
	v_lshlrev_b32_e32 v11, 2, v0
	v_xor_b32_e32 v10, v20, v21
	v_lshrrev_b32_e32 v12, 1, v45
	v_and_b32_e32 v11, 60, v11
	v_or_b32_e32 v10, v10, v22
	v_and_b32_e32 v23, 8, v12
	v_xor_b32_e32 v34, v10, v23
	v_lshl_or_b32 v10, v55, 6, v11
	v_lshlrev_b32_e32 v50, 1, v10
	v_or_b32_e32 v10, 32, v20
	v_xor_b32_e32 v10, v10, v21
	s_waitcnt lgkmcnt(0)
	s_barrier
	ds_read_b64 v[18:19], v34 offset:16384
	v_or_b32_e32 v10, v10, v22
	v_xor_b32_e32 v35, v10, v23
	v_or_b32_e32 v10, 64, v20
	v_xor_b32_e32 v10, v10, v21
	v_or_b32_e32 v10, v10, v22
	v_or_b32_e32 v20, 0x60, v20
	v_xor_b32_e32 v36, v10, v23
	ds_read2st64_b64 v[10:13], v50 offset0:72 offset1:73
	ds_read2st64_b64 v[14:17], v50 offset0:74 offset1:75
	v_xor_b32_e32 v24, v20, v21
	ds_read_b64 v[20:21], v35 offset:16384
	s_addc_u32 s5, s13, s1
	s_add_i32 s1, s46, s33
	s_waitcnt lgkmcnt(2)
	v_mfma_f32_16x16x16_bf16 a[0:3], v[18:19], v[10:11], 0
	s_add_i32 s0, s39, -1
	s_add_i32 s43, s1, s47
	s_add_i32 s1, s49, s48
	;; [unrolled: 1-line block ×3, first 2 shown]
	s_ashr_i32 s1, s0, 31
	s_mul_i32 s2, s0, s37
	s_mul_hi_u32 s3, s0, s36
	s_add_i32 s2, s3, s2
	s_mul_i32 s1, s1, s36
	v_or_b32_e32 v22, v24, v22
	s_add_i32 s1, s2, s1
	s_lshl_b64 s[2:3], s[42:43], 2
	v_xor_b32_e32 v51, v22, v23
	ds_read_b64 v[22:23], v36 offset:16384
	ds_read_b64 v[24:25], v51 offset:16384
	s_waitcnt lgkmcnt(2)
	v_mfma_f32_16x16x16_bf16 a[0:3], v[20:21], v[12:13], a[0:3]
	s_add_u32 s6, s18, s2
	s_addc_u32 s7, s19, s3
	s_lshl_b64 s[2:3], s[40:41], 2
	s_mul_i32 s0, s0, s36
	s_add_u32 s12, s6, s2
	s_addc_u32 s13, s7, s3
	s_lshl_b64 s[0:1], s[0:1], 2
	s_waitcnt lgkmcnt(1)
	v_mfma_f32_16x16x16_bf16 a[0:3], v[22:23], v[14:15], a[0:3]
	s_add_u32 s0, s12, s0
	s_addc_u32 s1, s13, s1
	s_load_dword s18, s[0:1], 0x0
	s_waitcnt lgkmcnt(0)
	v_mfma_f32_16x16x16_bf16 a[0:3], v[24:25], v[16:17], a[0:3]
	s_and_b64 vcc, exec, s[26:27]
	s_cbranch_vccz .LBB609_28
; %bb.18:
	v_lshlrev_b32_e32 v27, 1, v47
	s_and_b64 vcc, exec, s[14:15]
	s_cbranch_vccz .LBB609_44
; %bb.19:
	v_cmp_gt_i32_e32 vcc, s30, v27
	v_mov_b32_e32 v14, 0
	v_mov_b32_e32 v10, 0
	;; [unrolled: 1-line block ×5, first 2 shown]
	s_and_saveexec_b64 s[0:1], vcc
	s_cbranch_execz .LBB609_21
; %bb.20:
	v_mad_i64_i32 v[10:11], s[2:3], s23, v27, 0
	v_lshl_add_u64 v[10:11], v[10:11], 1, s[4:5]
	v_lshlrev_b32_e32 v12, 1, v26
	v_mov_b32_e32 v13, 0
	v_lshl_add_u64 v[10:11], v[10:11], 0, v[12:13]
	global_load_dwordx4 v[10:13], v[10:11], off
.LBB609_21:
	s_or_b64 exec, exec, s[0:1]
	v_or_b32_e32 v28, 1, v27
	v_cmp_gt_i32_e64 s[0:1], s30, v28
	v_mov_b32_e32 v15, 0
	v_mov_b32_e32 v16, 0
	;; [unrolled: 1-line block ×3, first 2 shown]
	s_and_saveexec_b64 s[2:3], s[0:1]
	s_cbranch_execz .LBB609_23
; %bb.22:
	v_mad_i64_i32 v[14:15], s[6:7], s23, v28, 0
	v_lshl_add_u64 v[14:15], v[14:15], 1, s[4:5]
	v_lshlrev_b32_e32 v16, 1, v26
	v_mov_b32_e32 v17, 0
	v_lshl_add_u64 v[14:15], v[14:15], 0, v[16:17]
	global_load_dwordx4 v[14:17], v[14:15], off
.LBB609_23:
	s_or_b64 exec, exec, s[2:3]
	v_mov_b32_e32 v25, 0
	v_mov_b32_e32 v18, 0
	;; [unrolled: 1-line block ×5, first 2 shown]
	s_and_saveexec_b64 s[2:3], vcc
	s_cbranch_execz .LBB609_25
; %bb.24:
	v_mad_i64_i32 v[18:19], s[6:7], s23, v27, 0
	v_lshl_add_u64 v[18:19], v[18:19], 1, s[4:5]
	v_lshlrev_b32_e32 v20, 1, v26
	v_mov_b32_e32 v21, 0
	v_lshl_add_u64 v[18:19], v[18:19], 0, v[20:21]
	global_load_dwordx4 v[18:21], v[18:19], off offset:128
.LBB609_25:
	s_or_b64 exec, exec, s[2:3]
	v_mov_b32_e32 v24, 0
	v_mov_b32_e32 v23, 0
	;; [unrolled: 1-line block ×3, first 2 shown]
	s_and_saveexec_b64 s[2:3], s[0:1]
	s_cbranch_execz .LBB609_27
; %bb.26:
	v_mad_i64_i32 v[22:23], s[0:1], s23, v28, 0
	v_lshl_add_u64 v[22:23], v[22:23], 1, s[4:5]
	v_lshlrev_b32_e32 v24, 1, v26
	v_mov_b32_e32 v25, 0
	v_lshl_add_u64 v[22:23], v[22:23], 0, v[24:25]
	global_load_dwordx4 v[22:25], v[22:23], off offset:128
.LBB609_27:
	s_or_b64 exec, exec, s[2:3]
	s_branch .LBB609_46
.LBB609_28:
                                        ; implicit-def: $vgpr13
                                        ; implicit-def: $vgpr17
                                        ; implicit-def: $vgpr21
                                        ; implicit-def: $vgpr25
	v_lshrrev_b32_e32 v45, 2, v45
	s_branch .LBB609_47
.LBB609_29:
                                        ; implicit-def: $vgpr10
                                        ; implicit-def: $vgpr11
                                        ; implicit-def: $sgpr26
	v_lshl_or_b32 v5, v63, 9, v5
.LBB609_30:
	v_or_b32_e32 v10, 0x100, v5
	s_movk_i32 s26, 0x4000
	v_mov_b32_e32 v11, v5
.LBB609_31:
	s_mul_i32 s4, s38, s22
	s_ashr_i32 s60, s55, 31
	s_mul_hi_i32 s3, s38, s22
	s_add_u32 s4, s4, s55
	s_addc_u32 s5, s3, s60
	s_lshl_b64 s[4:5], s[4:5], 8
	s_add_u32 s24, s12, s4
	s_addc_u32 s3, s13, s5
	s_and_b32 s25, s3, 0xffff
	s_movk_i32 s61, 0x80
	buffer_load_dwordx4 v[12:15], v11, s[24:27], 0 offen
	buffer_load_dwordx4 v[16:19], v11, s[24:27], s61 offen
	;; [unrolled: 1-line block ×4, first 2 shown]
	v_and_b32_e32 v10, 6, v0
	v_lshlrev_b32_e32 v28, 2, v56
	v_lshlrev_b32_e32 v29, 3, v56
	v_xor_b32_e32 v32, v63, v10
	v_and_b32_e32 v11, 1, v0
	v_lshl_or_b32 v29, v59, 5, v29
	v_xor_b32_e32 v33, v59, v28
	v_lshlrev_b32_e32 v32, 2, v32
	v_or_b32_e32 v69, 0x9000, v29
	v_or_b32_e32 v70, 0x9800, v29
	v_lshlrev_b32_e32 v29, 1, v33
	v_xor_b32_e32 v33, 0x440, v32
	v_cmp_eq_u32_e32 vcc, 0, v11
	s_add_i32 s3, s46, s33
	s_add_i32 s4, s49, s48
	v_cndmask_b32_e32 v11, v33, v32, vcc
	s_add_i32 s43, s3, s47
	v_lshl_or_b32 v10, v10, 10, v11
	s_add_i32 s41, s4, s50
	s_lshl_b64 s[4:5], s[42:43], 2
	s_mov_b32 s62, 0x1000504
	v_lshlrev_b32_e32 v30, 8, v56
	s_mov_b32 s26, 0x8000
	v_xor_b32_e32 v28, v60, v28
	v_xor_b32_e32 v11, 8, v10
	s_add_u32 s3, s18, s4
	s_mov_b32 s63, 0x3020706
	v_or_b32_e32 v31, v54, v56
	v_lshlrev_b32_e32 v28, 1, v28
	v_or3_b32 v71, v29, v30, s26
	v_xor_b32_e32 v29, 24, v10
	v_xor_b32_e32 v32, 40, v10
	;; [unrolled: 1-line block ×3, first 2 shown]
	v_add_u32_e32 v11, 0x80, v11
	s_addc_u32 s24, s19, s5
	s_lshl_b64 s[4:5], s[40:41], 2
	v_lshlrev_b32_e32 v31, 3, v31
	v_or3_b32 v72, v28, v30, s26
	v_xor_b32_e32 v28, 16, v10
	v_xor_b32_e32 v30, 32, v10
	;; [unrolled: 1-line block ×3, first 2 shown]
	v_add_u32_e32 v29, 0x80, v29
	v_add_u32_e32 v32, 0x80, v32
	;; [unrolled: 1-line block ×3, first 2 shown]
	s_add_u32 s4, s3, s4
	s_movk_i32 s3, 0xf8
	s_addc_u32 s5, s24, s5
	v_ashrrev_i32_e32 v47, 31, v46
	s_lshl_b32 s30, s23, 7
	s_mov_b32 s64, 0
	v_mov_b32_e32 v86, 0x3fb8aa3b
	s_waitcnt vmcnt(1)
	v_perm_b32 v35, v12, v20, s62
	s_waitcnt vmcnt(0)
	v_perm_b32 v36, v16, v24, s62
	v_perm_b32 v12, v12, v20, s63
	;; [unrolled: 1-line block ×15, first 2 shown]
	ds_write2st64_b32 v10, v35, v36 offset1:32
	ds_write2st64_b32 v11, v12, v16 offset1:32
	ds_write2st64_b32 v28, v20, v24 offset0:1 offset1:33
	ds_write2st64_b32 v29, v13, v17 offset0:1 offset1:33
	;; [unrolled: 1-line block ×6, first 2 shown]
	v_lshrrev_b32_e32 v11, 5, v45
	v_and_or_b32 v11, v31, s3, v11
	v_lshlrev_b32_e32 v11, 4, v11
	v_lshlrev_b32_e32 v18, 11, v1
	v_and_b32_e32 v12, 0x78, v31
	v_or_b32_e32 v15, 32, v11
	v_and_b32_e32 v10, 0x1000, v18
	v_lshrrev_b32_e32 v19, 1, v0
	v_xor_b32_e32 v15, v15, v12
	v_and_b32_e32 v14, 8, v19
	v_or_b32_e32 v15, v15, v10
	v_xor_b32_e32 v13, v11, v12
	v_xor_b32_e32 v75, v15, v14
	v_or_b32_e32 v15, 64, v11
	v_or_b32_e32 v11, 0x60, v11
	v_xor_b32_e32 v15, v15, v12
	v_xor_b32_e32 v11, v11, v12
	v_or_b32_e32 v13, v13, v10
	v_or_b32_e32 v15, v15, v10
	;; [unrolled: 1-line block ×3, first 2 shown]
	v_xor_b32_e32 v73, v13, v14
	v_xor_b32_e32 v76, v15, v14
	;; [unrolled: 1-line block ×3, first 2 shown]
	v_lshrrev_b32_e32 v14, 4, v0
	v_lshlrev_b32_e32 v15, 1, v56
	s_ashr_i32 s3, s2, 31
	v_or_b32_e32 v16, 1, v15
	v_xor_b32_e32 v15, v14, v15
	s_lshl_b64 s[24:25], s[2:3], 8
	v_xor_b32_e32 v16, v16, v14
	v_lshlrev_b32_e32 v15, 3, v15
	v_lshlrev_b32_e32 v14, 8, v14
	v_lshlrev_b64 v[10:11], 1, v[46:47]
	s_add_u32 s24, s6, s24
	v_or3_b32 v47, v15, v14, s26
	v_lshlrev_b32_e32 v15, 3, v16
	s_addc_u32 s25, s7, s25
	v_or3_b32 v79, v15, v14, s26
	v_mov_b32_e32 v15, 0
	v_lshl_add_u64 v[16:17], s[24:25], 0, v[14:15]
	v_lshlrev_b32_e32 v14, 4, v56
	s_movk_i32 s3, 0xff
	v_lshlrev_b32_e32 v23, 3, v1
	v_and_b32_e32 v19, 24, v19
	v_lshl_add_u64 v[48:49], v[16:17], 0, v[14:15]
	v_and_b32_e32 v16, 8, v0
	v_cmp_lt_u32_e32 vcc, s3, v0
	v_xor_b32_e32 v24, v23, v19
	v_or_b32_e32 v25, 0x440, v24
	v_cndmask_b32_e64 v22, 0, 1, vcc
	v_cmp_eq_u32_e32 vcc, 0, v16
	v_and_b32_e32 v14, 7, v0
	v_lshlrev_b32_e32 v17, 3, v14
	v_cndmask_b32_e32 v16, v25, v24, vcc
	v_lshlrev_b32_e32 v14, 7, v14
	v_or_b32_e32 v16, v16, v18
	v_xad_u32 v80, v16, v17, v14
	v_or_b32_e32 v16, 32, v19
	v_xor_b32_e32 v16, v23, v16
	v_or_b32_e32 v24, 0x440, v16
	v_cndmask_b32_e32 v16, v24, v16, vcc
	v_or_b32_e32 v16, v16, v18
	v_xad_u32 v81, v16, v17, v14
	v_or_b32_e32 v16, 64, v19
	v_xor_b32_e32 v16, v23, v16
	v_xor_b32_e32 v24, 0x440, v16
	v_cndmask_b32_e32 v16, v24, v16, vcc
	v_or_b32_e32 v16, v16, v18
	v_xad_u32 v82, v16, v17, v14
	v_or_b32_e32 v16, 0x60, v19
	v_xor_b32_e32 v16, v23, v16
	v_xor_b32_e32 v19, 0x440, v16
	v_and_b32_e32 v13, 0x78, v57
	v_cndmask_b32_e32 v16, v19, v16, vcc
	v_lshl_or_b32 v13, v55, 7, v13
	v_or_b32_e32 v16, v16, v18
	v_or_b32_e32 v74, 0x9000, v13
	;; [unrolled: 1-line block ×3, first 2 shown]
	v_lshl_add_u64 v[12:13], s[16:17], 0, v[10:11]
	v_lshl_add_u64 v[10:11], s[8:9], 0, v[10:11]
	v_lshlrev_b32_e32 v20, 1, v9
	v_add_lshl_u32 v9, v9, s23, 1
	v_or_b32_e32 v21, 0x100, v5
	v_lshlrev_b32_e32 v22, 13, v22
	v_xad_u32 v83, v16, v17, v14
	v_lshlrev_b32_e32 v14, 8, v59
	v_cndmask_b32_e64 v84, v20, v5, s[0:1]
	v_cndmask_b32_e64 v85, v9, v21, s[0:1]
	v_lshl_add_u64 v[50:51], v[12:13], 0, v[14:15]
	v_lshl_add_u64 v[52:53], v[10:11], 0, v[14:15]
	s_mov_b32 s3, 0x7060302
	s_movk_i32 s26, 0x4000
	v_add_u32_e32 v87, v22, v80
	v_add_u32_e32 v88, v22, v81
	v_add_u32_e32 v89, v22, v82
	v_add_u32_e32 v90, v22, v83
	s_waitcnt lgkmcnt(0)
	s_barrier
.LBB609_32:                             ; =>This Inner Loop Header: Depth=1
	s_add_i32 s41, s64, 1
	s_cmp_lt_i32 s41, s52
	s_mov_b64 s[28:29], 0
	s_cselect_b64 s[44:45], -1, 0
	s_cmp_ge_i32 s41, s52
	s_mov_b64 s[24:25], 0
	s_cbranch_scc1 .LBB609_34
; %bb.33:                               ;   in Loop: Header=BB609_32 Depth=1
	s_add_i32 s0, s59, 64
	s_ashr_i32 s1, s0, 31
	s_add_u32 s0, s57, s0
	s_addc_u32 s1, s56, s1
	s_lshl_b64 s[0:1], s[0:1], 8
	s_add_u32 s24, s14, s0
	s_addc_u32 s25, s15, s1
.LBB609_34:                             ;   in Loop: Header=BB609_32 Depth=1
	v_cndmask_b32_e64 v5, 0, 1, s[44:45]
	v_cmp_ne_u32_e64 s[0:1], 1, v5
	s_andn2_b64 vcc, exec, s[44:45]
	s_cbranch_vccnz .LBB609_36
; %bb.35:                               ;   in Loop: Header=BB609_32 Depth=1
	s_add_i32 s28, s59, 64
	s_mul_hi_i32 s29, s28, s22
	s_mul_i32 s28, s28, s22
	s_add_u32 s28, s28, s55
	s_addc_u32 s29, s29, s60
	s_lshl_b64 s[28:29], s[28:29], 8
	s_add_u32 s28, s12, s28
	s_addc_u32 s29, s13, s29
.LBB609_36:                             ;   in Loop: Header=BB609_32 Depth=1
	v_perm_b32 v11, v61, v4, s3
	v_perm_b32 v10, v3, v2, s3
	;; [unrolled: 1-line block ×4, first 2 shown]
	ds_write_b64 v69, v[10:11]
	ds_write_b64 v70, v[12:13]
	;; [unrolled: 1-line block ×4, first 2 shown]
	s_waitcnt lgkmcnt(0)
	s_barrier
	ds_read_b64 v[18:19], v73 offset:16384
	ds_read_b64 v[20:21], v75 offset:16384
	ds_read2st64_b64 v[10:13], v74 offset1:1
	s_waitcnt lgkmcnt(0)
	v_mfma_f32_16x16x16_bf16 a[0:3], v[18:19], v[10:11], 0
	ds_read2st64_b64 v[14:17], v74 offset0:2 offset1:3
	ds_read_b64 v[22:23], v76 offset:16384
	ds_read_b64 v[10:11], v77 offset:16384
	s_add_i32 s31, s59, 63
	v_mfma_f32_16x16x16_bf16 a[0:3], v[20:21], v[12:13], a[0:3]
	s_ashr_i32 s43, s31, 31
	s_mul_i32 s44, s31, s37
	s_mul_hi_u32 s45, s31, s36
	s_waitcnt lgkmcnt(1)
	v_mfma_f32_16x16x16_bf16 a[0:3], v[22:23], v[14:15], a[0:3]
	s_add_i32 s44, s45, s44
	s_mul_i32 s43, s43, s36
	s_add_i32 s45, s44, s43
	s_mul_i32 s44, s31, s36
	s_waitcnt lgkmcnt(0)
	v_mfma_f32_16x16x16_bf16 a[0:3], v[10:11], v[16:17], a[0:3]
	s_lshl_b64 s[44:45], s[44:45], 2
	s_add_u32 s44, s4, s44
	s_addc_u32 s45, s5, s45
	s_and_b64 vcc, exec, s[0:1]
	v_mov_b32_e32 v91, 0
	v_mov_b32_e32 v9, 0
	;; [unrolled: 1-line block ×19, first 2 shown]
	s_cbranch_vccnz .LBB609_38
; %bb.37:                               ;   in Loop: Header=BB609_32 Depth=1
	s_and_b32 s25, s25, 0xffff
	buffer_load_dwordx4 v[22:25], v65, s[24:27], 0 offen
	buffer_load_dwordx4 v[18:21], v65, s[24:27], s61 offen
	;; [unrolled: 1-line block ×4, first 2 shown]
	v_mov_b32_e32 v9, v67
	v_mov_b32_e32 v5, v68
.LBB609_38:                             ;   in Loop: Header=BB609_32 Depth=1
	s_waitcnt vmcnt(3)
	v_add_u32_e32 v30, s59, v59
	s_waitcnt vmcnt(1)
	v_ashrrev_i32_e32 v26, 31, v30
	v_mul_lo_u32 v28, v26, s36
	v_mul_lo_u32 v29, v30, s37
	v_mad_u64_u32 v[26:27], s[24:25], v30, s36, 0
	v_add3_u32 v27, v27, v29, v28
	v_lshl_add_u64 v[26:27], v[26:27], 2, s[4:5]
	global_load_dword v93, v[26:27], off
	v_add_u32_e32 v26, 1, v30
	v_ashrrev_i32_e32 v27, 31, v26
	v_mul_lo_u32 v28, v27, s36
	v_mul_lo_u32 v29, v26, s37
	v_mad_u64_u32 v[26:27], s[24:25], v26, s36, 0
	v_add3_u32 v27, v27, v29, v28
	v_add_u32_e32 v28, 2, v30
	v_ashrrev_i32_e32 v29, 31, v28
	v_mul_lo_u32 v31, v29, s36
	v_mul_lo_u32 v32, v28, s37
	v_mad_u64_u32 v[28:29], s[24:25], v28, s36, 0
	v_add_u32_e32 v30, 3, v30
	v_add3_u32 v29, v29, v32, v31
	v_ashrrev_i32_e32 v31, 31, v30
	v_mul_lo_u32 v34, v31, s36
	v_mul_lo_u32 v35, v30, s37
	v_mad_u64_u32 v[30:31], s[24:25], v30, s36, 0
	s_ashr_i32 s25, s59, 31
	s_add_u32 s24, s57, s59
	s_addc_u32 s25, s56, s25
	s_lshl_b64 s[66:67], s[24:25], 8
	v_lshl_add_u64 v[26:27], v[26:27], 2, s[4:5]
	v_lshl_add_u64 v[32:33], v[50:51], 0, s[66:67]
	v_add3_u32 v31, v31, v35, v34
	v_lshl_add_u64 v[28:29], v[28:29], 2, s[4:5]
	global_load_ushort v94, v[32:33], off
	global_load_ushort v95, v[32:33], off offset:256
	global_load_ushort v96, v[32:33], off offset:512
	;; [unrolled: 1-line block ×3, first 2 shown]
	v_lshl_add_u64 v[30:31], v[30:31], 2, s[4:5]
	global_load_dword v98, v[26:27], off
	global_load_dword v99, v[28:29], off
	;; [unrolled: 1-line block ×3, first 2 shown]
	ds_read_b64 v[30:31], v73 offset:24576
	ds_read_b64 v[36:37], v75 offset:24576
	ds_read2st64_b64 v[26:29], v78 offset1:1
	s_waitcnt lgkmcnt(0)
	v_mfma_f32_16x16x16_bf16 a[0:3], v[30:31], v[26:27], a[0:3]
	s_load_dword s24, s[44:45], 0x0
	ds_read2st64_b64 v[32:35], v78 offset0:2 offset1:3
	ds_read_b64 v[38:39], v76 offset:24576
	ds_read_b64 v[40:41], v77 offset:24576
	v_mov_b32_e32 v92, 0
	v_mfma_f32_16x16x16_bf16 a[0:3], v[36:37], v[28:29], a[0:3]
	v_mov_b32_e32 v26, 0
	v_mov_b32_e32 v27, 0
	;; [unrolled: 1-line block ×3, first 2 shown]
	s_waitcnt lgkmcnt(0)
	v_mfma_f32_16x16x16_bf16 a[0:3], v[38:39], v[32:33], a[0:3]
	v_lshl_add_u64 v[32:33], v[52:53], 0, s[66:67]
	v_mov_b32_e32 v29, 0
	v_mov_b32_e32 v30, 0
	v_mfma_f32_16x16x16_bf16 a[0:3], v[40:41], v[34:35], a[0:3]
	v_mov_b32_e32 v31, 0
	s_and_b64 vcc, exec, s[0:1]
	s_waitcnt vmcnt(7)
	v_sub_f32_e32 v93, s24, v93
	s_nop 2
	v_accvgpr_read_b32 v37, a1
	v_accvgpr_read_b32 v35, a3
	;; [unrolled: 1-line block ×4, first 2 shown]
	v_mul_f32_e32 v93, 0x3fb8aa3b, v93
	s_waitcnt vmcnt(6)
	v_lshlrev_b32_e32 v38, 16, v94
	s_waitcnt vmcnt(5)
	v_lshlrev_b32_e32 v39, 16, v95
	;; [unrolled: 2-line block ×4, first 2 shown]
	s_waitcnt vmcnt(2)
	v_sub_f32_e32 v94, s24, v98
	s_waitcnt vmcnt(1)
	v_sub_f32_e32 v95, s24, v99
	;; [unrolled: 2-line block ×3, first 2 shown]
	v_pk_add_f32 v[36:37], v[38:39], v[36:37] neg_lo:[0,1] neg_hi:[0,1]
	v_pk_add_f32 v[34:35], v[40:41], v[34:35] neg_lo:[0,1] neg_hi:[0,1]
	v_mul_f32_e32 v39, 0x3fb8aa3b, v94
	v_mul_f32_e32 v40, 0x3fb8aa3b, v95
	;; [unrolled: 1-line block ×3, first 2 shown]
	v_exp_f32_e32 v38, v93
	v_exp_f32_e32 v39, v39
	;; [unrolled: 1-line block ×4, first 2 shown]
	global_store_short_d16_hi v[32:33], v36, off
	global_store_short_d16_hi v[32:33], v37, off offset:256
	global_store_short_d16_hi v[32:33], v34, off offset:512
	;; [unrolled: 1-line block ×3, first 2 shown]
	v_pk_mul_f32 v[32:33], v[38:39], v[36:37]
	v_pk_mul_f32 v[34:35], v[40:41], v[34:35]
	v_mov_b32_e32 v36, 0
	v_perm_b32 v35, v35, v34, s3
	v_perm_b32 v34, v33, v32, s3
	ds_write_b64 v70, v[34:35]
	v_mov_b32_e32 v32, 0
	v_mov_b32_e32 v33, 0
	v_mov_b32_e32 v34, 0
	v_mov_b32_e32 v35, 0
	v_mov_b32_e32 v37, 0
	v_mov_b32_e32 v38, 0
	v_mov_b32_e32 v39, 0
	v_mov_b32_e32 v40, 0
	v_mov_b32_e32 v41, 0
	s_cbranch_vccnz .LBB609_40
; %bb.39:                               ;   in Loop: Header=BB609_32 Depth=1
	s_and_b32 s29, s29, 0xffff
	s_mov_b32 s31, s27
	buffer_load_dwordx4 v[38:41], v84, s[28:31], 0 offen
	buffer_load_dwordx4 v[30:33], v84, s[28:31], s61 offen
	;; [unrolled: 1-line block ×4, first 2 shown]
	v_mov_b32_e32 v91, v64
	v_mov_b32_e32 v92, v63
.LBB609_40:                             ;   in Loop: Header=BB609_32 Depth=1
	s_waitcnt lgkmcnt(0)
	s_barrier
	ds_read_b64 v[102:103], v87
	ds_read2st64_b64 v[94:97], v78 offset1:1
	ds_read2st64_b64 v[98:101], v78 offset0:2 offset1:3
	ds_read_b64 v[104:105], v88
	ds_read_b64 v[106:107], v89
	;; [unrolled: 1-line block ×3, first 2 shown]
	s_waitcnt lgkmcnt(4)
	v_mfma_f32_16x16x16_bf16 a[0:3], v[102:103], v[94:95], 0
	ds_read_b64 v[102:103], v80 offset:8192
	ds_read_b64 v[110:111], v81 offset:8192
	s_add_i32 s25, s58, s64
	s_mul_hi_i32 s29, s25, s21
	s_waitcnt lgkmcnt(1)
	v_mfma_f32_16x16x16_bf16 a[4:7], v[102:103], v[94:95], 0
	s_mul_i32 s25, s25, s21
	s_add_u32 s28, s25, s51
	s_addc_u32 s29, s29, s53
	v_mfma_f32_16x16x16_bf16 a[0:3], v[104:105], v[96:97], a[0:3]
	ds_read_b64 v[102:103], v47
	ds_read_b64 v[104:105], v79
	ds_read_b64 v[94:95], v82 offset:8192
	s_lshl_b64 s[28:29], s[28:29], 15
	v_mfma_f32_16x16x16_bf16 a[0:3], v[106:107], v[98:99], a[0:3]
	ds_read_b64 v[106:107], v83 offset:8192
	s_and_b64 vcc, exec, s[0:1]
	s_waitcnt lgkmcnt(4)
	v_mfma_f32_16x16x16_bf16 a[4:7], v[110:111], v[96:97], a[4:7]
	s_waitcnt lgkmcnt(1)
	v_mfma_f32_16x16x16_bf16 a[4:7], v[94:95], v[98:99], a[4:7]
	v_lshl_add_u64 v[94:95], v[48:49], 0, s[28:29]
	global_store_dwordx4 v[94:95], v[102:105], off
	v_mfma_f32_16x16x16_bf16 a[0:3], v[108:109], v[100:101], a[0:3]
	s_waitcnt lgkmcnt(0)
	v_mfma_f32_16x16x16_bf16 a[4:7], v[106:107], v[100:101], a[4:7]
	s_cbranch_vccnz .LBB609_42
; %bb.41:                               ;   in Loop: Header=BB609_32 Depth=1
	v_lshrrev_b32_e32 v93, 3, v91
	v_and_b32_e32 v93, 6, v93
	v_xor_b32_e32 v92, v93, v92
	v_lshlrev_b32_e32 v92, 2, v92
	v_and_b32_e32 v91, 8, v91
	v_xor_b32_e32 v94, 0x440, v92
	v_cmp_eq_u32_e32 vcc, 0, v91
	s_barrier
	s_nop 0
	v_cndmask_b32_e32 v91, v94, v92, vcc
	v_lshl_or_b32 v91, v93, 10, v91
	s_waitcnt vmcnt(2)
	v_perm_b32 v92, v38, v34, s62
	s_waitcnt vmcnt(1)
	v_perm_b32 v93, v30, v26, s62
	ds_write2st64_b32 v91, v92, v93 offset1:32
	v_xor_b32_e32 v92, 8, v91
	v_perm_b32 v34, v38, v34, s63
	v_perm_b32 v26, v30, v26, s63
	v_add_u32_e32 v30, 0x80, v92
	ds_write2st64_b32 v30, v34, v26 offset1:32
	v_xor_b32_e32 v26, 16, v91
	v_perm_b32 v30, v39, v35, s62
	v_perm_b32 v34, v31, v27, s62
	ds_write2st64_b32 v26, v30, v34 offset0:1 offset1:33
	v_xor_b32_e32 v26, 24, v91
	v_perm_b32 v30, v39, v35, s63
	v_perm_b32 v27, v31, v27, s63
	v_add_u32_e32 v26, 0x80, v26
	ds_write2st64_b32 v26, v30, v27 offset0:1 offset1:33
	v_xor_b32_e32 v26, 32, v91
	v_perm_b32 v27, v40, v36, s62
	v_perm_b32 v30, v32, v28, s62
	ds_write2st64_b32 v26, v27, v30 offset0:2 offset1:34
	v_xor_b32_e32 v26, 40, v91
	v_perm_b32 v27, v40, v36, s63
	v_perm_b32 v28, v32, v28, s63
	v_add_u32_e32 v26, 0x80, v26
	ds_write2st64_b32 v26, v27, v28 offset0:2 offset1:34
	;; [unrolled: 9-line block ×3, first 2 shown]
	ds_write_b64 v9, v[22:23] offset:16384
	v_xor_b32_e32 v22, 8, v9
	ds_write_b64 v22, v[24:25] offset:16384
	ds_write_b64 v9, v[18:19] offset:24576
	;; [unrolled: 1-line block ×4, first 2 shown]
	v_xor_b32_e32 v9, 8, v5
	ds_write_b64 v9, v[16:17] offset:16384
	ds_write_b64 v5, v[10:11] offset:24576
	;; [unrolled: 1-line block ×3, first 2 shown]
.LBB609_42:                             ;   in Loop: Header=BB609_32 Depth=1
	v_mul_f32_e32 v5, s24, v86
	v_exp_f32_e32 v10, v5
	s_nop 1
	v_accvgpr_read_b32 v9, a1
	v_accvgpr_read_b32 v5, a0
	s_add_i32 s59, s59, 64
	v_fma_f32 v3, v3, v10, v9
	v_accvgpr_read_b32 v9, a4
	v_fma_f32 v6, v6, v10, v9
	v_accvgpr_read_b32 v9, a5
	;; [unrolled: 2-line block ×6, first 2 shown]
	v_fmac_f32_e32 v5, v61, v10
	s_cmp_eq_u32 s52, s41
	v_fmac_f32_e32 v9, v62, v10
	s_cbranch_scc1 .LBB609_4
; %bb.43:                               ;   in Loop: Header=BB609_32 Depth=1
	s_mov_b32 s64, s41
	v_mov_b32_e32 v61, v5
	v_mov_b32_e32 v62, v9
	s_branch .LBB609_32
.LBB609_44:
                                        ; implicit-def: $vgpr13
                                        ; implicit-def: $vgpr17
                                        ; implicit-def: $vgpr21
                                        ; implicit-def: $vgpr25
	s_cbranch_execz .LBB609_46
; %bb.45:
	s_waitcnt vmcnt(0)
	v_mad_u64_u32 v[10:11], s[0:1], v27, s23, v[26:27]
	v_lshlrev_b32_e32 v27, 1, v10
	s_lshl_b32 s2, s23, 7
	s_and_b32 s1, s5, 0xffff
	s_mov_b32 s3, 0x20000
	s_mov_b32 s0, s4
	v_add_lshl_u32 v28, v10, s23, 1
	s_movk_i32 s6, 0x80
	buffer_load_dwordx4 v[10:13], v27, s[0:3], 0 offen
	buffer_load_dwordx4 v[18:21], v27, s[0:3], s6 offen
	;; [unrolled: 1-line block ×4, first 2 shown]
.LBB609_46:
	v_lshrrev_b32_e32 v45, 2, v45
	s_cbranch_execnz .LBB609_59
.LBB609_47:
	s_and_b64 vcc, exec, s[14:15]
	s_cbranch_vccz .LBB609_57
; %bb.48:
	s_waitcnt vmcnt(0)
	v_lshlrev_b32_e32 v15, 1, v47
	v_cmp_gt_i32_e32 vcc, s30, v15
	v_mov_b32_e32 v14, 0
	v_lshlrev_b32_e32 v22, 9, v47
	v_mov_b32_e32 v10, 0
	v_mov_b32_e32 v11, 0
	;; [unrolled: 1-line block ×4, first 2 shown]
	s_and_saveexec_b64 s[0:1], vcc
	s_cbranch_execz .LBB609_50
; %bb.49:
	v_mov_b32_e32 v23, 0
	v_lshl_add_u64 v[10:11], s[4:5], 0, v[22:23]
	v_lshlrev_b32_e32 v12, 1, v26
	v_mov_b32_e32 v13, v23
	v_lshl_add_u64 v[10:11], v[10:11], 0, v[12:13]
	global_load_dwordx4 v[10:13], v[10:11], off
.LBB609_50:
	s_or_b64 exec, exec, s[0:1]
	v_or_b32_e32 v15, 1, v15
	v_cmp_gt_i32_e64 s[0:1], s30, v15
	v_lshlrev_b32_e32 v28, 8, v15
	v_mov_b32_e32 v15, 0
	v_mov_b32_e32 v16, 0
	;; [unrolled: 1-line block ×3, first 2 shown]
	s_and_saveexec_b64 s[2:3], s[0:1]
	s_cbranch_execz .LBB609_52
; %bb.51:
	v_mov_b32_e32 v29, 0
	v_lshl_add_u64 v[14:15], s[4:5], 0, v[28:29]
	v_lshlrev_b32_e32 v16, 1, v26
	v_mov_b32_e32 v17, v29
	v_lshl_add_u64 v[14:15], v[14:15], 0, v[16:17]
	global_load_dwordx4 v[14:17], v[14:15], off
.LBB609_52:
	s_or_b64 exec, exec, s[2:3]
	v_mov_b32_e32 v25, 0
	v_mov_b32_e32 v18, 0
	;; [unrolled: 1-line block ×5, first 2 shown]
	s_and_saveexec_b64 s[2:3], vcc
	s_cbranch_execz .LBB609_54
; %bb.53:
	v_mov_b32_e32 v23, 0
	v_lshl_add_u64 v[18:19], s[4:5], 0, v[22:23]
	v_lshlrev_b32_e32 v22, 1, v26
	v_lshl_add_u64 v[18:19], v[18:19], 0, v[22:23]
	global_load_dwordx4 v[18:21], v[18:19], off offset:128
.LBB609_54:
	s_or_b64 exec, exec, s[2:3]
	v_mov_b32_e32 v24, 0
	v_mov_b32_e32 v23, 0
	;; [unrolled: 1-line block ×3, first 2 shown]
	s_and_saveexec_b64 s[2:3], s[0:1]
	s_cbranch_execz .LBB609_56
; %bb.55:
	v_mov_b32_e32 v29, 0
	v_lshl_add_u64 v[22:23], s[4:5], 0, v[28:29]
	v_lshlrev_b32_e32 v28, 1, v26
	v_lshl_add_u64 v[22:23], v[22:23], 0, v[28:29]
	global_load_dwordx4 v[22:25], v[22:23], off offset:128
.LBB609_56:
	s_or_b64 exec, exec, s[2:3]
	s_branch .LBB609_59
.LBB609_57:
                                        ; implicit-def: $vgpr13
                                        ; implicit-def: $vgpr17
                                        ; implicit-def: $vgpr21
                                        ; implicit-def: $vgpr25
	s_cbranch_execz .LBB609_59
; %bb.58:
	s_waitcnt vmcnt(0)
	v_lshlrev_b32_e32 v10, 1, v26
	v_lshl_or_b32 v26, v47, 9, v10
	s_and_b32 s5, s5, 0xffff
	s_mov_b32 s7, 0x20000
	s_movk_i32 s6, 0x4000
	s_movk_i32 s0, 0x80
	buffer_load_dwordx4 v[10:13], v26, s[4:7], 0 offen
	buffer_load_dwordx4 v[14:17], v26, s[4:7], 0 offen offset:256
	buffer_load_dwordx4 v[18:21], v26, s[4:7], s0 offen
	buffer_load_dwordx4 v[22:25], v26, s[4:7], s0 offen offset:256
.LBB609_59:
	ds_read2st64_b64 v[30:33], v50 offset0:76 offset1:77
	ds_read2st64_b64 v[26:29], v50 offset0:78 offset1:79
	ds_read_b64 v[40:41], v34 offset:24576
	ds_read_b64 v[38:39], v35 offset:24576
	;; [unrolled: 1-line block ×4, first 2 shown]
	v_and_b32_e32 v51, 6, v0
	v_xor_b32_e32 v47, v47, v51
	v_lshlrev_b32_e32 v47, 2, v47
	v_and_b32_e32 v52, 1, v0
	v_xor_b32_e32 v53, 0x440, v47
	v_cmp_eq_u32_e32 vcc, 0, v52
	s_mov_b32 s0, 0x1000504
	s_waitcnt vmcnt(0)
	v_perm_b32 v52, v18, v22, s0
	v_cndmask_b32_e32 v47, v53, v47, vcc
	v_lshl_or_b32 v47, v51, 10, v47
	v_perm_b32 v51, v10, v14, s0
	ds_write2st64_b32 v47, v51, v52 offset1:32
	v_xor_b32_e32 v51, 8, v47
	s_mov_b32 s1, 0x3020706
	v_perm_b32 v10, v10, v14, s1
	v_perm_b32 v14, v18, v22, s1
	v_add_u32_e32 v18, 0x80, v51
	ds_write2st64_b32 v18, v10, v14 offset1:32
	v_xor_b32_e32 v10, 16, v47
	v_perm_b32 v14, v11, v15, s0
	v_perm_b32 v18, v19, v23, s0
	ds_write2st64_b32 v10, v14, v18 offset0:1 offset1:33
	v_xor_b32_e32 v10, 24, v47
	v_perm_b32 v11, v11, v15, s1
	v_perm_b32 v14, v19, v23, s1
	v_add_u32_e32 v10, 0x80, v10
	ds_write2st64_b32 v10, v11, v14 offset0:1 offset1:33
	v_xor_b32_e32 v10, 32, v47
	v_perm_b32 v11, v12, v16, s0
	v_perm_b32 v14, v20, v24, s0
	ds_write2st64_b32 v10, v11, v14 offset0:2 offset1:34
	v_xor_b32_e32 v10, 40, v47
	v_perm_b32 v11, v12, v16, s1
	v_perm_b32 v12, v20, v24, s1
	v_add_u32_e32 v10, 0x80, v10
	ds_write2st64_b32 v10, v11, v12 offset0:2 offset1:34
	v_xor_b32_e32 v10, 48, v47
	v_perm_b32 v11, v13, v17, s0
	v_perm_b32 v12, v21, v25, s0
	ds_write2st64_b32 v10, v11, v12 offset0:3 offset1:35
	v_xor_b32_e32 v10, 56, v47
	v_and_or_b32 v18, v45, 12, v54
	v_perm_b32 v11, v13, v17, s1
	v_perm_b32 v12, v21, v25, s1
	v_add_u32_e32 v10, 0x80, v10
	v_cmp_gt_i32_e32 vcc, s30, v18
	v_mov_b32_e32 v20, 0
	v_mov_b32_e32 v24, 0
	ds_write2st64_b32 v10, v11, v12 offset0:3 offset1:35
	s_and_saveexec_b64 s[0:1], vcc
	s_cbranch_execz .LBB609_61
; %bb.60:
	v_add_u32_e32 v10, s31, v18
	v_ashrrev_i32_e32 v11, 31, v10
	v_mul_lo_u32 v12, v11, s36
	v_mul_lo_u32 v13, v10, s37
	v_mad_u64_u32 v[10:11], s[2:3], v10, s36, 0
	v_add3_u32 v11, v11, v13, v12
	v_lshl_add_u64 v[10:11], v[10:11], 2, s[12:13]
	global_load_dword v10, v[10:11], off
	s_waitcnt vmcnt(0)
	v_sub_f32_e32 v10, s18, v10
	v_mul_f32_e32 v10, 0x3fb8aa3b, v10
	v_exp_f32_e32 v24, v10
.LBB609_61:
	s_or_b64 exec, exec, s[0:1]
	v_or_b32_e32 v23, 1, v18
	v_cmp_gt_i32_e64 s[4:5], s30, v23
	s_and_saveexec_b64 s[0:1], s[4:5]
	s_cbranch_execz .LBB609_63
; %bb.62:
	v_add_u32_e32 v10, s31, v23
	v_ashrrev_i32_e32 v11, 31, v10
	v_mul_lo_u32 v12, v11, s36
	v_mul_lo_u32 v13, v10, s37
	v_mad_u64_u32 v[10:11], s[2:3], v10, s36, 0
	v_add3_u32 v11, v11, v13, v12
	v_lshl_add_u64 v[10:11], v[10:11], 2, s[12:13]
	global_load_dword v10, v[10:11], off
	s_waitcnt vmcnt(0)
	v_sub_f32_e32 v10, s18, v10
	v_mul_f32_e32 v10, 0x3fb8aa3b, v10
	v_exp_f32_e32 v20, v10
.LBB609_63:
	s_or_b64 exec, exec, s[0:1]
	v_or_b32_e32 v21, 2, v18
	v_cmp_gt_i32_e64 s[0:1], s30, v21
	v_mov_b32_e32 v19, 0
	v_mov_b32_e32 v25, 0
	s_and_saveexec_b64 s[2:3], s[0:1]
	s_cbranch_execz .LBB609_65
; %bb.64:
	v_add_u32_e32 v10, s31, v21
	v_ashrrev_i32_e32 v11, 31, v10
	v_mul_lo_u32 v12, v11, s36
	v_mul_lo_u32 v13, v10, s37
	v_mad_u64_u32 v[10:11], s[6:7], v10, s36, 0
	v_add3_u32 v11, v11, v13, v12
	v_lshl_add_u64 v[10:11], v[10:11], 2, s[12:13]
	global_load_dword v10, v[10:11], off
	s_waitcnt vmcnt(0)
	v_sub_f32_e32 v10, s18, v10
	v_mul_f32_e32 v10, 0x3fb8aa3b, v10
	v_exp_f32_e32 v25, v10
.LBB609_65:
	s_or_b64 exec, exec, s[2:3]
	v_or_b32_e32 v22, 3, v18
	v_cmp_gt_i32_e64 s[2:3], s30, v22
	s_and_saveexec_b64 s[6:7], s[2:3]
	s_cbranch_execz .LBB609_67
; %bb.66:
	v_add_u32_e32 v10, s31, v22
	v_ashrrev_i32_e32 v11, 31, v10
	v_mul_lo_u32 v12, v11, s36
	v_mul_lo_u32 v13, v10, s37
	v_mad_u64_u32 v[10:11], s[14:15], v10, s36, 0
	v_add3_u32 v11, v11, v13, v12
	v_lshl_add_u64 v[10:11], v[10:11], 2, s[12:13]
	global_load_dword v10, v[10:11], off
	s_waitcnt vmcnt(0)
	v_sub_f32_e32 v10, s18, v10
	v_mul_f32_e32 v10, 0x3fb8aa3b, v10
	v_exp_f32_e32 v19, v10
.LBB609_67:
	s_or_b64 exec, exec, s[6:7]
	s_waitcnt lgkmcnt(11)
	v_mfma_f32_16x16x16_bf16 a[0:3], v[40:41], v[30:31], a[0:3]
	s_add_u32 s6, s16, s24
	v_ashrrev_i32_e32 v47, 31, v46
	s_addc_u32 s7, s17, s25
	s_waitcnt lgkmcnt(10)
	v_mfma_f32_16x16x16_bf16 a[0:3], v[38:39], v[32:33], a[0:3]
	v_lshlrev_b64 v[10:11], 1, v[46:47]
	v_lshl_add_u64 v[14:15], s[6:7], 0, v[10:11]
	s_add_u32 s6, s8, s24
	s_waitcnt lgkmcnt(9)
	v_mfma_f32_16x16x16_bf16 a[0:3], v[36:37], v[26:27], a[0:3]
	s_addc_u32 s7, s9, s25
	v_lshl_add_u64 v[16:17], s[6:7], 0, v[10:11]
	v_mov_b32_e32 v26, 0
	s_waitcnt lgkmcnt(8)
	v_mfma_f32_16x16x16_bf16 a[0:3], v[34:35], v[28:29], a[0:3]
	v_mov_b32_e32 v27, 0
	s_nop 5
	v_accvgpr_read_b32 v13, a3
	v_accvgpr_read_b32 v12, a2
	;; [unrolled: 1-line block ×4, first 2 shown]
	s_and_saveexec_b64 s[6:7], vcc
	s_cbranch_execz .LBB609_69
; %bb.68:
	v_lshlrev_b32_e32 v28, 8, v18
	v_mov_b32_e32 v29, 0
	v_lshl_add_u64 v[30:31], v[14:15], 0, v[28:29]
	global_load_ushort v27, v[30:31], off
	v_lshl_add_u64 v[28:29], v[16:17], 0, v[28:29]
	s_waitcnt vmcnt(0)
	v_lshlrev_b32_e32 v27, 16, v27
	v_sub_f32_e32 v10, v27, v10
	global_store_short_d16_hi v[28:29], v10, off
	v_mul_f32_e32 v10, v24, v10
	v_lshrrev_b32_e32 v27, 16, v10
.LBB609_69:
	s_or_b64 exec, exec, s[6:7]
	s_and_saveexec_b64 s[6:7], s[4:5]
	s_cbranch_execz .LBB609_71
; %bb.70:
	v_lshlrev_b32_e32 v28, 8, v23
	v_mov_b32_e32 v29, 0
	v_lshl_add_u64 v[30:31], v[14:15], 0, v[28:29]
	global_load_ushort v10, v[30:31], off
	v_lshl_add_u64 v[28:29], v[16:17], 0, v[28:29]
	s_waitcnt vmcnt(0)
	v_lshlrev_b32_e32 v10, 16, v10
	v_sub_f32_e32 v10, v10, v11
	global_store_short_d16_hi v[28:29], v10, off
	v_mul_f32_e32 v10, v20, v10
	v_lshrrev_b32_e32 v26, 16, v10
.LBB609_71:
	s_or_b64 exec, exec, s[6:7]
	v_mov_b32_e32 v11, 0
	v_mov_b32_e32 v20, 0
	s_and_saveexec_b64 s[4:5], s[0:1]
	s_cbranch_execz .LBB609_73
; %bb.72:
	v_lshlrev_b32_e32 v20, 8, v21
	v_mov_b32_e32 v21, 0
	v_lshl_add_u64 v[28:29], v[14:15], 0, v[20:21]
	global_load_ushort v10, v[28:29], off
	v_lshl_add_u64 v[20:21], v[16:17], 0, v[20:21]
	s_waitcnt vmcnt(0)
	v_lshlrev_b32_e32 v10, 16, v10
	v_sub_f32_e32 v10, v10, v12
	global_store_short_d16_hi v[20:21], v10, off
	v_mul_f32_e32 v10, v25, v10
	v_lshrrev_b32_e32 v20, 16, v10
.LBB609_73:
	s_or_b64 exec, exec, s[4:5]
	v_or_b32_e32 v10, 0x9800, v50
	s_and_saveexec_b64 s[0:1], s[2:3]
	s_cbranch_execz .LBB609_75
; %bb.74:
	v_lshlrev_b32_e32 v22, 8, v22
	v_mov_b32_e32 v23, 0
	v_lshl_add_u64 v[14:15], v[14:15], 0, v[22:23]
	global_load_ushort v11, v[14:15], off
	v_lshl_add_u64 v[14:15], v[16:17], 0, v[22:23]
	s_waitcnt vmcnt(0)
	v_lshlrev_b32_e32 v11, 16, v11
	v_sub_f32_e32 v11, v11, v13
	global_store_short_d16_hi v[14:15], v11, off
	v_mul_f32_e32 v11, v19, v11
	v_lshrrev_b32_e32 v11, 16, v11
.LBB609_75:
	s_or_b64 exec, exec, s[0:1]
	s_mov_b32 s0, 0x5040100
	v_perm_b32 v13, v11, v20, s0
	v_lshlrev_b32_e32 v11, 1, v48
	v_perm_b32 v12, v26, v27, s0
	v_lshl_or_b32 v11, v18, 5, v11
	s_movk_i32 s0, 0xff
	ds_write_b64 v11, v[12:13] offset:38912
	v_and_b32_e32 v11, 7, v0
	v_and_b32_e32 v12, 8, v0
	v_cmp_lt_u32_e32 vcc, s0, v0
	v_lshrrev_b32_e32 v0, 1, v0
	v_lshlrev_b32_e32 v22, 3, v1
	v_and_b32_e32 v23, 24, v0
	v_xor_b32_e32 v0, v22, v23
	v_cndmask_b32_e64 v13, 0, 1, vcc
	v_or_b32_e32 v1, 0x440, v0
	v_cmp_eq_u32_e32 vcc, 0, v12
	v_lshlrev_b32_e32 v20, 3, v11
	v_lshlrev_b32_e32 v11, 7, v11
	v_cndmask_b32_e32 v0, v1, v0, vcc
	v_or_b32_e32 v0, v0, v49
	v_lshlrev_b32_e32 v21, 13, v13
	v_xad_u32 v24, v0, v20, v11
	v_add_u32_e32 v0, v21, v24
	s_waitcnt lgkmcnt(0)
	s_barrier
	ds_read_b64 v[0:1], v0
	ds_read2st64_b64 v[12:15], v10 offset1:1
	ds_read2st64_b64 v[16:19], v10 offset0:2 offset1:3
	s_waitcnt lgkmcnt(1)
	v_mfma_f32_16x16x16_bf16 a[0:3], v[0:1], v[12:13], 0
	v_or_b32_e32 v0, 32, v23
	v_xor_b32_e32 v0, v22, v0
	v_or_b32_e32 v1, 0x440, v0
	v_cndmask_b32_e32 v0, v1, v0, vcc
	v_or_b32_e32 v0, v0, v49
	v_xad_u32 v25, v0, v20, v11
	v_add_u32_e32 v0, v21, v25
	ds_read_b64 v[0:1], v0
	v_or_b32_e32 v10, 0x60, v23
	s_waitcnt lgkmcnt(0)
	v_mfma_f32_16x16x16_bf16 a[0:3], v[0:1], v[14:15], a[0:3]
	v_or_b32_e32 v0, 64, v23
	v_xor_b32_e32 v0, v22, v0
	v_xor_b32_e32 v1, 0x440, v0
	v_cndmask_b32_e32 v0, v1, v0, vcc
	v_or_b32_e32 v0, v0, v49
	v_xad_u32 v26, v0, v20, v11
	v_add_u32_e32 v0, v21, v26
	ds_read_b64 v[0:1], v0
	v_xor_b32_e32 v10, v22, v10
	v_xor_b32_e32 v22, 0x440, v10
	v_cndmask_b32_e32 v10, v22, v10, vcc
	v_or_b32_e32 v10, v10, v49
	v_xad_u32 v22, v10, v20, v11
	v_add_u32_e32 v10, v21, v22
	ds_read_b64 v[10:11], v10
	s_waitcnt lgkmcnt(1)
	v_mfma_f32_16x16x16_bf16 a[0:3], v[0:1], v[16:17], a[0:3]
	ds_read_b64 v[0:1], v24 offset:8192
	ds_read_b64 v[20:21], v25 offset:8192
	v_mov_b32_e32 v23, 0x3fb8aa3b
	s_waitcnt lgkmcnt(2)
	v_mfma_f32_16x16x16_bf16 a[0:3], v[10:11], v[18:19], a[0:3]
	v_mul_f32_e32 v10, s18, v23
	v_exp_f32_e32 v23, v10
	ds_read_b64 v[10:11], v26 offset:8192
	s_waitcnt lgkmcnt(2)
	v_mfma_f32_16x16x16_bf16 a[4:7], v[0:1], v[12:13], 0
	ds_read_b64 v[12:13], v22 offset:8192
	s_nop 0
	v_accvgpr_read_b32 v0, a0
	v_accvgpr_read_b32 v1, a1
	s_waitcnt lgkmcnt(2)
	v_mfma_f32_16x16x16_bf16 a[4:7], v[20:21], v[14:15], a[4:7]
	v_fma_f32 v0, v2, v23, v0
	v_fma_f32 v1, v3, v23, v1
	v_accvgpr_read_b32 v2, a2
	s_waitcnt lgkmcnt(1)
	v_mfma_f32_16x16x16_bf16 a[4:7], v[10:11], v[16:17], a[4:7]
	v_accvgpr_read_b32 v3, a3
	v_fma_f32 v2, v4, v23, v2
	v_fmac_f32_e32 v3, v5, v23
	s_waitcnt lgkmcnt(0)
	v_mfma_f32_16x16x16_bf16 a[0:3], v[12:13], v[18:19], a[4:7]
	s_nop 6
	v_accvgpr_read_b32 v4, a0
	v_accvgpr_read_b32 v5, a1
	v_fma_f32 v4, v6, v23, v4
	v_fma_f32 v5, v7, v23, v5
	v_accvgpr_read_b32 v6, a2
	v_accvgpr_read_b32 v7, a3
	v_fma_f32 v6, v8, v23, v6
	v_fmac_f32_e32 v7, v9, v23
	v_mov_b64_e32 v[8:9], v[6:7]
	v_mov_b64_e32 v[6:7], v[4:5]
	;; [unrolled: 1-line block ×4, first 2 shown]
.LBB609_76:
	s_add_u32 s0, s10, s34
	s_addc_u32 s1, s11, s35
	v_lshl_add_u64 v[0:1], v[42:43], 1, s[0:1]
	v_mov_b32_e32 v45, 0
	s_mov_b32 s0, 0x7060302
	v_lshl_add_u64 v[0:1], v[0:1], 0, v[44:45]
	v_perm_b32 v5, v5, v4, s0
	v_perm_b32 v4, v3, v2, s0
	v_perm_b32 v3, v9, v8, s0
	v_perm_b32 v2, v7, v6, s0
	global_store_dwordx2 v[0:1], v[4:5], off
	global_store_dwordx2 v[0:1], v[2:3], off offset:128
	s_endpgm
	.section	.rodata,"a",@progbits
	.p2align	6, 0x0
	.amdhsa_kernel _ZN12_GLOBAL__N_139chunk_gated_delta_rule_fwd_h_hip_kernelILi16ELb1ELb1ELb1ELb1ELb0ELb0ELb1ELb1EEEvPK12hip_bfloat16S3_S3_PKfS5_PKvPS1_S8_PvPKiSB_iiiiilll
		.amdhsa_group_segment_fixed_size 40960
		.amdhsa_private_segment_fixed_size 0
		.amdhsa_kernarg_size 136
		.amdhsa_user_sgpr_count 2
		.amdhsa_user_sgpr_dispatch_ptr 0
		.amdhsa_user_sgpr_queue_ptr 0
		.amdhsa_user_sgpr_kernarg_segment_ptr 1
		.amdhsa_user_sgpr_dispatch_id 0
		.amdhsa_user_sgpr_kernarg_preload_length 0
		.amdhsa_user_sgpr_kernarg_preload_offset 0
		.amdhsa_user_sgpr_private_segment_size 0
		.amdhsa_uses_dynamic_stack 0
		.amdhsa_enable_private_segment 0
		.amdhsa_system_sgpr_workgroup_id_x 1
		.amdhsa_system_sgpr_workgroup_id_y 1
		.amdhsa_system_sgpr_workgroup_id_z 0
		.amdhsa_system_sgpr_workgroup_info 0
		.amdhsa_system_vgpr_workitem_id 0
		.amdhsa_next_free_vgpr 120
		.amdhsa_next_free_sgpr 68
		.amdhsa_accum_offset 112
		.amdhsa_reserve_vcc 1
		.amdhsa_float_round_mode_32 0
		.amdhsa_float_round_mode_16_64 0
		.amdhsa_float_denorm_mode_32 3
		.amdhsa_float_denorm_mode_16_64 3
		.amdhsa_dx10_clamp 1
		.amdhsa_ieee_mode 1
		.amdhsa_fp16_overflow 0
		.amdhsa_tg_split 0
		.amdhsa_exception_fp_ieee_invalid_op 0
		.amdhsa_exception_fp_denorm_src 0
		.amdhsa_exception_fp_ieee_div_zero 0
		.amdhsa_exception_fp_ieee_overflow 0
		.amdhsa_exception_fp_ieee_underflow 0
		.amdhsa_exception_fp_ieee_inexact 0
		.amdhsa_exception_int_div_zero 0
	.end_amdhsa_kernel
	.section	.text._ZN12_GLOBAL__N_139chunk_gated_delta_rule_fwd_h_hip_kernelILi16ELb1ELb1ELb1ELb1ELb0ELb0ELb1ELb1EEEvPK12hip_bfloat16S3_S3_PKfS5_PKvPS1_S8_PvPKiSB_iiiiilll,"axG",@progbits,_ZN12_GLOBAL__N_139chunk_gated_delta_rule_fwd_h_hip_kernelILi16ELb1ELb1ELb1ELb1ELb0ELb0ELb1ELb1EEEvPK12hip_bfloat16S3_S3_PKfS5_PKvPS1_S8_PvPKiSB_iiiiilll,comdat
.Lfunc_end609:
	.size	_ZN12_GLOBAL__N_139chunk_gated_delta_rule_fwd_h_hip_kernelILi16ELb1ELb1ELb1ELb1ELb0ELb0ELb1ELb1EEEvPK12hip_bfloat16S3_S3_PKfS5_PKvPS1_S8_PvPKiSB_iiiiilll, .Lfunc_end609-_ZN12_GLOBAL__N_139chunk_gated_delta_rule_fwd_h_hip_kernelILi16ELb1ELb1ELb1ELb1ELb0ELb0ELb1ELb1EEEvPK12hip_bfloat16S3_S3_PKfS5_PKvPS1_S8_PvPKiSB_iiiiilll
                                        ; -- End function
	.section	.AMDGPU.csdata,"",@progbits
; Kernel info:
; codeLenInByte = 7916
; NumSgprs: 74
; NumVgprs: 112
; NumAgprs: 8
; TotalNumVgprs: 120
; ScratchSize: 0
; MemoryBound: 0
; FloatMode: 240
; IeeeMode: 1
; LDSByteSize: 40960 bytes/workgroup (compile time only)
; SGPRBlocks: 9
; VGPRBlocks: 14
; NumSGPRsForWavesPerEU: 74
; NumVGPRsForWavesPerEU: 120
; AccumOffset: 112
; Occupancy: 1
; WaveLimiterHint : 1
; COMPUTE_PGM_RSRC2:SCRATCH_EN: 0
; COMPUTE_PGM_RSRC2:USER_SGPR: 2
; COMPUTE_PGM_RSRC2:TRAP_HANDLER: 0
; COMPUTE_PGM_RSRC2:TGID_X_EN: 1
; COMPUTE_PGM_RSRC2:TGID_Y_EN: 1
; COMPUTE_PGM_RSRC2:TGID_Z_EN: 0
; COMPUTE_PGM_RSRC2:TIDIG_COMP_CNT: 0
; COMPUTE_PGM_RSRC3_GFX90A:ACCUM_OFFSET: 27
; COMPUTE_PGM_RSRC3_GFX90A:TG_SPLIT: 0
	.section	.text._ZN12_GLOBAL__N_139chunk_gated_delta_rule_fwd_h_hip_kernelILi16ELb1ELb1ELb0ELb1ELb0ELb0ELb1ELb1EEEvPK12hip_bfloat16S3_S3_PKfS5_PKvPS1_S8_PvPKiSB_iiiiilll,"axG",@progbits,_ZN12_GLOBAL__N_139chunk_gated_delta_rule_fwd_h_hip_kernelILi16ELb1ELb1ELb0ELb1ELb0ELb0ELb1ELb1EEEvPK12hip_bfloat16S3_S3_PKfS5_PKvPS1_S8_PvPKiSB_iiiiilll,comdat
	.globl	_ZN12_GLOBAL__N_139chunk_gated_delta_rule_fwd_h_hip_kernelILi16ELb1ELb1ELb0ELb1ELb0ELb0ELb1ELb1EEEvPK12hip_bfloat16S3_S3_PKfS5_PKvPS1_S8_PvPKiSB_iiiiilll ; -- Begin function _ZN12_GLOBAL__N_139chunk_gated_delta_rule_fwd_h_hip_kernelILi16ELb1ELb1ELb0ELb1ELb0ELb0ELb1ELb1EEEvPK12hip_bfloat16S3_S3_PKfS5_PKvPS1_S8_PvPKiSB_iiiiilll
	.p2align	8
	.type	_ZN12_GLOBAL__N_139chunk_gated_delta_rule_fwd_h_hip_kernelILi16ELb1ELb1ELb0ELb1ELb0ELb0ELb1ELb1EEEvPK12hip_bfloat16S3_S3_PKfS5_PKvPS1_S8_PvPKiSB_iiiiilll,@function
_ZN12_GLOBAL__N_139chunk_gated_delta_rule_fwd_h_hip_kernelILi16ELb1ELb1ELb0ELb1ELb0ELb0ELb1ELb1EEEvPK12hip_bfloat16S3_S3_PKfS5_PKvPS1_S8_PvPKiSB_iiiiilll: ; @_ZN12_GLOBAL__N_139chunk_gated_delta_rule_fwd_h_hip_kernelILi16ELb1ELb1ELb0ELb1ELb0ELb0ELb1ELb1EEEvPK12hip_bfloat16S3_S3_PKfS5_PKvPS1_S8_PvPKiSB_iiiiilll
; %bb.0:
	s_load_dwordx4 s[16:19], s[0:1], 0x5c
	s_load_dwordx2 s[4:5], s[0:1], 0x50
	s_abs_i32 s7, s3
	s_ashr_i32 s6, s3, 31
	s_load_dwordx4 s[12:15], s[0:1], 0x40
	s_load_dwordx4 s[20:23], s[0:1], 0x28
	s_waitcnt lgkmcnt(0)
	s_abs_i32 s10, s17
	v_cvt_f32_u32_e32 v1, s10
	s_sub_i32 s8, 0, s10
	s_ashr_i32 s11, s17, 31
	s_xor_b32 s6, s6, s11
	v_rcp_iflag_f32_e32 v1, v1
	v_and_b32_e32 v54, 15, v0
	v_bfe_u32 v53, v0, 4, 2
	v_mov_b32_e32 v45, 0
	v_mul_f32_e32 v1, 0x4f7ffffe, v1
	v_cvt_u32_f32_e32 v1, v1
	v_lshlrev_b32_e32 v55, 3, v0
	v_readfirstlane_b32 s9, v1
	s_mul_i32 s8, s8, s9
	s_mul_hi_u32 s8, s9, s8
	s_add_i32 s9, s9, s8
	s_mul_hi_u32 s8, s7, s9
	s_mul_i32 s9, s8, s10
	s_sub_i32 s7, s7, s9
	s_add_i32 s24, s8, 1
	s_sub_i32 s9, s7, s10
	s_cmp_ge_u32 s7, s10
	s_cselect_b32 s8, s24, s8
	s_cselect_b32 s7, s9, s7
	s_add_i32 s9, s8, 1
	s_cmp_ge_u32 s7, s10
	s_cselect_b32 s7, s9, s8
	s_xor_b32 s7, s7, s6
	s_sub_i32 s24, s7, s6
	s_mul_i32 s28, s24, s17
	s_ashr_i32 s25, s24, 31
	s_sub_i32 s49, s3, s28
	s_lshl_b64 s[6:7], s[24:25], 2
	s_add_u32 s8, s14, s6
	s_addc_u32 s9, s15, s7
	s_add_u32 s26, s4, s6
	s_addc_u32 s27, s5, s7
	s_abs_i32 s3, s18
	v_cvt_f32_u32_e32 v1, s3
	s_load_dwordx2 s[36:37], s[8:9], 0x0
	s_sub_i32 s5, 0, s3
	s_lshl_b32 s2, s2, 4
	v_rcp_iflag_f32_e32 v1, v1
	v_or_b32_e32 v46, s2, v54
	s_waitcnt lgkmcnt(0)
	s_sub_i32 s52, s37, s36
	s_ashr_i32 s4, s52, 31
	v_mul_f32_e32 v1, 0x4f7ffffe, v1
	v_cvt_u32_f32_e32 v1, v1
	s_lshr_b32 s4, s4, 26
	s_add_i32 s4, s52, s4
	s_ashr_i32 s50, s4, 6
	v_readfirstlane_b32 s6, v1
	s_mul_i32 s5, s5, s6
	s_mul_hi_u32 s5, s6, s5
	s_add_i32 s6, s6, s5
	s_mul_hi_u32 s5, s10, s6
	s_mul_i32 s6, s5, s3
	s_ashr_i32 s4, s18, 31
	s_sub_i32 s6, s10, s6
	s_xor_b32 s4, s11, s4
	s_add_i32 s7, s5, 1
	s_sub_i32 s8, s6, s3
	s_cmp_ge_u32 s6, s3
	s_cselect_b32 s5, s7, s5
	s_cselect_b32 s6, s8, s6
	s_add_i32 s7, s5, 1
	s_cmp_ge_u32 s6, s3
	s_cselect_b32 s3, s7, s5
	s_xor_b32 s3, s3, s4
	s_sub_i32 s3, s3, s4
	s_abs_i32 s4, s3
	v_cvt_f32_u32_e32 v1, s4
	s_sub_i32 s6, 0, s4
	s_abs_i32 s5, s49
	s_xor_b32 s3, s49, s3
	v_rcp_iflag_f32_e32 v2, v1
	s_ashr_i32 s3, s3, 31
	v_lshrrev_b32_e32 v1, 6, v0
	v_lshlrev_b32_e32 v52, 4, v1
	v_mul_f32_e32 v2, 0x4f7ffffe, v2
	v_cvt_u32_f32_e32 v2, v2
	v_lshlrev_b32_e32 v42, 7, v46
	v_lshl_or_b32 v57, v53, 2, v52
	v_ashrrev_i32_e32 v43, 31, v42
	v_readfirstlane_b32 s7, v2
	s_mul_i32 s6, s6, s7
	s_mul_hi_u32 s6, s7, s6
	s_add_i32 s7, s7, s6
	s_mul_hi_u32 s6, s5, s7
	s_mul_i32 s7, s6, s4
	s_sub_i32 s5, s5, s7
	s_add_i32 s7, s6, 1
	s_sub_i32 s8, s5, s4
	s_cmp_ge_u32 s5, s4
	s_cselect_b32 s6, s7, s6
	s_cselect_b32 s5, s8, s5
	s_add_i32 s7, s6, 1
	s_cmp_ge_u32 s5, s4
	s_cselect_b32 s4, s7, s6
	s_xor_b32 s4, s4, s3
	s_sub_i32 s53, s4, s3
	s_ashr_i32 s51, s49, 31
	s_mul_hi_i32 s3, s24, s17
	s_add_u32 s4, s28, s49
	s_addc_u32 s5, s3, s51
	s_lshl_b64 s[14:15], s[4:5], 15
	s_add_u32 s4, s20, s14
	s_addc_u32 s5, s21, s15
	v_lshl_add_u64 v[2:3], v[42:43], 1, s[4:5]
	v_lshlrev_b32_e32 v44, 1, v57
	v_lshl_add_u64 v[2:3], v[2:3], 0, v[44:45]
	global_load_dwordx2 v[4:5], v[2:3], off
	global_load_dwordx2 v[8:9], v[2:3], off offset:128
	s_load_dwordx8 s[4:11], s[0:1], 0x0
	s_load_dwordx2 s[34:35], s[0:1], 0x80
	s_load_dwordx4 s[28:31], s[0:1], 0x70
	s_load_dword s56, s[26:27], 0x0
	v_and_b32_e32 v45, 63, v0
	v_lshrrev_b32_e32 v56, 3, v45
	v_or_b32_e32 v58, 64, v57
	s_waitcnt lgkmcnt(0)
	s_mul_i32 s33, s24, s29
	s_mul_hi_u32 s44, s24, s28
	s_mul_i32 s40, s24, s28
	s_mul_i32 s45, s25, s28
	s_mul_hi_i32 s54, s49, s16
	s_mul_i32 s55, s49, s16
	s_mul_i32 s46, s49, s31
	s_mul_hi_u32 s47, s49, s30
	s_mul_i32 s48, s51, s30
	s_cmp_lt_i32 s52, 64
	s_mul_i32 s38, s49, s30
	s_waitcnt vmcnt(1)
	v_and_b32_e32 v3, 0xffff0000, v4
	v_lshlrev_b32_e32 v2, 16, v4
	v_and_b32_e32 v59, 0xffff0000, v5
	v_lshlrev_b32_e32 v4, 16, v5
	s_waitcnt vmcnt(0)
	v_and_b32_e32 v7, 0xffff0000, v8
	v_lshlrev_b32_e32 v6, 16, v8
	v_and_b32_e32 v60, 0xffff0000, v9
	v_lshlrev_b32_e32 v8, 16, v9
	s_cbranch_scc1 .LBB610_3
; %bb.1:
	s_ashr_i32 s1, s36, 31
	s_add_u32 s0, s55, s36
	s_addc_u32 s1, s54, s1
	s_lshl_b64 s[0:1], s[0:1], 8
	v_and_b32_e32 v62, 56, v55
	s_add_u32 s24, s6, s0
	v_lshl_or_b32 v61, v1, 3, v56
	v_lshlrev_b32_e32 v5, 1, v62
	s_addc_u32 s0, s7, s1
	v_lshl_or_b32 v63, v61, 8, v5
	s_and_b32 s25, s0, 0xffff
	s_mov_b32 s27, 0x20000
	s_movk_i32 s26, 0x4000
	s_movk_i32 s0, 0x80
	v_or_b32_e32 v64, 0x2000, v63
	buffer_load_dwordx4 v[10:13], v63, s[24:27], 0 offen
	buffer_load_dwordx4 v[14:17], v63, s[24:27], s0 offen
	;; [unrolled: 1-line block ×4, first 2 shown]
	v_lshlrev_b32_e32 v9, 3, v61
	v_and_or_b32 v27, v0, 7, v9
	v_and_b32_e32 v9, 0x78, v9
	v_lshlrev_b32_e32 v27, 4, v27
	v_xor_b32_e32 v65, v27, v9
	v_mul_lo_u32 v26, v61, s19
	v_or_b32_e32 v66, 0x1000, v65
	v_xor_b32_e32 v9, 8, v65
	s_cmpk_eq_i32 s19, 0x80
	s_mov_b32 s57, s36
	v_xor_b32_e32 v27, 8, v66
	s_cselect_b64 s[0:1], -1, 0
	s_cmpk_lg_i32 s19, 0x80
	s_waitcnt vmcnt(3)
	ds_write_b64 v65, v[10:11] offset:16384
	ds_write_b64 v9, v[12:13] offset:16384
	s_waitcnt vmcnt(2)
	ds_write_b64 v65, v[14:15] offset:24576
	ds_write_b64 v9, v[16:17] offset:24576
	;; [unrolled: 3-line block ×4, first 2 shown]
	v_lshl_add_u32 v9, v26, 1, v62
	s_cbranch_scc0 .LBB610_29
; %bb.2:
	v_lshlrev_b32_e32 v11, 1, v9
	v_add_lshl_u32 v10, v9, s19, 1
	s_lshl_b32 s26, s19, 7
	v_lshl_or_b32 v5, v61, 9, v5
	s_cbranch_execz .LBB610_30
	s_branch .LBB610_31
.LBB610_3:
	v_mov_b32_e32 v9, v60
	v_mov_b32_e32 v5, v59
.LBB610_4:
	s_lshl_b32 s31, s50, 6
	s_sub_i32 s30, s52, s31
	s_cmp_gt_i32 s30, 0
	s_cbranch_scc0 .LBB610_76
; %bb.5:
	s_add_i32 s31, s31, s36
	s_ashr_i32 s3, s31, 31
	s_cmpk_lg_i32 s19, 0x80
	s_cselect_b64 s[26:27], -1, 0
	s_and_b64 vcc, exec, s[26:27]
	s_cbranch_vccz .LBB610_7
; %bb.6:
	s_mul_hi_i32 s0, s31, s18
	s_mul_i32 s1, s31, s18
	s_ashr_i32 s18, s53, 31
	s_add_u32 s28, s1, s53
	s_addc_u32 s29, s0, s18
	s_cbranch_execz .LBB610_8
	s_branch .LBB610_9
.LBB610_7:
                                        ; implicit-def: $sgpr28_sgpr29
.LBB610_8:
	s_mul_i32 s1, s53, s16
	s_mul_hi_i32 s0, s53, s16
	s_add_u32 s28, s1, s31
	s_addc_u32 s29, s0, s3
.LBB610_9:
	s_add_i32 s16, s50, s56
	s_add_u32 s0, s55, s31
	s_addc_u32 s1, s54, s3
	s_mov_b32 s3, 0x7060302
	v_lshlrev_b32_e32 v14, 3, v54
	s_lshl_b64 s[24:25], s[0:1], 8
	v_perm_b32 v11, v5, v4, s3
	v_perm_b32 v10, v3, v2, s3
	;; [unrolled: 1-line block ×4, first 2 shown]
	v_lshlrev_b32_e32 v48, 2, v54
	v_lshl_or_b32 v14, v57, 5, v14
	s_add_u32 s0, s6, s24
	ds_write2st64_b64 v14, v[10:11], v[12:13] offset0:72 offset1:76
	v_xor_b32_e32 v14, v57, v48
	v_lshlrev_b32_e32 v15, 8, v54
	s_addc_u32 s1, s7, s25
	v_lshl_or_b32 v14, v14, 1, v15
	s_mul_hi_i32 s3, s16, s17
	s_mul_i32 s16, s16, s17
	ds_write_b64 v14, v[10:11] offset:32768
	v_xor_b32_e32 v10, v58, v48
	s_add_u32 s6, s16, s49
	v_lshl_or_b32 v10, v10, 1, v15
	s_addc_u32 s7, s3, s51
	v_lshlrev_b32_e32 v11, 1, v54
	ds_write_b64 v10, v[12:13] offset:32768
	v_lshrrev_b32_e32 v10, 4, v0
	s_ashr_i32 s3, s2, 31
	s_lshl_b64 s[6:7], s[6:7], 15
	v_or_b32_e32 v12, 1, v11
	s_add_u32 s6, s22, s6
	v_xor_b32_e32 v11, v10, v11
	v_xor_b32_e32 v12, v12, v10
	v_lshlrev_b32_e32 v14, 8, v10
	s_addc_u32 s7, s23, s7
	s_lshl_b64 s[2:3], s[2:3], 8
	v_lshl_or_b32 v10, v11, 3, v14
	v_lshl_or_b32 v12, v12, 3, v14
	s_waitcnt lgkmcnt(0)
	s_barrier
	s_add_u32 s2, s6, s2
	ds_read_b64 v[10:11], v10 offset:32768
	ds_read_b64 v[12:13], v12 offset:32768
	s_addc_u32 s3, s7, s3
	v_mov_b32_e32 v15, 0
	s_cmp_lg_u32 s30, 64
	v_lshl_add_u64 v[16:17], s[2:3], 0, v[14:15]
	v_lshlrev_b32_e32 v14, 4, v54
	s_cselect_b64 s[6:7], -1, 0
	v_lshl_or_b32 v47, v1, 3, v56
	s_mov_b32 s20, 0
	v_lshl_add_u64 v[14:15], v[16:17], 0, v[14:15]
	s_waitcnt vmcnt(1)
	v_or_b32_e32 v27, 32, v47
	v_and_b32_e32 v26, 56, v55
	s_and_b64 vcc, exec, s[6:7]
	s_waitcnt lgkmcnt(0)
	global_store_dwordx4 v[14:15], v[10:13], off
	s_cbranch_vccz .LBB610_15
; %bb.10:
	s_mov_b32 s21, s20
	s_mov_b32 s22, s20
	;; [unrolled: 1-line block ×3, first 2 shown]
	v_mov_b64_e32 v[14:15], s[20:21]
	v_mov_b64_e32 v[16:17], s[22:23]
	;; [unrolled: 1-line block ×3, first 2 shown]
	v_cmp_gt_i32_e32 vcc, s30, v47
	v_mov_b64_e32 v[12:13], v[16:17]
	s_and_saveexec_b64 s[2:3], vcc
	s_cbranch_execz .LBB610_12
; %bb.11:
	v_lshlrev_b32_e32 v10, 8, v47
	v_mov_b32_e32 v11, 0
	v_lshl_add_u64 v[12:13], s[0:1], 0, v[10:11]
	v_lshlrev_b32_e32 v10, 1, v26
	v_lshl_add_u64 v[18:19], v[12:13], 0, v[10:11]
	global_load_dwordx4 v[14:17], v[18:19], off
	global_load_dwordx4 v[10:13], v[18:19], off offset:128
.LBB610_12:
	s_or_b64 exec, exec, s[2:3]
	s_mov_b32 s22, s20
	s_mov_b32 s23, s20
	;; [unrolled: 1-line block ×3, first 2 shown]
	v_mov_b64_e32 v[24:25], s[22:23]
	v_mov_b64_e32 v[22:23], s[20:21]
	;; [unrolled: 1-line block ×3, first 2 shown]
	v_cmp_gt_i32_e32 vcc, s30, v27
	v_lshlrev_b32_e32 v28, 7, v27
	v_mov_b64_e32 v[20:21], v[24:25]
	s_and_saveexec_b64 s[2:3], vcc
	s_cbranch_execz .LBB610_14
; %bb.13:
	v_lshlrev_b32_e32 v18, 1, v28
	v_mov_b32_e32 v19, 0
	v_lshl_add_u64 v[20:21], s[0:1], 0, v[18:19]
	v_lshlrev_b32_e32 v18, 1, v26
	v_lshl_add_u64 v[30:31], v[20:21], 0, v[18:19]
	global_load_dwordx4 v[22:25], v[30:31], off
	global_load_dwordx4 v[18:21], v[30:31], off offset:128
.LBB610_14:
	s_or_b64 exec, exec, s[2:3]
	v_lshrrev_b32_e32 v29, 3, v26
	v_lshlrev_b32_e32 v30, 3, v47
	v_or_b32_e32 v29, v30, v29
	v_lshlrev_b32_e32 v29, 4, v29
	v_and_b32_e32 v30, 0x78, v30
	v_xor_b32_e32 v29, v29, v30
	s_branch .LBB610_17
.LBB610_15:
                                        ; implicit-def: $vgpr29
                                        ; implicit-def: $vgpr28
                                        ; implicit-def: $vgpr14_vgpr15_vgpr16_vgpr17
                                        ; implicit-def: $vgpr10_vgpr11_vgpr12_vgpr13
                                        ; implicit-def: $vgpr22_vgpr23_vgpr24_vgpr25
                                        ; implicit-def: $vgpr18_vgpr19_vgpr20_vgpr21
	s_cbranch_execz .LBB610_17
; %bb.16:
	s_waitcnt vmcnt(0)
	v_lshlrev_b32_e32 v10, 1, v26
	v_lshl_or_b32 v28, v47, 8, v10
	s_and_b32 s1, s1, 0xffff
	s_mov_b32 s3, 0x20000
	s_movk_i32 s2, 0x4000
	v_lshl_or_b32 v29, v27, 8, v10
	s_movk_i32 s16, 0x80
	buffer_load_dwordx4 v[14:17], v28, s[0:3], 0 offen
	buffer_load_dwordx4 v[10:13], v28, s[0:3], s16 offen
	;; [unrolled: 1-line block ×4, first 2 shown]
	v_lshrrev_b32_e32 v28, 3, v26
	v_lshlrev_b32_e32 v29, 3, v47
	v_or_b32_e32 v28, v29, v28
	v_lshlrev_b32_e32 v28, 4, v28
	v_and_b32_e32 v29, 0x78, v29
	v_xor_b32_e32 v29, v28, v29
	v_lshlrev_b32_e32 v28, 7, v27
.LBB610_17:
	s_lshl_b64 s[0:1], s[28:29], 8
	s_add_u32 s4, s4, s0
	s_movk_i32 s0, 0x1000
	v_and_or_b32 v27, v28, s0, v29
	s_waitcnt vmcnt(1)
	ds_write_b64 v29, v[14:15] offset:16384
	v_xor_b32_e32 v14, 8, v29
	ds_write_b64 v14, v[16:17] offset:16384
	s_waitcnt vmcnt(0)
	ds_write_b64 v29, v[10:11] offset:24576
	ds_write_b64 v14, v[12:13] offset:24576
	;; [unrolled: 1-line block ×3, first 2 shown]
	v_xor_b32_e32 v10, 8, v27
	ds_write_b64 v10, v[24:25] offset:16384
	ds_write_b64 v27, v[18:19] offset:24576
	;; [unrolled: 1-line block ×3, first 2 shown]
	v_or_b32_e32 v10, v52, v54
	v_lshlrev_b32_e32 v10, 3, v10
	v_lshrrev_b32_e32 v12, 5, v45
	s_movk_i32 s16, 0xf8
	v_and_or_b32 v12, v10, s16, v12
	v_lshlrev_b32_e32 v49, 11, v1
	v_lshlrev_b32_e32 v20, 4, v12
	v_and_b32_e32 v21, 0x78, v10
	v_and_b32_e32 v22, 0x1000, v49
	v_lshlrev_b32_e32 v11, 2, v0
	v_xor_b32_e32 v10, v20, v21
	v_lshrrev_b32_e32 v12, 1, v45
	v_and_b32_e32 v11, 60, v11
	v_or_b32_e32 v10, v10, v22
	v_and_b32_e32 v23, 8, v12
	v_xor_b32_e32 v34, v10, v23
	v_lshl_or_b32 v10, v53, 6, v11
	v_lshlrev_b32_e32 v50, 1, v10
	v_or_b32_e32 v10, 32, v20
	v_xor_b32_e32 v10, v10, v21
	s_waitcnt lgkmcnt(0)
	s_barrier
	ds_read_b64 v[18:19], v34 offset:16384
	v_or_b32_e32 v10, v10, v22
	v_xor_b32_e32 v35, v10, v23
	v_or_b32_e32 v10, 64, v20
	v_xor_b32_e32 v10, v10, v21
	v_or_b32_e32 v10, v10, v22
	v_or_b32_e32 v20, 0x60, v20
	v_xor_b32_e32 v36, v10, v23
	ds_read2st64_b64 v[10:13], v50 offset0:72 offset1:73
	ds_read2st64_b64 v[14:17], v50 offset0:74 offset1:75
	v_xor_b32_e32 v24, v20, v21
	ds_read_b64 v[20:21], v35 offset:16384
	s_addc_u32 s5, s5, s1
	s_add_i32 s1, s44, s33
	s_waitcnt lgkmcnt(2)
	v_mfma_f32_16x16x16_bf16 a[0:3], v[18:19], v[10:11], 0
	s_add_i32 s0, s37, -1
	s_add_i32 s41, s1, s45
	s_add_i32 s1, s47, s46
	;; [unrolled: 1-line block ×3, first 2 shown]
	s_ashr_i32 s1, s0, 31
	s_mul_i32 s2, s0, s35
	s_mul_hi_u32 s3, s0, s34
	s_add_i32 s2, s3, s2
	s_mul_i32 s1, s1, s34
	v_or_b32_e32 v22, v24, v22
	s_add_i32 s1, s2, s1
	s_lshl_b64 s[2:3], s[40:41], 2
	v_xor_b32_e32 v51, v22, v23
	ds_read_b64 v[22:23], v36 offset:16384
	ds_read_b64 v[24:25], v51 offset:16384
	s_waitcnt lgkmcnt(2)
	v_mfma_f32_16x16x16_bf16 a[0:3], v[20:21], v[12:13], a[0:3]
	s_add_u32 s10, s10, s2
	s_addc_u32 s11, s11, s3
	s_lshl_b64 s[2:3], s[38:39], 2
	s_mul_i32 s0, s0, s34
	s_add_u32 s10, s10, s2
	s_addc_u32 s11, s11, s3
	s_lshl_b64 s[0:1], s[0:1], 2
	s_waitcnt lgkmcnt(1)
	v_mfma_f32_16x16x16_bf16 a[0:3], v[22:23], v[14:15], a[0:3]
	s_add_u32 s0, s10, s0
	s_addc_u32 s1, s11, s1
	s_load_dword s16, s[0:1], 0x0
	s_waitcnt lgkmcnt(0)
	v_mfma_f32_16x16x16_bf16 a[0:3], v[24:25], v[16:17], a[0:3]
	s_and_b64 vcc, exec, s[26:27]
	s_cbranch_vccz .LBB610_28
; %bb.18:
	v_lshlrev_b32_e32 v27, 1, v47
	s_and_b64 vcc, exec, s[6:7]
	s_cbranch_vccz .LBB610_44
; %bb.19:
	v_cmp_gt_i32_e32 vcc, s30, v27
	v_mov_b32_e32 v14, 0
	v_mov_b32_e32 v10, 0
	;; [unrolled: 1-line block ×5, first 2 shown]
	s_and_saveexec_b64 s[0:1], vcc
	s_cbranch_execz .LBB610_21
; %bb.20:
	v_mad_i64_i32 v[10:11], s[2:3], s19, v27, 0
	v_lshl_add_u64 v[10:11], v[10:11], 1, s[4:5]
	v_lshlrev_b32_e32 v12, 1, v26
	v_mov_b32_e32 v13, 0
	v_lshl_add_u64 v[10:11], v[10:11], 0, v[12:13]
	global_load_dwordx4 v[10:13], v[10:11], off
.LBB610_21:
	s_or_b64 exec, exec, s[0:1]
	v_or_b32_e32 v28, 1, v27
	v_cmp_gt_i32_e64 s[0:1], s30, v28
	v_mov_b32_e32 v15, 0
	v_mov_b32_e32 v16, 0
	;; [unrolled: 1-line block ×3, first 2 shown]
	s_and_saveexec_b64 s[2:3], s[0:1]
	s_cbranch_execz .LBB610_23
; %bb.22:
	v_mad_i64_i32 v[14:15], s[20:21], s19, v28, 0
	v_lshl_add_u64 v[14:15], v[14:15], 1, s[4:5]
	v_lshlrev_b32_e32 v16, 1, v26
	v_mov_b32_e32 v17, 0
	v_lshl_add_u64 v[14:15], v[14:15], 0, v[16:17]
	global_load_dwordx4 v[14:17], v[14:15], off
.LBB610_23:
	s_or_b64 exec, exec, s[2:3]
	v_mov_b32_e32 v25, 0
	v_mov_b32_e32 v18, 0
	;; [unrolled: 1-line block ×5, first 2 shown]
	s_and_saveexec_b64 s[2:3], vcc
	s_cbranch_execz .LBB610_25
; %bb.24:
	v_mad_i64_i32 v[18:19], s[20:21], s19, v27, 0
	v_lshl_add_u64 v[18:19], v[18:19], 1, s[4:5]
	v_lshlrev_b32_e32 v20, 1, v26
	v_mov_b32_e32 v21, 0
	v_lshl_add_u64 v[18:19], v[18:19], 0, v[20:21]
	global_load_dwordx4 v[18:21], v[18:19], off offset:128
.LBB610_25:
	s_or_b64 exec, exec, s[2:3]
	v_mov_b32_e32 v24, 0
	v_mov_b32_e32 v23, 0
	;; [unrolled: 1-line block ×3, first 2 shown]
	s_and_saveexec_b64 s[2:3], s[0:1]
	s_cbranch_execz .LBB610_27
; %bb.26:
	v_mad_i64_i32 v[22:23], s[0:1], s19, v28, 0
	v_lshl_add_u64 v[22:23], v[22:23], 1, s[4:5]
	v_lshlrev_b32_e32 v24, 1, v26
	v_mov_b32_e32 v25, 0
	v_lshl_add_u64 v[22:23], v[22:23], 0, v[24:25]
	global_load_dwordx4 v[22:25], v[22:23], off offset:128
.LBB610_27:
	s_or_b64 exec, exec, s[2:3]
	s_branch .LBB610_46
.LBB610_28:
                                        ; implicit-def: $vgpr13
                                        ; implicit-def: $vgpr17
                                        ; implicit-def: $vgpr21
                                        ; implicit-def: $vgpr25
	v_lshrrev_b32_e32 v45, 2, v45
	s_branch .LBB610_47
.LBB610_29:
                                        ; implicit-def: $vgpr10
                                        ; implicit-def: $vgpr11
                                        ; implicit-def: $sgpr26
	v_lshl_or_b32 v5, v61, 9, v5
.LBB610_30:
	v_or_b32_e32 v10, 0x100, v5
	s_movk_i32 s26, 0x4000
	v_mov_b32_e32 v11, v5
.LBB610_31:
	s_mul_i32 s20, s36, s18
	s_ashr_i32 s58, s53, 31
	s_mul_hi_i32 s3, s36, s18
	s_add_u32 s20, s20, s53
	s_addc_u32 s21, s3, s58
	s_lshl_b64 s[20:21], s[20:21], 8
	s_add_u32 s24, s4, s20
	s_addc_u32 s3, s5, s21
	s_and_b32 s25, s3, 0xffff
	s_movk_i32 s59, 0x80
	buffer_load_dwordx4 v[12:15], v11, s[24:27], 0 offen
	buffer_load_dwordx4 v[16:19], v11, s[24:27], s59 offen
	buffer_load_dwordx4 v[20:23], v10, s[24:27], 0 offen
	buffer_load_dwordx4 v[24:27], v10, s[24:27], s59 offen
	v_and_b32_e32 v10, 6, v0
	v_lshlrev_b32_e32 v28, 2, v54
	v_lshlrev_b32_e32 v29, 3, v54
	v_xor_b32_e32 v32, v61, v10
	v_and_b32_e32 v11, 1, v0
	v_lshl_or_b32 v29, v57, 5, v29
	v_xor_b32_e32 v33, v57, v28
	v_lshlrev_b32_e32 v32, 2, v32
	v_or_b32_e32 v67, 0x9000, v29
	v_or_b32_e32 v68, 0x9800, v29
	v_lshlrev_b32_e32 v29, 1, v33
	v_xor_b32_e32 v33, 0x440, v32
	v_cmp_eq_u32_e32 vcc, 0, v11
	s_add_i32 s3, s44, s33
	s_add_i32 s20, s47, s46
	v_cndmask_b32_e32 v11, v33, v32, vcc
	s_add_i32 s41, s3, s45
	v_lshl_or_b32 v10, v10, 10, v11
	s_add_i32 s39, s20, s48
	s_lshl_b64 s[20:21], s[40:41], 2
	s_mov_b32 s60, 0x1000504
	v_lshlrev_b32_e32 v30, 8, v54
	s_mov_b32 s26, 0x8000
	v_xor_b32_e32 v28, v58, v28
	v_xor_b32_e32 v11, 8, v10
	s_add_u32 s3, s10, s20
	s_mov_b32 s61, 0x3020706
	v_or_b32_e32 v31, v52, v54
	v_lshlrev_b32_e32 v28, 1, v28
	v_or3_b32 v69, v29, v30, s26
	v_xor_b32_e32 v29, 24, v10
	v_xor_b32_e32 v32, 40, v10
	;; [unrolled: 1-line block ×3, first 2 shown]
	v_add_u32_e32 v11, 0x80, v11
	s_addc_u32 s24, s11, s21
	s_lshl_b64 s[20:21], s[38:39], 2
	v_lshlrev_b32_e32 v31, 3, v31
	v_or3_b32 v70, v28, v30, s26
	v_xor_b32_e32 v28, 16, v10
	v_xor_b32_e32 v30, 32, v10
	;; [unrolled: 1-line block ×3, first 2 shown]
	v_add_u32_e32 v29, 0x80, v29
	v_add_u32_e32 v32, 0x80, v32
	;; [unrolled: 1-line block ×3, first 2 shown]
	s_add_u32 s20, s3, s20
	s_movk_i32 s3, 0xf8
	s_addc_u32 s21, s24, s21
	v_ashrrev_i32_e32 v47, 31, v46
	s_lshl_b32 s30, s19, 7
	s_mov_b32 s62, 0
	v_mov_b32_e32 v84, 0x3fb8aa3b
	s_waitcnt vmcnt(1)
	v_perm_b32 v35, v12, v20, s60
	s_waitcnt vmcnt(0)
	v_perm_b32 v36, v16, v24, s60
	v_perm_b32 v12, v12, v20, s61
	;; [unrolled: 1-line block ×15, first 2 shown]
	ds_write2st64_b32 v10, v35, v36 offset1:32
	ds_write2st64_b32 v11, v12, v16 offset1:32
	ds_write2st64_b32 v28, v20, v24 offset0:1 offset1:33
	ds_write2st64_b32 v29, v13, v17 offset0:1 offset1:33
	;; [unrolled: 1-line block ×6, first 2 shown]
	v_lshrrev_b32_e32 v11, 5, v45
	v_and_or_b32 v11, v31, s3, v11
	v_lshlrev_b32_e32 v11, 4, v11
	v_lshlrev_b32_e32 v16, 11, v1
	v_and_b32_e32 v12, 0x78, v31
	v_or_b32_e32 v15, 32, v11
	v_and_b32_e32 v10, 0x1000, v16
	v_xor_b32_e32 v13, v11, v12
	v_lshrrev_b32_e32 v17, 1, v0
	v_xor_b32_e32 v15, v15, v12
	v_or_b32_e32 v13, v13, v10
	v_and_b32_e32 v14, 8, v17
	v_or_b32_e32 v15, v15, v10
	v_xor_b32_e32 v71, v13, v14
	v_and_b32_e32 v13, 0x78, v55
	v_xor_b32_e32 v73, v15, v14
	v_or_b32_e32 v15, 64, v11
	v_or_b32_e32 v11, 0x60, v11
	v_lshl_or_b32 v13, v53, 7, v13
	v_xor_b32_e32 v15, v15, v12
	v_xor_b32_e32 v11, v11, v12
	v_or_b32_e32 v72, 0x9000, v13
	v_or_b32_e32 v15, v15, v10
	;; [unrolled: 1-line block ×4, first 2 shown]
	v_lshrrev_b32_e32 v12, 4, v0
	v_lshlrev_b32_e32 v13, 1, v54
	v_xor_b32_e32 v74, v15, v14
	v_xor_b32_e32 v75, v10, v14
	s_ashr_i32 s3, s2, 31
	v_or_b32_e32 v14, 1, v13
	v_xor_b32_e32 v13, v12, v13
	s_lshl_b64 s[24:25], s[2:3], 8
	v_xor_b32_e32 v14, v14, v12
	v_lshlrev_b32_e32 v13, 3, v13
	v_lshlrev_b32_e32 v12, 8, v12
	v_lshl_add_u64 v[10:11], v[46:47], 1, s[8:9]
	s_add_u32 s24, s22, s24
	v_or3_b32 v47, v13, v12, s26
	v_lshlrev_b32_e32 v13, 3, v14
	s_addc_u32 s25, s23, s25
	v_or3_b32 v77, v13, v12, s26
	v_mov_b32_e32 v13, 0
	v_lshl_add_u64 v[14:15], s[24:25], 0, v[12:13]
	v_lshlrev_b32_e32 v12, 4, v54
	s_movk_i32 s3, 0xff
	v_lshlrev_b32_e32 v21, 3, v1
	v_and_b32_e32 v17, 24, v17
	v_lshl_add_u64 v[48:49], v[14:15], 0, v[12:13]
	v_and_b32_e32 v14, 8, v0
	v_cmp_lt_u32_e32 vcc, s3, v0
	v_xor_b32_e32 v22, v21, v17
	v_or_b32_e32 v23, 0x440, v22
	v_cndmask_b32_e64 v20, 0, 1, vcc
	v_cmp_eq_u32_e32 vcc, 0, v14
	v_and_b32_e32 v12, 7, v0
	v_lshlrev_b32_e32 v15, 3, v12
	v_cndmask_b32_e32 v14, v23, v22, vcc
	v_lshlrev_b32_e32 v12, 7, v12
	v_or_b32_e32 v14, v14, v16
	v_xad_u32 v78, v14, v15, v12
	v_or_b32_e32 v14, 32, v17
	v_xor_b32_e32 v14, v21, v14
	v_or_b32_e32 v22, 0x440, v14
	v_cndmask_b32_e32 v14, v22, v14, vcc
	v_or_b32_e32 v14, v14, v16
	v_xad_u32 v79, v14, v15, v12
	v_or_b32_e32 v14, 64, v17
	v_xor_b32_e32 v14, v21, v14
	v_xor_b32_e32 v22, 0x440, v14
	v_cndmask_b32_e32 v14, v22, v14, vcc
	v_or_b32_e32 v14, v14, v16
	v_xad_u32 v80, v14, v15, v12
	v_or_b32_e32 v14, 0x60, v17
	v_xor_b32_e32 v14, v21, v14
	v_xor_b32_e32 v17, 0x440, v14
	v_cndmask_b32_e32 v14, v17, v14, vcc
	v_or_b32_e32 v14, v14, v16
	v_lshlrev_b32_e32 v18, 1, v9
	v_add_lshl_u32 v9, v9, s19, 1
	v_or_b32_e32 v19, 0x100, v5
	v_lshlrev_b32_e32 v20, 13, v20
	v_xad_u32 v81, v14, v15, v12
	v_lshlrev_b32_e32 v12, 8, v57
	v_cndmask_b32_e64 v82, v18, v5, s[0:1]
	v_cndmask_b32_e64 v83, v9, v19, s[0:1]
	v_lshl_add_u64 v[50:51], v[10:11], 0, v[12:13]
	s_mov_b32 s3, 0x7060302
	s_movk_i32 s26, 0x4000
	v_add_u32_e32 v85, v20, v78
	v_add_u32_e32 v86, v20, v79
	;; [unrolled: 1-line block ×4, first 2 shown]
	s_waitcnt lgkmcnt(0)
	s_barrier
.LBB610_32:                             ; =>This Inner Loop Header: Depth=1
	s_add_i32 s39, s62, 1
	s_cmp_lt_i32 s39, s50
	s_mov_b64 s[28:29], 0
	s_cselect_b64 s[42:43], -1, 0
	s_cmp_ge_i32 s39, s50
	s_mov_b64 s[24:25], 0
	s_cbranch_scc1 .LBB610_34
; %bb.33:                               ;   in Loop: Header=BB610_32 Depth=1
	s_add_i32 s0, s57, 64
	s_ashr_i32 s1, s0, 31
	s_add_u32 s0, s55, s0
	s_addc_u32 s1, s54, s1
	s_lshl_b64 s[0:1], s[0:1], 8
	s_add_u32 s24, s6, s0
	s_addc_u32 s25, s7, s1
.LBB610_34:                             ;   in Loop: Header=BB610_32 Depth=1
	v_cndmask_b32_e64 v5, 0, 1, s[42:43]
	v_cmp_ne_u32_e64 s[0:1], 1, v5
	s_andn2_b64 vcc, exec, s[42:43]
	s_cbranch_vccnz .LBB610_36
; %bb.35:                               ;   in Loop: Header=BB610_32 Depth=1
	s_add_i32 s28, s57, 64
	s_mul_hi_i32 s29, s28, s18
	s_mul_i32 s28, s28, s18
	s_add_u32 s28, s28, s53
	s_addc_u32 s29, s29, s58
	s_lshl_b64 s[28:29], s[28:29], 8
	s_add_u32 s28, s4, s28
	s_addc_u32 s29, s5, s29
.LBB610_36:                             ;   in Loop: Header=BB610_32 Depth=1
	v_perm_b32 v11, v59, v4, s3
	v_perm_b32 v10, v3, v2, s3
	;; [unrolled: 1-line block ×4, first 2 shown]
	ds_write_b64 v67, v[10:11]
	ds_write_b64 v68, v[12:13]
	;; [unrolled: 1-line block ×4, first 2 shown]
	s_waitcnt lgkmcnt(0)
	s_barrier
	ds_read_b64 v[18:19], v71 offset:16384
	ds_read_b64 v[20:21], v73 offset:16384
	ds_read2st64_b64 v[10:13], v72 offset1:1
	s_waitcnt lgkmcnt(0)
	v_mfma_f32_16x16x16_bf16 a[0:3], v[18:19], v[10:11], 0
	ds_read2st64_b64 v[14:17], v72 offset0:2 offset1:3
	ds_read_b64 v[22:23], v74 offset:16384
	ds_read_b64 v[10:11], v75 offset:16384
	s_add_i32 s31, s57, 63
	v_mfma_f32_16x16x16_bf16 a[0:3], v[20:21], v[12:13], a[0:3]
	s_ashr_i32 s41, s31, 31
	s_mul_i32 s42, s31, s35
	s_mul_hi_u32 s43, s31, s34
	s_waitcnt lgkmcnt(1)
	v_mfma_f32_16x16x16_bf16 a[0:3], v[22:23], v[14:15], a[0:3]
	s_add_i32 s42, s43, s42
	s_mul_i32 s41, s41, s34
	s_add_i32 s43, s42, s41
	s_mul_i32 s42, s31, s34
	s_waitcnt lgkmcnt(0)
	v_mfma_f32_16x16x16_bf16 a[0:3], v[10:11], v[16:17], a[0:3]
	s_lshl_b64 s[42:43], s[42:43], 2
	s_add_u32 s42, s20, s42
	s_addc_u32 s43, s21, s43
	s_and_b64 vcc, exec, s[0:1]
	v_mov_b32_e32 v89, 0
	v_mov_b32_e32 v9, 0
	;; [unrolled: 1-line block ×19, first 2 shown]
	s_cbranch_vccnz .LBB610_38
; %bb.37:                               ;   in Loop: Header=BB610_32 Depth=1
	s_and_b32 s25, s25, 0xffff
	buffer_load_dwordx4 v[22:25], v63, s[24:27], 0 offen
	buffer_load_dwordx4 v[18:21], v63, s[24:27], s59 offen
	;; [unrolled: 1-line block ×4, first 2 shown]
	v_mov_b32_e32 v9, v65
	v_mov_b32_e32 v5, v66
.LBB610_38:                             ;   in Loop: Header=BB610_32 Depth=1
	s_waitcnt vmcnt(3)
	v_add_u32_e32 v30, s57, v57
	s_waitcnt vmcnt(1)
	v_ashrrev_i32_e32 v26, 31, v30
	v_mul_lo_u32 v28, v26, s34
	v_mul_lo_u32 v29, v30, s35
	v_mad_u64_u32 v[26:27], s[24:25], v30, s34, 0
	v_add3_u32 v27, v27, v29, v28
	v_lshl_add_u64 v[26:27], v[26:27], 2, s[20:21]
	global_load_dword v91, v[26:27], off
	v_add_u32_e32 v26, 1, v30
	v_ashrrev_i32_e32 v27, 31, v26
	v_mul_lo_u32 v28, v27, s34
	v_mul_lo_u32 v29, v26, s35
	v_mad_u64_u32 v[26:27], s[24:25], v26, s34, 0
	v_add3_u32 v27, v27, v29, v28
	v_add_u32_e32 v28, 2, v30
	v_ashrrev_i32_e32 v29, 31, v28
	v_mul_lo_u32 v31, v29, s34
	v_mul_lo_u32 v32, v28, s35
	v_mad_u64_u32 v[28:29], s[24:25], v28, s34, 0
	v_add_u32_e32 v30, 3, v30
	v_add3_u32 v29, v29, v32, v31
	v_ashrrev_i32_e32 v31, 31, v30
	v_mul_lo_u32 v34, v31, s34
	v_mul_lo_u32 v35, v30, s35
	v_mad_u64_u32 v[30:31], s[24:25], v30, s34, 0
	s_ashr_i32 s25, s57, 31
	s_add_u32 s24, s55, s57
	s_addc_u32 s25, s54, s25
	s_lshl_b64 s[24:25], s[24:25], 8
	v_lshl_add_u64 v[26:27], v[26:27], 2, s[20:21]
	v_lshl_add_u64 v[32:33], v[50:51], 0, s[24:25]
	v_add3_u32 v31, v31, v35, v34
	v_lshl_add_u64 v[28:29], v[28:29], 2, s[20:21]
	global_load_ushort v96, v[32:33], off
	global_load_ushort v97, v[32:33], off offset:256
	global_load_ushort v98, v[32:33], off offset:512
	;; [unrolled: 1-line block ×3, first 2 shown]
	v_lshl_add_u64 v[30:31], v[30:31], 2, s[20:21]
	global_load_dword v100, v[26:27], off
	global_load_dword v101, v[28:29], off
	global_load_dword v102, v[30:31], off
	s_load_dword s24, s[42:43], 0x0
	ds_read_b64 v[34:35], v71 offset:24576
	ds_read2st64_b64 v[30:33], v76 offset1:1
	ds_read2st64_b64 v[36:39], v76 offset0:2 offset1:3
	ds_read_b64 v[40:41], v73 offset:24576
	ds_read_b64 v[92:93], v74 offset:24576
	;; [unrolled: 1-line block ×3, first 2 shown]
	s_waitcnt lgkmcnt(0)
	v_mfma_f32_16x16x16_bf16 a[0:3], v[34:35], v[30:31], a[0:3]
	v_mov_b32_e32 v90, 0
	v_mov_b32_e32 v26, 0
	v_mov_b32_e32 v27, 0
	v_mfma_f32_16x16x16_bf16 a[0:3], v[40:41], v[32:33], a[0:3]
	v_mov_b32_e32 v28, 0
	v_mov_b32_e32 v29, 0
	v_mov_b32_e32 v30, 0
	;; [unrolled: 4-line block ×4, first 2 shown]
	s_and_b64 vcc, exec, s[0:1]
	s_waitcnt vmcnt(7)
	v_sub_f32_e32 v37, s24, v91
	v_mul_f32_e32 v37, 0x3fb8aa3b, v37
	v_accvgpr_read_b32 v41, a1
	v_accvgpr_read_b32 v39, a3
	;; [unrolled: 1-line block ×4, first 2 shown]
	s_waitcnt vmcnt(6)
	v_lshlrev_b32_e32 v92, 16, v96
	s_waitcnt vmcnt(5)
	v_lshlrev_b32_e32 v93, 16, v97
	;; [unrolled: 2-line block ×3, first 2 shown]
	s_waitcnt vmcnt(2)
	v_sub_f32_e32 v91, s24, v100
	s_waitcnt vmcnt(1)
	v_sub_f32_e32 v97, s24, v101
	;; [unrolled: 2-line block ×3, first 2 shown]
	v_lshlrev_b32_e32 v95, 16, v99
	v_exp_f32_e32 v96, v37
	v_mul_f32_e32 v37, 0x3fb8aa3b, v91
	v_mul_f32_e32 v91, 0x3fb8aa3b, v97
	v_mul_f32_e32 v99, 0x3fb8aa3b, v98
	v_exp_f32_e32 v97, v37
	v_exp_f32_e32 v98, v91
	;; [unrolled: 1-line block ×3, first 2 shown]
	v_pk_add_f32 v[40:41], v[92:93], v[40:41] neg_lo:[0,1] neg_hi:[0,1]
	v_pk_add_f32 v[38:39], v[94:95], v[38:39] neg_lo:[0,1] neg_hi:[0,1]
	v_pk_mul_f32 v[40:41], v[96:97], v[40:41]
	v_pk_mul_f32 v[38:39], v[98:99], v[38:39]
	v_mov_b32_e32 v37, 0
	v_perm_b32 v39, v39, v38, s3
	v_perm_b32 v38, v41, v40, s3
	ds_write_b64 v68, v[38:39]
	v_mov_b32_e32 v38, 0
	v_mov_b32_e32 v39, 0
	;; [unrolled: 1-line block ×4, first 2 shown]
	s_cbranch_vccnz .LBB610_40
; %bb.39:                               ;   in Loop: Header=BB610_32 Depth=1
	s_and_b32 s29, s29, 0xffff
	s_mov_b32 s31, s27
	buffer_load_dwordx4 v[38:41], v82, s[28:31], 0 offen
	buffer_load_dwordx4 v[30:33], v82, s[28:31], s59 offen
	buffer_load_dwordx4 v[34:37], v83, s[28:31], 0 offen
	buffer_load_dwordx4 v[26:29], v83, s[28:31], s59 offen
	v_mov_b32_e32 v89, v62
	v_mov_b32_e32 v90, v61
.LBB610_40:                             ;   in Loop: Header=BB610_32 Depth=1
	s_waitcnt lgkmcnt(0)
	s_barrier
	ds_read_b64 v[100:101], v85
	ds_read2st64_b64 v[92:95], v76 offset1:1
	ds_read2st64_b64 v[96:99], v76 offset0:2 offset1:3
	ds_read_b64 v[102:103], v86
	ds_read_b64 v[104:105], v87
	ds_read_b64 v[106:107], v88
	s_waitcnt lgkmcnt(4)
	v_mfma_f32_16x16x16_bf16 a[0:3], v[100:101], v[92:93], 0
	ds_read_b64 v[100:101], v78 offset:8192
	ds_read_b64 v[108:109], v79 offset:8192
	s_add_i32 s25, s56, s62
	s_mul_hi_i32 s29, s25, s17
	s_waitcnt lgkmcnt(1)
	v_mfma_f32_16x16x16_bf16 a[4:7], v[100:101], v[92:93], 0
	s_mul_i32 s25, s25, s17
	s_add_u32 s28, s25, s49
	s_addc_u32 s29, s29, s51
	v_mfma_f32_16x16x16_bf16 a[0:3], v[102:103], v[94:95], a[0:3]
	ds_read_b64 v[100:101], v47
	ds_read_b64 v[102:103], v77
	ds_read_b64 v[92:93], v80 offset:8192
	s_lshl_b64 s[28:29], s[28:29], 15
	v_mfma_f32_16x16x16_bf16 a[0:3], v[104:105], v[96:97], a[0:3]
	ds_read_b64 v[104:105], v81 offset:8192
	s_and_b64 vcc, exec, s[0:1]
	s_waitcnt lgkmcnt(4)
	v_mfma_f32_16x16x16_bf16 a[4:7], v[108:109], v[94:95], a[4:7]
	s_waitcnt lgkmcnt(1)
	v_mfma_f32_16x16x16_bf16 a[4:7], v[92:93], v[96:97], a[4:7]
	v_lshl_add_u64 v[92:93], v[48:49], 0, s[28:29]
	global_store_dwordx4 v[92:93], v[100:103], off
	v_mfma_f32_16x16x16_bf16 a[0:3], v[106:107], v[98:99], a[0:3]
	s_waitcnt lgkmcnt(0)
	v_mfma_f32_16x16x16_bf16 a[4:7], v[104:105], v[98:99], a[4:7]
	s_cbranch_vccnz .LBB610_42
; %bb.41:                               ;   in Loop: Header=BB610_32 Depth=1
	v_lshrrev_b32_e32 v91, 3, v89
	v_and_b32_e32 v91, 6, v91
	v_xor_b32_e32 v90, v91, v90
	v_lshlrev_b32_e32 v90, 2, v90
	v_and_b32_e32 v89, 8, v89
	v_xor_b32_e32 v92, 0x440, v90
	v_cmp_eq_u32_e32 vcc, 0, v89
	s_barrier
	s_nop 0
	v_cndmask_b32_e32 v89, v92, v90, vcc
	v_lshl_or_b32 v89, v91, 10, v89
	s_waitcnt vmcnt(2)
	v_perm_b32 v90, v38, v34, s60
	s_waitcnt vmcnt(1)
	v_perm_b32 v91, v30, v26, s60
	ds_write2st64_b32 v89, v90, v91 offset1:32
	v_xor_b32_e32 v90, 8, v89
	v_perm_b32 v34, v38, v34, s61
	v_perm_b32 v26, v30, v26, s61
	v_add_u32_e32 v30, 0x80, v90
	ds_write2st64_b32 v30, v34, v26 offset1:32
	v_xor_b32_e32 v26, 16, v89
	v_perm_b32 v30, v39, v35, s60
	v_perm_b32 v34, v31, v27, s60
	ds_write2st64_b32 v26, v30, v34 offset0:1 offset1:33
	v_xor_b32_e32 v26, 24, v89
	v_perm_b32 v30, v39, v35, s61
	v_perm_b32 v27, v31, v27, s61
	v_add_u32_e32 v26, 0x80, v26
	ds_write2st64_b32 v26, v30, v27 offset0:1 offset1:33
	v_xor_b32_e32 v26, 32, v89
	v_perm_b32 v27, v40, v36, s60
	v_perm_b32 v30, v32, v28, s60
	ds_write2st64_b32 v26, v27, v30 offset0:2 offset1:34
	v_xor_b32_e32 v26, 40, v89
	v_perm_b32 v27, v40, v36, s61
	v_perm_b32 v28, v32, v28, s61
	v_add_u32_e32 v26, 0x80, v26
	ds_write2st64_b32 v26, v27, v28 offset0:2 offset1:34
	;; [unrolled: 9-line block ×3, first 2 shown]
	ds_write_b64 v9, v[22:23] offset:16384
	v_xor_b32_e32 v22, 8, v9
	ds_write_b64 v22, v[24:25] offset:16384
	ds_write_b64 v9, v[18:19] offset:24576
	ds_write_b64 v22, v[20:21] offset:24576
	ds_write_b64 v5, v[14:15] offset:16384
	v_xor_b32_e32 v9, 8, v5
	ds_write_b64 v9, v[16:17] offset:16384
	ds_write_b64 v5, v[10:11] offset:24576
	;; [unrolled: 1-line block ×3, first 2 shown]
.LBB610_42:                             ;   in Loop: Header=BB610_32 Depth=1
	v_mul_f32_e32 v5, s24, v84
	v_exp_f32_e32 v10, v5
	s_nop 1
	v_accvgpr_read_b32 v9, a1
	v_accvgpr_read_b32 v5, a0
	s_add_i32 s57, s57, 64
	v_fma_f32 v3, v3, v10, v9
	v_accvgpr_read_b32 v9, a4
	v_fma_f32 v6, v6, v10, v9
	v_accvgpr_read_b32 v9, a5
	;; [unrolled: 2-line block ×6, first 2 shown]
	v_fmac_f32_e32 v5, v59, v10
	s_cmp_eq_u32 s50, s39
	v_fmac_f32_e32 v9, v60, v10
	s_cbranch_scc1 .LBB610_4
; %bb.43:                               ;   in Loop: Header=BB610_32 Depth=1
	s_mov_b32 s62, s39
	v_mov_b32_e32 v59, v5
	v_mov_b32_e32 v60, v9
	s_branch .LBB610_32
.LBB610_44:
                                        ; implicit-def: $vgpr13
                                        ; implicit-def: $vgpr17
                                        ; implicit-def: $vgpr21
                                        ; implicit-def: $vgpr25
	s_cbranch_execz .LBB610_46
; %bb.45:
	s_waitcnt vmcnt(0)
	v_mad_u64_u32 v[10:11], s[0:1], v27, s19, v[26:27]
	v_lshlrev_b32_e32 v27, 1, v10
	s_lshl_b32 s2, s19, 7
	s_and_b32 s1, s5, 0xffff
	s_mov_b32 s3, 0x20000
	s_mov_b32 s0, s4
	v_add_lshl_u32 v28, v10, s19, 1
	s_movk_i32 s17, 0x80
	buffer_load_dwordx4 v[10:13], v27, s[0:3], 0 offen
	buffer_load_dwordx4 v[18:21], v27, s[0:3], s17 offen
	;; [unrolled: 1-line block ×4, first 2 shown]
.LBB610_46:
	v_lshrrev_b32_e32 v45, 2, v45
	s_cbranch_execnz .LBB610_59
.LBB610_47:
	s_and_b64 vcc, exec, s[6:7]
	s_cbranch_vccz .LBB610_57
; %bb.48:
	s_waitcnt vmcnt(0)
	v_lshlrev_b32_e32 v15, 1, v47
	v_cmp_gt_i32_e32 vcc, s30, v15
	v_mov_b32_e32 v14, 0
	v_lshlrev_b32_e32 v22, 9, v47
	v_mov_b32_e32 v10, 0
	v_mov_b32_e32 v11, 0
	;; [unrolled: 1-line block ×4, first 2 shown]
	s_and_saveexec_b64 s[0:1], vcc
	s_cbranch_execz .LBB610_50
; %bb.49:
	v_mov_b32_e32 v23, 0
	v_lshl_add_u64 v[10:11], s[4:5], 0, v[22:23]
	v_lshlrev_b32_e32 v12, 1, v26
	v_mov_b32_e32 v13, v23
	v_lshl_add_u64 v[10:11], v[10:11], 0, v[12:13]
	global_load_dwordx4 v[10:13], v[10:11], off
.LBB610_50:
	s_or_b64 exec, exec, s[0:1]
	v_or_b32_e32 v15, 1, v15
	v_cmp_gt_i32_e64 s[0:1], s30, v15
	v_lshlrev_b32_e32 v28, 8, v15
	v_mov_b32_e32 v15, 0
	v_mov_b32_e32 v16, 0
	;; [unrolled: 1-line block ×3, first 2 shown]
	s_and_saveexec_b64 s[2:3], s[0:1]
	s_cbranch_execz .LBB610_52
; %bb.51:
	v_mov_b32_e32 v29, 0
	v_lshl_add_u64 v[14:15], s[4:5], 0, v[28:29]
	v_lshlrev_b32_e32 v16, 1, v26
	v_mov_b32_e32 v17, v29
	v_lshl_add_u64 v[14:15], v[14:15], 0, v[16:17]
	global_load_dwordx4 v[14:17], v[14:15], off
.LBB610_52:
	s_or_b64 exec, exec, s[2:3]
	v_mov_b32_e32 v25, 0
	v_mov_b32_e32 v18, 0
	;; [unrolled: 1-line block ×5, first 2 shown]
	s_and_saveexec_b64 s[2:3], vcc
	s_cbranch_execz .LBB610_54
; %bb.53:
	v_mov_b32_e32 v23, 0
	v_lshl_add_u64 v[18:19], s[4:5], 0, v[22:23]
	v_lshlrev_b32_e32 v22, 1, v26
	v_lshl_add_u64 v[18:19], v[18:19], 0, v[22:23]
	global_load_dwordx4 v[18:21], v[18:19], off offset:128
.LBB610_54:
	s_or_b64 exec, exec, s[2:3]
	v_mov_b32_e32 v24, 0
	v_mov_b32_e32 v23, 0
	;; [unrolled: 1-line block ×3, first 2 shown]
	s_and_saveexec_b64 s[2:3], s[0:1]
	s_cbranch_execz .LBB610_56
; %bb.55:
	v_mov_b32_e32 v29, 0
	v_lshl_add_u64 v[22:23], s[4:5], 0, v[28:29]
	v_lshlrev_b32_e32 v28, 1, v26
	v_lshl_add_u64 v[22:23], v[22:23], 0, v[28:29]
	global_load_dwordx4 v[22:25], v[22:23], off offset:128
.LBB610_56:
	s_or_b64 exec, exec, s[2:3]
	s_branch .LBB610_59
.LBB610_57:
                                        ; implicit-def: $vgpr13
                                        ; implicit-def: $vgpr17
                                        ; implicit-def: $vgpr21
                                        ; implicit-def: $vgpr25
	s_cbranch_execz .LBB610_59
; %bb.58:
	s_waitcnt vmcnt(0)
	v_lshlrev_b32_e32 v10, 1, v26
	v_lshl_or_b32 v26, v47, 9, v10
	s_and_b32 s5, s5, 0xffff
	s_mov_b32 s7, 0x20000
	s_movk_i32 s6, 0x4000
	s_movk_i32 s0, 0x80
	buffer_load_dwordx4 v[10:13], v26, s[4:7], 0 offen
	buffer_load_dwordx4 v[14:17], v26, s[4:7], 0 offen offset:256
	buffer_load_dwordx4 v[18:21], v26, s[4:7], s0 offen
	buffer_load_dwordx4 v[22:25], v26, s[4:7], s0 offen offset:256
.LBB610_59:
	ds_read2st64_b64 v[30:33], v50 offset0:76 offset1:77
	ds_read2st64_b64 v[26:29], v50 offset0:78 offset1:79
	ds_read_b64 v[38:39], v34 offset:24576
	ds_read_b64 v[40:41], v35 offset:24576
	;; [unrolled: 1-line block ×4, first 2 shown]
	v_and_b32_e32 v51, 6, v0
	v_xor_b32_e32 v47, v47, v51
	v_lshlrev_b32_e32 v47, 2, v47
	v_and_b32_e32 v53, 1, v0
	v_xor_b32_e32 v54, 0x440, v47
	v_cmp_eq_u32_e32 vcc, 0, v53
	s_mov_b32 s0, 0x1000504
	s_waitcnt vmcnt(0)
	v_perm_b32 v53, v18, v22, s0
	v_cndmask_b32_e32 v47, v54, v47, vcc
	v_lshl_or_b32 v47, v51, 10, v47
	v_perm_b32 v51, v10, v14, s0
	ds_write2st64_b32 v47, v51, v53 offset1:32
	v_xor_b32_e32 v51, 8, v47
	s_mov_b32 s1, 0x3020706
	v_perm_b32 v10, v10, v14, s1
	v_perm_b32 v14, v18, v22, s1
	v_add_u32_e32 v18, 0x80, v51
	ds_write2st64_b32 v18, v10, v14 offset1:32
	v_xor_b32_e32 v10, 16, v47
	v_perm_b32 v14, v11, v15, s0
	v_perm_b32 v18, v19, v23, s0
	ds_write2st64_b32 v10, v14, v18 offset0:1 offset1:33
	v_xor_b32_e32 v10, 24, v47
	v_perm_b32 v11, v11, v15, s1
	v_perm_b32 v14, v19, v23, s1
	v_add_u32_e32 v10, 0x80, v10
	ds_write2st64_b32 v10, v11, v14 offset0:1 offset1:33
	v_xor_b32_e32 v10, 32, v47
	v_perm_b32 v11, v12, v16, s0
	v_perm_b32 v14, v20, v24, s0
	ds_write2st64_b32 v10, v11, v14 offset0:2 offset1:34
	v_xor_b32_e32 v10, 40, v47
	v_perm_b32 v11, v12, v16, s1
	v_perm_b32 v12, v20, v24, s1
	v_add_u32_e32 v10, 0x80, v10
	ds_write2st64_b32 v10, v11, v12 offset0:2 offset1:34
	v_xor_b32_e32 v10, 48, v47
	v_perm_b32 v11, v13, v17, s0
	v_perm_b32 v12, v21, v25, s0
	ds_write2st64_b32 v10, v11, v12 offset0:3 offset1:35
	v_xor_b32_e32 v10, 56, v47
	v_and_or_b32 v16, v45, 12, v52
	v_perm_b32 v11, v13, v17, s1
	v_perm_b32 v12, v21, v25, s1
	v_add_u32_e32 v10, 0x80, v10
	v_cmp_gt_i32_e32 vcc, s30, v16
	v_mov_b32_e32 v17, 0
	v_mov_b32_e32 v21, 0
	ds_write2st64_b32 v10, v11, v12 offset0:3 offset1:35
	s_and_saveexec_b64 s[0:1], vcc
	s_cbranch_execz .LBB610_61
; %bb.60:
	v_add_u32_e32 v10, s31, v16
	v_ashrrev_i32_e32 v11, 31, v10
	v_mul_lo_u32 v12, v11, s34
	v_mul_lo_u32 v13, v10, s35
	v_mad_u64_u32 v[10:11], s[2:3], v10, s34, 0
	v_add3_u32 v11, v11, v13, v12
	v_lshl_add_u64 v[10:11], v[10:11], 2, s[10:11]
	global_load_dword v10, v[10:11], off
	s_waitcnt vmcnt(0)
	v_sub_f32_e32 v10, s16, v10
	v_mul_f32_e32 v10, 0x3fb8aa3b, v10
	v_exp_f32_e32 v21, v10
.LBB610_61:
	s_or_b64 exec, exec, s[0:1]
	v_or_b32_e32 v19, 1, v16
	v_cmp_gt_i32_e64 s[0:1], s30, v19
	s_and_saveexec_b64 s[2:3], s[0:1]
	s_cbranch_execz .LBB610_63
; %bb.62:
	v_add_u32_e32 v10, s31, v19
	v_ashrrev_i32_e32 v11, 31, v10
	v_mul_lo_u32 v12, v11, s34
	v_mul_lo_u32 v13, v10, s35
	v_mad_u64_u32 v[10:11], s[4:5], v10, s34, 0
	v_add3_u32 v11, v11, v13, v12
	v_lshl_add_u64 v[10:11], v[10:11], 2, s[10:11]
	global_load_dword v10, v[10:11], off
	s_waitcnt vmcnt(0)
	v_sub_f32_e32 v10, s16, v10
	v_mul_f32_e32 v10, 0x3fb8aa3b, v10
	v_exp_f32_e32 v17, v10
.LBB610_63:
	s_or_b64 exec, exec, s[2:3]
	v_or_b32_e32 v20, 2, v16
	v_cmp_gt_i32_e64 s[2:3], s30, v20
	v_mov_b32_e32 v18, 0
	v_mov_b32_e32 v23, 0
	s_and_saveexec_b64 s[4:5], s[2:3]
	s_cbranch_execz .LBB610_65
; %bb.64:
	v_add_u32_e32 v10, s31, v20
	v_ashrrev_i32_e32 v11, 31, v10
	v_mul_lo_u32 v12, v11, s34
	v_mul_lo_u32 v13, v10, s35
	v_mad_u64_u32 v[10:11], s[6:7], v10, s34, 0
	v_add3_u32 v11, v11, v13, v12
	v_lshl_add_u64 v[10:11], v[10:11], 2, s[10:11]
	global_load_dword v10, v[10:11], off
	s_waitcnt vmcnt(0)
	v_sub_f32_e32 v10, s16, v10
	v_mul_f32_e32 v10, 0x3fb8aa3b, v10
	v_exp_f32_e32 v23, v10
.LBB610_65:
	s_or_b64 exec, exec, s[4:5]
	v_or_b32_e32 v22, 3, v16
	v_cmp_gt_i32_e64 s[4:5], s30, v22
	s_and_saveexec_b64 s[6:7], s[4:5]
	s_cbranch_execz .LBB610_67
; %bb.66:
	v_add_u32_e32 v10, s31, v22
	v_ashrrev_i32_e32 v11, 31, v10
	v_mul_lo_u32 v12, v11, s34
	v_mul_lo_u32 v13, v10, s35
	v_mad_u64_u32 v[10:11], s[18:19], v10, s34, 0
	v_add3_u32 v11, v11, v13, v12
	v_lshl_add_u64 v[10:11], v[10:11], 2, s[10:11]
	global_load_dword v10, v[10:11], off
	s_waitcnt vmcnt(0)
	v_sub_f32_e32 v10, s16, v10
	v_mul_f32_e32 v10, 0x3fb8aa3b, v10
	v_exp_f32_e32 v18, v10
.LBB610_67:
	s_or_b64 exec, exec, s[6:7]
	s_waitcnt lgkmcnt(11)
	v_mfma_f32_16x16x16_bf16 a[0:3], v[38:39], v[30:31], a[0:3]
	s_add_u32 s6, s8, s24
	v_ashrrev_i32_e32 v47, 31, v46
	s_addc_u32 s7, s9, s25
	s_waitcnt lgkmcnt(10)
	v_mfma_f32_16x16x16_bf16 a[0:3], v[40:41], v[32:33], a[0:3]
	v_mov_b32_e32 v24, 0
	v_lshl_add_u64 v[14:15], v[46:47], 1, s[6:7]
	v_mov_b32_e32 v25, 0
	s_waitcnt lgkmcnt(9)
	v_mfma_f32_16x16x16_bf16 a[0:3], v[36:37], v[26:27], a[0:3]
	s_waitcnt lgkmcnt(8)
	v_mfma_f32_16x16x16_bf16 a[0:3], v[34:35], v[28:29], a[0:3]
	s_nop 6
	v_accvgpr_read_b32 v13, a3
	v_accvgpr_read_b32 v12, a2
	;; [unrolled: 1-line block ×4, first 2 shown]
	s_and_saveexec_b64 s[6:7], vcc
	s_cbranch_execz .LBB610_69
; %bb.68:
	v_lshlrev_b32_e32 v26, 8, v16
	v_mov_b32_e32 v27, 0
	v_lshl_add_u64 v[26:27], v[14:15], 0, v[26:27]
	global_load_ushort v25, v[26:27], off
	s_waitcnt vmcnt(0)
	v_lshlrev_b32_e32 v25, 16, v25
	v_sub_f32_e32 v10, v25, v10
	v_mul_f32_e32 v10, v21, v10
	v_lshrrev_b32_e32 v25, 16, v10
.LBB610_69:
	s_or_b64 exec, exec, s[6:7]
	s_and_saveexec_b64 s[6:7], s[0:1]
	s_cbranch_execz .LBB610_71
; %bb.70:
	v_lshlrev_b32_e32 v26, 8, v19
	v_mov_b32_e32 v27, 0
	v_lshl_add_u64 v[26:27], v[14:15], 0, v[26:27]
	global_load_ushort v10, v[26:27], off
	s_waitcnt vmcnt(0)
	v_lshlrev_b32_e32 v10, 16, v10
	v_sub_f32_e32 v10, v10, v11
	v_mul_f32_e32 v10, v17, v10
	v_lshrrev_b32_e32 v24, 16, v10
.LBB610_71:
	s_or_b64 exec, exec, s[6:7]
	v_mov_b32_e32 v11, 0
	v_mov_b32_e32 v17, 0
	s_and_saveexec_b64 s[0:1], s[2:3]
	s_cbranch_execz .LBB610_73
; %bb.72:
	v_lshlrev_b32_e32 v20, 8, v20
	v_mov_b32_e32 v21, 0
	v_lshl_add_u64 v[20:21], v[14:15], 0, v[20:21]
	global_load_ushort v10, v[20:21], off
	s_waitcnt vmcnt(0)
	v_lshlrev_b32_e32 v10, 16, v10
	v_sub_f32_e32 v10, v10, v12
	v_mul_f32_e32 v10, v23, v10
	v_lshrrev_b32_e32 v17, 16, v10
.LBB610_73:
	s_or_b64 exec, exec, s[0:1]
	v_or_b32_e32 v10, 0x9800, v50
	s_and_saveexec_b64 s[0:1], s[4:5]
	s_cbranch_execz .LBB610_75
; %bb.74:
	v_lshlrev_b32_e32 v20, 8, v22
	v_mov_b32_e32 v21, 0
	v_lshl_add_u64 v[14:15], v[14:15], 0, v[20:21]
	global_load_ushort v11, v[14:15], off
	s_waitcnt vmcnt(0)
	v_lshlrev_b32_e32 v11, 16, v11
	v_sub_f32_e32 v11, v11, v13
	v_mul_f32_e32 v11, v18, v11
	v_lshrrev_b32_e32 v11, 16, v11
.LBB610_75:
	s_or_b64 exec, exec, s[0:1]
	s_mov_b32 s0, 0x5040100
	v_perm_b32 v13, v11, v17, s0
	v_lshlrev_b32_e32 v11, 1, v48
	v_perm_b32 v12, v24, v25, s0
	v_lshl_or_b32 v11, v16, 5, v11
	s_movk_i32 s0, 0xff
	ds_write_b64 v11, v[12:13] offset:38912
	v_and_b32_e32 v11, 7, v0
	v_and_b32_e32 v12, 8, v0
	v_cmp_lt_u32_e32 vcc, s0, v0
	v_lshrrev_b32_e32 v0, 1, v0
	v_lshlrev_b32_e32 v22, 3, v1
	v_and_b32_e32 v23, 24, v0
	v_xor_b32_e32 v0, v22, v23
	v_cndmask_b32_e64 v13, 0, 1, vcc
	v_or_b32_e32 v1, 0x440, v0
	v_cmp_eq_u32_e32 vcc, 0, v12
	v_lshlrev_b32_e32 v20, 3, v11
	v_lshlrev_b32_e32 v11, 7, v11
	v_cndmask_b32_e32 v0, v1, v0, vcc
	v_or_b32_e32 v0, v0, v49
	v_lshlrev_b32_e32 v21, 13, v13
	v_xad_u32 v24, v0, v20, v11
	v_add_u32_e32 v0, v21, v24
	s_waitcnt lgkmcnt(0)
	s_barrier
	ds_read_b64 v[0:1], v0
	ds_read2st64_b64 v[12:15], v10 offset1:1
	ds_read2st64_b64 v[16:19], v10 offset0:2 offset1:3
	s_waitcnt lgkmcnt(1)
	v_mfma_f32_16x16x16_bf16 a[0:3], v[0:1], v[12:13], 0
	v_or_b32_e32 v0, 32, v23
	v_xor_b32_e32 v0, v22, v0
	v_or_b32_e32 v1, 0x440, v0
	v_cndmask_b32_e32 v0, v1, v0, vcc
	v_or_b32_e32 v0, v0, v49
	v_xad_u32 v25, v0, v20, v11
	v_add_u32_e32 v0, v21, v25
	ds_read_b64 v[0:1], v0
	v_or_b32_e32 v10, 0x60, v23
	s_waitcnt lgkmcnt(0)
	v_mfma_f32_16x16x16_bf16 a[0:3], v[0:1], v[14:15], a[0:3]
	v_or_b32_e32 v0, 64, v23
	v_xor_b32_e32 v0, v22, v0
	v_xor_b32_e32 v1, 0x440, v0
	v_cndmask_b32_e32 v0, v1, v0, vcc
	v_or_b32_e32 v0, v0, v49
	v_xad_u32 v26, v0, v20, v11
	v_add_u32_e32 v0, v21, v26
	ds_read_b64 v[0:1], v0
	v_xor_b32_e32 v10, v22, v10
	v_xor_b32_e32 v22, 0x440, v10
	v_cndmask_b32_e32 v10, v22, v10, vcc
	v_or_b32_e32 v10, v10, v49
	v_xad_u32 v22, v10, v20, v11
	v_add_u32_e32 v10, v21, v22
	ds_read_b64 v[10:11], v10
	s_waitcnt lgkmcnt(1)
	v_mfma_f32_16x16x16_bf16 a[0:3], v[0:1], v[16:17], a[0:3]
	ds_read_b64 v[0:1], v24 offset:8192
	ds_read_b64 v[20:21], v25 offset:8192
	v_mov_b32_e32 v23, 0x3fb8aa3b
	s_waitcnt lgkmcnt(2)
	v_mfma_f32_16x16x16_bf16 a[0:3], v[10:11], v[18:19], a[0:3]
	v_mul_f32_e32 v10, s16, v23
	v_exp_f32_e32 v23, v10
	ds_read_b64 v[10:11], v26 offset:8192
	s_waitcnt lgkmcnt(2)
	v_mfma_f32_16x16x16_bf16 a[4:7], v[0:1], v[12:13], 0
	ds_read_b64 v[12:13], v22 offset:8192
	s_nop 0
	v_accvgpr_read_b32 v0, a0
	v_accvgpr_read_b32 v1, a1
	s_waitcnt lgkmcnt(2)
	v_mfma_f32_16x16x16_bf16 a[4:7], v[20:21], v[14:15], a[4:7]
	v_fma_f32 v0, v2, v23, v0
	v_fma_f32 v1, v3, v23, v1
	v_accvgpr_read_b32 v2, a2
	s_waitcnt lgkmcnt(1)
	v_mfma_f32_16x16x16_bf16 a[4:7], v[10:11], v[16:17], a[4:7]
	v_accvgpr_read_b32 v3, a3
	v_fma_f32 v2, v4, v23, v2
	v_fmac_f32_e32 v3, v5, v23
	s_waitcnt lgkmcnt(0)
	v_mfma_f32_16x16x16_bf16 a[0:3], v[12:13], v[18:19], a[4:7]
	s_nop 6
	v_accvgpr_read_b32 v4, a0
	v_accvgpr_read_b32 v5, a1
	v_fma_f32 v4, v6, v23, v4
	v_fma_f32 v5, v7, v23, v5
	v_accvgpr_read_b32 v6, a2
	v_accvgpr_read_b32 v7, a3
	v_fma_f32 v6, v8, v23, v6
	v_fmac_f32_e32 v7, v9, v23
	v_mov_b64_e32 v[8:9], v[6:7]
	v_mov_b64_e32 v[6:7], v[4:5]
	;; [unrolled: 1-line block ×4, first 2 shown]
.LBB610_76:
	s_add_u32 s0, s12, s14
	s_addc_u32 s1, s13, s15
	v_lshl_add_u64 v[0:1], v[42:43], 1, s[0:1]
	v_mov_b32_e32 v45, 0
	s_mov_b32 s0, 0x7060302
	v_lshl_add_u64 v[0:1], v[0:1], 0, v[44:45]
	v_perm_b32 v5, v5, v4, s0
	v_perm_b32 v4, v3, v2, s0
	;; [unrolled: 1-line block ×4, first 2 shown]
	global_store_dwordx2 v[0:1], v[4:5], off
	global_store_dwordx2 v[0:1], v[2:3], off offset:128
	s_endpgm
	.section	.rodata,"a",@progbits
	.p2align	6, 0x0
	.amdhsa_kernel _ZN12_GLOBAL__N_139chunk_gated_delta_rule_fwd_h_hip_kernelILi16ELb1ELb1ELb0ELb1ELb0ELb0ELb1ELb1EEEvPK12hip_bfloat16S3_S3_PKfS5_PKvPS1_S8_PvPKiSB_iiiiilll
		.amdhsa_group_segment_fixed_size 40960
		.amdhsa_private_segment_fixed_size 0
		.amdhsa_kernarg_size 136
		.amdhsa_user_sgpr_count 2
		.amdhsa_user_sgpr_dispatch_ptr 0
		.amdhsa_user_sgpr_queue_ptr 0
		.amdhsa_user_sgpr_kernarg_segment_ptr 1
		.amdhsa_user_sgpr_dispatch_id 0
		.amdhsa_user_sgpr_kernarg_preload_length 0
		.amdhsa_user_sgpr_kernarg_preload_offset 0
		.amdhsa_user_sgpr_private_segment_size 0
		.amdhsa_uses_dynamic_stack 0
		.amdhsa_enable_private_segment 0
		.amdhsa_system_sgpr_workgroup_id_x 1
		.amdhsa_system_sgpr_workgroup_id_y 1
		.amdhsa_system_sgpr_workgroup_id_z 0
		.amdhsa_system_sgpr_workgroup_info 0
		.amdhsa_system_vgpr_workitem_id 0
		.amdhsa_next_free_vgpr 120
		.amdhsa_next_free_sgpr 63
		.amdhsa_accum_offset 112
		.amdhsa_reserve_vcc 1
		.amdhsa_float_round_mode_32 0
		.amdhsa_float_round_mode_16_64 0
		.amdhsa_float_denorm_mode_32 3
		.amdhsa_float_denorm_mode_16_64 3
		.amdhsa_dx10_clamp 1
		.amdhsa_ieee_mode 1
		.amdhsa_fp16_overflow 0
		.amdhsa_tg_split 0
		.amdhsa_exception_fp_ieee_invalid_op 0
		.amdhsa_exception_fp_denorm_src 0
		.amdhsa_exception_fp_ieee_div_zero 0
		.amdhsa_exception_fp_ieee_overflow 0
		.amdhsa_exception_fp_ieee_underflow 0
		.amdhsa_exception_fp_ieee_inexact 0
		.amdhsa_exception_int_div_zero 0
	.end_amdhsa_kernel
	.section	.text._ZN12_GLOBAL__N_139chunk_gated_delta_rule_fwd_h_hip_kernelILi16ELb1ELb1ELb0ELb1ELb0ELb0ELb1ELb1EEEvPK12hip_bfloat16S3_S3_PKfS5_PKvPS1_S8_PvPKiSB_iiiiilll,"axG",@progbits,_ZN12_GLOBAL__N_139chunk_gated_delta_rule_fwd_h_hip_kernelILi16ELb1ELb1ELb0ELb1ELb0ELb0ELb1ELb1EEEvPK12hip_bfloat16S3_S3_PKfS5_PKvPS1_S8_PvPKiSB_iiiiilll,comdat
.Lfunc_end610:
	.size	_ZN12_GLOBAL__N_139chunk_gated_delta_rule_fwd_h_hip_kernelILi16ELb1ELb1ELb0ELb1ELb0ELb0ELb1ELb1EEEvPK12hip_bfloat16S3_S3_PKfS5_PKvPS1_S8_PvPKiSB_iiiiilll, .Lfunc_end610-_ZN12_GLOBAL__N_139chunk_gated_delta_rule_fwd_h_hip_kernelILi16ELb1ELb1ELb0ELb1ELb0ELb0ELb1ELb1EEEvPK12hip_bfloat16S3_S3_PKfS5_PKvPS1_S8_PvPKiSB_iiiiilll
                                        ; -- End function
	.section	.AMDGPU.csdata,"",@progbits
; Kernel info:
; codeLenInByte = 7752
; NumSgprs: 69
; NumVgprs: 110
; NumAgprs: 8
; TotalNumVgprs: 120
; ScratchSize: 0
; MemoryBound: 0
; FloatMode: 240
; IeeeMode: 1
; LDSByteSize: 40960 bytes/workgroup (compile time only)
; SGPRBlocks: 8
; VGPRBlocks: 14
; NumSGPRsForWavesPerEU: 69
; NumVGPRsForWavesPerEU: 120
; AccumOffset: 112
; Occupancy: 1
; WaveLimiterHint : 1
; COMPUTE_PGM_RSRC2:SCRATCH_EN: 0
; COMPUTE_PGM_RSRC2:USER_SGPR: 2
; COMPUTE_PGM_RSRC2:TRAP_HANDLER: 0
; COMPUTE_PGM_RSRC2:TGID_X_EN: 1
; COMPUTE_PGM_RSRC2:TGID_Y_EN: 1
; COMPUTE_PGM_RSRC2:TGID_Z_EN: 0
; COMPUTE_PGM_RSRC2:TIDIG_COMP_CNT: 0
; COMPUTE_PGM_RSRC3_GFX90A:ACCUM_OFFSET: 27
; COMPUTE_PGM_RSRC3_GFX90A:TG_SPLIT: 0
	.section	.text._ZN12_GLOBAL__N_139chunk_gated_delta_rule_fwd_h_hip_kernelILi16ELb1ELb0ELb1ELb1ELb0ELb0ELb1ELb1EEEvPK12hip_bfloat16S3_S3_PKfS5_PKvPS1_S8_PvPKiSB_iiiiilll,"axG",@progbits,_ZN12_GLOBAL__N_139chunk_gated_delta_rule_fwd_h_hip_kernelILi16ELb1ELb0ELb1ELb1ELb0ELb0ELb1ELb1EEEvPK12hip_bfloat16S3_S3_PKfS5_PKvPS1_S8_PvPKiSB_iiiiilll,comdat
	.globl	_ZN12_GLOBAL__N_139chunk_gated_delta_rule_fwd_h_hip_kernelILi16ELb1ELb0ELb1ELb1ELb0ELb0ELb1ELb1EEEvPK12hip_bfloat16S3_S3_PKfS5_PKvPS1_S8_PvPKiSB_iiiiilll ; -- Begin function _ZN12_GLOBAL__N_139chunk_gated_delta_rule_fwd_h_hip_kernelILi16ELb1ELb0ELb1ELb1ELb0ELb0ELb1ELb1EEEvPK12hip_bfloat16S3_S3_PKfS5_PKvPS1_S8_PvPKiSB_iiiiilll
	.p2align	8
	.type	_ZN12_GLOBAL__N_139chunk_gated_delta_rule_fwd_h_hip_kernelILi16ELb1ELb0ELb1ELb1ELb0ELb0ELb1ELb1EEEvPK12hip_bfloat16S3_S3_PKfS5_PKvPS1_S8_PvPKiSB_iiiiilll,@function
_ZN12_GLOBAL__N_139chunk_gated_delta_rule_fwd_h_hip_kernelILi16ELb1ELb0ELb1ELb1ELb0ELb0ELb1ELb1EEEvPK12hip_bfloat16S3_S3_PKfS5_PKvPS1_S8_PvPKiSB_iiiiilll: ; @_ZN12_GLOBAL__N_139chunk_gated_delta_rule_fwd_h_hip_kernelILi16ELb1ELb0ELb1ELb1ELb0ELb0ELb1ELb1EEEvPK12hip_bfloat16S3_S3_PKfS5_PKvPS1_S8_PvPKiSB_iiiiilll
; %bb.0:
	s_load_dwordx4 s[12:15], s[0:1], 0x5c
	s_load_dwordx4 s[4:7], s[0:1], 0x48
	s_abs_i32 s9, s3
	s_ashr_i32 s8, s3, 31
	v_and_b32_e32 v45, 15, v0
	s_waitcnt lgkmcnt(0)
	s_abs_i32 s10, s13
	v_cvt_f32_u32_e32 v1, s10
	s_sub_i32 s16, 0, s10
	s_ashr_i32 s11, s13, 31
	s_xor_b32 s8, s8, s11
	v_rcp_iflag_f32_e32 v1, v1
	v_lshrrev_b32_e32 v43, 6, v0
	v_bfe_u32 v44, v0, 4, 2
	v_mov_b32_e32 v5, 0
	v_mul_f32_e32 v1, 0x4f7ffffe, v1
	v_cvt_u32_f32_e32 v1, v1
	v_and_b32_e32 v42, 63, v0
	v_lshlrev_b32_e32 v46, 3, v0
	v_lshrrev_b32_e32 v47, 3, v42
	v_readfirstlane_b32 s17, v1
	s_mul_i32 s16, s16, s17
	s_mul_hi_u32 s16, s17, s16
	s_add_i32 s17, s17, s16
	s_mul_hi_u32 s16, s9, s17
	s_mul_i32 s17, s16, s10
	s_sub_i32 s9, s9, s17
	s_add_i32 s18, s16, 1
	s_sub_i32 s17, s9, s10
	s_cmp_ge_u32 s9, s10
	s_cselect_b32 s16, s18, s16
	s_cselect_b32 s9, s17, s9
	s_add_i32 s17, s16, 1
	s_cmp_ge_u32 s9, s10
	s_cselect_b32 s9, s17, s16
	s_xor_b32 s9, s9, s8
	s_sub_i32 s20, s9, s8
	s_mul_i32 s24, s20, s13
	s_ashr_i32 s21, s20, 31
	s_sub_i32 s47, s3, s24
	s_lshl_b64 s[8:9], s[20:21], 2
	s_add_u32 s4, s4, s8
	s_addc_u32 s5, s5, s9
	s_add_u32 s22, s6, s8
	s_addc_u32 s23, s7, s9
	s_abs_i32 s3, s14
	v_cvt_f32_u32_e32 v1, s3
	s_load_dwordx2 s[34:35], s[4:5], 0x0
	s_sub_i32 s5, 0, s3
	s_lshl_b32 s2, s2, 4
	v_rcp_iflag_f32_e32 v1, v1
	s_load_dwordx4 s[16:19], s[0:1], 0x28
	s_load_dwordx2 s[28:29], s[0:1], 0x38
	s_waitcnt lgkmcnt(0)
	s_sub_i32 s50, s35, s34
	s_ashr_i32 s4, s50, 31
	v_mul_f32_e32 v1, 0x4f7ffffe, v1
	v_cvt_u32_f32_e32 v1, v1
	s_lshr_b32 s4, s4, 26
	s_add_i32 s4, s50, s4
	s_ashr_i32 s48, s4, 6
	v_readfirstlane_b32 s6, v1
	s_mul_i32 s5, s5, s6
	s_mul_hi_u32 s5, s6, s5
	s_add_i32 s6, s6, s5
	s_mul_hi_u32 s5, s10, s6
	s_mul_i32 s6, s5, s3
	s_ashr_i32 s4, s14, 31
	s_sub_i32 s6, s10, s6
	s_xor_b32 s4, s11, s4
	s_add_i32 s7, s5, 1
	s_sub_i32 s8, s6, s3
	s_cmp_ge_u32 s6, s3
	s_cselect_b32 s5, s7, s5
	s_cselect_b32 s6, s8, s6
	s_add_i32 s7, s5, 1
	s_cmp_ge_u32 s6, s3
	s_cselect_b32 s3, s7, s5
	s_xor_b32 s3, s3, s4
	s_sub_i32 s3, s3, s4
	s_abs_i32 s4, s3
	v_cvt_f32_u32_e32 v1, s4
	s_sub_i32 s6, 0, s4
	s_abs_i32 s5, s47
	s_xor_b32 s3, s47, s3
	v_rcp_iflag_f32_e32 v1, v1
	s_ashr_i32 s3, s3, 31
	v_or_b32_e32 v34, s2, v45
	v_lshlrev_b32_e32 v2, 7, v34
	v_mul_f32_e32 v1, 0x4f7ffffe, v1
	v_cvt_u32_f32_e32 v1, v1
	v_ashrrev_i32_e32 v3, 31, v2
	s_mul_hi_i32 s52, s47, s12
	s_mul_i32 s53, s47, s12
	v_readfirstlane_b32 s7, v1
	s_mul_i32 s6, s6, s7
	s_mul_hi_u32 s6, s7, s6
	s_add_i32 s7, s7, s6
	s_mul_hi_u32 s6, s5, s7
	s_mul_i32 s7, s6, s4
	s_sub_i32 s5, s5, s7
	s_add_i32 s7, s6, 1
	s_sub_i32 s8, s5, s4
	s_cmp_ge_u32 s5, s4
	s_cselect_b32 s6, s7, s6
	s_cselect_b32 s5, s8, s5
	s_add_i32 s7, s6, 1
	s_cmp_ge_u32 s5, s4
	s_cselect_b32 s4, s7, s6
	s_xor_b32 s4, s4, s3
	s_sub_i32 s51, s4, s3
	s_ashr_i32 s49, s47, 31
	s_mul_hi_i32 s3, s20, s13
	s_add_u32 s4, s24, s47
	s_addc_u32 s5, s3, s49
	s_lshl_b64 s[4:5], s[4:5], 15
	v_lshlrev_b32_e32 v1, 4, v43
	s_add_u32 s4, s16, s4
	v_lshl_or_b32 v48, v44, 2, v1
	s_addc_u32 s5, s17, s5
	v_lshl_add_u64 v[2:3], v[2:3], 1, s[4:5]
	v_lshlrev_b32_e32 v4, 1, v48
	v_lshl_add_u64 v[2:3], v[2:3], 0, v[4:5]
	global_load_dwordx2 v[4:5], v[2:3], off
	global_load_dwordx2 v[6:7], v[2:3], off offset:128
	s_load_dwordx8 s[4:11], s[0:1], 0x0
	s_load_dwordx2 s[30:31], s[0:1], 0x80
	s_load_dwordx4 s[24:27], s[0:1], 0x70
	s_load_dword s54, s[22:23], 0x0
	v_or_b32_e32 v49, 64, v48
	s_cmp_lt_i32 s50, 64
	s_waitcnt lgkmcnt(0)
	s_mul_i32 s33, s20, s25
	s_mul_hi_u32 s42, s20, s24
	s_mul_i32 s38, s20, s24
	s_mul_i32 s43, s21, s24
	;; [unrolled: 1-line block ×3, first 2 shown]
	s_mul_hi_u32 s45, s47, s26
	s_mul_i32 s46, s49, s26
	s_mul_i32 s36, s47, s26
	s_waitcnt vmcnt(1)
	v_and_b32_e32 v50, 0xffff0000, v4
	v_lshlrev_b32_e32 v52, 16, v4
	v_and_b32_e32 v56, 0xffff0000, v5
	v_lshlrev_b32_e32 v54, 16, v5
	s_waitcnt vmcnt(0)
	v_and_b32_e32 v51, 0xffff0000, v6
	v_lshlrev_b32_e32 v53, 16, v6
	v_and_b32_e32 v57, 0xffff0000, v7
	v_lshlrev_b32_e32 v55, 16, v7
	s_cbranch_scc1 .LBB611_3
; %bb.1:
	s_ashr_i32 s1, s34, 31
	s_add_u32 s0, s53, s34
	s_addc_u32 s1, s52, s1
	s_lshl_b64 s[0:1], s[0:1], 8
	v_and_b32_e32 v59, 56, v46
	s_add_u32 s20, s6, s0
	v_lshl_or_b32 v58, v43, 3, v47
	v_lshlrev_b32_e32 v2, 1, v59
	s_addc_u32 s0, s7, s1
	v_lshl_or_b32 v60, v58, 8, v2
	s_and_b32 s21, s0, 0xffff
	s_mov_b32 s23, 0x20000
	s_movk_i32 s22, 0x4000
	s_movk_i32 s0, 0x80
	v_or_b32_e32 v61, 0x2000, v60
	buffer_load_dwordx4 v[4:7], v60, s[20:23], 0 offen
	buffer_load_dwordx4 v[8:11], v60, s[20:23], s0 offen
	;; [unrolled: 1-line block ×4, first 2 shown]
	v_lshlrev_b32_e32 v3, 3, v58
	v_and_or_b32 v21, v0, 7, v3
	v_and_b32_e32 v3, 0x78, v3
	v_lshlrev_b32_e32 v21, 4, v21
	v_xor_b32_e32 v62, v21, v3
	v_mul_lo_u32 v20, v58, s15
	v_or_b32_e32 v63, 0x1000, v62
	v_xor_b32_e32 v3, 8, v62
	s_cmpk_eq_i32 s15, 0x80
	s_mov_b32 s55, s34
	v_xor_b32_e32 v21, 8, v63
	s_cselect_b64 s[0:1], -1, 0
	s_cmpk_lg_i32 s15, 0x80
	s_waitcnt vmcnt(3)
	ds_write_b64 v62, v[4:5] offset:16384
	ds_write_b64 v3, v[6:7] offset:16384
	s_waitcnt vmcnt(2)
	ds_write_b64 v62, v[8:9] offset:24576
	ds_write_b64 v3, v[10:11] offset:24576
	;; [unrolled: 3-line block ×4, first 2 shown]
	v_lshl_add_u32 v3, v20, 1, v59
	s_cbranch_scc0 .LBB611_29
; %bb.2:
	v_lshlrev_b32_e32 v5, 1, v3
	v_add_lshl_u32 v4, v3, s15, 1
	s_lshl_b32 s22, s15, 7
	v_lshl_or_b32 v2, v58, 9, v2
	s_cbranch_execz .LBB611_30
	s_branch .LBB611_31
.LBB611_3:
	v_mov_b32_e32 v2, v57
	v_mov_b32_e32 v3, v56
.LBB611_4:
	s_lshl_b32 s26, s48, 6
	s_sub_i32 s27, s50, s26
	s_cmp_gt_i32 s27, 0
	s_cbranch_scc0 .LBB611_76
; %bb.5:
	s_add_i32 s26, s26, s34
	s_ashr_i32 s3, s26, 31
	s_cmpk_lg_i32 s15, 0x80
	s_cselect_b64 s[22:23], -1, 0
	s_and_b64 vcc, exec, s[22:23]
	s_cbranch_vccz .LBB611_7
; %bb.6:
	s_mul_hi_i32 s0, s26, s14
	s_mul_i32 s1, s26, s14
	s_ashr_i32 s14, s51, 31
	s_add_u32 s24, s1, s51
	s_addc_u32 s25, s0, s14
	s_cbranch_execz .LBB611_8
	s_branch .LBB611_9
.LBB611_7:
                                        ; implicit-def: $sgpr24_sgpr25
.LBB611_8:
	s_mul_i32 s1, s51, s12
	s_mul_hi_i32 s0, s51, s12
	s_add_u32 s24, s1, s26
	s_addc_u32 s25, s0, s3
.LBB611_9:
	s_add_i32 s12, s48, s54
	s_add_u32 s0, s53, s26
	s_addc_u32 s1, s52, s3
	s_mov_b32 s3, 0x7060302
	v_lshlrev_b32_e32 v6, 3, v45
	v_perm_b32 v5, v3, v54, s3
	v_perm_b32 v4, v50, v52, s3
	;; [unrolled: 1-line block ×4, first 2 shown]
	v_lshlrev_b32_e32 v36, 2, v45
	v_lshl_or_b32 v6, v48, 5, v6
	s_lshl_b64 s[20:21], s[0:1], 8
	ds_write2st64_b64 v6, v[4:5], v[2:3] offset0:72 offset1:76
	v_xor_b32_e32 v6, v48, v36
	v_lshlrev_b32_e32 v7, 8, v45
	s_add_u32 s0, s6, s20
	v_lshl_or_b32 v6, v6, 1, v7
	s_addc_u32 s1, s7, s21
	ds_write_b64 v6, v[4:5] offset:32768
	v_xor_b32_e32 v4, v49, v36
	s_mul_hi_i32 s3, s12, s13
	s_mul_i32 s12, s12, s13
	v_lshl_or_b32 v4, v4, 1, v7
	s_add_u32 s6, s12, s47
	ds_write_b64 v4, v[2:3] offset:32768
	s_addc_u32 s7, s3, s49
	v_lshlrev_b32_e32 v3, 1, v45
	v_lshrrev_b32_e32 v2, 4, v0
	s_ashr_i32 s3, s2, 31
	s_lshl_b64 s[6:7], s[6:7], 15
	v_or_b32_e32 v4, 1, v3
	s_add_u32 s6, s18, s6
	v_xor_b32_e32 v3, v2, v3
	v_xor_b32_e32 v4, v4, v2
	v_lshlrev_b32_e32 v6, 8, v2
	s_addc_u32 s7, s19, s7
	s_lshl_b64 s[2:3], s[2:3], 8
	v_lshl_or_b32 v2, v3, 3, v6
	v_lshl_or_b32 v4, v4, 3, v6
	s_waitcnt lgkmcnt(0)
	s_barrier
	s_add_u32 s2, s6, s2
	ds_read_b64 v[2:3], v2 offset:32768
	ds_read_b64 v[4:5], v4 offset:32768
	s_addc_u32 s3, s7, s3
	v_mov_b32_e32 v7, 0
	s_cmp_lg_u32 s27, 64
	v_lshl_add_u64 v[8:9], s[2:3], 0, v[6:7]
	v_lshlrev_b32_e32 v6, 4, v45
	s_cselect_b64 s[6:7], -1, 0
	v_lshl_or_b32 v35, v43, 3, v47
	s_mov_b32 s16, 0
	v_lshl_add_u64 v[6:7], v[8:9], 0, v[6:7]
	s_waitcnt vmcnt(1)
	v_or_b32_e32 v19, 32, v35
	v_and_b32_e32 v18, 56, v46
	s_and_b64 vcc, exec, s[6:7]
	s_waitcnt lgkmcnt(0)
	global_store_dwordx4 v[6:7], v[2:5], off
	s_cbranch_vccz .LBB611_15
; %bb.10:
	s_mov_b32 s17, s16
	s_mov_b32 s18, s16
	;; [unrolled: 1-line block ×3, first 2 shown]
	v_mov_b64_e32 v[6:7], s[16:17]
	v_mov_b64_e32 v[8:9], s[18:19]
	;; [unrolled: 1-line block ×3, first 2 shown]
	v_cmp_gt_i32_e32 vcc, s27, v35
	v_mov_b64_e32 v[4:5], v[8:9]
	s_and_saveexec_b64 s[2:3], vcc
	s_cbranch_execz .LBB611_12
; %bb.11:
	v_lshlrev_b32_e32 v2, 8, v35
	v_mov_b32_e32 v3, 0
	v_lshl_add_u64 v[4:5], s[0:1], 0, v[2:3]
	v_lshlrev_b32_e32 v2, 1, v18
	v_lshl_add_u64 v[10:11], v[4:5], 0, v[2:3]
	global_load_dwordx4 v[6:9], v[10:11], off
	global_load_dwordx4 v[2:5], v[10:11], off offset:128
.LBB611_12:
	s_or_b64 exec, exec, s[2:3]
	s_mov_b32 s17, s16
	s_mov_b32 s18, s16
	;; [unrolled: 1-line block ×3, first 2 shown]
	v_mov_b64_e32 v[14:15], s[16:17]
	v_mov_b64_e32 v[16:17], s[18:19]
	;; [unrolled: 1-line block ×3, first 2 shown]
	v_cmp_gt_i32_e32 vcc, s27, v19
	v_lshlrev_b32_e32 v20, 7, v19
	v_mov_b64_e32 v[12:13], v[16:17]
	s_and_saveexec_b64 s[2:3], vcc
	s_cbranch_execz .LBB611_14
; %bb.13:
	v_lshlrev_b32_e32 v10, 1, v20
	v_mov_b32_e32 v11, 0
	v_lshl_add_u64 v[12:13], s[0:1], 0, v[10:11]
	v_lshlrev_b32_e32 v10, 1, v18
	v_lshl_add_u64 v[22:23], v[12:13], 0, v[10:11]
	global_load_dwordx4 v[14:17], v[22:23], off
	global_load_dwordx4 v[10:13], v[22:23], off offset:128
.LBB611_14:
	s_or_b64 exec, exec, s[2:3]
	v_lshrrev_b32_e32 v21, 3, v18
	v_lshlrev_b32_e32 v22, 3, v35
	v_or_b32_e32 v21, v22, v21
	v_lshlrev_b32_e32 v21, 4, v21
	v_and_b32_e32 v22, 0x78, v22
	v_xor_b32_e32 v21, v21, v22
	s_branch .LBB611_17
.LBB611_15:
                                        ; implicit-def: $vgpr21
                                        ; implicit-def: $vgpr20
                                        ; implicit-def: $vgpr6_vgpr7_vgpr8_vgpr9
                                        ; implicit-def: $vgpr2_vgpr3_vgpr4_vgpr5
                                        ; implicit-def: $vgpr14_vgpr15_vgpr16_vgpr17
                                        ; implicit-def: $vgpr10_vgpr11_vgpr12_vgpr13
	s_cbranch_execz .LBB611_17
; %bb.16:
	s_waitcnt vmcnt(0)
	v_lshlrev_b32_e32 v2, 1, v18
	v_lshl_or_b32 v20, v35, 8, v2
	s_and_b32 s1, s1, 0xffff
	s_mov_b32 s3, 0x20000
	s_movk_i32 s2, 0x4000
	v_lshl_or_b32 v21, v19, 8, v2
	s_movk_i32 s12, 0x80
	buffer_load_dwordx4 v[6:9], v20, s[0:3], 0 offen
	buffer_load_dwordx4 v[2:5], v20, s[0:3], s12 offen
	;; [unrolled: 1-line block ×4, first 2 shown]
	v_lshrrev_b32_e32 v20, 3, v18
	v_lshlrev_b32_e32 v21, 3, v35
	v_or_b32_e32 v20, v21, v20
	v_lshlrev_b32_e32 v20, 4, v20
	v_and_b32_e32 v21, 0x78, v21
	v_xor_b32_e32 v21, v20, v21
	v_lshlrev_b32_e32 v20, 7, v19
.LBB611_17:
	s_lshl_b64 s[0:1], s[24:25], 8
	s_add_u32 s4, s4, s0
	s_movk_i32 s0, 0x1000
	v_and_or_b32 v19, v20, s0, v21
	s_waitcnt vmcnt(1)
	ds_write_b64 v21, v[6:7] offset:16384
	v_xor_b32_e32 v6, 8, v21
	ds_write_b64 v6, v[8:9] offset:16384
	s_waitcnt vmcnt(0)
	ds_write_b64 v21, v[2:3] offset:24576
	ds_write_b64 v6, v[4:5] offset:24576
	;; [unrolled: 1-line block ×3, first 2 shown]
	v_xor_b32_e32 v2, 8, v19
	ds_write_b64 v2, v[16:17] offset:16384
	ds_write_b64 v19, v[10:11] offset:24576
	;; [unrolled: 1-line block ×3, first 2 shown]
	v_or_b32_e32 v2, v1, v45
	v_lshlrev_b32_e32 v2, 3, v2
	v_lshrrev_b32_e32 v4, 5, v42
	s_movk_i32 s12, 0xf8
	v_and_or_b32 v4, v2, s12, v4
	v_lshlrev_b32_e32 v3, 11, v43
	v_lshlrev_b32_e32 v12, 4, v4
	v_and_b32_e32 v13, 0x78, v2
	v_and_b32_e32 v14, 0x1000, v3
	v_lshlrev_b32_e32 v3, 2, v0
	v_xor_b32_e32 v2, v12, v13
	v_lshrrev_b32_e32 v4, 1, v42
	v_and_b32_e32 v3, 60, v3
	v_or_b32_e32 v2, v2, v14
	v_and_b32_e32 v15, 8, v4
	v_xor_b32_e32 v26, v2, v15
	v_lshl_or_b32 v2, v44, 6, v3
	v_lshlrev_b32_e32 v19, 1, v2
	v_or_b32_e32 v2, 32, v12
	v_xor_b32_e32 v2, v2, v13
	s_waitcnt lgkmcnt(0)
	s_barrier
	ds_read_b64 v[10:11], v26 offset:16384
	v_or_b32_e32 v2, v2, v14
	v_xor_b32_e32 v27, v2, v15
	v_or_b32_e32 v2, 64, v12
	v_xor_b32_e32 v2, v2, v13
	v_or_b32_e32 v2, v2, v14
	v_or_b32_e32 v12, 0x60, v12
	v_xor_b32_e32 v28, v2, v15
	ds_read2st64_b64 v[2:5], v19 offset0:72 offset1:73
	ds_read2st64_b64 v[6:9], v19 offset0:74 offset1:75
	v_xor_b32_e32 v16, v12, v13
	ds_read_b64 v[12:13], v27 offset:16384
	s_addc_u32 s5, s5, s1
	s_add_i32 s1, s42, s33
	s_waitcnt lgkmcnt(2)
	v_mfma_f32_16x16x16_bf16 a[0:3], v[10:11], v[2:3], 0
	s_add_i32 s0, s35, -1
	s_add_i32 s39, s1, s43
	s_add_i32 s1, s45, s44
	;; [unrolled: 1-line block ×3, first 2 shown]
	s_ashr_i32 s1, s0, 31
	s_mul_i32 s2, s0, s31
	s_mul_hi_u32 s3, s0, s30
	s_add_i32 s2, s3, s2
	s_mul_i32 s1, s1, s30
	v_or_b32_e32 v14, v16, v14
	s_add_i32 s1, s2, s1
	s_lshl_b64 s[2:3], s[38:39], 2
	v_xor_b32_e32 v37, v14, v15
	ds_read_b64 v[14:15], v28 offset:16384
	ds_read_b64 v[16:17], v37 offset:16384
	s_waitcnt lgkmcnt(2)
	v_mfma_f32_16x16x16_bf16 a[0:3], v[12:13], v[4:5], a[0:3]
	s_add_u32 s10, s10, s2
	s_addc_u32 s11, s11, s3
	s_lshl_b64 s[2:3], s[36:37], 2
	s_mul_i32 s0, s0, s30
	s_add_u32 s10, s10, s2
	s_addc_u32 s11, s11, s3
	s_lshl_b64 s[0:1], s[0:1], 2
	s_waitcnt lgkmcnt(1)
	v_mfma_f32_16x16x16_bf16 a[0:3], v[14:15], v[6:7], a[0:3]
	s_add_u32 s0, s10, s0
	s_addc_u32 s1, s11, s1
	s_load_dword s12, s[0:1], 0x0
	s_waitcnt lgkmcnt(0)
	v_mfma_f32_16x16x16_bf16 a[0:3], v[16:17], v[8:9], a[0:3]
	s_and_b64 vcc, exec, s[22:23]
	s_cbranch_vccz .LBB611_28
; %bb.18:
	v_lshlrev_b32_e32 v20, 1, v35
	s_and_b64 vcc, exec, s[6:7]
	s_cbranch_vccz .LBB611_44
; %bb.19:
	v_cmp_gt_i32_e32 vcc, s27, v20
	v_mov_b32_e32 v6, 0
	v_mov_b32_e32 v2, 0
	;; [unrolled: 1-line block ×5, first 2 shown]
	s_and_saveexec_b64 s[0:1], vcc
	s_cbranch_execz .LBB611_21
; %bb.20:
	v_mad_i64_i32 v[2:3], s[2:3], s15, v20, 0
	v_lshl_add_u64 v[2:3], v[2:3], 1, s[4:5]
	v_lshlrev_b32_e32 v4, 1, v18
	v_mov_b32_e32 v5, 0
	v_lshl_add_u64 v[2:3], v[2:3], 0, v[4:5]
	global_load_dwordx4 v[2:5], v[2:3], off
.LBB611_21:
	s_or_b64 exec, exec, s[0:1]
	v_or_b32_e32 v21, 1, v20
	v_cmp_gt_i32_e64 s[0:1], s27, v21
	v_mov_b32_e32 v7, 0
	v_mov_b32_e32 v8, 0
	;; [unrolled: 1-line block ×3, first 2 shown]
	s_and_saveexec_b64 s[2:3], s[0:1]
	s_cbranch_execz .LBB611_23
; %bb.22:
	v_mad_i64_i32 v[6:7], s[16:17], s15, v21, 0
	v_lshl_add_u64 v[6:7], v[6:7], 1, s[4:5]
	v_lshlrev_b32_e32 v8, 1, v18
	v_mov_b32_e32 v9, 0
	v_lshl_add_u64 v[6:7], v[6:7], 0, v[8:9]
	global_load_dwordx4 v[6:9], v[6:7], off
.LBB611_23:
	s_or_b64 exec, exec, s[2:3]
	v_mov_b32_e32 v17, 0
	v_mov_b32_e32 v10, 0
	;; [unrolled: 1-line block ×5, first 2 shown]
	s_and_saveexec_b64 s[2:3], vcc
	s_cbranch_execz .LBB611_25
; %bb.24:
	v_mad_i64_i32 v[10:11], s[16:17], s15, v20, 0
	v_lshl_add_u64 v[10:11], v[10:11], 1, s[4:5]
	v_lshlrev_b32_e32 v12, 1, v18
	v_mov_b32_e32 v13, 0
	v_lshl_add_u64 v[10:11], v[10:11], 0, v[12:13]
	global_load_dwordx4 v[10:13], v[10:11], off offset:128
.LBB611_25:
	s_or_b64 exec, exec, s[2:3]
	v_mov_b32_e32 v16, 0
	v_mov_b32_e32 v15, 0
	v_mov_b32_e32 v14, 0
	s_and_saveexec_b64 s[2:3], s[0:1]
	s_cbranch_execz .LBB611_27
; %bb.26:
	v_mad_i64_i32 v[14:15], s[0:1], s15, v21, 0
	v_lshl_add_u64 v[14:15], v[14:15], 1, s[4:5]
	v_lshlrev_b32_e32 v16, 1, v18
	v_mov_b32_e32 v17, 0
	v_lshl_add_u64 v[14:15], v[14:15], 0, v[16:17]
	global_load_dwordx4 v[14:17], v[14:15], off offset:128
.LBB611_27:
	s_or_b64 exec, exec, s[2:3]
	s_branch .LBB611_46
.LBB611_28:
                                        ; implicit-def: $vgpr5
                                        ; implicit-def: $vgpr9
                                        ; implicit-def: $vgpr13
                                        ; implicit-def: $vgpr17
	v_lshrrev_b32_e32 v38, 2, v42
	s_branch .LBB611_47
.LBB611_29:
                                        ; implicit-def: $vgpr4
                                        ; implicit-def: $vgpr5
                                        ; implicit-def: $sgpr22
	v_lshl_or_b32 v2, v58, 9, v2
.LBB611_30:
	v_or_b32_e32 v4, 0x100, v2
	s_movk_i32 s22, 0x4000
	v_mov_b32_e32 v5, v2
.LBB611_31:
	s_mul_i32 s16, s34, s14
	s_ashr_i32 s56, s51, 31
	s_mul_hi_i32 s3, s34, s14
	s_add_u32 s16, s16, s51
	s_addc_u32 s17, s3, s56
	s_lshl_b64 s[16:17], s[16:17], 8
	s_add_u32 s20, s4, s16
	s_addc_u32 s3, s5, s17
	s_and_b32 s21, s3, 0xffff
	s_movk_i32 s57, 0x80
	buffer_load_dwordx4 v[6:9], v5, s[20:23], 0 offen
	buffer_load_dwordx4 v[10:13], v5, s[20:23], s57 offen
	buffer_load_dwordx4 v[14:17], v4, s[20:23], 0 offen
	buffer_load_dwordx4 v[18:21], v4, s[20:23], s57 offen
	v_and_b32_e32 v4, 6, v0
	v_lshlrev_b32_e32 v22, 2, v45
	v_lshlrev_b32_e32 v23, 3, v45
	v_xor_b32_e32 v26, v58, v4
	v_and_b32_e32 v5, 1, v0
	v_lshl_or_b32 v23, v48, 5, v23
	v_xor_b32_e32 v27, v48, v22
	v_lshlrev_b32_e32 v26, 2, v26
	v_or_b32_e32 v64, 0x9000, v23
	v_or_b32_e32 v65, 0x9800, v23
	v_lshlrev_b32_e32 v23, 1, v27
	v_xor_b32_e32 v27, 0x440, v26
	v_cmp_eq_u32_e32 vcc, 0, v5
	s_add_i32 s3, s42, s33
	s_add_i32 s16, s45, s44
	v_cndmask_b32_e32 v5, v27, v26, vcc
	s_add_i32 s39, s3, s43
	v_lshl_or_b32 v4, v4, 10, v5
	s_add_i32 s37, s16, s46
	s_lshl_b64 s[16:17], s[38:39], 2
	s_mov_b32 s58, 0x1000504
	v_lshlrev_b32_e32 v24, 8, v45
	s_mov_b32 s22, 0x8000
	v_xor_b32_e32 v22, v49, v22
	v_xor_b32_e32 v5, 8, v4
	s_add_u32 s3, s10, s16
	s_mov_b32 s59, 0x3020706
	v_or_b32_e32 v25, v1, v45
	v_lshlrev_b32_e32 v22, 1, v22
	v_or3_b32 v66, v23, v24, s22
	v_xor_b32_e32 v23, 24, v4
	v_xor_b32_e32 v26, 40, v4
	v_xor_b32_e32 v28, 56, v4
	v_add_u32_e32 v5, 0x80, v5
	s_addc_u32 s20, s11, s17
	s_lshl_b64 s[16:17], s[36:37], 2
	v_lshlrev_b32_e32 v25, 3, v25
	v_or3_b32 v67, v22, v24, s22
	v_xor_b32_e32 v22, 16, v4
	v_xor_b32_e32 v24, 32, v4
	;; [unrolled: 1-line block ×3, first 2 shown]
	v_add_u32_e32 v23, 0x80, v23
	v_add_u32_e32 v26, 0x80, v26
	;; [unrolled: 1-line block ×3, first 2 shown]
	s_add_u32 s16, s3, s16
	s_movk_i32 s3, 0xf8
	s_addc_u32 s17, s20, s17
	v_ashrrev_i32_e32 v35, 31, v34
	s_lshl_b32 s26, s15, 7
	s_mov_b32 s60, 0
	v_mov_b32_e32 v81, 0x3fb8aa3b
	s_waitcnt vmcnt(1)
	v_perm_b32 v29, v6, v14, s58
	s_waitcnt vmcnt(0)
	v_perm_b32 v30, v10, v18, s58
	v_perm_b32 v6, v6, v14, s59
	;; [unrolled: 1-line block ×15, first 2 shown]
	ds_write2st64_b32 v4, v29, v30 offset1:32
	ds_write2st64_b32 v5, v6, v10 offset1:32
	ds_write2st64_b32 v22, v14, v18 offset0:1 offset1:33
	ds_write2st64_b32 v23, v7, v11 offset0:1 offset1:33
	;; [unrolled: 1-line block ×6, first 2 shown]
	v_lshrrev_b32_e32 v5, 5, v42
	v_and_or_b32 v5, v25, s3, v5
	v_lshlrev_b32_e32 v5, 4, v5
	v_lshlrev_b32_e32 v12, 11, v43
	v_and_b32_e32 v6, 0x78, v25
	v_or_b32_e32 v9, 32, v5
	v_and_b32_e32 v4, 0x1000, v12
	v_lshrrev_b32_e32 v13, 1, v0
	v_xor_b32_e32 v9, v9, v6
	v_and_b32_e32 v8, 8, v13
	v_or_b32_e32 v9, v9, v4
	v_xor_b32_e32 v7, v5, v6
	v_xor_b32_e32 v70, v9, v8
	v_or_b32_e32 v9, 64, v5
	v_or_b32_e32 v5, 0x60, v5
	v_xor_b32_e32 v9, v9, v6
	v_xor_b32_e32 v5, v5, v6
	v_or_b32_e32 v7, v7, v4
	v_or_b32_e32 v9, v9, v4
	;; [unrolled: 1-line block ×3, first 2 shown]
	v_xor_b32_e32 v68, v7, v8
	v_xor_b32_e32 v71, v9, v8
	v_xor_b32_e32 v72, v4, v8
	v_lshrrev_b32_e32 v8, 4, v0
	v_lshlrev_b32_e32 v9, 1, v45
	s_ashr_i32 s3, s2, 31
	v_or_b32_e32 v10, 1, v9
	v_xor_b32_e32 v9, v8, v9
	s_lshl_b64 s[20:21], s[2:3], 8
	v_xor_b32_e32 v10, v10, v8
	v_lshlrev_b32_e32 v9, 3, v9
	v_lshlrev_b32_e32 v8, 8, v8
	v_lshlrev_b64 v[4:5], 1, v[34:35]
	s_add_u32 s20, s18, s20
	v_or3_b32 v35, v9, v8, s22
	v_lshlrev_b32_e32 v9, 3, v10
	s_addc_u32 s21, s19, s21
	v_or3_b32 v74, v9, v8, s22
	v_mov_b32_e32 v9, 0
	v_lshl_add_u64 v[10:11], s[20:21], 0, v[8:9]
	v_lshlrev_b32_e32 v8, 4, v45
	s_movk_i32 s3, 0xff
	v_lshlrev_b32_e32 v17, 3, v43
	v_and_b32_e32 v13, 24, v13
	v_lshl_add_u64 v[36:37], v[10:11], 0, v[8:9]
	v_and_b32_e32 v10, 8, v0
	v_cmp_lt_u32_e32 vcc, s3, v0
	v_xor_b32_e32 v18, v17, v13
	v_or_b32_e32 v19, 0x440, v18
	v_cndmask_b32_e64 v16, 0, 1, vcc
	v_cmp_eq_u32_e32 vcc, 0, v10
	v_and_b32_e32 v8, 7, v0
	v_lshlrev_b32_e32 v11, 3, v8
	v_cndmask_b32_e32 v10, v19, v18, vcc
	v_lshlrev_b32_e32 v8, 7, v8
	v_or_b32_e32 v10, v10, v12
	v_xad_u32 v75, v10, v11, v8
	v_or_b32_e32 v10, 32, v13
	v_xor_b32_e32 v10, v17, v10
	v_or_b32_e32 v18, 0x440, v10
	v_cndmask_b32_e32 v10, v18, v10, vcc
	v_or_b32_e32 v10, v10, v12
	v_xad_u32 v76, v10, v11, v8
	v_or_b32_e32 v10, 64, v13
	v_xor_b32_e32 v10, v17, v10
	v_xor_b32_e32 v18, 0x440, v10
	v_cndmask_b32_e32 v10, v18, v10, vcc
	v_or_b32_e32 v10, v10, v12
	v_xad_u32 v77, v10, v11, v8
	v_or_b32_e32 v10, 0x60, v13
	v_xor_b32_e32 v10, v17, v10
	v_xor_b32_e32 v13, 0x440, v10
	v_and_b32_e32 v7, 0x78, v46
	v_cndmask_b32_e32 v10, v13, v10, vcc
	v_lshl_or_b32 v7, v44, 7, v7
	v_or_b32_e32 v10, v10, v12
	v_or_b32_e32 v69, 0x9000, v7
	;; [unrolled: 1-line block ×3, first 2 shown]
	v_lshl_add_u64 v[6:7], s[8:9], 0, v[4:5]
	v_lshl_add_u64 v[4:5], s[28:29], 0, v[4:5]
	v_lshlrev_b32_e32 v14, 1, v3
	v_add_lshl_u32 v3, v3, s15, 1
	v_or_b32_e32 v15, 0x100, v2
	v_lshlrev_b32_e32 v16, 13, v16
	v_xad_u32 v78, v10, v11, v8
	v_lshlrev_b32_e32 v8, 8, v48
	v_cndmask_b32_e64 v79, v14, v2, s[0:1]
	v_cndmask_b32_e64 v80, v3, v15, s[0:1]
	v_lshl_add_u64 v[38:39], v[6:7], 0, v[8:9]
	v_lshl_add_u64 v[40:41], v[4:5], 0, v[8:9]
	s_mov_b32 s3, 0x7060302
	s_movk_i32 s22, 0x4000
	v_add_u32_e32 v82, v16, v75
	v_add_u32_e32 v83, v16, v76
	;; [unrolled: 1-line block ×4, first 2 shown]
	s_waitcnt lgkmcnt(0)
	s_barrier
.LBB611_32:                             ; =>This Inner Loop Header: Depth=1
	s_add_i32 s37, s60, 1
	s_cmp_lt_i32 s37, s48
	s_mov_b64 s[24:25], 0
	s_cselect_b64 s[40:41], -1, 0
	s_cmp_ge_i32 s37, s48
	s_mov_b64 s[20:21], 0
	s_cbranch_scc1 .LBB611_34
; %bb.33:                               ;   in Loop: Header=BB611_32 Depth=1
	s_add_i32 s0, s55, 64
	s_ashr_i32 s1, s0, 31
	s_add_u32 s0, s53, s0
	s_addc_u32 s1, s52, s1
	s_lshl_b64 s[0:1], s[0:1], 8
	s_add_u32 s20, s6, s0
	s_addc_u32 s21, s7, s1
.LBB611_34:                             ;   in Loop: Header=BB611_32 Depth=1
	v_cndmask_b32_e64 v2, 0, 1, s[40:41]
	v_cmp_ne_u32_e64 s[0:1], 1, v2
	s_andn2_b64 vcc, exec, s[40:41]
	s_cbranch_vccnz .LBB611_36
; %bb.35:                               ;   in Loop: Header=BB611_32 Depth=1
	s_add_i32 s24, s55, 64
	s_mul_hi_i32 s25, s24, s14
	s_mul_i32 s24, s24, s14
	s_add_u32 s24, s24, s51
	s_addc_u32 s25, s25, s56
	s_lshl_b64 s[24:25], s[24:25], 8
	s_add_u32 s24, s4, s24
	s_addc_u32 s25, s5, s25
.LBB611_36:                             ;   in Loop: Header=BB611_32 Depth=1
	v_perm_b32 v3, v56, v54, s3
	v_perm_b32 v2, v50, v52, s3
	;; [unrolled: 1-line block ×4, first 2 shown]
	ds_write_b64 v64, v[2:3]
	ds_write_b64 v65, v[4:5]
	;; [unrolled: 1-line block ×4, first 2 shown]
	s_waitcnt lgkmcnt(0)
	s_barrier
	ds_read_b64 v[10:11], v68 offset:16384
	ds_read_b64 v[12:13], v70 offset:16384
	ds_read2st64_b64 v[2:5], v69 offset1:1
	s_waitcnt lgkmcnt(0)
	v_mfma_f32_16x16x16_bf16 a[0:3], v[10:11], v[2:3], 0
	ds_read2st64_b64 v[6:9], v69 offset0:2 offset1:3
	ds_read_b64 v[14:15], v71 offset:16384
	ds_read_b64 v[2:3], v72 offset:16384
	s_add_i32 s27, s55, 63
	v_mfma_f32_16x16x16_bf16 a[0:3], v[12:13], v[4:5], a[0:3]
	s_ashr_i32 s39, s27, 31
	s_mul_i32 s40, s27, s31
	s_mul_hi_u32 s41, s27, s30
	s_waitcnt lgkmcnt(1)
	v_mfma_f32_16x16x16_bf16 a[0:3], v[14:15], v[6:7], a[0:3]
	s_add_i32 s40, s41, s40
	s_mul_i32 s39, s39, s30
	s_add_i32 s41, s40, s39
	s_mul_i32 s40, s27, s30
	s_waitcnt lgkmcnt(0)
	v_mfma_f32_16x16x16_bf16 a[0:3], v[2:3], v[8:9], a[0:3]
	s_lshl_b64 s[40:41], s[40:41], 2
	s_add_u32 s40, s16, s40
	s_addc_u32 s41, s17, s41
	s_and_b64 vcc, exec, s[0:1]
	v_mov_b32_e32 v88, 0
	v_mov_b32_e32 v87, 0
	;; [unrolled: 1-line block ×19, first 2 shown]
	s_cbranch_vccnz .LBB611_38
; %bb.37:                               ;   in Loop: Header=BB611_32 Depth=1
	s_and_b32 s21, s21, 0xffff
	buffer_load_dwordx4 v[14:17], v60, s[20:23], 0 offen
	buffer_load_dwordx4 v[10:13], v60, s[20:23], s57 offen
	;; [unrolled: 1-line block ×4, first 2 shown]
	v_mov_b32_e32 v87, v62
	v_mov_b32_e32 v86, v63
.LBB611_38:                             ;   in Loop: Header=BB611_32 Depth=1
	s_waitcnt vmcnt(3)
	v_add_u32_e32 v22, s55, v48
	s_waitcnt vmcnt(1)
	v_ashrrev_i32_e32 v18, 31, v22
	v_mul_lo_u32 v20, v18, s30
	v_mul_lo_u32 v21, v22, s31
	v_mad_u64_u32 v[18:19], s[20:21], v22, s30, 0
	v_add3_u32 v19, v19, v21, v20
	v_lshl_add_u64 v[18:19], v[18:19], 2, s[16:17]
	global_load_dword v90, v[18:19], off
	v_add_u32_e32 v18, 1, v22
	v_ashrrev_i32_e32 v19, 31, v18
	v_mul_lo_u32 v20, v19, s30
	v_mul_lo_u32 v21, v18, s31
	v_mad_u64_u32 v[18:19], s[20:21], v18, s30, 0
	v_add3_u32 v19, v19, v21, v20
	v_add_u32_e32 v20, 2, v22
	v_ashrrev_i32_e32 v21, 31, v20
	v_mul_lo_u32 v23, v21, s30
	v_mul_lo_u32 v24, v20, s31
	v_mad_u64_u32 v[20:21], s[20:21], v20, s30, 0
	v_add_u32_e32 v22, 3, v22
	v_add3_u32 v21, v21, v24, v23
	v_ashrrev_i32_e32 v23, 31, v22
	v_mul_lo_u32 v26, v23, s30
	v_mul_lo_u32 v27, v22, s31
	v_mad_u64_u32 v[22:23], s[20:21], v22, s30, 0
	s_ashr_i32 s21, s55, 31
	s_add_u32 s20, s53, s55
	s_addc_u32 s21, s52, s21
	s_lshl_b64 s[62:63], s[20:21], 8
	v_lshl_add_u64 v[18:19], v[18:19], 2, s[16:17]
	v_lshl_add_u64 v[24:25], v[38:39], 0, s[62:63]
	v_add3_u32 v23, v23, v27, v26
	v_lshl_add_u64 v[20:21], v[20:21], 2, s[16:17]
	global_load_ushort v91, v[24:25], off
	global_load_ushort v92, v[24:25], off offset:256
	global_load_ushort v93, v[24:25], off offset:512
	global_load_ushort v94, v[24:25], off offset:768
	v_lshl_add_u64 v[22:23], v[22:23], 2, s[16:17]
	global_load_dword v95, v[18:19], off
	global_load_dword v96, v[20:21], off
	;; [unrolled: 1-line block ×3, first 2 shown]
	ds_read_b64 v[22:23], v68 offset:24576
	ds_read_b64 v[28:29], v70 offset:24576
	ds_read2st64_b64 v[18:21], v73 offset1:1
	s_waitcnt lgkmcnt(0)
	v_mfma_f32_16x16x16_bf16 a[0:3], v[22:23], v[18:19], a[0:3]
	s_load_dword s20, s[40:41], 0x0
	ds_read2st64_b64 v[24:27], v73 offset0:2 offset1:3
	ds_read_b64 v[30:31], v71 offset:24576
	ds_read_b64 v[32:33], v72 offset:24576
	v_mov_b32_e32 v89, 0
	v_mfma_f32_16x16x16_bf16 a[0:3], v[28:29], v[20:21], a[0:3]
	v_mov_b32_e32 v18, 0
	v_mov_b32_e32 v19, 0
	;; [unrolled: 1-line block ×3, first 2 shown]
	s_waitcnt lgkmcnt(0)
	v_mfma_f32_16x16x16_bf16 a[0:3], v[30:31], v[24:25], a[0:3]
	v_lshl_add_u64 v[24:25], v[40:41], 0, s[62:63]
	v_mov_b32_e32 v21, 0
	v_mov_b32_e32 v22, 0
	v_mfma_f32_16x16x16_bf16 a[0:3], v[32:33], v[26:27], a[0:3]
	v_mov_b32_e32 v23, 0
	s_and_b64 vcc, exec, s[0:1]
	s_waitcnt vmcnt(7)
	v_sub_f32_e32 v90, s20, v90
	s_nop 2
	v_accvgpr_read_b32 v29, a1
	v_accvgpr_read_b32 v27, a3
	;; [unrolled: 1-line block ×4, first 2 shown]
	v_mul_f32_e32 v90, 0x3fb8aa3b, v90
	s_waitcnt vmcnt(6)
	v_lshlrev_b32_e32 v30, 16, v91
	s_waitcnt vmcnt(5)
	v_lshlrev_b32_e32 v31, 16, v92
	;; [unrolled: 2-line block ×4, first 2 shown]
	s_waitcnt vmcnt(2)
	v_sub_f32_e32 v91, s20, v95
	s_waitcnt vmcnt(1)
	v_sub_f32_e32 v92, s20, v96
	;; [unrolled: 2-line block ×3, first 2 shown]
	v_pk_add_f32 v[28:29], v[30:31], v[28:29] neg_lo:[0,1] neg_hi:[0,1]
	v_pk_add_f32 v[26:27], v[32:33], v[26:27] neg_lo:[0,1] neg_hi:[0,1]
	v_mul_f32_e32 v31, 0x3fb8aa3b, v91
	v_mul_f32_e32 v32, 0x3fb8aa3b, v92
	;; [unrolled: 1-line block ×3, first 2 shown]
	v_exp_f32_e32 v30, v90
	v_exp_f32_e32 v31, v31
	;; [unrolled: 1-line block ×4, first 2 shown]
	global_store_short_d16_hi v[24:25], v28, off
	global_store_short_d16_hi v[24:25], v29, off offset:256
	global_store_short_d16_hi v[24:25], v26, off offset:512
	;; [unrolled: 1-line block ×3, first 2 shown]
	v_pk_mul_f32 v[24:25], v[30:31], v[28:29]
	v_pk_mul_f32 v[26:27], v[32:33], v[26:27]
	v_perm_b32 v24, v25, v24, s3
	v_perm_b32 v25, v27, v26, s3
	ds_write_b64 v65, v[24:25]
	v_mov_b32_e32 v24, 0
	v_mov_b32_e32 v25, 0
	;; [unrolled: 1-line block ×10, first 2 shown]
	s_cbranch_vccnz .LBB611_40
; %bb.39:                               ;   in Loop: Header=BB611_32 Depth=1
	s_and_b32 s25, s25, 0xffff
	s_mov_b32 s27, s23
	buffer_load_dwordx4 v[30:33], v79, s[24:27], 0 offen
	buffer_load_dwordx4 v[22:25], v79, s[24:27], s57 offen
	;; [unrolled: 1-line block ×4, first 2 shown]
	v_mov_b32_e32 v88, v59
	v_mov_b32_e32 v89, v58
.LBB611_40:                             ;   in Loop: Header=BB611_32 Depth=1
	s_waitcnt lgkmcnt(0)
	s_barrier
	ds_read_b64 v[98:99], v82
	ds_read2st64_b64 v[90:93], v73 offset1:1
	ds_read2st64_b64 v[94:97], v73 offset0:2 offset1:3
	ds_read_b64 v[100:101], v83
	ds_read_b64 v[102:103], v84
	;; [unrolled: 1-line block ×3, first 2 shown]
	s_waitcnt lgkmcnt(4)
	v_mfma_f32_16x16x16_bf16 a[0:3], v[98:99], v[90:91], 0
	ds_read_b64 v[98:99], v75 offset:8192
	ds_read_b64 v[106:107], v76 offset:8192
	s_add_i32 s21, s54, s60
	s_mul_hi_i32 s25, s21, s13
	s_waitcnt lgkmcnt(1)
	v_mfma_f32_16x16x16_bf16 a[4:7], v[98:99], v[90:91], 0
	s_mul_i32 s21, s21, s13
	s_add_u32 s24, s21, s47
	s_addc_u32 s25, s25, s49
	v_mfma_f32_16x16x16_bf16 a[0:3], v[100:101], v[92:93], a[0:3]
	ds_read_b64 v[98:99], v35
	ds_read_b64 v[100:101], v74
	ds_read_b64 v[90:91], v77 offset:8192
	s_lshl_b64 s[24:25], s[24:25], 15
	v_mfma_f32_16x16x16_bf16 a[0:3], v[102:103], v[94:95], a[0:3]
	ds_read_b64 v[102:103], v78 offset:8192
	s_and_b64 vcc, exec, s[0:1]
	s_waitcnt lgkmcnt(4)
	v_mfma_f32_16x16x16_bf16 a[4:7], v[106:107], v[92:93], a[4:7]
	s_waitcnt lgkmcnt(1)
	v_mfma_f32_16x16x16_bf16 a[4:7], v[90:91], v[94:95], a[4:7]
	v_lshl_add_u64 v[90:91], v[36:37], 0, s[24:25]
	global_store_dwordx4 v[90:91], v[98:101], off
	v_mfma_f32_16x16x16_bf16 a[0:3], v[104:105], v[96:97], a[0:3]
	s_waitcnt lgkmcnt(0)
	v_mfma_f32_16x16x16_bf16 a[4:7], v[102:103], v[96:97], a[4:7]
	s_cbranch_vccnz .LBB611_42
; %bb.41:                               ;   in Loop: Header=BB611_32 Depth=1
	v_lshrrev_b32_e32 v90, 3, v88
	v_and_b32_e32 v90, 6, v90
	v_xor_b32_e32 v89, v90, v89
	v_lshlrev_b32_e32 v89, 2, v89
	v_and_b32_e32 v88, 8, v88
	v_xor_b32_e32 v91, 0x440, v89
	v_cmp_eq_u32_e32 vcc, 0, v88
	s_barrier
	s_nop 0
	v_cndmask_b32_e32 v88, v91, v89, vcc
	v_lshl_or_b32 v88, v90, 10, v88
	s_waitcnt vmcnt(2)
	v_perm_b32 v89, v30, v26, s58
	s_waitcnt vmcnt(1)
	v_perm_b32 v90, v22, v18, s58
	ds_write2st64_b32 v88, v89, v90 offset1:32
	v_xor_b32_e32 v89, 8, v88
	v_perm_b32 v26, v30, v26, s59
	v_perm_b32 v18, v22, v18, s59
	v_add_u32_e32 v22, 0x80, v89
	ds_write2st64_b32 v22, v26, v18 offset1:32
	v_xor_b32_e32 v18, 16, v88
	v_perm_b32 v22, v31, v27, s58
	v_perm_b32 v26, v23, v19, s58
	ds_write2st64_b32 v18, v22, v26 offset0:1 offset1:33
	v_xor_b32_e32 v18, 24, v88
	v_perm_b32 v22, v31, v27, s59
	v_perm_b32 v19, v23, v19, s59
	v_add_u32_e32 v18, 0x80, v18
	ds_write2st64_b32 v18, v22, v19 offset0:1 offset1:33
	v_xor_b32_e32 v18, 32, v88
	v_perm_b32 v19, v32, v28, s58
	v_perm_b32 v22, v24, v20, s58
	ds_write2st64_b32 v18, v19, v22 offset0:2 offset1:34
	v_xor_b32_e32 v18, 40, v88
	v_perm_b32 v19, v32, v28, s59
	v_perm_b32 v20, v24, v20, s59
	v_add_u32_e32 v18, 0x80, v18
	ds_write2st64_b32 v18, v19, v20 offset0:2 offset1:34
	;; [unrolled: 9-line block ×3, first 2 shown]
	ds_write_b64 v87, v[14:15] offset:16384
	v_xor_b32_e32 v14, 8, v87
	ds_write_b64 v14, v[16:17] offset:16384
	ds_write_b64 v87, v[10:11] offset:24576
	;; [unrolled: 1-line block ×4, first 2 shown]
	v_xor_b32_e32 v6, 8, v86
	ds_write_b64 v6, v[8:9] offset:16384
	ds_write_b64 v86, v[2:3] offset:24576
	;; [unrolled: 1-line block ×3, first 2 shown]
.LBB611_42:                             ;   in Loop: Header=BB611_32 Depth=1
	v_mul_f32_e32 v2, s20, v81
	v_exp_f32_e32 v4, v2
	s_nop 1
	v_accvgpr_read_b32 v2, a0
	v_accvgpr_read_b32 v3, a1
	s_add_i32 s55, s55, 64
	v_fma_f32 v52, v52, v4, v2
	v_accvgpr_read_b32 v2, a2
	v_fma_f32 v54, v54, v4, v2
	v_accvgpr_read_b32 v2, a4
	;; [unrolled: 2-line block ×6, first 2 shown]
	v_fmac_f32_e32 v3, v56, v4
	s_cmp_eq_u32 s48, s37
	v_fmac_f32_e32 v2, v57, v4
	s_cbranch_scc1 .LBB611_4
; %bb.43:                               ;   in Loop: Header=BB611_32 Depth=1
	s_mov_b32 s60, s37
	v_mov_b32_e32 v56, v3
	v_mov_b32_e32 v57, v2
	s_branch .LBB611_32
.LBB611_44:
                                        ; implicit-def: $vgpr5
                                        ; implicit-def: $vgpr9
                                        ; implicit-def: $vgpr13
                                        ; implicit-def: $vgpr17
	s_cbranch_execz .LBB611_46
; %bb.45:
	s_waitcnt vmcnt(0)
	v_mad_u64_u32 v[2:3], s[0:1], v20, s15, v[18:19]
	v_lshlrev_b32_e32 v20, 1, v2
	s_lshl_b32 s2, s15, 7
	s_and_b32 s1, s5, 0xffff
	s_mov_b32 s3, 0x20000
	s_mov_b32 s0, s4
	v_add_lshl_u32 v21, v2, s15, 1
	s_movk_i32 s13, 0x80
	buffer_load_dwordx4 v[2:5], v20, s[0:3], 0 offen
	buffer_load_dwordx4 v[10:13], v20, s[0:3], s13 offen
	;; [unrolled: 1-line block ×4, first 2 shown]
.LBB611_46:
	v_lshrrev_b32_e32 v38, 2, v42
	s_cbranch_execnz .LBB611_59
.LBB611_47:
	s_and_b64 vcc, exec, s[6:7]
	s_cbranch_vccz .LBB611_57
; %bb.48:
	s_waitcnt vmcnt(0)
	v_lshlrev_b32_e32 v7, 1, v35
	v_cmp_gt_i32_e32 vcc, s27, v7
	v_mov_b32_e32 v6, 0
	v_lshlrev_b32_e32 v14, 9, v35
	v_mov_b32_e32 v2, 0
	v_mov_b32_e32 v3, 0
	;; [unrolled: 1-line block ×4, first 2 shown]
	s_and_saveexec_b64 s[0:1], vcc
	s_cbranch_execz .LBB611_50
; %bb.49:
	v_mov_b32_e32 v15, 0
	v_lshl_add_u64 v[2:3], s[4:5], 0, v[14:15]
	v_lshlrev_b32_e32 v4, 1, v18
	v_mov_b32_e32 v5, v15
	v_lshl_add_u64 v[2:3], v[2:3], 0, v[4:5]
	global_load_dwordx4 v[2:5], v[2:3], off
.LBB611_50:
	s_or_b64 exec, exec, s[0:1]
	v_or_b32_e32 v7, 1, v7
	v_cmp_gt_i32_e64 s[0:1], s27, v7
	v_lshlrev_b32_e32 v20, 8, v7
	v_mov_b32_e32 v7, 0
	v_mov_b32_e32 v8, 0
	v_mov_b32_e32 v9, 0
	s_and_saveexec_b64 s[2:3], s[0:1]
	s_cbranch_execz .LBB611_52
; %bb.51:
	v_mov_b32_e32 v21, 0
	v_lshl_add_u64 v[6:7], s[4:5], 0, v[20:21]
	v_lshlrev_b32_e32 v8, 1, v18
	v_mov_b32_e32 v9, v21
	v_lshl_add_u64 v[6:7], v[6:7], 0, v[8:9]
	global_load_dwordx4 v[6:9], v[6:7], off
.LBB611_52:
	s_or_b64 exec, exec, s[2:3]
	v_mov_b32_e32 v17, 0
	v_mov_b32_e32 v10, 0
	;; [unrolled: 1-line block ×5, first 2 shown]
	s_and_saveexec_b64 s[2:3], vcc
	s_cbranch_execz .LBB611_54
; %bb.53:
	v_mov_b32_e32 v15, 0
	v_lshl_add_u64 v[10:11], s[4:5], 0, v[14:15]
	v_lshlrev_b32_e32 v14, 1, v18
	v_lshl_add_u64 v[10:11], v[10:11], 0, v[14:15]
	global_load_dwordx4 v[10:13], v[10:11], off offset:128
.LBB611_54:
	s_or_b64 exec, exec, s[2:3]
	v_mov_b32_e32 v16, 0
	v_mov_b32_e32 v15, 0
	;; [unrolled: 1-line block ×3, first 2 shown]
	s_and_saveexec_b64 s[2:3], s[0:1]
	s_cbranch_execz .LBB611_56
; %bb.55:
	v_mov_b32_e32 v21, 0
	v_lshl_add_u64 v[14:15], s[4:5], 0, v[20:21]
	v_lshlrev_b32_e32 v20, 1, v18
	v_lshl_add_u64 v[14:15], v[14:15], 0, v[20:21]
	global_load_dwordx4 v[14:17], v[14:15], off offset:128
.LBB611_56:
	s_or_b64 exec, exec, s[2:3]
	s_branch .LBB611_59
.LBB611_57:
                                        ; implicit-def: $vgpr5
                                        ; implicit-def: $vgpr9
                                        ; implicit-def: $vgpr13
                                        ; implicit-def: $vgpr17
	s_cbranch_execz .LBB611_59
; %bb.58:
	s_waitcnt vmcnt(0)
	v_lshlrev_b32_e32 v2, 1, v18
	v_lshl_or_b32 v18, v35, 9, v2
	s_and_b32 s5, s5, 0xffff
	s_mov_b32 s7, 0x20000
	s_movk_i32 s6, 0x4000
	s_movk_i32 s0, 0x80
	buffer_load_dwordx4 v[2:5], v18, s[4:7], 0 offen
	buffer_load_dwordx4 v[6:9], v18, s[4:7], 0 offen offset:256
	buffer_load_dwordx4 v[10:13], v18, s[4:7], s0 offen
	buffer_load_dwordx4 v[14:17], v18, s[4:7], s0 offen offset:256
.LBB611_59:
	ds_read2st64_b64 v[22:25], v19 offset0:76 offset1:77
	ds_read2st64_b64 v[18:21], v19 offset0:78 offset1:79
	ds_read_b64 v[32:33], v26 offset:24576
	ds_read_b64 v[30:31], v27 offset:24576
	;; [unrolled: 1-line block ×4, first 2 shown]
	v_and_b32_e32 v37, 6, v0
	v_xor_b32_e32 v35, v35, v37
	v_lshlrev_b32_e32 v35, 2, v35
	v_and_b32_e32 v0, 1, v0
	v_xor_b32_e32 v39, 0x440, v35
	v_cmp_eq_u32_e32 vcc, 0, v0
	s_mov_b32 s0, 0x1000504
	s_mov_b32 s1, 0x3020706
	v_cndmask_b32_e32 v0, v39, v35, vcc
	v_lshl_or_b32 v0, v37, 10, v0
	s_waitcnt vmcnt(0)
	v_perm_b32 v35, v2, v6, s0
	v_perm_b32 v37, v10, v14, s0
	ds_write2st64_b32 v0, v35, v37 offset1:32
	v_xor_b32_e32 v35, 8, v0
	v_perm_b32 v2, v2, v6, s1
	v_perm_b32 v6, v10, v14, s1
	v_add_u32_e32 v10, 0x80, v35
	ds_write2st64_b32 v10, v2, v6 offset1:32
	v_xor_b32_e32 v2, 16, v0
	v_perm_b32 v6, v3, v7, s0
	v_perm_b32 v10, v11, v15, s0
	ds_write2st64_b32 v2, v6, v10 offset0:1 offset1:33
	v_xor_b32_e32 v2, 24, v0
	v_perm_b32 v3, v3, v7, s1
	v_perm_b32 v6, v11, v15, s1
	v_add_u32_e32 v2, 0x80, v2
	ds_write2st64_b32 v2, v3, v6 offset0:1 offset1:33
	v_xor_b32_e32 v2, 32, v0
	v_perm_b32 v3, v4, v8, s0
	v_perm_b32 v6, v12, v16, s0
	ds_write2st64_b32 v2, v3, v6 offset0:2 offset1:34
	v_xor_b32_e32 v2, 40, v0
	v_perm_b32 v3, v4, v8, s1
	v_perm_b32 v4, v12, v16, s1
	v_add_u32_e32 v2, 0x80, v2
	ds_write2st64_b32 v2, v3, v4 offset0:2 offset1:34
	v_xor_b32_e32 v2, 48, v0
	v_perm_b32 v3, v5, v9, s0
	v_perm_b32 v4, v13, v17, s0
	v_xor_b32_e32 v0, 56, v0
	v_and_or_b32 v8, v38, 12, v1
	ds_write2st64_b32 v2, v3, v4 offset0:3 offset1:35
	v_perm_b32 v2, v5, v9, s1
	v_perm_b32 v3, v13, v17, s1
	v_add_u32_e32 v0, 0x80, v0
	v_cmp_gt_i32_e32 vcc, s27, v8
	v_mov_b32_e32 v9, 0
	v_mov_b32_e32 v14, 0
	ds_write2st64_b32 v0, v2, v3 offset0:3 offset1:35
	s_and_saveexec_b64 s[0:1], vcc
	s_cbranch_execz .LBB611_61
; %bb.60:
	v_add_u32_e32 v0, s26, v8
	v_ashrrev_i32_e32 v1, 31, v0
	v_mul_lo_u32 v2, v1, s30
	v_mul_lo_u32 v3, v0, s31
	v_mad_u64_u32 v[0:1], s[2:3], v0, s30, 0
	v_add3_u32 v1, v1, v3, v2
	v_lshl_add_u64 v[0:1], v[0:1], 2, s[10:11]
	global_load_dword v0, v[0:1], off
	s_waitcnt vmcnt(0)
	v_sub_f32_e32 v0, s12, v0
	v_mul_f32_e32 v0, 0x3fb8aa3b, v0
	v_exp_f32_e32 v14, v0
.LBB611_61:
	s_or_b64 exec, exec, s[0:1]
	v_or_b32_e32 v12, 1, v8
	v_cmp_gt_i32_e64 s[2:3], s27, v12
	s_and_saveexec_b64 s[0:1], s[2:3]
	s_cbranch_execz .LBB611_63
; %bb.62:
	v_add_u32_e32 v0, s26, v12
	v_ashrrev_i32_e32 v1, 31, v0
	v_mul_lo_u32 v2, v1, s30
	v_mul_lo_u32 v3, v0, s31
	v_mad_u64_u32 v[0:1], s[4:5], v0, s30, 0
	v_add3_u32 v1, v1, v3, v2
	v_lshl_add_u64 v[0:1], v[0:1], 2, s[10:11]
	global_load_dword v0, v[0:1], off
	s_waitcnt vmcnt(0)
	v_sub_f32_e32 v0, s12, v0
	v_mul_f32_e32 v0, 0x3fb8aa3b, v0
	v_exp_f32_e32 v9, v0
.LBB611_63:
	s_or_b64 exec, exec, s[0:1]
	v_or_b32_e32 v11, 2, v8
	v_cmp_gt_i32_e64 s[0:1], s27, v11
	v_mov_b32_e32 v10, 0
	v_mov_b32_e32 v15, 0
	s_and_saveexec_b64 s[4:5], s[0:1]
	s_cbranch_execz .LBB611_65
; %bb.64:
	v_add_u32_e32 v0, s26, v11
	v_ashrrev_i32_e32 v1, 31, v0
	v_mul_lo_u32 v2, v1, s30
	v_mul_lo_u32 v3, v0, s31
	v_mad_u64_u32 v[0:1], s[6:7], v0, s30, 0
	v_add3_u32 v1, v1, v3, v2
	v_lshl_add_u64 v[0:1], v[0:1], 2, s[10:11]
	global_load_dword v0, v[0:1], off
	s_waitcnt vmcnt(0)
	v_sub_f32_e32 v0, s12, v0
	v_mul_f32_e32 v0, 0x3fb8aa3b, v0
	v_exp_f32_e32 v15, v0
.LBB611_65:
	s_or_b64 exec, exec, s[4:5]
	v_or_b32_e32 v13, 3, v8
	v_cmp_gt_i32_e64 s[4:5], s27, v13
	s_and_saveexec_b64 s[6:7], s[4:5]
	s_cbranch_execz .LBB611_67
; %bb.66:
	v_add_u32_e32 v0, s26, v13
	v_ashrrev_i32_e32 v1, 31, v0
	v_mul_lo_u32 v2, v1, s30
	v_mul_lo_u32 v3, v0, s31
	v_mad_u64_u32 v[0:1], s[14:15], v0, s30, 0
	v_add3_u32 v1, v1, v3, v2
	v_lshl_add_u64 v[0:1], v[0:1], 2, s[10:11]
	global_load_dword v0, v[0:1], off
	s_waitcnt vmcnt(0)
	v_sub_f32_e32 v0, s12, v0
	v_mul_f32_e32 v0, 0x3fb8aa3b, v0
	v_exp_f32_e32 v10, v0
.LBB611_67:
	s_or_b64 exec, exec, s[6:7]
	s_waitcnt lgkmcnt(11)
	v_mfma_f32_16x16x16_bf16 a[0:3], v[32:33], v[22:23], a[0:3]
	s_add_u32 s6, s8, s20
	v_ashrrev_i32_e32 v35, 31, v34
	s_addc_u32 s7, s9, s21
	s_waitcnt lgkmcnt(10)
	v_mfma_f32_16x16x16_bf16 a[0:3], v[30:31], v[24:25], a[0:3]
	v_lshlrev_b64 v[0:1], 1, v[34:35]
	v_lshl_add_u64 v[4:5], s[6:7], 0, v[0:1]
	s_add_u32 s6, s28, s20
	s_waitcnt lgkmcnt(9)
	v_mfma_f32_16x16x16_bf16 a[0:3], v[28:29], v[18:19], a[0:3]
	s_addc_u32 s7, s29, s21
	v_lshl_add_u64 v[6:7], s[6:7], 0, v[0:1]
	v_mov_b32_e32 v16, 0
	s_waitcnt lgkmcnt(8)
	v_mfma_f32_16x16x16_bf16 a[0:3], v[26:27], v[20:21], a[0:3]
	v_mov_b32_e32 v17, 0
	s_nop 5
	v_accvgpr_read_b32 v0, a0
	v_accvgpr_read_b32 v1, a1
	v_accvgpr_read_b32 v2, a2
	v_accvgpr_read_b32 v3, a3
	s_and_saveexec_b64 s[6:7], vcc
	s_cbranch_execz .LBB611_69
; %bb.68:
	v_lshlrev_b32_e32 v18, 8, v8
	v_mov_b32_e32 v19, 0
	v_lshl_add_u64 v[20:21], v[4:5], 0, v[18:19]
	global_load_ushort v17, v[20:21], off
	v_lshl_add_u64 v[18:19], v[6:7], 0, v[18:19]
	s_waitcnt vmcnt(0)
	v_lshlrev_b32_e32 v17, 16, v17
	v_sub_f32_e32 v0, v17, v0
	global_store_short_d16_hi v[18:19], v0, off
	v_mul_f32_e32 v0, v14, v0
	v_lshrrev_b32_e32 v17, 16, v0
.LBB611_69:
	s_or_b64 exec, exec, s[6:7]
	s_and_saveexec_b64 s[6:7], s[2:3]
	s_cbranch_execz .LBB611_71
; %bb.70:
	v_lshlrev_b32_e32 v18, 8, v12
	v_mov_b32_e32 v19, 0
	v_lshl_add_u64 v[20:21], v[4:5], 0, v[18:19]
	global_load_ushort v0, v[20:21], off
	v_lshl_add_u64 v[18:19], v[6:7], 0, v[18:19]
	s_waitcnt vmcnt(0)
	v_lshlrev_b32_e32 v0, 16, v0
	v_sub_f32_e32 v0, v0, v1
	global_store_short_d16_hi v[18:19], v0, off
	v_mul_f32_e32 v0, v9, v0
	v_lshrrev_b32_e32 v16, 16, v0
.LBB611_71:
	s_or_b64 exec, exec, s[6:7]
	v_mov_b32_e32 v0, 0
	v_mov_b32_e32 v1, 0
	s_and_saveexec_b64 s[2:3], s[0:1]
	s_cbranch_execz .LBB611_73
; %bb.72:
	v_lshlrev_b32_e32 v18, 8, v11
	v_mov_b32_e32 v19, 0
	v_lshl_add_u64 v[20:21], v[4:5], 0, v[18:19]
	global_load_ushort v1, v[20:21], off
	v_lshl_add_u64 v[18:19], v[6:7], 0, v[18:19]
	s_waitcnt vmcnt(0)
	v_lshlrev_b32_e32 v1, 16, v1
	v_sub_f32_e32 v1, v1, v2
	global_store_short_d16_hi v[18:19], v1, off
	v_mul_f32_e32 v1, v15, v1
	v_lshrrev_b32_e32 v1, 16, v1
.LBB611_73:
	s_or_b64 exec, exec, s[2:3]
	s_and_saveexec_b64 s[0:1], s[4:5]
	s_cbranch_execz .LBB611_75
; %bb.74:
	v_lshlrev_b32_e32 v12, 8, v13
	v_mov_b32_e32 v13, 0
	v_lshl_add_u64 v[4:5], v[4:5], 0, v[12:13]
	global_load_ushort v0, v[4:5], off
	v_lshl_add_u64 v[4:5], v[6:7], 0, v[12:13]
	s_waitcnt vmcnt(0)
	v_lshlrev_b32_e32 v0, 16, v0
	v_sub_f32_e32 v0, v0, v3
	global_store_short_d16_hi v[4:5], v0, off
	v_mul_f32_e32 v0, v10, v0
	v_lshrrev_b32_e32 v0, 16, v0
.LBB611_75:
	s_or_b64 exec, exec, s[0:1]
	s_mov_b32 s0, 0x5040100
	v_lshlrev_b32_e32 v2, 1, v36
	v_perm_b32 v1, v0, v1, s0
	v_perm_b32 v0, v16, v17, s0
	v_lshl_or_b32 v2, v8, 5, v2
	ds_write_b64 v2, v[0:1] offset:38912
	s_waitcnt lgkmcnt(0)
	s_barrier
.LBB611_76:
	s_endpgm
	.section	.rodata,"a",@progbits
	.p2align	6, 0x0
	.amdhsa_kernel _ZN12_GLOBAL__N_139chunk_gated_delta_rule_fwd_h_hip_kernelILi16ELb1ELb0ELb1ELb1ELb0ELb0ELb1ELb1EEEvPK12hip_bfloat16S3_S3_PKfS5_PKvPS1_S8_PvPKiSB_iiiiilll
		.amdhsa_group_segment_fixed_size 40960
		.amdhsa_private_segment_fixed_size 0
		.amdhsa_kernarg_size 136
		.amdhsa_user_sgpr_count 2
		.amdhsa_user_sgpr_dispatch_ptr 0
		.amdhsa_user_sgpr_queue_ptr 0
		.amdhsa_user_sgpr_kernarg_segment_ptr 1
		.amdhsa_user_sgpr_dispatch_id 0
		.amdhsa_user_sgpr_kernarg_preload_length 0
		.amdhsa_user_sgpr_kernarg_preload_offset 0
		.amdhsa_user_sgpr_private_segment_size 0
		.amdhsa_uses_dynamic_stack 0
		.amdhsa_enable_private_segment 0
		.amdhsa_system_sgpr_workgroup_id_x 1
		.amdhsa_system_sgpr_workgroup_id_y 1
		.amdhsa_system_sgpr_workgroup_id_z 0
		.amdhsa_system_sgpr_workgroup_info 0
		.amdhsa_system_vgpr_workitem_id 0
		.amdhsa_next_free_vgpr 116
		.amdhsa_next_free_sgpr 64
		.amdhsa_accum_offset 108
		.amdhsa_reserve_vcc 1
		.amdhsa_float_round_mode_32 0
		.amdhsa_float_round_mode_16_64 0
		.amdhsa_float_denorm_mode_32 3
		.amdhsa_float_denorm_mode_16_64 3
		.amdhsa_dx10_clamp 1
		.amdhsa_ieee_mode 1
		.amdhsa_fp16_overflow 0
		.amdhsa_tg_split 0
		.amdhsa_exception_fp_ieee_invalid_op 0
		.amdhsa_exception_fp_denorm_src 0
		.amdhsa_exception_fp_ieee_div_zero 0
		.amdhsa_exception_fp_ieee_overflow 0
		.amdhsa_exception_fp_ieee_underflow 0
		.amdhsa_exception_fp_ieee_inexact 0
		.amdhsa_exception_int_div_zero 0
	.end_amdhsa_kernel
	.section	.text._ZN12_GLOBAL__N_139chunk_gated_delta_rule_fwd_h_hip_kernelILi16ELb1ELb0ELb1ELb1ELb0ELb0ELb1ELb1EEEvPK12hip_bfloat16S3_S3_PKfS5_PKvPS1_S8_PvPKiSB_iiiiilll,"axG",@progbits,_ZN12_GLOBAL__N_139chunk_gated_delta_rule_fwd_h_hip_kernelILi16ELb1ELb0ELb1ELb1ELb0ELb0ELb1ELb1EEEvPK12hip_bfloat16S3_S3_PKfS5_PKvPS1_S8_PvPKiSB_iiiiilll,comdat
.Lfunc_end611:
	.size	_ZN12_GLOBAL__N_139chunk_gated_delta_rule_fwd_h_hip_kernelILi16ELb1ELb0ELb1ELb1ELb0ELb0ELb1ELb1EEEvPK12hip_bfloat16S3_S3_PKfS5_PKvPS1_S8_PvPKiSB_iiiiilll, .Lfunc_end611-_ZN12_GLOBAL__N_139chunk_gated_delta_rule_fwd_h_hip_kernelILi16ELb1ELb0ELb1ELb1ELb0ELb0ELb1ELb1EEEvPK12hip_bfloat16S3_S3_PKfS5_PKvPS1_S8_PvPKiSB_iiiiilll
                                        ; -- End function
	.section	.AMDGPU.csdata,"",@progbits
; Kernel info:
; codeLenInByte = 7292
; NumSgprs: 70
; NumVgprs: 108
; NumAgprs: 8
; TotalNumVgprs: 116
; ScratchSize: 0
; MemoryBound: 0
; FloatMode: 240
; IeeeMode: 1
; LDSByteSize: 40960 bytes/workgroup (compile time only)
; SGPRBlocks: 8
; VGPRBlocks: 14
; NumSGPRsForWavesPerEU: 70
; NumVGPRsForWavesPerEU: 116
; AccumOffset: 108
; Occupancy: 1
; WaveLimiterHint : 1
; COMPUTE_PGM_RSRC2:SCRATCH_EN: 0
; COMPUTE_PGM_RSRC2:USER_SGPR: 2
; COMPUTE_PGM_RSRC2:TRAP_HANDLER: 0
; COMPUTE_PGM_RSRC2:TGID_X_EN: 1
; COMPUTE_PGM_RSRC2:TGID_Y_EN: 1
; COMPUTE_PGM_RSRC2:TGID_Z_EN: 0
; COMPUTE_PGM_RSRC2:TIDIG_COMP_CNT: 0
; COMPUTE_PGM_RSRC3_GFX90A:ACCUM_OFFSET: 26
; COMPUTE_PGM_RSRC3_GFX90A:TG_SPLIT: 0
	.section	.text._ZN12_GLOBAL__N_139chunk_gated_delta_rule_fwd_h_hip_kernelILi16ELb1ELb0ELb0ELb1ELb0ELb0ELb1ELb1EEEvPK12hip_bfloat16S3_S3_PKfS5_PKvPS1_S8_PvPKiSB_iiiiilll,"axG",@progbits,_ZN12_GLOBAL__N_139chunk_gated_delta_rule_fwd_h_hip_kernelILi16ELb1ELb0ELb0ELb1ELb0ELb0ELb1ELb1EEEvPK12hip_bfloat16S3_S3_PKfS5_PKvPS1_S8_PvPKiSB_iiiiilll,comdat
	.globl	_ZN12_GLOBAL__N_139chunk_gated_delta_rule_fwd_h_hip_kernelILi16ELb1ELb0ELb0ELb1ELb0ELb0ELb1ELb1EEEvPK12hip_bfloat16S3_S3_PKfS5_PKvPS1_S8_PvPKiSB_iiiiilll ; -- Begin function _ZN12_GLOBAL__N_139chunk_gated_delta_rule_fwd_h_hip_kernelILi16ELb1ELb0ELb0ELb1ELb0ELb0ELb1ELb1EEEvPK12hip_bfloat16S3_S3_PKfS5_PKvPS1_S8_PvPKiSB_iiiiilll
	.p2align	8
	.type	_ZN12_GLOBAL__N_139chunk_gated_delta_rule_fwd_h_hip_kernelILi16ELb1ELb0ELb0ELb1ELb0ELb0ELb1ELb1EEEvPK12hip_bfloat16S3_S3_PKfS5_PKvPS1_S8_PvPKiSB_iiiiilll,@function
_ZN12_GLOBAL__N_139chunk_gated_delta_rule_fwd_h_hip_kernelILi16ELb1ELb0ELb0ELb1ELb0ELb0ELb1ELb1EEEvPK12hip_bfloat16S3_S3_PKfS5_PKvPS1_S8_PvPKiSB_iiiiilll: ; @_ZN12_GLOBAL__N_139chunk_gated_delta_rule_fwd_h_hip_kernelILi16ELb1ELb0ELb0ELb1ELb0ELb0ELb1ELb1EEEvPK12hip_bfloat16S3_S3_PKfS5_PKvPS1_S8_PvPKiSB_iiiiilll
; %bb.0:
	s_load_dwordx4 s[12:15], s[0:1], 0x5c
	s_load_dwordx4 s[20:23], s[0:1], 0x70
	s_abs_i32 s9, s3
	s_ashr_i32 s8, s3, 31
	s_load_dwordx4 s[4:7], s[0:1], 0x48
	s_waitcnt lgkmcnt(0)
	s_abs_i32 s10, s13
	v_cvt_f32_u32_e32 v1, s10
	s_sub_i32 s16, 0, s10
	s_ashr_i32 s11, s13, 31
	s_xor_b32 s8, s8, s11
	v_rcp_iflag_f32_e32 v1, v1
	v_and_b32_e32 v43, 15, v0
	v_lshrrev_b32_e32 v41, 6, v0
	v_bfe_u32 v42, v0, 4, 2
	v_mul_f32_e32 v1, 0x4f7ffffe, v1
	v_cvt_u32_f32_e32 v1, v1
	v_mov_b32_e32 v5, 0
	v_and_b32_e32 v40, 63, v0
	v_lshlrev_b32_e32 v44, 3, v0
	v_readfirstlane_b32 s17, v1
	s_mul_i32 s16, s16, s17
	s_mul_hi_u32 s16, s17, s16
	s_add_i32 s17, s17, s16
	s_mul_hi_u32 s16, s9, s17
	s_mul_i32 s17, s16, s10
	s_sub_i32 s9, s9, s17
	s_add_i32 s18, s16, 1
	s_sub_i32 s17, s9, s10
	s_cmp_ge_u32 s9, s10
	s_cselect_b32 s16, s18, s16
	s_cselect_b32 s9, s17, s9
	s_add_i32 s17, s16, 1
	s_cmp_ge_u32 s9, s10
	s_cselect_b32 s9, s17, s16
	s_load_dwordx4 s[16:19], s[0:1], 0x28
	s_xor_b32 s9, s9, s8
	s_sub_i32 s24, s9, s8
	s_mul_i32 s28, s24, s13
	s_ashr_i32 s25, s24, 31
	s_sub_i32 s45, s3, s28
	s_lshl_b64 s[8:9], s[24:25], 2
	s_add_u32 s4, s4, s8
	s_addc_u32 s5, s5, s9
	s_add_u32 s26, s6, s8
	s_addc_u32 s27, s7, s9
	s_abs_i32 s3, s14
	v_cvt_f32_u32_e32 v1, s3
	s_load_dwordx2 s[30:31], s[4:5], 0x0
	s_sub_i32 s5, 0, s3
	s_lshl_b32 s2, s2, 4
	v_rcp_iflag_f32_e32 v1, v1
	v_or_b32_e32 v34, s2, v43
	s_waitcnt lgkmcnt(0)
	s_sub_i32 s48, s31, s30
	s_ashr_i32 s4, s48, 31
	v_mul_f32_e32 v1, 0x4f7ffffe, v1
	v_cvt_u32_f32_e32 v1, v1
	s_lshr_b32 s4, s4, 26
	s_add_i32 s4, s48, s4
	s_ashr_i32 s46, s4, 6
	v_readfirstlane_b32 s6, v1
	s_mul_i32 s5, s5, s6
	s_mul_hi_u32 s5, s6, s5
	s_add_i32 s6, s6, s5
	s_mul_hi_u32 s5, s10, s6
	s_mul_i32 s6, s5, s3
	s_ashr_i32 s4, s14, 31
	s_sub_i32 s6, s10, s6
	s_xor_b32 s4, s11, s4
	s_add_i32 s7, s5, 1
	s_sub_i32 s8, s6, s3
	s_cmp_ge_u32 s6, s3
	s_cselect_b32 s5, s7, s5
	s_cselect_b32 s6, s8, s6
	s_add_i32 s7, s5, 1
	s_cmp_ge_u32 s6, s3
	s_cselect_b32 s3, s7, s5
	s_xor_b32 s3, s3, s4
	s_sub_i32 s3, s3, s4
	s_abs_i32 s4, s3
	v_cvt_f32_u32_e32 v1, s4
	s_sub_i32 s6, 0, s4
	s_abs_i32 s5, s45
	s_xor_b32 s3, s45, s3
	v_rcp_iflag_f32_e32 v1, v1
	s_ashr_i32 s3, s3, 31
	v_lshlrev_b32_e32 v2, 7, v34
	v_ashrrev_i32_e32 v3, 31, v2
	v_mul_f32_e32 v1, 0x4f7ffffe, v1
	v_cvt_u32_f32_e32 v1, v1
	v_lshrrev_b32_e32 v45, 3, v40
	s_mul_i32 s33, s24, s21
	s_mul_hi_u32 s40, s24, s20
	v_readfirstlane_b32 s7, v1
	s_mul_i32 s6, s6, s7
	s_mul_hi_u32 s6, s7, s6
	s_add_i32 s7, s7, s6
	s_mul_hi_u32 s6, s5, s7
	s_mul_i32 s7, s6, s4
	s_sub_i32 s5, s5, s7
	s_add_i32 s7, s6, 1
	s_sub_i32 s8, s5, s4
	s_cmp_ge_u32 s5, s4
	s_cselect_b32 s6, s7, s6
	s_cselect_b32 s5, s8, s5
	s_add_i32 s7, s6, 1
	s_cmp_ge_u32 s5, s4
	s_cselect_b32 s4, s7, s6
	s_xor_b32 s4, s4, s3
	s_sub_i32 s49, s4, s3
	s_ashr_i32 s47, s45, 31
	s_mul_hi_i32 s3, s24, s13
	s_add_u32 s4, s28, s45
	s_addc_u32 s5, s3, s47
	s_lshl_b64 s[4:5], s[4:5], 15
	v_lshlrev_b32_e32 v1, 4, v41
	s_add_u32 s4, s16, s4
	v_lshl_or_b32 v46, v42, 2, v1
	s_addc_u32 s5, s17, s5
	v_lshl_add_u64 v[2:3], v[2:3], 1, s[4:5]
	v_lshlrev_b32_e32 v4, 1, v46
	v_lshl_add_u64 v[2:3], v[2:3], 0, v[4:5]
	global_load_dwordx2 v[4:5], v[2:3], off
	global_load_dwordx2 v[6:7], v[2:3], off offset:128
	s_load_dwordx8 s[4:11], s[0:1], 0x0
	s_load_dwordx2 s[28:29], s[0:1], 0x80
	s_load_dword s52, s[26:27], 0x0
	v_or_b32_e32 v47, 64, v46
	s_mul_i32 s36, s24, s20
	s_mul_i32 s41, s25, s20
	s_mul_hi_i32 s50, s45, s12
	s_mul_i32 s51, s45, s12
	s_mul_i32 s42, s45, s23
	s_mul_hi_u32 s43, s45, s22
	s_mul_i32 s44, s47, s22
	s_cmp_lt_i32 s48, 64
	s_mul_i32 s34, s45, s22
	s_waitcnt vmcnt(1)
	v_and_b32_e32 v48, 0xffff0000, v4
	v_lshlrev_b32_e32 v50, 16, v4
	v_and_b32_e32 v54, 0xffff0000, v5
	v_lshlrev_b32_e32 v52, 16, v5
	s_waitcnt vmcnt(0)
	v_and_b32_e32 v49, 0xffff0000, v6
	v_lshlrev_b32_e32 v51, 16, v6
	v_and_b32_e32 v55, 0xffff0000, v7
	v_lshlrev_b32_e32 v53, 16, v7
	s_cbranch_scc1 .LBB612_3
; %bb.1:
	s_ashr_i32 s1, s30, 31
	s_add_u32 s0, s51, s30
	s_addc_u32 s1, s50, s1
	s_lshl_b64 s[0:1], s[0:1], 8
	v_and_b32_e32 v57, 56, v44
	s_waitcnt lgkmcnt(0)
	s_add_u32 s20, s6, s0
	v_lshl_or_b32 v56, v41, 3, v45
	v_lshlrev_b32_e32 v2, 1, v57
	s_addc_u32 s0, s7, s1
	v_lshl_or_b32 v58, v56, 8, v2
	s_and_b32 s21, s0, 0xffff
	s_mov_b32 s23, 0x20000
	s_movk_i32 s22, 0x4000
	s_movk_i32 s0, 0x80
	v_or_b32_e32 v59, 0x2000, v58
	buffer_load_dwordx4 v[4:7], v58, s[20:23], 0 offen
	buffer_load_dwordx4 v[8:11], v58, s[20:23], s0 offen
	;; [unrolled: 1-line block ×4, first 2 shown]
	v_lshlrev_b32_e32 v3, 3, v56
	v_and_or_b32 v21, v0, 7, v3
	v_and_b32_e32 v3, 0x78, v3
	v_lshlrev_b32_e32 v21, 4, v21
	v_xor_b32_e32 v60, v21, v3
	v_mul_lo_u32 v20, v56, s15
	v_or_b32_e32 v61, 0x1000, v60
	v_xor_b32_e32 v3, 8, v60
	s_cmpk_eq_i32 s15, 0x80
	s_mov_b32 s53, s30
	v_xor_b32_e32 v21, 8, v61
	s_cselect_b64 s[0:1], -1, 0
	s_cmpk_lg_i32 s15, 0x80
	s_waitcnt vmcnt(3)
	ds_write_b64 v60, v[4:5] offset:16384
	ds_write_b64 v3, v[6:7] offset:16384
	s_waitcnt vmcnt(2)
	ds_write_b64 v60, v[8:9] offset:24576
	ds_write_b64 v3, v[10:11] offset:24576
	s_waitcnt vmcnt(1)
	ds_write_b64 v60, v[12:13] offset:20480
	ds_write_b64 v21, v[14:15] offset:16384
	s_waitcnt vmcnt(0)
	ds_write_b64 v60, v[16:17] offset:28672
	ds_write_b64 v21, v[18:19] offset:24576
	v_lshl_add_u32 v3, v20, 1, v57
	s_cbranch_scc0 .LBB612_29
; %bb.2:
	v_lshlrev_b32_e32 v5, 1, v3
	v_add_lshl_u32 v4, v3, s15, 1
	s_lshl_b32 s22, s15, 7
	v_lshl_or_b32 v2, v56, 9, v2
	s_cbranch_execz .LBB612_30
	s_branch .LBB612_31
.LBB612_3:
	v_mov_b32_e32 v2, v55
	v_mov_b32_e32 v3, v54
.LBB612_4:
	s_lshl_b32 s26, s46, 6
	s_sub_i32 s27, s48, s26
	s_cmp_gt_i32 s27, 0
	s_cbranch_scc0 .LBB612_76
; %bb.5:
	s_add_i32 s26, s26, s30
	s_ashr_i32 s3, s26, 31
	s_cmpk_lg_i32 s15, 0x80
	s_cselect_b64 s[22:23], -1, 0
	s_and_b64 vcc, exec, s[22:23]
	s_cbranch_vccz .LBB612_7
; %bb.6:
	s_mul_hi_i32 s0, s26, s14
	s_mul_i32 s1, s26, s14
	s_ashr_i32 s14, s49, 31
	s_add_u32 s24, s1, s49
	s_addc_u32 s25, s0, s14
	s_cbranch_execz .LBB612_8
	s_branch .LBB612_9
.LBB612_7:
                                        ; implicit-def: $sgpr24_sgpr25
.LBB612_8:
	s_mul_i32 s1, s49, s12
	s_mul_hi_i32 s0, s49, s12
	s_add_u32 s24, s1, s26
	s_addc_u32 s25, s0, s3
.LBB612_9:
	s_waitcnt lgkmcnt(0)
	s_add_i32 s12, s46, s52
	s_add_u32 s0, s51, s26
	s_addc_u32 s1, s50, s3
	s_mov_b32 s3, 0x7060302
	v_lshlrev_b32_e32 v6, 3, v43
	v_perm_b32 v5, v3, v52, s3
	v_perm_b32 v4, v48, v50, s3
	;; [unrolled: 1-line block ×4, first 2 shown]
	v_lshlrev_b32_e32 v36, 2, v43
	v_lshl_or_b32 v6, v46, 5, v6
	s_lshl_b64 s[20:21], s[0:1], 8
	ds_write2st64_b64 v6, v[4:5], v[2:3] offset0:72 offset1:76
	v_xor_b32_e32 v6, v46, v36
	v_lshlrev_b32_e32 v7, 8, v43
	s_add_u32 s0, s6, s20
	v_lshl_or_b32 v6, v6, 1, v7
	s_addc_u32 s1, s7, s21
	ds_write_b64 v6, v[4:5] offset:32768
	v_xor_b32_e32 v4, v47, v36
	s_mul_hi_i32 s3, s12, s13
	s_mul_i32 s12, s12, s13
	v_lshl_or_b32 v4, v4, 1, v7
	s_add_u32 s6, s12, s45
	ds_write_b64 v4, v[2:3] offset:32768
	s_addc_u32 s7, s3, s47
	v_lshlrev_b32_e32 v3, 1, v43
	v_lshrrev_b32_e32 v2, 4, v0
	s_ashr_i32 s3, s2, 31
	s_lshl_b64 s[6:7], s[6:7], 15
	v_or_b32_e32 v4, 1, v3
	s_add_u32 s6, s18, s6
	v_xor_b32_e32 v3, v2, v3
	v_xor_b32_e32 v4, v4, v2
	v_lshlrev_b32_e32 v6, 8, v2
	s_addc_u32 s7, s19, s7
	s_lshl_b64 s[2:3], s[2:3], 8
	v_lshl_or_b32 v2, v3, 3, v6
	v_lshl_or_b32 v4, v4, 3, v6
	s_waitcnt lgkmcnt(0)
	s_barrier
	s_add_u32 s2, s6, s2
	ds_read_b64 v[2:3], v2 offset:32768
	ds_read_b64 v[4:5], v4 offset:32768
	s_addc_u32 s3, s7, s3
	v_mov_b32_e32 v7, 0
	s_cmp_lg_u32 s27, 64
	v_lshl_add_u64 v[8:9], s[2:3], 0, v[6:7]
	v_lshlrev_b32_e32 v6, 4, v43
	s_cselect_b64 s[6:7], -1, 0
	v_lshl_or_b32 v35, v41, 3, v45
	s_mov_b32 s16, 0
	v_lshl_add_u64 v[6:7], v[8:9], 0, v[6:7]
	s_waitcnt vmcnt(1)
	v_or_b32_e32 v19, 32, v35
	v_and_b32_e32 v18, 56, v44
	s_and_b64 vcc, exec, s[6:7]
	s_waitcnt lgkmcnt(0)
	global_store_dwordx4 v[6:7], v[2:5], off
	s_cbranch_vccz .LBB612_15
; %bb.10:
	s_mov_b32 s17, s16
	s_mov_b32 s18, s16
	;; [unrolled: 1-line block ×3, first 2 shown]
	v_mov_b64_e32 v[6:7], s[16:17]
	v_mov_b64_e32 v[8:9], s[18:19]
	;; [unrolled: 1-line block ×3, first 2 shown]
	v_cmp_gt_i32_e32 vcc, s27, v35
	v_mov_b64_e32 v[4:5], v[8:9]
	s_and_saveexec_b64 s[2:3], vcc
	s_cbranch_execz .LBB612_12
; %bb.11:
	v_lshlrev_b32_e32 v2, 8, v35
	v_mov_b32_e32 v3, 0
	v_lshl_add_u64 v[4:5], s[0:1], 0, v[2:3]
	v_lshlrev_b32_e32 v2, 1, v18
	v_lshl_add_u64 v[10:11], v[4:5], 0, v[2:3]
	global_load_dwordx4 v[6:9], v[10:11], off
	global_load_dwordx4 v[2:5], v[10:11], off offset:128
.LBB612_12:
	s_or_b64 exec, exec, s[2:3]
	s_mov_b32 s17, s16
	s_mov_b32 s18, s16
	;; [unrolled: 1-line block ×3, first 2 shown]
	v_mov_b64_e32 v[14:15], s[16:17]
	v_mov_b64_e32 v[16:17], s[18:19]
	;; [unrolled: 1-line block ×3, first 2 shown]
	v_cmp_gt_i32_e32 vcc, s27, v19
	v_lshlrev_b32_e32 v20, 7, v19
	v_mov_b64_e32 v[12:13], v[16:17]
	s_and_saveexec_b64 s[2:3], vcc
	s_cbranch_execz .LBB612_14
; %bb.13:
	v_lshlrev_b32_e32 v10, 1, v20
	v_mov_b32_e32 v11, 0
	v_lshl_add_u64 v[12:13], s[0:1], 0, v[10:11]
	v_lshlrev_b32_e32 v10, 1, v18
	v_lshl_add_u64 v[22:23], v[12:13], 0, v[10:11]
	global_load_dwordx4 v[14:17], v[22:23], off
	global_load_dwordx4 v[10:13], v[22:23], off offset:128
.LBB612_14:
	s_or_b64 exec, exec, s[2:3]
	v_lshrrev_b32_e32 v21, 3, v18
	v_lshlrev_b32_e32 v22, 3, v35
	v_or_b32_e32 v21, v22, v21
	v_lshlrev_b32_e32 v21, 4, v21
	v_and_b32_e32 v22, 0x78, v22
	v_xor_b32_e32 v21, v21, v22
	s_branch .LBB612_17
.LBB612_15:
                                        ; implicit-def: $vgpr21
                                        ; implicit-def: $vgpr20
                                        ; implicit-def: $vgpr6_vgpr7_vgpr8_vgpr9
                                        ; implicit-def: $vgpr2_vgpr3_vgpr4_vgpr5
                                        ; implicit-def: $vgpr14_vgpr15_vgpr16_vgpr17
                                        ; implicit-def: $vgpr10_vgpr11_vgpr12_vgpr13
	s_cbranch_execz .LBB612_17
; %bb.16:
	s_waitcnt vmcnt(0)
	v_lshlrev_b32_e32 v2, 1, v18
	v_lshl_or_b32 v20, v35, 8, v2
	s_and_b32 s1, s1, 0xffff
	s_mov_b32 s3, 0x20000
	s_movk_i32 s2, 0x4000
	v_lshl_or_b32 v21, v19, 8, v2
	s_movk_i32 s12, 0x80
	buffer_load_dwordx4 v[6:9], v20, s[0:3], 0 offen
	buffer_load_dwordx4 v[2:5], v20, s[0:3], s12 offen
	;; [unrolled: 1-line block ×4, first 2 shown]
	v_lshrrev_b32_e32 v20, 3, v18
	v_lshlrev_b32_e32 v21, 3, v35
	v_or_b32_e32 v20, v21, v20
	v_lshlrev_b32_e32 v20, 4, v20
	v_and_b32_e32 v21, 0x78, v21
	v_xor_b32_e32 v21, v20, v21
	v_lshlrev_b32_e32 v20, 7, v19
.LBB612_17:
	s_lshl_b64 s[0:1], s[24:25], 8
	s_add_u32 s4, s4, s0
	s_movk_i32 s0, 0x1000
	v_and_or_b32 v19, v20, s0, v21
	s_waitcnt vmcnt(1)
	ds_write_b64 v21, v[6:7] offset:16384
	v_xor_b32_e32 v6, 8, v21
	ds_write_b64 v6, v[8:9] offset:16384
	s_waitcnt vmcnt(0)
	ds_write_b64 v21, v[2:3] offset:24576
	ds_write_b64 v6, v[4:5] offset:24576
	;; [unrolled: 1-line block ×3, first 2 shown]
	v_xor_b32_e32 v2, 8, v19
	ds_write_b64 v2, v[16:17] offset:16384
	ds_write_b64 v19, v[10:11] offset:24576
	;; [unrolled: 1-line block ×3, first 2 shown]
	v_or_b32_e32 v2, v1, v43
	v_lshlrev_b32_e32 v2, 3, v2
	v_lshrrev_b32_e32 v4, 5, v40
	s_movk_i32 s12, 0xf8
	v_and_or_b32 v4, v2, s12, v4
	v_lshlrev_b32_e32 v3, 11, v41
	v_lshlrev_b32_e32 v12, 4, v4
	v_and_b32_e32 v13, 0x78, v2
	v_and_b32_e32 v14, 0x1000, v3
	v_lshlrev_b32_e32 v3, 2, v0
	v_xor_b32_e32 v2, v12, v13
	v_lshrrev_b32_e32 v4, 1, v40
	v_and_b32_e32 v3, 60, v3
	v_or_b32_e32 v2, v2, v14
	v_and_b32_e32 v15, 8, v4
	v_xor_b32_e32 v26, v2, v15
	v_lshl_or_b32 v2, v42, 6, v3
	v_lshlrev_b32_e32 v19, 1, v2
	v_or_b32_e32 v2, 32, v12
	v_xor_b32_e32 v2, v2, v13
	s_waitcnt lgkmcnt(0)
	s_barrier
	ds_read_b64 v[10:11], v26 offset:16384
	v_or_b32_e32 v2, v2, v14
	v_xor_b32_e32 v27, v2, v15
	v_or_b32_e32 v2, 64, v12
	v_xor_b32_e32 v2, v2, v13
	v_or_b32_e32 v2, v2, v14
	v_or_b32_e32 v12, 0x60, v12
	v_xor_b32_e32 v28, v2, v15
	ds_read2st64_b64 v[2:5], v19 offset0:72 offset1:73
	ds_read2st64_b64 v[6:9], v19 offset0:74 offset1:75
	v_xor_b32_e32 v16, v12, v13
	ds_read_b64 v[12:13], v27 offset:16384
	s_addc_u32 s5, s5, s1
	s_add_i32 s1, s40, s33
	s_waitcnt lgkmcnt(2)
	v_mfma_f32_16x16x16_bf16 a[0:3], v[10:11], v[2:3], 0
	s_add_i32 s0, s31, -1
	s_add_i32 s37, s1, s41
	s_add_i32 s1, s43, s42
	;; [unrolled: 1-line block ×3, first 2 shown]
	s_ashr_i32 s1, s0, 31
	s_mul_i32 s2, s0, s29
	s_mul_hi_u32 s3, s0, s28
	s_add_i32 s2, s3, s2
	s_mul_i32 s1, s1, s28
	v_or_b32_e32 v14, v16, v14
	s_add_i32 s1, s2, s1
	s_lshl_b64 s[2:3], s[36:37], 2
	v_xor_b32_e32 v37, v14, v15
	ds_read_b64 v[14:15], v28 offset:16384
	ds_read_b64 v[16:17], v37 offset:16384
	s_waitcnt lgkmcnt(2)
	v_mfma_f32_16x16x16_bf16 a[0:3], v[12:13], v[4:5], a[0:3]
	s_add_u32 s10, s10, s2
	s_addc_u32 s11, s11, s3
	s_lshl_b64 s[2:3], s[34:35], 2
	s_mul_i32 s0, s0, s28
	s_add_u32 s10, s10, s2
	s_addc_u32 s11, s11, s3
	s_lshl_b64 s[0:1], s[0:1], 2
	s_waitcnt lgkmcnt(1)
	v_mfma_f32_16x16x16_bf16 a[0:3], v[14:15], v[6:7], a[0:3]
	s_add_u32 s0, s10, s0
	s_addc_u32 s1, s11, s1
	s_load_dword s12, s[0:1], 0x0
	s_waitcnt lgkmcnt(0)
	v_mfma_f32_16x16x16_bf16 a[0:3], v[16:17], v[8:9], a[0:3]
	s_and_b64 vcc, exec, s[22:23]
	s_cbranch_vccz .LBB612_28
; %bb.18:
	v_lshlrev_b32_e32 v20, 1, v35
	s_and_b64 vcc, exec, s[6:7]
	s_cbranch_vccz .LBB612_44
; %bb.19:
	v_cmp_gt_i32_e32 vcc, s27, v20
	v_mov_b32_e32 v6, 0
	v_mov_b32_e32 v2, 0
	;; [unrolled: 1-line block ×5, first 2 shown]
	s_and_saveexec_b64 s[0:1], vcc
	s_cbranch_execz .LBB612_21
; %bb.20:
	v_mad_i64_i32 v[2:3], s[2:3], s15, v20, 0
	v_lshl_add_u64 v[2:3], v[2:3], 1, s[4:5]
	v_lshlrev_b32_e32 v4, 1, v18
	v_mov_b32_e32 v5, 0
	v_lshl_add_u64 v[2:3], v[2:3], 0, v[4:5]
	global_load_dwordx4 v[2:5], v[2:3], off
.LBB612_21:
	s_or_b64 exec, exec, s[0:1]
	v_or_b32_e32 v21, 1, v20
	v_cmp_gt_i32_e64 s[0:1], s27, v21
	v_mov_b32_e32 v7, 0
	v_mov_b32_e32 v8, 0
	;; [unrolled: 1-line block ×3, first 2 shown]
	s_and_saveexec_b64 s[2:3], s[0:1]
	s_cbranch_execz .LBB612_23
; %bb.22:
	v_mad_i64_i32 v[6:7], s[16:17], s15, v21, 0
	v_lshl_add_u64 v[6:7], v[6:7], 1, s[4:5]
	v_lshlrev_b32_e32 v8, 1, v18
	v_mov_b32_e32 v9, 0
	v_lshl_add_u64 v[6:7], v[6:7], 0, v[8:9]
	global_load_dwordx4 v[6:9], v[6:7], off
.LBB612_23:
	s_or_b64 exec, exec, s[2:3]
	v_mov_b32_e32 v17, 0
	v_mov_b32_e32 v10, 0
	;; [unrolled: 1-line block ×5, first 2 shown]
	s_and_saveexec_b64 s[2:3], vcc
	s_cbranch_execz .LBB612_25
; %bb.24:
	v_mad_i64_i32 v[10:11], s[16:17], s15, v20, 0
	v_lshl_add_u64 v[10:11], v[10:11], 1, s[4:5]
	v_lshlrev_b32_e32 v12, 1, v18
	v_mov_b32_e32 v13, 0
	v_lshl_add_u64 v[10:11], v[10:11], 0, v[12:13]
	global_load_dwordx4 v[10:13], v[10:11], off offset:128
.LBB612_25:
	s_or_b64 exec, exec, s[2:3]
	v_mov_b32_e32 v16, 0
	v_mov_b32_e32 v15, 0
	;; [unrolled: 1-line block ×3, first 2 shown]
	s_and_saveexec_b64 s[2:3], s[0:1]
	s_cbranch_execz .LBB612_27
; %bb.26:
	v_mad_i64_i32 v[14:15], s[0:1], s15, v21, 0
	v_lshl_add_u64 v[14:15], v[14:15], 1, s[4:5]
	v_lshlrev_b32_e32 v16, 1, v18
	v_mov_b32_e32 v17, 0
	v_lshl_add_u64 v[14:15], v[14:15], 0, v[16:17]
	global_load_dwordx4 v[14:17], v[14:15], off offset:128
.LBB612_27:
	s_or_b64 exec, exec, s[2:3]
	s_branch .LBB612_46
.LBB612_28:
                                        ; implicit-def: $vgpr5
                                        ; implicit-def: $vgpr9
                                        ; implicit-def: $vgpr13
                                        ; implicit-def: $vgpr17
	v_lshrrev_b32_e32 v38, 2, v40
	s_branch .LBB612_47
.LBB612_29:
                                        ; implicit-def: $vgpr4
                                        ; implicit-def: $vgpr5
                                        ; implicit-def: $sgpr22
	v_lshl_or_b32 v2, v56, 9, v2
.LBB612_30:
	v_or_b32_e32 v4, 0x100, v2
	s_movk_i32 s22, 0x4000
	v_mov_b32_e32 v5, v2
.LBB612_31:
	s_mul_i32 s16, s30, s14
	s_ashr_i32 s54, s49, 31
	s_mul_hi_i32 s3, s30, s14
	s_add_u32 s16, s16, s49
	s_addc_u32 s17, s3, s54
	s_lshl_b64 s[16:17], s[16:17], 8
	s_add_u32 s20, s4, s16
	s_addc_u32 s3, s5, s17
	s_and_b32 s21, s3, 0xffff
	s_movk_i32 s55, 0x80
	buffer_load_dwordx4 v[6:9], v5, s[20:23], 0 offen
	buffer_load_dwordx4 v[10:13], v5, s[20:23], s55 offen
	;; [unrolled: 1-line block ×4, first 2 shown]
	v_and_b32_e32 v4, 6, v0
	v_lshlrev_b32_e32 v22, 2, v43
	v_lshlrev_b32_e32 v23, 3, v43
	v_xor_b32_e32 v26, v56, v4
	v_and_b32_e32 v5, 1, v0
	v_lshl_or_b32 v23, v46, 5, v23
	v_xor_b32_e32 v27, v46, v22
	v_lshlrev_b32_e32 v26, 2, v26
	v_or_b32_e32 v62, 0x9000, v23
	v_or_b32_e32 v63, 0x9800, v23
	v_lshlrev_b32_e32 v23, 1, v27
	v_xor_b32_e32 v27, 0x440, v26
	v_cmp_eq_u32_e32 vcc, 0, v5
	s_add_i32 s3, s40, s33
	s_add_i32 s16, s43, s42
	v_cndmask_b32_e32 v5, v27, v26, vcc
	s_add_i32 s37, s3, s41
	v_lshl_or_b32 v4, v4, 10, v5
	s_add_i32 s35, s16, s44
	s_lshl_b64 s[16:17], s[36:37], 2
	s_mov_b32 s56, 0x1000504
	v_lshlrev_b32_e32 v24, 8, v43
	s_mov_b32 s22, 0x8000
	v_xor_b32_e32 v22, v47, v22
	v_xor_b32_e32 v5, 8, v4
	s_add_u32 s3, s10, s16
	s_mov_b32 s57, 0x3020706
	v_or_b32_e32 v25, v1, v43
	v_lshlrev_b32_e32 v22, 1, v22
	v_or3_b32 v64, v23, v24, s22
	v_xor_b32_e32 v23, 24, v4
	v_xor_b32_e32 v26, 40, v4
	;; [unrolled: 1-line block ×3, first 2 shown]
	v_add_u32_e32 v5, 0x80, v5
	s_addc_u32 s20, s11, s17
	s_lshl_b64 s[16:17], s[34:35], 2
	v_lshlrev_b32_e32 v25, 3, v25
	v_or3_b32 v65, v22, v24, s22
	v_xor_b32_e32 v22, 16, v4
	v_xor_b32_e32 v24, 32, v4
	v_xor_b32_e32 v27, 48, v4
	v_add_u32_e32 v23, 0x80, v23
	v_add_u32_e32 v26, 0x80, v26
	;; [unrolled: 1-line block ×3, first 2 shown]
	s_add_u32 s16, s3, s16
	s_movk_i32 s3, 0xf8
	s_addc_u32 s17, s20, s17
	v_ashrrev_i32_e32 v35, 31, v34
	s_lshl_b32 s26, s15, 7
	s_mov_b32 s58, 0
	v_mov_b32_e32 v79, 0x3fb8aa3b
	s_waitcnt vmcnt(1)
	v_perm_b32 v29, v6, v14, s56
	s_waitcnt vmcnt(0)
	v_perm_b32 v30, v10, v18, s56
	v_perm_b32 v6, v6, v14, s57
	;; [unrolled: 1-line block ×15, first 2 shown]
	ds_write2st64_b32 v4, v29, v30 offset1:32
	ds_write2st64_b32 v5, v6, v10 offset1:32
	ds_write2st64_b32 v22, v14, v18 offset0:1 offset1:33
	ds_write2st64_b32 v23, v7, v11 offset0:1 offset1:33
	;; [unrolled: 1-line block ×6, first 2 shown]
	v_lshrrev_b32_e32 v5, 5, v40
	v_and_or_b32 v5, v25, s3, v5
	v_lshlrev_b32_e32 v5, 4, v5
	v_lshlrev_b32_e32 v10, 11, v41
	v_and_b32_e32 v6, 0x78, v25
	v_or_b32_e32 v9, 32, v5
	v_and_b32_e32 v4, 0x1000, v10
	v_xor_b32_e32 v7, v5, v6
	v_lshrrev_b32_e32 v11, 1, v0
	v_xor_b32_e32 v9, v9, v6
	v_or_b32_e32 v7, v7, v4
	v_and_b32_e32 v8, 8, v11
	v_or_b32_e32 v9, v9, v4
	v_xor_b32_e32 v66, v7, v8
	v_and_b32_e32 v7, 0x78, v44
	v_xor_b32_e32 v68, v9, v8
	v_or_b32_e32 v9, 64, v5
	v_or_b32_e32 v5, 0x60, v5
	v_lshl_or_b32 v7, v42, 7, v7
	v_xor_b32_e32 v9, v9, v6
	v_xor_b32_e32 v5, v5, v6
	v_or_b32_e32 v67, 0x9000, v7
	v_or_b32_e32 v9, v9, v4
	;; [unrolled: 1-line block ×4, first 2 shown]
	v_lshrrev_b32_e32 v6, 4, v0
	v_lshlrev_b32_e32 v7, 1, v43
	v_xor_b32_e32 v69, v9, v8
	v_xor_b32_e32 v70, v4, v8
	s_ashr_i32 s3, s2, 31
	v_or_b32_e32 v8, 1, v7
	v_xor_b32_e32 v7, v6, v7
	s_lshl_b64 s[20:21], s[2:3], 8
	v_xor_b32_e32 v8, v8, v6
	v_lshlrev_b32_e32 v7, 3, v7
	v_lshlrev_b32_e32 v6, 8, v6
	v_lshl_add_u64 v[4:5], v[34:35], 1, s[8:9]
	s_add_u32 s20, s18, s20
	v_or3_b32 v35, v7, v6, s22
	v_lshlrev_b32_e32 v7, 3, v8
	s_addc_u32 s21, s19, s21
	v_or3_b32 v72, v7, v6, s22
	v_mov_b32_e32 v7, 0
	v_lshl_add_u64 v[8:9], s[20:21], 0, v[6:7]
	v_lshlrev_b32_e32 v6, 4, v43
	s_movk_i32 s3, 0xff
	v_lshlrev_b32_e32 v15, 3, v41
	v_and_b32_e32 v11, 24, v11
	v_lshl_add_u64 v[36:37], v[8:9], 0, v[6:7]
	v_and_b32_e32 v8, 8, v0
	v_cmp_lt_u32_e32 vcc, s3, v0
	v_xor_b32_e32 v16, v15, v11
	v_or_b32_e32 v17, 0x440, v16
	v_cndmask_b32_e64 v14, 0, 1, vcc
	v_cmp_eq_u32_e32 vcc, 0, v8
	v_and_b32_e32 v6, 7, v0
	v_lshlrev_b32_e32 v9, 3, v6
	v_cndmask_b32_e32 v8, v17, v16, vcc
	v_lshlrev_b32_e32 v6, 7, v6
	v_or_b32_e32 v8, v8, v10
	v_xad_u32 v73, v8, v9, v6
	v_or_b32_e32 v8, 32, v11
	v_xor_b32_e32 v8, v15, v8
	v_or_b32_e32 v16, 0x440, v8
	v_cndmask_b32_e32 v8, v16, v8, vcc
	v_or_b32_e32 v8, v8, v10
	v_xad_u32 v74, v8, v9, v6
	v_or_b32_e32 v8, 64, v11
	v_xor_b32_e32 v8, v15, v8
	v_xor_b32_e32 v16, 0x440, v8
	v_cndmask_b32_e32 v8, v16, v8, vcc
	v_or_b32_e32 v8, v8, v10
	v_xad_u32 v75, v8, v9, v6
	v_or_b32_e32 v8, 0x60, v11
	v_xor_b32_e32 v8, v15, v8
	v_xor_b32_e32 v11, 0x440, v8
	v_cndmask_b32_e32 v8, v11, v8, vcc
	v_or_b32_e32 v8, v8, v10
	v_lshlrev_b32_e32 v12, 1, v3
	v_add_lshl_u32 v3, v3, s15, 1
	v_or_b32_e32 v13, 0x100, v2
	v_lshlrev_b32_e32 v14, 13, v14
	v_xad_u32 v76, v8, v9, v6
	v_lshlrev_b32_e32 v6, 8, v46
	v_cndmask_b32_e64 v77, v12, v2, s[0:1]
	v_cndmask_b32_e64 v78, v3, v13, s[0:1]
	v_lshl_add_u64 v[38:39], v[4:5], 0, v[6:7]
	s_mov_b32 s3, 0x7060302
	s_movk_i32 s22, 0x4000
	v_add_u32_e32 v80, v14, v73
	v_add_u32_e32 v81, v14, v74
	;; [unrolled: 1-line block ×4, first 2 shown]
	s_waitcnt lgkmcnt(0)
	s_barrier
.LBB612_32:                             ; =>This Inner Loop Header: Depth=1
	s_add_i32 s35, s58, 1
	s_cmp_lt_i32 s35, s46
	s_mov_b64 s[24:25], 0
	s_cselect_b64 s[38:39], -1, 0
	s_cmp_ge_i32 s35, s46
	s_mov_b64 s[20:21], 0
	s_cbranch_scc1 .LBB612_34
; %bb.33:                               ;   in Loop: Header=BB612_32 Depth=1
	s_add_i32 s0, s53, 64
	s_ashr_i32 s1, s0, 31
	s_add_u32 s0, s51, s0
	s_addc_u32 s1, s50, s1
	s_lshl_b64 s[0:1], s[0:1], 8
	s_add_u32 s20, s6, s0
	s_addc_u32 s21, s7, s1
.LBB612_34:                             ;   in Loop: Header=BB612_32 Depth=1
	v_cndmask_b32_e64 v2, 0, 1, s[38:39]
	v_cmp_ne_u32_e64 s[0:1], 1, v2
	s_andn2_b64 vcc, exec, s[38:39]
	s_cbranch_vccnz .LBB612_36
; %bb.35:                               ;   in Loop: Header=BB612_32 Depth=1
	s_add_i32 s24, s53, 64
	s_mul_hi_i32 s25, s24, s14
	s_mul_i32 s24, s24, s14
	s_add_u32 s24, s24, s49
	s_addc_u32 s25, s25, s54
	s_lshl_b64 s[24:25], s[24:25], 8
	s_add_u32 s24, s4, s24
	s_addc_u32 s25, s5, s25
.LBB612_36:                             ;   in Loop: Header=BB612_32 Depth=1
	v_perm_b32 v3, v54, v52, s3
	v_perm_b32 v2, v48, v50, s3
	;; [unrolled: 1-line block ×4, first 2 shown]
	ds_write_b64 v62, v[2:3]
	ds_write_b64 v63, v[4:5]
	;; [unrolled: 1-line block ×4, first 2 shown]
	s_waitcnt lgkmcnt(0)
	s_barrier
	ds_read_b64 v[10:11], v66 offset:16384
	ds_read_b64 v[12:13], v68 offset:16384
	ds_read2st64_b64 v[2:5], v67 offset1:1
	s_waitcnt lgkmcnt(0)
	v_mfma_f32_16x16x16_bf16 a[0:3], v[10:11], v[2:3], 0
	ds_read2st64_b64 v[6:9], v67 offset0:2 offset1:3
	ds_read_b64 v[14:15], v69 offset:16384
	ds_read_b64 v[2:3], v70 offset:16384
	s_add_i32 s27, s53, 63
	v_mfma_f32_16x16x16_bf16 a[0:3], v[12:13], v[4:5], a[0:3]
	s_ashr_i32 s37, s27, 31
	s_mul_i32 s38, s27, s29
	s_mul_hi_u32 s39, s27, s28
	s_waitcnt lgkmcnt(1)
	v_mfma_f32_16x16x16_bf16 a[0:3], v[14:15], v[6:7], a[0:3]
	s_add_i32 s38, s39, s38
	s_mul_i32 s37, s37, s28
	s_add_i32 s39, s38, s37
	s_mul_i32 s38, s27, s28
	s_waitcnt lgkmcnt(0)
	v_mfma_f32_16x16x16_bf16 a[0:3], v[2:3], v[8:9], a[0:3]
	s_lshl_b64 s[38:39], s[38:39], 2
	s_add_u32 s38, s16, s38
	s_addc_u32 s39, s17, s39
	s_and_b64 vcc, exec, s[0:1]
	v_mov_b32_e32 v86, 0
	v_mov_b32_e32 v85, 0
	;; [unrolled: 1-line block ×19, first 2 shown]
	s_cbranch_vccnz .LBB612_38
; %bb.37:                               ;   in Loop: Header=BB612_32 Depth=1
	s_and_b32 s21, s21, 0xffff
	buffer_load_dwordx4 v[14:17], v58, s[20:23], 0 offen
	buffer_load_dwordx4 v[10:13], v58, s[20:23], s55 offen
	;; [unrolled: 1-line block ×4, first 2 shown]
	v_mov_b32_e32 v85, v60
	v_mov_b32_e32 v84, v61
.LBB612_38:                             ;   in Loop: Header=BB612_32 Depth=1
	s_waitcnt vmcnt(3)
	v_add_u32_e32 v22, s53, v46
	s_waitcnt vmcnt(1)
	v_ashrrev_i32_e32 v18, 31, v22
	v_mul_lo_u32 v20, v18, s28
	v_mul_lo_u32 v21, v22, s29
	v_mad_u64_u32 v[18:19], s[20:21], v22, s28, 0
	v_add3_u32 v19, v19, v21, v20
	v_lshl_add_u64 v[18:19], v[18:19], 2, s[16:17]
	global_load_dword v92, v[18:19], off
	v_add_u32_e32 v18, 1, v22
	v_ashrrev_i32_e32 v19, 31, v18
	v_mul_lo_u32 v20, v19, s28
	v_mul_lo_u32 v21, v18, s29
	v_mad_u64_u32 v[18:19], s[20:21], v18, s28, 0
	v_add3_u32 v19, v19, v21, v20
	v_add_u32_e32 v20, 2, v22
	v_ashrrev_i32_e32 v21, 31, v20
	v_mul_lo_u32 v23, v21, s28
	v_mul_lo_u32 v24, v20, s29
	v_mad_u64_u32 v[20:21], s[20:21], v20, s28, 0
	v_add_u32_e32 v22, 3, v22
	v_add3_u32 v21, v21, v24, v23
	v_ashrrev_i32_e32 v23, 31, v22
	v_mul_lo_u32 v26, v23, s28
	v_mul_lo_u32 v27, v22, s29
	v_mad_u64_u32 v[22:23], s[20:21], v22, s28, 0
	s_ashr_i32 s21, s53, 31
	s_add_u32 s20, s51, s53
	s_addc_u32 s21, s50, s21
	s_lshl_b64 s[20:21], s[20:21], 8
	v_lshl_add_u64 v[18:19], v[18:19], 2, s[16:17]
	v_lshl_add_u64 v[24:25], v[38:39], 0, s[20:21]
	v_add3_u32 v23, v23, v27, v26
	v_lshl_add_u64 v[20:21], v[20:21], 2, s[16:17]
	global_load_ushort v93, v[24:25], off
	global_load_ushort v94, v[24:25], off offset:256
	global_load_ushort v95, v[24:25], off offset:512
	;; [unrolled: 1-line block ×3, first 2 shown]
	v_lshl_add_u64 v[22:23], v[22:23], 2, s[16:17]
	global_load_dword v97, v[18:19], off
	global_load_dword v98, v[20:21], off
	global_load_dword v99, v[22:23], off
	s_load_dword s20, s[38:39], 0x0
	ds_read_b64 v[26:27], v66 offset:24576
	ds_read2st64_b64 v[22:25], v71 offset1:1
	ds_read2st64_b64 v[28:31], v71 offset0:2 offset1:3
	ds_read_b64 v[32:33], v68 offset:24576
	ds_read_b64 v[88:89], v69 offset:24576
	;; [unrolled: 1-line block ×3, first 2 shown]
	s_waitcnt lgkmcnt(0)
	v_mfma_f32_16x16x16_bf16 a[0:3], v[26:27], v[22:23], a[0:3]
	v_mov_b32_e32 v87, 0
	v_mov_b32_e32 v18, 0
	v_mov_b32_e32 v19, 0
	v_mfma_f32_16x16x16_bf16 a[0:3], v[32:33], v[24:25], a[0:3]
	v_mov_b32_e32 v20, 0
	v_mov_b32_e32 v21, 0
	v_mov_b32_e32 v22, 0
	;; [unrolled: 4-line block ×4, first 2 shown]
	s_and_b64 vcc, exec, s[0:1]
	s_waitcnt vmcnt(7)
	v_sub_f32_e32 v29, s20, v92
	v_mul_f32_e32 v29, 0x3fb8aa3b, v29
	v_exp_f32_e32 v92, v29
	v_accvgpr_read_b32 v33, a1
	v_accvgpr_read_b32 v31, a3
	v_accvgpr_read_b32 v30, a2
	v_accvgpr_read_b32 v32, a0
	s_waitcnt vmcnt(6)
	v_lshlrev_b32_e32 v88, 16, v93
	s_waitcnt vmcnt(5)
	v_lshlrev_b32_e32 v89, 16, v94
	;; [unrolled: 2-line block ×3, first 2 shown]
	s_waitcnt vmcnt(2)
	v_sub_f32_e32 v93, s20, v97
	s_waitcnt vmcnt(1)
	v_sub_f32_e32 v94, s20, v98
	;; [unrolled: 2-line block ×3, first 2 shown]
	v_mul_f32_e32 v29, 0x3fb8aa3b, v93
	v_mul_f32_e32 v94, 0x3fb8aa3b, v94
	;; [unrolled: 1-line block ×3, first 2 shown]
	v_exp_f32_e32 v93, v29
	v_exp_f32_e32 v94, v94
	;; [unrolled: 1-line block ×3, first 2 shown]
	v_lshlrev_b32_e32 v91, 16, v96
	v_pk_add_f32 v[32:33], v[88:89], v[32:33] neg_lo:[0,1] neg_hi:[0,1]
	v_pk_add_f32 v[30:31], v[90:91], v[30:31] neg_lo:[0,1] neg_hi:[0,1]
	v_pk_mul_f32 v[32:33], v[92:93], v[32:33]
	v_pk_mul_f32 v[30:31], v[94:95], v[30:31]
	v_mov_b32_e32 v29, 0
	v_perm_b32 v31, v31, v30, s3
	v_perm_b32 v30, v33, v32, s3
	ds_write_b64 v63, v[30:31]
	v_mov_b32_e32 v30, 0
	v_mov_b32_e32 v31, 0
	v_mov_b32_e32 v32, 0
	v_mov_b32_e32 v33, 0
	s_cbranch_vccnz .LBB612_40
; %bb.39:                               ;   in Loop: Header=BB612_32 Depth=1
	s_and_b32 s25, s25, 0xffff
	s_mov_b32 s27, s23
	buffer_load_dwordx4 v[30:33], v77, s[24:27], 0 offen
	buffer_load_dwordx4 v[22:25], v77, s[24:27], s55 offen
	;; [unrolled: 1-line block ×4, first 2 shown]
	v_mov_b32_e32 v86, v57
	v_mov_b32_e32 v87, v56
.LBB612_40:                             ;   in Loop: Header=BB612_32 Depth=1
	s_waitcnt lgkmcnt(0)
	s_barrier
	ds_read_b64 v[96:97], v80
	ds_read2st64_b64 v[88:91], v71 offset1:1
	ds_read2st64_b64 v[92:95], v71 offset0:2 offset1:3
	ds_read_b64 v[98:99], v81
	ds_read_b64 v[100:101], v82
	;; [unrolled: 1-line block ×3, first 2 shown]
	s_waitcnt lgkmcnt(4)
	v_mfma_f32_16x16x16_bf16 a[0:3], v[96:97], v[88:89], 0
	ds_read_b64 v[96:97], v73 offset:8192
	ds_read_b64 v[104:105], v74 offset:8192
	s_add_i32 s21, s52, s58
	s_mul_hi_i32 s25, s21, s13
	s_waitcnt lgkmcnt(1)
	v_mfma_f32_16x16x16_bf16 a[4:7], v[96:97], v[88:89], 0
	s_mul_i32 s21, s21, s13
	s_add_u32 s24, s21, s45
	s_addc_u32 s25, s25, s47
	v_mfma_f32_16x16x16_bf16 a[0:3], v[98:99], v[90:91], a[0:3]
	ds_read_b64 v[96:97], v35
	ds_read_b64 v[98:99], v72
	ds_read_b64 v[88:89], v75 offset:8192
	s_lshl_b64 s[24:25], s[24:25], 15
	v_mfma_f32_16x16x16_bf16 a[0:3], v[100:101], v[92:93], a[0:3]
	ds_read_b64 v[100:101], v76 offset:8192
	s_and_b64 vcc, exec, s[0:1]
	s_waitcnt lgkmcnt(4)
	v_mfma_f32_16x16x16_bf16 a[4:7], v[104:105], v[90:91], a[4:7]
	s_waitcnt lgkmcnt(1)
	v_mfma_f32_16x16x16_bf16 a[4:7], v[88:89], v[92:93], a[4:7]
	v_lshl_add_u64 v[88:89], v[36:37], 0, s[24:25]
	global_store_dwordx4 v[88:89], v[96:99], off
	v_mfma_f32_16x16x16_bf16 a[0:3], v[102:103], v[94:95], a[0:3]
	s_waitcnt lgkmcnt(0)
	v_mfma_f32_16x16x16_bf16 a[4:7], v[100:101], v[94:95], a[4:7]
	s_cbranch_vccnz .LBB612_42
; %bb.41:                               ;   in Loop: Header=BB612_32 Depth=1
	v_lshrrev_b32_e32 v88, 3, v86
	v_and_b32_e32 v88, 6, v88
	v_xor_b32_e32 v87, v88, v87
	v_lshlrev_b32_e32 v87, 2, v87
	v_and_b32_e32 v86, 8, v86
	v_xor_b32_e32 v89, 0x440, v87
	v_cmp_eq_u32_e32 vcc, 0, v86
	s_barrier
	s_nop 0
	v_cndmask_b32_e32 v86, v89, v87, vcc
	v_lshl_or_b32 v86, v88, 10, v86
	s_waitcnt vmcnt(2)
	v_perm_b32 v87, v30, v26, s56
	s_waitcnt vmcnt(1)
	v_perm_b32 v88, v22, v18, s56
	ds_write2st64_b32 v86, v87, v88 offset1:32
	v_xor_b32_e32 v87, 8, v86
	v_perm_b32 v26, v30, v26, s57
	v_perm_b32 v18, v22, v18, s57
	v_add_u32_e32 v22, 0x80, v87
	ds_write2st64_b32 v22, v26, v18 offset1:32
	v_xor_b32_e32 v18, 16, v86
	v_perm_b32 v22, v31, v27, s56
	v_perm_b32 v26, v23, v19, s56
	ds_write2st64_b32 v18, v22, v26 offset0:1 offset1:33
	v_xor_b32_e32 v18, 24, v86
	v_perm_b32 v22, v31, v27, s57
	v_perm_b32 v19, v23, v19, s57
	v_add_u32_e32 v18, 0x80, v18
	ds_write2st64_b32 v18, v22, v19 offset0:1 offset1:33
	v_xor_b32_e32 v18, 32, v86
	v_perm_b32 v19, v32, v28, s56
	v_perm_b32 v22, v24, v20, s56
	ds_write2st64_b32 v18, v19, v22 offset0:2 offset1:34
	v_xor_b32_e32 v18, 40, v86
	v_perm_b32 v19, v32, v28, s57
	v_perm_b32 v20, v24, v20, s57
	v_add_u32_e32 v18, 0x80, v18
	ds_write2st64_b32 v18, v19, v20 offset0:2 offset1:34
	v_xor_b32_e32 v18, 48, v86
	v_perm_b32 v19, v33, v29, s56
	v_perm_b32 v20, v25, v21, s56
	ds_write2st64_b32 v18, v19, v20 offset0:3 offset1:35
	v_xor_b32_e32 v18, 56, v86
	v_perm_b32 v19, v33, v29, s57
	v_perm_b32 v20, v25, v21, s57
	v_add_u32_e32 v18, 0x80, v18
	ds_write2st64_b32 v18, v19, v20 offset0:3 offset1:35
	ds_write_b64 v85, v[14:15] offset:16384
	v_xor_b32_e32 v14, 8, v85
	ds_write_b64 v14, v[16:17] offset:16384
	ds_write_b64 v85, v[10:11] offset:24576
	;; [unrolled: 1-line block ×4, first 2 shown]
	v_xor_b32_e32 v6, 8, v84
	ds_write_b64 v6, v[8:9] offset:16384
	ds_write_b64 v84, v[2:3] offset:24576
	;; [unrolled: 1-line block ×3, first 2 shown]
.LBB612_42:                             ;   in Loop: Header=BB612_32 Depth=1
	v_mul_f32_e32 v2, s20, v79
	v_exp_f32_e32 v4, v2
	s_nop 1
	v_accvgpr_read_b32 v2, a0
	v_accvgpr_read_b32 v3, a1
	s_add_i32 s53, s53, 64
	v_fma_f32 v50, v50, v4, v2
	v_accvgpr_read_b32 v2, a2
	v_fma_f32 v52, v52, v4, v2
	v_accvgpr_read_b32 v2, a4
	v_fma_f32 v51, v51, v4, v2
	v_accvgpr_read_b32 v2, a5
	v_fma_f32 v49, v49, v4, v2
	v_accvgpr_read_b32 v2, a6
	v_fma_f32 v48, v48, v4, v3
	v_accvgpr_read_b32 v3, a3
	v_fma_f32 v53, v53, v4, v2
	v_accvgpr_read_b32 v2, a7
	v_fmac_f32_e32 v3, v54, v4
	s_cmp_eq_u32 s46, s35
	v_fmac_f32_e32 v2, v55, v4
	s_cbranch_scc1 .LBB612_4
; %bb.43:                               ;   in Loop: Header=BB612_32 Depth=1
	s_mov_b32 s58, s35
	v_mov_b32_e32 v54, v3
	v_mov_b32_e32 v55, v2
	s_branch .LBB612_32
.LBB612_44:
                                        ; implicit-def: $vgpr5
                                        ; implicit-def: $vgpr9
                                        ; implicit-def: $vgpr13
                                        ; implicit-def: $vgpr17
	s_cbranch_execz .LBB612_46
; %bb.45:
	s_waitcnt vmcnt(0)
	v_mad_u64_u32 v[2:3], s[0:1], v20, s15, v[18:19]
	v_lshlrev_b32_e32 v20, 1, v2
	s_lshl_b32 s2, s15, 7
	s_and_b32 s1, s5, 0xffff
	s_mov_b32 s3, 0x20000
	s_mov_b32 s0, s4
	v_add_lshl_u32 v21, v2, s15, 1
	s_movk_i32 s13, 0x80
	buffer_load_dwordx4 v[2:5], v20, s[0:3], 0 offen
	buffer_load_dwordx4 v[10:13], v20, s[0:3], s13 offen
	;; [unrolled: 1-line block ×4, first 2 shown]
.LBB612_46:
	v_lshrrev_b32_e32 v38, 2, v40
	s_cbranch_execnz .LBB612_59
.LBB612_47:
	s_and_b64 vcc, exec, s[6:7]
	s_cbranch_vccz .LBB612_57
; %bb.48:
	s_waitcnt vmcnt(0)
	v_lshlrev_b32_e32 v7, 1, v35
	v_cmp_gt_i32_e32 vcc, s27, v7
	v_mov_b32_e32 v6, 0
	v_lshlrev_b32_e32 v14, 9, v35
	v_mov_b32_e32 v2, 0
	v_mov_b32_e32 v3, 0
	v_mov_b32_e32 v4, 0
	v_mov_b32_e32 v5, 0
	s_and_saveexec_b64 s[0:1], vcc
	s_cbranch_execz .LBB612_50
; %bb.49:
	v_mov_b32_e32 v15, 0
	v_lshl_add_u64 v[2:3], s[4:5], 0, v[14:15]
	v_lshlrev_b32_e32 v4, 1, v18
	v_mov_b32_e32 v5, v15
	v_lshl_add_u64 v[2:3], v[2:3], 0, v[4:5]
	global_load_dwordx4 v[2:5], v[2:3], off
.LBB612_50:
	s_or_b64 exec, exec, s[0:1]
	v_or_b32_e32 v7, 1, v7
	v_cmp_gt_i32_e64 s[0:1], s27, v7
	v_lshlrev_b32_e32 v20, 8, v7
	v_mov_b32_e32 v7, 0
	v_mov_b32_e32 v8, 0
	;; [unrolled: 1-line block ×3, first 2 shown]
	s_and_saveexec_b64 s[2:3], s[0:1]
	s_cbranch_execz .LBB612_52
; %bb.51:
	v_mov_b32_e32 v21, 0
	v_lshl_add_u64 v[6:7], s[4:5], 0, v[20:21]
	v_lshlrev_b32_e32 v8, 1, v18
	v_mov_b32_e32 v9, v21
	v_lshl_add_u64 v[6:7], v[6:7], 0, v[8:9]
	global_load_dwordx4 v[6:9], v[6:7], off
.LBB612_52:
	s_or_b64 exec, exec, s[2:3]
	v_mov_b32_e32 v17, 0
	v_mov_b32_e32 v10, 0
	;; [unrolled: 1-line block ×5, first 2 shown]
	s_and_saveexec_b64 s[2:3], vcc
	s_cbranch_execz .LBB612_54
; %bb.53:
	v_mov_b32_e32 v15, 0
	v_lshl_add_u64 v[10:11], s[4:5], 0, v[14:15]
	v_lshlrev_b32_e32 v14, 1, v18
	v_lshl_add_u64 v[10:11], v[10:11], 0, v[14:15]
	global_load_dwordx4 v[10:13], v[10:11], off offset:128
.LBB612_54:
	s_or_b64 exec, exec, s[2:3]
	v_mov_b32_e32 v16, 0
	v_mov_b32_e32 v15, 0
	;; [unrolled: 1-line block ×3, first 2 shown]
	s_and_saveexec_b64 s[2:3], s[0:1]
	s_cbranch_execz .LBB612_56
; %bb.55:
	v_mov_b32_e32 v21, 0
	v_lshl_add_u64 v[14:15], s[4:5], 0, v[20:21]
	v_lshlrev_b32_e32 v20, 1, v18
	v_lshl_add_u64 v[14:15], v[14:15], 0, v[20:21]
	global_load_dwordx4 v[14:17], v[14:15], off offset:128
.LBB612_56:
	s_or_b64 exec, exec, s[2:3]
	s_branch .LBB612_59
.LBB612_57:
                                        ; implicit-def: $vgpr5
                                        ; implicit-def: $vgpr9
                                        ; implicit-def: $vgpr13
                                        ; implicit-def: $vgpr17
	s_cbranch_execz .LBB612_59
; %bb.58:
	s_waitcnt vmcnt(0)
	v_lshlrev_b32_e32 v2, 1, v18
	v_lshl_or_b32 v18, v35, 9, v2
	s_and_b32 s5, s5, 0xffff
	s_mov_b32 s7, 0x20000
	s_movk_i32 s6, 0x4000
	s_movk_i32 s0, 0x80
	buffer_load_dwordx4 v[2:5], v18, s[4:7], 0 offen
	buffer_load_dwordx4 v[6:9], v18, s[4:7], 0 offen offset:256
	buffer_load_dwordx4 v[10:13], v18, s[4:7], s0 offen
	buffer_load_dwordx4 v[14:17], v18, s[4:7], s0 offen offset:256
.LBB612_59:
	ds_read2st64_b64 v[22:25], v19 offset0:76 offset1:77
	ds_read2st64_b64 v[18:21], v19 offset0:78 offset1:79
	ds_read_b64 v[30:31], v26 offset:24576
	ds_read_b64 v[32:33], v27 offset:24576
	ds_read_b64 v[28:29], v28 offset:24576
	ds_read_b64 v[26:27], v37 offset:24576
	v_and_b32_e32 v37, 6, v0
	v_xor_b32_e32 v35, v35, v37
	v_lshlrev_b32_e32 v35, 2, v35
	v_and_b32_e32 v0, 1, v0
	v_xor_b32_e32 v39, 0x440, v35
	v_cmp_eq_u32_e32 vcc, 0, v0
	s_mov_b32 s0, 0x1000504
	s_mov_b32 s1, 0x3020706
	v_cndmask_b32_e32 v0, v39, v35, vcc
	v_lshl_or_b32 v0, v37, 10, v0
	s_waitcnt vmcnt(0)
	v_perm_b32 v35, v2, v6, s0
	v_perm_b32 v37, v10, v14, s0
	ds_write2st64_b32 v0, v35, v37 offset1:32
	v_xor_b32_e32 v35, 8, v0
	v_perm_b32 v2, v2, v6, s1
	v_perm_b32 v6, v10, v14, s1
	v_add_u32_e32 v10, 0x80, v35
	ds_write2st64_b32 v10, v2, v6 offset1:32
	v_xor_b32_e32 v2, 16, v0
	v_perm_b32 v6, v3, v7, s0
	v_perm_b32 v10, v11, v15, s0
	ds_write2st64_b32 v2, v6, v10 offset0:1 offset1:33
	v_xor_b32_e32 v2, 24, v0
	v_perm_b32 v3, v3, v7, s1
	v_perm_b32 v6, v11, v15, s1
	v_add_u32_e32 v2, 0x80, v2
	ds_write2st64_b32 v2, v3, v6 offset0:1 offset1:33
	v_xor_b32_e32 v2, 32, v0
	v_perm_b32 v3, v4, v8, s0
	v_perm_b32 v6, v12, v16, s0
	ds_write2st64_b32 v2, v3, v6 offset0:2 offset1:34
	v_xor_b32_e32 v2, 40, v0
	v_perm_b32 v3, v4, v8, s1
	v_perm_b32 v4, v12, v16, s1
	v_add_u32_e32 v2, 0x80, v2
	ds_write2st64_b32 v2, v3, v4 offset0:2 offset1:34
	v_xor_b32_e32 v2, 48, v0
	v_perm_b32 v3, v5, v9, s0
	v_perm_b32 v4, v13, v17, s0
	v_xor_b32_e32 v0, 56, v0
	v_and_or_b32 v6, v38, 12, v1
	ds_write2st64_b32 v2, v3, v4 offset0:3 offset1:35
	v_perm_b32 v2, v5, v9, s1
	v_perm_b32 v3, v13, v17, s1
	v_add_u32_e32 v0, 0x80, v0
	v_cmp_gt_i32_e32 vcc, s27, v6
	v_mov_b32_e32 v7, 0
	v_mov_b32_e32 v11, 0
	ds_write2st64_b32 v0, v2, v3 offset0:3 offset1:35
	s_and_saveexec_b64 s[0:1], vcc
	s_cbranch_execz .LBB612_61
; %bb.60:
	v_add_u32_e32 v0, s26, v6
	v_ashrrev_i32_e32 v1, 31, v0
	v_mul_lo_u32 v2, v1, s28
	v_mul_lo_u32 v3, v0, s29
	v_mad_u64_u32 v[0:1], s[2:3], v0, s28, 0
	v_add3_u32 v1, v1, v3, v2
	v_lshl_add_u64 v[0:1], v[0:1], 2, s[10:11]
	global_load_dword v0, v[0:1], off
	s_waitcnt vmcnt(0)
	v_sub_f32_e32 v0, s12, v0
	v_mul_f32_e32 v0, 0x3fb8aa3b, v0
	v_exp_f32_e32 v11, v0
.LBB612_61:
	s_or_b64 exec, exec, s[0:1]
	v_or_b32_e32 v9, 1, v6
	v_cmp_gt_i32_e64 s[0:1], s27, v9
	s_and_saveexec_b64 s[2:3], s[0:1]
	s_cbranch_execz .LBB612_63
; %bb.62:
	v_add_u32_e32 v0, s26, v9
	v_ashrrev_i32_e32 v1, 31, v0
	v_mul_lo_u32 v2, v1, s28
	v_mul_lo_u32 v3, v0, s29
	v_mad_u64_u32 v[0:1], s[4:5], v0, s28, 0
	v_add3_u32 v1, v1, v3, v2
	v_lshl_add_u64 v[0:1], v[0:1], 2, s[10:11]
	global_load_dword v0, v[0:1], off
	s_waitcnt vmcnt(0)
	v_sub_f32_e32 v0, s12, v0
	v_mul_f32_e32 v0, 0x3fb8aa3b, v0
	v_exp_f32_e32 v7, v0
.LBB612_63:
	s_or_b64 exec, exec, s[2:3]
	v_or_b32_e32 v10, 2, v6
	v_cmp_gt_i32_e64 s[2:3], s27, v10
	v_mov_b32_e32 v8, 0
	v_mov_b32_e32 v13, 0
	s_and_saveexec_b64 s[4:5], s[2:3]
	s_cbranch_execz .LBB612_65
; %bb.64:
	v_add_u32_e32 v0, s26, v10
	v_ashrrev_i32_e32 v1, 31, v0
	v_mul_lo_u32 v2, v1, s28
	v_mul_lo_u32 v3, v0, s29
	v_mad_u64_u32 v[0:1], s[6:7], v0, s28, 0
	v_add3_u32 v1, v1, v3, v2
	v_lshl_add_u64 v[0:1], v[0:1], 2, s[10:11]
	global_load_dword v0, v[0:1], off
	s_waitcnt vmcnt(0)
	v_sub_f32_e32 v0, s12, v0
	v_mul_f32_e32 v0, 0x3fb8aa3b, v0
	v_exp_f32_e32 v13, v0
.LBB612_65:
	s_or_b64 exec, exec, s[4:5]
	v_or_b32_e32 v12, 3, v6
	v_cmp_gt_i32_e64 s[4:5], s27, v12
	s_and_saveexec_b64 s[6:7], s[4:5]
	s_cbranch_execz .LBB612_67
; %bb.66:
	v_add_u32_e32 v0, s26, v12
	v_ashrrev_i32_e32 v1, 31, v0
	v_mul_lo_u32 v2, v1, s28
	v_mul_lo_u32 v3, v0, s29
	v_mad_u64_u32 v[0:1], s[14:15], v0, s28, 0
	v_add3_u32 v1, v1, v3, v2
	v_lshl_add_u64 v[0:1], v[0:1], 2, s[10:11]
	global_load_dword v0, v[0:1], off
	s_waitcnt vmcnt(0)
	v_sub_f32_e32 v0, s12, v0
	v_mul_f32_e32 v0, 0x3fb8aa3b, v0
	v_exp_f32_e32 v8, v0
.LBB612_67:
	s_or_b64 exec, exec, s[6:7]
	s_waitcnt lgkmcnt(11)
	v_mfma_f32_16x16x16_bf16 a[0:3], v[30:31], v[22:23], a[0:3]
	s_add_u32 s6, s8, s20
	v_ashrrev_i32_e32 v35, 31, v34
	s_addc_u32 s7, s9, s21
	s_waitcnt lgkmcnt(10)
	v_mfma_f32_16x16x16_bf16 a[0:3], v[32:33], v[24:25], a[0:3]
	v_mov_b32_e32 v14, 0
	v_lshl_add_u64 v[4:5], v[34:35], 1, s[6:7]
	v_mov_b32_e32 v15, 0
	s_waitcnt lgkmcnt(9)
	v_mfma_f32_16x16x16_bf16 a[0:3], v[28:29], v[18:19], a[0:3]
	s_waitcnt lgkmcnt(8)
	v_mfma_f32_16x16x16_bf16 a[0:3], v[26:27], v[20:21], a[0:3]
	s_nop 6
	v_accvgpr_read_b32 v0, a0
	v_accvgpr_read_b32 v1, a1
	;; [unrolled: 1-line block ×4, first 2 shown]
	s_and_saveexec_b64 s[6:7], vcc
	s_cbranch_execz .LBB612_69
; %bb.68:
	v_lshlrev_b32_e32 v16, 8, v6
	v_mov_b32_e32 v17, 0
	v_lshl_add_u64 v[16:17], v[4:5], 0, v[16:17]
	global_load_ushort v15, v[16:17], off
	s_waitcnt vmcnt(0)
	v_lshlrev_b32_e32 v15, 16, v15
	v_sub_f32_e32 v0, v15, v0
	v_mul_f32_e32 v0, v11, v0
	v_lshrrev_b32_e32 v15, 16, v0
.LBB612_69:
	s_or_b64 exec, exec, s[6:7]
	s_and_saveexec_b64 s[6:7], s[0:1]
	s_cbranch_execz .LBB612_71
; %bb.70:
	v_lshlrev_b32_e32 v16, 8, v9
	v_mov_b32_e32 v17, 0
	v_lshl_add_u64 v[16:17], v[4:5], 0, v[16:17]
	global_load_ushort v0, v[16:17], off
	s_waitcnt vmcnt(0)
	v_lshlrev_b32_e32 v0, 16, v0
	v_sub_f32_e32 v0, v0, v1
	v_mul_f32_e32 v0, v7, v0
	v_lshrrev_b32_e32 v14, 16, v0
.LBB612_71:
	s_or_b64 exec, exec, s[6:7]
	v_mov_b32_e32 v0, 0
	v_mov_b32_e32 v1, 0
	s_and_saveexec_b64 s[0:1], s[2:3]
	s_cbranch_execz .LBB612_73
; %bb.72:
	v_lshlrev_b32_e32 v10, 8, v10
	v_mov_b32_e32 v11, 0
	v_lshl_add_u64 v[10:11], v[4:5], 0, v[10:11]
	global_load_ushort v1, v[10:11], off
	s_waitcnt vmcnt(0)
	v_lshlrev_b32_e32 v1, 16, v1
	v_sub_f32_e32 v1, v1, v2
	v_mul_f32_e32 v1, v13, v1
	v_lshrrev_b32_e32 v1, 16, v1
.LBB612_73:
	s_or_b64 exec, exec, s[0:1]
	s_and_saveexec_b64 s[0:1], s[4:5]
	s_cbranch_execz .LBB612_75
; %bb.74:
	v_lshlrev_b32_e32 v10, 8, v12
	v_mov_b32_e32 v11, 0
	v_lshl_add_u64 v[4:5], v[4:5], 0, v[10:11]
	global_load_ushort v0, v[4:5], off
	s_waitcnt vmcnt(0)
	v_lshlrev_b32_e32 v0, 16, v0
	v_sub_f32_e32 v0, v0, v3
	v_mul_f32_e32 v0, v8, v0
	v_lshrrev_b32_e32 v0, 16, v0
.LBB612_75:
	s_or_b64 exec, exec, s[0:1]
	s_mov_b32 s0, 0x5040100
	v_lshlrev_b32_e32 v2, 1, v36
	v_perm_b32 v1, v0, v1, s0
	v_perm_b32 v0, v14, v15, s0
	v_lshl_or_b32 v2, v6, 5, v2
	ds_write_b64 v2, v[0:1] offset:38912
	s_waitcnt lgkmcnt(0)
	s_barrier
.LBB612_76:
	s_endpgm
	.section	.rodata,"a",@progbits
	.p2align	6, 0x0
	.amdhsa_kernel _ZN12_GLOBAL__N_139chunk_gated_delta_rule_fwd_h_hip_kernelILi16ELb1ELb0ELb0ELb1ELb0ELb0ELb1ELb1EEEvPK12hip_bfloat16S3_S3_PKfS5_PKvPS1_S8_PvPKiSB_iiiiilll
		.amdhsa_group_segment_fixed_size 40960
		.amdhsa_private_segment_fixed_size 0
		.amdhsa_kernarg_size 136
		.amdhsa_user_sgpr_count 2
		.amdhsa_user_sgpr_dispatch_ptr 0
		.amdhsa_user_sgpr_queue_ptr 0
		.amdhsa_user_sgpr_kernarg_segment_ptr 1
		.amdhsa_user_sgpr_dispatch_id 0
		.amdhsa_user_sgpr_kernarg_preload_length 0
		.amdhsa_user_sgpr_kernarg_preload_offset 0
		.amdhsa_user_sgpr_private_segment_size 0
		.amdhsa_uses_dynamic_stack 0
		.amdhsa_enable_private_segment 0
		.amdhsa_system_sgpr_workgroup_id_x 1
		.amdhsa_system_sgpr_workgroup_id_y 1
		.amdhsa_system_sgpr_workgroup_id_z 0
		.amdhsa_system_sgpr_workgroup_info 0
		.amdhsa_system_vgpr_workitem_id 0
		.amdhsa_next_free_vgpr 116
		.amdhsa_next_free_sgpr 59
		.amdhsa_accum_offset 108
		.amdhsa_reserve_vcc 1
		.amdhsa_float_round_mode_32 0
		.amdhsa_float_round_mode_16_64 0
		.amdhsa_float_denorm_mode_32 3
		.amdhsa_float_denorm_mode_16_64 3
		.amdhsa_dx10_clamp 1
		.amdhsa_ieee_mode 1
		.amdhsa_fp16_overflow 0
		.amdhsa_tg_split 0
		.amdhsa_exception_fp_ieee_invalid_op 0
		.amdhsa_exception_fp_denorm_src 0
		.amdhsa_exception_fp_ieee_div_zero 0
		.amdhsa_exception_fp_ieee_overflow 0
		.amdhsa_exception_fp_ieee_underflow 0
		.amdhsa_exception_fp_ieee_inexact 0
		.amdhsa_exception_int_div_zero 0
	.end_amdhsa_kernel
	.section	.text._ZN12_GLOBAL__N_139chunk_gated_delta_rule_fwd_h_hip_kernelILi16ELb1ELb0ELb0ELb1ELb0ELb0ELb1ELb1EEEvPK12hip_bfloat16S3_S3_PKfS5_PKvPS1_S8_PvPKiSB_iiiiilll,"axG",@progbits,_ZN12_GLOBAL__N_139chunk_gated_delta_rule_fwd_h_hip_kernelILi16ELb1ELb0ELb0ELb1ELb0ELb0ELb1ELb1EEEvPK12hip_bfloat16S3_S3_PKfS5_PKvPS1_S8_PvPKiSB_iiiiilll,comdat
.Lfunc_end612:
	.size	_ZN12_GLOBAL__N_139chunk_gated_delta_rule_fwd_h_hip_kernelILi16ELb1ELb0ELb0ELb1ELb0ELb0ELb1ELb1EEEvPK12hip_bfloat16S3_S3_PKfS5_PKvPS1_S8_PvPKiSB_iiiiilll, .Lfunc_end612-_ZN12_GLOBAL__N_139chunk_gated_delta_rule_fwd_h_hip_kernelILi16ELb1ELb0ELb0ELb1ELb0ELb0ELb1ELb1EEEvPK12hip_bfloat16S3_S3_PKfS5_PKvPS1_S8_PvPKiSB_iiiiilll
                                        ; -- End function
	.section	.AMDGPU.csdata,"",@progbits
; Kernel info:
; codeLenInByte = 7124
; NumSgprs: 65
; NumVgprs: 106
; NumAgprs: 8
; TotalNumVgprs: 116
; ScratchSize: 0
; MemoryBound: 0
; FloatMode: 240
; IeeeMode: 1
; LDSByteSize: 40960 bytes/workgroup (compile time only)
; SGPRBlocks: 8
; VGPRBlocks: 14
; NumSGPRsForWavesPerEU: 65
; NumVGPRsForWavesPerEU: 116
; AccumOffset: 108
; Occupancy: 1
; WaveLimiterHint : 1
; COMPUTE_PGM_RSRC2:SCRATCH_EN: 0
; COMPUTE_PGM_RSRC2:USER_SGPR: 2
; COMPUTE_PGM_RSRC2:TRAP_HANDLER: 0
; COMPUTE_PGM_RSRC2:TGID_X_EN: 1
; COMPUTE_PGM_RSRC2:TGID_Y_EN: 1
; COMPUTE_PGM_RSRC2:TGID_Z_EN: 0
; COMPUTE_PGM_RSRC2:TIDIG_COMP_CNT: 0
; COMPUTE_PGM_RSRC3_GFX90A:ACCUM_OFFSET: 26
; COMPUTE_PGM_RSRC3_GFX90A:TG_SPLIT: 0
	.section	.text._ZN12_GLOBAL__N_139chunk_gated_delta_rule_fwd_h_hip_kernelILi16ELb0ELb1ELb1ELb1ELb0ELb0ELb1ELb1EEEvPK12hip_bfloat16S3_S3_PKfS5_PKvPS1_S8_PvPKiSB_iiiiilll,"axG",@progbits,_ZN12_GLOBAL__N_139chunk_gated_delta_rule_fwd_h_hip_kernelILi16ELb0ELb1ELb1ELb1ELb0ELb0ELb1ELb1EEEvPK12hip_bfloat16S3_S3_PKfS5_PKvPS1_S8_PvPKiSB_iiiiilll,comdat
	.globl	_ZN12_GLOBAL__N_139chunk_gated_delta_rule_fwd_h_hip_kernelILi16ELb0ELb1ELb1ELb1ELb0ELb0ELb1ELb1EEEvPK12hip_bfloat16S3_S3_PKfS5_PKvPS1_S8_PvPKiSB_iiiiilll ; -- Begin function _ZN12_GLOBAL__N_139chunk_gated_delta_rule_fwd_h_hip_kernelILi16ELb0ELb1ELb1ELb1ELb0ELb0ELb1ELb1EEEvPK12hip_bfloat16S3_S3_PKfS5_PKvPS1_S8_PvPKiSB_iiiiilll
	.p2align	8
	.type	_ZN12_GLOBAL__N_139chunk_gated_delta_rule_fwd_h_hip_kernelILi16ELb0ELb1ELb1ELb1ELb0ELb0ELb1ELb1EEEvPK12hip_bfloat16S3_S3_PKfS5_PKvPS1_S8_PvPKiSB_iiiiilll,@function
_ZN12_GLOBAL__N_139chunk_gated_delta_rule_fwd_h_hip_kernelILi16ELb0ELb1ELb1ELb1ELb0ELb0ELb1ELb1EEEvPK12hip_bfloat16S3_S3_PKfS5_PKvPS1_S8_PvPKiSB_iiiiilll: ; @_ZN12_GLOBAL__N_139chunk_gated_delta_rule_fwd_h_hip_kernelILi16ELb0ELb1ELb1ELb1ELb0ELb0ELb1ELb1EEEvPK12hip_bfloat16S3_S3_PKfS5_PKvPS1_S8_PvPKiSB_iiiiilll
; %bb.0:
	s_load_dwordx4 s[20:23], s[0:1], 0x5c
	s_abs_i32 s27, s3
	s_ashr_i32 s26, s3, 31
	s_load_dwordx2 s[24:25], s[0:1], 0x50
	s_load_dwordx8 s[4:11], s[0:1], 0x30
	s_load_dwordx8 s[12:19], s[0:1], 0x0
	s_waitcnt lgkmcnt(0)
	s_abs_i32 s30, s21
	v_cvt_f32_u32_e32 v1, s30
	s_sub_i32 s28, 0, s30
	s_ashr_i32 s33, s21, 31
	s_xor_b32 s26, s26, s33
	v_rcp_iflag_f32_e32 v1, v1
	v_lshrrev_b32_e32 v48, 6, v0
	v_bfe_u32 v51, v0, 4, 2
	v_lshlrev_b32_e32 v49, 4, v48
	v_mul_f32_e32 v1, 0x4f7ffffe, v1
	v_cvt_u32_f32_e32 v1, v1
	v_lshlrev_b32_e32 v10, 2, v51
	v_and_b32_e32 v50, 63, v0
	v_mov_b32_e32 v9, 0
	v_readfirstlane_b32 s29, v1
	s_mul_i32 s28, s28, s29
	s_mul_hi_u32 s28, s29, s28
	s_add_i32 s29, s29, s28
	s_mul_hi_u32 s28, s27, s29
	s_mul_i32 s29, s28, s30
	s_sub_i32 s27, s27, s29
	s_add_i32 s31, s28, 1
	s_sub_i32 s29, s27, s30
	s_cmp_ge_u32 s27, s30
	s_cselect_b32 s28, s31, s28
	s_cselect_b32 s27, s29, s27
	s_add_i32 s29, s28, 1
	s_cmp_ge_u32 s27, s30
	s_cselect_b32 s27, s29, s28
	s_xor_b32 s27, s27, s26
	s_sub_i32 s34, s27, s26
	s_mul_i32 s26, s34, s21
	s_ashr_i32 s35, s34, 31
	s_sub_i32 s46, s3, s26
	s_lshl_b64 s[26:27], s[34:35], 2
	s_add_u32 s10, s10, s26
	s_addc_u32 s11, s11, s27
	s_add_u32 s28, s24, s26
	s_addc_u32 s29, s25, s27
	s_abs_i32 s3, s22
	v_cvt_f32_u32_e32 v1, s3
	s_load_dwordx2 s[40:41], s[10:11], 0x0
	s_sub_i32 s11, 0, s3
	s_mov_b32 s47, s21
	v_rcp_iflag_f32_e32 v1, v1
	v_and_b32_e32 v52, 15, v0
	s_waitcnt lgkmcnt(0)
	s_sub_i32 s51, s41, s40
	s_ashr_i32 s10, s51, 31
	v_mul_f32_e32 v1, 0x4f7ffffe, v1
	v_cvt_u32_f32_e32 v1, v1
	s_lshr_b32 s10, s10, 26
	s_add_i32 s10, s51, s10
	s_ashr_i32 s52, s10, 6
	v_readfirstlane_b32 s24, v1
	s_mul_i32 s11, s11, s24
	s_mul_hi_u32 s11, s24, s11
	s_add_i32 s24, s24, s11
	s_mul_hi_u32 s11, s30, s24
	s_mul_i32 s24, s11, s3
	s_ashr_i32 s10, s22, 31
	s_sub_i32 s24, s30, s24
	s_xor_b32 s10, s33, s10
	s_add_i32 s25, s11, 1
	s_sub_i32 s26, s24, s3
	s_cmp_ge_u32 s24, s3
	s_cselect_b32 s11, s25, s11
	s_cselect_b32 s24, s26, s24
	s_add_i32 s25, s11, 1
	s_cmp_ge_u32 s24, s3
	s_cselect_b32 s3, s25, s11
	s_xor_b32 s3, s3, s10
	s_sub_i32 s3, s3, s10
	s_abs_i32 s30, s3
	v_cvt_f32_u32_e32 v1, s30
	s_load_dwordx2 s[10:11], s[0:1], 0x80
	s_load_dwordx4 s[24:27], s[0:1], 0x70
	s_load_dword s53, s[28:29], 0x0
	s_xor_b32 s0, s46, s3
	v_rcp_iflag_f32_e32 v1, v1
	s_sub_i32 s3, 0, s30
	s_abs_i32 s1, s46
	s_ashr_i32 s0, s0, 31
	v_mul_f32_e32 v1, 0x4f7ffffe, v1
	v_cvt_u32_f32_e32 v1, v1
	s_mul_hi_i32 s54, s46, s20
	s_mul_i32 s55, s46, s20
	v_lshrrev_b32_e32 v54, 3, v50
	v_readfirstlane_b32 s28, v1
	s_mul_i32 s3, s3, s28
	s_mul_hi_u32 s3, s28, s3
	s_add_i32 s28, s28, s3
	s_mul_hi_u32 s3, s1, s28
	s_mul_i32 s28, s3, s30
	s_sub_i32 s1, s1, s28
	s_add_i32 s28, s3, 1
	s_sub_i32 s29, s1, s30
	s_cmp_ge_u32 s1, s30
	s_cselect_b32 s3, s28, s3
	s_cselect_b32 s1, s29, s1
	s_add_i32 s28, s3, 1
	s_cmp_ge_u32 s1, s30
	s_cselect_b32 s1, s28, s3
	s_xor_b32 s1, s1, s0
	s_sub_i32 s56, s1, s0
	v_or_b32_e32 v1, v10, v49
	s_lshl_b32 s2, s2, 4
	v_or_b32_e32 v55, 64, v1
	s_cmp_lt_i32 s51, 64
	v_lshlrev_b32_e32 v53, 3, v0
	s_waitcnt lgkmcnt(0)
	s_mul_i32 s48, s34, s25
	s_mul_hi_u32 s49, s34, s24
	s_mul_i32 s50, s35, s24
	s_mul_i32 s42, s34, s24
	v_mov_b32_e32 v8, v9
	v_mov_b32_e32 v7, v9
	;; [unrolled: 1-line block ×7, first 2 shown]
	s_cbranch_scc1 .LBB613_18
; %bb.1:
	s_ashr_i32 s58, s46, 31
	s_ashr_i32 s1, s40, 31
	s_add_u32 s0, s55, s40
	s_addc_u32 s1, s54, s1
	s_lshl_b64 s[0:1], s[0:1], 8
	v_and_b32_e32 v57, 56, v53
	s_add_u32 s28, s14, s0
	v_lshl_or_b32 v56, v48, 3, v54
	v_lshlrev_b32_e32 v3, 1, v57
	s_addc_u32 s0, s15, s1
	v_lshl_or_b32 v58, v56, 8, v3
	s_and_b32 s29, s0, 0xffff
	s_mov_b32 s31, 0x20000
	s_movk_i32 s30, 0x4000
	s_movk_i32 s0, 0x80
	v_or_b32_e32 v59, 0x2000, v58
	buffer_load_dwordx4 v[4:7], v58, s[28:31], 0 offen
	buffer_load_dwordx4 v[12:15], v58, s[28:31], s0 offen
	;; [unrolled: 1-line block ×4, first 2 shown]
	v_lshlrev_b32_e32 v2, 3, v56
	v_and_or_b32 v9, v0, 7, v2
	v_and_b32_e32 v2, 0x78, v2
	v_lshlrev_b32_e32 v9, 4, v9
	v_xor_b32_e32 v60, v9, v2
	v_mul_lo_u32 v8, v56, s23
	v_or_b32_e32 v61, 0x1000, v60
	v_xor_b32_e32 v2, 8, v60
	s_cmpk_eq_i32 s23, 0x80
	s_mov_b32 s57, s40
	v_xor_b32_e32 v9, 8, v61
	s_cselect_b64 s[0:1], -1, 0
	s_cmpk_lg_i32 s23, 0x80
	s_waitcnt vmcnt(3)
	ds_write_b64 v60, v[4:5] offset:16384
	ds_write_b64 v2, v[6:7] offset:16384
	s_waitcnt vmcnt(2)
	ds_write_b64 v60, v[12:13] offset:24576
	ds_write_b64 v2, v[14:15] offset:24576
	;; [unrolled: 3-line block ×4, first 2 shown]
	v_lshl_add_u32 v2, v8, 1, v57
	s_cbranch_scc0 .LBB613_3
; %bb.2:
	v_lshlrev_b32_e32 v6, 1, v2
	v_add_lshl_u32 v5, v2, s23, 1
	s_lshl_b32 s30, s23, 7
	v_lshl_or_b32 v4, v56, 9, v3
	s_cbranch_execz .LBB613_4
	s_branch .LBB613_5
.LBB613_3:
                                        ; implicit-def: $vgpr5
                                        ; implicit-def: $vgpr6
                                        ; implicit-def: $sgpr30
	v_lshl_or_b32 v4, v56, 9, v3
.LBB613_4:
	v_or_b32_e32 v5, 0x100, v4
	s_movk_i32 s30, 0x4000
	v_mov_b32_e32 v6, v4
.LBB613_5:
	s_mul_i32 s24, s40, s22
	s_ashr_i32 s59, s56, 31
	s_mul_hi_i32 s3, s40, s22
	s_add_u32 s24, s24, s56
	s_addc_u32 s25, s3, s59
	s_lshl_b64 s[24:25], s[24:25], 8
	s_add_u32 s28, s12, s24
	s_addc_u32 s3, s13, s25
	s_and_b32 s29, s3, 0xffff
	s_movk_i32 s60, 0x80
	buffer_load_dwordx4 v[12:15], v6, s[28:31], 0 offen
	s_nop 0
	buffer_load_dwordx4 v[6:9], v6, s[28:31], s60 offen
	s_nop 0
	buffer_load_dwordx4 v[16:19], v5, s[28:31], 0 offen
	buffer_load_dwordx4 v[20:23], v5, s[28:31], s60 offen
	v_and_b32_e32 v3, 6, v0
	v_lshlrev_b32_e32 v11, 2, v52
	v_lshlrev_b32_e32 v24, 3, v52
	v_xor_b32_e32 v26, v56, v3
	v_and_b32_e32 v5, 1, v0
	v_lshl_or_b32 v24, v1, 5, v24
	v_xor_b32_e32 v27, v1, v11
	v_lshlrev_b32_e32 v26, 2, v26
	s_mul_i32 s3, s46, s27
	s_mul_hi_u32 s25, s46, s26
	v_or_b32_e32 v62, 0x9000, v24
	v_or_b32_e32 v63, 0x9800, v24
	v_lshlrev_b32_e32 v24, 1, v27
	v_xor_b32_e32 v27, 0x440, v26
	v_cmp_eq_u32_e32 vcc, 0, v5
	s_add_i32 s29, s49, s48
	s_mul_i32 s28, s58, s26
	v_cndmask_b32_e32 v5, v27, v26, vcc
	s_add_i32 s3, s25, s3
	s_add_i32 s43, s29, s50
	s_mov_b32 s61, 0x1000504
	v_lshlrev_b32_e32 v25, 8, v52
	s_mov_b32 s30, 0x8000
	v_xor_b32_e32 v11, v55, v11
	v_lshl_or_b32 v3, v3, 10, v5
	s_add_i32 s25, s3, s28
	s_lshl_b64 s[28:29], s[42:43], 2
	s_mov_b32 s62, 0x3020706
	s_mul_i32 s24, s46, s26
	v_lshlrev_b32_e32 v11, 1, v11
	v_or3_b32 v64, v24, v25, s30
	v_xor_b32_e32 v5, 8, v3
	v_xor_b32_e32 v24, 24, v3
	;; [unrolled: 1-line block ×4, first 2 shown]
	s_add_u32 s3, s18, s28
	v_or3_b32 v65, v11, v25, s30
	v_xor_b32_e32 v11, 16, v3
	v_xor_b32_e32 v25, 32, v3
	;; [unrolled: 1-line block ×3, first 2 shown]
	v_add_u32_e32 v5, 0x80, v5
	v_add_u32_e32 v24, 0x80, v24
	v_add_u32_e32 v26, 0x80, v26
	v_add_u32_e32 v28, 0x80, v28
	s_addc_u32 s28, s19, s29
	s_lshl_b64 s[24:25], s[24:25], 2
	s_add_u32 s24, s3, s24
	s_movk_i32 s3, 0xf8
	s_addc_u32 s25, s28, s25
	s_lshl_b32 s38, s23, 7
	s_mov_b32 s63, 0
	v_add_u32_e32 v80, v49, v10
	v_mov_b32_e32 v81, 0x3fb8aa3b
	s_waitcnt vmcnt(1)
	v_perm_b32 v29, v12, v16, s61
	s_waitcnt vmcnt(0)
	v_perm_b32 v30, v6, v20, s61
	v_perm_b32 v12, v12, v16, s62
	;; [unrolled: 1-line block ×15, first 2 shown]
	ds_write2st64_b32 v3, v29, v30 offset1:32
	ds_write2st64_b32 v5, v12, v6 offset1:32
	ds_write2st64_b32 v11, v16, v20 offset0:1 offset1:33
	ds_write2st64_b32 v24, v13, v7 offset0:1 offset1:33
	;; [unrolled: 1-line block ×6, first 2 shown]
	v_or_b32_e32 v3, v49, v52
	v_lshlrev_b32_e32 v3, 3, v3
	v_lshrrev_b32_e32 v7, 5, v50
	v_and_or_b32 v7, v3, s3, v7
	v_lshlrev_b32_e32 v7, 4, v7
	v_lshlrev_b32_e32 v5, 11, v48
	v_and_b32_e32 v3, 0x78, v3
	v_or_b32_e32 v12, 32, v7
	v_and_b32_e32 v6, 0x1000, v5
	v_lshrrev_b32_e32 v11, 1, v0
	v_xor_b32_e32 v12, v12, v3
	v_and_b32_e32 v9, 8, v11
	v_or_b32_e32 v12, v12, v6
	v_xor_b32_e32 v8, v7, v3
	v_xor_b32_e32 v68, v12, v9
	v_or_b32_e32 v12, 64, v7
	v_or_b32_e32 v7, 0x60, v7
	v_xor_b32_e32 v12, v12, v3
	v_xor_b32_e32 v3, v7, v3
	v_or_b32_e32 v3, v3, v6
	v_or_b32_e32 v12, v12, v6
	v_xor_b32_e32 v70, v3, v9
	v_lshlrev_b32_e32 v14, 1, v2
	v_add_lshl_u32 v15, v2, s23, 1
	v_lshrrev_b32_e32 v2, 4, v0
	v_lshlrev_b32_e32 v3, 1, v52
	v_xor_b32_e32 v69, v12, v9
	s_ashr_i32 s3, s2, 31
	v_or_b32_e32 v12, 1, v3
	v_xor_b32_e32 v3, v2, v3
	s_lshl_b64 s[28:29], s[2:3], 8
	v_xor_b32_e32 v12, v12, v2
	v_lshlrev_b32_e32 v3, 3, v3
	v_lshlrev_b32_e32 v2, 8, v2
	s_add_u32 s28, s4, s28
	v_or3_b32 v72, v3, v2, s30
	v_lshlrev_b32_e32 v3, 3, v12
	s_addc_u32 s29, s5, s29
	v_or3_b32 v73, v3, v2, s30
	v_mov_b32_e32 v3, 0
	v_lshl_add_u64 v[12:13], s[28:29], 0, v[2:3]
	v_lshlrev_b32_e32 v2, 4, v52
	s_movk_i32 s3, 0xff
	v_lshlrev_b32_e32 v18, 3, v48
	v_and_b32_e32 v11, 24, v11
	v_lshl_add_u64 v[42:43], v[12:13], 0, v[2:3]
	v_and_b32_e32 v12, 8, v0
	v_cmp_lt_u32_e32 vcc, s3, v0
	v_xor_b32_e32 v19, v18, v11
	v_or_b32_e32 v20, 0x440, v19
	v_cndmask_b32_e64 v17, 0, 1, vcc
	v_cmp_eq_u32_e32 vcc, 0, v12
	v_and_b32_e32 v2, 7, v0
	v_lshlrev_b32_e32 v13, 3, v2
	v_cndmask_b32_e32 v12, v20, v19, vcc
	v_lshlrev_b32_e32 v2, 7, v2
	v_or_b32_e32 v12, v12, v5
	v_xad_u32 v74, v12, v13, v2
	v_or_b32_e32 v12, 32, v11
	v_xor_b32_e32 v12, v18, v12
	v_or_b32_e32 v19, 0x440, v12
	v_cndmask_b32_e32 v12, v19, v12, vcc
	v_or_b32_e32 v12, v12, v5
	v_xad_u32 v75, v12, v13, v2
	v_or_b32_e32 v12, 64, v11
	v_xor_b32_e32 v12, v18, v12
	v_xor_b32_e32 v19, 0x440, v12
	v_cndmask_b32_e32 v12, v19, v12, vcc
	v_or_b32_e32 v11, 0x60, v11
	v_or_b32_e32 v12, v12, v5
	v_xor_b32_e32 v11, v18, v11
	v_or_b32_e32 v8, v8, v6
	v_or_b32_e32 v6, s2, v52
	v_xad_u32 v76, v12, v13, v2
	v_xor_b32_e32 v12, 0x440, v11
	v_xor_b32_e32 v66, v8, v9
	v_and_b32_e32 v8, 0x78, v53
	v_ashrrev_i32_e32 v7, 31, v6
	v_cndmask_b32_e32 v11, v12, v11, vcc
	v_lshl_or_b32 v8, v51, 7, v8
	v_lshlrev_b64 v[6:7], 1, v[6:7]
	v_or_b32_e32 v5, v11, v5
	v_or_b32_e32 v67, 0x9000, v8
	;; [unrolled: 1-line block ×3, first 2 shown]
	v_lshl_add_u64 v[8:9], s[16:17], 0, v[6:7]
	v_lshl_add_u64 v[6:7], s[6:7], 0, v[6:7]
	v_or_b32_e32 v16, 0x100, v4
	v_lshlrev_b32_e32 v17, 13, v17
	v_xad_u32 v77, v5, v13, v2
	v_lshlrev_b32_e32 v2, 8, v1
	v_cndmask_b32_e64 v78, v14, v4, s[0:1]
	v_cndmask_b32_e64 v79, v15, v16, s[0:1]
	v_lshl_add_u64 v[44:45], v[8:9], 0, v[2:3]
	v_lshl_add_u64 v[46:47], v[6:7], 0, v[2:3]
	s_mov_b32 s3, 0x7060302
	s_movk_i32 s30, 0x4000
	v_add_u32_e32 v82, v17, v74
	v_add_u32_e32 v83, v17, v75
	v_add_u32_e32 v84, v17, v76
	v_add_u32_e32 v85, v17, v77
	v_mov_b32_e32 v2, v3
	v_mov_b32_e32 v4, v3
	;; [unrolled: 1-line block ×7, first 2 shown]
	s_waitcnt lgkmcnt(0)
	s_barrier
.LBB613_6:                              ; =>This Inner Loop Header: Depth=1
	s_add_i32 s43, s63, 1
	s_cmp_lt_i32 s43, s52
	s_mov_b64 s[36:37], 0
	s_cselect_b64 s[44:45], -1, 0
	s_cmp_ge_i32 s43, s52
	s_mov_b64 s[28:29], 0
	s_cbranch_scc1 .LBB613_8
; %bb.7:                                ;   in Loop: Header=BB613_6 Depth=1
	s_add_i32 s0, s57, 64
	s_ashr_i32 s1, s0, 31
	s_add_u32 s0, s55, s0
	s_addc_u32 s1, s54, s1
	s_lshl_b64 s[0:1], s[0:1], 8
	s_add_u32 s28, s14, s0
	s_addc_u32 s29, s15, s1
.LBB613_8:                              ;   in Loop: Header=BB613_6 Depth=1
	v_cndmask_b32_e64 v5, 0, 1, s[44:45]
	v_cmp_ne_u32_e64 s[0:1], 1, v5
	s_andn2_b64 vcc, exec, s[44:45]
	s_cbranch_vccnz .LBB613_10
; %bb.9:                                ;   in Loop: Header=BB613_6 Depth=1
	s_add_i32 s36, s57, 64
	s_mul_hi_i32 s37, s36, s22
	s_mul_i32 s36, s36, s22
	s_add_u32 s36, s36, s56
	s_addc_u32 s37, s37, s59
	s_lshl_b64 s[36:37], s[36:37], 8
	s_add_u32 s36, s12, s36
	s_addc_u32 s37, s13, s37
.LBB613_10:                             ;   in Loop: Header=BB613_6 Depth=1
	v_perm_b32 v11, v87, v4, s3
	v_perm_b32 v10, v3, v2, s3
	;; [unrolled: 1-line block ×4, first 2 shown]
	ds_write_b64 v62, v[10:11]
	ds_write_b64 v63, v[12:13]
	;; [unrolled: 1-line block ×4, first 2 shown]
	s_waitcnt lgkmcnt(0)
	s_barrier
	ds_read_b64 v[18:19], v66 offset:16384
	ds_read_b64 v[20:21], v68 offset:16384
	ds_read2st64_b64 v[10:13], v67 offset1:1
	s_waitcnt lgkmcnt(0)
	v_mfma_f32_16x16x16_bf16 a[0:3], v[18:19], v[10:11], 0
	ds_read2st64_b64 v[14:17], v67 offset0:2 offset1:3
	ds_read_b64 v[22:23], v69 offset:16384
	ds_read_b64 v[10:11], v70 offset:16384
	s_add_i32 s39, s57, 63
	v_mfma_f32_16x16x16_bf16 a[0:3], v[20:21], v[12:13], a[0:3]
	s_ashr_i32 s44, s39, 31
	s_mul_i32 s45, s39, s11
	s_mul_hi_u32 s64, s39, s10
	s_waitcnt lgkmcnt(1)
	v_mfma_f32_16x16x16_bf16 a[0:3], v[22:23], v[14:15], a[0:3]
	s_add_i32 s45, s64, s45
	s_mul_i32 s44, s44, s10
	s_add_i32 s45, s45, s44
	s_mul_i32 s44, s39, s10
	s_waitcnt lgkmcnt(0)
	v_mfma_f32_16x16x16_bf16 a[0:3], v[10:11], v[16:17], a[0:3]
	s_lshl_b64 s[44:45], s[44:45], 2
	s_add_u32 s44, s24, s44
	s_addc_u32 s45, s25, s45
	s_and_b64 vcc, exec, s[0:1]
	v_mov_b32_e32 v88, 0
	v_mov_b32_e32 v9, 0
	;; [unrolled: 1-line block ×19, first 2 shown]
	s_cbranch_vccnz .LBB613_12
; %bb.11:                               ;   in Loop: Header=BB613_6 Depth=1
	s_and_b32 s29, s29, 0xffff
	buffer_load_dwordx4 v[22:25], v58, s[28:31], 0 offen
	buffer_load_dwordx4 v[18:21], v58, s[28:31], s60 offen
	;; [unrolled: 1-line block ×4, first 2 shown]
	v_mov_b32_e32 v9, v60
	v_mov_b32_e32 v5, v61
.LBB613_12:                             ;   in Loop: Header=BB613_6 Depth=1
	s_waitcnt vmcnt(3)
	v_add_u32_e32 v30, s57, v80
	s_waitcnt vmcnt(1)
	v_ashrrev_i32_e32 v26, 31, v30
	v_mul_lo_u32 v28, v26, s10
	v_mul_lo_u32 v29, v30, s11
	v_mad_u64_u32 v[26:27], s[28:29], v30, s10, 0
	v_add3_u32 v27, v27, v29, v28
	v_lshl_add_u64 v[26:27], v[26:27], 2, s[24:25]
	global_load_dword v90, v[26:27], off
	v_add_u32_e32 v26, 1, v30
	v_ashrrev_i32_e32 v27, 31, v26
	v_mul_lo_u32 v28, v27, s10
	v_mul_lo_u32 v29, v26, s11
	v_mad_u64_u32 v[26:27], s[28:29], v26, s10, 0
	v_add3_u32 v27, v27, v29, v28
	v_add_u32_e32 v28, 2, v30
	v_ashrrev_i32_e32 v29, 31, v28
	v_mul_lo_u32 v31, v29, s10
	v_mul_lo_u32 v32, v28, s11
	v_mad_u64_u32 v[28:29], s[28:29], v28, s10, 0
	v_add_u32_e32 v30, 3, v30
	v_add3_u32 v29, v29, v32, v31
	v_ashrrev_i32_e32 v31, 31, v30
	v_mul_lo_u32 v34, v31, s10
	v_mul_lo_u32 v35, v30, s11
	v_mad_u64_u32 v[30:31], s[28:29], v30, s10, 0
	s_ashr_i32 s29, s57, 31
	s_add_u32 s28, s55, s57
	s_addc_u32 s29, s54, s29
	s_lshl_b64 s[64:65], s[28:29], 8
	v_lshl_add_u64 v[26:27], v[26:27], 2, s[24:25]
	v_lshl_add_u64 v[32:33], v[44:45], 0, s[64:65]
	v_add3_u32 v31, v31, v35, v34
	v_lshl_add_u64 v[28:29], v[28:29], 2, s[24:25]
	global_load_ushort v91, v[32:33], off
	global_load_ushort v92, v[32:33], off offset:256
	global_load_ushort v93, v[32:33], off offset:512
	global_load_ushort v94, v[32:33], off offset:768
	v_lshl_add_u64 v[30:31], v[30:31], 2, s[24:25]
	global_load_dword v95, v[26:27], off
	global_load_dword v96, v[28:29], off
	global_load_dword v97, v[30:31], off
	ds_read_b64 v[30:31], v66 offset:24576
	ds_read_b64 v[36:37], v68 offset:24576
	ds_read2st64_b64 v[26:29], v71 offset1:1
	s_waitcnt lgkmcnt(0)
	v_mfma_f32_16x16x16_bf16 a[0:3], v[30:31], v[26:27], a[0:3]
	s_load_dword s28, s[44:45], 0x0
	ds_read2st64_b64 v[32:35], v71 offset0:2 offset1:3
	ds_read_b64 v[38:39], v69 offset:24576
	ds_read_b64 v[40:41], v70 offset:24576
	v_mov_b32_e32 v89, 0
	v_mfma_f32_16x16x16_bf16 a[0:3], v[36:37], v[28:29], a[0:3]
	v_mov_b32_e32 v26, 0
	v_mov_b32_e32 v27, 0
	;; [unrolled: 1-line block ×3, first 2 shown]
	s_waitcnt lgkmcnt(0)
	v_mfma_f32_16x16x16_bf16 a[0:3], v[38:39], v[32:33], a[0:3]
	v_lshl_add_u64 v[32:33], v[46:47], 0, s[64:65]
	v_mov_b32_e32 v29, 0
	v_mov_b32_e32 v30, 0
	v_mfma_f32_16x16x16_bf16 a[0:3], v[40:41], v[34:35], a[0:3]
	v_mov_b32_e32 v31, 0
	s_and_b64 vcc, exec, s[0:1]
	s_waitcnt vmcnt(7)
	v_sub_f32_e32 v90, s28, v90
	s_nop 2
	v_accvgpr_read_b32 v37, a1
	v_accvgpr_read_b32 v35, a3
	;; [unrolled: 1-line block ×4, first 2 shown]
	v_mul_f32_e32 v90, 0x3fb8aa3b, v90
	s_waitcnt vmcnt(6)
	v_lshlrev_b32_e32 v38, 16, v91
	s_waitcnt vmcnt(5)
	v_lshlrev_b32_e32 v39, 16, v92
	;; [unrolled: 2-line block ×4, first 2 shown]
	s_waitcnt vmcnt(2)
	v_sub_f32_e32 v91, s28, v95
	s_waitcnt vmcnt(1)
	v_sub_f32_e32 v92, s28, v96
	s_waitcnt vmcnt(0)
	v_sub_f32_e32 v93, s28, v97
	v_pk_add_f32 v[36:37], v[38:39], v[36:37] neg_lo:[0,1] neg_hi:[0,1]
	v_pk_add_f32 v[34:35], v[40:41], v[34:35] neg_lo:[0,1] neg_hi:[0,1]
	v_mul_f32_e32 v39, 0x3fb8aa3b, v91
	v_mul_f32_e32 v40, 0x3fb8aa3b, v92
	v_mul_f32_e32 v41, 0x3fb8aa3b, v93
	v_exp_f32_e32 v38, v90
	v_exp_f32_e32 v39, v39
	;; [unrolled: 1-line block ×4, first 2 shown]
	global_store_short_d16_hi v[32:33], v36, off
	global_store_short_d16_hi v[32:33], v37, off offset:256
	global_store_short_d16_hi v[32:33], v34, off offset:512
	;; [unrolled: 1-line block ×3, first 2 shown]
	v_pk_mul_f32 v[32:33], v[38:39], v[36:37]
	v_pk_mul_f32 v[34:35], v[40:41], v[34:35]
	v_perm_b32 v32, v33, v32, s3
	v_perm_b32 v33, v35, v34, s3
	ds_write_b64 v63, v[32:33]
	v_mov_b32_e32 v32, 0
	v_mov_b32_e32 v33, 0
	;; [unrolled: 1-line block ×10, first 2 shown]
	s_cbranch_vccnz .LBB613_14
; %bb.13:                               ;   in Loop: Header=BB613_6 Depth=1
	s_and_b32 s37, s37, 0xffff
	s_mov_b32 s39, s31
	buffer_load_dwordx4 v[38:41], v78, s[36:39], 0 offen
	buffer_load_dwordx4 v[30:33], v78, s[36:39], s60 offen
	;; [unrolled: 1-line block ×4, first 2 shown]
	v_mov_b32_e32 v88, v57
	v_mov_b32_e32 v89, v56
.LBB613_14:                             ;   in Loop: Header=BB613_6 Depth=1
	s_waitcnt lgkmcnt(0)
	s_barrier
	ds_read_b64 v[98:99], v82
	ds_read2st64_b64 v[90:93], v71 offset1:1
	ds_read2st64_b64 v[94:97], v71 offset0:2 offset1:3
	ds_read_b64 v[100:101], v83
	ds_read_b64 v[102:103], v84
	;; [unrolled: 1-line block ×3, first 2 shown]
	s_waitcnt lgkmcnt(4)
	v_mfma_f32_16x16x16_bf16 a[0:3], v[98:99], v[90:91], 0
	ds_read_b64 v[98:99], v74 offset:8192
	ds_read_b64 v[106:107], v75 offset:8192
	s_add_i32 s29, s53, s63
	s_mul_hi_i32 s37, s29, s47
	s_waitcnt lgkmcnt(1)
	v_mfma_f32_16x16x16_bf16 a[4:7], v[98:99], v[90:91], 0
	s_mul_i32 s29, s29, s47
	s_add_u32 s36, s29, s46
	s_addc_u32 s37, s37, s58
	v_mfma_f32_16x16x16_bf16 a[0:3], v[100:101], v[92:93], a[0:3]
	ds_read_b64 v[98:99], v72
	ds_read_b64 v[100:101], v73
	ds_read_b64 v[90:91], v76 offset:8192
	s_lshl_b64 s[36:37], s[36:37], 15
	v_mfma_f32_16x16x16_bf16 a[0:3], v[102:103], v[94:95], a[0:3]
	ds_read_b64 v[102:103], v77 offset:8192
	s_and_b64 vcc, exec, s[0:1]
	s_waitcnt lgkmcnt(4)
	v_mfma_f32_16x16x16_bf16 a[4:7], v[106:107], v[92:93], a[4:7]
	s_waitcnt lgkmcnt(1)
	v_mfma_f32_16x16x16_bf16 a[4:7], v[90:91], v[94:95], a[4:7]
	v_lshl_add_u64 v[90:91], v[42:43], 0, s[36:37]
	global_store_dwordx4 v[90:91], v[98:101], off
	v_mfma_f32_16x16x16_bf16 a[0:3], v[104:105], v[96:97], a[0:3]
	s_waitcnt lgkmcnt(0)
	v_mfma_f32_16x16x16_bf16 a[4:7], v[102:103], v[96:97], a[4:7]
	s_cbranch_vccnz .LBB613_16
; %bb.15:                               ;   in Loop: Header=BB613_6 Depth=1
	v_lshrrev_b32_e32 v90, 3, v88
	v_and_b32_e32 v90, 6, v90
	v_xor_b32_e32 v89, v90, v89
	v_lshlrev_b32_e32 v89, 2, v89
	v_and_b32_e32 v88, 8, v88
	v_xor_b32_e32 v91, 0x440, v89
	v_cmp_eq_u32_e32 vcc, 0, v88
	s_barrier
	s_nop 0
	v_cndmask_b32_e32 v88, v91, v89, vcc
	v_lshl_or_b32 v88, v90, 10, v88
	s_waitcnt vmcnt(2)
	v_perm_b32 v89, v38, v34, s61
	s_waitcnt vmcnt(1)
	v_perm_b32 v90, v30, v26, s61
	ds_write2st64_b32 v88, v89, v90 offset1:32
	v_xor_b32_e32 v89, 8, v88
	v_perm_b32 v34, v38, v34, s62
	v_perm_b32 v26, v30, v26, s62
	v_add_u32_e32 v30, 0x80, v89
	ds_write2st64_b32 v30, v34, v26 offset1:32
	v_xor_b32_e32 v26, 16, v88
	v_perm_b32 v30, v39, v35, s61
	v_perm_b32 v34, v31, v27, s61
	ds_write2st64_b32 v26, v30, v34 offset0:1 offset1:33
	v_xor_b32_e32 v26, 24, v88
	v_perm_b32 v30, v39, v35, s62
	v_perm_b32 v27, v31, v27, s62
	v_add_u32_e32 v26, 0x80, v26
	ds_write2st64_b32 v26, v30, v27 offset0:1 offset1:33
	v_xor_b32_e32 v26, 32, v88
	v_perm_b32 v27, v40, v36, s61
	v_perm_b32 v30, v32, v28, s61
	ds_write2st64_b32 v26, v27, v30 offset0:2 offset1:34
	v_xor_b32_e32 v26, 40, v88
	v_perm_b32 v27, v40, v36, s62
	v_perm_b32 v28, v32, v28, s62
	v_add_u32_e32 v26, 0x80, v26
	ds_write2st64_b32 v26, v27, v28 offset0:2 offset1:34
	;; [unrolled: 9-line block ×3, first 2 shown]
	ds_write_b64 v9, v[22:23] offset:16384
	v_xor_b32_e32 v22, 8, v9
	ds_write_b64 v22, v[24:25] offset:16384
	ds_write_b64 v9, v[18:19] offset:24576
	;; [unrolled: 1-line block ×4, first 2 shown]
	v_xor_b32_e32 v9, 8, v5
	ds_write_b64 v9, v[16:17] offset:16384
	ds_write_b64 v5, v[10:11] offset:24576
	;; [unrolled: 1-line block ×3, first 2 shown]
.LBB613_16:                             ;   in Loop: Header=BB613_6 Depth=1
	v_mul_f32_e32 v5, s28, v81
	v_exp_f32_e32 v10, v5
	s_nop 1
	v_accvgpr_read_b32 v9, a1
	v_accvgpr_read_b32 v5, a0
	s_add_i32 s57, s57, 64
	v_fma_f32 v3, v3, v10, v9
	v_accvgpr_read_b32 v9, a4
	v_fma_f32 v6, v6, v10, v9
	v_accvgpr_read_b32 v9, a5
	;; [unrolled: 2-line block ×6, first 2 shown]
	v_fmac_f32_e32 v5, v87, v10
	s_cmp_eq_u32 s52, s43
	v_fmac_f32_e32 v9, v86, v10
	s_cbranch_scc1 .LBB613_18
; %bb.17:                               ;   in Loop: Header=BB613_6 Depth=1
	s_mov_b32 s63, s43
	v_mov_b32_e32 v87, v5
	v_mov_b32_e32 v86, v9
	s_branch .LBB613_6
.LBB613_18:
	s_lshl_b32 s3, s52, 6
	s_sub_i32 s51, s51, s3
	s_cmp_gt_i32 s51, 0
	s_waitcnt vmcnt(2)
	v_or_b32_e32 v34, s2, v52
	s_cbranch_scc1 .LBB613_20
; %bb.19:
	s_ashr_i32 s25, s46, 31
	v_or_b32_e32 v10, s2, v52
	s_cbranch_execz .LBB613_21
	s_branch .LBB613_77
.LBB613_20:
                                        ; implicit-def: $vgpr10
                                        ; implicit-def: $sgpr24_sgpr25
.LBB613_21:
	s_add_i32 s24, s3, s40
	s_ashr_i32 s3, s24, 31
	s_cmpk_lg_i32 s23, 0x80
	s_cselect_b64 s[38:39], -1, 0
	s_and_b64 vcc, exec, s[38:39]
	s_cbranch_vccz .LBB613_23
; %bb.22:
	s_mul_hi_i32 s0, s24, s22
	s_mul_i32 s1, s24, s22
	s_ashr_i32 s22, s56, 31
	s_add_u32 s44, s1, s56
	s_addc_u32 s45, s0, s22
	s_cbranch_execz .LBB613_24
	s_branch .LBB613_25
.LBB613_23:
                                        ; implicit-def: $sgpr44_sgpr45
.LBB613_24:
	s_mul_i32 s1, s56, s20
	s_mul_hi_i32 s0, s56, s20
	s_add_u32 s44, s1, s24
	s_addc_u32 s45, s0, s3
.LBB613_25:
	s_add_i32 s20, s52, s53
	s_ashr_i32 s25, s46, 31
	s_add_u32 s0, s55, s24
	s_addc_u32 s1, s54, s3
	s_mov_b32 s3, 0x7060302
	v_lshlrev_b32_e32 v14, 3, v52
	s_lshl_b64 s[36:37], s[0:1], 8
	v_perm_b32 v11, v5, v4, s3
	v_perm_b32 v10, v3, v2, s3
	;; [unrolled: 1-line block ×4, first 2 shown]
	v_lshlrev_b32_e32 v44, 2, v52
	v_lshl_or_b32 v14, v1, 5, v14
	s_add_u32 s0, s14, s36
	ds_write2st64_b64 v14, v[10:11], v[12:13] offset0:72 offset1:76
	v_xor_b32_e32 v14, v1, v44
	v_lshlrev_b32_e32 v15, 8, v52
	s_addc_u32 s1, s15, s37
	v_lshl_or_b32 v14, v14, 1, v15
	s_mul_hi_i32 s3, s20, s21
	s_mul_i32 s20, s20, s21
	ds_write_b64 v14, v[10:11] offset:32768
	v_xor_b32_e32 v10, v55, v44
	s_add_u32 s14, s20, s46
	v_lshl_or_b32 v10, v10, 1, v15
	s_addc_u32 s15, s3, s25
	v_lshlrev_b32_e32 v11, 1, v52
	ds_write_b64 v10, v[12:13] offset:32768
	v_lshrrev_b32_e32 v10, 4, v0
	s_ashr_i32 s3, s2, 31
	s_lshl_b64 s[14:15], s[14:15], 15
	v_or_b32_e32 v12, 1, v11
	s_add_u32 s4, s4, s14
	v_xor_b32_e32 v11, v10, v11
	v_xor_b32_e32 v12, v12, v10
	v_lshlrev_b32_e32 v14, 8, v10
	s_addc_u32 s5, s5, s15
	s_lshl_b64 s[2:3], s[2:3], 8
	v_lshl_or_b32 v10, v11, 3, v14
	v_lshl_or_b32 v12, v12, 3, v14
	s_waitcnt lgkmcnt(0)
	s_barrier
	s_add_u32 s2, s4, s2
	ds_read_b64 v[10:11], v10 offset:32768
	ds_read_b64 v[12:13], v12 offset:32768
	s_addc_u32 s3, s5, s3
	v_mov_b32_e32 v15, 0
	s_cmp_lg_u32 s51, 64
	v_lshl_add_u64 v[16:17], s[2:3], 0, v[14:15]
	v_lshlrev_b32_e32 v14, 4, v52
	s_cselect_b64 s[4:5], -1, 0
	v_lshl_or_b32 v35, v48, 3, v54
	s_mov_b32 s28, 0
	v_lshl_add_u64 v[14:15], v[16:17], 0, v[14:15]
	s_waitcnt vmcnt(1)
	v_or_b32_e32 v27, 32, v35
	v_and_b32_e32 v26, 56, v53
	s_and_b64 vcc, exec, s[4:5]
	s_waitcnt lgkmcnt(0)
	global_store_dwordx4 v[14:15], v[10:13], off
	s_cbranch_vccz .LBB613_31
; %bb.26:
	s_mov_b32 s29, s28
	s_mov_b32 s30, s28
	;; [unrolled: 1-line block ×3, first 2 shown]
	v_mov_b64_e32 v[14:15], s[28:29]
	v_mov_b64_e32 v[16:17], s[30:31]
	;; [unrolled: 1-line block ×3, first 2 shown]
	v_cmp_gt_i32_e32 vcc, s51, v35
	v_mov_b64_e32 v[12:13], v[16:17]
	s_and_saveexec_b64 s[2:3], vcc
	s_cbranch_execz .LBB613_28
; %bb.27:
	v_lshlrev_b32_e32 v10, 8, v35
	v_mov_b32_e32 v11, 0
	v_lshl_add_u64 v[12:13], s[0:1], 0, v[10:11]
	v_lshlrev_b32_e32 v10, 1, v26
	v_lshl_add_u64 v[18:19], v[12:13], 0, v[10:11]
	global_load_dwordx4 v[14:17], v[18:19], off
	global_load_dwordx4 v[10:13], v[18:19], off offset:128
.LBB613_28:
	s_or_b64 exec, exec, s[2:3]
	s_mov_b32 s29, s28
	s_mov_b32 s30, s28
	;; [unrolled: 1-line block ×3, first 2 shown]
	v_mov_b64_e32 v[22:23], s[28:29]
	v_mov_b64_e32 v[24:25], s[30:31]
	;; [unrolled: 1-line block ×3, first 2 shown]
	v_cmp_gt_i32_e32 vcc, s51, v27
	v_lshlrev_b32_e32 v28, 7, v27
	v_mov_b64_e32 v[20:21], v[24:25]
	s_and_saveexec_b64 s[2:3], vcc
	s_cbranch_execz .LBB613_30
; %bb.29:
	v_lshlrev_b32_e32 v18, 1, v28
	v_mov_b32_e32 v19, 0
	v_lshl_add_u64 v[20:21], s[0:1], 0, v[18:19]
	v_lshlrev_b32_e32 v18, 1, v26
	v_lshl_add_u64 v[30:31], v[20:21], 0, v[18:19]
	global_load_dwordx4 v[22:25], v[30:31], off
	global_load_dwordx4 v[18:21], v[30:31], off offset:128
.LBB613_30:
	s_or_b64 exec, exec, s[2:3]
	v_lshrrev_b32_e32 v29, 3, v26
	v_lshlrev_b32_e32 v30, 3, v35
	v_or_b32_e32 v29, v30, v29
	v_lshlrev_b32_e32 v29, 4, v29
	v_and_b32_e32 v30, 0x78, v30
	v_xor_b32_e32 v29, v29, v30
	s_branch .LBB613_33
.LBB613_31:
                                        ; implicit-def: $vgpr29
                                        ; implicit-def: $vgpr28
                                        ; implicit-def: $vgpr14_vgpr15_vgpr16_vgpr17
                                        ; implicit-def: $vgpr10_vgpr11_vgpr12_vgpr13
                                        ; implicit-def: $vgpr22_vgpr23_vgpr24_vgpr25
                                        ; implicit-def: $vgpr18_vgpr19_vgpr20_vgpr21
	s_cbranch_execz .LBB613_33
; %bb.32:
	s_waitcnt vmcnt(0)
	v_lshlrev_b32_e32 v10, 1, v26
	v_lshl_or_b32 v28, v35, 8, v10
	s_and_b32 s1, s1, 0xffff
	s_mov_b32 s3, 0x20000
	s_movk_i32 s2, 0x4000
	v_lshl_or_b32 v29, v27, 8, v10
	s_movk_i32 s14, 0x80
	buffer_load_dwordx4 v[14:17], v28, s[0:3], 0 offen
	buffer_load_dwordx4 v[10:13], v28, s[0:3], s14 offen
	;; [unrolled: 1-line block ×4, first 2 shown]
	v_lshrrev_b32_e32 v28, 3, v26
	v_lshlrev_b32_e32 v29, 3, v35
	v_or_b32_e32 v28, v29, v28
	v_lshlrev_b32_e32 v28, 4, v28
	v_and_b32_e32 v29, 0x78, v29
	v_xor_b32_e32 v29, v28, v29
	v_lshlrev_b32_e32 v28, 7, v27
.LBB613_33:
	s_lshl_b64 s[0:1], s[44:45], 8
	s_add_u32 s12, s12, s0
	s_movk_i32 s0, 0x1000
	v_and_or_b32 v27, v28, s0, v29
	s_waitcnt vmcnt(1)
	ds_write_b64 v29, v[14:15] offset:16384
	v_xor_b32_e32 v14, 8, v29
	ds_write_b64 v14, v[16:17] offset:16384
	s_waitcnt vmcnt(0)
	ds_write_b64 v29, v[10:11] offset:24576
	ds_write_b64 v14, v[12:13] offset:24576
	;; [unrolled: 1-line block ×3, first 2 shown]
	v_xor_b32_e32 v10, 8, v27
	ds_write_b64 v10, v[24:25] offset:16384
	ds_write_b64 v27, v[18:19] offset:24576
	;; [unrolled: 1-line block ×3, first 2 shown]
	v_or_b32_e32 v10, v49, v52
	v_lshlrev_b32_e32 v10, 3, v10
	v_lshrrev_b32_e32 v12, 5, v50
	s_movk_i32 s20, 0xf8
	v_and_or_b32 v12, v10, s20, v12
	v_lshlrev_b32_e32 v45, 11, v48
	v_lshlrev_b32_e32 v20, 4, v12
	v_and_b32_e32 v21, 0x78, v10
	v_and_b32_e32 v22, 0x1000, v45
	v_lshlrev_b32_e32 v11, 2, v0
	v_xor_b32_e32 v10, v20, v21
	v_lshrrev_b32_e32 v12, 1, v50
	v_and_b32_e32 v11, 60, v11
	v_or_b32_e32 v10, v10, v22
	v_and_b32_e32 v23, 8, v12
	v_xor_b32_e32 v36, v10, v23
	v_lshl_or_b32 v10, v51, 6, v11
	v_lshlrev_b32_e32 v46, 1, v10
	v_or_b32_e32 v10, 32, v20
	v_xor_b32_e32 v10, v10, v21
	s_waitcnt lgkmcnt(0)
	s_barrier
	ds_read_b64 v[18:19], v36 offset:16384
	v_or_b32_e32 v10, v10, v22
	v_xor_b32_e32 v37, v10, v23
	v_or_b32_e32 v10, 64, v20
	v_xor_b32_e32 v10, v10, v21
	v_or_b32_e32 v10, v10, v22
	v_or_b32_e32 v20, 0x60, v20
	v_xor_b32_e32 v38, v10, v23
	ds_read2st64_b64 v[10:13], v46 offset0:72 offset1:73
	ds_read2st64_b64 v[14:17], v46 offset0:74 offset1:75
	v_xor_b32_e32 v24, v20, v21
	ds_read_b64 v[20:21], v37 offset:16384
	s_waitcnt lgkmcnt(2)
	v_mfma_f32_16x16x16_bf16 a[0:3], v[18:19], v[10:11], 0
	s_addc_u32 s13, s13, s1
	s_add_i32 s2, s41, -1
	s_add_i32 s0, s49, s48
	s_add_i32 s43, s0, s50
	s_mul_i32 s0, s46, s27
	s_mul_hi_u32 s1, s46, s26
	s_ashr_i32 s3, s2, 31
	s_mul_i32 s14, s2, s11
	s_mul_hi_u32 s15, s2, s10
	s_add_i32 s0, s1, s0
	s_mul_i32 s1, s25, s26
	s_add_i32 s14, s15, s14
	s_mul_i32 s3, s3, s10
	v_or_b32_e32 v22, v24, v22
	s_add_i32 s1, s0, s1
	s_add_i32 s3, s14, s3
	s_lshl_b64 s[14:15], s[42:43], 2
	v_xor_b32_e32 v47, v22, v23
	ds_read_b64 v[22:23], v38 offset:16384
	ds_read_b64 v[24:25], v47 offset:16384
	s_waitcnt lgkmcnt(2)
	v_mfma_f32_16x16x16_bf16 a[0:3], v[20:21], v[12:13], a[0:3]
	s_mul_i32 s0, s46, s26
	s_add_u32 s14, s18, s14
	s_addc_u32 s15, s19, s15
	s_lshl_b64 s[0:1], s[0:1], 2
	s_mul_i32 s2, s2, s10
	s_add_u32 s18, s14, s0
	s_addc_u32 s19, s15, s1
	s_lshl_b64 s[0:1], s[2:3], 2
	s_waitcnt lgkmcnt(1)
	v_mfma_f32_16x16x16_bf16 a[0:3], v[22:23], v[14:15], a[0:3]
	s_add_u32 s0, s18, s0
	s_addc_u32 s1, s19, s1
	s_load_dword s20, s[0:1], 0x0
	s_waitcnt lgkmcnt(0)
	v_mfma_f32_16x16x16_bf16 a[0:3], v[24:25], v[16:17], a[0:3]
	s_and_b64 vcc, exec, s[38:39]
	s_cbranch_vccz .LBB613_44
; %bb.34:
	v_lshlrev_b32_e32 v27, 1, v35
	s_and_b64 vcc, exec, s[4:5]
	s_cbranch_vccz .LBB613_45
; %bb.35:
	v_cmp_gt_i32_e32 vcc, s51, v27
	v_mov_b32_e32 v14, 0
	v_mov_b32_e32 v10, 0
	;; [unrolled: 1-line block ×5, first 2 shown]
	s_and_saveexec_b64 s[0:1], vcc
	s_cbranch_execz .LBB613_37
; %bb.36:
	v_mad_i64_i32 v[10:11], s[2:3], s23, v27, 0
	v_lshl_add_u64 v[10:11], v[10:11], 1, s[12:13]
	v_lshlrev_b32_e32 v12, 1, v26
	v_mov_b32_e32 v13, 0
	v_lshl_add_u64 v[10:11], v[10:11], 0, v[12:13]
	global_load_dwordx4 v[10:13], v[10:11], off
.LBB613_37:
	s_or_b64 exec, exec, s[0:1]
	v_or_b32_e32 v28, 1, v27
	v_cmp_gt_i32_e64 s[0:1], s51, v28
	v_mov_b32_e32 v15, 0
	v_mov_b32_e32 v16, 0
	v_mov_b32_e32 v17, 0
	s_and_saveexec_b64 s[2:3], s[0:1]
	s_cbranch_execz .LBB613_39
; %bb.38:
	v_mad_i64_i32 v[14:15], s[14:15], s23, v28, 0
	v_lshl_add_u64 v[14:15], v[14:15], 1, s[12:13]
	v_lshlrev_b32_e32 v16, 1, v26
	v_mov_b32_e32 v17, 0
	v_lshl_add_u64 v[14:15], v[14:15], 0, v[16:17]
	global_load_dwordx4 v[14:17], v[14:15], off
.LBB613_39:
	s_or_b64 exec, exec, s[2:3]
	v_mov_b32_e32 v25, 0
	v_mov_b32_e32 v18, 0
	;; [unrolled: 1-line block ×5, first 2 shown]
	s_and_saveexec_b64 s[2:3], vcc
	s_cbranch_execz .LBB613_41
; %bb.40:
	v_mad_i64_i32 v[18:19], s[14:15], s23, v27, 0
	v_lshl_add_u64 v[18:19], v[18:19], 1, s[12:13]
	v_lshlrev_b32_e32 v20, 1, v26
	v_mov_b32_e32 v21, 0
	v_lshl_add_u64 v[18:19], v[18:19], 0, v[20:21]
	global_load_dwordx4 v[18:21], v[18:19], off offset:128
.LBB613_41:
	s_or_b64 exec, exec, s[2:3]
	v_mov_b32_e32 v24, 0
	v_mov_b32_e32 v23, 0
	;; [unrolled: 1-line block ×3, first 2 shown]
	s_and_saveexec_b64 s[2:3], s[0:1]
	s_cbranch_execz .LBB613_43
; %bb.42:
	v_mad_i64_i32 v[22:23], s[0:1], s23, v28, 0
	v_lshl_add_u64 v[22:23], v[22:23], 1, s[12:13]
	v_lshlrev_b32_e32 v24, 1, v26
	v_mov_b32_e32 v25, 0
	v_lshl_add_u64 v[22:23], v[22:23], 0, v[24:25]
	global_load_dwordx4 v[22:25], v[22:23], off offset:128
.LBB613_43:
	s_or_b64 exec, exec, s[2:3]
	s_branch .LBB613_47
.LBB613_44:
                                        ; implicit-def: $vgpr13
                                        ; implicit-def: $vgpr17
                                        ; implicit-def: $vgpr21
                                        ; implicit-def: $vgpr25
	v_lshrrev_b32_e32 v50, 2, v50
	s_branch .LBB613_48
.LBB613_45:
                                        ; implicit-def: $vgpr13
                                        ; implicit-def: $vgpr17
                                        ; implicit-def: $vgpr21
                                        ; implicit-def: $vgpr25
	s_cbranch_execz .LBB613_47
; %bb.46:
	s_waitcnt vmcnt(0)
	v_mad_u64_u32 v[10:11], s[0:1], v27, s23, v[26:27]
	v_lshlrev_b32_e32 v27, 1, v10
	s_lshl_b32 s2, s23, 7
	s_and_b32 s1, s13, 0xffff
	s_mov_b32 s3, 0x20000
	s_mov_b32 s0, s12
	v_add_lshl_u32 v28, v10, s23, 1
	s_movk_i32 s14, 0x80
	buffer_load_dwordx4 v[10:13], v27, s[0:3], 0 offen
	buffer_load_dwordx4 v[18:21], v27, s[0:3], s14 offen
	;; [unrolled: 1-line block ×4, first 2 shown]
.LBB613_47:
	v_lshrrev_b32_e32 v50, 2, v50
	s_cbranch_execnz .LBB613_60
.LBB613_48:
	s_and_b64 vcc, exec, s[4:5]
	s_cbranch_vccz .LBB613_58
; %bb.49:
	s_waitcnt vmcnt(0)
	v_lshlrev_b32_e32 v15, 1, v35
	v_cmp_gt_i32_e32 vcc, s51, v15
	v_mov_b32_e32 v14, 0
	v_lshlrev_b32_e32 v22, 9, v35
	v_mov_b32_e32 v10, 0
	v_mov_b32_e32 v11, 0
	;; [unrolled: 1-line block ×4, first 2 shown]
	s_and_saveexec_b64 s[0:1], vcc
	s_cbranch_execz .LBB613_51
; %bb.50:
	v_mov_b32_e32 v23, 0
	v_lshl_add_u64 v[10:11], s[12:13], 0, v[22:23]
	v_lshlrev_b32_e32 v12, 1, v26
	v_mov_b32_e32 v13, v23
	v_lshl_add_u64 v[10:11], v[10:11], 0, v[12:13]
	global_load_dwordx4 v[10:13], v[10:11], off
.LBB613_51:
	s_or_b64 exec, exec, s[0:1]
	v_or_b32_e32 v15, 1, v15
	v_cmp_gt_i32_e64 s[0:1], s51, v15
	v_lshlrev_b32_e32 v28, 8, v15
	v_mov_b32_e32 v15, 0
	v_mov_b32_e32 v16, 0
	v_mov_b32_e32 v17, 0
	s_and_saveexec_b64 s[2:3], s[0:1]
	s_cbranch_execz .LBB613_53
; %bb.52:
	v_mov_b32_e32 v29, 0
	v_lshl_add_u64 v[14:15], s[12:13], 0, v[28:29]
	v_lshlrev_b32_e32 v16, 1, v26
	v_mov_b32_e32 v17, v29
	v_lshl_add_u64 v[14:15], v[14:15], 0, v[16:17]
	global_load_dwordx4 v[14:17], v[14:15], off
.LBB613_53:
	s_or_b64 exec, exec, s[2:3]
	v_mov_b32_e32 v25, 0
	v_mov_b32_e32 v18, 0
	;; [unrolled: 1-line block ×5, first 2 shown]
	s_and_saveexec_b64 s[2:3], vcc
	s_cbranch_execz .LBB613_55
; %bb.54:
	v_mov_b32_e32 v23, 0
	v_lshl_add_u64 v[18:19], s[12:13], 0, v[22:23]
	v_lshlrev_b32_e32 v22, 1, v26
	v_lshl_add_u64 v[18:19], v[18:19], 0, v[22:23]
	global_load_dwordx4 v[18:21], v[18:19], off offset:128
.LBB613_55:
	s_or_b64 exec, exec, s[2:3]
	v_mov_b32_e32 v24, 0
	v_mov_b32_e32 v23, 0
	;; [unrolled: 1-line block ×3, first 2 shown]
	s_and_saveexec_b64 s[2:3], s[0:1]
	s_cbranch_execz .LBB613_57
; %bb.56:
	v_mov_b32_e32 v29, 0
	v_lshl_add_u64 v[22:23], s[12:13], 0, v[28:29]
	v_lshlrev_b32_e32 v28, 1, v26
	v_lshl_add_u64 v[22:23], v[22:23], 0, v[28:29]
	global_load_dwordx4 v[22:25], v[22:23], off offset:128
.LBB613_57:
	s_or_b64 exec, exec, s[2:3]
	s_branch .LBB613_60
.LBB613_58:
                                        ; implicit-def: $vgpr13
                                        ; implicit-def: $vgpr17
                                        ; implicit-def: $vgpr21
                                        ; implicit-def: $vgpr25
	s_cbranch_execz .LBB613_60
; %bb.59:
	s_waitcnt vmcnt(0)
	v_lshlrev_b32_e32 v10, 1, v26
	v_lshl_or_b32 v26, v35, 9, v10
	s_and_b32 s13, s13, 0xffff
	s_mov_b32 s15, 0x20000
	s_movk_i32 s14, 0x4000
	s_movk_i32 s0, 0x80
	buffer_load_dwordx4 v[10:13], v26, s[12:15], 0 offen
	buffer_load_dwordx4 v[14:17], v26, s[12:15], 0 offen offset:256
	buffer_load_dwordx4 v[18:21], v26, s[12:15], s0 offen
	buffer_load_dwordx4 v[22:25], v26, s[12:15], s0 offen offset:256
.LBB613_60:
	ds_read2st64_b64 v[30:33], v46 offset0:76 offset1:77
	ds_read2st64_b64 v[26:29], v46 offset0:78 offset1:79
	ds_read_b64 v[42:43], v36 offset:24576
	ds_read_b64 v[40:41], v37 offset:24576
	;; [unrolled: 1-line block ×4, first 2 shown]
	v_and_b32_e32 v47, 6, v0
	v_xor_b32_e32 v35, v35, v47
	v_lshlrev_b32_e32 v35, 2, v35
	v_and_b32_e32 v51, 1, v0
	v_xor_b32_e32 v52, 0x440, v35
	v_cmp_eq_u32_e32 vcc, 0, v51
	s_mov_b32 s0, 0x1000504
	s_waitcnt vmcnt(0)
	v_perm_b32 v51, v18, v22, s0
	v_cndmask_b32_e32 v35, v52, v35, vcc
	v_lshl_or_b32 v35, v47, 10, v35
	v_perm_b32 v47, v10, v14, s0
	ds_write2st64_b32 v35, v47, v51 offset1:32
	v_xor_b32_e32 v47, 8, v35
	s_mov_b32 s1, 0x3020706
	v_perm_b32 v10, v10, v14, s1
	v_perm_b32 v14, v18, v22, s1
	v_add_u32_e32 v18, 0x80, v47
	ds_write2st64_b32 v18, v10, v14 offset1:32
	v_xor_b32_e32 v10, 16, v35
	v_perm_b32 v14, v11, v15, s0
	v_perm_b32 v18, v19, v23, s0
	ds_write2st64_b32 v10, v14, v18 offset0:1 offset1:33
	v_xor_b32_e32 v10, 24, v35
	v_perm_b32 v11, v11, v15, s1
	v_perm_b32 v14, v19, v23, s1
	v_add_u32_e32 v10, 0x80, v10
	ds_write2st64_b32 v10, v11, v14 offset0:1 offset1:33
	v_xor_b32_e32 v10, 32, v35
	v_perm_b32 v11, v12, v16, s0
	v_perm_b32 v14, v20, v24, s0
	ds_write2st64_b32 v10, v11, v14 offset0:2 offset1:34
	v_xor_b32_e32 v10, 40, v35
	v_perm_b32 v11, v12, v16, s1
	v_perm_b32 v12, v20, v24, s1
	v_add_u32_e32 v10, 0x80, v10
	ds_write2st64_b32 v10, v11, v12 offset0:2 offset1:34
	v_xor_b32_e32 v10, 48, v35
	v_perm_b32 v11, v13, v17, s0
	v_perm_b32 v12, v21, v25, s0
	ds_write2st64_b32 v10, v11, v12 offset0:3 offset1:35
	v_xor_b32_e32 v10, 56, v35
	v_and_or_b32 v18, v50, 12, v49
	v_perm_b32 v11, v13, v17, s1
	v_perm_b32 v12, v21, v25, s1
	v_add_u32_e32 v10, 0x80, v10
	v_cmp_gt_i32_e32 vcc, s51, v18
	v_mov_b32_e32 v20, 0
	v_mov_b32_e32 v24, 0
	ds_write2st64_b32 v10, v11, v12 offset0:3 offset1:35
	s_and_saveexec_b64 s[0:1], vcc
	s_cbranch_execz .LBB613_62
; %bb.61:
	v_add_u32_e32 v10, s24, v18
	v_ashrrev_i32_e32 v11, 31, v10
	v_mul_lo_u32 v12, v11, s10
	v_mul_lo_u32 v13, v10, s11
	v_mad_u64_u32 v[10:11], s[2:3], v10, s10, 0
	v_add3_u32 v11, v11, v13, v12
	v_lshl_add_u64 v[10:11], v[10:11], 2, s[18:19]
	global_load_dword v10, v[10:11], off
	s_waitcnt vmcnt(0)
	v_sub_f32_e32 v10, s20, v10
	v_mul_f32_e32 v10, 0x3fb8aa3b, v10
	v_exp_f32_e32 v24, v10
.LBB613_62:
	s_or_b64 exec, exec, s[0:1]
	v_or_b32_e32 v23, 1, v18
	v_cmp_gt_i32_e64 s[4:5], s51, v23
	s_and_saveexec_b64 s[0:1], s[4:5]
	s_cbranch_execz .LBB613_64
; %bb.63:
	v_add_u32_e32 v10, s24, v23
	v_ashrrev_i32_e32 v11, 31, v10
	v_mul_lo_u32 v12, v11, s10
	v_mul_lo_u32 v13, v10, s11
	v_mad_u64_u32 v[10:11], s[2:3], v10, s10, 0
	v_add3_u32 v11, v11, v13, v12
	v_lshl_add_u64 v[10:11], v[10:11], 2, s[18:19]
	global_load_dword v10, v[10:11], off
	s_waitcnt vmcnt(0)
	v_sub_f32_e32 v10, s20, v10
	v_mul_f32_e32 v10, 0x3fb8aa3b, v10
	v_exp_f32_e32 v20, v10
.LBB613_64:
	s_or_b64 exec, exec, s[0:1]
	v_or_b32_e32 v21, 2, v18
	v_cmp_gt_i32_e64 s[0:1], s51, v21
	v_mov_b32_e32 v19, 0
	v_mov_b32_e32 v25, 0
	s_and_saveexec_b64 s[2:3], s[0:1]
	s_cbranch_execz .LBB613_66
; %bb.65:
	v_add_u32_e32 v10, s24, v21
	v_ashrrev_i32_e32 v11, 31, v10
	v_mul_lo_u32 v12, v11, s10
	v_mul_lo_u32 v13, v10, s11
	v_mad_u64_u32 v[10:11], s[12:13], v10, s10, 0
	v_add3_u32 v11, v11, v13, v12
	v_lshl_add_u64 v[10:11], v[10:11], 2, s[18:19]
	global_load_dword v10, v[10:11], off
	s_waitcnt vmcnt(0)
	v_sub_f32_e32 v10, s20, v10
	v_mul_f32_e32 v10, 0x3fb8aa3b, v10
	v_exp_f32_e32 v25, v10
.LBB613_66:
	s_or_b64 exec, exec, s[2:3]
	v_or_b32_e32 v22, 3, v18
	v_cmp_gt_i32_e64 s[2:3], s51, v22
	s_and_saveexec_b64 s[12:13], s[2:3]
	s_cbranch_execz .LBB613_68
; %bb.67:
	v_add_u32_e32 v10, s24, v22
	v_ashrrev_i32_e32 v11, 31, v10
	v_mul_lo_u32 v12, v11, s10
	v_mul_lo_u32 v13, v10, s11
	v_mad_u64_u32 v[10:11], s[10:11], v10, s10, 0
	v_add3_u32 v11, v11, v13, v12
	v_lshl_add_u64 v[10:11], v[10:11], 2, s[18:19]
	global_load_dword v10, v[10:11], off
	s_waitcnt vmcnt(0)
	v_sub_f32_e32 v10, s20, v10
	v_mul_f32_e32 v10, 0x3fb8aa3b, v10
	v_exp_f32_e32 v19, v10
.LBB613_68:
	s_or_b64 exec, exec, s[12:13]
	s_waitcnt lgkmcnt(11)
	v_mfma_f32_16x16x16_bf16 a[0:3], v[42:43], v[30:31], a[0:3]
	s_add_u32 s10, s16, s36
	s_addc_u32 s11, s17, s37
	v_ashrrev_i32_e32 v35, 31, v34
	s_waitcnt lgkmcnt(10)
	v_mfma_f32_16x16x16_bf16 a[0:3], v[40:41], v[32:33], a[0:3]
	s_add_u32 s6, s6, s36
	v_lshlrev_b64 v[10:11], 1, v[34:35]
	s_addc_u32 s7, s7, s37
	s_waitcnt lgkmcnt(9)
	v_mfma_f32_16x16x16_bf16 a[0:3], v[38:39], v[26:27], a[0:3]
	v_lshl_add_u64 v[14:15], s[10:11], 0, v[10:11]
	v_lshl_add_u64 v[16:17], s[6:7], 0, v[10:11]
	v_mov_b32_e32 v26, 0
	s_waitcnt lgkmcnt(8)
	v_mfma_f32_16x16x16_bf16 a[0:3], v[36:37], v[28:29], a[0:3]
	v_mov_b32_e32 v27, 0
	s_nop 5
	v_accvgpr_read_b32 v13, a3
	v_accvgpr_read_b32 v12, a2
	;; [unrolled: 1-line block ×4, first 2 shown]
	s_and_saveexec_b64 s[6:7], vcc
	s_cbranch_execz .LBB613_70
; %bb.69:
	v_lshlrev_b32_e32 v28, 8, v18
	v_mov_b32_e32 v29, 0
	v_lshl_add_u64 v[30:31], v[14:15], 0, v[28:29]
	global_load_ushort v27, v[30:31], off
	v_lshl_add_u64 v[28:29], v[16:17], 0, v[28:29]
	s_waitcnt vmcnt(0)
	v_lshlrev_b32_e32 v27, 16, v27
	v_sub_f32_e32 v10, v27, v10
	global_store_short_d16_hi v[28:29], v10, off
	v_mul_f32_e32 v10, v24, v10
	v_lshrrev_b32_e32 v27, 16, v10
.LBB613_70:
	s_or_b64 exec, exec, s[6:7]
	s_and_saveexec_b64 s[6:7], s[4:5]
	s_cbranch_execz .LBB613_72
; %bb.71:
	v_lshlrev_b32_e32 v28, 8, v23
	v_mov_b32_e32 v29, 0
	v_lshl_add_u64 v[30:31], v[14:15], 0, v[28:29]
	global_load_ushort v10, v[30:31], off
	v_lshl_add_u64 v[28:29], v[16:17], 0, v[28:29]
	s_waitcnt vmcnt(0)
	v_lshlrev_b32_e32 v10, 16, v10
	v_sub_f32_e32 v10, v10, v11
	global_store_short_d16_hi v[28:29], v10, off
	v_mul_f32_e32 v10, v20, v10
	v_lshrrev_b32_e32 v26, 16, v10
.LBB613_72:
	s_or_b64 exec, exec, s[6:7]
	v_mov_b32_e32 v11, 0
	v_mov_b32_e32 v20, 0
	s_and_saveexec_b64 s[4:5], s[0:1]
	s_cbranch_execz .LBB613_74
; %bb.73:
	v_lshlrev_b32_e32 v20, 8, v21
	v_mov_b32_e32 v21, 0
	v_lshl_add_u64 v[28:29], v[14:15], 0, v[20:21]
	global_load_ushort v10, v[28:29], off
	v_lshl_add_u64 v[20:21], v[16:17], 0, v[20:21]
	s_waitcnt vmcnt(0)
	v_lshlrev_b32_e32 v10, 16, v10
	v_sub_f32_e32 v10, v10, v12
	global_store_short_d16_hi v[20:21], v10, off
	v_mul_f32_e32 v10, v25, v10
	v_lshrrev_b32_e32 v20, 16, v10
.LBB613_74:
	s_or_b64 exec, exec, s[4:5]
	v_or_b32_e32 v10, 0x9800, v46
	s_and_saveexec_b64 s[0:1], s[2:3]
	s_cbranch_execz .LBB613_76
; %bb.75:
	v_lshlrev_b32_e32 v22, 8, v22
	v_mov_b32_e32 v23, 0
	v_lshl_add_u64 v[14:15], v[14:15], 0, v[22:23]
	global_load_ushort v11, v[14:15], off
	v_lshl_add_u64 v[14:15], v[16:17], 0, v[22:23]
	s_waitcnt vmcnt(0)
	v_lshlrev_b32_e32 v11, 16, v11
	v_sub_f32_e32 v11, v11, v13
	global_store_short_d16_hi v[14:15], v11, off
	v_mul_f32_e32 v11, v19, v11
	v_lshrrev_b32_e32 v11, 16, v11
.LBB613_76:
	s_or_b64 exec, exec, s[0:1]
	s_mov_b32 s0, 0x5040100
	v_perm_b32 v13, v11, v20, s0
	v_lshlrev_b32_e32 v11, 1, v44
	v_perm_b32 v12, v26, v27, s0
	v_lshl_or_b32 v11, v18, 5, v11
	s_movk_i32 s0, 0xff
	ds_write_b64 v11, v[12:13] offset:38912
	v_and_b32_e32 v11, 7, v0
	v_and_b32_e32 v12, 8, v0
	v_cmp_lt_u32_e32 vcc, s0, v0
	v_lshrrev_b32_e32 v0, 1, v0
	v_lshlrev_b32_e32 v22, 3, v11
	v_lshlrev_b32_e32 v23, 7, v11
	v_cndmask_b32_e64 v11, 0, 1, vcc
	v_lshlrev_b32_e32 v25, 3, v48
	v_and_b32_e32 v0, 24, v0
	v_lshlrev_b32_e32 v24, 13, v11
	v_xor_b32_e32 v11, v25, v0
	v_or_b32_e32 v13, 0x440, v11
	v_cmp_eq_u32_e32 vcc, 0, v12
	s_waitcnt lgkmcnt(0)
	s_barrier
	v_cndmask_b32_e32 v11, v13, v11, vcc
	v_or_b32_e32 v11, v11, v45
	v_xad_u32 v26, v11, v22, v23
	v_add_u32_e32 v11, v24, v26
	ds_read_b64 v[20:21], v11
	ds_read2st64_b64 v[12:15], v10 offset1:1
	ds_read2st64_b64 v[16:19], v10 offset0:2 offset1:3
	v_or_b32_e32 v10, 32, v0
	v_xor_b32_e32 v10, v25, v10
	v_or_b32_e32 v11, 0x440, v10
	v_cndmask_b32_e32 v10, v11, v10, vcc
	v_or_b32_e32 v10, v10, v45
	v_xad_u32 v27, v10, v22, v23
	v_add_u32_e32 v10, v24, v27
	ds_read_b64 v[10:11], v10
	s_waitcnt lgkmcnt(2)
	v_mfma_f32_16x16x16_bf16 a[0:3], v[20:21], v[12:13], 0
	s_waitcnt lgkmcnt(0)
	v_mfma_f32_16x16x16_bf16 a[0:3], v[10:11], v[14:15], a[0:3]
	v_or_b32_e32 v10, 64, v0
	v_xor_b32_e32 v10, v25, v10
	v_xor_b32_e32 v11, 0x440, v10
	v_cndmask_b32_e32 v10, v11, v10, vcc
	v_or_b32_e32 v10, v10, v45
	v_xad_u32 v28, v10, v22, v23
	v_add_u32_e32 v10, v24, v28
	ds_read_b64 v[10:11], v10
	v_or_b32_e32 v0, 0x60, v0
	v_xor_b32_e32 v0, v25, v0
	v_xor_b32_e32 v20, 0x440, v0
	v_cndmask_b32_e32 v0, v20, v0, vcc
	v_or_b32_e32 v0, v0, v45
	v_xad_u32 v0, v0, v22, v23
	v_add_u32_e32 v20, v24, v0
	ds_read_b64 v[20:21], v20
	s_waitcnt lgkmcnt(1)
	v_mfma_f32_16x16x16_bf16 a[0:3], v[10:11], v[16:17], a[0:3]
	ds_read_b64 v[10:11], v26 offset:8192
	ds_read_b64 v[22:23], v27 offset:8192
	v_mov_b32_e32 v24, 0x3fb8aa3b
	s_waitcnt lgkmcnt(2)
	v_mfma_f32_16x16x16_bf16 a[0:3], v[20:21], v[18:19], a[0:3]
	v_mul_f32_e32 v20, s20, v24
	v_exp_f32_e32 v24, v20
	ds_read_b64 v[20:21], v28 offset:8192
	s_waitcnt lgkmcnt(2)
	v_mfma_f32_16x16x16_bf16 a[4:7], v[10:11], v[12:13], 0
	s_nop 1
	v_accvgpr_read_b32 v10, a0
	v_fma_f32 v12, v2, v24, v10
	ds_read_b64 v[10:11], v0 offset:8192
	s_waitcnt lgkmcnt(2)
	v_mfma_f32_16x16x16_bf16 a[4:7], v[22:23], v[14:15], a[4:7]
	v_accvgpr_read_b32 v0, a1
	v_fma_f32 v13, v3, v24, v0
	v_accvgpr_read_b32 v0, a2
	s_waitcnt lgkmcnt(1)
	v_mfma_f32_16x16x16_bf16 a[4:7], v[20:21], v[16:17], a[4:7]
	v_accvgpr_read_b32 v15, a3
	v_fma_f32 v14, v4, v24, v0
	v_fmac_f32_e32 v15, v5, v24
	s_waitcnt lgkmcnt(0)
	v_mfma_f32_16x16x16_bf16 a[0:3], v[10:11], v[18:19], a[4:7]
	v_mov_b32_e32 v10, v34
	s_nop 5
	v_accvgpr_read_b32 v0, a0
	v_fma_f32 v16, v6, v24, v0
	v_accvgpr_read_b32 v0, a1
	v_fma_f32 v17, v7, v24, v0
	v_accvgpr_read_b32 v0, a2
	v_accvgpr_read_b32 v19, a3
	v_fma_f32 v18, v8, v24, v0
	v_fmac_f32_e32 v19, v9, v24
	v_mov_b64_e32 v[2:3], v[12:13]
	v_mov_b64_e32 v[4:5], v[14:15]
	;; [unrolled: 1-line block ×4, first 2 shown]
.LBB613_77:
	s_mul_i32 s0, s47, s35
	s_mul_hi_u32 s1, s47, s34
	s_add_i32 s0, s1, s0
	s_mul_i32 s1, s33, s34
	s_add_i32 s1, s0, s1
	s_mul_i32 s0, s47, s34
	s_add_u32 s0, s0, s46
	s_addc_u32 s1, s1, s25
	s_lshl_b64 s[0:1], s[0:1], 15
	s_add_u32 s0, s8, s0
	v_lshlrev_b32_e32 v10, 7, v10
	s_addc_u32 s1, s9, s1
	v_ashrrev_i32_e32 v11, 31, v10
	v_lshl_add_u64 v[10:11], v[10:11], 1, s[0:1]
	v_lshlrev_b32_e32 v0, 1, v1
	v_mov_b32_e32 v1, 0
	s_mov_b32 s0, 0x7060302
	v_lshl_add_u64 v[0:1], v[10:11], 0, v[0:1]
	v_perm_b32 v5, v5, v4, s0
	v_perm_b32 v4, v3, v2, s0
	;; [unrolled: 1-line block ×4, first 2 shown]
	global_store_dwordx2 v[0:1], v[4:5], off
	global_store_dwordx2 v[0:1], v[2:3], off offset:128
	s_endpgm
	.section	.rodata,"a",@progbits
	.p2align	6, 0x0
	.amdhsa_kernel _ZN12_GLOBAL__N_139chunk_gated_delta_rule_fwd_h_hip_kernelILi16ELb0ELb1ELb1ELb1ELb0ELb0ELb1ELb1EEEvPK12hip_bfloat16S3_S3_PKfS5_PKvPS1_S8_PvPKiSB_iiiiilll
		.amdhsa_group_segment_fixed_size 40960
		.amdhsa_private_segment_fixed_size 0
		.amdhsa_kernarg_size 136
		.amdhsa_user_sgpr_count 2
		.amdhsa_user_sgpr_dispatch_ptr 0
		.amdhsa_user_sgpr_queue_ptr 0
		.amdhsa_user_sgpr_kernarg_segment_ptr 1
		.amdhsa_user_sgpr_dispatch_id 0
		.amdhsa_user_sgpr_kernarg_preload_length 0
		.amdhsa_user_sgpr_kernarg_preload_offset 0
		.amdhsa_user_sgpr_private_segment_size 0
		.amdhsa_uses_dynamic_stack 0
		.amdhsa_enable_private_segment 0
		.amdhsa_system_sgpr_workgroup_id_x 1
		.amdhsa_system_sgpr_workgroup_id_y 1
		.amdhsa_system_sgpr_workgroup_id_z 0
		.amdhsa_system_sgpr_workgroup_info 0
		.amdhsa_system_vgpr_workitem_id 0
		.amdhsa_next_free_vgpr 116
		.amdhsa_next_free_sgpr 66
		.amdhsa_accum_offset 108
		.amdhsa_reserve_vcc 1
		.amdhsa_float_round_mode_32 0
		.amdhsa_float_round_mode_16_64 0
		.amdhsa_float_denorm_mode_32 3
		.amdhsa_float_denorm_mode_16_64 3
		.amdhsa_dx10_clamp 1
		.amdhsa_ieee_mode 1
		.amdhsa_fp16_overflow 0
		.amdhsa_tg_split 0
		.amdhsa_exception_fp_ieee_invalid_op 0
		.amdhsa_exception_fp_denorm_src 0
		.amdhsa_exception_fp_ieee_div_zero 0
		.amdhsa_exception_fp_ieee_overflow 0
		.amdhsa_exception_fp_ieee_underflow 0
		.amdhsa_exception_fp_ieee_inexact 0
		.amdhsa_exception_int_div_zero 0
	.end_amdhsa_kernel
	.section	.text._ZN12_GLOBAL__N_139chunk_gated_delta_rule_fwd_h_hip_kernelILi16ELb0ELb1ELb1ELb1ELb0ELb0ELb1ELb1EEEvPK12hip_bfloat16S3_S3_PKfS5_PKvPS1_S8_PvPKiSB_iiiiilll,"axG",@progbits,_ZN12_GLOBAL__N_139chunk_gated_delta_rule_fwd_h_hip_kernelILi16ELb0ELb1ELb1ELb1ELb0ELb0ELb1ELb1EEEvPK12hip_bfloat16S3_S3_PKfS5_PKvPS1_S8_PvPKiSB_iiiiilll,comdat
.Lfunc_end613:
	.size	_ZN12_GLOBAL__N_139chunk_gated_delta_rule_fwd_h_hip_kernelILi16ELb0ELb1ELb1ELb1ELb0ELb0ELb1ELb1EEEvPK12hip_bfloat16S3_S3_PKfS5_PKvPS1_S8_PvPKiSB_iiiiilll, .Lfunc_end613-_ZN12_GLOBAL__N_139chunk_gated_delta_rule_fwd_h_hip_kernelILi16ELb0ELb1ELb1ELb1ELb0ELb0ELb1ELb1EEEvPK12hip_bfloat16S3_S3_PKfS5_PKvPS1_S8_PvPKiSB_iiiiilll
                                        ; -- End function
	.section	.AMDGPU.csdata,"",@progbits
; Kernel info:
; codeLenInByte = 7944
; NumSgprs: 72
; NumVgprs: 108
; NumAgprs: 8
; TotalNumVgprs: 116
; ScratchSize: 0
; MemoryBound: 0
; FloatMode: 240
; IeeeMode: 1
; LDSByteSize: 40960 bytes/workgroup (compile time only)
; SGPRBlocks: 8
; VGPRBlocks: 14
; NumSGPRsForWavesPerEU: 72
; NumVGPRsForWavesPerEU: 116
; AccumOffset: 108
; Occupancy: 1
; WaveLimiterHint : 1
; COMPUTE_PGM_RSRC2:SCRATCH_EN: 0
; COMPUTE_PGM_RSRC2:USER_SGPR: 2
; COMPUTE_PGM_RSRC2:TRAP_HANDLER: 0
; COMPUTE_PGM_RSRC2:TGID_X_EN: 1
; COMPUTE_PGM_RSRC2:TGID_Y_EN: 1
; COMPUTE_PGM_RSRC2:TGID_Z_EN: 0
; COMPUTE_PGM_RSRC2:TIDIG_COMP_CNT: 0
; COMPUTE_PGM_RSRC3_GFX90A:ACCUM_OFFSET: 26
; COMPUTE_PGM_RSRC3_GFX90A:TG_SPLIT: 0
	.section	.text._ZN12_GLOBAL__N_139chunk_gated_delta_rule_fwd_h_hip_kernelILi16ELb0ELb1ELb0ELb1ELb0ELb0ELb1ELb1EEEvPK12hip_bfloat16S3_S3_PKfS5_PKvPS1_S8_PvPKiSB_iiiiilll,"axG",@progbits,_ZN12_GLOBAL__N_139chunk_gated_delta_rule_fwd_h_hip_kernelILi16ELb0ELb1ELb0ELb1ELb0ELb0ELb1ELb1EEEvPK12hip_bfloat16S3_S3_PKfS5_PKvPS1_S8_PvPKiSB_iiiiilll,comdat
	.globl	_ZN12_GLOBAL__N_139chunk_gated_delta_rule_fwd_h_hip_kernelILi16ELb0ELb1ELb0ELb1ELb0ELb0ELb1ELb1EEEvPK12hip_bfloat16S3_S3_PKfS5_PKvPS1_S8_PvPKiSB_iiiiilll ; -- Begin function _ZN12_GLOBAL__N_139chunk_gated_delta_rule_fwd_h_hip_kernelILi16ELb0ELb1ELb0ELb1ELb0ELb0ELb1ELb1EEEvPK12hip_bfloat16S3_S3_PKfS5_PKvPS1_S8_PvPKiSB_iiiiilll
	.p2align	8
	.type	_ZN12_GLOBAL__N_139chunk_gated_delta_rule_fwd_h_hip_kernelILi16ELb0ELb1ELb0ELb1ELb0ELb0ELb1ELb1EEEvPK12hip_bfloat16S3_S3_PKfS5_PKvPS1_S8_PvPKiSB_iiiiilll,@function
_ZN12_GLOBAL__N_139chunk_gated_delta_rule_fwd_h_hip_kernelILi16ELb0ELb1ELb0ELb1ELb0ELb0ELb1ELb1EEEvPK12hip_bfloat16S3_S3_PKfS5_PKvPS1_S8_PvPKiSB_iiiiilll: ; @_ZN12_GLOBAL__N_139chunk_gated_delta_rule_fwd_h_hip_kernelILi16ELb0ELb1ELb0ELb1ELb0ELb0ELb1ELb1EEEvPK12hip_bfloat16S3_S3_PKfS5_PKvPS1_S8_PvPKiSB_iiiiilll
; %bb.0:
	s_load_dwordx4 s[16:19], s[0:1], 0x5c
	s_abs_i32 s23, s3
	s_ashr_i32 s22, s3, 31
	s_load_dwordx2 s[20:21], s[0:1], 0x50
	s_load_dwordx8 s[4:11], s[0:1], 0x0
	s_load_dwordx4 s[12:15], s[0:1], 0x40
	s_load_dwordx2 s[40:41], s[0:1], 0x30
	s_waitcnt lgkmcnt(0)
	s_abs_i32 s26, s17
	v_cvt_f32_u32_e32 v1, s26
	s_sub_i32 s24, 0, s26
	s_ashr_i32 s33, s17, 31
	s_xor_b32 s22, s22, s33
	v_rcp_iflag_f32_e32 v1, v1
	v_lshrrev_b32_e32 v46, 6, v0
	v_bfe_u32 v49, v0, 4, 2
	v_lshlrev_b32_e32 v47, 4, v46
	v_mul_f32_e32 v1, 0x4f7ffffe, v1
	v_cvt_u32_f32_e32 v1, v1
	v_lshlrev_b32_e32 v10, 2, v49
	v_and_b32_e32 v48, 63, v0
	v_mov_b32_e32 v9, 0
	v_readfirstlane_b32 s25, v1
	s_mul_i32 s24, s24, s25
	s_mul_hi_u32 s24, s25, s24
	s_add_i32 s25, s25, s24
	s_mul_hi_u32 s24, s23, s25
	s_mul_i32 s25, s24, s26
	s_sub_i32 s23, s23, s25
	s_add_i32 s27, s24, 1
	s_sub_i32 s25, s23, s26
	s_cmp_ge_u32 s23, s26
	s_cselect_b32 s24, s27, s24
	s_cselect_b32 s23, s25, s23
	s_add_i32 s25, s24, 1
	s_cmp_ge_u32 s23, s26
	s_cselect_b32 s23, s25, s24
	s_xor_b32 s23, s23, s22
	s_sub_i32 s34, s23, s22
	s_mul_i32 s22, s34, s17
	s_ashr_i32 s35, s34, 31
	s_sub_i32 s44, s3, s22
	s_lshl_b64 s[22:23], s[34:35], 2
	s_add_u32 s14, s14, s22
	s_addc_u32 s15, s15, s23
	s_add_u32 s24, s20, s22
	s_addc_u32 s25, s21, s23
	s_abs_i32 s3, s18
	v_cvt_f32_u32_e32 v1, s3
	s_load_dwordx2 s[36:37], s[14:15], 0x0
	s_sub_i32 s15, 0, s3
	s_mov_b32 s45, s17
	v_rcp_iflag_f32_e32 v1, v1
	v_and_b32_e32 v50, 15, v0
	s_waitcnt lgkmcnt(0)
	s_sub_i32 s49, s37, s36
	s_ashr_i32 s14, s49, 31
	v_mul_f32_e32 v1, 0x4f7ffffe, v1
	v_cvt_u32_f32_e32 v1, v1
	s_lshr_b32 s14, s14, 26
	s_add_i32 s14, s49, s14
	s_ashr_i32 s50, s14, 6
	v_readfirstlane_b32 s20, v1
	s_mul_i32 s15, s15, s20
	s_mul_hi_u32 s15, s20, s15
	s_add_i32 s20, s20, s15
	s_mul_hi_u32 s15, s26, s20
	s_mul_i32 s20, s15, s3
	s_ashr_i32 s14, s18, 31
	s_sub_i32 s20, s26, s20
	s_xor_b32 s14, s33, s14
	s_add_i32 s21, s15, 1
	s_sub_i32 s22, s20, s3
	s_cmp_ge_u32 s20, s3
	s_cselect_b32 s15, s21, s15
	s_cselect_b32 s20, s22, s20
	s_add_i32 s21, s15, 1
	s_cmp_ge_u32 s20, s3
	s_cselect_b32 s3, s21, s15
	s_xor_b32 s3, s3, s14
	s_sub_i32 s3, s3, s14
	s_abs_i32 s26, s3
	v_cvt_f32_u32_e32 v1, s26
	s_load_dwordx2 s[14:15], s[0:1], 0x80
	s_load_dwordx4 s[20:23], s[0:1], 0x70
	s_load_dword s51, s[24:25], 0x0
	s_xor_b32 s0, s44, s3
	v_rcp_iflag_f32_e32 v1, v1
	s_sub_i32 s3, 0, s26
	s_abs_i32 s1, s44
	s_ashr_i32 s0, s0, 31
	v_mul_f32_e32 v1, 0x4f7ffffe, v1
	v_cvt_u32_f32_e32 v1, v1
	s_mul_hi_i32 s52, s44, s16
	s_mul_i32 s53, s44, s16
	v_lshrrev_b32_e32 v52, 3, v48
	v_readfirstlane_b32 s24, v1
	s_mul_i32 s3, s3, s24
	s_mul_hi_u32 s3, s24, s3
	s_add_i32 s24, s24, s3
	s_mul_hi_u32 s3, s1, s24
	s_mul_i32 s24, s3, s26
	s_sub_i32 s1, s1, s24
	s_add_i32 s24, s3, 1
	s_sub_i32 s25, s1, s26
	s_cmp_ge_u32 s1, s26
	s_cselect_b32 s3, s24, s3
	s_cselect_b32 s1, s25, s1
	s_add_i32 s24, s3, 1
	s_cmp_ge_u32 s1, s26
	s_cselect_b32 s1, s24, s3
	s_xor_b32 s1, s1, s0
	s_sub_i32 s54, s1, s0
	v_or_b32_e32 v1, v10, v47
	s_lshl_b32 s2, s2, 4
	v_or_b32_e32 v53, 64, v1
	s_cmp_lt_i32 s49, 64
	v_lshlrev_b32_e32 v51, 3, v0
	s_waitcnt lgkmcnt(0)
	s_mul_i32 s46, s34, s21
	s_mul_hi_u32 s47, s34, s20
	s_mul_i32 s48, s35, s20
	s_mul_i32 s38, s34, s20
	v_mov_b32_e32 v8, v9
	v_mov_b32_e32 v7, v9
	v_mov_b32_e32 v6, v9
	v_mov_b32_e32 v5, v9
	v_mov_b32_e32 v4, v9
	v_mov_b32_e32 v3, v9
	v_mov_b32_e32 v2, v9
	s_cbranch_scc1 .LBB614_18
; %bb.1:
	s_ashr_i32 s56, s44, 31
	s_ashr_i32 s1, s36, 31
	s_add_u32 s0, s53, s36
	s_addc_u32 s1, s52, s1
	s_lshl_b64 s[0:1], s[0:1], 8
	v_and_b32_e32 v55, 56, v51
	s_add_u32 s24, s6, s0
	v_lshl_or_b32 v54, v46, 3, v52
	v_lshlrev_b32_e32 v3, 1, v55
	s_addc_u32 s0, s7, s1
	v_lshl_or_b32 v56, v54, 8, v3
	s_and_b32 s25, s0, 0xffff
	s_mov_b32 s27, 0x20000
	s_movk_i32 s26, 0x4000
	s_movk_i32 s0, 0x80
	v_or_b32_e32 v57, 0x2000, v56
	buffer_load_dwordx4 v[4:7], v56, s[24:27], 0 offen
	buffer_load_dwordx4 v[12:15], v56, s[24:27], s0 offen
	buffer_load_dwordx4 v[16:19], v57, s[24:27], 0 offen
	buffer_load_dwordx4 v[20:23], v57, s[24:27], s0 offen
	v_lshlrev_b32_e32 v2, 3, v54
	v_and_or_b32 v9, v0, 7, v2
	v_and_b32_e32 v2, 0x78, v2
	v_lshlrev_b32_e32 v9, 4, v9
	v_xor_b32_e32 v58, v9, v2
	v_mul_lo_u32 v8, v54, s19
	v_or_b32_e32 v59, 0x1000, v58
	v_xor_b32_e32 v2, 8, v58
	s_cmpk_eq_i32 s19, 0x80
	s_mov_b32 s55, s36
	v_xor_b32_e32 v9, 8, v59
	s_cselect_b64 s[0:1], -1, 0
	s_cmpk_lg_i32 s19, 0x80
	s_waitcnt vmcnt(3)
	ds_write_b64 v58, v[4:5] offset:16384
	ds_write_b64 v2, v[6:7] offset:16384
	s_waitcnt vmcnt(2)
	ds_write_b64 v58, v[12:13] offset:24576
	ds_write_b64 v2, v[14:15] offset:24576
	s_waitcnt vmcnt(1)
	ds_write_b64 v58, v[16:17] offset:20480
	ds_write_b64 v9, v[18:19] offset:16384
	s_waitcnt vmcnt(0)
	ds_write_b64 v58, v[20:21] offset:28672
	ds_write_b64 v9, v[22:23] offset:24576
	v_lshl_add_u32 v2, v8, 1, v55
	s_cbranch_scc0 .LBB614_3
; %bb.2:
	v_lshlrev_b32_e32 v6, 1, v2
	v_add_lshl_u32 v5, v2, s19, 1
	s_lshl_b32 s26, s19, 7
	v_lshl_or_b32 v4, v54, 9, v3
	s_cbranch_execz .LBB614_4
	s_branch .LBB614_5
.LBB614_3:
                                        ; implicit-def: $vgpr5
                                        ; implicit-def: $vgpr6
                                        ; implicit-def: $sgpr26
	v_lshl_or_b32 v4, v54, 9, v3
.LBB614_4:
	v_or_b32_e32 v5, 0x100, v4
	s_movk_i32 s26, 0x4000
	v_mov_b32_e32 v6, v4
.LBB614_5:
	s_mul_i32 s20, s36, s18
	s_ashr_i32 s57, s54, 31
	s_mul_hi_i32 s3, s36, s18
	s_add_u32 s20, s20, s54
	s_addc_u32 s21, s3, s57
	s_lshl_b64 s[20:21], s[20:21], 8
	s_add_u32 s24, s4, s20
	s_addc_u32 s3, s5, s21
	s_and_b32 s25, s3, 0xffff
	s_movk_i32 s58, 0x80
	buffer_load_dwordx4 v[12:15], v6, s[24:27], 0 offen
	buffer_load_dwordx4 v[16:19], v6, s[24:27], s58 offen
	;; [unrolled: 1-line block ×4, first 2 shown]
	v_and_b32_e32 v3, 6, v0
	v_lshlrev_b32_e32 v6, 2, v50
	v_lshlrev_b32_e32 v7, 3, v50
	v_xor_b32_e32 v9, v54, v3
	v_and_b32_e32 v5, 1, v0
	v_lshl_or_b32 v7, v1, 5, v7
	v_xor_b32_e32 v11, v1, v6
	v_lshlrev_b32_e32 v9, 2, v9
	s_mul_i32 s3, s44, s23
	s_mul_hi_u32 s21, s44, s22
	v_or_b32_e32 v60, 0x9000, v7
	v_or_b32_e32 v61, 0x9800, v7
	v_lshlrev_b32_e32 v7, 1, v11
	v_xor_b32_e32 v11, 0x440, v9
	v_cmp_eq_u32_e32 vcc, 0, v5
	s_add_i32 s25, s47, s46
	s_mul_i32 s24, s56, s22
	v_cndmask_b32_e32 v5, v11, v9, vcc
	s_add_i32 s3, s21, s3
	s_add_i32 s39, s25, s48
	s_mov_b32 s59, 0x1000504
	v_lshlrev_b32_e32 v8, 8, v50
	s_mov_b32 s26, 0x8000
	v_xor_b32_e32 v6, v53, v6
	v_lshl_or_b32 v3, v3, 10, v5
	s_add_i32 s21, s3, s24
	s_lshl_b64 s[24:25], s[38:39], 2
	s_mov_b32 s60, 0x3020706
	s_mul_i32 s20, s44, s22
	v_lshlrev_b32_e32 v6, 1, v6
	v_or3_b32 v62, v7, v8, s26
	v_xor_b32_e32 v5, 8, v3
	v_xor_b32_e32 v7, 24, v3
	;; [unrolled: 1-line block ×4, first 2 shown]
	s_add_u32 s3, s10, s24
	v_or3_b32 v63, v6, v8, s26
	v_xor_b32_e32 v6, 16, v3
	v_xor_b32_e32 v8, 32, v3
	;; [unrolled: 1-line block ×3, first 2 shown]
	v_add_u32_e32 v5, 0x80, v5
	v_add_u32_e32 v7, 0x80, v7
	;; [unrolled: 1-line block ×4, first 2 shown]
	s_addc_u32 s24, s11, s25
	s_lshl_b64 s[20:21], s[20:21], 2
	s_add_u32 s20, s3, s20
	s_movk_i32 s3, 0xf8
	s_addc_u32 s21, s24, s21
	s_lshl_b32 s30, s19, 7
	s_mov_b32 s61, 0
	v_add_u32_e32 v78, v47, v10
	v_mov_b32_e32 v79, 0x3fb8aa3b
	s_waitcnt vmcnt(1)
	v_perm_b32 v29, v12, v20, s59
	s_waitcnt vmcnt(0)
	v_perm_b32 v30, v16, v24, s59
	v_perm_b32 v12, v12, v20, s60
	;; [unrolled: 1-line block ×15, first 2 shown]
	ds_write2st64_b32 v3, v29, v30 offset1:32
	ds_write2st64_b32 v5, v12, v16 offset1:32
	ds_write2st64_b32 v6, v20, v24 offset0:1 offset1:33
	ds_write2st64_b32 v7, v13, v17 offset0:1 offset1:33
	;; [unrolled: 1-line block ×6, first 2 shown]
	v_or_b32_e32 v3, v47, v50
	v_lshlrev_b32_e32 v3, 3, v3
	v_lshrrev_b32_e32 v7, 5, v48
	v_and_or_b32 v7, v3, s3, v7
	v_lshlrev_b32_e32 v7, 4, v7
	v_lshlrev_b32_e32 v5, 11, v46
	v_and_b32_e32 v3, 0x78, v3
	v_or_b32_e32 v12, 32, v7
	v_and_b32_e32 v6, 0x1000, v5
	v_lshrrev_b32_e32 v11, 1, v0
	v_xor_b32_e32 v12, v12, v3
	v_and_b32_e32 v9, 8, v11
	v_or_b32_e32 v12, v12, v6
	v_xor_b32_e32 v8, v7, v3
	v_xor_b32_e32 v66, v12, v9
	v_or_b32_e32 v12, 64, v7
	v_or_b32_e32 v7, 0x60, v7
	;; [unrolled: 1-line block ×3, first 2 shown]
	v_xor_b32_e32 v12, v12, v3
	v_xor_b32_e32 v3, v7, v3
	;; [unrolled: 1-line block ×3, first 2 shown]
	v_and_b32_e32 v8, 0x78, v51
	v_or_b32_e32 v12, v12, v6
	v_or_b32_e32 v3, v3, v6
	v_lshl_or_b32 v8, v49, 7, v8
	v_xor_b32_e32 v67, v12, v9
	v_xor_b32_e32 v68, v3, v9
	v_lshlrev_b32_e32 v12, 1, v2
	v_add_lshl_u32 v13, v2, s19, 1
	v_lshrrev_b32_e32 v2, 4, v0
	v_lshlrev_b32_e32 v3, 1, v50
	v_or_b32_e32 v65, 0x9000, v8
	v_or_b32_e32 v69, 0x9800, v8
	s_ashr_i32 s3, s2, 31
	v_or_b32_e32 v8, 1, v3
	v_xor_b32_e32 v3, v2, v3
	s_lshl_b64 s[24:25], s[2:3], 8
	v_xor_b32_e32 v8, v8, v2
	v_lshlrev_b32_e32 v3, 3, v3
	v_lshlrev_b32_e32 v2, 8, v2
	s_add_u32 s24, s40, s24
	v_or3_b32 v70, v3, v2, s26
	v_lshlrev_b32_e32 v3, 3, v8
	s_addc_u32 s25, s41, s25
	v_or3_b32 v71, v3, v2, s26
	v_mov_b32_e32 v3, 0
	v_lshl_add_u64 v[8:9], s[24:25], 0, v[2:3]
	v_lshlrev_b32_e32 v2, 4, v50
	s_movk_i32 s3, 0xff
	v_lshlrev_b32_e32 v16, 3, v46
	v_and_b32_e32 v11, 24, v11
	v_lshl_add_u64 v[42:43], v[8:9], 0, v[2:3]
	v_and_b32_e32 v8, 8, v0
	v_cmp_lt_u32_e32 vcc, s3, v0
	v_xor_b32_e32 v17, v16, v11
	v_or_b32_e32 v18, 0x440, v17
	v_cndmask_b32_e64 v15, 0, 1, vcc
	v_cmp_eq_u32_e32 vcc, 0, v8
	v_and_b32_e32 v2, 7, v0
	v_lshlrev_b32_e32 v9, 3, v2
	v_cndmask_b32_e32 v8, v18, v17, vcc
	v_lshlrev_b32_e32 v2, 7, v2
	v_or_b32_e32 v8, v8, v5
	v_xad_u32 v72, v8, v9, v2
	v_or_b32_e32 v8, 32, v11
	v_xor_b32_e32 v8, v16, v8
	v_or_b32_e32 v17, 0x440, v8
	v_cndmask_b32_e32 v8, v17, v8, vcc
	v_or_b32_e32 v8, v8, v5
	v_xad_u32 v73, v8, v9, v2
	v_or_b32_e32 v8, 64, v11
	v_xor_b32_e32 v8, v16, v8
	v_xor_b32_e32 v17, 0x440, v8
	v_cndmask_b32_e32 v8, v17, v8, vcc
	v_or_b32_e32 v8, v8, v5
	v_xad_u32 v74, v8, v9, v2
	v_or_b32_e32 v8, 0x60, v11
	v_xor_b32_e32 v8, v16, v8
	v_xor_b32_e32 v11, 0x440, v8
	v_or_b32_e32 v6, s2, v50
	v_cndmask_b32_e32 v8, v11, v8, vcc
	v_ashrrev_i32_e32 v7, 31, v6
	v_or_b32_e32 v5, v8, v5
	v_lshl_add_u64 v[6:7], v[6:7], 1, s[8:9]
	v_or_b32_e32 v14, 0x100, v4
	v_lshlrev_b32_e32 v15, 13, v15
	v_xad_u32 v75, v5, v9, v2
	v_lshlrev_b32_e32 v2, 8, v1
	v_cndmask_b32_e64 v76, v12, v4, s[0:1]
	v_cndmask_b32_e64 v77, v13, v14, s[0:1]
	v_lshl_add_u64 v[44:45], v[6:7], 0, v[2:3]
	s_mov_b32 s3, 0x7060302
	s_movk_i32 s26, 0x4000
	v_add_u32_e32 v80, v15, v72
	v_add_u32_e32 v81, v15, v73
	;; [unrolled: 1-line block ×4, first 2 shown]
	v_mov_b32_e32 v2, v3
	v_mov_b32_e32 v4, v3
	;; [unrolled: 1-line block ×7, first 2 shown]
	s_waitcnt lgkmcnt(0)
	s_barrier
.LBB614_6:                              ; =>This Inner Loop Header: Depth=1
	s_add_i32 s39, s61, 1
	s_cmp_lt_i32 s39, s50
	s_mov_b64 s[28:29], 0
	s_cselect_b64 s[42:43], -1, 0
	s_cmp_ge_i32 s39, s50
	s_mov_b64 s[24:25], 0
	s_cbranch_scc1 .LBB614_8
; %bb.7:                                ;   in Loop: Header=BB614_6 Depth=1
	s_add_i32 s0, s55, 64
	s_ashr_i32 s1, s0, 31
	s_add_u32 s0, s53, s0
	s_addc_u32 s1, s52, s1
	s_lshl_b64 s[0:1], s[0:1], 8
	s_add_u32 s24, s6, s0
	s_addc_u32 s25, s7, s1
.LBB614_8:                              ;   in Loop: Header=BB614_6 Depth=1
	v_cndmask_b32_e64 v5, 0, 1, s[42:43]
	v_cmp_ne_u32_e64 s[0:1], 1, v5
	s_andn2_b64 vcc, exec, s[42:43]
	s_cbranch_vccnz .LBB614_10
; %bb.9:                                ;   in Loop: Header=BB614_6 Depth=1
	s_add_i32 s28, s55, 64
	s_mul_hi_i32 s29, s28, s18
	s_mul_i32 s28, s28, s18
	s_add_u32 s28, s28, s54
	s_addc_u32 s29, s29, s57
	s_lshl_b64 s[28:29], s[28:29], 8
	s_add_u32 s28, s4, s28
	s_addc_u32 s29, s5, s29
.LBB614_10:                             ;   in Loop: Header=BB614_6 Depth=1
	v_perm_b32 v11, v85, v4, s3
	v_perm_b32 v10, v3, v2, s3
	;; [unrolled: 1-line block ×4, first 2 shown]
	ds_write_b64 v60, v[10:11]
	ds_write_b64 v61, v[12:13]
	;; [unrolled: 1-line block ×4, first 2 shown]
	s_waitcnt lgkmcnt(0)
	s_barrier
	ds_read_b64 v[18:19], v64 offset:16384
	ds_read_b64 v[20:21], v66 offset:16384
	ds_read2st64_b64 v[10:13], v65 offset1:1
	s_waitcnt lgkmcnt(0)
	v_mfma_f32_16x16x16_bf16 a[0:3], v[18:19], v[10:11], 0
	ds_read2st64_b64 v[14:17], v65 offset0:2 offset1:3
	ds_read_b64 v[22:23], v67 offset:16384
	ds_read_b64 v[10:11], v68 offset:16384
	s_add_i32 s31, s55, 63
	v_mfma_f32_16x16x16_bf16 a[0:3], v[20:21], v[12:13], a[0:3]
	s_ashr_i32 s42, s31, 31
	s_mul_i32 s43, s31, s15
	s_mul_hi_u32 s62, s31, s14
	s_waitcnt lgkmcnt(1)
	v_mfma_f32_16x16x16_bf16 a[0:3], v[22:23], v[14:15], a[0:3]
	s_add_i32 s43, s62, s43
	s_mul_i32 s42, s42, s14
	s_add_i32 s43, s43, s42
	s_mul_i32 s42, s31, s14
	s_waitcnt lgkmcnt(0)
	v_mfma_f32_16x16x16_bf16 a[0:3], v[10:11], v[16:17], a[0:3]
	s_lshl_b64 s[42:43], s[42:43], 2
	s_add_u32 s42, s20, s42
	s_addc_u32 s43, s21, s43
	s_and_b64 vcc, exec, s[0:1]
	v_mov_b32_e32 v86, 0
	v_mov_b32_e32 v9, 0
	;; [unrolled: 1-line block ×19, first 2 shown]
	s_cbranch_vccnz .LBB614_12
; %bb.11:                               ;   in Loop: Header=BB614_6 Depth=1
	s_and_b32 s25, s25, 0xffff
	buffer_load_dwordx4 v[22:25], v56, s[24:27], 0 offen
	buffer_load_dwordx4 v[18:21], v56, s[24:27], s58 offen
	;; [unrolled: 1-line block ×4, first 2 shown]
	v_mov_b32_e32 v9, v58
	v_mov_b32_e32 v5, v59
.LBB614_12:                             ;   in Loop: Header=BB614_6 Depth=1
	s_waitcnt vmcnt(3)
	v_add_u32_e32 v30, s55, v78
	s_waitcnt vmcnt(1)
	v_ashrrev_i32_e32 v26, 31, v30
	v_mul_lo_u32 v28, v26, s14
	v_mul_lo_u32 v29, v30, s15
	v_mad_u64_u32 v[26:27], s[24:25], v30, s14, 0
	v_add3_u32 v27, v27, v29, v28
	v_lshl_add_u64 v[26:27], v[26:27], 2, s[20:21]
	global_load_dword v92, v[26:27], off
	v_add_u32_e32 v26, 1, v30
	v_ashrrev_i32_e32 v27, 31, v26
	v_mul_lo_u32 v28, v27, s14
	v_mul_lo_u32 v29, v26, s15
	v_mad_u64_u32 v[26:27], s[24:25], v26, s14, 0
	v_add3_u32 v27, v27, v29, v28
	v_add_u32_e32 v28, 2, v30
	v_ashrrev_i32_e32 v29, 31, v28
	v_mul_lo_u32 v31, v29, s14
	v_mul_lo_u32 v32, v28, s15
	v_mad_u64_u32 v[28:29], s[24:25], v28, s14, 0
	v_add_u32_e32 v30, 3, v30
	v_add3_u32 v29, v29, v32, v31
	v_ashrrev_i32_e32 v31, 31, v30
	v_mul_lo_u32 v34, v31, s14
	v_mul_lo_u32 v35, v30, s15
	v_mad_u64_u32 v[30:31], s[24:25], v30, s14, 0
	s_ashr_i32 s25, s55, 31
	s_add_u32 s24, s53, s55
	s_addc_u32 s25, s52, s25
	s_lshl_b64 s[24:25], s[24:25], 8
	v_lshl_add_u64 v[26:27], v[26:27], 2, s[20:21]
	v_lshl_add_u64 v[32:33], v[44:45], 0, s[24:25]
	v_add3_u32 v31, v31, v35, v34
	v_lshl_add_u64 v[28:29], v[28:29], 2, s[20:21]
	global_load_ushort v93, v[32:33], off
	global_load_ushort v94, v[32:33], off offset:256
	global_load_ushort v95, v[32:33], off offset:512
	;; [unrolled: 1-line block ×3, first 2 shown]
	v_lshl_add_u64 v[30:31], v[30:31], 2, s[20:21]
	global_load_dword v97, v[26:27], off
	global_load_dword v98, v[28:29], off
	;; [unrolled: 1-line block ×3, first 2 shown]
	s_load_dword s24, s[42:43], 0x0
	ds_read_b64 v[34:35], v64 offset:24576
	ds_read2st64_b64 v[30:33], v69 offset1:1
	ds_read2st64_b64 v[36:39], v69 offset0:2 offset1:3
	ds_read_b64 v[40:41], v66 offset:24576
	ds_read_b64 v[88:89], v67 offset:24576
	;; [unrolled: 1-line block ×3, first 2 shown]
	s_waitcnt lgkmcnt(0)
	v_mfma_f32_16x16x16_bf16 a[0:3], v[34:35], v[30:31], a[0:3]
	v_mov_b32_e32 v87, 0
	v_mov_b32_e32 v26, 0
	v_mov_b32_e32 v27, 0
	v_mfma_f32_16x16x16_bf16 a[0:3], v[40:41], v[32:33], a[0:3]
	v_mov_b32_e32 v28, 0
	v_mov_b32_e32 v29, 0
	v_mov_b32_e32 v30, 0
	;; [unrolled: 4-line block ×4, first 2 shown]
	s_and_b64 vcc, exec, s[0:1]
	s_waitcnt vmcnt(7)
	v_sub_f32_e32 v37, s24, v92
	v_mul_f32_e32 v37, 0x3fb8aa3b, v37
	v_exp_f32_e32 v92, v37
	v_accvgpr_read_b32 v41, a1
	v_accvgpr_read_b32 v39, a3
	;; [unrolled: 1-line block ×4, first 2 shown]
	s_waitcnt vmcnt(6)
	v_lshlrev_b32_e32 v88, 16, v93
	s_waitcnt vmcnt(5)
	v_lshlrev_b32_e32 v89, 16, v94
	;; [unrolled: 2-line block ×3, first 2 shown]
	s_waitcnt vmcnt(2)
	v_sub_f32_e32 v93, s24, v97
	s_waitcnt vmcnt(1)
	v_sub_f32_e32 v94, s24, v98
	;; [unrolled: 2-line block ×3, first 2 shown]
	v_mul_f32_e32 v37, 0x3fb8aa3b, v93
	v_mul_f32_e32 v94, 0x3fb8aa3b, v94
	;; [unrolled: 1-line block ×3, first 2 shown]
	v_exp_f32_e32 v93, v37
	v_exp_f32_e32 v94, v94
	;; [unrolled: 1-line block ×3, first 2 shown]
	v_lshlrev_b32_e32 v91, 16, v96
	v_pk_add_f32 v[40:41], v[88:89], v[40:41] neg_lo:[0,1] neg_hi:[0,1]
	v_pk_add_f32 v[38:39], v[90:91], v[38:39] neg_lo:[0,1] neg_hi:[0,1]
	v_pk_mul_f32 v[40:41], v[92:93], v[40:41]
	v_pk_mul_f32 v[38:39], v[94:95], v[38:39]
	v_mov_b32_e32 v37, 0
	v_perm_b32 v39, v39, v38, s3
	v_perm_b32 v38, v41, v40, s3
	ds_write_b64 v61, v[38:39]
	v_mov_b32_e32 v38, 0
	v_mov_b32_e32 v39, 0
	;; [unrolled: 1-line block ×4, first 2 shown]
	s_cbranch_vccnz .LBB614_14
; %bb.13:                               ;   in Loop: Header=BB614_6 Depth=1
	s_and_b32 s29, s29, 0xffff
	s_mov_b32 s31, s27
	buffer_load_dwordx4 v[38:41], v76, s[28:31], 0 offen
	buffer_load_dwordx4 v[30:33], v76, s[28:31], s58 offen
	;; [unrolled: 1-line block ×4, first 2 shown]
	v_mov_b32_e32 v86, v55
	v_mov_b32_e32 v87, v54
.LBB614_14:                             ;   in Loop: Header=BB614_6 Depth=1
	s_waitcnt lgkmcnt(0)
	s_barrier
	ds_read_b64 v[96:97], v80
	ds_read2st64_b64 v[88:91], v69 offset1:1
	ds_read2st64_b64 v[92:95], v69 offset0:2 offset1:3
	ds_read_b64 v[98:99], v81
	ds_read_b64 v[100:101], v82
	;; [unrolled: 1-line block ×3, first 2 shown]
	s_waitcnt lgkmcnt(4)
	v_mfma_f32_16x16x16_bf16 a[0:3], v[96:97], v[88:89], 0
	ds_read_b64 v[96:97], v72 offset:8192
	ds_read_b64 v[104:105], v73 offset:8192
	s_add_i32 s25, s51, s61
	s_mul_hi_i32 s29, s25, s45
	s_waitcnt lgkmcnt(1)
	v_mfma_f32_16x16x16_bf16 a[4:7], v[96:97], v[88:89], 0
	s_mul_i32 s25, s25, s45
	s_add_u32 s28, s25, s44
	s_addc_u32 s29, s29, s56
	v_mfma_f32_16x16x16_bf16 a[0:3], v[98:99], v[90:91], a[0:3]
	ds_read_b64 v[96:97], v70
	ds_read_b64 v[98:99], v71
	ds_read_b64 v[88:89], v74 offset:8192
	s_lshl_b64 s[28:29], s[28:29], 15
	v_mfma_f32_16x16x16_bf16 a[0:3], v[100:101], v[92:93], a[0:3]
	ds_read_b64 v[100:101], v75 offset:8192
	s_and_b64 vcc, exec, s[0:1]
	s_waitcnt lgkmcnt(4)
	v_mfma_f32_16x16x16_bf16 a[4:7], v[104:105], v[90:91], a[4:7]
	s_waitcnt lgkmcnt(1)
	v_mfma_f32_16x16x16_bf16 a[4:7], v[88:89], v[92:93], a[4:7]
	v_lshl_add_u64 v[88:89], v[42:43], 0, s[28:29]
	global_store_dwordx4 v[88:89], v[96:99], off
	v_mfma_f32_16x16x16_bf16 a[0:3], v[102:103], v[94:95], a[0:3]
	s_waitcnt lgkmcnt(0)
	v_mfma_f32_16x16x16_bf16 a[4:7], v[100:101], v[94:95], a[4:7]
	s_cbranch_vccnz .LBB614_16
; %bb.15:                               ;   in Loop: Header=BB614_6 Depth=1
	v_lshrrev_b32_e32 v88, 3, v86
	v_and_b32_e32 v88, 6, v88
	v_xor_b32_e32 v87, v88, v87
	v_lshlrev_b32_e32 v87, 2, v87
	v_and_b32_e32 v86, 8, v86
	v_xor_b32_e32 v89, 0x440, v87
	v_cmp_eq_u32_e32 vcc, 0, v86
	s_barrier
	s_nop 0
	v_cndmask_b32_e32 v86, v89, v87, vcc
	v_lshl_or_b32 v86, v88, 10, v86
	s_waitcnt vmcnt(2)
	v_perm_b32 v87, v38, v34, s59
	s_waitcnt vmcnt(1)
	v_perm_b32 v88, v30, v26, s59
	ds_write2st64_b32 v86, v87, v88 offset1:32
	v_xor_b32_e32 v87, 8, v86
	v_perm_b32 v34, v38, v34, s60
	v_perm_b32 v26, v30, v26, s60
	v_add_u32_e32 v30, 0x80, v87
	ds_write2st64_b32 v30, v34, v26 offset1:32
	v_xor_b32_e32 v26, 16, v86
	v_perm_b32 v30, v39, v35, s59
	v_perm_b32 v34, v31, v27, s59
	ds_write2st64_b32 v26, v30, v34 offset0:1 offset1:33
	v_xor_b32_e32 v26, 24, v86
	v_perm_b32 v30, v39, v35, s60
	v_perm_b32 v27, v31, v27, s60
	v_add_u32_e32 v26, 0x80, v26
	ds_write2st64_b32 v26, v30, v27 offset0:1 offset1:33
	v_xor_b32_e32 v26, 32, v86
	v_perm_b32 v27, v40, v36, s59
	v_perm_b32 v30, v32, v28, s59
	ds_write2st64_b32 v26, v27, v30 offset0:2 offset1:34
	v_xor_b32_e32 v26, 40, v86
	v_perm_b32 v27, v40, v36, s60
	v_perm_b32 v28, v32, v28, s60
	v_add_u32_e32 v26, 0x80, v26
	ds_write2st64_b32 v26, v27, v28 offset0:2 offset1:34
	v_xor_b32_e32 v26, 48, v86
	v_perm_b32 v27, v41, v37, s59
	v_perm_b32 v28, v33, v29, s59
	ds_write2st64_b32 v26, v27, v28 offset0:3 offset1:35
	v_xor_b32_e32 v26, 56, v86
	v_perm_b32 v27, v41, v37, s60
	v_perm_b32 v28, v33, v29, s60
	v_add_u32_e32 v26, 0x80, v26
	ds_write2st64_b32 v26, v27, v28 offset0:3 offset1:35
	ds_write_b64 v9, v[22:23] offset:16384
	v_xor_b32_e32 v22, 8, v9
	ds_write_b64 v22, v[24:25] offset:16384
	ds_write_b64 v9, v[18:19] offset:24576
	;; [unrolled: 1-line block ×4, first 2 shown]
	v_xor_b32_e32 v9, 8, v5
	ds_write_b64 v9, v[16:17] offset:16384
	ds_write_b64 v5, v[10:11] offset:24576
	;; [unrolled: 1-line block ×3, first 2 shown]
.LBB614_16:                             ;   in Loop: Header=BB614_6 Depth=1
	v_mul_f32_e32 v5, s24, v79
	v_exp_f32_e32 v10, v5
	s_nop 1
	v_accvgpr_read_b32 v9, a1
	v_accvgpr_read_b32 v5, a0
	s_add_i32 s55, s55, 64
	v_fma_f32 v3, v3, v10, v9
	v_accvgpr_read_b32 v9, a4
	v_fma_f32 v6, v6, v10, v9
	v_accvgpr_read_b32 v9, a5
	;; [unrolled: 2-line block ×6, first 2 shown]
	v_fmac_f32_e32 v5, v85, v10
	s_cmp_eq_u32 s50, s39
	v_fmac_f32_e32 v9, v84, v10
	s_cbranch_scc1 .LBB614_18
; %bb.17:                               ;   in Loop: Header=BB614_6 Depth=1
	s_mov_b32 s61, s39
	v_mov_b32_e32 v85, v5
	v_mov_b32_e32 v84, v9
	s_branch .LBB614_6
.LBB614_18:
	s_lshl_b32 s3, s50, 6
	s_sub_i32 s49, s49, s3
	s_cmp_gt_i32 s49, 0
	s_waitcnt vmcnt(2)
	v_or_b32_e32 v34, s2, v50
	s_cbranch_scc1 .LBB614_20
; %bb.19:
	s_ashr_i32 s21, s44, 31
	v_or_b32_e32 v10, s2, v50
	s_cbranch_execz .LBB614_21
	s_branch .LBB614_77
.LBB614_20:
                                        ; implicit-def: $vgpr10
                                        ; implicit-def: $sgpr20_sgpr21
.LBB614_21:
	s_add_i32 s20, s3, s36
	s_ashr_i32 s3, s20, 31
	s_cmpk_lg_i32 s19, 0x80
	s_cselect_b64 s[30:31], -1, 0
	s_and_b64 vcc, exec, s[30:31]
	s_cbranch_vccz .LBB614_23
; %bb.22:
	s_mul_hi_i32 s0, s20, s18
	s_mul_i32 s1, s20, s18
	s_ashr_i32 s18, s54, 31
	s_add_u32 s42, s1, s54
	s_addc_u32 s43, s0, s18
	s_cbranch_execz .LBB614_24
	s_branch .LBB614_25
.LBB614_23:
                                        ; implicit-def: $sgpr42_sgpr43
.LBB614_24:
	s_mul_i32 s1, s54, s16
	s_mul_hi_i32 s0, s54, s16
	s_add_u32 s42, s1, s20
	s_addc_u32 s43, s0, s3
.LBB614_25:
	s_add_i32 s16, s50, s51
	s_ashr_i32 s21, s44, 31
	s_add_u32 s0, s53, s20
	s_addc_u32 s1, s52, s3
	s_mov_b32 s3, 0x7060302
	v_lshlrev_b32_e32 v14, 3, v50
	s_lshl_b64 s[28:29], s[0:1], 8
	v_perm_b32 v11, v5, v4, s3
	v_perm_b32 v10, v3, v2, s3
	;; [unrolled: 1-line block ×4, first 2 shown]
	v_lshlrev_b32_e32 v44, 2, v50
	v_lshl_or_b32 v14, v1, 5, v14
	s_add_u32 s0, s6, s28
	ds_write2st64_b64 v14, v[10:11], v[12:13] offset0:72 offset1:76
	v_xor_b32_e32 v14, v1, v44
	v_lshlrev_b32_e32 v15, 8, v50
	s_addc_u32 s1, s7, s29
	v_lshl_or_b32 v14, v14, 1, v15
	s_mul_hi_i32 s3, s16, s17
	s_mul_i32 s16, s16, s17
	ds_write_b64 v14, v[10:11] offset:32768
	v_xor_b32_e32 v10, v53, v44
	s_add_u32 s6, s16, s44
	v_lshl_or_b32 v10, v10, 1, v15
	s_addc_u32 s7, s3, s21
	v_lshlrev_b32_e32 v11, 1, v50
	ds_write_b64 v10, v[12:13] offset:32768
	v_lshrrev_b32_e32 v10, 4, v0
	s_ashr_i32 s3, s2, 31
	s_lshl_b64 s[6:7], s[6:7], 15
	v_or_b32_e32 v12, 1, v11
	s_add_u32 s6, s40, s6
	v_xor_b32_e32 v11, v10, v11
	v_xor_b32_e32 v12, v12, v10
	v_lshlrev_b32_e32 v14, 8, v10
	s_addc_u32 s7, s41, s7
	s_lshl_b64 s[2:3], s[2:3], 8
	v_lshl_or_b32 v10, v11, 3, v14
	v_lshl_or_b32 v12, v12, 3, v14
	s_waitcnt lgkmcnt(0)
	s_barrier
	s_add_u32 s2, s6, s2
	ds_read_b64 v[10:11], v10 offset:32768
	ds_read_b64 v[12:13], v12 offset:32768
	s_addc_u32 s3, s7, s3
	v_mov_b32_e32 v15, 0
	s_cmp_lg_u32 s49, 64
	v_lshl_add_u64 v[16:17], s[2:3], 0, v[14:15]
	v_lshlrev_b32_e32 v14, 4, v50
	s_cselect_b64 s[6:7], -1, 0
	v_lshl_or_b32 v35, v46, 3, v52
	s_mov_b32 s24, 0
	v_lshl_add_u64 v[14:15], v[16:17], 0, v[14:15]
	s_waitcnt vmcnt(1)
	v_or_b32_e32 v27, 32, v35
	v_and_b32_e32 v26, 56, v51
	s_and_b64 vcc, exec, s[6:7]
	s_waitcnt lgkmcnt(0)
	global_store_dwordx4 v[14:15], v[10:13], off
	s_cbranch_vccz .LBB614_31
; %bb.26:
	s_mov_b32 s25, s24
	s_mov_b32 s26, s24
	;; [unrolled: 1-line block ×3, first 2 shown]
	v_mov_b64_e32 v[14:15], s[24:25]
	v_mov_b64_e32 v[16:17], s[26:27]
	;; [unrolled: 1-line block ×3, first 2 shown]
	v_cmp_gt_i32_e32 vcc, s49, v35
	v_mov_b64_e32 v[12:13], v[16:17]
	s_and_saveexec_b64 s[2:3], vcc
	s_cbranch_execz .LBB614_28
; %bb.27:
	v_lshlrev_b32_e32 v10, 8, v35
	v_mov_b32_e32 v11, 0
	v_lshl_add_u64 v[12:13], s[0:1], 0, v[10:11]
	v_lshlrev_b32_e32 v10, 1, v26
	v_lshl_add_u64 v[18:19], v[12:13], 0, v[10:11]
	global_load_dwordx4 v[14:17], v[18:19], off
	global_load_dwordx4 v[10:13], v[18:19], off offset:128
.LBB614_28:
	s_or_b64 exec, exec, s[2:3]
	s_mov_b32 s25, s24
	s_mov_b32 s26, s24
	s_mov_b32 s27, s24
	v_mov_b64_e32 v[22:23], s[24:25]
	v_mov_b64_e32 v[24:25], s[26:27]
	;; [unrolled: 1-line block ×3, first 2 shown]
	v_cmp_gt_i32_e32 vcc, s49, v27
	v_lshlrev_b32_e32 v28, 7, v27
	v_mov_b64_e32 v[20:21], v[24:25]
	s_and_saveexec_b64 s[2:3], vcc
	s_cbranch_execz .LBB614_30
; %bb.29:
	v_lshlrev_b32_e32 v18, 1, v28
	v_mov_b32_e32 v19, 0
	v_lshl_add_u64 v[20:21], s[0:1], 0, v[18:19]
	v_lshlrev_b32_e32 v18, 1, v26
	v_lshl_add_u64 v[30:31], v[20:21], 0, v[18:19]
	global_load_dwordx4 v[22:25], v[30:31], off
	global_load_dwordx4 v[18:21], v[30:31], off offset:128
.LBB614_30:
	s_or_b64 exec, exec, s[2:3]
	v_lshrrev_b32_e32 v29, 3, v26
	v_lshlrev_b32_e32 v30, 3, v35
	v_or_b32_e32 v29, v30, v29
	v_lshlrev_b32_e32 v29, 4, v29
	v_and_b32_e32 v30, 0x78, v30
	v_xor_b32_e32 v29, v29, v30
	s_branch .LBB614_33
.LBB614_31:
                                        ; implicit-def: $vgpr29
                                        ; implicit-def: $vgpr28
                                        ; implicit-def: $vgpr14_vgpr15_vgpr16_vgpr17
                                        ; implicit-def: $vgpr10_vgpr11_vgpr12_vgpr13
                                        ; implicit-def: $vgpr22_vgpr23_vgpr24_vgpr25
                                        ; implicit-def: $vgpr18_vgpr19_vgpr20_vgpr21
	s_cbranch_execz .LBB614_33
; %bb.32:
	s_waitcnt vmcnt(0)
	v_lshlrev_b32_e32 v10, 1, v26
	v_lshl_or_b32 v28, v35, 8, v10
	s_and_b32 s1, s1, 0xffff
	s_mov_b32 s3, 0x20000
	s_movk_i32 s2, 0x4000
	v_lshl_or_b32 v29, v27, 8, v10
	s_movk_i32 s16, 0x80
	buffer_load_dwordx4 v[14:17], v28, s[0:3], 0 offen
	buffer_load_dwordx4 v[10:13], v28, s[0:3], s16 offen
	;; [unrolled: 1-line block ×4, first 2 shown]
	v_lshrrev_b32_e32 v28, 3, v26
	v_lshlrev_b32_e32 v29, 3, v35
	v_or_b32_e32 v28, v29, v28
	v_lshlrev_b32_e32 v28, 4, v28
	v_and_b32_e32 v29, 0x78, v29
	v_xor_b32_e32 v29, v28, v29
	v_lshlrev_b32_e32 v28, 7, v27
.LBB614_33:
	s_lshl_b64 s[0:1], s[42:43], 8
	s_add_u32 s4, s4, s0
	s_movk_i32 s0, 0x1000
	v_and_or_b32 v27, v28, s0, v29
	s_waitcnt vmcnt(1)
	ds_write_b64 v29, v[14:15] offset:16384
	v_xor_b32_e32 v14, 8, v29
	ds_write_b64 v14, v[16:17] offset:16384
	s_waitcnt vmcnt(0)
	ds_write_b64 v29, v[10:11] offset:24576
	ds_write_b64 v14, v[12:13] offset:24576
	;; [unrolled: 1-line block ×3, first 2 shown]
	v_xor_b32_e32 v10, 8, v27
	ds_write_b64 v10, v[24:25] offset:16384
	ds_write_b64 v27, v[18:19] offset:24576
	;; [unrolled: 1-line block ×3, first 2 shown]
	v_or_b32_e32 v10, v47, v50
	v_lshlrev_b32_e32 v10, 3, v10
	v_lshrrev_b32_e32 v12, 5, v48
	s_movk_i32 s18, 0xf8
	v_and_or_b32 v12, v10, s18, v12
	v_lshlrev_b32_e32 v45, 11, v46
	v_lshlrev_b32_e32 v20, 4, v12
	v_and_b32_e32 v21, 0x78, v10
	v_and_b32_e32 v22, 0x1000, v45
	v_lshlrev_b32_e32 v11, 2, v0
	v_xor_b32_e32 v10, v20, v21
	v_lshrrev_b32_e32 v12, 1, v48
	v_and_b32_e32 v11, 60, v11
	v_or_b32_e32 v10, v10, v22
	v_and_b32_e32 v23, 8, v12
	v_xor_b32_e32 v36, v10, v23
	v_lshl_or_b32 v10, v49, 6, v11
	v_lshlrev_b32_e32 v49, 1, v10
	v_or_b32_e32 v10, 32, v20
	v_xor_b32_e32 v10, v10, v21
	s_waitcnt lgkmcnt(0)
	s_barrier
	ds_read_b64 v[18:19], v36 offset:16384
	v_or_b32_e32 v10, v10, v22
	v_xor_b32_e32 v37, v10, v23
	v_or_b32_e32 v10, 64, v20
	v_xor_b32_e32 v10, v10, v21
	v_or_b32_e32 v10, v10, v22
	v_or_b32_e32 v20, 0x60, v20
	v_xor_b32_e32 v38, v10, v23
	ds_read2st64_b64 v[10:13], v49 offset0:72 offset1:73
	ds_read2st64_b64 v[14:17], v49 offset0:74 offset1:75
	v_xor_b32_e32 v24, v20, v21
	ds_read_b64 v[20:21], v37 offset:16384
	s_waitcnt lgkmcnt(2)
	v_mfma_f32_16x16x16_bf16 a[0:3], v[18:19], v[10:11], 0
	s_addc_u32 s5, s5, s1
	s_add_i32 s2, s37, -1
	s_add_i32 s0, s47, s46
	s_add_i32 s39, s0, s48
	s_mul_i32 s0, s44, s23
	s_mul_hi_u32 s1, s44, s22
	s_ashr_i32 s3, s2, 31
	s_mul_i32 s16, s2, s15
	s_mul_hi_u32 s17, s2, s14
	s_add_i32 s0, s1, s0
	s_mul_i32 s1, s21, s22
	s_add_i32 s16, s17, s16
	s_mul_i32 s3, s3, s14
	v_or_b32_e32 v22, v24, v22
	s_add_i32 s1, s0, s1
	s_add_i32 s3, s16, s3
	s_lshl_b64 s[16:17], s[38:39], 2
	v_xor_b32_e32 v50, v22, v23
	ds_read_b64 v[22:23], v38 offset:16384
	ds_read_b64 v[24:25], v50 offset:16384
	s_waitcnt lgkmcnt(2)
	v_mfma_f32_16x16x16_bf16 a[0:3], v[20:21], v[12:13], a[0:3]
	s_mul_i32 s0, s44, s22
	s_add_u32 s10, s10, s16
	s_addc_u32 s11, s11, s17
	s_lshl_b64 s[0:1], s[0:1], 2
	s_mul_i32 s2, s2, s14
	s_add_u32 s10, s10, s0
	s_addc_u32 s11, s11, s1
	s_lshl_b64 s[0:1], s[2:3], 2
	s_waitcnt lgkmcnt(1)
	v_mfma_f32_16x16x16_bf16 a[0:3], v[22:23], v[14:15], a[0:3]
	s_add_u32 s0, s10, s0
	s_addc_u32 s1, s11, s1
	s_load_dword s16, s[0:1], 0x0
	s_waitcnt lgkmcnt(0)
	v_mfma_f32_16x16x16_bf16 a[0:3], v[24:25], v[16:17], a[0:3]
	s_and_b64 vcc, exec, s[30:31]
	s_cbranch_vccz .LBB614_44
; %bb.34:
	v_lshlrev_b32_e32 v27, 1, v35
	s_and_b64 vcc, exec, s[6:7]
	s_cbranch_vccz .LBB614_45
; %bb.35:
	v_cmp_gt_i32_e32 vcc, s49, v27
	v_mov_b32_e32 v14, 0
	v_mov_b32_e32 v10, 0
	;; [unrolled: 1-line block ×5, first 2 shown]
	s_and_saveexec_b64 s[0:1], vcc
	s_cbranch_execz .LBB614_37
; %bb.36:
	v_mad_i64_i32 v[10:11], s[2:3], s19, v27, 0
	v_lshl_add_u64 v[10:11], v[10:11], 1, s[4:5]
	v_lshlrev_b32_e32 v12, 1, v26
	v_mov_b32_e32 v13, 0
	v_lshl_add_u64 v[10:11], v[10:11], 0, v[12:13]
	global_load_dwordx4 v[10:13], v[10:11], off
.LBB614_37:
	s_or_b64 exec, exec, s[0:1]
	v_or_b32_e32 v28, 1, v27
	v_cmp_gt_i32_e64 s[0:1], s49, v28
	v_mov_b32_e32 v15, 0
	v_mov_b32_e32 v16, 0
	;; [unrolled: 1-line block ×3, first 2 shown]
	s_and_saveexec_b64 s[2:3], s[0:1]
	s_cbranch_execz .LBB614_39
; %bb.38:
	v_mad_i64_i32 v[14:15], s[22:23], s19, v28, 0
	v_lshl_add_u64 v[14:15], v[14:15], 1, s[4:5]
	v_lshlrev_b32_e32 v16, 1, v26
	v_mov_b32_e32 v17, 0
	v_lshl_add_u64 v[14:15], v[14:15], 0, v[16:17]
	global_load_dwordx4 v[14:17], v[14:15], off
.LBB614_39:
	s_or_b64 exec, exec, s[2:3]
	v_mov_b32_e32 v25, 0
	v_mov_b32_e32 v18, 0
	;; [unrolled: 1-line block ×5, first 2 shown]
	s_and_saveexec_b64 s[2:3], vcc
	s_cbranch_execz .LBB614_41
; %bb.40:
	v_mad_i64_i32 v[18:19], s[22:23], s19, v27, 0
	v_lshl_add_u64 v[18:19], v[18:19], 1, s[4:5]
	v_lshlrev_b32_e32 v20, 1, v26
	v_mov_b32_e32 v21, 0
	v_lshl_add_u64 v[18:19], v[18:19], 0, v[20:21]
	global_load_dwordx4 v[18:21], v[18:19], off offset:128
.LBB614_41:
	s_or_b64 exec, exec, s[2:3]
	v_mov_b32_e32 v24, 0
	v_mov_b32_e32 v23, 0
	;; [unrolled: 1-line block ×3, first 2 shown]
	s_and_saveexec_b64 s[2:3], s[0:1]
	s_cbranch_execz .LBB614_43
; %bb.42:
	v_mad_i64_i32 v[22:23], s[0:1], s19, v28, 0
	v_lshl_add_u64 v[22:23], v[22:23], 1, s[4:5]
	v_lshlrev_b32_e32 v24, 1, v26
	v_mov_b32_e32 v25, 0
	v_lshl_add_u64 v[22:23], v[22:23], 0, v[24:25]
	global_load_dwordx4 v[22:25], v[22:23], off offset:128
.LBB614_43:
	s_or_b64 exec, exec, s[2:3]
	s_branch .LBB614_47
.LBB614_44:
                                        ; implicit-def: $vgpr13
                                        ; implicit-def: $vgpr17
                                        ; implicit-def: $vgpr21
                                        ; implicit-def: $vgpr25
	v_lshrrev_b32_e32 v48, 2, v48
	s_branch .LBB614_48
.LBB614_45:
                                        ; implicit-def: $vgpr13
                                        ; implicit-def: $vgpr17
                                        ; implicit-def: $vgpr21
                                        ; implicit-def: $vgpr25
	s_cbranch_execz .LBB614_47
; %bb.46:
	s_waitcnt vmcnt(0)
	v_mad_u64_u32 v[10:11], s[0:1], v27, s19, v[26:27]
	v_lshlrev_b32_e32 v27, 1, v10
	s_lshl_b32 s2, s19, 7
	s_and_b32 s1, s5, 0xffff
	s_mov_b32 s3, 0x20000
	s_mov_b32 s0, s4
	v_add_lshl_u32 v28, v10, s19, 1
	s_movk_i32 s17, 0x80
	buffer_load_dwordx4 v[10:13], v27, s[0:3], 0 offen
	buffer_load_dwordx4 v[18:21], v27, s[0:3], s17 offen
	;; [unrolled: 1-line block ×4, first 2 shown]
.LBB614_47:
	v_lshrrev_b32_e32 v48, 2, v48
	s_cbranch_execnz .LBB614_60
.LBB614_48:
	s_and_b64 vcc, exec, s[6:7]
	s_cbranch_vccz .LBB614_58
; %bb.49:
	s_waitcnt vmcnt(0)
	v_lshlrev_b32_e32 v15, 1, v35
	v_cmp_gt_i32_e32 vcc, s49, v15
	v_mov_b32_e32 v14, 0
	v_lshlrev_b32_e32 v22, 9, v35
	v_mov_b32_e32 v10, 0
	v_mov_b32_e32 v11, 0
	v_mov_b32_e32 v12, 0
	v_mov_b32_e32 v13, 0
	s_and_saveexec_b64 s[0:1], vcc
	s_cbranch_execz .LBB614_51
; %bb.50:
	v_mov_b32_e32 v23, 0
	v_lshl_add_u64 v[10:11], s[4:5], 0, v[22:23]
	v_lshlrev_b32_e32 v12, 1, v26
	v_mov_b32_e32 v13, v23
	v_lshl_add_u64 v[10:11], v[10:11], 0, v[12:13]
	global_load_dwordx4 v[10:13], v[10:11], off
.LBB614_51:
	s_or_b64 exec, exec, s[0:1]
	v_or_b32_e32 v15, 1, v15
	v_cmp_gt_i32_e64 s[0:1], s49, v15
	v_lshlrev_b32_e32 v28, 8, v15
	v_mov_b32_e32 v15, 0
	v_mov_b32_e32 v16, 0
	;; [unrolled: 1-line block ×3, first 2 shown]
	s_and_saveexec_b64 s[2:3], s[0:1]
	s_cbranch_execz .LBB614_53
; %bb.52:
	v_mov_b32_e32 v29, 0
	v_lshl_add_u64 v[14:15], s[4:5], 0, v[28:29]
	v_lshlrev_b32_e32 v16, 1, v26
	v_mov_b32_e32 v17, v29
	v_lshl_add_u64 v[14:15], v[14:15], 0, v[16:17]
	global_load_dwordx4 v[14:17], v[14:15], off
.LBB614_53:
	s_or_b64 exec, exec, s[2:3]
	v_mov_b32_e32 v25, 0
	v_mov_b32_e32 v18, 0
	;; [unrolled: 1-line block ×5, first 2 shown]
	s_and_saveexec_b64 s[2:3], vcc
	s_cbranch_execz .LBB614_55
; %bb.54:
	v_mov_b32_e32 v23, 0
	v_lshl_add_u64 v[18:19], s[4:5], 0, v[22:23]
	v_lshlrev_b32_e32 v22, 1, v26
	v_lshl_add_u64 v[18:19], v[18:19], 0, v[22:23]
	global_load_dwordx4 v[18:21], v[18:19], off offset:128
.LBB614_55:
	s_or_b64 exec, exec, s[2:3]
	v_mov_b32_e32 v24, 0
	v_mov_b32_e32 v23, 0
	;; [unrolled: 1-line block ×3, first 2 shown]
	s_and_saveexec_b64 s[2:3], s[0:1]
	s_cbranch_execz .LBB614_57
; %bb.56:
	v_mov_b32_e32 v29, 0
	v_lshl_add_u64 v[22:23], s[4:5], 0, v[28:29]
	v_lshlrev_b32_e32 v28, 1, v26
	v_lshl_add_u64 v[22:23], v[22:23], 0, v[28:29]
	global_load_dwordx4 v[22:25], v[22:23], off offset:128
.LBB614_57:
	s_or_b64 exec, exec, s[2:3]
	s_branch .LBB614_60
.LBB614_58:
                                        ; implicit-def: $vgpr13
                                        ; implicit-def: $vgpr17
                                        ; implicit-def: $vgpr21
                                        ; implicit-def: $vgpr25
	s_cbranch_execz .LBB614_60
; %bb.59:
	s_waitcnt vmcnt(0)
	v_lshlrev_b32_e32 v10, 1, v26
	v_lshl_or_b32 v26, v35, 9, v10
	s_and_b32 s5, s5, 0xffff
	s_mov_b32 s7, 0x20000
	s_movk_i32 s6, 0x4000
	s_movk_i32 s0, 0x80
	buffer_load_dwordx4 v[10:13], v26, s[4:7], 0 offen
	buffer_load_dwordx4 v[14:17], v26, s[4:7], 0 offen offset:256
	buffer_load_dwordx4 v[18:21], v26, s[4:7], s0 offen
	buffer_load_dwordx4 v[22:25], v26, s[4:7], s0 offen offset:256
.LBB614_60:
	ds_read2st64_b64 v[30:33], v49 offset0:76 offset1:77
	ds_read2st64_b64 v[26:29], v49 offset0:78 offset1:79
	ds_read_b64 v[40:41], v36 offset:24576
	ds_read_b64 v[42:43], v37 offset:24576
	;; [unrolled: 1-line block ×4, first 2 shown]
	v_and_b32_e32 v50, 6, v0
	v_xor_b32_e32 v35, v35, v50
	v_lshlrev_b32_e32 v35, 2, v35
	v_and_b32_e32 v51, 1, v0
	v_xor_b32_e32 v52, 0x440, v35
	v_cmp_eq_u32_e32 vcc, 0, v51
	s_mov_b32 s0, 0x1000504
	s_waitcnt vmcnt(0)
	v_perm_b32 v51, v18, v22, s0
	v_cndmask_b32_e32 v35, v52, v35, vcc
	v_lshl_or_b32 v35, v50, 10, v35
	v_perm_b32 v50, v10, v14, s0
	ds_write2st64_b32 v35, v50, v51 offset1:32
	v_xor_b32_e32 v50, 8, v35
	s_mov_b32 s1, 0x3020706
	v_perm_b32 v10, v10, v14, s1
	v_perm_b32 v14, v18, v22, s1
	v_add_u32_e32 v18, 0x80, v50
	ds_write2st64_b32 v18, v10, v14 offset1:32
	v_xor_b32_e32 v10, 16, v35
	v_perm_b32 v14, v11, v15, s0
	v_perm_b32 v18, v19, v23, s0
	ds_write2st64_b32 v10, v14, v18 offset0:1 offset1:33
	v_xor_b32_e32 v10, 24, v35
	v_perm_b32 v11, v11, v15, s1
	v_perm_b32 v14, v19, v23, s1
	v_add_u32_e32 v10, 0x80, v10
	ds_write2st64_b32 v10, v11, v14 offset0:1 offset1:33
	v_xor_b32_e32 v10, 32, v35
	v_perm_b32 v11, v12, v16, s0
	v_perm_b32 v14, v20, v24, s0
	ds_write2st64_b32 v10, v11, v14 offset0:2 offset1:34
	v_xor_b32_e32 v10, 40, v35
	v_perm_b32 v11, v12, v16, s1
	v_perm_b32 v12, v20, v24, s1
	v_add_u32_e32 v10, 0x80, v10
	ds_write2st64_b32 v10, v11, v12 offset0:2 offset1:34
	v_xor_b32_e32 v10, 48, v35
	v_perm_b32 v11, v13, v17, s0
	v_perm_b32 v12, v21, v25, s0
	ds_write2st64_b32 v10, v11, v12 offset0:3 offset1:35
	v_xor_b32_e32 v10, 56, v35
	v_and_or_b32 v16, v48, 12, v47
	v_perm_b32 v11, v13, v17, s1
	v_perm_b32 v12, v21, v25, s1
	v_add_u32_e32 v10, 0x80, v10
	v_cmp_gt_i32_e32 vcc, s49, v16
	v_mov_b32_e32 v17, 0
	v_mov_b32_e32 v21, 0
	ds_write2st64_b32 v10, v11, v12 offset0:3 offset1:35
	s_and_saveexec_b64 s[0:1], vcc
	s_cbranch_execz .LBB614_62
; %bb.61:
	v_add_u32_e32 v10, s20, v16
	v_ashrrev_i32_e32 v11, 31, v10
	v_mul_lo_u32 v12, v11, s14
	v_mul_lo_u32 v13, v10, s15
	v_mad_u64_u32 v[10:11], s[2:3], v10, s14, 0
	v_add3_u32 v11, v11, v13, v12
	v_lshl_add_u64 v[10:11], v[10:11], 2, s[10:11]
	global_load_dword v10, v[10:11], off
	s_waitcnt vmcnt(0)
	v_sub_f32_e32 v10, s16, v10
	v_mul_f32_e32 v10, 0x3fb8aa3b, v10
	v_exp_f32_e32 v21, v10
.LBB614_62:
	s_or_b64 exec, exec, s[0:1]
	v_or_b32_e32 v19, 1, v16
	v_cmp_gt_i32_e64 s[0:1], s49, v19
	s_and_saveexec_b64 s[2:3], s[0:1]
	s_cbranch_execz .LBB614_64
; %bb.63:
	v_add_u32_e32 v10, s20, v19
	v_ashrrev_i32_e32 v11, 31, v10
	v_mul_lo_u32 v12, v11, s14
	v_mul_lo_u32 v13, v10, s15
	v_mad_u64_u32 v[10:11], s[4:5], v10, s14, 0
	v_add3_u32 v11, v11, v13, v12
	v_lshl_add_u64 v[10:11], v[10:11], 2, s[10:11]
	global_load_dword v10, v[10:11], off
	s_waitcnt vmcnt(0)
	v_sub_f32_e32 v10, s16, v10
	v_mul_f32_e32 v10, 0x3fb8aa3b, v10
	v_exp_f32_e32 v17, v10
.LBB614_64:
	s_or_b64 exec, exec, s[2:3]
	v_or_b32_e32 v20, 2, v16
	v_cmp_gt_i32_e64 s[2:3], s49, v20
	v_mov_b32_e32 v18, 0
	v_mov_b32_e32 v23, 0
	s_and_saveexec_b64 s[4:5], s[2:3]
	s_cbranch_execz .LBB614_66
; %bb.65:
	v_add_u32_e32 v10, s20, v20
	v_ashrrev_i32_e32 v11, 31, v10
	v_mul_lo_u32 v12, v11, s14
	v_mul_lo_u32 v13, v10, s15
	v_mad_u64_u32 v[10:11], s[6:7], v10, s14, 0
	v_add3_u32 v11, v11, v13, v12
	v_lshl_add_u64 v[10:11], v[10:11], 2, s[10:11]
	global_load_dword v10, v[10:11], off
	s_waitcnt vmcnt(0)
	v_sub_f32_e32 v10, s16, v10
	v_mul_f32_e32 v10, 0x3fb8aa3b, v10
	v_exp_f32_e32 v23, v10
.LBB614_66:
	s_or_b64 exec, exec, s[4:5]
	v_or_b32_e32 v22, 3, v16
	v_cmp_gt_i32_e64 s[4:5], s49, v22
	s_and_saveexec_b64 s[6:7], s[4:5]
	s_cbranch_execz .LBB614_68
; %bb.67:
	v_add_u32_e32 v10, s20, v22
	v_ashrrev_i32_e32 v11, 31, v10
	v_mul_lo_u32 v12, v11, s14
	v_mul_lo_u32 v13, v10, s15
	v_mad_u64_u32 v[10:11], s[14:15], v10, s14, 0
	v_add3_u32 v11, v11, v13, v12
	v_lshl_add_u64 v[10:11], v[10:11], 2, s[10:11]
	global_load_dword v10, v[10:11], off
	s_waitcnt vmcnt(0)
	v_sub_f32_e32 v10, s16, v10
	v_mul_f32_e32 v10, 0x3fb8aa3b, v10
	v_exp_f32_e32 v18, v10
.LBB614_68:
	s_or_b64 exec, exec, s[6:7]
	s_waitcnt lgkmcnt(11)
	v_mfma_f32_16x16x16_bf16 a[0:3], v[40:41], v[30:31], a[0:3]
	s_add_u32 s6, s8, s28
	v_ashrrev_i32_e32 v35, 31, v34
	s_addc_u32 s7, s9, s29
	s_waitcnt lgkmcnt(10)
	v_mfma_f32_16x16x16_bf16 a[0:3], v[42:43], v[32:33], a[0:3]
	v_mov_b32_e32 v24, 0
	v_lshl_add_u64 v[14:15], v[34:35], 1, s[6:7]
	v_mov_b32_e32 v25, 0
	s_waitcnt lgkmcnt(9)
	v_mfma_f32_16x16x16_bf16 a[0:3], v[38:39], v[26:27], a[0:3]
	s_waitcnt lgkmcnt(8)
	v_mfma_f32_16x16x16_bf16 a[0:3], v[36:37], v[28:29], a[0:3]
	s_nop 6
	v_accvgpr_read_b32 v13, a3
	v_accvgpr_read_b32 v12, a2
	;; [unrolled: 1-line block ×4, first 2 shown]
	s_and_saveexec_b64 s[6:7], vcc
	s_cbranch_execz .LBB614_70
; %bb.69:
	v_lshlrev_b32_e32 v26, 8, v16
	v_mov_b32_e32 v27, 0
	v_lshl_add_u64 v[26:27], v[14:15], 0, v[26:27]
	global_load_ushort v25, v[26:27], off
	s_waitcnt vmcnt(0)
	v_lshlrev_b32_e32 v25, 16, v25
	v_sub_f32_e32 v10, v25, v10
	v_mul_f32_e32 v10, v21, v10
	v_lshrrev_b32_e32 v25, 16, v10
.LBB614_70:
	s_or_b64 exec, exec, s[6:7]
	s_and_saveexec_b64 s[6:7], s[0:1]
	s_cbranch_execz .LBB614_72
; %bb.71:
	v_lshlrev_b32_e32 v26, 8, v19
	v_mov_b32_e32 v27, 0
	v_lshl_add_u64 v[26:27], v[14:15], 0, v[26:27]
	global_load_ushort v10, v[26:27], off
	s_waitcnt vmcnt(0)
	v_lshlrev_b32_e32 v10, 16, v10
	v_sub_f32_e32 v10, v10, v11
	v_mul_f32_e32 v10, v17, v10
	v_lshrrev_b32_e32 v24, 16, v10
.LBB614_72:
	s_or_b64 exec, exec, s[6:7]
	v_mov_b32_e32 v11, 0
	v_mov_b32_e32 v17, 0
	s_and_saveexec_b64 s[0:1], s[2:3]
	s_cbranch_execz .LBB614_74
; %bb.73:
	v_lshlrev_b32_e32 v20, 8, v20
	v_mov_b32_e32 v21, 0
	v_lshl_add_u64 v[20:21], v[14:15], 0, v[20:21]
	global_load_ushort v10, v[20:21], off
	s_waitcnt vmcnt(0)
	v_lshlrev_b32_e32 v10, 16, v10
	v_sub_f32_e32 v10, v10, v12
	v_mul_f32_e32 v10, v23, v10
	v_lshrrev_b32_e32 v17, 16, v10
.LBB614_74:
	s_or_b64 exec, exec, s[0:1]
	v_or_b32_e32 v10, 0x9800, v49
	s_and_saveexec_b64 s[0:1], s[4:5]
	s_cbranch_execz .LBB614_76
; %bb.75:
	v_lshlrev_b32_e32 v20, 8, v22
	v_mov_b32_e32 v21, 0
	v_lshl_add_u64 v[14:15], v[14:15], 0, v[20:21]
	global_load_ushort v11, v[14:15], off
	s_waitcnt vmcnt(0)
	v_lshlrev_b32_e32 v11, 16, v11
	v_sub_f32_e32 v11, v11, v13
	v_mul_f32_e32 v11, v18, v11
	v_lshrrev_b32_e32 v11, 16, v11
.LBB614_76:
	s_or_b64 exec, exec, s[0:1]
	s_mov_b32 s0, 0x5040100
	v_perm_b32 v13, v11, v17, s0
	v_lshlrev_b32_e32 v11, 1, v44
	v_perm_b32 v12, v24, v25, s0
	v_lshl_or_b32 v11, v16, 5, v11
	s_movk_i32 s0, 0xff
	ds_write_b64 v11, v[12:13] offset:38912
	v_and_b32_e32 v11, 7, v0
	v_and_b32_e32 v12, 8, v0
	v_cmp_lt_u32_e32 vcc, s0, v0
	v_lshrrev_b32_e32 v0, 1, v0
	v_lshlrev_b32_e32 v22, 3, v11
	v_lshlrev_b32_e32 v23, 7, v11
	v_cndmask_b32_e64 v11, 0, 1, vcc
	v_lshlrev_b32_e32 v25, 3, v46
	v_and_b32_e32 v0, 24, v0
	v_lshlrev_b32_e32 v24, 13, v11
	v_xor_b32_e32 v11, v25, v0
	v_or_b32_e32 v13, 0x440, v11
	v_cmp_eq_u32_e32 vcc, 0, v12
	s_waitcnt lgkmcnt(0)
	s_barrier
	v_cndmask_b32_e32 v11, v13, v11, vcc
	v_or_b32_e32 v11, v11, v45
	v_xad_u32 v26, v11, v22, v23
	v_add_u32_e32 v11, v24, v26
	ds_read_b64 v[20:21], v11
	ds_read2st64_b64 v[12:15], v10 offset1:1
	ds_read2st64_b64 v[16:19], v10 offset0:2 offset1:3
	v_or_b32_e32 v10, 32, v0
	v_xor_b32_e32 v10, v25, v10
	v_or_b32_e32 v11, 0x440, v10
	v_cndmask_b32_e32 v10, v11, v10, vcc
	v_or_b32_e32 v10, v10, v45
	v_xad_u32 v27, v10, v22, v23
	v_add_u32_e32 v10, v24, v27
	ds_read_b64 v[10:11], v10
	s_waitcnt lgkmcnt(2)
	v_mfma_f32_16x16x16_bf16 a[0:3], v[20:21], v[12:13], 0
	s_waitcnt lgkmcnt(0)
	v_mfma_f32_16x16x16_bf16 a[0:3], v[10:11], v[14:15], a[0:3]
	v_or_b32_e32 v10, 64, v0
	v_xor_b32_e32 v10, v25, v10
	v_xor_b32_e32 v11, 0x440, v10
	v_cndmask_b32_e32 v10, v11, v10, vcc
	v_or_b32_e32 v10, v10, v45
	v_xad_u32 v28, v10, v22, v23
	v_add_u32_e32 v10, v24, v28
	ds_read_b64 v[10:11], v10
	v_or_b32_e32 v0, 0x60, v0
	v_xor_b32_e32 v0, v25, v0
	v_xor_b32_e32 v20, 0x440, v0
	v_cndmask_b32_e32 v0, v20, v0, vcc
	v_or_b32_e32 v0, v0, v45
	v_xad_u32 v0, v0, v22, v23
	v_add_u32_e32 v20, v24, v0
	ds_read_b64 v[20:21], v20
	s_waitcnt lgkmcnt(1)
	v_mfma_f32_16x16x16_bf16 a[0:3], v[10:11], v[16:17], a[0:3]
	ds_read_b64 v[10:11], v26 offset:8192
	ds_read_b64 v[22:23], v27 offset:8192
	v_mov_b32_e32 v24, 0x3fb8aa3b
	s_waitcnt lgkmcnt(2)
	v_mfma_f32_16x16x16_bf16 a[0:3], v[20:21], v[18:19], a[0:3]
	v_mul_f32_e32 v20, s16, v24
	v_exp_f32_e32 v24, v20
	ds_read_b64 v[20:21], v28 offset:8192
	s_waitcnt lgkmcnt(2)
	v_mfma_f32_16x16x16_bf16 a[4:7], v[10:11], v[12:13], 0
	s_nop 1
	v_accvgpr_read_b32 v10, a0
	v_fma_f32 v12, v2, v24, v10
	ds_read_b64 v[10:11], v0 offset:8192
	s_waitcnt lgkmcnt(2)
	v_mfma_f32_16x16x16_bf16 a[4:7], v[22:23], v[14:15], a[4:7]
	v_accvgpr_read_b32 v0, a1
	v_fma_f32 v13, v3, v24, v0
	v_accvgpr_read_b32 v0, a2
	s_waitcnt lgkmcnt(1)
	v_mfma_f32_16x16x16_bf16 a[4:7], v[20:21], v[16:17], a[4:7]
	v_accvgpr_read_b32 v15, a3
	v_fma_f32 v14, v4, v24, v0
	v_fmac_f32_e32 v15, v5, v24
	s_waitcnt lgkmcnt(0)
	v_mfma_f32_16x16x16_bf16 a[0:3], v[10:11], v[18:19], a[4:7]
	v_mov_b32_e32 v10, v34
	s_nop 5
	v_accvgpr_read_b32 v0, a0
	v_fma_f32 v16, v6, v24, v0
	v_accvgpr_read_b32 v0, a1
	v_fma_f32 v17, v7, v24, v0
	v_accvgpr_read_b32 v0, a2
	v_accvgpr_read_b32 v19, a3
	v_fma_f32 v18, v8, v24, v0
	v_fmac_f32_e32 v19, v9, v24
	v_mov_b64_e32 v[2:3], v[12:13]
	v_mov_b64_e32 v[4:5], v[14:15]
	;; [unrolled: 1-line block ×4, first 2 shown]
.LBB614_77:
	s_mul_i32 s0, s45, s35
	s_mul_hi_u32 s1, s45, s34
	s_add_i32 s0, s1, s0
	s_mul_i32 s1, s33, s34
	s_add_i32 s1, s0, s1
	s_mul_i32 s0, s45, s34
	s_add_u32 s0, s0, s44
	s_addc_u32 s1, s1, s21
	s_lshl_b64 s[0:1], s[0:1], 15
	s_add_u32 s0, s12, s0
	v_lshlrev_b32_e32 v10, 7, v10
	s_addc_u32 s1, s13, s1
	v_ashrrev_i32_e32 v11, 31, v10
	v_lshl_add_u64 v[10:11], v[10:11], 1, s[0:1]
	v_lshlrev_b32_e32 v0, 1, v1
	v_mov_b32_e32 v1, 0
	s_mov_b32 s0, 0x7060302
	v_lshl_add_u64 v[0:1], v[10:11], 0, v[0:1]
	v_perm_b32 v5, v5, v4, s0
	v_perm_b32 v4, v3, v2, s0
	;; [unrolled: 1-line block ×4, first 2 shown]
	global_store_dwordx2 v[0:1], v[4:5], off
	global_store_dwordx2 v[0:1], v[2:3], off offset:128
	s_endpgm
	.section	.rodata,"a",@progbits
	.p2align	6, 0x0
	.amdhsa_kernel _ZN12_GLOBAL__N_139chunk_gated_delta_rule_fwd_h_hip_kernelILi16ELb0ELb1ELb0ELb1ELb0ELb0ELb1ELb1EEEvPK12hip_bfloat16S3_S3_PKfS5_PKvPS1_S8_PvPKiSB_iiiiilll
		.amdhsa_group_segment_fixed_size 40960
		.amdhsa_private_segment_fixed_size 0
		.amdhsa_kernarg_size 136
		.amdhsa_user_sgpr_count 2
		.amdhsa_user_sgpr_dispatch_ptr 0
		.amdhsa_user_sgpr_queue_ptr 0
		.amdhsa_user_sgpr_kernarg_segment_ptr 1
		.amdhsa_user_sgpr_dispatch_id 0
		.amdhsa_user_sgpr_kernarg_preload_length 0
		.amdhsa_user_sgpr_kernarg_preload_offset 0
		.amdhsa_user_sgpr_private_segment_size 0
		.amdhsa_uses_dynamic_stack 0
		.amdhsa_enable_private_segment 0
		.amdhsa_system_sgpr_workgroup_id_x 1
		.amdhsa_system_sgpr_workgroup_id_y 1
		.amdhsa_system_sgpr_workgroup_id_z 0
		.amdhsa_system_sgpr_workgroup_info 0
		.amdhsa_system_vgpr_workitem_id 0
		.amdhsa_next_free_vgpr 116
		.amdhsa_next_free_sgpr 63
		.amdhsa_accum_offset 108
		.amdhsa_reserve_vcc 1
		.amdhsa_float_round_mode_32 0
		.amdhsa_float_round_mode_16_64 0
		.amdhsa_float_denorm_mode_32 3
		.amdhsa_float_denorm_mode_16_64 3
		.amdhsa_dx10_clamp 1
		.amdhsa_ieee_mode 1
		.amdhsa_fp16_overflow 0
		.amdhsa_tg_split 0
		.amdhsa_exception_fp_ieee_invalid_op 0
		.amdhsa_exception_fp_denorm_src 0
		.amdhsa_exception_fp_ieee_div_zero 0
		.amdhsa_exception_fp_ieee_overflow 0
		.amdhsa_exception_fp_ieee_underflow 0
		.amdhsa_exception_fp_ieee_inexact 0
		.amdhsa_exception_int_div_zero 0
	.end_amdhsa_kernel
	.section	.text._ZN12_GLOBAL__N_139chunk_gated_delta_rule_fwd_h_hip_kernelILi16ELb0ELb1ELb0ELb1ELb0ELb0ELb1ELb1EEEvPK12hip_bfloat16S3_S3_PKfS5_PKvPS1_S8_PvPKiSB_iiiiilll,"axG",@progbits,_ZN12_GLOBAL__N_139chunk_gated_delta_rule_fwd_h_hip_kernelILi16ELb0ELb1ELb0ELb1ELb0ELb0ELb1ELb1EEEvPK12hip_bfloat16S3_S3_PKfS5_PKvPS1_S8_PvPKiSB_iiiiilll,comdat
.Lfunc_end614:
	.size	_ZN12_GLOBAL__N_139chunk_gated_delta_rule_fwd_h_hip_kernelILi16ELb0ELb1ELb0ELb1ELb0ELb0ELb1ELb1EEEvPK12hip_bfloat16S3_S3_PKfS5_PKvPS1_S8_PvPKiSB_iiiiilll, .Lfunc_end614-_ZN12_GLOBAL__N_139chunk_gated_delta_rule_fwd_h_hip_kernelILi16ELb0ELb1ELb0ELb1ELb0ELb0ELb1ELb1EEEvPK12hip_bfloat16S3_S3_PKfS5_PKvPS1_S8_PvPKiSB_iiiiilll
                                        ; -- End function
	.section	.AMDGPU.csdata,"",@progbits
; Kernel info:
; codeLenInByte = 7780
; NumSgprs: 69
; NumVgprs: 106
; NumAgprs: 8
; TotalNumVgprs: 116
; ScratchSize: 0
; MemoryBound: 0
; FloatMode: 240
; IeeeMode: 1
; LDSByteSize: 40960 bytes/workgroup (compile time only)
; SGPRBlocks: 8
; VGPRBlocks: 14
; NumSGPRsForWavesPerEU: 69
; NumVGPRsForWavesPerEU: 116
; AccumOffset: 108
; Occupancy: 1
; WaveLimiterHint : 1
; COMPUTE_PGM_RSRC2:SCRATCH_EN: 0
; COMPUTE_PGM_RSRC2:USER_SGPR: 2
; COMPUTE_PGM_RSRC2:TRAP_HANDLER: 0
; COMPUTE_PGM_RSRC2:TGID_X_EN: 1
; COMPUTE_PGM_RSRC2:TGID_Y_EN: 1
; COMPUTE_PGM_RSRC2:TGID_Z_EN: 0
; COMPUTE_PGM_RSRC2:TIDIG_COMP_CNT: 0
; COMPUTE_PGM_RSRC3_GFX90A:ACCUM_OFFSET: 26
; COMPUTE_PGM_RSRC3_GFX90A:TG_SPLIT: 0
	.section	.text._ZN12_GLOBAL__N_139chunk_gated_delta_rule_fwd_h_hip_kernelILi16ELb0ELb0ELb1ELb1ELb0ELb0ELb1ELb1EEEvPK12hip_bfloat16S3_S3_PKfS5_PKvPS1_S8_PvPKiSB_iiiiilll,"axG",@progbits,_ZN12_GLOBAL__N_139chunk_gated_delta_rule_fwd_h_hip_kernelILi16ELb0ELb0ELb1ELb1ELb0ELb0ELb1ELb1EEEvPK12hip_bfloat16S3_S3_PKfS5_PKvPS1_S8_PvPKiSB_iiiiilll,comdat
	.globl	_ZN12_GLOBAL__N_139chunk_gated_delta_rule_fwd_h_hip_kernelILi16ELb0ELb0ELb1ELb1ELb0ELb0ELb1ELb1EEEvPK12hip_bfloat16S3_S3_PKfS5_PKvPS1_S8_PvPKiSB_iiiiilll ; -- Begin function _ZN12_GLOBAL__N_139chunk_gated_delta_rule_fwd_h_hip_kernelILi16ELb0ELb0ELb1ELb1ELb0ELb0ELb1ELb1EEEvPK12hip_bfloat16S3_S3_PKfS5_PKvPS1_S8_PvPKiSB_iiiiilll
	.p2align	8
	.type	_ZN12_GLOBAL__N_139chunk_gated_delta_rule_fwd_h_hip_kernelILi16ELb0ELb0ELb1ELb1ELb0ELb0ELb1ELb1EEEvPK12hip_bfloat16S3_S3_PKfS5_PKvPS1_S8_PvPKiSB_iiiiilll,@function
_ZN12_GLOBAL__N_139chunk_gated_delta_rule_fwd_h_hip_kernelILi16ELb0ELb0ELb1ELb1ELb0ELb0ELb1ELb1EEEvPK12hip_bfloat16S3_S3_PKfS5_PKvPS1_S8_PvPKiSB_iiiiilll: ; @_ZN12_GLOBAL__N_139chunk_gated_delta_rule_fwd_h_hip_kernelILi16ELb0ELb0ELb1ELb1ELb0ELb0ELb1ELb1EEEvPK12hip_bfloat16S3_S3_PKfS5_PKvPS1_S8_PvPKiSB_iiiiilll
; %bb.0:
	s_load_dwordx4 s[16:19], s[0:1], 0x5c
	s_load_dwordx4 s[20:23], s[0:1], 0x70
	s_abs_i32 s25, s3
	s_ashr_i32 s24, s3, 31
	s_load_dwordx4 s[12:15], s[0:1], 0x30
	s_load_dwordx4 s[28:31], s[0:1], 0x48
	s_waitcnt lgkmcnt(0)
	s_abs_i32 s34, s17
	v_cvt_f32_u32_e32 v1, s34
	s_sub_i32 s26, 0, s34
	s_ashr_i32 s35, s17, 31
	s_xor_b32 s24, s24, s35
	v_rcp_iflag_f32_e32 v1, v1
	s_load_dwordx8 s[4:11], s[0:1], 0x0
	v_lshrrev_b32_e32 v44, 6, v0
	v_bfe_u32 v45, v0, 4, 2
	v_mul_f32_e32 v1, 0x4f7ffffe, v1
	v_cvt_u32_f32_e32 v1, v1
	v_lshlrev_b32_e32 v42, 4, v44
	v_lshlrev_b32_e32 v2, 2, v45
	v_and_b32_e32 v43, 63, v0
	v_readfirstlane_b32 s27, v1
	s_mul_i32 s26, s26, s27
	s_mul_hi_u32 s26, s27, s26
	s_add_i32 s27, s27, s26
	s_mul_hi_u32 s26, s25, s27
	s_mul_i32 s27, s26, s34
	s_sub_i32 s25, s25, s27
	s_add_i32 s33, s26, 1
	s_sub_i32 s27, s25, s34
	s_cmp_ge_u32 s25, s34
	s_cselect_b32 s26, s33, s26
	s_cselect_b32 s25, s27, s25
	s_add_i32 s27, s26, 1
	s_cmp_ge_u32 s25, s34
	s_cselect_b32 s25, s27, s26
	s_xor_b32 s25, s25, s24
	s_sub_i32 s24, s25, s24
	s_mul_i32 s25, s24, s17
	s_sub_i32 s33, s3, s25
	s_ashr_i32 s25, s24, 31
	s_lshl_b64 s[26:27], s[24:25], 2
	s_add_u32 s28, s28, s26
	s_addc_u32 s29, s29, s27
	s_add_u32 s26, s30, s26
	s_addc_u32 s27, s31, s27
	s_abs_i32 s3, s18
	v_cvt_f32_u32_e32 v1, s3
	s_load_dwordx2 s[38:39], s[28:29], 0x0
	s_sub_i32 s29, 0, s3
	s_load_dword s47, s[26:27], 0x0
	v_rcp_iflag_f32_e32 v1, v1
	v_or_b32_e32 v49, v2, v42
	s_waitcnt lgkmcnt(0)
	s_sub_i32 s45, s39, s38
	s_ashr_i32 s28, s45, 31
	v_mul_f32_e32 v1, 0x4f7ffffe, v1
	v_cvt_u32_f32_e32 v1, v1
	s_lshr_b32 s28, s28, 26
	s_add_i32 s28, s45, s28
	s_ashr_i32 s46, s28, 6
	v_readfirstlane_b32 s30, v1
	s_mul_i32 s29, s29, s30
	s_mul_hi_u32 s29, s30, s29
	s_add_i32 s30, s30, s29
	s_mul_hi_u32 s29, s34, s30
	s_mul_i32 s30, s29, s3
	s_ashr_i32 s28, s18, 31
	s_sub_i32 s30, s34, s30
	s_xor_b32 s28, s35, s28
	s_add_i32 s31, s29, 1
	s_sub_i32 s34, s30, s3
	s_cmp_ge_u32 s30, s3
	s_cselect_b32 s29, s31, s29
	s_cselect_b32 s30, s34, s30
	s_add_i32 s31, s29, 1
	s_cmp_ge_u32 s30, s3
	s_cselect_b32 s3, s31, s29
	s_xor_b32 s3, s3, s28
	s_sub_i32 s3, s3, s28
	s_abs_i32 s28, s3
	v_cvt_f32_u32_e32 v1, s28
	s_load_dwordx2 s[34:35], s[0:1], 0x80
	s_xor_b32 s0, s33, s3
	s_sub_i32 s3, 0, s28
	v_rcp_iflag_f32_e32 v1, v1
	s_abs_i32 s1, s33
	s_ashr_i32 s0, s0, 31
	v_or_b32_e32 v48, 64, v49
	v_mul_f32_e32 v1, 0x4f7ffffe, v1
	v_cvt_u32_f32_e32 v1, v1
	v_mov_b32_e32 v3, 0
	s_mul_hi_i32 s48, s33, s16
	s_mul_i32 s49, s33, s16
	v_readfirstlane_b32 s26, v1
	s_mul_i32 s3, s3, s26
	s_mul_hi_u32 s3, s26, s3
	s_add_i32 s26, s26, s3
	s_mul_hi_u32 s3, s1, s26
	s_mul_i32 s26, s3, s28
	s_sub_i32 s1, s1, s26
	s_add_i32 s26, s3, 1
	s_sub_i32 s27, s1, s28
	s_cmp_ge_u32 s1, s28
	s_cselect_b32 s3, s26, s3
	s_cselect_b32 s1, s27, s1
	s_add_i32 s26, s3, 1
	s_cmp_ge_u32 s1, s28
	s_cselect_b32 s1, s26, s3
	s_xor_b32 s1, s1, s0
	s_sub_i32 s51, s1, s0
	s_lshl_b32 s36, s2, 4
	v_and_b32_e32 v1, 15, v0
	s_cmp_lt_i32 s45, 64
	v_lshrrev_b32_e32 v47, 3, v43
	v_lshlrev_b32_e32 v46, 3, v0
	s_mul_i32 s42, s24, s21
	s_mul_hi_u32 s43, s24, s20
	s_mul_i32 s44, s25, s20
	s_mul_i32 s20, s24, s20
	v_mov_b32_e32 v66, 0
	v_mov_b32_e32 v34, 0
	;; [unrolled: 1-line block ×7, first 2 shown]
	s_cbranch_scc1 .LBB615_18
; %bb.1:
	s_ashr_i32 s53, s33, 31
	s_ashr_i32 s1, s38, 31
	s_add_u32 s0, s49, s38
	s_addc_u32 s1, s48, s1
	s_lshl_b64 s[0:1], s[0:1], 8
	v_and_b32_e32 v51, 56, v46
	s_add_u32 s0, s6, s0
	v_lshl_or_b32 v50, v44, 3, v47
	v_lshlrev_b32_e32 v3, 1, v51
	s_addc_u32 s1, s7, s1
	v_lshl_or_b32 v52, v50, 8, v3
	s_and_b32 s1, s1, 0xffff
	s_mov_b32 s3, 0x20000
	s_movk_i32 s2, 0x4000
	s_movk_i32 s21, 0x80
	v_or_b32_e32 v53, 0x2000, v52
	buffer_load_dwordx4 v[4:7], v52, s[0:3], 0 offen
	buffer_load_dwordx4 v[8:11], v52, s[0:3], s21 offen
	;; [unrolled: 1-line block ×4, first 2 shown]
	v_lshlrev_b32_e32 v20, 3, v50
	v_and_or_b32 v22, v0, 7, v20
	v_and_b32_e32 v20, 0x78, v20
	v_lshlrev_b32_e32 v22, 4, v22
	v_xor_b32_e32 v54, v22, v20
	v_mul_lo_u32 v21, v50, s19
	v_or_b32_e32 v55, 0x1000, v54
	s_cmpk_eq_i32 s19, 0x80
	s_mov_b32 s50, s17
	s_mov_b32 s52, s38
	v_xor_b32_e32 v20, 8, v54
	v_xor_b32_e32 v22, 8, v55
	s_cselect_b64 s[0:1], -1, 0
	s_cmpk_lg_i32 s19, 0x80
	s_waitcnt vmcnt(3)
	ds_write_b64 v54, v[4:5] offset:16384
	ds_write_b64 v20, v[6:7] offset:16384
	s_waitcnt vmcnt(2)
	ds_write_b64 v54, v[8:9] offset:24576
	ds_write_b64 v20, v[10:11] offset:24576
	;; [unrolled: 3-line block ×4, first 2 shown]
	v_lshl_add_u32 v4, v21, 1, v51
	s_cbranch_scc0 .LBB615_3
; %bb.2:
	v_lshlrev_b32_e32 v6, 1, v4
	v_add_lshl_u32 v5, v4, s19, 1
	s_lshl_b32 s26, s19, 7
	v_lshl_or_b32 v3, v50, 9, v3
	s_cbranch_execz .LBB615_4
	s_branch .LBB615_5
.LBB615_3:
                                        ; implicit-def: $vgpr5
                                        ; implicit-def: $vgpr6
                                        ; implicit-def: $sgpr26
	v_lshl_or_b32 v3, v50, 9, v3
.LBB615_4:
	v_or_b32_e32 v5, 0x100, v3
	s_movk_i32 s26, 0x4000
	v_mov_b32_e32 v6, v3
.LBB615_5:
	s_mul_i32 s2, s38, s18
	s_ashr_i32 s54, s51, 31
	s_mul_hi_i32 s3, s38, s18
	s_add_u32 s2, s2, s51
	s_addc_u32 s3, s3, s54
	s_lshl_b64 s[2:3], s[2:3], 8
	s_add_u32 s24, s4, s2
	s_addc_u32 s2, s5, s3
	s_and_b32 s25, s2, 0xffff
	s_mov_b32 s27, 0x20000
	s_movk_i32 s55, 0x80
	buffer_load_dwordx4 v[8:11], v6, s[24:27], 0 offen
	buffer_load_dwordx4 v[12:15], v6, s[24:27], s55 offen
	;; [unrolled: 1-line block ×4, first 2 shown]
	v_and_b32_e32 v5, 6, v0
	v_lshlrev_b32_e32 v7, 2, v1
	v_lshlrev_b32_e32 v24, 3, v1
	v_xor_b32_e32 v26, v50, v5
	v_and_b32_e32 v6, 1, v0
	v_lshl_or_b32 v24, v49, 5, v24
	v_xor_b32_e32 v27, v49, v7
	v_lshlrev_b32_e32 v26, 2, v26
	s_mul_i32 s3, s33, s23
	s_mul_hi_u32 s21, s33, s22
	v_or_b32_e32 v56, 0x9000, v24
	v_or_b32_e32 v57, 0x9800, v24
	v_lshlrev_b32_e32 v24, 1, v27
	v_xor_b32_e32 v27, 0x440, v26
	v_cmp_eq_u32_e32 vcc, 0, v6
	s_add_i32 s25, s43, s42
	s_mul_i32 s24, s53, s22
	v_cndmask_b32_e32 v6, v27, v26, vcc
	s_add_i32 s3, s21, s3
	s_add_i32 s21, s25, s44
	s_mov_b32 s56, 0x1000504
	v_lshlrev_b32_e32 v25, 8, v1
	s_mov_b32 s26, 0x8000
	v_xor_b32_e32 v7, v48, v7
	v_lshl_or_b32 v5, v5, 10, v6
	s_add_i32 s3, s3, s24
	s_lshl_b64 s[24:25], s[20:21], 2
	s_mov_b32 s57, 0x3020706
	s_mul_i32 s2, s33, s22
	v_lshlrev_b32_e32 v7, 1, v7
	v_or3_b32 v58, v24, v25, s26
	v_xor_b32_e32 v6, 8, v5
	v_xor_b32_e32 v24, 24, v5
	;; [unrolled: 1-line block ×4, first 2 shown]
	s_add_u32 s21, s10, s24
	v_or3_b32 v59, v7, v25, s26
	v_xor_b32_e32 v7, 16, v5
	v_xor_b32_e32 v25, 32, v5
	;; [unrolled: 1-line block ×3, first 2 shown]
	v_add_u32_e32 v6, 0x80, v6
	v_add_u32_e32 v24, 0x80, v24
	;; [unrolled: 1-line block ×4, first 2 shown]
	s_addc_u32 s24, s11, s25
	s_lshl_b64 s[2:3], s[2:3], 2
	s_add_u32 s2, s21, s2
	s_movk_i32 s21, 0xf8
	s_addc_u32 s3, s24, s3
	s_ashr_i32 s37, s36, 31
	s_lshl_b32 s30, s19, 7
	s_lshl_b64 s[24:25], s[36:37], 8
	s_add_u32 s24, s12, s24
	s_addc_u32 s25, s13, s25
	v_mov_b32_e32 v35, 0
	s_mov_b32 s58, 0
	v_add_u32_e32 v78, v42, v2
	v_mov_b32_e32 v79, 0x3fb8aa3b
	v_mov_b32_e32 v68, v35
	;; [unrolled: 1-line block ×7, first 2 shown]
	s_waitcnt vmcnt(1)
	v_perm_b32 v29, v8, v16, s56
	s_waitcnt vmcnt(0)
	v_perm_b32 v30, v12, v20, s56
	v_perm_b32 v8, v8, v16, s57
	;; [unrolled: 1-line block ×15, first 2 shown]
	ds_write2st64_b32 v5, v29, v30 offset1:32
	ds_write2st64_b32 v6, v8, v12 offset1:32
	ds_write2st64_b32 v7, v16, v20 offset0:1 offset1:33
	ds_write2st64_b32 v24, v9, v13 offset0:1 offset1:33
	;; [unrolled: 1-line block ×6, first 2 shown]
	v_or_b32_e32 v5, v42, v1
	v_lshlrev_b32_e32 v5, 3, v5
	v_lshrrev_b32_e32 v7, 5, v43
	v_and_or_b32 v7, v5, s21, v7
	v_lshlrev_b32_e32 v7, 4, v7
	v_lshlrev_b32_e32 v10, 11, v44
	v_and_b32_e32 v5, 0x78, v5
	v_or_b32_e32 v12, 32, v7
	v_and_b32_e32 v6, 0x1000, v10
	v_lshrrev_b32_e32 v11, 1, v0
	v_xor_b32_e32 v12, v12, v5
	v_and_b32_e32 v9, 8, v11
	v_or_b32_e32 v12, v12, v6
	v_xor_b32_e32 v8, v7, v5
	v_xor_b32_e32 v62, v12, v9
	v_or_b32_e32 v12, 64, v7
	v_or_b32_e32 v7, 0x60, v7
	v_xor_b32_e32 v12, v12, v5
	v_xor_b32_e32 v5, v7, v5
	v_or_b32_e32 v5, v5, v6
	v_or_b32_e32 v12, v12, v6
	v_xor_b32_e32 v65, v5, v9
	v_lshlrev_b32_e32 v5, 1, v1
	v_xor_b32_e32 v63, v12, v9
	v_lshlrev_b32_e32 v12, 1, v4
	v_add_lshl_u32 v13, v4, s19, 1
	v_lshrrev_b32_e32 v4, 4, v0
	v_or_b32_e32 v15, 1, v5
	v_xor_b32_e32 v5, v4, v5
	v_xor_b32_e32 v15, v15, v4
	v_lshlrev_b32_e32 v5, 3, v5
	v_lshlrev_b32_e32 v34, 8, v4
	v_lshlrev_b32_e32 v4, 3, v15
	v_or3_b32 v70, v5, v34, s26
	v_or3_b32 v71, v4, v34, s26
	v_lshl_add_u64 v[4:5], s[24:25], 0, v[34:35]
	v_lshlrev_b32_e32 v34, 4, v1
	s_movk_i32 s21, 0xff
	v_lshlrev_b32_e32 v17, 3, v44
	v_and_b32_e32 v11, 24, v11
	v_lshl_add_u64 v[36:37], v[4:5], 0, v[34:35]
	v_and_b32_e32 v5, 8, v0
	v_cmp_lt_u32_e32 vcc, s21, v0
	v_xor_b32_e32 v18, v17, v11
	v_or_b32_e32 v19, 0x440, v18
	v_cndmask_b32_e64 v16, 0, 1, vcc
	v_cmp_eq_u32_e32 vcc, 0, v5
	v_and_b32_e32 v4, 7, v0
	v_lshlrev_b32_e32 v15, 3, v4
	v_cndmask_b32_e32 v5, v19, v18, vcc
	v_lshlrev_b32_e32 v4, 7, v4
	v_or_b32_e32 v5, v5, v10
	v_xad_u32 v72, v5, v15, v4
	v_or_b32_e32 v5, 32, v11
	v_xor_b32_e32 v5, v17, v5
	v_or_b32_e32 v18, 0x440, v5
	v_cndmask_b32_e32 v5, v18, v5, vcc
	v_or_b32_e32 v5, v5, v10
	v_xad_u32 v73, v5, v15, v4
	v_or_b32_e32 v5, 64, v11
	v_xor_b32_e32 v5, v17, v5
	v_xor_b32_e32 v18, 0x440, v5
	v_cndmask_b32_e32 v5, v18, v5, vcc
	v_or_b32_e32 v5, v5, v10
	v_xad_u32 v74, v5, v15, v4
	v_or_b32_e32 v5, 0x60, v11
	v_xor_b32_e32 v5, v17, v5
	v_or_b32_e32 v8, v8, v6
	v_or_b32_e32 v6, s36, v1
	v_xor_b32_e32 v11, 0x440, v5
	v_xor_b32_e32 v60, v8, v9
	v_and_b32_e32 v8, 0x78, v46
	v_ashrrev_i32_e32 v7, 31, v6
	v_cndmask_b32_e32 v5, v11, v5, vcc
	v_lshl_or_b32 v8, v45, 7, v8
	v_lshlrev_b64 v[6:7], 1, v[6:7]
	v_or_b32_e32 v5, v5, v10
	v_or_b32_e32 v61, 0x9000, v8
	;; [unrolled: 1-line block ×3, first 2 shown]
	v_lshl_add_u64 v[8:9], s[8:9], 0, v[6:7]
	v_lshl_add_u64 v[6:7], s[14:15], 0, v[6:7]
	v_or_b32_e32 v14, 0x100, v3
	v_lshlrev_b32_e32 v16, 13, v16
	v_xad_u32 v75, v5, v15, v4
	v_lshlrev_b32_e32 v34, 8, v49
	v_cndmask_b32_e64 v76, v12, v3, s[0:1]
	v_cndmask_b32_e64 v77, v13, v14, s[0:1]
	v_lshl_add_u64 v[38:39], v[8:9], 0, v[34:35]
	v_lshl_add_u64 v[40:41], v[6:7], 0, v[34:35]
	s_mov_b32 s21, 0x7060302
	s_movk_i32 s26, 0x4000
	v_add_u32_e32 v80, v16, v72
	v_add_u32_e32 v81, v16, v73
	;; [unrolled: 1-line block ×4, first 2 shown]
	v_mov_b32_e32 v34, v35
	s_waitcnt lgkmcnt(0)
	s_barrier
.LBB615_6:                              ; =>This Inner Loop Header: Depth=1
	s_add_i32 s37, s58, 1
	s_cmp_lt_i32 s37, s46
	s_mov_b64 s[28:29], 0
	s_cselect_b64 s[40:41], -1, 0
	s_cmp_ge_i32 s37, s46
	s_mov_b64 s[24:25], 0
	s_cbranch_scc1 .LBB615_8
; %bb.7:                                ;   in Loop: Header=BB615_6 Depth=1
	s_add_i32 s0, s52, 64
	s_ashr_i32 s1, s0, 31
	s_add_u32 s0, s49, s0
	s_addc_u32 s1, s48, s1
	s_lshl_b64 s[0:1], s[0:1], 8
	s_add_u32 s24, s6, s0
	s_addc_u32 s25, s7, s1
.LBB615_8:                              ;   in Loop: Header=BB615_6 Depth=1
	v_cndmask_b32_e64 v2, 0, 1, s[40:41]
	v_cmp_ne_u32_e64 s[0:1], 1, v2
	s_andn2_b64 vcc, exec, s[40:41]
	s_cbranch_vccnz .LBB615_10
; %bb.9:                                ;   in Loop: Header=BB615_6 Depth=1
	s_add_i32 s28, s52, 64
	s_mul_hi_i32 s29, s28, s18
	s_mul_i32 s28, s28, s18
	s_add_u32 s28, s28, s51
	s_addc_u32 s29, s29, s54
	s_lshl_b64 s[28:29], s[28:29], 8
	s_add_u32 s28, s4, s28
	s_addc_u32 s29, s5, s29
.LBB615_10:                             ;   in Loop: Header=BB615_6 Depth=1
	v_perm_b32 v3, v85, v69, s21
	v_perm_b32 v2, v68, v35, s21
	;; [unrolled: 1-line block ×4, first 2 shown]
	ds_write_b64 v56, v[2:3]
	ds_write_b64 v57, v[4:5]
	;; [unrolled: 1-line block ×4, first 2 shown]
	s_waitcnt lgkmcnt(0)
	s_barrier
	ds_read_b64 v[10:11], v60 offset:16384
	ds_read_b64 v[12:13], v62 offset:16384
	ds_read2st64_b64 v[2:5], v61 offset1:1
	s_waitcnt lgkmcnt(0)
	v_mfma_f32_16x16x16_bf16 a[0:3], v[10:11], v[2:3], 0
	ds_read2st64_b64 v[6:9], v61 offset0:2 offset1:3
	ds_read_b64 v[14:15], v63 offset:16384
	ds_read_b64 v[2:3], v65 offset:16384
	s_add_i32 s31, s52, 63
	v_mfma_f32_16x16x16_bf16 a[0:3], v[12:13], v[4:5], a[0:3]
	s_ashr_i32 s40, s31, 31
	s_mul_i32 s41, s31, s35
	s_mul_hi_u32 s59, s31, s34
	s_waitcnt lgkmcnt(1)
	v_mfma_f32_16x16x16_bf16 a[0:3], v[14:15], v[6:7], a[0:3]
	s_add_i32 s41, s59, s41
	s_mul_i32 s40, s40, s34
	s_add_i32 s41, s41, s40
	s_mul_i32 s40, s31, s34
	s_waitcnt lgkmcnt(0)
	v_mfma_f32_16x16x16_bf16 a[0:3], v[2:3], v[8:9], a[0:3]
	s_lshl_b64 s[40:41], s[40:41], 2
	s_add_u32 s40, s2, s40
	s_addc_u32 s41, s3, s41
	s_and_b64 vcc, exec, s[0:1]
	v_mov_b32_e32 v88, 0
	v_mov_b32_e32 v87, 0
	;; [unrolled: 1-line block ×19, first 2 shown]
	s_cbranch_vccnz .LBB615_12
; %bb.11:                               ;   in Loop: Header=BB615_6 Depth=1
	s_and_b32 s25, s25, 0xffff
	buffer_load_dwordx4 v[14:17], v52, s[24:27], 0 offen
	buffer_load_dwordx4 v[10:13], v52, s[24:27], s55 offen
	;; [unrolled: 1-line block ×4, first 2 shown]
	v_mov_b32_e32 v87, v54
	v_mov_b32_e32 v86, v55
.LBB615_12:                             ;   in Loop: Header=BB615_6 Depth=1
	s_waitcnt vmcnt(3)
	v_add_u32_e32 v22, s52, v78
	s_waitcnt vmcnt(1)
	v_ashrrev_i32_e32 v18, 31, v22
	v_mul_lo_u32 v20, v18, s34
	v_mul_lo_u32 v21, v22, s35
	v_mad_u64_u32 v[18:19], s[24:25], v22, s34, 0
	v_add3_u32 v19, v19, v21, v20
	v_lshl_add_u64 v[18:19], v[18:19], 2, s[2:3]
	global_load_dword v90, v[18:19], off
	v_add_u32_e32 v18, 1, v22
	v_ashrrev_i32_e32 v19, 31, v18
	v_mul_lo_u32 v20, v19, s34
	v_mul_lo_u32 v21, v18, s35
	v_mad_u64_u32 v[18:19], s[24:25], v18, s34, 0
	v_add3_u32 v19, v19, v21, v20
	v_add_u32_e32 v20, 2, v22
	v_ashrrev_i32_e32 v21, 31, v20
	v_mul_lo_u32 v23, v21, s34
	v_mul_lo_u32 v24, v20, s35
	v_mad_u64_u32 v[20:21], s[24:25], v20, s34, 0
	v_add_u32_e32 v22, 3, v22
	v_add3_u32 v21, v21, v24, v23
	v_ashrrev_i32_e32 v23, 31, v22
	v_mul_lo_u32 v26, v23, s34
	v_mul_lo_u32 v27, v22, s35
	v_mad_u64_u32 v[22:23], s[24:25], v22, s34, 0
	s_ashr_i32 s25, s52, 31
	s_add_u32 s24, s49, s52
	s_addc_u32 s25, s48, s25
	s_lshl_b64 s[60:61], s[24:25], 8
	v_lshl_add_u64 v[18:19], v[18:19], 2, s[2:3]
	v_lshl_add_u64 v[24:25], v[38:39], 0, s[60:61]
	v_add3_u32 v23, v23, v27, v26
	v_lshl_add_u64 v[20:21], v[20:21], 2, s[2:3]
	global_load_ushort v91, v[24:25], off
	global_load_ushort v92, v[24:25], off offset:256
	global_load_ushort v93, v[24:25], off offset:512
	;; [unrolled: 1-line block ×3, first 2 shown]
	v_lshl_add_u64 v[22:23], v[22:23], 2, s[2:3]
	global_load_dword v95, v[18:19], off
	global_load_dword v96, v[20:21], off
	;; [unrolled: 1-line block ×3, first 2 shown]
	ds_read_b64 v[22:23], v60 offset:24576
	ds_read_b64 v[28:29], v62 offset:24576
	ds_read2st64_b64 v[18:21], v67 offset1:1
	s_waitcnt lgkmcnt(0)
	v_mfma_f32_16x16x16_bf16 a[0:3], v[22:23], v[18:19], a[0:3]
	s_load_dword s24, s[40:41], 0x0
	ds_read2st64_b64 v[24:27], v67 offset0:2 offset1:3
	ds_read_b64 v[30:31], v63 offset:24576
	ds_read_b64 v[32:33], v65 offset:24576
	v_mov_b32_e32 v89, 0
	v_mfma_f32_16x16x16_bf16 a[0:3], v[28:29], v[20:21], a[0:3]
	v_mov_b32_e32 v18, 0
	v_mov_b32_e32 v19, 0
	;; [unrolled: 1-line block ×3, first 2 shown]
	s_waitcnt lgkmcnt(0)
	v_mfma_f32_16x16x16_bf16 a[0:3], v[30:31], v[24:25], a[0:3]
	v_lshl_add_u64 v[24:25], v[40:41], 0, s[60:61]
	v_mov_b32_e32 v21, 0
	v_mov_b32_e32 v22, 0
	v_mfma_f32_16x16x16_bf16 a[0:3], v[32:33], v[26:27], a[0:3]
	v_mov_b32_e32 v23, 0
	s_and_b64 vcc, exec, s[0:1]
	s_waitcnt vmcnt(7)
	v_sub_f32_e32 v90, s24, v90
	s_nop 2
	v_accvgpr_read_b32 v29, a1
	v_accvgpr_read_b32 v27, a3
	;; [unrolled: 1-line block ×4, first 2 shown]
	v_mul_f32_e32 v90, 0x3fb8aa3b, v90
	s_waitcnt vmcnt(6)
	v_lshlrev_b32_e32 v30, 16, v91
	s_waitcnt vmcnt(5)
	v_lshlrev_b32_e32 v31, 16, v92
	;; [unrolled: 2-line block ×4, first 2 shown]
	s_waitcnt vmcnt(2)
	v_sub_f32_e32 v91, s24, v95
	s_waitcnt vmcnt(1)
	v_sub_f32_e32 v92, s24, v96
	;; [unrolled: 2-line block ×3, first 2 shown]
	v_pk_add_f32 v[28:29], v[30:31], v[28:29] neg_lo:[0,1] neg_hi:[0,1]
	v_pk_add_f32 v[26:27], v[32:33], v[26:27] neg_lo:[0,1] neg_hi:[0,1]
	v_mul_f32_e32 v31, 0x3fb8aa3b, v91
	v_mul_f32_e32 v32, 0x3fb8aa3b, v92
	;; [unrolled: 1-line block ×3, first 2 shown]
	v_exp_f32_e32 v30, v90
	v_exp_f32_e32 v31, v31
	;; [unrolled: 1-line block ×4, first 2 shown]
	global_store_short_d16_hi v[24:25], v28, off
	global_store_short_d16_hi v[24:25], v29, off offset:256
	global_store_short_d16_hi v[24:25], v26, off offset:512
	;; [unrolled: 1-line block ×3, first 2 shown]
	v_pk_mul_f32 v[24:25], v[30:31], v[28:29]
	v_pk_mul_f32 v[26:27], v[32:33], v[26:27]
	v_perm_b32 v24, v25, v24, s21
	v_perm_b32 v25, v27, v26, s21
	ds_write_b64 v57, v[24:25]
	v_mov_b32_e32 v24, 0
	v_mov_b32_e32 v25, 0
	;; [unrolled: 1-line block ×10, first 2 shown]
	s_cbranch_vccnz .LBB615_14
; %bb.13:                               ;   in Loop: Header=BB615_6 Depth=1
	s_and_b32 s29, s29, 0xffff
	s_mov_b32 s31, s27
	buffer_load_dwordx4 v[30:33], v76, s[28:31], 0 offen
	buffer_load_dwordx4 v[22:25], v76, s[28:31], s55 offen
	buffer_load_dwordx4 v[26:29], v77, s[28:31], 0 offen
	buffer_load_dwordx4 v[18:21], v77, s[28:31], s55 offen
	v_mov_b32_e32 v88, v51
	v_mov_b32_e32 v89, v50
.LBB615_14:                             ;   in Loop: Header=BB615_6 Depth=1
	s_waitcnt lgkmcnt(0)
	s_barrier
	ds_read_b64 v[98:99], v80
	ds_read2st64_b64 v[90:93], v67 offset1:1
	ds_read2st64_b64 v[94:97], v67 offset0:2 offset1:3
	ds_read_b64 v[100:101], v81
	ds_read_b64 v[102:103], v82
	;; [unrolled: 1-line block ×3, first 2 shown]
	s_waitcnt lgkmcnt(4)
	v_mfma_f32_16x16x16_bf16 a[0:3], v[98:99], v[90:91], 0
	ds_read_b64 v[98:99], v72 offset:8192
	ds_read_b64 v[106:107], v73 offset:8192
	s_add_i32 s25, s47, s58
	s_mul_hi_i32 s29, s25, s50
	s_waitcnt lgkmcnt(1)
	v_mfma_f32_16x16x16_bf16 a[4:7], v[98:99], v[90:91], 0
	s_mul_i32 s25, s25, s50
	s_add_u32 s28, s25, s33
	s_addc_u32 s29, s29, s53
	v_mfma_f32_16x16x16_bf16 a[0:3], v[100:101], v[92:93], a[0:3]
	ds_read_b64 v[98:99], v70
	ds_read_b64 v[100:101], v71
	ds_read_b64 v[90:91], v74 offset:8192
	s_lshl_b64 s[28:29], s[28:29], 15
	v_mfma_f32_16x16x16_bf16 a[0:3], v[102:103], v[94:95], a[0:3]
	ds_read_b64 v[102:103], v75 offset:8192
	s_and_b64 vcc, exec, s[0:1]
	s_waitcnt lgkmcnt(4)
	v_mfma_f32_16x16x16_bf16 a[4:7], v[106:107], v[92:93], a[4:7]
	s_waitcnt lgkmcnt(1)
	v_mfma_f32_16x16x16_bf16 a[4:7], v[90:91], v[94:95], a[4:7]
	v_lshl_add_u64 v[90:91], v[36:37], 0, s[28:29]
	global_store_dwordx4 v[90:91], v[98:101], off
	v_mfma_f32_16x16x16_bf16 a[0:3], v[104:105], v[96:97], a[0:3]
	s_waitcnt lgkmcnt(0)
	v_mfma_f32_16x16x16_bf16 a[4:7], v[102:103], v[96:97], a[4:7]
	s_cbranch_vccnz .LBB615_16
; %bb.15:                               ;   in Loop: Header=BB615_6 Depth=1
	v_lshrrev_b32_e32 v90, 3, v88
	v_and_b32_e32 v90, 6, v90
	v_xor_b32_e32 v89, v90, v89
	v_lshlrev_b32_e32 v89, 2, v89
	v_and_b32_e32 v88, 8, v88
	v_xor_b32_e32 v91, 0x440, v89
	v_cmp_eq_u32_e32 vcc, 0, v88
	s_barrier
	s_nop 0
	v_cndmask_b32_e32 v88, v91, v89, vcc
	v_lshl_or_b32 v88, v90, 10, v88
	s_waitcnt vmcnt(2)
	v_perm_b32 v89, v30, v26, s56
	s_waitcnt vmcnt(1)
	v_perm_b32 v90, v22, v18, s56
	ds_write2st64_b32 v88, v89, v90 offset1:32
	v_xor_b32_e32 v89, 8, v88
	v_perm_b32 v26, v30, v26, s57
	v_perm_b32 v18, v22, v18, s57
	v_add_u32_e32 v22, 0x80, v89
	ds_write2st64_b32 v22, v26, v18 offset1:32
	v_xor_b32_e32 v18, 16, v88
	v_perm_b32 v22, v31, v27, s56
	v_perm_b32 v26, v23, v19, s56
	ds_write2st64_b32 v18, v22, v26 offset0:1 offset1:33
	v_xor_b32_e32 v18, 24, v88
	v_perm_b32 v22, v31, v27, s57
	v_perm_b32 v19, v23, v19, s57
	v_add_u32_e32 v18, 0x80, v18
	ds_write2st64_b32 v18, v22, v19 offset0:1 offset1:33
	v_xor_b32_e32 v18, 32, v88
	v_perm_b32 v19, v32, v28, s56
	v_perm_b32 v22, v24, v20, s56
	ds_write2st64_b32 v18, v19, v22 offset0:2 offset1:34
	v_xor_b32_e32 v18, 40, v88
	v_perm_b32 v19, v32, v28, s57
	v_perm_b32 v20, v24, v20, s57
	v_add_u32_e32 v18, 0x80, v18
	ds_write2st64_b32 v18, v19, v20 offset0:2 offset1:34
	;; [unrolled: 9-line block ×3, first 2 shown]
	ds_write_b64 v87, v[14:15] offset:16384
	v_xor_b32_e32 v14, 8, v87
	ds_write_b64 v14, v[16:17] offset:16384
	ds_write_b64 v87, v[10:11] offset:24576
	;; [unrolled: 1-line block ×4, first 2 shown]
	v_xor_b32_e32 v6, 8, v86
	ds_write_b64 v6, v[8:9] offset:16384
	ds_write_b64 v86, v[2:3] offset:24576
	;; [unrolled: 1-line block ×3, first 2 shown]
.LBB615_16:                             ;   in Loop: Header=BB615_6 Depth=1
	v_mul_f32_e32 v2, s24, v79
	v_exp_f32_e32 v2, v2
	s_nop 1
	v_accvgpr_read_b32 v3, a0
	v_accvgpr_read_b32 v4, a1
	s_add_i32 s52, s52, 64
	v_fma_f32 v35, v35, v2, v3
	v_accvgpr_read_b32 v3, a2
	v_fma_f32 v69, v69, v2, v3
	v_accvgpr_read_b32 v3, a4
	;; [unrolled: 2-line block ×6, first 2 shown]
	v_fmac_f32_e32 v4, v85, v2
	s_cmp_eq_u32 s46, s37
	v_fmac_f32_e32 v3, v84, v2
	s_cbranch_scc1 .LBB615_18
; %bb.17:                               ;   in Loop: Header=BB615_6 Depth=1
	s_mov_b32 s58, s37
	v_mov_b32_e32 v85, v4
	v_mov_b32_e32 v84, v3
	s_branch .LBB615_6
.LBB615_18:
	s_lshl_b32 s0, s46, 6
	s_sub_i32 s45, s45, s0
	s_cmp_gt_i32 s45, 0
	s_cbranch_scc0 .LBB615_75
; %bb.19:
	s_add_i32 s38, s0, s38
	s_ashr_i32 s2, s38, 31
	s_cmpk_lg_i32 s19, 0x80
	s_cselect_b64 s[30:31], -1, 0
	s_and_b64 vcc, exec, s[30:31]
	s_cbranch_vccz .LBB615_21
; %bb.20:
	s_mul_i32 s1, s38, s18
	s_ashr_i32 s3, s51, 31
	s_mul_hi_i32 s0, s38, s18
	s_add_u32 s40, s1, s51
	s_addc_u32 s41, s0, s3
	s_cbranch_execz .LBB615_22
	s_branch .LBB615_23
.LBB615_21:
                                        ; implicit-def: $sgpr40_sgpr41
.LBB615_22:
	s_mul_i32 s1, s51, s16
	s_mul_hi_i32 s0, s51, s16
	s_add_u32 s40, s1, s38
	s_addc_u32 s41, s0, s2
.LBB615_23:
	s_add_i32 s3, s46, s47
	s_ashr_i32 s16, s33, 31
	s_add_u32 s0, s49, s38
	s_addc_u32 s1, s48, s2
	s_mov_b32 s2, 0x7060302
	v_lshlrev_b32_e32 v6, 3, v1
	v_perm_b32 v5, v4, v69, s2
	v_perm_b32 v4, v68, v35, s2
	;; [unrolled: 1-line block ×4, first 2 shown]
	v_lshlrev_b32_e32 v34, 2, v1
	v_lshl_or_b32 v6, v49, 5, v6
	s_lshl_b64 s[28:29], s[0:1], 8
	ds_write2st64_b64 v6, v[4:5], v[2:3] offset0:72 offset1:76
	v_xor_b32_e32 v6, v49, v34
	v_lshlrev_b32_e32 v7, 8, v1
	s_add_u32 s0, s6, s28
	v_lshl_or_b32 v6, v6, 1, v7
	s_addc_u32 s1, s7, s29
	ds_write_b64 v6, v[4:5] offset:32768
	v_xor_b32_e32 v4, v48, v34
	s_mul_hi_i32 s6, s3, s17
	s_mul_i32 s3, s3, s17
	v_lshl_or_b32 v4, v4, 1, v7
	s_add_u32 s2, s3, s33
	ds_write_b64 v4, v[2:3] offset:32768
	s_addc_u32 s3, s6, s16
	v_lshlrev_b32_e32 v3, 1, v1
	v_lshrrev_b32_e32 v2, 4, v0
	s_ashr_i32 s37, s36, 31
	s_lshl_b64 s[2:3], s[2:3], 15
	v_or_b32_e32 v4, 1, v3
	s_add_u32 s6, s12, s2
	v_xor_b32_e32 v3, v2, v3
	v_xor_b32_e32 v4, v4, v2
	v_lshlrev_b32_e32 v6, 8, v2
	s_addc_u32 s7, s13, s3
	s_lshl_b64 s[2:3], s[36:37], 8
	v_lshl_or_b32 v2, v3, 3, v6
	v_lshl_or_b32 v4, v4, 3, v6
	s_waitcnt lgkmcnt(0)
	s_barrier
	s_add_u32 s2, s6, s2
	ds_read_b64 v[2:3], v2 offset:32768
	ds_read_b64 v[4:5], v4 offset:32768
	s_addc_u32 s3, s7, s3
	v_mov_b32_e32 v7, 0
	s_cmp_lg_u32 s45, 64
	v_lshl_add_u64 v[8:9], s[2:3], 0, v[6:7]
	v_lshlrev_b32_e32 v6, 4, v1
	s_cselect_b64 s[6:7], -1, 0
	v_lshl_or_b32 v35, v44, 3, v47
	s_mov_b32 s24, 0
	v_lshl_add_u64 v[6:7], v[8:9], 0, v[6:7]
	s_waitcnt vmcnt(1)
	v_or_b32_e32 v19, 32, v35
	v_and_b32_e32 v18, 56, v46
	s_and_b64 vcc, exec, s[6:7]
	s_waitcnt lgkmcnt(0)
	global_store_dwordx4 v[6:7], v[2:5], off
	s_cbranch_vccz .LBB615_29
; %bb.24:
	s_mov_b32 s25, s24
	s_mov_b32 s26, s24
	;; [unrolled: 1-line block ×3, first 2 shown]
	v_mov_b64_e32 v[6:7], s[24:25]
	v_mov_b64_e32 v[8:9], s[26:27]
	;; [unrolled: 1-line block ×3, first 2 shown]
	v_cmp_gt_i32_e32 vcc, s45, v35
	v_mov_b64_e32 v[4:5], v[8:9]
	s_and_saveexec_b64 s[2:3], vcc
	s_cbranch_execz .LBB615_26
; %bb.25:
	v_lshlrev_b32_e32 v2, 8, v35
	v_mov_b32_e32 v3, 0
	v_lshl_add_u64 v[4:5], s[0:1], 0, v[2:3]
	v_lshlrev_b32_e32 v2, 1, v18
	v_lshl_add_u64 v[10:11], v[4:5], 0, v[2:3]
	global_load_dwordx4 v[6:9], v[10:11], off
	global_load_dwordx4 v[2:5], v[10:11], off offset:128
.LBB615_26:
	s_or_b64 exec, exec, s[2:3]
	s_mov_b32 s25, s24
	s_mov_b32 s26, s24
	;; [unrolled: 1-line block ×3, first 2 shown]
	v_mov_b64_e32 v[14:15], s[24:25]
	v_mov_b64_e32 v[16:17], s[26:27]
	;; [unrolled: 1-line block ×3, first 2 shown]
	v_cmp_gt_i32_e32 vcc, s45, v19
	v_lshlrev_b32_e32 v20, 7, v19
	v_mov_b64_e32 v[12:13], v[16:17]
	s_and_saveexec_b64 s[2:3], vcc
	s_cbranch_execz .LBB615_28
; %bb.27:
	v_lshlrev_b32_e32 v10, 1, v20
	v_mov_b32_e32 v11, 0
	v_lshl_add_u64 v[12:13], s[0:1], 0, v[10:11]
	v_lshlrev_b32_e32 v10, 1, v18
	v_lshl_add_u64 v[22:23], v[12:13], 0, v[10:11]
	global_load_dwordx4 v[14:17], v[22:23], off
	global_load_dwordx4 v[10:13], v[22:23], off offset:128
.LBB615_28:
	s_or_b64 exec, exec, s[2:3]
	v_lshrrev_b32_e32 v21, 3, v18
	v_lshlrev_b32_e32 v22, 3, v35
	v_or_b32_e32 v21, v22, v21
	v_lshlrev_b32_e32 v21, 4, v21
	v_and_b32_e32 v22, 0x78, v22
	v_xor_b32_e32 v21, v21, v22
	s_branch .LBB615_31
.LBB615_29:
                                        ; implicit-def: $vgpr21
                                        ; implicit-def: $vgpr20
                                        ; implicit-def: $vgpr6_vgpr7_vgpr8_vgpr9
                                        ; implicit-def: $vgpr2_vgpr3_vgpr4_vgpr5
                                        ; implicit-def: $vgpr14_vgpr15_vgpr16_vgpr17
                                        ; implicit-def: $vgpr10_vgpr11_vgpr12_vgpr13
	s_cbranch_execz .LBB615_31
; %bb.30:
	s_waitcnt vmcnt(0)
	v_lshlrev_b32_e32 v2, 1, v18
	v_lshl_or_b32 v20, v35, 8, v2
	s_and_b32 s1, s1, 0xffff
	s_mov_b32 s3, 0x20000
	s_movk_i32 s2, 0x4000
	v_lshl_or_b32 v21, v19, 8, v2
	s_movk_i32 s12, 0x80
	buffer_load_dwordx4 v[6:9], v20, s[0:3], 0 offen
	buffer_load_dwordx4 v[2:5], v20, s[0:3], s12 offen
	;; [unrolled: 1-line block ×4, first 2 shown]
	v_lshrrev_b32_e32 v20, 3, v18
	v_lshlrev_b32_e32 v21, 3, v35
	v_or_b32_e32 v20, v21, v20
	v_lshlrev_b32_e32 v20, 4, v20
	v_and_b32_e32 v21, 0x78, v21
	v_xor_b32_e32 v21, v20, v21
	v_lshlrev_b32_e32 v20, 7, v19
.LBB615_31:
	s_lshl_b64 s[0:1], s[40:41], 8
	s_add_u32 s4, s4, s0
	s_movk_i32 s0, 0x1000
	v_and_or_b32 v19, v20, s0, v21
	s_waitcnt vmcnt(1)
	ds_write_b64 v21, v[6:7] offset:16384
	v_xor_b32_e32 v6, 8, v21
	s_addc_u32 s5, s5, s1
	ds_write_b64 v6, v[8:9] offset:16384
	s_waitcnt vmcnt(0)
	ds_write_b64 v21, v[2:3] offset:24576
	ds_write_b64 v6, v[4:5] offset:24576
	;; [unrolled: 1-line block ×3, first 2 shown]
	v_xor_b32_e32 v2, 8, v19
	s_add_i32 s0, s43, s42
	ds_write_b64 v2, v[16:17] offset:16384
	ds_write_b64 v19, v[10:11] offset:24576
	;; [unrolled: 1-line block ×3, first 2 shown]
	s_add_i32 s21, s0, s44
	s_mul_i32 s0, s33, s23
	s_mul_hi_u32 s1, s33, s22
	v_or_b32_e32 v2, v42, v1
	s_add_i32 s0, s1, s0
	s_mul_i32 s1, s16, s22
	v_lshlrev_b32_e32 v2, 3, v2
	v_lshrrev_b32_e32 v4, 5, v43
	s_movk_i32 s16, 0xf8
	v_and_or_b32 v4, v2, s16, v4
	v_lshlrev_b32_e32 v3, 11, v44
	v_lshlrev_b32_e32 v12, 4, v4
	v_and_b32_e32 v13, 0x78, v2
	v_and_b32_e32 v14, 0x1000, v3
	v_lshlrev_b32_e32 v3, 2, v0
	v_xor_b32_e32 v2, v12, v13
	v_lshrrev_b32_e32 v4, 1, v43
	v_and_b32_e32 v3, 60, v3
	v_or_b32_e32 v2, v2, v14
	v_and_b32_e32 v15, 8, v4
	v_xor_b32_e32 v26, v2, v15
	v_lshl_or_b32 v2, v45, 6, v3
	v_lshlrev_b32_e32 v19, 1, v2
	v_or_b32_e32 v2, 32, v12
	v_xor_b32_e32 v2, v2, v13
	s_waitcnt lgkmcnt(0)
	s_barrier
	ds_read_b64 v[10:11], v26 offset:16384
	v_or_b32_e32 v2, v2, v14
	v_xor_b32_e32 v27, v2, v15
	v_or_b32_e32 v2, 64, v12
	v_xor_b32_e32 v2, v2, v13
	v_or_b32_e32 v2, v2, v14
	v_or_b32_e32 v12, 0x60, v12
	v_xor_b32_e32 v28, v2, v15
	ds_read2st64_b64 v[2:5], v19 offset0:72 offset1:73
	ds_read2st64_b64 v[6:9], v19 offset0:74 offset1:75
	v_xor_b32_e32 v16, v12, v13
	ds_read_b64 v[12:13], v27 offset:16384
	s_waitcnt lgkmcnt(2)
	v_mfma_f32_16x16x16_bf16 a[0:3], v[10:11], v[2:3], 0
	s_add_i32 s2, s39, -1
	s_ashr_i32 s3, s2, 31
	s_mul_i32 s12, s2, s35
	s_mul_hi_u32 s13, s2, s34
	s_add_i32 s12, s13, s12
	s_mul_i32 s3, s3, s34
	v_or_b32_e32 v14, v16, v14
	s_add_i32 s1, s0, s1
	s_add_i32 s3, s12, s3
	s_lshl_b64 s[12:13], s[20:21], 2
	v_xor_b32_e32 v36, v14, v15
	ds_read_b64 v[14:15], v28 offset:16384
	ds_read_b64 v[16:17], v36 offset:16384
	s_waitcnt lgkmcnt(2)
	v_mfma_f32_16x16x16_bf16 a[0:3], v[12:13], v[4:5], a[0:3]
	s_mul_i32 s0, s33, s22
	s_add_u32 s10, s10, s12
	s_addc_u32 s11, s11, s13
	s_lshl_b64 s[0:1], s[0:1], 2
	s_mul_i32 s2, s2, s34
	s_add_u32 s10, s10, s0
	s_addc_u32 s11, s11, s1
	s_lshl_b64 s[0:1], s[2:3], 2
	s_waitcnt lgkmcnt(1)
	v_mfma_f32_16x16x16_bf16 a[0:3], v[14:15], v[6:7], a[0:3]
	s_add_u32 s0, s10, s0
	s_addc_u32 s1, s11, s1
	s_load_dword s12, s[0:1], 0x0
	s_waitcnt lgkmcnt(0)
	v_mfma_f32_16x16x16_bf16 a[0:3], v[16:17], v[8:9], a[0:3]
	s_and_b64 vcc, exec, s[30:31]
	s_cbranch_vccz .LBB615_42
; %bb.32:
	v_lshlrev_b32_e32 v20, 1, v35
	s_and_b64 vcc, exec, s[6:7]
	s_cbranch_vccz .LBB615_43
; %bb.33:
	v_cmp_gt_i32_e32 vcc, s45, v20
	v_mov_b32_e32 v6, 0
	v_mov_b32_e32 v2, 0
	;; [unrolled: 1-line block ×5, first 2 shown]
	s_and_saveexec_b64 s[0:1], vcc
	s_cbranch_execz .LBB615_35
; %bb.34:
	v_mad_i64_i32 v[2:3], s[2:3], s19, v20, 0
	v_lshl_add_u64 v[2:3], v[2:3], 1, s[4:5]
	v_lshlrev_b32_e32 v4, 1, v18
	v_mov_b32_e32 v5, 0
	v_lshl_add_u64 v[2:3], v[2:3], 0, v[4:5]
	global_load_dwordx4 v[2:5], v[2:3], off
.LBB615_35:
	s_or_b64 exec, exec, s[0:1]
	v_or_b32_e32 v21, 1, v20
	v_cmp_gt_i32_e64 s[0:1], s45, v21
	v_mov_b32_e32 v7, 0
	v_mov_b32_e32 v8, 0
	;; [unrolled: 1-line block ×3, first 2 shown]
	s_and_saveexec_b64 s[2:3], s[0:1]
	s_cbranch_execz .LBB615_37
; %bb.36:
	v_mad_i64_i32 v[6:7], s[16:17], s19, v21, 0
	v_lshl_add_u64 v[6:7], v[6:7], 1, s[4:5]
	v_lshlrev_b32_e32 v8, 1, v18
	v_mov_b32_e32 v9, 0
	v_lshl_add_u64 v[6:7], v[6:7], 0, v[8:9]
	global_load_dwordx4 v[6:9], v[6:7], off
.LBB615_37:
	s_or_b64 exec, exec, s[2:3]
	v_mov_b32_e32 v17, 0
	v_mov_b32_e32 v10, 0
	;; [unrolled: 1-line block ×5, first 2 shown]
	s_and_saveexec_b64 s[2:3], vcc
	s_cbranch_execz .LBB615_39
; %bb.38:
	v_mad_i64_i32 v[10:11], s[16:17], s19, v20, 0
	v_lshl_add_u64 v[10:11], v[10:11], 1, s[4:5]
	v_lshlrev_b32_e32 v12, 1, v18
	v_mov_b32_e32 v13, 0
	v_lshl_add_u64 v[10:11], v[10:11], 0, v[12:13]
	global_load_dwordx4 v[10:13], v[10:11], off offset:128
.LBB615_39:
	s_or_b64 exec, exec, s[2:3]
	v_mov_b32_e32 v16, 0
	v_mov_b32_e32 v15, 0
	;; [unrolled: 1-line block ×3, first 2 shown]
	s_and_saveexec_b64 s[2:3], s[0:1]
	s_cbranch_execz .LBB615_41
; %bb.40:
	v_mad_i64_i32 v[14:15], s[0:1], s19, v21, 0
	v_lshl_add_u64 v[14:15], v[14:15], 1, s[4:5]
	v_lshlrev_b32_e32 v16, 1, v18
	v_mov_b32_e32 v17, 0
	v_lshl_add_u64 v[14:15], v[14:15], 0, v[16:17]
	global_load_dwordx4 v[14:17], v[14:15], off offset:128
.LBB615_41:
	s_or_b64 exec, exec, s[2:3]
	s_branch .LBB615_45
.LBB615_42:
                                        ; implicit-def: $vgpr5
                                        ; implicit-def: $vgpr9
                                        ; implicit-def: $vgpr13
                                        ; implicit-def: $vgpr17
	v_lshrrev_b32_e32 v37, 2, v43
	s_branch .LBB615_46
.LBB615_43:
                                        ; implicit-def: $vgpr5
                                        ; implicit-def: $vgpr9
                                        ; implicit-def: $vgpr13
                                        ; implicit-def: $vgpr17
	s_cbranch_execz .LBB615_45
; %bb.44:
	s_waitcnt vmcnt(0)
	v_mad_u64_u32 v[2:3], s[0:1], v20, s19, v[18:19]
	v_lshlrev_b32_e32 v20, 1, v2
	s_lshl_b32 s2, s19, 7
	s_and_b32 s1, s5, 0xffff
	s_mov_b32 s3, 0x20000
	s_mov_b32 s0, s4
	v_add_lshl_u32 v21, v2, s19, 1
	s_movk_i32 s13, 0x80
	buffer_load_dwordx4 v[2:5], v20, s[0:3], 0 offen
	buffer_load_dwordx4 v[10:13], v20, s[0:3], s13 offen
	;; [unrolled: 1-line block ×4, first 2 shown]
.LBB615_45:
	v_lshrrev_b32_e32 v37, 2, v43
	s_cbranch_execnz .LBB615_58
.LBB615_46:
	s_and_b64 vcc, exec, s[6:7]
	s_cbranch_vccz .LBB615_56
; %bb.47:
	s_waitcnt vmcnt(0)
	v_lshlrev_b32_e32 v7, 1, v35
	v_cmp_gt_i32_e32 vcc, s45, v7
	v_mov_b32_e32 v6, 0
	v_lshlrev_b32_e32 v14, 9, v35
	v_mov_b32_e32 v2, 0
	v_mov_b32_e32 v3, 0
	;; [unrolled: 1-line block ×4, first 2 shown]
	s_and_saveexec_b64 s[0:1], vcc
	s_cbranch_execz .LBB615_49
; %bb.48:
	v_mov_b32_e32 v15, 0
	v_lshl_add_u64 v[2:3], s[4:5], 0, v[14:15]
	v_lshlrev_b32_e32 v4, 1, v18
	v_mov_b32_e32 v5, v15
	v_lshl_add_u64 v[2:3], v[2:3], 0, v[4:5]
	global_load_dwordx4 v[2:5], v[2:3], off
.LBB615_49:
	s_or_b64 exec, exec, s[0:1]
	v_or_b32_e32 v7, 1, v7
	v_cmp_gt_i32_e64 s[0:1], s45, v7
	v_lshlrev_b32_e32 v20, 8, v7
	v_mov_b32_e32 v7, 0
	v_mov_b32_e32 v8, 0
	;; [unrolled: 1-line block ×3, first 2 shown]
	s_and_saveexec_b64 s[2:3], s[0:1]
	s_cbranch_execz .LBB615_51
; %bb.50:
	v_mov_b32_e32 v21, 0
	v_lshl_add_u64 v[6:7], s[4:5], 0, v[20:21]
	v_lshlrev_b32_e32 v8, 1, v18
	v_mov_b32_e32 v9, v21
	v_lshl_add_u64 v[6:7], v[6:7], 0, v[8:9]
	global_load_dwordx4 v[6:9], v[6:7], off
.LBB615_51:
	s_or_b64 exec, exec, s[2:3]
	v_mov_b32_e32 v17, 0
	v_mov_b32_e32 v10, 0
	;; [unrolled: 1-line block ×5, first 2 shown]
	s_and_saveexec_b64 s[2:3], vcc
	s_cbranch_execz .LBB615_53
; %bb.52:
	v_mov_b32_e32 v15, 0
	v_lshl_add_u64 v[10:11], s[4:5], 0, v[14:15]
	v_lshlrev_b32_e32 v14, 1, v18
	v_lshl_add_u64 v[10:11], v[10:11], 0, v[14:15]
	global_load_dwordx4 v[10:13], v[10:11], off offset:128
.LBB615_53:
	s_or_b64 exec, exec, s[2:3]
	v_mov_b32_e32 v16, 0
	v_mov_b32_e32 v15, 0
	v_mov_b32_e32 v14, 0
	s_and_saveexec_b64 s[2:3], s[0:1]
	s_cbranch_execz .LBB615_55
; %bb.54:
	v_mov_b32_e32 v21, 0
	v_lshl_add_u64 v[14:15], s[4:5], 0, v[20:21]
	v_lshlrev_b32_e32 v20, 1, v18
	v_lshl_add_u64 v[14:15], v[14:15], 0, v[20:21]
	global_load_dwordx4 v[14:17], v[14:15], off offset:128
.LBB615_55:
	s_or_b64 exec, exec, s[2:3]
	s_branch .LBB615_58
.LBB615_56:
                                        ; implicit-def: $vgpr5
                                        ; implicit-def: $vgpr9
                                        ; implicit-def: $vgpr13
                                        ; implicit-def: $vgpr17
	s_cbranch_execz .LBB615_58
; %bb.57:
	s_waitcnt vmcnt(0)
	v_lshlrev_b32_e32 v2, 1, v18
	v_lshl_or_b32 v18, v35, 9, v2
	s_and_b32 s5, s5, 0xffff
	s_mov_b32 s7, 0x20000
	s_movk_i32 s6, 0x4000
	s_movk_i32 s0, 0x80
	buffer_load_dwordx4 v[2:5], v18, s[4:7], 0 offen
	buffer_load_dwordx4 v[6:9], v18, s[4:7], 0 offen offset:256
	buffer_load_dwordx4 v[10:13], v18, s[4:7], s0 offen
	buffer_load_dwordx4 v[14:17], v18, s[4:7], s0 offen offset:256
.LBB615_58:
	ds_read2st64_b64 v[22:25], v19 offset0:76 offset1:77
	ds_read2st64_b64 v[18:21], v19 offset0:78 offset1:79
	ds_read_b64 v[32:33], v26 offset:24576
	ds_read_b64 v[30:31], v27 offset:24576
	;; [unrolled: 1-line block ×4, first 2 shown]
	v_and_b32_e32 v36, 6, v0
	v_xor_b32_e32 v35, v35, v36
	v_lshlrev_b32_e32 v35, 2, v35
	v_and_b32_e32 v0, 1, v0
	v_xor_b32_e32 v38, 0x440, v35
	v_cmp_eq_u32_e32 vcc, 0, v0
	s_mov_b32 s0, 0x1000504
	s_mov_b32 s1, 0x3020706
	v_cndmask_b32_e32 v0, v38, v35, vcc
	v_lshl_or_b32 v0, v36, 10, v0
	s_waitcnt vmcnt(0)
	v_perm_b32 v35, v2, v6, s0
	v_perm_b32 v36, v10, v14, s0
	ds_write2st64_b32 v0, v35, v36 offset1:32
	v_xor_b32_e32 v35, 8, v0
	v_perm_b32 v2, v2, v6, s1
	v_perm_b32 v6, v10, v14, s1
	v_add_u32_e32 v10, 0x80, v35
	ds_write2st64_b32 v10, v2, v6 offset1:32
	v_xor_b32_e32 v2, 16, v0
	v_perm_b32 v6, v3, v7, s0
	v_perm_b32 v10, v11, v15, s0
	ds_write2st64_b32 v2, v6, v10 offset0:1 offset1:33
	v_xor_b32_e32 v2, 24, v0
	v_perm_b32 v3, v3, v7, s1
	v_perm_b32 v6, v11, v15, s1
	v_add_u32_e32 v2, 0x80, v2
	ds_write2st64_b32 v2, v3, v6 offset0:1 offset1:33
	v_xor_b32_e32 v2, 32, v0
	v_perm_b32 v3, v4, v8, s0
	v_perm_b32 v6, v12, v16, s0
	ds_write2st64_b32 v2, v3, v6 offset0:2 offset1:34
	v_xor_b32_e32 v2, 40, v0
	v_perm_b32 v3, v4, v8, s1
	v_perm_b32 v4, v12, v16, s1
	v_add_u32_e32 v2, 0x80, v2
	ds_write2st64_b32 v2, v3, v4 offset0:2 offset1:34
	v_xor_b32_e32 v2, 48, v0
	v_perm_b32 v3, v5, v9, s0
	v_perm_b32 v4, v13, v17, s0
	v_xor_b32_e32 v0, 56, v0
	v_and_or_b32 v8, v37, 12, v42
	ds_write2st64_b32 v2, v3, v4 offset0:3 offset1:35
	v_perm_b32 v2, v5, v9, s1
	v_perm_b32 v3, v13, v17, s1
	v_add_u32_e32 v0, 0x80, v0
	v_cmp_gt_i32_e32 vcc, s45, v8
	v_mov_b32_e32 v9, 0
	v_mov_b32_e32 v14, 0
	ds_write2st64_b32 v0, v2, v3 offset0:3 offset1:35
	s_and_saveexec_b64 s[0:1], vcc
	s_cbranch_execz .LBB615_60
; %bb.59:
	v_add_u32_e32 v0, s38, v8
	v_ashrrev_i32_e32 v2, 31, v0
	v_mul_lo_u32 v4, v2, s34
	v_mul_lo_u32 v5, v0, s35
	v_mad_u64_u32 v[2:3], s[2:3], v0, s34, 0
	v_add3_u32 v3, v3, v5, v4
	v_lshl_add_u64 v[2:3], v[2:3], 2, s[10:11]
	global_load_dword v0, v[2:3], off
	s_waitcnt vmcnt(0)
	v_sub_f32_e32 v0, s12, v0
	v_mul_f32_e32 v0, 0x3fb8aa3b, v0
	v_exp_f32_e32 v14, v0
.LBB615_60:
	s_or_b64 exec, exec, s[0:1]
	v_or_b32_e32 v12, 1, v8
	v_cmp_gt_i32_e64 s[2:3], s45, v12
	s_and_saveexec_b64 s[0:1], s[2:3]
	s_cbranch_execz .LBB615_62
; %bb.61:
	v_add_u32_e32 v0, s38, v12
	v_ashrrev_i32_e32 v2, 31, v0
	v_mul_lo_u32 v4, v2, s34
	v_mul_lo_u32 v5, v0, s35
	v_mad_u64_u32 v[2:3], s[4:5], v0, s34, 0
	v_add3_u32 v3, v3, v5, v4
	v_lshl_add_u64 v[2:3], v[2:3], 2, s[10:11]
	global_load_dword v0, v[2:3], off
	s_waitcnt vmcnt(0)
	v_sub_f32_e32 v0, s12, v0
	v_mul_f32_e32 v0, 0x3fb8aa3b, v0
	v_exp_f32_e32 v9, v0
.LBB615_62:
	s_or_b64 exec, exec, s[0:1]
	v_or_b32_e32 v11, 2, v8
	v_cmp_gt_i32_e64 s[0:1], s45, v11
	v_mov_b32_e32 v10, 0
	v_mov_b32_e32 v15, 0
	s_and_saveexec_b64 s[4:5], s[0:1]
	s_cbranch_execz .LBB615_64
; %bb.63:
	v_add_u32_e32 v0, s38, v11
	v_ashrrev_i32_e32 v2, 31, v0
	v_mul_lo_u32 v4, v2, s34
	v_mul_lo_u32 v5, v0, s35
	v_mad_u64_u32 v[2:3], s[6:7], v0, s34, 0
	v_add3_u32 v3, v3, v5, v4
	v_lshl_add_u64 v[2:3], v[2:3], 2, s[10:11]
	global_load_dword v0, v[2:3], off
	s_waitcnt vmcnt(0)
	v_sub_f32_e32 v0, s12, v0
	v_mul_f32_e32 v0, 0x3fb8aa3b, v0
	v_exp_f32_e32 v15, v0
.LBB615_64:
	s_or_b64 exec, exec, s[4:5]
	v_or_b32_e32 v13, 3, v8
	v_cmp_gt_i32_e64 s[4:5], s45, v13
	s_and_saveexec_b64 s[6:7], s[4:5]
	s_cbranch_execz .LBB615_66
; %bb.65:
	v_add_u32_e32 v0, s38, v13
	v_ashrrev_i32_e32 v2, 31, v0
	v_mul_lo_u32 v4, v2, s34
	v_mul_lo_u32 v5, v0, s35
	v_mad_u64_u32 v[2:3], s[16:17], v0, s34, 0
	v_add3_u32 v3, v3, v5, v4
	v_lshl_add_u64 v[2:3], v[2:3], 2, s[10:11]
	global_load_dword v0, v[2:3], off
	s_waitcnt vmcnt(0)
	v_sub_f32_e32 v0, s12, v0
	v_mul_f32_e32 v0, 0x3fb8aa3b, v0
	v_exp_f32_e32 v10, v0
.LBB615_66:
	s_or_b64 exec, exec, s[6:7]
	s_waitcnt lgkmcnt(11)
	v_mfma_f32_16x16x16_bf16 a[0:3], v[32:33], v[22:23], a[0:3]
	v_or_b32_e32 v0, s36, v1
	s_add_u32 s6, s8, s28
	v_ashrrev_i32_e32 v1, 31, v0
	s_waitcnt lgkmcnt(10)
	v_mfma_f32_16x16x16_bf16 a[0:3], v[30:31], v[24:25], a[0:3]
	s_addc_u32 s7, s9, s29
	v_lshlrev_b64 v[0:1], 1, v[0:1]
	v_lshl_add_u64 v[4:5], s[6:7], 0, v[0:1]
	s_waitcnt lgkmcnt(9)
	v_mfma_f32_16x16x16_bf16 a[0:3], v[28:29], v[18:19], a[0:3]
	s_add_u32 s6, s14, s28
	s_addc_u32 s7, s15, s29
	v_lshl_add_u64 v[6:7], s[6:7], 0, v[0:1]
	s_waitcnt lgkmcnt(8)
	v_mfma_f32_16x16x16_bf16 a[0:3], v[26:27], v[20:21], a[0:3]
	v_mov_b32_e32 v16, 0
	v_mov_b32_e32 v17, 0
	s_nop 4
	v_accvgpr_read_b32 v0, a0
	v_accvgpr_read_b32 v1, a1
	;; [unrolled: 1-line block ×4, first 2 shown]
	s_and_saveexec_b64 s[6:7], vcc
	s_cbranch_execz .LBB615_68
; %bb.67:
	v_lshlrev_b32_e32 v18, 8, v8
	v_mov_b32_e32 v19, 0
	v_lshl_add_u64 v[20:21], v[4:5], 0, v[18:19]
	global_load_ushort v17, v[20:21], off
	v_lshl_add_u64 v[18:19], v[6:7], 0, v[18:19]
	s_waitcnt vmcnt(0)
	v_lshlrev_b32_e32 v17, 16, v17
	v_sub_f32_e32 v0, v17, v0
	global_store_short_d16_hi v[18:19], v0, off
	v_mul_f32_e32 v0, v14, v0
	v_lshrrev_b32_e32 v17, 16, v0
.LBB615_68:
	s_or_b64 exec, exec, s[6:7]
	s_and_saveexec_b64 s[6:7], s[2:3]
	s_cbranch_execz .LBB615_70
; %bb.69:
	v_lshlrev_b32_e32 v18, 8, v12
	v_mov_b32_e32 v19, 0
	v_lshl_add_u64 v[20:21], v[4:5], 0, v[18:19]
	global_load_ushort v0, v[20:21], off
	v_lshl_add_u64 v[18:19], v[6:7], 0, v[18:19]
	s_waitcnt vmcnt(0)
	v_lshlrev_b32_e32 v0, 16, v0
	v_sub_f32_e32 v0, v0, v1
	global_store_short_d16_hi v[18:19], v0, off
	v_mul_f32_e32 v0, v9, v0
	v_lshrrev_b32_e32 v16, 16, v0
.LBB615_70:
	s_or_b64 exec, exec, s[6:7]
	v_mov_b32_e32 v0, 0
	v_mov_b32_e32 v1, 0
	s_and_saveexec_b64 s[2:3], s[0:1]
	s_cbranch_execz .LBB615_72
; %bb.71:
	v_lshlrev_b32_e32 v18, 8, v11
	v_mov_b32_e32 v19, 0
	v_lshl_add_u64 v[20:21], v[4:5], 0, v[18:19]
	global_load_ushort v1, v[20:21], off
	v_lshl_add_u64 v[18:19], v[6:7], 0, v[18:19]
	s_waitcnt vmcnt(0)
	v_lshlrev_b32_e32 v1, 16, v1
	v_sub_f32_e32 v1, v1, v2
	global_store_short_d16_hi v[18:19], v1, off
	v_mul_f32_e32 v1, v15, v1
	v_lshrrev_b32_e32 v1, 16, v1
.LBB615_72:
	s_or_b64 exec, exec, s[2:3]
	s_and_saveexec_b64 s[0:1], s[4:5]
	s_cbranch_execz .LBB615_74
; %bb.73:
	v_lshlrev_b32_e32 v12, 8, v13
	v_mov_b32_e32 v13, 0
	v_lshl_add_u64 v[4:5], v[4:5], 0, v[12:13]
	global_load_ushort v0, v[4:5], off
	v_lshl_add_u64 v[4:5], v[6:7], 0, v[12:13]
	s_waitcnt vmcnt(0)
	v_lshlrev_b32_e32 v0, 16, v0
	v_sub_f32_e32 v0, v0, v3
	global_store_short_d16_hi v[4:5], v0, off
	v_mul_f32_e32 v0, v10, v0
	v_lshrrev_b32_e32 v0, 16, v0
.LBB615_74:
	s_or_b64 exec, exec, s[0:1]
	s_mov_b32 s0, 0x5040100
	v_lshlrev_b32_e32 v2, 1, v34
	v_perm_b32 v1, v0, v1, s0
	v_perm_b32 v0, v16, v17, s0
	v_lshl_or_b32 v2, v8, 5, v2
	ds_write_b64 v2, v[0:1] offset:38912
	s_waitcnt lgkmcnt(0)
	s_barrier
.LBB615_75:
	s_endpgm
	.section	.rodata,"a",@progbits
	.p2align	6, 0x0
	.amdhsa_kernel _ZN12_GLOBAL__N_139chunk_gated_delta_rule_fwd_h_hip_kernelILi16ELb0ELb0ELb1ELb1ELb0ELb0ELb1ELb1EEEvPK12hip_bfloat16S3_S3_PKfS5_PKvPS1_S8_PvPKiSB_iiiiilll
		.amdhsa_group_segment_fixed_size 40960
		.amdhsa_private_segment_fixed_size 0
		.amdhsa_kernarg_size 136
		.amdhsa_user_sgpr_count 2
		.amdhsa_user_sgpr_dispatch_ptr 0
		.amdhsa_user_sgpr_queue_ptr 0
		.amdhsa_user_sgpr_kernarg_segment_ptr 1
		.amdhsa_user_sgpr_dispatch_id 0
		.amdhsa_user_sgpr_kernarg_preload_length 0
		.amdhsa_user_sgpr_kernarg_preload_offset 0
		.amdhsa_user_sgpr_private_segment_size 0
		.amdhsa_uses_dynamic_stack 0
		.amdhsa_enable_private_segment 0
		.amdhsa_system_sgpr_workgroup_id_x 1
		.amdhsa_system_sgpr_workgroup_id_y 1
		.amdhsa_system_sgpr_workgroup_id_z 0
		.amdhsa_system_sgpr_workgroup_info 0
		.amdhsa_system_vgpr_workitem_id 0
		.amdhsa_next_free_vgpr 116
		.amdhsa_next_free_sgpr 62
		.amdhsa_accum_offset 108
		.amdhsa_reserve_vcc 1
		.amdhsa_float_round_mode_32 0
		.amdhsa_float_round_mode_16_64 0
		.amdhsa_float_denorm_mode_32 3
		.amdhsa_float_denorm_mode_16_64 3
		.amdhsa_dx10_clamp 1
		.amdhsa_ieee_mode 1
		.amdhsa_fp16_overflow 0
		.amdhsa_tg_split 0
		.amdhsa_exception_fp_ieee_invalid_op 0
		.amdhsa_exception_fp_denorm_src 0
		.amdhsa_exception_fp_ieee_div_zero 0
		.amdhsa_exception_fp_ieee_overflow 0
		.amdhsa_exception_fp_ieee_underflow 0
		.amdhsa_exception_fp_ieee_inexact 0
		.amdhsa_exception_int_div_zero 0
	.end_amdhsa_kernel
	.section	.text._ZN12_GLOBAL__N_139chunk_gated_delta_rule_fwd_h_hip_kernelILi16ELb0ELb0ELb1ELb1ELb0ELb0ELb1ELb1EEEvPK12hip_bfloat16S3_S3_PKfS5_PKvPS1_S8_PvPKiSB_iiiiilll,"axG",@progbits,_ZN12_GLOBAL__N_139chunk_gated_delta_rule_fwd_h_hip_kernelILi16ELb0ELb0ELb1ELb1ELb0ELb0ELb1ELb1EEEvPK12hip_bfloat16S3_S3_PKfS5_PKvPS1_S8_PvPKiSB_iiiiilll,comdat
.Lfunc_end615:
	.size	_ZN12_GLOBAL__N_139chunk_gated_delta_rule_fwd_h_hip_kernelILi16ELb0ELb0ELb1ELb1ELb0ELb0ELb1ELb1EEEvPK12hip_bfloat16S3_S3_PKfS5_PKvPS1_S8_PvPKiSB_iiiiilll, .Lfunc_end615-_ZN12_GLOBAL__N_139chunk_gated_delta_rule_fwd_h_hip_kernelILi16ELb0ELb0ELb1ELb1ELb0ELb0ELb1ELb1EEEvPK12hip_bfloat16S3_S3_PKfS5_PKvPS1_S8_PvPKiSB_iiiiilll
                                        ; -- End function
	.section	.AMDGPU.csdata,"",@progbits
; Kernel info:
; codeLenInByte = 7244
; NumSgprs: 68
; NumVgprs: 108
; NumAgprs: 8
; TotalNumVgprs: 116
; ScratchSize: 0
; MemoryBound: 0
; FloatMode: 240
; IeeeMode: 1
; LDSByteSize: 40960 bytes/workgroup (compile time only)
; SGPRBlocks: 8
; VGPRBlocks: 14
; NumSGPRsForWavesPerEU: 68
; NumVGPRsForWavesPerEU: 116
; AccumOffset: 108
; Occupancy: 1
; WaveLimiterHint : 1
; COMPUTE_PGM_RSRC2:SCRATCH_EN: 0
; COMPUTE_PGM_RSRC2:USER_SGPR: 2
; COMPUTE_PGM_RSRC2:TRAP_HANDLER: 0
; COMPUTE_PGM_RSRC2:TGID_X_EN: 1
; COMPUTE_PGM_RSRC2:TGID_Y_EN: 1
; COMPUTE_PGM_RSRC2:TGID_Z_EN: 0
; COMPUTE_PGM_RSRC2:TIDIG_COMP_CNT: 0
; COMPUTE_PGM_RSRC3_GFX90A:ACCUM_OFFSET: 26
; COMPUTE_PGM_RSRC3_GFX90A:TG_SPLIT: 0
	.section	.text._ZN12_GLOBAL__N_139chunk_gated_delta_rule_fwd_h_hip_kernelILi16ELb0ELb0ELb0ELb1ELb0ELb0ELb1ELb1EEEvPK12hip_bfloat16S3_S3_PKfS5_PKvPS1_S8_PvPKiSB_iiiiilll,"axG",@progbits,_ZN12_GLOBAL__N_139chunk_gated_delta_rule_fwd_h_hip_kernelILi16ELb0ELb0ELb0ELb1ELb0ELb0ELb1ELb1EEEvPK12hip_bfloat16S3_S3_PKfS5_PKvPS1_S8_PvPKiSB_iiiiilll,comdat
	.globl	_ZN12_GLOBAL__N_139chunk_gated_delta_rule_fwd_h_hip_kernelILi16ELb0ELb0ELb0ELb1ELb0ELb0ELb1ELb1EEEvPK12hip_bfloat16S3_S3_PKfS5_PKvPS1_S8_PvPKiSB_iiiiilll ; -- Begin function _ZN12_GLOBAL__N_139chunk_gated_delta_rule_fwd_h_hip_kernelILi16ELb0ELb0ELb0ELb1ELb0ELb0ELb1ELb1EEEvPK12hip_bfloat16S3_S3_PKfS5_PKvPS1_S8_PvPKiSB_iiiiilll
	.p2align	8
	.type	_ZN12_GLOBAL__N_139chunk_gated_delta_rule_fwd_h_hip_kernelILi16ELb0ELb0ELb0ELb1ELb0ELb0ELb1ELb1EEEvPK12hip_bfloat16S3_S3_PKfS5_PKvPS1_S8_PvPKiSB_iiiiilll,@function
_ZN12_GLOBAL__N_139chunk_gated_delta_rule_fwd_h_hip_kernelILi16ELb0ELb0ELb0ELb1ELb0ELb0ELb1ELb1EEEvPK12hip_bfloat16S3_S3_PKfS5_PKvPS1_S8_PvPKiSB_iiiiilll: ; @_ZN12_GLOBAL__N_139chunk_gated_delta_rule_fwd_h_hip_kernelILi16ELb0ELb0ELb0ELb1ELb0ELb0ELb1ELb1EEEvPK12hip_bfloat16S3_S3_PKfS5_PKvPS1_S8_PvPKiSB_iiiiilll
; %bb.0:
	s_load_dwordx4 s[12:15], s[0:1], 0x5c
	s_load_dwordx4 s[16:19], s[0:1], 0x70
	s_abs_i32 s21, s3
	s_ashr_i32 s20, s3, 31
	s_load_dwordx2 s[36:37], s[0:1], 0x30
	s_load_dwordx4 s[24:27], s[0:1], 0x48
	s_waitcnt lgkmcnt(0)
	s_abs_i32 s28, s13
	v_cvt_f32_u32_e32 v1, s28
	s_sub_i32 s22, 0, s28
	s_ashr_i32 s29, s13, 31
	s_xor_b32 s20, s20, s29
	v_rcp_iflag_f32_e32 v1, v1
	s_load_dwordx8 s[4:11], s[0:1], 0x0
	v_lshrrev_b32_e32 v42, 6, v0
	v_bfe_u32 v43, v0, 4, 2
	v_mul_f32_e32 v1, 0x4f7ffffe, v1
	v_cvt_u32_f32_e32 v1, v1
	v_lshlrev_b32_e32 v40, 4, v42
	v_lshlrev_b32_e32 v2, 2, v43
	v_and_b32_e32 v41, 63, v0
	v_readfirstlane_b32 s23, v1
	s_mul_i32 s22, s22, s23
	s_mul_hi_u32 s22, s23, s22
	s_add_i32 s23, s23, s22
	s_mul_hi_u32 s22, s21, s23
	s_mul_i32 s23, s22, s28
	s_sub_i32 s21, s21, s23
	s_add_i32 s30, s22, 1
	s_sub_i32 s23, s21, s28
	s_cmp_ge_u32 s21, s28
	s_cselect_b32 s22, s30, s22
	s_cselect_b32 s21, s23, s21
	s_add_i32 s23, s22, 1
	s_cmp_ge_u32 s21, s28
	s_cselect_b32 s21, s23, s22
	s_xor_b32 s21, s21, s20
	s_sub_i32 s20, s21, s20
	s_mul_i32 s21, s20, s13
	s_sub_i32 s33, s3, s21
	s_ashr_i32 s21, s20, 31
	s_lshl_b64 s[22:23], s[20:21], 2
	s_add_u32 s24, s24, s22
	s_addc_u32 s25, s25, s23
	s_add_u32 s22, s26, s22
	s_addc_u32 s23, s27, s23
	s_abs_i32 s3, s14
	v_cvt_f32_u32_e32 v1, s3
	s_load_dwordx2 s[34:35], s[24:25], 0x0
	s_sub_i32 s25, 0, s3
	s_load_dword s45, s[22:23], 0x0
	v_rcp_iflag_f32_e32 v1, v1
	v_or_b32_e32 v47, v2, v40
	s_waitcnt lgkmcnt(0)
	s_sub_i32 s43, s35, s34
	s_ashr_i32 s24, s43, 31
	v_mul_f32_e32 v1, 0x4f7ffffe, v1
	v_cvt_u32_f32_e32 v1, v1
	s_lshr_b32 s24, s24, 26
	s_add_i32 s24, s43, s24
	s_ashr_i32 s44, s24, 6
	v_readfirstlane_b32 s26, v1
	s_mul_i32 s25, s25, s26
	s_mul_hi_u32 s25, s26, s25
	s_add_i32 s26, s26, s25
	s_mul_hi_u32 s25, s28, s26
	s_mul_i32 s26, s25, s3
	s_ashr_i32 s24, s14, 31
	s_sub_i32 s26, s28, s26
	s_xor_b32 s24, s29, s24
	s_add_i32 s27, s25, 1
	s_sub_i32 s28, s26, s3
	s_cmp_ge_u32 s26, s3
	s_cselect_b32 s25, s27, s25
	s_cselect_b32 s26, s28, s26
	s_add_i32 s27, s25, 1
	s_cmp_ge_u32 s26, s3
	s_cselect_b32 s3, s27, s25
	s_xor_b32 s3, s3, s24
	s_sub_i32 s3, s3, s24
	s_abs_i32 s24, s3
	v_cvt_f32_u32_e32 v1, s24
	s_load_dwordx2 s[28:29], s[0:1], 0x80
	s_xor_b32 s0, s33, s3
	s_sub_i32 s3, 0, s24
	v_rcp_iflag_f32_e32 v1, v1
	s_abs_i32 s1, s33
	s_ashr_i32 s0, s0, 31
	v_or_b32_e32 v46, 64, v47
	v_mul_f32_e32 v1, 0x4f7ffffe, v1
	v_cvt_u32_f32_e32 v1, v1
	v_mov_b32_e32 v3, 0
	s_mul_hi_i32 s46, s33, s12
	s_mul_i32 s47, s33, s12
	v_readfirstlane_b32 s22, v1
	s_mul_i32 s3, s3, s22
	s_mul_hi_u32 s3, s22, s3
	s_add_i32 s22, s22, s3
	s_mul_hi_u32 s3, s1, s22
	s_mul_i32 s22, s3, s24
	s_sub_i32 s1, s1, s22
	s_add_i32 s22, s3, 1
	s_sub_i32 s23, s1, s24
	s_cmp_ge_u32 s1, s24
	s_cselect_b32 s3, s22, s3
	s_cselect_b32 s1, s23, s1
	s_add_i32 s22, s3, 1
	s_cmp_ge_u32 s1, s24
	s_cselect_b32 s1, s22, s3
	s_xor_b32 s1, s1, s0
	s_sub_i32 s49, s1, s0
	s_lshl_b32 s30, s2, 4
	v_and_b32_e32 v1, 15, v0
	s_cmp_lt_i32 s43, 64
	v_lshrrev_b32_e32 v45, 3, v41
	v_lshlrev_b32_e32 v44, 3, v0
	s_mul_i32 s40, s20, s17
	s_mul_hi_u32 s41, s20, s16
	s_mul_i32 s42, s21, s16
	s_mul_i32 s16, s20, s16
	v_mov_b32_e32 v63, 0
	v_mov_b32_e32 v34, 0
	;; [unrolled: 1-line block ×7, first 2 shown]
	s_cbranch_scc1 .LBB616_18
; %bb.1:
	s_ashr_i32 s51, s33, 31
	s_ashr_i32 s1, s34, 31
	s_add_u32 s0, s47, s34
	s_addc_u32 s1, s46, s1
	s_lshl_b64 s[0:1], s[0:1], 8
	v_and_b32_e32 v49, 56, v44
	s_add_u32 s0, s6, s0
	v_lshl_or_b32 v48, v42, 3, v45
	v_lshlrev_b32_e32 v3, 1, v49
	s_addc_u32 s1, s7, s1
	v_lshl_or_b32 v50, v48, 8, v3
	s_and_b32 s1, s1, 0xffff
	s_mov_b32 s3, 0x20000
	s_movk_i32 s2, 0x4000
	s_movk_i32 s17, 0x80
	v_or_b32_e32 v51, 0x2000, v50
	buffer_load_dwordx4 v[4:7], v50, s[0:3], 0 offen
	buffer_load_dwordx4 v[8:11], v50, s[0:3], s17 offen
	buffer_load_dwordx4 v[12:15], v51, s[0:3], 0 offen
	buffer_load_dwordx4 v[16:19], v51, s[0:3], s17 offen
	v_lshlrev_b32_e32 v20, 3, v48
	v_and_or_b32 v22, v0, 7, v20
	v_and_b32_e32 v20, 0x78, v20
	v_lshlrev_b32_e32 v22, 4, v22
	v_xor_b32_e32 v52, v22, v20
	v_mul_lo_u32 v21, v48, s15
	v_or_b32_e32 v53, 0x1000, v52
	s_cmpk_eq_i32 s15, 0x80
	s_mov_b32 s48, s13
	s_mov_b32 s50, s34
	v_xor_b32_e32 v20, 8, v52
	v_xor_b32_e32 v22, 8, v53
	s_cselect_b64 s[0:1], -1, 0
	s_cmpk_lg_i32 s15, 0x80
	s_waitcnt vmcnt(3)
	ds_write_b64 v52, v[4:5] offset:16384
	ds_write_b64 v20, v[6:7] offset:16384
	s_waitcnt vmcnt(2)
	ds_write_b64 v52, v[8:9] offset:24576
	ds_write_b64 v20, v[10:11] offset:24576
	;; [unrolled: 3-line block ×4, first 2 shown]
	v_lshl_add_u32 v4, v21, 1, v49
	s_cbranch_scc0 .LBB616_3
; %bb.2:
	v_lshlrev_b32_e32 v6, 1, v4
	v_add_lshl_u32 v5, v4, s15, 1
	s_lshl_b32 s22, s15, 7
	v_lshl_or_b32 v3, v48, 9, v3
	s_cbranch_execz .LBB616_4
	s_branch .LBB616_5
.LBB616_3:
                                        ; implicit-def: $vgpr5
                                        ; implicit-def: $vgpr6
                                        ; implicit-def: $sgpr22
	v_lshl_or_b32 v3, v48, 9, v3
.LBB616_4:
	v_or_b32_e32 v5, 0x100, v3
	s_movk_i32 s22, 0x4000
	v_mov_b32_e32 v6, v3
.LBB616_5:
	s_mul_i32 s2, s34, s14
	s_ashr_i32 s52, s49, 31
	s_mul_hi_i32 s3, s34, s14
	s_add_u32 s2, s2, s49
	s_addc_u32 s3, s3, s52
	s_lshl_b64 s[2:3], s[2:3], 8
	s_add_u32 s20, s4, s2
	s_addc_u32 s2, s5, s3
	s_and_b32 s21, s2, 0xffff
	s_mov_b32 s23, 0x20000
	s_movk_i32 s53, 0x80
	buffer_load_dwordx4 v[8:11], v6, s[20:23], 0 offen
	buffer_load_dwordx4 v[12:15], v6, s[20:23], s53 offen
	buffer_load_dwordx4 v[16:19], v5, s[20:23], 0 offen
	buffer_load_dwordx4 v[20:23], v5, s[20:23], s53 offen
	v_and_b32_e32 v5, 6, v0
	v_lshlrev_b32_e32 v7, 2, v1
	v_lshlrev_b32_e32 v24, 3, v1
	v_xor_b32_e32 v26, v48, v5
	v_and_b32_e32 v6, 1, v0
	v_lshl_or_b32 v24, v47, 5, v24
	v_xor_b32_e32 v27, v47, v7
	v_lshlrev_b32_e32 v26, 2, v26
	s_mul_i32 s3, s33, s19
	s_mul_hi_u32 s17, s33, s18
	v_or_b32_e32 v54, 0x9000, v24
	v_or_b32_e32 v55, 0x9800, v24
	v_lshlrev_b32_e32 v24, 1, v27
	v_xor_b32_e32 v27, 0x440, v26
	v_cmp_eq_u32_e32 vcc, 0, v6
	s_add_i32 s21, s41, s40
	s_mul_i32 s20, s51, s18
	v_cndmask_b32_e32 v6, v27, v26, vcc
	s_add_i32 s3, s17, s3
	s_add_i32 s17, s21, s42
	s_mov_b32 s54, 0x1000504
	v_lshlrev_b32_e32 v25, 8, v1
	s_mov_b32 s22, 0x8000
	v_xor_b32_e32 v7, v46, v7
	v_lshl_or_b32 v5, v5, 10, v6
	s_add_i32 s3, s3, s20
	s_lshl_b64 s[20:21], s[16:17], 2
	s_mov_b32 s55, 0x3020706
	s_mul_i32 s2, s33, s18
	v_lshlrev_b32_e32 v7, 1, v7
	v_or3_b32 v56, v24, v25, s22
	v_xor_b32_e32 v6, 8, v5
	v_xor_b32_e32 v24, 24, v5
	;; [unrolled: 1-line block ×4, first 2 shown]
	s_add_u32 s17, s10, s20
	v_or3_b32 v57, v7, v25, s22
	v_xor_b32_e32 v7, 16, v5
	v_xor_b32_e32 v25, 32, v5
	;; [unrolled: 1-line block ×3, first 2 shown]
	v_add_u32_e32 v6, 0x80, v6
	v_add_u32_e32 v24, 0x80, v24
	;; [unrolled: 1-line block ×4, first 2 shown]
	s_addc_u32 s20, s11, s21
	s_lshl_b64 s[2:3], s[2:3], 2
	s_add_u32 s2, s17, s2
	s_movk_i32 s17, 0xf8
	s_addc_u32 s3, s20, s3
	s_ashr_i32 s31, s30, 31
	s_lshl_b32 s26, s15, 7
	s_lshl_b64 s[20:21], s[30:31], 8
	s_add_u32 s20, s36, s20
	s_addc_u32 s21, s37, s21
	v_mov_b32_e32 v35, 0
	s_mov_b32 s56, 0
	v_add_u32_e32 v76, v40, v2
	v_mov_b32_e32 v77, 0x3fb8aa3b
	v_mov_b32_e32 v65, v35
	;; [unrolled: 1-line block ×7, first 2 shown]
	s_waitcnt vmcnt(1)
	v_perm_b32 v29, v8, v16, s54
	s_waitcnt vmcnt(0)
	v_perm_b32 v30, v12, v20, s54
	v_perm_b32 v8, v8, v16, s55
	;; [unrolled: 1-line block ×15, first 2 shown]
	ds_write2st64_b32 v5, v29, v30 offset1:32
	ds_write2st64_b32 v6, v8, v12 offset1:32
	ds_write2st64_b32 v7, v16, v20 offset0:1 offset1:33
	ds_write2st64_b32 v24, v9, v13 offset0:1 offset1:33
	;; [unrolled: 1-line block ×6, first 2 shown]
	v_or_b32_e32 v5, v40, v1
	v_lshlrev_b32_e32 v5, 3, v5
	v_lshrrev_b32_e32 v7, 5, v41
	v_and_or_b32 v7, v5, s17, v7
	v_lshlrev_b32_e32 v7, 4, v7
	v_lshlrev_b32_e32 v8, 11, v42
	v_and_b32_e32 v5, 0x78, v5
	v_or_b32_e32 v12, 32, v7
	v_and_b32_e32 v6, 0x1000, v8
	v_lshrrev_b32_e32 v10, 1, v0
	v_xor_b32_e32 v12, v12, v5
	v_and_b32_e32 v11, 8, v10
	v_or_b32_e32 v12, v12, v6
	v_xor_b32_e32 v9, v7, v5
	v_xor_b32_e32 v60, v12, v11
	v_or_b32_e32 v12, 64, v7
	v_or_b32_e32 v7, 0x60, v7
	;; [unrolled: 1-line block ×3, first 2 shown]
	v_xor_b32_e32 v12, v12, v5
	v_xor_b32_e32 v5, v7, v5
	;; [unrolled: 1-line block ×3, first 2 shown]
	v_and_b32_e32 v9, 0x78, v44
	v_or_b32_e32 v5, v5, v6
	v_lshl_or_b32 v9, v43, 7, v9
	v_or_b32_e32 v12, v12, v6
	v_xor_b32_e32 v64, v5, v11
	v_lshlrev_b32_e32 v5, 1, v1
	v_or_b32_e32 v59, 0x9000, v9
	v_xor_b32_e32 v61, v12, v11
	v_or_b32_e32 v66, 0x9800, v9
	v_lshlrev_b32_e32 v9, 1, v4
	v_add_lshl_u32 v11, v4, s15, 1
	v_lshrrev_b32_e32 v4, 4, v0
	v_or_b32_e32 v13, 1, v5
	v_xor_b32_e32 v5, v4, v5
	v_xor_b32_e32 v13, v13, v4
	v_lshlrev_b32_e32 v5, 3, v5
	v_lshlrev_b32_e32 v34, 8, v4
	;; [unrolled: 1-line block ×3, first 2 shown]
	v_or3_b32 v68, v5, v34, s22
	v_or3_b32 v69, v4, v34, s22
	v_lshl_add_u64 v[4:5], s[20:21], 0, v[34:35]
	v_lshlrev_b32_e32 v34, 4, v1
	s_movk_i32 s17, 0xff
	v_lshlrev_b32_e32 v15, 3, v42
	v_and_b32_e32 v10, 24, v10
	v_lshl_add_u64 v[36:37], v[4:5], 0, v[34:35]
	v_and_b32_e32 v5, 8, v0
	v_cmp_lt_u32_e32 vcc, s17, v0
	v_xor_b32_e32 v16, v15, v10
	v_or_b32_e32 v17, 0x440, v16
	v_cndmask_b32_e64 v14, 0, 1, vcc
	v_cmp_eq_u32_e32 vcc, 0, v5
	v_and_b32_e32 v4, 7, v0
	v_lshlrev_b32_e32 v13, 3, v4
	v_cndmask_b32_e32 v5, v17, v16, vcc
	v_lshlrev_b32_e32 v4, 7, v4
	v_or_b32_e32 v5, v5, v8
	v_xad_u32 v70, v5, v13, v4
	v_or_b32_e32 v5, 32, v10
	v_xor_b32_e32 v5, v15, v5
	v_or_b32_e32 v16, 0x440, v5
	v_cndmask_b32_e32 v5, v16, v5, vcc
	v_or_b32_e32 v5, v5, v8
	v_xad_u32 v71, v5, v13, v4
	v_or_b32_e32 v5, 64, v10
	v_xor_b32_e32 v5, v15, v5
	v_xor_b32_e32 v16, 0x440, v5
	v_cndmask_b32_e32 v5, v16, v5, vcc
	v_or_b32_e32 v5, v5, v8
	v_xad_u32 v72, v5, v13, v4
	v_or_b32_e32 v5, 0x60, v10
	v_xor_b32_e32 v5, v15, v5
	v_xor_b32_e32 v10, 0x440, v5
	v_or_b32_e32 v6, s30, v1
	v_cndmask_b32_e32 v5, v10, v5, vcc
	v_ashrrev_i32_e32 v7, 31, v6
	v_or_b32_e32 v5, v5, v8
	v_lshl_add_u64 v[6:7], v[6:7], 1, s[8:9]
	v_or_b32_e32 v12, 0x100, v3
	v_lshlrev_b32_e32 v14, 13, v14
	v_xad_u32 v73, v5, v13, v4
	v_lshlrev_b32_e32 v34, 8, v47
	v_cndmask_b32_e64 v74, v9, v3, s[0:1]
	v_cndmask_b32_e64 v75, v11, v12, s[0:1]
	v_lshl_add_u64 v[38:39], v[6:7], 0, v[34:35]
	s_mov_b32 s17, 0x7060302
	s_movk_i32 s22, 0x4000
	v_add_u32_e32 v78, v14, v70
	v_add_u32_e32 v79, v14, v71
	;; [unrolled: 1-line block ×4, first 2 shown]
	v_mov_b32_e32 v34, v35
	s_waitcnt lgkmcnt(0)
	s_barrier
.LBB616_6:                              ; =>This Inner Loop Header: Depth=1
	s_add_i32 s31, s56, 1
	s_cmp_lt_i32 s31, s44
	s_mov_b64 s[24:25], 0
	s_cselect_b64 s[38:39], -1, 0
	s_cmp_ge_i32 s31, s44
	s_mov_b64 s[20:21], 0
	s_cbranch_scc1 .LBB616_8
; %bb.7:                                ;   in Loop: Header=BB616_6 Depth=1
	s_add_i32 s0, s50, 64
	s_ashr_i32 s1, s0, 31
	s_add_u32 s0, s47, s0
	s_addc_u32 s1, s46, s1
	s_lshl_b64 s[0:1], s[0:1], 8
	s_add_u32 s20, s6, s0
	s_addc_u32 s21, s7, s1
.LBB616_8:                              ;   in Loop: Header=BB616_6 Depth=1
	v_cndmask_b32_e64 v2, 0, 1, s[38:39]
	v_cmp_ne_u32_e64 s[0:1], 1, v2
	s_andn2_b64 vcc, exec, s[38:39]
	s_cbranch_vccnz .LBB616_10
; %bb.9:                                ;   in Loop: Header=BB616_6 Depth=1
	s_add_i32 s24, s50, 64
	s_mul_hi_i32 s25, s24, s14
	s_mul_i32 s24, s24, s14
	s_add_u32 s24, s24, s49
	s_addc_u32 s25, s25, s52
	s_lshl_b64 s[24:25], s[24:25], 8
	s_add_u32 s24, s4, s24
	s_addc_u32 s25, s5, s25
.LBB616_10:                             ;   in Loop: Header=BB616_6 Depth=1
	v_perm_b32 v3, v83, v67, s17
	v_perm_b32 v2, v65, v35, s17
	;; [unrolled: 1-line block ×4, first 2 shown]
	ds_write_b64 v54, v[2:3]
	ds_write_b64 v55, v[4:5]
	;; [unrolled: 1-line block ×4, first 2 shown]
	s_waitcnt lgkmcnt(0)
	s_barrier
	ds_read_b64 v[10:11], v58 offset:16384
	ds_read_b64 v[12:13], v60 offset:16384
	ds_read2st64_b64 v[2:5], v59 offset1:1
	s_waitcnt lgkmcnt(0)
	v_mfma_f32_16x16x16_bf16 a[0:3], v[10:11], v[2:3], 0
	ds_read2st64_b64 v[6:9], v59 offset0:2 offset1:3
	ds_read_b64 v[14:15], v61 offset:16384
	ds_read_b64 v[2:3], v64 offset:16384
	s_add_i32 s27, s50, 63
	v_mfma_f32_16x16x16_bf16 a[0:3], v[12:13], v[4:5], a[0:3]
	s_ashr_i32 s38, s27, 31
	s_mul_i32 s39, s27, s29
	s_mul_hi_u32 s57, s27, s28
	s_waitcnt lgkmcnt(1)
	v_mfma_f32_16x16x16_bf16 a[0:3], v[14:15], v[6:7], a[0:3]
	s_add_i32 s39, s57, s39
	s_mul_i32 s38, s38, s28
	s_add_i32 s39, s39, s38
	s_mul_i32 s38, s27, s28
	s_waitcnt lgkmcnt(0)
	v_mfma_f32_16x16x16_bf16 a[0:3], v[2:3], v[8:9], a[0:3]
	s_lshl_b64 s[38:39], s[38:39], 2
	s_add_u32 s38, s2, s38
	s_addc_u32 s39, s3, s39
	s_and_b64 vcc, exec, s[0:1]
	v_mov_b32_e32 v86, 0
	v_mov_b32_e32 v85, 0
	v_mov_b32_e32 v84, 0
	v_mov_b32_e32 v2, 0
	v_mov_b32_e32 v3, 0
	v_mov_b32_e32 v4, 0
	v_mov_b32_e32 v5, 0
	v_mov_b32_e32 v6, 0
	v_mov_b32_e32 v7, 0
	v_mov_b32_e32 v8, 0
	v_mov_b32_e32 v9, 0
	v_mov_b32_e32 v10, 0
	v_mov_b32_e32 v11, 0
	v_mov_b32_e32 v12, 0
	v_mov_b32_e32 v13, 0
	v_mov_b32_e32 v14, 0
	v_mov_b32_e32 v15, 0
	v_mov_b32_e32 v16, 0
	v_mov_b32_e32 v17, 0
	s_cbranch_vccnz .LBB616_12
; %bb.11:                               ;   in Loop: Header=BB616_6 Depth=1
	s_and_b32 s21, s21, 0xffff
	buffer_load_dwordx4 v[14:17], v50, s[20:23], 0 offen
	buffer_load_dwordx4 v[10:13], v50, s[20:23], s53 offen
	;; [unrolled: 1-line block ×4, first 2 shown]
	v_mov_b32_e32 v85, v52
	v_mov_b32_e32 v84, v53
.LBB616_12:                             ;   in Loop: Header=BB616_6 Depth=1
	s_waitcnt vmcnt(3)
	v_add_u32_e32 v22, s50, v76
	s_waitcnt vmcnt(1)
	v_ashrrev_i32_e32 v18, 31, v22
	v_mul_lo_u32 v20, v18, s28
	v_mul_lo_u32 v21, v22, s29
	v_mad_u64_u32 v[18:19], s[20:21], v22, s28, 0
	v_add3_u32 v19, v19, v21, v20
	v_lshl_add_u64 v[18:19], v[18:19], 2, s[2:3]
	global_load_dword v92, v[18:19], off
	v_add_u32_e32 v18, 1, v22
	v_ashrrev_i32_e32 v19, 31, v18
	v_mul_lo_u32 v20, v19, s28
	v_mul_lo_u32 v21, v18, s29
	v_mad_u64_u32 v[18:19], s[20:21], v18, s28, 0
	v_add3_u32 v19, v19, v21, v20
	v_add_u32_e32 v20, 2, v22
	v_ashrrev_i32_e32 v21, 31, v20
	v_mul_lo_u32 v23, v21, s28
	v_mul_lo_u32 v24, v20, s29
	v_mad_u64_u32 v[20:21], s[20:21], v20, s28, 0
	v_add_u32_e32 v22, 3, v22
	v_add3_u32 v21, v21, v24, v23
	v_ashrrev_i32_e32 v23, 31, v22
	v_mul_lo_u32 v26, v23, s28
	v_mul_lo_u32 v27, v22, s29
	v_mad_u64_u32 v[22:23], s[20:21], v22, s28, 0
	s_ashr_i32 s21, s50, 31
	s_add_u32 s20, s47, s50
	s_addc_u32 s21, s46, s21
	s_lshl_b64 s[20:21], s[20:21], 8
	v_lshl_add_u64 v[18:19], v[18:19], 2, s[2:3]
	v_lshl_add_u64 v[24:25], v[38:39], 0, s[20:21]
	v_add3_u32 v23, v23, v27, v26
	v_lshl_add_u64 v[20:21], v[20:21], 2, s[2:3]
	global_load_ushort v93, v[24:25], off
	global_load_ushort v94, v[24:25], off offset:256
	global_load_ushort v95, v[24:25], off offset:512
	;; [unrolled: 1-line block ×3, first 2 shown]
	v_lshl_add_u64 v[22:23], v[22:23], 2, s[2:3]
	global_load_dword v97, v[18:19], off
	global_load_dword v98, v[20:21], off
	;; [unrolled: 1-line block ×3, first 2 shown]
	s_load_dword s20, s[38:39], 0x0
	ds_read_b64 v[26:27], v58 offset:24576
	ds_read2st64_b64 v[22:25], v66 offset1:1
	ds_read2st64_b64 v[28:31], v66 offset0:2 offset1:3
	ds_read_b64 v[32:33], v60 offset:24576
	ds_read_b64 v[88:89], v61 offset:24576
	;; [unrolled: 1-line block ×3, first 2 shown]
	s_waitcnt lgkmcnt(0)
	v_mfma_f32_16x16x16_bf16 a[0:3], v[26:27], v[22:23], a[0:3]
	v_mov_b32_e32 v87, 0
	v_mov_b32_e32 v18, 0
	v_mov_b32_e32 v19, 0
	v_mfma_f32_16x16x16_bf16 a[0:3], v[32:33], v[24:25], a[0:3]
	v_mov_b32_e32 v20, 0
	v_mov_b32_e32 v21, 0
	v_mov_b32_e32 v22, 0
	;; [unrolled: 4-line block ×4, first 2 shown]
	s_and_b64 vcc, exec, s[0:1]
	s_waitcnt vmcnt(7)
	v_sub_f32_e32 v29, s20, v92
	v_mul_f32_e32 v29, 0x3fb8aa3b, v29
	v_exp_f32_e32 v92, v29
	v_accvgpr_read_b32 v33, a1
	v_accvgpr_read_b32 v31, a3
	;; [unrolled: 1-line block ×4, first 2 shown]
	s_waitcnt vmcnt(6)
	v_lshlrev_b32_e32 v88, 16, v93
	s_waitcnt vmcnt(5)
	v_lshlrev_b32_e32 v89, 16, v94
	s_waitcnt vmcnt(4)
	v_lshlrev_b32_e32 v90, 16, v95
	s_waitcnt vmcnt(2)
	v_sub_f32_e32 v93, s20, v97
	s_waitcnt vmcnt(1)
	v_sub_f32_e32 v94, s20, v98
	;; [unrolled: 2-line block ×3, first 2 shown]
	v_mul_f32_e32 v29, 0x3fb8aa3b, v93
	v_mul_f32_e32 v94, 0x3fb8aa3b, v94
	;; [unrolled: 1-line block ×3, first 2 shown]
	v_exp_f32_e32 v93, v29
	v_exp_f32_e32 v94, v94
	;; [unrolled: 1-line block ×3, first 2 shown]
	v_lshlrev_b32_e32 v91, 16, v96
	v_pk_add_f32 v[32:33], v[88:89], v[32:33] neg_lo:[0,1] neg_hi:[0,1]
	v_pk_add_f32 v[30:31], v[90:91], v[30:31] neg_lo:[0,1] neg_hi:[0,1]
	v_pk_mul_f32 v[32:33], v[92:93], v[32:33]
	v_pk_mul_f32 v[30:31], v[94:95], v[30:31]
	v_mov_b32_e32 v29, 0
	v_perm_b32 v31, v31, v30, s17
	v_perm_b32 v30, v33, v32, s17
	ds_write_b64 v55, v[30:31]
	v_mov_b32_e32 v30, 0
	v_mov_b32_e32 v31, 0
	v_mov_b32_e32 v32, 0
	v_mov_b32_e32 v33, 0
	s_cbranch_vccnz .LBB616_14
; %bb.13:                               ;   in Loop: Header=BB616_6 Depth=1
	s_and_b32 s25, s25, 0xffff
	s_mov_b32 s27, s23
	buffer_load_dwordx4 v[30:33], v74, s[24:27], 0 offen
	buffer_load_dwordx4 v[22:25], v74, s[24:27], s53 offen
	;; [unrolled: 1-line block ×4, first 2 shown]
	v_mov_b32_e32 v86, v49
	v_mov_b32_e32 v87, v48
.LBB616_14:                             ;   in Loop: Header=BB616_6 Depth=1
	s_waitcnt lgkmcnt(0)
	s_barrier
	ds_read_b64 v[96:97], v78
	ds_read2st64_b64 v[88:91], v66 offset1:1
	ds_read2st64_b64 v[92:95], v66 offset0:2 offset1:3
	ds_read_b64 v[98:99], v79
	ds_read_b64 v[100:101], v80
	;; [unrolled: 1-line block ×3, first 2 shown]
	s_waitcnt lgkmcnt(4)
	v_mfma_f32_16x16x16_bf16 a[0:3], v[96:97], v[88:89], 0
	ds_read_b64 v[96:97], v70 offset:8192
	ds_read_b64 v[104:105], v71 offset:8192
	s_add_i32 s21, s45, s56
	s_mul_hi_i32 s25, s21, s48
	s_waitcnt lgkmcnt(1)
	v_mfma_f32_16x16x16_bf16 a[4:7], v[96:97], v[88:89], 0
	s_mul_i32 s21, s21, s48
	s_add_u32 s24, s21, s33
	s_addc_u32 s25, s25, s51
	v_mfma_f32_16x16x16_bf16 a[0:3], v[98:99], v[90:91], a[0:3]
	ds_read_b64 v[96:97], v68
	ds_read_b64 v[98:99], v69
	ds_read_b64 v[88:89], v72 offset:8192
	s_lshl_b64 s[24:25], s[24:25], 15
	v_mfma_f32_16x16x16_bf16 a[0:3], v[100:101], v[92:93], a[0:3]
	ds_read_b64 v[100:101], v73 offset:8192
	s_and_b64 vcc, exec, s[0:1]
	s_waitcnt lgkmcnt(4)
	v_mfma_f32_16x16x16_bf16 a[4:7], v[104:105], v[90:91], a[4:7]
	s_waitcnt lgkmcnt(1)
	v_mfma_f32_16x16x16_bf16 a[4:7], v[88:89], v[92:93], a[4:7]
	v_lshl_add_u64 v[88:89], v[36:37], 0, s[24:25]
	global_store_dwordx4 v[88:89], v[96:99], off
	v_mfma_f32_16x16x16_bf16 a[0:3], v[102:103], v[94:95], a[0:3]
	s_waitcnt lgkmcnt(0)
	v_mfma_f32_16x16x16_bf16 a[4:7], v[100:101], v[94:95], a[4:7]
	s_cbranch_vccnz .LBB616_16
; %bb.15:                               ;   in Loop: Header=BB616_6 Depth=1
	v_lshrrev_b32_e32 v88, 3, v86
	v_and_b32_e32 v88, 6, v88
	v_xor_b32_e32 v87, v88, v87
	v_lshlrev_b32_e32 v87, 2, v87
	v_and_b32_e32 v86, 8, v86
	v_xor_b32_e32 v89, 0x440, v87
	v_cmp_eq_u32_e32 vcc, 0, v86
	s_barrier
	s_nop 0
	v_cndmask_b32_e32 v86, v89, v87, vcc
	v_lshl_or_b32 v86, v88, 10, v86
	s_waitcnt vmcnt(2)
	v_perm_b32 v87, v30, v26, s54
	s_waitcnt vmcnt(1)
	v_perm_b32 v88, v22, v18, s54
	ds_write2st64_b32 v86, v87, v88 offset1:32
	v_xor_b32_e32 v87, 8, v86
	v_perm_b32 v26, v30, v26, s55
	v_perm_b32 v18, v22, v18, s55
	v_add_u32_e32 v22, 0x80, v87
	ds_write2st64_b32 v22, v26, v18 offset1:32
	v_xor_b32_e32 v18, 16, v86
	v_perm_b32 v22, v31, v27, s54
	v_perm_b32 v26, v23, v19, s54
	ds_write2st64_b32 v18, v22, v26 offset0:1 offset1:33
	v_xor_b32_e32 v18, 24, v86
	v_perm_b32 v22, v31, v27, s55
	v_perm_b32 v19, v23, v19, s55
	v_add_u32_e32 v18, 0x80, v18
	ds_write2st64_b32 v18, v22, v19 offset0:1 offset1:33
	v_xor_b32_e32 v18, 32, v86
	v_perm_b32 v19, v32, v28, s54
	v_perm_b32 v22, v24, v20, s54
	ds_write2st64_b32 v18, v19, v22 offset0:2 offset1:34
	v_xor_b32_e32 v18, 40, v86
	v_perm_b32 v19, v32, v28, s55
	v_perm_b32 v20, v24, v20, s55
	v_add_u32_e32 v18, 0x80, v18
	ds_write2st64_b32 v18, v19, v20 offset0:2 offset1:34
	;; [unrolled: 9-line block ×3, first 2 shown]
	ds_write_b64 v85, v[14:15] offset:16384
	v_xor_b32_e32 v14, 8, v85
	ds_write_b64 v14, v[16:17] offset:16384
	ds_write_b64 v85, v[10:11] offset:24576
	ds_write_b64 v14, v[12:13] offset:24576
	ds_write_b64 v84, v[6:7] offset:16384
	v_xor_b32_e32 v6, 8, v84
	ds_write_b64 v6, v[8:9] offset:16384
	ds_write_b64 v84, v[2:3] offset:24576
	;; [unrolled: 1-line block ×3, first 2 shown]
.LBB616_16:                             ;   in Loop: Header=BB616_6 Depth=1
	v_mul_f32_e32 v2, s20, v77
	v_exp_f32_e32 v2, v2
	s_nop 1
	v_accvgpr_read_b32 v3, a0
	v_accvgpr_read_b32 v4, a1
	s_add_i32 s50, s50, 64
	v_fma_f32 v35, v35, v2, v3
	v_accvgpr_read_b32 v3, a2
	v_fma_f32 v67, v67, v2, v3
	v_accvgpr_read_b32 v3, a4
	;; [unrolled: 2-line block ×6, first 2 shown]
	v_fmac_f32_e32 v4, v83, v2
	s_cmp_eq_u32 s44, s31
	v_fmac_f32_e32 v3, v82, v2
	s_cbranch_scc1 .LBB616_18
; %bb.17:                               ;   in Loop: Header=BB616_6 Depth=1
	s_mov_b32 s56, s31
	v_mov_b32_e32 v83, v4
	v_mov_b32_e32 v82, v3
	s_branch .LBB616_6
.LBB616_18:
	s_lshl_b32 s0, s44, 6
	s_sub_i32 s43, s43, s0
	s_cmp_gt_i32 s43, 0
	s_cbranch_scc0 .LBB616_75
; %bb.19:
	s_add_i32 s34, s0, s34
	s_ashr_i32 s2, s34, 31
	s_cmpk_lg_i32 s15, 0x80
	s_cselect_b64 s[26:27], -1, 0
	s_and_b64 vcc, exec, s[26:27]
	s_cbranch_vccz .LBB616_21
; %bb.20:
	s_mul_i32 s1, s34, s14
	s_ashr_i32 s3, s49, 31
	s_mul_hi_i32 s0, s34, s14
	s_add_u32 s38, s1, s49
	s_addc_u32 s39, s0, s3
	s_cbranch_execz .LBB616_22
	s_branch .LBB616_23
.LBB616_21:
                                        ; implicit-def: $sgpr38_sgpr39
.LBB616_22:
	s_mul_i32 s1, s49, s12
	s_mul_hi_i32 s0, s49, s12
	s_add_u32 s38, s1, s34
	s_addc_u32 s39, s0, s2
.LBB616_23:
	s_add_i32 s3, s44, s45
	s_ashr_i32 s12, s33, 31
	s_add_u32 s0, s47, s34
	s_addc_u32 s1, s46, s2
	s_mov_b32 s2, 0x7060302
	v_lshlrev_b32_e32 v6, 3, v1
	v_perm_b32 v5, v4, v67, s2
	v_perm_b32 v4, v65, v35, s2
	v_perm_b32 v3, v3, v63, s2
	v_perm_b32 v2, v34, v62, s2
	v_lshlrev_b32_e32 v34, 2, v1
	v_lshl_or_b32 v6, v47, 5, v6
	s_lshl_b64 s[24:25], s[0:1], 8
	ds_write2st64_b64 v6, v[4:5], v[2:3] offset0:72 offset1:76
	v_xor_b32_e32 v6, v47, v34
	v_lshlrev_b32_e32 v7, 8, v1
	s_add_u32 s0, s6, s24
	v_lshl_or_b32 v6, v6, 1, v7
	s_addc_u32 s1, s7, s25
	ds_write_b64 v6, v[4:5] offset:32768
	v_xor_b32_e32 v4, v46, v34
	s_mul_hi_i32 s6, s3, s13
	s_mul_i32 s3, s3, s13
	v_lshl_or_b32 v4, v4, 1, v7
	s_add_u32 s2, s3, s33
	ds_write_b64 v4, v[2:3] offset:32768
	s_addc_u32 s3, s6, s12
	v_lshlrev_b32_e32 v3, 1, v1
	v_lshrrev_b32_e32 v2, 4, v0
	s_ashr_i32 s31, s30, 31
	s_lshl_b64 s[2:3], s[2:3], 15
	v_or_b32_e32 v4, 1, v3
	s_add_u32 s6, s36, s2
	v_xor_b32_e32 v3, v2, v3
	v_xor_b32_e32 v4, v4, v2
	v_lshlrev_b32_e32 v6, 8, v2
	s_addc_u32 s7, s37, s3
	s_lshl_b64 s[2:3], s[30:31], 8
	v_lshl_or_b32 v2, v3, 3, v6
	v_lshl_or_b32 v4, v4, 3, v6
	s_waitcnt lgkmcnt(0)
	s_barrier
	s_add_u32 s2, s6, s2
	ds_read_b64 v[2:3], v2 offset:32768
	ds_read_b64 v[4:5], v4 offset:32768
	s_addc_u32 s3, s7, s3
	v_mov_b32_e32 v7, 0
	s_cmp_lg_u32 s43, 64
	v_lshl_add_u64 v[8:9], s[2:3], 0, v[6:7]
	v_lshlrev_b32_e32 v6, 4, v1
	s_cselect_b64 s[6:7], -1, 0
	v_lshl_or_b32 v35, v42, 3, v45
	s_mov_b32 s20, 0
	v_lshl_add_u64 v[6:7], v[8:9], 0, v[6:7]
	s_waitcnt vmcnt(1)
	v_or_b32_e32 v19, 32, v35
	v_and_b32_e32 v18, 56, v44
	s_and_b64 vcc, exec, s[6:7]
	s_waitcnt lgkmcnt(0)
	global_store_dwordx4 v[6:7], v[2:5], off
	s_cbranch_vccz .LBB616_29
; %bb.24:
	s_mov_b32 s21, s20
	s_mov_b32 s22, s20
	;; [unrolled: 1-line block ×3, first 2 shown]
	v_mov_b64_e32 v[6:7], s[20:21]
	v_mov_b64_e32 v[8:9], s[22:23]
	;; [unrolled: 1-line block ×3, first 2 shown]
	v_cmp_gt_i32_e32 vcc, s43, v35
	v_mov_b64_e32 v[4:5], v[8:9]
	s_and_saveexec_b64 s[2:3], vcc
	s_cbranch_execz .LBB616_26
; %bb.25:
	v_lshlrev_b32_e32 v2, 8, v35
	v_mov_b32_e32 v3, 0
	v_lshl_add_u64 v[4:5], s[0:1], 0, v[2:3]
	v_lshlrev_b32_e32 v2, 1, v18
	v_lshl_add_u64 v[10:11], v[4:5], 0, v[2:3]
	global_load_dwordx4 v[6:9], v[10:11], off
	global_load_dwordx4 v[2:5], v[10:11], off offset:128
.LBB616_26:
	s_or_b64 exec, exec, s[2:3]
	s_mov_b32 s21, s20
	s_mov_b32 s22, s20
	;; [unrolled: 1-line block ×3, first 2 shown]
	v_mov_b64_e32 v[14:15], s[20:21]
	v_mov_b64_e32 v[16:17], s[22:23]
	;; [unrolled: 1-line block ×3, first 2 shown]
	v_cmp_gt_i32_e32 vcc, s43, v19
	v_lshlrev_b32_e32 v20, 7, v19
	v_mov_b64_e32 v[12:13], v[16:17]
	s_and_saveexec_b64 s[2:3], vcc
	s_cbranch_execz .LBB616_28
; %bb.27:
	v_lshlrev_b32_e32 v10, 1, v20
	v_mov_b32_e32 v11, 0
	v_lshl_add_u64 v[12:13], s[0:1], 0, v[10:11]
	v_lshlrev_b32_e32 v10, 1, v18
	v_lshl_add_u64 v[22:23], v[12:13], 0, v[10:11]
	global_load_dwordx4 v[14:17], v[22:23], off
	global_load_dwordx4 v[10:13], v[22:23], off offset:128
.LBB616_28:
	s_or_b64 exec, exec, s[2:3]
	v_lshrrev_b32_e32 v21, 3, v18
	v_lshlrev_b32_e32 v22, 3, v35
	v_or_b32_e32 v21, v22, v21
	v_lshlrev_b32_e32 v21, 4, v21
	v_and_b32_e32 v22, 0x78, v22
	v_xor_b32_e32 v21, v21, v22
	s_branch .LBB616_31
.LBB616_29:
                                        ; implicit-def: $vgpr21
                                        ; implicit-def: $vgpr20
                                        ; implicit-def: $vgpr6_vgpr7_vgpr8_vgpr9
                                        ; implicit-def: $vgpr2_vgpr3_vgpr4_vgpr5
                                        ; implicit-def: $vgpr14_vgpr15_vgpr16_vgpr17
                                        ; implicit-def: $vgpr10_vgpr11_vgpr12_vgpr13
	s_cbranch_execz .LBB616_31
; %bb.30:
	s_waitcnt vmcnt(0)
	v_lshlrev_b32_e32 v2, 1, v18
	v_lshl_or_b32 v20, v35, 8, v2
	s_and_b32 s1, s1, 0xffff
	s_mov_b32 s3, 0x20000
	s_movk_i32 s2, 0x4000
	v_lshl_or_b32 v21, v19, 8, v2
	s_movk_i32 s13, 0x80
	buffer_load_dwordx4 v[6:9], v20, s[0:3], 0 offen
	buffer_load_dwordx4 v[2:5], v20, s[0:3], s13 offen
	;; [unrolled: 1-line block ×4, first 2 shown]
	v_lshrrev_b32_e32 v20, 3, v18
	v_lshlrev_b32_e32 v21, 3, v35
	v_or_b32_e32 v20, v21, v20
	v_lshlrev_b32_e32 v20, 4, v20
	v_and_b32_e32 v21, 0x78, v21
	v_xor_b32_e32 v21, v20, v21
	v_lshlrev_b32_e32 v20, 7, v19
.LBB616_31:
	s_lshl_b64 s[0:1], s[38:39], 8
	s_add_u32 s4, s4, s0
	s_movk_i32 s0, 0x1000
	v_and_or_b32 v19, v20, s0, v21
	s_waitcnt vmcnt(1)
	ds_write_b64 v21, v[6:7] offset:16384
	v_xor_b32_e32 v6, 8, v21
	ds_write_b64 v6, v[8:9] offset:16384
	s_waitcnt vmcnt(0)
	ds_write_b64 v21, v[2:3] offset:24576
	ds_write_b64 v6, v[4:5] offset:24576
	;; [unrolled: 1-line block ×3, first 2 shown]
	v_xor_b32_e32 v2, 8, v19
	ds_write_b64 v2, v[16:17] offset:16384
	ds_write_b64 v19, v[10:11] offset:24576
	;; [unrolled: 1-line block ×3, first 2 shown]
	v_or_b32_e32 v2, v40, v1
	v_lshlrev_b32_e32 v2, 3, v2
	v_lshrrev_b32_e32 v4, 5, v41
	s_movk_i32 s14, 0xf8
	v_and_or_b32 v4, v2, s14, v4
	v_lshlrev_b32_e32 v3, 11, v42
	v_lshlrev_b32_e32 v12, 4, v4
	v_and_b32_e32 v13, 0x78, v2
	v_and_b32_e32 v14, 0x1000, v3
	v_lshlrev_b32_e32 v3, 2, v0
	v_xor_b32_e32 v2, v12, v13
	v_lshrrev_b32_e32 v4, 1, v41
	v_and_b32_e32 v3, 60, v3
	v_or_b32_e32 v2, v2, v14
	v_and_b32_e32 v15, 8, v4
	v_xor_b32_e32 v26, v2, v15
	v_lshl_or_b32 v2, v43, 6, v3
	v_lshlrev_b32_e32 v19, 1, v2
	v_or_b32_e32 v2, 32, v12
	v_xor_b32_e32 v2, v2, v13
	s_waitcnt lgkmcnt(0)
	s_barrier
	ds_read_b64 v[10:11], v26 offset:16384
	v_or_b32_e32 v2, v2, v14
	v_xor_b32_e32 v27, v2, v15
	v_or_b32_e32 v2, 64, v12
	v_xor_b32_e32 v2, v2, v13
	v_or_b32_e32 v2, v2, v14
	v_or_b32_e32 v12, 0x60, v12
	v_xor_b32_e32 v28, v2, v15
	ds_read2st64_b64 v[2:5], v19 offset0:72 offset1:73
	ds_read2st64_b64 v[6:9], v19 offset0:74 offset1:75
	v_xor_b32_e32 v16, v12, v13
	ds_read_b64 v[12:13], v27 offset:16384
	s_addc_u32 s5, s5, s1
	s_add_i32 s0, s41, s40
	s_waitcnt lgkmcnt(2)
	v_mfma_f32_16x16x16_bf16 a[0:3], v[10:11], v[2:3], 0
	s_add_i32 s2, s35, -1
	s_add_i32 s17, s0, s42
	s_mul_i32 s0, s33, s19
	s_mul_hi_u32 s1, s33, s18
	s_add_i32 s0, s1, s0
	s_mul_i32 s1, s12, s18
	s_ashr_i32 s3, s2, 31
	s_mul_i32 s12, s2, s29
	s_mul_hi_u32 s13, s2, s28
	s_add_i32 s12, s13, s12
	s_mul_i32 s3, s3, s28
	v_or_b32_e32 v14, v16, v14
	s_add_i32 s1, s0, s1
	s_add_i32 s3, s12, s3
	s_lshl_b64 s[12:13], s[16:17], 2
	v_xor_b32_e32 v36, v14, v15
	ds_read_b64 v[14:15], v28 offset:16384
	ds_read_b64 v[16:17], v36 offset:16384
	s_waitcnt lgkmcnt(2)
	v_mfma_f32_16x16x16_bf16 a[0:3], v[12:13], v[4:5], a[0:3]
	s_mul_i32 s0, s33, s18
	s_add_u32 s10, s10, s12
	s_addc_u32 s11, s11, s13
	s_lshl_b64 s[0:1], s[0:1], 2
	s_mul_i32 s2, s2, s28
	s_add_u32 s10, s10, s0
	s_addc_u32 s11, s11, s1
	s_lshl_b64 s[0:1], s[2:3], 2
	s_waitcnt lgkmcnt(1)
	v_mfma_f32_16x16x16_bf16 a[0:3], v[14:15], v[6:7], a[0:3]
	s_add_u32 s0, s10, s0
	s_addc_u32 s1, s11, s1
	s_load_dword s12, s[0:1], 0x0
	s_waitcnt lgkmcnt(0)
	v_mfma_f32_16x16x16_bf16 a[0:3], v[16:17], v[8:9], a[0:3]
	s_and_b64 vcc, exec, s[26:27]
	s_cbranch_vccz .LBB616_42
; %bb.32:
	v_lshlrev_b32_e32 v20, 1, v35
	s_and_b64 vcc, exec, s[6:7]
	s_cbranch_vccz .LBB616_43
; %bb.33:
	v_cmp_gt_i32_e32 vcc, s43, v20
	v_mov_b32_e32 v6, 0
	v_mov_b32_e32 v2, 0
	;; [unrolled: 1-line block ×5, first 2 shown]
	s_and_saveexec_b64 s[0:1], vcc
	s_cbranch_execz .LBB616_35
; %bb.34:
	v_mad_i64_i32 v[2:3], s[2:3], s15, v20, 0
	v_lshl_add_u64 v[2:3], v[2:3], 1, s[4:5]
	v_lshlrev_b32_e32 v4, 1, v18
	v_mov_b32_e32 v5, 0
	v_lshl_add_u64 v[2:3], v[2:3], 0, v[4:5]
	global_load_dwordx4 v[2:5], v[2:3], off
.LBB616_35:
	s_or_b64 exec, exec, s[0:1]
	v_or_b32_e32 v21, 1, v20
	v_cmp_gt_i32_e64 s[0:1], s43, v21
	v_mov_b32_e32 v7, 0
	v_mov_b32_e32 v8, 0
	v_mov_b32_e32 v9, 0
	s_and_saveexec_b64 s[2:3], s[0:1]
	s_cbranch_execz .LBB616_37
; %bb.36:
	v_mad_i64_i32 v[6:7], s[16:17], s15, v21, 0
	v_lshl_add_u64 v[6:7], v[6:7], 1, s[4:5]
	v_lshlrev_b32_e32 v8, 1, v18
	v_mov_b32_e32 v9, 0
	v_lshl_add_u64 v[6:7], v[6:7], 0, v[8:9]
	global_load_dwordx4 v[6:9], v[6:7], off
.LBB616_37:
	s_or_b64 exec, exec, s[2:3]
	v_mov_b32_e32 v17, 0
	v_mov_b32_e32 v10, 0
	;; [unrolled: 1-line block ×5, first 2 shown]
	s_and_saveexec_b64 s[2:3], vcc
	s_cbranch_execz .LBB616_39
; %bb.38:
	v_mad_i64_i32 v[10:11], s[16:17], s15, v20, 0
	v_lshl_add_u64 v[10:11], v[10:11], 1, s[4:5]
	v_lshlrev_b32_e32 v12, 1, v18
	v_mov_b32_e32 v13, 0
	v_lshl_add_u64 v[10:11], v[10:11], 0, v[12:13]
	global_load_dwordx4 v[10:13], v[10:11], off offset:128
.LBB616_39:
	s_or_b64 exec, exec, s[2:3]
	v_mov_b32_e32 v16, 0
	v_mov_b32_e32 v15, 0
	;; [unrolled: 1-line block ×3, first 2 shown]
	s_and_saveexec_b64 s[2:3], s[0:1]
	s_cbranch_execz .LBB616_41
; %bb.40:
	v_mad_i64_i32 v[14:15], s[0:1], s15, v21, 0
	v_lshl_add_u64 v[14:15], v[14:15], 1, s[4:5]
	v_lshlrev_b32_e32 v16, 1, v18
	v_mov_b32_e32 v17, 0
	v_lshl_add_u64 v[14:15], v[14:15], 0, v[16:17]
	global_load_dwordx4 v[14:17], v[14:15], off offset:128
.LBB616_41:
	s_or_b64 exec, exec, s[2:3]
	s_branch .LBB616_45
.LBB616_42:
                                        ; implicit-def: $vgpr5
                                        ; implicit-def: $vgpr9
                                        ; implicit-def: $vgpr13
                                        ; implicit-def: $vgpr17
	v_lshrrev_b32_e32 v37, 2, v41
	s_branch .LBB616_46
.LBB616_43:
                                        ; implicit-def: $vgpr5
                                        ; implicit-def: $vgpr9
                                        ; implicit-def: $vgpr13
                                        ; implicit-def: $vgpr17
	s_cbranch_execz .LBB616_45
; %bb.44:
	s_waitcnt vmcnt(0)
	v_mad_u64_u32 v[2:3], s[0:1], v20, s15, v[18:19]
	v_lshlrev_b32_e32 v20, 1, v2
	s_lshl_b32 s2, s15, 7
	s_and_b32 s1, s5, 0xffff
	s_mov_b32 s3, 0x20000
	s_mov_b32 s0, s4
	v_add_lshl_u32 v21, v2, s15, 1
	s_movk_i32 s13, 0x80
	buffer_load_dwordx4 v[2:5], v20, s[0:3], 0 offen
	buffer_load_dwordx4 v[10:13], v20, s[0:3], s13 offen
	;; [unrolled: 1-line block ×4, first 2 shown]
.LBB616_45:
	v_lshrrev_b32_e32 v37, 2, v41
	s_cbranch_execnz .LBB616_58
.LBB616_46:
	s_and_b64 vcc, exec, s[6:7]
	s_cbranch_vccz .LBB616_56
; %bb.47:
	s_waitcnt vmcnt(0)
	v_lshlrev_b32_e32 v7, 1, v35
	v_cmp_gt_i32_e32 vcc, s43, v7
	v_mov_b32_e32 v6, 0
	v_lshlrev_b32_e32 v14, 9, v35
	v_mov_b32_e32 v2, 0
	v_mov_b32_e32 v3, 0
	;; [unrolled: 1-line block ×4, first 2 shown]
	s_and_saveexec_b64 s[0:1], vcc
	s_cbranch_execz .LBB616_49
; %bb.48:
	v_mov_b32_e32 v15, 0
	v_lshl_add_u64 v[2:3], s[4:5], 0, v[14:15]
	v_lshlrev_b32_e32 v4, 1, v18
	v_mov_b32_e32 v5, v15
	v_lshl_add_u64 v[2:3], v[2:3], 0, v[4:5]
	global_load_dwordx4 v[2:5], v[2:3], off
.LBB616_49:
	s_or_b64 exec, exec, s[0:1]
	v_or_b32_e32 v7, 1, v7
	v_cmp_gt_i32_e64 s[0:1], s43, v7
	v_lshlrev_b32_e32 v20, 8, v7
	v_mov_b32_e32 v7, 0
	v_mov_b32_e32 v8, 0
	;; [unrolled: 1-line block ×3, first 2 shown]
	s_and_saveexec_b64 s[2:3], s[0:1]
	s_cbranch_execz .LBB616_51
; %bb.50:
	v_mov_b32_e32 v21, 0
	v_lshl_add_u64 v[6:7], s[4:5], 0, v[20:21]
	v_lshlrev_b32_e32 v8, 1, v18
	v_mov_b32_e32 v9, v21
	v_lshl_add_u64 v[6:7], v[6:7], 0, v[8:9]
	global_load_dwordx4 v[6:9], v[6:7], off
.LBB616_51:
	s_or_b64 exec, exec, s[2:3]
	v_mov_b32_e32 v17, 0
	v_mov_b32_e32 v10, 0
	;; [unrolled: 1-line block ×5, first 2 shown]
	s_and_saveexec_b64 s[2:3], vcc
	s_cbranch_execz .LBB616_53
; %bb.52:
	v_mov_b32_e32 v15, 0
	v_lshl_add_u64 v[10:11], s[4:5], 0, v[14:15]
	v_lshlrev_b32_e32 v14, 1, v18
	v_lshl_add_u64 v[10:11], v[10:11], 0, v[14:15]
	global_load_dwordx4 v[10:13], v[10:11], off offset:128
.LBB616_53:
	s_or_b64 exec, exec, s[2:3]
	v_mov_b32_e32 v16, 0
	v_mov_b32_e32 v15, 0
	;; [unrolled: 1-line block ×3, first 2 shown]
	s_and_saveexec_b64 s[2:3], s[0:1]
	s_cbranch_execz .LBB616_55
; %bb.54:
	v_mov_b32_e32 v21, 0
	v_lshl_add_u64 v[14:15], s[4:5], 0, v[20:21]
	v_lshlrev_b32_e32 v20, 1, v18
	v_lshl_add_u64 v[14:15], v[14:15], 0, v[20:21]
	global_load_dwordx4 v[14:17], v[14:15], off offset:128
.LBB616_55:
	s_or_b64 exec, exec, s[2:3]
	s_branch .LBB616_58
.LBB616_56:
                                        ; implicit-def: $vgpr5
                                        ; implicit-def: $vgpr9
                                        ; implicit-def: $vgpr13
                                        ; implicit-def: $vgpr17
	s_cbranch_execz .LBB616_58
; %bb.57:
	s_waitcnt vmcnt(0)
	v_lshlrev_b32_e32 v2, 1, v18
	v_lshl_or_b32 v18, v35, 9, v2
	s_and_b32 s5, s5, 0xffff
	s_mov_b32 s7, 0x20000
	s_movk_i32 s6, 0x4000
	s_movk_i32 s0, 0x80
	buffer_load_dwordx4 v[2:5], v18, s[4:7], 0 offen
	buffer_load_dwordx4 v[6:9], v18, s[4:7], 0 offen offset:256
	buffer_load_dwordx4 v[10:13], v18, s[4:7], s0 offen
	buffer_load_dwordx4 v[14:17], v18, s[4:7], s0 offen offset:256
.LBB616_58:
	ds_read2st64_b64 v[22:25], v19 offset0:76 offset1:77
	ds_read2st64_b64 v[18:21], v19 offset0:78 offset1:79
	ds_read_b64 v[30:31], v26 offset:24576
	ds_read_b64 v[32:33], v27 offset:24576
	;; [unrolled: 1-line block ×4, first 2 shown]
	v_and_b32_e32 v36, 6, v0
	v_xor_b32_e32 v35, v35, v36
	v_lshlrev_b32_e32 v35, 2, v35
	v_and_b32_e32 v0, 1, v0
	v_xor_b32_e32 v38, 0x440, v35
	v_cmp_eq_u32_e32 vcc, 0, v0
	s_mov_b32 s0, 0x1000504
	s_mov_b32 s1, 0x3020706
	v_cndmask_b32_e32 v0, v38, v35, vcc
	v_lshl_or_b32 v0, v36, 10, v0
	s_waitcnt vmcnt(0)
	v_perm_b32 v35, v2, v6, s0
	v_perm_b32 v36, v10, v14, s0
	ds_write2st64_b32 v0, v35, v36 offset1:32
	v_xor_b32_e32 v35, 8, v0
	v_perm_b32 v2, v2, v6, s1
	v_perm_b32 v6, v10, v14, s1
	v_add_u32_e32 v10, 0x80, v35
	ds_write2st64_b32 v10, v2, v6 offset1:32
	v_xor_b32_e32 v2, 16, v0
	v_perm_b32 v6, v3, v7, s0
	v_perm_b32 v10, v11, v15, s0
	ds_write2st64_b32 v2, v6, v10 offset0:1 offset1:33
	v_xor_b32_e32 v2, 24, v0
	v_perm_b32 v3, v3, v7, s1
	v_perm_b32 v6, v11, v15, s1
	v_add_u32_e32 v2, 0x80, v2
	ds_write2st64_b32 v2, v3, v6 offset0:1 offset1:33
	v_xor_b32_e32 v2, 32, v0
	v_perm_b32 v3, v4, v8, s0
	v_perm_b32 v6, v12, v16, s0
	ds_write2st64_b32 v2, v3, v6 offset0:2 offset1:34
	v_xor_b32_e32 v2, 40, v0
	v_perm_b32 v3, v4, v8, s1
	v_perm_b32 v4, v12, v16, s1
	v_add_u32_e32 v2, 0x80, v2
	ds_write2st64_b32 v2, v3, v4 offset0:2 offset1:34
	v_xor_b32_e32 v2, 48, v0
	v_perm_b32 v3, v5, v9, s0
	v_perm_b32 v4, v13, v17, s0
	v_xor_b32_e32 v0, 56, v0
	v_and_or_b32 v6, v37, 12, v40
	ds_write2st64_b32 v2, v3, v4 offset0:3 offset1:35
	v_perm_b32 v2, v5, v9, s1
	v_perm_b32 v3, v13, v17, s1
	v_add_u32_e32 v0, 0x80, v0
	v_cmp_gt_i32_e32 vcc, s43, v6
	v_mov_b32_e32 v7, 0
	v_mov_b32_e32 v11, 0
	ds_write2st64_b32 v0, v2, v3 offset0:3 offset1:35
	s_and_saveexec_b64 s[0:1], vcc
	s_cbranch_execz .LBB616_60
; %bb.59:
	v_add_u32_e32 v0, s34, v6
	v_ashrrev_i32_e32 v2, 31, v0
	v_mul_lo_u32 v4, v2, s28
	v_mul_lo_u32 v5, v0, s29
	v_mad_u64_u32 v[2:3], s[2:3], v0, s28, 0
	v_add3_u32 v3, v3, v5, v4
	v_lshl_add_u64 v[2:3], v[2:3], 2, s[10:11]
	global_load_dword v0, v[2:3], off
	s_waitcnt vmcnt(0)
	v_sub_f32_e32 v0, s12, v0
	v_mul_f32_e32 v0, 0x3fb8aa3b, v0
	v_exp_f32_e32 v11, v0
.LBB616_60:
	s_or_b64 exec, exec, s[0:1]
	v_or_b32_e32 v9, 1, v6
	v_cmp_gt_i32_e64 s[0:1], s43, v9
	s_and_saveexec_b64 s[2:3], s[0:1]
	s_cbranch_execz .LBB616_62
; %bb.61:
	v_add_u32_e32 v0, s34, v9
	v_ashrrev_i32_e32 v2, 31, v0
	v_mul_lo_u32 v4, v2, s28
	v_mul_lo_u32 v5, v0, s29
	v_mad_u64_u32 v[2:3], s[4:5], v0, s28, 0
	v_add3_u32 v3, v3, v5, v4
	v_lshl_add_u64 v[2:3], v[2:3], 2, s[10:11]
	global_load_dword v0, v[2:3], off
	s_waitcnt vmcnt(0)
	v_sub_f32_e32 v0, s12, v0
	v_mul_f32_e32 v0, 0x3fb8aa3b, v0
	v_exp_f32_e32 v7, v0
.LBB616_62:
	s_or_b64 exec, exec, s[2:3]
	v_or_b32_e32 v10, 2, v6
	v_cmp_gt_i32_e64 s[2:3], s43, v10
	v_mov_b32_e32 v8, 0
	v_mov_b32_e32 v13, 0
	s_and_saveexec_b64 s[4:5], s[2:3]
	s_cbranch_execz .LBB616_64
; %bb.63:
	v_add_u32_e32 v0, s34, v10
	v_ashrrev_i32_e32 v2, 31, v0
	v_mul_lo_u32 v4, v2, s28
	v_mul_lo_u32 v5, v0, s29
	v_mad_u64_u32 v[2:3], s[6:7], v0, s28, 0
	v_add3_u32 v3, v3, v5, v4
	v_lshl_add_u64 v[2:3], v[2:3], 2, s[10:11]
	global_load_dword v0, v[2:3], off
	s_waitcnt vmcnt(0)
	v_sub_f32_e32 v0, s12, v0
	v_mul_f32_e32 v0, 0x3fb8aa3b, v0
	v_exp_f32_e32 v13, v0
.LBB616_64:
	s_or_b64 exec, exec, s[4:5]
	v_or_b32_e32 v12, 3, v6
	v_cmp_gt_i32_e64 s[4:5], s43, v12
	s_and_saveexec_b64 s[6:7], s[4:5]
	s_cbranch_execz .LBB616_66
; %bb.65:
	v_add_u32_e32 v0, s34, v12
	v_ashrrev_i32_e32 v2, 31, v0
	v_mul_lo_u32 v4, v2, s28
	v_mul_lo_u32 v5, v0, s29
	v_mad_u64_u32 v[2:3], s[14:15], v0, s28, 0
	v_add3_u32 v3, v3, v5, v4
	v_lshl_add_u64 v[2:3], v[2:3], 2, s[10:11]
	global_load_dword v0, v[2:3], off
	s_waitcnt vmcnt(0)
	v_sub_f32_e32 v0, s12, v0
	v_mul_f32_e32 v0, 0x3fb8aa3b, v0
	v_exp_f32_e32 v8, v0
.LBB616_66:
	s_or_b64 exec, exec, s[6:7]
	s_waitcnt lgkmcnt(11)
	v_mfma_f32_16x16x16_bf16 a[0:3], v[30:31], v[22:23], a[0:3]
	v_or_b32_e32 v0, s30, v1
	s_add_u32 s6, s8, s24
	s_addc_u32 s7, s9, s25
	s_waitcnt lgkmcnt(10)
	v_mfma_f32_16x16x16_bf16 a[0:3], v[32:33], v[24:25], a[0:3]
	v_ashrrev_i32_e32 v1, 31, v0
	v_lshl_add_u64 v[4:5], v[0:1], 1, s[6:7]
	v_mov_b32_e32 v14, 0
	s_waitcnt lgkmcnt(9)
	v_mfma_f32_16x16x16_bf16 a[0:3], v[28:29], v[18:19], a[0:3]
	v_mov_b32_e32 v15, 0
	s_waitcnt lgkmcnt(8)
	v_mfma_f32_16x16x16_bf16 a[0:3], v[26:27], v[20:21], a[0:3]
	s_nop 6
	v_accvgpr_read_b32 v0, a0
	v_accvgpr_read_b32 v1, a1
	;; [unrolled: 1-line block ×4, first 2 shown]
	s_and_saveexec_b64 s[6:7], vcc
	s_cbranch_execz .LBB616_68
; %bb.67:
	v_lshlrev_b32_e32 v16, 8, v6
	v_mov_b32_e32 v17, 0
	v_lshl_add_u64 v[16:17], v[4:5], 0, v[16:17]
	global_load_ushort v15, v[16:17], off
	s_waitcnt vmcnt(0)
	v_lshlrev_b32_e32 v15, 16, v15
	v_sub_f32_e32 v0, v15, v0
	v_mul_f32_e32 v0, v11, v0
	v_lshrrev_b32_e32 v15, 16, v0
.LBB616_68:
	s_or_b64 exec, exec, s[6:7]
	s_and_saveexec_b64 s[6:7], s[0:1]
	s_cbranch_execz .LBB616_70
; %bb.69:
	v_lshlrev_b32_e32 v16, 8, v9
	v_mov_b32_e32 v17, 0
	v_lshl_add_u64 v[16:17], v[4:5], 0, v[16:17]
	global_load_ushort v0, v[16:17], off
	s_waitcnt vmcnt(0)
	v_lshlrev_b32_e32 v0, 16, v0
	v_sub_f32_e32 v0, v0, v1
	v_mul_f32_e32 v0, v7, v0
	v_lshrrev_b32_e32 v14, 16, v0
.LBB616_70:
	s_or_b64 exec, exec, s[6:7]
	v_mov_b32_e32 v0, 0
	v_mov_b32_e32 v1, 0
	s_and_saveexec_b64 s[0:1], s[2:3]
	s_cbranch_execz .LBB616_72
; %bb.71:
	v_lshlrev_b32_e32 v10, 8, v10
	v_mov_b32_e32 v11, 0
	v_lshl_add_u64 v[10:11], v[4:5], 0, v[10:11]
	global_load_ushort v1, v[10:11], off
	s_waitcnt vmcnt(0)
	v_lshlrev_b32_e32 v1, 16, v1
	v_sub_f32_e32 v1, v1, v2
	v_mul_f32_e32 v1, v13, v1
	v_lshrrev_b32_e32 v1, 16, v1
.LBB616_72:
	s_or_b64 exec, exec, s[0:1]
	s_and_saveexec_b64 s[0:1], s[4:5]
	s_cbranch_execz .LBB616_74
; %bb.73:
	v_lshlrev_b32_e32 v10, 8, v12
	v_mov_b32_e32 v11, 0
	v_lshl_add_u64 v[4:5], v[4:5], 0, v[10:11]
	global_load_ushort v0, v[4:5], off
	s_waitcnt vmcnt(0)
	v_lshlrev_b32_e32 v0, 16, v0
	v_sub_f32_e32 v0, v0, v3
	v_mul_f32_e32 v0, v8, v0
	v_lshrrev_b32_e32 v0, 16, v0
.LBB616_74:
	s_or_b64 exec, exec, s[0:1]
	s_mov_b32 s0, 0x5040100
	v_lshlrev_b32_e32 v2, 1, v34
	v_perm_b32 v1, v0, v1, s0
	v_perm_b32 v0, v14, v15, s0
	v_lshl_or_b32 v2, v6, 5, v2
	ds_write_b64 v2, v[0:1] offset:38912
	s_waitcnt lgkmcnt(0)
	s_barrier
.LBB616_75:
	s_endpgm
	.section	.rodata,"a",@progbits
	.p2align	6, 0x0
	.amdhsa_kernel _ZN12_GLOBAL__N_139chunk_gated_delta_rule_fwd_h_hip_kernelILi16ELb0ELb0ELb0ELb1ELb0ELb0ELb1ELb1EEEvPK12hip_bfloat16S3_S3_PKfS5_PKvPS1_S8_PvPKiSB_iiiiilll
		.amdhsa_group_segment_fixed_size 40960
		.amdhsa_private_segment_fixed_size 0
		.amdhsa_kernarg_size 136
		.amdhsa_user_sgpr_count 2
		.amdhsa_user_sgpr_dispatch_ptr 0
		.amdhsa_user_sgpr_queue_ptr 0
		.amdhsa_user_sgpr_kernarg_segment_ptr 1
		.amdhsa_user_sgpr_dispatch_id 0
		.amdhsa_user_sgpr_kernarg_preload_length 0
		.amdhsa_user_sgpr_kernarg_preload_offset 0
		.amdhsa_user_sgpr_private_segment_size 0
		.amdhsa_uses_dynamic_stack 0
		.amdhsa_enable_private_segment 0
		.amdhsa_system_sgpr_workgroup_id_x 1
		.amdhsa_system_sgpr_workgroup_id_y 1
		.amdhsa_system_sgpr_workgroup_id_z 0
		.amdhsa_system_sgpr_workgroup_info 0
		.amdhsa_system_vgpr_workitem_id 0
		.amdhsa_next_free_vgpr 116
		.amdhsa_next_free_sgpr 58
		.amdhsa_accum_offset 108
		.amdhsa_reserve_vcc 1
		.amdhsa_float_round_mode_32 0
		.amdhsa_float_round_mode_16_64 0
		.amdhsa_float_denorm_mode_32 3
		.amdhsa_float_denorm_mode_16_64 3
		.amdhsa_dx10_clamp 1
		.amdhsa_ieee_mode 1
		.amdhsa_fp16_overflow 0
		.amdhsa_tg_split 0
		.amdhsa_exception_fp_ieee_invalid_op 0
		.amdhsa_exception_fp_denorm_src 0
		.amdhsa_exception_fp_ieee_div_zero 0
		.amdhsa_exception_fp_ieee_overflow 0
		.amdhsa_exception_fp_ieee_underflow 0
		.amdhsa_exception_fp_ieee_inexact 0
		.amdhsa_exception_int_div_zero 0
	.end_amdhsa_kernel
	.section	.text._ZN12_GLOBAL__N_139chunk_gated_delta_rule_fwd_h_hip_kernelILi16ELb0ELb0ELb0ELb1ELb0ELb0ELb1ELb1EEEvPK12hip_bfloat16S3_S3_PKfS5_PKvPS1_S8_PvPKiSB_iiiiilll,"axG",@progbits,_ZN12_GLOBAL__N_139chunk_gated_delta_rule_fwd_h_hip_kernelILi16ELb0ELb0ELb0ELb1ELb0ELb0ELb1ELb1EEEvPK12hip_bfloat16S3_S3_PKfS5_PKvPS1_S8_PvPKiSB_iiiiilll,comdat
.Lfunc_end616:
	.size	_ZN12_GLOBAL__N_139chunk_gated_delta_rule_fwd_h_hip_kernelILi16ELb0ELb0ELb0ELb1ELb0ELb0ELb1ELb1EEEvPK12hip_bfloat16S3_S3_PKfS5_PKvPS1_S8_PvPKiSB_iiiiilll, .Lfunc_end616-_ZN12_GLOBAL__N_139chunk_gated_delta_rule_fwd_h_hip_kernelILi16ELb0ELb0ELb0ELb1ELb0ELb0ELb1ELb1EEEvPK12hip_bfloat16S3_S3_PKfS5_PKvPS1_S8_PvPKiSB_iiiiilll
                                        ; -- End function
	.section	.AMDGPU.csdata,"",@progbits
; Kernel info:
; codeLenInByte = 7080
; NumSgprs: 64
; NumVgprs: 106
; NumAgprs: 8
; TotalNumVgprs: 116
; ScratchSize: 0
; MemoryBound: 0
; FloatMode: 240
; IeeeMode: 1
; LDSByteSize: 40960 bytes/workgroup (compile time only)
; SGPRBlocks: 7
; VGPRBlocks: 14
; NumSGPRsForWavesPerEU: 64
; NumVGPRsForWavesPerEU: 116
; AccumOffset: 108
; Occupancy: 1
; WaveLimiterHint : 1
; COMPUTE_PGM_RSRC2:SCRATCH_EN: 0
; COMPUTE_PGM_RSRC2:USER_SGPR: 2
; COMPUTE_PGM_RSRC2:TRAP_HANDLER: 0
; COMPUTE_PGM_RSRC2:TGID_X_EN: 1
; COMPUTE_PGM_RSRC2:TGID_Y_EN: 1
; COMPUTE_PGM_RSRC2:TGID_Z_EN: 0
; COMPUTE_PGM_RSRC2:TIDIG_COMP_CNT: 0
; COMPUTE_PGM_RSRC3_GFX90A:ACCUM_OFFSET: 26
; COMPUTE_PGM_RSRC3_GFX90A:TG_SPLIT: 0
	.section	.text._ZN12_GLOBAL__N_139chunk_gated_delta_rule_fwd_h_hip_kernelILi16ELb1ELb1ELb1ELb0ELb0ELb0ELb1ELb1EEEvPK12hip_bfloat16S3_S3_PKfS5_PKvPS1_S8_PvPKiSB_iiiiilll,"axG",@progbits,_ZN12_GLOBAL__N_139chunk_gated_delta_rule_fwd_h_hip_kernelILi16ELb1ELb1ELb1ELb0ELb0ELb0ELb1ELb1EEEvPK12hip_bfloat16S3_S3_PKfS5_PKvPS1_S8_PvPKiSB_iiiiilll,comdat
	.globl	_ZN12_GLOBAL__N_139chunk_gated_delta_rule_fwd_h_hip_kernelILi16ELb1ELb1ELb1ELb0ELb0ELb0ELb1ELb1EEEvPK12hip_bfloat16S3_S3_PKfS5_PKvPS1_S8_PvPKiSB_iiiiilll ; -- Begin function _ZN12_GLOBAL__N_139chunk_gated_delta_rule_fwd_h_hip_kernelILi16ELb1ELb1ELb1ELb0ELb0ELb0ELb1ELb1EEEvPK12hip_bfloat16S3_S3_PKfS5_PKvPS1_S8_PvPKiSB_iiiiilll
	.p2align	8
	.type	_ZN12_GLOBAL__N_139chunk_gated_delta_rule_fwd_h_hip_kernelILi16ELb1ELb1ELb1ELb0ELb0ELb0ELb1ELb1EEEvPK12hip_bfloat16S3_S3_PKfS5_PKvPS1_S8_PvPKiSB_iiiiilll,@function
_ZN12_GLOBAL__N_139chunk_gated_delta_rule_fwd_h_hip_kernelILi16ELb1ELb1ELb1ELb0ELb0ELb0ELb1ELb1EEEvPK12hip_bfloat16S3_S3_PKfS5_PKvPS1_S8_PvPKiSB_iiiiilll: ; @_ZN12_GLOBAL__N_139chunk_gated_delta_rule_fwd_h_hip_kernelILi16ELb1ELb1ELb1ELb0ELb0ELb0ELb1ELb1EEEvPK12hip_bfloat16S3_S3_PKfS5_PKvPS1_S8_PvPKiSB_iiiiilll
; %bb.0:
	s_load_dwordx4 s[20:23], s[0:1], 0x5c
	s_load_dwordx4 s[24:27], s[0:1], 0x70
	s_abs_i32 s6, s3
	s_ashr_i32 s5, s3, 31
	v_and_b32_e32 v56, 15, v0
	s_waitcnt lgkmcnt(0)
	s_abs_i32 s4, s21
	v_cvt_f32_u32_e32 v1, s4
	s_sub_i32 s8, 0, s4
	s_ashr_i32 s7, s21, 31
	s_xor_b32 s5, s5, s7
	v_rcp_iflag_f32_e32 v1, v1
	v_bfe_u32 v55, v0, 4, 2
	v_mov_b32_e32 v45, 0
	v_lshlrev_b32_e32 v57, 3, v0
	v_mul_f32_e32 v1, 0x4f7ffffe, v1
	v_cvt_u32_f32_e32 v1, v1
	s_nop 0
	v_readfirstlane_b32 s9, v1
	s_mul_i32 s8, s8, s9
	s_mul_hi_u32 s8, s9, s8
	s_add_i32 s9, s9, s8
	s_mul_hi_u32 s8, s6, s9
	s_mul_i32 s9, s8, s4
	s_sub_i32 s6, s6, s9
	s_add_i32 s10, s8, 1
	s_sub_i32 s9, s6, s4
	s_cmp_ge_u32 s6, s4
	s_cselect_b32 s8, s10, s8
	s_cselect_b32 s6, s9, s6
	s_add_i32 s9, s8, 1
	s_cmp_ge_u32 s6, s4
	s_cselect_b32 s6, s9, s8
	s_xor_b32 s6, s6, s5
	s_add_i32 s8, s20, 63
	s_sub_i32 s55, s6, s5
	s_ashr_i32 s9, s8, 31
	s_mul_i32 s12, s55, s21
	s_sub_i32 s53, s3, s12
	s_lshr_b32 s3, s9, 26
	s_add_i32 s8, s8, s3
	s_abs_i32 s3, s22
	v_cvt_f32_u32_e32 v1, s3
	s_ashr_i32 s54, s20, 31
	s_lshr_b32 s5, s54, 26
	s_add_i32 s5, s20, s5
	v_rcp_iflag_f32_e32 v1, v1
	s_ashr_i32 s58, s22, 31
	s_ashr_i32 s56, s5, 6
	s_xor_b32 s5, s7, s58
	v_mul_f32_e32 v1, 0x4f7ffffe, v1
	v_cvt_u32_f32_e32 v1, v1
	s_sub_i32 s6, 0, s3
	s_ashr_i32 s28, s8, 6
	s_lshl_b32 s2, s2, 4
	v_readfirstlane_b32 s7, v1
	s_mul_i32 s6, s6, s7
	s_mul_hi_u32 s6, s7, s6
	s_add_i32 s7, s7, s6
	s_mul_hi_u32 s6, s4, s7
	s_mul_i32 s7, s6, s3
	s_sub_i32 s4, s4, s7
	s_add_i32 s7, s6, 1
	s_sub_i32 s8, s4, s3
	s_cmp_ge_u32 s4, s3
	s_cselect_b32 s6, s7, s6
	s_cselect_b32 s4, s8, s4
	s_add_i32 s7, s6, 1
	s_cmp_ge_u32 s4, s3
	s_cselect_b32 s3, s7, s6
	s_xor_b32 s3, s3, s5
	s_sub_i32 s3, s3, s5
	s_abs_i32 s13, s3
	v_cvt_f32_u32_e32 v1, s13
	s_sub_i32 s15, 0, s13
	s_abs_i32 s14, s53
	s_xor_b32 s3, s53, s3
	v_rcp_iflag_f32_e32 v2, v1
	s_ashr_i32 s3, s3, 31
	s_load_dwordx8 s[4:11], s[0:1], 0x28
	v_lshrrev_b32_e32 v1, 6, v0
	v_mul_f32_e32 v2, 0x4f7ffffe, v2
	v_cvt_u32_f32_e32 v2, v2
	v_or_b32_e32 v46, s2, v56
	v_lshlrev_b32_e32 v54, 4, v1
	v_lshlrev_b32_e32 v42, 7, v46
	v_readfirstlane_b32 s16, v2
	s_mul_i32 s15, s15, s16
	s_mul_hi_u32 s15, s16, s15
	s_add_i32 s16, s16, s15
	s_mul_hi_u32 s15, s14, s16
	s_mul_i32 s16, s15, s13
	s_sub_i32 s14, s14, s16
	s_add_i32 s16, s15, 1
	s_sub_i32 s17, s14, s13
	s_cmp_ge_u32 s14, s13
	s_cselect_b32 s15, s16, s15
	s_cselect_b32 s14, s17, s14
	s_add_i32 s16, s15, 1
	s_cmp_ge_u32 s14, s13
	s_cselect_b32 s13, s16, s15
	s_xor_b32 s13, s13, s3
	s_sub_i32 s59, s13, s3
	s_ashr_i32 s3, s55, 31
	s_ashr_i32 s57, s53, 31
	s_mul_hi_i32 s13, s55, s21
	s_add_u32 s42, s12, s53
	s_addc_u32 s43, s13, s57
	s_lshl_b64 s[34:35], s[42:43], 15
	s_waitcnt lgkmcnt(0)
	s_add_u32 s4, s4, s34
	v_lshl_or_b32 v59, v55, 2, v54
	s_addc_u32 s5, s5, s35
	v_ashrrev_i32_e32 v43, 31, v42
	v_lshl_add_u64 v[2:3], v[42:43], 1, s[4:5]
	v_lshlrev_b32_e32 v44, 1, v59
	v_lshl_add_u64 v[2:3], v[2:3], 0, v[44:45]
	global_load_dwordx2 v[4:5], v[2:3], off
	global_load_dwordx2 v[8:9], v[2:3], off offset:128
	s_load_dwordx8 s[12:19], s[0:1], 0x0
	s_load_dwordx2 s[36:37], s[0:1], 0x80
	v_and_b32_e32 v45, 63, v0
	v_lshrrev_b32_e32 v58, 3, v45
	v_or_b32_e32 v60, 64, v59
	s_mul_i32 s33, s55, s25
	s_mul_hi_u32 s48, s55, s24
	s_mul_i32 s40, s55, s24
	s_mul_i32 s60, s55, s28
	;; [unrolled: 1-line block ×3, first 2 shown]
	s_mul_hi_u32 s50, s53, s26
	s_mul_i32 s52, s3, s24
	s_mul_i32 s51, s57, s26
	s_mul_hi_u32 s61, s42, s20
	s_mul_i32 s4, s42, s20
	s_mul_i32 s43, s43, s20
	s_cmp_lt_i32 s20, 64
	s_mul_i32 s38, s53, s26
	s_waitcnt vmcnt(1)
	v_and_b32_e32 v3, 0xffff0000, v4
	v_lshlrev_b32_e32 v2, 16, v4
	v_and_b32_e32 v61, 0xffff0000, v5
	v_lshlrev_b32_e32 v4, 16, v5
	s_waitcnt vmcnt(0)
	v_and_b32_e32 v7, 0xffff0000, v8
	v_lshlrev_b32_e32 v6, 16, v8
	v_and_b32_e32 v62, 0xffff0000, v9
	v_lshlrev_b32_e32 v8, 16, v9
	s_cbranch_scc1 .LBB617_3
; %bb.1:
	s_add_i32 s5, s61, s43
	s_lshl_b64 s[0:1], s[4:5], 8
	v_and_b32_e32 v64, 56, v57
	s_waitcnt lgkmcnt(0)
	s_add_u32 s24, s14, s0
	v_lshl_or_b32 v63, v1, 3, v58
	v_lshlrev_b32_e32 v5, 1, v64
	s_addc_u32 s0, s15, s1
	v_lshl_or_b32 v65, v63, 8, v5
	s_and_b32 s25, s0, 0xffff
	s_mov_b32 s27, 0x20000
	s_movk_i32 s26, 0x4000
	s_movk_i32 s0, 0x80
	v_or_b32_e32 v66, 0x2000, v65
	buffer_load_dwordx4 v[10:13], v65, s[24:27], 0 offen
	buffer_load_dwordx4 v[14:17], v65, s[24:27], s0 offen
	;; [unrolled: 1-line block ×4, first 2 shown]
	v_lshlrev_b32_e32 v9, 3, v63
	v_and_or_b32 v27, v0, 7, v9
	v_and_b32_e32 v9, 0x78, v9
	v_lshlrev_b32_e32 v27, 4, v27
	v_xor_b32_e32 v67, v27, v9
	v_mul_lo_u32 v26, v63, s23
	v_or_b32_e32 v68, 0x1000, v67
	v_xor_b32_e32 v9, 8, v67
	s_cmpk_eq_i32 s23, 0x80
	s_mov_b32 s62, s22
	v_xor_b32_e32 v27, 8, v68
	s_cselect_b64 s[0:1], -1, 0
	s_cmpk_lg_i32 s23, 0x80
	s_waitcnt vmcnt(3)
	ds_write_b64 v67, v[10:11] offset:16384
	ds_write_b64 v9, v[12:13] offset:16384
	s_waitcnt vmcnt(2)
	ds_write_b64 v67, v[14:15] offset:24576
	ds_write_b64 v9, v[16:17] offset:24576
	;; [unrolled: 3-line block ×4, first 2 shown]
	v_lshl_add_u32 v9, v26, 1, v64
	s_cbranch_scc0 .LBB617_29
; %bb.2:
	v_lshlrev_b32_e32 v11, 1, v9
	v_add_lshl_u32 v10, v9, s23, 1
	s_lshl_b32 s26, s23, 7
	v_lshl_or_b32 v5, v63, 9, v5
	s_cbranch_execz .LBB617_30
	s_branch .LBB617_31
.LBB617_3:
	v_mov_b32_e32 v9, v62
	v_mov_b32_e32 v5, v61
.LBB617_4:
	s_lshl_b32 s30, s56, 6
	s_sub_i32 s31, s20, s30
	s_cmp_gt_i32 s31, 0
	s_cbranch_scc0 .LBB617_76
; %bb.5:
	s_ashr_i32 s3, s30, 31
	s_cmpk_lg_i32 s23, 0x80
	s_cselect_b64 s[26:27], -1, 0
	s_and_b64 vcc, exec, s[26:27]
	s_cbranch_vccz .LBB617_7
; %bb.6:
	s_mul_i32 s1, s55, s20
	s_mul_hi_i32 s0, s55, s20
	s_add_u32 s1, s1, s30
	s_addc_u32 s0, s0, s3
	s_mul_i32 s5, s1, s58
	s_mul_hi_u32 s24, s1, s22
	s_add_i32 s5, s24, s5
	s_mul_i32 s0, s0, s22
	s_add_i32 s5, s5, s0
	s_mul_i32 s1, s1, s22
	s_ashr_i32 s0, s59, 31
	s_add_u32 s28, s1, s59
	s_addc_u32 s29, s5, s0
	s_cbranch_execz .LBB617_8
	s_branch .LBB617_9
.LBB617_7:
                                        ; implicit-def: $sgpr28_sgpr29
.LBB617_8:
	s_mul_hi_i32 s0, s55, s22
	s_mul_i32 s55, s55, s22
	s_ashr_i32 s1, s59, 31
	s_add_u32 s5, s55, s59
	s_addc_u32 s0, s0, s1
	s_mul_i32 s1, s5, s54
	s_mul_hi_u32 s22, s5, s20
	s_add_i32 s1, s22, s1
	s_mul_i32 s0, s0, s20
	s_add_i32 s1, s1, s0
	s_mul_i32 s5, s5, s20
	s_add_u32 s28, s5, s30
	s_addc_u32 s29, s1, s3
.LBB617_9:
	s_mul_i32 s0, s42, s54
	s_add_i32 s0, s61, s0
	s_add_i32 s5, s60, s56
	;; [unrolled: 1-line block ×3, first 2 shown]
	s_add_u32 s0, s4, s30
	s_addc_u32 s1, s1, s3
	s_mov_b32 s3, 0x7060302
	v_lshlrev_b32_e32 v14, 3, v56
	s_lshl_b64 s[24:25], s[0:1], 8
	v_perm_b32 v11, v5, v4, s3
	v_perm_b32 v10, v3, v2, s3
	;; [unrolled: 1-line block ×4, first 2 shown]
	v_lshlrev_b32_e32 v48, 2, v56
	v_lshl_or_b32 v14, v59, 5, v14
	s_waitcnt lgkmcnt(0)
	s_add_u32 s0, s14, s24
	ds_write2st64_b64 v14, v[10:11], v[12:13] offset0:72 offset1:76
	v_xor_b32_e32 v14, v59, v48
	v_lshlrev_b32_e32 v15, 8, v56
	s_addc_u32 s1, s15, s25
	v_lshl_or_b32 v14, v14, 1, v15
	s_mul_hi_i32 s3, s5, s21
	s_mul_i32 s5, s5, s21
	ds_write_b64 v14, v[10:11] offset:32768
	v_xor_b32_e32 v10, v60, v48
	s_add_u32 s4, s5, s53
	v_lshl_or_b32 v10, v10, 1, v15
	s_addc_u32 s5, s3, s57
	v_lshlrev_b32_e32 v11, 1, v56
	ds_write_b64 v10, v[12:13] offset:32768
	v_lshrrev_b32_e32 v10, 4, v0
	s_ashr_i32 s3, s2, 31
	s_lshl_b64 s[4:5], s[4:5], 15
	v_or_b32_e32 v12, 1, v11
	s_add_u32 s4, s6, s4
	v_xor_b32_e32 v11, v10, v11
	v_xor_b32_e32 v12, v12, v10
	v_lshlrev_b32_e32 v14, 8, v10
	s_addc_u32 s5, s7, s5
	s_lshl_b64 s[2:3], s[2:3], 8
	v_lshl_or_b32 v10, v11, 3, v14
	v_lshl_or_b32 v12, v12, 3, v14
	s_waitcnt lgkmcnt(0)
	s_barrier
	s_add_u32 s2, s4, s2
	ds_read_b64 v[10:11], v10 offset:32768
	ds_read_b64 v[12:13], v12 offset:32768
	s_addc_u32 s3, s5, s3
	v_mov_b32_e32 v15, 0
	s_cmp_lg_u32 s31, 64
	v_lshl_add_u64 v[16:17], s[2:3], 0, v[14:15]
	v_lshlrev_b32_e32 v14, 4, v56
	s_cselect_b64 s[14:15], -1, 0
	v_lshl_or_b32 v47, v1, 3, v58
	s_mov_b32 s4, 0
	v_lshl_add_u64 v[14:15], v[16:17], 0, v[14:15]
	s_waitcnt vmcnt(1)
	v_or_b32_e32 v27, 32, v47
	v_and_b32_e32 v26, 56, v57
	s_and_b64 vcc, exec, s[14:15]
	s_waitcnt lgkmcnt(0)
	global_store_dwordx4 v[14:15], v[10:13], off
	s_cbranch_vccz .LBB617_15
; %bb.10:
	s_mov_b32 s6, s4
	s_mov_b32 s7, s4
	;; [unrolled: 1-line block ×3, first 2 shown]
	v_mov_b64_e32 v[16:17], s[6:7]
	v_mov_b64_e32 v[14:15], s[4:5]
	;; [unrolled: 1-line block ×3, first 2 shown]
	v_cmp_gt_i32_e32 vcc, s31, v47
	v_mov_b64_e32 v[12:13], v[16:17]
	s_and_saveexec_b64 s[2:3], vcc
	s_cbranch_execz .LBB617_12
; %bb.11:
	v_lshlrev_b32_e32 v10, 8, v47
	v_mov_b32_e32 v11, 0
	v_lshl_add_u64 v[12:13], s[0:1], 0, v[10:11]
	v_lshlrev_b32_e32 v10, 1, v26
	v_lshl_add_u64 v[18:19], v[12:13], 0, v[10:11]
	global_load_dwordx4 v[14:17], v[18:19], off
	global_load_dwordx4 v[10:13], v[18:19], off offset:128
.LBB617_12:
	s_or_b64 exec, exec, s[2:3]
	s_mov_b32 s6, s4
	s_mov_b32 s7, s4
	;; [unrolled: 1-line block ×3, first 2 shown]
	v_mov_b64_e32 v[24:25], s[6:7]
	v_mov_b64_e32 v[22:23], s[4:5]
	;; [unrolled: 1-line block ×3, first 2 shown]
	v_cmp_gt_i32_e32 vcc, s31, v27
	v_lshlrev_b32_e32 v28, 7, v27
	v_mov_b64_e32 v[20:21], v[24:25]
	s_and_saveexec_b64 s[2:3], vcc
	s_cbranch_execz .LBB617_14
; %bb.13:
	v_lshlrev_b32_e32 v18, 1, v28
	v_mov_b32_e32 v19, 0
	v_lshl_add_u64 v[20:21], s[0:1], 0, v[18:19]
	v_lshlrev_b32_e32 v18, 1, v26
	v_lshl_add_u64 v[30:31], v[20:21], 0, v[18:19]
	global_load_dwordx4 v[22:25], v[30:31], off
	global_load_dwordx4 v[18:21], v[30:31], off offset:128
.LBB617_14:
	s_or_b64 exec, exec, s[2:3]
	v_lshrrev_b32_e32 v29, 3, v26
	v_lshlrev_b32_e32 v30, 3, v47
	v_or_b32_e32 v29, v30, v29
	v_lshlrev_b32_e32 v29, 4, v29
	v_and_b32_e32 v30, 0x78, v30
	v_xor_b32_e32 v29, v29, v30
	s_branch .LBB617_17
.LBB617_15:
                                        ; implicit-def: $vgpr29
                                        ; implicit-def: $vgpr28
                                        ; implicit-def: $vgpr14_vgpr15_vgpr16_vgpr17
                                        ; implicit-def: $vgpr10_vgpr11_vgpr12_vgpr13
                                        ; implicit-def: $vgpr22_vgpr23_vgpr24_vgpr25
                                        ; implicit-def: $vgpr18_vgpr19_vgpr20_vgpr21
	s_cbranch_execz .LBB617_17
; %bb.16:
	s_waitcnt vmcnt(0)
	v_lshlrev_b32_e32 v10, 1, v26
	v_lshl_or_b32 v28, v47, 8, v10
	s_and_b32 s1, s1, 0xffff
	s_mov_b32 s3, 0x20000
	s_movk_i32 s2, 0x4000
	v_lshl_or_b32 v29, v27, 8, v10
	s_movk_i32 s4, 0x80
	buffer_load_dwordx4 v[14:17], v28, s[0:3], 0 offen
	buffer_load_dwordx4 v[10:13], v28, s[0:3], s4 offen
	;; [unrolled: 1-line block ×4, first 2 shown]
	v_lshrrev_b32_e32 v28, 3, v26
	v_lshlrev_b32_e32 v29, 3, v47
	v_or_b32_e32 v28, v29, v28
	v_lshlrev_b32_e32 v28, 4, v28
	v_and_b32_e32 v29, 0x78, v29
	v_xor_b32_e32 v29, v28, v29
	v_lshlrev_b32_e32 v28, 7, v27
.LBB617_17:
	s_lshl_b64 s[0:1], s[28:29], 8
	s_add_u32 s4, s12, s0
	s_movk_i32 s0, 0x1000
	v_and_or_b32 v27, v28, s0, v29
	s_waitcnt vmcnt(1)
	ds_write_b64 v29, v[14:15] offset:16384
	v_xor_b32_e32 v14, 8, v29
	ds_write_b64 v14, v[16:17] offset:16384
	s_waitcnt vmcnt(0)
	ds_write_b64 v29, v[10:11] offset:24576
	ds_write_b64 v14, v[12:13] offset:24576
	;; [unrolled: 1-line block ×3, first 2 shown]
	v_xor_b32_e32 v10, 8, v27
	ds_write_b64 v10, v[24:25] offset:16384
	ds_write_b64 v27, v[18:19] offset:24576
	;; [unrolled: 1-line block ×3, first 2 shown]
	v_or_b32_e32 v10, v54, v56
	v_lshlrev_b32_e32 v10, 3, v10
	v_lshrrev_b32_e32 v12, 5, v45
	s_movk_i32 s6, 0xf8
	v_and_or_b32 v12, v10, s6, v12
	v_lshlrev_b32_e32 v49, 11, v1
	v_lshlrev_b32_e32 v20, 4, v12
	v_and_b32_e32 v21, 0x78, v10
	v_and_b32_e32 v22, 0x1000, v49
	v_lshlrev_b32_e32 v11, 2, v0
	v_xor_b32_e32 v10, v20, v21
	v_lshrrev_b32_e32 v12, 1, v45
	v_and_b32_e32 v11, 60, v11
	v_or_b32_e32 v10, v10, v22
	v_and_b32_e32 v23, 8, v12
	v_xor_b32_e32 v34, v10, v23
	v_lshl_or_b32 v10, v55, 6, v11
	v_lshlrev_b32_e32 v50, 1, v10
	v_or_b32_e32 v10, 32, v20
	v_xor_b32_e32 v10, v10, v21
	s_waitcnt lgkmcnt(0)
	s_barrier
	ds_read_b64 v[18:19], v34 offset:16384
	v_or_b32_e32 v10, v10, v22
	v_xor_b32_e32 v35, v10, v23
	v_or_b32_e32 v10, 64, v20
	v_xor_b32_e32 v10, v10, v21
	v_or_b32_e32 v10, v10, v22
	v_or_b32_e32 v20, 0x60, v20
	v_xor_b32_e32 v36, v10, v23
	ds_read2st64_b64 v[10:13], v50 offset0:72 offset1:73
	ds_read2st64_b64 v[14:17], v50 offset0:74 offset1:75
	v_xor_b32_e32 v24, v20, v21
	ds_read_b64 v[20:21], v35 offset:16384
	s_addc_u32 s5, s13, s1
	s_add_i32 s1, s48, s33
	s_waitcnt lgkmcnt(2)
	v_mfma_f32_16x16x16_bf16 a[0:3], v[18:19], v[10:11], 0
	s_add_i32 s0, s20, -1
	s_add_i32 s41, s1, s52
	s_add_i32 s1, s50, s49
	;; [unrolled: 1-line block ×3, first 2 shown]
	s_ashr_i32 s1, s0, 31
	s_mul_i32 s2, s0, s37
	s_mul_hi_u32 s3, s0, s36
	s_add_i32 s2, s3, s2
	s_mul_i32 s1, s1, s36
	v_or_b32_e32 v22, v24, v22
	s_add_i32 s1, s2, s1
	s_lshl_b64 s[2:3], s[40:41], 2
	v_xor_b32_e32 v51, v22, v23
	ds_read_b64 v[22:23], v36 offset:16384
	ds_read_b64 v[24:25], v51 offset:16384
	s_waitcnt lgkmcnt(2)
	v_mfma_f32_16x16x16_bf16 a[0:3], v[20:21], v[12:13], a[0:3]
	s_add_u32 s6, s18, s2
	s_addc_u32 s7, s19, s3
	s_lshl_b64 s[2:3], s[38:39], 2
	s_mul_i32 s0, s0, s36
	s_add_u32 s12, s6, s2
	s_addc_u32 s13, s7, s3
	s_lshl_b64 s[0:1], s[0:1], 2
	s_waitcnt lgkmcnt(1)
	v_mfma_f32_16x16x16_bf16 a[0:3], v[22:23], v[14:15], a[0:3]
	s_add_u32 s0, s12, s0
	s_addc_u32 s1, s13, s1
	s_load_dword s18, s[0:1], 0x0
	s_waitcnt lgkmcnt(0)
	v_mfma_f32_16x16x16_bf16 a[0:3], v[24:25], v[16:17], a[0:3]
	s_and_b64 vcc, exec, s[26:27]
	s_cbranch_vccz .LBB617_28
; %bb.18:
	v_lshlrev_b32_e32 v27, 1, v47
	s_and_b64 vcc, exec, s[14:15]
	s_cbranch_vccz .LBB617_44
; %bb.19:
	v_cmp_gt_i32_e32 vcc, s31, v27
	v_mov_b32_e32 v14, 0
	v_mov_b32_e32 v10, 0
	;; [unrolled: 1-line block ×5, first 2 shown]
	s_and_saveexec_b64 s[0:1], vcc
	s_cbranch_execz .LBB617_21
; %bb.20:
	v_mad_i64_i32 v[10:11], s[2:3], s23, v27, 0
	v_lshl_add_u64 v[10:11], v[10:11], 1, s[4:5]
	v_lshlrev_b32_e32 v12, 1, v26
	v_mov_b32_e32 v13, 0
	v_lshl_add_u64 v[10:11], v[10:11], 0, v[12:13]
	global_load_dwordx4 v[10:13], v[10:11], off
.LBB617_21:
	s_or_b64 exec, exec, s[0:1]
	v_or_b32_e32 v28, 1, v27
	v_cmp_gt_i32_e64 s[0:1], s31, v28
	v_mov_b32_e32 v15, 0
	v_mov_b32_e32 v16, 0
	;; [unrolled: 1-line block ×3, first 2 shown]
	s_and_saveexec_b64 s[2:3], s[0:1]
	s_cbranch_execz .LBB617_23
; %bb.22:
	v_mad_i64_i32 v[14:15], s[6:7], s23, v28, 0
	v_lshl_add_u64 v[14:15], v[14:15], 1, s[4:5]
	v_lshlrev_b32_e32 v16, 1, v26
	v_mov_b32_e32 v17, 0
	v_lshl_add_u64 v[14:15], v[14:15], 0, v[16:17]
	global_load_dwordx4 v[14:17], v[14:15], off
.LBB617_23:
	s_or_b64 exec, exec, s[2:3]
	v_mov_b32_e32 v25, 0
	v_mov_b32_e32 v18, 0
	;; [unrolled: 1-line block ×5, first 2 shown]
	s_and_saveexec_b64 s[2:3], vcc
	s_cbranch_execz .LBB617_25
; %bb.24:
	v_mad_i64_i32 v[18:19], s[6:7], s23, v27, 0
	v_lshl_add_u64 v[18:19], v[18:19], 1, s[4:5]
	v_lshlrev_b32_e32 v20, 1, v26
	v_mov_b32_e32 v21, 0
	v_lshl_add_u64 v[18:19], v[18:19], 0, v[20:21]
	global_load_dwordx4 v[18:21], v[18:19], off offset:128
.LBB617_25:
	s_or_b64 exec, exec, s[2:3]
	v_mov_b32_e32 v24, 0
	v_mov_b32_e32 v23, 0
	;; [unrolled: 1-line block ×3, first 2 shown]
	s_and_saveexec_b64 s[2:3], s[0:1]
	s_cbranch_execz .LBB617_27
; %bb.26:
	v_mad_i64_i32 v[22:23], s[0:1], s23, v28, 0
	v_lshl_add_u64 v[22:23], v[22:23], 1, s[4:5]
	v_lshlrev_b32_e32 v24, 1, v26
	v_mov_b32_e32 v25, 0
	v_lshl_add_u64 v[22:23], v[22:23], 0, v[24:25]
	global_load_dwordx4 v[22:25], v[22:23], off offset:128
.LBB617_27:
	s_or_b64 exec, exec, s[2:3]
	s_branch .LBB617_46
.LBB617_28:
                                        ; implicit-def: $vgpr13
                                        ; implicit-def: $vgpr17
                                        ; implicit-def: $vgpr21
                                        ; implicit-def: $vgpr25
	v_lshrrev_b32_e32 v45, 2, v45
	s_branch .LBB617_47
.LBB617_29:
                                        ; implicit-def: $vgpr10
                                        ; implicit-def: $vgpr11
                                        ; implicit-def: $sgpr26
	v_lshl_or_b32 v5, v63, 9, v5
.LBB617_30:
	v_or_b32_e32 v10, 0x100, v5
	s_movk_i32 s26, 0x4000
	v_mov_b32_e32 v11, v5
.LBB617_31:
	s_mul_hi_u32 s24, s22, s20
	s_mul_i32 s25, s58, s20
	s_add_i32 s24, s24, s25
	s_mul_i32 s25, s22, s20
	s_mul_i32 s27, s25, s3
	s_mul_hi_u32 s28, s25, s55
	s_add_i32 s27, s28, s27
	s_mul_i32 s24, s24, s55
	s_add_i32 s27, s27, s24
	s_mul_i32 s25, s25, s55
	s_ashr_i32 s63, s59, 31
	s_add_u32 s24, s25, s59
	s_addc_u32 s25, s27, s63
	s_lshl_b64 s[24:25], s[24:25], 8
	s_add_u32 s24, s12, s24
	s_addc_u32 s25, s13, s25
	s_and_b32 s25, s25, 0xffff
	s_mov_b32 s27, 0x20000
	s_movk_i32 s64, 0x80
	buffer_load_dwordx4 v[12:15], v11, s[24:27], 0 offen
	buffer_load_dwordx4 v[16:19], v11, s[24:27], s64 offen
	;; [unrolled: 1-line block ×4, first 2 shown]
	v_and_b32_e32 v10, 6, v0
	v_lshlrev_b32_e32 v28, 2, v56
	v_lshlrev_b32_e32 v29, 3, v56
	v_xor_b32_e32 v31, v63, v10
	v_and_b32_e32 v11, 1, v0
	s_mul_i32 s3, s3, s20
	s_mul_hi_u32 s24, s55, s20
	v_lshl_or_b32 v29, v59, 5, v29
	v_xor_b32_e32 v32, v59, v28
	v_lshlrev_b32_e32 v31, 2, v31
	v_or_b32_e32 v69, 0x9000, v29
	v_or_b32_e32 v70, 0x9800, v29
	v_lshlrev_b32_e32 v29, 1, v32
	v_xor_b32_e32 v32, 0x440, v31
	v_cmp_eq_u32_e32 vcc, 0, v11
	s_add_i32 s69, s24, s3
	s_add_i32 s3, s48, s33
	v_cndmask_b32_e32 v11, v32, v31, vcc
	s_add_i32 s24, s50, s49
	s_add_i32 s41, s3, s52
	s_mov_b32 s66, 0x1000504
	v_lshlrev_b32_e32 v30, 8, v56
	s_mov_b32 s26, 0x8000
	v_xor_b32_e32 v28, v60, v28
	v_lshl_or_b32 v10, v10, 10, v11
	s_add_i32 s39, s24, s51
	s_lshl_b64 s[24:25], s[40:41], 2
	s_mov_b32 s67, 0x3020706
	v_lshlrev_b32_e32 v28, 1, v28
	v_or3_b32 v71, v29, v30, s26
	v_xor_b32_e32 v11, 8, v10
	v_xor_b32_e32 v29, 24, v10
	;; [unrolled: 1-line block ×4, first 2 shown]
	s_add_u32 s3, s18, s24
	v_or3_b32 v72, v28, v30, s26
	v_xor_b32_e32 v28, 16, v10
	v_xor_b32_e32 v30, 32, v10
	;; [unrolled: 1-line block ×3, first 2 shown]
	v_add_u32_e32 v11, 0x80, v11
	v_add_u32_e32 v29, 0x80, v29
	v_add_u32_e32 v31, 0x80, v31
	v_add_u32_e32 v33, 0x80, v33
	s_addc_u32 s28, s19, s25
	s_lshl_b64 s[24:25], s[38:39], 2
	s_add_u32 s44, s3, s24
	s_movk_i32 s3, 0xf8
	s_addc_u32 s45, s28, s25
	v_ashrrev_i32_e32 v47, 31, v46
	s_lshl_b32 s30, s23, 7
	s_mov_b32 s65, 0
	s_mul_i32 s68, s55, s20
	v_mov_b32_e32 v86, 0x3fb8aa3b
	s_mov_b32 s41, 0
	s_waitcnt vmcnt(1)
	v_perm_b32 v34, v12, v20, s66
	s_waitcnt vmcnt(0)
	v_perm_b32 v35, v16, v24, s66
	v_perm_b32 v12, v12, v20, s67
	;; [unrolled: 1-line block ×15, first 2 shown]
	ds_write2st64_b32 v10, v34, v35 offset1:32
	ds_write2st64_b32 v11, v12, v16 offset1:32
	ds_write2st64_b32 v28, v20, v24 offset0:1 offset1:33
	ds_write2st64_b32 v29, v13, v17 offset0:1 offset1:33
	;; [unrolled: 1-line block ×6, first 2 shown]
	v_or_b32_e32 v10, v54, v56
	v_lshlrev_b32_e32 v10, 3, v10
	v_lshrrev_b32_e32 v12, 5, v45
	v_and_or_b32 v12, v10, s3, v12
	v_lshlrev_b32_e32 v12, 4, v12
	v_lshlrev_b32_e32 v18, 11, v1
	v_and_b32_e32 v10, 0x78, v10
	v_or_b32_e32 v15, 32, v12
	v_and_b32_e32 v11, 0x1000, v18
	v_lshrrev_b32_e32 v19, 1, v0
	v_xor_b32_e32 v15, v15, v10
	v_and_b32_e32 v14, 8, v19
	v_or_b32_e32 v15, v15, v11
	v_xor_b32_e32 v13, v12, v10
	v_xor_b32_e32 v75, v15, v14
	v_or_b32_e32 v15, 64, v12
	v_or_b32_e32 v12, 0x60, v12
	v_xor_b32_e32 v15, v15, v10
	v_xor_b32_e32 v10, v12, v10
	v_or_b32_e32 v13, v13, v11
	v_or_b32_e32 v15, v15, v11
	v_or_b32_e32 v10, v10, v11
	v_xor_b32_e32 v73, v13, v14
	v_xor_b32_e32 v76, v15, v14
	;; [unrolled: 1-line block ×3, first 2 shown]
	v_lshrrev_b32_e32 v14, 4, v0
	v_lshlrev_b32_e32 v15, 1, v56
	s_ashr_i32 s3, s2, 31
	v_or_b32_e32 v16, 1, v15
	v_xor_b32_e32 v15, v14, v15
	s_lshl_b64 s[24:25], s[2:3], 8
	v_xor_b32_e32 v16, v16, v14
	v_lshlrev_b32_e32 v15, 3, v15
	v_lshlrev_b32_e32 v14, 8, v14
	v_lshlrev_b64 v[10:11], 1, v[46:47]
	s_add_u32 s24, s6, s24
	v_or3_b32 v47, v15, v14, s26
	v_lshlrev_b32_e32 v15, 3, v16
	s_addc_u32 s25, s7, s25
	v_or3_b32 v79, v15, v14, s26
	v_mov_b32_e32 v15, 0
	v_lshl_add_u64 v[16:17], s[24:25], 0, v[14:15]
	v_lshlrev_b32_e32 v14, 4, v56
	s_movk_i32 s3, 0xff
	v_lshlrev_b32_e32 v23, 3, v1
	v_and_b32_e32 v19, 24, v19
	v_lshl_add_u64 v[48:49], v[16:17], 0, v[14:15]
	v_and_b32_e32 v16, 8, v0
	v_cmp_lt_u32_e32 vcc, s3, v0
	v_xor_b32_e32 v24, v23, v19
	v_or_b32_e32 v25, 0x440, v24
	v_cndmask_b32_e64 v22, 0, 1, vcc
	v_cmp_eq_u32_e32 vcc, 0, v16
	v_and_b32_e32 v14, 7, v0
	v_lshlrev_b32_e32 v17, 3, v14
	v_cndmask_b32_e32 v16, v25, v24, vcc
	v_lshlrev_b32_e32 v14, 7, v14
	v_or_b32_e32 v16, v16, v18
	v_xad_u32 v80, v16, v17, v14
	v_or_b32_e32 v16, 32, v19
	v_xor_b32_e32 v16, v23, v16
	v_or_b32_e32 v24, 0x440, v16
	v_cndmask_b32_e32 v16, v24, v16, vcc
	v_or_b32_e32 v16, v16, v18
	v_xad_u32 v81, v16, v17, v14
	v_or_b32_e32 v16, 64, v19
	v_xor_b32_e32 v16, v23, v16
	v_xor_b32_e32 v24, 0x440, v16
	v_cndmask_b32_e32 v16, v24, v16, vcc
	v_or_b32_e32 v16, v16, v18
	v_xad_u32 v82, v16, v17, v14
	v_or_b32_e32 v16, 0x60, v19
	v_xor_b32_e32 v16, v23, v16
	v_xor_b32_e32 v19, 0x440, v16
	v_and_b32_e32 v13, 0x78, v57
	v_cndmask_b32_e32 v16, v19, v16, vcc
	v_lshl_or_b32 v13, v55, 7, v13
	v_or_b32_e32 v16, v16, v18
	v_or_b32_e32 v74, 0x9000, v13
	;; [unrolled: 1-line block ×3, first 2 shown]
	v_lshl_add_u64 v[12:13], s[16:17], 0, v[10:11]
	v_lshl_add_u64 v[10:11], s[8:9], 0, v[10:11]
	v_lshlrev_b32_e32 v20, 1, v9
	v_add_lshl_u32 v9, v9, s23, 1
	v_or_b32_e32 v21, 0x100, v5
	v_lshlrev_b32_e32 v22, 13, v22
	v_xad_u32 v83, v16, v17, v14
	v_lshlrev_b32_e32 v14, 8, v59
	v_cndmask_b32_e64 v84, v20, v5, s[0:1]
	v_cndmask_b32_e64 v85, v9, v21, s[0:1]
	v_lshl_add_u64 v[50:51], v[12:13], 0, v[14:15]
	v_lshl_add_u64 v[52:53], v[10:11], 0, v[14:15]
	s_mov_b32 s3, 0x7060302
	s_movk_i32 s26, 0x4000
	v_add_u32_e32 v87, v22, v80
	v_add_u32_e32 v88, v22, v81
	;; [unrolled: 1-line block ×4, first 2 shown]
	s_waitcnt lgkmcnt(0)
	s_barrier
.LBB617_32:                             ; =>This Inner Loop Header: Depth=1
	s_add_i32 s39, s41, 1
	s_cmp_lt_i32 s39, s56
	s_mov_b64 s[28:29], 0
	s_cselect_b64 s[46:47], -1, 0
	s_cmp_ge_i32 s39, s56
	s_mov_b64 s[24:25], 0
	s_cbranch_scc1 .LBB617_34
; %bb.33:                               ;   in Loop: Header=BB617_32 Depth=1
	s_add_i32 s0, s65, 64
	s_add_u32 s0, s4, s0
	s_addc_u32 s1, s5, 0
	s_lshl_b64 s[0:1], s[0:1], 8
	s_add_u32 s24, s14, s0
	s_addc_u32 s25, s15, s1
.LBB617_34:                             ;   in Loop: Header=BB617_32 Depth=1
	v_cndmask_b32_e64 v5, 0, 1, s[46:47]
	v_cmp_ne_u32_e64 s[0:1], 1, v5
	s_andn2_b64 vcc, exec, s[46:47]
	s_cbranch_vccnz .LBB617_36
; %bb.35:                               ;   in Loop: Header=BB617_32 Depth=1
	s_add_i32 s28, s65, 64
	s_add_u32 s28, s68, s28
	s_addc_u32 s29, s69, 0
	s_mul_i32 s31, s28, s58
	s_mul_hi_u32 s46, s28, s62
	s_add_i32 s31, s46, s31
	s_mul_i32 s29, s29, s62
	s_add_i32 s31, s31, s29
	s_mul_i32 s28, s28, s62
	s_add_u32 s28, s28, s59
	s_addc_u32 s29, s31, s63
	s_lshl_b64 s[28:29], s[28:29], 8
	s_add_u32 s28, s12, s28
	s_addc_u32 s29, s13, s29
.LBB617_36:                             ;   in Loop: Header=BB617_32 Depth=1
	v_perm_b32 v11, v61, v4, s3
	v_perm_b32 v10, v3, v2, s3
	;; [unrolled: 1-line block ×4, first 2 shown]
	ds_write_b64 v69, v[10:11]
	ds_write_b64 v70, v[12:13]
	;; [unrolled: 1-line block ×4, first 2 shown]
	s_waitcnt lgkmcnt(0)
	s_barrier
	ds_read_b64 v[18:19], v73 offset:16384
	ds_read_b64 v[20:21], v75 offset:16384
	ds_read2st64_b64 v[10:13], v74 offset1:1
	ds_read2st64_b64 v[14:17], v74 offset0:2 offset1:3
	ds_read_b64 v[22:23], v76 offset:16384
	s_waitcnt lgkmcnt(2)
	v_mfma_f32_16x16x16_bf16 a[0:3], v[18:19], v[10:11], 0
	ds_read_b64 v[10:11], v77 offset:16384
	s_add_i32 s31, s65, 63
	s_mul_i32 s46, s31, s37
	v_mfma_f32_16x16x16_bf16 a[0:3], v[20:21], v[12:13], a[0:3]
	s_mul_hi_u32 s47, s31, s36
	s_add_i32 s47, s47, s46
	s_mul_i32 s46, s31, s36
	s_waitcnt lgkmcnt(1)
	v_mfma_f32_16x16x16_bf16 a[0:3], v[22:23], v[14:15], a[0:3]
	s_lshl_b64 s[46:47], s[46:47], 2
	s_add_u32 s46, s44, s46
	s_addc_u32 s47, s45, s47
	s_waitcnt lgkmcnt(0)
	v_mfma_f32_16x16x16_bf16 a[0:3], v[10:11], v[16:17], a[0:3]
	s_and_b64 vcc, exec, s[0:1]
	v_mov_b32_e32 v91, 0
	v_mov_b32_e32 v9, 0
	;; [unrolled: 1-line block ×19, first 2 shown]
	s_cbranch_vccnz .LBB617_38
; %bb.37:                               ;   in Loop: Header=BB617_32 Depth=1
	s_and_b32 s25, s25, 0xffff
	buffer_load_dwordx4 v[22:25], v65, s[24:27], 0 offen
	buffer_load_dwordx4 v[18:21], v65, s[24:27], s64 offen
	;; [unrolled: 1-line block ×4, first 2 shown]
	v_mov_b32_e32 v9, v67
	v_mov_b32_e32 v5, v68
.LBB617_38:                             ;   in Loop: Header=BB617_32 Depth=1
	s_waitcnt vmcnt(3)
	v_add_u32_e32 v32, s65, v59
	s_waitcnt vmcnt(1)
	v_ashrrev_i32_e32 v26, 31, v32
	v_mul_lo_u32 v28, v26, s36
	v_mul_lo_u32 v29, v32, s37
	v_mad_u64_u32 v[26:27], s[24:25], v32, s36, 0
	v_add3_u32 v27, v27, v29, v28
	v_add_u32_e32 v28, 1, v32
	v_ashrrev_i32_e32 v29, 31, v28
	v_mul_lo_u32 v30, v29, s36
	v_mul_lo_u32 v31, v28, s37
	v_mad_u64_u32 v[28:29], s[24:25], v28, s36, 0
	v_add3_u32 v29, v29, v31, v30
	v_add_u32_e32 v30, 2, v32
	v_ashrrev_i32_e32 v31, 31, v30
	v_mul_lo_u32 v33, v31, s36
	v_mul_lo_u32 v34, v30, s37
	v_mad_u64_u32 v[30:31], s[24:25], v30, s36, 0
	s_add_u32 s24, s4, s65
	v_add3_u32 v31, v31, v34, v33
	v_add_u32_e32 v34, 3, v32
	s_addc_u32 s25, s5, 0
	v_ashrrev_i32_e32 v32, 31, v34
	s_lshl_b64 s[70:71], s[24:25], 8
	v_lshl_add_u64 v[26:27], v[26:27], 2, s[44:45]
	v_mul_lo_u32 v35, v32, s36
	v_lshl_add_u64 v[32:33], v[50:51], 0, s[70:71]
	v_mul_lo_u32 v36, v34, s37
	global_load_ushort v93, v[32:33], off
	global_load_ushort v94, v[32:33], off offset:256
	global_load_ushort v96, v[32:33], off offset:512
	global_load_ushort v95, v[32:33], off offset:768
	global_load_dword v97, v[26:27], off
	v_mad_u64_u32 v[26:27], s[24:25], v34, s36, 0
	v_lshl_add_u64 v[28:29], v[28:29], 2, s[44:45]
	v_add3_u32 v27, v27, v36, v35
	v_lshl_add_u64 v[30:31], v[30:31], 2, s[44:45]
	v_lshl_add_u64 v[26:27], v[26:27], 2, s[44:45]
	global_load_dword v98, v[28:29], off
	global_load_dword v99, v[30:31], off
	;; [unrolled: 1-line block ×3, first 2 shown]
	ds_read_b64 v[26:27], v73 offset:24576
	s_load_dword s24, s[46:47], 0x0
	ds_read_b64 v[36:37], v75 offset:24576
	ds_read2st64_b64 v[28:31], v78 offset1:1
	ds_read2st64_b64 v[32:35], v78 offset0:2 offset1:3
	ds_read_b64 v[38:39], v76 offset:24576
	ds_read_b64 v[40:41], v77 offset:24576
	s_waitcnt lgkmcnt(0)
	v_mfma_f32_16x16x16_bf16 a[0:3], v[26:27], v[28:29], a[0:3]
	v_mov_b32_e32 v92, 0
	v_mov_b32_e32 v26, 0
	;; [unrolled: 1-line block ×3, first 2 shown]
	v_mfma_f32_16x16x16_bf16 a[0:3], v[36:37], v[30:31], a[0:3]
	v_lshl_add_u64 v[36:37], v[52:53], 0, s[70:71]
	v_mov_b32_e32 v28, 0
	v_mov_b32_e32 v29, 0
	v_mfma_f32_16x16x16_bf16 a[0:3], v[38:39], v[32:33], a[0:3]
	v_mov_b32_e32 v30, 0
	v_mov_b32_e32 v31, 0
	;; [unrolled: 1-line block ×3, first 2 shown]
	v_mfma_f32_16x16x16_bf16 a[0:3], v[40:41], v[34:35], a[0:3]
	s_and_b64 vcc, exec, s[0:1]
	s_waitcnt vmcnt(7)
	v_lshlrev_b32_e32 v40, 16, v93
	s_nop 3
	v_accvgpr_read_b32 v39, a1
	v_accvgpr_read_b32 v35, a3
	v_accvgpr_read_b32 v34, a2
	v_accvgpr_read_b32 v38, a0
	s_waitcnt vmcnt(6)
	v_lshlrev_b32_e32 v41, 16, v94
	s_waitcnt vmcnt(4)
	v_lshlrev_b32_e32 v95, 16, v95
	v_lshlrev_b32_e32 v94, 16, v96
	s_waitcnt vmcnt(3)
	v_sub_f32_e32 v33, s24, v97
	v_pk_add_f32 v[38:39], v[40:41], v[38:39] neg_lo:[0,1] neg_hi:[0,1]
	v_pk_add_f32 v[34:35], v[94:95], v[34:35] neg_lo:[0,1] neg_hi:[0,1]
	v_mul_f32_e32 v33, 0x3fb8aa3b, v33
	s_waitcnt vmcnt(2)
	v_sub_f32_e32 v41, s24, v98
	s_waitcnt vmcnt(1)
	v_sub_f32_e32 v93, s24, v99
	;; [unrolled: 2-line block ×3, first 2 shown]
	v_exp_f32_e32 v40, v33
	v_mul_f32_e32 v33, 0x3fb8aa3b, v41
	v_mul_f32_e32 v93, 0x3fb8aa3b, v93
	;; [unrolled: 1-line block ×3, first 2 shown]
	v_exp_f32_e32 v41, v33
	v_exp_f32_e32 v94, v93
	;; [unrolled: 1-line block ×3, first 2 shown]
	global_store_short_d16_hi v[36:37], v38, off
	global_store_short_d16_hi v[36:37], v39, off offset:256
	global_store_short_d16_hi v[36:37], v34, off offset:512
	;; [unrolled: 1-line block ×3, first 2 shown]
	v_pk_mul_f32 v[36:37], v[40:41], v[38:39]
	v_pk_mul_f32 v[34:35], v[94:95], v[34:35]
	v_mov_b32_e32 v33, 0
	v_perm_b32 v35, v35, v34, s3
	v_perm_b32 v34, v37, v36, s3
	ds_write_b64 v70, v[34:35]
	v_mov_b32_e32 v34, 0
	v_mov_b32_e32 v35, 0
	;; [unrolled: 1-line block ×8, first 2 shown]
	s_cbranch_vccnz .LBB617_40
; %bb.39:                               ;   in Loop: Header=BB617_32 Depth=1
	s_and_b32 s29, s29, 0xffff
	s_mov_b32 s31, s27
	buffer_load_dwordx4 v[38:41], v84, s[28:31], 0 offen
	buffer_load_dwordx4 v[30:33], v84, s[28:31], s64 offen
	;; [unrolled: 1-line block ×4, first 2 shown]
	v_mov_b32_e32 v91, v64
	v_mov_b32_e32 v92, v63
.LBB617_40:                             ;   in Loop: Header=BB617_32 Depth=1
	s_waitcnt lgkmcnt(0)
	s_barrier
	ds_read_b64 v[102:103], v87
	ds_read2st64_b64 v[94:97], v78 offset1:1
	ds_read2st64_b64 v[98:101], v78 offset0:2 offset1:3
	ds_read_b64 v[104:105], v88
	ds_read_b64 v[106:107], v89
	;; [unrolled: 1-line block ×3, first 2 shown]
	s_waitcnt lgkmcnt(4)
	v_mfma_f32_16x16x16_bf16 a[0:3], v[102:103], v[94:95], 0
	ds_read_b64 v[102:103], v80 offset:8192
	ds_read_b64 v[110:111], v81 offset:8192
	s_add_i32 s25, s60, s41
	s_mul_hi_i32 s29, s25, s21
	s_waitcnt lgkmcnt(1)
	v_mfma_f32_16x16x16_bf16 a[4:7], v[102:103], v[94:95], 0
	s_mul_i32 s25, s25, s21
	s_add_u32 s28, s25, s53
	s_addc_u32 s29, s29, s57
	v_mfma_f32_16x16x16_bf16 a[0:3], v[104:105], v[96:97], a[0:3]
	ds_read_b64 v[102:103], v47
	ds_read_b64 v[104:105], v79
	ds_read_b64 v[94:95], v82 offset:8192
	s_lshl_b64 s[28:29], s[28:29], 15
	v_mfma_f32_16x16x16_bf16 a[0:3], v[106:107], v[98:99], a[0:3]
	ds_read_b64 v[106:107], v83 offset:8192
	s_and_b64 vcc, exec, s[0:1]
	s_waitcnt lgkmcnt(4)
	v_mfma_f32_16x16x16_bf16 a[4:7], v[110:111], v[96:97], a[4:7]
	s_waitcnt lgkmcnt(1)
	v_mfma_f32_16x16x16_bf16 a[4:7], v[94:95], v[98:99], a[4:7]
	v_lshl_add_u64 v[94:95], v[48:49], 0, s[28:29]
	global_store_dwordx4 v[94:95], v[102:105], off
	v_mfma_f32_16x16x16_bf16 a[0:3], v[108:109], v[100:101], a[0:3]
	s_waitcnt lgkmcnt(0)
	v_mfma_f32_16x16x16_bf16 a[4:7], v[106:107], v[100:101], a[4:7]
	s_cbranch_vccnz .LBB617_42
; %bb.41:                               ;   in Loop: Header=BB617_32 Depth=1
	v_lshrrev_b32_e32 v93, 3, v91
	v_and_b32_e32 v93, 6, v93
	v_xor_b32_e32 v92, v93, v92
	v_lshlrev_b32_e32 v92, 2, v92
	v_and_b32_e32 v91, 8, v91
	v_xor_b32_e32 v94, 0x440, v92
	v_cmp_eq_u32_e32 vcc, 0, v91
	s_barrier
	s_nop 0
	v_cndmask_b32_e32 v91, v94, v92, vcc
	v_lshl_or_b32 v91, v93, 10, v91
	s_waitcnt vmcnt(2)
	v_perm_b32 v92, v38, v34, s66
	s_waitcnt vmcnt(1)
	v_perm_b32 v93, v30, v26, s66
	ds_write2st64_b32 v91, v92, v93 offset1:32
	v_xor_b32_e32 v92, 8, v91
	v_perm_b32 v34, v38, v34, s67
	v_perm_b32 v26, v30, v26, s67
	v_add_u32_e32 v30, 0x80, v92
	ds_write2st64_b32 v30, v34, v26 offset1:32
	v_xor_b32_e32 v26, 16, v91
	v_perm_b32 v30, v39, v35, s66
	v_perm_b32 v34, v31, v27, s66
	ds_write2st64_b32 v26, v30, v34 offset0:1 offset1:33
	v_xor_b32_e32 v26, 24, v91
	v_perm_b32 v30, v39, v35, s67
	v_perm_b32 v27, v31, v27, s67
	v_add_u32_e32 v26, 0x80, v26
	ds_write2st64_b32 v26, v30, v27 offset0:1 offset1:33
	v_xor_b32_e32 v26, 32, v91
	v_perm_b32 v27, v40, v36, s66
	v_perm_b32 v30, v32, v28, s66
	ds_write2st64_b32 v26, v27, v30 offset0:2 offset1:34
	v_xor_b32_e32 v26, 40, v91
	v_perm_b32 v27, v40, v36, s67
	v_perm_b32 v28, v32, v28, s67
	v_add_u32_e32 v26, 0x80, v26
	ds_write2st64_b32 v26, v27, v28 offset0:2 offset1:34
	v_xor_b32_e32 v26, 48, v91
	v_perm_b32 v27, v41, v37, s66
	v_perm_b32 v28, v33, v29, s66
	ds_write2st64_b32 v26, v27, v28 offset0:3 offset1:35
	v_xor_b32_e32 v26, 56, v91
	v_perm_b32 v27, v41, v37, s67
	v_perm_b32 v28, v33, v29, s67
	v_add_u32_e32 v26, 0x80, v26
	ds_write2st64_b32 v26, v27, v28 offset0:3 offset1:35
	ds_write_b64 v9, v[22:23] offset:16384
	v_xor_b32_e32 v22, 8, v9
	ds_write_b64 v22, v[24:25] offset:16384
	ds_write_b64 v9, v[18:19] offset:24576
	;; [unrolled: 1-line block ×4, first 2 shown]
	v_xor_b32_e32 v9, 8, v5
	ds_write_b64 v9, v[16:17] offset:16384
	ds_write_b64 v5, v[10:11] offset:24576
	;; [unrolled: 1-line block ×3, first 2 shown]
.LBB617_42:                             ;   in Loop: Header=BB617_32 Depth=1
	v_mul_f32_e32 v5, s24, v86
	v_exp_f32_e32 v10, v5
	s_nop 1
	v_accvgpr_read_b32 v9, a1
	v_accvgpr_read_b32 v5, a0
	s_add_i32 s65, s65, 64
	v_fma_f32 v3, v3, v10, v9
	v_accvgpr_read_b32 v9, a4
	v_fma_f32 v6, v6, v10, v9
	v_accvgpr_read_b32 v9, a5
	;; [unrolled: 2-line block ×6, first 2 shown]
	v_fmac_f32_e32 v5, v61, v10
	s_cmp_eq_u32 s56, s39
	v_fmac_f32_e32 v9, v62, v10
	s_cbranch_scc1 .LBB617_4
; %bb.43:                               ;   in Loop: Header=BB617_32 Depth=1
	s_mov_b32 s41, s39
	v_mov_b32_e32 v61, v5
	v_mov_b32_e32 v62, v9
	s_branch .LBB617_32
.LBB617_44:
                                        ; implicit-def: $vgpr13
                                        ; implicit-def: $vgpr17
                                        ; implicit-def: $vgpr21
                                        ; implicit-def: $vgpr25
	s_cbranch_execz .LBB617_46
; %bb.45:
	s_waitcnt vmcnt(0)
	v_mad_u64_u32 v[10:11], s[0:1], v27, s23, v[26:27]
	v_lshlrev_b32_e32 v27, 1, v10
	s_lshl_b32 s2, s23, 7
	s_and_b32 s1, s5, 0xffff
	s_mov_b32 s3, 0x20000
	s_mov_b32 s0, s4
	v_add_lshl_u32 v28, v10, s23, 1
	s_movk_i32 s6, 0x80
	buffer_load_dwordx4 v[10:13], v27, s[0:3], 0 offen
	buffer_load_dwordx4 v[18:21], v27, s[0:3], s6 offen
	;; [unrolled: 1-line block ×4, first 2 shown]
.LBB617_46:
	v_lshrrev_b32_e32 v45, 2, v45
	s_cbranch_execnz .LBB617_59
.LBB617_47:
	s_and_b64 vcc, exec, s[14:15]
	s_cbranch_vccz .LBB617_57
; %bb.48:
	s_waitcnt vmcnt(0)
	v_lshlrev_b32_e32 v15, 1, v47
	v_cmp_gt_i32_e32 vcc, s31, v15
	v_mov_b32_e32 v14, 0
	v_lshlrev_b32_e32 v22, 9, v47
	v_mov_b32_e32 v10, 0
	v_mov_b32_e32 v11, 0
	;; [unrolled: 1-line block ×4, first 2 shown]
	s_and_saveexec_b64 s[0:1], vcc
	s_cbranch_execz .LBB617_50
; %bb.49:
	v_mov_b32_e32 v23, 0
	v_lshl_add_u64 v[10:11], s[4:5], 0, v[22:23]
	v_lshlrev_b32_e32 v12, 1, v26
	v_mov_b32_e32 v13, v23
	v_lshl_add_u64 v[10:11], v[10:11], 0, v[12:13]
	global_load_dwordx4 v[10:13], v[10:11], off
.LBB617_50:
	s_or_b64 exec, exec, s[0:1]
	v_or_b32_e32 v15, 1, v15
	v_cmp_gt_i32_e64 s[0:1], s31, v15
	v_lshlrev_b32_e32 v28, 8, v15
	v_mov_b32_e32 v15, 0
	v_mov_b32_e32 v16, 0
	v_mov_b32_e32 v17, 0
	s_and_saveexec_b64 s[2:3], s[0:1]
	s_cbranch_execz .LBB617_52
; %bb.51:
	v_mov_b32_e32 v29, 0
	v_lshl_add_u64 v[14:15], s[4:5], 0, v[28:29]
	v_lshlrev_b32_e32 v16, 1, v26
	v_mov_b32_e32 v17, v29
	v_lshl_add_u64 v[14:15], v[14:15], 0, v[16:17]
	global_load_dwordx4 v[14:17], v[14:15], off
.LBB617_52:
	s_or_b64 exec, exec, s[2:3]
	v_mov_b32_e32 v25, 0
	v_mov_b32_e32 v18, 0
	;; [unrolled: 1-line block ×5, first 2 shown]
	s_and_saveexec_b64 s[2:3], vcc
	s_cbranch_execz .LBB617_54
; %bb.53:
	v_mov_b32_e32 v23, 0
	v_lshl_add_u64 v[18:19], s[4:5], 0, v[22:23]
	v_lshlrev_b32_e32 v22, 1, v26
	v_lshl_add_u64 v[18:19], v[18:19], 0, v[22:23]
	global_load_dwordx4 v[18:21], v[18:19], off offset:128
.LBB617_54:
	s_or_b64 exec, exec, s[2:3]
	v_mov_b32_e32 v24, 0
	v_mov_b32_e32 v23, 0
	;; [unrolled: 1-line block ×3, first 2 shown]
	s_and_saveexec_b64 s[2:3], s[0:1]
	s_cbranch_execz .LBB617_56
; %bb.55:
	v_mov_b32_e32 v29, 0
	v_lshl_add_u64 v[22:23], s[4:5], 0, v[28:29]
	v_lshlrev_b32_e32 v28, 1, v26
	v_lshl_add_u64 v[22:23], v[22:23], 0, v[28:29]
	global_load_dwordx4 v[22:25], v[22:23], off offset:128
.LBB617_56:
	s_or_b64 exec, exec, s[2:3]
	s_branch .LBB617_59
.LBB617_57:
                                        ; implicit-def: $vgpr13
                                        ; implicit-def: $vgpr17
                                        ; implicit-def: $vgpr21
                                        ; implicit-def: $vgpr25
	s_cbranch_execz .LBB617_59
; %bb.58:
	s_waitcnt vmcnt(0)
	v_lshlrev_b32_e32 v10, 1, v26
	v_lshl_or_b32 v26, v47, 9, v10
	s_and_b32 s5, s5, 0xffff
	s_mov_b32 s7, 0x20000
	s_movk_i32 s6, 0x4000
	s_movk_i32 s0, 0x80
	buffer_load_dwordx4 v[10:13], v26, s[4:7], 0 offen
	buffer_load_dwordx4 v[14:17], v26, s[4:7], 0 offen offset:256
	buffer_load_dwordx4 v[18:21], v26, s[4:7], s0 offen
	buffer_load_dwordx4 v[22:25], v26, s[4:7], s0 offen offset:256
.LBB617_59:
	ds_read2st64_b64 v[30:33], v50 offset0:76 offset1:77
	ds_read2st64_b64 v[26:29], v50 offset0:78 offset1:79
	ds_read_b64 v[40:41], v34 offset:24576
	ds_read_b64 v[38:39], v35 offset:24576
	;; [unrolled: 1-line block ×4, first 2 shown]
	v_and_b32_e32 v51, 6, v0
	v_xor_b32_e32 v47, v47, v51
	v_lshlrev_b32_e32 v47, 2, v47
	v_and_b32_e32 v52, 1, v0
	v_xor_b32_e32 v53, 0x440, v47
	v_cmp_eq_u32_e32 vcc, 0, v52
	s_mov_b32 s0, 0x1000504
	s_waitcnt vmcnt(0)
	v_perm_b32 v52, v18, v22, s0
	v_cndmask_b32_e32 v47, v53, v47, vcc
	v_lshl_or_b32 v47, v51, 10, v47
	v_perm_b32 v51, v10, v14, s0
	ds_write2st64_b32 v47, v51, v52 offset1:32
	v_xor_b32_e32 v51, 8, v47
	s_mov_b32 s1, 0x3020706
	v_perm_b32 v10, v10, v14, s1
	v_perm_b32 v14, v18, v22, s1
	v_add_u32_e32 v18, 0x80, v51
	ds_write2st64_b32 v18, v10, v14 offset1:32
	v_xor_b32_e32 v10, 16, v47
	v_perm_b32 v14, v11, v15, s0
	v_perm_b32 v18, v19, v23, s0
	ds_write2st64_b32 v10, v14, v18 offset0:1 offset1:33
	v_xor_b32_e32 v10, 24, v47
	v_perm_b32 v11, v11, v15, s1
	v_perm_b32 v14, v19, v23, s1
	v_add_u32_e32 v10, 0x80, v10
	ds_write2st64_b32 v10, v11, v14 offset0:1 offset1:33
	v_xor_b32_e32 v10, 32, v47
	v_perm_b32 v11, v12, v16, s0
	v_perm_b32 v14, v20, v24, s0
	ds_write2st64_b32 v10, v11, v14 offset0:2 offset1:34
	v_xor_b32_e32 v10, 40, v47
	v_perm_b32 v11, v12, v16, s1
	v_perm_b32 v12, v20, v24, s1
	v_add_u32_e32 v10, 0x80, v10
	ds_write2st64_b32 v10, v11, v12 offset0:2 offset1:34
	v_xor_b32_e32 v10, 48, v47
	v_perm_b32 v11, v13, v17, s0
	v_perm_b32 v12, v21, v25, s0
	ds_write2st64_b32 v10, v11, v12 offset0:3 offset1:35
	v_xor_b32_e32 v10, 56, v47
	v_and_or_b32 v18, v45, 12, v54
	v_perm_b32 v11, v13, v17, s1
	v_perm_b32 v12, v21, v25, s1
	v_add_u32_e32 v10, 0x80, v10
	v_cmp_gt_i32_e32 vcc, s31, v18
	v_mov_b32_e32 v20, 0
	v_mov_b32_e32 v24, 0
	ds_write2st64_b32 v10, v11, v12 offset0:3 offset1:35
	s_and_saveexec_b64 s[0:1], vcc
	s_cbranch_execz .LBB617_61
; %bb.60:
	v_add_u32_e32 v10, s30, v18
	v_ashrrev_i32_e32 v11, 31, v10
	v_mul_lo_u32 v12, v11, s36
	v_mul_lo_u32 v13, v10, s37
	v_mad_u64_u32 v[10:11], s[2:3], v10, s36, 0
	v_add3_u32 v11, v11, v13, v12
	v_lshl_add_u64 v[10:11], v[10:11], 2, s[12:13]
	global_load_dword v10, v[10:11], off
	s_waitcnt vmcnt(0)
	v_sub_f32_e32 v10, s18, v10
	v_mul_f32_e32 v10, 0x3fb8aa3b, v10
	v_exp_f32_e32 v24, v10
.LBB617_61:
	s_or_b64 exec, exec, s[0:1]
	v_or_b32_e32 v23, 1, v18
	v_cmp_gt_i32_e64 s[4:5], s31, v23
	s_and_saveexec_b64 s[0:1], s[4:5]
	s_cbranch_execz .LBB617_63
; %bb.62:
	v_add_u32_e32 v10, s30, v23
	v_ashrrev_i32_e32 v11, 31, v10
	v_mul_lo_u32 v12, v11, s36
	v_mul_lo_u32 v13, v10, s37
	v_mad_u64_u32 v[10:11], s[2:3], v10, s36, 0
	v_add3_u32 v11, v11, v13, v12
	v_lshl_add_u64 v[10:11], v[10:11], 2, s[12:13]
	global_load_dword v10, v[10:11], off
	s_waitcnt vmcnt(0)
	v_sub_f32_e32 v10, s18, v10
	v_mul_f32_e32 v10, 0x3fb8aa3b, v10
	v_exp_f32_e32 v20, v10
.LBB617_63:
	s_or_b64 exec, exec, s[0:1]
	v_or_b32_e32 v21, 2, v18
	v_cmp_gt_i32_e64 s[0:1], s31, v21
	v_mov_b32_e32 v19, 0
	v_mov_b32_e32 v25, 0
	s_and_saveexec_b64 s[2:3], s[0:1]
	s_cbranch_execz .LBB617_65
; %bb.64:
	v_add_u32_e32 v10, s30, v21
	v_ashrrev_i32_e32 v11, 31, v10
	v_mul_lo_u32 v12, v11, s36
	v_mul_lo_u32 v13, v10, s37
	v_mad_u64_u32 v[10:11], s[6:7], v10, s36, 0
	v_add3_u32 v11, v11, v13, v12
	v_lshl_add_u64 v[10:11], v[10:11], 2, s[12:13]
	global_load_dword v10, v[10:11], off
	s_waitcnt vmcnt(0)
	v_sub_f32_e32 v10, s18, v10
	v_mul_f32_e32 v10, 0x3fb8aa3b, v10
	v_exp_f32_e32 v25, v10
.LBB617_65:
	s_or_b64 exec, exec, s[2:3]
	v_or_b32_e32 v22, 3, v18
	v_cmp_gt_i32_e64 s[2:3], s31, v22
	s_and_saveexec_b64 s[6:7], s[2:3]
	s_cbranch_execz .LBB617_67
; %bb.66:
	v_add_u32_e32 v10, s30, v22
	v_ashrrev_i32_e32 v11, 31, v10
	v_mul_lo_u32 v12, v11, s36
	v_mul_lo_u32 v13, v10, s37
	v_mad_u64_u32 v[10:11], s[14:15], v10, s36, 0
	v_add3_u32 v11, v11, v13, v12
	v_lshl_add_u64 v[10:11], v[10:11], 2, s[12:13]
	global_load_dword v10, v[10:11], off
	s_waitcnt vmcnt(0)
	v_sub_f32_e32 v10, s18, v10
	v_mul_f32_e32 v10, 0x3fb8aa3b, v10
	v_exp_f32_e32 v19, v10
.LBB617_67:
	s_or_b64 exec, exec, s[6:7]
	s_waitcnt lgkmcnt(11)
	v_mfma_f32_16x16x16_bf16 a[0:3], v[40:41], v[30:31], a[0:3]
	s_add_u32 s6, s16, s24
	v_ashrrev_i32_e32 v47, 31, v46
	s_addc_u32 s7, s17, s25
	s_waitcnt lgkmcnt(10)
	v_mfma_f32_16x16x16_bf16 a[0:3], v[38:39], v[32:33], a[0:3]
	v_lshlrev_b64 v[10:11], 1, v[46:47]
	v_lshl_add_u64 v[14:15], s[6:7], 0, v[10:11]
	s_add_u32 s6, s8, s24
	s_waitcnt lgkmcnt(9)
	v_mfma_f32_16x16x16_bf16 a[0:3], v[36:37], v[26:27], a[0:3]
	s_addc_u32 s7, s9, s25
	v_lshl_add_u64 v[16:17], s[6:7], 0, v[10:11]
	v_mov_b32_e32 v26, 0
	s_waitcnt lgkmcnt(8)
	v_mfma_f32_16x16x16_bf16 a[0:3], v[34:35], v[28:29], a[0:3]
	v_mov_b32_e32 v27, 0
	s_nop 5
	v_accvgpr_read_b32 v13, a3
	v_accvgpr_read_b32 v12, a2
	;; [unrolled: 1-line block ×4, first 2 shown]
	s_and_saveexec_b64 s[6:7], vcc
	s_cbranch_execz .LBB617_69
; %bb.68:
	v_lshlrev_b32_e32 v28, 8, v18
	v_mov_b32_e32 v29, 0
	v_lshl_add_u64 v[30:31], v[14:15], 0, v[28:29]
	global_load_ushort v27, v[30:31], off
	v_lshl_add_u64 v[28:29], v[16:17], 0, v[28:29]
	s_waitcnt vmcnt(0)
	v_lshlrev_b32_e32 v27, 16, v27
	v_sub_f32_e32 v10, v27, v10
	global_store_short_d16_hi v[28:29], v10, off
	v_mul_f32_e32 v10, v24, v10
	v_lshrrev_b32_e32 v27, 16, v10
.LBB617_69:
	s_or_b64 exec, exec, s[6:7]
	s_and_saveexec_b64 s[6:7], s[4:5]
	s_cbranch_execz .LBB617_71
; %bb.70:
	v_lshlrev_b32_e32 v28, 8, v23
	v_mov_b32_e32 v29, 0
	v_lshl_add_u64 v[30:31], v[14:15], 0, v[28:29]
	global_load_ushort v10, v[30:31], off
	v_lshl_add_u64 v[28:29], v[16:17], 0, v[28:29]
	s_waitcnt vmcnt(0)
	v_lshlrev_b32_e32 v10, 16, v10
	v_sub_f32_e32 v10, v10, v11
	global_store_short_d16_hi v[28:29], v10, off
	v_mul_f32_e32 v10, v20, v10
	v_lshrrev_b32_e32 v26, 16, v10
.LBB617_71:
	s_or_b64 exec, exec, s[6:7]
	v_mov_b32_e32 v11, 0
	v_mov_b32_e32 v20, 0
	s_and_saveexec_b64 s[4:5], s[0:1]
	s_cbranch_execz .LBB617_73
; %bb.72:
	v_lshlrev_b32_e32 v20, 8, v21
	v_mov_b32_e32 v21, 0
	v_lshl_add_u64 v[28:29], v[14:15], 0, v[20:21]
	global_load_ushort v10, v[28:29], off
	v_lshl_add_u64 v[20:21], v[16:17], 0, v[20:21]
	s_waitcnt vmcnt(0)
	v_lshlrev_b32_e32 v10, 16, v10
	v_sub_f32_e32 v10, v10, v12
	global_store_short_d16_hi v[20:21], v10, off
	v_mul_f32_e32 v10, v25, v10
	v_lshrrev_b32_e32 v20, 16, v10
.LBB617_73:
	s_or_b64 exec, exec, s[4:5]
	v_or_b32_e32 v10, 0x9800, v50
	s_and_saveexec_b64 s[0:1], s[2:3]
	s_cbranch_execz .LBB617_75
; %bb.74:
	v_lshlrev_b32_e32 v22, 8, v22
	v_mov_b32_e32 v23, 0
	v_lshl_add_u64 v[14:15], v[14:15], 0, v[22:23]
	global_load_ushort v11, v[14:15], off
	v_lshl_add_u64 v[14:15], v[16:17], 0, v[22:23]
	s_waitcnt vmcnt(0)
	v_lshlrev_b32_e32 v11, 16, v11
	v_sub_f32_e32 v11, v11, v13
	global_store_short_d16_hi v[14:15], v11, off
	v_mul_f32_e32 v11, v19, v11
	v_lshrrev_b32_e32 v11, 16, v11
.LBB617_75:
	s_or_b64 exec, exec, s[0:1]
	s_mov_b32 s0, 0x5040100
	v_perm_b32 v13, v11, v20, s0
	v_lshlrev_b32_e32 v11, 1, v48
	v_perm_b32 v12, v26, v27, s0
	v_lshl_or_b32 v11, v18, 5, v11
	s_movk_i32 s0, 0xff
	ds_write_b64 v11, v[12:13] offset:38912
	v_and_b32_e32 v11, 7, v0
	v_and_b32_e32 v12, 8, v0
	v_cmp_lt_u32_e32 vcc, s0, v0
	v_lshrrev_b32_e32 v0, 1, v0
	v_lshlrev_b32_e32 v22, 3, v1
	v_and_b32_e32 v23, 24, v0
	v_xor_b32_e32 v0, v22, v23
	v_cndmask_b32_e64 v13, 0, 1, vcc
	v_or_b32_e32 v1, 0x440, v0
	v_cmp_eq_u32_e32 vcc, 0, v12
	v_lshlrev_b32_e32 v20, 3, v11
	v_lshlrev_b32_e32 v11, 7, v11
	v_cndmask_b32_e32 v0, v1, v0, vcc
	v_or_b32_e32 v0, v0, v49
	v_lshlrev_b32_e32 v21, 13, v13
	v_xad_u32 v24, v0, v20, v11
	v_add_u32_e32 v0, v21, v24
	s_waitcnt lgkmcnt(0)
	s_barrier
	ds_read_b64 v[0:1], v0
	ds_read2st64_b64 v[12:15], v10 offset1:1
	ds_read2st64_b64 v[16:19], v10 offset0:2 offset1:3
	s_waitcnt lgkmcnt(1)
	v_mfma_f32_16x16x16_bf16 a[0:3], v[0:1], v[12:13], 0
	v_or_b32_e32 v0, 32, v23
	v_xor_b32_e32 v0, v22, v0
	v_or_b32_e32 v1, 0x440, v0
	v_cndmask_b32_e32 v0, v1, v0, vcc
	v_or_b32_e32 v0, v0, v49
	v_xad_u32 v25, v0, v20, v11
	v_add_u32_e32 v0, v21, v25
	ds_read_b64 v[0:1], v0
	v_or_b32_e32 v10, 0x60, v23
	s_waitcnt lgkmcnt(0)
	v_mfma_f32_16x16x16_bf16 a[0:3], v[0:1], v[14:15], a[0:3]
	v_or_b32_e32 v0, 64, v23
	v_xor_b32_e32 v0, v22, v0
	v_xor_b32_e32 v1, 0x440, v0
	v_cndmask_b32_e32 v0, v1, v0, vcc
	v_or_b32_e32 v0, v0, v49
	v_xad_u32 v26, v0, v20, v11
	v_add_u32_e32 v0, v21, v26
	ds_read_b64 v[0:1], v0
	v_xor_b32_e32 v10, v22, v10
	v_xor_b32_e32 v22, 0x440, v10
	v_cndmask_b32_e32 v10, v22, v10, vcc
	v_or_b32_e32 v10, v10, v49
	v_xad_u32 v22, v10, v20, v11
	v_add_u32_e32 v10, v21, v22
	ds_read_b64 v[10:11], v10
	s_waitcnt lgkmcnt(1)
	v_mfma_f32_16x16x16_bf16 a[0:3], v[0:1], v[16:17], a[0:3]
	ds_read_b64 v[0:1], v24 offset:8192
	ds_read_b64 v[20:21], v25 offset:8192
	v_mov_b32_e32 v23, 0x3fb8aa3b
	s_waitcnt lgkmcnt(2)
	v_mfma_f32_16x16x16_bf16 a[0:3], v[10:11], v[18:19], a[0:3]
	v_mul_f32_e32 v10, s18, v23
	v_exp_f32_e32 v23, v10
	ds_read_b64 v[10:11], v26 offset:8192
	s_waitcnt lgkmcnt(2)
	v_mfma_f32_16x16x16_bf16 a[4:7], v[0:1], v[12:13], 0
	ds_read_b64 v[12:13], v22 offset:8192
	s_nop 0
	v_accvgpr_read_b32 v0, a0
	v_accvgpr_read_b32 v1, a1
	s_waitcnt lgkmcnt(2)
	v_mfma_f32_16x16x16_bf16 a[4:7], v[20:21], v[14:15], a[4:7]
	v_fma_f32 v0, v2, v23, v0
	v_fma_f32 v1, v3, v23, v1
	v_accvgpr_read_b32 v2, a2
	s_waitcnt lgkmcnt(1)
	v_mfma_f32_16x16x16_bf16 a[4:7], v[10:11], v[16:17], a[4:7]
	v_accvgpr_read_b32 v3, a3
	v_fma_f32 v2, v4, v23, v2
	v_fmac_f32_e32 v3, v5, v23
	s_waitcnt lgkmcnt(0)
	v_mfma_f32_16x16x16_bf16 a[0:3], v[12:13], v[18:19], a[4:7]
	s_nop 6
	v_accvgpr_read_b32 v4, a0
	v_accvgpr_read_b32 v5, a1
	v_fma_f32 v4, v6, v23, v4
	v_fma_f32 v5, v7, v23, v5
	v_accvgpr_read_b32 v6, a2
	v_accvgpr_read_b32 v7, a3
	v_fma_f32 v6, v8, v23, v6
	v_fmac_f32_e32 v7, v9, v23
	v_mov_b64_e32 v[8:9], v[6:7]
	v_mov_b64_e32 v[6:7], v[4:5]
	;; [unrolled: 1-line block ×4, first 2 shown]
.LBB617_76:
	s_add_u32 s0, s10, s34
	s_addc_u32 s1, s11, s35
	v_lshl_add_u64 v[0:1], v[42:43], 1, s[0:1]
	v_mov_b32_e32 v45, 0
	s_mov_b32 s0, 0x7060302
	v_lshl_add_u64 v[0:1], v[0:1], 0, v[44:45]
	v_perm_b32 v5, v5, v4, s0
	v_perm_b32 v4, v3, v2, s0
	;; [unrolled: 1-line block ×4, first 2 shown]
	global_store_dwordx2 v[0:1], v[4:5], off
	global_store_dwordx2 v[0:1], v[2:3], off offset:128
	s_endpgm
	.section	.rodata,"a",@progbits
	.p2align	6, 0x0
	.amdhsa_kernel _ZN12_GLOBAL__N_139chunk_gated_delta_rule_fwd_h_hip_kernelILi16ELb1ELb1ELb1ELb0ELb0ELb0ELb1ELb1EEEvPK12hip_bfloat16S3_S3_PKfS5_PKvPS1_S8_PvPKiSB_iiiiilll
		.amdhsa_group_segment_fixed_size 40960
		.amdhsa_private_segment_fixed_size 0
		.amdhsa_kernarg_size 136
		.amdhsa_user_sgpr_count 2
		.amdhsa_user_sgpr_dispatch_ptr 0
		.amdhsa_user_sgpr_queue_ptr 0
		.amdhsa_user_sgpr_kernarg_segment_ptr 1
		.amdhsa_user_sgpr_dispatch_id 0
		.amdhsa_user_sgpr_kernarg_preload_length 0
		.amdhsa_user_sgpr_kernarg_preload_offset 0
		.amdhsa_user_sgpr_private_segment_size 0
		.amdhsa_uses_dynamic_stack 0
		.amdhsa_enable_private_segment 0
		.amdhsa_system_sgpr_workgroup_id_x 1
		.amdhsa_system_sgpr_workgroup_id_y 1
		.amdhsa_system_sgpr_workgroup_id_z 0
		.amdhsa_system_sgpr_workgroup_info 0
		.amdhsa_system_vgpr_workitem_id 0
		.amdhsa_next_free_vgpr 120
		.amdhsa_next_free_sgpr 72
		.amdhsa_accum_offset 112
		.amdhsa_reserve_vcc 1
		.amdhsa_float_round_mode_32 0
		.amdhsa_float_round_mode_16_64 0
		.amdhsa_float_denorm_mode_32 3
		.amdhsa_float_denorm_mode_16_64 3
		.amdhsa_dx10_clamp 1
		.amdhsa_ieee_mode 1
		.amdhsa_fp16_overflow 0
		.amdhsa_tg_split 0
		.amdhsa_exception_fp_ieee_invalid_op 0
		.amdhsa_exception_fp_denorm_src 0
		.amdhsa_exception_fp_ieee_div_zero 0
		.amdhsa_exception_fp_ieee_overflow 0
		.amdhsa_exception_fp_ieee_underflow 0
		.amdhsa_exception_fp_ieee_inexact 0
		.amdhsa_exception_int_div_zero 0
	.end_amdhsa_kernel
	.section	.text._ZN12_GLOBAL__N_139chunk_gated_delta_rule_fwd_h_hip_kernelILi16ELb1ELb1ELb1ELb0ELb0ELb0ELb1ELb1EEEvPK12hip_bfloat16S3_S3_PKfS5_PKvPS1_S8_PvPKiSB_iiiiilll,"axG",@progbits,_ZN12_GLOBAL__N_139chunk_gated_delta_rule_fwd_h_hip_kernelILi16ELb1ELb1ELb1ELb0ELb0ELb0ELb1ELb1EEEvPK12hip_bfloat16S3_S3_PKfS5_PKvPS1_S8_PvPKiSB_iiiiilll,comdat
.Lfunc_end617:
	.size	_ZN12_GLOBAL__N_139chunk_gated_delta_rule_fwd_h_hip_kernelILi16ELb1ELb1ELb1ELb0ELb0ELb0ELb1ELb1EEEvPK12hip_bfloat16S3_S3_PKfS5_PKvPS1_S8_PvPKiSB_iiiiilll, .Lfunc_end617-_ZN12_GLOBAL__N_139chunk_gated_delta_rule_fwd_h_hip_kernelILi16ELb1ELb1ELb1ELb0ELb0ELb0ELb1ELb1EEEvPK12hip_bfloat16S3_S3_PKfS5_PKvPS1_S8_PvPKiSB_iiiiilll
                                        ; -- End function
	.section	.AMDGPU.csdata,"",@progbits
; Kernel info:
; codeLenInByte = 8020
; NumSgprs: 78
; NumVgprs: 112
; NumAgprs: 8
; TotalNumVgprs: 120
; ScratchSize: 0
; MemoryBound: 0
; FloatMode: 240
; IeeeMode: 1
; LDSByteSize: 40960 bytes/workgroup (compile time only)
; SGPRBlocks: 9
; VGPRBlocks: 14
; NumSGPRsForWavesPerEU: 78
; NumVGPRsForWavesPerEU: 120
; AccumOffset: 112
; Occupancy: 1
; WaveLimiterHint : 1
; COMPUTE_PGM_RSRC2:SCRATCH_EN: 0
; COMPUTE_PGM_RSRC2:USER_SGPR: 2
; COMPUTE_PGM_RSRC2:TRAP_HANDLER: 0
; COMPUTE_PGM_RSRC2:TGID_X_EN: 1
; COMPUTE_PGM_RSRC2:TGID_Y_EN: 1
; COMPUTE_PGM_RSRC2:TGID_Z_EN: 0
; COMPUTE_PGM_RSRC2:TIDIG_COMP_CNT: 0
; COMPUTE_PGM_RSRC3_GFX90A:ACCUM_OFFSET: 27
; COMPUTE_PGM_RSRC3_GFX90A:TG_SPLIT: 0
	.section	.text._ZN12_GLOBAL__N_139chunk_gated_delta_rule_fwd_h_hip_kernelILi16ELb1ELb1ELb0ELb0ELb0ELb0ELb1ELb1EEEvPK12hip_bfloat16S3_S3_PKfS5_PKvPS1_S8_PvPKiSB_iiiiilll,"axG",@progbits,_ZN12_GLOBAL__N_139chunk_gated_delta_rule_fwd_h_hip_kernelILi16ELb1ELb1ELb0ELb0ELb0ELb0ELb1ELb1EEEvPK12hip_bfloat16S3_S3_PKfS5_PKvPS1_S8_PvPKiSB_iiiiilll,comdat
	.globl	_ZN12_GLOBAL__N_139chunk_gated_delta_rule_fwd_h_hip_kernelILi16ELb1ELb1ELb0ELb0ELb0ELb0ELb1ELb1EEEvPK12hip_bfloat16S3_S3_PKfS5_PKvPS1_S8_PvPKiSB_iiiiilll ; -- Begin function _ZN12_GLOBAL__N_139chunk_gated_delta_rule_fwd_h_hip_kernelILi16ELb1ELb1ELb0ELb0ELb0ELb0ELb1ELb1EEEvPK12hip_bfloat16S3_S3_PKfS5_PKvPS1_S8_PvPKiSB_iiiiilll
	.p2align	8
	.type	_ZN12_GLOBAL__N_139chunk_gated_delta_rule_fwd_h_hip_kernelILi16ELb1ELb1ELb0ELb0ELb0ELb0ELb1ELb1EEEvPK12hip_bfloat16S3_S3_PKfS5_PKvPS1_S8_PvPKiSB_iiiiilll,@function
_ZN12_GLOBAL__N_139chunk_gated_delta_rule_fwd_h_hip_kernelILi16ELb1ELb1ELb0ELb0ELb0ELb0ELb1ELb1EEEvPK12hip_bfloat16S3_S3_PKfS5_PKvPS1_S8_PvPKiSB_iiiiilll: ; @_ZN12_GLOBAL__N_139chunk_gated_delta_rule_fwd_h_hip_kernelILi16ELb1ELb1ELb0ELb0ELb0ELb0ELb1ELb1EEEvPK12hip_bfloat16S3_S3_PKfS5_PKvPS1_S8_PvPKiSB_iiiiilll
; %bb.0:
	s_load_dwordx4 s[12:15], s[0:1], 0x5c
	s_load_dwordx4 s[20:23], s[0:1], 0x70
	s_abs_i32 s6, s3
	s_ashr_i32 s5, s3, 31
	s_load_dwordx4 s[16:19], s[0:1], 0x28
	s_waitcnt lgkmcnt(0)
	s_abs_i32 s4, s13
	v_cvt_f32_u32_e32 v1, s4
	s_sub_i32 s8, 0, s4
	s_ashr_i32 s7, s13, 31
	s_xor_b32 s5, s5, s7
	v_rcp_iflag_f32_e32 v1, v1
	v_and_b32_e32 v54, 15, v0
	v_bfe_u32 v53, v0, 4, 2
	v_mov_b32_e32 v45, 0
	v_mul_f32_e32 v1, 0x4f7ffffe, v1
	v_cvt_u32_f32_e32 v1, v1
	v_lshlrev_b32_e32 v55, 3, v0
	v_readfirstlane_b32 s9, v1
	s_mul_i32 s8, s8, s9
	s_mul_hi_u32 s8, s9, s8
	s_add_i32 s9, s9, s8
	s_mul_hi_u32 s8, s6, s9
	s_mul_i32 s9, s8, s4
	s_sub_i32 s6, s6, s9
	s_add_i32 s10, s8, 1
	s_sub_i32 s9, s6, s4
	s_cmp_ge_u32 s6, s4
	s_cselect_b32 s8, s10, s8
	s_cselect_b32 s6, s9, s6
	s_add_i32 s9, s8, 1
	s_cmp_ge_u32 s6, s4
	s_cselect_b32 s6, s9, s8
	s_xor_b32 s6, s6, s5
	s_add_i32 s8, s12, 63
	s_sub_i32 s53, s6, s5
	s_ashr_i32 s9, s8, 31
	s_mul_i32 s5, s53, s13
	s_sub_i32 s51, s3, s5
	s_lshr_b32 s3, s9, 26
	s_add_i32 s8, s8, s3
	s_abs_i32 s3, s14
	v_cvt_f32_u32_e32 v1, s3
	s_ashr_i32 s52, s12, 31
	s_lshr_b32 s6, s52, 26
	s_add_i32 s6, s12, s6
	v_rcp_iflag_f32_e32 v1, v1
	s_ashr_i32 s56, s14, 31
	s_ashr_i32 s24, s8, 6
	;; [unrolled: 1-line block ×3, first 2 shown]
	v_mul_f32_e32 v1, 0x4f7ffffe, v1
	v_cvt_u32_f32_e32 v1, v1
	s_xor_b32 s6, s7, s56
	s_sub_i32 s7, 0, s3
	s_lshl_b32 s2, s2, 4
	v_readfirstlane_b32 s8, v1
	s_mul_i32 s7, s7, s8
	s_mul_hi_u32 s7, s8, s7
	s_add_i32 s8, s8, s7
	s_mul_hi_u32 s7, s4, s8
	s_mul_i32 s8, s7, s3
	s_sub_i32 s4, s4, s8
	s_add_i32 s8, s7, 1
	s_sub_i32 s9, s4, s3
	s_cmp_ge_u32 s4, s3
	s_cselect_b32 s7, s8, s7
	s_cselect_b32 s4, s9, s4
	s_add_i32 s8, s7, 1
	s_cmp_ge_u32 s4, s3
	s_cselect_b32 s3, s8, s7
	s_xor_b32 s3, s3, s6
	s_sub_i32 s3, s3, s6
	s_abs_i32 s4, s3
	v_cvt_f32_u32_e32 v1, s4
	s_sub_i32 s7, 0, s4
	s_abs_i32 s6, s51
	s_xor_b32 s3, s51, s3
	v_rcp_iflag_f32_e32 v2, v1
	s_ashr_i32 s3, s3, 31
	v_lshrrev_b32_e32 v1, 6, v0
	v_or_b32_e32 v46, s2, v54
	v_mul_f32_e32 v2, 0x4f7ffffe, v2
	v_cvt_u32_f32_e32 v2, v2
	v_lshlrev_b32_e32 v52, 4, v1
	v_lshlrev_b32_e32 v42, 7, v46
	v_lshl_or_b32 v57, v53, 2, v52
	v_readfirstlane_b32 s8, v2
	s_mul_i32 s7, s7, s8
	s_mul_hi_u32 s7, s8, s7
	s_add_i32 s8, s8, s7
	s_mul_hi_u32 s7, s6, s8
	s_mul_i32 s8, s7, s4
	s_sub_i32 s6, s6, s8
	s_add_i32 s8, s7, 1
	s_sub_i32 s9, s6, s4
	s_cmp_ge_u32 s6, s4
	s_cselect_b32 s7, s8, s7
	s_cselect_b32 s6, s9, s6
	s_add_i32 s8, s7, 1
	s_cmp_ge_u32 s6, s4
	s_cselect_b32 s4, s8, s7
	s_xor_b32 s4, s4, s3
	s_sub_i32 s57, s4, s3
	s_ashr_i32 s3, s53, 31
	s_ashr_i32 s55, s51, 31
	s_mul_hi_i32 s4, s53, s13
	s_add_u32 s40, s5, s51
	s_addc_u32 s41, s4, s55
	s_lshl_b64 s[28:29], s[40:41], 15
	s_add_u32 s4, s16, s28
	s_addc_u32 s5, s17, s29
	v_ashrrev_i32_e32 v43, 31, v42
	v_lshl_add_u64 v[2:3], v[42:43], 1, s[4:5]
	v_lshlrev_b32_e32 v44, 1, v57
	v_lshl_add_u64 v[2:3], v[2:3], 0, v[44:45]
	global_load_dwordx2 v[4:5], v[2:3], off
	global_load_dwordx2 v[8:9], v[2:3], off offset:128
	s_load_dwordx2 s[30:31], s[0:1], 0x40
	s_load_dwordx8 s[4:11], s[0:1], 0x0
	s_load_dwordx2 s[34:35], s[0:1], 0x80
	v_and_b32_e32 v45, 63, v0
	v_lshrrev_b32_e32 v56, 3, v45
	v_or_b32_e32 v58, 64, v57
	s_mul_i32 s33, s53, s21
	s_mul_hi_u32 s46, s53, s20
	s_mul_i32 s38, s53, s20
	s_mul_i32 s58, s53, s24
	;; [unrolled: 1-line block ×3, first 2 shown]
	s_mul_hi_u32 s48, s51, s22
	s_mul_i32 s50, s3, s20
	s_mul_i32 s49, s55, s22
	s_mul_hi_u32 s59, s40, s12
	s_mul_i32 s16, s40, s12
	s_mul_i32 s41, s41, s12
	s_cmp_lt_i32 s12, 64
	s_mul_i32 s36, s51, s22
	s_waitcnt vmcnt(1)
	v_and_b32_e32 v3, 0xffff0000, v4
	v_lshlrev_b32_e32 v2, 16, v4
	v_and_b32_e32 v59, 0xffff0000, v5
	v_lshlrev_b32_e32 v4, 16, v5
	s_waitcnt vmcnt(0)
	v_and_b32_e32 v7, 0xffff0000, v8
	v_lshlrev_b32_e32 v6, 16, v8
	v_and_b32_e32 v60, 0xffff0000, v9
	v_lshlrev_b32_e32 v8, 16, v9
	s_cbranch_scc1 .LBB618_3
; %bb.1:
	s_add_i32 s17, s59, s41
	s_lshl_b64 s[0:1], s[16:17], 8
	v_and_b32_e32 v62, 56, v55
	s_waitcnt lgkmcnt(0)
	s_add_u32 s20, s6, s0
	v_lshl_or_b32 v61, v1, 3, v56
	v_lshlrev_b32_e32 v5, 1, v62
	s_addc_u32 s0, s7, s1
	v_lshl_or_b32 v63, v61, 8, v5
	s_and_b32 s21, s0, 0xffff
	s_mov_b32 s23, 0x20000
	s_movk_i32 s22, 0x4000
	s_movk_i32 s0, 0x80
	v_or_b32_e32 v64, 0x2000, v63
	buffer_load_dwordx4 v[10:13], v63, s[20:23], 0 offen
	buffer_load_dwordx4 v[14:17], v63, s[20:23], s0 offen
	;; [unrolled: 1-line block ×4, first 2 shown]
	v_lshlrev_b32_e32 v9, 3, v61
	v_and_or_b32 v27, v0, 7, v9
	v_and_b32_e32 v9, 0x78, v9
	v_lshlrev_b32_e32 v27, 4, v27
	v_xor_b32_e32 v65, v27, v9
	v_mul_lo_u32 v26, v61, s15
	v_or_b32_e32 v66, 0x1000, v65
	v_xor_b32_e32 v9, 8, v65
	s_cmpk_eq_i32 s15, 0x80
	s_mov_b32 s60, s14
	v_xor_b32_e32 v27, 8, v66
	s_cselect_b64 s[0:1], -1, 0
	s_cmpk_lg_i32 s15, 0x80
	s_waitcnt vmcnt(3)
	ds_write_b64 v65, v[10:11] offset:16384
	ds_write_b64 v9, v[12:13] offset:16384
	s_waitcnt vmcnt(2)
	ds_write_b64 v65, v[14:15] offset:24576
	ds_write_b64 v9, v[16:17] offset:24576
	;; [unrolled: 3-line block ×4, first 2 shown]
	v_lshl_add_u32 v9, v26, 1, v62
	s_cbranch_scc0 .LBB618_29
; %bb.2:
	v_lshlrev_b32_e32 v11, 1, v9
	v_add_lshl_u32 v10, v9, s15, 1
	s_lshl_b32 s22, s15, 7
	v_lshl_or_b32 v5, v61, 9, v5
	s_cbranch_execz .LBB618_30
	s_branch .LBB618_31
.LBB618_3:
	v_mov_b32_e32 v9, v60
	v_mov_b32_e32 v5, v59
.LBB618_4:
	s_lshl_b32 s26, s54, 6
	s_sub_i32 s27, s12, s26
	s_cmp_gt_i32 s27, 0
	s_cbranch_scc0 .LBB618_76
; %bb.5:
	s_ashr_i32 s3, s26, 31
	s_cmpk_lg_i32 s15, 0x80
	s_cselect_b64 s[22:23], -1, 0
	s_and_b64 vcc, exec, s[22:23]
	s_cbranch_vccz .LBB618_7
; %bb.6:
	s_mul_i32 s1, s53, s12
	s_mul_hi_i32 s0, s53, s12
	s_add_u32 s1, s1, s26
	s_addc_u32 s0, s0, s3
	s_mul_i32 s17, s1, s56
	s_mul_hi_u32 s20, s1, s14
	s_add_i32 s17, s20, s17
	s_mul_i32 s0, s0, s14
	s_add_i32 s17, s17, s0
	s_mul_i32 s1, s1, s14
	s_ashr_i32 s0, s57, 31
	s_add_u32 s24, s1, s57
	s_addc_u32 s25, s17, s0
	s_cbranch_execz .LBB618_8
	s_branch .LBB618_9
.LBB618_7:
                                        ; implicit-def: $sgpr24_sgpr25
.LBB618_8:
	s_mul_hi_i32 s0, s53, s14
	s_mul_i32 s53, s53, s14
	s_ashr_i32 s1, s57, 31
	s_add_u32 s14, s53, s57
	s_addc_u32 s0, s0, s1
	s_mul_i32 s1, s14, s52
	s_mul_hi_u32 s17, s14, s12
	s_add_i32 s1, s17, s1
	s_mul_i32 s0, s0, s12
	s_add_i32 s1, s1, s0
	s_mul_i32 s14, s14, s12
	s_add_u32 s24, s14, s26
	s_addc_u32 s25, s1, s3
.LBB618_9:
	s_mul_i32 s0, s40, s52
	s_add_i32 s0, s59, s0
	s_add_i32 s14, s58, s54
	;; [unrolled: 1-line block ×3, first 2 shown]
	s_add_u32 s0, s16, s26
	s_addc_u32 s1, s1, s3
	s_mov_b32 s3, 0x7060302
	v_lshlrev_b32_e32 v14, 3, v54
	s_lshl_b64 s[20:21], s[0:1], 8
	v_perm_b32 v11, v5, v4, s3
	v_perm_b32 v10, v3, v2, s3
	;; [unrolled: 1-line block ×4, first 2 shown]
	v_lshlrev_b32_e32 v48, 2, v54
	v_lshl_or_b32 v14, v57, 5, v14
	s_waitcnt lgkmcnt(0)
	s_add_u32 s0, s6, s20
	ds_write2st64_b64 v14, v[10:11], v[12:13] offset0:72 offset1:76
	v_xor_b32_e32 v14, v57, v48
	v_lshlrev_b32_e32 v15, 8, v54
	s_addc_u32 s1, s7, s21
	v_lshl_or_b32 v14, v14, 1, v15
	s_mul_hi_i32 s3, s14, s13
	s_mul_i32 s14, s14, s13
	ds_write_b64 v14, v[10:11] offset:32768
	v_xor_b32_e32 v10, v58, v48
	s_add_u32 s6, s14, s51
	v_lshl_or_b32 v10, v10, 1, v15
	s_addc_u32 s7, s3, s55
	v_lshlrev_b32_e32 v11, 1, v54
	ds_write_b64 v10, v[12:13] offset:32768
	v_lshrrev_b32_e32 v10, 4, v0
	s_ashr_i32 s3, s2, 31
	s_lshl_b64 s[6:7], s[6:7], 15
	v_or_b32_e32 v12, 1, v11
	s_add_u32 s6, s18, s6
	v_xor_b32_e32 v11, v10, v11
	v_xor_b32_e32 v12, v12, v10
	v_lshlrev_b32_e32 v14, 8, v10
	s_addc_u32 s7, s19, s7
	s_lshl_b64 s[2:3], s[2:3], 8
	v_lshl_or_b32 v10, v11, 3, v14
	v_lshl_or_b32 v12, v12, 3, v14
	s_waitcnt lgkmcnt(0)
	s_barrier
	s_add_u32 s2, s6, s2
	ds_read_b64 v[10:11], v10 offset:32768
	ds_read_b64 v[12:13], v12 offset:32768
	s_addc_u32 s3, s7, s3
	v_mov_b32_e32 v15, 0
	s_cmp_lg_u32 s27, 64
	v_lshl_add_u64 v[16:17], s[2:3], 0, v[14:15]
	v_lshlrev_b32_e32 v14, 4, v54
	s_cselect_b64 s[6:7], -1, 0
	v_lshl_or_b32 v47, v1, 3, v56
	s_mov_b32 s16, 0
	v_lshl_add_u64 v[14:15], v[16:17], 0, v[14:15]
	s_waitcnt vmcnt(1)
	v_or_b32_e32 v27, 32, v47
	v_and_b32_e32 v26, 56, v55
	s_and_b64 vcc, exec, s[6:7]
	s_waitcnt lgkmcnt(0)
	global_store_dwordx4 v[14:15], v[10:13], off
	s_cbranch_vccz .LBB618_15
; %bb.10:
	s_mov_b32 s17, s16
	s_mov_b32 s18, s16
	s_mov_b32 s19, s16
	v_mov_b64_e32 v[14:15], s[16:17]
	v_mov_b64_e32 v[16:17], s[18:19]
	;; [unrolled: 1-line block ×3, first 2 shown]
	v_cmp_gt_i32_e32 vcc, s27, v47
	v_mov_b64_e32 v[12:13], v[16:17]
	s_and_saveexec_b64 s[2:3], vcc
	s_cbranch_execz .LBB618_12
; %bb.11:
	v_lshlrev_b32_e32 v10, 8, v47
	v_mov_b32_e32 v11, 0
	v_lshl_add_u64 v[12:13], s[0:1], 0, v[10:11]
	v_lshlrev_b32_e32 v10, 1, v26
	v_lshl_add_u64 v[18:19], v[12:13], 0, v[10:11]
	global_load_dwordx4 v[14:17], v[18:19], off
	global_load_dwordx4 v[10:13], v[18:19], off offset:128
.LBB618_12:
	s_or_b64 exec, exec, s[2:3]
	s_mov_b32 s18, s16
	s_mov_b32 s19, s16
	;; [unrolled: 1-line block ×3, first 2 shown]
	v_mov_b64_e32 v[24:25], s[18:19]
	v_mov_b64_e32 v[22:23], s[16:17]
	;; [unrolled: 1-line block ×3, first 2 shown]
	v_cmp_gt_i32_e32 vcc, s27, v27
	v_lshlrev_b32_e32 v28, 7, v27
	v_mov_b64_e32 v[20:21], v[24:25]
	s_and_saveexec_b64 s[2:3], vcc
	s_cbranch_execz .LBB618_14
; %bb.13:
	v_lshlrev_b32_e32 v18, 1, v28
	v_mov_b32_e32 v19, 0
	v_lshl_add_u64 v[20:21], s[0:1], 0, v[18:19]
	v_lshlrev_b32_e32 v18, 1, v26
	v_lshl_add_u64 v[30:31], v[20:21], 0, v[18:19]
	global_load_dwordx4 v[22:25], v[30:31], off
	global_load_dwordx4 v[18:21], v[30:31], off offset:128
.LBB618_14:
	s_or_b64 exec, exec, s[2:3]
	v_lshrrev_b32_e32 v29, 3, v26
	v_lshlrev_b32_e32 v30, 3, v47
	v_or_b32_e32 v29, v30, v29
	v_lshlrev_b32_e32 v29, 4, v29
	v_and_b32_e32 v30, 0x78, v30
	v_xor_b32_e32 v29, v29, v30
	s_branch .LBB618_17
.LBB618_15:
                                        ; implicit-def: $vgpr29
                                        ; implicit-def: $vgpr28
                                        ; implicit-def: $vgpr14_vgpr15_vgpr16_vgpr17
                                        ; implicit-def: $vgpr10_vgpr11_vgpr12_vgpr13
                                        ; implicit-def: $vgpr22_vgpr23_vgpr24_vgpr25
                                        ; implicit-def: $vgpr18_vgpr19_vgpr20_vgpr21
	s_cbranch_execz .LBB618_17
; %bb.16:
	s_waitcnt vmcnt(0)
	v_lshlrev_b32_e32 v10, 1, v26
	v_lshl_or_b32 v28, v47, 8, v10
	s_and_b32 s1, s1, 0xffff
	s_mov_b32 s3, 0x20000
	s_movk_i32 s2, 0x4000
	v_lshl_or_b32 v29, v27, 8, v10
	s_movk_i32 s13, 0x80
	buffer_load_dwordx4 v[14:17], v28, s[0:3], 0 offen
	buffer_load_dwordx4 v[10:13], v28, s[0:3], s13 offen
	;; [unrolled: 1-line block ×4, first 2 shown]
	v_lshrrev_b32_e32 v28, 3, v26
	v_lshlrev_b32_e32 v29, 3, v47
	v_or_b32_e32 v28, v29, v28
	v_lshlrev_b32_e32 v28, 4, v28
	v_and_b32_e32 v29, 0x78, v29
	v_xor_b32_e32 v29, v28, v29
	v_lshlrev_b32_e32 v28, 7, v27
.LBB618_17:
	s_lshl_b64 s[0:1], s[24:25], 8
	s_add_u32 s4, s4, s0
	s_movk_i32 s0, 0x1000
	v_and_or_b32 v27, v28, s0, v29
	s_waitcnt vmcnt(1)
	ds_write_b64 v29, v[14:15] offset:16384
	v_xor_b32_e32 v14, 8, v29
	ds_write_b64 v14, v[16:17] offset:16384
	s_waitcnt vmcnt(0)
	ds_write_b64 v29, v[10:11] offset:24576
	ds_write_b64 v14, v[12:13] offset:24576
	;; [unrolled: 1-line block ×3, first 2 shown]
	v_xor_b32_e32 v10, 8, v27
	ds_write_b64 v10, v[24:25] offset:16384
	ds_write_b64 v27, v[18:19] offset:24576
	;; [unrolled: 1-line block ×3, first 2 shown]
	v_or_b32_e32 v10, v52, v54
	s_addc_u32 s5, s5, s1
	s_add_i32 s0, s12, -1
	v_lshlrev_b32_e32 v10, 3, v10
	v_lshrrev_b32_e32 v12, 5, v45
	s_movk_i32 s12, 0xf8
	v_and_or_b32 v12, v10, s12, v12
	v_lshlrev_b32_e32 v49, 11, v1
	v_lshlrev_b32_e32 v20, 4, v12
	v_and_b32_e32 v21, 0x78, v10
	v_and_b32_e32 v22, 0x1000, v49
	v_lshlrev_b32_e32 v11, 2, v0
	v_xor_b32_e32 v10, v20, v21
	v_lshrrev_b32_e32 v12, 1, v45
	v_and_b32_e32 v11, 60, v11
	v_or_b32_e32 v10, v10, v22
	v_and_b32_e32 v23, 8, v12
	v_xor_b32_e32 v34, v10, v23
	v_lshl_or_b32 v10, v53, 6, v11
	v_lshlrev_b32_e32 v50, 1, v10
	v_or_b32_e32 v10, 32, v20
	v_xor_b32_e32 v10, v10, v21
	s_waitcnt lgkmcnt(0)
	s_barrier
	ds_read_b64 v[18:19], v34 offset:16384
	v_or_b32_e32 v10, v10, v22
	v_xor_b32_e32 v35, v10, v23
	v_or_b32_e32 v10, 64, v20
	v_xor_b32_e32 v10, v10, v21
	v_or_b32_e32 v10, v10, v22
	v_or_b32_e32 v20, 0x60, v20
	v_xor_b32_e32 v36, v10, v23
	ds_read2st64_b64 v[10:13], v50 offset0:72 offset1:73
	ds_read2st64_b64 v[14:17], v50 offset0:74 offset1:75
	v_xor_b32_e32 v24, v20, v21
	ds_read_b64 v[20:21], v35 offset:16384
	s_add_i32 s1, s46, s33
	s_waitcnt lgkmcnt(2)
	v_mfma_f32_16x16x16_bf16 a[0:3], v[18:19], v[10:11], 0
	s_add_i32 s39, s1, s50
	s_add_i32 s1, s48, s47
	;; [unrolled: 1-line block ×3, first 2 shown]
	s_ashr_i32 s1, s0, 31
	s_mul_i32 s2, s0, s35
	s_mul_hi_u32 s3, s0, s34
	s_add_i32 s2, s3, s2
	s_mul_i32 s1, s1, s34
	v_or_b32_e32 v22, v24, v22
	s_add_i32 s1, s2, s1
	s_lshl_b64 s[2:3], s[38:39], 2
	v_xor_b32_e32 v51, v22, v23
	ds_read_b64 v[22:23], v36 offset:16384
	ds_read_b64 v[24:25], v51 offset:16384
	s_waitcnt lgkmcnt(2)
	v_mfma_f32_16x16x16_bf16 a[0:3], v[20:21], v[12:13], a[0:3]
	s_add_u32 s10, s10, s2
	s_addc_u32 s11, s11, s3
	s_lshl_b64 s[2:3], s[36:37], 2
	s_mul_i32 s0, s0, s34
	s_add_u32 s10, s10, s2
	s_addc_u32 s11, s11, s3
	s_lshl_b64 s[0:1], s[0:1], 2
	s_waitcnt lgkmcnt(1)
	v_mfma_f32_16x16x16_bf16 a[0:3], v[22:23], v[14:15], a[0:3]
	s_add_u32 s0, s10, s0
	s_addc_u32 s1, s11, s1
	s_load_dword s12, s[0:1], 0x0
	s_waitcnt lgkmcnt(0)
	v_mfma_f32_16x16x16_bf16 a[0:3], v[24:25], v[16:17], a[0:3]
	s_and_b64 vcc, exec, s[22:23]
	s_cbranch_vccz .LBB618_28
; %bb.18:
	v_lshlrev_b32_e32 v27, 1, v47
	s_and_b64 vcc, exec, s[6:7]
	s_cbranch_vccz .LBB618_44
; %bb.19:
	v_cmp_gt_i32_e32 vcc, s27, v27
	v_mov_b32_e32 v14, 0
	v_mov_b32_e32 v10, 0
	v_mov_b32_e32 v11, 0
	v_mov_b32_e32 v12, 0
	v_mov_b32_e32 v13, 0
	s_and_saveexec_b64 s[0:1], vcc
	s_cbranch_execz .LBB618_21
; %bb.20:
	v_mad_i64_i32 v[10:11], s[2:3], s15, v27, 0
	v_lshl_add_u64 v[10:11], v[10:11], 1, s[4:5]
	v_lshlrev_b32_e32 v12, 1, v26
	v_mov_b32_e32 v13, 0
	v_lshl_add_u64 v[10:11], v[10:11], 0, v[12:13]
	global_load_dwordx4 v[10:13], v[10:11], off
.LBB618_21:
	s_or_b64 exec, exec, s[0:1]
	v_or_b32_e32 v28, 1, v27
	v_cmp_gt_i32_e64 s[0:1], s27, v28
	v_mov_b32_e32 v15, 0
	v_mov_b32_e32 v16, 0
	;; [unrolled: 1-line block ×3, first 2 shown]
	s_and_saveexec_b64 s[2:3], s[0:1]
	s_cbranch_execz .LBB618_23
; %bb.22:
	v_mad_i64_i32 v[14:15], s[16:17], s15, v28, 0
	v_lshl_add_u64 v[14:15], v[14:15], 1, s[4:5]
	v_lshlrev_b32_e32 v16, 1, v26
	v_mov_b32_e32 v17, 0
	v_lshl_add_u64 v[14:15], v[14:15], 0, v[16:17]
	global_load_dwordx4 v[14:17], v[14:15], off
.LBB618_23:
	s_or_b64 exec, exec, s[2:3]
	v_mov_b32_e32 v25, 0
	v_mov_b32_e32 v18, 0
	;; [unrolled: 1-line block ×5, first 2 shown]
	s_and_saveexec_b64 s[2:3], vcc
	s_cbranch_execz .LBB618_25
; %bb.24:
	v_mad_i64_i32 v[18:19], s[16:17], s15, v27, 0
	v_lshl_add_u64 v[18:19], v[18:19], 1, s[4:5]
	v_lshlrev_b32_e32 v20, 1, v26
	v_mov_b32_e32 v21, 0
	v_lshl_add_u64 v[18:19], v[18:19], 0, v[20:21]
	global_load_dwordx4 v[18:21], v[18:19], off offset:128
.LBB618_25:
	s_or_b64 exec, exec, s[2:3]
	v_mov_b32_e32 v24, 0
	v_mov_b32_e32 v23, 0
	;; [unrolled: 1-line block ×3, first 2 shown]
	s_and_saveexec_b64 s[2:3], s[0:1]
	s_cbranch_execz .LBB618_27
; %bb.26:
	v_mad_i64_i32 v[22:23], s[0:1], s15, v28, 0
	v_lshl_add_u64 v[22:23], v[22:23], 1, s[4:5]
	v_lshlrev_b32_e32 v24, 1, v26
	v_mov_b32_e32 v25, 0
	v_lshl_add_u64 v[22:23], v[22:23], 0, v[24:25]
	global_load_dwordx4 v[22:25], v[22:23], off offset:128
.LBB618_27:
	s_or_b64 exec, exec, s[2:3]
	s_branch .LBB618_46
.LBB618_28:
                                        ; implicit-def: $vgpr13
                                        ; implicit-def: $vgpr17
                                        ; implicit-def: $vgpr21
                                        ; implicit-def: $vgpr25
	v_lshrrev_b32_e32 v45, 2, v45
	s_branch .LBB618_47
.LBB618_29:
                                        ; implicit-def: $vgpr10
                                        ; implicit-def: $vgpr11
                                        ; implicit-def: $sgpr22
	v_lshl_or_b32 v5, v61, 9, v5
.LBB618_30:
	v_or_b32_e32 v10, 0x100, v5
	s_movk_i32 s22, 0x4000
	v_mov_b32_e32 v11, v5
.LBB618_31:
	s_mul_hi_u32 s20, s14, s12
	s_mul_i32 s21, s56, s12
	s_add_i32 s20, s20, s21
	s_mul_i32 s21, s14, s12
	s_mul_i32 s23, s21, s3
	s_mul_hi_u32 s24, s21, s53
	s_add_i32 s23, s24, s23
	s_mul_i32 s20, s20, s53
	s_add_i32 s23, s23, s20
	s_mul_i32 s21, s21, s53
	s_ashr_i32 s61, s57, 31
	s_add_u32 s20, s21, s57
	s_addc_u32 s21, s23, s61
	s_lshl_b64 s[20:21], s[20:21], 8
	s_add_u32 s20, s4, s20
	s_addc_u32 s21, s5, s21
	s_and_b32 s21, s21, 0xffff
	s_mov_b32 s23, 0x20000
	s_movk_i32 s62, 0x80
	buffer_load_dwordx4 v[12:15], v11, s[20:23], 0 offen
	buffer_load_dwordx4 v[16:19], v11, s[20:23], s62 offen
	;; [unrolled: 1-line block ×4, first 2 shown]
	v_and_b32_e32 v10, 6, v0
	v_lshlrev_b32_e32 v28, 2, v54
	v_lshlrev_b32_e32 v29, 3, v54
	v_xor_b32_e32 v31, v61, v10
	v_and_b32_e32 v11, 1, v0
	s_mul_i32 s3, s3, s12
	s_mul_hi_u32 s20, s53, s12
	v_lshl_or_b32 v29, v57, 5, v29
	v_xor_b32_e32 v32, v57, v28
	v_lshlrev_b32_e32 v31, 2, v31
	v_or_b32_e32 v67, 0x9000, v29
	v_or_b32_e32 v68, 0x9800, v29
	v_lshlrev_b32_e32 v29, 1, v32
	v_xor_b32_e32 v32, 0x440, v31
	v_cmp_eq_u32_e32 vcc, 0, v11
	s_add_i32 s67, s20, s3
	s_add_i32 s3, s46, s33
	v_cndmask_b32_e32 v11, v32, v31, vcc
	s_add_i32 s20, s48, s47
	s_add_i32 s39, s3, s50
	s_mov_b32 s64, 0x1000504
	v_lshlrev_b32_e32 v30, 8, v54
	s_mov_b32 s22, 0x8000
	v_xor_b32_e32 v28, v58, v28
	v_lshl_or_b32 v10, v10, 10, v11
	s_add_i32 s37, s20, s49
	s_lshl_b64 s[20:21], s[38:39], 2
	s_mov_b32 s65, 0x3020706
	v_lshlrev_b32_e32 v28, 1, v28
	v_or3_b32 v69, v29, v30, s22
	v_xor_b32_e32 v11, 8, v10
	v_xor_b32_e32 v29, 24, v10
	;; [unrolled: 1-line block ×4, first 2 shown]
	s_add_u32 s3, s10, s20
	v_or3_b32 v70, v28, v30, s22
	v_xor_b32_e32 v28, 16, v10
	v_xor_b32_e32 v30, 32, v10
	;; [unrolled: 1-line block ×3, first 2 shown]
	v_add_u32_e32 v11, 0x80, v11
	v_add_u32_e32 v29, 0x80, v29
	;; [unrolled: 1-line block ×4, first 2 shown]
	s_addc_u32 s24, s11, s21
	s_lshl_b64 s[20:21], s[36:37], 2
	s_add_u32 s42, s3, s20
	s_movk_i32 s3, 0xf8
	s_addc_u32 s43, s24, s21
	v_ashrrev_i32_e32 v47, 31, v46
	s_lshl_b32 s26, s15, 7
	s_mov_b32 s63, 0
	s_mul_i32 s66, s53, s12
	v_mov_b32_e32 v84, 0x3fb8aa3b
	s_mov_b32 s39, 0
	s_waitcnt vmcnt(1)
	v_perm_b32 v34, v12, v20, s64
	s_waitcnt vmcnt(0)
	v_perm_b32 v35, v16, v24, s64
	v_perm_b32 v12, v12, v20, s65
	;; [unrolled: 1-line block ×15, first 2 shown]
	ds_write2st64_b32 v10, v34, v35 offset1:32
	ds_write2st64_b32 v11, v12, v16 offset1:32
	ds_write2st64_b32 v28, v20, v24 offset0:1 offset1:33
	ds_write2st64_b32 v29, v13, v17 offset0:1 offset1:33
	;; [unrolled: 1-line block ×6, first 2 shown]
	v_or_b32_e32 v10, v52, v54
	v_lshlrev_b32_e32 v10, 3, v10
	v_lshrrev_b32_e32 v12, 5, v45
	v_and_or_b32 v12, v10, s3, v12
	v_lshlrev_b32_e32 v12, 4, v12
	v_lshlrev_b32_e32 v16, 11, v1
	v_and_b32_e32 v10, 0x78, v10
	v_or_b32_e32 v15, 32, v12
	v_and_b32_e32 v11, 0x1000, v16
	v_xor_b32_e32 v13, v12, v10
	v_lshrrev_b32_e32 v17, 1, v0
	v_xor_b32_e32 v15, v15, v10
	v_or_b32_e32 v13, v13, v11
	v_and_b32_e32 v14, 8, v17
	v_or_b32_e32 v15, v15, v11
	v_xor_b32_e32 v71, v13, v14
	v_and_b32_e32 v13, 0x78, v55
	v_xor_b32_e32 v73, v15, v14
	v_or_b32_e32 v15, 64, v12
	v_or_b32_e32 v12, 0x60, v12
	v_lshl_or_b32 v13, v53, 7, v13
	v_xor_b32_e32 v15, v15, v10
	v_xor_b32_e32 v10, v12, v10
	v_or_b32_e32 v72, 0x9000, v13
	v_or_b32_e32 v15, v15, v11
	;; [unrolled: 1-line block ×4, first 2 shown]
	v_lshrrev_b32_e32 v12, 4, v0
	v_lshlrev_b32_e32 v13, 1, v54
	v_xor_b32_e32 v74, v15, v14
	v_xor_b32_e32 v75, v10, v14
	s_ashr_i32 s3, s2, 31
	v_or_b32_e32 v14, 1, v13
	v_xor_b32_e32 v13, v12, v13
	s_lshl_b64 s[20:21], s[2:3], 8
	v_xor_b32_e32 v14, v14, v12
	v_lshlrev_b32_e32 v13, 3, v13
	v_lshlrev_b32_e32 v12, 8, v12
	v_lshl_add_u64 v[10:11], v[46:47], 1, s[8:9]
	s_add_u32 s20, s18, s20
	v_or3_b32 v47, v13, v12, s22
	v_lshlrev_b32_e32 v13, 3, v14
	s_addc_u32 s21, s19, s21
	v_or3_b32 v77, v13, v12, s22
	v_mov_b32_e32 v13, 0
	v_lshl_add_u64 v[14:15], s[20:21], 0, v[12:13]
	v_lshlrev_b32_e32 v12, 4, v54
	s_movk_i32 s3, 0xff
	v_lshlrev_b32_e32 v21, 3, v1
	v_and_b32_e32 v17, 24, v17
	v_lshl_add_u64 v[48:49], v[14:15], 0, v[12:13]
	v_and_b32_e32 v14, 8, v0
	v_cmp_lt_u32_e32 vcc, s3, v0
	v_xor_b32_e32 v22, v21, v17
	v_or_b32_e32 v23, 0x440, v22
	v_cndmask_b32_e64 v20, 0, 1, vcc
	v_cmp_eq_u32_e32 vcc, 0, v14
	v_and_b32_e32 v12, 7, v0
	v_lshlrev_b32_e32 v15, 3, v12
	v_cndmask_b32_e32 v14, v23, v22, vcc
	v_lshlrev_b32_e32 v12, 7, v12
	v_or_b32_e32 v14, v14, v16
	v_xad_u32 v78, v14, v15, v12
	v_or_b32_e32 v14, 32, v17
	v_xor_b32_e32 v14, v21, v14
	v_or_b32_e32 v22, 0x440, v14
	v_cndmask_b32_e32 v14, v22, v14, vcc
	v_or_b32_e32 v14, v14, v16
	v_xad_u32 v79, v14, v15, v12
	v_or_b32_e32 v14, 64, v17
	v_xor_b32_e32 v14, v21, v14
	v_xor_b32_e32 v22, 0x440, v14
	v_cndmask_b32_e32 v14, v22, v14, vcc
	v_or_b32_e32 v14, v14, v16
	v_xad_u32 v80, v14, v15, v12
	v_or_b32_e32 v14, 0x60, v17
	v_xor_b32_e32 v14, v21, v14
	v_xor_b32_e32 v17, 0x440, v14
	v_cndmask_b32_e32 v14, v17, v14, vcc
	v_or_b32_e32 v14, v14, v16
	v_lshlrev_b32_e32 v18, 1, v9
	v_add_lshl_u32 v9, v9, s15, 1
	v_or_b32_e32 v19, 0x100, v5
	v_lshlrev_b32_e32 v20, 13, v20
	v_xad_u32 v81, v14, v15, v12
	v_lshlrev_b32_e32 v12, 8, v57
	v_cndmask_b32_e64 v82, v18, v5, s[0:1]
	v_cndmask_b32_e64 v83, v9, v19, s[0:1]
	v_lshl_add_u64 v[50:51], v[10:11], 0, v[12:13]
	s_mov_b32 s3, 0x7060302
	s_movk_i32 s22, 0x4000
	v_add_u32_e32 v85, v20, v78
	v_add_u32_e32 v86, v20, v79
	;; [unrolled: 1-line block ×4, first 2 shown]
	s_waitcnt lgkmcnt(0)
	s_barrier
.LBB618_32:                             ; =>This Inner Loop Header: Depth=1
	s_add_i32 s37, s39, 1
	s_cmp_lt_i32 s37, s54
	s_mov_b64 s[24:25], 0
	s_cselect_b64 s[44:45], -1, 0
	s_cmp_ge_i32 s37, s54
	s_mov_b64 s[20:21], 0
	s_cbranch_scc1 .LBB618_34
; %bb.33:                               ;   in Loop: Header=BB618_32 Depth=1
	s_add_i32 s0, s63, 64
	s_add_u32 s0, s16, s0
	s_addc_u32 s1, s17, 0
	s_lshl_b64 s[0:1], s[0:1], 8
	s_add_u32 s20, s6, s0
	s_addc_u32 s21, s7, s1
.LBB618_34:                             ;   in Loop: Header=BB618_32 Depth=1
	v_cndmask_b32_e64 v5, 0, 1, s[44:45]
	v_cmp_ne_u32_e64 s[0:1], 1, v5
	s_andn2_b64 vcc, exec, s[44:45]
	s_cbranch_vccnz .LBB618_36
; %bb.35:                               ;   in Loop: Header=BB618_32 Depth=1
	s_add_i32 s24, s63, 64
	s_add_u32 s24, s66, s24
	s_addc_u32 s25, s67, 0
	s_mul_i32 s27, s24, s56
	s_mul_hi_u32 s44, s24, s60
	s_add_i32 s27, s44, s27
	s_mul_i32 s25, s25, s60
	s_add_i32 s27, s27, s25
	s_mul_i32 s24, s24, s60
	s_add_u32 s24, s24, s57
	s_addc_u32 s25, s27, s61
	s_lshl_b64 s[24:25], s[24:25], 8
	s_add_u32 s24, s4, s24
	s_addc_u32 s25, s5, s25
.LBB618_36:                             ;   in Loop: Header=BB618_32 Depth=1
	v_perm_b32 v11, v59, v4, s3
	v_perm_b32 v10, v3, v2, s3
	;; [unrolled: 1-line block ×4, first 2 shown]
	ds_write_b64 v67, v[10:11]
	ds_write_b64 v68, v[12:13]
	;; [unrolled: 1-line block ×4, first 2 shown]
	s_waitcnt lgkmcnt(0)
	s_barrier
	ds_read_b64 v[18:19], v71 offset:16384
	ds_read_b64 v[20:21], v73 offset:16384
	ds_read2st64_b64 v[10:13], v72 offset1:1
	ds_read2st64_b64 v[14:17], v72 offset0:2 offset1:3
	ds_read_b64 v[22:23], v74 offset:16384
	s_waitcnt lgkmcnt(2)
	v_mfma_f32_16x16x16_bf16 a[0:3], v[18:19], v[10:11], 0
	ds_read_b64 v[10:11], v75 offset:16384
	s_add_i32 s27, s63, 63
	s_mul_i32 s44, s27, s35
	v_mfma_f32_16x16x16_bf16 a[0:3], v[20:21], v[12:13], a[0:3]
	s_mul_hi_u32 s45, s27, s34
	s_add_i32 s45, s45, s44
	s_mul_i32 s44, s27, s34
	s_waitcnt lgkmcnt(1)
	v_mfma_f32_16x16x16_bf16 a[0:3], v[22:23], v[14:15], a[0:3]
	s_lshl_b64 s[44:45], s[44:45], 2
	s_add_u32 s44, s42, s44
	s_addc_u32 s45, s43, s45
	s_waitcnt lgkmcnt(0)
	v_mfma_f32_16x16x16_bf16 a[0:3], v[10:11], v[16:17], a[0:3]
	s_and_b64 vcc, exec, s[0:1]
	v_mov_b32_e32 v89, 0
	v_mov_b32_e32 v9, 0
	;; [unrolled: 1-line block ×19, first 2 shown]
	s_cbranch_vccnz .LBB618_38
; %bb.37:                               ;   in Loop: Header=BB618_32 Depth=1
	s_and_b32 s21, s21, 0xffff
	buffer_load_dwordx4 v[22:25], v63, s[20:23], 0 offen
	buffer_load_dwordx4 v[18:21], v63, s[20:23], s62 offen
	;; [unrolled: 1-line block ×4, first 2 shown]
	v_mov_b32_e32 v9, v65
	v_mov_b32_e32 v5, v66
.LBB618_38:                             ;   in Loop: Header=BB618_32 Depth=1
	s_waitcnt vmcnt(3)
	v_add_u32_e32 v32, s63, v57
	s_waitcnt vmcnt(1)
	v_ashrrev_i32_e32 v26, 31, v32
	v_mul_lo_u32 v28, v26, s34
	v_mul_lo_u32 v29, v32, s35
	v_mad_u64_u32 v[26:27], s[20:21], v32, s34, 0
	v_add3_u32 v27, v27, v29, v28
	v_add_u32_e32 v28, 1, v32
	v_ashrrev_i32_e32 v29, 31, v28
	v_mul_lo_u32 v30, v29, s34
	v_mul_lo_u32 v31, v28, s35
	v_mad_u64_u32 v[28:29], s[20:21], v28, s34, 0
	v_add3_u32 v29, v29, v31, v30
	v_add_u32_e32 v30, 2, v32
	v_ashrrev_i32_e32 v31, 31, v30
	v_mul_lo_u32 v33, v31, s34
	v_mul_lo_u32 v34, v30, s35
	v_mad_u64_u32 v[30:31], s[20:21], v30, s34, 0
	v_add_u32_e32 v32, 3, v32
	v_add3_u32 v31, v31, v34, v33
	v_ashrrev_i32_e32 v33, 31, v32
	v_mul_lo_u32 v36, v33, s34
	v_mul_lo_u32 v37, v32, s35
	v_mad_u64_u32 v[32:33], s[20:21], v32, s34, 0
	s_add_u32 s20, s16, s63
	s_addc_u32 s21, s17, 0
	s_lshl_b64 s[20:21], s[20:21], 8
	v_lshl_add_u64 v[26:27], v[26:27], 2, s[42:43]
	v_lshl_add_u64 v[34:35], v[50:51], 0, s[20:21]
	;; [unrolled: 1-line block ×3, first 2 shown]
	global_load_ushort v91, v[34:35], off
	global_load_ushort v96, v[34:35], off offset:256
	global_load_ushort v97, v[34:35], off offset:512
	;; [unrolled: 1-line block ×3, first 2 shown]
	v_add3_u32 v33, v33, v37, v36
	global_load_dword v99, v[26:27], off
	v_lshl_add_u64 v[30:31], v[30:31], 2, s[42:43]
	v_lshl_add_u64 v[26:27], v[32:33], 2, s[42:43]
	global_load_dword v100, v[28:29], off
	global_load_dword v101, v[30:31], off
	;; [unrolled: 1-line block ×3, first 2 shown]
	s_load_dword s20, s[44:45], 0x0
	ds_read2st64_b64 v[32:35], v76 offset1:1
	ds_read2st64_b64 v[36:39], v76 offset0:2 offset1:3
	ds_read_b64 v[30:31], v71 offset:24576
	ds_read_b64 v[40:41], v73 offset:24576
	;; [unrolled: 1-line block ×4, first 2 shown]
	s_waitcnt lgkmcnt(0)
	v_mfma_f32_16x16x16_bf16 a[0:3], v[30:31], v[32:33], a[0:3]
	v_mov_b32_e32 v90, 0
	v_mov_b32_e32 v26, 0
	v_mov_b32_e32 v27, 0
	v_mfma_f32_16x16x16_bf16 a[0:3], v[40:41], v[34:35], a[0:3]
	v_mov_b32_e32 v28, 0
	v_mov_b32_e32 v29, 0
	v_mov_b32_e32 v30, 0
	;; [unrolled: 4-line block ×4, first 2 shown]
	v_mov_b32_e32 v37, 0
	s_and_b64 vcc, exec, s[0:1]
	s_waitcnt vmcnt(7)
	v_lshlrev_b32_e32 v92, 16, v91
	s_waitcnt vmcnt(6)
	v_lshlrev_b32_e32 v93, 16, v96
	;; [unrolled: 2-line block ×4, first 2 shown]
	v_accvgpr_read_b32 v41, a1
	s_waitcnt vmcnt(3)
	v_sub_f32_e32 v91, s20, v99
	v_mul_f32_e32 v91, 0x3fb8aa3b, v91
	s_waitcnt vmcnt(2)
	v_sub_f32_e32 v97, s20, v100
	s_waitcnt vmcnt(1)
	v_sub_f32_e32 v98, s20, v101
	;; [unrolled: 2-line block ×3, first 2 shown]
	v_exp_f32_e32 v96, v91
	v_mul_f32_e32 v91, 0x3fb8aa3b, v97
	v_mul_f32_e32 v98, 0x3fb8aa3b, v98
	;; [unrolled: 1-line block ×3, first 2 shown]
	v_exp_f32_e32 v97, v91
	v_exp_f32_e32 v98, v98
	;; [unrolled: 1-line block ×3, first 2 shown]
	v_accvgpr_read_b32 v39, a3
	v_accvgpr_read_b32 v38, a2
	;; [unrolled: 1-line block ×3, first 2 shown]
	v_pk_add_f32 v[40:41], v[92:93], v[40:41] neg_lo:[0,1] neg_hi:[0,1]
	v_pk_add_f32 v[38:39], v[94:95], v[38:39] neg_lo:[0,1] neg_hi:[0,1]
	v_pk_mul_f32 v[40:41], v[96:97], v[40:41]
	v_pk_mul_f32 v[38:39], v[98:99], v[38:39]
	s_nop 0
	v_perm_b32 v39, v39, v38, s3
	v_perm_b32 v38, v41, v40, s3
	ds_write_b64 v68, v[38:39]
	v_mov_b32_e32 v38, 0
	v_mov_b32_e32 v39, 0
	;; [unrolled: 1-line block ×4, first 2 shown]
	s_cbranch_vccnz .LBB618_40
; %bb.39:                               ;   in Loop: Header=BB618_32 Depth=1
	s_and_b32 s25, s25, 0xffff
	s_mov_b32 s27, s23
	buffer_load_dwordx4 v[38:41], v82, s[24:27], 0 offen
	buffer_load_dwordx4 v[30:33], v82, s[24:27], s62 offen
	;; [unrolled: 1-line block ×4, first 2 shown]
	v_mov_b32_e32 v89, v62
	v_mov_b32_e32 v90, v61
.LBB618_40:                             ;   in Loop: Header=BB618_32 Depth=1
	s_waitcnt lgkmcnt(0)
	s_barrier
	ds_read_b64 v[100:101], v85
	ds_read2st64_b64 v[92:95], v76 offset1:1
	ds_read2st64_b64 v[96:99], v76 offset0:2 offset1:3
	ds_read_b64 v[102:103], v86
	ds_read_b64 v[104:105], v87
	ds_read_b64 v[106:107], v88
	s_waitcnt lgkmcnt(4)
	v_mfma_f32_16x16x16_bf16 a[0:3], v[100:101], v[92:93], 0
	ds_read_b64 v[100:101], v78 offset:8192
	ds_read_b64 v[108:109], v79 offset:8192
	s_add_i32 s21, s58, s39
	s_mul_hi_i32 s25, s21, s13
	s_waitcnt lgkmcnt(1)
	v_mfma_f32_16x16x16_bf16 a[4:7], v[100:101], v[92:93], 0
	s_mul_i32 s21, s21, s13
	s_add_u32 s24, s21, s51
	s_addc_u32 s25, s25, s55
	v_mfma_f32_16x16x16_bf16 a[0:3], v[102:103], v[94:95], a[0:3]
	ds_read_b64 v[100:101], v47
	ds_read_b64 v[102:103], v77
	ds_read_b64 v[92:93], v80 offset:8192
	s_lshl_b64 s[24:25], s[24:25], 15
	v_mfma_f32_16x16x16_bf16 a[0:3], v[104:105], v[96:97], a[0:3]
	ds_read_b64 v[104:105], v81 offset:8192
	s_and_b64 vcc, exec, s[0:1]
	s_waitcnt lgkmcnt(4)
	v_mfma_f32_16x16x16_bf16 a[4:7], v[108:109], v[94:95], a[4:7]
	s_waitcnt lgkmcnt(1)
	v_mfma_f32_16x16x16_bf16 a[4:7], v[92:93], v[96:97], a[4:7]
	v_lshl_add_u64 v[92:93], v[48:49], 0, s[24:25]
	global_store_dwordx4 v[92:93], v[100:103], off
	v_mfma_f32_16x16x16_bf16 a[0:3], v[106:107], v[98:99], a[0:3]
	s_waitcnt lgkmcnt(0)
	v_mfma_f32_16x16x16_bf16 a[4:7], v[104:105], v[98:99], a[4:7]
	s_cbranch_vccnz .LBB618_42
; %bb.41:                               ;   in Loop: Header=BB618_32 Depth=1
	v_lshrrev_b32_e32 v91, 3, v89
	v_and_b32_e32 v91, 6, v91
	v_xor_b32_e32 v90, v91, v90
	v_lshlrev_b32_e32 v90, 2, v90
	v_and_b32_e32 v89, 8, v89
	v_xor_b32_e32 v92, 0x440, v90
	v_cmp_eq_u32_e32 vcc, 0, v89
	s_barrier
	s_nop 0
	v_cndmask_b32_e32 v89, v92, v90, vcc
	v_lshl_or_b32 v89, v91, 10, v89
	s_waitcnt vmcnt(2)
	v_perm_b32 v90, v38, v34, s64
	s_waitcnt vmcnt(1)
	v_perm_b32 v91, v30, v26, s64
	ds_write2st64_b32 v89, v90, v91 offset1:32
	v_xor_b32_e32 v90, 8, v89
	v_perm_b32 v34, v38, v34, s65
	v_perm_b32 v26, v30, v26, s65
	v_add_u32_e32 v30, 0x80, v90
	ds_write2st64_b32 v30, v34, v26 offset1:32
	v_xor_b32_e32 v26, 16, v89
	v_perm_b32 v30, v39, v35, s64
	v_perm_b32 v34, v31, v27, s64
	ds_write2st64_b32 v26, v30, v34 offset0:1 offset1:33
	v_xor_b32_e32 v26, 24, v89
	v_perm_b32 v30, v39, v35, s65
	v_perm_b32 v27, v31, v27, s65
	v_add_u32_e32 v26, 0x80, v26
	ds_write2st64_b32 v26, v30, v27 offset0:1 offset1:33
	v_xor_b32_e32 v26, 32, v89
	v_perm_b32 v27, v40, v36, s64
	v_perm_b32 v30, v32, v28, s64
	ds_write2st64_b32 v26, v27, v30 offset0:2 offset1:34
	v_xor_b32_e32 v26, 40, v89
	v_perm_b32 v27, v40, v36, s65
	v_perm_b32 v28, v32, v28, s65
	v_add_u32_e32 v26, 0x80, v26
	ds_write2st64_b32 v26, v27, v28 offset0:2 offset1:34
	;; [unrolled: 9-line block ×3, first 2 shown]
	ds_write_b64 v9, v[22:23] offset:16384
	v_xor_b32_e32 v22, 8, v9
	ds_write_b64 v22, v[24:25] offset:16384
	ds_write_b64 v9, v[18:19] offset:24576
	;; [unrolled: 1-line block ×4, first 2 shown]
	v_xor_b32_e32 v9, 8, v5
	ds_write_b64 v9, v[16:17] offset:16384
	ds_write_b64 v5, v[10:11] offset:24576
	;; [unrolled: 1-line block ×3, first 2 shown]
.LBB618_42:                             ;   in Loop: Header=BB618_32 Depth=1
	v_mul_f32_e32 v5, s20, v84
	v_exp_f32_e32 v10, v5
	s_nop 1
	v_accvgpr_read_b32 v9, a1
	v_accvgpr_read_b32 v5, a0
	s_add_i32 s63, s63, 64
	v_fma_f32 v3, v3, v10, v9
	v_accvgpr_read_b32 v9, a4
	v_fma_f32 v6, v6, v10, v9
	v_accvgpr_read_b32 v9, a5
	;; [unrolled: 2-line block ×6, first 2 shown]
	v_fmac_f32_e32 v5, v59, v10
	s_cmp_eq_u32 s54, s37
	v_fmac_f32_e32 v9, v60, v10
	s_cbranch_scc1 .LBB618_4
; %bb.43:                               ;   in Loop: Header=BB618_32 Depth=1
	s_mov_b32 s39, s37
	v_mov_b32_e32 v59, v5
	v_mov_b32_e32 v60, v9
	s_branch .LBB618_32
.LBB618_44:
                                        ; implicit-def: $vgpr13
                                        ; implicit-def: $vgpr17
                                        ; implicit-def: $vgpr21
                                        ; implicit-def: $vgpr25
	s_cbranch_execz .LBB618_46
; %bb.45:
	s_waitcnt vmcnt(0)
	v_mad_u64_u32 v[10:11], s[0:1], v27, s15, v[26:27]
	v_lshlrev_b32_e32 v27, 1, v10
	s_lshl_b32 s2, s15, 7
	s_and_b32 s1, s5, 0xffff
	s_mov_b32 s3, 0x20000
	s_mov_b32 s0, s4
	v_add_lshl_u32 v28, v10, s15, 1
	s_movk_i32 s13, 0x80
	buffer_load_dwordx4 v[10:13], v27, s[0:3], 0 offen
	buffer_load_dwordx4 v[18:21], v27, s[0:3], s13 offen
	buffer_load_dwordx4 v[14:17], v28, s[0:3], 0 offen
	buffer_load_dwordx4 v[22:25], v28, s[0:3], s13 offen
.LBB618_46:
	v_lshrrev_b32_e32 v45, 2, v45
	s_cbranch_execnz .LBB618_59
.LBB618_47:
	s_and_b64 vcc, exec, s[6:7]
	s_cbranch_vccz .LBB618_57
; %bb.48:
	s_waitcnt vmcnt(0)
	v_lshlrev_b32_e32 v15, 1, v47
	v_cmp_gt_i32_e32 vcc, s27, v15
	v_mov_b32_e32 v14, 0
	v_lshlrev_b32_e32 v22, 9, v47
	v_mov_b32_e32 v10, 0
	v_mov_b32_e32 v11, 0
	;; [unrolled: 1-line block ×4, first 2 shown]
	s_and_saveexec_b64 s[0:1], vcc
	s_cbranch_execz .LBB618_50
; %bb.49:
	v_mov_b32_e32 v23, 0
	v_lshl_add_u64 v[10:11], s[4:5], 0, v[22:23]
	v_lshlrev_b32_e32 v12, 1, v26
	v_mov_b32_e32 v13, v23
	v_lshl_add_u64 v[10:11], v[10:11], 0, v[12:13]
	global_load_dwordx4 v[10:13], v[10:11], off
.LBB618_50:
	s_or_b64 exec, exec, s[0:1]
	v_or_b32_e32 v15, 1, v15
	v_cmp_gt_i32_e64 s[0:1], s27, v15
	v_lshlrev_b32_e32 v28, 8, v15
	v_mov_b32_e32 v15, 0
	v_mov_b32_e32 v16, 0
	;; [unrolled: 1-line block ×3, first 2 shown]
	s_and_saveexec_b64 s[2:3], s[0:1]
	s_cbranch_execz .LBB618_52
; %bb.51:
	v_mov_b32_e32 v29, 0
	v_lshl_add_u64 v[14:15], s[4:5], 0, v[28:29]
	v_lshlrev_b32_e32 v16, 1, v26
	v_mov_b32_e32 v17, v29
	v_lshl_add_u64 v[14:15], v[14:15], 0, v[16:17]
	global_load_dwordx4 v[14:17], v[14:15], off
.LBB618_52:
	s_or_b64 exec, exec, s[2:3]
	v_mov_b32_e32 v25, 0
	v_mov_b32_e32 v18, 0
	;; [unrolled: 1-line block ×5, first 2 shown]
	s_and_saveexec_b64 s[2:3], vcc
	s_cbranch_execz .LBB618_54
; %bb.53:
	v_mov_b32_e32 v23, 0
	v_lshl_add_u64 v[18:19], s[4:5], 0, v[22:23]
	v_lshlrev_b32_e32 v22, 1, v26
	v_lshl_add_u64 v[18:19], v[18:19], 0, v[22:23]
	global_load_dwordx4 v[18:21], v[18:19], off offset:128
.LBB618_54:
	s_or_b64 exec, exec, s[2:3]
	v_mov_b32_e32 v24, 0
	v_mov_b32_e32 v23, 0
	;; [unrolled: 1-line block ×3, first 2 shown]
	s_and_saveexec_b64 s[2:3], s[0:1]
	s_cbranch_execz .LBB618_56
; %bb.55:
	v_mov_b32_e32 v29, 0
	v_lshl_add_u64 v[22:23], s[4:5], 0, v[28:29]
	v_lshlrev_b32_e32 v28, 1, v26
	v_lshl_add_u64 v[22:23], v[22:23], 0, v[28:29]
	global_load_dwordx4 v[22:25], v[22:23], off offset:128
.LBB618_56:
	s_or_b64 exec, exec, s[2:3]
	s_branch .LBB618_59
.LBB618_57:
                                        ; implicit-def: $vgpr13
                                        ; implicit-def: $vgpr17
                                        ; implicit-def: $vgpr21
                                        ; implicit-def: $vgpr25
	s_cbranch_execz .LBB618_59
; %bb.58:
	s_waitcnt vmcnt(0)
	v_lshlrev_b32_e32 v10, 1, v26
	v_lshl_or_b32 v26, v47, 9, v10
	s_and_b32 s5, s5, 0xffff
	s_mov_b32 s7, 0x20000
	s_movk_i32 s6, 0x4000
	s_movk_i32 s0, 0x80
	buffer_load_dwordx4 v[10:13], v26, s[4:7], 0 offen
	buffer_load_dwordx4 v[14:17], v26, s[4:7], 0 offen offset:256
	buffer_load_dwordx4 v[18:21], v26, s[4:7], s0 offen
	buffer_load_dwordx4 v[22:25], v26, s[4:7], s0 offen offset:256
.LBB618_59:
	ds_read2st64_b64 v[30:33], v50 offset0:76 offset1:77
	ds_read2st64_b64 v[26:29], v50 offset0:78 offset1:79
	ds_read_b64 v[38:39], v34 offset:24576
	ds_read_b64 v[40:41], v35 offset:24576
	;; [unrolled: 1-line block ×4, first 2 shown]
	v_and_b32_e32 v51, 6, v0
	v_xor_b32_e32 v47, v47, v51
	v_lshlrev_b32_e32 v47, 2, v47
	v_and_b32_e32 v53, 1, v0
	v_xor_b32_e32 v54, 0x440, v47
	v_cmp_eq_u32_e32 vcc, 0, v53
	s_mov_b32 s0, 0x1000504
	s_waitcnt vmcnt(0)
	v_perm_b32 v53, v18, v22, s0
	v_cndmask_b32_e32 v47, v54, v47, vcc
	v_lshl_or_b32 v47, v51, 10, v47
	v_perm_b32 v51, v10, v14, s0
	ds_write2st64_b32 v47, v51, v53 offset1:32
	v_xor_b32_e32 v51, 8, v47
	s_mov_b32 s1, 0x3020706
	v_perm_b32 v10, v10, v14, s1
	v_perm_b32 v14, v18, v22, s1
	v_add_u32_e32 v18, 0x80, v51
	ds_write2st64_b32 v18, v10, v14 offset1:32
	v_xor_b32_e32 v10, 16, v47
	v_perm_b32 v14, v11, v15, s0
	v_perm_b32 v18, v19, v23, s0
	ds_write2st64_b32 v10, v14, v18 offset0:1 offset1:33
	v_xor_b32_e32 v10, 24, v47
	v_perm_b32 v11, v11, v15, s1
	v_perm_b32 v14, v19, v23, s1
	v_add_u32_e32 v10, 0x80, v10
	ds_write2st64_b32 v10, v11, v14 offset0:1 offset1:33
	v_xor_b32_e32 v10, 32, v47
	v_perm_b32 v11, v12, v16, s0
	v_perm_b32 v14, v20, v24, s0
	ds_write2st64_b32 v10, v11, v14 offset0:2 offset1:34
	v_xor_b32_e32 v10, 40, v47
	v_perm_b32 v11, v12, v16, s1
	v_perm_b32 v12, v20, v24, s1
	v_add_u32_e32 v10, 0x80, v10
	ds_write2st64_b32 v10, v11, v12 offset0:2 offset1:34
	v_xor_b32_e32 v10, 48, v47
	v_perm_b32 v11, v13, v17, s0
	v_perm_b32 v12, v21, v25, s0
	ds_write2st64_b32 v10, v11, v12 offset0:3 offset1:35
	v_xor_b32_e32 v10, 56, v47
	v_and_or_b32 v16, v45, 12, v52
	v_perm_b32 v11, v13, v17, s1
	v_perm_b32 v12, v21, v25, s1
	v_add_u32_e32 v10, 0x80, v10
	v_cmp_gt_i32_e32 vcc, s27, v16
	v_mov_b32_e32 v17, 0
	v_mov_b32_e32 v21, 0
	ds_write2st64_b32 v10, v11, v12 offset0:3 offset1:35
	s_and_saveexec_b64 s[0:1], vcc
	s_cbranch_execz .LBB618_61
; %bb.60:
	v_add_u32_e32 v10, s26, v16
	v_ashrrev_i32_e32 v11, 31, v10
	v_mul_lo_u32 v12, v11, s34
	v_mul_lo_u32 v13, v10, s35
	v_mad_u64_u32 v[10:11], s[2:3], v10, s34, 0
	v_add3_u32 v11, v11, v13, v12
	v_lshl_add_u64 v[10:11], v[10:11], 2, s[10:11]
	global_load_dword v10, v[10:11], off
	s_waitcnt vmcnt(0)
	v_sub_f32_e32 v10, s12, v10
	v_mul_f32_e32 v10, 0x3fb8aa3b, v10
	v_exp_f32_e32 v21, v10
.LBB618_61:
	s_or_b64 exec, exec, s[0:1]
	v_or_b32_e32 v19, 1, v16
	v_cmp_gt_i32_e64 s[0:1], s27, v19
	s_and_saveexec_b64 s[2:3], s[0:1]
	s_cbranch_execz .LBB618_63
; %bb.62:
	v_add_u32_e32 v10, s26, v19
	v_ashrrev_i32_e32 v11, 31, v10
	v_mul_lo_u32 v12, v11, s34
	v_mul_lo_u32 v13, v10, s35
	v_mad_u64_u32 v[10:11], s[4:5], v10, s34, 0
	v_add3_u32 v11, v11, v13, v12
	v_lshl_add_u64 v[10:11], v[10:11], 2, s[10:11]
	global_load_dword v10, v[10:11], off
	s_waitcnt vmcnt(0)
	v_sub_f32_e32 v10, s12, v10
	v_mul_f32_e32 v10, 0x3fb8aa3b, v10
	v_exp_f32_e32 v17, v10
.LBB618_63:
	s_or_b64 exec, exec, s[2:3]
	v_or_b32_e32 v20, 2, v16
	v_cmp_gt_i32_e64 s[2:3], s27, v20
	v_mov_b32_e32 v18, 0
	v_mov_b32_e32 v23, 0
	s_and_saveexec_b64 s[4:5], s[2:3]
	s_cbranch_execz .LBB618_65
; %bb.64:
	v_add_u32_e32 v10, s26, v20
	v_ashrrev_i32_e32 v11, 31, v10
	v_mul_lo_u32 v12, v11, s34
	v_mul_lo_u32 v13, v10, s35
	v_mad_u64_u32 v[10:11], s[6:7], v10, s34, 0
	v_add3_u32 v11, v11, v13, v12
	v_lshl_add_u64 v[10:11], v[10:11], 2, s[10:11]
	global_load_dword v10, v[10:11], off
	s_waitcnt vmcnt(0)
	v_sub_f32_e32 v10, s12, v10
	v_mul_f32_e32 v10, 0x3fb8aa3b, v10
	v_exp_f32_e32 v23, v10
.LBB618_65:
	s_or_b64 exec, exec, s[4:5]
	v_or_b32_e32 v22, 3, v16
	v_cmp_gt_i32_e64 s[4:5], s27, v22
	s_and_saveexec_b64 s[6:7], s[4:5]
	s_cbranch_execz .LBB618_67
; %bb.66:
	v_add_u32_e32 v10, s26, v22
	v_ashrrev_i32_e32 v11, 31, v10
	v_mul_lo_u32 v12, v11, s34
	v_mul_lo_u32 v13, v10, s35
	v_mad_u64_u32 v[10:11], s[14:15], v10, s34, 0
	v_add3_u32 v11, v11, v13, v12
	v_lshl_add_u64 v[10:11], v[10:11], 2, s[10:11]
	global_load_dword v10, v[10:11], off
	s_waitcnt vmcnt(0)
	v_sub_f32_e32 v10, s12, v10
	v_mul_f32_e32 v10, 0x3fb8aa3b, v10
	v_exp_f32_e32 v18, v10
.LBB618_67:
	s_or_b64 exec, exec, s[6:7]
	s_waitcnt lgkmcnt(11)
	v_mfma_f32_16x16x16_bf16 a[0:3], v[38:39], v[30:31], a[0:3]
	s_add_u32 s6, s8, s20
	v_ashrrev_i32_e32 v47, 31, v46
	s_addc_u32 s7, s9, s21
	s_waitcnt lgkmcnt(10)
	v_mfma_f32_16x16x16_bf16 a[0:3], v[40:41], v[32:33], a[0:3]
	v_mov_b32_e32 v24, 0
	v_lshl_add_u64 v[14:15], v[46:47], 1, s[6:7]
	v_mov_b32_e32 v25, 0
	s_waitcnt lgkmcnt(9)
	v_mfma_f32_16x16x16_bf16 a[0:3], v[36:37], v[26:27], a[0:3]
	s_waitcnt lgkmcnt(8)
	v_mfma_f32_16x16x16_bf16 a[0:3], v[34:35], v[28:29], a[0:3]
	s_nop 6
	v_accvgpr_read_b32 v13, a3
	v_accvgpr_read_b32 v12, a2
	;; [unrolled: 1-line block ×4, first 2 shown]
	s_and_saveexec_b64 s[6:7], vcc
	s_cbranch_execz .LBB618_69
; %bb.68:
	v_lshlrev_b32_e32 v26, 8, v16
	v_mov_b32_e32 v27, 0
	v_lshl_add_u64 v[26:27], v[14:15], 0, v[26:27]
	global_load_ushort v25, v[26:27], off
	s_waitcnt vmcnt(0)
	v_lshlrev_b32_e32 v25, 16, v25
	v_sub_f32_e32 v10, v25, v10
	v_mul_f32_e32 v10, v21, v10
	v_lshrrev_b32_e32 v25, 16, v10
.LBB618_69:
	s_or_b64 exec, exec, s[6:7]
	s_and_saveexec_b64 s[6:7], s[0:1]
	s_cbranch_execz .LBB618_71
; %bb.70:
	v_lshlrev_b32_e32 v26, 8, v19
	v_mov_b32_e32 v27, 0
	v_lshl_add_u64 v[26:27], v[14:15], 0, v[26:27]
	global_load_ushort v10, v[26:27], off
	s_waitcnt vmcnt(0)
	v_lshlrev_b32_e32 v10, 16, v10
	v_sub_f32_e32 v10, v10, v11
	v_mul_f32_e32 v10, v17, v10
	v_lshrrev_b32_e32 v24, 16, v10
.LBB618_71:
	s_or_b64 exec, exec, s[6:7]
	v_mov_b32_e32 v11, 0
	v_mov_b32_e32 v17, 0
	s_and_saveexec_b64 s[0:1], s[2:3]
	s_cbranch_execz .LBB618_73
; %bb.72:
	v_lshlrev_b32_e32 v20, 8, v20
	v_mov_b32_e32 v21, 0
	v_lshl_add_u64 v[20:21], v[14:15], 0, v[20:21]
	global_load_ushort v10, v[20:21], off
	s_waitcnt vmcnt(0)
	v_lshlrev_b32_e32 v10, 16, v10
	v_sub_f32_e32 v10, v10, v12
	v_mul_f32_e32 v10, v23, v10
	v_lshrrev_b32_e32 v17, 16, v10
.LBB618_73:
	s_or_b64 exec, exec, s[0:1]
	v_or_b32_e32 v10, 0x9800, v50
	s_and_saveexec_b64 s[0:1], s[4:5]
	s_cbranch_execz .LBB618_75
; %bb.74:
	v_lshlrev_b32_e32 v20, 8, v22
	v_mov_b32_e32 v21, 0
	v_lshl_add_u64 v[14:15], v[14:15], 0, v[20:21]
	global_load_ushort v11, v[14:15], off
	s_waitcnt vmcnt(0)
	v_lshlrev_b32_e32 v11, 16, v11
	v_sub_f32_e32 v11, v11, v13
	v_mul_f32_e32 v11, v18, v11
	v_lshrrev_b32_e32 v11, 16, v11
.LBB618_75:
	s_or_b64 exec, exec, s[0:1]
	s_mov_b32 s0, 0x5040100
	v_perm_b32 v13, v11, v17, s0
	v_lshlrev_b32_e32 v11, 1, v48
	v_perm_b32 v12, v24, v25, s0
	v_lshl_or_b32 v11, v16, 5, v11
	s_movk_i32 s0, 0xff
	ds_write_b64 v11, v[12:13] offset:38912
	v_and_b32_e32 v11, 7, v0
	v_and_b32_e32 v12, 8, v0
	v_cmp_lt_u32_e32 vcc, s0, v0
	v_lshrrev_b32_e32 v0, 1, v0
	v_lshlrev_b32_e32 v22, 3, v1
	v_and_b32_e32 v23, 24, v0
	v_xor_b32_e32 v0, v22, v23
	v_cndmask_b32_e64 v13, 0, 1, vcc
	v_or_b32_e32 v1, 0x440, v0
	v_cmp_eq_u32_e32 vcc, 0, v12
	v_lshlrev_b32_e32 v20, 3, v11
	v_lshlrev_b32_e32 v11, 7, v11
	v_cndmask_b32_e32 v0, v1, v0, vcc
	v_or_b32_e32 v0, v0, v49
	v_lshlrev_b32_e32 v21, 13, v13
	v_xad_u32 v24, v0, v20, v11
	v_add_u32_e32 v0, v21, v24
	s_waitcnt lgkmcnt(0)
	s_barrier
	ds_read_b64 v[0:1], v0
	ds_read2st64_b64 v[12:15], v10 offset1:1
	ds_read2st64_b64 v[16:19], v10 offset0:2 offset1:3
	s_waitcnt lgkmcnt(1)
	v_mfma_f32_16x16x16_bf16 a[0:3], v[0:1], v[12:13], 0
	v_or_b32_e32 v0, 32, v23
	v_xor_b32_e32 v0, v22, v0
	v_or_b32_e32 v1, 0x440, v0
	v_cndmask_b32_e32 v0, v1, v0, vcc
	v_or_b32_e32 v0, v0, v49
	v_xad_u32 v25, v0, v20, v11
	v_add_u32_e32 v0, v21, v25
	ds_read_b64 v[0:1], v0
	v_or_b32_e32 v10, 0x60, v23
	s_waitcnt lgkmcnt(0)
	v_mfma_f32_16x16x16_bf16 a[0:3], v[0:1], v[14:15], a[0:3]
	v_or_b32_e32 v0, 64, v23
	v_xor_b32_e32 v0, v22, v0
	v_xor_b32_e32 v1, 0x440, v0
	v_cndmask_b32_e32 v0, v1, v0, vcc
	v_or_b32_e32 v0, v0, v49
	v_xad_u32 v26, v0, v20, v11
	v_add_u32_e32 v0, v21, v26
	ds_read_b64 v[0:1], v0
	v_xor_b32_e32 v10, v22, v10
	v_xor_b32_e32 v22, 0x440, v10
	v_cndmask_b32_e32 v10, v22, v10, vcc
	v_or_b32_e32 v10, v10, v49
	v_xad_u32 v22, v10, v20, v11
	v_add_u32_e32 v10, v21, v22
	ds_read_b64 v[10:11], v10
	s_waitcnt lgkmcnt(1)
	v_mfma_f32_16x16x16_bf16 a[0:3], v[0:1], v[16:17], a[0:3]
	ds_read_b64 v[0:1], v24 offset:8192
	ds_read_b64 v[20:21], v25 offset:8192
	v_mov_b32_e32 v23, 0x3fb8aa3b
	s_waitcnt lgkmcnt(2)
	v_mfma_f32_16x16x16_bf16 a[0:3], v[10:11], v[18:19], a[0:3]
	v_mul_f32_e32 v10, s12, v23
	v_exp_f32_e32 v23, v10
	ds_read_b64 v[10:11], v26 offset:8192
	s_waitcnt lgkmcnt(2)
	v_mfma_f32_16x16x16_bf16 a[4:7], v[0:1], v[12:13], 0
	ds_read_b64 v[12:13], v22 offset:8192
	s_nop 0
	v_accvgpr_read_b32 v0, a0
	v_accvgpr_read_b32 v1, a1
	s_waitcnt lgkmcnt(2)
	v_mfma_f32_16x16x16_bf16 a[4:7], v[20:21], v[14:15], a[4:7]
	v_fma_f32 v0, v2, v23, v0
	v_fma_f32 v1, v3, v23, v1
	v_accvgpr_read_b32 v2, a2
	s_waitcnt lgkmcnt(1)
	v_mfma_f32_16x16x16_bf16 a[4:7], v[10:11], v[16:17], a[4:7]
	v_accvgpr_read_b32 v3, a3
	v_fma_f32 v2, v4, v23, v2
	v_fmac_f32_e32 v3, v5, v23
	s_waitcnt lgkmcnt(0)
	v_mfma_f32_16x16x16_bf16 a[0:3], v[12:13], v[18:19], a[4:7]
	s_nop 6
	v_accvgpr_read_b32 v4, a0
	v_accvgpr_read_b32 v5, a1
	v_fma_f32 v4, v6, v23, v4
	v_fma_f32 v5, v7, v23, v5
	v_accvgpr_read_b32 v6, a2
	v_accvgpr_read_b32 v7, a3
	v_fma_f32 v6, v8, v23, v6
	v_fmac_f32_e32 v7, v9, v23
	v_mov_b64_e32 v[8:9], v[6:7]
	v_mov_b64_e32 v[6:7], v[4:5]
	v_mov_b64_e32 v[4:5], v[2:3]
	v_mov_b64_e32 v[2:3], v[0:1]
.LBB618_76:
	s_waitcnt lgkmcnt(0)
	s_add_u32 s0, s30, s28
	s_addc_u32 s1, s31, s29
	v_lshl_add_u64 v[0:1], v[42:43], 1, s[0:1]
	v_mov_b32_e32 v45, 0
	s_mov_b32 s0, 0x7060302
	v_lshl_add_u64 v[0:1], v[0:1], 0, v[44:45]
	v_perm_b32 v5, v5, v4, s0
	v_perm_b32 v4, v3, v2, s0
	v_perm_b32 v3, v9, v8, s0
	v_perm_b32 v2, v7, v6, s0
	global_store_dwordx2 v[0:1], v[4:5], off
	global_store_dwordx2 v[0:1], v[2:3], off offset:128
	s_endpgm
	.section	.rodata,"a",@progbits
	.p2align	6, 0x0
	.amdhsa_kernel _ZN12_GLOBAL__N_139chunk_gated_delta_rule_fwd_h_hip_kernelILi16ELb1ELb1ELb0ELb0ELb0ELb0ELb1ELb1EEEvPK12hip_bfloat16S3_S3_PKfS5_PKvPS1_S8_PvPKiSB_iiiiilll
		.amdhsa_group_segment_fixed_size 40960
		.amdhsa_private_segment_fixed_size 0
		.amdhsa_kernarg_size 136
		.amdhsa_user_sgpr_count 2
		.amdhsa_user_sgpr_dispatch_ptr 0
		.amdhsa_user_sgpr_queue_ptr 0
		.amdhsa_user_sgpr_kernarg_segment_ptr 1
		.amdhsa_user_sgpr_dispatch_id 0
		.amdhsa_user_sgpr_kernarg_preload_length 0
		.amdhsa_user_sgpr_kernarg_preload_offset 0
		.amdhsa_user_sgpr_private_segment_size 0
		.amdhsa_uses_dynamic_stack 0
		.amdhsa_enable_private_segment 0
		.amdhsa_system_sgpr_workgroup_id_x 1
		.amdhsa_system_sgpr_workgroup_id_y 1
		.amdhsa_system_sgpr_workgroup_id_z 0
		.amdhsa_system_sgpr_workgroup_info 0
		.amdhsa_system_vgpr_workitem_id 0
		.amdhsa_next_free_vgpr 120
		.amdhsa_next_free_sgpr 68
		.amdhsa_accum_offset 112
		.amdhsa_reserve_vcc 1
		.amdhsa_float_round_mode_32 0
		.amdhsa_float_round_mode_16_64 0
		.amdhsa_float_denorm_mode_32 3
		.amdhsa_float_denorm_mode_16_64 3
		.amdhsa_dx10_clamp 1
		.amdhsa_ieee_mode 1
		.amdhsa_fp16_overflow 0
		.amdhsa_tg_split 0
		.amdhsa_exception_fp_ieee_invalid_op 0
		.amdhsa_exception_fp_denorm_src 0
		.amdhsa_exception_fp_ieee_div_zero 0
		.amdhsa_exception_fp_ieee_overflow 0
		.amdhsa_exception_fp_ieee_underflow 0
		.amdhsa_exception_fp_ieee_inexact 0
		.amdhsa_exception_int_div_zero 0
	.end_amdhsa_kernel
	.section	.text._ZN12_GLOBAL__N_139chunk_gated_delta_rule_fwd_h_hip_kernelILi16ELb1ELb1ELb0ELb0ELb0ELb0ELb1ELb1EEEvPK12hip_bfloat16S3_S3_PKfS5_PKvPS1_S8_PvPKiSB_iiiiilll,"axG",@progbits,_ZN12_GLOBAL__N_139chunk_gated_delta_rule_fwd_h_hip_kernelILi16ELb1ELb1ELb0ELb0ELb0ELb0ELb1ELb1EEEvPK12hip_bfloat16S3_S3_PKfS5_PKvPS1_S8_PvPKiSB_iiiiilll,comdat
.Lfunc_end618:
	.size	_ZN12_GLOBAL__N_139chunk_gated_delta_rule_fwd_h_hip_kernelILi16ELb1ELb1ELb0ELb0ELb0ELb0ELb1ELb1EEEvPK12hip_bfloat16S3_S3_PKfS5_PKvPS1_S8_PvPKiSB_iiiiilll, .Lfunc_end618-_ZN12_GLOBAL__N_139chunk_gated_delta_rule_fwd_h_hip_kernelILi16ELb1ELb1ELb0ELb0ELb0ELb0ELb1ELb1EEEvPK12hip_bfloat16S3_S3_PKfS5_PKvPS1_S8_PvPKiSB_iiiiilll
                                        ; -- End function
	.section	.AMDGPU.csdata,"",@progbits
; Kernel info:
; codeLenInByte = 7876
; NumSgprs: 74
; NumVgprs: 110
; NumAgprs: 8
; TotalNumVgprs: 120
; ScratchSize: 0
; MemoryBound: 0
; FloatMode: 240
; IeeeMode: 1
; LDSByteSize: 40960 bytes/workgroup (compile time only)
; SGPRBlocks: 9
; VGPRBlocks: 14
; NumSGPRsForWavesPerEU: 74
; NumVGPRsForWavesPerEU: 120
; AccumOffset: 112
; Occupancy: 1
; WaveLimiterHint : 1
; COMPUTE_PGM_RSRC2:SCRATCH_EN: 0
; COMPUTE_PGM_RSRC2:USER_SGPR: 2
; COMPUTE_PGM_RSRC2:TRAP_HANDLER: 0
; COMPUTE_PGM_RSRC2:TGID_X_EN: 1
; COMPUTE_PGM_RSRC2:TGID_Y_EN: 1
; COMPUTE_PGM_RSRC2:TGID_Z_EN: 0
; COMPUTE_PGM_RSRC2:TIDIG_COMP_CNT: 0
; COMPUTE_PGM_RSRC3_GFX90A:ACCUM_OFFSET: 27
; COMPUTE_PGM_RSRC3_GFX90A:TG_SPLIT: 0
	.section	.text._ZN12_GLOBAL__N_139chunk_gated_delta_rule_fwd_h_hip_kernelILi16ELb1ELb0ELb1ELb0ELb0ELb0ELb1ELb1EEEvPK12hip_bfloat16S3_S3_PKfS5_PKvPS1_S8_PvPKiSB_iiiiilll,"axG",@progbits,_ZN12_GLOBAL__N_139chunk_gated_delta_rule_fwd_h_hip_kernelILi16ELb1ELb0ELb1ELb0ELb0ELb0ELb1ELb1EEEvPK12hip_bfloat16S3_S3_PKfS5_PKvPS1_S8_PvPKiSB_iiiiilll,comdat
	.globl	_ZN12_GLOBAL__N_139chunk_gated_delta_rule_fwd_h_hip_kernelILi16ELb1ELb0ELb1ELb0ELb0ELb0ELb1ELb1EEEvPK12hip_bfloat16S3_S3_PKfS5_PKvPS1_S8_PvPKiSB_iiiiilll ; -- Begin function _ZN12_GLOBAL__N_139chunk_gated_delta_rule_fwd_h_hip_kernelILi16ELb1ELb0ELb1ELb0ELb0ELb0ELb1ELb1EEEvPK12hip_bfloat16S3_S3_PKfS5_PKvPS1_S8_PvPKiSB_iiiiilll
	.p2align	8
	.type	_ZN12_GLOBAL__N_139chunk_gated_delta_rule_fwd_h_hip_kernelILi16ELb1ELb0ELb1ELb0ELb0ELb0ELb1ELb1EEEvPK12hip_bfloat16S3_S3_PKfS5_PKvPS1_S8_PvPKiSB_iiiiilll,@function
_ZN12_GLOBAL__N_139chunk_gated_delta_rule_fwd_h_hip_kernelILi16ELb1ELb0ELb1ELb0ELb0ELb0ELb1ELb1EEEvPK12hip_bfloat16S3_S3_PKfS5_PKvPS1_S8_PvPKiSB_iiiiilll: ; @_ZN12_GLOBAL__N_139chunk_gated_delta_rule_fwd_h_hip_kernelILi16ELb1ELb0ELb1ELb0ELb0ELb0ELb1ELb1EEEvPK12hip_bfloat16S3_S3_PKfS5_PKvPS1_S8_PvPKiSB_iiiiilll
; %bb.0:
	s_load_dwordx4 s[12:15], s[0:1], 0x5c
	s_load_dwordx4 s[20:23], s[0:1], 0x70
	s_abs_i32 s6, s3
	s_ashr_i32 s5, s3, 31
	s_load_dwordx4 s[16:19], s[0:1], 0x28
	s_load_dwordx2 s[28:29], s[0:1], 0x38
	s_waitcnt lgkmcnt(0)
	s_abs_i32 s4, s13
	v_cvt_f32_u32_e32 v1, s4
	s_sub_i32 s8, 0, s4
	s_ashr_i32 s7, s13, 31
	s_xor_b32 s5, s5, s7
	v_rcp_iflag_f32_e32 v1, v1
	v_and_b32_e32 v45, 15, v0
	v_lshrrev_b32_e32 v43, 6, v0
	v_bfe_u32 v44, v0, 4, 2
	v_mul_f32_e32 v1, 0x4f7ffffe, v1
	v_cvt_u32_f32_e32 v1, v1
	v_mov_b32_e32 v5, 0
	v_and_b32_e32 v42, 63, v0
	v_lshlrev_b32_e32 v46, 3, v0
	v_readfirstlane_b32 s9, v1
	s_mul_i32 s8, s8, s9
	s_mul_hi_u32 s8, s9, s8
	s_add_i32 s9, s9, s8
	s_mul_hi_u32 s8, s6, s9
	s_mul_i32 s9, s8, s4
	s_sub_i32 s6, s6, s9
	s_add_i32 s10, s8, 1
	s_sub_i32 s9, s6, s4
	s_cmp_ge_u32 s6, s4
	s_cselect_b32 s8, s10, s8
	s_cselect_b32 s6, s9, s6
	s_add_i32 s9, s8, 1
	s_cmp_ge_u32 s6, s4
	s_cselect_b32 s6, s9, s8
	s_xor_b32 s6, s6, s5
	s_add_i32 s8, s12, 63
	s_sub_i32 s51, s6, s5
	s_ashr_i32 s9, s8, 31
	s_mul_i32 s5, s51, s13
	s_sub_i32 s49, s3, s5
	s_lshr_b32 s3, s9, 26
	s_add_i32 s8, s8, s3
	s_abs_i32 s3, s14
	v_cvt_f32_u32_e32 v1, s3
	s_ashr_i32 s50, s12, 31
	s_lshr_b32 s6, s50, 26
	s_add_i32 s6, s12, s6
	v_rcp_iflag_f32_e32 v1, v1
	s_ashr_i32 s54, s14, 31
	s_ashr_i32 s24, s8, 6
	;; [unrolled: 1-line block ×3, first 2 shown]
	v_mul_f32_e32 v1, 0x4f7ffffe, v1
	v_cvt_u32_f32_e32 v1, v1
	s_xor_b32 s6, s7, s54
	s_sub_i32 s7, 0, s3
	s_lshl_b32 s2, s2, 4
	v_readfirstlane_b32 s8, v1
	s_mul_i32 s7, s7, s8
	s_mul_hi_u32 s7, s8, s7
	s_add_i32 s8, s8, s7
	s_mul_hi_u32 s7, s4, s8
	s_mul_i32 s8, s7, s3
	s_sub_i32 s4, s4, s8
	s_add_i32 s8, s7, 1
	s_sub_i32 s9, s4, s3
	s_cmp_ge_u32 s4, s3
	s_cselect_b32 s7, s8, s7
	s_cselect_b32 s4, s9, s4
	s_add_i32 s8, s7, 1
	s_cmp_ge_u32 s4, s3
	s_cselect_b32 s3, s8, s7
	s_xor_b32 s3, s3, s6
	s_sub_i32 s3, s3, s6
	s_abs_i32 s4, s3
	v_cvt_f32_u32_e32 v1, s4
	s_sub_i32 s7, 0, s4
	s_abs_i32 s6, s49
	s_xor_b32 s3, s49, s3
	v_rcp_iflag_f32_e32 v1, v1
	s_ashr_i32 s3, s3, 31
	v_or_b32_e32 v34, s2, v45
	v_lshlrev_b32_e32 v2, 7, v34
	v_mul_f32_e32 v1, 0x4f7ffffe, v1
	v_cvt_u32_f32_e32 v1, v1
	v_ashrrev_i32_e32 v3, 31, v2
	v_lshrrev_b32_e32 v47, 3, v42
	s_mul_i32 s33, s51, s21
	v_readfirstlane_b32 s8, v1
	s_mul_i32 s7, s7, s8
	s_mul_hi_u32 s7, s8, s7
	s_add_i32 s8, s8, s7
	s_mul_hi_u32 s7, s6, s8
	s_mul_i32 s8, s7, s4
	s_sub_i32 s6, s6, s8
	s_add_i32 s8, s7, 1
	s_sub_i32 s9, s6, s4
	s_cmp_ge_u32 s6, s4
	s_cselect_b32 s7, s8, s7
	s_cselect_b32 s6, s9, s6
	s_add_i32 s8, s7, 1
	s_cmp_ge_u32 s6, s4
	s_cselect_b32 s4, s8, s7
	s_xor_b32 s4, s4, s3
	s_sub_i32 s55, s4, s3
	s_ashr_i32 s3, s51, 31
	s_ashr_i32 s53, s49, 31
	s_mul_hi_i32 s4, s51, s13
	s_add_u32 s38, s5, s49
	s_addc_u32 s39, s4, s53
	s_lshl_b64 s[4:5], s[38:39], 15
	v_lshlrev_b32_e32 v1, 4, v43
	s_add_u32 s4, s16, s4
	v_lshl_or_b32 v48, v44, 2, v1
	s_addc_u32 s5, s17, s5
	v_lshl_add_u64 v[2:3], v[2:3], 1, s[4:5]
	v_lshlrev_b32_e32 v4, 1, v48
	v_lshl_add_u64 v[2:3], v[2:3], 0, v[4:5]
	global_load_dwordx2 v[4:5], v[2:3], off
	global_load_dwordx2 v[6:7], v[2:3], off offset:128
	s_load_dwordx8 s[4:11], s[0:1], 0x0
	s_load_dwordx2 s[30:31], s[0:1], 0x80
	v_or_b32_e32 v49, 64, v48
	s_mul_hi_u32 s44, s51, s20
	s_mul_i32 s36, s51, s20
	s_mul_i32 s56, s51, s24
	;; [unrolled: 1-line block ×3, first 2 shown]
	s_mul_hi_u32 s46, s49, s22
	s_mul_i32 s48, s3, s20
	s_mul_i32 s47, s53, s22
	s_mul_hi_u32 s57, s38, s12
	s_mul_i32 s16, s38, s12
	s_mul_i32 s39, s39, s12
	s_cmp_lt_i32 s12, 64
	s_mul_i32 s34, s49, s22
	s_waitcnt vmcnt(1)
	v_and_b32_e32 v50, 0xffff0000, v4
	v_lshlrev_b32_e32 v52, 16, v4
	v_and_b32_e32 v56, 0xffff0000, v5
	v_lshlrev_b32_e32 v54, 16, v5
	s_waitcnt vmcnt(0)
	v_and_b32_e32 v51, 0xffff0000, v6
	v_lshlrev_b32_e32 v53, 16, v6
	v_and_b32_e32 v57, 0xffff0000, v7
	v_lshlrev_b32_e32 v55, 16, v7
	s_cbranch_scc1 .LBB619_3
; %bb.1:
	s_add_i32 s17, s57, s39
	s_lshl_b64 s[0:1], s[16:17], 8
	v_and_b32_e32 v59, 56, v46
	s_waitcnt lgkmcnt(0)
	s_add_u32 s20, s6, s0
	v_lshl_or_b32 v58, v43, 3, v47
	v_lshlrev_b32_e32 v2, 1, v59
	s_addc_u32 s0, s7, s1
	v_lshl_or_b32 v60, v58, 8, v2
	s_and_b32 s21, s0, 0xffff
	s_mov_b32 s23, 0x20000
	s_movk_i32 s22, 0x4000
	s_movk_i32 s0, 0x80
	v_or_b32_e32 v61, 0x2000, v60
	buffer_load_dwordx4 v[4:7], v60, s[20:23], 0 offen
	buffer_load_dwordx4 v[8:11], v60, s[20:23], s0 offen
	;; [unrolled: 1-line block ×4, first 2 shown]
	v_lshlrev_b32_e32 v3, 3, v58
	v_and_or_b32 v21, v0, 7, v3
	v_and_b32_e32 v3, 0x78, v3
	v_lshlrev_b32_e32 v21, 4, v21
	v_xor_b32_e32 v62, v21, v3
	v_mul_lo_u32 v20, v58, s15
	v_or_b32_e32 v63, 0x1000, v62
	v_xor_b32_e32 v3, 8, v62
	s_cmpk_eq_i32 s15, 0x80
	s_mov_b32 s58, s14
	v_xor_b32_e32 v21, 8, v63
	s_cselect_b64 s[0:1], -1, 0
	s_cmpk_lg_i32 s15, 0x80
	s_waitcnt vmcnt(3)
	ds_write_b64 v62, v[4:5] offset:16384
	ds_write_b64 v3, v[6:7] offset:16384
	s_waitcnt vmcnt(2)
	ds_write_b64 v62, v[8:9] offset:24576
	ds_write_b64 v3, v[10:11] offset:24576
	;; [unrolled: 3-line block ×4, first 2 shown]
	v_lshl_add_u32 v3, v20, 1, v59
	s_cbranch_scc0 .LBB619_29
; %bb.2:
	v_lshlrev_b32_e32 v5, 1, v3
	v_add_lshl_u32 v4, v3, s15, 1
	s_lshl_b32 s22, s15, 7
	v_lshl_or_b32 v2, v58, 9, v2
	s_cbranch_execz .LBB619_30
	s_branch .LBB619_31
.LBB619_3:
	v_mov_b32_e32 v2, v57
	v_mov_b32_e32 v3, v56
.LBB619_4:
	s_lshl_b32 s26, s52, 6
	s_sub_i32 s27, s12, s26
	s_cmp_gt_i32 s27, 0
	s_cbranch_scc0 .LBB619_76
; %bb.5:
	s_ashr_i32 s3, s26, 31
	s_cmpk_lg_i32 s15, 0x80
	s_cselect_b64 s[22:23], -1, 0
	s_and_b64 vcc, exec, s[22:23]
	s_cbranch_vccz .LBB619_7
; %bb.6:
	s_mul_i32 s1, s51, s12
	s_mul_hi_i32 s0, s51, s12
	s_add_u32 s1, s1, s26
	s_addc_u32 s0, s0, s3
	s_mul_i32 s17, s1, s54
	s_mul_hi_u32 s20, s1, s14
	s_add_i32 s17, s20, s17
	s_mul_i32 s0, s0, s14
	s_add_i32 s17, s17, s0
	s_mul_i32 s1, s1, s14
	s_ashr_i32 s0, s55, 31
	s_add_u32 s24, s1, s55
	s_addc_u32 s25, s17, s0
	s_cbranch_execz .LBB619_8
	s_branch .LBB619_9
.LBB619_7:
                                        ; implicit-def: $sgpr24_sgpr25
.LBB619_8:
	s_mul_hi_i32 s0, s51, s14
	s_mul_i32 s51, s51, s14
	s_ashr_i32 s1, s55, 31
	s_add_u32 s14, s51, s55
	s_addc_u32 s0, s0, s1
	s_mul_i32 s1, s14, s50
	s_mul_hi_u32 s17, s14, s12
	s_add_i32 s1, s17, s1
	s_mul_i32 s0, s0, s12
	s_add_i32 s1, s1, s0
	s_mul_i32 s14, s14, s12
	s_add_u32 s24, s14, s26
	s_addc_u32 s25, s1, s3
.LBB619_9:
	s_mul_i32 s0, s38, s50
	s_add_i32 s0, s57, s0
	s_add_i32 s14, s56, s52
	;; [unrolled: 1-line block ×3, first 2 shown]
	s_add_u32 s0, s16, s26
	s_addc_u32 s1, s1, s3
	s_mov_b32 s3, 0x7060302
	v_lshlrev_b32_e32 v6, 3, v45
	v_perm_b32 v5, v3, v54, s3
	v_perm_b32 v4, v50, v52, s3
	v_perm_b32 v3, v2, v55, s3
	v_perm_b32 v2, v51, v53, s3
	v_lshlrev_b32_e32 v36, 2, v45
	v_lshl_or_b32 v6, v48, 5, v6
	s_lshl_b64 s[20:21], s[0:1], 8
	ds_write2st64_b64 v6, v[4:5], v[2:3] offset0:72 offset1:76
	v_xor_b32_e32 v6, v48, v36
	v_lshlrev_b32_e32 v7, 8, v45
	s_waitcnt lgkmcnt(0)
	s_add_u32 s0, s6, s20
	v_lshl_or_b32 v6, v6, 1, v7
	s_addc_u32 s1, s7, s21
	ds_write_b64 v6, v[4:5] offset:32768
	v_xor_b32_e32 v4, v49, v36
	s_mul_hi_i32 s3, s14, s13
	s_mul_i32 s14, s14, s13
	v_lshl_or_b32 v4, v4, 1, v7
	s_add_u32 s6, s14, s49
	ds_write_b64 v4, v[2:3] offset:32768
	s_addc_u32 s7, s3, s53
	v_lshlrev_b32_e32 v3, 1, v45
	v_lshrrev_b32_e32 v2, 4, v0
	s_ashr_i32 s3, s2, 31
	s_lshl_b64 s[6:7], s[6:7], 15
	v_or_b32_e32 v4, 1, v3
	s_add_u32 s6, s18, s6
	v_xor_b32_e32 v3, v2, v3
	v_xor_b32_e32 v4, v4, v2
	v_lshlrev_b32_e32 v6, 8, v2
	s_addc_u32 s7, s19, s7
	s_lshl_b64 s[2:3], s[2:3], 8
	v_lshl_or_b32 v2, v3, 3, v6
	v_lshl_or_b32 v4, v4, 3, v6
	s_waitcnt lgkmcnt(0)
	s_barrier
	s_add_u32 s2, s6, s2
	ds_read_b64 v[2:3], v2 offset:32768
	ds_read_b64 v[4:5], v4 offset:32768
	s_addc_u32 s3, s7, s3
	v_mov_b32_e32 v7, 0
	s_cmp_lg_u32 s27, 64
	v_lshl_add_u64 v[8:9], s[2:3], 0, v[6:7]
	v_lshlrev_b32_e32 v6, 4, v45
	s_cselect_b64 s[6:7], -1, 0
	v_lshl_or_b32 v35, v43, 3, v47
	s_mov_b32 s16, 0
	v_lshl_add_u64 v[6:7], v[8:9], 0, v[6:7]
	s_waitcnt vmcnt(1)
	v_or_b32_e32 v19, 32, v35
	v_and_b32_e32 v18, 56, v46
	s_and_b64 vcc, exec, s[6:7]
	s_waitcnt lgkmcnt(0)
	global_store_dwordx4 v[6:7], v[2:5], off
	s_cbranch_vccz .LBB619_15
; %bb.10:
	s_mov_b32 s17, s16
	s_mov_b32 s18, s16
	;; [unrolled: 1-line block ×3, first 2 shown]
	v_mov_b64_e32 v[6:7], s[16:17]
	v_mov_b64_e32 v[8:9], s[18:19]
	;; [unrolled: 1-line block ×3, first 2 shown]
	v_cmp_gt_i32_e32 vcc, s27, v35
	v_mov_b64_e32 v[4:5], v[8:9]
	s_and_saveexec_b64 s[2:3], vcc
	s_cbranch_execz .LBB619_12
; %bb.11:
	v_lshlrev_b32_e32 v2, 8, v35
	v_mov_b32_e32 v3, 0
	v_lshl_add_u64 v[4:5], s[0:1], 0, v[2:3]
	v_lshlrev_b32_e32 v2, 1, v18
	v_lshl_add_u64 v[10:11], v[4:5], 0, v[2:3]
	global_load_dwordx4 v[6:9], v[10:11], off
	global_load_dwordx4 v[2:5], v[10:11], off offset:128
.LBB619_12:
	s_or_b64 exec, exec, s[2:3]
	s_mov_b32 s17, s16
	s_mov_b32 s18, s16
	;; [unrolled: 1-line block ×3, first 2 shown]
	v_mov_b64_e32 v[14:15], s[16:17]
	v_mov_b64_e32 v[16:17], s[18:19]
	;; [unrolled: 1-line block ×3, first 2 shown]
	v_cmp_gt_i32_e32 vcc, s27, v19
	v_lshlrev_b32_e32 v20, 7, v19
	v_mov_b64_e32 v[12:13], v[16:17]
	s_and_saveexec_b64 s[2:3], vcc
	s_cbranch_execz .LBB619_14
; %bb.13:
	v_lshlrev_b32_e32 v10, 1, v20
	v_mov_b32_e32 v11, 0
	v_lshl_add_u64 v[12:13], s[0:1], 0, v[10:11]
	v_lshlrev_b32_e32 v10, 1, v18
	v_lshl_add_u64 v[22:23], v[12:13], 0, v[10:11]
	global_load_dwordx4 v[14:17], v[22:23], off
	global_load_dwordx4 v[10:13], v[22:23], off offset:128
.LBB619_14:
	s_or_b64 exec, exec, s[2:3]
	v_lshrrev_b32_e32 v21, 3, v18
	v_lshlrev_b32_e32 v22, 3, v35
	v_or_b32_e32 v21, v22, v21
	v_lshlrev_b32_e32 v21, 4, v21
	v_and_b32_e32 v22, 0x78, v22
	v_xor_b32_e32 v21, v21, v22
	s_branch .LBB619_17
.LBB619_15:
                                        ; implicit-def: $vgpr21
                                        ; implicit-def: $vgpr20
                                        ; implicit-def: $vgpr6_vgpr7_vgpr8_vgpr9
                                        ; implicit-def: $vgpr2_vgpr3_vgpr4_vgpr5
                                        ; implicit-def: $vgpr14_vgpr15_vgpr16_vgpr17
                                        ; implicit-def: $vgpr10_vgpr11_vgpr12_vgpr13
	s_cbranch_execz .LBB619_17
; %bb.16:
	s_waitcnt vmcnt(0)
	v_lshlrev_b32_e32 v2, 1, v18
	v_lshl_or_b32 v20, v35, 8, v2
	s_and_b32 s1, s1, 0xffff
	s_mov_b32 s3, 0x20000
	s_movk_i32 s2, 0x4000
	v_lshl_or_b32 v21, v19, 8, v2
	s_movk_i32 s13, 0x80
	buffer_load_dwordx4 v[6:9], v20, s[0:3], 0 offen
	buffer_load_dwordx4 v[2:5], v20, s[0:3], s13 offen
	;; [unrolled: 1-line block ×4, first 2 shown]
	v_lshrrev_b32_e32 v20, 3, v18
	v_lshlrev_b32_e32 v21, 3, v35
	v_or_b32_e32 v20, v21, v20
	v_lshlrev_b32_e32 v20, 4, v20
	v_and_b32_e32 v21, 0x78, v21
	v_xor_b32_e32 v21, v20, v21
	v_lshlrev_b32_e32 v20, 7, v19
.LBB619_17:
	s_lshl_b64 s[0:1], s[24:25], 8
	s_add_u32 s4, s4, s0
	s_movk_i32 s0, 0x1000
	v_and_or_b32 v19, v20, s0, v21
	s_waitcnt vmcnt(1)
	ds_write_b64 v21, v[6:7] offset:16384
	v_xor_b32_e32 v6, 8, v21
	ds_write_b64 v6, v[8:9] offset:16384
	s_waitcnt vmcnt(0)
	ds_write_b64 v21, v[2:3] offset:24576
	ds_write_b64 v6, v[4:5] offset:24576
	ds_write_b64 v19, v[14:15] offset:16384
	v_xor_b32_e32 v2, 8, v19
	ds_write_b64 v2, v[16:17] offset:16384
	ds_write_b64 v19, v[10:11] offset:24576
	;; [unrolled: 1-line block ×3, first 2 shown]
	v_or_b32_e32 v2, v1, v45
	s_addc_u32 s5, s5, s1
	s_add_i32 s0, s12, -1
	v_lshlrev_b32_e32 v2, 3, v2
	v_lshrrev_b32_e32 v4, 5, v42
	s_movk_i32 s12, 0xf8
	v_and_or_b32 v4, v2, s12, v4
	v_lshlrev_b32_e32 v3, 11, v43
	v_lshlrev_b32_e32 v12, 4, v4
	v_and_b32_e32 v13, 0x78, v2
	v_and_b32_e32 v14, 0x1000, v3
	v_lshlrev_b32_e32 v3, 2, v0
	v_xor_b32_e32 v2, v12, v13
	v_lshrrev_b32_e32 v4, 1, v42
	v_and_b32_e32 v3, 60, v3
	v_or_b32_e32 v2, v2, v14
	v_and_b32_e32 v15, 8, v4
	v_xor_b32_e32 v26, v2, v15
	v_lshl_or_b32 v2, v44, 6, v3
	v_lshlrev_b32_e32 v19, 1, v2
	v_or_b32_e32 v2, 32, v12
	v_xor_b32_e32 v2, v2, v13
	s_waitcnt lgkmcnt(0)
	s_barrier
	ds_read_b64 v[10:11], v26 offset:16384
	v_or_b32_e32 v2, v2, v14
	v_xor_b32_e32 v27, v2, v15
	v_or_b32_e32 v2, 64, v12
	v_xor_b32_e32 v2, v2, v13
	v_or_b32_e32 v2, v2, v14
	v_or_b32_e32 v12, 0x60, v12
	v_xor_b32_e32 v28, v2, v15
	ds_read2st64_b64 v[2:5], v19 offset0:72 offset1:73
	ds_read2st64_b64 v[6:9], v19 offset0:74 offset1:75
	v_xor_b32_e32 v16, v12, v13
	ds_read_b64 v[12:13], v27 offset:16384
	s_add_i32 s1, s44, s33
	s_waitcnt lgkmcnt(2)
	v_mfma_f32_16x16x16_bf16 a[0:3], v[10:11], v[2:3], 0
	s_add_i32 s37, s1, s48
	s_add_i32 s1, s46, s45
	;; [unrolled: 1-line block ×3, first 2 shown]
	s_ashr_i32 s1, s0, 31
	s_mul_i32 s2, s0, s31
	s_mul_hi_u32 s3, s0, s30
	s_add_i32 s2, s3, s2
	s_mul_i32 s1, s1, s30
	v_or_b32_e32 v14, v16, v14
	s_add_i32 s1, s2, s1
	s_lshl_b64 s[2:3], s[36:37], 2
	v_xor_b32_e32 v37, v14, v15
	ds_read_b64 v[14:15], v28 offset:16384
	ds_read_b64 v[16:17], v37 offset:16384
	s_waitcnt lgkmcnt(2)
	v_mfma_f32_16x16x16_bf16 a[0:3], v[12:13], v[4:5], a[0:3]
	s_add_u32 s10, s10, s2
	s_addc_u32 s11, s11, s3
	s_lshl_b64 s[2:3], s[34:35], 2
	s_mul_i32 s0, s0, s30
	s_add_u32 s10, s10, s2
	s_addc_u32 s11, s11, s3
	s_lshl_b64 s[0:1], s[0:1], 2
	s_waitcnt lgkmcnt(1)
	v_mfma_f32_16x16x16_bf16 a[0:3], v[14:15], v[6:7], a[0:3]
	s_add_u32 s0, s10, s0
	s_addc_u32 s1, s11, s1
	s_load_dword s12, s[0:1], 0x0
	s_waitcnt lgkmcnt(0)
	v_mfma_f32_16x16x16_bf16 a[0:3], v[16:17], v[8:9], a[0:3]
	s_and_b64 vcc, exec, s[22:23]
	s_cbranch_vccz .LBB619_28
; %bb.18:
	v_lshlrev_b32_e32 v20, 1, v35
	s_and_b64 vcc, exec, s[6:7]
	s_cbranch_vccz .LBB619_44
; %bb.19:
	v_cmp_gt_i32_e32 vcc, s27, v20
	v_mov_b32_e32 v6, 0
	v_mov_b32_e32 v2, 0
	;; [unrolled: 1-line block ×5, first 2 shown]
	s_and_saveexec_b64 s[0:1], vcc
	s_cbranch_execz .LBB619_21
; %bb.20:
	v_mad_i64_i32 v[2:3], s[2:3], s15, v20, 0
	v_lshl_add_u64 v[2:3], v[2:3], 1, s[4:5]
	v_lshlrev_b32_e32 v4, 1, v18
	v_mov_b32_e32 v5, 0
	v_lshl_add_u64 v[2:3], v[2:3], 0, v[4:5]
	global_load_dwordx4 v[2:5], v[2:3], off
.LBB619_21:
	s_or_b64 exec, exec, s[0:1]
	v_or_b32_e32 v21, 1, v20
	v_cmp_gt_i32_e64 s[0:1], s27, v21
	v_mov_b32_e32 v7, 0
	v_mov_b32_e32 v8, 0
	;; [unrolled: 1-line block ×3, first 2 shown]
	s_and_saveexec_b64 s[2:3], s[0:1]
	s_cbranch_execz .LBB619_23
; %bb.22:
	v_mad_i64_i32 v[6:7], s[16:17], s15, v21, 0
	v_lshl_add_u64 v[6:7], v[6:7], 1, s[4:5]
	v_lshlrev_b32_e32 v8, 1, v18
	v_mov_b32_e32 v9, 0
	v_lshl_add_u64 v[6:7], v[6:7], 0, v[8:9]
	global_load_dwordx4 v[6:9], v[6:7], off
.LBB619_23:
	s_or_b64 exec, exec, s[2:3]
	v_mov_b32_e32 v17, 0
	v_mov_b32_e32 v10, 0
	;; [unrolled: 1-line block ×5, first 2 shown]
	s_and_saveexec_b64 s[2:3], vcc
	s_cbranch_execz .LBB619_25
; %bb.24:
	v_mad_i64_i32 v[10:11], s[16:17], s15, v20, 0
	v_lshl_add_u64 v[10:11], v[10:11], 1, s[4:5]
	v_lshlrev_b32_e32 v12, 1, v18
	v_mov_b32_e32 v13, 0
	v_lshl_add_u64 v[10:11], v[10:11], 0, v[12:13]
	global_load_dwordx4 v[10:13], v[10:11], off offset:128
.LBB619_25:
	s_or_b64 exec, exec, s[2:3]
	v_mov_b32_e32 v16, 0
	v_mov_b32_e32 v15, 0
	;; [unrolled: 1-line block ×3, first 2 shown]
	s_and_saveexec_b64 s[2:3], s[0:1]
	s_cbranch_execz .LBB619_27
; %bb.26:
	v_mad_i64_i32 v[14:15], s[0:1], s15, v21, 0
	v_lshl_add_u64 v[14:15], v[14:15], 1, s[4:5]
	v_lshlrev_b32_e32 v16, 1, v18
	v_mov_b32_e32 v17, 0
	v_lshl_add_u64 v[14:15], v[14:15], 0, v[16:17]
	global_load_dwordx4 v[14:17], v[14:15], off offset:128
.LBB619_27:
	s_or_b64 exec, exec, s[2:3]
	s_branch .LBB619_46
.LBB619_28:
                                        ; implicit-def: $vgpr5
                                        ; implicit-def: $vgpr9
                                        ; implicit-def: $vgpr13
                                        ; implicit-def: $vgpr17
	v_lshrrev_b32_e32 v38, 2, v42
	s_branch .LBB619_47
.LBB619_29:
                                        ; implicit-def: $vgpr4
                                        ; implicit-def: $vgpr5
                                        ; implicit-def: $sgpr22
	v_lshl_or_b32 v2, v58, 9, v2
.LBB619_30:
	v_or_b32_e32 v4, 0x100, v2
	s_movk_i32 s22, 0x4000
	v_mov_b32_e32 v5, v2
.LBB619_31:
	s_mul_hi_u32 s20, s14, s12
	s_mul_i32 s21, s54, s12
	s_add_i32 s20, s20, s21
	s_mul_i32 s21, s14, s12
	s_mul_i32 s23, s21, s3
	s_mul_hi_u32 s24, s21, s51
	s_add_i32 s23, s24, s23
	s_mul_i32 s20, s20, s51
	s_add_i32 s23, s23, s20
	s_mul_i32 s21, s21, s51
	s_ashr_i32 s59, s55, 31
	s_add_u32 s20, s21, s55
	s_addc_u32 s21, s23, s59
	s_lshl_b64 s[20:21], s[20:21], 8
	s_add_u32 s20, s4, s20
	s_addc_u32 s21, s5, s21
	s_and_b32 s21, s21, 0xffff
	s_mov_b32 s23, 0x20000
	s_movk_i32 s60, 0x80
	buffer_load_dwordx4 v[6:9], v5, s[20:23], 0 offen
	buffer_load_dwordx4 v[10:13], v5, s[20:23], s60 offen
	;; [unrolled: 1-line block ×4, first 2 shown]
	v_and_b32_e32 v4, 6, v0
	v_lshlrev_b32_e32 v22, 2, v45
	v_lshlrev_b32_e32 v23, 3, v45
	v_xor_b32_e32 v25, v58, v4
	v_and_b32_e32 v5, 1, v0
	s_mul_i32 s3, s3, s12
	s_mul_hi_u32 s20, s51, s12
	v_lshl_or_b32 v23, v48, 5, v23
	v_xor_b32_e32 v26, v48, v22
	v_lshlrev_b32_e32 v25, 2, v25
	v_or_b32_e32 v64, 0x9000, v23
	v_or_b32_e32 v65, 0x9800, v23
	v_lshlrev_b32_e32 v23, 1, v26
	v_xor_b32_e32 v26, 0x440, v25
	v_cmp_eq_u32_e32 vcc, 0, v5
	s_add_i32 s65, s20, s3
	s_add_i32 s3, s44, s33
	v_cndmask_b32_e32 v5, v26, v25, vcc
	s_add_i32 s20, s46, s45
	s_add_i32 s37, s3, s48
	s_mov_b32 s62, 0x1000504
	v_lshlrev_b32_e32 v24, 8, v45
	s_mov_b32 s22, 0x8000
	v_xor_b32_e32 v22, v49, v22
	v_lshl_or_b32 v4, v4, 10, v5
	s_add_i32 s35, s20, s47
	s_lshl_b64 s[20:21], s[36:37], 2
	s_mov_b32 s63, 0x3020706
	v_lshlrev_b32_e32 v22, 1, v22
	v_or3_b32 v66, v23, v24, s22
	v_xor_b32_e32 v5, 8, v4
	v_xor_b32_e32 v23, 24, v4
	;; [unrolled: 1-line block ×4, first 2 shown]
	s_add_u32 s3, s10, s20
	v_or3_b32 v67, v22, v24, s22
	v_xor_b32_e32 v22, 16, v4
	v_xor_b32_e32 v24, 32, v4
	;; [unrolled: 1-line block ×3, first 2 shown]
	v_add_u32_e32 v5, 0x80, v5
	v_add_u32_e32 v23, 0x80, v23
	;; [unrolled: 1-line block ×4, first 2 shown]
	s_addc_u32 s24, s11, s21
	s_lshl_b64 s[20:21], s[34:35], 2
	s_add_u32 s40, s3, s20
	s_movk_i32 s3, 0xf8
	s_addc_u32 s41, s24, s21
	v_ashrrev_i32_e32 v35, 31, v34
	s_lshl_b32 s26, s15, 7
	s_mov_b32 s61, 0
	s_mul_i32 s64, s51, s12
	v_mov_b32_e32 v81, 0x3fb8aa3b
	s_mov_b32 s37, 0
	s_waitcnt vmcnt(1)
	v_perm_b32 v28, v6, v14, s62
	s_waitcnt vmcnt(0)
	v_perm_b32 v29, v10, v18, s62
	v_perm_b32 v6, v6, v14, s63
	;; [unrolled: 1-line block ×15, first 2 shown]
	ds_write2st64_b32 v4, v28, v29 offset1:32
	ds_write2st64_b32 v5, v6, v10 offset1:32
	ds_write2st64_b32 v22, v14, v18 offset0:1 offset1:33
	ds_write2st64_b32 v23, v7, v11 offset0:1 offset1:33
	;; [unrolled: 1-line block ×6, first 2 shown]
	v_or_b32_e32 v4, v1, v45
	v_lshlrev_b32_e32 v4, 3, v4
	v_lshrrev_b32_e32 v6, 5, v42
	v_and_or_b32 v6, v4, s3, v6
	v_lshlrev_b32_e32 v6, 4, v6
	v_lshlrev_b32_e32 v12, 11, v43
	v_and_b32_e32 v4, 0x78, v4
	v_or_b32_e32 v9, 32, v6
	v_and_b32_e32 v5, 0x1000, v12
	v_lshrrev_b32_e32 v13, 1, v0
	v_xor_b32_e32 v9, v9, v4
	v_and_b32_e32 v8, 8, v13
	v_or_b32_e32 v9, v9, v5
	v_xor_b32_e32 v7, v6, v4
	v_xor_b32_e32 v70, v9, v8
	v_or_b32_e32 v9, 64, v6
	v_or_b32_e32 v6, 0x60, v6
	v_xor_b32_e32 v9, v9, v4
	v_xor_b32_e32 v4, v6, v4
	v_or_b32_e32 v7, v7, v5
	v_or_b32_e32 v9, v9, v5
	;; [unrolled: 1-line block ×3, first 2 shown]
	v_xor_b32_e32 v68, v7, v8
	v_xor_b32_e32 v71, v9, v8
	;; [unrolled: 1-line block ×3, first 2 shown]
	v_lshrrev_b32_e32 v8, 4, v0
	v_lshlrev_b32_e32 v9, 1, v45
	s_ashr_i32 s3, s2, 31
	v_or_b32_e32 v10, 1, v9
	v_xor_b32_e32 v9, v8, v9
	s_lshl_b64 s[20:21], s[2:3], 8
	v_xor_b32_e32 v10, v10, v8
	v_lshlrev_b32_e32 v9, 3, v9
	v_lshlrev_b32_e32 v8, 8, v8
	v_lshlrev_b64 v[4:5], 1, v[34:35]
	s_add_u32 s20, s18, s20
	v_or3_b32 v35, v9, v8, s22
	v_lshlrev_b32_e32 v9, 3, v10
	s_addc_u32 s21, s19, s21
	v_or3_b32 v74, v9, v8, s22
	v_mov_b32_e32 v9, 0
	v_lshl_add_u64 v[10:11], s[20:21], 0, v[8:9]
	v_lshlrev_b32_e32 v8, 4, v45
	s_movk_i32 s3, 0xff
	v_lshlrev_b32_e32 v17, 3, v43
	v_and_b32_e32 v13, 24, v13
	v_lshl_add_u64 v[36:37], v[10:11], 0, v[8:9]
	v_and_b32_e32 v10, 8, v0
	v_cmp_lt_u32_e32 vcc, s3, v0
	v_xor_b32_e32 v18, v17, v13
	v_or_b32_e32 v19, 0x440, v18
	v_cndmask_b32_e64 v16, 0, 1, vcc
	v_cmp_eq_u32_e32 vcc, 0, v10
	v_and_b32_e32 v8, 7, v0
	v_lshlrev_b32_e32 v11, 3, v8
	v_cndmask_b32_e32 v10, v19, v18, vcc
	v_lshlrev_b32_e32 v8, 7, v8
	v_or_b32_e32 v10, v10, v12
	v_xad_u32 v75, v10, v11, v8
	v_or_b32_e32 v10, 32, v13
	v_xor_b32_e32 v10, v17, v10
	v_or_b32_e32 v18, 0x440, v10
	v_cndmask_b32_e32 v10, v18, v10, vcc
	v_or_b32_e32 v10, v10, v12
	v_xad_u32 v76, v10, v11, v8
	v_or_b32_e32 v10, 64, v13
	v_xor_b32_e32 v10, v17, v10
	v_xor_b32_e32 v18, 0x440, v10
	v_cndmask_b32_e32 v10, v18, v10, vcc
	v_or_b32_e32 v10, v10, v12
	v_xad_u32 v77, v10, v11, v8
	v_or_b32_e32 v10, 0x60, v13
	v_xor_b32_e32 v10, v17, v10
	v_xor_b32_e32 v13, 0x440, v10
	v_and_b32_e32 v7, 0x78, v46
	v_cndmask_b32_e32 v10, v13, v10, vcc
	v_lshl_or_b32 v7, v44, 7, v7
	v_or_b32_e32 v10, v10, v12
	v_or_b32_e32 v69, 0x9000, v7
	;; [unrolled: 1-line block ×3, first 2 shown]
	v_lshl_add_u64 v[6:7], s[8:9], 0, v[4:5]
	v_lshl_add_u64 v[4:5], s[28:29], 0, v[4:5]
	v_lshlrev_b32_e32 v14, 1, v3
	v_add_lshl_u32 v3, v3, s15, 1
	v_or_b32_e32 v15, 0x100, v2
	v_lshlrev_b32_e32 v16, 13, v16
	v_xad_u32 v78, v10, v11, v8
	v_lshlrev_b32_e32 v8, 8, v48
	v_cndmask_b32_e64 v79, v14, v2, s[0:1]
	v_cndmask_b32_e64 v80, v3, v15, s[0:1]
	v_lshl_add_u64 v[38:39], v[6:7], 0, v[8:9]
	v_lshl_add_u64 v[40:41], v[4:5], 0, v[8:9]
	s_mov_b32 s3, 0x7060302
	s_movk_i32 s22, 0x4000
	v_add_u32_e32 v82, v16, v75
	v_add_u32_e32 v83, v16, v76
	;; [unrolled: 1-line block ×4, first 2 shown]
	s_waitcnt lgkmcnt(0)
	s_barrier
.LBB619_32:                             ; =>This Inner Loop Header: Depth=1
	s_add_i32 s35, s37, 1
	s_cmp_lt_i32 s35, s52
	s_mov_b64 s[24:25], 0
	s_cselect_b64 s[42:43], -1, 0
	s_cmp_ge_i32 s35, s52
	s_mov_b64 s[20:21], 0
	s_cbranch_scc1 .LBB619_34
; %bb.33:                               ;   in Loop: Header=BB619_32 Depth=1
	s_add_i32 s0, s61, 64
	s_add_u32 s0, s16, s0
	s_addc_u32 s1, s17, 0
	s_lshl_b64 s[0:1], s[0:1], 8
	s_add_u32 s20, s6, s0
	s_addc_u32 s21, s7, s1
.LBB619_34:                             ;   in Loop: Header=BB619_32 Depth=1
	v_cndmask_b32_e64 v2, 0, 1, s[42:43]
	v_cmp_ne_u32_e64 s[0:1], 1, v2
	s_andn2_b64 vcc, exec, s[42:43]
	s_cbranch_vccnz .LBB619_36
; %bb.35:                               ;   in Loop: Header=BB619_32 Depth=1
	s_add_i32 s24, s61, 64
	s_add_u32 s24, s64, s24
	s_addc_u32 s25, s65, 0
	s_mul_i32 s27, s24, s54
	s_mul_hi_u32 s42, s24, s58
	s_add_i32 s27, s42, s27
	s_mul_i32 s25, s25, s58
	s_add_i32 s27, s27, s25
	s_mul_i32 s24, s24, s58
	s_add_u32 s24, s24, s55
	s_addc_u32 s25, s27, s59
	s_lshl_b64 s[24:25], s[24:25], 8
	s_add_u32 s24, s4, s24
	s_addc_u32 s25, s5, s25
.LBB619_36:                             ;   in Loop: Header=BB619_32 Depth=1
	v_perm_b32 v3, v56, v54, s3
	v_perm_b32 v2, v50, v52, s3
	;; [unrolled: 1-line block ×4, first 2 shown]
	ds_write_b64 v64, v[2:3]
	ds_write_b64 v65, v[4:5]
	;; [unrolled: 1-line block ×4, first 2 shown]
	s_waitcnt lgkmcnt(0)
	s_barrier
	ds_read_b64 v[10:11], v68 offset:16384
	ds_read_b64 v[12:13], v70 offset:16384
	ds_read2st64_b64 v[2:5], v69 offset1:1
	ds_read2st64_b64 v[6:9], v69 offset0:2 offset1:3
	ds_read_b64 v[14:15], v71 offset:16384
	s_waitcnt lgkmcnt(2)
	v_mfma_f32_16x16x16_bf16 a[0:3], v[10:11], v[2:3], 0
	ds_read_b64 v[2:3], v72 offset:16384
	s_add_i32 s27, s61, 63
	s_mul_i32 s42, s27, s31
	v_mfma_f32_16x16x16_bf16 a[0:3], v[12:13], v[4:5], a[0:3]
	s_mul_hi_u32 s43, s27, s30
	s_add_i32 s43, s43, s42
	s_mul_i32 s42, s27, s30
	s_waitcnt lgkmcnt(1)
	v_mfma_f32_16x16x16_bf16 a[0:3], v[14:15], v[6:7], a[0:3]
	s_lshl_b64 s[42:43], s[42:43], 2
	s_add_u32 s42, s40, s42
	s_addc_u32 s43, s41, s43
	s_waitcnt lgkmcnt(0)
	v_mfma_f32_16x16x16_bf16 a[0:3], v[2:3], v[8:9], a[0:3]
	s_and_b64 vcc, exec, s[0:1]
	v_mov_b32_e32 v88, 0
	v_mov_b32_e32 v87, 0
	;; [unrolled: 1-line block ×19, first 2 shown]
	s_cbranch_vccnz .LBB619_38
; %bb.37:                               ;   in Loop: Header=BB619_32 Depth=1
	s_and_b32 s21, s21, 0xffff
	buffer_load_dwordx4 v[14:17], v60, s[20:23], 0 offen
	buffer_load_dwordx4 v[10:13], v60, s[20:23], s60 offen
	;; [unrolled: 1-line block ×4, first 2 shown]
	v_mov_b32_e32 v87, v62
	v_mov_b32_e32 v86, v63
.LBB619_38:                             ;   in Loop: Header=BB619_32 Depth=1
	s_waitcnt vmcnt(3)
	v_add_u32_e32 v24, s61, v48
	s_waitcnt vmcnt(1)
	v_ashrrev_i32_e32 v18, 31, v24
	v_mul_lo_u32 v20, v18, s30
	v_mul_lo_u32 v21, v24, s31
	v_mad_u64_u32 v[18:19], s[20:21], v24, s30, 0
	v_add3_u32 v19, v19, v21, v20
	v_add_u32_e32 v20, 1, v24
	v_ashrrev_i32_e32 v21, 31, v20
	v_mul_lo_u32 v22, v21, s30
	v_mul_lo_u32 v23, v20, s31
	v_mad_u64_u32 v[20:21], s[20:21], v20, s30, 0
	v_add3_u32 v21, v21, v23, v22
	v_add_u32_e32 v22, 2, v24
	v_ashrrev_i32_e32 v23, 31, v22
	v_mul_lo_u32 v25, v23, s30
	v_mul_lo_u32 v26, v22, s31
	v_mad_u64_u32 v[22:23], s[20:21], v22, s30, 0
	s_add_u32 s20, s16, s61
	v_add3_u32 v23, v23, v26, v25
	v_add_u32_e32 v26, 3, v24
	s_addc_u32 s21, s17, 0
	v_ashrrev_i32_e32 v24, 31, v26
	s_lshl_b64 s[66:67], s[20:21], 8
	v_lshl_add_u64 v[18:19], v[18:19], 2, s[40:41]
	v_mul_lo_u32 v27, v24, s30
	v_lshl_add_u64 v[24:25], v[38:39], 0, s[66:67]
	v_mul_lo_u32 v28, v26, s31
	global_load_ushort v90, v[24:25], off
	global_load_ushort v91, v[24:25], off offset:256
	global_load_ushort v92, v[24:25], off offset:512
	;; [unrolled: 1-line block ×3, first 2 shown]
	global_load_dword v94, v[18:19], off
	v_mad_u64_u32 v[18:19], s[20:21], v26, s30, 0
	v_lshl_add_u64 v[20:21], v[20:21], 2, s[40:41]
	v_add3_u32 v19, v19, v28, v27
	v_lshl_add_u64 v[22:23], v[22:23], 2, s[40:41]
	v_lshl_add_u64 v[18:19], v[18:19], 2, s[40:41]
	global_load_dword v95, v[20:21], off
	global_load_dword v96, v[22:23], off
	;; [unrolled: 1-line block ×3, first 2 shown]
	ds_read_b64 v[18:19], v68 offset:24576
	s_load_dword s20, s[42:43], 0x0
	ds_read_b64 v[28:29], v70 offset:24576
	ds_read2st64_b64 v[20:23], v73 offset1:1
	ds_read2st64_b64 v[24:27], v73 offset0:2 offset1:3
	ds_read_b64 v[30:31], v71 offset:24576
	ds_read_b64 v[32:33], v72 offset:24576
	s_waitcnt lgkmcnt(0)
	v_mfma_f32_16x16x16_bf16 a[0:3], v[18:19], v[20:21], a[0:3]
	v_mov_b32_e32 v89, 0
	v_mov_b32_e32 v18, 0
	;; [unrolled: 1-line block ×3, first 2 shown]
	v_mfma_f32_16x16x16_bf16 a[0:3], v[28:29], v[22:23], a[0:3]
	v_lshl_add_u64 v[28:29], v[40:41], 0, s[66:67]
	v_mov_b32_e32 v20, 0
	v_mov_b32_e32 v21, 0
	v_mfma_f32_16x16x16_bf16 a[0:3], v[30:31], v[24:25], a[0:3]
	v_mov_b32_e32 v22, 0
	v_mov_b32_e32 v23, 0
	;; [unrolled: 1-line block ×3, first 2 shown]
	v_mfma_f32_16x16x16_bf16 a[0:3], v[32:33], v[26:27], a[0:3]
	s_and_b64 vcc, exec, s[0:1]
	s_waitcnt vmcnt(7)
	v_lshlrev_b32_e32 v32, 16, v90
	s_nop 3
	v_accvgpr_read_b32 v31, a1
	v_accvgpr_read_b32 v27, a3
	;; [unrolled: 1-line block ×4, first 2 shown]
	s_waitcnt vmcnt(6)
	v_lshlrev_b32_e32 v33, 16, v91
	s_waitcnt vmcnt(4)
	v_lshlrev_b32_e32 v91, 16, v93
	v_lshlrev_b32_e32 v90, 16, v92
	s_waitcnt vmcnt(3)
	v_sub_f32_e32 v25, s20, v94
	v_pk_add_f32 v[30:31], v[32:33], v[30:31] neg_lo:[0,1] neg_hi:[0,1]
	v_pk_add_f32 v[26:27], v[90:91], v[26:27] neg_lo:[0,1] neg_hi:[0,1]
	v_mul_f32_e32 v25, 0x3fb8aa3b, v25
	s_waitcnt vmcnt(2)
	v_sub_f32_e32 v33, s20, v95
	s_waitcnt vmcnt(1)
	v_sub_f32_e32 v90, s20, v96
	;; [unrolled: 2-line block ×3, first 2 shown]
	v_exp_f32_e32 v32, v25
	v_mul_f32_e32 v25, 0x3fb8aa3b, v33
	v_mul_f32_e32 v90, 0x3fb8aa3b, v90
	;; [unrolled: 1-line block ×3, first 2 shown]
	v_exp_f32_e32 v33, v25
	v_exp_f32_e32 v90, v90
	v_exp_f32_e32 v91, v91
	global_store_short_d16_hi v[28:29], v30, off
	global_store_short_d16_hi v[28:29], v31, off offset:256
	global_store_short_d16_hi v[28:29], v26, off offset:512
	;; [unrolled: 1-line block ×3, first 2 shown]
	v_pk_mul_f32 v[28:29], v[32:33], v[30:31]
	v_pk_mul_f32 v[26:27], v[90:91], v[26:27]
	v_mov_b32_e32 v25, 0
	v_perm_b32 v27, v27, v26, s3
	v_perm_b32 v26, v29, v28, s3
	ds_write_b64 v65, v[26:27]
	v_mov_b32_e32 v26, 0
	v_mov_b32_e32 v27, 0
	;; [unrolled: 1-line block ×8, first 2 shown]
	s_cbranch_vccnz .LBB619_40
; %bb.39:                               ;   in Loop: Header=BB619_32 Depth=1
	s_and_b32 s25, s25, 0xffff
	s_mov_b32 s27, s23
	buffer_load_dwordx4 v[30:33], v79, s[24:27], 0 offen
	buffer_load_dwordx4 v[22:25], v79, s[24:27], s60 offen
	;; [unrolled: 1-line block ×4, first 2 shown]
	v_mov_b32_e32 v88, v59
	v_mov_b32_e32 v89, v58
.LBB619_40:                             ;   in Loop: Header=BB619_32 Depth=1
	s_waitcnt lgkmcnt(0)
	s_barrier
	ds_read_b64 v[98:99], v82
	ds_read2st64_b64 v[90:93], v73 offset1:1
	ds_read2st64_b64 v[94:97], v73 offset0:2 offset1:3
	ds_read_b64 v[100:101], v83
	ds_read_b64 v[102:103], v84
	;; [unrolled: 1-line block ×3, first 2 shown]
	s_waitcnt lgkmcnt(4)
	v_mfma_f32_16x16x16_bf16 a[0:3], v[98:99], v[90:91], 0
	ds_read_b64 v[98:99], v75 offset:8192
	ds_read_b64 v[106:107], v76 offset:8192
	s_add_i32 s21, s56, s37
	s_mul_hi_i32 s25, s21, s13
	s_waitcnt lgkmcnt(1)
	v_mfma_f32_16x16x16_bf16 a[4:7], v[98:99], v[90:91], 0
	s_mul_i32 s21, s21, s13
	s_add_u32 s24, s21, s49
	s_addc_u32 s25, s25, s53
	v_mfma_f32_16x16x16_bf16 a[0:3], v[100:101], v[92:93], a[0:3]
	ds_read_b64 v[98:99], v35
	ds_read_b64 v[100:101], v74
	ds_read_b64 v[90:91], v77 offset:8192
	s_lshl_b64 s[24:25], s[24:25], 15
	v_mfma_f32_16x16x16_bf16 a[0:3], v[102:103], v[94:95], a[0:3]
	ds_read_b64 v[102:103], v78 offset:8192
	s_and_b64 vcc, exec, s[0:1]
	s_waitcnt lgkmcnt(4)
	v_mfma_f32_16x16x16_bf16 a[4:7], v[106:107], v[92:93], a[4:7]
	s_waitcnt lgkmcnt(1)
	v_mfma_f32_16x16x16_bf16 a[4:7], v[90:91], v[94:95], a[4:7]
	v_lshl_add_u64 v[90:91], v[36:37], 0, s[24:25]
	global_store_dwordx4 v[90:91], v[98:101], off
	v_mfma_f32_16x16x16_bf16 a[0:3], v[104:105], v[96:97], a[0:3]
	s_waitcnt lgkmcnt(0)
	v_mfma_f32_16x16x16_bf16 a[4:7], v[102:103], v[96:97], a[4:7]
	s_cbranch_vccnz .LBB619_42
; %bb.41:                               ;   in Loop: Header=BB619_32 Depth=1
	v_lshrrev_b32_e32 v90, 3, v88
	v_and_b32_e32 v90, 6, v90
	v_xor_b32_e32 v89, v90, v89
	v_lshlrev_b32_e32 v89, 2, v89
	v_and_b32_e32 v88, 8, v88
	v_xor_b32_e32 v91, 0x440, v89
	v_cmp_eq_u32_e32 vcc, 0, v88
	s_barrier
	s_nop 0
	v_cndmask_b32_e32 v88, v91, v89, vcc
	v_lshl_or_b32 v88, v90, 10, v88
	s_waitcnt vmcnt(2)
	v_perm_b32 v89, v30, v26, s62
	s_waitcnt vmcnt(1)
	v_perm_b32 v90, v22, v18, s62
	ds_write2st64_b32 v88, v89, v90 offset1:32
	v_xor_b32_e32 v89, 8, v88
	v_perm_b32 v26, v30, v26, s63
	v_perm_b32 v18, v22, v18, s63
	v_add_u32_e32 v22, 0x80, v89
	ds_write2st64_b32 v22, v26, v18 offset1:32
	v_xor_b32_e32 v18, 16, v88
	v_perm_b32 v22, v31, v27, s62
	v_perm_b32 v26, v23, v19, s62
	ds_write2st64_b32 v18, v22, v26 offset0:1 offset1:33
	v_xor_b32_e32 v18, 24, v88
	v_perm_b32 v22, v31, v27, s63
	v_perm_b32 v19, v23, v19, s63
	v_add_u32_e32 v18, 0x80, v18
	ds_write2st64_b32 v18, v22, v19 offset0:1 offset1:33
	v_xor_b32_e32 v18, 32, v88
	v_perm_b32 v19, v32, v28, s62
	v_perm_b32 v22, v24, v20, s62
	ds_write2st64_b32 v18, v19, v22 offset0:2 offset1:34
	v_xor_b32_e32 v18, 40, v88
	v_perm_b32 v19, v32, v28, s63
	v_perm_b32 v20, v24, v20, s63
	v_add_u32_e32 v18, 0x80, v18
	ds_write2st64_b32 v18, v19, v20 offset0:2 offset1:34
	;; [unrolled: 9-line block ×3, first 2 shown]
	ds_write_b64 v87, v[14:15] offset:16384
	v_xor_b32_e32 v14, 8, v87
	ds_write_b64 v14, v[16:17] offset:16384
	ds_write_b64 v87, v[10:11] offset:24576
	;; [unrolled: 1-line block ×4, first 2 shown]
	v_xor_b32_e32 v6, 8, v86
	ds_write_b64 v6, v[8:9] offset:16384
	ds_write_b64 v86, v[2:3] offset:24576
	;; [unrolled: 1-line block ×3, first 2 shown]
.LBB619_42:                             ;   in Loop: Header=BB619_32 Depth=1
	v_mul_f32_e32 v2, s20, v81
	v_exp_f32_e32 v4, v2
	s_nop 1
	v_accvgpr_read_b32 v2, a0
	v_accvgpr_read_b32 v3, a1
	s_add_i32 s61, s61, 64
	v_fma_f32 v52, v52, v4, v2
	v_accvgpr_read_b32 v2, a2
	v_fma_f32 v54, v54, v4, v2
	v_accvgpr_read_b32 v2, a4
	v_fma_f32 v53, v53, v4, v2
	v_accvgpr_read_b32 v2, a5
	v_fma_f32 v51, v51, v4, v2
	v_accvgpr_read_b32 v2, a6
	v_fma_f32 v50, v50, v4, v3
	v_accvgpr_read_b32 v3, a3
	v_fma_f32 v55, v55, v4, v2
	v_accvgpr_read_b32 v2, a7
	v_fmac_f32_e32 v3, v56, v4
	s_cmp_eq_u32 s52, s35
	v_fmac_f32_e32 v2, v57, v4
	s_cbranch_scc1 .LBB619_4
; %bb.43:                               ;   in Loop: Header=BB619_32 Depth=1
	s_mov_b32 s37, s35
	v_mov_b32_e32 v56, v3
	v_mov_b32_e32 v57, v2
	s_branch .LBB619_32
.LBB619_44:
                                        ; implicit-def: $vgpr5
                                        ; implicit-def: $vgpr9
                                        ; implicit-def: $vgpr13
                                        ; implicit-def: $vgpr17
	s_cbranch_execz .LBB619_46
; %bb.45:
	s_waitcnt vmcnt(0)
	v_mad_u64_u32 v[2:3], s[0:1], v20, s15, v[18:19]
	v_lshlrev_b32_e32 v20, 1, v2
	s_lshl_b32 s2, s15, 7
	s_and_b32 s1, s5, 0xffff
	s_mov_b32 s3, 0x20000
	s_mov_b32 s0, s4
	v_add_lshl_u32 v21, v2, s15, 1
	s_movk_i32 s13, 0x80
	buffer_load_dwordx4 v[2:5], v20, s[0:3], 0 offen
	buffer_load_dwordx4 v[10:13], v20, s[0:3], s13 offen
	;; [unrolled: 1-line block ×4, first 2 shown]
.LBB619_46:
	v_lshrrev_b32_e32 v38, 2, v42
	s_cbranch_execnz .LBB619_59
.LBB619_47:
	s_and_b64 vcc, exec, s[6:7]
	s_cbranch_vccz .LBB619_57
; %bb.48:
	s_waitcnt vmcnt(0)
	v_lshlrev_b32_e32 v7, 1, v35
	v_cmp_gt_i32_e32 vcc, s27, v7
	v_mov_b32_e32 v6, 0
	v_lshlrev_b32_e32 v14, 9, v35
	v_mov_b32_e32 v2, 0
	v_mov_b32_e32 v3, 0
	v_mov_b32_e32 v4, 0
	v_mov_b32_e32 v5, 0
	s_and_saveexec_b64 s[0:1], vcc
	s_cbranch_execz .LBB619_50
; %bb.49:
	v_mov_b32_e32 v15, 0
	v_lshl_add_u64 v[2:3], s[4:5], 0, v[14:15]
	v_lshlrev_b32_e32 v4, 1, v18
	v_mov_b32_e32 v5, v15
	v_lshl_add_u64 v[2:3], v[2:3], 0, v[4:5]
	global_load_dwordx4 v[2:5], v[2:3], off
.LBB619_50:
	s_or_b64 exec, exec, s[0:1]
	v_or_b32_e32 v7, 1, v7
	v_cmp_gt_i32_e64 s[0:1], s27, v7
	v_lshlrev_b32_e32 v20, 8, v7
	v_mov_b32_e32 v7, 0
	v_mov_b32_e32 v8, 0
	;; [unrolled: 1-line block ×3, first 2 shown]
	s_and_saveexec_b64 s[2:3], s[0:1]
	s_cbranch_execz .LBB619_52
; %bb.51:
	v_mov_b32_e32 v21, 0
	v_lshl_add_u64 v[6:7], s[4:5], 0, v[20:21]
	v_lshlrev_b32_e32 v8, 1, v18
	v_mov_b32_e32 v9, v21
	v_lshl_add_u64 v[6:7], v[6:7], 0, v[8:9]
	global_load_dwordx4 v[6:9], v[6:7], off
.LBB619_52:
	s_or_b64 exec, exec, s[2:3]
	v_mov_b32_e32 v17, 0
	v_mov_b32_e32 v10, 0
	;; [unrolled: 1-line block ×5, first 2 shown]
	s_and_saveexec_b64 s[2:3], vcc
	s_cbranch_execz .LBB619_54
; %bb.53:
	v_mov_b32_e32 v15, 0
	v_lshl_add_u64 v[10:11], s[4:5], 0, v[14:15]
	v_lshlrev_b32_e32 v14, 1, v18
	v_lshl_add_u64 v[10:11], v[10:11], 0, v[14:15]
	global_load_dwordx4 v[10:13], v[10:11], off offset:128
.LBB619_54:
	s_or_b64 exec, exec, s[2:3]
	v_mov_b32_e32 v16, 0
	v_mov_b32_e32 v15, 0
	;; [unrolled: 1-line block ×3, first 2 shown]
	s_and_saveexec_b64 s[2:3], s[0:1]
	s_cbranch_execz .LBB619_56
; %bb.55:
	v_mov_b32_e32 v21, 0
	v_lshl_add_u64 v[14:15], s[4:5], 0, v[20:21]
	v_lshlrev_b32_e32 v20, 1, v18
	v_lshl_add_u64 v[14:15], v[14:15], 0, v[20:21]
	global_load_dwordx4 v[14:17], v[14:15], off offset:128
.LBB619_56:
	s_or_b64 exec, exec, s[2:3]
	s_branch .LBB619_59
.LBB619_57:
                                        ; implicit-def: $vgpr5
                                        ; implicit-def: $vgpr9
                                        ; implicit-def: $vgpr13
                                        ; implicit-def: $vgpr17
	s_cbranch_execz .LBB619_59
; %bb.58:
	s_waitcnt vmcnt(0)
	v_lshlrev_b32_e32 v2, 1, v18
	v_lshl_or_b32 v18, v35, 9, v2
	s_and_b32 s5, s5, 0xffff
	s_mov_b32 s7, 0x20000
	s_movk_i32 s6, 0x4000
	s_movk_i32 s0, 0x80
	buffer_load_dwordx4 v[2:5], v18, s[4:7], 0 offen
	buffer_load_dwordx4 v[6:9], v18, s[4:7], 0 offen offset:256
	buffer_load_dwordx4 v[10:13], v18, s[4:7], s0 offen
	buffer_load_dwordx4 v[14:17], v18, s[4:7], s0 offen offset:256
.LBB619_59:
	ds_read2st64_b64 v[22:25], v19 offset0:76 offset1:77
	ds_read2st64_b64 v[18:21], v19 offset0:78 offset1:79
	ds_read_b64 v[32:33], v26 offset:24576
	ds_read_b64 v[30:31], v27 offset:24576
	;; [unrolled: 1-line block ×4, first 2 shown]
	v_and_b32_e32 v37, 6, v0
	v_xor_b32_e32 v35, v35, v37
	v_lshlrev_b32_e32 v35, 2, v35
	v_and_b32_e32 v0, 1, v0
	v_xor_b32_e32 v39, 0x440, v35
	v_cmp_eq_u32_e32 vcc, 0, v0
	s_mov_b32 s0, 0x1000504
	s_mov_b32 s1, 0x3020706
	v_cndmask_b32_e32 v0, v39, v35, vcc
	v_lshl_or_b32 v0, v37, 10, v0
	s_waitcnt vmcnt(0)
	v_perm_b32 v35, v2, v6, s0
	v_perm_b32 v37, v10, v14, s0
	ds_write2st64_b32 v0, v35, v37 offset1:32
	v_xor_b32_e32 v35, 8, v0
	v_perm_b32 v2, v2, v6, s1
	v_perm_b32 v6, v10, v14, s1
	v_add_u32_e32 v10, 0x80, v35
	ds_write2st64_b32 v10, v2, v6 offset1:32
	v_xor_b32_e32 v2, 16, v0
	v_perm_b32 v6, v3, v7, s0
	v_perm_b32 v10, v11, v15, s0
	ds_write2st64_b32 v2, v6, v10 offset0:1 offset1:33
	v_xor_b32_e32 v2, 24, v0
	v_perm_b32 v3, v3, v7, s1
	v_perm_b32 v6, v11, v15, s1
	v_add_u32_e32 v2, 0x80, v2
	ds_write2st64_b32 v2, v3, v6 offset0:1 offset1:33
	v_xor_b32_e32 v2, 32, v0
	v_perm_b32 v3, v4, v8, s0
	v_perm_b32 v6, v12, v16, s0
	ds_write2st64_b32 v2, v3, v6 offset0:2 offset1:34
	v_xor_b32_e32 v2, 40, v0
	v_perm_b32 v3, v4, v8, s1
	v_perm_b32 v4, v12, v16, s1
	v_add_u32_e32 v2, 0x80, v2
	ds_write2st64_b32 v2, v3, v4 offset0:2 offset1:34
	v_xor_b32_e32 v2, 48, v0
	v_perm_b32 v3, v5, v9, s0
	v_perm_b32 v4, v13, v17, s0
	v_xor_b32_e32 v0, 56, v0
	v_and_or_b32 v8, v38, 12, v1
	ds_write2st64_b32 v2, v3, v4 offset0:3 offset1:35
	v_perm_b32 v2, v5, v9, s1
	v_perm_b32 v3, v13, v17, s1
	v_add_u32_e32 v0, 0x80, v0
	v_cmp_gt_i32_e32 vcc, s27, v8
	v_mov_b32_e32 v9, 0
	v_mov_b32_e32 v14, 0
	ds_write2st64_b32 v0, v2, v3 offset0:3 offset1:35
	s_and_saveexec_b64 s[0:1], vcc
	s_cbranch_execz .LBB619_61
; %bb.60:
	v_add_u32_e32 v0, s26, v8
	v_ashrrev_i32_e32 v1, 31, v0
	v_mul_lo_u32 v2, v1, s30
	v_mul_lo_u32 v3, v0, s31
	v_mad_u64_u32 v[0:1], s[2:3], v0, s30, 0
	v_add3_u32 v1, v1, v3, v2
	v_lshl_add_u64 v[0:1], v[0:1], 2, s[10:11]
	global_load_dword v0, v[0:1], off
	s_waitcnt vmcnt(0)
	v_sub_f32_e32 v0, s12, v0
	v_mul_f32_e32 v0, 0x3fb8aa3b, v0
	v_exp_f32_e32 v14, v0
.LBB619_61:
	s_or_b64 exec, exec, s[0:1]
	v_or_b32_e32 v12, 1, v8
	v_cmp_gt_i32_e64 s[2:3], s27, v12
	s_and_saveexec_b64 s[0:1], s[2:3]
	s_cbranch_execz .LBB619_63
; %bb.62:
	v_add_u32_e32 v0, s26, v12
	v_ashrrev_i32_e32 v1, 31, v0
	v_mul_lo_u32 v2, v1, s30
	v_mul_lo_u32 v3, v0, s31
	v_mad_u64_u32 v[0:1], s[4:5], v0, s30, 0
	v_add3_u32 v1, v1, v3, v2
	v_lshl_add_u64 v[0:1], v[0:1], 2, s[10:11]
	global_load_dword v0, v[0:1], off
	s_waitcnt vmcnt(0)
	v_sub_f32_e32 v0, s12, v0
	v_mul_f32_e32 v0, 0x3fb8aa3b, v0
	v_exp_f32_e32 v9, v0
.LBB619_63:
	s_or_b64 exec, exec, s[0:1]
	v_or_b32_e32 v11, 2, v8
	v_cmp_gt_i32_e64 s[0:1], s27, v11
	v_mov_b32_e32 v10, 0
	v_mov_b32_e32 v15, 0
	s_and_saveexec_b64 s[4:5], s[0:1]
	s_cbranch_execz .LBB619_65
; %bb.64:
	v_add_u32_e32 v0, s26, v11
	v_ashrrev_i32_e32 v1, 31, v0
	v_mul_lo_u32 v2, v1, s30
	v_mul_lo_u32 v3, v0, s31
	v_mad_u64_u32 v[0:1], s[6:7], v0, s30, 0
	v_add3_u32 v1, v1, v3, v2
	v_lshl_add_u64 v[0:1], v[0:1], 2, s[10:11]
	global_load_dword v0, v[0:1], off
	s_waitcnt vmcnt(0)
	v_sub_f32_e32 v0, s12, v0
	v_mul_f32_e32 v0, 0x3fb8aa3b, v0
	v_exp_f32_e32 v15, v0
.LBB619_65:
	s_or_b64 exec, exec, s[4:5]
	v_or_b32_e32 v13, 3, v8
	v_cmp_gt_i32_e64 s[4:5], s27, v13
	s_and_saveexec_b64 s[6:7], s[4:5]
	s_cbranch_execz .LBB619_67
; %bb.66:
	v_add_u32_e32 v0, s26, v13
	v_ashrrev_i32_e32 v1, 31, v0
	v_mul_lo_u32 v2, v1, s30
	v_mul_lo_u32 v3, v0, s31
	v_mad_u64_u32 v[0:1], s[14:15], v0, s30, 0
	v_add3_u32 v1, v1, v3, v2
	v_lshl_add_u64 v[0:1], v[0:1], 2, s[10:11]
	global_load_dword v0, v[0:1], off
	s_waitcnt vmcnt(0)
	v_sub_f32_e32 v0, s12, v0
	v_mul_f32_e32 v0, 0x3fb8aa3b, v0
	v_exp_f32_e32 v10, v0
.LBB619_67:
	s_or_b64 exec, exec, s[6:7]
	s_waitcnt lgkmcnt(11)
	v_mfma_f32_16x16x16_bf16 a[0:3], v[32:33], v[22:23], a[0:3]
	s_add_u32 s6, s8, s20
	v_ashrrev_i32_e32 v35, 31, v34
	s_addc_u32 s7, s9, s21
	s_waitcnt lgkmcnt(10)
	v_mfma_f32_16x16x16_bf16 a[0:3], v[30:31], v[24:25], a[0:3]
	v_lshlrev_b64 v[0:1], 1, v[34:35]
	v_lshl_add_u64 v[4:5], s[6:7], 0, v[0:1]
	s_add_u32 s6, s28, s20
	s_waitcnt lgkmcnt(9)
	v_mfma_f32_16x16x16_bf16 a[0:3], v[28:29], v[18:19], a[0:3]
	s_addc_u32 s7, s29, s21
	v_lshl_add_u64 v[6:7], s[6:7], 0, v[0:1]
	v_mov_b32_e32 v16, 0
	s_waitcnt lgkmcnt(8)
	v_mfma_f32_16x16x16_bf16 a[0:3], v[26:27], v[20:21], a[0:3]
	v_mov_b32_e32 v17, 0
	s_nop 5
	v_accvgpr_read_b32 v0, a0
	v_accvgpr_read_b32 v1, a1
	;; [unrolled: 1-line block ×4, first 2 shown]
	s_and_saveexec_b64 s[6:7], vcc
	s_cbranch_execz .LBB619_69
; %bb.68:
	v_lshlrev_b32_e32 v18, 8, v8
	v_mov_b32_e32 v19, 0
	v_lshl_add_u64 v[20:21], v[4:5], 0, v[18:19]
	global_load_ushort v17, v[20:21], off
	v_lshl_add_u64 v[18:19], v[6:7], 0, v[18:19]
	s_waitcnt vmcnt(0)
	v_lshlrev_b32_e32 v17, 16, v17
	v_sub_f32_e32 v0, v17, v0
	global_store_short_d16_hi v[18:19], v0, off
	v_mul_f32_e32 v0, v14, v0
	v_lshrrev_b32_e32 v17, 16, v0
.LBB619_69:
	s_or_b64 exec, exec, s[6:7]
	s_and_saveexec_b64 s[6:7], s[2:3]
	s_cbranch_execz .LBB619_71
; %bb.70:
	v_lshlrev_b32_e32 v18, 8, v12
	v_mov_b32_e32 v19, 0
	v_lshl_add_u64 v[20:21], v[4:5], 0, v[18:19]
	global_load_ushort v0, v[20:21], off
	v_lshl_add_u64 v[18:19], v[6:7], 0, v[18:19]
	s_waitcnt vmcnt(0)
	v_lshlrev_b32_e32 v0, 16, v0
	v_sub_f32_e32 v0, v0, v1
	global_store_short_d16_hi v[18:19], v0, off
	v_mul_f32_e32 v0, v9, v0
	v_lshrrev_b32_e32 v16, 16, v0
.LBB619_71:
	s_or_b64 exec, exec, s[6:7]
	v_mov_b32_e32 v0, 0
	v_mov_b32_e32 v1, 0
	s_and_saveexec_b64 s[2:3], s[0:1]
	s_cbranch_execz .LBB619_73
; %bb.72:
	v_lshlrev_b32_e32 v18, 8, v11
	v_mov_b32_e32 v19, 0
	v_lshl_add_u64 v[20:21], v[4:5], 0, v[18:19]
	global_load_ushort v1, v[20:21], off
	v_lshl_add_u64 v[18:19], v[6:7], 0, v[18:19]
	s_waitcnt vmcnt(0)
	v_lshlrev_b32_e32 v1, 16, v1
	v_sub_f32_e32 v1, v1, v2
	global_store_short_d16_hi v[18:19], v1, off
	v_mul_f32_e32 v1, v15, v1
	v_lshrrev_b32_e32 v1, 16, v1
.LBB619_73:
	s_or_b64 exec, exec, s[2:3]
	s_and_saveexec_b64 s[0:1], s[4:5]
	s_cbranch_execz .LBB619_75
; %bb.74:
	v_lshlrev_b32_e32 v12, 8, v13
	v_mov_b32_e32 v13, 0
	v_lshl_add_u64 v[4:5], v[4:5], 0, v[12:13]
	global_load_ushort v0, v[4:5], off
	v_lshl_add_u64 v[4:5], v[6:7], 0, v[12:13]
	s_waitcnt vmcnt(0)
	v_lshlrev_b32_e32 v0, 16, v0
	v_sub_f32_e32 v0, v0, v3
	global_store_short_d16_hi v[4:5], v0, off
	v_mul_f32_e32 v0, v10, v0
	v_lshrrev_b32_e32 v0, 16, v0
.LBB619_75:
	s_or_b64 exec, exec, s[0:1]
	s_mov_b32 s0, 0x5040100
	v_lshlrev_b32_e32 v2, 1, v36
	v_perm_b32 v1, v0, v1, s0
	v_perm_b32 v0, v16, v17, s0
	v_lshl_or_b32 v2, v8, 5, v2
	ds_write_b64 v2, v[0:1] offset:38912
	s_waitcnt lgkmcnt(0)
	s_barrier
.LBB619_76:
	s_endpgm
	.section	.rodata,"a",@progbits
	.p2align	6, 0x0
	.amdhsa_kernel _ZN12_GLOBAL__N_139chunk_gated_delta_rule_fwd_h_hip_kernelILi16ELb1ELb0ELb1ELb0ELb0ELb0ELb1ELb1EEEvPK12hip_bfloat16S3_S3_PKfS5_PKvPS1_S8_PvPKiSB_iiiiilll
		.amdhsa_group_segment_fixed_size 40960
		.amdhsa_private_segment_fixed_size 0
		.amdhsa_kernarg_size 136
		.amdhsa_user_sgpr_count 2
		.amdhsa_user_sgpr_dispatch_ptr 0
		.amdhsa_user_sgpr_queue_ptr 0
		.amdhsa_user_sgpr_kernarg_segment_ptr 1
		.amdhsa_user_sgpr_dispatch_id 0
		.amdhsa_user_sgpr_kernarg_preload_length 0
		.amdhsa_user_sgpr_kernarg_preload_offset 0
		.amdhsa_user_sgpr_private_segment_size 0
		.amdhsa_uses_dynamic_stack 0
		.amdhsa_enable_private_segment 0
		.amdhsa_system_sgpr_workgroup_id_x 1
		.amdhsa_system_sgpr_workgroup_id_y 1
		.amdhsa_system_sgpr_workgroup_id_z 0
		.amdhsa_system_sgpr_workgroup_info 0
		.amdhsa_system_vgpr_workitem_id 0
		.amdhsa_next_free_vgpr 116
		.amdhsa_next_free_sgpr 68
		.amdhsa_accum_offset 108
		.amdhsa_reserve_vcc 1
		.amdhsa_float_round_mode_32 0
		.amdhsa_float_round_mode_16_64 0
		.amdhsa_float_denorm_mode_32 3
		.amdhsa_float_denorm_mode_16_64 3
		.amdhsa_dx10_clamp 1
		.amdhsa_ieee_mode 1
		.amdhsa_fp16_overflow 0
		.amdhsa_tg_split 0
		.amdhsa_exception_fp_ieee_invalid_op 0
		.amdhsa_exception_fp_denorm_src 0
		.amdhsa_exception_fp_ieee_div_zero 0
		.amdhsa_exception_fp_ieee_overflow 0
		.amdhsa_exception_fp_ieee_underflow 0
		.amdhsa_exception_fp_ieee_inexact 0
		.amdhsa_exception_int_div_zero 0
	.end_amdhsa_kernel
	.section	.text._ZN12_GLOBAL__N_139chunk_gated_delta_rule_fwd_h_hip_kernelILi16ELb1ELb0ELb1ELb0ELb0ELb0ELb1ELb1EEEvPK12hip_bfloat16S3_S3_PKfS5_PKvPS1_S8_PvPKiSB_iiiiilll,"axG",@progbits,_ZN12_GLOBAL__N_139chunk_gated_delta_rule_fwd_h_hip_kernelILi16ELb1ELb0ELb1ELb0ELb0ELb0ELb1ELb1EEEvPK12hip_bfloat16S3_S3_PKfS5_PKvPS1_S8_PvPKiSB_iiiiilll,comdat
.Lfunc_end619:
	.size	_ZN12_GLOBAL__N_139chunk_gated_delta_rule_fwd_h_hip_kernelILi16ELb1ELb0ELb1ELb0ELb0ELb0ELb1ELb1EEEvPK12hip_bfloat16S3_S3_PKfS5_PKvPS1_S8_PvPKiSB_iiiiilll, .Lfunc_end619-_ZN12_GLOBAL__N_139chunk_gated_delta_rule_fwd_h_hip_kernelILi16ELb1ELb0ELb1ELb0ELb0ELb0ELb1ELb1EEEvPK12hip_bfloat16S3_S3_PKfS5_PKvPS1_S8_PvPKiSB_iiiiilll
                                        ; -- End function
	.section	.AMDGPU.csdata,"",@progbits
; Kernel info:
; codeLenInByte = 7396
; NumSgprs: 74
; NumVgprs: 108
; NumAgprs: 8
; TotalNumVgprs: 116
; ScratchSize: 0
; MemoryBound: 0
; FloatMode: 240
; IeeeMode: 1
; LDSByteSize: 40960 bytes/workgroup (compile time only)
; SGPRBlocks: 9
; VGPRBlocks: 14
; NumSGPRsForWavesPerEU: 74
; NumVGPRsForWavesPerEU: 116
; AccumOffset: 108
; Occupancy: 1
; WaveLimiterHint : 1
; COMPUTE_PGM_RSRC2:SCRATCH_EN: 0
; COMPUTE_PGM_RSRC2:USER_SGPR: 2
; COMPUTE_PGM_RSRC2:TRAP_HANDLER: 0
; COMPUTE_PGM_RSRC2:TGID_X_EN: 1
; COMPUTE_PGM_RSRC2:TGID_Y_EN: 1
; COMPUTE_PGM_RSRC2:TGID_Z_EN: 0
; COMPUTE_PGM_RSRC2:TIDIG_COMP_CNT: 0
; COMPUTE_PGM_RSRC3_GFX90A:ACCUM_OFFSET: 26
; COMPUTE_PGM_RSRC3_GFX90A:TG_SPLIT: 0
	.section	.text._ZN12_GLOBAL__N_139chunk_gated_delta_rule_fwd_h_hip_kernelILi16ELb1ELb0ELb0ELb0ELb0ELb0ELb1ELb1EEEvPK12hip_bfloat16S3_S3_PKfS5_PKvPS1_S8_PvPKiSB_iiiiilll,"axG",@progbits,_ZN12_GLOBAL__N_139chunk_gated_delta_rule_fwd_h_hip_kernelILi16ELb1ELb0ELb0ELb0ELb0ELb0ELb1ELb1EEEvPK12hip_bfloat16S3_S3_PKfS5_PKvPS1_S8_PvPKiSB_iiiiilll,comdat
	.globl	_ZN12_GLOBAL__N_139chunk_gated_delta_rule_fwd_h_hip_kernelILi16ELb1ELb0ELb0ELb0ELb0ELb0ELb1ELb1EEEvPK12hip_bfloat16S3_S3_PKfS5_PKvPS1_S8_PvPKiSB_iiiiilll ; -- Begin function _ZN12_GLOBAL__N_139chunk_gated_delta_rule_fwd_h_hip_kernelILi16ELb1ELb0ELb0ELb0ELb0ELb0ELb1ELb1EEEvPK12hip_bfloat16S3_S3_PKfS5_PKvPS1_S8_PvPKiSB_iiiiilll
	.p2align	8
	.type	_ZN12_GLOBAL__N_139chunk_gated_delta_rule_fwd_h_hip_kernelILi16ELb1ELb0ELb0ELb0ELb0ELb0ELb1ELb1EEEvPK12hip_bfloat16S3_S3_PKfS5_PKvPS1_S8_PvPKiSB_iiiiilll,@function
_ZN12_GLOBAL__N_139chunk_gated_delta_rule_fwd_h_hip_kernelILi16ELb1ELb0ELb0ELb0ELb0ELb0ELb1ELb1EEEvPK12hip_bfloat16S3_S3_PKfS5_PKvPS1_S8_PvPKiSB_iiiiilll: ; @_ZN12_GLOBAL__N_139chunk_gated_delta_rule_fwd_h_hip_kernelILi16ELb1ELb0ELb0ELb0ELb0ELb0ELb1ELb1EEEvPK12hip_bfloat16S3_S3_PKfS5_PKvPS1_S8_PvPKiSB_iiiiilll
; %bb.0:
	s_load_dwordx4 s[12:15], s[0:1], 0x5c
	s_load_dwordx4 s[16:19], s[0:1], 0x28
	s_abs_i32 s6, s3
	s_ashr_i32 s5, s3, 31
	v_and_b32_e32 v43, 15, v0
	s_waitcnt lgkmcnt(0)
	s_abs_i32 s4, s13
	v_cvt_f32_u32_e32 v1, s4
	s_sub_i32 s8, 0, s4
	s_ashr_i32 s7, s13, 31
	s_xor_b32 s5, s5, s7
	v_rcp_iflag_f32_e32 v1, v1
	v_lshrrev_b32_e32 v41, 6, v0
	v_bfe_u32 v42, v0, 4, 2
	v_mov_b32_e32 v5, 0
	v_mul_f32_e32 v1, 0x4f7ffffe, v1
	v_cvt_u32_f32_e32 v1, v1
	v_and_b32_e32 v40, 63, v0
	v_lshlrev_b32_e32 v44, 3, v0
	v_lshrrev_b32_e32 v45, 3, v40
	v_readfirstlane_b32 s9, v1
	s_mul_i32 s8, s8, s9
	s_mul_hi_u32 s8, s9, s8
	s_add_i32 s9, s9, s8
	s_mul_hi_u32 s8, s6, s9
	s_mul_i32 s9, s8, s4
	s_sub_i32 s6, s6, s9
	s_add_i32 s10, s8, 1
	s_sub_i32 s9, s6, s4
	s_cmp_ge_u32 s6, s4
	s_cselect_b32 s8, s10, s8
	s_cselect_b32 s6, s9, s6
	s_add_i32 s9, s8, 1
	s_cmp_ge_u32 s6, s4
	s_cselect_b32 s6, s9, s8
	s_xor_b32 s6, s6, s5
	s_sub_i32 s49, s6, s5
	s_mul_i32 s6, s49, s13
	s_sub_i32 s47, s3, s6
	s_abs_i32 s3, s14
	v_cvt_f32_u32_e32 v1, s3
	s_add_i32 s8, s12, 63
	s_ashr_i32 s9, s8, 31
	s_lshr_b32 s5, s9, 26
	v_rcp_iflag_f32_e32 v1, v1
	s_ashr_i32 s48, s12, 31
	s_add_i32 s8, s8, s5
	s_lshr_b32 s5, s48, 26
	v_mul_f32_e32 v1, 0x4f7ffffe, v1
	v_cvt_u32_f32_e32 v1, v1
	s_add_i32 s5, s12, s5
	s_ashr_i32 s52, s14, 31
	s_ashr_i32 s24, s8, 6
	;; [unrolled: 1-line block ×3, first 2 shown]
	s_xor_b32 s5, s7, s52
	s_sub_i32 s7, 0, s3
	v_readfirstlane_b32 s8, v1
	s_mul_i32 s7, s7, s8
	s_mul_hi_u32 s7, s8, s7
	s_add_i32 s8, s8, s7
	s_mul_hi_u32 s7, s4, s8
	s_mul_i32 s8, s7, s3
	s_sub_i32 s4, s4, s8
	s_lshl_b32 s2, s2, 4
	s_add_i32 s8, s7, 1
	s_sub_i32 s9, s4, s3
	s_cmp_ge_u32 s4, s3
	s_cselect_b32 s7, s8, s7
	s_cselect_b32 s4, s9, s4
	s_add_i32 s8, s7, 1
	s_cmp_ge_u32 s4, s3
	s_cselect_b32 s3, s8, s7
	s_xor_b32 s3, s3, s5
	s_sub_i32 s3, s3, s5
	s_abs_i32 s4, s3
	v_cvt_f32_u32_e32 v1, s4
	s_sub_i32 s7, 0, s4
	s_abs_i32 s5, s47
	s_xor_b32 s3, s47, s3
	v_rcp_iflag_f32_e32 v1, v1
	s_ashr_i32 s3, s3, 31
	v_or_b32_e32 v34, s2, v43
	v_lshlrev_b32_e32 v2, 7, v34
	v_mul_f32_e32 v1, 0x4f7ffffe, v1
	v_cvt_u32_f32_e32 v1, v1
	v_ashrrev_i32_e32 v3, 31, v2
	s_mul_i32 s54, s49, s24
	v_readfirstlane_b32 s8, v1
	s_mul_i32 s7, s7, s8
	s_mul_hi_u32 s7, s8, s7
	s_add_i32 s8, s8, s7
	s_mul_hi_u32 s7, s5, s8
	s_mul_i32 s8, s7, s4
	s_sub_i32 s5, s5, s8
	s_add_i32 s8, s7, 1
	s_sub_i32 s9, s5, s4
	s_cmp_ge_u32 s5, s4
	s_cselect_b32 s7, s8, s7
	s_cselect_b32 s5, s9, s5
	s_add_i32 s8, s7, 1
	s_cmp_ge_u32 s5, s4
	s_cselect_b32 s4, s8, s7
	s_xor_b32 s4, s4, s3
	s_sub_i32 s53, s4, s3
	s_ashr_i32 s3, s49, 31
	s_ashr_i32 s51, s47, 31
	s_mul_hi_i32 s4, s49, s13
	s_add_u32 s36, s6, s47
	s_addc_u32 s37, s4, s51
	s_lshl_b64 s[4:5], s[36:37], 15
	v_lshlrev_b32_e32 v1, 4, v41
	s_add_u32 s4, s16, s4
	v_lshl_or_b32 v46, v42, 2, v1
	s_addc_u32 s5, s17, s5
	v_lshl_add_u64 v[2:3], v[2:3], 1, s[4:5]
	v_lshlrev_b32_e32 v4, 1, v46
	v_lshl_add_u64 v[2:3], v[2:3], 0, v[4:5]
	global_load_dwordx2 v[4:5], v[2:3], off
	global_load_dwordx2 v[6:7], v[2:3], off offset:128
	s_load_dwordx8 s[4:11], s[0:1], 0x0
	s_load_dwordx2 s[28:29], s[0:1], 0x80
	s_load_dwordx4 s[20:23], s[0:1], 0x70
	v_or_b32_e32 v47, 64, v46
	s_mul_hi_u32 s55, s36, s12
	s_mul_i32 s16, s36, s12
	s_mul_i32 s37, s37, s12
	s_waitcnt lgkmcnt(0)
	s_mul_i32 s33, s49, s21
	s_mul_hi_u32 s42, s49, s20
	s_mul_i32 s34, s49, s20
	s_mul_i32 s43, s47, s23
	s_mul_hi_u32 s44, s47, s22
	s_mul_i32 s46, s3, s20
	s_mul_i32 s45, s51, s22
	s_cmp_lt_i32 s12, 64
	s_mul_i32 s30, s47, s22
	s_waitcnt vmcnt(1)
	v_and_b32_e32 v48, 0xffff0000, v4
	v_lshlrev_b32_e32 v50, 16, v4
	v_and_b32_e32 v54, 0xffff0000, v5
	v_lshlrev_b32_e32 v52, 16, v5
	s_waitcnt vmcnt(0)
	v_and_b32_e32 v49, 0xffff0000, v6
	v_lshlrev_b32_e32 v51, 16, v6
	v_and_b32_e32 v55, 0xffff0000, v7
	v_lshlrev_b32_e32 v53, 16, v7
	s_cbranch_scc1 .LBB620_3
; %bb.1:
	s_add_i32 s17, s55, s37
	s_lshl_b64 s[0:1], s[16:17], 8
	v_and_b32_e32 v57, 56, v44
	s_add_u32 s20, s6, s0
	v_lshl_or_b32 v56, v41, 3, v45
	v_lshlrev_b32_e32 v2, 1, v57
	s_addc_u32 s0, s7, s1
	v_lshl_or_b32 v58, v56, 8, v2
	s_and_b32 s21, s0, 0xffff
	s_mov_b32 s23, 0x20000
	s_movk_i32 s22, 0x4000
	s_movk_i32 s0, 0x80
	v_or_b32_e32 v59, 0x2000, v58
	buffer_load_dwordx4 v[4:7], v58, s[20:23], 0 offen
	buffer_load_dwordx4 v[8:11], v58, s[20:23], s0 offen
	buffer_load_dwordx4 v[12:15], v59, s[20:23], 0 offen
	buffer_load_dwordx4 v[16:19], v59, s[20:23], s0 offen
	v_lshlrev_b32_e32 v3, 3, v56
	v_and_or_b32 v21, v0, 7, v3
	v_and_b32_e32 v3, 0x78, v3
	v_lshlrev_b32_e32 v21, 4, v21
	v_xor_b32_e32 v60, v21, v3
	v_mul_lo_u32 v20, v56, s15
	v_or_b32_e32 v61, 0x1000, v60
	v_xor_b32_e32 v3, 8, v60
	s_cmpk_eq_i32 s15, 0x80
	s_mov_b32 s56, s14
	v_xor_b32_e32 v21, 8, v61
	s_cselect_b64 s[0:1], -1, 0
	s_cmpk_lg_i32 s15, 0x80
	s_waitcnt vmcnt(3)
	ds_write_b64 v60, v[4:5] offset:16384
	ds_write_b64 v3, v[6:7] offset:16384
	s_waitcnt vmcnt(2)
	ds_write_b64 v60, v[8:9] offset:24576
	ds_write_b64 v3, v[10:11] offset:24576
	;; [unrolled: 3-line block ×4, first 2 shown]
	v_lshl_add_u32 v3, v20, 1, v57
	s_cbranch_scc0 .LBB620_29
; %bb.2:
	v_lshlrev_b32_e32 v5, 1, v3
	v_add_lshl_u32 v4, v3, s15, 1
	s_lshl_b32 s22, s15, 7
	v_lshl_or_b32 v2, v56, 9, v2
	s_cbranch_execz .LBB620_30
	s_branch .LBB620_31
.LBB620_3:
	v_mov_b32_e32 v2, v55
	v_mov_b32_e32 v3, v54
.LBB620_4:
	s_lshl_b32 s26, s50, 6
	s_sub_i32 s27, s12, s26
	s_cmp_gt_i32 s27, 0
	s_cbranch_scc0 .LBB620_76
; %bb.5:
	s_ashr_i32 s3, s26, 31
	s_cmpk_lg_i32 s15, 0x80
	s_cselect_b64 s[22:23], -1, 0
	s_and_b64 vcc, exec, s[22:23]
	s_cbranch_vccz .LBB620_7
; %bb.6:
	s_mul_i32 s1, s49, s12
	s_mul_hi_i32 s0, s49, s12
	s_add_u32 s1, s1, s26
	s_addc_u32 s0, s0, s3
	s_mul_i32 s17, s1, s52
	s_mul_hi_u32 s20, s1, s14
	s_add_i32 s17, s20, s17
	s_mul_i32 s0, s0, s14
	s_add_i32 s17, s17, s0
	s_mul_i32 s1, s1, s14
	s_ashr_i32 s0, s53, 31
	s_add_u32 s24, s1, s53
	s_addc_u32 s25, s17, s0
	s_cbranch_execz .LBB620_8
	s_branch .LBB620_9
.LBB620_7:
                                        ; implicit-def: $sgpr24_sgpr25
.LBB620_8:
	s_mul_hi_i32 s0, s49, s14
	s_mul_i32 s49, s49, s14
	s_ashr_i32 s1, s53, 31
	s_add_u32 s14, s49, s53
	s_addc_u32 s0, s0, s1
	s_mul_i32 s1, s14, s48
	s_mul_hi_u32 s17, s14, s12
	s_add_i32 s1, s17, s1
	s_mul_i32 s0, s0, s12
	s_add_i32 s1, s1, s0
	s_mul_i32 s14, s14, s12
	s_add_u32 s24, s14, s26
	s_addc_u32 s25, s1, s3
.LBB620_9:
	s_mul_i32 s0, s36, s48
	s_add_i32 s0, s55, s0
	s_add_i32 s14, s54, s50
	;; [unrolled: 1-line block ×3, first 2 shown]
	s_add_u32 s0, s16, s26
	s_addc_u32 s1, s1, s3
	s_mov_b32 s3, 0x7060302
	v_lshlrev_b32_e32 v6, 3, v43
	v_perm_b32 v5, v3, v52, s3
	v_perm_b32 v4, v48, v50, s3
	;; [unrolled: 1-line block ×4, first 2 shown]
	v_lshlrev_b32_e32 v36, 2, v43
	v_lshl_or_b32 v6, v46, 5, v6
	s_lshl_b64 s[20:21], s[0:1], 8
	ds_write2st64_b64 v6, v[4:5], v[2:3] offset0:72 offset1:76
	v_xor_b32_e32 v6, v46, v36
	v_lshlrev_b32_e32 v7, 8, v43
	s_add_u32 s0, s6, s20
	v_lshl_or_b32 v6, v6, 1, v7
	s_addc_u32 s1, s7, s21
	ds_write_b64 v6, v[4:5] offset:32768
	v_xor_b32_e32 v4, v47, v36
	s_mul_hi_i32 s3, s14, s13
	s_mul_i32 s14, s14, s13
	v_lshl_or_b32 v4, v4, 1, v7
	s_add_u32 s6, s14, s47
	ds_write_b64 v4, v[2:3] offset:32768
	s_addc_u32 s7, s3, s51
	v_lshlrev_b32_e32 v3, 1, v43
	v_lshrrev_b32_e32 v2, 4, v0
	s_ashr_i32 s3, s2, 31
	s_lshl_b64 s[6:7], s[6:7], 15
	v_or_b32_e32 v4, 1, v3
	s_add_u32 s6, s18, s6
	v_xor_b32_e32 v3, v2, v3
	v_xor_b32_e32 v4, v4, v2
	v_lshlrev_b32_e32 v6, 8, v2
	s_addc_u32 s7, s19, s7
	s_lshl_b64 s[2:3], s[2:3], 8
	v_lshl_or_b32 v2, v3, 3, v6
	v_lshl_or_b32 v4, v4, 3, v6
	s_waitcnt lgkmcnt(0)
	s_barrier
	s_add_u32 s2, s6, s2
	ds_read_b64 v[2:3], v2 offset:32768
	ds_read_b64 v[4:5], v4 offset:32768
	s_addc_u32 s3, s7, s3
	v_mov_b32_e32 v7, 0
	s_cmp_lg_u32 s27, 64
	v_lshl_add_u64 v[8:9], s[2:3], 0, v[6:7]
	v_lshlrev_b32_e32 v6, 4, v43
	s_cselect_b64 s[6:7], -1, 0
	v_lshl_or_b32 v35, v41, 3, v45
	s_mov_b32 s16, 0
	v_lshl_add_u64 v[6:7], v[8:9], 0, v[6:7]
	s_waitcnt vmcnt(1)
	v_or_b32_e32 v19, 32, v35
	v_and_b32_e32 v18, 56, v44
	s_and_b64 vcc, exec, s[6:7]
	s_waitcnt lgkmcnt(0)
	global_store_dwordx4 v[6:7], v[2:5], off
	s_cbranch_vccz .LBB620_15
; %bb.10:
	s_mov_b32 s17, s16
	s_mov_b32 s18, s16
	;; [unrolled: 1-line block ×3, first 2 shown]
	v_mov_b64_e32 v[6:7], s[16:17]
	v_mov_b64_e32 v[8:9], s[18:19]
	;; [unrolled: 1-line block ×3, first 2 shown]
	v_cmp_gt_i32_e32 vcc, s27, v35
	v_mov_b64_e32 v[4:5], v[8:9]
	s_and_saveexec_b64 s[2:3], vcc
	s_cbranch_execz .LBB620_12
; %bb.11:
	v_lshlrev_b32_e32 v2, 8, v35
	v_mov_b32_e32 v3, 0
	v_lshl_add_u64 v[4:5], s[0:1], 0, v[2:3]
	v_lshlrev_b32_e32 v2, 1, v18
	v_lshl_add_u64 v[10:11], v[4:5], 0, v[2:3]
	global_load_dwordx4 v[6:9], v[10:11], off
	global_load_dwordx4 v[2:5], v[10:11], off offset:128
.LBB620_12:
	s_or_b64 exec, exec, s[2:3]
	s_mov_b32 s17, s16
	s_mov_b32 s18, s16
	;; [unrolled: 1-line block ×3, first 2 shown]
	v_mov_b64_e32 v[14:15], s[16:17]
	v_mov_b64_e32 v[16:17], s[18:19]
	;; [unrolled: 1-line block ×3, first 2 shown]
	v_cmp_gt_i32_e32 vcc, s27, v19
	v_lshlrev_b32_e32 v20, 7, v19
	v_mov_b64_e32 v[12:13], v[16:17]
	s_and_saveexec_b64 s[2:3], vcc
	s_cbranch_execz .LBB620_14
; %bb.13:
	v_lshlrev_b32_e32 v10, 1, v20
	v_mov_b32_e32 v11, 0
	v_lshl_add_u64 v[12:13], s[0:1], 0, v[10:11]
	v_lshlrev_b32_e32 v10, 1, v18
	v_lshl_add_u64 v[22:23], v[12:13], 0, v[10:11]
	global_load_dwordx4 v[14:17], v[22:23], off
	global_load_dwordx4 v[10:13], v[22:23], off offset:128
.LBB620_14:
	s_or_b64 exec, exec, s[2:3]
	v_lshrrev_b32_e32 v21, 3, v18
	v_lshlrev_b32_e32 v22, 3, v35
	v_or_b32_e32 v21, v22, v21
	v_lshlrev_b32_e32 v21, 4, v21
	v_and_b32_e32 v22, 0x78, v22
	v_xor_b32_e32 v21, v21, v22
	s_branch .LBB620_17
.LBB620_15:
                                        ; implicit-def: $vgpr21
                                        ; implicit-def: $vgpr20
                                        ; implicit-def: $vgpr6_vgpr7_vgpr8_vgpr9
                                        ; implicit-def: $vgpr2_vgpr3_vgpr4_vgpr5
                                        ; implicit-def: $vgpr14_vgpr15_vgpr16_vgpr17
                                        ; implicit-def: $vgpr10_vgpr11_vgpr12_vgpr13
	s_cbranch_execz .LBB620_17
; %bb.16:
	s_waitcnt vmcnt(0)
	v_lshlrev_b32_e32 v2, 1, v18
	v_lshl_or_b32 v20, v35, 8, v2
	s_and_b32 s1, s1, 0xffff
	s_mov_b32 s3, 0x20000
	s_movk_i32 s2, 0x4000
	v_lshl_or_b32 v21, v19, 8, v2
	s_movk_i32 s13, 0x80
	buffer_load_dwordx4 v[6:9], v20, s[0:3], 0 offen
	buffer_load_dwordx4 v[2:5], v20, s[0:3], s13 offen
	;; [unrolled: 1-line block ×4, first 2 shown]
	v_lshrrev_b32_e32 v20, 3, v18
	v_lshlrev_b32_e32 v21, 3, v35
	v_or_b32_e32 v20, v21, v20
	v_lshlrev_b32_e32 v20, 4, v20
	v_and_b32_e32 v21, 0x78, v21
	v_xor_b32_e32 v21, v20, v21
	v_lshlrev_b32_e32 v20, 7, v19
.LBB620_17:
	s_lshl_b64 s[0:1], s[24:25], 8
	s_add_u32 s4, s4, s0
	s_movk_i32 s0, 0x1000
	v_and_or_b32 v19, v20, s0, v21
	s_waitcnt vmcnt(1)
	ds_write_b64 v21, v[6:7] offset:16384
	v_xor_b32_e32 v6, 8, v21
	ds_write_b64 v6, v[8:9] offset:16384
	s_waitcnt vmcnt(0)
	ds_write_b64 v21, v[2:3] offset:24576
	ds_write_b64 v6, v[4:5] offset:24576
	;; [unrolled: 1-line block ×3, first 2 shown]
	v_xor_b32_e32 v2, 8, v19
	ds_write_b64 v2, v[16:17] offset:16384
	ds_write_b64 v19, v[10:11] offset:24576
	;; [unrolled: 1-line block ×3, first 2 shown]
	v_or_b32_e32 v2, v1, v43
	s_addc_u32 s5, s5, s1
	s_add_i32 s0, s12, -1
	v_lshlrev_b32_e32 v2, 3, v2
	v_lshrrev_b32_e32 v4, 5, v40
	s_movk_i32 s12, 0xf8
	v_and_or_b32 v4, v2, s12, v4
	v_lshlrev_b32_e32 v3, 11, v41
	v_lshlrev_b32_e32 v12, 4, v4
	v_and_b32_e32 v13, 0x78, v2
	v_and_b32_e32 v14, 0x1000, v3
	v_lshlrev_b32_e32 v3, 2, v0
	v_xor_b32_e32 v2, v12, v13
	v_lshrrev_b32_e32 v4, 1, v40
	v_and_b32_e32 v3, 60, v3
	v_or_b32_e32 v2, v2, v14
	v_and_b32_e32 v15, 8, v4
	v_xor_b32_e32 v26, v2, v15
	v_lshl_or_b32 v2, v42, 6, v3
	v_lshlrev_b32_e32 v19, 1, v2
	v_or_b32_e32 v2, 32, v12
	v_xor_b32_e32 v2, v2, v13
	s_waitcnt lgkmcnt(0)
	s_barrier
	ds_read_b64 v[10:11], v26 offset:16384
	v_or_b32_e32 v2, v2, v14
	v_xor_b32_e32 v27, v2, v15
	v_or_b32_e32 v2, 64, v12
	v_xor_b32_e32 v2, v2, v13
	v_or_b32_e32 v2, v2, v14
	v_or_b32_e32 v12, 0x60, v12
	v_xor_b32_e32 v28, v2, v15
	ds_read2st64_b64 v[2:5], v19 offset0:72 offset1:73
	ds_read2st64_b64 v[6:9], v19 offset0:74 offset1:75
	v_xor_b32_e32 v16, v12, v13
	ds_read_b64 v[12:13], v27 offset:16384
	s_add_i32 s1, s42, s33
	s_waitcnt lgkmcnt(2)
	v_mfma_f32_16x16x16_bf16 a[0:3], v[10:11], v[2:3], 0
	s_add_i32 s35, s1, s46
	s_add_i32 s1, s44, s43
	;; [unrolled: 1-line block ×3, first 2 shown]
	s_ashr_i32 s1, s0, 31
	s_mul_i32 s2, s0, s29
	s_mul_hi_u32 s3, s0, s28
	s_add_i32 s2, s3, s2
	s_mul_i32 s1, s1, s28
	v_or_b32_e32 v14, v16, v14
	s_add_i32 s1, s2, s1
	s_lshl_b64 s[2:3], s[34:35], 2
	v_xor_b32_e32 v37, v14, v15
	ds_read_b64 v[14:15], v28 offset:16384
	ds_read_b64 v[16:17], v37 offset:16384
	s_waitcnt lgkmcnt(2)
	v_mfma_f32_16x16x16_bf16 a[0:3], v[12:13], v[4:5], a[0:3]
	s_add_u32 s10, s10, s2
	s_addc_u32 s11, s11, s3
	s_lshl_b64 s[2:3], s[30:31], 2
	s_mul_i32 s0, s0, s28
	s_add_u32 s10, s10, s2
	s_addc_u32 s11, s11, s3
	s_lshl_b64 s[0:1], s[0:1], 2
	s_waitcnt lgkmcnt(1)
	v_mfma_f32_16x16x16_bf16 a[0:3], v[14:15], v[6:7], a[0:3]
	s_add_u32 s0, s10, s0
	s_addc_u32 s1, s11, s1
	s_load_dword s12, s[0:1], 0x0
	s_waitcnt lgkmcnt(0)
	v_mfma_f32_16x16x16_bf16 a[0:3], v[16:17], v[8:9], a[0:3]
	s_and_b64 vcc, exec, s[22:23]
	s_cbranch_vccz .LBB620_28
; %bb.18:
	v_lshlrev_b32_e32 v20, 1, v35
	s_and_b64 vcc, exec, s[6:7]
	s_cbranch_vccz .LBB620_44
; %bb.19:
	v_cmp_gt_i32_e32 vcc, s27, v20
	v_mov_b32_e32 v6, 0
	v_mov_b32_e32 v2, 0
	;; [unrolled: 1-line block ×5, first 2 shown]
	s_and_saveexec_b64 s[0:1], vcc
	s_cbranch_execz .LBB620_21
; %bb.20:
	v_mad_i64_i32 v[2:3], s[2:3], s15, v20, 0
	v_lshl_add_u64 v[2:3], v[2:3], 1, s[4:5]
	v_lshlrev_b32_e32 v4, 1, v18
	v_mov_b32_e32 v5, 0
	v_lshl_add_u64 v[2:3], v[2:3], 0, v[4:5]
	global_load_dwordx4 v[2:5], v[2:3], off
.LBB620_21:
	s_or_b64 exec, exec, s[0:1]
	v_or_b32_e32 v21, 1, v20
	v_cmp_gt_i32_e64 s[0:1], s27, v21
	v_mov_b32_e32 v7, 0
	v_mov_b32_e32 v8, 0
	;; [unrolled: 1-line block ×3, first 2 shown]
	s_and_saveexec_b64 s[2:3], s[0:1]
	s_cbranch_execz .LBB620_23
; %bb.22:
	v_mad_i64_i32 v[6:7], s[16:17], s15, v21, 0
	v_lshl_add_u64 v[6:7], v[6:7], 1, s[4:5]
	v_lshlrev_b32_e32 v8, 1, v18
	v_mov_b32_e32 v9, 0
	v_lshl_add_u64 v[6:7], v[6:7], 0, v[8:9]
	global_load_dwordx4 v[6:9], v[6:7], off
.LBB620_23:
	s_or_b64 exec, exec, s[2:3]
	v_mov_b32_e32 v17, 0
	v_mov_b32_e32 v10, 0
	;; [unrolled: 1-line block ×5, first 2 shown]
	s_and_saveexec_b64 s[2:3], vcc
	s_cbranch_execz .LBB620_25
; %bb.24:
	v_mad_i64_i32 v[10:11], s[16:17], s15, v20, 0
	v_lshl_add_u64 v[10:11], v[10:11], 1, s[4:5]
	v_lshlrev_b32_e32 v12, 1, v18
	v_mov_b32_e32 v13, 0
	v_lshl_add_u64 v[10:11], v[10:11], 0, v[12:13]
	global_load_dwordx4 v[10:13], v[10:11], off offset:128
.LBB620_25:
	s_or_b64 exec, exec, s[2:3]
	v_mov_b32_e32 v16, 0
	v_mov_b32_e32 v15, 0
	;; [unrolled: 1-line block ×3, first 2 shown]
	s_and_saveexec_b64 s[2:3], s[0:1]
	s_cbranch_execz .LBB620_27
; %bb.26:
	v_mad_i64_i32 v[14:15], s[0:1], s15, v21, 0
	v_lshl_add_u64 v[14:15], v[14:15], 1, s[4:5]
	v_lshlrev_b32_e32 v16, 1, v18
	v_mov_b32_e32 v17, 0
	v_lshl_add_u64 v[14:15], v[14:15], 0, v[16:17]
	global_load_dwordx4 v[14:17], v[14:15], off offset:128
.LBB620_27:
	s_or_b64 exec, exec, s[2:3]
	s_branch .LBB620_46
.LBB620_28:
                                        ; implicit-def: $vgpr5
                                        ; implicit-def: $vgpr9
                                        ; implicit-def: $vgpr13
                                        ; implicit-def: $vgpr17
	v_lshrrev_b32_e32 v38, 2, v40
	s_branch .LBB620_47
.LBB620_29:
                                        ; implicit-def: $vgpr4
                                        ; implicit-def: $vgpr5
                                        ; implicit-def: $sgpr22
	v_lshl_or_b32 v2, v56, 9, v2
.LBB620_30:
	v_or_b32_e32 v4, 0x100, v2
	s_movk_i32 s22, 0x4000
	v_mov_b32_e32 v5, v2
.LBB620_31:
	s_mul_hi_u32 s20, s14, s12
	s_mul_i32 s21, s52, s12
	s_add_i32 s20, s20, s21
	s_mul_i32 s21, s14, s12
	s_mul_i32 s23, s21, s3
	s_mul_hi_u32 s24, s21, s49
	s_add_i32 s23, s24, s23
	s_mul_i32 s20, s20, s49
	s_add_i32 s23, s23, s20
	s_mul_i32 s21, s21, s49
	s_ashr_i32 s57, s53, 31
	s_add_u32 s20, s21, s53
	s_addc_u32 s21, s23, s57
	s_lshl_b64 s[20:21], s[20:21], 8
	s_add_u32 s20, s4, s20
	s_addc_u32 s21, s5, s21
	s_and_b32 s21, s21, 0xffff
	s_mov_b32 s23, 0x20000
	s_movk_i32 s58, 0x80
	buffer_load_dwordx4 v[6:9], v5, s[20:23], 0 offen
	buffer_load_dwordx4 v[10:13], v5, s[20:23], s58 offen
	;; [unrolled: 1-line block ×4, first 2 shown]
	v_and_b32_e32 v4, 6, v0
	v_lshlrev_b32_e32 v22, 2, v43
	v_lshlrev_b32_e32 v23, 3, v43
	v_xor_b32_e32 v25, v56, v4
	v_and_b32_e32 v5, 1, v0
	s_mul_i32 s3, s3, s12
	s_mul_hi_u32 s20, s49, s12
	v_lshl_or_b32 v23, v46, 5, v23
	v_xor_b32_e32 v26, v46, v22
	v_lshlrev_b32_e32 v25, 2, v25
	v_or_b32_e32 v62, 0x9000, v23
	v_or_b32_e32 v63, 0x9800, v23
	v_lshlrev_b32_e32 v23, 1, v26
	v_xor_b32_e32 v26, 0x440, v25
	v_cmp_eq_u32_e32 vcc, 0, v5
	s_add_i32 s63, s20, s3
	s_add_i32 s3, s42, s33
	v_cndmask_b32_e32 v5, v26, v25, vcc
	s_add_i32 s20, s44, s43
	s_add_i32 s35, s3, s46
	s_mov_b32 s60, 0x1000504
	v_lshlrev_b32_e32 v24, 8, v43
	s_mov_b32 s22, 0x8000
	v_xor_b32_e32 v22, v47, v22
	v_lshl_or_b32 v4, v4, 10, v5
	s_add_i32 s31, s20, s45
	s_lshl_b64 s[20:21], s[34:35], 2
	s_mov_b32 s61, 0x3020706
	v_lshlrev_b32_e32 v22, 1, v22
	v_or3_b32 v64, v23, v24, s22
	v_xor_b32_e32 v5, 8, v4
	v_xor_b32_e32 v23, 24, v4
	;; [unrolled: 1-line block ×4, first 2 shown]
	s_add_u32 s3, s10, s20
	v_or3_b32 v65, v22, v24, s22
	v_xor_b32_e32 v22, 16, v4
	v_xor_b32_e32 v24, 32, v4
	v_xor_b32_e32 v26, 48, v4
	v_add_u32_e32 v5, 0x80, v5
	v_add_u32_e32 v23, 0x80, v23
	;; [unrolled: 1-line block ×4, first 2 shown]
	s_addc_u32 s24, s11, s21
	s_lshl_b64 s[20:21], s[30:31], 2
	s_add_u32 s38, s3, s20
	s_movk_i32 s3, 0xf8
	s_addc_u32 s39, s24, s21
	v_ashrrev_i32_e32 v35, 31, v34
	s_lshl_b32 s26, s15, 7
	s_mov_b32 s59, 0
	s_mul_i32 s62, s49, s12
	v_mov_b32_e32 v79, 0x3fb8aa3b
	s_mov_b32 s35, 0
	s_waitcnt vmcnt(1)
	v_perm_b32 v28, v6, v14, s60
	s_waitcnt vmcnt(0)
	v_perm_b32 v29, v10, v18, s60
	v_perm_b32 v6, v6, v14, s61
	;; [unrolled: 1-line block ×15, first 2 shown]
	ds_write2st64_b32 v4, v28, v29 offset1:32
	ds_write2st64_b32 v5, v6, v10 offset1:32
	ds_write2st64_b32 v22, v14, v18 offset0:1 offset1:33
	ds_write2st64_b32 v23, v7, v11 offset0:1 offset1:33
	;; [unrolled: 1-line block ×6, first 2 shown]
	v_or_b32_e32 v4, v1, v43
	v_lshlrev_b32_e32 v4, 3, v4
	v_lshrrev_b32_e32 v6, 5, v40
	v_and_or_b32 v6, v4, s3, v6
	v_lshlrev_b32_e32 v6, 4, v6
	v_lshlrev_b32_e32 v10, 11, v41
	v_and_b32_e32 v4, 0x78, v4
	v_or_b32_e32 v9, 32, v6
	v_and_b32_e32 v5, 0x1000, v10
	v_xor_b32_e32 v7, v6, v4
	v_lshrrev_b32_e32 v11, 1, v0
	v_xor_b32_e32 v9, v9, v4
	v_or_b32_e32 v7, v7, v5
	v_and_b32_e32 v8, 8, v11
	v_or_b32_e32 v9, v9, v5
	v_xor_b32_e32 v66, v7, v8
	v_and_b32_e32 v7, 0x78, v44
	v_xor_b32_e32 v68, v9, v8
	v_or_b32_e32 v9, 64, v6
	v_or_b32_e32 v6, 0x60, v6
	v_lshl_or_b32 v7, v42, 7, v7
	v_xor_b32_e32 v9, v9, v4
	v_xor_b32_e32 v4, v6, v4
	v_or_b32_e32 v67, 0x9000, v7
	v_or_b32_e32 v9, v9, v5
	;; [unrolled: 1-line block ×4, first 2 shown]
	v_lshrrev_b32_e32 v6, 4, v0
	v_lshlrev_b32_e32 v7, 1, v43
	v_xor_b32_e32 v69, v9, v8
	v_xor_b32_e32 v70, v4, v8
	s_ashr_i32 s3, s2, 31
	v_or_b32_e32 v8, 1, v7
	v_xor_b32_e32 v7, v6, v7
	s_lshl_b64 s[20:21], s[2:3], 8
	v_xor_b32_e32 v8, v8, v6
	v_lshlrev_b32_e32 v7, 3, v7
	v_lshlrev_b32_e32 v6, 8, v6
	v_lshl_add_u64 v[4:5], v[34:35], 1, s[8:9]
	s_add_u32 s20, s18, s20
	v_or3_b32 v35, v7, v6, s22
	v_lshlrev_b32_e32 v7, 3, v8
	s_addc_u32 s21, s19, s21
	v_or3_b32 v72, v7, v6, s22
	v_mov_b32_e32 v7, 0
	v_lshl_add_u64 v[8:9], s[20:21], 0, v[6:7]
	v_lshlrev_b32_e32 v6, 4, v43
	s_movk_i32 s3, 0xff
	v_lshlrev_b32_e32 v15, 3, v41
	v_and_b32_e32 v11, 24, v11
	v_lshl_add_u64 v[36:37], v[8:9], 0, v[6:7]
	v_and_b32_e32 v8, 8, v0
	v_cmp_lt_u32_e32 vcc, s3, v0
	v_xor_b32_e32 v16, v15, v11
	v_or_b32_e32 v17, 0x440, v16
	v_cndmask_b32_e64 v14, 0, 1, vcc
	v_cmp_eq_u32_e32 vcc, 0, v8
	v_and_b32_e32 v6, 7, v0
	v_lshlrev_b32_e32 v9, 3, v6
	v_cndmask_b32_e32 v8, v17, v16, vcc
	v_lshlrev_b32_e32 v6, 7, v6
	v_or_b32_e32 v8, v8, v10
	v_xad_u32 v73, v8, v9, v6
	v_or_b32_e32 v8, 32, v11
	v_xor_b32_e32 v8, v15, v8
	v_or_b32_e32 v16, 0x440, v8
	v_cndmask_b32_e32 v8, v16, v8, vcc
	v_or_b32_e32 v8, v8, v10
	v_xad_u32 v74, v8, v9, v6
	v_or_b32_e32 v8, 64, v11
	v_xor_b32_e32 v8, v15, v8
	v_xor_b32_e32 v16, 0x440, v8
	v_cndmask_b32_e32 v8, v16, v8, vcc
	v_or_b32_e32 v8, v8, v10
	v_xad_u32 v75, v8, v9, v6
	v_or_b32_e32 v8, 0x60, v11
	v_xor_b32_e32 v8, v15, v8
	v_xor_b32_e32 v11, 0x440, v8
	v_cndmask_b32_e32 v8, v11, v8, vcc
	v_or_b32_e32 v8, v8, v10
	v_lshlrev_b32_e32 v12, 1, v3
	v_add_lshl_u32 v3, v3, s15, 1
	v_or_b32_e32 v13, 0x100, v2
	v_lshlrev_b32_e32 v14, 13, v14
	v_xad_u32 v76, v8, v9, v6
	v_lshlrev_b32_e32 v6, 8, v46
	v_cndmask_b32_e64 v77, v12, v2, s[0:1]
	v_cndmask_b32_e64 v78, v3, v13, s[0:1]
	v_lshl_add_u64 v[38:39], v[4:5], 0, v[6:7]
	s_mov_b32 s3, 0x7060302
	s_movk_i32 s22, 0x4000
	v_add_u32_e32 v80, v14, v73
	v_add_u32_e32 v81, v14, v74
	;; [unrolled: 1-line block ×4, first 2 shown]
	s_waitcnt lgkmcnt(0)
	s_barrier
.LBB620_32:                             ; =>This Inner Loop Header: Depth=1
	s_add_i32 s31, s35, 1
	s_cmp_lt_i32 s31, s50
	s_mov_b64 s[24:25], 0
	s_cselect_b64 s[40:41], -1, 0
	s_cmp_ge_i32 s31, s50
	s_mov_b64 s[20:21], 0
	s_cbranch_scc1 .LBB620_34
; %bb.33:                               ;   in Loop: Header=BB620_32 Depth=1
	s_add_i32 s0, s59, 64
	s_add_u32 s0, s16, s0
	s_addc_u32 s1, s17, 0
	s_lshl_b64 s[0:1], s[0:1], 8
	s_add_u32 s20, s6, s0
	s_addc_u32 s21, s7, s1
.LBB620_34:                             ;   in Loop: Header=BB620_32 Depth=1
	v_cndmask_b32_e64 v2, 0, 1, s[40:41]
	v_cmp_ne_u32_e64 s[0:1], 1, v2
	s_andn2_b64 vcc, exec, s[40:41]
	s_cbranch_vccnz .LBB620_36
; %bb.35:                               ;   in Loop: Header=BB620_32 Depth=1
	s_add_i32 s24, s59, 64
	s_add_u32 s24, s62, s24
	s_addc_u32 s25, s63, 0
	s_mul_i32 s27, s24, s52
	s_mul_hi_u32 s40, s24, s56
	s_add_i32 s27, s40, s27
	s_mul_i32 s25, s25, s56
	s_add_i32 s27, s27, s25
	s_mul_i32 s24, s24, s56
	s_add_u32 s24, s24, s53
	s_addc_u32 s25, s27, s57
	s_lshl_b64 s[24:25], s[24:25], 8
	s_add_u32 s24, s4, s24
	s_addc_u32 s25, s5, s25
.LBB620_36:                             ;   in Loop: Header=BB620_32 Depth=1
	v_perm_b32 v3, v54, v52, s3
	v_perm_b32 v2, v48, v50, s3
	;; [unrolled: 1-line block ×4, first 2 shown]
	ds_write_b64 v62, v[2:3]
	ds_write_b64 v63, v[4:5]
	;; [unrolled: 1-line block ×4, first 2 shown]
	s_waitcnt lgkmcnt(0)
	s_barrier
	ds_read_b64 v[10:11], v66 offset:16384
	ds_read_b64 v[12:13], v68 offset:16384
	ds_read2st64_b64 v[2:5], v67 offset1:1
	ds_read2st64_b64 v[6:9], v67 offset0:2 offset1:3
	ds_read_b64 v[14:15], v69 offset:16384
	s_waitcnt lgkmcnt(2)
	v_mfma_f32_16x16x16_bf16 a[0:3], v[10:11], v[2:3], 0
	ds_read_b64 v[2:3], v70 offset:16384
	s_add_i32 s27, s59, 63
	s_mul_i32 s40, s27, s29
	v_mfma_f32_16x16x16_bf16 a[0:3], v[12:13], v[4:5], a[0:3]
	s_mul_hi_u32 s41, s27, s28
	s_add_i32 s41, s41, s40
	s_mul_i32 s40, s27, s28
	s_waitcnt lgkmcnt(1)
	v_mfma_f32_16x16x16_bf16 a[0:3], v[14:15], v[6:7], a[0:3]
	s_lshl_b64 s[40:41], s[40:41], 2
	s_add_u32 s40, s38, s40
	s_addc_u32 s41, s39, s41
	s_waitcnt lgkmcnt(0)
	v_mfma_f32_16x16x16_bf16 a[0:3], v[2:3], v[8:9], a[0:3]
	s_and_b64 vcc, exec, s[0:1]
	v_mov_b32_e32 v86, 0
	v_mov_b32_e32 v85, 0
	;; [unrolled: 1-line block ×19, first 2 shown]
	s_cbranch_vccnz .LBB620_38
; %bb.37:                               ;   in Loop: Header=BB620_32 Depth=1
	s_and_b32 s21, s21, 0xffff
	buffer_load_dwordx4 v[14:17], v58, s[20:23], 0 offen
	buffer_load_dwordx4 v[10:13], v58, s[20:23], s58 offen
	;; [unrolled: 1-line block ×4, first 2 shown]
	v_mov_b32_e32 v85, v60
	v_mov_b32_e32 v84, v61
.LBB620_38:                             ;   in Loop: Header=BB620_32 Depth=1
	s_waitcnt vmcnt(3)
	v_add_u32_e32 v24, s59, v46
	s_waitcnt vmcnt(1)
	v_ashrrev_i32_e32 v18, 31, v24
	v_mul_lo_u32 v20, v18, s28
	v_mul_lo_u32 v21, v24, s29
	v_mad_u64_u32 v[18:19], s[20:21], v24, s28, 0
	v_add3_u32 v19, v19, v21, v20
	v_add_u32_e32 v20, 1, v24
	v_ashrrev_i32_e32 v21, 31, v20
	v_mul_lo_u32 v22, v21, s28
	v_mul_lo_u32 v23, v20, s29
	v_mad_u64_u32 v[20:21], s[20:21], v20, s28, 0
	v_add3_u32 v21, v21, v23, v22
	v_add_u32_e32 v22, 2, v24
	v_ashrrev_i32_e32 v23, 31, v22
	v_mul_lo_u32 v25, v23, s28
	v_mul_lo_u32 v26, v22, s29
	v_mad_u64_u32 v[22:23], s[20:21], v22, s28, 0
	v_add_u32_e32 v24, 3, v24
	v_add3_u32 v23, v23, v26, v25
	v_ashrrev_i32_e32 v25, 31, v24
	v_mul_lo_u32 v28, v25, s28
	v_mul_lo_u32 v29, v24, s29
	v_mad_u64_u32 v[24:25], s[20:21], v24, s28, 0
	s_add_u32 s20, s16, s59
	s_addc_u32 s21, s17, 0
	s_lshl_b64 s[20:21], s[20:21], 8
	v_lshl_add_u64 v[18:19], v[18:19], 2, s[38:39]
	v_lshl_add_u64 v[20:21], v[20:21], 2, s[38:39]
	;; [unrolled: 1-line block ×3, first 2 shown]
	v_add3_u32 v25, v25, v29, v28
	v_lshl_add_u64 v[22:23], v[22:23], 2, s[38:39]
	global_load_ushort v92, v[26:27], off
	global_load_ushort v93, v[26:27], off offset:256
	global_load_ushort v94, v[26:27], off offset:512
	;; [unrolled: 1-line block ×3, first 2 shown]
	global_load_dword v96, v[18:19], off
	v_lshl_add_u64 v[18:19], v[24:25], 2, s[38:39]
	global_load_dword v97, v[20:21], off
	global_load_dword v98, v[22:23], off
	;; [unrolled: 1-line block ×3, first 2 shown]
	s_load_dword s20, s[40:41], 0x0
	ds_read2st64_b64 v[24:27], v71 offset1:1
	ds_read2st64_b64 v[28:31], v71 offset0:2 offset1:3
	ds_read_b64 v[22:23], v66 offset:24576
	ds_read_b64 v[32:33], v68 offset:24576
	;; [unrolled: 1-line block ×4, first 2 shown]
	s_waitcnt lgkmcnt(0)
	v_mfma_f32_16x16x16_bf16 a[0:3], v[22:23], v[24:25], a[0:3]
	v_mov_b32_e32 v87, 0
	v_mov_b32_e32 v18, 0
	v_mov_b32_e32 v19, 0
	v_mfma_f32_16x16x16_bf16 a[0:3], v[32:33], v[26:27], a[0:3]
	v_mov_b32_e32 v20, 0
	v_mov_b32_e32 v21, 0
	v_mov_b32_e32 v22, 0
	v_mfma_f32_16x16x16_bf16 a[0:3], v[88:89], v[28:29], a[0:3]
	v_mov_b32_e32 v23, 0
	v_mov_b32_e32 v24, 0
	v_mov_b32_e32 v25, 0
	v_mfma_f32_16x16x16_bf16 a[0:3], v[90:91], v[30:31], a[0:3]
	v_mov_b32_e32 v26, 0
	v_mov_b32_e32 v27, 0
	v_mov_b32_e32 v28, 0
	v_mov_b32_e32 v29, 0
	s_and_b64 vcc, exec, s[0:1]
	s_waitcnt vmcnt(7)
	v_lshlrev_b32_e32 v88, 16, v92
	s_waitcnt vmcnt(6)
	v_lshlrev_b32_e32 v89, 16, v93
	;; [unrolled: 2-line block ×4, first 2 shown]
	s_waitcnt vmcnt(3)
	v_sub_f32_e32 v92, s20, v96
	s_waitcnt vmcnt(2)
	v_sub_f32_e32 v93, s20, v97
	;; [unrolled: 2-line block ×4, first 2 shown]
	v_mul_f32_e32 v92, 0x3fb8aa3b, v92
	v_mul_f32_e32 v93, 0x3fb8aa3b, v93
	;; [unrolled: 1-line block ×4, first 2 shown]
	v_exp_f32_e32 v92, v92
	v_exp_f32_e32 v93, v93
	v_exp_f32_e32 v94, v94
	v_exp_f32_e32 v95, v95
	v_accvgpr_read_b32 v33, a1
	v_accvgpr_read_b32 v31, a3
	;; [unrolled: 1-line block ×4, first 2 shown]
	v_pk_add_f32 v[32:33], v[88:89], v[32:33] neg_lo:[0,1] neg_hi:[0,1]
	v_pk_add_f32 v[30:31], v[90:91], v[30:31] neg_lo:[0,1] neg_hi:[0,1]
	v_pk_mul_f32 v[32:33], v[92:93], v[32:33]
	v_pk_mul_f32 v[30:31], v[94:95], v[30:31]
	s_nop 0
	v_perm_b32 v31, v31, v30, s3
	v_perm_b32 v30, v33, v32, s3
	ds_write_b64 v63, v[30:31]
	v_mov_b32_e32 v30, 0
	v_mov_b32_e32 v31, 0
	;; [unrolled: 1-line block ×4, first 2 shown]
	s_cbranch_vccnz .LBB620_40
; %bb.39:                               ;   in Loop: Header=BB620_32 Depth=1
	s_and_b32 s25, s25, 0xffff
	s_mov_b32 s27, s23
	buffer_load_dwordx4 v[30:33], v77, s[24:27], 0 offen
	buffer_load_dwordx4 v[22:25], v77, s[24:27], s58 offen
	;; [unrolled: 1-line block ×4, first 2 shown]
	v_mov_b32_e32 v86, v57
	v_mov_b32_e32 v87, v56
.LBB620_40:                             ;   in Loop: Header=BB620_32 Depth=1
	s_waitcnt lgkmcnt(0)
	s_barrier
	ds_read_b64 v[96:97], v80
	ds_read2st64_b64 v[88:91], v71 offset1:1
	ds_read2st64_b64 v[92:95], v71 offset0:2 offset1:3
	ds_read_b64 v[98:99], v81
	ds_read_b64 v[100:101], v82
	;; [unrolled: 1-line block ×3, first 2 shown]
	s_waitcnt lgkmcnt(4)
	v_mfma_f32_16x16x16_bf16 a[0:3], v[96:97], v[88:89], 0
	ds_read_b64 v[96:97], v73 offset:8192
	ds_read_b64 v[104:105], v74 offset:8192
	s_add_i32 s21, s54, s35
	s_mul_hi_i32 s25, s21, s13
	s_waitcnt lgkmcnt(1)
	v_mfma_f32_16x16x16_bf16 a[4:7], v[96:97], v[88:89], 0
	s_mul_i32 s21, s21, s13
	s_add_u32 s24, s21, s47
	s_addc_u32 s25, s25, s51
	v_mfma_f32_16x16x16_bf16 a[0:3], v[98:99], v[90:91], a[0:3]
	ds_read_b64 v[96:97], v35
	ds_read_b64 v[98:99], v72
	ds_read_b64 v[88:89], v75 offset:8192
	s_lshl_b64 s[24:25], s[24:25], 15
	v_mfma_f32_16x16x16_bf16 a[0:3], v[100:101], v[92:93], a[0:3]
	ds_read_b64 v[100:101], v76 offset:8192
	s_and_b64 vcc, exec, s[0:1]
	s_waitcnt lgkmcnt(4)
	v_mfma_f32_16x16x16_bf16 a[4:7], v[104:105], v[90:91], a[4:7]
	s_waitcnt lgkmcnt(1)
	v_mfma_f32_16x16x16_bf16 a[4:7], v[88:89], v[92:93], a[4:7]
	v_lshl_add_u64 v[88:89], v[36:37], 0, s[24:25]
	global_store_dwordx4 v[88:89], v[96:99], off
	v_mfma_f32_16x16x16_bf16 a[0:3], v[102:103], v[94:95], a[0:3]
	s_waitcnt lgkmcnt(0)
	v_mfma_f32_16x16x16_bf16 a[4:7], v[100:101], v[94:95], a[4:7]
	s_cbranch_vccnz .LBB620_42
; %bb.41:                               ;   in Loop: Header=BB620_32 Depth=1
	v_lshrrev_b32_e32 v88, 3, v86
	v_and_b32_e32 v88, 6, v88
	v_xor_b32_e32 v87, v88, v87
	v_lshlrev_b32_e32 v87, 2, v87
	v_and_b32_e32 v86, 8, v86
	v_xor_b32_e32 v89, 0x440, v87
	v_cmp_eq_u32_e32 vcc, 0, v86
	s_barrier
	s_nop 0
	v_cndmask_b32_e32 v86, v89, v87, vcc
	v_lshl_or_b32 v86, v88, 10, v86
	s_waitcnt vmcnt(2)
	v_perm_b32 v87, v30, v26, s60
	s_waitcnt vmcnt(1)
	v_perm_b32 v88, v22, v18, s60
	ds_write2st64_b32 v86, v87, v88 offset1:32
	v_xor_b32_e32 v87, 8, v86
	v_perm_b32 v26, v30, v26, s61
	v_perm_b32 v18, v22, v18, s61
	v_add_u32_e32 v22, 0x80, v87
	ds_write2st64_b32 v22, v26, v18 offset1:32
	v_xor_b32_e32 v18, 16, v86
	v_perm_b32 v22, v31, v27, s60
	v_perm_b32 v26, v23, v19, s60
	ds_write2st64_b32 v18, v22, v26 offset0:1 offset1:33
	v_xor_b32_e32 v18, 24, v86
	v_perm_b32 v22, v31, v27, s61
	v_perm_b32 v19, v23, v19, s61
	v_add_u32_e32 v18, 0x80, v18
	ds_write2st64_b32 v18, v22, v19 offset0:1 offset1:33
	v_xor_b32_e32 v18, 32, v86
	v_perm_b32 v19, v32, v28, s60
	v_perm_b32 v22, v24, v20, s60
	ds_write2st64_b32 v18, v19, v22 offset0:2 offset1:34
	v_xor_b32_e32 v18, 40, v86
	v_perm_b32 v19, v32, v28, s61
	v_perm_b32 v20, v24, v20, s61
	v_add_u32_e32 v18, 0x80, v18
	ds_write2st64_b32 v18, v19, v20 offset0:2 offset1:34
	;; [unrolled: 9-line block ×3, first 2 shown]
	ds_write_b64 v85, v[14:15] offset:16384
	v_xor_b32_e32 v14, 8, v85
	ds_write_b64 v14, v[16:17] offset:16384
	ds_write_b64 v85, v[10:11] offset:24576
	;; [unrolled: 1-line block ×4, first 2 shown]
	v_xor_b32_e32 v6, 8, v84
	ds_write_b64 v6, v[8:9] offset:16384
	ds_write_b64 v84, v[2:3] offset:24576
	;; [unrolled: 1-line block ×3, first 2 shown]
.LBB620_42:                             ;   in Loop: Header=BB620_32 Depth=1
	v_mul_f32_e32 v2, s20, v79
	v_exp_f32_e32 v4, v2
	s_nop 1
	v_accvgpr_read_b32 v2, a0
	v_accvgpr_read_b32 v3, a1
	s_add_i32 s59, s59, 64
	v_fma_f32 v50, v50, v4, v2
	v_accvgpr_read_b32 v2, a2
	v_fma_f32 v52, v52, v4, v2
	v_accvgpr_read_b32 v2, a4
	;; [unrolled: 2-line block ×6, first 2 shown]
	v_fmac_f32_e32 v3, v54, v4
	s_cmp_eq_u32 s50, s31
	v_fmac_f32_e32 v2, v55, v4
	s_cbranch_scc1 .LBB620_4
; %bb.43:                               ;   in Loop: Header=BB620_32 Depth=1
	s_mov_b32 s35, s31
	v_mov_b32_e32 v54, v3
	v_mov_b32_e32 v55, v2
	s_branch .LBB620_32
.LBB620_44:
                                        ; implicit-def: $vgpr5
                                        ; implicit-def: $vgpr9
                                        ; implicit-def: $vgpr13
                                        ; implicit-def: $vgpr17
	s_cbranch_execz .LBB620_46
; %bb.45:
	s_waitcnt vmcnt(0)
	v_mad_u64_u32 v[2:3], s[0:1], v20, s15, v[18:19]
	v_lshlrev_b32_e32 v20, 1, v2
	s_lshl_b32 s2, s15, 7
	s_and_b32 s1, s5, 0xffff
	s_mov_b32 s3, 0x20000
	s_mov_b32 s0, s4
	v_add_lshl_u32 v21, v2, s15, 1
	s_movk_i32 s13, 0x80
	buffer_load_dwordx4 v[2:5], v20, s[0:3], 0 offen
	buffer_load_dwordx4 v[10:13], v20, s[0:3], s13 offen
	;; [unrolled: 1-line block ×4, first 2 shown]
.LBB620_46:
	v_lshrrev_b32_e32 v38, 2, v40
	s_cbranch_execnz .LBB620_59
.LBB620_47:
	s_and_b64 vcc, exec, s[6:7]
	s_cbranch_vccz .LBB620_57
; %bb.48:
	s_waitcnt vmcnt(0)
	v_lshlrev_b32_e32 v7, 1, v35
	v_cmp_gt_i32_e32 vcc, s27, v7
	v_mov_b32_e32 v6, 0
	v_lshlrev_b32_e32 v14, 9, v35
	v_mov_b32_e32 v2, 0
	v_mov_b32_e32 v3, 0
	;; [unrolled: 1-line block ×4, first 2 shown]
	s_and_saveexec_b64 s[0:1], vcc
	s_cbranch_execz .LBB620_50
; %bb.49:
	v_mov_b32_e32 v15, 0
	v_lshl_add_u64 v[2:3], s[4:5], 0, v[14:15]
	v_lshlrev_b32_e32 v4, 1, v18
	v_mov_b32_e32 v5, v15
	v_lshl_add_u64 v[2:3], v[2:3], 0, v[4:5]
	global_load_dwordx4 v[2:5], v[2:3], off
.LBB620_50:
	s_or_b64 exec, exec, s[0:1]
	v_or_b32_e32 v7, 1, v7
	v_cmp_gt_i32_e64 s[0:1], s27, v7
	v_lshlrev_b32_e32 v20, 8, v7
	v_mov_b32_e32 v7, 0
	v_mov_b32_e32 v8, 0
	;; [unrolled: 1-line block ×3, first 2 shown]
	s_and_saveexec_b64 s[2:3], s[0:1]
	s_cbranch_execz .LBB620_52
; %bb.51:
	v_mov_b32_e32 v21, 0
	v_lshl_add_u64 v[6:7], s[4:5], 0, v[20:21]
	v_lshlrev_b32_e32 v8, 1, v18
	v_mov_b32_e32 v9, v21
	v_lshl_add_u64 v[6:7], v[6:7], 0, v[8:9]
	global_load_dwordx4 v[6:9], v[6:7], off
.LBB620_52:
	s_or_b64 exec, exec, s[2:3]
	v_mov_b32_e32 v17, 0
	v_mov_b32_e32 v10, 0
	;; [unrolled: 1-line block ×5, first 2 shown]
	s_and_saveexec_b64 s[2:3], vcc
	s_cbranch_execz .LBB620_54
; %bb.53:
	v_mov_b32_e32 v15, 0
	v_lshl_add_u64 v[10:11], s[4:5], 0, v[14:15]
	v_lshlrev_b32_e32 v14, 1, v18
	v_lshl_add_u64 v[10:11], v[10:11], 0, v[14:15]
	global_load_dwordx4 v[10:13], v[10:11], off offset:128
.LBB620_54:
	s_or_b64 exec, exec, s[2:3]
	v_mov_b32_e32 v16, 0
	v_mov_b32_e32 v15, 0
	;; [unrolled: 1-line block ×3, first 2 shown]
	s_and_saveexec_b64 s[2:3], s[0:1]
	s_cbranch_execz .LBB620_56
; %bb.55:
	v_mov_b32_e32 v21, 0
	v_lshl_add_u64 v[14:15], s[4:5], 0, v[20:21]
	v_lshlrev_b32_e32 v20, 1, v18
	v_lshl_add_u64 v[14:15], v[14:15], 0, v[20:21]
	global_load_dwordx4 v[14:17], v[14:15], off offset:128
.LBB620_56:
	s_or_b64 exec, exec, s[2:3]
	s_branch .LBB620_59
.LBB620_57:
                                        ; implicit-def: $vgpr5
                                        ; implicit-def: $vgpr9
                                        ; implicit-def: $vgpr13
                                        ; implicit-def: $vgpr17
	s_cbranch_execz .LBB620_59
; %bb.58:
	s_waitcnt vmcnt(0)
	v_lshlrev_b32_e32 v2, 1, v18
	v_lshl_or_b32 v18, v35, 9, v2
	s_and_b32 s5, s5, 0xffff
	s_mov_b32 s7, 0x20000
	s_movk_i32 s6, 0x4000
	s_movk_i32 s0, 0x80
	buffer_load_dwordx4 v[2:5], v18, s[4:7], 0 offen
	buffer_load_dwordx4 v[6:9], v18, s[4:7], 0 offen offset:256
	buffer_load_dwordx4 v[10:13], v18, s[4:7], s0 offen
	buffer_load_dwordx4 v[14:17], v18, s[4:7], s0 offen offset:256
.LBB620_59:
	ds_read2st64_b64 v[22:25], v19 offset0:76 offset1:77
	ds_read2st64_b64 v[18:21], v19 offset0:78 offset1:79
	ds_read_b64 v[30:31], v26 offset:24576
	ds_read_b64 v[32:33], v27 offset:24576
	;; [unrolled: 1-line block ×4, first 2 shown]
	v_and_b32_e32 v37, 6, v0
	v_xor_b32_e32 v35, v35, v37
	v_lshlrev_b32_e32 v35, 2, v35
	v_and_b32_e32 v0, 1, v0
	v_xor_b32_e32 v39, 0x440, v35
	v_cmp_eq_u32_e32 vcc, 0, v0
	s_mov_b32 s0, 0x1000504
	s_mov_b32 s1, 0x3020706
	v_cndmask_b32_e32 v0, v39, v35, vcc
	v_lshl_or_b32 v0, v37, 10, v0
	s_waitcnt vmcnt(0)
	v_perm_b32 v35, v2, v6, s0
	v_perm_b32 v37, v10, v14, s0
	ds_write2st64_b32 v0, v35, v37 offset1:32
	v_xor_b32_e32 v35, 8, v0
	v_perm_b32 v2, v2, v6, s1
	v_perm_b32 v6, v10, v14, s1
	v_add_u32_e32 v10, 0x80, v35
	ds_write2st64_b32 v10, v2, v6 offset1:32
	v_xor_b32_e32 v2, 16, v0
	v_perm_b32 v6, v3, v7, s0
	v_perm_b32 v10, v11, v15, s0
	ds_write2st64_b32 v2, v6, v10 offset0:1 offset1:33
	v_xor_b32_e32 v2, 24, v0
	v_perm_b32 v3, v3, v7, s1
	v_perm_b32 v6, v11, v15, s1
	v_add_u32_e32 v2, 0x80, v2
	ds_write2st64_b32 v2, v3, v6 offset0:1 offset1:33
	v_xor_b32_e32 v2, 32, v0
	v_perm_b32 v3, v4, v8, s0
	v_perm_b32 v6, v12, v16, s0
	ds_write2st64_b32 v2, v3, v6 offset0:2 offset1:34
	v_xor_b32_e32 v2, 40, v0
	v_perm_b32 v3, v4, v8, s1
	v_perm_b32 v4, v12, v16, s1
	v_add_u32_e32 v2, 0x80, v2
	ds_write2st64_b32 v2, v3, v4 offset0:2 offset1:34
	v_xor_b32_e32 v2, 48, v0
	v_perm_b32 v3, v5, v9, s0
	v_perm_b32 v4, v13, v17, s0
	v_xor_b32_e32 v0, 56, v0
	v_and_or_b32 v6, v38, 12, v1
	ds_write2st64_b32 v2, v3, v4 offset0:3 offset1:35
	v_perm_b32 v2, v5, v9, s1
	v_perm_b32 v3, v13, v17, s1
	v_add_u32_e32 v0, 0x80, v0
	v_cmp_gt_i32_e32 vcc, s27, v6
	v_mov_b32_e32 v7, 0
	v_mov_b32_e32 v11, 0
	ds_write2st64_b32 v0, v2, v3 offset0:3 offset1:35
	s_and_saveexec_b64 s[0:1], vcc
	s_cbranch_execz .LBB620_61
; %bb.60:
	v_add_u32_e32 v0, s26, v6
	v_ashrrev_i32_e32 v1, 31, v0
	v_mul_lo_u32 v2, v1, s28
	v_mul_lo_u32 v3, v0, s29
	v_mad_u64_u32 v[0:1], s[2:3], v0, s28, 0
	v_add3_u32 v1, v1, v3, v2
	v_lshl_add_u64 v[0:1], v[0:1], 2, s[10:11]
	global_load_dword v0, v[0:1], off
	s_waitcnt vmcnt(0)
	v_sub_f32_e32 v0, s12, v0
	v_mul_f32_e32 v0, 0x3fb8aa3b, v0
	v_exp_f32_e32 v11, v0
.LBB620_61:
	s_or_b64 exec, exec, s[0:1]
	v_or_b32_e32 v9, 1, v6
	v_cmp_gt_i32_e64 s[0:1], s27, v9
	s_and_saveexec_b64 s[2:3], s[0:1]
	s_cbranch_execz .LBB620_63
; %bb.62:
	v_add_u32_e32 v0, s26, v9
	v_ashrrev_i32_e32 v1, 31, v0
	v_mul_lo_u32 v2, v1, s28
	v_mul_lo_u32 v3, v0, s29
	v_mad_u64_u32 v[0:1], s[4:5], v0, s28, 0
	v_add3_u32 v1, v1, v3, v2
	v_lshl_add_u64 v[0:1], v[0:1], 2, s[10:11]
	global_load_dword v0, v[0:1], off
	s_waitcnt vmcnt(0)
	v_sub_f32_e32 v0, s12, v0
	v_mul_f32_e32 v0, 0x3fb8aa3b, v0
	v_exp_f32_e32 v7, v0
.LBB620_63:
	s_or_b64 exec, exec, s[2:3]
	v_or_b32_e32 v10, 2, v6
	v_cmp_gt_i32_e64 s[2:3], s27, v10
	v_mov_b32_e32 v8, 0
	v_mov_b32_e32 v13, 0
	s_and_saveexec_b64 s[4:5], s[2:3]
	s_cbranch_execz .LBB620_65
; %bb.64:
	v_add_u32_e32 v0, s26, v10
	v_ashrrev_i32_e32 v1, 31, v0
	v_mul_lo_u32 v2, v1, s28
	v_mul_lo_u32 v3, v0, s29
	v_mad_u64_u32 v[0:1], s[6:7], v0, s28, 0
	v_add3_u32 v1, v1, v3, v2
	v_lshl_add_u64 v[0:1], v[0:1], 2, s[10:11]
	global_load_dword v0, v[0:1], off
	s_waitcnt vmcnt(0)
	v_sub_f32_e32 v0, s12, v0
	v_mul_f32_e32 v0, 0x3fb8aa3b, v0
	v_exp_f32_e32 v13, v0
.LBB620_65:
	s_or_b64 exec, exec, s[4:5]
	v_or_b32_e32 v12, 3, v6
	v_cmp_gt_i32_e64 s[4:5], s27, v12
	s_and_saveexec_b64 s[6:7], s[4:5]
	s_cbranch_execz .LBB620_67
; %bb.66:
	v_add_u32_e32 v0, s26, v12
	v_ashrrev_i32_e32 v1, 31, v0
	v_mul_lo_u32 v2, v1, s28
	v_mul_lo_u32 v3, v0, s29
	v_mad_u64_u32 v[0:1], s[14:15], v0, s28, 0
	v_add3_u32 v1, v1, v3, v2
	v_lshl_add_u64 v[0:1], v[0:1], 2, s[10:11]
	global_load_dword v0, v[0:1], off
	s_waitcnt vmcnt(0)
	v_sub_f32_e32 v0, s12, v0
	v_mul_f32_e32 v0, 0x3fb8aa3b, v0
	v_exp_f32_e32 v8, v0
.LBB620_67:
	s_or_b64 exec, exec, s[6:7]
	s_waitcnt lgkmcnt(11)
	v_mfma_f32_16x16x16_bf16 a[0:3], v[30:31], v[22:23], a[0:3]
	s_add_u32 s6, s8, s20
	v_ashrrev_i32_e32 v35, 31, v34
	s_addc_u32 s7, s9, s21
	s_waitcnt lgkmcnt(10)
	v_mfma_f32_16x16x16_bf16 a[0:3], v[32:33], v[24:25], a[0:3]
	v_mov_b32_e32 v14, 0
	v_lshl_add_u64 v[4:5], v[34:35], 1, s[6:7]
	v_mov_b32_e32 v15, 0
	s_waitcnt lgkmcnt(9)
	v_mfma_f32_16x16x16_bf16 a[0:3], v[28:29], v[18:19], a[0:3]
	s_waitcnt lgkmcnt(8)
	v_mfma_f32_16x16x16_bf16 a[0:3], v[26:27], v[20:21], a[0:3]
	s_nop 6
	v_accvgpr_read_b32 v0, a0
	v_accvgpr_read_b32 v1, a1
	;; [unrolled: 1-line block ×4, first 2 shown]
	s_and_saveexec_b64 s[6:7], vcc
	s_cbranch_execz .LBB620_69
; %bb.68:
	v_lshlrev_b32_e32 v16, 8, v6
	v_mov_b32_e32 v17, 0
	v_lshl_add_u64 v[16:17], v[4:5], 0, v[16:17]
	global_load_ushort v15, v[16:17], off
	s_waitcnt vmcnt(0)
	v_lshlrev_b32_e32 v15, 16, v15
	v_sub_f32_e32 v0, v15, v0
	v_mul_f32_e32 v0, v11, v0
	v_lshrrev_b32_e32 v15, 16, v0
.LBB620_69:
	s_or_b64 exec, exec, s[6:7]
	s_and_saveexec_b64 s[6:7], s[0:1]
	s_cbranch_execz .LBB620_71
; %bb.70:
	v_lshlrev_b32_e32 v16, 8, v9
	v_mov_b32_e32 v17, 0
	v_lshl_add_u64 v[16:17], v[4:5], 0, v[16:17]
	global_load_ushort v0, v[16:17], off
	s_waitcnt vmcnt(0)
	v_lshlrev_b32_e32 v0, 16, v0
	v_sub_f32_e32 v0, v0, v1
	v_mul_f32_e32 v0, v7, v0
	v_lshrrev_b32_e32 v14, 16, v0
.LBB620_71:
	s_or_b64 exec, exec, s[6:7]
	v_mov_b32_e32 v0, 0
	v_mov_b32_e32 v1, 0
	s_and_saveexec_b64 s[0:1], s[2:3]
	s_cbranch_execz .LBB620_73
; %bb.72:
	v_lshlrev_b32_e32 v10, 8, v10
	v_mov_b32_e32 v11, 0
	v_lshl_add_u64 v[10:11], v[4:5], 0, v[10:11]
	global_load_ushort v1, v[10:11], off
	s_waitcnt vmcnt(0)
	v_lshlrev_b32_e32 v1, 16, v1
	v_sub_f32_e32 v1, v1, v2
	v_mul_f32_e32 v1, v13, v1
	v_lshrrev_b32_e32 v1, 16, v1
.LBB620_73:
	s_or_b64 exec, exec, s[0:1]
	s_and_saveexec_b64 s[0:1], s[4:5]
	s_cbranch_execz .LBB620_75
; %bb.74:
	v_lshlrev_b32_e32 v10, 8, v12
	v_mov_b32_e32 v11, 0
	v_lshl_add_u64 v[4:5], v[4:5], 0, v[10:11]
	global_load_ushort v0, v[4:5], off
	s_waitcnt vmcnt(0)
	v_lshlrev_b32_e32 v0, 16, v0
	v_sub_f32_e32 v0, v0, v3
	v_mul_f32_e32 v0, v8, v0
	v_lshrrev_b32_e32 v0, 16, v0
.LBB620_75:
	s_or_b64 exec, exec, s[0:1]
	s_mov_b32 s0, 0x5040100
	v_lshlrev_b32_e32 v2, 1, v36
	v_perm_b32 v1, v0, v1, s0
	v_perm_b32 v0, v14, v15, s0
	v_lshl_or_b32 v2, v6, 5, v2
	ds_write_b64 v2, v[0:1] offset:38912
	s_waitcnt lgkmcnt(0)
	s_barrier
.LBB620_76:
	s_endpgm
	.section	.rodata,"a",@progbits
	.p2align	6, 0x0
	.amdhsa_kernel _ZN12_GLOBAL__N_139chunk_gated_delta_rule_fwd_h_hip_kernelILi16ELb1ELb0ELb0ELb0ELb0ELb0ELb1ELb1EEEvPK12hip_bfloat16S3_S3_PKfS5_PKvPS1_S8_PvPKiSB_iiiiilll
		.amdhsa_group_segment_fixed_size 40960
		.amdhsa_private_segment_fixed_size 0
		.amdhsa_kernarg_size 136
		.amdhsa_user_sgpr_count 2
		.amdhsa_user_sgpr_dispatch_ptr 0
		.amdhsa_user_sgpr_queue_ptr 0
		.amdhsa_user_sgpr_kernarg_segment_ptr 1
		.amdhsa_user_sgpr_dispatch_id 0
		.amdhsa_user_sgpr_kernarg_preload_length 0
		.amdhsa_user_sgpr_kernarg_preload_offset 0
		.amdhsa_user_sgpr_private_segment_size 0
		.amdhsa_uses_dynamic_stack 0
		.amdhsa_enable_private_segment 0
		.amdhsa_system_sgpr_workgroup_id_x 1
		.amdhsa_system_sgpr_workgroup_id_y 1
		.amdhsa_system_sgpr_workgroup_id_z 0
		.amdhsa_system_sgpr_workgroup_info 0
		.amdhsa_system_vgpr_workitem_id 0
		.amdhsa_next_free_vgpr 116
		.amdhsa_next_free_sgpr 64
		.amdhsa_accum_offset 108
		.amdhsa_reserve_vcc 1
		.amdhsa_float_round_mode_32 0
		.amdhsa_float_round_mode_16_64 0
		.amdhsa_float_denorm_mode_32 3
		.amdhsa_float_denorm_mode_16_64 3
		.amdhsa_dx10_clamp 1
		.amdhsa_ieee_mode 1
		.amdhsa_fp16_overflow 0
		.amdhsa_tg_split 0
		.amdhsa_exception_fp_ieee_invalid_op 0
		.amdhsa_exception_fp_denorm_src 0
		.amdhsa_exception_fp_ieee_div_zero 0
		.amdhsa_exception_fp_ieee_overflow 0
		.amdhsa_exception_fp_ieee_underflow 0
		.amdhsa_exception_fp_ieee_inexact 0
		.amdhsa_exception_int_div_zero 0
	.end_amdhsa_kernel
	.section	.text._ZN12_GLOBAL__N_139chunk_gated_delta_rule_fwd_h_hip_kernelILi16ELb1ELb0ELb0ELb0ELb0ELb0ELb1ELb1EEEvPK12hip_bfloat16S3_S3_PKfS5_PKvPS1_S8_PvPKiSB_iiiiilll,"axG",@progbits,_ZN12_GLOBAL__N_139chunk_gated_delta_rule_fwd_h_hip_kernelILi16ELb1ELb0ELb0ELb0ELb0ELb0ELb1ELb1EEEvPK12hip_bfloat16S3_S3_PKfS5_PKvPS1_S8_PvPKiSB_iiiiilll,comdat
.Lfunc_end620:
	.size	_ZN12_GLOBAL__N_139chunk_gated_delta_rule_fwd_h_hip_kernelILi16ELb1ELb0ELb0ELb0ELb0ELb0ELb1ELb1EEEvPK12hip_bfloat16S3_S3_PKfS5_PKvPS1_S8_PvPKiSB_iiiiilll, .Lfunc_end620-_ZN12_GLOBAL__N_139chunk_gated_delta_rule_fwd_h_hip_kernelILi16ELb1ELb0ELb0ELb0ELb0ELb0ELb1ELb1EEEvPK12hip_bfloat16S3_S3_PKfS5_PKvPS1_S8_PvPKiSB_iiiiilll
                                        ; -- End function
	.section	.AMDGPU.csdata,"",@progbits
; Kernel info:
; codeLenInByte = 7236
; NumSgprs: 70
; NumVgprs: 106
; NumAgprs: 8
; TotalNumVgprs: 116
; ScratchSize: 0
; MemoryBound: 0
; FloatMode: 240
; IeeeMode: 1
; LDSByteSize: 40960 bytes/workgroup (compile time only)
; SGPRBlocks: 8
; VGPRBlocks: 14
; NumSGPRsForWavesPerEU: 70
; NumVGPRsForWavesPerEU: 116
; AccumOffset: 108
; Occupancy: 1
; WaveLimiterHint : 1
; COMPUTE_PGM_RSRC2:SCRATCH_EN: 0
; COMPUTE_PGM_RSRC2:USER_SGPR: 2
; COMPUTE_PGM_RSRC2:TRAP_HANDLER: 0
; COMPUTE_PGM_RSRC2:TGID_X_EN: 1
; COMPUTE_PGM_RSRC2:TGID_Y_EN: 1
; COMPUTE_PGM_RSRC2:TGID_Z_EN: 0
; COMPUTE_PGM_RSRC2:TIDIG_COMP_CNT: 0
; COMPUTE_PGM_RSRC3_GFX90A:ACCUM_OFFSET: 26
; COMPUTE_PGM_RSRC3_GFX90A:TG_SPLIT: 0
	.section	.text._ZN12_GLOBAL__N_139chunk_gated_delta_rule_fwd_h_hip_kernelILi16ELb0ELb1ELb1ELb0ELb0ELb0ELb1ELb1EEEvPK12hip_bfloat16S3_S3_PKfS5_PKvPS1_S8_PvPKiSB_iiiiilll,"axG",@progbits,_ZN12_GLOBAL__N_139chunk_gated_delta_rule_fwd_h_hip_kernelILi16ELb0ELb1ELb1ELb0ELb0ELb0ELb1ELb1EEEvPK12hip_bfloat16S3_S3_PKfS5_PKvPS1_S8_PvPKiSB_iiiiilll,comdat
	.globl	_ZN12_GLOBAL__N_139chunk_gated_delta_rule_fwd_h_hip_kernelILi16ELb0ELb1ELb1ELb0ELb0ELb0ELb1ELb1EEEvPK12hip_bfloat16S3_S3_PKfS5_PKvPS1_S8_PvPKiSB_iiiiilll ; -- Begin function _ZN12_GLOBAL__N_139chunk_gated_delta_rule_fwd_h_hip_kernelILi16ELb0ELb1ELb1ELb0ELb0ELb0ELb1ELb1EEEvPK12hip_bfloat16S3_S3_PKfS5_PKvPS1_S8_PvPKiSB_iiiiilll
	.p2align	8
	.type	_ZN12_GLOBAL__N_139chunk_gated_delta_rule_fwd_h_hip_kernelILi16ELb0ELb1ELb1ELb0ELb0ELb0ELb1ELb1EEEvPK12hip_bfloat16S3_S3_PKfS5_PKvPS1_S8_PvPKiSB_iiiiilll,@function
_ZN12_GLOBAL__N_139chunk_gated_delta_rule_fwd_h_hip_kernelILi16ELb0ELb1ELb1ELb0ELb0ELb0ELb1ELb1EEEvPK12hip_bfloat16S3_S3_PKfS5_PKvPS1_S8_PvPKiSB_iiiiilll: ; @_ZN12_GLOBAL__N_139chunk_gated_delta_rule_fwd_h_hip_kernelILi16ELb0ELb1ELb1ELb0ELb0ELb0ELb1ELb1EEEvPK12hip_bfloat16S3_S3_PKfS5_PKvPS1_S8_PvPKiSB_iiiiilll
; %bb.0:
	s_load_dwordx4 s[16:19], s[0:1], 0x5c
	s_load_dwordx4 s[20:23], s[0:1], 0x70
	s_abs_i32 s14, s3
	s_ashr_i32 s13, s3, 31
	s_load_dwordx8 s[4:11], s[0:1], 0x0
	s_waitcnt lgkmcnt(0)
	s_abs_i32 s12, s17
	v_cvt_f32_u32_e32 v1, s12
	s_sub_i32 s24, 0, s12
	s_ashr_i32 s15, s17, 31
	s_xor_b32 s13, s13, s15
	v_rcp_iflag_f32_e32 v1, v1
	v_lshrrev_b32_e32 v48, 6, v0
	v_bfe_u32 v51, v0, 4, 2
	v_lshlrev_b32_e32 v49, 4, v48
	v_mul_f32_e32 v1, 0x4f7ffffe, v1
	v_cvt_u32_f32_e32 v1, v1
	v_lshlrev_b32_e32 v10, 2, v51
	v_and_b32_e32 v50, 63, v0
	v_mov_b32_e32 v9, 0
	v_readfirstlane_b32 s25, v1
	s_mul_i32 s24, s24, s25
	s_mul_hi_u32 s24, s25, s24
	s_add_i32 s25, s25, s24
	s_mul_hi_u32 s24, s14, s25
	s_mul_i32 s25, s24, s12
	s_sub_i32 s14, s14, s25
	s_add_i32 s26, s24, 1
	s_sub_i32 s25, s14, s12
	s_cmp_ge_u32 s14, s12
	s_cselect_b32 s24, s26, s24
	s_cselect_b32 s14, s25, s14
	s_add_i32 s25, s24, 1
	s_cmp_ge_u32 s14, s12
	s_cselect_b32 s14, s25, s24
	s_xor_b32 s14, s14, s13
	s_sub_i32 s49, s14, s13
	s_abs_i32 s13, s18
	v_cvt_f32_u32_e32 v1, s13
	s_add_i32 s24, s16, 63
	s_mul_i32 s47, s49, s17
	s_sub_i32 s33, s3, s47
	v_rcp_iflag_f32_e32 v1, v1
	s_ashr_i32 s3, s24, 31
	s_ashr_i32 s48, s16, 31
	s_lshr_b32 s3, s3, 26
	v_mul_f32_e32 v1, 0x4f7ffffe, v1
	v_cvt_u32_f32_e32 v1, v1
	s_lshr_b32 s14, s48, 26
	s_add_i32 s24, s24, s3
	s_add_i32 s14, s16, s14
	s_ashr_i32 s51, s18, 31
	s_ashr_i32 s3, s24, 6
	;; [unrolled: 1-line block ×3, first 2 shown]
	s_xor_b32 s14, s15, s51
	s_sub_i32 s15, 0, s13
	v_readfirstlane_b32 s24, v1
	s_mul_i32 s15, s15, s24
	s_mul_hi_u32 s15, s24, s15
	s_add_i32 s24, s24, s15
	s_mul_hi_u32 s15, s12, s24
	s_mul_i32 s24, s15, s13
	s_sub_i32 s12, s12, s24
	s_add_i32 s24, s15, 1
	s_sub_i32 s25, s12, s13
	s_cmp_ge_u32 s12, s13
	s_cselect_b32 s15, s24, s15
	s_cselect_b32 s12, s25, s12
	s_add_i32 s24, s15, 1
	s_cmp_ge_u32 s12, s13
	s_cselect_b32 s12, s24, s15
	s_xor_b32 s12, s12, s14
	s_sub_i32 s24, s12, s14
	s_abs_i32 s25, s24
	v_cvt_f32_u32_e32 v1, s25
	s_load_dwordx2 s[34:35], s[0:1], 0x40
	s_load_dwordx4 s[12:15], s[0:1], 0x30
	s_load_dwordx2 s[36:37], s[0:1], 0x80
	s_xor_b32 s0, s33, s24
	s_sub_i32 s24, 0, s25
	v_rcp_iflag_f32_e32 v1, v1
	s_abs_i32 s1, s33
	s_ashr_i32 s0, s0, 31
	s_mul_i32 s52, s49, s3
	v_mul_f32_e32 v1, 0x4f7ffffe, v1
	v_cvt_u32_f32_e32 v1, v1
	v_and_b32_e32 v52, 15, v0
	s_mul_hi_i32 s53, s49, s17
	v_lshrrev_b32_e32 v54, 3, v50
	v_readfirstlane_b32 s26, v1
	s_mul_i32 s24, s24, s26
	s_mul_hi_u32 s24, s26, s24
	s_add_i32 s26, s26, s24
	s_mul_hi_u32 s24, s1, s26
	s_mul_i32 s26, s24, s25
	s_sub_i32 s1, s1, s26
	s_add_i32 s26, s24, 1
	s_sub_i32 s27, s1, s25
	s_cmp_ge_u32 s1, s25
	s_cselect_b32 s24, s26, s24
	s_cselect_b32 s1, s27, s1
	s_add_i32 s26, s24, 1
	s_cmp_ge_u32 s1, s25
	s_cselect_b32 s1, s26, s24
	s_xor_b32 s1, s1, s0
	s_sub_i32 s54, s1, s0
	v_or_b32_e32 v1, v10, v49
	s_lshl_b32 s2, s2, 4
	v_or_b32_e32 v55, 64, v1
	s_cmp_lt_i32 s16, 64
	v_lshlrev_b32_e32 v53, 3, v0
	s_mul_i32 s21, s49, s21
	s_mul_hi_u32 s46, s49, s20
	s_mul_i32 s38, s49, s20
	v_mov_b32_e32 v8, v9
	v_mov_b32_e32 v7, v9
	;; [unrolled: 1-line block ×7, first 2 shown]
	s_cbranch_scc1 .LBB621_18
; %bb.1:
	s_ashr_i32 s3, s49, 31
	s_ashr_i32 s56, s33, 31
	s_add_u32 s0, s47, s33
	s_addc_u32 s1, s53, s56
	s_mul_i32 s1, s16, s1
	s_mul_hi_u32 s24, s16, s0
	s_add_i32 s41, s24, s1
	s_mul_i32 s40, s16, s0
	s_lshl_b64 s[0:1], s[40:41], 8
	v_and_b32_e32 v57, 56, v53
	s_add_u32 s24, s6, s0
	v_lshl_or_b32 v56, v48, 3, v54
	v_lshlrev_b32_e32 v3, 1, v57
	s_addc_u32 s0, s7, s1
	v_lshl_or_b32 v58, v56, 8, v3
	s_and_b32 s25, s0, 0xffff
	s_mov_b32 s27, 0x20000
	s_movk_i32 s26, 0x4000
	s_movk_i32 s0, 0x80
	v_or_b32_e32 v59, 0x2000, v58
	buffer_load_dwordx4 v[4:7], v58, s[24:27], 0 offen
	buffer_load_dwordx4 v[12:15], v58, s[24:27], s0 offen
	;; [unrolled: 1-line block ×4, first 2 shown]
	v_lshlrev_b32_e32 v2, 3, v56
	v_and_or_b32 v9, v0, 7, v2
	v_and_b32_e32 v2, 0x78, v2
	v_lshlrev_b32_e32 v9, 4, v9
	v_xor_b32_e32 v60, v9, v2
	v_mul_lo_u32 v8, v56, s19
	v_or_b32_e32 v61, 0x1000, v60
	v_xor_b32_e32 v2, 8, v60
	s_cmpk_eq_i32 s19, 0x80
	s_mov_b32 s55, s18
	v_xor_b32_e32 v9, 8, v61
	s_cselect_b64 s[0:1], -1, 0
	s_cmpk_lg_i32 s19, 0x80
	s_waitcnt vmcnt(3)
	ds_write_b64 v60, v[4:5] offset:16384
	ds_write_b64 v2, v[6:7] offset:16384
	s_waitcnt vmcnt(2)
	ds_write_b64 v60, v[12:13] offset:24576
	ds_write_b64 v2, v[14:15] offset:24576
	;; [unrolled: 3-line block ×4, first 2 shown]
	v_lshl_add_u32 v2, v8, 1, v57
	s_cbranch_scc0 .LBB621_3
; %bb.2:
	v_lshlrev_b32_e32 v6, 1, v2
	v_add_lshl_u32 v5, v2, s19, 1
	s_lshl_b32 s26, s19, 7
	v_lshl_or_b32 v4, v56, 9, v3
	s_cbranch_execz .LBB621_4
	s_branch .LBB621_5
.LBB621_3:
                                        ; implicit-def: $vgpr5
                                        ; implicit-def: $vgpr6
                                        ; implicit-def: $sgpr26
	v_lshl_or_b32 v4, v56, 9, v3
.LBB621_4:
	v_or_b32_e32 v5, 0x100, v4
	s_movk_i32 s26, 0x4000
	v_mov_b32_e32 v6, v4
.LBB621_5:
	s_mul_hi_u32 s24, s18, s16
	s_mul_i32 s25, s51, s16
	s_add_i32 s24, s24, s25
	s_mul_i32 s25, s18, s16
	s_mul_i32 s27, s25, s3
	s_mul_hi_u32 s28, s25, s49
	s_add_i32 s27, s28, s27
	s_mul_i32 s24, s24, s49
	s_add_i32 s27, s27, s24
	s_mul_i32 s25, s25, s49
	s_ashr_i32 s57, s54, 31
	s_add_u32 s24, s25, s54
	s_addc_u32 s25, s27, s57
	s_lshl_b64 s[24:25], s[24:25], 8
	s_add_u32 s24, s4, s24
	s_addc_u32 s25, s5, s25
	s_and_b32 s25, s25, 0xffff
	s_mov_b32 s27, 0x20000
	s_movk_i32 s58, 0x80
	buffer_load_dwordx4 v[12:15], v6, s[24:27], 0 offen
	buffer_load_dwordx4 v[16:19], v6, s[24:27], s58 offen
	;; [unrolled: 1-line block ×4, first 2 shown]
	v_and_b32_e32 v3, 6, v0
	s_mul_i32 s24, s3, s16
	s_mul_hi_u32 s25, s49, s16
	v_lshlrev_b32_e32 v6, 2, v52
	v_lshlrev_b32_e32 v7, 3, v52
	v_xor_b32_e32 v9, v56, v3
	v_and_b32_e32 v5, 1, v0
	s_mul_i32 s3, s3, s20
	v_lshl_or_b32 v7, v1, 5, v7
	v_xor_b32_e32 v11, v1, v6
	v_lshlrev_b32_e32 v9, 2, v9
	s_add_i32 s63, s25, s24
	s_add_i32 s24, s46, s21
	v_or_b32_e32 v62, 0x9000, v7
	v_or_b32_e32 v63, 0x9800, v7
	v_lshlrev_b32_e32 v7, 1, v11
	v_xor_b32_e32 v11, 0x440, v9
	v_cmp_eq_u32_e32 vcc, 0, v5
	s_add_i32 s39, s24, s3
	s_mul_i32 s3, s33, s23
	s_mul_hi_u32 s24, s33, s22
	v_cndmask_b32_e32 v5, v11, v9, vcc
	s_add_i32 s3, s24, s3
	s_mul_i32 s24, s56, s22
	s_mov_b32 s60, 0x1000504
	v_lshlrev_b32_e32 v8, 8, v52
	s_mov_b32 s26, 0x8000
	v_xor_b32_e32 v6, v55, v6
	v_lshl_or_b32 v3, v3, 10, v5
	s_add_i32 s25, s3, s24
	s_lshl_b64 s[28:29], s[38:39], 2
	s_mov_b32 s61, 0x3020706
	v_lshlrev_b32_e32 v6, 1, v6
	v_or3_b32 v64, v7, v8, s26
	v_xor_b32_e32 v5, 8, v3
	v_xor_b32_e32 v7, 24, v3
	;; [unrolled: 1-line block ×4, first 2 shown]
	s_mul_i32 s24, s33, s22
	s_add_u32 s3, s10, s28
	v_or3_b32 v65, v6, v8, s26
	v_xor_b32_e32 v6, 16, v3
	v_xor_b32_e32 v8, 32, v3
	;; [unrolled: 1-line block ×3, first 2 shown]
	v_add_u32_e32 v5, 0x80, v5
	v_add_u32_e32 v7, 0x80, v7
	;; [unrolled: 1-line block ×4, first 2 shown]
	s_addc_u32 s28, s11, s29
	s_lshl_b64 s[24:25], s[24:25], 2
	s_add_u32 s42, s3, s24
	s_movk_i32 s3, 0xf8
	s_addc_u32 s43, s28, s25
	s_lshl_b32 s30, s19, 7
	s_mov_b32 s59, 0
	s_mul_i32 s62, s49, s16
	v_add_u32_e32 v80, v49, v10
	v_mov_b32_e32 v81, 0x3fb8aa3b
	s_mov_b32 s64, 0
	s_waitcnt vmcnt(1)
	v_perm_b32 v29, v12, v20, s60
	s_waitcnt vmcnt(0)
	v_perm_b32 v30, v16, v24, s60
	v_perm_b32 v12, v12, v20, s61
	;; [unrolled: 1-line block ×15, first 2 shown]
	ds_write2st64_b32 v3, v29, v30 offset1:32
	ds_write2st64_b32 v5, v12, v16 offset1:32
	ds_write2st64_b32 v6, v20, v24 offset0:1 offset1:33
	ds_write2st64_b32 v7, v13, v17 offset0:1 offset1:33
	;; [unrolled: 1-line block ×6, first 2 shown]
	v_or_b32_e32 v3, v49, v52
	v_lshlrev_b32_e32 v3, 3, v3
	v_lshrrev_b32_e32 v7, 5, v50
	v_and_or_b32 v7, v3, s3, v7
	v_lshlrev_b32_e32 v7, 4, v7
	v_lshlrev_b32_e32 v5, 11, v48
	v_and_b32_e32 v3, 0x78, v3
	v_or_b32_e32 v12, 32, v7
	v_and_b32_e32 v6, 0x1000, v5
	v_lshrrev_b32_e32 v11, 1, v0
	v_xor_b32_e32 v12, v12, v3
	v_and_b32_e32 v9, 8, v11
	v_or_b32_e32 v12, v12, v6
	v_xor_b32_e32 v8, v7, v3
	v_xor_b32_e32 v68, v12, v9
	v_or_b32_e32 v12, 64, v7
	v_or_b32_e32 v7, 0x60, v7
	v_xor_b32_e32 v12, v12, v3
	v_xor_b32_e32 v3, v7, v3
	v_or_b32_e32 v3, v3, v6
	v_or_b32_e32 v12, v12, v6
	v_xor_b32_e32 v70, v3, v9
	v_lshlrev_b32_e32 v14, 1, v2
	v_add_lshl_u32 v15, v2, s19, 1
	v_lshrrev_b32_e32 v2, 4, v0
	v_lshlrev_b32_e32 v3, 1, v52
	v_xor_b32_e32 v69, v12, v9
	s_ashr_i32 s3, s2, 31
	v_or_b32_e32 v12, 1, v3
	v_xor_b32_e32 v3, v2, v3
	s_lshl_b64 s[24:25], s[2:3], 8
	v_xor_b32_e32 v12, v12, v2
	v_lshlrev_b32_e32 v3, 3, v3
	v_lshlrev_b32_e32 v2, 8, v2
	s_waitcnt lgkmcnt(0)
	s_add_u32 s24, s12, s24
	v_or3_b32 v72, v3, v2, s26
	v_lshlrev_b32_e32 v3, 3, v12
	s_addc_u32 s25, s13, s25
	v_or3_b32 v73, v3, v2, s26
	v_mov_b32_e32 v3, 0
	v_lshl_add_u64 v[12:13], s[24:25], 0, v[2:3]
	v_lshlrev_b32_e32 v2, 4, v52
	s_movk_i32 s3, 0xff
	v_lshlrev_b32_e32 v18, 3, v48
	v_and_b32_e32 v11, 24, v11
	v_lshl_add_u64 v[42:43], v[12:13], 0, v[2:3]
	v_and_b32_e32 v12, 8, v0
	v_cmp_lt_u32_e32 vcc, s3, v0
	v_xor_b32_e32 v19, v18, v11
	v_or_b32_e32 v20, 0x440, v19
	v_cndmask_b32_e64 v17, 0, 1, vcc
	v_cmp_eq_u32_e32 vcc, 0, v12
	v_and_b32_e32 v2, 7, v0
	v_lshlrev_b32_e32 v13, 3, v2
	v_cndmask_b32_e32 v12, v20, v19, vcc
	v_lshlrev_b32_e32 v2, 7, v2
	v_or_b32_e32 v12, v12, v5
	v_xad_u32 v74, v12, v13, v2
	v_or_b32_e32 v12, 32, v11
	v_xor_b32_e32 v12, v18, v12
	v_or_b32_e32 v19, 0x440, v12
	v_cndmask_b32_e32 v12, v19, v12, vcc
	v_or_b32_e32 v12, v12, v5
	v_xad_u32 v75, v12, v13, v2
	v_or_b32_e32 v12, 64, v11
	v_xor_b32_e32 v12, v18, v12
	v_xor_b32_e32 v19, 0x440, v12
	v_cndmask_b32_e32 v12, v19, v12, vcc
	v_or_b32_e32 v11, 0x60, v11
	v_or_b32_e32 v12, v12, v5
	v_xor_b32_e32 v11, v18, v11
	v_or_b32_e32 v8, v8, v6
	v_or_b32_e32 v6, s2, v52
	v_xad_u32 v76, v12, v13, v2
	v_xor_b32_e32 v12, 0x440, v11
	v_xor_b32_e32 v66, v8, v9
	v_and_b32_e32 v8, 0x78, v53
	v_ashrrev_i32_e32 v7, 31, v6
	v_cndmask_b32_e32 v11, v12, v11, vcc
	v_lshl_or_b32 v8, v51, 7, v8
	v_lshlrev_b64 v[6:7], 1, v[6:7]
	v_or_b32_e32 v5, v11, v5
	v_or_b32_e32 v67, 0x9000, v8
	;; [unrolled: 1-line block ×3, first 2 shown]
	v_lshl_add_u64 v[8:9], s[8:9], 0, v[6:7]
	v_lshl_add_u64 v[6:7], s[14:15], 0, v[6:7]
	v_or_b32_e32 v16, 0x100, v4
	v_lshlrev_b32_e32 v17, 13, v17
	v_xad_u32 v77, v5, v13, v2
	v_lshlrev_b32_e32 v2, 8, v1
	v_cndmask_b32_e64 v78, v14, v4, s[0:1]
	v_cndmask_b32_e64 v79, v15, v16, s[0:1]
	v_lshl_add_u64 v[44:45], v[8:9], 0, v[2:3]
	v_lshl_add_u64 v[46:47], v[6:7], 0, v[2:3]
	s_mov_b32 s3, 0x7060302
	s_movk_i32 s26, 0x4000
	v_add_u32_e32 v82, v17, v74
	v_add_u32_e32 v83, v17, v75
	v_add_u32_e32 v84, v17, v76
	v_add_u32_e32 v85, v17, v77
	v_mov_b32_e32 v2, v3
	v_mov_b32_e32 v4, v3
	;; [unrolled: 1-line block ×7, first 2 shown]
	s_barrier
.LBB621_6:                              ; =>This Inner Loop Header: Depth=1
	s_add_i32 s39, s64, 1
	s_cmp_lt_i32 s39, s50
	s_mov_b64 s[28:29], 0
	s_cselect_b64 s[44:45], -1, 0
	s_cmp_ge_i32 s39, s50
	s_mov_b64 s[24:25], 0
	s_cbranch_scc1 .LBB621_8
; %bb.7:                                ;   in Loop: Header=BB621_6 Depth=1
	s_add_i32 s0, s59, 64
	s_add_u32 s0, s40, s0
	s_addc_u32 s1, s41, 0
	s_lshl_b64 s[0:1], s[0:1], 8
	s_add_u32 s24, s6, s0
	s_addc_u32 s25, s7, s1
.LBB621_8:                              ;   in Loop: Header=BB621_6 Depth=1
	v_cndmask_b32_e64 v5, 0, 1, s[44:45]
	v_cmp_ne_u32_e64 s[0:1], 1, v5
	s_andn2_b64 vcc, exec, s[44:45]
	s_cbranch_vccnz .LBB621_10
; %bb.9:                                ;   in Loop: Header=BB621_6 Depth=1
	s_add_i32 s28, s59, 64
	s_add_u32 s28, s62, s28
	s_addc_u32 s29, s63, 0
	s_mul_i32 s31, s28, s51
	s_mul_hi_u32 s44, s28, s55
	s_add_i32 s31, s44, s31
	s_mul_i32 s29, s29, s55
	s_add_i32 s31, s31, s29
	s_mul_i32 s28, s28, s55
	s_add_u32 s28, s28, s54
	s_addc_u32 s29, s31, s57
	s_lshl_b64 s[28:29], s[28:29], 8
	s_add_u32 s28, s4, s28
	s_addc_u32 s29, s5, s29
.LBB621_10:                             ;   in Loop: Header=BB621_6 Depth=1
	v_perm_b32 v11, v87, v4, s3
	v_perm_b32 v10, v3, v2, s3
	;; [unrolled: 1-line block ×4, first 2 shown]
	ds_write_b64 v62, v[10:11]
	ds_write_b64 v63, v[12:13]
	;; [unrolled: 1-line block ×4, first 2 shown]
	s_waitcnt lgkmcnt(0)
	s_barrier
	ds_read_b64 v[18:19], v66 offset:16384
	ds_read_b64 v[20:21], v68 offset:16384
	ds_read2st64_b64 v[10:13], v67 offset1:1
	ds_read2st64_b64 v[14:17], v67 offset0:2 offset1:3
	ds_read_b64 v[22:23], v69 offset:16384
	s_waitcnt lgkmcnt(2)
	v_mfma_f32_16x16x16_bf16 a[0:3], v[18:19], v[10:11], 0
	ds_read_b64 v[10:11], v70 offset:16384
	s_add_i32 s31, s59, 63
	s_mul_i32 s44, s31, s37
	v_mfma_f32_16x16x16_bf16 a[0:3], v[20:21], v[12:13], a[0:3]
	s_mul_hi_u32 s45, s31, s36
	s_add_i32 s45, s45, s44
	s_mul_i32 s44, s31, s36
	s_waitcnt lgkmcnt(1)
	v_mfma_f32_16x16x16_bf16 a[0:3], v[22:23], v[14:15], a[0:3]
	s_lshl_b64 s[44:45], s[44:45], 2
	s_add_u32 s44, s42, s44
	s_addc_u32 s45, s43, s45
	s_waitcnt lgkmcnt(0)
	v_mfma_f32_16x16x16_bf16 a[0:3], v[10:11], v[16:17], a[0:3]
	s_and_b64 vcc, exec, s[0:1]
	v_mov_b32_e32 v88, 0
	v_mov_b32_e32 v9, 0
	;; [unrolled: 1-line block ×19, first 2 shown]
	s_cbranch_vccnz .LBB621_12
; %bb.11:                               ;   in Loop: Header=BB621_6 Depth=1
	s_and_b32 s25, s25, 0xffff
	buffer_load_dwordx4 v[22:25], v58, s[24:27], 0 offen
	buffer_load_dwordx4 v[18:21], v58, s[24:27], s58 offen
	;; [unrolled: 1-line block ×4, first 2 shown]
	v_mov_b32_e32 v9, v60
	v_mov_b32_e32 v5, v61
.LBB621_12:                             ;   in Loop: Header=BB621_6 Depth=1
	s_waitcnt vmcnt(3)
	v_add_u32_e32 v32, s59, v80
	s_waitcnt vmcnt(1)
	v_ashrrev_i32_e32 v26, 31, v32
	v_mul_lo_u32 v28, v26, s36
	v_mul_lo_u32 v29, v32, s37
	v_mad_u64_u32 v[26:27], s[24:25], v32, s36, 0
	v_add3_u32 v27, v27, v29, v28
	v_add_u32_e32 v28, 1, v32
	v_ashrrev_i32_e32 v29, 31, v28
	v_mul_lo_u32 v30, v29, s36
	v_mul_lo_u32 v31, v28, s37
	v_mad_u64_u32 v[28:29], s[24:25], v28, s36, 0
	v_add3_u32 v29, v29, v31, v30
	v_add_u32_e32 v30, 2, v32
	v_ashrrev_i32_e32 v31, 31, v30
	v_mul_lo_u32 v33, v31, s36
	v_mul_lo_u32 v34, v30, s37
	v_mad_u64_u32 v[30:31], s[24:25], v30, s36, 0
	s_add_u32 s24, s40, s59
	v_add3_u32 v31, v31, v34, v33
	v_add_u32_e32 v34, 3, v32
	s_addc_u32 s25, s41, 0
	v_ashrrev_i32_e32 v32, 31, v34
	s_lshl_b64 s[66:67], s[24:25], 8
	v_lshl_add_u64 v[26:27], v[26:27], 2, s[42:43]
	v_mul_lo_u32 v35, v32, s36
	v_lshl_add_u64 v[32:33], v[44:45], 0, s[66:67]
	v_mul_lo_u32 v36, v34, s37
	global_load_ushort v90, v[32:33], off
	global_load_ushort v91, v[32:33], off offset:256
	global_load_ushort v92, v[32:33], off offset:512
	;; [unrolled: 1-line block ×3, first 2 shown]
	global_load_dword v94, v[26:27], off
	v_mad_u64_u32 v[26:27], s[24:25], v34, s36, 0
	v_lshl_add_u64 v[28:29], v[28:29], 2, s[42:43]
	v_add3_u32 v27, v27, v36, v35
	v_lshl_add_u64 v[30:31], v[30:31], 2, s[42:43]
	v_lshl_add_u64 v[26:27], v[26:27], 2, s[42:43]
	global_load_dword v95, v[28:29], off
	global_load_dword v96, v[30:31], off
	global_load_dword v97, v[26:27], off
	ds_read_b64 v[26:27], v66 offset:24576
	s_load_dword s24, s[44:45], 0x0
	ds_read_b64 v[36:37], v68 offset:24576
	ds_read2st64_b64 v[28:31], v71 offset1:1
	ds_read2st64_b64 v[32:35], v71 offset0:2 offset1:3
	ds_read_b64 v[38:39], v69 offset:24576
	ds_read_b64 v[40:41], v70 offset:24576
	s_waitcnt lgkmcnt(0)
	v_mfma_f32_16x16x16_bf16 a[0:3], v[26:27], v[28:29], a[0:3]
	v_mov_b32_e32 v89, 0
	v_mov_b32_e32 v26, 0
	;; [unrolled: 1-line block ×3, first 2 shown]
	v_mfma_f32_16x16x16_bf16 a[0:3], v[36:37], v[30:31], a[0:3]
	v_lshl_add_u64 v[36:37], v[46:47], 0, s[66:67]
	v_mov_b32_e32 v28, 0
	v_mov_b32_e32 v29, 0
	v_mfma_f32_16x16x16_bf16 a[0:3], v[38:39], v[32:33], a[0:3]
	v_mov_b32_e32 v30, 0
	v_mov_b32_e32 v31, 0
	;; [unrolled: 1-line block ×3, first 2 shown]
	v_mfma_f32_16x16x16_bf16 a[0:3], v[40:41], v[34:35], a[0:3]
	s_and_b64 vcc, exec, s[0:1]
	s_waitcnt vmcnt(7)
	v_lshlrev_b32_e32 v40, 16, v90
	s_nop 3
	v_accvgpr_read_b32 v39, a1
	v_accvgpr_read_b32 v35, a3
	;; [unrolled: 1-line block ×4, first 2 shown]
	s_waitcnt vmcnt(6)
	v_lshlrev_b32_e32 v41, 16, v91
	s_waitcnt vmcnt(4)
	v_lshlrev_b32_e32 v91, 16, v93
	v_lshlrev_b32_e32 v90, 16, v92
	s_waitcnt vmcnt(3)
	v_sub_f32_e32 v33, s24, v94
	v_pk_add_f32 v[38:39], v[40:41], v[38:39] neg_lo:[0,1] neg_hi:[0,1]
	v_pk_add_f32 v[34:35], v[90:91], v[34:35] neg_lo:[0,1] neg_hi:[0,1]
	v_mul_f32_e32 v33, 0x3fb8aa3b, v33
	s_waitcnt vmcnt(2)
	v_sub_f32_e32 v41, s24, v95
	s_waitcnt vmcnt(1)
	v_sub_f32_e32 v90, s24, v96
	;; [unrolled: 2-line block ×3, first 2 shown]
	v_exp_f32_e32 v40, v33
	v_mul_f32_e32 v33, 0x3fb8aa3b, v41
	v_mul_f32_e32 v90, 0x3fb8aa3b, v90
	v_mul_f32_e32 v91, 0x3fb8aa3b, v91
	v_exp_f32_e32 v41, v33
	v_exp_f32_e32 v90, v90
	;; [unrolled: 1-line block ×3, first 2 shown]
	global_store_short_d16_hi v[36:37], v38, off
	global_store_short_d16_hi v[36:37], v39, off offset:256
	global_store_short_d16_hi v[36:37], v34, off offset:512
	global_store_short_d16_hi v[36:37], v35, off offset:768
	v_pk_mul_f32 v[36:37], v[40:41], v[38:39]
	v_pk_mul_f32 v[34:35], v[90:91], v[34:35]
	v_mov_b32_e32 v33, 0
	v_perm_b32 v35, v35, v34, s3
	v_perm_b32 v34, v37, v36, s3
	ds_write_b64 v63, v[34:35]
	v_mov_b32_e32 v34, 0
	v_mov_b32_e32 v35, 0
	;; [unrolled: 1-line block ×8, first 2 shown]
	s_cbranch_vccnz .LBB621_14
; %bb.13:                               ;   in Loop: Header=BB621_6 Depth=1
	s_and_b32 s29, s29, 0xffff
	s_mov_b32 s31, s27
	buffer_load_dwordx4 v[38:41], v78, s[28:31], 0 offen
	buffer_load_dwordx4 v[30:33], v78, s[28:31], s58 offen
	;; [unrolled: 1-line block ×4, first 2 shown]
	v_mov_b32_e32 v88, v57
	v_mov_b32_e32 v89, v56
.LBB621_14:                             ;   in Loop: Header=BB621_6 Depth=1
	s_waitcnt lgkmcnt(0)
	s_barrier
	ds_read_b64 v[98:99], v82
	ds_read2st64_b64 v[90:93], v71 offset1:1
	ds_read2st64_b64 v[94:97], v71 offset0:2 offset1:3
	ds_read_b64 v[100:101], v83
	ds_read_b64 v[102:103], v84
	;; [unrolled: 1-line block ×3, first 2 shown]
	s_waitcnt lgkmcnt(4)
	v_mfma_f32_16x16x16_bf16 a[0:3], v[98:99], v[90:91], 0
	ds_read_b64 v[98:99], v74 offset:8192
	ds_read_b64 v[106:107], v75 offset:8192
	s_add_i32 s25, s52, s64
	s_mul_hi_i32 s29, s25, s17
	s_waitcnt lgkmcnt(1)
	v_mfma_f32_16x16x16_bf16 a[4:7], v[98:99], v[90:91], 0
	s_mul_i32 s25, s25, s17
	s_add_u32 s28, s25, s33
	s_addc_u32 s29, s29, s56
	v_mfma_f32_16x16x16_bf16 a[0:3], v[100:101], v[92:93], a[0:3]
	ds_read_b64 v[98:99], v72
	ds_read_b64 v[100:101], v73
	ds_read_b64 v[90:91], v76 offset:8192
	s_lshl_b64 s[28:29], s[28:29], 15
	v_mfma_f32_16x16x16_bf16 a[0:3], v[102:103], v[94:95], a[0:3]
	ds_read_b64 v[102:103], v77 offset:8192
	s_and_b64 vcc, exec, s[0:1]
	s_waitcnt lgkmcnt(4)
	v_mfma_f32_16x16x16_bf16 a[4:7], v[106:107], v[92:93], a[4:7]
	s_waitcnt lgkmcnt(1)
	v_mfma_f32_16x16x16_bf16 a[4:7], v[90:91], v[94:95], a[4:7]
	v_lshl_add_u64 v[90:91], v[42:43], 0, s[28:29]
	global_store_dwordx4 v[90:91], v[98:101], off
	v_mfma_f32_16x16x16_bf16 a[0:3], v[104:105], v[96:97], a[0:3]
	s_waitcnt lgkmcnt(0)
	v_mfma_f32_16x16x16_bf16 a[4:7], v[102:103], v[96:97], a[4:7]
	s_cbranch_vccnz .LBB621_16
; %bb.15:                               ;   in Loop: Header=BB621_6 Depth=1
	v_lshrrev_b32_e32 v90, 3, v88
	v_and_b32_e32 v90, 6, v90
	v_xor_b32_e32 v89, v90, v89
	v_lshlrev_b32_e32 v89, 2, v89
	v_and_b32_e32 v88, 8, v88
	v_xor_b32_e32 v91, 0x440, v89
	v_cmp_eq_u32_e32 vcc, 0, v88
	s_barrier
	s_nop 0
	v_cndmask_b32_e32 v88, v91, v89, vcc
	v_lshl_or_b32 v88, v90, 10, v88
	s_waitcnt vmcnt(2)
	v_perm_b32 v89, v38, v34, s60
	s_waitcnt vmcnt(1)
	v_perm_b32 v90, v30, v26, s60
	ds_write2st64_b32 v88, v89, v90 offset1:32
	v_xor_b32_e32 v89, 8, v88
	v_perm_b32 v34, v38, v34, s61
	v_perm_b32 v26, v30, v26, s61
	v_add_u32_e32 v30, 0x80, v89
	ds_write2st64_b32 v30, v34, v26 offset1:32
	v_xor_b32_e32 v26, 16, v88
	v_perm_b32 v30, v39, v35, s60
	v_perm_b32 v34, v31, v27, s60
	ds_write2st64_b32 v26, v30, v34 offset0:1 offset1:33
	v_xor_b32_e32 v26, 24, v88
	v_perm_b32 v30, v39, v35, s61
	v_perm_b32 v27, v31, v27, s61
	v_add_u32_e32 v26, 0x80, v26
	ds_write2st64_b32 v26, v30, v27 offset0:1 offset1:33
	v_xor_b32_e32 v26, 32, v88
	v_perm_b32 v27, v40, v36, s60
	v_perm_b32 v30, v32, v28, s60
	ds_write2st64_b32 v26, v27, v30 offset0:2 offset1:34
	v_xor_b32_e32 v26, 40, v88
	v_perm_b32 v27, v40, v36, s61
	v_perm_b32 v28, v32, v28, s61
	v_add_u32_e32 v26, 0x80, v26
	ds_write2st64_b32 v26, v27, v28 offset0:2 offset1:34
	;; [unrolled: 9-line block ×3, first 2 shown]
	ds_write_b64 v9, v[22:23] offset:16384
	v_xor_b32_e32 v22, 8, v9
	ds_write_b64 v22, v[24:25] offset:16384
	ds_write_b64 v9, v[18:19] offset:24576
	ds_write_b64 v22, v[20:21] offset:24576
	ds_write_b64 v5, v[14:15] offset:16384
	v_xor_b32_e32 v9, 8, v5
	ds_write_b64 v9, v[16:17] offset:16384
	ds_write_b64 v5, v[10:11] offset:24576
	;; [unrolled: 1-line block ×3, first 2 shown]
.LBB621_16:                             ;   in Loop: Header=BB621_6 Depth=1
	v_mul_f32_e32 v5, s24, v81
	v_exp_f32_e32 v10, v5
	s_nop 1
	v_accvgpr_read_b32 v9, a1
	v_accvgpr_read_b32 v5, a0
	s_add_i32 s59, s59, 64
	v_fma_f32 v3, v3, v10, v9
	v_accvgpr_read_b32 v9, a4
	v_fma_f32 v6, v6, v10, v9
	v_accvgpr_read_b32 v9, a5
	;; [unrolled: 2-line block ×6, first 2 shown]
	v_fmac_f32_e32 v5, v87, v10
	s_cmp_eq_u32 s50, s39
	v_fmac_f32_e32 v9, v86, v10
	s_cbranch_scc1 .LBB621_18
; %bb.17:                               ;   in Loop: Header=BB621_6 Depth=1
	s_mov_b32 s64, s39
	v_mov_b32_e32 v87, v5
	v_mov_b32_e32 v86, v9
	s_branch .LBB621_6
.LBB621_18:
	s_lshl_b32 s44, s50, 6
	s_sub_i32 s45, s16, s44
	s_cmp_gt_i32 s45, 0
	s_waitcnt vmcnt(2)
	v_or_b32_e32 v34, s2, v52
	s_cbranch_scc1 .LBB621_20
; %bb.19:
	s_ashr_i32 s0, s33, 31
	s_add_u32 s28, s47, s33
	s_addc_u32 s29, s53, s0
	v_or_b32_e32 v10, s2, v52
	s_cbranch_execz .LBB621_21
	s_branch .LBB621_77
.LBB621_20:
                                        ; implicit-def: $sgpr28_sgpr29
                                        ; implicit-def: $vgpr10
.LBB621_21:
	s_ashr_i32 s39, s49, 31
	s_ashr_i32 s3, s44, 31
	s_cmpk_lg_i32 s19, 0x80
	s_cselect_b64 s[40:41], -1, 0
	s_and_b64 vcc, exec, s[40:41]
	s_cbranch_vccz .LBB621_23
; %bb.22:
	s_mul_i32 s1, s49, s16
	s_mul_hi_i32 s0, s49, s16
	s_add_u32 s1, s1, s44
	s_addc_u32 s0, s0, s3
	s_mul_i32 s24, s1, s51
	s_mul_hi_u32 s25, s1, s18
	s_add_i32 s24, s25, s24
	s_mul_i32 s0, s0, s18
	s_add_i32 s24, s24, s0
	s_mul_i32 s1, s1, s18
	s_ashr_i32 s0, s54, 31
	s_add_u32 s42, s1, s54
	s_addc_u32 s43, s24, s0
	s_cbranch_execz .LBB621_24
	s_branch .LBB621_25
.LBB621_23:
                                        ; implicit-def: $sgpr42_sgpr43
.LBB621_24:
	s_mul_hi_i32 s0, s49, s18
	s_mul_i32 s49, s49, s18
	s_ashr_i32 s1, s54, 31
	s_add_u32 s18, s49, s54
	s_addc_u32 s0, s0, s1
	s_mul_i32 s1, s18, s48
	s_mul_hi_u32 s24, s18, s16
	s_add_i32 s1, s24, s1
	s_mul_i32 s0, s0, s16
	s_add_i32 s1, s1, s0
	s_mul_i32 s18, s18, s16
	s_add_u32 s42, s18, s44
	s_addc_u32 s43, s1, s3
.LBB621_25:
	s_add_i32 s24, s52, s50
	s_ashr_i32 s18, s33, 31
	s_add_u32 s28, s47, s33
	s_addc_u32 s29, s53, s18
	s_mul_i32 s0, s28, s48
	s_mul_hi_u32 s1, s28, s16
	s_add_i32 s0, s1, s0
	s_mul_i32 s1, s29, s16
	s_add_i32 s1, s0, s1
	s_mul_i32 s0, s28, s16
	s_add_u32 s0, s0, s44
	s_addc_u32 s1, s1, s3
	s_mov_b32 s3, 0x7060302
	v_lshlrev_b32_e32 v14, 3, v52
	s_lshl_b64 s[30:31], s[0:1], 8
	v_perm_b32 v11, v5, v4, s3
	v_perm_b32 v10, v3, v2, s3
	;; [unrolled: 1-line block ×4, first 2 shown]
	v_lshlrev_b32_e32 v44, 2, v52
	v_lshl_or_b32 v14, v1, 5, v14
	s_add_u32 s0, s6, s30
	ds_write2st64_b64 v14, v[10:11], v[12:13] offset0:72 offset1:76
	v_xor_b32_e32 v14, v1, v44
	v_lshlrev_b32_e32 v15, 8, v52
	s_addc_u32 s1, s7, s31
	v_lshl_or_b32 v14, v14, 1, v15
	s_mul_hi_i32 s3, s24, s17
	s_mul_i32 s24, s24, s17
	ds_write_b64 v14, v[10:11] offset:32768
	v_xor_b32_e32 v10, v55, v44
	s_add_u32 s6, s24, s33
	v_lshl_or_b32 v10, v10, 1, v15
	s_addc_u32 s7, s3, s18
	v_lshlrev_b32_e32 v11, 1, v52
	ds_write_b64 v10, v[12:13] offset:32768
	v_lshrrev_b32_e32 v10, 4, v0
	s_ashr_i32 s3, s2, 31
	s_lshl_b64 s[6:7], s[6:7], 15
	v_or_b32_e32 v12, 1, v11
	s_waitcnt lgkmcnt(0)
	s_add_u32 s6, s12, s6
	v_xor_b32_e32 v11, v10, v11
	v_xor_b32_e32 v12, v12, v10
	v_lshlrev_b32_e32 v14, 8, v10
	s_addc_u32 s7, s13, s7
	s_lshl_b64 s[2:3], s[2:3], 8
	v_lshl_or_b32 v10, v11, 3, v14
	v_lshl_or_b32 v12, v12, 3, v14
	s_barrier
	s_add_u32 s2, s6, s2
	ds_read_b64 v[10:11], v10 offset:32768
	ds_read_b64 v[12:13], v12 offset:32768
	s_addc_u32 s3, s7, s3
	v_mov_b32_e32 v15, 0
	s_cmp_lg_u32 s45, 64
	v_lshl_add_u64 v[16:17], s[2:3], 0, v[14:15]
	v_lshlrev_b32_e32 v14, 4, v52
	s_cselect_b64 s[6:7], -1, 0
	v_lshl_or_b32 v35, v48, 3, v54
	s_mov_b32 s24, 0
	v_lshl_add_u64 v[14:15], v[16:17], 0, v[14:15]
	s_waitcnt vmcnt(1)
	v_or_b32_e32 v27, 32, v35
	v_and_b32_e32 v26, 56, v53
	s_and_b64 vcc, exec, s[6:7]
	s_waitcnt lgkmcnt(0)
	global_store_dwordx4 v[14:15], v[10:13], off
	s_cbranch_vccz .LBB621_31
; %bb.26:
	s_mov_b32 s25, s24
	s_mov_b32 s26, s24
	;; [unrolled: 1-line block ×3, first 2 shown]
	v_mov_b64_e32 v[14:15], s[24:25]
	v_mov_b64_e32 v[16:17], s[26:27]
	v_mov_b64_e32 v[10:11], v[14:15]
	v_cmp_gt_i32_e32 vcc, s45, v35
	v_mov_b64_e32 v[12:13], v[16:17]
	s_and_saveexec_b64 s[2:3], vcc
	s_cbranch_execz .LBB621_28
; %bb.27:
	v_lshlrev_b32_e32 v10, 8, v35
	v_mov_b32_e32 v11, 0
	v_lshl_add_u64 v[12:13], s[0:1], 0, v[10:11]
	v_lshlrev_b32_e32 v10, 1, v26
	v_lshl_add_u64 v[18:19], v[12:13], 0, v[10:11]
	global_load_dwordx4 v[14:17], v[18:19], off
	global_load_dwordx4 v[10:13], v[18:19], off offset:128
.LBB621_28:
	s_or_b64 exec, exec, s[2:3]
	s_mov_b32 s25, s24
	s_mov_b32 s26, s24
	;; [unrolled: 1-line block ×3, first 2 shown]
	v_mov_b64_e32 v[22:23], s[24:25]
	v_mov_b64_e32 v[24:25], s[26:27]
	;; [unrolled: 1-line block ×3, first 2 shown]
	v_cmp_gt_i32_e32 vcc, s45, v27
	v_lshlrev_b32_e32 v28, 7, v27
	v_mov_b64_e32 v[20:21], v[24:25]
	s_and_saveexec_b64 s[2:3], vcc
	s_cbranch_execz .LBB621_30
; %bb.29:
	v_lshlrev_b32_e32 v18, 1, v28
	v_mov_b32_e32 v19, 0
	v_lshl_add_u64 v[20:21], s[0:1], 0, v[18:19]
	v_lshlrev_b32_e32 v18, 1, v26
	v_lshl_add_u64 v[30:31], v[20:21], 0, v[18:19]
	global_load_dwordx4 v[22:25], v[30:31], off
	global_load_dwordx4 v[18:21], v[30:31], off offset:128
.LBB621_30:
	s_or_b64 exec, exec, s[2:3]
	v_lshrrev_b32_e32 v29, 3, v26
	v_lshlrev_b32_e32 v30, 3, v35
	v_or_b32_e32 v29, v30, v29
	v_lshlrev_b32_e32 v29, 4, v29
	v_and_b32_e32 v30, 0x78, v30
	v_xor_b32_e32 v29, v29, v30
	s_branch .LBB621_33
.LBB621_31:
                                        ; implicit-def: $vgpr29
                                        ; implicit-def: $vgpr28
                                        ; implicit-def: $vgpr14_vgpr15_vgpr16_vgpr17
                                        ; implicit-def: $vgpr10_vgpr11_vgpr12_vgpr13
                                        ; implicit-def: $vgpr22_vgpr23_vgpr24_vgpr25
                                        ; implicit-def: $vgpr18_vgpr19_vgpr20_vgpr21
	s_cbranch_execz .LBB621_33
; %bb.32:
	s_waitcnt vmcnt(0)
	v_lshlrev_b32_e32 v10, 1, v26
	v_lshl_or_b32 v28, v35, 8, v10
	s_and_b32 s1, s1, 0xffff
	s_mov_b32 s3, 0x20000
	s_movk_i32 s2, 0x4000
	v_lshl_or_b32 v29, v27, 8, v10
	s_movk_i32 s12, 0x80
	buffer_load_dwordx4 v[14:17], v28, s[0:3], 0 offen
	buffer_load_dwordx4 v[10:13], v28, s[0:3], s12 offen
	buffer_load_dwordx4 v[22:25], v29, s[0:3], 0 offen
	buffer_load_dwordx4 v[18:21], v29, s[0:3], s12 offen
	v_lshrrev_b32_e32 v28, 3, v26
	v_lshlrev_b32_e32 v29, 3, v35
	v_or_b32_e32 v28, v29, v28
	v_lshlrev_b32_e32 v28, 4, v28
	v_and_b32_e32 v29, 0x78, v29
	v_xor_b32_e32 v29, v28, v29
	v_lshlrev_b32_e32 v28, 7, v27
.LBB621_33:
	s_lshl_b64 s[0:1], s[42:43], 8
	s_add_u32 s4, s4, s0
	s_movk_i32 s0, 0x1000
	v_and_or_b32 v27, v28, s0, v29
	s_waitcnt vmcnt(1)
	ds_write_b64 v29, v[14:15] offset:16384
	v_xor_b32_e32 v14, 8, v29
	ds_write_b64 v14, v[16:17] offset:16384
	s_waitcnt vmcnt(0)
	ds_write_b64 v29, v[10:11] offset:24576
	ds_write_b64 v14, v[12:13] offset:24576
	;; [unrolled: 1-line block ×3, first 2 shown]
	v_xor_b32_e32 v10, 8, v27
	ds_write_b64 v10, v[24:25] offset:16384
	ds_write_b64 v27, v[18:19] offset:24576
	;; [unrolled: 1-line block ×3, first 2 shown]
	v_or_b32_e32 v10, v49, v52
	s_addc_u32 s5, s5, s1
	s_add_i32 s2, s16, -1
	v_lshlrev_b32_e32 v10, 3, v10
	v_lshrrev_b32_e32 v12, 5, v50
	s_movk_i32 s16, 0xf8
	v_and_or_b32 v12, v10, s16, v12
	v_lshlrev_b32_e32 v45, 11, v48
	v_lshlrev_b32_e32 v20, 4, v12
	v_and_b32_e32 v21, 0x78, v10
	v_and_b32_e32 v22, 0x1000, v45
	v_lshlrev_b32_e32 v11, 2, v0
	v_xor_b32_e32 v10, v20, v21
	v_lshrrev_b32_e32 v12, 1, v50
	v_and_b32_e32 v11, 60, v11
	v_or_b32_e32 v10, v10, v22
	v_and_b32_e32 v23, 8, v12
	v_xor_b32_e32 v36, v10, v23
	v_lshl_or_b32 v10, v51, 6, v11
	v_lshlrev_b32_e32 v46, 1, v10
	v_or_b32_e32 v10, 32, v20
	v_xor_b32_e32 v10, v10, v21
	s_waitcnt lgkmcnt(0)
	s_barrier
	ds_read_b64 v[18:19], v36 offset:16384
	v_or_b32_e32 v10, v10, v22
	v_xor_b32_e32 v37, v10, v23
	v_or_b32_e32 v10, 64, v20
	v_xor_b32_e32 v10, v10, v21
	v_or_b32_e32 v10, v10, v22
	v_or_b32_e32 v20, 0x60, v20
	v_xor_b32_e32 v38, v10, v23
	ds_read2st64_b64 v[10:13], v46 offset0:72 offset1:73
	ds_read2st64_b64 v[14:17], v46 offset0:74 offset1:75
	v_xor_b32_e32 v24, v20, v21
	ds_read_b64 v[20:21], v37 offset:16384
	s_waitcnt lgkmcnt(2)
	v_mfma_f32_16x16x16_bf16 a[0:3], v[18:19], v[10:11], 0
	s_add_i32 s0, s46, s21
	s_mul_i32 s39, s39, s20
	s_add_i32 s39, s0, s39
	s_mul_i32 s0, s33, s23
	s_mul_hi_u32 s1, s33, s22
	s_ashr_i32 s3, s2, 31
	s_mul_i32 s12, s2, s37
	s_mul_hi_u32 s13, s2, s36
	s_add_i32 s0, s1, s0
	s_mul_i32 s1, s18, s22
	s_add_i32 s12, s13, s12
	s_mul_i32 s3, s3, s36
	v_or_b32_e32 v22, v24, v22
	s_add_i32 s1, s0, s1
	s_add_i32 s3, s12, s3
	s_lshl_b64 s[12:13], s[38:39], 2
	v_xor_b32_e32 v47, v22, v23
	ds_read_b64 v[22:23], v38 offset:16384
	ds_read_b64 v[24:25], v47 offset:16384
	s_waitcnt lgkmcnt(2)
	v_mfma_f32_16x16x16_bf16 a[0:3], v[20:21], v[12:13], a[0:3]
	s_mul_i32 s0, s33, s22
	s_add_u32 s10, s10, s12
	s_addc_u32 s11, s11, s13
	s_lshl_b64 s[0:1], s[0:1], 2
	s_mul_i32 s2, s2, s36
	s_add_u32 s10, s10, s0
	s_addc_u32 s11, s11, s1
	s_lshl_b64 s[0:1], s[2:3], 2
	s_waitcnt lgkmcnt(1)
	v_mfma_f32_16x16x16_bf16 a[0:3], v[22:23], v[14:15], a[0:3]
	s_add_u32 s0, s10, s0
	s_addc_u32 s1, s11, s1
	s_load_dword s12, s[0:1], 0x0
	s_waitcnt lgkmcnt(0)
	v_mfma_f32_16x16x16_bf16 a[0:3], v[24:25], v[16:17], a[0:3]
	s_and_b64 vcc, exec, s[40:41]
	s_cbranch_vccz .LBB621_44
; %bb.34:
	v_lshlrev_b32_e32 v27, 1, v35
	s_and_b64 vcc, exec, s[6:7]
	s_cbranch_vccz .LBB621_45
; %bb.35:
	v_cmp_gt_i32_e32 vcc, s45, v27
	v_mov_b32_e32 v14, 0
	v_mov_b32_e32 v10, 0
	;; [unrolled: 1-line block ×5, first 2 shown]
	s_and_saveexec_b64 s[0:1], vcc
	s_cbranch_execz .LBB621_37
; %bb.36:
	v_mad_i64_i32 v[10:11], s[2:3], s19, v27, 0
	v_lshl_add_u64 v[10:11], v[10:11], 1, s[4:5]
	v_lshlrev_b32_e32 v12, 1, v26
	v_mov_b32_e32 v13, 0
	v_lshl_add_u64 v[10:11], v[10:11], 0, v[12:13]
	global_load_dwordx4 v[10:13], v[10:11], off
.LBB621_37:
	s_or_b64 exec, exec, s[0:1]
	v_or_b32_e32 v28, 1, v27
	v_cmp_gt_i32_e64 s[0:1], s45, v28
	v_mov_b32_e32 v15, 0
	v_mov_b32_e32 v16, 0
	;; [unrolled: 1-line block ×3, first 2 shown]
	s_and_saveexec_b64 s[2:3], s[0:1]
	s_cbranch_execz .LBB621_39
; %bb.38:
	v_mad_i64_i32 v[14:15], s[16:17], s19, v28, 0
	v_lshl_add_u64 v[14:15], v[14:15], 1, s[4:5]
	v_lshlrev_b32_e32 v16, 1, v26
	v_mov_b32_e32 v17, 0
	v_lshl_add_u64 v[14:15], v[14:15], 0, v[16:17]
	global_load_dwordx4 v[14:17], v[14:15], off
.LBB621_39:
	s_or_b64 exec, exec, s[2:3]
	v_mov_b32_e32 v25, 0
	v_mov_b32_e32 v18, 0
	;; [unrolled: 1-line block ×5, first 2 shown]
	s_and_saveexec_b64 s[2:3], vcc
	s_cbranch_execz .LBB621_41
; %bb.40:
	v_mad_i64_i32 v[18:19], s[16:17], s19, v27, 0
	v_lshl_add_u64 v[18:19], v[18:19], 1, s[4:5]
	v_lshlrev_b32_e32 v20, 1, v26
	v_mov_b32_e32 v21, 0
	v_lshl_add_u64 v[18:19], v[18:19], 0, v[20:21]
	global_load_dwordx4 v[18:21], v[18:19], off offset:128
.LBB621_41:
	s_or_b64 exec, exec, s[2:3]
	v_mov_b32_e32 v24, 0
	v_mov_b32_e32 v23, 0
	;; [unrolled: 1-line block ×3, first 2 shown]
	s_and_saveexec_b64 s[2:3], s[0:1]
	s_cbranch_execz .LBB621_43
; %bb.42:
	v_mad_i64_i32 v[22:23], s[0:1], s19, v28, 0
	v_lshl_add_u64 v[22:23], v[22:23], 1, s[4:5]
	v_lshlrev_b32_e32 v24, 1, v26
	v_mov_b32_e32 v25, 0
	v_lshl_add_u64 v[22:23], v[22:23], 0, v[24:25]
	global_load_dwordx4 v[22:25], v[22:23], off offset:128
.LBB621_43:
	s_or_b64 exec, exec, s[2:3]
	s_branch .LBB621_47
.LBB621_44:
                                        ; implicit-def: $vgpr13
                                        ; implicit-def: $vgpr17
                                        ; implicit-def: $vgpr21
                                        ; implicit-def: $vgpr25
	v_lshrrev_b32_e32 v50, 2, v50
	s_branch .LBB621_48
.LBB621_45:
                                        ; implicit-def: $vgpr13
                                        ; implicit-def: $vgpr17
                                        ; implicit-def: $vgpr21
                                        ; implicit-def: $vgpr25
	s_cbranch_execz .LBB621_47
; %bb.46:
	s_waitcnt vmcnt(0)
	v_mad_u64_u32 v[10:11], s[0:1], v27, s19, v[26:27]
	v_lshlrev_b32_e32 v27, 1, v10
	s_lshl_b32 s2, s19, 7
	s_and_b32 s1, s5, 0xffff
	s_mov_b32 s3, 0x20000
	s_mov_b32 s0, s4
	v_add_lshl_u32 v28, v10, s19, 1
	s_movk_i32 s13, 0x80
	buffer_load_dwordx4 v[10:13], v27, s[0:3], 0 offen
	buffer_load_dwordx4 v[18:21], v27, s[0:3], s13 offen
	;; [unrolled: 1-line block ×4, first 2 shown]
.LBB621_47:
	v_lshrrev_b32_e32 v50, 2, v50
	s_cbranch_execnz .LBB621_60
.LBB621_48:
	s_and_b64 vcc, exec, s[6:7]
	s_cbranch_vccz .LBB621_58
; %bb.49:
	s_waitcnt vmcnt(0)
	v_lshlrev_b32_e32 v15, 1, v35
	v_cmp_gt_i32_e32 vcc, s45, v15
	v_mov_b32_e32 v14, 0
	v_lshlrev_b32_e32 v22, 9, v35
	v_mov_b32_e32 v10, 0
	v_mov_b32_e32 v11, 0
	;; [unrolled: 1-line block ×4, first 2 shown]
	s_and_saveexec_b64 s[0:1], vcc
	s_cbranch_execz .LBB621_51
; %bb.50:
	v_mov_b32_e32 v23, 0
	v_lshl_add_u64 v[10:11], s[4:5], 0, v[22:23]
	v_lshlrev_b32_e32 v12, 1, v26
	v_mov_b32_e32 v13, v23
	v_lshl_add_u64 v[10:11], v[10:11], 0, v[12:13]
	global_load_dwordx4 v[10:13], v[10:11], off
.LBB621_51:
	s_or_b64 exec, exec, s[0:1]
	v_or_b32_e32 v15, 1, v15
	v_cmp_gt_i32_e64 s[0:1], s45, v15
	v_lshlrev_b32_e32 v28, 8, v15
	v_mov_b32_e32 v15, 0
	v_mov_b32_e32 v16, 0
	;; [unrolled: 1-line block ×3, first 2 shown]
	s_and_saveexec_b64 s[2:3], s[0:1]
	s_cbranch_execz .LBB621_53
; %bb.52:
	v_mov_b32_e32 v29, 0
	v_lshl_add_u64 v[14:15], s[4:5], 0, v[28:29]
	v_lshlrev_b32_e32 v16, 1, v26
	v_mov_b32_e32 v17, v29
	v_lshl_add_u64 v[14:15], v[14:15], 0, v[16:17]
	global_load_dwordx4 v[14:17], v[14:15], off
.LBB621_53:
	s_or_b64 exec, exec, s[2:3]
	v_mov_b32_e32 v25, 0
	v_mov_b32_e32 v18, 0
	;; [unrolled: 1-line block ×5, first 2 shown]
	s_and_saveexec_b64 s[2:3], vcc
	s_cbranch_execz .LBB621_55
; %bb.54:
	v_mov_b32_e32 v23, 0
	v_lshl_add_u64 v[18:19], s[4:5], 0, v[22:23]
	v_lshlrev_b32_e32 v22, 1, v26
	v_lshl_add_u64 v[18:19], v[18:19], 0, v[22:23]
	global_load_dwordx4 v[18:21], v[18:19], off offset:128
.LBB621_55:
	s_or_b64 exec, exec, s[2:3]
	v_mov_b32_e32 v24, 0
	v_mov_b32_e32 v23, 0
	;; [unrolled: 1-line block ×3, first 2 shown]
	s_and_saveexec_b64 s[2:3], s[0:1]
	s_cbranch_execz .LBB621_57
; %bb.56:
	v_mov_b32_e32 v29, 0
	v_lshl_add_u64 v[22:23], s[4:5], 0, v[28:29]
	v_lshlrev_b32_e32 v28, 1, v26
	v_lshl_add_u64 v[22:23], v[22:23], 0, v[28:29]
	global_load_dwordx4 v[22:25], v[22:23], off offset:128
.LBB621_57:
	s_or_b64 exec, exec, s[2:3]
	s_branch .LBB621_60
.LBB621_58:
                                        ; implicit-def: $vgpr13
                                        ; implicit-def: $vgpr17
                                        ; implicit-def: $vgpr21
                                        ; implicit-def: $vgpr25
	s_cbranch_execz .LBB621_60
; %bb.59:
	s_waitcnt vmcnt(0)
	v_lshlrev_b32_e32 v10, 1, v26
	v_lshl_or_b32 v26, v35, 9, v10
	s_and_b32 s5, s5, 0xffff
	s_mov_b32 s7, 0x20000
	s_movk_i32 s6, 0x4000
	s_movk_i32 s0, 0x80
	buffer_load_dwordx4 v[10:13], v26, s[4:7], 0 offen
	buffer_load_dwordx4 v[14:17], v26, s[4:7], 0 offen offset:256
	buffer_load_dwordx4 v[18:21], v26, s[4:7], s0 offen
	buffer_load_dwordx4 v[22:25], v26, s[4:7], s0 offen offset:256
.LBB621_60:
	ds_read2st64_b64 v[30:33], v46 offset0:76 offset1:77
	ds_read2st64_b64 v[26:29], v46 offset0:78 offset1:79
	ds_read_b64 v[42:43], v36 offset:24576
	ds_read_b64 v[40:41], v37 offset:24576
	;; [unrolled: 1-line block ×4, first 2 shown]
	v_and_b32_e32 v47, 6, v0
	v_xor_b32_e32 v35, v35, v47
	v_lshlrev_b32_e32 v35, 2, v35
	v_and_b32_e32 v51, 1, v0
	v_xor_b32_e32 v52, 0x440, v35
	v_cmp_eq_u32_e32 vcc, 0, v51
	s_mov_b32 s0, 0x1000504
	s_waitcnt vmcnt(0)
	v_perm_b32 v51, v18, v22, s0
	v_cndmask_b32_e32 v35, v52, v35, vcc
	v_lshl_or_b32 v35, v47, 10, v35
	v_perm_b32 v47, v10, v14, s0
	ds_write2st64_b32 v35, v47, v51 offset1:32
	v_xor_b32_e32 v47, 8, v35
	s_mov_b32 s1, 0x3020706
	v_perm_b32 v10, v10, v14, s1
	v_perm_b32 v14, v18, v22, s1
	v_add_u32_e32 v18, 0x80, v47
	ds_write2st64_b32 v18, v10, v14 offset1:32
	v_xor_b32_e32 v10, 16, v35
	v_perm_b32 v14, v11, v15, s0
	v_perm_b32 v18, v19, v23, s0
	ds_write2st64_b32 v10, v14, v18 offset0:1 offset1:33
	v_xor_b32_e32 v10, 24, v35
	v_perm_b32 v11, v11, v15, s1
	v_perm_b32 v14, v19, v23, s1
	v_add_u32_e32 v10, 0x80, v10
	ds_write2st64_b32 v10, v11, v14 offset0:1 offset1:33
	v_xor_b32_e32 v10, 32, v35
	v_perm_b32 v11, v12, v16, s0
	v_perm_b32 v14, v20, v24, s0
	ds_write2st64_b32 v10, v11, v14 offset0:2 offset1:34
	v_xor_b32_e32 v10, 40, v35
	v_perm_b32 v11, v12, v16, s1
	v_perm_b32 v12, v20, v24, s1
	v_add_u32_e32 v10, 0x80, v10
	ds_write2st64_b32 v10, v11, v12 offset0:2 offset1:34
	v_xor_b32_e32 v10, 48, v35
	v_perm_b32 v11, v13, v17, s0
	v_perm_b32 v12, v21, v25, s0
	ds_write2st64_b32 v10, v11, v12 offset0:3 offset1:35
	v_xor_b32_e32 v10, 56, v35
	v_and_or_b32 v18, v50, 12, v49
	v_perm_b32 v11, v13, v17, s1
	v_perm_b32 v12, v21, v25, s1
	v_add_u32_e32 v10, 0x80, v10
	v_cmp_gt_i32_e32 vcc, s45, v18
	v_mov_b32_e32 v20, 0
	v_mov_b32_e32 v24, 0
	ds_write2st64_b32 v10, v11, v12 offset0:3 offset1:35
	s_and_saveexec_b64 s[0:1], vcc
	s_cbranch_execz .LBB621_62
; %bb.61:
	v_add_u32_e32 v10, s44, v18
	v_ashrrev_i32_e32 v11, 31, v10
	v_mul_lo_u32 v12, v11, s36
	v_mul_lo_u32 v13, v10, s37
	v_mad_u64_u32 v[10:11], s[2:3], v10, s36, 0
	v_add3_u32 v11, v11, v13, v12
	v_lshl_add_u64 v[10:11], v[10:11], 2, s[10:11]
	global_load_dword v10, v[10:11], off
	s_waitcnt vmcnt(0)
	v_sub_f32_e32 v10, s12, v10
	v_mul_f32_e32 v10, 0x3fb8aa3b, v10
	v_exp_f32_e32 v24, v10
.LBB621_62:
	s_or_b64 exec, exec, s[0:1]
	v_or_b32_e32 v23, 1, v18
	v_cmp_gt_i32_e64 s[4:5], s45, v23
	s_and_saveexec_b64 s[0:1], s[4:5]
	s_cbranch_execz .LBB621_64
; %bb.63:
	v_add_u32_e32 v10, s44, v23
	v_ashrrev_i32_e32 v11, 31, v10
	v_mul_lo_u32 v12, v11, s36
	v_mul_lo_u32 v13, v10, s37
	v_mad_u64_u32 v[10:11], s[2:3], v10, s36, 0
	v_add3_u32 v11, v11, v13, v12
	v_lshl_add_u64 v[10:11], v[10:11], 2, s[10:11]
	global_load_dword v10, v[10:11], off
	s_waitcnt vmcnt(0)
	v_sub_f32_e32 v10, s12, v10
	v_mul_f32_e32 v10, 0x3fb8aa3b, v10
	v_exp_f32_e32 v20, v10
.LBB621_64:
	s_or_b64 exec, exec, s[0:1]
	v_or_b32_e32 v21, 2, v18
	v_cmp_gt_i32_e64 s[0:1], s45, v21
	v_mov_b32_e32 v19, 0
	v_mov_b32_e32 v25, 0
	s_and_saveexec_b64 s[2:3], s[0:1]
	s_cbranch_execz .LBB621_66
; %bb.65:
	v_add_u32_e32 v10, s44, v21
	v_ashrrev_i32_e32 v11, 31, v10
	v_mul_lo_u32 v12, v11, s36
	v_mul_lo_u32 v13, v10, s37
	v_mad_u64_u32 v[10:11], s[6:7], v10, s36, 0
	v_add3_u32 v11, v11, v13, v12
	v_lshl_add_u64 v[10:11], v[10:11], 2, s[10:11]
	global_load_dword v10, v[10:11], off
	s_waitcnt vmcnt(0)
	v_sub_f32_e32 v10, s12, v10
	v_mul_f32_e32 v10, 0x3fb8aa3b, v10
	v_exp_f32_e32 v25, v10
.LBB621_66:
	s_or_b64 exec, exec, s[2:3]
	v_or_b32_e32 v22, 3, v18
	v_cmp_gt_i32_e64 s[2:3], s45, v22
	s_and_saveexec_b64 s[6:7], s[2:3]
	s_cbranch_execz .LBB621_68
; %bb.67:
	v_add_u32_e32 v10, s44, v22
	v_ashrrev_i32_e32 v11, 31, v10
	v_mul_lo_u32 v12, v11, s36
	v_mul_lo_u32 v13, v10, s37
	v_mad_u64_u32 v[10:11], s[16:17], v10, s36, 0
	v_add3_u32 v11, v11, v13, v12
	v_lshl_add_u64 v[10:11], v[10:11], 2, s[10:11]
	global_load_dword v10, v[10:11], off
	s_waitcnt vmcnt(0)
	v_sub_f32_e32 v10, s12, v10
	v_mul_f32_e32 v10, 0x3fb8aa3b, v10
	v_exp_f32_e32 v19, v10
.LBB621_68:
	s_or_b64 exec, exec, s[6:7]
	s_waitcnt lgkmcnt(11)
	v_mfma_f32_16x16x16_bf16 a[0:3], v[42:43], v[30:31], a[0:3]
	s_add_u32 s6, s8, s30
	v_ashrrev_i32_e32 v35, 31, v34
	s_addc_u32 s7, s9, s31
	s_waitcnt lgkmcnt(10)
	v_mfma_f32_16x16x16_bf16 a[0:3], v[40:41], v[32:33], a[0:3]
	v_lshlrev_b64 v[10:11], 1, v[34:35]
	v_lshl_add_u64 v[14:15], s[6:7], 0, v[10:11]
	s_add_u32 s6, s14, s30
	s_waitcnt lgkmcnt(9)
	v_mfma_f32_16x16x16_bf16 a[0:3], v[38:39], v[26:27], a[0:3]
	s_addc_u32 s7, s15, s31
	v_lshl_add_u64 v[16:17], s[6:7], 0, v[10:11]
	v_mov_b32_e32 v26, 0
	s_waitcnt lgkmcnt(8)
	v_mfma_f32_16x16x16_bf16 a[0:3], v[36:37], v[28:29], a[0:3]
	v_mov_b32_e32 v27, 0
	s_nop 5
	v_accvgpr_read_b32 v13, a3
	v_accvgpr_read_b32 v12, a2
	;; [unrolled: 1-line block ×4, first 2 shown]
	s_and_saveexec_b64 s[6:7], vcc
	s_cbranch_execz .LBB621_70
; %bb.69:
	v_lshlrev_b32_e32 v28, 8, v18
	v_mov_b32_e32 v29, 0
	v_lshl_add_u64 v[30:31], v[14:15], 0, v[28:29]
	global_load_ushort v27, v[30:31], off
	v_lshl_add_u64 v[28:29], v[16:17], 0, v[28:29]
	s_waitcnt vmcnt(0)
	v_lshlrev_b32_e32 v27, 16, v27
	v_sub_f32_e32 v10, v27, v10
	global_store_short_d16_hi v[28:29], v10, off
	v_mul_f32_e32 v10, v24, v10
	v_lshrrev_b32_e32 v27, 16, v10
.LBB621_70:
	s_or_b64 exec, exec, s[6:7]
	s_and_saveexec_b64 s[6:7], s[4:5]
	s_cbranch_execz .LBB621_72
; %bb.71:
	v_lshlrev_b32_e32 v28, 8, v23
	v_mov_b32_e32 v29, 0
	v_lshl_add_u64 v[30:31], v[14:15], 0, v[28:29]
	global_load_ushort v10, v[30:31], off
	v_lshl_add_u64 v[28:29], v[16:17], 0, v[28:29]
	s_waitcnt vmcnt(0)
	v_lshlrev_b32_e32 v10, 16, v10
	v_sub_f32_e32 v10, v10, v11
	global_store_short_d16_hi v[28:29], v10, off
	v_mul_f32_e32 v10, v20, v10
	v_lshrrev_b32_e32 v26, 16, v10
.LBB621_72:
	s_or_b64 exec, exec, s[6:7]
	v_mov_b32_e32 v11, 0
	v_mov_b32_e32 v20, 0
	s_and_saveexec_b64 s[4:5], s[0:1]
	s_cbranch_execz .LBB621_74
; %bb.73:
	v_lshlrev_b32_e32 v20, 8, v21
	v_mov_b32_e32 v21, 0
	v_lshl_add_u64 v[28:29], v[14:15], 0, v[20:21]
	global_load_ushort v10, v[28:29], off
	v_lshl_add_u64 v[20:21], v[16:17], 0, v[20:21]
	s_waitcnt vmcnt(0)
	v_lshlrev_b32_e32 v10, 16, v10
	v_sub_f32_e32 v10, v10, v12
	global_store_short_d16_hi v[20:21], v10, off
	v_mul_f32_e32 v10, v25, v10
	v_lshrrev_b32_e32 v20, 16, v10
.LBB621_74:
	s_or_b64 exec, exec, s[4:5]
	v_or_b32_e32 v10, 0x9800, v46
	s_and_saveexec_b64 s[0:1], s[2:3]
	s_cbranch_execz .LBB621_76
; %bb.75:
	v_lshlrev_b32_e32 v22, 8, v22
	v_mov_b32_e32 v23, 0
	v_lshl_add_u64 v[14:15], v[14:15], 0, v[22:23]
	global_load_ushort v11, v[14:15], off
	v_lshl_add_u64 v[14:15], v[16:17], 0, v[22:23]
	s_waitcnt vmcnt(0)
	v_lshlrev_b32_e32 v11, 16, v11
	v_sub_f32_e32 v11, v11, v13
	global_store_short_d16_hi v[14:15], v11, off
	v_mul_f32_e32 v11, v19, v11
	v_lshrrev_b32_e32 v11, 16, v11
.LBB621_76:
	s_or_b64 exec, exec, s[0:1]
	s_mov_b32 s0, 0x5040100
	v_perm_b32 v13, v11, v20, s0
	v_lshlrev_b32_e32 v11, 1, v44
	v_perm_b32 v12, v26, v27, s0
	v_lshl_or_b32 v11, v18, 5, v11
	s_movk_i32 s0, 0xff
	ds_write_b64 v11, v[12:13] offset:38912
	v_and_b32_e32 v11, 7, v0
	v_and_b32_e32 v12, 8, v0
	v_cmp_lt_u32_e32 vcc, s0, v0
	v_lshrrev_b32_e32 v0, 1, v0
	v_lshlrev_b32_e32 v22, 3, v11
	v_lshlrev_b32_e32 v23, 7, v11
	v_cndmask_b32_e64 v11, 0, 1, vcc
	v_lshlrev_b32_e32 v25, 3, v48
	v_and_b32_e32 v0, 24, v0
	v_lshlrev_b32_e32 v24, 13, v11
	v_xor_b32_e32 v11, v25, v0
	v_or_b32_e32 v13, 0x440, v11
	v_cmp_eq_u32_e32 vcc, 0, v12
	s_waitcnt lgkmcnt(0)
	s_barrier
	v_cndmask_b32_e32 v11, v13, v11, vcc
	v_or_b32_e32 v11, v11, v45
	v_xad_u32 v26, v11, v22, v23
	v_add_u32_e32 v11, v24, v26
	ds_read_b64 v[20:21], v11
	ds_read2st64_b64 v[12:15], v10 offset1:1
	ds_read2st64_b64 v[16:19], v10 offset0:2 offset1:3
	v_or_b32_e32 v10, 32, v0
	v_xor_b32_e32 v10, v25, v10
	v_or_b32_e32 v11, 0x440, v10
	v_cndmask_b32_e32 v10, v11, v10, vcc
	v_or_b32_e32 v10, v10, v45
	v_xad_u32 v27, v10, v22, v23
	v_add_u32_e32 v10, v24, v27
	ds_read_b64 v[10:11], v10
	s_waitcnt lgkmcnt(2)
	v_mfma_f32_16x16x16_bf16 a[0:3], v[20:21], v[12:13], 0
	s_waitcnt lgkmcnt(0)
	v_mfma_f32_16x16x16_bf16 a[0:3], v[10:11], v[14:15], a[0:3]
	v_or_b32_e32 v10, 64, v0
	v_xor_b32_e32 v10, v25, v10
	v_xor_b32_e32 v11, 0x440, v10
	v_cndmask_b32_e32 v10, v11, v10, vcc
	v_or_b32_e32 v10, v10, v45
	v_xad_u32 v28, v10, v22, v23
	v_add_u32_e32 v10, v24, v28
	ds_read_b64 v[10:11], v10
	v_or_b32_e32 v0, 0x60, v0
	v_xor_b32_e32 v0, v25, v0
	v_xor_b32_e32 v20, 0x440, v0
	v_cndmask_b32_e32 v0, v20, v0, vcc
	v_or_b32_e32 v0, v0, v45
	v_xad_u32 v0, v0, v22, v23
	v_add_u32_e32 v20, v24, v0
	ds_read_b64 v[20:21], v20
	s_waitcnt lgkmcnt(1)
	v_mfma_f32_16x16x16_bf16 a[0:3], v[10:11], v[16:17], a[0:3]
	ds_read_b64 v[10:11], v26 offset:8192
	ds_read_b64 v[22:23], v27 offset:8192
	v_mov_b32_e32 v24, 0x3fb8aa3b
	s_waitcnt lgkmcnt(2)
	v_mfma_f32_16x16x16_bf16 a[0:3], v[20:21], v[18:19], a[0:3]
	v_mul_f32_e32 v20, s12, v24
	v_exp_f32_e32 v24, v20
	ds_read_b64 v[20:21], v28 offset:8192
	s_waitcnt lgkmcnt(2)
	v_mfma_f32_16x16x16_bf16 a[4:7], v[10:11], v[12:13], 0
	s_nop 1
	v_accvgpr_read_b32 v10, a0
	v_fma_f32 v12, v2, v24, v10
	ds_read_b64 v[10:11], v0 offset:8192
	s_waitcnt lgkmcnt(2)
	v_mfma_f32_16x16x16_bf16 a[4:7], v[22:23], v[14:15], a[4:7]
	v_accvgpr_read_b32 v0, a1
	v_fma_f32 v13, v3, v24, v0
	v_accvgpr_read_b32 v0, a2
	s_waitcnt lgkmcnt(1)
	v_mfma_f32_16x16x16_bf16 a[4:7], v[20:21], v[16:17], a[4:7]
	v_accvgpr_read_b32 v15, a3
	v_fma_f32 v14, v4, v24, v0
	v_fmac_f32_e32 v15, v5, v24
	s_waitcnt lgkmcnt(0)
	v_mfma_f32_16x16x16_bf16 a[0:3], v[10:11], v[18:19], a[4:7]
	v_mov_b32_e32 v10, v34
	s_nop 5
	v_accvgpr_read_b32 v0, a0
	v_fma_f32 v16, v6, v24, v0
	v_accvgpr_read_b32 v0, a1
	v_fma_f32 v17, v7, v24, v0
	v_accvgpr_read_b32 v0, a2
	v_accvgpr_read_b32 v19, a3
	v_fma_f32 v18, v8, v24, v0
	v_fmac_f32_e32 v19, v9, v24
	v_mov_b64_e32 v[2:3], v[12:13]
	v_mov_b64_e32 v[4:5], v[14:15]
	;; [unrolled: 1-line block ×4, first 2 shown]
.LBB621_77:
	s_lshl_b64 s[0:1], s[28:29], 15
	s_waitcnt lgkmcnt(0)
	s_add_u32 s0, s34, s0
	v_lshlrev_b32_e32 v10, 7, v10
	s_addc_u32 s1, s35, s1
	v_ashrrev_i32_e32 v11, 31, v10
	v_lshl_add_u64 v[10:11], v[10:11], 1, s[0:1]
	v_lshlrev_b32_e32 v0, 1, v1
	v_mov_b32_e32 v1, 0
	s_mov_b32 s0, 0x7060302
	v_lshl_add_u64 v[0:1], v[10:11], 0, v[0:1]
	v_perm_b32 v5, v5, v4, s0
	v_perm_b32 v4, v3, v2, s0
	;; [unrolled: 1-line block ×4, first 2 shown]
	global_store_dwordx2 v[0:1], v[4:5], off
	global_store_dwordx2 v[0:1], v[2:3], off offset:128
	s_endpgm
	.section	.rodata,"a",@progbits
	.p2align	6, 0x0
	.amdhsa_kernel _ZN12_GLOBAL__N_139chunk_gated_delta_rule_fwd_h_hip_kernelILi16ELb0ELb1ELb1ELb0ELb0ELb0ELb1ELb1EEEvPK12hip_bfloat16S3_S3_PKfS5_PKvPS1_S8_PvPKiSB_iiiiilll
		.amdhsa_group_segment_fixed_size 40960
		.amdhsa_private_segment_fixed_size 0
		.amdhsa_kernarg_size 136
		.amdhsa_user_sgpr_count 2
		.amdhsa_user_sgpr_dispatch_ptr 0
		.amdhsa_user_sgpr_queue_ptr 0
		.amdhsa_user_sgpr_kernarg_segment_ptr 1
		.amdhsa_user_sgpr_dispatch_id 0
		.amdhsa_user_sgpr_kernarg_preload_length 0
		.amdhsa_user_sgpr_kernarg_preload_offset 0
		.amdhsa_user_sgpr_private_segment_size 0
		.amdhsa_uses_dynamic_stack 0
		.amdhsa_enable_private_segment 0
		.amdhsa_system_sgpr_workgroup_id_x 1
		.amdhsa_system_sgpr_workgroup_id_y 1
		.amdhsa_system_sgpr_workgroup_id_z 0
		.amdhsa_system_sgpr_workgroup_info 0
		.amdhsa_system_vgpr_workitem_id 0
		.amdhsa_next_free_vgpr 116
		.amdhsa_next_free_sgpr 68
		.amdhsa_accum_offset 108
		.amdhsa_reserve_vcc 1
		.amdhsa_float_round_mode_32 0
		.amdhsa_float_round_mode_16_64 0
		.amdhsa_float_denorm_mode_32 3
		.amdhsa_float_denorm_mode_16_64 3
		.amdhsa_dx10_clamp 1
		.amdhsa_ieee_mode 1
		.amdhsa_fp16_overflow 0
		.amdhsa_tg_split 0
		.amdhsa_exception_fp_ieee_invalid_op 0
		.amdhsa_exception_fp_denorm_src 0
		.amdhsa_exception_fp_ieee_div_zero 0
		.amdhsa_exception_fp_ieee_overflow 0
		.amdhsa_exception_fp_ieee_underflow 0
		.amdhsa_exception_fp_ieee_inexact 0
		.amdhsa_exception_int_div_zero 0
	.end_amdhsa_kernel
	.section	.text._ZN12_GLOBAL__N_139chunk_gated_delta_rule_fwd_h_hip_kernelILi16ELb0ELb1ELb1ELb0ELb0ELb0ELb1ELb1EEEvPK12hip_bfloat16S3_S3_PKfS5_PKvPS1_S8_PvPKiSB_iiiiilll,"axG",@progbits,_ZN12_GLOBAL__N_139chunk_gated_delta_rule_fwd_h_hip_kernelILi16ELb0ELb1ELb1ELb0ELb0ELb0ELb1ELb1EEEvPK12hip_bfloat16S3_S3_PKfS5_PKvPS1_S8_PvPKiSB_iiiiilll,comdat
.Lfunc_end621:
	.size	_ZN12_GLOBAL__N_139chunk_gated_delta_rule_fwd_h_hip_kernelILi16ELb0ELb1ELb1ELb0ELb0ELb0ELb1ELb1EEEvPK12hip_bfloat16S3_S3_PKfS5_PKvPS1_S8_PvPKiSB_iiiiilll, .Lfunc_end621-_ZN12_GLOBAL__N_139chunk_gated_delta_rule_fwd_h_hip_kernelILi16ELb0ELb1ELb1ELb0ELb0ELb0ELb1ELb1EEEvPK12hip_bfloat16S3_S3_PKfS5_PKvPS1_S8_PvPKiSB_iiiiilll
                                        ; -- End function
	.section	.AMDGPU.csdata,"",@progbits
; Kernel info:
; codeLenInByte = 8056
; NumSgprs: 74
; NumVgprs: 108
; NumAgprs: 8
; TotalNumVgprs: 116
; ScratchSize: 0
; MemoryBound: 0
; FloatMode: 240
; IeeeMode: 1
; LDSByteSize: 40960 bytes/workgroup (compile time only)
; SGPRBlocks: 9
; VGPRBlocks: 14
; NumSGPRsForWavesPerEU: 74
; NumVGPRsForWavesPerEU: 116
; AccumOffset: 108
; Occupancy: 1
; WaveLimiterHint : 1
; COMPUTE_PGM_RSRC2:SCRATCH_EN: 0
; COMPUTE_PGM_RSRC2:USER_SGPR: 2
; COMPUTE_PGM_RSRC2:TRAP_HANDLER: 0
; COMPUTE_PGM_RSRC2:TGID_X_EN: 1
; COMPUTE_PGM_RSRC2:TGID_Y_EN: 1
; COMPUTE_PGM_RSRC2:TGID_Z_EN: 0
; COMPUTE_PGM_RSRC2:TIDIG_COMP_CNT: 0
; COMPUTE_PGM_RSRC3_GFX90A:ACCUM_OFFSET: 26
; COMPUTE_PGM_RSRC3_GFX90A:TG_SPLIT: 0
	.section	.text._ZN12_GLOBAL__N_139chunk_gated_delta_rule_fwd_h_hip_kernelILi16ELb0ELb1ELb0ELb0ELb0ELb0ELb1ELb1EEEvPK12hip_bfloat16S3_S3_PKfS5_PKvPS1_S8_PvPKiSB_iiiiilll,"axG",@progbits,_ZN12_GLOBAL__N_139chunk_gated_delta_rule_fwd_h_hip_kernelILi16ELb0ELb1ELb0ELb0ELb0ELb0ELb1ELb1EEEvPK12hip_bfloat16S3_S3_PKfS5_PKvPS1_S8_PvPKiSB_iiiiilll,comdat
	.globl	_ZN12_GLOBAL__N_139chunk_gated_delta_rule_fwd_h_hip_kernelILi16ELb0ELb1ELb0ELb0ELb0ELb0ELb1ELb1EEEvPK12hip_bfloat16S3_S3_PKfS5_PKvPS1_S8_PvPKiSB_iiiiilll ; -- Begin function _ZN12_GLOBAL__N_139chunk_gated_delta_rule_fwd_h_hip_kernelILi16ELb0ELb1ELb0ELb0ELb0ELb0ELb1ELb1EEEvPK12hip_bfloat16S3_S3_PKfS5_PKvPS1_S8_PvPKiSB_iiiiilll
	.p2align	8
	.type	_ZN12_GLOBAL__N_139chunk_gated_delta_rule_fwd_h_hip_kernelILi16ELb0ELb1ELb0ELb0ELb0ELb0ELb1ELb1EEEvPK12hip_bfloat16S3_S3_PKfS5_PKvPS1_S8_PvPKiSB_iiiiilll,@function
_ZN12_GLOBAL__N_139chunk_gated_delta_rule_fwd_h_hip_kernelILi16ELb0ELb1ELb0ELb0ELb0ELb0ELb1ELb1EEEvPK12hip_bfloat16S3_S3_PKfS5_PKvPS1_S8_PvPKiSB_iiiiilll: ; @_ZN12_GLOBAL__N_139chunk_gated_delta_rule_fwd_h_hip_kernelILi16ELb0ELb1ELb0ELb0ELb0ELb0ELb1ELb1EEEvPK12hip_bfloat16S3_S3_PKfS5_PKvPS1_S8_PvPKiSB_iiiiilll
; %bb.0:
	s_load_dwordx4 s[12:15], s[0:1], 0x5c
	s_load_dwordx4 s[16:19], s[0:1], 0x70
	s_abs_i32 s22, s3
	s_ashr_i32 s21, s3, 31
	s_load_dwordx8 s[4:11], s[0:1], 0x0
	s_waitcnt lgkmcnt(0)
	s_abs_i32 s20, s13
	v_cvt_f32_u32_e32 v1, s20
	s_sub_i32 s24, 0, s20
	s_ashr_i32 s23, s13, 31
	s_xor_b32 s21, s21, s23
	v_rcp_iflag_f32_e32 v1, v1
	s_load_dwordx2 s[28:29], s[0:1], 0x40
	s_load_dwordx2 s[36:37], s[0:1], 0x30
	;; [unrolled: 1-line block ×3, first 2 shown]
	v_lshrrev_b32_e32 v46, 6, v0
	v_bfe_u32 v49, v0, 4, 2
	v_mul_f32_e32 v1, 0x4f7ffffe, v1
	v_cvt_u32_f32_e32 v1, v1
	v_lshlrev_b32_e32 v47, 4, v46
	v_lshlrev_b32_e32 v10, 2, v49
	v_and_b32_e32 v48, 63, v0
	v_readfirstlane_b32 s25, v1
	s_mul_i32 s24, s24, s25
	s_mul_hi_u32 s24, s25, s24
	s_add_i32 s25, s25, s24
	s_mul_hi_u32 s24, s22, s25
	s_mul_i32 s25, s24, s20
	s_sub_i32 s22, s22, s25
	s_add_i32 s26, s24, 1
	s_sub_i32 s25, s22, s20
	s_cmp_ge_u32 s22, s20
	s_cselect_b32 s24, s26, s24
	s_cselect_b32 s22, s25, s22
	s_add_i32 s25, s24, 1
	s_cmp_ge_u32 s22, s20
	s_cselect_b32 s22, s25, s24
	s_xor_b32 s22, s22, s21
	s_sub_i32 s47, s22, s21
	s_abs_i32 s21, s14
	v_cvt_f32_u32_e32 v1, s21
	s_add_i32 s24, s12, 63
	s_mul_i32 s45, s47, s13
	s_sub_i32 s33, s3, s45
	v_rcp_iflag_f32_e32 v1, v1
	s_ashr_i32 s3, s24, 31
	s_ashr_i32 s46, s12, 31
	s_lshr_b32 s3, s3, 26
	v_mul_f32_e32 v1, 0x4f7ffffe, v1
	v_cvt_u32_f32_e32 v1, v1
	s_lshr_b32 s22, s46, 26
	s_add_i32 s24, s24, s3
	s_add_i32 s22, s12, s22
	s_ashr_i32 s49, s14, 31
	s_ashr_i32 s3, s24, 6
	s_ashr_i32 s48, s22, 6
	s_xor_b32 s22, s23, s49
	s_sub_i32 s23, 0, s21
	v_readfirstlane_b32 s24, v1
	s_mul_i32 s23, s23, s24
	s_mul_hi_u32 s23, s24, s23
	s_add_i32 s24, s24, s23
	s_mul_hi_u32 s23, s20, s24
	s_mul_i32 s24, s23, s21
	s_sub_i32 s20, s20, s24
	s_add_i32 s24, s23, 1
	s_sub_i32 s25, s20, s21
	s_cmp_ge_u32 s20, s21
	s_cselect_b32 s23, s24, s23
	s_cselect_b32 s20, s25, s20
	s_add_i32 s24, s23, 1
	s_cmp_ge_u32 s20, s21
	s_cselect_b32 s20, s24, s23
	s_xor_b32 s20, s20, s22
	s_sub_i32 s20, s20, s22
	s_abs_i32 s21, s20
	v_cvt_f32_u32_e32 v1, s21
	s_xor_b32 s0, s33, s20
	s_sub_i32 s20, 0, s21
	s_abs_i32 s1, s33
	v_rcp_iflag_f32_e32 v1, v1
	s_ashr_i32 s0, s0, 31
	v_mov_b32_e32 v9, 0
	s_mul_i32 s50, s47, s3
	v_mul_f32_e32 v1, 0x4f7ffffe, v1
	v_cvt_u32_f32_e32 v1, v1
	v_and_b32_e32 v50, 15, v0
	s_mul_hi_i32 s51, s47, s13
	v_lshrrev_b32_e32 v52, 3, v48
	v_readfirstlane_b32 s22, v1
	s_mul_i32 s20, s20, s22
	s_mul_hi_u32 s20, s22, s20
	s_add_i32 s22, s22, s20
	s_mul_hi_u32 s20, s1, s22
	s_mul_i32 s22, s20, s21
	s_sub_i32 s1, s1, s22
	s_add_i32 s22, s20, 1
	s_sub_i32 s23, s1, s21
	s_cmp_ge_u32 s1, s21
	s_cselect_b32 s20, s22, s20
	s_cselect_b32 s1, s23, s1
	s_add_i32 s22, s20, 1
	s_cmp_ge_u32 s1, s21
	s_cselect_b32 s1, s22, s20
	s_xor_b32 s1, s1, s0
	s_sub_i32 s52, s1, s0
	v_or_b32_e32 v1, v10, v47
	s_lshl_b32 s2, s2, 4
	v_or_b32_e32 v53, 64, v1
	s_cmp_lt_i32 s12, 64
	v_lshlrev_b32_e32 v51, 3, v0
	s_mul_i32 s17, s47, s17
	s_mul_hi_u32 s44, s47, s16
	s_mul_i32 s34, s47, s16
	v_mov_b32_e32 v8, v9
	v_mov_b32_e32 v7, v9
	;; [unrolled: 1-line block ×7, first 2 shown]
	s_cbranch_scc1 .LBB622_18
; %bb.1:
	s_ashr_i32 s3, s47, 31
	s_ashr_i32 s54, s33, 31
	s_add_u32 s0, s45, s33
	s_addc_u32 s1, s51, s54
	s_mul_i32 s1, s12, s1
	s_mul_hi_u32 s20, s12, s0
	s_add_i32 s39, s20, s1
	s_mul_i32 s38, s12, s0
	s_lshl_b64 s[0:1], s[38:39], 8
	v_and_b32_e32 v55, 56, v51
	s_add_u32 s20, s6, s0
	v_lshl_or_b32 v54, v46, 3, v52
	v_lshlrev_b32_e32 v3, 1, v55
	s_addc_u32 s0, s7, s1
	v_lshl_or_b32 v56, v54, 8, v3
	s_and_b32 s21, s0, 0xffff
	s_mov_b32 s23, 0x20000
	s_movk_i32 s22, 0x4000
	s_movk_i32 s0, 0x80
	v_or_b32_e32 v57, 0x2000, v56
	buffer_load_dwordx4 v[4:7], v56, s[20:23], 0 offen
	buffer_load_dwordx4 v[12:15], v56, s[20:23], s0 offen
	;; [unrolled: 1-line block ×4, first 2 shown]
	v_lshlrev_b32_e32 v2, 3, v54
	v_and_or_b32 v9, v0, 7, v2
	v_and_b32_e32 v2, 0x78, v2
	v_lshlrev_b32_e32 v9, 4, v9
	v_xor_b32_e32 v58, v9, v2
	v_mul_lo_u32 v8, v54, s15
	v_or_b32_e32 v59, 0x1000, v58
	v_xor_b32_e32 v2, 8, v58
	s_cmpk_eq_i32 s15, 0x80
	s_mov_b32 s53, s14
	v_xor_b32_e32 v9, 8, v59
	s_cselect_b64 s[0:1], -1, 0
	s_cmpk_lg_i32 s15, 0x80
	s_waitcnt vmcnt(3)
	ds_write_b64 v58, v[4:5] offset:16384
	ds_write_b64 v2, v[6:7] offset:16384
	s_waitcnt vmcnt(2)
	ds_write_b64 v58, v[12:13] offset:24576
	ds_write_b64 v2, v[14:15] offset:24576
	;; [unrolled: 3-line block ×4, first 2 shown]
	v_lshl_add_u32 v2, v8, 1, v55
	s_cbranch_scc0 .LBB622_3
; %bb.2:
	v_lshlrev_b32_e32 v6, 1, v2
	v_add_lshl_u32 v5, v2, s15, 1
	s_lshl_b32 s22, s15, 7
	v_lshl_or_b32 v4, v54, 9, v3
	s_cbranch_execz .LBB622_4
	s_branch .LBB622_5
.LBB622_3:
                                        ; implicit-def: $vgpr5
                                        ; implicit-def: $vgpr6
                                        ; implicit-def: $sgpr22
	v_lshl_or_b32 v4, v54, 9, v3
.LBB622_4:
	v_or_b32_e32 v5, 0x100, v4
	s_movk_i32 s22, 0x4000
	v_mov_b32_e32 v6, v4
.LBB622_5:
	s_mul_hi_u32 s20, s14, s12
	s_mul_i32 s21, s49, s12
	s_add_i32 s20, s20, s21
	s_mul_i32 s21, s14, s12
	s_mul_i32 s23, s21, s3
	s_mul_hi_u32 s24, s21, s47
	s_add_i32 s23, s24, s23
	s_mul_i32 s20, s20, s47
	s_add_i32 s23, s23, s20
	s_mul_i32 s21, s21, s47
	s_ashr_i32 s55, s52, 31
	s_add_u32 s20, s21, s52
	s_addc_u32 s21, s23, s55
	s_lshl_b64 s[20:21], s[20:21], 8
	s_add_u32 s20, s4, s20
	s_addc_u32 s21, s5, s21
	s_and_b32 s21, s21, 0xffff
	s_mov_b32 s23, 0x20000
	s_movk_i32 s56, 0x80
	buffer_load_dwordx4 v[12:15], v6, s[20:23], 0 offen
	buffer_load_dwordx4 v[16:19], v6, s[20:23], s56 offen
	;; [unrolled: 1-line block ×4, first 2 shown]
	v_and_b32_e32 v3, 6, v0
	s_mul_i32 s20, s3, s12
	s_mul_hi_u32 s21, s47, s12
	v_lshlrev_b32_e32 v6, 2, v50
	v_lshlrev_b32_e32 v7, 3, v50
	v_xor_b32_e32 v9, v54, v3
	v_and_b32_e32 v5, 1, v0
	s_mul_i32 s3, s3, s16
	v_lshl_or_b32 v7, v1, 5, v7
	v_xor_b32_e32 v11, v1, v6
	v_lshlrev_b32_e32 v9, 2, v9
	s_add_i32 s61, s21, s20
	s_add_i32 s20, s44, s17
	v_or_b32_e32 v60, 0x9000, v7
	v_or_b32_e32 v61, 0x9800, v7
	v_lshlrev_b32_e32 v7, 1, v11
	v_xor_b32_e32 v11, 0x440, v9
	v_cmp_eq_u32_e32 vcc, 0, v5
	s_add_i32 s35, s20, s3
	s_mul_i32 s3, s33, s19
	s_mul_hi_u32 s20, s33, s18
	v_cndmask_b32_e32 v5, v11, v9, vcc
	s_add_i32 s3, s20, s3
	s_mul_i32 s20, s54, s18
	s_mov_b32 s58, 0x1000504
	v_lshlrev_b32_e32 v8, 8, v50
	s_mov_b32 s22, 0x8000
	v_xor_b32_e32 v6, v53, v6
	v_lshl_or_b32 v3, v3, 10, v5
	s_add_i32 s21, s3, s20
	s_lshl_b64 s[24:25], s[34:35], 2
	s_mov_b32 s59, 0x3020706
	v_lshlrev_b32_e32 v6, 1, v6
	v_or3_b32 v62, v7, v8, s22
	v_xor_b32_e32 v5, 8, v3
	v_xor_b32_e32 v7, 24, v3
	;; [unrolled: 1-line block ×4, first 2 shown]
	s_mul_i32 s20, s33, s18
	s_add_u32 s3, s10, s24
	v_or3_b32 v63, v6, v8, s22
	v_xor_b32_e32 v6, 16, v3
	v_xor_b32_e32 v8, 32, v3
	;; [unrolled: 1-line block ×3, first 2 shown]
	v_add_u32_e32 v5, 0x80, v5
	v_add_u32_e32 v7, 0x80, v7
	;; [unrolled: 1-line block ×4, first 2 shown]
	s_addc_u32 s24, s11, s25
	s_lshl_b64 s[20:21], s[20:21], 2
	s_add_u32 s40, s3, s20
	s_movk_i32 s3, 0xf8
	s_addc_u32 s41, s24, s21
	s_lshl_b32 s26, s15, 7
	s_mov_b32 s57, 0
	s_mul_i32 s60, s47, s12
	v_add_u32_e32 v78, v47, v10
	v_mov_b32_e32 v79, 0x3fb8aa3b
	s_mov_b32 s62, 0
	s_waitcnt vmcnt(1)
	v_perm_b32 v29, v12, v20, s58
	s_waitcnt vmcnt(0)
	v_perm_b32 v30, v16, v24, s58
	v_perm_b32 v12, v12, v20, s59
	;; [unrolled: 1-line block ×15, first 2 shown]
	ds_write2st64_b32 v3, v29, v30 offset1:32
	ds_write2st64_b32 v5, v12, v16 offset1:32
	ds_write2st64_b32 v6, v20, v24 offset0:1 offset1:33
	ds_write2st64_b32 v7, v13, v17 offset0:1 offset1:33
	;; [unrolled: 1-line block ×6, first 2 shown]
	v_or_b32_e32 v3, v47, v50
	v_lshlrev_b32_e32 v3, 3, v3
	v_lshrrev_b32_e32 v7, 5, v48
	v_and_or_b32 v7, v3, s3, v7
	v_lshlrev_b32_e32 v7, 4, v7
	v_lshlrev_b32_e32 v5, 11, v46
	v_and_b32_e32 v3, 0x78, v3
	v_or_b32_e32 v12, 32, v7
	v_and_b32_e32 v6, 0x1000, v5
	v_lshrrev_b32_e32 v11, 1, v0
	v_xor_b32_e32 v12, v12, v3
	v_and_b32_e32 v9, 8, v11
	v_or_b32_e32 v12, v12, v6
	v_xor_b32_e32 v8, v7, v3
	v_xor_b32_e32 v66, v12, v9
	v_or_b32_e32 v12, 64, v7
	v_or_b32_e32 v7, 0x60, v7
	;; [unrolled: 1-line block ×3, first 2 shown]
	v_xor_b32_e32 v12, v12, v3
	v_xor_b32_e32 v3, v7, v3
	;; [unrolled: 1-line block ×3, first 2 shown]
	v_and_b32_e32 v8, 0x78, v51
	v_or_b32_e32 v12, v12, v6
	v_or_b32_e32 v3, v3, v6
	v_lshl_or_b32 v8, v49, 7, v8
	v_xor_b32_e32 v67, v12, v9
	v_xor_b32_e32 v68, v3, v9
	v_lshlrev_b32_e32 v12, 1, v2
	v_add_lshl_u32 v13, v2, s15, 1
	v_lshrrev_b32_e32 v2, 4, v0
	v_lshlrev_b32_e32 v3, 1, v50
	v_or_b32_e32 v65, 0x9000, v8
	v_or_b32_e32 v69, 0x9800, v8
	s_ashr_i32 s3, s2, 31
	v_or_b32_e32 v8, 1, v3
	v_xor_b32_e32 v3, v2, v3
	s_lshl_b64 s[20:21], s[2:3], 8
	v_xor_b32_e32 v8, v8, v2
	v_lshlrev_b32_e32 v3, 3, v3
	v_lshlrev_b32_e32 v2, 8, v2
	s_waitcnt lgkmcnt(0)
	s_add_u32 s20, s36, s20
	v_or3_b32 v70, v3, v2, s22
	v_lshlrev_b32_e32 v3, 3, v8
	s_addc_u32 s21, s37, s21
	v_or3_b32 v71, v3, v2, s22
	v_mov_b32_e32 v3, 0
	v_lshl_add_u64 v[8:9], s[20:21], 0, v[2:3]
	v_lshlrev_b32_e32 v2, 4, v50
	s_movk_i32 s3, 0xff
	v_lshlrev_b32_e32 v16, 3, v46
	v_and_b32_e32 v11, 24, v11
	v_lshl_add_u64 v[42:43], v[8:9], 0, v[2:3]
	v_and_b32_e32 v8, 8, v0
	v_cmp_lt_u32_e32 vcc, s3, v0
	v_xor_b32_e32 v17, v16, v11
	v_or_b32_e32 v18, 0x440, v17
	v_cndmask_b32_e64 v15, 0, 1, vcc
	v_cmp_eq_u32_e32 vcc, 0, v8
	v_and_b32_e32 v2, 7, v0
	v_lshlrev_b32_e32 v9, 3, v2
	v_cndmask_b32_e32 v8, v18, v17, vcc
	v_lshlrev_b32_e32 v2, 7, v2
	v_or_b32_e32 v8, v8, v5
	v_xad_u32 v72, v8, v9, v2
	v_or_b32_e32 v8, 32, v11
	v_xor_b32_e32 v8, v16, v8
	v_or_b32_e32 v17, 0x440, v8
	v_cndmask_b32_e32 v8, v17, v8, vcc
	v_or_b32_e32 v8, v8, v5
	v_xad_u32 v73, v8, v9, v2
	v_or_b32_e32 v8, 64, v11
	v_xor_b32_e32 v8, v16, v8
	v_xor_b32_e32 v17, 0x440, v8
	v_cndmask_b32_e32 v8, v17, v8, vcc
	v_or_b32_e32 v8, v8, v5
	v_xad_u32 v74, v8, v9, v2
	v_or_b32_e32 v8, 0x60, v11
	v_xor_b32_e32 v8, v16, v8
	v_xor_b32_e32 v11, 0x440, v8
	v_or_b32_e32 v6, s2, v50
	v_cndmask_b32_e32 v8, v11, v8, vcc
	v_ashrrev_i32_e32 v7, 31, v6
	v_or_b32_e32 v5, v8, v5
	v_lshl_add_u64 v[6:7], v[6:7], 1, s[8:9]
	v_or_b32_e32 v14, 0x100, v4
	v_lshlrev_b32_e32 v15, 13, v15
	v_xad_u32 v75, v5, v9, v2
	v_lshlrev_b32_e32 v2, 8, v1
	v_cndmask_b32_e64 v76, v12, v4, s[0:1]
	v_cndmask_b32_e64 v77, v13, v14, s[0:1]
	v_lshl_add_u64 v[44:45], v[6:7], 0, v[2:3]
	s_mov_b32 s3, 0x7060302
	s_movk_i32 s22, 0x4000
	v_add_u32_e32 v80, v15, v72
	v_add_u32_e32 v81, v15, v73
	;; [unrolled: 1-line block ×4, first 2 shown]
	v_mov_b32_e32 v2, v3
	v_mov_b32_e32 v4, v3
	v_mov_b32_e32 v85, v3
	v_mov_b32_e32 v6, v3
	v_mov_b32_e32 v7, v3
	v_mov_b32_e32 v8, v3
	v_mov_b32_e32 v84, v3
	s_barrier
.LBB622_6:                              ; =>This Inner Loop Header: Depth=1
	s_add_i32 s35, s62, 1
	s_cmp_lt_i32 s35, s48
	s_mov_b64 s[24:25], 0
	s_cselect_b64 s[42:43], -1, 0
	s_cmp_ge_i32 s35, s48
	s_mov_b64 s[20:21], 0
	s_cbranch_scc1 .LBB622_8
; %bb.7:                                ;   in Loop: Header=BB622_6 Depth=1
	s_add_i32 s0, s57, 64
	s_add_u32 s0, s38, s0
	s_addc_u32 s1, s39, 0
	s_lshl_b64 s[0:1], s[0:1], 8
	s_add_u32 s20, s6, s0
	s_addc_u32 s21, s7, s1
.LBB622_8:                              ;   in Loop: Header=BB622_6 Depth=1
	v_cndmask_b32_e64 v5, 0, 1, s[42:43]
	v_cmp_ne_u32_e64 s[0:1], 1, v5
	s_andn2_b64 vcc, exec, s[42:43]
	s_cbranch_vccnz .LBB622_10
; %bb.9:                                ;   in Loop: Header=BB622_6 Depth=1
	s_add_i32 s24, s57, 64
	s_add_u32 s24, s60, s24
	s_addc_u32 s25, s61, 0
	s_mul_i32 s27, s24, s49
	s_mul_hi_u32 s42, s24, s53
	s_add_i32 s27, s42, s27
	s_mul_i32 s25, s25, s53
	s_add_i32 s27, s27, s25
	s_mul_i32 s24, s24, s53
	s_add_u32 s24, s24, s52
	s_addc_u32 s25, s27, s55
	s_lshl_b64 s[24:25], s[24:25], 8
	s_add_u32 s24, s4, s24
	s_addc_u32 s25, s5, s25
.LBB622_10:                             ;   in Loop: Header=BB622_6 Depth=1
	v_perm_b32 v11, v85, v4, s3
	v_perm_b32 v10, v3, v2, s3
	;; [unrolled: 1-line block ×4, first 2 shown]
	ds_write_b64 v60, v[10:11]
	ds_write_b64 v61, v[12:13]
	;; [unrolled: 1-line block ×4, first 2 shown]
	s_waitcnt lgkmcnt(0)
	s_barrier
	ds_read_b64 v[18:19], v64 offset:16384
	ds_read_b64 v[20:21], v66 offset:16384
	ds_read2st64_b64 v[10:13], v65 offset1:1
	ds_read2st64_b64 v[14:17], v65 offset0:2 offset1:3
	ds_read_b64 v[22:23], v67 offset:16384
	s_waitcnt lgkmcnt(2)
	v_mfma_f32_16x16x16_bf16 a[0:3], v[18:19], v[10:11], 0
	ds_read_b64 v[10:11], v68 offset:16384
	s_add_i32 s27, s57, 63
	s_mul_i32 s42, s27, s31
	v_mfma_f32_16x16x16_bf16 a[0:3], v[20:21], v[12:13], a[0:3]
	s_mul_hi_u32 s43, s27, s30
	s_add_i32 s43, s43, s42
	s_mul_i32 s42, s27, s30
	s_waitcnt lgkmcnt(1)
	v_mfma_f32_16x16x16_bf16 a[0:3], v[22:23], v[14:15], a[0:3]
	s_lshl_b64 s[42:43], s[42:43], 2
	s_add_u32 s42, s40, s42
	s_addc_u32 s43, s41, s43
	s_waitcnt lgkmcnt(0)
	v_mfma_f32_16x16x16_bf16 a[0:3], v[10:11], v[16:17], a[0:3]
	s_and_b64 vcc, exec, s[0:1]
	v_mov_b32_e32 v86, 0
	v_mov_b32_e32 v9, 0
	;; [unrolled: 1-line block ×19, first 2 shown]
	s_cbranch_vccnz .LBB622_12
; %bb.11:                               ;   in Loop: Header=BB622_6 Depth=1
	s_and_b32 s21, s21, 0xffff
	buffer_load_dwordx4 v[22:25], v56, s[20:23], 0 offen
	buffer_load_dwordx4 v[18:21], v56, s[20:23], s56 offen
	;; [unrolled: 1-line block ×4, first 2 shown]
	v_mov_b32_e32 v9, v58
	v_mov_b32_e32 v5, v59
.LBB622_12:                             ;   in Loop: Header=BB622_6 Depth=1
	s_waitcnt vmcnt(3)
	v_add_u32_e32 v32, s57, v78
	s_waitcnt vmcnt(1)
	v_ashrrev_i32_e32 v26, 31, v32
	v_mul_lo_u32 v28, v26, s30
	v_mul_lo_u32 v29, v32, s31
	v_mad_u64_u32 v[26:27], s[20:21], v32, s30, 0
	v_add3_u32 v27, v27, v29, v28
	v_add_u32_e32 v28, 1, v32
	v_ashrrev_i32_e32 v29, 31, v28
	v_mul_lo_u32 v30, v29, s30
	v_mul_lo_u32 v31, v28, s31
	v_mad_u64_u32 v[28:29], s[20:21], v28, s30, 0
	v_add3_u32 v29, v29, v31, v30
	v_add_u32_e32 v30, 2, v32
	v_ashrrev_i32_e32 v31, 31, v30
	v_mul_lo_u32 v33, v31, s30
	v_mul_lo_u32 v34, v30, s31
	v_mad_u64_u32 v[30:31], s[20:21], v30, s30, 0
	v_add_u32_e32 v32, 3, v32
	v_add3_u32 v31, v31, v34, v33
	v_ashrrev_i32_e32 v33, 31, v32
	v_mul_lo_u32 v36, v33, s30
	v_mul_lo_u32 v37, v32, s31
	v_mad_u64_u32 v[32:33], s[20:21], v32, s30, 0
	s_add_u32 s20, s38, s57
	s_addc_u32 s21, s39, 0
	s_lshl_b64 s[20:21], s[20:21], 8
	v_lshl_add_u64 v[26:27], v[26:27], 2, s[40:41]
	v_lshl_add_u64 v[28:29], v[28:29], 2, s[40:41]
	;; [unrolled: 1-line block ×3, first 2 shown]
	v_add3_u32 v33, v33, v37, v36
	v_lshl_add_u64 v[30:31], v[30:31], 2, s[40:41]
	global_load_ushort v92, v[34:35], off
	global_load_ushort v93, v[34:35], off offset:256
	global_load_ushort v94, v[34:35], off offset:512
	global_load_ushort v95, v[34:35], off offset:768
	global_load_dword v96, v[26:27], off
	v_lshl_add_u64 v[26:27], v[32:33], 2, s[40:41]
	global_load_dword v97, v[28:29], off
	global_load_dword v98, v[30:31], off
	;; [unrolled: 1-line block ×3, first 2 shown]
	s_load_dword s20, s[42:43], 0x0
	ds_read2st64_b64 v[32:35], v69 offset1:1
	ds_read2st64_b64 v[36:39], v69 offset0:2 offset1:3
	ds_read_b64 v[30:31], v64 offset:24576
	ds_read_b64 v[40:41], v66 offset:24576
	ds_read_b64 v[88:89], v67 offset:24576
	ds_read_b64 v[90:91], v68 offset:24576
	s_waitcnt lgkmcnt(0)
	v_mfma_f32_16x16x16_bf16 a[0:3], v[30:31], v[32:33], a[0:3]
	v_mov_b32_e32 v87, 0
	v_mov_b32_e32 v26, 0
	v_mov_b32_e32 v27, 0
	v_mfma_f32_16x16x16_bf16 a[0:3], v[40:41], v[34:35], a[0:3]
	v_mov_b32_e32 v28, 0
	v_mov_b32_e32 v29, 0
	v_mov_b32_e32 v30, 0
	;; [unrolled: 4-line block ×4, first 2 shown]
	v_mov_b32_e32 v37, 0
	s_and_b64 vcc, exec, s[0:1]
	s_waitcnt vmcnt(7)
	v_lshlrev_b32_e32 v88, 16, v92
	s_waitcnt vmcnt(6)
	v_lshlrev_b32_e32 v89, 16, v93
	;; [unrolled: 2-line block ×4, first 2 shown]
	s_waitcnt vmcnt(3)
	v_sub_f32_e32 v92, s20, v96
	s_waitcnt vmcnt(2)
	v_sub_f32_e32 v93, s20, v97
	;; [unrolled: 2-line block ×4, first 2 shown]
	v_mul_f32_e32 v92, 0x3fb8aa3b, v92
	v_mul_f32_e32 v93, 0x3fb8aa3b, v93
	;; [unrolled: 1-line block ×4, first 2 shown]
	v_exp_f32_e32 v92, v92
	v_exp_f32_e32 v93, v93
	;; [unrolled: 1-line block ×4, first 2 shown]
	v_accvgpr_read_b32 v41, a1
	v_accvgpr_read_b32 v39, a3
	;; [unrolled: 1-line block ×4, first 2 shown]
	v_pk_add_f32 v[40:41], v[88:89], v[40:41] neg_lo:[0,1] neg_hi:[0,1]
	v_pk_add_f32 v[38:39], v[90:91], v[38:39] neg_lo:[0,1] neg_hi:[0,1]
	v_pk_mul_f32 v[40:41], v[92:93], v[40:41]
	v_pk_mul_f32 v[38:39], v[94:95], v[38:39]
	s_nop 0
	v_perm_b32 v39, v39, v38, s3
	v_perm_b32 v38, v41, v40, s3
	ds_write_b64 v61, v[38:39]
	v_mov_b32_e32 v38, 0
	v_mov_b32_e32 v39, 0
	;; [unrolled: 1-line block ×4, first 2 shown]
	s_cbranch_vccnz .LBB622_14
; %bb.13:                               ;   in Loop: Header=BB622_6 Depth=1
	s_and_b32 s25, s25, 0xffff
	s_mov_b32 s27, s23
	buffer_load_dwordx4 v[38:41], v76, s[24:27], 0 offen
	buffer_load_dwordx4 v[30:33], v76, s[24:27], s56 offen
	;; [unrolled: 1-line block ×4, first 2 shown]
	v_mov_b32_e32 v86, v55
	v_mov_b32_e32 v87, v54
.LBB622_14:                             ;   in Loop: Header=BB622_6 Depth=1
	s_waitcnt lgkmcnt(0)
	s_barrier
	ds_read_b64 v[96:97], v80
	ds_read2st64_b64 v[88:91], v69 offset1:1
	ds_read2st64_b64 v[92:95], v69 offset0:2 offset1:3
	ds_read_b64 v[98:99], v81
	ds_read_b64 v[100:101], v82
	;; [unrolled: 1-line block ×3, first 2 shown]
	s_waitcnt lgkmcnt(4)
	v_mfma_f32_16x16x16_bf16 a[0:3], v[96:97], v[88:89], 0
	ds_read_b64 v[96:97], v72 offset:8192
	ds_read_b64 v[104:105], v73 offset:8192
	s_add_i32 s21, s50, s62
	s_mul_hi_i32 s25, s21, s13
	s_waitcnt lgkmcnt(1)
	v_mfma_f32_16x16x16_bf16 a[4:7], v[96:97], v[88:89], 0
	s_mul_i32 s21, s21, s13
	s_add_u32 s24, s21, s33
	s_addc_u32 s25, s25, s54
	v_mfma_f32_16x16x16_bf16 a[0:3], v[98:99], v[90:91], a[0:3]
	ds_read_b64 v[96:97], v70
	ds_read_b64 v[98:99], v71
	ds_read_b64 v[88:89], v74 offset:8192
	s_lshl_b64 s[24:25], s[24:25], 15
	v_mfma_f32_16x16x16_bf16 a[0:3], v[100:101], v[92:93], a[0:3]
	ds_read_b64 v[100:101], v75 offset:8192
	s_and_b64 vcc, exec, s[0:1]
	s_waitcnt lgkmcnt(4)
	v_mfma_f32_16x16x16_bf16 a[4:7], v[104:105], v[90:91], a[4:7]
	s_waitcnt lgkmcnt(1)
	v_mfma_f32_16x16x16_bf16 a[4:7], v[88:89], v[92:93], a[4:7]
	v_lshl_add_u64 v[88:89], v[42:43], 0, s[24:25]
	global_store_dwordx4 v[88:89], v[96:99], off
	v_mfma_f32_16x16x16_bf16 a[0:3], v[102:103], v[94:95], a[0:3]
	s_waitcnt lgkmcnt(0)
	v_mfma_f32_16x16x16_bf16 a[4:7], v[100:101], v[94:95], a[4:7]
	s_cbranch_vccnz .LBB622_16
; %bb.15:                               ;   in Loop: Header=BB622_6 Depth=1
	v_lshrrev_b32_e32 v88, 3, v86
	v_and_b32_e32 v88, 6, v88
	v_xor_b32_e32 v87, v88, v87
	v_lshlrev_b32_e32 v87, 2, v87
	v_and_b32_e32 v86, 8, v86
	v_xor_b32_e32 v89, 0x440, v87
	v_cmp_eq_u32_e32 vcc, 0, v86
	s_barrier
	s_nop 0
	v_cndmask_b32_e32 v86, v89, v87, vcc
	v_lshl_or_b32 v86, v88, 10, v86
	s_waitcnt vmcnt(2)
	v_perm_b32 v87, v38, v34, s58
	s_waitcnt vmcnt(1)
	v_perm_b32 v88, v30, v26, s58
	ds_write2st64_b32 v86, v87, v88 offset1:32
	v_xor_b32_e32 v87, 8, v86
	v_perm_b32 v34, v38, v34, s59
	v_perm_b32 v26, v30, v26, s59
	v_add_u32_e32 v30, 0x80, v87
	ds_write2st64_b32 v30, v34, v26 offset1:32
	v_xor_b32_e32 v26, 16, v86
	v_perm_b32 v30, v39, v35, s58
	v_perm_b32 v34, v31, v27, s58
	ds_write2st64_b32 v26, v30, v34 offset0:1 offset1:33
	v_xor_b32_e32 v26, 24, v86
	v_perm_b32 v30, v39, v35, s59
	v_perm_b32 v27, v31, v27, s59
	v_add_u32_e32 v26, 0x80, v26
	ds_write2st64_b32 v26, v30, v27 offset0:1 offset1:33
	v_xor_b32_e32 v26, 32, v86
	v_perm_b32 v27, v40, v36, s58
	v_perm_b32 v30, v32, v28, s58
	ds_write2st64_b32 v26, v27, v30 offset0:2 offset1:34
	v_xor_b32_e32 v26, 40, v86
	v_perm_b32 v27, v40, v36, s59
	v_perm_b32 v28, v32, v28, s59
	v_add_u32_e32 v26, 0x80, v26
	ds_write2st64_b32 v26, v27, v28 offset0:2 offset1:34
	;; [unrolled: 9-line block ×3, first 2 shown]
	ds_write_b64 v9, v[22:23] offset:16384
	v_xor_b32_e32 v22, 8, v9
	ds_write_b64 v22, v[24:25] offset:16384
	ds_write_b64 v9, v[18:19] offset:24576
	;; [unrolled: 1-line block ×4, first 2 shown]
	v_xor_b32_e32 v9, 8, v5
	ds_write_b64 v9, v[16:17] offset:16384
	ds_write_b64 v5, v[10:11] offset:24576
	;; [unrolled: 1-line block ×3, first 2 shown]
.LBB622_16:                             ;   in Loop: Header=BB622_6 Depth=1
	v_mul_f32_e32 v5, s20, v79
	v_exp_f32_e32 v10, v5
	s_nop 1
	v_accvgpr_read_b32 v9, a1
	v_accvgpr_read_b32 v5, a0
	s_add_i32 s57, s57, 64
	v_fma_f32 v3, v3, v10, v9
	v_accvgpr_read_b32 v9, a4
	v_fma_f32 v6, v6, v10, v9
	v_accvgpr_read_b32 v9, a5
	;; [unrolled: 2-line block ×6, first 2 shown]
	v_fmac_f32_e32 v5, v85, v10
	s_cmp_eq_u32 s48, s35
	v_fmac_f32_e32 v9, v84, v10
	s_cbranch_scc1 .LBB622_18
; %bb.17:                               ;   in Loop: Header=BB622_6 Depth=1
	s_mov_b32 s62, s35
	v_mov_b32_e32 v85, v5
	v_mov_b32_e32 v84, v9
	s_branch .LBB622_6
.LBB622_18:
	s_lshl_b32 s42, s48, 6
	s_sub_i32 s43, s12, s42
	s_cmp_gt_i32 s43, 0
	s_waitcnt vmcnt(2)
	v_or_b32_e32 v34, s2, v50
	s_cbranch_scc1 .LBB622_20
; %bb.19:
	s_ashr_i32 s0, s33, 31
	s_add_u32 s24, s45, s33
	s_addc_u32 s25, s51, s0
	v_or_b32_e32 v10, s2, v50
	s_cbranch_execz .LBB622_21
	s_branch .LBB622_77
.LBB622_20:
                                        ; implicit-def: $sgpr24_sgpr25
                                        ; implicit-def: $vgpr10
.LBB622_21:
	s_ashr_i32 s35, s47, 31
	s_ashr_i32 s3, s42, 31
	s_cmpk_lg_i32 s15, 0x80
	s_cselect_b64 s[38:39], -1, 0
	s_and_b64 vcc, exec, s[38:39]
	s_cbranch_vccz .LBB622_23
; %bb.22:
	s_mul_i32 s1, s47, s12
	s_mul_hi_i32 s0, s47, s12
	s_add_u32 s1, s1, s42
	s_addc_u32 s0, s0, s3
	s_mul_i32 s20, s1, s49
	s_mul_hi_u32 s21, s1, s14
	s_add_i32 s20, s21, s20
	s_mul_i32 s0, s0, s14
	s_add_i32 s20, s20, s0
	s_mul_i32 s1, s1, s14
	s_ashr_i32 s0, s52, 31
	s_add_u32 s40, s1, s52
	s_addc_u32 s41, s20, s0
	s_cbranch_execz .LBB622_24
	s_branch .LBB622_25
.LBB622_23:
                                        ; implicit-def: $sgpr40_sgpr41
.LBB622_24:
	s_mul_hi_i32 s0, s47, s14
	s_mul_i32 s47, s47, s14
	s_ashr_i32 s1, s52, 31
	s_add_u32 s14, s47, s52
	s_addc_u32 s0, s0, s1
	s_mul_i32 s1, s14, s46
	s_mul_hi_u32 s20, s14, s12
	s_add_i32 s1, s20, s1
	s_mul_i32 s0, s0, s12
	s_add_i32 s1, s1, s0
	s_mul_i32 s14, s14, s12
	s_add_u32 s40, s14, s42
	s_addc_u32 s41, s1, s3
.LBB622_25:
	s_add_i32 s20, s50, s48
	s_ashr_i32 s14, s33, 31
	s_add_u32 s24, s45, s33
	s_addc_u32 s25, s51, s14
	s_mul_i32 s0, s24, s46
	s_mul_hi_u32 s1, s24, s12
	s_add_i32 s0, s1, s0
	s_mul_i32 s1, s25, s12
	s_add_i32 s1, s0, s1
	s_mul_i32 s0, s24, s12
	s_add_u32 s0, s0, s42
	s_addc_u32 s1, s1, s3
	s_mov_b32 s3, 0x7060302
	v_lshlrev_b32_e32 v14, 3, v50
	s_lshl_b64 s[26:27], s[0:1], 8
	v_perm_b32 v11, v5, v4, s3
	v_perm_b32 v10, v3, v2, s3
	;; [unrolled: 1-line block ×4, first 2 shown]
	v_lshlrev_b32_e32 v44, 2, v50
	v_lshl_or_b32 v14, v1, 5, v14
	s_add_u32 s0, s6, s26
	ds_write2st64_b64 v14, v[10:11], v[12:13] offset0:72 offset1:76
	v_xor_b32_e32 v14, v1, v44
	v_lshlrev_b32_e32 v15, 8, v50
	s_addc_u32 s1, s7, s27
	v_lshl_or_b32 v14, v14, 1, v15
	s_mul_hi_i32 s3, s20, s13
	s_mul_i32 s20, s20, s13
	ds_write_b64 v14, v[10:11] offset:32768
	v_xor_b32_e32 v10, v53, v44
	s_add_u32 s6, s20, s33
	v_lshl_or_b32 v10, v10, 1, v15
	s_addc_u32 s7, s3, s14
	v_lshlrev_b32_e32 v11, 1, v50
	ds_write_b64 v10, v[12:13] offset:32768
	v_lshrrev_b32_e32 v10, 4, v0
	s_ashr_i32 s3, s2, 31
	s_lshl_b64 s[6:7], s[6:7], 15
	v_or_b32_e32 v12, 1, v11
	s_waitcnt lgkmcnt(0)
	s_add_u32 s6, s36, s6
	v_xor_b32_e32 v11, v10, v11
	v_xor_b32_e32 v12, v12, v10
	v_lshlrev_b32_e32 v14, 8, v10
	s_addc_u32 s7, s37, s7
	s_lshl_b64 s[2:3], s[2:3], 8
	v_lshl_or_b32 v10, v11, 3, v14
	v_lshl_or_b32 v12, v12, 3, v14
	s_barrier
	s_add_u32 s2, s6, s2
	ds_read_b64 v[10:11], v10 offset:32768
	ds_read_b64 v[12:13], v12 offset:32768
	s_addc_u32 s3, s7, s3
	v_mov_b32_e32 v15, 0
	s_cmp_lg_u32 s43, 64
	v_lshl_add_u64 v[16:17], s[2:3], 0, v[14:15]
	v_lshlrev_b32_e32 v14, 4, v50
	s_cselect_b64 s[6:7], -1, 0
	v_lshl_or_b32 v35, v46, 3, v52
	s_mov_b32 s20, 0
	v_lshl_add_u64 v[14:15], v[16:17], 0, v[14:15]
	s_waitcnt vmcnt(1)
	v_or_b32_e32 v27, 32, v35
	v_and_b32_e32 v26, 56, v51
	s_and_b64 vcc, exec, s[6:7]
	s_waitcnt lgkmcnt(0)
	global_store_dwordx4 v[14:15], v[10:13], off
	s_cbranch_vccz .LBB622_31
; %bb.26:
	s_mov_b32 s21, s20
	s_mov_b32 s22, s20
	;; [unrolled: 1-line block ×3, first 2 shown]
	v_mov_b64_e32 v[14:15], s[20:21]
	v_mov_b64_e32 v[16:17], s[22:23]
	;; [unrolled: 1-line block ×3, first 2 shown]
	v_cmp_gt_i32_e32 vcc, s43, v35
	v_mov_b64_e32 v[12:13], v[16:17]
	s_and_saveexec_b64 s[2:3], vcc
	s_cbranch_execz .LBB622_28
; %bb.27:
	v_lshlrev_b32_e32 v10, 8, v35
	v_mov_b32_e32 v11, 0
	v_lshl_add_u64 v[12:13], s[0:1], 0, v[10:11]
	v_lshlrev_b32_e32 v10, 1, v26
	v_lshl_add_u64 v[18:19], v[12:13], 0, v[10:11]
	global_load_dwordx4 v[14:17], v[18:19], off
	global_load_dwordx4 v[10:13], v[18:19], off offset:128
.LBB622_28:
	s_or_b64 exec, exec, s[2:3]
	s_mov_b32 s22, s20
	s_mov_b32 s23, s20
	;; [unrolled: 1-line block ×3, first 2 shown]
	v_mov_b64_e32 v[24:25], s[22:23]
	v_mov_b64_e32 v[22:23], s[20:21]
	v_mov_b64_e32 v[18:19], v[22:23]
	v_cmp_gt_i32_e32 vcc, s43, v27
	v_lshlrev_b32_e32 v28, 7, v27
	v_mov_b64_e32 v[20:21], v[24:25]
	s_and_saveexec_b64 s[2:3], vcc
	s_cbranch_execz .LBB622_30
; %bb.29:
	v_lshlrev_b32_e32 v18, 1, v28
	v_mov_b32_e32 v19, 0
	v_lshl_add_u64 v[20:21], s[0:1], 0, v[18:19]
	v_lshlrev_b32_e32 v18, 1, v26
	v_lshl_add_u64 v[30:31], v[20:21], 0, v[18:19]
	global_load_dwordx4 v[22:25], v[30:31], off
	global_load_dwordx4 v[18:21], v[30:31], off offset:128
.LBB622_30:
	s_or_b64 exec, exec, s[2:3]
	v_lshrrev_b32_e32 v29, 3, v26
	v_lshlrev_b32_e32 v30, 3, v35
	v_or_b32_e32 v29, v30, v29
	v_lshlrev_b32_e32 v29, 4, v29
	v_and_b32_e32 v30, 0x78, v30
	v_xor_b32_e32 v29, v29, v30
	s_branch .LBB622_33
.LBB622_31:
                                        ; implicit-def: $vgpr29
                                        ; implicit-def: $vgpr28
                                        ; implicit-def: $vgpr14_vgpr15_vgpr16_vgpr17
                                        ; implicit-def: $vgpr10_vgpr11_vgpr12_vgpr13
                                        ; implicit-def: $vgpr22_vgpr23_vgpr24_vgpr25
                                        ; implicit-def: $vgpr18_vgpr19_vgpr20_vgpr21
	s_cbranch_execz .LBB622_33
; %bb.32:
	s_waitcnt vmcnt(0)
	v_lshlrev_b32_e32 v10, 1, v26
	v_lshl_or_b32 v28, v35, 8, v10
	s_and_b32 s1, s1, 0xffff
	s_mov_b32 s3, 0x20000
	s_movk_i32 s2, 0x4000
	v_lshl_or_b32 v29, v27, 8, v10
	s_movk_i32 s13, 0x80
	buffer_load_dwordx4 v[14:17], v28, s[0:3], 0 offen
	buffer_load_dwordx4 v[10:13], v28, s[0:3], s13 offen
	;; [unrolled: 1-line block ×4, first 2 shown]
	v_lshrrev_b32_e32 v28, 3, v26
	v_lshlrev_b32_e32 v29, 3, v35
	v_or_b32_e32 v28, v29, v28
	v_lshlrev_b32_e32 v28, 4, v28
	v_and_b32_e32 v29, 0x78, v29
	v_xor_b32_e32 v29, v28, v29
	v_lshlrev_b32_e32 v28, 7, v27
.LBB622_33:
	s_lshl_b64 s[0:1], s[40:41], 8
	s_add_u32 s4, s4, s0
	s_movk_i32 s0, 0x1000
	v_and_or_b32 v27, v28, s0, v29
	s_waitcnt vmcnt(1)
	ds_write_b64 v29, v[14:15] offset:16384
	v_xor_b32_e32 v14, 8, v29
	s_addc_u32 s5, s5, s1
	ds_write_b64 v14, v[16:17] offset:16384
	s_waitcnt vmcnt(0)
	ds_write_b64 v29, v[10:11] offset:24576
	ds_write_b64 v14, v[12:13] offset:24576
	;; [unrolled: 1-line block ×3, first 2 shown]
	v_xor_b32_e32 v10, 8, v27
	s_add_i32 s0, s44, s17
	s_mul_i32 s35, s35, s16
	ds_write_b64 v10, v[24:25] offset:16384
	ds_write_b64 v27, v[18:19] offset:24576
	;; [unrolled: 1-line block ×3, first 2 shown]
	s_add_i32 s35, s0, s35
	s_mul_i32 s0, s33, s19
	s_mul_hi_u32 s1, s33, s18
	v_or_b32_e32 v10, v47, v50
	s_add_i32 s0, s1, s0
	s_mul_i32 s1, s14, s18
	v_lshlrev_b32_e32 v10, 3, v10
	v_lshrrev_b32_e32 v12, 5, v48
	s_movk_i32 s14, 0xf8
	v_and_or_b32 v12, v10, s14, v12
	v_lshlrev_b32_e32 v45, 11, v46
	v_lshlrev_b32_e32 v20, 4, v12
	v_and_b32_e32 v21, 0x78, v10
	v_and_b32_e32 v22, 0x1000, v45
	v_lshlrev_b32_e32 v11, 2, v0
	v_xor_b32_e32 v10, v20, v21
	v_lshrrev_b32_e32 v12, 1, v48
	v_and_b32_e32 v11, 60, v11
	v_or_b32_e32 v10, v10, v22
	v_and_b32_e32 v23, 8, v12
	v_xor_b32_e32 v36, v10, v23
	v_lshl_or_b32 v10, v49, 6, v11
	v_lshlrev_b32_e32 v49, 1, v10
	v_or_b32_e32 v10, 32, v20
	v_xor_b32_e32 v10, v10, v21
	s_waitcnt lgkmcnt(0)
	s_barrier
	ds_read_b64 v[18:19], v36 offset:16384
	v_or_b32_e32 v10, v10, v22
	v_xor_b32_e32 v37, v10, v23
	v_or_b32_e32 v10, 64, v20
	v_xor_b32_e32 v10, v10, v21
	v_or_b32_e32 v10, v10, v22
	v_or_b32_e32 v20, 0x60, v20
	v_xor_b32_e32 v38, v10, v23
	ds_read2st64_b64 v[10:13], v49 offset0:72 offset1:73
	ds_read2st64_b64 v[14:17], v49 offset0:74 offset1:75
	v_xor_b32_e32 v24, v20, v21
	ds_read_b64 v[20:21], v37 offset:16384
	s_waitcnt lgkmcnt(2)
	v_mfma_f32_16x16x16_bf16 a[0:3], v[18:19], v[10:11], 0
	s_add_i32 s2, s12, -1
	s_ashr_i32 s3, s2, 31
	s_mul_i32 s12, s2, s31
	s_mul_hi_u32 s13, s2, s30
	s_add_i32 s12, s13, s12
	s_mul_i32 s3, s3, s30
	v_or_b32_e32 v22, v24, v22
	s_add_i32 s1, s0, s1
	s_add_i32 s3, s12, s3
	s_lshl_b64 s[12:13], s[34:35], 2
	v_xor_b32_e32 v50, v22, v23
	ds_read_b64 v[22:23], v38 offset:16384
	ds_read_b64 v[24:25], v50 offset:16384
	s_waitcnt lgkmcnt(2)
	v_mfma_f32_16x16x16_bf16 a[0:3], v[20:21], v[12:13], a[0:3]
	s_mul_i32 s0, s33, s18
	s_add_u32 s10, s10, s12
	s_addc_u32 s11, s11, s13
	s_lshl_b64 s[0:1], s[0:1], 2
	s_mul_i32 s2, s2, s30
	s_add_u32 s10, s10, s0
	s_addc_u32 s11, s11, s1
	s_lshl_b64 s[0:1], s[2:3], 2
	s_waitcnt lgkmcnt(1)
	v_mfma_f32_16x16x16_bf16 a[0:3], v[22:23], v[14:15], a[0:3]
	s_add_u32 s0, s10, s0
	s_addc_u32 s1, s11, s1
	s_load_dword s12, s[0:1], 0x0
	s_waitcnt lgkmcnt(0)
	v_mfma_f32_16x16x16_bf16 a[0:3], v[24:25], v[16:17], a[0:3]
	s_and_b64 vcc, exec, s[38:39]
	s_cbranch_vccz .LBB622_44
; %bb.34:
	v_lshlrev_b32_e32 v27, 1, v35
	s_and_b64 vcc, exec, s[6:7]
	s_cbranch_vccz .LBB622_45
; %bb.35:
	v_cmp_gt_i32_e32 vcc, s43, v27
	v_mov_b32_e32 v14, 0
	v_mov_b32_e32 v10, 0
	;; [unrolled: 1-line block ×5, first 2 shown]
	s_and_saveexec_b64 s[0:1], vcc
	s_cbranch_execz .LBB622_37
; %bb.36:
	v_mad_i64_i32 v[10:11], s[2:3], s15, v27, 0
	v_lshl_add_u64 v[10:11], v[10:11], 1, s[4:5]
	v_lshlrev_b32_e32 v12, 1, v26
	v_mov_b32_e32 v13, 0
	v_lshl_add_u64 v[10:11], v[10:11], 0, v[12:13]
	global_load_dwordx4 v[10:13], v[10:11], off
.LBB622_37:
	s_or_b64 exec, exec, s[0:1]
	v_or_b32_e32 v28, 1, v27
	v_cmp_gt_i32_e64 s[0:1], s43, v28
	v_mov_b32_e32 v15, 0
	v_mov_b32_e32 v16, 0
	;; [unrolled: 1-line block ×3, first 2 shown]
	s_and_saveexec_b64 s[2:3], s[0:1]
	s_cbranch_execz .LBB622_39
; %bb.38:
	v_mad_i64_i32 v[14:15], s[16:17], s15, v28, 0
	v_lshl_add_u64 v[14:15], v[14:15], 1, s[4:5]
	v_lshlrev_b32_e32 v16, 1, v26
	v_mov_b32_e32 v17, 0
	v_lshl_add_u64 v[14:15], v[14:15], 0, v[16:17]
	global_load_dwordx4 v[14:17], v[14:15], off
.LBB622_39:
	s_or_b64 exec, exec, s[2:3]
	v_mov_b32_e32 v25, 0
	v_mov_b32_e32 v18, 0
	;; [unrolled: 1-line block ×5, first 2 shown]
	s_and_saveexec_b64 s[2:3], vcc
	s_cbranch_execz .LBB622_41
; %bb.40:
	v_mad_i64_i32 v[18:19], s[16:17], s15, v27, 0
	v_lshl_add_u64 v[18:19], v[18:19], 1, s[4:5]
	v_lshlrev_b32_e32 v20, 1, v26
	v_mov_b32_e32 v21, 0
	v_lshl_add_u64 v[18:19], v[18:19], 0, v[20:21]
	global_load_dwordx4 v[18:21], v[18:19], off offset:128
.LBB622_41:
	s_or_b64 exec, exec, s[2:3]
	v_mov_b32_e32 v24, 0
	v_mov_b32_e32 v23, 0
	;; [unrolled: 1-line block ×3, first 2 shown]
	s_and_saveexec_b64 s[2:3], s[0:1]
	s_cbranch_execz .LBB622_43
; %bb.42:
	v_mad_i64_i32 v[22:23], s[0:1], s15, v28, 0
	v_lshl_add_u64 v[22:23], v[22:23], 1, s[4:5]
	v_lshlrev_b32_e32 v24, 1, v26
	v_mov_b32_e32 v25, 0
	v_lshl_add_u64 v[22:23], v[22:23], 0, v[24:25]
	global_load_dwordx4 v[22:25], v[22:23], off offset:128
.LBB622_43:
	s_or_b64 exec, exec, s[2:3]
	s_branch .LBB622_47
.LBB622_44:
                                        ; implicit-def: $vgpr13
                                        ; implicit-def: $vgpr17
                                        ; implicit-def: $vgpr21
                                        ; implicit-def: $vgpr25
	v_lshrrev_b32_e32 v48, 2, v48
	s_branch .LBB622_48
.LBB622_45:
                                        ; implicit-def: $vgpr13
                                        ; implicit-def: $vgpr17
                                        ; implicit-def: $vgpr21
                                        ; implicit-def: $vgpr25
	s_cbranch_execz .LBB622_47
; %bb.46:
	s_waitcnt vmcnt(0)
	v_mad_u64_u32 v[10:11], s[0:1], v27, s15, v[26:27]
	v_lshlrev_b32_e32 v27, 1, v10
	s_lshl_b32 s2, s15, 7
	s_and_b32 s1, s5, 0xffff
	s_mov_b32 s3, 0x20000
	s_mov_b32 s0, s4
	v_add_lshl_u32 v28, v10, s15, 1
	s_movk_i32 s13, 0x80
	buffer_load_dwordx4 v[10:13], v27, s[0:3], 0 offen
	buffer_load_dwordx4 v[18:21], v27, s[0:3], s13 offen
	buffer_load_dwordx4 v[14:17], v28, s[0:3], 0 offen
	buffer_load_dwordx4 v[22:25], v28, s[0:3], s13 offen
.LBB622_47:
	v_lshrrev_b32_e32 v48, 2, v48
	s_cbranch_execnz .LBB622_60
.LBB622_48:
	s_and_b64 vcc, exec, s[6:7]
	s_cbranch_vccz .LBB622_58
; %bb.49:
	s_waitcnt vmcnt(0)
	v_lshlrev_b32_e32 v15, 1, v35
	v_cmp_gt_i32_e32 vcc, s43, v15
	v_mov_b32_e32 v14, 0
	v_lshlrev_b32_e32 v22, 9, v35
	v_mov_b32_e32 v10, 0
	v_mov_b32_e32 v11, 0
	v_mov_b32_e32 v12, 0
	v_mov_b32_e32 v13, 0
	s_and_saveexec_b64 s[0:1], vcc
	s_cbranch_execz .LBB622_51
; %bb.50:
	v_mov_b32_e32 v23, 0
	v_lshl_add_u64 v[10:11], s[4:5], 0, v[22:23]
	v_lshlrev_b32_e32 v12, 1, v26
	v_mov_b32_e32 v13, v23
	v_lshl_add_u64 v[10:11], v[10:11], 0, v[12:13]
	global_load_dwordx4 v[10:13], v[10:11], off
.LBB622_51:
	s_or_b64 exec, exec, s[0:1]
	v_or_b32_e32 v15, 1, v15
	v_cmp_gt_i32_e64 s[0:1], s43, v15
	v_lshlrev_b32_e32 v28, 8, v15
	v_mov_b32_e32 v15, 0
	v_mov_b32_e32 v16, 0
	;; [unrolled: 1-line block ×3, first 2 shown]
	s_and_saveexec_b64 s[2:3], s[0:1]
	s_cbranch_execz .LBB622_53
; %bb.52:
	v_mov_b32_e32 v29, 0
	v_lshl_add_u64 v[14:15], s[4:5], 0, v[28:29]
	v_lshlrev_b32_e32 v16, 1, v26
	v_mov_b32_e32 v17, v29
	v_lshl_add_u64 v[14:15], v[14:15], 0, v[16:17]
	global_load_dwordx4 v[14:17], v[14:15], off
.LBB622_53:
	s_or_b64 exec, exec, s[2:3]
	v_mov_b32_e32 v25, 0
	v_mov_b32_e32 v18, 0
	;; [unrolled: 1-line block ×5, first 2 shown]
	s_and_saveexec_b64 s[2:3], vcc
	s_cbranch_execz .LBB622_55
; %bb.54:
	v_mov_b32_e32 v23, 0
	v_lshl_add_u64 v[18:19], s[4:5], 0, v[22:23]
	v_lshlrev_b32_e32 v22, 1, v26
	v_lshl_add_u64 v[18:19], v[18:19], 0, v[22:23]
	global_load_dwordx4 v[18:21], v[18:19], off offset:128
.LBB622_55:
	s_or_b64 exec, exec, s[2:3]
	v_mov_b32_e32 v24, 0
	v_mov_b32_e32 v23, 0
	;; [unrolled: 1-line block ×3, first 2 shown]
	s_and_saveexec_b64 s[2:3], s[0:1]
	s_cbranch_execz .LBB622_57
; %bb.56:
	v_mov_b32_e32 v29, 0
	v_lshl_add_u64 v[22:23], s[4:5], 0, v[28:29]
	v_lshlrev_b32_e32 v28, 1, v26
	v_lshl_add_u64 v[22:23], v[22:23], 0, v[28:29]
	global_load_dwordx4 v[22:25], v[22:23], off offset:128
.LBB622_57:
	s_or_b64 exec, exec, s[2:3]
	s_branch .LBB622_60
.LBB622_58:
                                        ; implicit-def: $vgpr13
                                        ; implicit-def: $vgpr17
                                        ; implicit-def: $vgpr21
                                        ; implicit-def: $vgpr25
	s_cbranch_execz .LBB622_60
; %bb.59:
	s_waitcnt vmcnt(0)
	v_lshlrev_b32_e32 v10, 1, v26
	v_lshl_or_b32 v26, v35, 9, v10
	s_and_b32 s5, s5, 0xffff
	s_mov_b32 s7, 0x20000
	s_movk_i32 s6, 0x4000
	s_movk_i32 s0, 0x80
	buffer_load_dwordx4 v[10:13], v26, s[4:7], 0 offen
	buffer_load_dwordx4 v[14:17], v26, s[4:7], 0 offen offset:256
	buffer_load_dwordx4 v[18:21], v26, s[4:7], s0 offen
	buffer_load_dwordx4 v[22:25], v26, s[4:7], s0 offen offset:256
.LBB622_60:
	ds_read2st64_b64 v[30:33], v49 offset0:76 offset1:77
	ds_read2st64_b64 v[26:29], v49 offset0:78 offset1:79
	ds_read_b64 v[40:41], v36 offset:24576
	ds_read_b64 v[42:43], v37 offset:24576
	;; [unrolled: 1-line block ×4, first 2 shown]
	v_and_b32_e32 v50, 6, v0
	v_xor_b32_e32 v35, v35, v50
	v_lshlrev_b32_e32 v35, 2, v35
	v_and_b32_e32 v51, 1, v0
	v_xor_b32_e32 v52, 0x440, v35
	v_cmp_eq_u32_e32 vcc, 0, v51
	s_mov_b32 s0, 0x1000504
	s_waitcnt vmcnt(0)
	v_perm_b32 v51, v18, v22, s0
	v_cndmask_b32_e32 v35, v52, v35, vcc
	v_lshl_or_b32 v35, v50, 10, v35
	v_perm_b32 v50, v10, v14, s0
	ds_write2st64_b32 v35, v50, v51 offset1:32
	v_xor_b32_e32 v50, 8, v35
	s_mov_b32 s1, 0x3020706
	v_perm_b32 v10, v10, v14, s1
	v_perm_b32 v14, v18, v22, s1
	v_add_u32_e32 v18, 0x80, v50
	ds_write2st64_b32 v18, v10, v14 offset1:32
	v_xor_b32_e32 v10, 16, v35
	v_perm_b32 v14, v11, v15, s0
	v_perm_b32 v18, v19, v23, s0
	ds_write2st64_b32 v10, v14, v18 offset0:1 offset1:33
	v_xor_b32_e32 v10, 24, v35
	v_perm_b32 v11, v11, v15, s1
	v_perm_b32 v14, v19, v23, s1
	v_add_u32_e32 v10, 0x80, v10
	ds_write2st64_b32 v10, v11, v14 offset0:1 offset1:33
	v_xor_b32_e32 v10, 32, v35
	v_perm_b32 v11, v12, v16, s0
	v_perm_b32 v14, v20, v24, s0
	ds_write2st64_b32 v10, v11, v14 offset0:2 offset1:34
	v_xor_b32_e32 v10, 40, v35
	v_perm_b32 v11, v12, v16, s1
	v_perm_b32 v12, v20, v24, s1
	v_add_u32_e32 v10, 0x80, v10
	ds_write2st64_b32 v10, v11, v12 offset0:2 offset1:34
	v_xor_b32_e32 v10, 48, v35
	v_perm_b32 v11, v13, v17, s0
	v_perm_b32 v12, v21, v25, s0
	ds_write2st64_b32 v10, v11, v12 offset0:3 offset1:35
	v_xor_b32_e32 v10, 56, v35
	v_and_or_b32 v16, v48, 12, v47
	v_perm_b32 v11, v13, v17, s1
	v_perm_b32 v12, v21, v25, s1
	v_add_u32_e32 v10, 0x80, v10
	v_cmp_gt_i32_e32 vcc, s43, v16
	v_mov_b32_e32 v17, 0
	v_mov_b32_e32 v21, 0
	ds_write2st64_b32 v10, v11, v12 offset0:3 offset1:35
	s_and_saveexec_b64 s[0:1], vcc
	s_cbranch_execz .LBB622_62
; %bb.61:
	v_add_u32_e32 v10, s42, v16
	v_ashrrev_i32_e32 v11, 31, v10
	v_mul_lo_u32 v12, v11, s30
	v_mul_lo_u32 v13, v10, s31
	v_mad_u64_u32 v[10:11], s[2:3], v10, s30, 0
	v_add3_u32 v11, v11, v13, v12
	v_lshl_add_u64 v[10:11], v[10:11], 2, s[10:11]
	global_load_dword v10, v[10:11], off
	s_waitcnt vmcnt(0)
	v_sub_f32_e32 v10, s12, v10
	v_mul_f32_e32 v10, 0x3fb8aa3b, v10
	v_exp_f32_e32 v21, v10
.LBB622_62:
	s_or_b64 exec, exec, s[0:1]
	v_or_b32_e32 v19, 1, v16
	v_cmp_gt_i32_e64 s[0:1], s43, v19
	s_and_saveexec_b64 s[2:3], s[0:1]
	s_cbranch_execz .LBB622_64
; %bb.63:
	v_add_u32_e32 v10, s42, v19
	v_ashrrev_i32_e32 v11, 31, v10
	v_mul_lo_u32 v12, v11, s30
	v_mul_lo_u32 v13, v10, s31
	v_mad_u64_u32 v[10:11], s[4:5], v10, s30, 0
	v_add3_u32 v11, v11, v13, v12
	v_lshl_add_u64 v[10:11], v[10:11], 2, s[10:11]
	global_load_dword v10, v[10:11], off
	s_waitcnt vmcnt(0)
	v_sub_f32_e32 v10, s12, v10
	v_mul_f32_e32 v10, 0x3fb8aa3b, v10
	v_exp_f32_e32 v17, v10
.LBB622_64:
	s_or_b64 exec, exec, s[2:3]
	v_or_b32_e32 v20, 2, v16
	v_cmp_gt_i32_e64 s[2:3], s43, v20
	v_mov_b32_e32 v18, 0
	v_mov_b32_e32 v23, 0
	s_and_saveexec_b64 s[4:5], s[2:3]
	s_cbranch_execz .LBB622_66
; %bb.65:
	v_add_u32_e32 v10, s42, v20
	v_ashrrev_i32_e32 v11, 31, v10
	v_mul_lo_u32 v12, v11, s30
	v_mul_lo_u32 v13, v10, s31
	v_mad_u64_u32 v[10:11], s[6:7], v10, s30, 0
	v_add3_u32 v11, v11, v13, v12
	v_lshl_add_u64 v[10:11], v[10:11], 2, s[10:11]
	global_load_dword v10, v[10:11], off
	s_waitcnt vmcnt(0)
	v_sub_f32_e32 v10, s12, v10
	v_mul_f32_e32 v10, 0x3fb8aa3b, v10
	v_exp_f32_e32 v23, v10
.LBB622_66:
	s_or_b64 exec, exec, s[4:5]
	v_or_b32_e32 v22, 3, v16
	v_cmp_gt_i32_e64 s[4:5], s43, v22
	s_and_saveexec_b64 s[6:7], s[4:5]
	s_cbranch_execz .LBB622_68
; %bb.67:
	v_add_u32_e32 v10, s42, v22
	v_ashrrev_i32_e32 v11, 31, v10
	v_mul_lo_u32 v12, v11, s30
	v_mul_lo_u32 v13, v10, s31
	v_mad_u64_u32 v[10:11], s[14:15], v10, s30, 0
	v_add3_u32 v11, v11, v13, v12
	v_lshl_add_u64 v[10:11], v[10:11], 2, s[10:11]
	global_load_dword v10, v[10:11], off
	s_waitcnt vmcnt(0)
	v_sub_f32_e32 v10, s12, v10
	v_mul_f32_e32 v10, 0x3fb8aa3b, v10
	v_exp_f32_e32 v18, v10
.LBB622_68:
	s_or_b64 exec, exec, s[6:7]
	s_waitcnt lgkmcnt(11)
	v_mfma_f32_16x16x16_bf16 a[0:3], v[40:41], v[30:31], a[0:3]
	s_add_u32 s6, s8, s26
	v_ashrrev_i32_e32 v35, 31, v34
	s_addc_u32 s7, s9, s27
	s_waitcnt lgkmcnt(10)
	v_mfma_f32_16x16x16_bf16 a[0:3], v[42:43], v[32:33], a[0:3]
	v_mov_b32_e32 v24, 0
	v_lshl_add_u64 v[14:15], v[34:35], 1, s[6:7]
	v_mov_b32_e32 v25, 0
	s_waitcnt lgkmcnt(9)
	v_mfma_f32_16x16x16_bf16 a[0:3], v[38:39], v[26:27], a[0:3]
	s_waitcnt lgkmcnt(8)
	v_mfma_f32_16x16x16_bf16 a[0:3], v[36:37], v[28:29], a[0:3]
	s_nop 6
	v_accvgpr_read_b32 v13, a3
	v_accvgpr_read_b32 v12, a2
	;; [unrolled: 1-line block ×4, first 2 shown]
	s_and_saveexec_b64 s[6:7], vcc
	s_cbranch_execz .LBB622_70
; %bb.69:
	v_lshlrev_b32_e32 v26, 8, v16
	v_mov_b32_e32 v27, 0
	v_lshl_add_u64 v[26:27], v[14:15], 0, v[26:27]
	global_load_ushort v25, v[26:27], off
	s_waitcnt vmcnt(0)
	v_lshlrev_b32_e32 v25, 16, v25
	v_sub_f32_e32 v10, v25, v10
	v_mul_f32_e32 v10, v21, v10
	v_lshrrev_b32_e32 v25, 16, v10
.LBB622_70:
	s_or_b64 exec, exec, s[6:7]
	s_and_saveexec_b64 s[6:7], s[0:1]
	s_cbranch_execz .LBB622_72
; %bb.71:
	v_lshlrev_b32_e32 v26, 8, v19
	v_mov_b32_e32 v27, 0
	v_lshl_add_u64 v[26:27], v[14:15], 0, v[26:27]
	global_load_ushort v10, v[26:27], off
	s_waitcnt vmcnt(0)
	v_lshlrev_b32_e32 v10, 16, v10
	v_sub_f32_e32 v10, v10, v11
	v_mul_f32_e32 v10, v17, v10
	v_lshrrev_b32_e32 v24, 16, v10
.LBB622_72:
	s_or_b64 exec, exec, s[6:7]
	v_mov_b32_e32 v11, 0
	v_mov_b32_e32 v17, 0
	s_and_saveexec_b64 s[0:1], s[2:3]
	s_cbranch_execz .LBB622_74
; %bb.73:
	v_lshlrev_b32_e32 v20, 8, v20
	v_mov_b32_e32 v21, 0
	v_lshl_add_u64 v[20:21], v[14:15], 0, v[20:21]
	global_load_ushort v10, v[20:21], off
	s_waitcnt vmcnt(0)
	v_lshlrev_b32_e32 v10, 16, v10
	v_sub_f32_e32 v10, v10, v12
	v_mul_f32_e32 v10, v23, v10
	v_lshrrev_b32_e32 v17, 16, v10
.LBB622_74:
	s_or_b64 exec, exec, s[0:1]
	v_or_b32_e32 v10, 0x9800, v49
	s_and_saveexec_b64 s[0:1], s[4:5]
	s_cbranch_execz .LBB622_76
; %bb.75:
	v_lshlrev_b32_e32 v20, 8, v22
	v_mov_b32_e32 v21, 0
	v_lshl_add_u64 v[14:15], v[14:15], 0, v[20:21]
	global_load_ushort v11, v[14:15], off
	s_waitcnt vmcnt(0)
	v_lshlrev_b32_e32 v11, 16, v11
	v_sub_f32_e32 v11, v11, v13
	v_mul_f32_e32 v11, v18, v11
	v_lshrrev_b32_e32 v11, 16, v11
.LBB622_76:
	s_or_b64 exec, exec, s[0:1]
	s_mov_b32 s0, 0x5040100
	v_perm_b32 v13, v11, v17, s0
	v_lshlrev_b32_e32 v11, 1, v44
	v_perm_b32 v12, v24, v25, s0
	v_lshl_or_b32 v11, v16, 5, v11
	s_movk_i32 s0, 0xff
	ds_write_b64 v11, v[12:13] offset:38912
	v_and_b32_e32 v11, 7, v0
	v_and_b32_e32 v12, 8, v0
	v_cmp_lt_u32_e32 vcc, s0, v0
	v_lshrrev_b32_e32 v0, 1, v0
	v_lshlrev_b32_e32 v22, 3, v11
	v_lshlrev_b32_e32 v23, 7, v11
	v_cndmask_b32_e64 v11, 0, 1, vcc
	v_lshlrev_b32_e32 v25, 3, v46
	v_and_b32_e32 v0, 24, v0
	v_lshlrev_b32_e32 v24, 13, v11
	v_xor_b32_e32 v11, v25, v0
	v_or_b32_e32 v13, 0x440, v11
	v_cmp_eq_u32_e32 vcc, 0, v12
	s_waitcnt lgkmcnt(0)
	s_barrier
	v_cndmask_b32_e32 v11, v13, v11, vcc
	v_or_b32_e32 v11, v11, v45
	v_xad_u32 v26, v11, v22, v23
	v_add_u32_e32 v11, v24, v26
	ds_read_b64 v[20:21], v11
	ds_read2st64_b64 v[12:15], v10 offset1:1
	ds_read2st64_b64 v[16:19], v10 offset0:2 offset1:3
	v_or_b32_e32 v10, 32, v0
	v_xor_b32_e32 v10, v25, v10
	v_or_b32_e32 v11, 0x440, v10
	v_cndmask_b32_e32 v10, v11, v10, vcc
	v_or_b32_e32 v10, v10, v45
	v_xad_u32 v27, v10, v22, v23
	v_add_u32_e32 v10, v24, v27
	ds_read_b64 v[10:11], v10
	s_waitcnt lgkmcnt(2)
	v_mfma_f32_16x16x16_bf16 a[0:3], v[20:21], v[12:13], 0
	s_waitcnt lgkmcnt(0)
	v_mfma_f32_16x16x16_bf16 a[0:3], v[10:11], v[14:15], a[0:3]
	v_or_b32_e32 v10, 64, v0
	v_xor_b32_e32 v10, v25, v10
	v_xor_b32_e32 v11, 0x440, v10
	v_cndmask_b32_e32 v10, v11, v10, vcc
	v_or_b32_e32 v10, v10, v45
	v_xad_u32 v28, v10, v22, v23
	v_add_u32_e32 v10, v24, v28
	ds_read_b64 v[10:11], v10
	v_or_b32_e32 v0, 0x60, v0
	v_xor_b32_e32 v0, v25, v0
	v_xor_b32_e32 v20, 0x440, v0
	v_cndmask_b32_e32 v0, v20, v0, vcc
	v_or_b32_e32 v0, v0, v45
	v_xad_u32 v0, v0, v22, v23
	v_add_u32_e32 v20, v24, v0
	ds_read_b64 v[20:21], v20
	s_waitcnt lgkmcnt(1)
	v_mfma_f32_16x16x16_bf16 a[0:3], v[10:11], v[16:17], a[0:3]
	ds_read_b64 v[10:11], v26 offset:8192
	ds_read_b64 v[22:23], v27 offset:8192
	v_mov_b32_e32 v24, 0x3fb8aa3b
	s_waitcnt lgkmcnt(2)
	v_mfma_f32_16x16x16_bf16 a[0:3], v[20:21], v[18:19], a[0:3]
	v_mul_f32_e32 v20, s12, v24
	v_exp_f32_e32 v24, v20
	ds_read_b64 v[20:21], v28 offset:8192
	s_waitcnt lgkmcnt(2)
	v_mfma_f32_16x16x16_bf16 a[4:7], v[10:11], v[12:13], 0
	s_nop 1
	v_accvgpr_read_b32 v10, a0
	v_fma_f32 v12, v2, v24, v10
	ds_read_b64 v[10:11], v0 offset:8192
	s_waitcnt lgkmcnt(2)
	v_mfma_f32_16x16x16_bf16 a[4:7], v[22:23], v[14:15], a[4:7]
	v_accvgpr_read_b32 v0, a1
	v_fma_f32 v13, v3, v24, v0
	v_accvgpr_read_b32 v0, a2
	s_waitcnt lgkmcnt(1)
	v_mfma_f32_16x16x16_bf16 a[4:7], v[20:21], v[16:17], a[4:7]
	v_accvgpr_read_b32 v15, a3
	v_fma_f32 v14, v4, v24, v0
	v_fmac_f32_e32 v15, v5, v24
	s_waitcnt lgkmcnt(0)
	v_mfma_f32_16x16x16_bf16 a[0:3], v[10:11], v[18:19], a[4:7]
	v_mov_b32_e32 v10, v34
	s_nop 5
	v_accvgpr_read_b32 v0, a0
	v_fma_f32 v16, v6, v24, v0
	v_accvgpr_read_b32 v0, a1
	v_fma_f32 v17, v7, v24, v0
	v_accvgpr_read_b32 v0, a2
	v_accvgpr_read_b32 v19, a3
	v_fma_f32 v18, v8, v24, v0
	v_fmac_f32_e32 v19, v9, v24
	v_mov_b64_e32 v[2:3], v[12:13]
	v_mov_b64_e32 v[4:5], v[14:15]
	;; [unrolled: 1-line block ×4, first 2 shown]
.LBB622_77:
	s_lshl_b64 s[0:1], s[24:25], 15
	s_waitcnt lgkmcnt(0)
	s_add_u32 s0, s28, s0
	v_lshlrev_b32_e32 v10, 7, v10
	s_addc_u32 s1, s29, s1
	v_ashrrev_i32_e32 v11, 31, v10
	v_lshl_add_u64 v[10:11], v[10:11], 1, s[0:1]
	v_lshlrev_b32_e32 v0, 1, v1
	v_mov_b32_e32 v1, 0
	s_mov_b32 s0, 0x7060302
	v_lshl_add_u64 v[0:1], v[10:11], 0, v[0:1]
	v_perm_b32 v5, v5, v4, s0
	v_perm_b32 v4, v3, v2, s0
	;; [unrolled: 1-line block ×4, first 2 shown]
	global_store_dwordx2 v[0:1], v[4:5], off
	global_store_dwordx2 v[0:1], v[2:3], off offset:128
	s_endpgm
	.section	.rodata,"a",@progbits
	.p2align	6, 0x0
	.amdhsa_kernel _ZN12_GLOBAL__N_139chunk_gated_delta_rule_fwd_h_hip_kernelILi16ELb0ELb1ELb0ELb0ELb0ELb0ELb1ELb1EEEvPK12hip_bfloat16S3_S3_PKfS5_PKvPS1_S8_PvPKiSB_iiiiilll
		.amdhsa_group_segment_fixed_size 40960
		.amdhsa_private_segment_fixed_size 0
		.amdhsa_kernarg_size 136
		.amdhsa_user_sgpr_count 2
		.amdhsa_user_sgpr_dispatch_ptr 0
		.amdhsa_user_sgpr_queue_ptr 0
		.amdhsa_user_sgpr_kernarg_segment_ptr 1
		.amdhsa_user_sgpr_dispatch_id 0
		.amdhsa_user_sgpr_kernarg_preload_length 0
		.amdhsa_user_sgpr_kernarg_preload_offset 0
		.amdhsa_user_sgpr_private_segment_size 0
		.amdhsa_uses_dynamic_stack 0
		.amdhsa_enable_private_segment 0
		.amdhsa_system_sgpr_workgroup_id_x 1
		.amdhsa_system_sgpr_workgroup_id_y 1
		.amdhsa_system_sgpr_workgroup_id_z 0
		.amdhsa_system_sgpr_workgroup_info 0
		.amdhsa_system_vgpr_workitem_id 0
		.amdhsa_next_free_vgpr 116
		.amdhsa_next_free_sgpr 63
		.amdhsa_accum_offset 108
		.amdhsa_reserve_vcc 1
		.amdhsa_float_round_mode_32 0
		.amdhsa_float_round_mode_16_64 0
		.amdhsa_float_denorm_mode_32 3
		.amdhsa_float_denorm_mode_16_64 3
		.amdhsa_dx10_clamp 1
		.amdhsa_ieee_mode 1
		.amdhsa_fp16_overflow 0
		.amdhsa_tg_split 0
		.amdhsa_exception_fp_ieee_invalid_op 0
		.amdhsa_exception_fp_denorm_src 0
		.amdhsa_exception_fp_ieee_div_zero 0
		.amdhsa_exception_fp_ieee_overflow 0
		.amdhsa_exception_fp_ieee_underflow 0
		.amdhsa_exception_fp_ieee_inexact 0
		.amdhsa_exception_int_div_zero 0
	.end_amdhsa_kernel
	.section	.text._ZN12_GLOBAL__N_139chunk_gated_delta_rule_fwd_h_hip_kernelILi16ELb0ELb1ELb0ELb0ELb0ELb0ELb1ELb1EEEvPK12hip_bfloat16S3_S3_PKfS5_PKvPS1_S8_PvPKiSB_iiiiilll,"axG",@progbits,_ZN12_GLOBAL__N_139chunk_gated_delta_rule_fwd_h_hip_kernelILi16ELb0ELb1ELb0ELb0ELb0ELb0ELb1ELb1EEEvPK12hip_bfloat16S3_S3_PKfS5_PKvPS1_S8_PvPKiSB_iiiiilll,comdat
.Lfunc_end622:
	.size	_ZN12_GLOBAL__N_139chunk_gated_delta_rule_fwd_h_hip_kernelILi16ELb0ELb1ELb0ELb0ELb0ELb0ELb1ELb1EEEvPK12hip_bfloat16S3_S3_PKfS5_PKvPS1_S8_PvPKiSB_iiiiilll, .Lfunc_end622-_ZN12_GLOBAL__N_139chunk_gated_delta_rule_fwd_h_hip_kernelILi16ELb0ELb1ELb0ELb0ELb0ELb0ELb1ELb1EEEvPK12hip_bfloat16S3_S3_PKfS5_PKvPS1_S8_PvPKiSB_iiiiilll
                                        ; -- End function
	.section	.AMDGPU.csdata,"",@progbits
; Kernel info:
; codeLenInByte = 7908
; NumSgprs: 69
; NumVgprs: 106
; NumAgprs: 8
; TotalNumVgprs: 116
; ScratchSize: 0
; MemoryBound: 0
; FloatMode: 240
; IeeeMode: 1
; LDSByteSize: 40960 bytes/workgroup (compile time only)
; SGPRBlocks: 8
; VGPRBlocks: 14
; NumSGPRsForWavesPerEU: 69
; NumVGPRsForWavesPerEU: 116
; AccumOffset: 108
; Occupancy: 1
; WaveLimiterHint : 1
; COMPUTE_PGM_RSRC2:SCRATCH_EN: 0
; COMPUTE_PGM_RSRC2:USER_SGPR: 2
; COMPUTE_PGM_RSRC2:TRAP_HANDLER: 0
; COMPUTE_PGM_RSRC2:TGID_X_EN: 1
; COMPUTE_PGM_RSRC2:TGID_Y_EN: 1
; COMPUTE_PGM_RSRC2:TGID_Z_EN: 0
; COMPUTE_PGM_RSRC2:TIDIG_COMP_CNT: 0
; COMPUTE_PGM_RSRC3_GFX90A:ACCUM_OFFSET: 26
; COMPUTE_PGM_RSRC3_GFX90A:TG_SPLIT: 0
	.section	.text._ZN12_GLOBAL__N_139chunk_gated_delta_rule_fwd_h_hip_kernelILi16ELb0ELb0ELb1ELb0ELb0ELb0ELb1ELb1EEEvPK12hip_bfloat16S3_S3_PKfS5_PKvPS1_S8_PvPKiSB_iiiiilll,"axG",@progbits,_ZN12_GLOBAL__N_139chunk_gated_delta_rule_fwd_h_hip_kernelILi16ELb0ELb0ELb1ELb0ELb0ELb0ELb1ELb1EEEvPK12hip_bfloat16S3_S3_PKfS5_PKvPS1_S8_PvPKiSB_iiiiilll,comdat
	.globl	_ZN12_GLOBAL__N_139chunk_gated_delta_rule_fwd_h_hip_kernelILi16ELb0ELb0ELb1ELb0ELb0ELb0ELb1ELb1EEEvPK12hip_bfloat16S3_S3_PKfS5_PKvPS1_S8_PvPKiSB_iiiiilll ; -- Begin function _ZN12_GLOBAL__N_139chunk_gated_delta_rule_fwd_h_hip_kernelILi16ELb0ELb0ELb1ELb0ELb0ELb0ELb1ELb1EEEvPK12hip_bfloat16S3_S3_PKfS5_PKvPS1_S8_PvPKiSB_iiiiilll
	.p2align	8
	.type	_ZN12_GLOBAL__N_139chunk_gated_delta_rule_fwd_h_hip_kernelILi16ELb0ELb0ELb1ELb0ELb0ELb0ELb1ELb1EEEvPK12hip_bfloat16S3_S3_PKfS5_PKvPS1_S8_PvPKiSB_iiiiilll,@function
_ZN12_GLOBAL__N_139chunk_gated_delta_rule_fwd_h_hip_kernelILi16ELb0ELb0ELb1ELb0ELb0ELb0ELb1ELb1EEEvPK12hip_bfloat16S3_S3_PKfS5_PKvPS1_S8_PvPKiSB_iiiiilll: ; @_ZN12_GLOBAL__N_139chunk_gated_delta_rule_fwd_h_hip_kernelILi16ELb0ELb0ELb1ELb0ELb0ELb0ELb1ELb1EEEvPK12hip_bfloat16S3_S3_PKfS5_PKvPS1_S8_PvPKiSB_iiiiilll
; %bb.0:
	s_load_dwordx4 s[16:19], s[0:1], 0x5c
	s_load_dwordx4 s[12:15], s[0:1], 0x30
	s_abs_i32 s22, s3
	s_ashr_i32 s21, s3, 31
	s_load_dwordx8 s[4:11], s[0:1], 0x0
	s_waitcnt lgkmcnt(0)
	s_abs_i32 s20, s17
	v_cvt_f32_u32_e32 v1, s20
	s_sub_i32 s24, 0, s20
	s_ashr_i32 s23, s17, 31
	s_xor_b32 s21, s21, s23
	v_rcp_iflag_f32_e32 v1, v1
	v_lshrrev_b32_e32 v44, 6, v0
	v_bfe_u32 v45, v0, 4, 2
	v_lshlrev_b32_e32 v42, 4, v44
	v_mul_f32_e32 v1, 0x4f7ffffe, v1
	v_cvt_u32_f32_e32 v1, v1
	v_lshlrev_b32_e32 v2, 2, v45
	v_and_b32_e32 v43, 63, v0
	v_or_b32_e32 v48, v2, v42
	v_readfirstlane_b32 s25, v1
	s_mul_i32 s24, s24, s25
	s_mul_hi_u32 s24, s25, s24
	s_add_i32 s25, s25, s24
	s_mul_hi_u32 s24, s22, s25
	s_mul_i32 s25, s24, s20
	s_sub_i32 s22, s22, s25
	s_add_i32 s26, s24, 1
	s_sub_i32 s25, s22, s20
	s_cmp_ge_u32 s22, s20
	s_cselect_b32 s24, s26, s24
	s_cselect_b32 s22, s25, s22
	s_add_i32 s25, s24, 1
	s_cmp_ge_u32 s22, s20
	s_cselect_b32 s22, s25, s24
	s_xor_b32 s22, s22, s21
	s_sub_i32 s47, s22, s21
	s_abs_i32 s21, s18
	v_cvt_f32_u32_e32 v1, s21
	s_add_i32 s24, s16, 63
	s_mul_i32 s45, s47, s17
	s_sub_i32 s33, s3, s45
	v_rcp_iflag_f32_e32 v1, v1
	s_ashr_i32 s3, s24, 31
	s_ashr_i32 s46, s16, 31
	s_lshr_b32 s3, s3, 26
	v_mul_f32_e32 v1, 0x4f7ffffe, v1
	v_cvt_u32_f32_e32 v1, v1
	s_lshr_b32 s22, s46, 26
	s_add_i32 s24, s24, s3
	s_add_i32 s22, s16, s22
	s_ashr_i32 s49, s18, 31
	s_ashr_i32 s3, s24, 6
	;; [unrolled: 1-line block ×3, first 2 shown]
	s_xor_b32 s22, s23, s49
	s_sub_i32 s23, 0, s21
	v_readfirstlane_b32 s24, v1
	s_mul_i32 s23, s23, s24
	s_mul_hi_u32 s23, s24, s23
	s_add_i32 s24, s24, s23
	s_mul_hi_u32 s23, s20, s24
	s_mul_i32 s24, s23, s21
	s_sub_i32 s20, s20, s24
	s_add_i32 s24, s23, 1
	s_sub_i32 s25, s20, s21
	s_cmp_ge_u32 s20, s21
	s_cselect_b32 s23, s24, s23
	s_cselect_b32 s20, s25, s20
	s_add_i32 s24, s23, 1
	s_cmp_ge_u32 s20, s21
	s_cselect_b32 s20, s24, s23
	s_xor_b32 s20, s20, s22
	s_sub_i32 s24, s20, s22
	s_abs_i32 s25, s24
	v_cvt_f32_u32_e32 v1, s25
	s_load_dwordx2 s[34:35], s[0:1], 0x80
	s_load_dwordx4 s[20:23], s[0:1], 0x70
	s_xor_b32 s0, s33, s24
	s_sub_i32 s24, 0, s25
	v_rcp_iflag_f32_e32 v1, v1
	s_abs_i32 s1, s33
	s_ashr_i32 s0, s0, 31
	s_mul_i32 s50, s47, s3
	v_mul_f32_e32 v1, 0x4f7ffffe, v1
	v_cvt_u32_f32_e32 v1, v1
	v_or_b32_e32 v49, 64, v48
	v_mov_b32_e32 v3, 0
	s_mul_hi_i32 s51, s47, s17
	v_readfirstlane_b32 s26, v1
	s_mul_i32 s24, s24, s26
	s_mul_hi_u32 s24, s26, s24
	s_add_i32 s26, s26, s24
	s_mul_hi_u32 s24, s1, s26
	s_mul_i32 s26, s24, s25
	s_sub_i32 s1, s1, s26
	s_add_i32 s26, s24, 1
	s_sub_i32 s27, s1, s25
	s_cmp_ge_u32 s1, s25
	s_cselect_b32 s24, s26, s24
	s_cselect_b32 s1, s27, s1
	s_add_i32 s26, s24, 1
	s_cmp_ge_u32 s1, s25
	s_cselect_b32 s1, s26, s24
	s_xor_b32 s1, s1, s0
	s_sub_i32 s52, s1, s0
	s_lshl_b32 s36, s2, 4
	v_and_b32_e32 v1, 15, v0
	s_cmp_lt_i32 s16, 64
	v_lshrrev_b32_e32 v47, 3, v43
	v_lshlrev_b32_e32 v46, 3, v0
	s_waitcnt lgkmcnt(0)
	s_mul_i32 s21, s47, s21
	s_mul_hi_u32 s44, s47, s20
	s_mul_i32 s38, s47, s20
	v_mov_b32_e32 v61, 0
	v_mov_b32_e32 v34, 0
	;; [unrolled: 1-line block ×7, first 2 shown]
	s_cbranch_scc1 .LBB623_18
; %bb.1:
	s_ashr_i32 s28, s47, 31
	s_ashr_i32 s54, s33, 31
	s_add_u32 s0, s45, s33
	s_addc_u32 s1, s51, s54
	s_mul_i32 s1, s16, s1
	s_mul_hi_u32 s2, s16, s0
	s_add_i32 s3, s2, s1
	s_mul_i32 s2, s16, s0
	s_lshl_b64 s[0:1], s[2:3], 8
	v_and_b32_e32 v51, 56, v46
	s_add_u32 s24, s6, s0
	v_lshl_or_b32 v50, v44, 3, v47
	v_lshlrev_b32_e32 v3, 1, v51
	s_addc_u32 s0, s7, s1
	v_lshl_or_b32 v52, v50, 8, v3
	s_and_b32 s25, s0, 0xffff
	s_mov_b32 s27, 0x20000
	s_movk_i32 s26, 0x4000
	s_movk_i32 s0, 0x80
	v_or_b32_e32 v53, 0x2000, v52
	buffer_load_dwordx4 v[4:7], v52, s[24:27], 0 offen
	buffer_load_dwordx4 v[8:11], v52, s[24:27], s0 offen
	;; [unrolled: 1-line block ×4, first 2 shown]
	v_lshlrev_b32_e32 v20, 3, v50
	v_and_or_b32 v22, v0, 7, v20
	v_and_b32_e32 v20, 0x78, v20
	v_lshlrev_b32_e32 v22, 4, v22
	v_xor_b32_e32 v54, v22, v20
	v_mul_lo_u32 v21, v50, s19
	v_or_b32_e32 v55, 0x1000, v54
	s_cmpk_eq_i32 s19, 0x80
	s_mov_b32 s53, s18
	v_xor_b32_e32 v20, 8, v54
	v_xor_b32_e32 v22, 8, v55
	s_cselect_b64 s[0:1], -1, 0
	s_cmpk_lg_i32 s19, 0x80
	s_waitcnt vmcnt(3)
	ds_write_b64 v54, v[4:5] offset:16384
	ds_write_b64 v20, v[6:7] offset:16384
	s_waitcnt vmcnt(2)
	ds_write_b64 v54, v[8:9] offset:24576
	ds_write_b64 v20, v[10:11] offset:24576
	;; [unrolled: 3-line block ×4, first 2 shown]
	v_lshl_add_u32 v4, v21, 1, v51
	s_cbranch_scc0 .LBB623_3
; %bb.2:
	v_lshlrev_b32_e32 v6, 1, v4
	v_add_lshl_u32 v5, v4, s19, 1
	s_lshl_b32 s26, s19, 7
	v_lshl_or_b32 v3, v50, 9, v3
	s_cbranch_execz .LBB623_4
	s_branch .LBB623_5
.LBB623_3:
                                        ; implicit-def: $vgpr5
                                        ; implicit-def: $vgpr6
                                        ; implicit-def: $sgpr26
	v_lshl_or_b32 v3, v50, 9, v3
.LBB623_4:
	v_or_b32_e32 v5, 0x100, v3
	s_movk_i32 s26, 0x4000
	v_mov_b32_e32 v6, v3
.LBB623_5:
	s_mul_hi_u32 s24, s18, s16
	s_mul_i32 s25, s49, s16
	s_add_i32 s24, s24, s25
	s_mul_i32 s25, s18, s16
	s_mul_i32 s27, s25, s28
	s_mul_hi_u32 s29, s25, s47
	s_add_i32 s27, s29, s27
	s_mul_i32 s24, s24, s47
	s_add_i32 s27, s27, s24
	s_mul_i32 s25, s25, s47
	s_ashr_i32 s55, s52, 31
	s_add_u32 s24, s25, s52
	s_addc_u32 s25, s27, s55
	s_lshl_b64 s[24:25], s[24:25], 8
	s_add_u32 s24, s4, s24
	s_addc_u32 s25, s5, s25
	s_and_b32 s25, s25, 0xffff
	s_mov_b32 s27, 0x20000
	s_movk_i32 s56, 0x80
	buffer_load_dwordx4 v[8:11], v6, s[24:27], 0 offen
	buffer_load_dwordx4 v[12:15], v6, s[24:27], s56 offen
	;; [unrolled: 1-line block ×4, first 2 shown]
	v_and_b32_e32 v5, 6, v0
	s_mul_i32 s24, s28, s16
	s_mul_hi_u32 s25, s47, s16
	v_lshlrev_b32_e32 v7, 2, v1
	v_lshlrev_b32_e32 v24, 3, v1
	v_xor_b32_e32 v26, v50, v5
	v_and_b32_e32 v6, 1, v0
	s_mul_i32 s28, s28, s20
	v_lshl_or_b32 v24, v48, 5, v24
	v_xor_b32_e32 v27, v48, v7
	v_lshlrev_b32_e32 v26, 2, v26
	s_add_i32 s61, s25, s24
	s_add_i32 s24, s44, s21
	v_or_b32_e32 v56, 0x9000, v24
	v_or_b32_e32 v57, 0x9800, v24
	v_lshlrev_b32_e32 v24, 1, v27
	v_xor_b32_e32 v27, 0x440, v26
	v_cmp_eq_u32_e32 vcc, 0, v6
	s_add_i32 s39, s24, s28
	s_mul_i32 s24, s33, s23
	s_mul_hi_u32 s25, s33, s22
	v_cndmask_b32_e32 v6, v27, v26, vcc
	s_add_i32 s24, s25, s24
	s_mul_i32 s25, s54, s22
	s_mov_b32 s58, 0x1000504
	v_lshlrev_b32_e32 v25, 8, v1
	s_mov_b32 s26, 0x8000
	v_xor_b32_e32 v7, v49, v7
	v_lshl_or_b32 v5, v5, 10, v6
	s_add_i32 s25, s24, s25
	s_lshl_b64 s[28:29], s[38:39], 2
	s_mov_b32 s59, 0x3020706
	v_lshlrev_b32_e32 v7, 1, v7
	v_or3_b32 v58, v24, v25, s26
	v_xor_b32_e32 v6, 8, v5
	v_xor_b32_e32 v24, 24, v5
	v_xor_b32_e32 v26, 40, v5
	v_xor_b32_e32 v28, 56, v5
	s_mul_i32 s24, s33, s22
	s_add_u32 s28, s10, s28
	v_or3_b32 v59, v7, v25, s26
	v_xor_b32_e32 v7, 16, v5
	v_xor_b32_e32 v25, 32, v5
	;; [unrolled: 1-line block ×3, first 2 shown]
	v_add_u32_e32 v6, 0x80, v6
	v_add_u32_e32 v24, 0x80, v24
	;; [unrolled: 1-line block ×4, first 2 shown]
	s_addc_u32 s29, s11, s29
	s_lshl_b64 s[24:25], s[24:25], 2
	s_add_u32 s40, s28, s24
	s_movk_i32 s24, 0xf8
	s_addc_u32 s41, s29, s25
	s_ashr_i32 s37, s36, 31
	s_lshl_b32 s30, s19, 7
	v_mov_b32_e32 v35, 0
	s_mov_b32 s57, 0
	s_mul_i32 s60, s47, s16
	v_add_u32_e32 v78, v42, v2
	v_mov_b32_e32 v79, 0x3fb8aa3b
	s_mov_b32 s62, 0
	v_mov_b32_e32 v62, v35
	v_mov_b32_e32 v63, v35
	;; [unrolled: 1-line block ×6, first 2 shown]
	s_waitcnt vmcnt(1)
	v_perm_b32 v29, v8, v16, s58
	s_waitcnt vmcnt(0)
	v_perm_b32 v30, v12, v20, s58
	v_perm_b32 v8, v8, v16, s59
	;; [unrolled: 1-line block ×15, first 2 shown]
	ds_write2st64_b32 v5, v29, v30 offset1:32
	ds_write2st64_b32 v6, v8, v12 offset1:32
	ds_write2st64_b32 v7, v16, v20 offset0:1 offset1:33
	ds_write2st64_b32 v24, v9, v13 offset0:1 offset1:33
	;; [unrolled: 1-line block ×6, first 2 shown]
	v_or_b32_e32 v5, v42, v1
	v_lshlrev_b32_e32 v5, 3, v5
	v_lshrrev_b32_e32 v7, 5, v43
	v_and_or_b32 v7, v5, s24, v7
	v_lshlrev_b32_e32 v7, 4, v7
	v_lshlrev_b32_e32 v10, 11, v44
	v_and_b32_e32 v5, 0x78, v5
	v_or_b32_e32 v12, 32, v7
	v_and_b32_e32 v6, 0x1000, v10
	v_lshrrev_b32_e32 v11, 1, v0
	v_xor_b32_e32 v12, v12, v5
	v_and_b32_e32 v9, 8, v11
	v_or_b32_e32 v12, v12, v6
	v_xor_b32_e32 v8, v7, v5
	v_xor_b32_e32 v66, v12, v9
	v_or_b32_e32 v12, 64, v7
	v_or_b32_e32 v7, 0x60, v7
	v_xor_b32_e32 v12, v12, v5
	v_xor_b32_e32 v5, v7, v5
	v_or_b32_e32 v5, v5, v6
	v_or_b32_e32 v12, v12, v6
	v_xor_b32_e32 v68, v5, v9
	v_lshlrev_b32_e32 v5, 1, v1
	v_xor_b32_e32 v67, v12, v9
	v_lshlrev_b32_e32 v12, 1, v4
	v_add_lshl_u32 v13, v4, s19, 1
	v_lshrrev_b32_e32 v4, 4, v0
	s_lshl_b64 s[24:25], s[36:37], 8
	v_or_b32_e32 v15, 1, v5
	s_add_u32 s24, s12, s24
	v_xor_b32_e32 v5, v4, v5
	v_xor_b32_e32 v15, v15, v4
	s_addc_u32 s25, s13, s25
	v_lshlrev_b32_e32 v5, 3, v5
	v_lshlrev_b32_e32 v34, 8, v4
	;; [unrolled: 1-line block ×3, first 2 shown]
	v_or3_b32 v70, v5, v34, s26
	v_or3_b32 v71, v4, v34, s26
	v_lshl_add_u64 v[4:5], s[24:25], 0, v[34:35]
	v_lshlrev_b32_e32 v34, 4, v1
	s_movk_i32 s24, 0xff
	v_lshlrev_b32_e32 v17, 3, v44
	v_and_b32_e32 v11, 24, v11
	v_lshl_add_u64 v[36:37], v[4:5], 0, v[34:35]
	v_and_b32_e32 v5, 8, v0
	v_cmp_lt_u32_e32 vcc, s24, v0
	v_xor_b32_e32 v18, v17, v11
	v_or_b32_e32 v19, 0x440, v18
	v_cndmask_b32_e64 v16, 0, 1, vcc
	v_cmp_eq_u32_e32 vcc, 0, v5
	v_and_b32_e32 v4, 7, v0
	v_lshlrev_b32_e32 v15, 3, v4
	v_cndmask_b32_e32 v5, v19, v18, vcc
	v_lshlrev_b32_e32 v4, 7, v4
	v_or_b32_e32 v5, v5, v10
	v_xad_u32 v72, v5, v15, v4
	v_or_b32_e32 v5, 32, v11
	v_xor_b32_e32 v5, v17, v5
	v_or_b32_e32 v18, 0x440, v5
	v_cndmask_b32_e32 v5, v18, v5, vcc
	v_or_b32_e32 v5, v5, v10
	v_xad_u32 v73, v5, v15, v4
	v_or_b32_e32 v5, 64, v11
	v_xor_b32_e32 v5, v17, v5
	v_xor_b32_e32 v18, 0x440, v5
	v_cndmask_b32_e32 v5, v18, v5, vcc
	v_or_b32_e32 v5, v5, v10
	v_xad_u32 v74, v5, v15, v4
	v_or_b32_e32 v5, 0x60, v11
	v_xor_b32_e32 v5, v17, v5
	v_or_b32_e32 v8, v8, v6
	v_or_b32_e32 v6, s36, v1
	v_xor_b32_e32 v11, 0x440, v5
	v_xor_b32_e32 v64, v8, v9
	v_and_b32_e32 v8, 0x78, v46
	v_ashrrev_i32_e32 v7, 31, v6
	v_cndmask_b32_e32 v5, v11, v5, vcc
	v_lshl_or_b32 v8, v45, 7, v8
	v_lshlrev_b64 v[6:7], 1, v[6:7]
	v_or_b32_e32 v5, v5, v10
	v_or_b32_e32 v65, 0x9000, v8
	;; [unrolled: 1-line block ×3, first 2 shown]
	v_lshl_add_u64 v[8:9], s[8:9], 0, v[6:7]
	v_lshl_add_u64 v[6:7], s[14:15], 0, v[6:7]
	v_or_b32_e32 v14, 0x100, v3
	v_lshlrev_b32_e32 v16, 13, v16
	v_xad_u32 v75, v5, v15, v4
	v_lshlrev_b32_e32 v34, 8, v48
	v_cndmask_b32_e64 v76, v12, v3, s[0:1]
	v_cndmask_b32_e64 v77, v13, v14, s[0:1]
	v_lshl_add_u64 v[38:39], v[8:9], 0, v[34:35]
	v_lshl_add_u64 v[40:41], v[6:7], 0, v[34:35]
	s_mov_b32 s37, 0x7060302
	s_movk_i32 s26, 0x4000
	v_add_u32_e32 v80, v16, v72
	v_add_u32_e32 v81, v16, v73
	;; [unrolled: 1-line block ×4, first 2 shown]
	v_mov_b32_e32 v34, v35
	s_waitcnt lgkmcnt(0)
	s_barrier
.LBB623_6:                              ; =>This Inner Loop Header: Depth=1
	s_add_i32 s39, s62, 1
	s_cmp_lt_i32 s39, s48
	s_mov_b64 s[28:29], 0
	s_cselect_b64 s[42:43], -1, 0
	s_cmp_ge_i32 s39, s48
	s_mov_b64 s[24:25], 0
	s_cbranch_scc1 .LBB623_8
; %bb.7:                                ;   in Loop: Header=BB623_6 Depth=1
	s_add_i32 s0, s57, 64
	s_add_u32 s0, s2, s0
	s_addc_u32 s1, s3, 0
	s_lshl_b64 s[0:1], s[0:1], 8
	s_add_u32 s24, s6, s0
	s_addc_u32 s25, s7, s1
.LBB623_8:                              ;   in Loop: Header=BB623_6 Depth=1
	v_cndmask_b32_e64 v2, 0, 1, s[42:43]
	v_cmp_ne_u32_e64 s[0:1], 1, v2
	s_andn2_b64 vcc, exec, s[42:43]
	s_cbranch_vccnz .LBB623_10
; %bb.9:                                ;   in Loop: Header=BB623_6 Depth=1
	s_add_i32 s28, s57, 64
	s_add_u32 s28, s60, s28
	s_addc_u32 s29, s61, 0
	s_mul_i32 s31, s28, s49
	s_mul_hi_u32 s42, s28, s53
	s_add_i32 s31, s42, s31
	s_mul_i32 s29, s29, s53
	s_add_i32 s31, s31, s29
	s_mul_i32 s28, s28, s53
	s_add_u32 s28, s28, s52
	s_addc_u32 s29, s31, s55
	s_lshl_b64 s[28:29], s[28:29], 8
	s_add_u32 s28, s4, s28
	s_addc_u32 s29, s5, s29
.LBB623_10:                             ;   in Loop: Header=BB623_6 Depth=1
	v_perm_b32 v3, v85, v63, s37
	v_perm_b32 v2, v62, v35, s37
	;; [unrolled: 1-line block ×4, first 2 shown]
	ds_write_b64 v56, v[2:3]
	ds_write_b64 v57, v[4:5]
	;; [unrolled: 1-line block ×4, first 2 shown]
	s_waitcnt lgkmcnt(0)
	s_barrier
	ds_read_b64 v[10:11], v64 offset:16384
	ds_read_b64 v[12:13], v66 offset:16384
	ds_read2st64_b64 v[2:5], v65 offset1:1
	ds_read2st64_b64 v[6:9], v65 offset0:2 offset1:3
	ds_read_b64 v[14:15], v67 offset:16384
	s_waitcnt lgkmcnt(2)
	v_mfma_f32_16x16x16_bf16 a[0:3], v[10:11], v[2:3], 0
	ds_read_b64 v[2:3], v68 offset:16384
	s_add_i32 s31, s57, 63
	s_mul_i32 s42, s31, s35
	v_mfma_f32_16x16x16_bf16 a[0:3], v[12:13], v[4:5], a[0:3]
	s_mul_hi_u32 s43, s31, s34
	s_add_i32 s43, s43, s42
	s_mul_i32 s42, s31, s34
	s_waitcnt lgkmcnt(1)
	v_mfma_f32_16x16x16_bf16 a[0:3], v[14:15], v[6:7], a[0:3]
	s_lshl_b64 s[42:43], s[42:43], 2
	s_add_u32 s42, s40, s42
	s_addc_u32 s43, s41, s43
	s_waitcnt lgkmcnt(0)
	v_mfma_f32_16x16x16_bf16 a[0:3], v[2:3], v[8:9], a[0:3]
	s_and_b64 vcc, exec, s[0:1]
	v_mov_b32_e32 v88, 0
	v_mov_b32_e32 v87, 0
	;; [unrolled: 1-line block ×19, first 2 shown]
	s_cbranch_vccnz .LBB623_12
; %bb.11:                               ;   in Loop: Header=BB623_6 Depth=1
	s_and_b32 s25, s25, 0xffff
	buffer_load_dwordx4 v[14:17], v52, s[24:27], 0 offen
	buffer_load_dwordx4 v[10:13], v52, s[24:27], s56 offen
	;; [unrolled: 1-line block ×4, first 2 shown]
	v_mov_b32_e32 v87, v54
	v_mov_b32_e32 v86, v55
.LBB623_12:                             ;   in Loop: Header=BB623_6 Depth=1
	s_waitcnt vmcnt(3)
	v_add_u32_e32 v24, s57, v78
	s_waitcnt vmcnt(1)
	v_ashrrev_i32_e32 v18, 31, v24
	v_mul_lo_u32 v20, v18, s34
	v_mul_lo_u32 v21, v24, s35
	v_mad_u64_u32 v[18:19], s[24:25], v24, s34, 0
	v_add3_u32 v19, v19, v21, v20
	v_add_u32_e32 v20, 1, v24
	v_ashrrev_i32_e32 v21, 31, v20
	v_mul_lo_u32 v22, v21, s34
	v_mul_lo_u32 v23, v20, s35
	v_mad_u64_u32 v[20:21], s[24:25], v20, s34, 0
	v_add3_u32 v21, v21, v23, v22
	v_add_u32_e32 v22, 2, v24
	v_ashrrev_i32_e32 v23, 31, v22
	v_mul_lo_u32 v25, v23, s34
	v_mul_lo_u32 v26, v22, s35
	v_mad_u64_u32 v[22:23], s[24:25], v22, s34, 0
	s_add_u32 s24, s2, s57
	v_add3_u32 v23, v23, v26, v25
	v_add_u32_e32 v26, 3, v24
	s_addc_u32 s25, s3, 0
	v_ashrrev_i32_e32 v24, 31, v26
	s_lshl_b64 s[64:65], s[24:25], 8
	v_lshl_add_u64 v[18:19], v[18:19], 2, s[40:41]
	v_mul_lo_u32 v27, v24, s34
	v_lshl_add_u64 v[24:25], v[38:39], 0, s[64:65]
	v_mul_lo_u32 v28, v26, s35
	global_load_ushort v90, v[24:25], off
	global_load_ushort v91, v[24:25], off offset:256
	global_load_ushort v92, v[24:25], off offset:512
	;; [unrolled: 1-line block ×3, first 2 shown]
	global_load_dword v94, v[18:19], off
	v_mad_u64_u32 v[18:19], s[24:25], v26, s34, 0
	v_lshl_add_u64 v[20:21], v[20:21], 2, s[40:41]
	v_add3_u32 v19, v19, v28, v27
	v_lshl_add_u64 v[22:23], v[22:23], 2, s[40:41]
	v_lshl_add_u64 v[18:19], v[18:19], 2, s[40:41]
	global_load_dword v95, v[20:21], off
	global_load_dword v96, v[22:23], off
	;; [unrolled: 1-line block ×3, first 2 shown]
	ds_read_b64 v[18:19], v64 offset:24576
	s_load_dword s24, s[42:43], 0x0
	ds_read_b64 v[28:29], v66 offset:24576
	ds_read2st64_b64 v[20:23], v69 offset1:1
	ds_read2st64_b64 v[24:27], v69 offset0:2 offset1:3
	ds_read_b64 v[30:31], v67 offset:24576
	ds_read_b64 v[32:33], v68 offset:24576
	s_waitcnt lgkmcnt(0)
	v_mfma_f32_16x16x16_bf16 a[0:3], v[18:19], v[20:21], a[0:3]
	v_mov_b32_e32 v89, 0
	v_mov_b32_e32 v18, 0
	;; [unrolled: 1-line block ×3, first 2 shown]
	v_mfma_f32_16x16x16_bf16 a[0:3], v[28:29], v[22:23], a[0:3]
	v_lshl_add_u64 v[28:29], v[40:41], 0, s[64:65]
	v_mov_b32_e32 v20, 0
	v_mov_b32_e32 v21, 0
	v_mfma_f32_16x16x16_bf16 a[0:3], v[30:31], v[24:25], a[0:3]
	v_mov_b32_e32 v22, 0
	v_mov_b32_e32 v23, 0
	;; [unrolled: 1-line block ×3, first 2 shown]
	v_mfma_f32_16x16x16_bf16 a[0:3], v[32:33], v[26:27], a[0:3]
	s_and_b64 vcc, exec, s[0:1]
	s_waitcnt vmcnt(7)
	v_lshlrev_b32_e32 v32, 16, v90
	s_nop 3
	v_accvgpr_read_b32 v31, a1
	v_accvgpr_read_b32 v27, a3
	;; [unrolled: 1-line block ×4, first 2 shown]
	s_waitcnt vmcnt(6)
	v_lshlrev_b32_e32 v33, 16, v91
	s_waitcnt vmcnt(4)
	v_lshlrev_b32_e32 v91, 16, v93
	v_lshlrev_b32_e32 v90, 16, v92
	s_waitcnt vmcnt(3)
	v_sub_f32_e32 v25, s24, v94
	v_pk_add_f32 v[30:31], v[32:33], v[30:31] neg_lo:[0,1] neg_hi:[0,1]
	v_pk_add_f32 v[26:27], v[90:91], v[26:27] neg_lo:[0,1] neg_hi:[0,1]
	v_mul_f32_e32 v25, 0x3fb8aa3b, v25
	s_waitcnt vmcnt(2)
	v_sub_f32_e32 v33, s24, v95
	s_waitcnt vmcnt(1)
	v_sub_f32_e32 v90, s24, v96
	;; [unrolled: 2-line block ×3, first 2 shown]
	v_exp_f32_e32 v32, v25
	v_mul_f32_e32 v25, 0x3fb8aa3b, v33
	v_mul_f32_e32 v90, 0x3fb8aa3b, v90
	;; [unrolled: 1-line block ×3, first 2 shown]
	v_exp_f32_e32 v33, v25
	v_exp_f32_e32 v90, v90
	;; [unrolled: 1-line block ×3, first 2 shown]
	global_store_short_d16_hi v[28:29], v30, off
	global_store_short_d16_hi v[28:29], v31, off offset:256
	global_store_short_d16_hi v[28:29], v26, off offset:512
	;; [unrolled: 1-line block ×3, first 2 shown]
	v_pk_mul_f32 v[28:29], v[32:33], v[30:31]
	v_pk_mul_f32 v[26:27], v[90:91], v[26:27]
	v_mov_b32_e32 v25, 0
	v_perm_b32 v27, v27, v26, s37
	v_perm_b32 v26, v29, v28, s37
	ds_write_b64 v57, v[26:27]
	v_mov_b32_e32 v26, 0
	v_mov_b32_e32 v27, 0
	v_mov_b32_e32 v28, 0
	v_mov_b32_e32 v29, 0
	v_mov_b32_e32 v30, 0
	v_mov_b32_e32 v31, 0
	v_mov_b32_e32 v32, 0
	v_mov_b32_e32 v33, 0
	s_cbranch_vccnz .LBB623_14
; %bb.13:                               ;   in Loop: Header=BB623_6 Depth=1
	s_and_b32 s29, s29, 0xffff
	s_mov_b32 s31, s27
	buffer_load_dwordx4 v[30:33], v76, s[28:31], 0 offen
	buffer_load_dwordx4 v[22:25], v76, s[28:31], s56 offen
	;; [unrolled: 1-line block ×4, first 2 shown]
	v_mov_b32_e32 v88, v51
	v_mov_b32_e32 v89, v50
.LBB623_14:                             ;   in Loop: Header=BB623_6 Depth=1
	s_waitcnt lgkmcnt(0)
	s_barrier
	ds_read_b64 v[98:99], v80
	ds_read2st64_b64 v[90:93], v69 offset1:1
	ds_read2st64_b64 v[94:97], v69 offset0:2 offset1:3
	ds_read_b64 v[100:101], v81
	ds_read_b64 v[102:103], v82
	;; [unrolled: 1-line block ×3, first 2 shown]
	s_waitcnt lgkmcnt(4)
	v_mfma_f32_16x16x16_bf16 a[0:3], v[98:99], v[90:91], 0
	ds_read_b64 v[98:99], v72 offset:8192
	ds_read_b64 v[106:107], v73 offset:8192
	s_add_i32 s25, s50, s62
	s_mul_hi_i32 s29, s25, s17
	s_waitcnt lgkmcnt(1)
	v_mfma_f32_16x16x16_bf16 a[4:7], v[98:99], v[90:91], 0
	s_mul_i32 s25, s25, s17
	s_add_u32 s28, s25, s33
	s_addc_u32 s29, s29, s54
	v_mfma_f32_16x16x16_bf16 a[0:3], v[100:101], v[92:93], a[0:3]
	ds_read_b64 v[98:99], v70
	ds_read_b64 v[100:101], v71
	ds_read_b64 v[90:91], v74 offset:8192
	s_lshl_b64 s[28:29], s[28:29], 15
	v_mfma_f32_16x16x16_bf16 a[0:3], v[102:103], v[94:95], a[0:3]
	ds_read_b64 v[102:103], v75 offset:8192
	s_and_b64 vcc, exec, s[0:1]
	s_waitcnt lgkmcnt(4)
	v_mfma_f32_16x16x16_bf16 a[4:7], v[106:107], v[92:93], a[4:7]
	s_waitcnt lgkmcnt(1)
	v_mfma_f32_16x16x16_bf16 a[4:7], v[90:91], v[94:95], a[4:7]
	v_lshl_add_u64 v[90:91], v[36:37], 0, s[28:29]
	global_store_dwordx4 v[90:91], v[98:101], off
	v_mfma_f32_16x16x16_bf16 a[0:3], v[104:105], v[96:97], a[0:3]
	s_waitcnt lgkmcnt(0)
	v_mfma_f32_16x16x16_bf16 a[4:7], v[102:103], v[96:97], a[4:7]
	s_cbranch_vccnz .LBB623_16
; %bb.15:                               ;   in Loop: Header=BB623_6 Depth=1
	v_lshrrev_b32_e32 v90, 3, v88
	v_and_b32_e32 v90, 6, v90
	v_xor_b32_e32 v89, v90, v89
	v_lshlrev_b32_e32 v89, 2, v89
	v_and_b32_e32 v88, 8, v88
	v_xor_b32_e32 v91, 0x440, v89
	v_cmp_eq_u32_e32 vcc, 0, v88
	s_barrier
	s_nop 0
	v_cndmask_b32_e32 v88, v91, v89, vcc
	v_lshl_or_b32 v88, v90, 10, v88
	s_waitcnt vmcnt(2)
	v_perm_b32 v89, v30, v26, s58
	s_waitcnt vmcnt(1)
	v_perm_b32 v90, v22, v18, s58
	ds_write2st64_b32 v88, v89, v90 offset1:32
	v_xor_b32_e32 v89, 8, v88
	v_perm_b32 v26, v30, v26, s59
	v_perm_b32 v18, v22, v18, s59
	v_add_u32_e32 v22, 0x80, v89
	ds_write2st64_b32 v22, v26, v18 offset1:32
	v_xor_b32_e32 v18, 16, v88
	v_perm_b32 v22, v31, v27, s58
	v_perm_b32 v26, v23, v19, s58
	ds_write2st64_b32 v18, v22, v26 offset0:1 offset1:33
	v_xor_b32_e32 v18, 24, v88
	v_perm_b32 v22, v31, v27, s59
	v_perm_b32 v19, v23, v19, s59
	v_add_u32_e32 v18, 0x80, v18
	ds_write2st64_b32 v18, v22, v19 offset0:1 offset1:33
	v_xor_b32_e32 v18, 32, v88
	v_perm_b32 v19, v32, v28, s58
	v_perm_b32 v22, v24, v20, s58
	ds_write2st64_b32 v18, v19, v22 offset0:2 offset1:34
	v_xor_b32_e32 v18, 40, v88
	v_perm_b32 v19, v32, v28, s59
	v_perm_b32 v20, v24, v20, s59
	v_add_u32_e32 v18, 0x80, v18
	ds_write2st64_b32 v18, v19, v20 offset0:2 offset1:34
	;; [unrolled: 9-line block ×3, first 2 shown]
	ds_write_b64 v87, v[14:15] offset:16384
	v_xor_b32_e32 v14, 8, v87
	ds_write_b64 v14, v[16:17] offset:16384
	ds_write_b64 v87, v[10:11] offset:24576
	;; [unrolled: 1-line block ×4, first 2 shown]
	v_xor_b32_e32 v6, 8, v86
	ds_write_b64 v6, v[8:9] offset:16384
	ds_write_b64 v86, v[2:3] offset:24576
	;; [unrolled: 1-line block ×3, first 2 shown]
.LBB623_16:                             ;   in Loop: Header=BB623_6 Depth=1
	v_mul_f32_e32 v2, s24, v79
	v_exp_f32_e32 v2, v2
	s_nop 1
	v_accvgpr_read_b32 v3, a0
	v_accvgpr_read_b32 v4, a1
	s_add_i32 s57, s57, 64
	v_fma_f32 v35, v35, v2, v3
	v_accvgpr_read_b32 v3, a2
	v_fma_f32 v63, v63, v2, v3
	v_accvgpr_read_b32 v3, a4
	;; [unrolled: 2-line block ×6, first 2 shown]
	v_fmac_f32_e32 v4, v85, v2
	s_cmp_eq_u32 s48, s39
	v_fmac_f32_e32 v3, v84, v2
	s_cbranch_scc1 .LBB623_18
; %bb.17:                               ;   in Loop: Header=BB623_6 Depth=1
	s_mov_b32 s62, s39
	v_mov_b32_e32 v85, v4
	v_mov_b32_e32 v84, v3
	s_branch .LBB623_6
.LBB623_18:
	s_lshl_b32 s42, s48, 6
	s_sub_i32 s43, s16, s42
	s_cmp_gt_i32 s43, 0
	s_cbranch_scc0 .LBB623_75
; %bb.19:
	s_ashr_i32 s39, s47, 31
	s_ashr_i32 s2, s42, 31
	s_cmpk_lg_i32 s19, 0x80
	s_cselect_b64 s[30:31], -1, 0
	s_and_b64 vcc, exec, s[30:31]
	s_cbranch_vccz .LBB623_21
; %bb.20:
	s_mul_i32 s1, s47, s16
	s_mul_hi_i32 s0, s47, s16
	s_add_u32 s1, s1, s42
	s_addc_u32 s0, s0, s2
	s_mul_i32 s3, s1, s49
	s_mul_hi_u32 s24, s1, s18
	s_add_i32 s3, s24, s3
	s_mul_i32 s0, s0, s18
	s_add_i32 s3, s3, s0
	s_mul_i32 s1, s1, s18
	s_ashr_i32 s0, s52, 31
	s_add_u32 s40, s1, s52
	s_addc_u32 s41, s3, s0
	s_cbranch_execz .LBB623_22
	s_branch .LBB623_23
.LBB623_21:
                                        ; implicit-def: $sgpr40_sgpr41
.LBB623_22:
	s_mul_hi_i32 s0, s47, s18
	s_mul_i32 s47, s47, s18
	s_ashr_i32 s1, s52, 31
	s_add_u32 s3, s47, s52
	s_addc_u32 s0, s0, s1
	s_mul_i32 s1, s3, s46
	s_mul_hi_u32 s18, s3, s16
	s_add_i32 s1, s18, s1
	s_mul_i32 s0, s0, s16
	s_add_i32 s1, s1, s0
	s_mul_i32 s3, s3, s16
	s_add_u32 s40, s3, s42
	s_addc_u32 s41, s1, s2
.LBB623_23:
	s_add_i32 s3, s50, s48
	s_ashr_i32 s18, s33, 31
	s_add_u32 s0, s45, s33
	s_addc_u32 s1, s51, s18
	s_mul_i32 s24, s0, s46
	s_mul_hi_u32 s25, s0, s16
	s_add_i32 s24, s25, s24
	s_mul_i32 s1, s1, s16
	s_add_i32 s24, s24, s1
	s_mul_i32 s0, s0, s16
	s_add_u32 s0, s0, s42
	s_addc_u32 s1, s24, s2
	s_mov_b32 s2, 0x7060302
	v_lshlrev_b32_e32 v6, 3, v1
	v_perm_b32 v5, v4, v63, s2
	v_perm_b32 v4, v62, v35, s2
	;; [unrolled: 1-line block ×4, first 2 shown]
	v_lshlrev_b32_e32 v34, 2, v1
	v_lshl_or_b32 v6, v48, 5, v6
	s_lshl_b64 s[28:29], s[0:1], 8
	ds_write2st64_b64 v6, v[4:5], v[2:3] offset0:72 offset1:76
	v_xor_b32_e32 v6, v48, v34
	v_lshlrev_b32_e32 v7, 8, v1
	s_add_u32 s0, s6, s28
	v_lshl_or_b32 v6, v6, 1, v7
	s_addc_u32 s1, s7, s29
	ds_write_b64 v6, v[4:5] offset:32768
	v_xor_b32_e32 v4, v49, v34
	s_mul_hi_i32 s6, s3, s17
	s_mul_i32 s3, s3, s17
	v_lshl_or_b32 v4, v4, 1, v7
	s_add_u32 s2, s3, s33
	ds_write_b64 v4, v[2:3] offset:32768
	s_addc_u32 s3, s6, s18
	v_lshlrev_b32_e32 v3, 1, v1
	v_lshrrev_b32_e32 v2, 4, v0
	s_ashr_i32 s37, s36, 31
	s_lshl_b64 s[2:3], s[2:3], 15
	v_or_b32_e32 v4, 1, v3
	s_add_u32 s6, s12, s2
	v_xor_b32_e32 v3, v2, v3
	v_xor_b32_e32 v4, v4, v2
	v_lshlrev_b32_e32 v6, 8, v2
	s_addc_u32 s7, s13, s3
	s_lshl_b64 s[2:3], s[36:37], 8
	v_lshl_or_b32 v2, v3, 3, v6
	v_lshl_or_b32 v4, v4, 3, v6
	s_waitcnt lgkmcnt(0)
	s_barrier
	s_add_u32 s2, s6, s2
	ds_read_b64 v[2:3], v2 offset:32768
	ds_read_b64 v[4:5], v4 offset:32768
	s_addc_u32 s3, s7, s3
	v_mov_b32_e32 v7, 0
	s_cmp_lg_u32 s43, 64
	v_lshl_add_u64 v[8:9], s[2:3], 0, v[6:7]
	v_lshlrev_b32_e32 v6, 4, v1
	s_cselect_b64 s[6:7], -1, 0
	v_lshl_or_b32 v35, v44, 3, v47
	s_mov_b32 s24, 0
	v_lshl_add_u64 v[6:7], v[8:9], 0, v[6:7]
	s_waitcnt vmcnt(1)
	v_or_b32_e32 v19, 32, v35
	v_and_b32_e32 v18, 56, v46
	s_and_b64 vcc, exec, s[6:7]
	s_waitcnt lgkmcnt(0)
	global_store_dwordx4 v[6:7], v[2:5], off
	s_cbranch_vccz .LBB623_29
; %bb.24:
	s_mov_b32 s25, s24
	s_mov_b32 s26, s24
	;; [unrolled: 1-line block ×3, first 2 shown]
	v_mov_b64_e32 v[6:7], s[24:25]
	v_mov_b64_e32 v[8:9], s[26:27]
	;; [unrolled: 1-line block ×3, first 2 shown]
	v_cmp_gt_i32_e32 vcc, s43, v35
	v_mov_b64_e32 v[4:5], v[8:9]
	s_and_saveexec_b64 s[2:3], vcc
	s_cbranch_execz .LBB623_26
; %bb.25:
	v_lshlrev_b32_e32 v2, 8, v35
	v_mov_b32_e32 v3, 0
	v_lshl_add_u64 v[4:5], s[0:1], 0, v[2:3]
	v_lshlrev_b32_e32 v2, 1, v18
	v_lshl_add_u64 v[10:11], v[4:5], 0, v[2:3]
	global_load_dwordx4 v[6:9], v[10:11], off
	global_load_dwordx4 v[2:5], v[10:11], off offset:128
.LBB623_26:
	s_or_b64 exec, exec, s[2:3]
	s_mov_b32 s25, s24
	s_mov_b32 s26, s24
	;; [unrolled: 1-line block ×3, first 2 shown]
	v_mov_b64_e32 v[14:15], s[24:25]
	v_mov_b64_e32 v[16:17], s[26:27]
	;; [unrolled: 1-line block ×3, first 2 shown]
	v_cmp_gt_i32_e32 vcc, s43, v19
	v_lshlrev_b32_e32 v20, 7, v19
	v_mov_b64_e32 v[12:13], v[16:17]
	s_and_saveexec_b64 s[2:3], vcc
	s_cbranch_execz .LBB623_28
; %bb.27:
	v_lshlrev_b32_e32 v10, 1, v20
	v_mov_b32_e32 v11, 0
	v_lshl_add_u64 v[12:13], s[0:1], 0, v[10:11]
	v_lshlrev_b32_e32 v10, 1, v18
	v_lshl_add_u64 v[22:23], v[12:13], 0, v[10:11]
	global_load_dwordx4 v[14:17], v[22:23], off
	global_load_dwordx4 v[10:13], v[22:23], off offset:128
.LBB623_28:
	s_or_b64 exec, exec, s[2:3]
	v_lshrrev_b32_e32 v21, 3, v18
	v_lshlrev_b32_e32 v22, 3, v35
	v_or_b32_e32 v21, v22, v21
	v_lshlrev_b32_e32 v21, 4, v21
	v_and_b32_e32 v22, 0x78, v22
	v_xor_b32_e32 v21, v21, v22
	s_branch .LBB623_31
.LBB623_29:
                                        ; implicit-def: $vgpr21
                                        ; implicit-def: $vgpr20
                                        ; implicit-def: $vgpr6_vgpr7_vgpr8_vgpr9
                                        ; implicit-def: $vgpr2_vgpr3_vgpr4_vgpr5
                                        ; implicit-def: $vgpr14_vgpr15_vgpr16_vgpr17
                                        ; implicit-def: $vgpr10_vgpr11_vgpr12_vgpr13
	s_cbranch_execz .LBB623_31
; %bb.30:
	s_waitcnt vmcnt(0)
	v_lshlrev_b32_e32 v2, 1, v18
	v_lshl_or_b32 v20, v35, 8, v2
	s_and_b32 s1, s1, 0xffff
	s_mov_b32 s3, 0x20000
	s_movk_i32 s2, 0x4000
	v_lshl_or_b32 v21, v19, 8, v2
	s_movk_i32 s12, 0x80
	buffer_load_dwordx4 v[6:9], v20, s[0:3], 0 offen
	buffer_load_dwordx4 v[2:5], v20, s[0:3], s12 offen
	;; [unrolled: 1-line block ×4, first 2 shown]
	v_lshrrev_b32_e32 v20, 3, v18
	v_lshlrev_b32_e32 v21, 3, v35
	v_or_b32_e32 v20, v21, v20
	v_lshlrev_b32_e32 v20, 4, v20
	v_and_b32_e32 v21, 0x78, v21
	v_xor_b32_e32 v21, v20, v21
	v_lshlrev_b32_e32 v20, 7, v19
.LBB623_31:
	s_lshl_b64 s[0:1], s[40:41], 8
	s_add_u32 s4, s4, s0
	s_movk_i32 s0, 0x1000
	v_and_or_b32 v19, v20, s0, v21
	s_waitcnt vmcnt(1)
	ds_write_b64 v21, v[6:7] offset:16384
	v_xor_b32_e32 v6, 8, v21
	ds_write_b64 v6, v[8:9] offset:16384
	s_waitcnt vmcnt(0)
	ds_write_b64 v21, v[2:3] offset:24576
	ds_write_b64 v6, v[4:5] offset:24576
	;; [unrolled: 1-line block ×3, first 2 shown]
	v_xor_b32_e32 v2, 8, v19
	ds_write_b64 v2, v[16:17] offset:16384
	ds_write_b64 v19, v[10:11] offset:24576
	;; [unrolled: 1-line block ×3, first 2 shown]
	v_or_b32_e32 v2, v42, v1
	s_addc_u32 s5, s5, s1
	s_add_i32 s2, s16, -1
	v_lshlrev_b32_e32 v2, 3, v2
	v_lshrrev_b32_e32 v4, 5, v43
	s_movk_i32 s16, 0xf8
	v_and_or_b32 v4, v2, s16, v4
	v_lshlrev_b32_e32 v3, 11, v44
	v_lshlrev_b32_e32 v12, 4, v4
	v_and_b32_e32 v13, 0x78, v2
	v_and_b32_e32 v14, 0x1000, v3
	v_lshlrev_b32_e32 v3, 2, v0
	v_xor_b32_e32 v2, v12, v13
	v_lshrrev_b32_e32 v4, 1, v43
	v_and_b32_e32 v3, 60, v3
	v_or_b32_e32 v2, v2, v14
	v_and_b32_e32 v15, 8, v4
	v_xor_b32_e32 v26, v2, v15
	v_lshl_or_b32 v2, v45, 6, v3
	v_lshlrev_b32_e32 v19, 1, v2
	v_or_b32_e32 v2, 32, v12
	v_xor_b32_e32 v2, v2, v13
	s_waitcnt lgkmcnt(0)
	s_barrier
	ds_read_b64 v[10:11], v26 offset:16384
	v_or_b32_e32 v2, v2, v14
	v_xor_b32_e32 v27, v2, v15
	v_or_b32_e32 v2, 64, v12
	v_xor_b32_e32 v2, v2, v13
	v_or_b32_e32 v2, v2, v14
	v_or_b32_e32 v12, 0x60, v12
	v_xor_b32_e32 v28, v2, v15
	ds_read2st64_b64 v[2:5], v19 offset0:72 offset1:73
	ds_read2st64_b64 v[6:9], v19 offset0:74 offset1:75
	v_xor_b32_e32 v16, v12, v13
	ds_read_b64 v[12:13], v27 offset:16384
	s_waitcnt lgkmcnt(2)
	v_mfma_f32_16x16x16_bf16 a[0:3], v[10:11], v[2:3], 0
	s_add_i32 s0, s44, s21
	s_mul_i32 s39, s39, s20
	s_add_i32 s39, s0, s39
	s_mul_i32 s0, s33, s23
	s_mul_hi_u32 s1, s33, s22
	s_ashr_i32 s3, s2, 31
	s_mul_i32 s12, s2, s35
	s_mul_hi_u32 s13, s2, s34
	s_add_i32 s0, s1, s0
	s_mul_i32 s1, s18, s22
	s_add_i32 s12, s13, s12
	s_mul_i32 s3, s3, s34
	v_or_b32_e32 v14, v16, v14
	s_add_i32 s1, s0, s1
	s_add_i32 s3, s12, s3
	s_lshl_b64 s[12:13], s[38:39], 2
	v_xor_b32_e32 v36, v14, v15
	ds_read_b64 v[14:15], v28 offset:16384
	ds_read_b64 v[16:17], v36 offset:16384
	s_waitcnt lgkmcnt(2)
	v_mfma_f32_16x16x16_bf16 a[0:3], v[12:13], v[4:5], a[0:3]
	s_mul_i32 s0, s33, s22
	s_add_u32 s10, s10, s12
	s_addc_u32 s11, s11, s13
	s_lshl_b64 s[0:1], s[0:1], 2
	s_mul_i32 s2, s2, s34
	s_add_u32 s10, s10, s0
	s_addc_u32 s11, s11, s1
	s_lshl_b64 s[0:1], s[2:3], 2
	s_waitcnt lgkmcnt(1)
	v_mfma_f32_16x16x16_bf16 a[0:3], v[14:15], v[6:7], a[0:3]
	s_add_u32 s0, s10, s0
	s_addc_u32 s1, s11, s1
	s_load_dword s12, s[0:1], 0x0
	s_waitcnt lgkmcnt(0)
	v_mfma_f32_16x16x16_bf16 a[0:3], v[16:17], v[8:9], a[0:3]
	s_and_b64 vcc, exec, s[30:31]
	s_cbranch_vccz .LBB623_42
; %bb.32:
	v_lshlrev_b32_e32 v20, 1, v35
	s_and_b64 vcc, exec, s[6:7]
	s_cbranch_vccz .LBB623_43
; %bb.33:
	v_cmp_gt_i32_e32 vcc, s43, v20
	v_mov_b32_e32 v6, 0
	v_mov_b32_e32 v2, 0
	;; [unrolled: 1-line block ×5, first 2 shown]
	s_and_saveexec_b64 s[0:1], vcc
	s_cbranch_execz .LBB623_35
; %bb.34:
	v_mad_i64_i32 v[2:3], s[2:3], s19, v20, 0
	v_lshl_add_u64 v[2:3], v[2:3], 1, s[4:5]
	v_lshlrev_b32_e32 v4, 1, v18
	v_mov_b32_e32 v5, 0
	v_lshl_add_u64 v[2:3], v[2:3], 0, v[4:5]
	global_load_dwordx4 v[2:5], v[2:3], off
.LBB623_35:
	s_or_b64 exec, exec, s[0:1]
	v_or_b32_e32 v21, 1, v20
	v_cmp_gt_i32_e64 s[0:1], s43, v21
	v_mov_b32_e32 v7, 0
	v_mov_b32_e32 v8, 0
	;; [unrolled: 1-line block ×3, first 2 shown]
	s_and_saveexec_b64 s[2:3], s[0:1]
	s_cbranch_execz .LBB623_37
; %bb.36:
	v_mad_i64_i32 v[6:7], s[16:17], s19, v21, 0
	v_lshl_add_u64 v[6:7], v[6:7], 1, s[4:5]
	v_lshlrev_b32_e32 v8, 1, v18
	v_mov_b32_e32 v9, 0
	v_lshl_add_u64 v[6:7], v[6:7], 0, v[8:9]
	global_load_dwordx4 v[6:9], v[6:7], off
.LBB623_37:
	s_or_b64 exec, exec, s[2:3]
	v_mov_b32_e32 v17, 0
	v_mov_b32_e32 v10, 0
	v_mov_b32_e32 v11, 0
	v_mov_b32_e32 v12, 0
	v_mov_b32_e32 v13, 0
	s_and_saveexec_b64 s[2:3], vcc
	s_cbranch_execz .LBB623_39
; %bb.38:
	v_mad_i64_i32 v[10:11], s[16:17], s19, v20, 0
	v_lshl_add_u64 v[10:11], v[10:11], 1, s[4:5]
	v_lshlrev_b32_e32 v12, 1, v18
	v_mov_b32_e32 v13, 0
	v_lshl_add_u64 v[10:11], v[10:11], 0, v[12:13]
	global_load_dwordx4 v[10:13], v[10:11], off offset:128
.LBB623_39:
	s_or_b64 exec, exec, s[2:3]
	v_mov_b32_e32 v16, 0
	v_mov_b32_e32 v15, 0
	;; [unrolled: 1-line block ×3, first 2 shown]
	s_and_saveexec_b64 s[2:3], s[0:1]
	s_cbranch_execz .LBB623_41
; %bb.40:
	v_mad_i64_i32 v[14:15], s[0:1], s19, v21, 0
	v_lshl_add_u64 v[14:15], v[14:15], 1, s[4:5]
	v_lshlrev_b32_e32 v16, 1, v18
	v_mov_b32_e32 v17, 0
	v_lshl_add_u64 v[14:15], v[14:15], 0, v[16:17]
	global_load_dwordx4 v[14:17], v[14:15], off offset:128
.LBB623_41:
	s_or_b64 exec, exec, s[2:3]
	s_branch .LBB623_45
.LBB623_42:
                                        ; implicit-def: $vgpr5
                                        ; implicit-def: $vgpr9
                                        ; implicit-def: $vgpr13
                                        ; implicit-def: $vgpr17
	v_lshrrev_b32_e32 v37, 2, v43
	s_branch .LBB623_46
.LBB623_43:
                                        ; implicit-def: $vgpr5
                                        ; implicit-def: $vgpr9
                                        ; implicit-def: $vgpr13
                                        ; implicit-def: $vgpr17
	s_cbranch_execz .LBB623_45
; %bb.44:
	s_waitcnt vmcnt(0)
	v_mad_u64_u32 v[2:3], s[0:1], v20, s19, v[18:19]
	v_lshlrev_b32_e32 v20, 1, v2
	s_lshl_b32 s2, s19, 7
	s_and_b32 s1, s5, 0xffff
	s_mov_b32 s3, 0x20000
	s_mov_b32 s0, s4
	v_add_lshl_u32 v21, v2, s19, 1
	s_movk_i32 s13, 0x80
	buffer_load_dwordx4 v[2:5], v20, s[0:3], 0 offen
	buffer_load_dwordx4 v[10:13], v20, s[0:3], s13 offen
	buffer_load_dwordx4 v[6:9], v21, s[0:3], 0 offen
	buffer_load_dwordx4 v[14:17], v21, s[0:3], s13 offen
.LBB623_45:
	v_lshrrev_b32_e32 v37, 2, v43
	s_cbranch_execnz .LBB623_58
.LBB623_46:
	s_and_b64 vcc, exec, s[6:7]
	s_cbranch_vccz .LBB623_56
; %bb.47:
	s_waitcnt vmcnt(0)
	v_lshlrev_b32_e32 v7, 1, v35
	v_cmp_gt_i32_e32 vcc, s43, v7
	v_mov_b32_e32 v6, 0
	v_lshlrev_b32_e32 v14, 9, v35
	v_mov_b32_e32 v2, 0
	v_mov_b32_e32 v3, 0
	;; [unrolled: 1-line block ×4, first 2 shown]
	s_and_saveexec_b64 s[0:1], vcc
	s_cbranch_execz .LBB623_49
; %bb.48:
	v_mov_b32_e32 v15, 0
	v_lshl_add_u64 v[2:3], s[4:5], 0, v[14:15]
	v_lshlrev_b32_e32 v4, 1, v18
	v_mov_b32_e32 v5, v15
	v_lshl_add_u64 v[2:3], v[2:3], 0, v[4:5]
	global_load_dwordx4 v[2:5], v[2:3], off
.LBB623_49:
	s_or_b64 exec, exec, s[0:1]
	v_or_b32_e32 v7, 1, v7
	v_cmp_gt_i32_e64 s[0:1], s43, v7
	v_lshlrev_b32_e32 v20, 8, v7
	v_mov_b32_e32 v7, 0
	v_mov_b32_e32 v8, 0
	;; [unrolled: 1-line block ×3, first 2 shown]
	s_and_saveexec_b64 s[2:3], s[0:1]
	s_cbranch_execz .LBB623_51
; %bb.50:
	v_mov_b32_e32 v21, 0
	v_lshl_add_u64 v[6:7], s[4:5], 0, v[20:21]
	v_lshlrev_b32_e32 v8, 1, v18
	v_mov_b32_e32 v9, v21
	v_lshl_add_u64 v[6:7], v[6:7], 0, v[8:9]
	global_load_dwordx4 v[6:9], v[6:7], off
.LBB623_51:
	s_or_b64 exec, exec, s[2:3]
	v_mov_b32_e32 v17, 0
	v_mov_b32_e32 v10, 0
	;; [unrolled: 1-line block ×5, first 2 shown]
	s_and_saveexec_b64 s[2:3], vcc
	s_cbranch_execz .LBB623_53
; %bb.52:
	v_mov_b32_e32 v15, 0
	v_lshl_add_u64 v[10:11], s[4:5], 0, v[14:15]
	v_lshlrev_b32_e32 v14, 1, v18
	v_lshl_add_u64 v[10:11], v[10:11], 0, v[14:15]
	global_load_dwordx4 v[10:13], v[10:11], off offset:128
.LBB623_53:
	s_or_b64 exec, exec, s[2:3]
	v_mov_b32_e32 v16, 0
	v_mov_b32_e32 v15, 0
	;; [unrolled: 1-line block ×3, first 2 shown]
	s_and_saveexec_b64 s[2:3], s[0:1]
	s_cbranch_execz .LBB623_55
; %bb.54:
	v_mov_b32_e32 v21, 0
	v_lshl_add_u64 v[14:15], s[4:5], 0, v[20:21]
	v_lshlrev_b32_e32 v20, 1, v18
	v_lshl_add_u64 v[14:15], v[14:15], 0, v[20:21]
	global_load_dwordx4 v[14:17], v[14:15], off offset:128
.LBB623_55:
	s_or_b64 exec, exec, s[2:3]
	s_branch .LBB623_58
.LBB623_56:
                                        ; implicit-def: $vgpr5
                                        ; implicit-def: $vgpr9
                                        ; implicit-def: $vgpr13
                                        ; implicit-def: $vgpr17
	s_cbranch_execz .LBB623_58
; %bb.57:
	s_waitcnt vmcnt(0)
	v_lshlrev_b32_e32 v2, 1, v18
	v_lshl_or_b32 v18, v35, 9, v2
	s_and_b32 s5, s5, 0xffff
	s_mov_b32 s7, 0x20000
	s_movk_i32 s6, 0x4000
	s_movk_i32 s0, 0x80
	buffer_load_dwordx4 v[2:5], v18, s[4:7], 0 offen
	buffer_load_dwordx4 v[6:9], v18, s[4:7], 0 offen offset:256
	buffer_load_dwordx4 v[10:13], v18, s[4:7], s0 offen
	buffer_load_dwordx4 v[14:17], v18, s[4:7], s0 offen offset:256
.LBB623_58:
	ds_read2st64_b64 v[22:25], v19 offset0:76 offset1:77
	ds_read2st64_b64 v[18:21], v19 offset0:78 offset1:79
	ds_read_b64 v[32:33], v26 offset:24576
	ds_read_b64 v[30:31], v27 offset:24576
	;; [unrolled: 1-line block ×4, first 2 shown]
	v_and_b32_e32 v36, 6, v0
	v_xor_b32_e32 v35, v35, v36
	v_lshlrev_b32_e32 v35, 2, v35
	v_and_b32_e32 v0, 1, v0
	v_xor_b32_e32 v38, 0x440, v35
	v_cmp_eq_u32_e32 vcc, 0, v0
	s_mov_b32 s0, 0x1000504
	s_mov_b32 s1, 0x3020706
	v_cndmask_b32_e32 v0, v38, v35, vcc
	v_lshl_or_b32 v0, v36, 10, v0
	s_waitcnt vmcnt(0)
	v_perm_b32 v35, v2, v6, s0
	v_perm_b32 v36, v10, v14, s0
	ds_write2st64_b32 v0, v35, v36 offset1:32
	v_xor_b32_e32 v35, 8, v0
	v_perm_b32 v2, v2, v6, s1
	v_perm_b32 v6, v10, v14, s1
	v_add_u32_e32 v10, 0x80, v35
	ds_write2st64_b32 v10, v2, v6 offset1:32
	v_xor_b32_e32 v2, 16, v0
	v_perm_b32 v6, v3, v7, s0
	v_perm_b32 v10, v11, v15, s0
	ds_write2st64_b32 v2, v6, v10 offset0:1 offset1:33
	v_xor_b32_e32 v2, 24, v0
	v_perm_b32 v3, v3, v7, s1
	v_perm_b32 v6, v11, v15, s1
	v_add_u32_e32 v2, 0x80, v2
	ds_write2st64_b32 v2, v3, v6 offset0:1 offset1:33
	v_xor_b32_e32 v2, 32, v0
	v_perm_b32 v3, v4, v8, s0
	v_perm_b32 v6, v12, v16, s0
	ds_write2st64_b32 v2, v3, v6 offset0:2 offset1:34
	v_xor_b32_e32 v2, 40, v0
	v_perm_b32 v3, v4, v8, s1
	v_perm_b32 v4, v12, v16, s1
	v_add_u32_e32 v2, 0x80, v2
	ds_write2st64_b32 v2, v3, v4 offset0:2 offset1:34
	v_xor_b32_e32 v2, 48, v0
	v_perm_b32 v3, v5, v9, s0
	v_perm_b32 v4, v13, v17, s0
	v_xor_b32_e32 v0, 56, v0
	v_and_or_b32 v8, v37, 12, v42
	ds_write2st64_b32 v2, v3, v4 offset0:3 offset1:35
	v_perm_b32 v2, v5, v9, s1
	v_perm_b32 v3, v13, v17, s1
	v_add_u32_e32 v0, 0x80, v0
	v_cmp_gt_i32_e32 vcc, s43, v8
	v_mov_b32_e32 v9, 0
	v_mov_b32_e32 v14, 0
	ds_write2st64_b32 v0, v2, v3 offset0:3 offset1:35
	s_and_saveexec_b64 s[0:1], vcc
	s_cbranch_execz .LBB623_60
; %bb.59:
	v_add_u32_e32 v0, s42, v8
	v_ashrrev_i32_e32 v2, 31, v0
	v_mul_lo_u32 v4, v2, s34
	v_mul_lo_u32 v5, v0, s35
	v_mad_u64_u32 v[2:3], s[2:3], v0, s34, 0
	v_add3_u32 v3, v3, v5, v4
	v_lshl_add_u64 v[2:3], v[2:3], 2, s[10:11]
	global_load_dword v0, v[2:3], off
	s_waitcnt vmcnt(0)
	v_sub_f32_e32 v0, s12, v0
	v_mul_f32_e32 v0, 0x3fb8aa3b, v0
	v_exp_f32_e32 v14, v0
.LBB623_60:
	s_or_b64 exec, exec, s[0:1]
	v_or_b32_e32 v12, 1, v8
	v_cmp_gt_i32_e64 s[2:3], s43, v12
	s_and_saveexec_b64 s[0:1], s[2:3]
	s_cbranch_execz .LBB623_62
; %bb.61:
	v_add_u32_e32 v0, s42, v12
	v_ashrrev_i32_e32 v2, 31, v0
	v_mul_lo_u32 v4, v2, s34
	v_mul_lo_u32 v5, v0, s35
	v_mad_u64_u32 v[2:3], s[4:5], v0, s34, 0
	v_add3_u32 v3, v3, v5, v4
	v_lshl_add_u64 v[2:3], v[2:3], 2, s[10:11]
	global_load_dword v0, v[2:3], off
	s_waitcnt vmcnt(0)
	v_sub_f32_e32 v0, s12, v0
	v_mul_f32_e32 v0, 0x3fb8aa3b, v0
	v_exp_f32_e32 v9, v0
.LBB623_62:
	s_or_b64 exec, exec, s[0:1]
	v_or_b32_e32 v11, 2, v8
	v_cmp_gt_i32_e64 s[0:1], s43, v11
	v_mov_b32_e32 v10, 0
	v_mov_b32_e32 v15, 0
	s_and_saveexec_b64 s[4:5], s[0:1]
	s_cbranch_execz .LBB623_64
; %bb.63:
	v_add_u32_e32 v0, s42, v11
	v_ashrrev_i32_e32 v2, 31, v0
	v_mul_lo_u32 v4, v2, s34
	v_mul_lo_u32 v5, v0, s35
	v_mad_u64_u32 v[2:3], s[6:7], v0, s34, 0
	v_add3_u32 v3, v3, v5, v4
	v_lshl_add_u64 v[2:3], v[2:3], 2, s[10:11]
	global_load_dword v0, v[2:3], off
	s_waitcnt vmcnt(0)
	v_sub_f32_e32 v0, s12, v0
	v_mul_f32_e32 v0, 0x3fb8aa3b, v0
	v_exp_f32_e32 v15, v0
.LBB623_64:
	s_or_b64 exec, exec, s[4:5]
	v_or_b32_e32 v13, 3, v8
	v_cmp_gt_i32_e64 s[4:5], s43, v13
	s_and_saveexec_b64 s[6:7], s[4:5]
	s_cbranch_execz .LBB623_66
; %bb.65:
	v_add_u32_e32 v0, s42, v13
	v_ashrrev_i32_e32 v2, 31, v0
	v_mul_lo_u32 v4, v2, s34
	v_mul_lo_u32 v5, v0, s35
	v_mad_u64_u32 v[2:3], s[16:17], v0, s34, 0
	v_add3_u32 v3, v3, v5, v4
	v_lshl_add_u64 v[2:3], v[2:3], 2, s[10:11]
	global_load_dword v0, v[2:3], off
	s_waitcnt vmcnt(0)
	v_sub_f32_e32 v0, s12, v0
	v_mul_f32_e32 v0, 0x3fb8aa3b, v0
	v_exp_f32_e32 v10, v0
.LBB623_66:
	s_or_b64 exec, exec, s[6:7]
	s_waitcnt lgkmcnt(11)
	v_mfma_f32_16x16x16_bf16 a[0:3], v[32:33], v[22:23], a[0:3]
	v_or_b32_e32 v0, s36, v1
	s_add_u32 s6, s8, s28
	v_ashrrev_i32_e32 v1, 31, v0
	s_waitcnt lgkmcnt(10)
	v_mfma_f32_16x16x16_bf16 a[0:3], v[30:31], v[24:25], a[0:3]
	s_addc_u32 s7, s9, s29
	v_lshlrev_b64 v[0:1], 1, v[0:1]
	v_lshl_add_u64 v[4:5], s[6:7], 0, v[0:1]
	s_waitcnt lgkmcnt(9)
	v_mfma_f32_16x16x16_bf16 a[0:3], v[28:29], v[18:19], a[0:3]
	s_add_u32 s6, s14, s28
	s_addc_u32 s7, s15, s29
	v_lshl_add_u64 v[6:7], s[6:7], 0, v[0:1]
	s_waitcnt lgkmcnt(8)
	v_mfma_f32_16x16x16_bf16 a[0:3], v[26:27], v[20:21], a[0:3]
	v_mov_b32_e32 v16, 0
	v_mov_b32_e32 v17, 0
	s_nop 4
	v_accvgpr_read_b32 v0, a0
	v_accvgpr_read_b32 v1, a1
	;; [unrolled: 1-line block ×4, first 2 shown]
	s_and_saveexec_b64 s[6:7], vcc
	s_cbranch_execz .LBB623_68
; %bb.67:
	v_lshlrev_b32_e32 v18, 8, v8
	v_mov_b32_e32 v19, 0
	v_lshl_add_u64 v[20:21], v[4:5], 0, v[18:19]
	global_load_ushort v17, v[20:21], off
	v_lshl_add_u64 v[18:19], v[6:7], 0, v[18:19]
	s_waitcnt vmcnt(0)
	v_lshlrev_b32_e32 v17, 16, v17
	v_sub_f32_e32 v0, v17, v0
	global_store_short_d16_hi v[18:19], v0, off
	v_mul_f32_e32 v0, v14, v0
	v_lshrrev_b32_e32 v17, 16, v0
.LBB623_68:
	s_or_b64 exec, exec, s[6:7]
	s_and_saveexec_b64 s[6:7], s[2:3]
	s_cbranch_execz .LBB623_70
; %bb.69:
	v_lshlrev_b32_e32 v18, 8, v12
	v_mov_b32_e32 v19, 0
	v_lshl_add_u64 v[20:21], v[4:5], 0, v[18:19]
	global_load_ushort v0, v[20:21], off
	v_lshl_add_u64 v[18:19], v[6:7], 0, v[18:19]
	s_waitcnt vmcnt(0)
	v_lshlrev_b32_e32 v0, 16, v0
	v_sub_f32_e32 v0, v0, v1
	global_store_short_d16_hi v[18:19], v0, off
	v_mul_f32_e32 v0, v9, v0
	v_lshrrev_b32_e32 v16, 16, v0
.LBB623_70:
	s_or_b64 exec, exec, s[6:7]
	v_mov_b32_e32 v0, 0
	v_mov_b32_e32 v1, 0
	s_and_saveexec_b64 s[2:3], s[0:1]
	s_cbranch_execz .LBB623_72
; %bb.71:
	v_lshlrev_b32_e32 v18, 8, v11
	v_mov_b32_e32 v19, 0
	v_lshl_add_u64 v[20:21], v[4:5], 0, v[18:19]
	global_load_ushort v1, v[20:21], off
	v_lshl_add_u64 v[18:19], v[6:7], 0, v[18:19]
	s_waitcnt vmcnt(0)
	v_lshlrev_b32_e32 v1, 16, v1
	v_sub_f32_e32 v1, v1, v2
	global_store_short_d16_hi v[18:19], v1, off
	v_mul_f32_e32 v1, v15, v1
	v_lshrrev_b32_e32 v1, 16, v1
.LBB623_72:
	s_or_b64 exec, exec, s[2:3]
	s_and_saveexec_b64 s[0:1], s[4:5]
	s_cbranch_execz .LBB623_74
; %bb.73:
	v_lshlrev_b32_e32 v12, 8, v13
	v_mov_b32_e32 v13, 0
	v_lshl_add_u64 v[4:5], v[4:5], 0, v[12:13]
	global_load_ushort v0, v[4:5], off
	v_lshl_add_u64 v[4:5], v[6:7], 0, v[12:13]
	s_waitcnt vmcnt(0)
	v_lshlrev_b32_e32 v0, 16, v0
	v_sub_f32_e32 v0, v0, v3
	global_store_short_d16_hi v[4:5], v0, off
	v_mul_f32_e32 v0, v10, v0
	v_lshrrev_b32_e32 v0, 16, v0
.LBB623_74:
	s_or_b64 exec, exec, s[0:1]
	s_mov_b32 s0, 0x5040100
	v_lshlrev_b32_e32 v2, 1, v34
	v_perm_b32 v1, v0, v1, s0
	v_perm_b32 v0, v16, v17, s0
	v_lshl_or_b32 v2, v8, 5, v2
	ds_write_b64 v2, v[0:1] offset:38912
	s_waitcnt lgkmcnt(0)
	s_barrier
.LBB623_75:
	s_endpgm
	.section	.rodata,"a",@progbits
	.p2align	6, 0x0
	.amdhsa_kernel _ZN12_GLOBAL__N_139chunk_gated_delta_rule_fwd_h_hip_kernelILi16ELb0ELb0ELb1ELb0ELb0ELb0ELb1ELb1EEEvPK12hip_bfloat16S3_S3_PKfS5_PKvPS1_S8_PvPKiSB_iiiiilll
		.amdhsa_group_segment_fixed_size 40960
		.amdhsa_private_segment_fixed_size 0
		.amdhsa_kernarg_size 136
		.amdhsa_user_sgpr_count 2
		.amdhsa_user_sgpr_dispatch_ptr 0
		.amdhsa_user_sgpr_queue_ptr 0
		.amdhsa_user_sgpr_kernarg_segment_ptr 1
		.amdhsa_user_sgpr_dispatch_id 0
		.amdhsa_user_sgpr_kernarg_preload_length 0
		.amdhsa_user_sgpr_kernarg_preload_offset 0
		.amdhsa_user_sgpr_private_segment_size 0
		.amdhsa_uses_dynamic_stack 0
		.amdhsa_enable_private_segment 0
		.amdhsa_system_sgpr_workgroup_id_x 1
		.amdhsa_system_sgpr_workgroup_id_y 1
		.amdhsa_system_sgpr_workgroup_id_z 0
		.amdhsa_system_sgpr_workgroup_info 0
		.amdhsa_system_vgpr_workitem_id 0
		.amdhsa_next_free_vgpr 116
		.amdhsa_next_free_sgpr 66
		.amdhsa_accum_offset 108
		.amdhsa_reserve_vcc 1
		.amdhsa_float_round_mode_32 0
		.amdhsa_float_round_mode_16_64 0
		.amdhsa_float_denorm_mode_32 3
		.amdhsa_float_denorm_mode_16_64 3
		.amdhsa_dx10_clamp 1
		.amdhsa_ieee_mode 1
		.amdhsa_fp16_overflow 0
		.amdhsa_tg_split 0
		.amdhsa_exception_fp_ieee_invalid_op 0
		.amdhsa_exception_fp_denorm_src 0
		.amdhsa_exception_fp_ieee_div_zero 0
		.amdhsa_exception_fp_ieee_overflow 0
		.amdhsa_exception_fp_ieee_underflow 0
		.amdhsa_exception_fp_ieee_inexact 0
		.amdhsa_exception_int_div_zero 0
	.end_amdhsa_kernel
	.section	.text._ZN12_GLOBAL__N_139chunk_gated_delta_rule_fwd_h_hip_kernelILi16ELb0ELb0ELb1ELb0ELb0ELb0ELb1ELb1EEEvPK12hip_bfloat16S3_S3_PKfS5_PKvPS1_S8_PvPKiSB_iiiiilll,"axG",@progbits,_ZN12_GLOBAL__N_139chunk_gated_delta_rule_fwd_h_hip_kernelILi16ELb0ELb0ELb1ELb0ELb0ELb0ELb1ELb1EEEvPK12hip_bfloat16S3_S3_PKfS5_PKvPS1_S8_PvPKiSB_iiiiilll,comdat
.Lfunc_end623:
	.size	_ZN12_GLOBAL__N_139chunk_gated_delta_rule_fwd_h_hip_kernelILi16ELb0ELb0ELb1ELb0ELb0ELb0ELb1ELb1EEEvPK12hip_bfloat16S3_S3_PKfS5_PKvPS1_S8_PvPKiSB_iiiiilll, .Lfunc_end623-_ZN12_GLOBAL__N_139chunk_gated_delta_rule_fwd_h_hip_kernelILi16ELb0ELb0ELb1ELb0ELb0ELb0ELb1ELb1EEEvPK12hip_bfloat16S3_S3_PKfS5_PKvPS1_S8_PvPKiSB_iiiiilll
                                        ; -- End function
	.section	.AMDGPU.csdata,"",@progbits
; Kernel info:
; codeLenInByte = 7376
; NumSgprs: 72
; NumVgprs: 108
; NumAgprs: 8
; TotalNumVgprs: 116
; ScratchSize: 0
; MemoryBound: 0
; FloatMode: 240
; IeeeMode: 1
; LDSByteSize: 40960 bytes/workgroup (compile time only)
; SGPRBlocks: 8
; VGPRBlocks: 14
; NumSGPRsForWavesPerEU: 72
; NumVGPRsForWavesPerEU: 116
; AccumOffset: 108
; Occupancy: 1
; WaveLimiterHint : 1
; COMPUTE_PGM_RSRC2:SCRATCH_EN: 0
; COMPUTE_PGM_RSRC2:USER_SGPR: 2
; COMPUTE_PGM_RSRC2:TRAP_HANDLER: 0
; COMPUTE_PGM_RSRC2:TGID_X_EN: 1
; COMPUTE_PGM_RSRC2:TGID_Y_EN: 1
; COMPUTE_PGM_RSRC2:TGID_Z_EN: 0
; COMPUTE_PGM_RSRC2:TIDIG_COMP_CNT: 0
; COMPUTE_PGM_RSRC3_GFX90A:ACCUM_OFFSET: 26
; COMPUTE_PGM_RSRC3_GFX90A:TG_SPLIT: 0
	.section	.text._ZN12_GLOBAL__N_139chunk_gated_delta_rule_fwd_h_hip_kernelILi16ELb0ELb0ELb0ELb0ELb0ELb0ELb1ELb1EEEvPK12hip_bfloat16S3_S3_PKfS5_PKvPS1_S8_PvPKiSB_iiiiilll,"axG",@progbits,_ZN12_GLOBAL__N_139chunk_gated_delta_rule_fwd_h_hip_kernelILi16ELb0ELb0ELb0ELb0ELb0ELb0ELb1ELb1EEEvPK12hip_bfloat16S3_S3_PKfS5_PKvPS1_S8_PvPKiSB_iiiiilll,comdat
	.globl	_ZN12_GLOBAL__N_139chunk_gated_delta_rule_fwd_h_hip_kernelILi16ELb0ELb0ELb0ELb0ELb0ELb0ELb1ELb1EEEvPK12hip_bfloat16S3_S3_PKfS5_PKvPS1_S8_PvPKiSB_iiiiilll ; -- Begin function _ZN12_GLOBAL__N_139chunk_gated_delta_rule_fwd_h_hip_kernelILi16ELb0ELb0ELb0ELb0ELb0ELb0ELb1ELb1EEEvPK12hip_bfloat16S3_S3_PKfS5_PKvPS1_S8_PvPKiSB_iiiiilll
	.p2align	8
	.type	_ZN12_GLOBAL__N_139chunk_gated_delta_rule_fwd_h_hip_kernelILi16ELb0ELb0ELb0ELb0ELb0ELb0ELb1ELb1EEEvPK12hip_bfloat16S3_S3_PKfS5_PKvPS1_S8_PvPKiSB_iiiiilll,@function
_ZN12_GLOBAL__N_139chunk_gated_delta_rule_fwd_h_hip_kernelILi16ELb0ELb0ELb0ELb0ELb0ELb0ELb1ELb1EEEvPK12hip_bfloat16S3_S3_PKfS5_PKvPS1_S8_PvPKiSB_iiiiilll: ; @_ZN12_GLOBAL__N_139chunk_gated_delta_rule_fwd_h_hip_kernelILi16ELb0ELb0ELb0ELb0ELb0ELb0ELb1ELb1EEEvPK12hip_bfloat16S3_S3_PKfS5_PKvPS1_S8_PvPKiSB_iiiiilll
; %bb.0:
	s_load_dwordx4 s[12:15], s[0:1], 0x5c
	s_load_dwordx2 s[36:37], s[0:1], 0x30
	s_abs_i32 s18, s3
	s_ashr_i32 s17, s3, 31
	s_load_dwordx8 s[4:11], s[0:1], 0x0
	s_waitcnt lgkmcnt(0)
	s_abs_i32 s16, s13
	v_cvt_f32_u32_e32 v1, s16
	s_sub_i32 s20, 0, s16
	s_ashr_i32 s19, s13, 31
	s_xor_b32 s17, s17, s19
	v_rcp_iflag_f32_e32 v1, v1
	v_lshrrev_b32_e32 v42, 6, v0
	v_bfe_u32 v43, v0, 4, 2
	v_lshlrev_b32_e32 v40, 4, v42
	v_mul_f32_e32 v1, 0x4f7ffffe, v1
	v_cvt_u32_f32_e32 v1, v1
	v_lshlrev_b32_e32 v2, 2, v43
	v_and_b32_e32 v41, 63, v0
	v_or_b32_e32 v46, v2, v40
	v_readfirstlane_b32 s21, v1
	s_mul_i32 s20, s20, s21
	s_mul_hi_u32 s20, s21, s20
	s_add_i32 s21, s21, s20
	s_mul_hi_u32 s20, s18, s21
	s_mul_i32 s21, s20, s16
	s_sub_i32 s18, s18, s21
	s_add_i32 s22, s20, 1
	s_sub_i32 s21, s18, s16
	s_cmp_ge_u32 s18, s16
	s_cselect_b32 s20, s22, s20
	s_cselect_b32 s18, s21, s18
	s_add_i32 s21, s20, 1
	s_cmp_ge_u32 s18, s16
	s_cselect_b32 s18, s21, s20
	s_xor_b32 s18, s18, s17
	s_sub_i32 s45, s18, s17
	s_abs_i32 s17, s14
	v_cvt_f32_u32_e32 v1, s17
	s_add_i32 s20, s12, 63
	s_mul_i32 s43, s45, s13
	s_sub_i32 s33, s3, s43
	v_rcp_iflag_f32_e32 v1, v1
	s_ashr_i32 s3, s20, 31
	s_ashr_i32 s44, s12, 31
	s_lshr_b32 s3, s3, 26
	v_mul_f32_e32 v1, 0x4f7ffffe, v1
	v_cvt_u32_f32_e32 v1, v1
	s_lshr_b32 s18, s44, 26
	s_add_i32 s20, s20, s3
	s_add_i32 s18, s12, s18
	s_ashr_i32 s47, s14, 31
	s_ashr_i32 s3, s20, 6
	;; [unrolled: 1-line block ×3, first 2 shown]
	s_xor_b32 s18, s19, s47
	s_sub_i32 s19, 0, s17
	v_readfirstlane_b32 s20, v1
	s_mul_i32 s19, s19, s20
	s_mul_hi_u32 s19, s20, s19
	s_add_i32 s20, s20, s19
	s_mul_hi_u32 s19, s16, s20
	s_mul_i32 s20, s19, s17
	s_sub_i32 s16, s16, s20
	s_add_i32 s20, s19, 1
	s_sub_i32 s21, s16, s17
	s_cmp_ge_u32 s16, s17
	s_cselect_b32 s19, s20, s19
	s_cselect_b32 s16, s21, s16
	s_add_i32 s20, s19, 1
	s_cmp_ge_u32 s16, s17
	s_cselect_b32 s16, s20, s19
	s_xor_b32 s16, s16, s18
	s_sub_i32 s20, s16, s18
	s_abs_i32 s21, s20
	v_cvt_f32_u32_e32 v1, s21
	s_load_dwordx2 s[28:29], s[0:1], 0x80
	s_load_dwordx4 s[16:19], s[0:1], 0x70
	s_xor_b32 s0, s33, s20
	s_sub_i32 s20, 0, s21
	v_rcp_iflag_f32_e32 v1, v1
	s_abs_i32 s1, s33
	s_ashr_i32 s0, s0, 31
	s_mul_i32 s48, s45, s3
	v_mul_f32_e32 v1, 0x4f7ffffe, v1
	v_cvt_u32_f32_e32 v1, v1
	v_or_b32_e32 v47, 64, v46
	v_mov_b32_e32 v3, 0
	s_mul_hi_i32 s49, s45, s13
	v_readfirstlane_b32 s22, v1
	s_mul_i32 s20, s20, s22
	s_mul_hi_u32 s20, s22, s20
	s_add_i32 s22, s22, s20
	s_mul_hi_u32 s20, s1, s22
	s_mul_i32 s22, s20, s21
	s_sub_i32 s1, s1, s22
	s_add_i32 s22, s20, 1
	s_sub_i32 s23, s1, s21
	s_cmp_ge_u32 s1, s21
	s_cselect_b32 s20, s22, s20
	s_cselect_b32 s1, s23, s1
	s_add_i32 s22, s20, 1
	s_cmp_ge_u32 s1, s21
	s_cselect_b32 s1, s22, s20
	s_xor_b32 s1, s1, s0
	s_sub_i32 s50, s1, s0
	s_lshl_b32 s30, s2, 4
	v_and_b32_e32 v1, 15, v0
	s_cmp_lt_i32 s12, 64
	v_lshrrev_b32_e32 v45, 3, v41
	v_lshlrev_b32_e32 v44, 3, v0
	s_waitcnt lgkmcnt(0)
	s_mul_i32 s17, s45, s17
	s_mul_hi_u32 s42, s45, s16
	s_mul_i32 s34, s45, s16
	v_mov_b32_e32 v59, 0
	v_mov_b32_e32 v34, 0
	v_mov_b32_e32 v58, 0
	v_mov_b32_e32 v4, 0
	v_mov_b32_e32 v61, 0
	v_mov_b32_e32 v60, 0
	v_mov_b32_e32 v35, 0
	s_cbranch_scc1 .LBB624_18
; %bb.1:
	s_ashr_i32 s24, s45, 31
	s_ashr_i32 s52, s33, 31
	s_add_u32 s0, s43, s33
	s_addc_u32 s1, s49, s52
	s_mul_i32 s1, s12, s1
	s_mul_hi_u32 s2, s12, s0
	s_add_i32 s3, s2, s1
	s_mul_i32 s2, s12, s0
	s_lshl_b64 s[0:1], s[2:3], 8
	v_and_b32_e32 v49, 56, v44
	s_add_u32 s20, s6, s0
	v_lshl_or_b32 v48, v42, 3, v45
	v_lshlrev_b32_e32 v3, 1, v49
	s_addc_u32 s0, s7, s1
	v_lshl_or_b32 v50, v48, 8, v3
	s_and_b32 s21, s0, 0xffff
	s_mov_b32 s23, 0x20000
	s_movk_i32 s22, 0x4000
	s_movk_i32 s0, 0x80
	v_or_b32_e32 v51, 0x2000, v50
	buffer_load_dwordx4 v[4:7], v50, s[20:23], 0 offen
	buffer_load_dwordx4 v[8:11], v50, s[20:23], s0 offen
	;; [unrolled: 1-line block ×4, first 2 shown]
	v_lshlrev_b32_e32 v20, 3, v48
	v_and_or_b32 v22, v0, 7, v20
	v_and_b32_e32 v20, 0x78, v20
	v_lshlrev_b32_e32 v22, 4, v22
	v_xor_b32_e32 v52, v22, v20
	v_mul_lo_u32 v21, v48, s15
	v_or_b32_e32 v53, 0x1000, v52
	s_cmpk_eq_i32 s15, 0x80
	s_mov_b32 s51, s14
	v_xor_b32_e32 v20, 8, v52
	v_xor_b32_e32 v22, 8, v53
	s_cselect_b64 s[0:1], -1, 0
	s_cmpk_lg_i32 s15, 0x80
	s_waitcnt vmcnt(3)
	ds_write_b64 v52, v[4:5] offset:16384
	ds_write_b64 v20, v[6:7] offset:16384
	s_waitcnt vmcnt(2)
	ds_write_b64 v52, v[8:9] offset:24576
	ds_write_b64 v20, v[10:11] offset:24576
	;; [unrolled: 3-line block ×4, first 2 shown]
	v_lshl_add_u32 v4, v21, 1, v49
	s_cbranch_scc0 .LBB624_3
; %bb.2:
	v_lshlrev_b32_e32 v6, 1, v4
	v_add_lshl_u32 v5, v4, s15, 1
	s_lshl_b32 s22, s15, 7
	v_lshl_or_b32 v3, v48, 9, v3
	s_cbranch_execz .LBB624_4
	s_branch .LBB624_5
.LBB624_3:
                                        ; implicit-def: $vgpr5
                                        ; implicit-def: $vgpr6
                                        ; implicit-def: $sgpr22
	v_lshl_or_b32 v3, v48, 9, v3
.LBB624_4:
	v_or_b32_e32 v5, 0x100, v3
	s_movk_i32 s22, 0x4000
	v_mov_b32_e32 v6, v3
.LBB624_5:
	s_mul_hi_u32 s20, s14, s12
	s_mul_i32 s21, s47, s12
	s_add_i32 s20, s20, s21
	s_mul_i32 s21, s14, s12
	s_mul_i32 s23, s21, s24
	s_mul_hi_u32 s25, s21, s45
	s_add_i32 s23, s25, s23
	s_mul_i32 s20, s20, s45
	s_add_i32 s23, s23, s20
	s_mul_i32 s21, s21, s45
	s_ashr_i32 s53, s50, 31
	s_add_u32 s20, s21, s50
	s_addc_u32 s21, s23, s53
	s_lshl_b64 s[20:21], s[20:21], 8
	s_add_u32 s20, s4, s20
	s_addc_u32 s21, s5, s21
	s_and_b32 s21, s21, 0xffff
	s_mov_b32 s23, 0x20000
	s_movk_i32 s54, 0x80
	buffer_load_dwordx4 v[8:11], v6, s[20:23], 0 offen
	buffer_load_dwordx4 v[12:15], v6, s[20:23], s54 offen
	;; [unrolled: 1-line block ×4, first 2 shown]
	v_and_b32_e32 v5, 6, v0
	s_mul_i32 s20, s24, s12
	s_mul_hi_u32 s21, s45, s12
	v_lshlrev_b32_e32 v7, 2, v1
	v_lshlrev_b32_e32 v24, 3, v1
	v_xor_b32_e32 v26, v48, v5
	v_and_b32_e32 v6, 1, v0
	s_mul_i32 s24, s24, s16
	v_lshl_or_b32 v24, v46, 5, v24
	v_xor_b32_e32 v27, v46, v7
	v_lshlrev_b32_e32 v26, 2, v26
	s_add_i32 s59, s21, s20
	s_add_i32 s20, s42, s17
	v_or_b32_e32 v54, 0x9000, v24
	v_or_b32_e32 v55, 0x9800, v24
	v_lshlrev_b32_e32 v24, 1, v27
	v_xor_b32_e32 v27, 0x440, v26
	v_cmp_eq_u32_e32 vcc, 0, v6
	s_add_i32 s35, s20, s24
	s_mul_i32 s20, s33, s19
	s_mul_hi_u32 s21, s33, s18
	v_cndmask_b32_e32 v6, v27, v26, vcc
	s_add_i32 s20, s21, s20
	s_mul_i32 s21, s52, s18
	s_mov_b32 s56, 0x1000504
	v_lshlrev_b32_e32 v25, 8, v1
	s_mov_b32 s22, 0x8000
	v_xor_b32_e32 v7, v47, v7
	v_lshl_or_b32 v5, v5, 10, v6
	s_add_i32 s21, s20, s21
	s_lshl_b64 s[24:25], s[34:35], 2
	s_mov_b32 s57, 0x3020706
	v_lshlrev_b32_e32 v7, 1, v7
	v_or3_b32 v56, v24, v25, s22
	v_xor_b32_e32 v6, 8, v5
	v_xor_b32_e32 v24, 24, v5
	;; [unrolled: 1-line block ×4, first 2 shown]
	s_mul_i32 s20, s33, s18
	s_add_u32 s24, s10, s24
	v_or3_b32 v57, v7, v25, s22
	v_xor_b32_e32 v7, 16, v5
	v_xor_b32_e32 v25, 32, v5
	;; [unrolled: 1-line block ×3, first 2 shown]
	v_add_u32_e32 v6, 0x80, v6
	v_add_u32_e32 v24, 0x80, v24
	v_add_u32_e32 v26, 0x80, v26
	v_add_u32_e32 v28, 0x80, v28
	s_addc_u32 s25, s11, s25
	s_lshl_b64 s[20:21], s[20:21], 2
	s_add_u32 s38, s24, s20
	s_movk_i32 s20, 0xf8
	s_addc_u32 s39, s25, s21
	s_ashr_i32 s31, s30, 31
	s_lshl_b32 s26, s15, 7
	v_mov_b32_e32 v35, 0
	s_mov_b32 s55, 0
	s_mul_i32 s58, s45, s12
	v_add_u32_e32 v76, v40, v2
	v_mov_b32_e32 v77, 0x3fb8aa3b
	s_mov_b32 s60, 0
	v_mov_b32_e32 v60, v35
	v_mov_b32_e32 v61, v35
	;; [unrolled: 1-line block ×6, first 2 shown]
	s_waitcnt vmcnt(1)
	v_perm_b32 v29, v8, v16, s56
	s_waitcnt vmcnt(0)
	v_perm_b32 v30, v12, v20, s56
	v_perm_b32 v8, v8, v16, s57
	v_perm_b32 v12, v12, v20, s57
	v_perm_b32 v16, v9, v17, s56
	v_perm_b32 v20, v13, v21, s56
	v_perm_b32 v9, v9, v17, s57
	v_perm_b32 v13, v13, v21, s57
	v_perm_b32 v17, v10, v18, s56
	v_perm_b32 v21, v14, v22, s56
	v_perm_b32 v10, v10, v18, s57
	v_perm_b32 v14, v14, v22, s57
	v_perm_b32 v18, v11, v19, s56
	v_perm_b32 v22, v15, v23, s56
	v_perm_b32 v11, v11, v19, s57
	v_perm_b32 v15, v15, v23, s57
	ds_write2st64_b32 v5, v29, v30 offset1:32
	ds_write2st64_b32 v6, v8, v12 offset1:32
	ds_write2st64_b32 v7, v16, v20 offset0:1 offset1:33
	ds_write2st64_b32 v24, v9, v13 offset0:1 offset1:33
	;; [unrolled: 1-line block ×6, first 2 shown]
	v_or_b32_e32 v5, v40, v1
	v_lshlrev_b32_e32 v5, 3, v5
	v_lshrrev_b32_e32 v7, 5, v41
	v_and_or_b32 v7, v5, s20, v7
	v_lshlrev_b32_e32 v7, 4, v7
	v_lshlrev_b32_e32 v8, 11, v42
	v_and_b32_e32 v5, 0x78, v5
	v_or_b32_e32 v12, 32, v7
	v_and_b32_e32 v6, 0x1000, v8
	v_lshrrev_b32_e32 v10, 1, v0
	v_xor_b32_e32 v12, v12, v5
	v_and_b32_e32 v11, 8, v10
	v_or_b32_e32 v12, v12, v6
	v_xor_b32_e32 v9, v7, v5
	v_xor_b32_e32 v64, v12, v11
	v_or_b32_e32 v12, 64, v7
	v_or_b32_e32 v7, 0x60, v7
	;; [unrolled: 1-line block ×3, first 2 shown]
	v_xor_b32_e32 v12, v12, v5
	v_xor_b32_e32 v5, v7, v5
	;; [unrolled: 1-line block ×3, first 2 shown]
	v_and_b32_e32 v9, 0x78, v44
	v_or_b32_e32 v5, v5, v6
	v_lshl_or_b32 v9, v43, 7, v9
	v_or_b32_e32 v12, v12, v6
	v_xor_b32_e32 v66, v5, v11
	v_lshlrev_b32_e32 v5, 1, v1
	v_or_b32_e32 v63, 0x9000, v9
	v_xor_b32_e32 v65, v12, v11
	v_or_b32_e32 v67, 0x9800, v9
	v_lshlrev_b32_e32 v9, 1, v4
	v_add_lshl_u32 v11, v4, s15, 1
	v_lshrrev_b32_e32 v4, 4, v0
	s_lshl_b64 s[20:21], s[30:31], 8
	v_or_b32_e32 v13, 1, v5
	s_add_u32 s20, s36, s20
	v_xor_b32_e32 v5, v4, v5
	v_xor_b32_e32 v13, v13, v4
	s_addc_u32 s21, s37, s21
	v_lshlrev_b32_e32 v5, 3, v5
	v_lshlrev_b32_e32 v34, 8, v4
	v_lshlrev_b32_e32 v4, 3, v13
	v_or3_b32 v68, v5, v34, s22
	v_or3_b32 v69, v4, v34, s22
	v_lshl_add_u64 v[4:5], s[20:21], 0, v[34:35]
	v_lshlrev_b32_e32 v34, 4, v1
	s_movk_i32 s20, 0xff
	v_lshlrev_b32_e32 v15, 3, v42
	v_and_b32_e32 v10, 24, v10
	v_lshl_add_u64 v[36:37], v[4:5], 0, v[34:35]
	v_and_b32_e32 v5, 8, v0
	v_cmp_lt_u32_e32 vcc, s20, v0
	v_xor_b32_e32 v16, v15, v10
	v_or_b32_e32 v17, 0x440, v16
	v_cndmask_b32_e64 v14, 0, 1, vcc
	v_cmp_eq_u32_e32 vcc, 0, v5
	v_and_b32_e32 v4, 7, v0
	v_lshlrev_b32_e32 v13, 3, v4
	v_cndmask_b32_e32 v5, v17, v16, vcc
	v_lshlrev_b32_e32 v4, 7, v4
	v_or_b32_e32 v5, v5, v8
	v_xad_u32 v70, v5, v13, v4
	v_or_b32_e32 v5, 32, v10
	v_xor_b32_e32 v5, v15, v5
	v_or_b32_e32 v16, 0x440, v5
	v_cndmask_b32_e32 v5, v16, v5, vcc
	v_or_b32_e32 v5, v5, v8
	v_xad_u32 v71, v5, v13, v4
	v_or_b32_e32 v5, 64, v10
	v_xor_b32_e32 v5, v15, v5
	v_xor_b32_e32 v16, 0x440, v5
	v_cndmask_b32_e32 v5, v16, v5, vcc
	v_or_b32_e32 v5, v5, v8
	v_xad_u32 v72, v5, v13, v4
	v_or_b32_e32 v5, 0x60, v10
	v_xor_b32_e32 v5, v15, v5
	v_xor_b32_e32 v10, 0x440, v5
	v_or_b32_e32 v6, s30, v1
	v_cndmask_b32_e32 v5, v10, v5, vcc
	v_ashrrev_i32_e32 v7, 31, v6
	v_or_b32_e32 v5, v5, v8
	v_lshl_add_u64 v[6:7], v[6:7], 1, s[8:9]
	v_or_b32_e32 v12, 0x100, v3
	v_lshlrev_b32_e32 v14, 13, v14
	v_xad_u32 v73, v5, v13, v4
	v_lshlrev_b32_e32 v34, 8, v46
	v_cndmask_b32_e64 v74, v9, v3, s[0:1]
	v_cndmask_b32_e64 v75, v11, v12, s[0:1]
	v_lshl_add_u64 v[38:39], v[6:7], 0, v[34:35]
	s_mov_b32 s31, 0x7060302
	s_movk_i32 s22, 0x4000
	v_add_u32_e32 v78, v14, v70
	v_add_u32_e32 v79, v14, v71
	;; [unrolled: 1-line block ×4, first 2 shown]
	v_mov_b32_e32 v34, v35
	s_waitcnt lgkmcnt(0)
	s_barrier
.LBB624_6:                              ; =>This Inner Loop Header: Depth=1
	s_add_i32 s35, s60, 1
	s_cmp_lt_i32 s35, s46
	s_mov_b64 s[24:25], 0
	s_cselect_b64 s[40:41], -1, 0
	s_cmp_ge_i32 s35, s46
	s_mov_b64 s[20:21], 0
	s_cbranch_scc1 .LBB624_8
; %bb.7:                                ;   in Loop: Header=BB624_6 Depth=1
	s_add_i32 s0, s55, 64
	s_add_u32 s0, s2, s0
	s_addc_u32 s1, s3, 0
	s_lshl_b64 s[0:1], s[0:1], 8
	s_add_u32 s20, s6, s0
	s_addc_u32 s21, s7, s1
.LBB624_8:                              ;   in Loop: Header=BB624_6 Depth=1
	v_cndmask_b32_e64 v2, 0, 1, s[40:41]
	v_cmp_ne_u32_e64 s[0:1], 1, v2
	s_andn2_b64 vcc, exec, s[40:41]
	s_cbranch_vccnz .LBB624_10
; %bb.9:                                ;   in Loop: Header=BB624_6 Depth=1
	s_add_i32 s24, s55, 64
	s_add_u32 s24, s58, s24
	s_addc_u32 s25, s59, 0
	s_mul_i32 s27, s24, s47
	s_mul_hi_u32 s40, s24, s51
	s_add_i32 s27, s40, s27
	s_mul_i32 s25, s25, s51
	s_add_i32 s27, s27, s25
	s_mul_i32 s24, s24, s51
	s_add_u32 s24, s24, s50
	s_addc_u32 s25, s27, s53
	s_lshl_b64 s[24:25], s[24:25], 8
	s_add_u32 s24, s4, s24
	s_addc_u32 s25, s5, s25
.LBB624_10:                             ;   in Loop: Header=BB624_6 Depth=1
	v_perm_b32 v3, v83, v61, s31
	v_perm_b32 v2, v60, v35, s31
	;; [unrolled: 1-line block ×4, first 2 shown]
	ds_write_b64 v54, v[2:3]
	ds_write_b64 v55, v[4:5]
	;; [unrolled: 1-line block ×4, first 2 shown]
	s_waitcnt lgkmcnt(0)
	s_barrier
	ds_read_b64 v[10:11], v62 offset:16384
	ds_read_b64 v[12:13], v64 offset:16384
	ds_read2st64_b64 v[2:5], v63 offset1:1
	ds_read2st64_b64 v[6:9], v63 offset0:2 offset1:3
	ds_read_b64 v[14:15], v65 offset:16384
	s_waitcnt lgkmcnt(2)
	v_mfma_f32_16x16x16_bf16 a[0:3], v[10:11], v[2:3], 0
	ds_read_b64 v[2:3], v66 offset:16384
	s_add_i32 s27, s55, 63
	s_mul_i32 s40, s27, s29
	v_mfma_f32_16x16x16_bf16 a[0:3], v[12:13], v[4:5], a[0:3]
	s_mul_hi_u32 s41, s27, s28
	s_add_i32 s41, s41, s40
	s_mul_i32 s40, s27, s28
	s_waitcnt lgkmcnt(1)
	v_mfma_f32_16x16x16_bf16 a[0:3], v[14:15], v[6:7], a[0:3]
	s_lshl_b64 s[40:41], s[40:41], 2
	s_add_u32 s40, s38, s40
	s_addc_u32 s41, s39, s41
	s_waitcnt lgkmcnt(0)
	v_mfma_f32_16x16x16_bf16 a[0:3], v[2:3], v[8:9], a[0:3]
	s_and_b64 vcc, exec, s[0:1]
	v_mov_b32_e32 v86, 0
	v_mov_b32_e32 v85, 0
	;; [unrolled: 1-line block ×19, first 2 shown]
	s_cbranch_vccnz .LBB624_12
; %bb.11:                               ;   in Loop: Header=BB624_6 Depth=1
	s_and_b32 s21, s21, 0xffff
	buffer_load_dwordx4 v[14:17], v50, s[20:23], 0 offen
	buffer_load_dwordx4 v[10:13], v50, s[20:23], s54 offen
	;; [unrolled: 1-line block ×4, first 2 shown]
	v_mov_b32_e32 v85, v52
	v_mov_b32_e32 v84, v53
.LBB624_12:                             ;   in Loop: Header=BB624_6 Depth=1
	s_waitcnt vmcnt(3)
	v_add_u32_e32 v24, s55, v76
	s_waitcnt vmcnt(1)
	v_ashrrev_i32_e32 v18, 31, v24
	v_mul_lo_u32 v20, v18, s28
	v_mul_lo_u32 v21, v24, s29
	v_mad_u64_u32 v[18:19], s[20:21], v24, s28, 0
	v_add3_u32 v19, v19, v21, v20
	v_add_u32_e32 v20, 1, v24
	v_ashrrev_i32_e32 v21, 31, v20
	v_mul_lo_u32 v22, v21, s28
	v_mul_lo_u32 v23, v20, s29
	v_mad_u64_u32 v[20:21], s[20:21], v20, s28, 0
	v_add3_u32 v21, v21, v23, v22
	v_add_u32_e32 v22, 2, v24
	v_ashrrev_i32_e32 v23, 31, v22
	v_mul_lo_u32 v25, v23, s28
	v_mul_lo_u32 v26, v22, s29
	v_mad_u64_u32 v[22:23], s[20:21], v22, s28, 0
	v_add_u32_e32 v24, 3, v24
	v_add3_u32 v23, v23, v26, v25
	v_ashrrev_i32_e32 v25, 31, v24
	v_mul_lo_u32 v28, v25, s28
	v_mul_lo_u32 v29, v24, s29
	v_mad_u64_u32 v[24:25], s[20:21], v24, s28, 0
	s_add_u32 s20, s2, s55
	s_addc_u32 s21, s3, 0
	s_lshl_b64 s[20:21], s[20:21], 8
	v_lshl_add_u64 v[18:19], v[18:19], 2, s[38:39]
	v_lshl_add_u64 v[20:21], v[20:21], 2, s[38:39]
	v_lshl_add_u64 v[26:27], v[38:39], 0, s[20:21]
	v_add3_u32 v25, v25, v29, v28
	v_lshl_add_u64 v[22:23], v[22:23], 2, s[38:39]
	global_load_ushort v92, v[26:27], off
	global_load_ushort v93, v[26:27], off offset:256
	global_load_ushort v94, v[26:27], off offset:512
	;; [unrolled: 1-line block ×3, first 2 shown]
	global_load_dword v96, v[18:19], off
	v_lshl_add_u64 v[18:19], v[24:25], 2, s[38:39]
	global_load_dword v97, v[20:21], off
	global_load_dword v98, v[22:23], off
	;; [unrolled: 1-line block ×3, first 2 shown]
	s_load_dword s20, s[40:41], 0x0
	ds_read2st64_b64 v[24:27], v67 offset1:1
	ds_read2st64_b64 v[28:31], v67 offset0:2 offset1:3
	ds_read_b64 v[22:23], v62 offset:24576
	ds_read_b64 v[32:33], v64 offset:24576
	;; [unrolled: 1-line block ×4, first 2 shown]
	s_waitcnt lgkmcnt(0)
	v_mfma_f32_16x16x16_bf16 a[0:3], v[22:23], v[24:25], a[0:3]
	v_mov_b32_e32 v87, 0
	v_mov_b32_e32 v18, 0
	v_mov_b32_e32 v19, 0
	v_mfma_f32_16x16x16_bf16 a[0:3], v[32:33], v[26:27], a[0:3]
	v_mov_b32_e32 v20, 0
	v_mov_b32_e32 v21, 0
	v_mov_b32_e32 v22, 0
	;; [unrolled: 4-line block ×4, first 2 shown]
	v_mov_b32_e32 v29, 0
	s_and_b64 vcc, exec, s[0:1]
	s_waitcnt vmcnt(7)
	v_lshlrev_b32_e32 v88, 16, v92
	s_waitcnt vmcnt(6)
	v_lshlrev_b32_e32 v89, 16, v93
	;; [unrolled: 2-line block ×4, first 2 shown]
	s_waitcnt vmcnt(3)
	v_sub_f32_e32 v92, s20, v96
	s_waitcnt vmcnt(2)
	v_sub_f32_e32 v93, s20, v97
	;; [unrolled: 2-line block ×4, first 2 shown]
	v_mul_f32_e32 v92, 0x3fb8aa3b, v92
	v_mul_f32_e32 v93, 0x3fb8aa3b, v93
	;; [unrolled: 1-line block ×4, first 2 shown]
	v_exp_f32_e32 v92, v92
	v_exp_f32_e32 v93, v93
	;; [unrolled: 1-line block ×4, first 2 shown]
	v_accvgpr_read_b32 v33, a1
	v_accvgpr_read_b32 v31, a3
	;; [unrolled: 1-line block ×4, first 2 shown]
	v_pk_add_f32 v[32:33], v[88:89], v[32:33] neg_lo:[0,1] neg_hi:[0,1]
	v_pk_add_f32 v[30:31], v[90:91], v[30:31] neg_lo:[0,1] neg_hi:[0,1]
	v_pk_mul_f32 v[32:33], v[92:93], v[32:33]
	v_pk_mul_f32 v[30:31], v[94:95], v[30:31]
	s_nop 0
	v_perm_b32 v31, v31, v30, s31
	v_perm_b32 v30, v33, v32, s31
	ds_write_b64 v55, v[30:31]
	v_mov_b32_e32 v30, 0
	v_mov_b32_e32 v31, 0
	;; [unrolled: 1-line block ×4, first 2 shown]
	s_cbranch_vccnz .LBB624_14
; %bb.13:                               ;   in Loop: Header=BB624_6 Depth=1
	s_and_b32 s25, s25, 0xffff
	s_mov_b32 s27, s23
	buffer_load_dwordx4 v[30:33], v74, s[24:27], 0 offen
	buffer_load_dwordx4 v[22:25], v74, s[24:27], s54 offen
	;; [unrolled: 1-line block ×4, first 2 shown]
	v_mov_b32_e32 v86, v49
	v_mov_b32_e32 v87, v48
.LBB624_14:                             ;   in Loop: Header=BB624_6 Depth=1
	s_waitcnt lgkmcnt(0)
	s_barrier
	ds_read_b64 v[96:97], v78
	ds_read2st64_b64 v[88:91], v67 offset1:1
	ds_read2st64_b64 v[92:95], v67 offset0:2 offset1:3
	ds_read_b64 v[98:99], v79
	ds_read_b64 v[100:101], v80
	;; [unrolled: 1-line block ×3, first 2 shown]
	s_waitcnt lgkmcnt(4)
	v_mfma_f32_16x16x16_bf16 a[0:3], v[96:97], v[88:89], 0
	ds_read_b64 v[96:97], v70 offset:8192
	ds_read_b64 v[104:105], v71 offset:8192
	s_add_i32 s21, s48, s60
	s_mul_hi_i32 s25, s21, s13
	s_waitcnt lgkmcnt(1)
	v_mfma_f32_16x16x16_bf16 a[4:7], v[96:97], v[88:89], 0
	s_mul_i32 s21, s21, s13
	s_add_u32 s24, s21, s33
	s_addc_u32 s25, s25, s52
	v_mfma_f32_16x16x16_bf16 a[0:3], v[98:99], v[90:91], a[0:3]
	ds_read_b64 v[96:97], v68
	ds_read_b64 v[98:99], v69
	ds_read_b64 v[88:89], v72 offset:8192
	s_lshl_b64 s[24:25], s[24:25], 15
	v_mfma_f32_16x16x16_bf16 a[0:3], v[100:101], v[92:93], a[0:3]
	ds_read_b64 v[100:101], v73 offset:8192
	s_and_b64 vcc, exec, s[0:1]
	s_waitcnt lgkmcnt(4)
	v_mfma_f32_16x16x16_bf16 a[4:7], v[104:105], v[90:91], a[4:7]
	s_waitcnt lgkmcnt(1)
	v_mfma_f32_16x16x16_bf16 a[4:7], v[88:89], v[92:93], a[4:7]
	v_lshl_add_u64 v[88:89], v[36:37], 0, s[24:25]
	global_store_dwordx4 v[88:89], v[96:99], off
	v_mfma_f32_16x16x16_bf16 a[0:3], v[102:103], v[94:95], a[0:3]
	s_waitcnt lgkmcnt(0)
	v_mfma_f32_16x16x16_bf16 a[4:7], v[100:101], v[94:95], a[4:7]
	s_cbranch_vccnz .LBB624_16
; %bb.15:                               ;   in Loop: Header=BB624_6 Depth=1
	v_lshrrev_b32_e32 v88, 3, v86
	v_and_b32_e32 v88, 6, v88
	v_xor_b32_e32 v87, v88, v87
	v_lshlrev_b32_e32 v87, 2, v87
	v_and_b32_e32 v86, 8, v86
	v_xor_b32_e32 v89, 0x440, v87
	v_cmp_eq_u32_e32 vcc, 0, v86
	s_barrier
	s_nop 0
	v_cndmask_b32_e32 v86, v89, v87, vcc
	v_lshl_or_b32 v86, v88, 10, v86
	s_waitcnt vmcnt(2)
	v_perm_b32 v87, v30, v26, s56
	s_waitcnt vmcnt(1)
	v_perm_b32 v88, v22, v18, s56
	ds_write2st64_b32 v86, v87, v88 offset1:32
	v_xor_b32_e32 v87, 8, v86
	v_perm_b32 v26, v30, v26, s57
	v_perm_b32 v18, v22, v18, s57
	v_add_u32_e32 v22, 0x80, v87
	ds_write2st64_b32 v22, v26, v18 offset1:32
	v_xor_b32_e32 v18, 16, v86
	v_perm_b32 v22, v31, v27, s56
	v_perm_b32 v26, v23, v19, s56
	ds_write2st64_b32 v18, v22, v26 offset0:1 offset1:33
	v_xor_b32_e32 v18, 24, v86
	v_perm_b32 v22, v31, v27, s57
	v_perm_b32 v19, v23, v19, s57
	v_add_u32_e32 v18, 0x80, v18
	ds_write2st64_b32 v18, v22, v19 offset0:1 offset1:33
	v_xor_b32_e32 v18, 32, v86
	v_perm_b32 v19, v32, v28, s56
	v_perm_b32 v22, v24, v20, s56
	ds_write2st64_b32 v18, v19, v22 offset0:2 offset1:34
	v_xor_b32_e32 v18, 40, v86
	v_perm_b32 v19, v32, v28, s57
	v_perm_b32 v20, v24, v20, s57
	v_add_u32_e32 v18, 0x80, v18
	ds_write2st64_b32 v18, v19, v20 offset0:2 offset1:34
	;; [unrolled: 9-line block ×3, first 2 shown]
	ds_write_b64 v85, v[14:15] offset:16384
	v_xor_b32_e32 v14, 8, v85
	ds_write_b64 v14, v[16:17] offset:16384
	ds_write_b64 v85, v[10:11] offset:24576
	;; [unrolled: 1-line block ×4, first 2 shown]
	v_xor_b32_e32 v6, 8, v84
	ds_write_b64 v6, v[8:9] offset:16384
	ds_write_b64 v84, v[2:3] offset:24576
	;; [unrolled: 1-line block ×3, first 2 shown]
.LBB624_16:                             ;   in Loop: Header=BB624_6 Depth=1
	v_mul_f32_e32 v2, s20, v77
	v_exp_f32_e32 v2, v2
	s_nop 1
	v_accvgpr_read_b32 v3, a0
	v_accvgpr_read_b32 v4, a1
	s_add_i32 s55, s55, 64
	v_fma_f32 v35, v35, v2, v3
	v_accvgpr_read_b32 v3, a2
	v_fma_f32 v61, v61, v2, v3
	v_accvgpr_read_b32 v3, a4
	;; [unrolled: 2-line block ×6, first 2 shown]
	v_fmac_f32_e32 v4, v83, v2
	s_cmp_eq_u32 s46, s35
	v_fmac_f32_e32 v3, v82, v2
	s_cbranch_scc1 .LBB624_18
; %bb.17:                               ;   in Loop: Header=BB624_6 Depth=1
	s_mov_b32 s60, s35
	v_mov_b32_e32 v83, v4
	v_mov_b32_e32 v82, v3
	s_branch .LBB624_6
.LBB624_18:
	s_lshl_b32 s40, s46, 6
	s_sub_i32 s41, s12, s40
	s_cmp_gt_i32 s41, 0
	s_cbranch_scc0 .LBB624_75
; %bb.19:
	s_ashr_i32 s35, s45, 31
	s_ashr_i32 s2, s40, 31
	s_cmpk_lg_i32 s15, 0x80
	s_cselect_b64 s[26:27], -1, 0
	s_and_b64 vcc, exec, s[26:27]
	s_cbranch_vccz .LBB624_21
; %bb.20:
	s_mul_i32 s1, s45, s12
	s_mul_hi_i32 s0, s45, s12
	s_add_u32 s1, s1, s40
	s_addc_u32 s0, s0, s2
	s_mul_i32 s3, s1, s47
	s_mul_hi_u32 s20, s1, s14
	s_add_i32 s3, s20, s3
	s_mul_i32 s0, s0, s14
	s_add_i32 s3, s3, s0
	s_mul_i32 s1, s1, s14
	s_ashr_i32 s0, s50, 31
	s_add_u32 s38, s1, s50
	s_addc_u32 s39, s3, s0
	s_cbranch_execz .LBB624_22
	s_branch .LBB624_23
.LBB624_21:
                                        ; implicit-def: $sgpr38_sgpr39
.LBB624_22:
	s_mul_hi_i32 s0, s45, s14
	s_mul_i32 s45, s45, s14
	s_ashr_i32 s1, s50, 31
	s_add_u32 s3, s45, s50
	s_addc_u32 s0, s0, s1
	s_mul_i32 s1, s3, s44
	s_mul_hi_u32 s14, s3, s12
	s_add_i32 s1, s14, s1
	s_mul_i32 s0, s0, s12
	s_add_i32 s1, s1, s0
	s_mul_i32 s3, s3, s12
	s_add_u32 s38, s3, s40
	s_addc_u32 s39, s1, s2
.LBB624_23:
	s_add_i32 s3, s48, s46
	s_ashr_i32 s14, s33, 31
	s_add_u32 s0, s43, s33
	s_addc_u32 s1, s49, s14
	s_mul_i32 s20, s0, s44
	s_mul_hi_u32 s21, s0, s12
	s_add_i32 s20, s21, s20
	s_mul_i32 s1, s1, s12
	s_add_i32 s20, s20, s1
	s_mul_i32 s0, s0, s12
	s_add_u32 s0, s0, s40
	s_addc_u32 s1, s20, s2
	s_mov_b32 s2, 0x7060302
	v_lshlrev_b32_e32 v6, 3, v1
	v_perm_b32 v5, v4, v61, s2
	v_perm_b32 v4, v60, v35, s2
	;; [unrolled: 1-line block ×4, first 2 shown]
	v_lshlrev_b32_e32 v34, 2, v1
	v_lshl_or_b32 v6, v46, 5, v6
	s_lshl_b64 s[24:25], s[0:1], 8
	ds_write2st64_b64 v6, v[4:5], v[2:3] offset0:72 offset1:76
	v_xor_b32_e32 v6, v46, v34
	v_lshlrev_b32_e32 v7, 8, v1
	s_add_u32 s0, s6, s24
	v_lshl_or_b32 v6, v6, 1, v7
	s_addc_u32 s1, s7, s25
	ds_write_b64 v6, v[4:5] offset:32768
	v_xor_b32_e32 v4, v47, v34
	s_mul_hi_i32 s6, s3, s13
	s_mul_i32 s3, s3, s13
	v_lshl_or_b32 v4, v4, 1, v7
	s_add_u32 s2, s3, s33
	ds_write_b64 v4, v[2:3] offset:32768
	s_addc_u32 s3, s6, s14
	v_lshlrev_b32_e32 v3, 1, v1
	v_lshrrev_b32_e32 v2, 4, v0
	s_ashr_i32 s31, s30, 31
	s_lshl_b64 s[2:3], s[2:3], 15
	v_or_b32_e32 v4, 1, v3
	s_add_u32 s6, s36, s2
	v_xor_b32_e32 v3, v2, v3
	v_xor_b32_e32 v4, v4, v2
	v_lshlrev_b32_e32 v6, 8, v2
	s_addc_u32 s7, s37, s3
	s_lshl_b64 s[2:3], s[30:31], 8
	v_lshl_or_b32 v2, v3, 3, v6
	v_lshl_or_b32 v4, v4, 3, v6
	s_waitcnt lgkmcnt(0)
	s_barrier
	s_add_u32 s2, s6, s2
	ds_read_b64 v[2:3], v2 offset:32768
	ds_read_b64 v[4:5], v4 offset:32768
	s_addc_u32 s3, s7, s3
	v_mov_b32_e32 v7, 0
	s_cmp_lg_u32 s41, 64
	v_lshl_add_u64 v[8:9], s[2:3], 0, v[6:7]
	v_lshlrev_b32_e32 v6, 4, v1
	s_cselect_b64 s[6:7], -1, 0
	v_lshl_or_b32 v35, v42, 3, v45
	s_mov_b32 s20, 0
	v_lshl_add_u64 v[6:7], v[8:9], 0, v[6:7]
	s_waitcnt vmcnt(1)
	v_or_b32_e32 v19, 32, v35
	v_and_b32_e32 v18, 56, v44
	s_and_b64 vcc, exec, s[6:7]
	s_waitcnt lgkmcnt(0)
	global_store_dwordx4 v[6:7], v[2:5], off
	s_cbranch_vccz .LBB624_29
; %bb.24:
	s_mov_b32 s21, s20
	s_mov_b32 s22, s20
	s_mov_b32 s23, s20
	v_mov_b64_e32 v[6:7], s[20:21]
	v_mov_b64_e32 v[8:9], s[22:23]
	;; [unrolled: 1-line block ×3, first 2 shown]
	v_cmp_gt_i32_e32 vcc, s41, v35
	v_mov_b64_e32 v[4:5], v[8:9]
	s_and_saveexec_b64 s[2:3], vcc
	s_cbranch_execz .LBB624_26
; %bb.25:
	v_lshlrev_b32_e32 v2, 8, v35
	v_mov_b32_e32 v3, 0
	v_lshl_add_u64 v[4:5], s[0:1], 0, v[2:3]
	v_lshlrev_b32_e32 v2, 1, v18
	v_lshl_add_u64 v[10:11], v[4:5], 0, v[2:3]
	global_load_dwordx4 v[6:9], v[10:11], off
	global_load_dwordx4 v[2:5], v[10:11], off offset:128
.LBB624_26:
	s_or_b64 exec, exec, s[2:3]
	s_mov_b32 s21, s20
	s_mov_b32 s22, s20
	;; [unrolled: 1-line block ×3, first 2 shown]
	v_mov_b64_e32 v[14:15], s[20:21]
	v_mov_b64_e32 v[16:17], s[22:23]
	;; [unrolled: 1-line block ×3, first 2 shown]
	v_cmp_gt_i32_e32 vcc, s41, v19
	v_lshlrev_b32_e32 v20, 7, v19
	v_mov_b64_e32 v[12:13], v[16:17]
	s_and_saveexec_b64 s[2:3], vcc
	s_cbranch_execz .LBB624_28
; %bb.27:
	v_lshlrev_b32_e32 v10, 1, v20
	v_mov_b32_e32 v11, 0
	v_lshl_add_u64 v[12:13], s[0:1], 0, v[10:11]
	v_lshlrev_b32_e32 v10, 1, v18
	v_lshl_add_u64 v[22:23], v[12:13], 0, v[10:11]
	global_load_dwordx4 v[14:17], v[22:23], off
	global_load_dwordx4 v[10:13], v[22:23], off offset:128
.LBB624_28:
	s_or_b64 exec, exec, s[2:3]
	v_lshrrev_b32_e32 v21, 3, v18
	v_lshlrev_b32_e32 v22, 3, v35
	v_or_b32_e32 v21, v22, v21
	v_lshlrev_b32_e32 v21, 4, v21
	v_and_b32_e32 v22, 0x78, v22
	v_xor_b32_e32 v21, v21, v22
	s_branch .LBB624_31
.LBB624_29:
                                        ; implicit-def: $vgpr21
                                        ; implicit-def: $vgpr20
                                        ; implicit-def: $vgpr6_vgpr7_vgpr8_vgpr9
                                        ; implicit-def: $vgpr2_vgpr3_vgpr4_vgpr5
                                        ; implicit-def: $vgpr14_vgpr15_vgpr16_vgpr17
                                        ; implicit-def: $vgpr10_vgpr11_vgpr12_vgpr13
	s_cbranch_execz .LBB624_31
; %bb.30:
	s_waitcnt vmcnt(0)
	v_lshlrev_b32_e32 v2, 1, v18
	v_lshl_or_b32 v20, v35, 8, v2
	s_and_b32 s1, s1, 0xffff
	s_mov_b32 s3, 0x20000
	s_movk_i32 s2, 0x4000
	v_lshl_or_b32 v21, v19, 8, v2
	s_movk_i32 s13, 0x80
	buffer_load_dwordx4 v[6:9], v20, s[0:3], 0 offen
	buffer_load_dwordx4 v[2:5], v20, s[0:3], s13 offen
	;; [unrolled: 1-line block ×4, first 2 shown]
	v_lshrrev_b32_e32 v20, 3, v18
	v_lshlrev_b32_e32 v21, 3, v35
	v_or_b32_e32 v20, v21, v20
	v_lshlrev_b32_e32 v20, 4, v20
	v_and_b32_e32 v21, 0x78, v21
	v_xor_b32_e32 v21, v20, v21
	v_lshlrev_b32_e32 v20, 7, v19
.LBB624_31:
	s_lshl_b64 s[0:1], s[38:39], 8
	s_add_u32 s4, s4, s0
	s_movk_i32 s0, 0x1000
	v_and_or_b32 v19, v20, s0, v21
	s_waitcnt vmcnt(1)
	ds_write_b64 v21, v[6:7] offset:16384
	v_xor_b32_e32 v6, 8, v21
	s_addc_u32 s5, s5, s1
	ds_write_b64 v6, v[8:9] offset:16384
	s_waitcnt vmcnt(0)
	ds_write_b64 v21, v[2:3] offset:24576
	ds_write_b64 v6, v[4:5] offset:24576
	;; [unrolled: 1-line block ×3, first 2 shown]
	v_xor_b32_e32 v2, 8, v19
	s_add_i32 s0, s42, s17
	s_mul_i32 s35, s35, s16
	ds_write_b64 v2, v[16:17] offset:16384
	ds_write_b64 v19, v[10:11] offset:24576
	ds_write_b64 v2, v[12:13] offset:24576
	s_add_i32 s35, s0, s35
	s_mul_i32 s0, s33, s19
	s_mul_hi_u32 s1, s33, s18
	v_or_b32_e32 v2, v40, v1
	s_add_i32 s0, s1, s0
	s_mul_i32 s1, s14, s18
	v_lshlrev_b32_e32 v2, 3, v2
	v_lshrrev_b32_e32 v4, 5, v41
	s_movk_i32 s14, 0xf8
	v_and_or_b32 v4, v2, s14, v4
	v_lshlrev_b32_e32 v3, 11, v42
	v_lshlrev_b32_e32 v12, 4, v4
	v_and_b32_e32 v13, 0x78, v2
	v_and_b32_e32 v14, 0x1000, v3
	v_lshlrev_b32_e32 v3, 2, v0
	v_xor_b32_e32 v2, v12, v13
	v_lshrrev_b32_e32 v4, 1, v41
	v_and_b32_e32 v3, 60, v3
	v_or_b32_e32 v2, v2, v14
	v_and_b32_e32 v15, 8, v4
	v_xor_b32_e32 v26, v2, v15
	v_lshl_or_b32 v2, v43, 6, v3
	v_lshlrev_b32_e32 v19, 1, v2
	v_or_b32_e32 v2, 32, v12
	v_xor_b32_e32 v2, v2, v13
	s_waitcnt lgkmcnt(0)
	s_barrier
	ds_read_b64 v[10:11], v26 offset:16384
	v_or_b32_e32 v2, v2, v14
	v_xor_b32_e32 v27, v2, v15
	v_or_b32_e32 v2, 64, v12
	v_xor_b32_e32 v2, v2, v13
	v_or_b32_e32 v2, v2, v14
	v_or_b32_e32 v12, 0x60, v12
	v_xor_b32_e32 v28, v2, v15
	ds_read2st64_b64 v[2:5], v19 offset0:72 offset1:73
	ds_read2st64_b64 v[6:9], v19 offset0:74 offset1:75
	v_xor_b32_e32 v16, v12, v13
	ds_read_b64 v[12:13], v27 offset:16384
	s_waitcnt lgkmcnt(2)
	v_mfma_f32_16x16x16_bf16 a[0:3], v[10:11], v[2:3], 0
	s_add_i32 s2, s12, -1
	s_ashr_i32 s3, s2, 31
	s_mul_i32 s12, s2, s29
	s_mul_hi_u32 s13, s2, s28
	s_add_i32 s12, s13, s12
	s_mul_i32 s3, s3, s28
	v_or_b32_e32 v14, v16, v14
	s_add_i32 s1, s0, s1
	s_add_i32 s3, s12, s3
	s_lshl_b64 s[12:13], s[34:35], 2
	v_xor_b32_e32 v36, v14, v15
	ds_read_b64 v[14:15], v28 offset:16384
	ds_read_b64 v[16:17], v36 offset:16384
	s_waitcnt lgkmcnt(2)
	v_mfma_f32_16x16x16_bf16 a[0:3], v[12:13], v[4:5], a[0:3]
	s_mul_i32 s0, s33, s18
	s_add_u32 s10, s10, s12
	s_addc_u32 s11, s11, s13
	s_lshl_b64 s[0:1], s[0:1], 2
	s_mul_i32 s2, s2, s28
	s_add_u32 s10, s10, s0
	s_addc_u32 s11, s11, s1
	s_lshl_b64 s[0:1], s[2:3], 2
	s_waitcnt lgkmcnt(1)
	v_mfma_f32_16x16x16_bf16 a[0:3], v[14:15], v[6:7], a[0:3]
	s_add_u32 s0, s10, s0
	s_addc_u32 s1, s11, s1
	s_load_dword s12, s[0:1], 0x0
	s_waitcnt lgkmcnt(0)
	v_mfma_f32_16x16x16_bf16 a[0:3], v[16:17], v[8:9], a[0:3]
	s_and_b64 vcc, exec, s[26:27]
	s_cbranch_vccz .LBB624_42
; %bb.32:
	v_lshlrev_b32_e32 v20, 1, v35
	s_and_b64 vcc, exec, s[6:7]
	s_cbranch_vccz .LBB624_43
; %bb.33:
	v_cmp_gt_i32_e32 vcc, s41, v20
	v_mov_b32_e32 v6, 0
	v_mov_b32_e32 v2, 0
	;; [unrolled: 1-line block ×5, first 2 shown]
	s_and_saveexec_b64 s[0:1], vcc
	s_cbranch_execz .LBB624_35
; %bb.34:
	v_mad_i64_i32 v[2:3], s[2:3], s15, v20, 0
	v_lshl_add_u64 v[2:3], v[2:3], 1, s[4:5]
	v_lshlrev_b32_e32 v4, 1, v18
	v_mov_b32_e32 v5, 0
	v_lshl_add_u64 v[2:3], v[2:3], 0, v[4:5]
	global_load_dwordx4 v[2:5], v[2:3], off
.LBB624_35:
	s_or_b64 exec, exec, s[0:1]
	v_or_b32_e32 v21, 1, v20
	v_cmp_gt_i32_e64 s[0:1], s41, v21
	v_mov_b32_e32 v7, 0
	v_mov_b32_e32 v8, 0
	;; [unrolled: 1-line block ×3, first 2 shown]
	s_and_saveexec_b64 s[2:3], s[0:1]
	s_cbranch_execz .LBB624_37
; %bb.36:
	v_mad_i64_i32 v[6:7], s[16:17], s15, v21, 0
	v_lshl_add_u64 v[6:7], v[6:7], 1, s[4:5]
	v_lshlrev_b32_e32 v8, 1, v18
	v_mov_b32_e32 v9, 0
	v_lshl_add_u64 v[6:7], v[6:7], 0, v[8:9]
	global_load_dwordx4 v[6:9], v[6:7], off
.LBB624_37:
	s_or_b64 exec, exec, s[2:3]
	v_mov_b32_e32 v17, 0
	v_mov_b32_e32 v10, 0
	;; [unrolled: 1-line block ×5, first 2 shown]
	s_and_saveexec_b64 s[2:3], vcc
	s_cbranch_execz .LBB624_39
; %bb.38:
	v_mad_i64_i32 v[10:11], s[16:17], s15, v20, 0
	v_lshl_add_u64 v[10:11], v[10:11], 1, s[4:5]
	v_lshlrev_b32_e32 v12, 1, v18
	v_mov_b32_e32 v13, 0
	v_lshl_add_u64 v[10:11], v[10:11], 0, v[12:13]
	global_load_dwordx4 v[10:13], v[10:11], off offset:128
.LBB624_39:
	s_or_b64 exec, exec, s[2:3]
	v_mov_b32_e32 v16, 0
	v_mov_b32_e32 v15, 0
	;; [unrolled: 1-line block ×3, first 2 shown]
	s_and_saveexec_b64 s[2:3], s[0:1]
	s_cbranch_execz .LBB624_41
; %bb.40:
	v_mad_i64_i32 v[14:15], s[0:1], s15, v21, 0
	v_lshl_add_u64 v[14:15], v[14:15], 1, s[4:5]
	v_lshlrev_b32_e32 v16, 1, v18
	v_mov_b32_e32 v17, 0
	v_lshl_add_u64 v[14:15], v[14:15], 0, v[16:17]
	global_load_dwordx4 v[14:17], v[14:15], off offset:128
.LBB624_41:
	s_or_b64 exec, exec, s[2:3]
	s_branch .LBB624_45
.LBB624_42:
                                        ; implicit-def: $vgpr5
                                        ; implicit-def: $vgpr9
                                        ; implicit-def: $vgpr13
                                        ; implicit-def: $vgpr17
	v_lshrrev_b32_e32 v37, 2, v41
	s_branch .LBB624_46
.LBB624_43:
                                        ; implicit-def: $vgpr5
                                        ; implicit-def: $vgpr9
                                        ; implicit-def: $vgpr13
                                        ; implicit-def: $vgpr17
	s_cbranch_execz .LBB624_45
; %bb.44:
	s_waitcnt vmcnt(0)
	v_mad_u64_u32 v[2:3], s[0:1], v20, s15, v[18:19]
	v_lshlrev_b32_e32 v20, 1, v2
	s_lshl_b32 s2, s15, 7
	s_and_b32 s1, s5, 0xffff
	s_mov_b32 s3, 0x20000
	s_mov_b32 s0, s4
	v_add_lshl_u32 v21, v2, s15, 1
	s_movk_i32 s13, 0x80
	buffer_load_dwordx4 v[2:5], v20, s[0:3], 0 offen
	buffer_load_dwordx4 v[10:13], v20, s[0:3], s13 offen
	;; [unrolled: 1-line block ×4, first 2 shown]
.LBB624_45:
	v_lshrrev_b32_e32 v37, 2, v41
	s_cbranch_execnz .LBB624_58
.LBB624_46:
	s_and_b64 vcc, exec, s[6:7]
	s_cbranch_vccz .LBB624_56
; %bb.47:
	s_waitcnt vmcnt(0)
	v_lshlrev_b32_e32 v7, 1, v35
	v_cmp_gt_i32_e32 vcc, s41, v7
	v_mov_b32_e32 v6, 0
	v_lshlrev_b32_e32 v14, 9, v35
	v_mov_b32_e32 v2, 0
	v_mov_b32_e32 v3, 0
	;; [unrolled: 1-line block ×4, first 2 shown]
	s_and_saveexec_b64 s[0:1], vcc
	s_cbranch_execz .LBB624_49
; %bb.48:
	v_mov_b32_e32 v15, 0
	v_lshl_add_u64 v[2:3], s[4:5], 0, v[14:15]
	v_lshlrev_b32_e32 v4, 1, v18
	v_mov_b32_e32 v5, v15
	v_lshl_add_u64 v[2:3], v[2:3], 0, v[4:5]
	global_load_dwordx4 v[2:5], v[2:3], off
.LBB624_49:
	s_or_b64 exec, exec, s[0:1]
	v_or_b32_e32 v7, 1, v7
	v_cmp_gt_i32_e64 s[0:1], s41, v7
	v_lshlrev_b32_e32 v20, 8, v7
	v_mov_b32_e32 v7, 0
	v_mov_b32_e32 v8, 0
	;; [unrolled: 1-line block ×3, first 2 shown]
	s_and_saveexec_b64 s[2:3], s[0:1]
	s_cbranch_execz .LBB624_51
; %bb.50:
	v_mov_b32_e32 v21, 0
	v_lshl_add_u64 v[6:7], s[4:5], 0, v[20:21]
	v_lshlrev_b32_e32 v8, 1, v18
	v_mov_b32_e32 v9, v21
	v_lshl_add_u64 v[6:7], v[6:7], 0, v[8:9]
	global_load_dwordx4 v[6:9], v[6:7], off
.LBB624_51:
	s_or_b64 exec, exec, s[2:3]
	v_mov_b32_e32 v17, 0
	v_mov_b32_e32 v10, 0
	;; [unrolled: 1-line block ×5, first 2 shown]
	s_and_saveexec_b64 s[2:3], vcc
	s_cbranch_execz .LBB624_53
; %bb.52:
	v_mov_b32_e32 v15, 0
	v_lshl_add_u64 v[10:11], s[4:5], 0, v[14:15]
	v_lshlrev_b32_e32 v14, 1, v18
	v_lshl_add_u64 v[10:11], v[10:11], 0, v[14:15]
	global_load_dwordx4 v[10:13], v[10:11], off offset:128
.LBB624_53:
	s_or_b64 exec, exec, s[2:3]
	v_mov_b32_e32 v16, 0
	v_mov_b32_e32 v15, 0
	;; [unrolled: 1-line block ×3, first 2 shown]
	s_and_saveexec_b64 s[2:3], s[0:1]
	s_cbranch_execz .LBB624_55
; %bb.54:
	v_mov_b32_e32 v21, 0
	v_lshl_add_u64 v[14:15], s[4:5], 0, v[20:21]
	v_lshlrev_b32_e32 v20, 1, v18
	v_lshl_add_u64 v[14:15], v[14:15], 0, v[20:21]
	global_load_dwordx4 v[14:17], v[14:15], off offset:128
.LBB624_55:
	s_or_b64 exec, exec, s[2:3]
	s_branch .LBB624_58
.LBB624_56:
                                        ; implicit-def: $vgpr5
                                        ; implicit-def: $vgpr9
                                        ; implicit-def: $vgpr13
                                        ; implicit-def: $vgpr17
	s_cbranch_execz .LBB624_58
; %bb.57:
	s_waitcnt vmcnt(0)
	v_lshlrev_b32_e32 v2, 1, v18
	v_lshl_or_b32 v18, v35, 9, v2
	s_and_b32 s5, s5, 0xffff
	s_mov_b32 s7, 0x20000
	s_movk_i32 s6, 0x4000
	s_movk_i32 s0, 0x80
	buffer_load_dwordx4 v[2:5], v18, s[4:7], 0 offen
	buffer_load_dwordx4 v[6:9], v18, s[4:7], 0 offen offset:256
	buffer_load_dwordx4 v[10:13], v18, s[4:7], s0 offen
	buffer_load_dwordx4 v[14:17], v18, s[4:7], s0 offen offset:256
.LBB624_58:
	ds_read2st64_b64 v[22:25], v19 offset0:76 offset1:77
	ds_read2st64_b64 v[18:21], v19 offset0:78 offset1:79
	ds_read_b64 v[30:31], v26 offset:24576
	ds_read_b64 v[32:33], v27 offset:24576
	;; [unrolled: 1-line block ×4, first 2 shown]
	v_and_b32_e32 v36, 6, v0
	v_xor_b32_e32 v35, v35, v36
	v_lshlrev_b32_e32 v35, 2, v35
	v_and_b32_e32 v0, 1, v0
	v_xor_b32_e32 v38, 0x440, v35
	v_cmp_eq_u32_e32 vcc, 0, v0
	s_mov_b32 s0, 0x1000504
	s_mov_b32 s1, 0x3020706
	v_cndmask_b32_e32 v0, v38, v35, vcc
	v_lshl_or_b32 v0, v36, 10, v0
	s_waitcnt vmcnt(0)
	v_perm_b32 v35, v2, v6, s0
	v_perm_b32 v36, v10, v14, s0
	ds_write2st64_b32 v0, v35, v36 offset1:32
	v_xor_b32_e32 v35, 8, v0
	v_perm_b32 v2, v2, v6, s1
	v_perm_b32 v6, v10, v14, s1
	v_add_u32_e32 v10, 0x80, v35
	ds_write2st64_b32 v10, v2, v6 offset1:32
	v_xor_b32_e32 v2, 16, v0
	v_perm_b32 v6, v3, v7, s0
	v_perm_b32 v10, v11, v15, s0
	ds_write2st64_b32 v2, v6, v10 offset0:1 offset1:33
	v_xor_b32_e32 v2, 24, v0
	v_perm_b32 v3, v3, v7, s1
	v_perm_b32 v6, v11, v15, s1
	v_add_u32_e32 v2, 0x80, v2
	ds_write2st64_b32 v2, v3, v6 offset0:1 offset1:33
	v_xor_b32_e32 v2, 32, v0
	v_perm_b32 v3, v4, v8, s0
	v_perm_b32 v6, v12, v16, s0
	ds_write2st64_b32 v2, v3, v6 offset0:2 offset1:34
	v_xor_b32_e32 v2, 40, v0
	v_perm_b32 v3, v4, v8, s1
	v_perm_b32 v4, v12, v16, s1
	v_add_u32_e32 v2, 0x80, v2
	ds_write2st64_b32 v2, v3, v4 offset0:2 offset1:34
	v_xor_b32_e32 v2, 48, v0
	v_perm_b32 v3, v5, v9, s0
	v_perm_b32 v4, v13, v17, s0
	v_xor_b32_e32 v0, 56, v0
	v_and_or_b32 v6, v37, 12, v40
	ds_write2st64_b32 v2, v3, v4 offset0:3 offset1:35
	v_perm_b32 v2, v5, v9, s1
	v_perm_b32 v3, v13, v17, s1
	v_add_u32_e32 v0, 0x80, v0
	v_cmp_gt_i32_e32 vcc, s41, v6
	v_mov_b32_e32 v7, 0
	v_mov_b32_e32 v11, 0
	ds_write2st64_b32 v0, v2, v3 offset0:3 offset1:35
	s_and_saveexec_b64 s[0:1], vcc
	s_cbranch_execz .LBB624_60
; %bb.59:
	v_add_u32_e32 v0, s40, v6
	v_ashrrev_i32_e32 v2, 31, v0
	v_mul_lo_u32 v4, v2, s28
	v_mul_lo_u32 v5, v0, s29
	v_mad_u64_u32 v[2:3], s[2:3], v0, s28, 0
	v_add3_u32 v3, v3, v5, v4
	v_lshl_add_u64 v[2:3], v[2:3], 2, s[10:11]
	global_load_dword v0, v[2:3], off
	s_waitcnt vmcnt(0)
	v_sub_f32_e32 v0, s12, v0
	v_mul_f32_e32 v0, 0x3fb8aa3b, v0
	v_exp_f32_e32 v11, v0
.LBB624_60:
	s_or_b64 exec, exec, s[0:1]
	v_or_b32_e32 v9, 1, v6
	v_cmp_gt_i32_e64 s[0:1], s41, v9
	s_and_saveexec_b64 s[2:3], s[0:1]
	s_cbranch_execz .LBB624_62
; %bb.61:
	v_add_u32_e32 v0, s40, v9
	v_ashrrev_i32_e32 v2, 31, v0
	v_mul_lo_u32 v4, v2, s28
	v_mul_lo_u32 v5, v0, s29
	v_mad_u64_u32 v[2:3], s[4:5], v0, s28, 0
	v_add3_u32 v3, v3, v5, v4
	v_lshl_add_u64 v[2:3], v[2:3], 2, s[10:11]
	global_load_dword v0, v[2:3], off
	s_waitcnt vmcnt(0)
	v_sub_f32_e32 v0, s12, v0
	v_mul_f32_e32 v0, 0x3fb8aa3b, v0
	v_exp_f32_e32 v7, v0
.LBB624_62:
	s_or_b64 exec, exec, s[2:3]
	v_or_b32_e32 v10, 2, v6
	v_cmp_gt_i32_e64 s[2:3], s41, v10
	v_mov_b32_e32 v8, 0
	v_mov_b32_e32 v13, 0
	s_and_saveexec_b64 s[4:5], s[2:3]
	s_cbranch_execz .LBB624_64
; %bb.63:
	v_add_u32_e32 v0, s40, v10
	v_ashrrev_i32_e32 v2, 31, v0
	v_mul_lo_u32 v4, v2, s28
	v_mul_lo_u32 v5, v0, s29
	v_mad_u64_u32 v[2:3], s[6:7], v0, s28, 0
	v_add3_u32 v3, v3, v5, v4
	v_lshl_add_u64 v[2:3], v[2:3], 2, s[10:11]
	global_load_dword v0, v[2:3], off
	s_waitcnt vmcnt(0)
	v_sub_f32_e32 v0, s12, v0
	v_mul_f32_e32 v0, 0x3fb8aa3b, v0
	v_exp_f32_e32 v13, v0
.LBB624_64:
	s_or_b64 exec, exec, s[4:5]
	v_or_b32_e32 v12, 3, v6
	v_cmp_gt_i32_e64 s[4:5], s41, v12
	s_and_saveexec_b64 s[6:7], s[4:5]
	s_cbranch_execz .LBB624_66
; %bb.65:
	v_add_u32_e32 v0, s40, v12
	v_ashrrev_i32_e32 v2, 31, v0
	v_mul_lo_u32 v4, v2, s28
	v_mul_lo_u32 v5, v0, s29
	v_mad_u64_u32 v[2:3], s[14:15], v0, s28, 0
	v_add3_u32 v3, v3, v5, v4
	v_lshl_add_u64 v[2:3], v[2:3], 2, s[10:11]
	global_load_dword v0, v[2:3], off
	s_waitcnt vmcnt(0)
	v_sub_f32_e32 v0, s12, v0
	v_mul_f32_e32 v0, 0x3fb8aa3b, v0
	v_exp_f32_e32 v8, v0
.LBB624_66:
	s_or_b64 exec, exec, s[6:7]
	s_waitcnt lgkmcnt(11)
	v_mfma_f32_16x16x16_bf16 a[0:3], v[30:31], v[22:23], a[0:3]
	v_or_b32_e32 v0, s30, v1
	s_add_u32 s6, s8, s24
	s_addc_u32 s7, s9, s25
	s_waitcnt lgkmcnt(10)
	v_mfma_f32_16x16x16_bf16 a[0:3], v[32:33], v[24:25], a[0:3]
	v_ashrrev_i32_e32 v1, 31, v0
	v_lshl_add_u64 v[4:5], v[0:1], 1, s[6:7]
	v_mov_b32_e32 v14, 0
	s_waitcnt lgkmcnt(9)
	v_mfma_f32_16x16x16_bf16 a[0:3], v[28:29], v[18:19], a[0:3]
	v_mov_b32_e32 v15, 0
	s_waitcnt lgkmcnt(8)
	v_mfma_f32_16x16x16_bf16 a[0:3], v[26:27], v[20:21], a[0:3]
	s_nop 6
	v_accvgpr_read_b32 v0, a0
	v_accvgpr_read_b32 v1, a1
	;; [unrolled: 1-line block ×4, first 2 shown]
	s_and_saveexec_b64 s[6:7], vcc
	s_cbranch_execz .LBB624_68
; %bb.67:
	v_lshlrev_b32_e32 v16, 8, v6
	v_mov_b32_e32 v17, 0
	v_lshl_add_u64 v[16:17], v[4:5], 0, v[16:17]
	global_load_ushort v15, v[16:17], off
	s_waitcnt vmcnt(0)
	v_lshlrev_b32_e32 v15, 16, v15
	v_sub_f32_e32 v0, v15, v0
	v_mul_f32_e32 v0, v11, v0
	v_lshrrev_b32_e32 v15, 16, v0
.LBB624_68:
	s_or_b64 exec, exec, s[6:7]
	s_and_saveexec_b64 s[6:7], s[0:1]
	s_cbranch_execz .LBB624_70
; %bb.69:
	v_lshlrev_b32_e32 v16, 8, v9
	v_mov_b32_e32 v17, 0
	v_lshl_add_u64 v[16:17], v[4:5], 0, v[16:17]
	global_load_ushort v0, v[16:17], off
	s_waitcnt vmcnt(0)
	v_lshlrev_b32_e32 v0, 16, v0
	v_sub_f32_e32 v0, v0, v1
	v_mul_f32_e32 v0, v7, v0
	v_lshrrev_b32_e32 v14, 16, v0
.LBB624_70:
	s_or_b64 exec, exec, s[6:7]
	v_mov_b32_e32 v0, 0
	v_mov_b32_e32 v1, 0
	s_and_saveexec_b64 s[0:1], s[2:3]
	s_cbranch_execz .LBB624_72
; %bb.71:
	v_lshlrev_b32_e32 v10, 8, v10
	v_mov_b32_e32 v11, 0
	v_lshl_add_u64 v[10:11], v[4:5], 0, v[10:11]
	global_load_ushort v1, v[10:11], off
	s_waitcnt vmcnt(0)
	v_lshlrev_b32_e32 v1, 16, v1
	v_sub_f32_e32 v1, v1, v2
	v_mul_f32_e32 v1, v13, v1
	v_lshrrev_b32_e32 v1, 16, v1
.LBB624_72:
	s_or_b64 exec, exec, s[0:1]
	s_and_saveexec_b64 s[0:1], s[4:5]
	s_cbranch_execz .LBB624_74
; %bb.73:
	v_lshlrev_b32_e32 v10, 8, v12
	v_mov_b32_e32 v11, 0
	v_lshl_add_u64 v[4:5], v[4:5], 0, v[10:11]
	global_load_ushort v0, v[4:5], off
	s_waitcnt vmcnt(0)
	v_lshlrev_b32_e32 v0, 16, v0
	v_sub_f32_e32 v0, v0, v3
	v_mul_f32_e32 v0, v8, v0
	v_lshrrev_b32_e32 v0, 16, v0
.LBB624_74:
	s_or_b64 exec, exec, s[0:1]
	s_mov_b32 s0, 0x5040100
	v_lshlrev_b32_e32 v2, 1, v34
	v_perm_b32 v1, v0, v1, s0
	v_perm_b32 v0, v14, v15, s0
	v_lshl_or_b32 v2, v6, 5, v2
	ds_write_b64 v2, v[0:1] offset:38912
	s_waitcnt lgkmcnt(0)
	s_barrier
.LBB624_75:
	s_endpgm
	.section	.rodata,"a",@progbits
	.p2align	6, 0x0
	.amdhsa_kernel _ZN12_GLOBAL__N_139chunk_gated_delta_rule_fwd_h_hip_kernelILi16ELb0ELb0ELb0ELb0ELb0ELb0ELb1ELb1EEEvPK12hip_bfloat16S3_S3_PKfS5_PKvPS1_S8_PvPKiSB_iiiiilll
		.amdhsa_group_segment_fixed_size 40960
		.amdhsa_private_segment_fixed_size 0
		.amdhsa_kernarg_size 136
		.amdhsa_user_sgpr_count 2
		.amdhsa_user_sgpr_dispatch_ptr 0
		.amdhsa_user_sgpr_queue_ptr 0
		.amdhsa_user_sgpr_kernarg_segment_ptr 1
		.amdhsa_user_sgpr_dispatch_id 0
		.amdhsa_user_sgpr_kernarg_preload_length 0
		.amdhsa_user_sgpr_kernarg_preload_offset 0
		.amdhsa_user_sgpr_private_segment_size 0
		.amdhsa_uses_dynamic_stack 0
		.amdhsa_enable_private_segment 0
		.amdhsa_system_sgpr_workgroup_id_x 1
		.amdhsa_system_sgpr_workgroup_id_y 1
		.amdhsa_system_sgpr_workgroup_id_z 0
		.amdhsa_system_sgpr_workgroup_info 0
		.amdhsa_system_vgpr_workitem_id 0
		.amdhsa_next_free_vgpr 116
		.amdhsa_next_free_sgpr 61
		.amdhsa_accum_offset 108
		.amdhsa_reserve_vcc 1
		.amdhsa_float_round_mode_32 0
		.amdhsa_float_round_mode_16_64 0
		.amdhsa_float_denorm_mode_32 3
		.amdhsa_float_denorm_mode_16_64 3
		.amdhsa_dx10_clamp 1
		.amdhsa_ieee_mode 1
		.amdhsa_fp16_overflow 0
		.amdhsa_tg_split 0
		.amdhsa_exception_fp_ieee_invalid_op 0
		.amdhsa_exception_fp_denorm_src 0
		.amdhsa_exception_fp_ieee_div_zero 0
		.amdhsa_exception_fp_ieee_overflow 0
		.amdhsa_exception_fp_ieee_underflow 0
		.amdhsa_exception_fp_ieee_inexact 0
		.amdhsa_exception_int_div_zero 0
	.end_amdhsa_kernel
	.section	.text._ZN12_GLOBAL__N_139chunk_gated_delta_rule_fwd_h_hip_kernelILi16ELb0ELb0ELb0ELb0ELb0ELb0ELb1ELb1EEEvPK12hip_bfloat16S3_S3_PKfS5_PKvPS1_S8_PvPKiSB_iiiiilll,"axG",@progbits,_ZN12_GLOBAL__N_139chunk_gated_delta_rule_fwd_h_hip_kernelILi16ELb0ELb0ELb0ELb0ELb0ELb0ELb1ELb1EEEvPK12hip_bfloat16S3_S3_PKfS5_PKvPS1_S8_PvPKiSB_iiiiilll,comdat
.Lfunc_end624:
	.size	_ZN12_GLOBAL__N_139chunk_gated_delta_rule_fwd_h_hip_kernelILi16ELb0ELb0ELb0ELb0ELb0ELb0ELb1ELb1EEEvPK12hip_bfloat16S3_S3_PKfS5_PKvPS1_S8_PvPKiSB_iiiiilll, .Lfunc_end624-_ZN12_GLOBAL__N_139chunk_gated_delta_rule_fwd_h_hip_kernelILi16ELb0ELb0ELb0ELb0ELb0ELb0ELb1ELb1EEEvPK12hip_bfloat16S3_S3_PKfS5_PKvPS1_S8_PvPKiSB_iiiiilll
                                        ; -- End function
	.section	.AMDGPU.csdata,"",@progbits
; Kernel info:
; codeLenInByte = 7228
; NumSgprs: 67
; NumVgprs: 106
; NumAgprs: 8
; TotalNumVgprs: 116
; ScratchSize: 0
; MemoryBound: 0
; FloatMode: 240
; IeeeMode: 1
; LDSByteSize: 40960 bytes/workgroup (compile time only)
; SGPRBlocks: 8
; VGPRBlocks: 14
; NumSGPRsForWavesPerEU: 67
; NumVGPRsForWavesPerEU: 116
; AccumOffset: 108
; Occupancy: 1
; WaveLimiterHint : 1
; COMPUTE_PGM_RSRC2:SCRATCH_EN: 0
; COMPUTE_PGM_RSRC2:USER_SGPR: 2
; COMPUTE_PGM_RSRC2:TRAP_HANDLER: 0
; COMPUTE_PGM_RSRC2:TGID_X_EN: 1
; COMPUTE_PGM_RSRC2:TGID_Y_EN: 1
; COMPUTE_PGM_RSRC2:TGID_Z_EN: 0
; COMPUTE_PGM_RSRC2:TIDIG_COMP_CNT: 0
; COMPUTE_PGM_RSRC3_GFX90A:ACCUM_OFFSET: 26
; COMPUTE_PGM_RSRC3_GFX90A:TG_SPLIT: 0
	.section	.text._ZN12_GLOBAL__N_139chunk_gated_delta_rule_fwd_h_hip_kernelILi16ELb1ELb1ELb1ELb1ELb0ELb0ELb0ELb1EEEvPK12hip_bfloat16S3_S3_PKfS5_PKvPS1_S8_PvPKiSB_iiiiilll,"axG",@progbits,_ZN12_GLOBAL__N_139chunk_gated_delta_rule_fwd_h_hip_kernelILi16ELb1ELb1ELb1ELb1ELb0ELb0ELb0ELb1EEEvPK12hip_bfloat16S3_S3_PKfS5_PKvPS1_S8_PvPKiSB_iiiiilll,comdat
	.globl	_ZN12_GLOBAL__N_139chunk_gated_delta_rule_fwd_h_hip_kernelILi16ELb1ELb1ELb1ELb1ELb0ELb0ELb0ELb1EEEvPK12hip_bfloat16S3_S3_PKfS5_PKvPS1_S8_PvPKiSB_iiiiilll ; -- Begin function _ZN12_GLOBAL__N_139chunk_gated_delta_rule_fwd_h_hip_kernelILi16ELb1ELb1ELb1ELb1ELb0ELb0ELb0ELb1EEEvPK12hip_bfloat16S3_S3_PKfS5_PKvPS1_S8_PvPKiSB_iiiiilll
	.p2align	8
	.type	_ZN12_GLOBAL__N_139chunk_gated_delta_rule_fwd_h_hip_kernelILi16ELb1ELb1ELb1ELb1ELb0ELb0ELb0ELb1EEEvPK12hip_bfloat16S3_S3_PKfS5_PKvPS1_S8_PvPKiSB_iiiiilll,@function
_ZN12_GLOBAL__N_139chunk_gated_delta_rule_fwd_h_hip_kernelILi16ELb1ELb1ELb1ELb1ELb0ELb0ELb0ELb1EEEvPK12hip_bfloat16S3_S3_PKfS5_PKvPS1_S8_PvPKiSB_iiiiilll: ; @_ZN12_GLOBAL__N_139chunk_gated_delta_rule_fwd_h_hip_kernelILi16ELb1ELb1ELb1ELb1ELb0ELb0ELb0ELb1EEEvPK12hip_bfloat16S3_S3_PKfS5_PKvPS1_S8_PvPKiSB_iiiiilll
; %bb.0:
	s_load_dwordx4 s[20:23], s[0:1], 0x5c
	s_load_dwordx4 s[4:7], s[0:1], 0x48
	s_abs_i32 s9, s3
	s_ashr_i32 s8, s3, 31
	v_and_b32_e32 v56, 15, v0
	s_waitcnt lgkmcnt(0)
	s_abs_i32 s10, s21
	v_cvt_f32_u32_e32 v1, s10
	s_sub_i32 s12, 0, s10
	s_ashr_i32 s11, s21, 31
	s_xor_b32 s8, s8, s11
	v_rcp_iflag_f32_e32 v1, v1
	v_bfe_u32 v55, v0, 4, 2
	v_mov_b32_e32 v45, 0
	v_lshlrev_b32_e32 v57, 3, v0
	v_mul_f32_e32 v1, 0x4f7ffffe, v1
	v_cvt_u32_f32_e32 v1, v1
	s_nop 0
	v_readfirstlane_b32 s13, v1
	s_mul_i32 s12, s12, s13
	s_mul_hi_u32 s12, s13, s12
	s_add_i32 s13, s13, s12
	s_mul_hi_u32 s12, s9, s13
	s_mul_i32 s13, s12, s10
	s_sub_i32 s9, s9, s13
	s_add_i32 s14, s12, 1
	s_sub_i32 s13, s9, s10
	s_cmp_ge_u32 s9, s10
	s_cselect_b32 s12, s14, s12
	s_cselect_b32 s9, s13, s9
	s_add_i32 s13, s12, 1
	s_cmp_ge_u32 s9, s10
	s_cselect_b32 s9, s13, s12
	s_xor_b32 s9, s9, s8
	s_sub_i32 s24, s9, s8
	s_mul_i32 s12, s24, s21
	s_ashr_i32 s25, s24, 31
	s_sub_i32 s51, s3, s12
	s_lshl_b64 s[8:9], s[24:25], 2
	s_add_u32 s4, s4, s8
	s_addc_u32 s5, s5, s9
	s_add_u32 s26, s6, s8
	s_addc_u32 s27, s7, s9
	s_abs_i32 s3, s22
	v_cvt_f32_u32_e32 v1, s3
	s_load_dwordx2 s[38:39], s[4:5], 0x0
	s_sub_i32 s5, 0, s3
	s_lshl_b32 s2, s2, 4
	v_rcp_iflag_f32_e32 v1, v1
	v_or_b32_e32 v46, s2, v56
	s_waitcnt lgkmcnt(0)
	s_sub_i32 s54, s39, s38
	s_ashr_i32 s4, s54, 31
	v_mul_f32_e32 v1, 0x4f7ffffe, v1
	v_cvt_u32_f32_e32 v1, v1
	s_lshr_b32 s4, s4, 26
	s_add_i32 s4, s54, s4
	s_ashr_i32 s52, s4, 6
	v_readfirstlane_b32 s6, v1
	s_mul_i32 s5, s5, s6
	s_mul_hi_u32 s5, s6, s5
	s_add_i32 s6, s6, s5
	s_mul_hi_u32 s5, s10, s6
	s_mul_i32 s6, s5, s3
	s_ashr_i32 s4, s22, 31
	s_sub_i32 s6, s10, s6
	s_xor_b32 s4, s11, s4
	s_add_i32 s7, s5, 1
	s_sub_i32 s8, s6, s3
	s_cmp_ge_u32 s6, s3
	s_cselect_b32 s5, s7, s5
	s_cselect_b32 s6, s8, s6
	s_add_i32 s7, s5, 1
	s_cmp_ge_u32 s6, s3
	s_cselect_b32 s3, s7, s5
	s_xor_b32 s3, s3, s4
	s_sub_i32 s3, s3, s4
	s_abs_i32 s13, s3
	v_cvt_f32_u32_e32 v1, s13
	s_sub_i32 s15, 0, s13
	s_abs_i32 s14, s51
	s_xor_b32 s3, s51, s3
	v_rcp_iflag_f32_e32 v2, v1
	s_ashr_i32 s3, s3, 31
	s_load_dwordx8 s[4:11], s[0:1], 0x28
	v_lshrrev_b32_e32 v1, 6, v0
	v_mul_f32_e32 v2, 0x4f7ffffe, v2
	v_cvt_u32_f32_e32 v2, v2
	v_lshlrev_b32_e32 v54, 4, v1
	v_lshlrev_b32_e32 v42, 7, v46
	v_lshl_or_b32 v59, v55, 2, v54
	v_readfirstlane_b32 s16, v2
	s_mul_i32 s15, s15, s16
	s_mul_hi_u32 s15, s16, s15
	s_add_i32 s16, s16, s15
	s_mul_hi_u32 s15, s14, s16
	s_mul_i32 s16, s15, s13
	s_sub_i32 s14, s14, s16
	s_add_i32 s16, s15, 1
	s_sub_i32 s17, s14, s13
	s_cmp_ge_u32 s14, s13
	s_cselect_b32 s15, s16, s15
	s_cselect_b32 s14, s17, s14
	s_add_i32 s16, s15, 1
	s_cmp_ge_u32 s14, s13
	s_cselect_b32 s13, s16, s15
	s_xor_b32 s13, s13, s3
	s_sub_i32 s55, s13, s3
	s_ashr_i32 s53, s51, 31
	s_mul_hi_i32 s3, s24, s21
	s_add_u32 s12, s12, s51
	s_addc_u32 s13, s3, s53
	s_lshl_b64 s[34:35], s[12:13], 15
	s_waitcnt lgkmcnt(0)
	s_add_u32 s4, s4, s34
	s_addc_u32 s5, s5, s35
	v_ashrrev_i32_e32 v43, 31, v42
	v_lshl_add_u64 v[2:3], v[42:43], 1, s[4:5]
	v_lshlrev_b32_e32 v44, 1, v59
	v_lshl_add_u64 v[2:3], v[2:3], 0, v[44:45]
	global_load_dwordx2 v[4:5], v[2:3], off
	global_load_dwordx2 v[8:9], v[2:3], off offset:128
	s_load_dwordx8 s[12:19], s[0:1], 0x0
	s_load_dwordx2 s[36:37], s[0:1], 0x80
	s_load_dwordx4 s[28:31], s[0:1], 0x70
	s_load_dword s58, s[26:27], 0x0
	v_and_b32_e32 v45, 63, v0
	v_lshrrev_b32_e32 v58, 3, v45
	v_or_b32_e32 v60, 64, v59
	s_waitcnt lgkmcnt(0)
	s_mul_i32 s33, s24, s29
	s_mul_hi_u32 s46, s24, s28
	s_mul_i32 s42, s24, s28
	s_mul_i32 s47, s25, s28
	s_mul_hi_i32 s56, s51, s20
	s_mul_i32 s57, s51, s20
	s_mul_i32 s48, s51, s31
	s_mul_hi_u32 s49, s51, s30
	s_mul_i32 s50, s53, s30
	s_cmp_lt_i32 s54, 64
	s_mul_i32 s40, s51, s30
	s_waitcnt vmcnt(1)
	v_and_b32_e32 v3, 0xffff0000, v4
	v_lshlrev_b32_e32 v2, 16, v4
	v_and_b32_e32 v61, 0xffff0000, v5
	v_lshlrev_b32_e32 v4, 16, v5
	s_waitcnt vmcnt(0)
	v_and_b32_e32 v7, 0xffff0000, v8
	v_lshlrev_b32_e32 v6, 16, v8
	v_and_b32_e32 v62, 0xffff0000, v9
	v_lshlrev_b32_e32 v8, 16, v9
	s_cbranch_scc1 .LBB625_3
; %bb.1:
	s_ashr_i32 s1, s38, 31
	s_add_u32 s0, s57, s38
	s_addc_u32 s1, s56, s1
	s_lshl_b64 s[0:1], s[0:1], 8
	v_and_b32_e32 v64, 56, v57
	s_add_u32 s24, s14, s0
	v_lshl_or_b32 v63, v1, 3, v58
	v_lshlrev_b32_e32 v5, 1, v64
	s_addc_u32 s0, s15, s1
	v_lshl_or_b32 v65, v63, 8, v5
	s_and_b32 s25, s0, 0xffff
	s_mov_b32 s27, 0x20000
	s_movk_i32 s26, 0x4000
	s_movk_i32 s0, 0x80
	v_or_b32_e32 v66, 0x2000, v65
	buffer_load_dwordx4 v[10:13], v65, s[24:27], 0 offen
	buffer_load_dwordx4 v[14:17], v65, s[24:27], s0 offen
	buffer_load_dwordx4 v[18:21], v66, s[24:27], 0 offen
	buffer_load_dwordx4 v[22:25], v66, s[24:27], s0 offen
	v_lshlrev_b32_e32 v9, 3, v63
	v_and_or_b32 v27, v0, 7, v9
	v_and_b32_e32 v9, 0x78, v9
	v_lshlrev_b32_e32 v27, 4, v27
	v_xor_b32_e32 v67, v27, v9
	v_mul_lo_u32 v26, v63, s23
	v_or_b32_e32 v68, 0x1000, v67
	v_xor_b32_e32 v9, 8, v67
	s_cmpk_eq_i32 s23, 0x80
	s_mov_b32 s59, s38
	v_xor_b32_e32 v27, 8, v68
	s_cselect_b64 s[0:1], -1, 0
	s_cmpk_lg_i32 s23, 0x80
	s_waitcnt vmcnt(3)
	ds_write_b64 v67, v[10:11] offset:16384
	ds_write_b64 v9, v[12:13] offset:16384
	s_waitcnt vmcnt(2)
	ds_write_b64 v67, v[14:15] offset:24576
	ds_write_b64 v9, v[16:17] offset:24576
	;; [unrolled: 3-line block ×4, first 2 shown]
	v_lshl_add_u32 v9, v26, 1, v64
	s_cbranch_scc0 .LBB625_29
; %bb.2:
	v_lshlrev_b32_e32 v11, 1, v9
	v_add_lshl_u32 v10, v9, s23, 1
	s_lshl_b32 s26, s23, 7
	v_lshl_or_b32 v5, v63, 9, v5
	s_cbranch_execz .LBB625_30
	s_branch .LBB625_31
.LBB625_3:
	v_mov_b32_e32 v9, v62
	v_mov_b32_e32 v5, v61
.LBB625_4:
	s_lshl_b32 s31, s52, 6
	s_sub_i32 s30, s54, s31
	s_cmp_gt_i32 s30, 0
	s_cbranch_scc0 .LBB625_76
; %bb.5:
	s_add_i32 s31, s31, s38
	s_ashr_i32 s3, s31, 31
	s_cmpk_lg_i32 s23, 0x80
	s_cselect_b64 s[26:27], -1, 0
	s_and_b64 vcc, exec, s[26:27]
	s_cbranch_vccz .LBB625_7
; %bb.6:
	s_mul_i32 s1, s31, s22
	s_ashr_i32 s4, s55, 31
	s_mul_hi_i32 s0, s31, s22
	s_add_u32 s28, s1, s55
	s_addc_u32 s29, s0, s4
	s_cbranch_execz .LBB625_8
	s_branch .LBB625_9
.LBB625_7:
                                        ; implicit-def: $sgpr28_sgpr29
.LBB625_8:
	s_mul_i32 s1, s55, s20
	s_mul_hi_i32 s0, s55, s20
	s_add_u32 s28, s1, s31
	s_addc_u32 s29, s0, s3
.LBB625_9:
	s_add_i32 s4, s52, s58
	s_add_u32 s0, s57, s31
	s_addc_u32 s1, s56, s3
	s_mov_b32 s3, 0x7060302
	v_lshlrev_b32_e32 v14, 3, v56
	s_lshl_b64 s[24:25], s[0:1], 8
	v_perm_b32 v11, v5, v4, s3
	v_perm_b32 v10, v3, v2, s3
	v_perm_b32 v13, v9, v8, s3
	v_perm_b32 v12, v7, v6, s3
	v_lshlrev_b32_e32 v48, 2, v56
	v_lshl_or_b32 v14, v59, 5, v14
	s_add_u32 s0, s14, s24
	ds_write2st64_b64 v14, v[10:11], v[12:13] offset0:72 offset1:76
	v_xor_b32_e32 v14, v59, v48
	v_lshlrev_b32_e32 v15, 8, v56
	s_addc_u32 s1, s15, s25
	v_lshl_or_b32 v14, v14, 1, v15
	s_mul_hi_i32 s3, s4, s21
	s_mul_i32 s4, s4, s21
	ds_write_b64 v14, v[10:11] offset:32768
	v_xor_b32_e32 v10, v60, v48
	s_add_u32 s4, s4, s51
	v_lshl_or_b32 v10, v10, 1, v15
	s_addc_u32 s5, s3, s53
	v_lshlrev_b32_e32 v11, 1, v56
	ds_write_b64 v10, v[12:13] offset:32768
	v_lshrrev_b32_e32 v10, 4, v0
	s_ashr_i32 s3, s2, 31
	s_lshl_b64 s[4:5], s[4:5], 15
	v_or_b32_e32 v12, 1, v11
	s_add_u32 s4, s6, s4
	v_xor_b32_e32 v11, v10, v11
	v_xor_b32_e32 v12, v12, v10
	v_lshlrev_b32_e32 v14, 8, v10
	s_addc_u32 s5, s7, s5
	s_lshl_b64 s[2:3], s[2:3], 8
	v_lshl_or_b32 v10, v11, 3, v14
	v_lshl_or_b32 v12, v12, 3, v14
	s_waitcnt lgkmcnt(0)
	s_barrier
	s_add_u32 s2, s4, s2
	ds_read_b64 v[10:11], v10 offset:32768
	ds_read_b64 v[12:13], v12 offset:32768
	s_addc_u32 s3, s5, s3
	v_mov_b32_e32 v15, 0
	s_cmp_lg_u32 s30, 64
	v_lshl_add_u64 v[16:17], s[2:3], 0, v[14:15]
	v_lshlrev_b32_e32 v14, 4, v56
	s_cselect_b64 s[14:15], -1, 0
	v_lshl_or_b32 v47, v1, 3, v58
	s_mov_b32 s4, 0
	v_lshl_add_u64 v[14:15], v[16:17], 0, v[14:15]
	s_waitcnt vmcnt(1)
	v_or_b32_e32 v27, 32, v47
	v_and_b32_e32 v26, 56, v57
	s_and_b64 vcc, exec, s[14:15]
	s_waitcnt lgkmcnt(0)
	global_store_dwordx4 v[14:15], v[10:13], off
	s_cbranch_vccz .LBB625_15
; %bb.10:
	s_mov_b32 s6, s4
	s_mov_b32 s7, s4
	;; [unrolled: 1-line block ×3, first 2 shown]
	v_mov_b64_e32 v[16:17], s[6:7]
	v_mov_b64_e32 v[14:15], s[4:5]
	;; [unrolled: 1-line block ×3, first 2 shown]
	v_cmp_gt_i32_e32 vcc, s30, v47
	v_mov_b64_e32 v[12:13], v[16:17]
	s_and_saveexec_b64 s[2:3], vcc
	s_cbranch_execz .LBB625_12
; %bb.11:
	v_lshlrev_b32_e32 v10, 8, v47
	v_mov_b32_e32 v11, 0
	v_lshl_add_u64 v[12:13], s[0:1], 0, v[10:11]
	v_lshlrev_b32_e32 v10, 1, v26
	v_lshl_add_u64 v[18:19], v[12:13], 0, v[10:11]
	global_load_dwordx4 v[14:17], v[18:19], off
	global_load_dwordx4 v[10:13], v[18:19], off offset:128
.LBB625_12:
	s_or_b64 exec, exec, s[2:3]
	s_mov_b32 s6, s4
	s_mov_b32 s7, s4
	;; [unrolled: 1-line block ×3, first 2 shown]
	v_mov_b64_e32 v[24:25], s[6:7]
	v_mov_b64_e32 v[22:23], s[4:5]
	;; [unrolled: 1-line block ×3, first 2 shown]
	v_cmp_gt_i32_e32 vcc, s30, v27
	v_lshlrev_b32_e32 v28, 7, v27
	v_mov_b64_e32 v[20:21], v[24:25]
	s_and_saveexec_b64 s[2:3], vcc
	s_cbranch_execz .LBB625_14
; %bb.13:
	v_lshlrev_b32_e32 v18, 1, v28
	v_mov_b32_e32 v19, 0
	v_lshl_add_u64 v[20:21], s[0:1], 0, v[18:19]
	v_lshlrev_b32_e32 v18, 1, v26
	v_lshl_add_u64 v[30:31], v[20:21], 0, v[18:19]
	global_load_dwordx4 v[22:25], v[30:31], off
	global_load_dwordx4 v[18:21], v[30:31], off offset:128
.LBB625_14:
	s_or_b64 exec, exec, s[2:3]
	v_lshrrev_b32_e32 v29, 3, v26
	v_lshlrev_b32_e32 v30, 3, v47
	v_or_b32_e32 v29, v30, v29
	v_lshlrev_b32_e32 v29, 4, v29
	v_and_b32_e32 v30, 0x78, v30
	v_xor_b32_e32 v29, v29, v30
	s_branch .LBB625_17
.LBB625_15:
                                        ; implicit-def: $vgpr29
                                        ; implicit-def: $vgpr28
                                        ; implicit-def: $vgpr14_vgpr15_vgpr16_vgpr17
                                        ; implicit-def: $vgpr10_vgpr11_vgpr12_vgpr13
                                        ; implicit-def: $vgpr22_vgpr23_vgpr24_vgpr25
                                        ; implicit-def: $vgpr18_vgpr19_vgpr20_vgpr21
	s_cbranch_execz .LBB625_17
; %bb.16:
	s_waitcnt vmcnt(0)
	v_lshlrev_b32_e32 v10, 1, v26
	v_lshl_or_b32 v28, v47, 8, v10
	s_and_b32 s1, s1, 0xffff
	s_mov_b32 s3, 0x20000
	s_movk_i32 s2, 0x4000
	v_lshl_or_b32 v29, v27, 8, v10
	s_movk_i32 s4, 0x80
	buffer_load_dwordx4 v[14:17], v28, s[0:3], 0 offen
	buffer_load_dwordx4 v[10:13], v28, s[0:3], s4 offen
	;; [unrolled: 1-line block ×4, first 2 shown]
	v_lshrrev_b32_e32 v28, 3, v26
	v_lshlrev_b32_e32 v29, 3, v47
	v_or_b32_e32 v28, v29, v28
	v_lshlrev_b32_e32 v28, 4, v28
	v_and_b32_e32 v29, 0x78, v29
	v_xor_b32_e32 v29, v28, v29
	v_lshlrev_b32_e32 v28, 7, v27
.LBB625_17:
	s_lshl_b64 s[0:1], s[28:29], 8
	s_add_u32 s4, s12, s0
	s_movk_i32 s0, 0x1000
	v_and_or_b32 v27, v28, s0, v29
	s_waitcnt vmcnt(1)
	ds_write_b64 v29, v[14:15] offset:16384
	v_xor_b32_e32 v14, 8, v29
	ds_write_b64 v14, v[16:17] offset:16384
	s_waitcnt vmcnt(0)
	ds_write_b64 v29, v[10:11] offset:24576
	ds_write_b64 v14, v[12:13] offset:24576
	ds_write_b64 v27, v[22:23] offset:16384
	v_xor_b32_e32 v10, 8, v27
	ds_write_b64 v10, v[24:25] offset:16384
	ds_write_b64 v27, v[18:19] offset:24576
	;; [unrolled: 1-line block ×3, first 2 shown]
	v_or_b32_e32 v10, v54, v56
	v_lshlrev_b32_e32 v10, 3, v10
	v_lshrrev_b32_e32 v12, 5, v45
	s_movk_i32 s6, 0xf8
	v_and_or_b32 v12, v10, s6, v12
	v_lshlrev_b32_e32 v49, 11, v1
	v_lshlrev_b32_e32 v20, 4, v12
	v_and_b32_e32 v21, 0x78, v10
	v_and_b32_e32 v22, 0x1000, v49
	v_lshlrev_b32_e32 v11, 2, v0
	v_xor_b32_e32 v10, v20, v21
	v_lshrrev_b32_e32 v12, 1, v45
	v_and_b32_e32 v11, 60, v11
	v_or_b32_e32 v10, v10, v22
	v_and_b32_e32 v23, 8, v12
	v_xor_b32_e32 v34, v10, v23
	v_lshl_or_b32 v10, v55, 6, v11
	v_lshlrev_b32_e32 v50, 1, v10
	v_or_b32_e32 v10, 32, v20
	v_xor_b32_e32 v10, v10, v21
	s_waitcnt lgkmcnt(0)
	s_barrier
	ds_read_b64 v[18:19], v34 offset:16384
	v_or_b32_e32 v10, v10, v22
	v_xor_b32_e32 v35, v10, v23
	v_or_b32_e32 v10, 64, v20
	v_xor_b32_e32 v10, v10, v21
	v_or_b32_e32 v10, v10, v22
	v_or_b32_e32 v20, 0x60, v20
	v_xor_b32_e32 v36, v10, v23
	ds_read2st64_b64 v[10:13], v50 offset0:72 offset1:73
	ds_read2st64_b64 v[14:17], v50 offset0:74 offset1:75
	v_xor_b32_e32 v24, v20, v21
	ds_read_b64 v[20:21], v35 offset:16384
	s_addc_u32 s5, s13, s1
	s_add_i32 s1, s46, s33
	s_waitcnt lgkmcnt(2)
	v_mfma_f32_16x16x16_bf16 a[0:3], v[18:19], v[10:11], 0
	s_add_i32 s0, s39, -1
	s_add_i32 s43, s1, s47
	s_add_i32 s1, s49, s48
	s_add_i32 s41, s1, s50
	s_ashr_i32 s1, s0, 31
	s_mul_i32 s2, s0, s37
	s_mul_hi_u32 s3, s0, s36
	s_add_i32 s2, s3, s2
	s_mul_i32 s1, s1, s36
	v_or_b32_e32 v22, v24, v22
	s_add_i32 s1, s2, s1
	s_lshl_b64 s[2:3], s[42:43], 2
	v_xor_b32_e32 v51, v22, v23
	ds_read_b64 v[22:23], v36 offset:16384
	ds_read_b64 v[24:25], v51 offset:16384
	s_waitcnt lgkmcnt(2)
	v_mfma_f32_16x16x16_bf16 a[0:3], v[20:21], v[12:13], a[0:3]
	s_add_u32 s6, s18, s2
	s_addc_u32 s7, s19, s3
	s_lshl_b64 s[2:3], s[40:41], 2
	s_mul_i32 s0, s0, s36
	s_add_u32 s12, s6, s2
	s_addc_u32 s13, s7, s3
	s_lshl_b64 s[0:1], s[0:1], 2
	s_waitcnt lgkmcnt(1)
	v_mfma_f32_16x16x16_bf16 a[0:3], v[22:23], v[14:15], a[0:3]
	s_add_u32 s0, s12, s0
	s_addc_u32 s1, s13, s1
	s_load_dword s18, s[0:1], 0x0
	s_waitcnt lgkmcnt(0)
	v_mfma_f32_16x16x16_bf16 a[0:3], v[24:25], v[16:17], a[0:3]
	s_and_b64 vcc, exec, s[26:27]
	s_cbranch_vccz .LBB625_28
; %bb.18:
	v_lshlrev_b32_e32 v27, 1, v47
	s_and_b64 vcc, exec, s[14:15]
	s_cbranch_vccz .LBB625_44
; %bb.19:
	v_cmp_gt_i32_e32 vcc, s30, v27
	v_mov_b32_e32 v14, 0
	v_mov_b32_e32 v10, 0
	;; [unrolled: 1-line block ×5, first 2 shown]
	s_and_saveexec_b64 s[0:1], vcc
	s_cbranch_execz .LBB625_21
; %bb.20:
	v_mad_i64_i32 v[10:11], s[2:3], s23, v27, 0
	v_lshl_add_u64 v[10:11], v[10:11], 1, s[4:5]
	v_lshlrev_b32_e32 v12, 1, v26
	v_mov_b32_e32 v13, 0
	v_lshl_add_u64 v[10:11], v[10:11], 0, v[12:13]
	global_load_dwordx4 v[10:13], v[10:11], off
.LBB625_21:
	s_or_b64 exec, exec, s[0:1]
	v_or_b32_e32 v28, 1, v27
	v_cmp_gt_i32_e64 s[0:1], s30, v28
	v_mov_b32_e32 v15, 0
	v_mov_b32_e32 v16, 0
	;; [unrolled: 1-line block ×3, first 2 shown]
	s_and_saveexec_b64 s[2:3], s[0:1]
	s_cbranch_execz .LBB625_23
; %bb.22:
	v_mad_i64_i32 v[14:15], s[6:7], s23, v28, 0
	v_lshl_add_u64 v[14:15], v[14:15], 1, s[4:5]
	v_lshlrev_b32_e32 v16, 1, v26
	v_mov_b32_e32 v17, 0
	v_lshl_add_u64 v[14:15], v[14:15], 0, v[16:17]
	global_load_dwordx4 v[14:17], v[14:15], off
.LBB625_23:
	s_or_b64 exec, exec, s[2:3]
	v_mov_b32_e32 v25, 0
	v_mov_b32_e32 v18, 0
	;; [unrolled: 1-line block ×5, first 2 shown]
	s_and_saveexec_b64 s[2:3], vcc
	s_cbranch_execz .LBB625_25
; %bb.24:
	v_mad_i64_i32 v[18:19], s[6:7], s23, v27, 0
	v_lshl_add_u64 v[18:19], v[18:19], 1, s[4:5]
	v_lshlrev_b32_e32 v20, 1, v26
	v_mov_b32_e32 v21, 0
	v_lshl_add_u64 v[18:19], v[18:19], 0, v[20:21]
	global_load_dwordx4 v[18:21], v[18:19], off offset:128
.LBB625_25:
	s_or_b64 exec, exec, s[2:3]
	v_mov_b32_e32 v24, 0
	v_mov_b32_e32 v23, 0
	;; [unrolled: 1-line block ×3, first 2 shown]
	s_and_saveexec_b64 s[2:3], s[0:1]
	s_cbranch_execz .LBB625_27
; %bb.26:
	v_mad_i64_i32 v[22:23], s[0:1], s23, v28, 0
	v_lshl_add_u64 v[22:23], v[22:23], 1, s[4:5]
	v_lshlrev_b32_e32 v24, 1, v26
	v_mov_b32_e32 v25, 0
	v_lshl_add_u64 v[22:23], v[22:23], 0, v[24:25]
	global_load_dwordx4 v[22:25], v[22:23], off offset:128
.LBB625_27:
	s_or_b64 exec, exec, s[2:3]
	s_branch .LBB625_46
.LBB625_28:
                                        ; implicit-def: $vgpr13
                                        ; implicit-def: $vgpr17
                                        ; implicit-def: $vgpr21
                                        ; implicit-def: $vgpr25
	v_lshrrev_b32_e32 v45, 2, v45
	s_branch .LBB625_47
.LBB625_29:
                                        ; implicit-def: $vgpr10
                                        ; implicit-def: $vgpr11
                                        ; implicit-def: $sgpr26
	v_lshl_or_b32 v5, v63, 9, v5
.LBB625_30:
	v_or_b32_e32 v10, 0x100, v5
	s_movk_i32 s26, 0x4000
	v_mov_b32_e32 v11, v5
.LBB625_31:
	s_mul_i32 s4, s38, s22
	s_ashr_i32 s60, s55, 31
	s_mul_hi_i32 s3, s38, s22
	s_add_u32 s4, s4, s55
	s_addc_u32 s5, s3, s60
	s_lshl_b64 s[4:5], s[4:5], 8
	s_add_u32 s24, s12, s4
	s_addc_u32 s3, s13, s5
	s_and_b32 s25, s3, 0xffff
	s_movk_i32 s61, 0x80
	buffer_load_dwordx4 v[12:15], v11, s[24:27], 0 offen
	buffer_load_dwordx4 v[16:19], v11, s[24:27], s61 offen
	;; [unrolled: 1-line block ×4, first 2 shown]
	v_and_b32_e32 v10, 6, v0
	v_lshlrev_b32_e32 v28, 2, v56
	v_lshlrev_b32_e32 v29, 3, v56
	v_xor_b32_e32 v32, v63, v10
	v_and_b32_e32 v11, 1, v0
	v_lshl_or_b32 v29, v59, 5, v29
	v_xor_b32_e32 v33, v59, v28
	v_lshlrev_b32_e32 v32, 2, v32
	v_or_b32_e32 v69, 0x9000, v29
	v_or_b32_e32 v70, 0x9800, v29
	v_lshlrev_b32_e32 v29, 1, v33
	v_xor_b32_e32 v33, 0x440, v32
	v_cmp_eq_u32_e32 vcc, 0, v11
	s_add_i32 s3, s46, s33
	s_add_i32 s4, s49, s48
	v_cndmask_b32_e32 v11, v33, v32, vcc
	s_add_i32 s43, s3, s47
	v_lshl_or_b32 v10, v10, 10, v11
	s_add_i32 s41, s4, s50
	s_lshl_b64 s[4:5], s[42:43], 2
	s_mov_b32 s62, 0x1000504
	v_lshlrev_b32_e32 v30, 8, v56
	s_mov_b32 s26, 0x8000
	v_xor_b32_e32 v28, v60, v28
	v_xor_b32_e32 v11, 8, v10
	s_add_u32 s3, s18, s4
	s_mov_b32 s63, 0x3020706
	v_or_b32_e32 v31, v54, v56
	v_lshlrev_b32_e32 v28, 1, v28
	v_or3_b32 v71, v29, v30, s26
	v_xor_b32_e32 v29, 24, v10
	v_xor_b32_e32 v32, 40, v10
	;; [unrolled: 1-line block ×3, first 2 shown]
	v_add_u32_e32 v11, 0x80, v11
	s_addc_u32 s24, s19, s5
	s_lshl_b64 s[4:5], s[40:41], 2
	v_lshlrev_b32_e32 v31, 3, v31
	v_or3_b32 v72, v28, v30, s26
	v_xor_b32_e32 v28, 16, v10
	v_xor_b32_e32 v30, 32, v10
	;; [unrolled: 1-line block ×3, first 2 shown]
	v_add_u32_e32 v29, 0x80, v29
	v_add_u32_e32 v32, 0x80, v32
	v_add_u32_e32 v34, 0x80, v34
	s_add_u32 s4, s3, s4
	s_movk_i32 s3, 0xf8
	s_addc_u32 s5, s24, s5
	v_ashrrev_i32_e32 v47, 31, v46
	s_lshl_b32 s30, s23, 7
	s_mov_b32 s64, 0
	v_mov_b32_e32 v86, 0x3fb8aa3b
	s_waitcnt vmcnt(1)
	v_perm_b32 v35, v12, v20, s62
	s_waitcnt vmcnt(0)
	v_perm_b32 v36, v16, v24, s62
	v_perm_b32 v12, v12, v20, s63
	;; [unrolled: 1-line block ×15, first 2 shown]
	ds_write2st64_b32 v10, v35, v36 offset1:32
	ds_write2st64_b32 v11, v12, v16 offset1:32
	ds_write2st64_b32 v28, v20, v24 offset0:1 offset1:33
	ds_write2st64_b32 v29, v13, v17 offset0:1 offset1:33
	;; [unrolled: 1-line block ×6, first 2 shown]
	v_lshrrev_b32_e32 v11, 5, v45
	v_and_or_b32 v11, v31, s3, v11
	v_lshlrev_b32_e32 v11, 4, v11
	v_lshlrev_b32_e32 v18, 11, v1
	v_and_b32_e32 v12, 0x78, v31
	v_or_b32_e32 v15, 32, v11
	v_and_b32_e32 v10, 0x1000, v18
	v_lshrrev_b32_e32 v19, 1, v0
	v_xor_b32_e32 v15, v15, v12
	v_and_b32_e32 v14, 8, v19
	v_or_b32_e32 v15, v15, v10
	v_xor_b32_e32 v13, v11, v12
	v_xor_b32_e32 v75, v15, v14
	v_or_b32_e32 v15, 64, v11
	v_or_b32_e32 v11, 0x60, v11
	v_xor_b32_e32 v15, v15, v12
	v_xor_b32_e32 v11, v11, v12
	v_or_b32_e32 v13, v13, v10
	v_or_b32_e32 v15, v15, v10
	;; [unrolled: 1-line block ×3, first 2 shown]
	v_xor_b32_e32 v73, v13, v14
	v_xor_b32_e32 v76, v15, v14
	;; [unrolled: 1-line block ×3, first 2 shown]
	v_lshrrev_b32_e32 v14, 4, v0
	v_lshlrev_b32_e32 v15, 1, v56
	s_ashr_i32 s3, s2, 31
	v_or_b32_e32 v16, 1, v15
	v_xor_b32_e32 v15, v14, v15
	s_lshl_b64 s[24:25], s[2:3], 8
	v_xor_b32_e32 v16, v16, v14
	v_lshlrev_b32_e32 v15, 3, v15
	v_lshlrev_b32_e32 v14, 8, v14
	v_lshlrev_b64 v[10:11], 1, v[46:47]
	s_add_u32 s24, s6, s24
	v_or3_b32 v47, v15, v14, s26
	v_lshlrev_b32_e32 v15, 3, v16
	s_addc_u32 s25, s7, s25
	v_or3_b32 v79, v15, v14, s26
	v_mov_b32_e32 v15, 0
	v_lshl_add_u64 v[16:17], s[24:25], 0, v[14:15]
	v_lshlrev_b32_e32 v14, 4, v56
	s_movk_i32 s3, 0xff
	v_lshlrev_b32_e32 v23, 3, v1
	v_and_b32_e32 v19, 24, v19
	v_lshl_add_u64 v[48:49], v[16:17], 0, v[14:15]
	v_and_b32_e32 v16, 8, v0
	v_cmp_lt_u32_e32 vcc, s3, v0
	v_xor_b32_e32 v24, v23, v19
	v_or_b32_e32 v25, 0x440, v24
	v_cndmask_b32_e64 v22, 0, 1, vcc
	v_cmp_eq_u32_e32 vcc, 0, v16
	v_and_b32_e32 v14, 7, v0
	v_lshlrev_b32_e32 v17, 3, v14
	v_cndmask_b32_e32 v16, v25, v24, vcc
	v_lshlrev_b32_e32 v14, 7, v14
	v_or_b32_e32 v16, v16, v18
	v_xad_u32 v80, v16, v17, v14
	v_or_b32_e32 v16, 32, v19
	v_xor_b32_e32 v16, v23, v16
	v_or_b32_e32 v24, 0x440, v16
	v_cndmask_b32_e32 v16, v24, v16, vcc
	v_or_b32_e32 v16, v16, v18
	v_xad_u32 v81, v16, v17, v14
	v_or_b32_e32 v16, 64, v19
	v_xor_b32_e32 v16, v23, v16
	v_xor_b32_e32 v24, 0x440, v16
	v_cndmask_b32_e32 v16, v24, v16, vcc
	v_or_b32_e32 v16, v16, v18
	v_xad_u32 v82, v16, v17, v14
	v_or_b32_e32 v16, 0x60, v19
	v_xor_b32_e32 v16, v23, v16
	v_xor_b32_e32 v19, 0x440, v16
	v_and_b32_e32 v13, 0x78, v57
	v_cndmask_b32_e32 v16, v19, v16, vcc
	v_lshl_or_b32 v13, v55, 7, v13
	v_or_b32_e32 v16, v16, v18
	v_or_b32_e32 v74, 0x9000, v13
	;; [unrolled: 1-line block ×3, first 2 shown]
	v_lshl_add_u64 v[12:13], s[16:17], 0, v[10:11]
	v_lshl_add_u64 v[10:11], s[8:9], 0, v[10:11]
	v_lshlrev_b32_e32 v20, 1, v9
	v_add_lshl_u32 v9, v9, s23, 1
	v_or_b32_e32 v21, 0x100, v5
	v_lshlrev_b32_e32 v22, 13, v22
	v_xad_u32 v83, v16, v17, v14
	v_lshlrev_b32_e32 v14, 8, v59
	v_cndmask_b32_e64 v84, v20, v5, s[0:1]
	v_cndmask_b32_e64 v85, v9, v21, s[0:1]
	v_lshl_add_u64 v[50:51], v[12:13], 0, v[14:15]
	v_lshl_add_u64 v[52:53], v[10:11], 0, v[14:15]
	s_mov_b32 s3, 0x7060302
	s_movk_i32 s26, 0x4000
	v_add_u32_e32 v87, v22, v80
	v_add_u32_e32 v88, v22, v81
	;; [unrolled: 1-line block ×4, first 2 shown]
	s_waitcnt lgkmcnt(0)
	s_barrier
.LBB625_32:                             ; =>This Inner Loop Header: Depth=1
	s_add_i32 s41, s64, 1
	s_cmp_lt_i32 s41, s52
	s_mov_b64 s[28:29], 0
	s_cselect_b64 s[44:45], -1, 0
	s_cmp_ge_i32 s41, s52
	s_mov_b64 s[24:25], 0
	s_cbranch_scc1 .LBB625_34
; %bb.33:                               ;   in Loop: Header=BB625_32 Depth=1
	s_add_i32 s0, s59, 64
	s_ashr_i32 s1, s0, 31
	s_add_u32 s0, s57, s0
	s_addc_u32 s1, s56, s1
	s_lshl_b64 s[0:1], s[0:1], 8
	s_add_u32 s24, s14, s0
	s_addc_u32 s25, s15, s1
.LBB625_34:                             ;   in Loop: Header=BB625_32 Depth=1
	v_cndmask_b32_e64 v5, 0, 1, s[44:45]
	v_cmp_ne_u32_e64 s[0:1], 1, v5
	s_andn2_b64 vcc, exec, s[44:45]
	s_cbranch_vccnz .LBB625_36
; %bb.35:                               ;   in Loop: Header=BB625_32 Depth=1
	s_add_i32 s28, s59, 64
	s_mul_hi_i32 s29, s28, s22
	s_mul_i32 s28, s28, s22
	s_add_u32 s28, s28, s55
	s_addc_u32 s29, s29, s60
	s_lshl_b64 s[28:29], s[28:29], 8
	s_add_u32 s28, s12, s28
	s_addc_u32 s29, s13, s29
.LBB625_36:                             ;   in Loop: Header=BB625_32 Depth=1
	v_perm_b32 v11, v61, v4, s3
	v_perm_b32 v10, v3, v2, s3
	;; [unrolled: 1-line block ×4, first 2 shown]
	ds_write_b64 v69, v[10:11]
	ds_write_b64 v70, v[12:13]
	ds_write_b64 v71, v[10:11]
	ds_write_b64 v72, v[12:13]
	s_waitcnt lgkmcnt(0)
	s_barrier
	ds_read_b64 v[18:19], v73 offset:16384
	ds_read_b64 v[20:21], v75 offset:16384
	ds_read2st64_b64 v[10:13], v74 offset1:1
	s_waitcnt lgkmcnt(0)
	v_mfma_f32_16x16x16_bf16 a[0:3], v[18:19], v[10:11], 0
	ds_read2st64_b64 v[14:17], v74 offset0:2 offset1:3
	ds_read_b64 v[22:23], v76 offset:16384
	ds_read_b64 v[10:11], v77 offset:16384
	s_add_i32 s31, s59, 63
	v_mfma_f32_16x16x16_bf16 a[0:3], v[20:21], v[12:13], a[0:3]
	s_ashr_i32 s43, s31, 31
	s_mul_i32 s44, s31, s37
	s_mul_hi_u32 s45, s31, s36
	s_waitcnt lgkmcnt(1)
	v_mfma_f32_16x16x16_bf16 a[0:3], v[22:23], v[14:15], a[0:3]
	s_add_i32 s44, s45, s44
	s_mul_i32 s43, s43, s36
	s_add_i32 s45, s44, s43
	s_mul_i32 s44, s31, s36
	s_waitcnt lgkmcnt(0)
	v_mfma_f32_16x16x16_bf16 a[0:3], v[10:11], v[16:17], a[0:3]
	s_lshl_b64 s[44:45], s[44:45], 2
	s_add_u32 s44, s4, s44
	s_addc_u32 s45, s5, s45
	s_and_b64 vcc, exec, s[0:1]
	v_mov_b32_e32 v91, 0
	v_mov_b32_e32 v9, 0
	;; [unrolled: 1-line block ×19, first 2 shown]
	s_cbranch_vccnz .LBB625_38
; %bb.37:                               ;   in Loop: Header=BB625_32 Depth=1
	s_and_b32 s25, s25, 0xffff
	buffer_load_dwordx4 v[22:25], v65, s[24:27], 0 offen
	buffer_load_dwordx4 v[18:21], v65, s[24:27], s61 offen
	;; [unrolled: 1-line block ×4, first 2 shown]
	v_mov_b32_e32 v9, v67
	v_mov_b32_e32 v5, v68
.LBB625_38:                             ;   in Loop: Header=BB625_32 Depth=1
	s_waitcnt vmcnt(3)
	v_add_u32_e32 v30, s59, v59
	s_waitcnt vmcnt(1)
	v_ashrrev_i32_e32 v26, 31, v30
	v_mul_lo_u32 v28, v26, s36
	v_mul_lo_u32 v29, v30, s37
	v_mad_u64_u32 v[26:27], s[24:25], v30, s36, 0
	v_add3_u32 v27, v27, v29, v28
	v_lshl_add_u64 v[26:27], v[26:27], 2, s[4:5]
	global_load_dword v93, v[26:27], off
	v_add_u32_e32 v26, 1, v30
	v_ashrrev_i32_e32 v27, 31, v26
	v_mul_lo_u32 v28, v27, s36
	v_mul_lo_u32 v29, v26, s37
	v_mad_u64_u32 v[26:27], s[24:25], v26, s36, 0
	v_add3_u32 v27, v27, v29, v28
	v_add_u32_e32 v28, 2, v30
	v_ashrrev_i32_e32 v29, 31, v28
	v_mul_lo_u32 v31, v29, s36
	v_mul_lo_u32 v32, v28, s37
	v_mad_u64_u32 v[28:29], s[24:25], v28, s36, 0
	v_add_u32_e32 v30, 3, v30
	v_add3_u32 v29, v29, v32, v31
	v_ashrrev_i32_e32 v31, 31, v30
	v_mul_lo_u32 v34, v31, s36
	v_mul_lo_u32 v35, v30, s37
	v_mad_u64_u32 v[30:31], s[24:25], v30, s36, 0
	s_ashr_i32 s25, s59, 31
	s_add_u32 s24, s57, s59
	s_addc_u32 s25, s56, s25
	s_lshl_b64 s[66:67], s[24:25], 8
	v_lshl_add_u64 v[26:27], v[26:27], 2, s[4:5]
	v_lshl_add_u64 v[32:33], v[50:51], 0, s[66:67]
	v_add3_u32 v31, v31, v35, v34
	v_lshl_add_u64 v[28:29], v[28:29], 2, s[4:5]
	global_load_ushort v94, v[32:33], off
	global_load_ushort v95, v[32:33], off offset:256
	global_load_ushort v96, v[32:33], off offset:512
	;; [unrolled: 1-line block ×3, first 2 shown]
	v_lshl_add_u64 v[30:31], v[30:31], 2, s[4:5]
	global_load_dword v98, v[26:27], off
	global_load_dword v99, v[28:29], off
	;; [unrolled: 1-line block ×3, first 2 shown]
	ds_read_b64 v[30:31], v73 offset:24576
	ds_read_b64 v[36:37], v75 offset:24576
	ds_read2st64_b64 v[26:29], v78 offset1:1
	s_waitcnt lgkmcnt(0)
	v_mfma_f32_16x16x16_bf16 a[0:3], v[30:31], v[26:27], a[0:3]
	s_load_dword s24, s[44:45], 0x0
	ds_read2st64_b64 v[32:35], v78 offset0:2 offset1:3
	ds_read_b64 v[38:39], v76 offset:24576
	ds_read_b64 v[40:41], v77 offset:24576
	v_mov_b32_e32 v92, 0
	v_mfma_f32_16x16x16_bf16 a[0:3], v[36:37], v[28:29], a[0:3]
	v_mov_b32_e32 v26, 0
	v_mov_b32_e32 v27, 0
	;; [unrolled: 1-line block ×3, first 2 shown]
	s_waitcnt lgkmcnt(0)
	v_mfma_f32_16x16x16_bf16 a[0:3], v[38:39], v[32:33], a[0:3]
	v_lshl_add_u64 v[32:33], v[52:53], 0, s[66:67]
	v_mov_b32_e32 v29, 0
	v_mov_b32_e32 v30, 0
	v_mfma_f32_16x16x16_bf16 a[0:3], v[40:41], v[34:35], a[0:3]
	v_mov_b32_e32 v31, 0
	s_and_b64 vcc, exec, s[0:1]
	s_waitcnt vmcnt(7)
	v_sub_f32_e32 v93, s24, v93
	s_nop 2
	v_accvgpr_read_b32 v37, a1
	v_accvgpr_read_b32 v35, a3
	v_accvgpr_read_b32 v34, a2
	v_accvgpr_read_b32 v36, a0
	v_mul_f32_e32 v93, 0x3fb8aa3b, v93
	s_waitcnt vmcnt(6)
	v_lshlrev_b32_e32 v38, 16, v94
	s_waitcnt vmcnt(5)
	v_lshlrev_b32_e32 v39, 16, v95
	;; [unrolled: 2-line block ×4, first 2 shown]
	s_waitcnt vmcnt(2)
	v_sub_f32_e32 v94, s24, v98
	s_waitcnt vmcnt(1)
	v_sub_f32_e32 v95, s24, v99
	;; [unrolled: 2-line block ×3, first 2 shown]
	v_pk_add_f32 v[36:37], v[38:39], v[36:37] neg_lo:[0,1] neg_hi:[0,1]
	v_pk_add_f32 v[34:35], v[40:41], v[34:35] neg_lo:[0,1] neg_hi:[0,1]
	v_mul_f32_e32 v39, 0x3fb8aa3b, v94
	v_mul_f32_e32 v40, 0x3fb8aa3b, v95
	;; [unrolled: 1-line block ×3, first 2 shown]
	v_exp_f32_e32 v38, v93
	v_exp_f32_e32 v39, v39
	;; [unrolled: 1-line block ×4, first 2 shown]
	global_store_short_d16_hi v[32:33], v36, off
	global_store_short_d16_hi v[32:33], v37, off offset:256
	global_store_short_d16_hi v[32:33], v34, off offset:512
	;; [unrolled: 1-line block ×3, first 2 shown]
	v_pk_mul_f32 v[32:33], v[38:39], v[36:37]
	v_pk_mul_f32 v[34:35], v[40:41], v[34:35]
	v_mov_b32_e32 v36, 0
	v_perm_b32 v35, v35, v34, s3
	v_perm_b32 v34, v33, v32, s3
	ds_write_b64 v70, v[34:35]
	v_mov_b32_e32 v32, 0
	v_mov_b32_e32 v33, 0
	;; [unrolled: 1-line block ×9, first 2 shown]
	s_cbranch_vccnz .LBB625_40
; %bb.39:                               ;   in Loop: Header=BB625_32 Depth=1
	s_and_b32 s29, s29, 0xffff
	s_mov_b32 s31, s27
	buffer_load_dwordx4 v[38:41], v84, s[28:31], 0 offen
	buffer_load_dwordx4 v[30:33], v84, s[28:31], s61 offen
	;; [unrolled: 1-line block ×4, first 2 shown]
	v_mov_b32_e32 v91, v64
	v_mov_b32_e32 v92, v63
.LBB625_40:                             ;   in Loop: Header=BB625_32 Depth=1
	s_waitcnt lgkmcnt(0)
	s_barrier
	ds_read_b64 v[102:103], v87
	ds_read2st64_b64 v[94:97], v78 offset1:1
	ds_read2st64_b64 v[98:101], v78 offset0:2 offset1:3
	ds_read_b64 v[104:105], v88
	ds_read_b64 v[106:107], v89
	;; [unrolled: 1-line block ×3, first 2 shown]
	s_waitcnt lgkmcnt(4)
	v_mfma_f32_16x16x16_bf16 a[0:3], v[102:103], v[94:95], 0
	ds_read_b64 v[102:103], v80 offset:8192
	ds_read_b64 v[110:111], v81 offset:8192
	s_add_i32 s25, s58, s64
	s_mul_hi_i32 s29, s25, s21
	s_waitcnt lgkmcnt(1)
	v_mfma_f32_16x16x16_bf16 a[4:7], v[102:103], v[94:95], 0
	s_mul_i32 s25, s25, s21
	s_add_u32 s28, s25, s51
	s_addc_u32 s29, s29, s53
	v_mfma_f32_16x16x16_bf16 a[0:3], v[104:105], v[96:97], a[0:3]
	ds_read_b64 v[102:103], v47
	ds_read_b64 v[104:105], v79
	ds_read_b64 v[94:95], v82 offset:8192
	s_lshl_b64 s[28:29], s[28:29], 15
	v_mfma_f32_16x16x16_bf16 a[0:3], v[106:107], v[98:99], a[0:3]
	ds_read_b64 v[106:107], v83 offset:8192
	s_and_b64 vcc, exec, s[0:1]
	s_waitcnt lgkmcnt(4)
	v_mfma_f32_16x16x16_bf16 a[4:7], v[110:111], v[96:97], a[4:7]
	s_waitcnt lgkmcnt(1)
	v_mfma_f32_16x16x16_bf16 a[4:7], v[94:95], v[98:99], a[4:7]
	v_lshl_add_u64 v[94:95], v[48:49], 0, s[28:29]
	global_store_dwordx4 v[94:95], v[102:105], off
	v_mfma_f32_16x16x16_bf16 a[0:3], v[108:109], v[100:101], a[0:3]
	s_waitcnt lgkmcnt(0)
	v_mfma_f32_16x16x16_bf16 a[4:7], v[106:107], v[100:101], a[4:7]
	s_cbranch_vccnz .LBB625_42
; %bb.41:                               ;   in Loop: Header=BB625_32 Depth=1
	v_lshrrev_b32_e32 v93, 3, v91
	v_and_b32_e32 v93, 6, v93
	v_xor_b32_e32 v92, v93, v92
	v_lshlrev_b32_e32 v92, 2, v92
	v_and_b32_e32 v91, 8, v91
	v_xor_b32_e32 v94, 0x440, v92
	v_cmp_eq_u32_e32 vcc, 0, v91
	s_barrier
	s_nop 0
	v_cndmask_b32_e32 v91, v94, v92, vcc
	v_lshl_or_b32 v91, v93, 10, v91
	s_waitcnt vmcnt(2)
	v_perm_b32 v92, v38, v34, s62
	s_waitcnt vmcnt(1)
	v_perm_b32 v93, v30, v26, s62
	ds_write2st64_b32 v91, v92, v93 offset1:32
	v_xor_b32_e32 v92, 8, v91
	v_perm_b32 v34, v38, v34, s63
	v_perm_b32 v26, v30, v26, s63
	v_add_u32_e32 v30, 0x80, v92
	ds_write2st64_b32 v30, v34, v26 offset1:32
	v_xor_b32_e32 v26, 16, v91
	v_perm_b32 v30, v39, v35, s62
	v_perm_b32 v34, v31, v27, s62
	ds_write2st64_b32 v26, v30, v34 offset0:1 offset1:33
	v_xor_b32_e32 v26, 24, v91
	v_perm_b32 v30, v39, v35, s63
	v_perm_b32 v27, v31, v27, s63
	v_add_u32_e32 v26, 0x80, v26
	ds_write2st64_b32 v26, v30, v27 offset0:1 offset1:33
	v_xor_b32_e32 v26, 32, v91
	v_perm_b32 v27, v40, v36, s62
	v_perm_b32 v30, v32, v28, s62
	ds_write2st64_b32 v26, v27, v30 offset0:2 offset1:34
	v_xor_b32_e32 v26, 40, v91
	v_perm_b32 v27, v40, v36, s63
	v_perm_b32 v28, v32, v28, s63
	v_add_u32_e32 v26, 0x80, v26
	ds_write2st64_b32 v26, v27, v28 offset0:2 offset1:34
	;; [unrolled: 9-line block ×3, first 2 shown]
	ds_write_b64 v9, v[22:23] offset:16384
	v_xor_b32_e32 v22, 8, v9
	ds_write_b64 v22, v[24:25] offset:16384
	ds_write_b64 v9, v[18:19] offset:24576
	;; [unrolled: 1-line block ×4, first 2 shown]
	v_xor_b32_e32 v9, 8, v5
	ds_write_b64 v9, v[16:17] offset:16384
	ds_write_b64 v5, v[10:11] offset:24576
	;; [unrolled: 1-line block ×3, first 2 shown]
.LBB625_42:                             ;   in Loop: Header=BB625_32 Depth=1
	v_mul_f32_e32 v5, s24, v86
	v_exp_f32_e32 v10, v5
	s_nop 1
	v_accvgpr_read_b32 v9, a1
	v_accvgpr_read_b32 v5, a0
	s_add_i32 s59, s59, 64
	v_fma_f32 v3, v3, v10, v9
	v_accvgpr_read_b32 v9, a4
	v_fma_f32 v6, v6, v10, v9
	v_accvgpr_read_b32 v9, a5
	v_fma_f32 v2, v2, v10, v5
	v_accvgpr_read_b32 v5, a2
	v_fma_f32 v7, v7, v10, v9
	v_accvgpr_read_b32 v9, a6
	v_fma_f32 v4, v4, v10, v5
	v_accvgpr_read_b32 v5, a3
	v_fma_f32 v8, v8, v10, v9
	v_accvgpr_read_b32 v9, a7
	v_fmac_f32_e32 v5, v61, v10
	s_cmp_eq_u32 s52, s41
	v_fmac_f32_e32 v9, v62, v10
	s_cbranch_scc1 .LBB625_4
; %bb.43:                               ;   in Loop: Header=BB625_32 Depth=1
	s_mov_b32 s64, s41
	v_mov_b32_e32 v61, v5
	v_mov_b32_e32 v62, v9
	s_branch .LBB625_32
.LBB625_44:
                                        ; implicit-def: $vgpr13
                                        ; implicit-def: $vgpr17
                                        ; implicit-def: $vgpr21
                                        ; implicit-def: $vgpr25
	s_cbranch_execz .LBB625_46
; %bb.45:
	s_waitcnt vmcnt(0)
	v_mad_u64_u32 v[10:11], s[0:1], v27, s23, v[26:27]
	v_lshlrev_b32_e32 v27, 1, v10
	s_lshl_b32 s2, s23, 7
	s_and_b32 s1, s5, 0xffff
	s_mov_b32 s3, 0x20000
	s_mov_b32 s0, s4
	v_add_lshl_u32 v28, v10, s23, 1
	s_movk_i32 s6, 0x80
	buffer_load_dwordx4 v[10:13], v27, s[0:3], 0 offen
	buffer_load_dwordx4 v[18:21], v27, s[0:3], s6 offen
	;; [unrolled: 1-line block ×4, first 2 shown]
.LBB625_46:
	v_lshrrev_b32_e32 v45, 2, v45
	s_cbranch_execnz .LBB625_59
.LBB625_47:
	s_and_b64 vcc, exec, s[14:15]
	s_cbranch_vccz .LBB625_57
; %bb.48:
	s_waitcnt vmcnt(0)
	v_lshlrev_b32_e32 v15, 1, v47
	v_cmp_gt_i32_e32 vcc, s30, v15
	v_mov_b32_e32 v14, 0
	v_lshlrev_b32_e32 v22, 9, v47
	v_mov_b32_e32 v10, 0
	v_mov_b32_e32 v11, 0
	;; [unrolled: 1-line block ×4, first 2 shown]
	s_and_saveexec_b64 s[0:1], vcc
	s_cbranch_execz .LBB625_50
; %bb.49:
	v_mov_b32_e32 v23, 0
	v_lshl_add_u64 v[10:11], s[4:5], 0, v[22:23]
	v_lshlrev_b32_e32 v12, 1, v26
	v_mov_b32_e32 v13, v23
	v_lshl_add_u64 v[10:11], v[10:11], 0, v[12:13]
	global_load_dwordx4 v[10:13], v[10:11], off
.LBB625_50:
	s_or_b64 exec, exec, s[0:1]
	v_or_b32_e32 v15, 1, v15
	v_cmp_gt_i32_e64 s[0:1], s30, v15
	v_lshlrev_b32_e32 v28, 8, v15
	v_mov_b32_e32 v15, 0
	v_mov_b32_e32 v16, 0
	;; [unrolled: 1-line block ×3, first 2 shown]
	s_and_saveexec_b64 s[2:3], s[0:1]
	s_cbranch_execz .LBB625_52
; %bb.51:
	v_mov_b32_e32 v29, 0
	v_lshl_add_u64 v[14:15], s[4:5], 0, v[28:29]
	v_lshlrev_b32_e32 v16, 1, v26
	v_mov_b32_e32 v17, v29
	v_lshl_add_u64 v[14:15], v[14:15], 0, v[16:17]
	global_load_dwordx4 v[14:17], v[14:15], off
.LBB625_52:
	s_or_b64 exec, exec, s[2:3]
	v_mov_b32_e32 v25, 0
	v_mov_b32_e32 v18, 0
	;; [unrolled: 1-line block ×5, first 2 shown]
	s_and_saveexec_b64 s[2:3], vcc
	s_cbranch_execz .LBB625_54
; %bb.53:
	v_mov_b32_e32 v23, 0
	v_lshl_add_u64 v[18:19], s[4:5], 0, v[22:23]
	v_lshlrev_b32_e32 v22, 1, v26
	v_lshl_add_u64 v[18:19], v[18:19], 0, v[22:23]
	global_load_dwordx4 v[18:21], v[18:19], off offset:128
.LBB625_54:
	s_or_b64 exec, exec, s[2:3]
	v_mov_b32_e32 v24, 0
	v_mov_b32_e32 v23, 0
	;; [unrolled: 1-line block ×3, first 2 shown]
	s_and_saveexec_b64 s[2:3], s[0:1]
	s_cbranch_execz .LBB625_56
; %bb.55:
	v_mov_b32_e32 v29, 0
	v_lshl_add_u64 v[22:23], s[4:5], 0, v[28:29]
	v_lshlrev_b32_e32 v28, 1, v26
	v_lshl_add_u64 v[22:23], v[22:23], 0, v[28:29]
	global_load_dwordx4 v[22:25], v[22:23], off offset:128
.LBB625_56:
	s_or_b64 exec, exec, s[2:3]
	s_branch .LBB625_59
.LBB625_57:
                                        ; implicit-def: $vgpr13
                                        ; implicit-def: $vgpr17
                                        ; implicit-def: $vgpr21
                                        ; implicit-def: $vgpr25
	s_cbranch_execz .LBB625_59
; %bb.58:
	s_waitcnt vmcnt(0)
	v_lshlrev_b32_e32 v10, 1, v26
	v_lshl_or_b32 v26, v47, 9, v10
	s_and_b32 s5, s5, 0xffff
	s_mov_b32 s7, 0x20000
	s_movk_i32 s6, 0x4000
	s_movk_i32 s0, 0x80
	buffer_load_dwordx4 v[10:13], v26, s[4:7], 0 offen
	buffer_load_dwordx4 v[14:17], v26, s[4:7], 0 offen offset:256
	buffer_load_dwordx4 v[18:21], v26, s[4:7], s0 offen
	buffer_load_dwordx4 v[22:25], v26, s[4:7], s0 offen offset:256
.LBB625_59:
	ds_read2st64_b64 v[30:33], v50 offset0:76 offset1:77
	ds_read2st64_b64 v[26:29], v50 offset0:78 offset1:79
	ds_read_b64 v[40:41], v34 offset:24576
	ds_read_b64 v[38:39], v35 offset:24576
	;; [unrolled: 1-line block ×4, first 2 shown]
	v_and_b32_e32 v51, 6, v0
	v_xor_b32_e32 v47, v47, v51
	v_lshlrev_b32_e32 v47, 2, v47
	v_and_b32_e32 v52, 1, v0
	v_xor_b32_e32 v53, 0x440, v47
	v_cmp_eq_u32_e32 vcc, 0, v52
	s_mov_b32 s0, 0x1000504
	s_waitcnt vmcnt(0)
	v_perm_b32 v52, v18, v22, s0
	v_cndmask_b32_e32 v47, v53, v47, vcc
	v_lshl_or_b32 v47, v51, 10, v47
	v_perm_b32 v51, v10, v14, s0
	ds_write2st64_b32 v47, v51, v52 offset1:32
	v_xor_b32_e32 v51, 8, v47
	s_mov_b32 s1, 0x3020706
	v_perm_b32 v10, v10, v14, s1
	v_perm_b32 v14, v18, v22, s1
	v_add_u32_e32 v18, 0x80, v51
	ds_write2st64_b32 v18, v10, v14 offset1:32
	v_xor_b32_e32 v10, 16, v47
	v_perm_b32 v14, v11, v15, s0
	v_perm_b32 v18, v19, v23, s0
	ds_write2st64_b32 v10, v14, v18 offset0:1 offset1:33
	v_xor_b32_e32 v10, 24, v47
	v_perm_b32 v11, v11, v15, s1
	v_perm_b32 v14, v19, v23, s1
	v_add_u32_e32 v10, 0x80, v10
	ds_write2st64_b32 v10, v11, v14 offset0:1 offset1:33
	v_xor_b32_e32 v10, 32, v47
	v_perm_b32 v11, v12, v16, s0
	v_perm_b32 v14, v20, v24, s0
	ds_write2st64_b32 v10, v11, v14 offset0:2 offset1:34
	v_xor_b32_e32 v10, 40, v47
	v_perm_b32 v11, v12, v16, s1
	v_perm_b32 v12, v20, v24, s1
	v_add_u32_e32 v10, 0x80, v10
	ds_write2st64_b32 v10, v11, v12 offset0:2 offset1:34
	v_xor_b32_e32 v10, 48, v47
	v_perm_b32 v11, v13, v17, s0
	v_perm_b32 v12, v21, v25, s0
	ds_write2st64_b32 v10, v11, v12 offset0:3 offset1:35
	v_xor_b32_e32 v10, 56, v47
	v_and_or_b32 v18, v45, 12, v54
	v_perm_b32 v11, v13, v17, s1
	v_perm_b32 v12, v21, v25, s1
	v_add_u32_e32 v10, 0x80, v10
	v_cmp_gt_i32_e32 vcc, s30, v18
	v_mov_b32_e32 v20, 0
	v_mov_b32_e32 v24, 0
	ds_write2st64_b32 v10, v11, v12 offset0:3 offset1:35
	s_and_saveexec_b64 s[0:1], vcc
	s_cbranch_execz .LBB625_61
; %bb.60:
	v_add_u32_e32 v10, s31, v18
	v_ashrrev_i32_e32 v11, 31, v10
	v_mul_lo_u32 v12, v11, s36
	v_mul_lo_u32 v13, v10, s37
	v_mad_u64_u32 v[10:11], s[2:3], v10, s36, 0
	v_add3_u32 v11, v11, v13, v12
	v_lshl_add_u64 v[10:11], v[10:11], 2, s[12:13]
	global_load_dword v10, v[10:11], off
	s_waitcnt vmcnt(0)
	v_sub_f32_e32 v10, s18, v10
	v_mul_f32_e32 v10, 0x3fb8aa3b, v10
	v_exp_f32_e32 v24, v10
.LBB625_61:
	s_or_b64 exec, exec, s[0:1]
	v_or_b32_e32 v23, 1, v18
	v_cmp_gt_i32_e64 s[4:5], s30, v23
	s_and_saveexec_b64 s[0:1], s[4:5]
	s_cbranch_execz .LBB625_63
; %bb.62:
	v_add_u32_e32 v10, s31, v23
	v_ashrrev_i32_e32 v11, 31, v10
	v_mul_lo_u32 v12, v11, s36
	v_mul_lo_u32 v13, v10, s37
	v_mad_u64_u32 v[10:11], s[2:3], v10, s36, 0
	v_add3_u32 v11, v11, v13, v12
	v_lshl_add_u64 v[10:11], v[10:11], 2, s[12:13]
	global_load_dword v10, v[10:11], off
	s_waitcnt vmcnt(0)
	v_sub_f32_e32 v10, s18, v10
	v_mul_f32_e32 v10, 0x3fb8aa3b, v10
	v_exp_f32_e32 v20, v10
.LBB625_63:
	s_or_b64 exec, exec, s[0:1]
	v_or_b32_e32 v21, 2, v18
	v_cmp_gt_i32_e64 s[0:1], s30, v21
	v_mov_b32_e32 v19, 0
	v_mov_b32_e32 v25, 0
	s_and_saveexec_b64 s[2:3], s[0:1]
	s_cbranch_execz .LBB625_65
; %bb.64:
	v_add_u32_e32 v10, s31, v21
	v_ashrrev_i32_e32 v11, 31, v10
	v_mul_lo_u32 v12, v11, s36
	v_mul_lo_u32 v13, v10, s37
	v_mad_u64_u32 v[10:11], s[6:7], v10, s36, 0
	v_add3_u32 v11, v11, v13, v12
	v_lshl_add_u64 v[10:11], v[10:11], 2, s[12:13]
	global_load_dword v10, v[10:11], off
	s_waitcnt vmcnt(0)
	v_sub_f32_e32 v10, s18, v10
	v_mul_f32_e32 v10, 0x3fb8aa3b, v10
	v_exp_f32_e32 v25, v10
.LBB625_65:
	s_or_b64 exec, exec, s[2:3]
	v_or_b32_e32 v22, 3, v18
	v_cmp_gt_i32_e64 s[2:3], s30, v22
	s_and_saveexec_b64 s[6:7], s[2:3]
	s_cbranch_execz .LBB625_67
; %bb.66:
	v_add_u32_e32 v10, s31, v22
	v_ashrrev_i32_e32 v11, 31, v10
	v_mul_lo_u32 v12, v11, s36
	v_mul_lo_u32 v13, v10, s37
	v_mad_u64_u32 v[10:11], s[14:15], v10, s36, 0
	v_add3_u32 v11, v11, v13, v12
	v_lshl_add_u64 v[10:11], v[10:11], 2, s[12:13]
	global_load_dword v10, v[10:11], off
	s_waitcnt vmcnt(0)
	v_sub_f32_e32 v10, s18, v10
	v_mul_f32_e32 v10, 0x3fb8aa3b, v10
	v_exp_f32_e32 v19, v10
.LBB625_67:
	s_or_b64 exec, exec, s[6:7]
	s_waitcnt lgkmcnt(11)
	v_mfma_f32_16x16x16_bf16 a[0:3], v[40:41], v[30:31], a[0:3]
	s_add_u32 s6, s16, s24
	v_ashrrev_i32_e32 v47, 31, v46
	s_addc_u32 s7, s17, s25
	s_waitcnt lgkmcnt(10)
	v_mfma_f32_16x16x16_bf16 a[0:3], v[38:39], v[32:33], a[0:3]
	v_lshlrev_b64 v[10:11], 1, v[46:47]
	v_lshl_add_u64 v[14:15], s[6:7], 0, v[10:11]
	s_add_u32 s6, s8, s24
	s_waitcnt lgkmcnt(9)
	v_mfma_f32_16x16x16_bf16 a[0:3], v[36:37], v[26:27], a[0:3]
	s_addc_u32 s7, s9, s25
	v_lshl_add_u64 v[16:17], s[6:7], 0, v[10:11]
	v_mov_b32_e32 v26, 0
	s_waitcnt lgkmcnt(8)
	v_mfma_f32_16x16x16_bf16 a[0:3], v[34:35], v[28:29], a[0:3]
	v_mov_b32_e32 v27, 0
	s_nop 5
	v_accvgpr_read_b32 v13, a3
	v_accvgpr_read_b32 v12, a2
	;; [unrolled: 1-line block ×4, first 2 shown]
	s_and_saveexec_b64 s[6:7], vcc
	s_cbranch_execz .LBB625_69
; %bb.68:
	v_lshlrev_b32_e32 v28, 8, v18
	v_mov_b32_e32 v29, 0
	v_lshl_add_u64 v[30:31], v[14:15], 0, v[28:29]
	global_load_ushort v27, v[30:31], off
	v_lshl_add_u64 v[28:29], v[16:17], 0, v[28:29]
	s_waitcnt vmcnt(0)
	v_lshlrev_b32_e32 v27, 16, v27
	v_sub_f32_e32 v10, v27, v10
	global_store_short_d16_hi v[28:29], v10, off
	v_mul_f32_e32 v10, v24, v10
	v_lshrrev_b32_e32 v27, 16, v10
.LBB625_69:
	s_or_b64 exec, exec, s[6:7]
	s_and_saveexec_b64 s[6:7], s[4:5]
	s_cbranch_execz .LBB625_71
; %bb.70:
	v_lshlrev_b32_e32 v28, 8, v23
	v_mov_b32_e32 v29, 0
	v_lshl_add_u64 v[30:31], v[14:15], 0, v[28:29]
	global_load_ushort v10, v[30:31], off
	v_lshl_add_u64 v[28:29], v[16:17], 0, v[28:29]
	s_waitcnt vmcnt(0)
	v_lshlrev_b32_e32 v10, 16, v10
	v_sub_f32_e32 v10, v10, v11
	global_store_short_d16_hi v[28:29], v10, off
	v_mul_f32_e32 v10, v20, v10
	v_lshrrev_b32_e32 v26, 16, v10
.LBB625_71:
	s_or_b64 exec, exec, s[6:7]
	v_mov_b32_e32 v11, 0
	v_mov_b32_e32 v20, 0
	s_and_saveexec_b64 s[4:5], s[0:1]
	s_cbranch_execz .LBB625_73
; %bb.72:
	v_lshlrev_b32_e32 v20, 8, v21
	v_mov_b32_e32 v21, 0
	v_lshl_add_u64 v[28:29], v[14:15], 0, v[20:21]
	global_load_ushort v10, v[28:29], off
	v_lshl_add_u64 v[20:21], v[16:17], 0, v[20:21]
	s_waitcnt vmcnt(0)
	v_lshlrev_b32_e32 v10, 16, v10
	v_sub_f32_e32 v10, v10, v12
	global_store_short_d16_hi v[20:21], v10, off
	v_mul_f32_e32 v10, v25, v10
	v_lshrrev_b32_e32 v20, 16, v10
.LBB625_73:
	s_or_b64 exec, exec, s[4:5]
	v_or_b32_e32 v10, 0x9800, v50
	s_and_saveexec_b64 s[0:1], s[2:3]
	s_cbranch_execz .LBB625_75
; %bb.74:
	v_lshlrev_b32_e32 v22, 8, v22
	v_mov_b32_e32 v23, 0
	v_lshl_add_u64 v[14:15], v[14:15], 0, v[22:23]
	global_load_ushort v11, v[14:15], off
	v_lshl_add_u64 v[14:15], v[16:17], 0, v[22:23]
	s_waitcnt vmcnt(0)
	v_lshlrev_b32_e32 v11, 16, v11
	v_sub_f32_e32 v11, v11, v13
	global_store_short_d16_hi v[14:15], v11, off
	v_mul_f32_e32 v11, v19, v11
	v_lshrrev_b32_e32 v11, 16, v11
.LBB625_75:
	s_or_b64 exec, exec, s[0:1]
	s_mov_b32 s0, 0x5040100
	v_perm_b32 v13, v11, v20, s0
	v_lshlrev_b32_e32 v11, 1, v48
	v_perm_b32 v12, v26, v27, s0
	v_lshl_or_b32 v11, v18, 5, v11
	s_movk_i32 s0, 0xff
	ds_write_b64 v11, v[12:13] offset:38912
	v_and_b32_e32 v11, 7, v0
	v_and_b32_e32 v12, 8, v0
	v_cmp_lt_u32_e32 vcc, s0, v0
	v_lshrrev_b32_e32 v0, 1, v0
	v_lshlrev_b32_e32 v22, 3, v1
	v_and_b32_e32 v23, 24, v0
	v_xor_b32_e32 v0, v22, v23
	v_cndmask_b32_e64 v13, 0, 1, vcc
	v_or_b32_e32 v1, 0x440, v0
	v_cmp_eq_u32_e32 vcc, 0, v12
	v_lshlrev_b32_e32 v20, 3, v11
	v_lshlrev_b32_e32 v11, 7, v11
	v_cndmask_b32_e32 v0, v1, v0, vcc
	v_or_b32_e32 v0, v0, v49
	v_lshlrev_b32_e32 v21, 13, v13
	v_xad_u32 v24, v0, v20, v11
	v_add_u32_e32 v0, v21, v24
	s_waitcnt lgkmcnt(0)
	s_barrier
	ds_read_b64 v[0:1], v0
	ds_read2st64_b64 v[12:15], v10 offset1:1
	ds_read2st64_b64 v[16:19], v10 offset0:2 offset1:3
	s_waitcnt lgkmcnt(1)
	v_mfma_f32_16x16x16_bf16 a[0:3], v[0:1], v[12:13], 0
	v_or_b32_e32 v0, 32, v23
	v_xor_b32_e32 v0, v22, v0
	v_or_b32_e32 v1, 0x440, v0
	v_cndmask_b32_e32 v0, v1, v0, vcc
	v_or_b32_e32 v0, v0, v49
	v_xad_u32 v25, v0, v20, v11
	v_add_u32_e32 v0, v21, v25
	ds_read_b64 v[0:1], v0
	v_or_b32_e32 v10, 0x60, v23
	s_waitcnt lgkmcnt(0)
	v_mfma_f32_16x16x16_bf16 a[0:3], v[0:1], v[14:15], a[0:3]
	v_or_b32_e32 v0, 64, v23
	v_xor_b32_e32 v0, v22, v0
	v_xor_b32_e32 v1, 0x440, v0
	v_cndmask_b32_e32 v0, v1, v0, vcc
	v_or_b32_e32 v0, v0, v49
	v_xad_u32 v26, v0, v20, v11
	v_add_u32_e32 v0, v21, v26
	ds_read_b64 v[0:1], v0
	v_xor_b32_e32 v10, v22, v10
	v_xor_b32_e32 v22, 0x440, v10
	v_cndmask_b32_e32 v10, v22, v10, vcc
	v_or_b32_e32 v10, v10, v49
	v_xad_u32 v22, v10, v20, v11
	v_add_u32_e32 v10, v21, v22
	ds_read_b64 v[10:11], v10
	s_waitcnt lgkmcnt(1)
	v_mfma_f32_16x16x16_bf16 a[0:3], v[0:1], v[16:17], a[0:3]
	ds_read_b64 v[0:1], v24 offset:8192
	ds_read_b64 v[20:21], v25 offset:8192
	v_mov_b32_e32 v23, 0x3fb8aa3b
	s_waitcnt lgkmcnt(2)
	v_mfma_f32_16x16x16_bf16 a[0:3], v[10:11], v[18:19], a[0:3]
	v_mul_f32_e32 v10, s18, v23
	v_exp_f32_e32 v23, v10
	ds_read_b64 v[10:11], v26 offset:8192
	s_waitcnt lgkmcnt(2)
	v_mfma_f32_16x16x16_bf16 a[4:7], v[0:1], v[12:13], 0
	ds_read_b64 v[12:13], v22 offset:8192
	s_nop 0
	v_accvgpr_read_b32 v0, a0
	v_accvgpr_read_b32 v1, a1
	s_waitcnt lgkmcnt(2)
	v_mfma_f32_16x16x16_bf16 a[4:7], v[20:21], v[14:15], a[4:7]
	v_fma_f32 v0, v2, v23, v0
	v_fma_f32 v1, v3, v23, v1
	v_accvgpr_read_b32 v2, a2
	s_waitcnt lgkmcnt(1)
	v_mfma_f32_16x16x16_bf16 a[4:7], v[10:11], v[16:17], a[4:7]
	v_accvgpr_read_b32 v3, a3
	v_fma_f32 v2, v4, v23, v2
	v_fmac_f32_e32 v3, v5, v23
	s_waitcnt lgkmcnt(0)
	v_mfma_f32_16x16x16_bf16 a[0:3], v[12:13], v[18:19], a[4:7]
	s_nop 6
	v_accvgpr_read_b32 v4, a0
	v_accvgpr_read_b32 v5, a1
	v_fma_f32 v4, v6, v23, v4
	v_fma_f32 v5, v7, v23, v5
	v_accvgpr_read_b32 v6, a2
	v_accvgpr_read_b32 v7, a3
	v_fma_f32 v6, v8, v23, v6
	v_fmac_f32_e32 v7, v9, v23
	v_mov_b64_e32 v[8:9], v[6:7]
	v_mov_b64_e32 v[6:7], v[4:5]
	;; [unrolled: 1-line block ×4, first 2 shown]
.LBB625_76:
	s_add_u32 s0, s10, s34
	s_addc_u32 s1, s11, s35
	v_lshl_add_u64 v[0:1], v[42:43], 1, s[0:1]
	v_mov_b32_e32 v45, 0
	s_mov_b32 s0, 0x7060302
	v_lshl_add_u64 v[0:1], v[0:1], 0, v[44:45]
	v_perm_b32 v5, v5, v4, s0
	v_perm_b32 v4, v3, v2, s0
	;; [unrolled: 1-line block ×4, first 2 shown]
	global_store_dwordx2 v[0:1], v[4:5], off
	global_store_dwordx2 v[0:1], v[2:3], off offset:128
	s_endpgm
	.section	.rodata,"a",@progbits
	.p2align	6, 0x0
	.amdhsa_kernel _ZN12_GLOBAL__N_139chunk_gated_delta_rule_fwd_h_hip_kernelILi16ELb1ELb1ELb1ELb1ELb0ELb0ELb0ELb1EEEvPK12hip_bfloat16S3_S3_PKfS5_PKvPS1_S8_PvPKiSB_iiiiilll
		.amdhsa_group_segment_fixed_size 40960
		.amdhsa_private_segment_fixed_size 0
		.amdhsa_kernarg_size 136
		.amdhsa_user_sgpr_count 2
		.amdhsa_user_sgpr_dispatch_ptr 0
		.amdhsa_user_sgpr_queue_ptr 0
		.amdhsa_user_sgpr_kernarg_segment_ptr 1
		.amdhsa_user_sgpr_dispatch_id 0
		.amdhsa_user_sgpr_kernarg_preload_length 0
		.amdhsa_user_sgpr_kernarg_preload_offset 0
		.amdhsa_user_sgpr_private_segment_size 0
		.amdhsa_uses_dynamic_stack 0
		.amdhsa_enable_private_segment 0
		.amdhsa_system_sgpr_workgroup_id_x 1
		.amdhsa_system_sgpr_workgroup_id_y 1
		.amdhsa_system_sgpr_workgroup_id_z 0
		.amdhsa_system_sgpr_workgroup_info 0
		.amdhsa_system_vgpr_workitem_id 0
		.amdhsa_next_free_vgpr 120
		.amdhsa_next_free_sgpr 68
		.amdhsa_accum_offset 112
		.amdhsa_reserve_vcc 1
		.amdhsa_float_round_mode_32 0
		.amdhsa_float_round_mode_16_64 0
		.amdhsa_float_denorm_mode_32 3
		.amdhsa_float_denorm_mode_16_64 3
		.amdhsa_dx10_clamp 1
		.amdhsa_ieee_mode 1
		.amdhsa_fp16_overflow 0
		.amdhsa_tg_split 0
		.amdhsa_exception_fp_ieee_invalid_op 0
		.amdhsa_exception_fp_denorm_src 0
		.amdhsa_exception_fp_ieee_div_zero 0
		.amdhsa_exception_fp_ieee_overflow 0
		.amdhsa_exception_fp_ieee_underflow 0
		.amdhsa_exception_fp_ieee_inexact 0
		.amdhsa_exception_int_div_zero 0
	.end_amdhsa_kernel
	.section	.text._ZN12_GLOBAL__N_139chunk_gated_delta_rule_fwd_h_hip_kernelILi16ELb1ELb1ELb1ELb1ELb0ELb0ELb0ELb1EEEvPK12hip_bfloat16S3_S3_PKfS5_PKvPS1_S8_PvPKiSB_iiiiilll,"axG",@progbits,_ZN12_GLOBAL__N_139chunk_gated_delta_rule_fwd_h_hip_kernelILi16ELb1ELb1ELb1ELb1ELb0ELb0ELb0ELb1EEEvPK12hip_bfloat16S3_S3_PKfS5_PKvPS1_S8_PvPKiSB_iiiiilll,comdat
.Lfunc_end625:
	.size	_ZN12_GLOBAL__N_139chunk_gated_delta_rule_fwd_h_hip_kernelILi16ELb1ELb1ELb1ELb1ELb0ELb0ELb0ELb1EEEvPK12hip_bfloat16S3_S3_PKfS5_PKvPS1_S8_PvPKiSB_iiiiilll, .Lfunc_end625-_ZN12_GLOBAL__N_139chunk_gated_delta_rule_fwd_h_hip_kernelILi16ELb1ELb1ELb1ELb1ELb0ELb0ELb0ELb1EEEvPK12hip_bfloat16S3_S3_PKfS5_PKvPS1_S8_PvPKiSB_iiiiilll
                                        ; -- End function
	.section	.AMDGPU.csdata,"",@progbits
; Kernel info:
; codeLenInByte = 7916
; NumSgprs: 74
; NumVgprs: 112
; NumAgprs: 8
; TotalNumVgprs: 120
; ScratchSize: 0
; MemoryBound: 0
; FloatMode: 240
; IeeeMode: 1
; LDSByteSize: 40960 bytes/workgroup (compile time only)
; SGPRBlocks: 9
; VGPRBlocks: 14
; NumSGPRsForWavesPerEU: 74
; NumVGPRsForWavesPerEU: 120
; AccumOffset: 112
; Occupancy: 1
; WaveLimiterHint : 1
; COMPUTE_PGM_RSRC2:SCRATCH_EN: 0
; COMPUTE_PGM_RSRC2:USER_SGPR: 2
; COMPUTE_PGM_RSRC2:TRAP_HANDLER: 0
; COMPUTE_PGM_RSRC2:TGID_X_EN: 1
; COMPUTE_PGM_RSRC2:TGID_Y_EN: 1
; COMPUTE_PGM_RSRC2:TGID_Z_EN: 0
; COMPUTE_PGM_RSRC2:TIDIG_COMP_CNT: 0
; COMPUTE_PGM_RSRC3_GFX90A:ACCUM_OFFSET: 27
; COMPUTE_PGM_RSRC3_GFX90A:TG_SPLIT: 0
	.section	.text._ZN12_GLOBAL__N_139chunk_gated_delta_rule_fwd_h_hip_kernelILi16ELb1ELb1ELb0ELb1ELb0ELb0ELb0ELb1EEEvPK12hip_bfloat16S3_S3_PKfS5_PKvPS1_S8_PvPKiSB_iiiiilll,"axG",@progbits,_ZN12_GLOBAL__N_139chunk_gated_delta_rule_fwd_h_hip_kernelILi16ELb1ELb1ELb0ELb1ELb0ELb0ELb0ELb1EEEvPK12hip_bfloat16S3_S3_PKfS5_PKvPS1_S8_PvPKiSB_iiiiilll,comdat
	.globl	_ZN12_GLOBAL__N_139chunk_gated_delta_rule_fwd_h_hip_kernelILi16ELb1ELb1ELb0ELb1ELb0ELb0ELb0ELb1EEEvPK12hip_bfloat16S3_S3_PKfS5_PKvPS1_S8_PvPKiSB_iiiiilll ; -- Begin function _ZN12_GLOBAL__N_139chunk_gated_delta_rule_fwd_h_hip_kernelILi16ELb1ELb1ELb0ELb1ELb0ELb0ELb0ELb1EEEvPK12hip_bfloat16S3_S3_PKfS5_PKvPS1_S8_PvPKiSB_iiiiilll
	.p2align	8
	.type	_ZN12_GLOBAL__N_139chunk_gated_delta_rule_fwd_h_hip_kernelILi16ELb1ELb1ELb0ELb1ELb0ELb0ELb0ELb1EEEvPK12hip_bfloat16S3_S3_PKfS5_PKvPS1_S8_PvPKiSB_iiiiilll,@function
_ZN12_GLOBAL__N_139chunk_gated_delta_rule_fwd_h_hip_kernelILi16ELb1ELb1ELb0ELb1ELb0ELb0ELb0ELb1EEEvPK12hip_bfloat16S3_S3_PKfS5_PKvPS1_S8_PvPKiSB_iiiiilll: ; @_ZN12_GLOBAL__N_139chunk_gated_delta_rule_fwd_h_hip_kernelILi16ELb1ELb1ELb0ELb1ELb0ELb0ELb0ELb1EEEvPK12hip_bfloat16S3_S3_PKfS5_PKvPS1_S8_PvPKiSB_iiiiilll
; %bb.0:
	s_load_dwordx4 s[16:19], s[0:1], 0x5c
	s_load_dwordx2 s[4:5], s[0:1], 0x50
	s_abs_i32 s7, s3
	s_ashr_i32 s6, s3, 31
	s_load_dwordx4 s[12:15], s[0:1], 0x40
	s_load_dwordx4 s[20:23], s[0:1], 0x28
	s_waitcnt lgkmcnt(0)
	s_abs_i32 s10, s17
	v_cvt_f32_u32_e32 v1, s10
	s_sub_i32 s8, 0, s10
	s_ashr_i32 s11, s17, 31
	s_xor_b32 s6, s6, s11
	v_rcp_iflag_f32_e32 v1, v1
	v_and_b32_e32 v54, 15, v0
	v_bfe_u32 v53, v0, 4, 2
	v_mov_b32_e32 v45, 0
	v_mul_f32_e32 v1, 0x4f7ffffe, v1
	v_cvt_u32_f32_e32 v1, v1
	v_lshlrev_b32_e32 v55, 3, v0
	v_readfirstlane_b32 s9, v1
	s_mul_i32 s8, s8, s9
	s_mul_hi_u32 s8, s9, s8
	s_add_i32 s9, s9, s8
	s_mul_hi_u32 s8, s7, s9
	s_mul_i32 s9, s8, s10
	s_sub_i32 s7, s7, s9
	s_add_i32 s24, s8, 1
	s_sub_i32 s9, s7, s10
	s_cmp_ge_u32 s7, s10
	s_cselect_b32 s8, s24, s8
	s_cselect_b32 s7, s9, s7
	s_add_i32 s9, s8, 1
	s_cmp_ge_u32 s7, s10
	s_cselect_b32 s7, s9, s8
	s_xor_b32 s7, s7, s6
	s_sub_i32 s24, s7, s6
	s_mul_i32 s28, s24, s17
	s_ashr_i32 s25, s24, 31
	s_sub_i32 s49, s3, s28
	s_lshl_b64 s[6:7], s[24:25], 2
	s_add_u32 s8, s14, s6
	s_addc_u32 s9, s15, s7
	s_add_u32 s26, s4, s6
	s_addc_u32 s27, s5, s7
	s_abs_i32 s3, s18
	v_cvt_f32_u32_e32 v1, s3
	s_load_dwordx2 s[36:37], s[8:9], 0x0
	s_sub_i32 s5, 0, s3
	s_lshl_b32 s2, s2, 4
	v_rcp_iflag_f32_e32 v1, v1
	v_or_b32_e32 v46, s2, v54
	s_waitcnt lgkmcnt(0)
	s_sub_i32 s52, s37, s36
	s_ashr_i32 s4, s52, 31
	v_mul_f32_e32 v1, 0x4f7ffffe, v1
	v_cvt_u32_f32_e32 v1, v1
	s_lshr_b32 s4, s4, 26
	s_add_i32 s4, s52, s4
	s_ashr_i32 s50, s4, 6
	v_readfirstlane_b32 s6, v1
	s_mul_i32 s5, s5, s6
	s_mul_hi_u32 s5, s6, s5
	s_add_i32 s6, s6, s5
	s_mul_hi_u32 s5, s10, s6
	s_mul_i32 s6, s5, s3
	s_ashr_i32 s4, s18, 31
	s_sub_i32 s6, s10, s6
	s_xor_b32 s4, s11, s4
	s_add_i32 s7, s5, 1
	s_sub_i32 s8, s6, s3
	s_cmp_ge_u32 s6, s3
	s_cselect_b32 s5, s7, s5
	s_cselect_b32 s6, s8, s6
	s_add_i32 s7, s5, 1
	s_cmp_ge_u32 s6, s3
	s_cselect_b32 s3, s7, s5
	s_xor_b32 s3, s3, s4
	s_sub_i32 s3, s3, s4
	s_abs_i32 s4, s3
	v_cvt_f32_u32_e32 v1, s4
	s_sub_i32 s6, 0, s4
	s_abs_i32 s5, s49
	s_xor_b32 s3, s49, s3
	v_rcp_iflag_f32_e32 v2, v1
	s_ashr_i32 s3, s3, 31
	v_lshrrev_b32_e32 v1, 6, v0
	v_lshlrev_b32_e32 v52, 4, v1
	v_mul_f32_e32 v2, 0x4f7ffffe, v2
	v_cvt_u32_f32_e32 v2, v2
	v_lshlrev_b32_e32 v42, 7, v46
	v_lshl_or_b32 v57, v53, 2, v52
	v_ashrrev_i32_e32 v43, 31, v42
	v_readfirstlane_b32 s7, v2
	s_mul_i32 s6, s6, s7
	s_mul_hi_u32 s6, s7, s6
	s_add_i32 s7, s7, s6
	s_mul_hi_u32 s6, s5, s7
	s_mul_i32 s7, s6, s4
	s_sub_i32 s5, s5, s7
	s_add_i32 s7, s6, 1
	s_sub_i32 s8, s5, s4
	s_cmp_ge_u32 s5, s4
	s_cselect_b32 s6, s7, s6
	s_cselect_b32 s5, s8, s5
	s_add_i32 s7, s6, 1
	s_cmp_ge_u32 s5, s4
	s_cselect_b32 s4, s7, s6
	s_xor_b32 s4, s4, s3
	s_sub_i32 s53, s4, s3
	s_ashr_i32 s51, s49, 31
	s_mul_hi_i32 s3, s24, s17
	s_add_u32 s4, s28, s49
	s_addc_u32 s5, s3, s51
	s_lshl_b64 s[14:15], s[4:5], 15
	s_add_u32 s4, s20, s14
	s_addc_u32 s5, s21, s15
	v_lshl_add_u64 v[2:3], v[42:43], 1, s[4:5]
	v_lshlrev_b32_e32 v44, 1, v57
	v_lshl_add_u64 v[2:3], v[2:3], 0, v[44:45]
	global_load_dwordx2 v[4:5], v[2:3], off
	global_load_dwordx2 v[8:9], v[2:3], off offset:128
	s_load_dwordx8 s[4:11], s[0:1], 0x0
	s_load_dwordx2 s[34:35], s[0:1], 0x80
	s_load_dwordx4 s[28:31], s[0:1], 0x70
	s_load_dword s56, s[26:27], 0x0
	v_and_b32_e32 v45, 63, v0
	v_lshrrev_b32_e32 v56, 3, v45
	v_or_b32_e32 v58, 64, v57
	s_waitcnt lgkmcnt(0)
	s_mul_i32 s33, s24, s29
	s_mul_hi_u32 s44, s24, s28
	s_mul_i32 s40, s24, s28
	s_mul_i32 s45, s25, s28
	s_mul_hi_i32 s54, s49, s16
	s_mul_i32 s55, s49, s16
	s_mul_i32 s46, s49, s31
	s_mul_hi_u32 s47, s49, s30
	s_mul_i32 s48, s51, s30
	s_cmp_lt_i32 s52, 64
	s_mul_i32 s38, s49, s30
	s_waitcnt vmcnt(1)
	v_and_b32_e32 v3, 0xffff0000, v4
	v_lshlrev_b32_e32 v2, 16, v4
	v_and_b32_e32 v59, 0xffff0000, v5
	v_lshlrev_b32_e32 v4, 16, v5
	s_waitcnt vmcnt(0)
	v_and_b32_e32 v7, 0xffff0000, v8
	v_lshlrev_b32_e32 v6, 16, v8
	v_and_b32_e32 v60, 0xffff0000, v9
	v_lshlrev_b32_e32 v8, 16, v9
	s_cbranch_scc1 .LBB626_3
; %bb.1:
	s_ashr_i32 s1, s36, 31
	s_add_u32 s0, s55, s36
	s_addc_u32 s1, s54, s1
	s_lshl_b64 s[0:1], s[0:1], 8
	v_and_b32_e32 v62, 56, v55
	s_add_u32 s24, s6, s0
	v_lshl_or_b32 v61, v1, 3, v56
	v_lshlrev_b32_e32 v5, 1, v62
	s_addc_u32 s0, s7, s1
	v_lshl_or_b32 v63, v61, 8, v5
	s_and_b32 s25, s0, 0xffff
	s_mov_b32 s27, 0x20000
	s_movk_i32 s26, 0x4000
	s_movk_i32 s0, 0x80
	v_or_b32_e32 v64, 0x2000, v63
	buffer_load_dwordx4 v[10:13], v63, s[24:27], 0 offen
	buffer_load_dwordx4 v[14:17], v63, s[24:27], s0 offen
	;; [unrolled: 1-line block ×4, first 2 shown]
	v_lshlrev_b32_e32 v9, 3, v61
	v_and_or_b32 v27, v0, 7, v9
	v_and_b32_e32 v9, 0x78, v9
	v_lshlrev_b32_e32 v27, 4, v27
	v_xor_b32_e32 v65, v27, v9
	v_mul_lo_u32 v26, v61, s19
	v_or_b32_e32 v66, 0x1000, v65
	v_xor_b32_e32 v9, 8, v65
	s_cmpk_eq_i32 s19, 0x80
	s_mov_b32 s57, s36
	v_xor_b32_e32 v27, 8, v66
	s_cselect_b64 s[0:1], -1, 0
	s_cmpk_lg_i32 s19, 0x80
	s_waitcnt vmcnt(3)
	ds_write_b64 v65, v[10:11] offset:16384
	ds_write_b64 v9, v[12:13] offset:16384
	s_waitcnt vmcnt(2)
	ds_write_b64 v65, v[14:15] offset:24576
	ds_write_b64 v9, v[16:17] offset:24576
	;; [unrolled: 3-line block ×4, first 2 shown]
	v_lshl_add_u32 v9, v26, 1, v62
	s_cbranch_scc0 .LBB626_29
; %bb.2:
	v_lshlrev_b32_e32 v11, 1, v9
	v_add_lshl_u32 v10, v9, s19, 1
	s_lshl_b32 s26, s19, 7
	v_lshl_or_b32 v5, v61, 9, v5
	s_cbranch_execz .LBB626_30
	s_branch .LBB626_31
.LBB626_3:
	v_mov_b32_e32 v9, v60
	v_mov_b32_e32 v5, v59
.LBB626_4:
	s_lshl_b32 s31, s50, 6
	s_sub_i32 s30, s52, s31
	s_cmp_gt_i32 s30, 0
	s_cbranch_scc0 .LBB626_76
; %bb.5:
	s_add_i32 s31, s31, s36
	s_ashr_i32 s3, s31, 31
	s_cmpk_lg_i32 s19, 0x80
	s_cselect_b64 s[26:27], -1, 0
	s_and_b64 vcc, exec, s[26:27]
	s_cbranch_vccz .LBB626_7
; %bb.6:
	s_mul_hi_i32 s0, s31, s18
	s_mul_i32 s1, s31, s18
	s_ashr_i32 s18, s53, 31
	s_add_u32 s28, s1, s53
	s_addc_u32 s29, s0, s18
	s_cbranch_execz .LBB626_8
	s_branch .LBB626_9
.LBB626_7:
                                        ; implicit-def: $sgpr28_sgpr29
.LBB626_8:
	s_mul_i32 s1, s53, s16
	s_mul_hi_i32 s0, s53, s16
	s_add_u32 s28, s1, s31
	s_addc_u32 s29, s0, s3
.LBB626_9:
	s_add_i32 s16, s50, s56
	s_add_u32 s0, s55, s31
	s_addc_u32 s1, s54, s3
	s_mov_b32 s3, 0x7060302
	v_lshlrev_b32_e32 v14, 3, v54
	s_lshl_b64 s[24:25], s[0:1], 8
	v_perm_b32 v11, v5, v4, s3
	v_perm_b32 v10, v3, v2, s3
	;; [unrolled: 1-line block ×4, first 2 shown]
	v_lshlrev_b32_e32 v48, 2, v54
	v_lshl_or_b32 v14, v57, 5, v14
	s_add_u32 s0, s6, s24
	ds_write2st64_b64 v14, v[10:11], v[12:13] offset0:72 offset1:76
	v_xor_b32_e32 v14, v57, v48
	v_lshlrev_b32_e32 v15, 8, v54
	s_addc_u32 s1, s7, s25
	v_lshl_or_b32 v14, v14, 1, v15
	s_mul_hi_i32 s3, s16, s17
	s_mul_i32 s16, s16, s17
	ds_write_b64 v14, v[10:11] offset:32768
	v_xor_b32_e32 v10, v58, v48
	s_add_u32 s6, s16, s49
	v_lshl_or_b32 v10, v10, 1, v15
	s_addc_u32 s7, s3, s51
	v_lshlrev_b32_e32 v11, 1, v54
	ds_write_b64 v10, v[12:13] offset:32768
	v_lshrrev_b32_e32 v10, 4, v0
	s_ashr_i32 s3, s2, 31
	s_lshl_b64 s[6:7], s[6:7], 15
	v_or_b32_e32 v12, 1, v11
	s_add_u32 s6, s22, s6
	v_xor_b32_e32 v11, v10, v11
	v_xor_b32_e32 v12, v12, v10
	v_lshlrev_b32_e32 v14, 8, v10
	s_addc_u32 s7, s23, s7
	s_lshl_b64 s[2:3], s[2:3], 8
	v_lshl_or_b32 v10, v11, 3, v14
	v_lshl_or_b32 v12, v12, 3, v14
	s_waitcnt lgkmcnt(0)
	s_barrier
	s_add_u32 s2, s6, s2
	ds_read_b64 v[10:11], v10 offset:32768
	ds_read_b64 v[12:13], v12 offset:32768
	s_addc_u32 s3, s7, s3
	v_mov_b32_e32 v15, 0
	s_cmp_lg_u32 s30, 64
	v_lshl_add_u64 v[16:17], s[2:3], 0, v[14:15]
	v_lshlrev_b32_e32 v14, 4, v54
	s_cselect_b64 s[6:7], -1, 0
	v_lshl_or_b32 v47, v1, 3, v56
	s_mov_b32 s20, 0
	v_lshl_add_u64 v[14:15], v[16:17], 0, v[14:15]
	s_waitcnt vmcnt(1)
	v_or_b32_e32 v27, 32, v47
	v_and_b32_e32 v26, 56, v55
	s_and_b64 vcc, exec, s[6:7]
	s_waitcnt lgkmcnt(0)
	global_store_dwordx4 v[14:15], v[10:13], off
	s_cbranch_vccz .LBB626_15
; %bb.10:
	s_mov_b32 s21, s20
	s_mov_b32 s22, s20
	;; [unrolled: 1-line block ×3, first 2 shown]
	v_mov_b64_e32 v[14:15], s[20:21]
	v_mov_b64_e32 v[16:17], s[22:23]
	;; [unrolled: 1-line block ×3, first 2 shown]
	v_cmp_gt_i32_e32 vcc, s30, v47
	v_mov_b64_e32 v[12:13], v[16:17]
	s_and_saveexec_b64 s[2:3], vcc
	s_cbranch_execz .LBB626_12
; %bb.11:
	v_lshlrev_b32_e32 v10, 8, v47
	v_mov_b32_e32 v11, 0
	v_lshl_add_u64 v[12:13], s[0:1], 0, v[10:11]
	v_lshlrev_b32_e32 v10, 1, v26
	v_lshl_add_u64 v[18:19], v[12:13], 0, v[10:11]
	global_load_dwordx4 v[14:17], v[18:19], off
	global_load_dwordx4 v[10:13], v[18:19], off offset:128
.LBB626_12:
	s_or_b64 exec, exec, s[2:3]
	s_mov_b32 s22, s20
	s_mov_b32 s23, s20
	s_mov_b32 s21, s20
	v_mov_b64_e32 v[24:25], s[22:23]
	v_mov_b64_e32 v[22:23], s[20:21]
	;; [unrolled: 1-line block ×3, first 2 shown]
	v_cmp_gt_i32_e32 vcc, s30, v27
	v_lshlrev_b32_e32 v28, 7, v27
	v_mov_b64_e32 v[20:21], v[24:25]
	s_and_saveexec_b64 s[2:3], vcc
	s_cbranch_execz .LBB626_14
; %bb.13:
	v_lshlrev_b32_e32 v18, 1, v28
	v_mov_b32_e32 v19, 0
	v_lshl_add_u64 v[20:21], s[0:1], 0, v[18:19]
	v_lshlrev_b32_e32 v18, 1, v26
	v_lshl_add_u64 v[30:31], v[20:21], 0, v[18:19]
	global_load_dwordx4 v[22:25], v[30:31], off
	global_load_dwordx4 v[18:21], v[30:31], off offset:128
.LBB626_14:
	s_or_b64 exec, exec, s[2:3]
	v_lshrrev_b32_e32 v29, 3, v26
	v_lshlrev_b32_e32 v30, 3, v47
	v_or_b32_e32 v29, v30, v29
	v_lshlrev_b32_e32 v29, 4, v29
	v_and_b32_e32 v30, 0x78, v30
	v_xor_b32_e32 v29, v29, v30
	s_branch .LBB626_17
.LBB626_15:
                                        ; implicit-def: $vgpr29
                                        ; implicit-def: $vgpr28
                                        ; implicit-def: $vgpr14_vgpr15_vgpr16_vgpr17
                                        ; implicit-def: $vgpr10_vgpr11_vgpr12_vgpr13
                                        ; implicit-def: $vgpr22_vgpr23_vgpr24_vgpr25
                                        ; implicit-def: $vgpr18_vgpr19_vgpr20_vgpr21
	s_cbranch_execz .LBB626_17
; %bb.16:
	s_waitcnt vmcnt(0)
	v_lshlrev_b32_e32 v10, 1, v26
	v_lshl_or_b32 v28, v47, 8, v10
	s_and_b32 s1, s1, 0xffff
	s_mov_b32 s3, 0x20000
	s_movk_i32 s2, 0x4000
	v_lshl_or_b32 v29, v27, 8, v10
	s_movk_i32 s16, 0x80
	buffer_load_dwordx4 v[14:17], v28, s[0:3], 0 offen
	buffer_load_dwordx4 v[10:13], v28, s[0:3], s16 offen
	;; [unrolled: 1-line block ×4, first 2 shown]
	v_lshrrev_b32_e32 v28, 3, v26
	v_lshlrev_b32_e32 v29, 3, v47
	v_or_b32_e32 v28, v29, v28
	v_lshlrev_b32_e32 v28, 4, v28
	v_and_b32_e32 v29, 0x78, v29
	v_xor_b32_e32 v29, v28, v29
	v_lshlrev_b32_e32 v28, 7, v27
.LBB626_17:
	s_lshl_b64 s[0:1], s[28:29], 8
	s_add_u32 s4, s4, s0
	s_movk_i32 s0, 0x1000
	v_and_or_b32 v27, v28, s0, v29
	s_waitcnt vmcnt(1)
	ds_write_b64 v29, v[14:15] offset:16384
	v_xor_b32_e32 v14, 8, v29
	ds_write_b64 v14, v[16:17] offset:16384
	s_waitcnt vmcnt(0)
	ds_write_b64 v29, v[10:11] offset:24576
	ds_write_b64 v14, v[12:13] offset:24576
	ds_write_b64 v27, v[22:23] offset:16384
	v_xor_b32_e32 v10, 8, v27
	ds_write_b64 v10, v[24:25] offset:16384
	ds_write_b64 v27, v[18:19] offset:24576
	;; [unrolled: 1-line block ×3, first 2 shown]
	v_or_b32_e32 v10, v52, v54
	v_lshlrev_b32_e32 v10, 3, v10
	v_lshrrev_b32_e32 v12, 5, v45
	s_movk_i32 s16, 0xf8
	v_and_or_b32 v12, v10, s16, v12
	v_lshlrev_b32_e32 v49, 11, v1
	v_lshlrev_b32_e32 v20, 4, v12
	v_and_b32_e32 v21, 0x78, v10
	v_and_b32_e32 v22, 0x1000, v49
	v_lshlrev_b32_e32 v11, 2, v0
	v_xor_b32_e32 v10, v20, v21
	v_lshrrev_b32_e32 v12, 1, v45
	v_and_b32_e32 v11, 60, v11
	v_or_b32_e32 v10, v10, v22
	v_and_b32_e32 v23, 8, v12
	v_xor_b32_e32 v34, v10, v23
	v_lshl_or_b32 v10, v53, 6, v11
	v_lshlrev_b32_e32 v50, 1, v10
	v_or_b32_e32 v10, 32, v20
	v_xor_b32_e32 v10, v10, v21
	s_waitcnt lgkmcnt(0)
	s_barrier
	ds_read_b64 v[18:19], v34 offset:16384
	v_or_b32_e32 v10, v10, v22
	v_xor_b32_e32 v35, v10, v23
	v_or_b32_e32 v10, 64, v20
	v_xor_b32_e32 v10, v10, v21
	v_or_b32_e32 v10, v10, v22
	v_or_b32_e32 v20, 0x60, v20
	v_xor_b32_e32 v36, v10, v23
	ds_read2st64_b64 v[10:13], v50 offset0:72 offset1:73
	ds_read2st64_b64 v[14:17], v50 offset0:74 offset1:75
	v_xor_b32_e32 v24, v20, v21
	ds_read_b64 v[20:21], v35 offset:16384
	s_addc_u32 s5, s5, s1
	s_add_i32 s1, s44, s33
	s_waitcnt lgkmcnt(2)
	v_mfma_f32_16x16x16_bf16 a[0:3], v[18:19], v[10:11], 0
	s_add_i32 s0, s37, -1
	s_add_i32 s41, s1, s45
	s_add_i32 s1, s47, s46
	;; [unrolled: 1-line block ×3, first 2 shown]
	s_ashr_i32 s1, s0, 31
	s_mul_i32 s2, s0, s35
	s_mul_hi_u32 s3, s0, s34
	s_add_i32 s2, s3, s2
	s_mul_i32 s1, s1, s34
	v_or_b32_e32 v22, v24, v22
	s_add_i32 s1, s2, s1
	s_lshl_b64 s[2:3], s[40:41], 2
	v_xor_b32_e32 v51, v22, v23
	ds_read_b64 v[22:23], v36 offset:16384
	ds_read_b64 v[24:25], v51 offset:16384
	s_waitcnt lgkmcnt(2)
	v_mfma_f32_16x16x16_bf16 a[0:3], v[20:21], v[12:13], a[0:3]
	s_add_u32 s10, s10, s2
	s_addc_u32 s11, s11, s3
	s_lshl_b64 s[2:3], s[38:39], 2
	s_mul_i32 s0, s0, s34
	s_add_u32 s10, s10, s2
	s_addc_u32 s11, s11, s3
	s_lshl_b64 s[0:1], s[0:1], 2
	s_waitcnt lgkmcnt(1)
	v_mfma_f32_16x16x16_bf16 a[0:3], v[22:23], v[14:15], a[0:3]
	s_add_u32 s0, s10, s0
	s_addc_u32 s1, s11, s1
	s_load_dword s16, s[0:1], 0x0
	s_waitcnt lgkmcnt(0)
	v_mfma_f32_16x16x16_bf16 a[0:3], v[24:25], v[16:17], a[0:3]
	s_and_b64 vcc, exec, s[26:27]
	s_cbranch_vccz .LBB626_28
; %bb.18:
	v_lshlrev_b32_e32 v27, 1, v47
	s_and_b64 vcc, exec, s[6:7]
	s_cbranch_vccz .LBB626_44
; %bb.19:
	v_cmp_gt_i32_e32 vcc, s30, v27
	v_mov_b32_e32 v14, 0
	v_mov_b32_e32 v10, 0
	;; [unrolled: 1-line block ×5, first 2 shown]
	s_and_saveexec_b64 s[0:1], vcc
	s_cbranch_execz .LBB626_21
; %bb.20:
	v_mad_i64_i32 v[10:11], s[2:3], s19, v27, 0
	v_lshl_add_u64 v[10:11], v[10:11], 1, s[4:5]
	v_lshlrev_b32_e32 v12, 1, v26
	v_mov_b32_e32 v13, 0
	v_lshl_add_u64 v[10:11], v[10:11], 0, v[12:13]
	global_load_dwordx4 v[10:13], v[10:11], off
.LBB626_21:
	s_or_b64 exec, exec, s[0:1]
	v_or_b32_e32 v28, 1, v27
	v_cmp_gt_i32_e64 s[0:1], s30, v28
	v_mov_b32_e32 v15, 0
	v_mov_b32_e32 v16, 0
	;; [unrolled: 1-line block ×3, first 2 shown]
	s_and_saveexec_b64 s[2:3], s[0:1]
	s_cbranch_execz .LBB626_23
; %bb.22:
	v_mad_i64_i32 v[14:15], s[20:21], s19, v28, 0
	v_lshl_add_u64 v[14:15], v[14:15], 1, s[4:5]
	v_lshlrev_b32_e32 v16, 1, v26
	v_mov_b32_e32 v17, 0
	v_lshl_add_u64 v[14:15], v[14:15], 0, v[16:17]
	global_load_dwordx4 v[14:17], v[14:15], off
.LBB626_23:
	s_or_b64 exec, exec, s[2:3]
	v_mov_b32_e32 v25, 0
	v_mov_b32_e32 v18, 0
	;; [unrolled: 1-line block ×5, first 2 shown]
	s_and_saveexec_b64 s[2:3], vcc
	s_cbranch_execz .LBB626_25
; %bb.24:
	v_mad_i64_i32 v[18:19], s[20:21], s19, v27, 0
	v_lshl_add_u64 v[18:19], v[18:19], 1, s[4:5]
	v_lshlrev_b32_e32 v20, 1, v26
	v_mov_b32_e32 v21, 0
	v_lshl_add_u64 v[18:19], v[18:19], 0, v[20:21]
	global_load_dwordx4 v[18:21], v[18:19], off offset:128
.LBB626_25:
	s_or_b64 exec, exec, s[2:3]
	v_mov_b32_e32 v24, 0
	v_mov_b32_e32 v23, 0
	v_mov_b32_e32 v22, 0
	s_and_saveexec_b64 s[2:3], s[0:1]
	s_cbranch_execz .LBB626_27
; %bb.26:
	v_mad_i64_i32 v[22:23], s[0:1], s19, v28, 0
	v_lshl_add_u64 v[22:23], v[22:23], 1, s[4:5]
	v_lshlrev_b32_e32 v24, 1, v26
	v_mov_b32_e32 v25, 0
	v_lshl_add_u64 v[22:23], v[22:23], 0, v[24:25]
	global_load_dwordx4 v[22:25], v[22:23], off offset:128
.LBB626_27:
	s_or_b64 exec, exec, s[2:3]
	s_branch .LBB626_46
.LBB626_28:
                                        ; implicit-def: $vgpr13
                                        ; implicit-def: $vgpr17
                                        ; implicit-def: $vgpr21
                                        ; implicit-def: $vgpr25
	v_lshrrev_b32_e32 v45, 2, v45
	s_branch .LBB626_47
.LBB626_29:
                                        ; implicit-def: $vgpr10
                                        ; implicit-def: $vgpr11
                                        ; implicit-def: $sgpr26
	v_lshl_or_b32 v5, v61, 9, v5
.LBB626_30:
	v_or_b32_e32 v10, 0x100, v5
	s_movk_i32 s26, 0x4000
	v_mov_b32_e32 v11, v5
.LBB626_31:
	s_mul_i32 s20, s36, s18
	s_ashr_i32 s58, s53, 31
	s_mul_hi_i32 s3, s36, s18
	s_add_u32 s20, s20, s53
	s_addc_u32 s21, s3, s58
	s_lshl_b64 s[20:21], s[20:21], 8
	s_add_u32 s24, s4, s20
	s_addc_u32 s3, s5, s21
	s_and_b32 s25, s3, 0xffff
	s_movk_i32 s59, 0x80
	buffer_load_dwordx4 v[12:15], v11, s[24:27], 0 offen
	buffer_load_dwordx4 v[16:19], v11, s[24:27], s59 offen
	;; [unrolled: 1-line block ×4, first 2 shown]
	v_and_b32_e32 v10, 6, v0
	v_lshlrev_b32_e32 v28, 2, v54
	v_lshlrev_b32_e32 v29, 3, v54
	v_xor_b32_e32 v32, v61, v10
	v_and_b32_e32 v11, 1, v0
	v_lshl_or_b32 v29, v57, 5, v29
	v_xor_b32_e32 v33, v57, v28
	v_lshlrev_b32_e32 v32, 2, v32
	v_or_b32_e32 v67, 0x9000, v29
	v_or_b32_e32 v68, 0x9800, v29
	v_lshlrev_b32_e32 v29, 1, v33
	v_xor_b32_e32 v33, 0x440, v32
	v_cmp_eq_u32_e32 vcc, 0, v11
	s_add_i32 s3, s44, s33
	s_add_i32 s20, s47, s46
	v_cndmask_b32_e32 v11, v33, v32, vcc
	s_add_i32 s41, s3, s45
	v_lshl_or_b32 v10, v10, 10, v11
	s_add_i32 s39, s20, s48
	s_lshl_b64 s[20:21], s[40:41], 2
	s_mov_b32 s60, 0x1000504
	v_lshlrev_b32_e32 v30, 8, v54
	s_mov_b32 s26, 0x8000
	v_xor_b32_e32 v28, v58, v28
	v_xor_b32_e32 v11, 8, v10
	s_add_u32 s3, s10, s20
	s_mov_b32 s61, 0x3020706
	v_or_b32_e32 v31, v52, v54
	v_lshlrev_b32_e32 v28, 1, v28
	v_or3_b32 v69, v29, v30, s26
	v_xor_b32_e32 v29, 24, v10
	v_xor_b32_e32 v32, 40, v10
	;; [unrolled: 1-line block ×3, first 2 shown]
	v_add_u32_e32 v11, 0x80, v11
	s_addc_u32 s24, s11, s21
	s_lshl_b64 s[20:21], s[38:39], 2
	v_lshlrev_b32_e32 v31, 3, v31
	v_or3_b32 v70, v28, v30, s26
	v_xor_b32_e32 v28, 16, v10
	v_xor_b32_e32 v30, 32, v10
	;; [unrolled: 1-line block ×3, first 2 shown]
	v_add_u32_e32 v29, 0x80, v29
	v_add_u32_e32 v32, 0x80, v32
	;; [unrolled: 1-line block ×3, first 2 shown]
	s_add_u32 s20, s3, s20
	s_movk_i32 s3, 0xf8
	s_addc_u32 s21, s24, s21
	v_ashrrev_i32_e32 v47, 31, v46
	s_lshl_b32 s30, s19, 7
	s_mov_b32 s62, 0
	v_mov_b32_e32 v84, 0x3fb8aa3b
	s_waitcnt vmcnt(1)
	v_perm_b32 v35, v12, v20, s60
	s_waitcnt vmcnt(0)
	v_perm_b32 v36, v16, v24, s60
	v_perm_b32 v12, v12, v20, s61
	;; [unrolled: 1-line block ×15, first 2 shown]
	ds_write2st64_b32 v10, v35, v36 offset1:32
	ds_write2st64_b32 v11, v12, v16 offset1:32
	ds_write2st64_b32 v28, v20, v24 offset0:1 offset1:33
	ds_write2st64_b32 v29, v13, v17 offset0:1 offset1:33
	;; [unrolled: 1-line block ×6, first 2 shown]
	v_lshrrev_b32_e32 v11, 5, v45
	v_and_or_b32 v11, v31, s3, v11
	v_lshlrev_b32_e32 v11, 4, v11
	v_lshlrev_b32_e32 v16, 11, v1
	v_and_b32_e32 v12, 0x78, v31
	v_or_b32_e32 v15, 32, v11
	v_and_b32_e32 v10, 0x1000, v16
	v_xor_b32_e32 v13, v11, v12
	v_lshrrev_b32_e32 v17, 1, v0
	v_xor_b32_e32 v15, v15, v12
	v_or_b32_e32 v13, v13, v10
	v_and_b32_e32 v14, 8, v17
	v_or_b32_e32 v15, v15, v10
	v_xor_b32_e32 v71, v13, v14
	v_and_b32_e32 v13, 0x78, v55
	v_xor_b32_e32 v73, v15, v14
	v_or_b32_e32 v15, 64, v11
	v_or_b32_e32 v11, 0x60, v11
	v_lshl_or_b32 v13, v53, 7, v13
	v_xor_b32_e32 v15, v15, v12
	v_xor_b32_e32 v11, v11, v12
	v_or_b32_e32 v72, 0x9000, v13
	v_or_b32_e32 v15, v15, v10
	;; [unrolled: 1-line block ×4, first 2 shown]
	v_lshrrev_b32_e32 v12, 4, v0
	v_lshlrev_b32_e32 v13, 1, v54
	v_xor_b32_e32 v74, v15, v14
	v_xor_b32_e32 v75, v10, v14
	s_ashr_i32 s3, s2, 31
	v_or_b32_e32 v14, 1, v13
	v_xor_b32_e32 v13, v12, v13
	s_lshl_b64 s[24:25], s[2:3], 8
	v_xor_b32_e32 v14, v14, v12
	v_lshlrev_b32_e32 v13, 3, v13
	v_lshlrev_b32_e32 v12, 8, v12
	v_lshl_add_u64 v[10:11], v[46:47], 1, s[8:9]
	s_add_u32 s24, s22, s24
	v_or3_b32 v47, v13, v12, s26
	v_lshlrev_b32_e32 v13, 3, v14
	s_addc_u32 s25, s23, s25
	v_or3_b32 v77, v13, v12, s26
	v_mov_b32_e32 v13, 0
	v_lshl_add_u64 v[14:15], s[24:25], 0, v[12:13]
	v_lshlrev_b32_e32 v12, 4, v54
	s_movk_i32 s3, 0xff
	v_lshlrev_b32_e32 v21, 3, v1
	v_and_b32_e32 v17, 24, v17
	v_lshl_add_u64 v[48:49], v[14:15], 0, v[12:13]
	v_and_b32_e32 v14, 8, v0
	v_cmp_lt_u32_e32 vcc, s3, v0
	v_xor_b32_e32 v22, v21, v17
	v_or_b32_e32 v23, 0x440, v22
	v_cndmask_b32_e64 v20, 0, 1, vcc
	v_cmp_eq_u32_e32 vcc, 0, v14
	v_and_b32_e32 v12, 7, v0
	v_lshlrev_b32_e32 v15, 3, v12
	v_cndmask_b32_e32 v14, v23, v22, vcc
	v_lshlrev_b32_e32 v12, 7, v12
	v_or_b32_e32 v14, v14, v16
	v_xad_u32 v78, v14, v15, v12
	v_or_b32_e32 v14, 32, v17
	v_xor_b32_e32 v14, v21, v14
	v_or_b32_e32 v22, 0x440, v14
	v_cndmask_b32_e32 v14, v22, v14, vcc
	v_or_b32_e32 v14, v14, v16
	v_xad_u32 v79, v14, v15, v12
	v_or_b32_e32 v14, 64, v17
	v_xor_b32_e32 v14, v21, v14
	v_xor_b32_e32 v22, 0x440, v14
	v_cndmask_b32_e32 v14, v22, v14, vcc
	v_or_b32_e32 v14, v14, v16
	v_xad_u32 v80, v14, v15, v12
	v_or_b32_e32 v14, 0x60, v17
	v_xor_b32_e32 v14, v21, v14
	v_xor_b32_e32 v17, 0x440, v14
	v_cndmask_b32_e32 v14, v17, v14, vcc
	v_or_b32_e32 v14, v14, v16
	v_lshlrev_b32_e32 v18, 1, v9
	v_add_lshl_u32 v9, v9, s19, 1
	v_or_b32_e32 v19, 0x100, v5
	v_lshlrev_b32_e32 v20, 13, v20
	v_xad_u32 v81, v14, v15, v12
	v_lshlrev_b32_e32 v12, 8, v57
	v_cndmask_b32_e64 v82, v18, v5, s[0:1]
	v_cndmask_b32_e64 v83, v9, v19, s[0:1]
	v_lshl_add_u64 v[50:51], v[10:11], 0, v[12:13]
	s_mov_b32 s3, 0x7060302
	s_movk_i32 s26, 0x4000
	v_add_u32_e32 v85, v20, v78
	v_add_u32_e32 v86, v20, v79
	;; [unrolled: 1-line block ×4, first 2 shown]
	s_waitcnt lgkmcnt(0)
	s_barrier
.LBB626_32:                             ; =>This Inner Loop Header: Depth=1
	s_add_i32 s39, s62, 1
	s_cmp_lt_i32 s39, s50
	s_mov_b64 s[28:29], 0
	s_cselect_b64 s[42:43], -1, 0
	s_cmp_ge_i32 s39, s50
	s_mov_b64 s[24:25], 0
	s_cbranch_scc1 .LBB626_34
; %bb.33:                               ;   in Loop: Header=BB626_32 Depth=1
	s_add_i32 s0, s57, 64
	s_ashr_i32 s1, s0, 31
	s_add_u32 s0, s55, s0
	s_addc_u32 s1, s54, s1
	s_lshl_b64 s[0:1], s[0:1], 8
	s_add_u32 s24, s6, s0
	s_addc_u32 s25, s7, s1
.LBB626_34:                             ;   in Loop: Header=BB626_32 Depth=1
	v_cndmask_b32_e64 v5, 0, 1, s[42:43]
	v_cmp_ne_u32_e64 s[0:1], 1, v5
	s_andn2_b64 vcc, exec, s[42:43]
	s_cbranch_vccnz .LBB626_36
; %bb.35:                               ;   in Loop: Header=BB626_32 Depth=1
	s_add_i32 s28, s57, 64
	s_mul_hi_i32 s29, s28, s18
	s_mul_i32 s28, s28, s18
	s_add_u32 s28, s28, s53
	s_addc_u32 s29, s29, s58
	s_lshl_b64 s[28:29], s[28:29], 8
	s_add_u32 s28, s4, s28
	s_addc_u32 s29, s5, s29
.LBB626_36:                             ;   in Loop: Header=BB626_32 Depth=1
	v_perm_b32 v11, v59, v4, s3
	v_perm_b32 v10, v3, v2, s3
	;; [unrolled: 1-line block ×4, first 2 shown]
	ds_write_b64 v67, v[10:11]
	ds_write_b64 v68, v[12:13]
	;; [unrolled: 1-line block ×4, first 2 shown]
	s_waitcnt lgkmcnt(0)
	s_barrier
	ds_read_b64 v[18:19], v71 offset:16384
	ds_read_b64 v[20:21], v73 offset:16384
	ds_read2st64_b64 v[10:13], v72 offset1:1
	s_waitcnt lgkmcnt(0)
	v_mfma_f32_16x16x16_bf16 a[0:3], v[18:19], v[10:11], 0
	ds_read2st64_b64 v[14:17], v72 offset0:2 offset1:3
	ds_read_b64 v[22:23], v74 offset:16384
	ds_read_b64 v[10:11], v75 offset:16384
	s_add_i32 s31, s57, 63
	v_mfma_f32_16x16x16_bf16 a[0:3], v[20:21], v[12:13], a[0:3]
	s_ashr_i32 s41, s31, 31
	s_mul_i32 s42, s31, s35
	s_mul_hi_u32 s43, s31, s34
	s_waitcnt lgkmcnt(1)
	v_mfma_f32_16x16x16_bf16 a[0:3], v[22:23], v[14:15], a[0:3]
	s_add_i32 s42, s43, s42
	s_mul_i32 s41, s41, s34
	s_add_i32 s43, s42, s41
	s_mul_i32 s42, s31, s34
	s_waitcnt lgkmcnt(0)
	v_mfma_f32_16x16x16_bf16 a[0:3], v[10:11], v[16:17], a[0:3]
	s_lshl_b64 s[42:43], s[42:43], 2
	s_add_u32 s42, s20, s42
	s_addc_u32 s43, s21, s43
	s_and_b64 vcc, exec, s[0:1]
	v_mov_b32_e32 v89, 0
	v_mov_b32_e32 v9, 0
	;; [unrolled: 1-line block ×19, first 2 shown]
	s_cbranch_vccnz .LBB626_38
; %bb.37:                               ;   in Loop: Header=BB626_32 Depth=1
	s_and_b32 s25, s25, 0xffff
	buffer_load_dwordx4 v[22:25], v63, s[24:27], 0 offen
	buffer_load_dwordx4 v[18:21], v63, s[24:27], s59 offen
	;; [unrolled: 1-line block ×4, first 2 shown]
	v_mov_b32_e32 v9, v65
	v_mov_b32_e32 v5, v66
.LBB626_38:                             ;   in Loop: Header=BB626_32 Depth=1
	s_waitcnt vmcnt(3)
	v_add_u32_e32 v30, s57, v57
	s_waitcnt vmcnt(1)
	v_ashrrev_i32_e32 v26, 31, v30
	v_mul_lo_u32 v28, v26, s34
	v_mul_lo_u32 v29, v30, s35
	v_mad_u64_u32 v[26:27], s[24:25], v30, s34, 0
	v_add3_u32 v27, v27, v29, v28
	v_lshl_add_u64 v[26:27], v[26:27], 2, s[20:21]
	global_load_dword v91, v[26:27], off
	v_add_u32_e32 v26, 1, v30
	v_ashrrev_i32_e32 v27, 31, v26
	v_mul_lo_u32 v28, v27, s34
	v_mul_lo_u32 v29, v26, s35
	v_mad_u64_u32 v[26:27], s[24:25], v26, s34, 0
	v_add3_u32 v27, v27, v29, v28
	v_add_u32_e32 v28, 2, v30
	v_ashrrev_i32_e32 v29, 31, v28
	v_mul_lo_u32 v31, v29, s34
	v_mul_lo_u32 v32, v28, s35
	v_mad_u64_u32 v[28:29], s[24:25], v28, s34, 0
	v_add_u32_e32 v30, 3, v30
	v_add3_u32 v29, v29, v32, v31
	v_ashrrev_i32_e32 v31, 31, v30
	v_mul_lo_u32 v34, v31, s34
	v_mul_lo_u32 v35, v30, s35
	v_mad_u64_u32 v[30:31], s[24:25], v30, s34, 0
	s_ashr_i32 s25, s57, 31
	s_add_u32 s24, s55, s57
	s_addc_u32 s25, s54, s25
	s_lshl_b64 s[24:25], s[24:25], 8
	v_lshl_add_u64 v[26:27], v[26:27], 2, s[20:21]
	v_lshl_add_u64 v[32:33], v[50:51], 0, s[24:25]
	v_add3_u32 v31, v31, v35, v34
	v_lshl_add_u64 v[28:29], v[28:29], 2, s[20:21]
	global_load_ushort v96, v[32:33], off
	global_load_ushort v97, v[32:33], off offset:256
	global_load_ushort v98, v[32:33], off offset:512
	;; [unrolled: 1-line block ×3, first 2 shown]
	v_lshl_add_u64 v[30:31], v[30:31], 2, s[20:21]
	global_load_dword v100, v[26:27], off
	global_load_dword v101, v[28:29], off
	;; [unrolled: 1-line block ×3, first 2 shown]
	s_load_dword s24, s[42:43], 0x0
	ds_read_b64 v[34:35], v71 offset:24576
	ds_read2st64_b64 v[30:33], v76 offset1:1
	ds_read2st64_b64 v[36:39], v76 offset0:2 offset1:3
	ds_read_b64 v[40:41], v73 offset:24576
	ds_read_b64 v[92:93], v74 offset:24576
	;; [unrolled: 1-line block ×3, first 2 shown]
	s_waitcnt lgkmcnt(0)
	v_mfma_f32_16x16x16_bf16 a[0:3], v[34:35], v[30:31], a[0:3]
	v_mov_b32_e32 v90, 0
	v_mov_b32_e32 v26, 0
	v_mov_b32_e32 v27, 0
	v_mfma_f32_16x16x16_bf16 a[0:3], v[40:41], v[32:33], a[0:3]
	v_mov_b32_e32 v28, 0
	v_mov_b32_e32 v29, 0
	v_mov_b32_e32 v30, 0
	;; [unrolled: 4-line block ×4, first 2 shown]
	s_and_b64 vcc, exec, s[0:1]
	s_waitcnt vmcnt(7)
	v_sub_f32_e32 v37, s24, v91
	v_mul_f32_e32 v37, 0x3fb8aa3b, v37
	v_accvgpr_read_b32 v41, a1
	v_accvgpr_read_b32 v39, a3
	;; [unrolled: 1-line block ×4, first 2 shown]
	s_waitcnt vmcnt(6)
	v_lshlrev_b32_e32 v92, 16, v96
	s_waitcnt vmcnt(5)
	v_lshlrev_b32_e32 v93, 16, v97
	;; [unrolled: 2-line block ×3, first 2 shown]
	s_waitcnt vmcnt(2)
	v_sub_f32_e32 v91, s24, v100
	s_waitcnt vmcnt(1)
	v_sub_f32_e32 v97, s24, v101
	;; [unrolled: 2-line block ×3, first 2 shown]
	v_lshlrev_b32_e32 v95, 16, v99
	v_exp_f32_e32 v96, v37
	v_mul_f32_e32 v37, 0x3fb8aa3b, v91
	v_mul_f32_e32 v91, 0x3fb8aa3b, v97
	;; [unrolled: 1-line block ×3, first 2 shown]
	v_exp_f32_e32 v97, v37
	v_exp_f32_e32 v98, v91
	;; [unrolled: 1-line block ×3, first 2 shown]
	v_pk_add_f32 v[40:41], v[92:93], v[40:41] neg_lo:[0,1] neg_hi:[0,1]
	v_pk_add_f32 v[38:39], v[94:95], v[38:39] neg_lo:[0,1] neg_hi:[0,1]
	v_pk_mul_f32 v[40:41], v[96:97], v[40:41]
	v_pk_mul_f32 v[38:39], v[98:99], v[38:39]
	v_mov_b32_e32 v37, 0
	v_perm_b32 v39, v39, v38, s3
	v_perm_b32 v38, v41, v40, s3
	ds_write_b64 v68, v[38:39]
	v_mov_b32_e32 v38, 0
	v_mov_b32_e32 v39, 0
	;; [unrolled: 1-line block ×4, first 2 shown]
	s_cbranch_vccnz .LBB626_40
; %bb.39:                               ;   in Loop: Header=BB626_32 Depth=1
	s_and_b32 s29, s29, 0xffff
	s_mov_b32 s31, s27
	buffer_load_dwordx4 v[38:41], v82, s[28:31], 0 offen
	buffer_load_dwordx4 v[30:33], v82, s[28:31], s59 offen
	;; [unrolled: 1-line block ×4, first 2 shown]
	v_mov_b32_e32 v89, v62
	v_mov_b32_e32 v90, v61
.LBB626_40:                             ;   in Loop: Header=BB626_32 Depth=1
	s_waitcnt lgkmcnt(0)
	s_barrier
	ds_read_b64 v[100:101], v85
	ds_read2st64_b64 v[92:95], v76 offset1:1
	ds_read2st64_b64 v[96:99], v76 offset0:2 offset1:3
	ds_read_b64 v[102:103], v86
	ds_read_b64 v[104:105], v87
	ds_read_b64 v[106:107], v88
	s_waitcnt lgkmcnt(4)
	v_mfma_f32_16x16x16_bf16 a[0:3], v[100:101], v[92:93], 0
	ds_read_b64 v[100:101], v78 offset:8192
	ds_read_b64 v[108:109], v79 offset:8192
	s_add_i32 s25, s56, s62
	s_mul_hi_i32 s29, s25, s17
	s_waitcnt lgkmcnt(1)
	v_mfma_f32_16x16x16_bf16 a[4:7], v[100:101], v[92:93], 0
	s_mul_i32 s25, s25, s17
	s_add_u32 s28, s25, s49
	s_addc_u32 s29, s29, s51
	v_mfma_f32_16x16x16_bf16 a[0:3], v[102:103], v[94:95], a[0:3]
	ds_read_b64 v[100:101], v47
	ds_read_b64 v[102:103], v77
	ds_read_b64 v[92:93], v80 offset:8192
	s_lshl_b64 s[28:29], s[28:29], 15
	v_mfma_f32_16x16x16_bf16 a[0:3], v[104:105], v[96:97], a[0:3]
	ds_read_b64 v[104:105], v81 offset:8192
	s_and_b64 vcc, exec, s[0:1]
	s_waitcnt lgkmcnt(4)
	v_mfma_f32_16x16x16_bf16 a[4:7], v[108:109], v[94:95], a[4:7]
	s_waitcnt lgkmcnt(1)
	v_mfma_f32_16x16x16_bf16 a[4:7], v[92:93], v[96:97], a[4:7]
	v_lshl_add_u64 v[92:93], v[48:49], 0, s[28:29]
	global_store_dwordx4 v[92:93], v[100:103], off
	v_mfma_f32_16x16x16_bf16 a[0:3], v[106:107], v[98:99], a[0:3]
	s_waitcnt lgkmcnt(0)
	v_mfma_f32_16x16x16_bf16 a[4:7], v[104:105], v[98:99], a[4:7]
	s_cbranch_vccnz .LBB626_42
; %bb.41:                               ;   in Loop: Header=BB626_32 Depth=1
	v_lshrrev_b32_e32 v91, 3, v89
	v_and_b32_e32 v91, 6, v91
	v_xor_b32_e32 v90, v91, v90
	v_lshlrev_b32_e32 v90, 2, v90
	v_and_b32_e32 v89, 8, v89
	v_xor_b32_e32 v92, 0x440, v90
	v_cmp_eq_u32_e32 vcc, 0, v89
	s_barrier
	s_nop 0
	v_cndmask_b32_e32 v89, v92, v90, vcc
	v_lshl_or_b32 v89, v91, 10, v89
	s_waitcnt vmcnt(2)
	v_perm_b32 v90, v38, v34, s60
	s_waitcnt vmcnt(1)
	v_perm_b32 v91, v30, v26, s60
	ds_write2st64_b32 v89, v90, v91 offset1:32
	v_xor_b32_e32 v90, 8, v89
	v_perm_b32 v34, v38, v34, s61
	v_perm_b32 v26, v30, v26, s61
	v_add_u32_e32 v30, 0x80, v90
	ds_write2st64_b32 v30, v34, v26 offset1:32
	v_xor_b32_e32 v26, 16, v89
	v_perm_b32 v30, v39, v35, s60
	v_perm_b32 v34, v31, v27, s60
	ds_write2st64_b32 v26, v30, v34 offset0:1 offset1:33
	v_xor_b32_e32 v26, 24, v89
	v_perm_b32 v30, v39, v35, s61
	v_perm_b32 v27, v31, v27, s61
	v_add_u32_e32 v26, 0x80, v26
	ds_write2st64_b32 v26, v30, v27 offset0:1 offset1:33
	v_xor_b32_e32 v26, 32, v89
	v_perm_b32 v27, v40, v36, s60
	v_perm_b32 v30, v32, v28, s60
	ds_write2st64_b32 v26, v27, v30 offset0:2 offset1:34
	v_xor_b32_e32 v26, 40, v89
	v_perm_b32 v27, v40, v36, s61
	v_perm_b32 v28, v32, v28, s61
	v_add_u32_e32 v26, 0x80, v26
	ds_write2st64_b32 v26, v27, v28 offset0:2 offset1:34
	;; [unrolled: 9-line block ×3, first 2 shown]
	ds_write_b64 v9, v[22:23] offset:16384
	v_xor_b32_e32 v22, 8, v9
	ds_write_b64 v22, v[24:25] offset:16384
	ds_write_b64 v9, v[18:19] offset:24576
	;; [unrolled: 1-line block ×4, first 2 shown]
	v_xor_b32_e32 v9, 8, v5
	ds_write_b64 v9, v[16:17] offset:16384
	ds_write_b64 v5, v[10:11] offset:24576
	ds_write_b64 v9, v[12:13] offset:24576
.LBB626_42:                             ;   in Loop: Header=BB626_32 Depth=1
	v_mul_f32_e32 v5, s24, v84
	v_exp_f32_e32 v10, v5
	s_nop 1
	v_accvgpr_read_b32 v9, a1
	v_accvgpr_read_b32 v5, a0
	s_add_i32 s57, s57, 64
	v_fma_f32 v3, v3, v10, v9
	v_accvgpr_read_b32 v9, a4
	v_fma_f32 v6, v6, v10, v9
	v_accvgpr_read_b32 v9, a5
	;; [unrolled: 2-line block ×6, first 2 shown]
	v_fmac_f32_e32 v5, v59, v10
	s_cmp_eq_u32 s50, s39
	v_fmac_f32_e32 v9, v60, v10
	s_cbranch_scc1 .LBB626_4
; %bb.43:                               ;   in Loop: Header=BB626_32 Depth=1
	s_mov_b32 s62, s39
	v_mov_b32_e32 v59, v5
	v_mov_b32_e32 v60, v9
	s_branch .LBB626_32
.LBB626_44:
                                        ; implicit-def: $vgpr13
                                        ; implicit-def: $vgpr17
                                        ; implicit-def: $vgpr21
                                        ; implicit-def: $vgpr25
	s_cbranch_execz .LBB626_46
; %bb.45:
	s_waitcnt vmcnt(0)
	v_mad_u64_u32 v[10:11], s[0:1], v27, s19, v[26:27]
	v_lshlrev_b32_e32 v27, 1, v10
	s_lshl_b32 s2, s19, 7
	s_and_b32 s1, s5, 0xffff
	s_mov_b32 s3, 0x20000
	s_mov_b32 s0, s4
	v_add_lshl_u32 v28, v10, s19, 1
	s_movk_i32 s17, 0x80
	buffer_load_dwordx4 v[10:13], v27, s[0:3], 0 offen
	buffer_load_dwordx4 v[18:21], v27, s[0:3], s17 offen
	;; [unrolled: 1-line block ×4, first 2 shown]
.LBB626_46:
	v_lshrrev_b32_e32 v45, 2, v45
	s_cbranch_execnz .LBB626_59
.LBB626_47:
	s_and_b64 vcc, exec, s[6:7]
	s_cbranch_vccz .LBB626_57
; %bb.48:
	s_waitcnt vmcnt(0)
	v_lshlrev_b32_e32 v15, 1, v47
	v_cmp_gt_i32_e32 vcc, s30, v15
	v_mov_b32_e32 v14, 0
	v_lshlrev_b32_e32 v22, 9, v47
	v_mov_b32_e32 v10, 0
	v_mov_b32_e32 v11, 0
	v_mov_b32_e32 v12, 0
	v_mov_b32_e32 v13, 0
	s_and_saveexec_b64 s[0:1], vcc
	s_cbranch_execz .LBB626_50
; %bb.49:
	v_mov_b32_e32 v23, 0
	v_lshl_add_u64 v[10:11], s[4:5], 0, v[22:23]
	v_lshlrev_b32_e32 v12, 1, v26
	v_mov_b32_e32 v13, v23
	v_lshl_add_u64 v[10:11], v[10:11], 0, v[12:13]
	global_load_dwordx4 v[10:13], v[10:11], off
.LBB626_50:
	s_or_b64 exec, exec, s[0:1]
	v_or_b32_e32 v15, 1, v15
	v_cmp_gt_i32_e64 s[0:1], s30, v15
	v_lshlrev_b32_e32 v28, 8, v15
	v_mov_b32_e32 v15, 0
	v_mov_b32_e32 v16, 0
	;; [unrolled: 1-line block ×3, first 2 shown]
	s_and_saveexec_b64 s[2:3], s[0:1]
	s_cbranch_execz .LBB626_52
; %bb.51:
	v_mov_b32_e32 v29, 0
	v_lshl_add_u64 v[14:15], s[4:5], 0, v[28:29]
	v_lshlrev_b32_e32 v16, 1, v26
	v_mov_b32_e32 v17, v29
	v_lshl_add_u64 v[14:15], v[14:15], 0, v[16:17]
	global_load_dwordx4 v[14:17], v[14:15], off
.LBB626_52:
	s_or_b64 exec, exec, s[2:3]
	v_mov_b32_e32 v25, 0
	v_mov_b32_e32 v18, 0
	;; [unrolled: 1-line block ×5, first 2 shown]
	s_and_saveexec_b64 s[2:3], vcc
	s_cbranch_execz .LBB626_54
; %bb.53:
	v_mov_b32_e32 v23, 0
	v_lshl_add_u64 v[18:19], s[4:5], 0, v[22:23]
	v_lshlrev_b32_e32 v22, 1, v26
	v_lshl_add_u64 v[18:19], v[18:19], 0, v[22:23]
	global_load_dwordx4 v[18:21], v[18:19], off offset:128
.LBB626_54:
	s_or_b64 exec, exec, s[2:3]
	v_mov_b32_e32 v24, 0
	v_mov_b32_e32 v23, 0
	v_mov_b32_e32 v22, 0
	s_and_saveexec_b64 s[2:3], s[0:1]
	s_cbranch_execz .LBB626_56
; %bb.55:
	v_mov_b32_e32 v29, 0
	v_lshl_add_u64 v[22:23], s[4:5], 0, v[28:29]
	v_lshlrev_b32_e32 v28, 1, v26
	v_lshl_add_u64 v[22:23], v[22:23], 0, v[28:29]
	global_load_dwordx4 v[22:25], v[22:23], off offset:128
.LBB626_56:
	s_or_b64 exec, exec, s[2:3]
	s_branch .LBB626_59
.LBB626_57:
                                        ; implicit-def: $vgpr13
                                        ; implicit-def: $vgpr17
                                        ; implicit-def: $vgpr21
                                        ; implicit-def: $vgpr25
	s_cbranch_execz .LBB626_59
; %bb.58:
	s_waitcnt vmcnt(0)
	v_lshlrev_b32_e32 v10, 1, v26
	v_lshl_or_b32 v26, v47, 9, v10
	s_and_b32 s5, s5, 0xffff
	s_mov_b32 s7, 0x20000
	s_movk_i32 s6, 0x4000
	s_movk_i32 s0, 0x80
	buffer_load_dwordx4 v[10:13], v26, s[4:7], 0 offen
	buffer_load_dwordx4 v[14:17], v26, s[4:7], 0 offen offset:256
	buffer_load_dwordx4 v[18:21], v26, s[4:7], s0 offen
	buffer_load_dwordx4 v[22:25], v26, s[4:7], s0 offen offset:256
.LBB626_59:
	ds_read2st64_b64 v[30:33], v50 offset0:76 offset1:77
	ds_read2st64_b64 v[26:29], v50 offset0:78 offset1:79
	ds_read_b64 v[38:39], v34 offset:24576
	ds_read_b64 v[40:41], v35 offset:24576
	ds_read_b64 v[36:37], v36 offset:24576
	ds_read_b64 v[34:35], v51 offset:24576
	v_and_b32_e32 v51, 6, v0
	v_xor_b32_e32 v47, v47, v51
	v_lshlrev_b32_e32 v47, 2, v47
	v_and_b32_e32 v53, 1, v0
	v_xor_b32_e32 v54, 0x440, v47
	v_cmp_eq_u32_e32 vcc, 0, v53
	s_mov_b32 s0, 0x1000504
	s_waitcnt vmcnt(0)
	v_perm_b32 v53, v18, v22, s0
	v_cndmask_b32_e32 v47, v54, v47, vcc
	v_lshl_or_b32 v47, v51, 10, v47
	v_perm_b32 v51, v10, v14, s0
	ds_write2st64_b32 v47, v51, v53 offset1:32
	v_xor_b32_e32 v51, 8, v47
	s_mov_b32 s1, 0x3020706
	v_perm_b32 v10, v10, v14, s1
	v_perm_b32 v14, v18, v22, s1
	v_add_u32_e32 v18, 0x80, v51
	ds_write2st64_b32 v18, v10, v14 offset1:32
	v_xor_b32_e32 v10, 16, v47
	v_perm_b32 v14, v11, v15, s0
	v_perm_b32 v18, v19, v23, s0
	ds_write2st64_b32 v10, v14, v18 offset0:1 offset1:33
	v_xor_b32_e32 v10, 24, v47
	v_perm_b32 v11, v11, v15, s1
	v_perm_b32 v14, v19, v23, s1
	v_add_u32_e32 v10, 0x80, v10
	ds_write2st64_b32 v10, v11, v14 offset0:1 offset1:33
	v_xor_b32_e32 v10, 32, v47
	v_perm_b32 v11, v12, v16, s0
	v_perm_b32 v14, v20, v24, s0
	ds_write2st64_b32 v10, v11, v14 offset0:2 offset1:34
	v_xor_b32_e32 v10, 40, v47
	v_perm_b32 v11, v12, v16, s1
	v_perm_b32 v12, v20, v24, s1
	v_add_u32_e32 v10, 0x80, v10
	ds_write2st64_b32 v10, v11, v12 offset0:2 offset1:34
	v_xor_b32_e32 v10, 48, v47
	v_perm_b32 v11, v13, v17, s0
	v_perm_b32 v12, v21, v25, s0
	ds_write2st64_b32 v10, v11, v12 offset0:3 offset1:35
	v_xor_b32_e32 v10, 56, v47
	v_and_or_b32 v16, v45, 12, v52
	v_perm_b32 v11, v13, v17, s1
	v_perm_b32 v12, v21, v25, s1
	v_add_u32_e32 v10, 0x80, v10
	v_cmp_gt_i32_e32 vcc, s30, v16
	v_mov_b32_e32 v17, 0
	v_mov_b32_e32 v21, 0
	ds_write2st64_b32 v10, v11, v12 offset0:3 offset1:35
	s_and_saveexec_b64 s[0:1], vcc
	s_cbranch_execz .LBB626_61
; %bb.60:
	v_add_u32_e32 v10, s31, v16
	v_ashrrev_i32_e32 v11, 31, v10
	v_mul_lo_u32 v12, v11, s34
	v_mul_lo_u32 v13, v10, s35
	v_mad_u64_u32 v[10:11], s[2:3], v10, s34, 0
	v_add3_u32 v11, v11, v13, v12
	v_lshl_add_u64 v[10:11], v[10:11], 2, s[10:11]
	global_load_dword v10, v[10:11], off
	s_waitcnt vmcnt(0)
	v_sub_f32_e32 v10, s16, v10
	v_mul_f32_e32 v10, 0x3fb8aa3b, v10
	v_exp_f32_e32 v21, v10
.LBB626_61:
	s_or_b64 exec, exec, s[0:1]
	v_or_b32_e32 v19, 1, v16
	v_cmp_gt_i32_e64 s[0:1], s30, v19
	s_and_saveexec_b64 s[2:3], s[0:1]
	s_cbranch_execz .LBB626_63
; %bb.62:
	v_add_u32_e32 v10, s31, v19
	v_ashrrev_i32_e32 v11, 31, v10
	v_mul_lo_u32 v12, v11, s34
	v_mul_lo_u32 v13, v10, s35
	v_mad_u64_u32 v[10:11], s[4:5], v10, s34, 0
	v_add3_u32 v11, v11, v13, v12
	v_lshl_add_u64 v[10:11], v[10:11], 2, s[10:11]
	global_load_dword v10, v[10:11], off
	s_waitcnt vmcnt(0)
	v_sub_f32_e32 v10, s16, v10
	v_mul_f32_e32 v10, 0x3fb8aa3b, v10
	v_exp_f32_e32 v17, v10
.LBB626_63:
	s_or_b64 exec, exec, s[2:3]
	v_or_b32_e32 v20, 2, v16
	v_cmp_gt_i32_e64 s[2:3], s30, v20
	v_mov_b32_e32 v18, 0
	v_mov_b32_e32 v23, 0
	s_and_saveexec_b64 s[4:5], s[2:3]
	s_cbranch_execz .LBB626_65
; %bb.64:
	v_add_u32_e32 v10, s31, v20
	v_ashrrev_i32_e32 v11, 31, v10
	v_mul_lo_u32 v12, v11, s34
	v_mul_lo_u32 v13, v10, s35
	v_mad_u64_u32 v[10:11], s[6:7], v10, s34, 0
	v_add3_u32 v11, v11, v13, v12
	v_lshl_add_u64 v[10:11], v[10:11], 2, s[10:11]
	global_load_dword v10, v[10:11], off
	s_waitcnt vmcnt(0)
	v_sub_f32_e32 v10, s16, v10
	v_mul_f32_e32 v10, 0x3fb8aa3b, v10
	v_exp_f32_e32 v23, v10
.LBB626_65:
	s_or_b64 exec, exec, s[4:5]
	v_or_b32_e32 v22, 3, v16
	v_cmp_gt_i32_e64 s[4:5], s30, v22
	s_and_saveexec_b64 s[6:7], s[4:5]
	s_cbranch_execz .LBB626_67
; %bb.66:
	v_add_u32_e32 v10, s31, v22
	v_ashrrev_i32_e32 v11, 31, v10
	v_mul_lo_u32 v12, v11, s34
	v_mul_lo_u32 v13, v10, s35
	v_mad_u64_u32 v[10:11], s[18:19], v10, s34, 0
	v_add3_u32 v11, v11, v13, v12
	v_lshl_add_u64 v[10:11], v[10:11], 2, s[10:11]
	global_load_dword v10, v[10:11], off
	s_waitcnt vmcnt(0)
	v_sub_f32_e32 v10, s16, v10
	v_mul_f32_e32 v10, 0x3fb8aa3b, v10
	v_exp_f32_e32 v18, v10
.LBB626_67:
	s_or_b64 exec, exec, s[6:7]
	s_waitcnt lgkmcnt(11)
	v_mfma_f32_16x16x16_bf16 a[0:3], v[38:39], v[30:31], a[0:3]
	s_add_u32 s6, s8, s24
	v_ashrrev_i32_e32 v47, 31, v46
	s_addc_u32 s7, s9, s25
	s_waitcnt lgkmcnt(10)
	v_mfma_f32_16x16x16_bf16 a[0:3], v[40:41], v[32:33], a[0:3]
	v_mov_b32_e32 v24, 0
	v_lshl_add_u64 v[14:15], v[46:47], 1, s[6:7]
	v_mov_b32_e32 v25, 0
	s_waitcnt lgkmcnt(9)
	v_mfma_f32_16x16x16_bf16 a[0:3], v[36:37], v[26:27], a[0:3]
	s_waitcnt lgkmcnt(8)
	v_mfma_f32_16x16x16_bf16 a[0:3], v[34:35], v[28:29], a[0:3]
	s_nop 6
	v_accvgpr_read_b32 v13, a3
	v_accvgpr_read_b32 v12, a2
	;; [unrolled: 1-line block ×4, first 2 shown]
	s_and_saveexec_b64 s[6:7], vcc
	s_cbranch_execz .LBB626_69
; %bb.68:
	v_lshlrev_b32_e32 v26, 8, v16
	v_mov_b32_e32 v27, 0
	v_lshl_add_u64 v[26:27], v[14:15], 0, v[26:27]
	global_load_ushort v25, v[26:27], off
	s_waitcnt vmcnt(0)
	v_lshlrev_b32_e32 v25, 16, v25
	v_sub_f32_e32 v10, v25, v10
	v_mul_f32_e32 v10, v21, v10
	v_lshrrev_b32_e32 v25, 16, v10
.LBB626_69:
	s_or_b64 exec, exec, s[6:7]
	s_and_saveexec_b64 s[6:7], s[0:1]
	s_cbranch_execz .LBB626_71
; %bb.70:
	v_lshlrev_b32_e32 v26, 8, v19
	v_mov_b32_e32 v27, 0
	v_lshl_add_u64 v[26:27], v[14:15], 0, v[26:27]
	global_load_ushort v10, v[26:27], off
	s_waitcnt vmcnt(0)
	v_lshlrev_b32_e32 v10, 16, v10
	v_sub_f32_e32 v10, v10, v11
	v_mul_f32_e32 v10, v17, v10
	v_lshrrev_b32_e32 v24, 16, v10
.LBB626_71:
	s_or_b64 exec, exec, s[6:7]
	v_mov_b32_e32 v11, 0
	v_mov_b32_e32 v17, 0
	s_and_saveexec_b64 s[0:1], s[2:3]
	s_cbranch_execz .LBB626_73
; %bb.72:
	v_lshlrev_b32_e32 v20, 8, v20
	v_mov_b32_e32 v21, 0
	v_lshl_add_u64 v[20:21], v[14:15], 0, v[20:21]
	global_load_ushort v10, v[20:21], off
	s_waitcnt vmcnt(0)
	v_lshlrev_b32_e32 v10, 16, v10
	v_sub_f32_e32 v10, v10, v12
	v_mul_f32_e32 v10, v23, v10
	v_lshrrev_b32_e32 v17, 16, v10
.LBB626_73:
	s_or_b64 exec, exec, s[0:1]
	v_or_b32_e32 v10, 0x9800, v50
	s_and_saveexec_b64 s[0:1], s[4:5]
	s_cbranch_execz .LBB626_75
; %bb.74:
	v_lshlrev_b32_e32 v20, 8, v22
	v_mov_b32_e32 v21, 0
	v_lshl_add_u64 v[14:15], v[14:15], 0, v[20:21]
	global_load_ushort v11, v[14:15], off
	s_waitcnt vmcnt(0)
	v_lshlrev_b32_e32 v11, 16, v11
	v_sub_f32_e32 v11, v11, v13
	v_mul_f32_e32 v11, v18, v11
	v_lshrrev_b32_e32 v11, 16, v11
.LBB626_75:
	s_or_b64 exec, exec, s[0:1]
	s_mov_b32 s0, 0x5040100
	v_perm_b32 v13, v11, v17, s0
	v_lshlrev_b32_e32 v11, 1, v48
	v_perm_b32 v12, v24, v25, s0
	v_lshl_or_b32 v11, v16, 5, v11
	s_movk_i32 s0, 0xff
	ds_write_b64 v11, v[12:13] offset:38912
	v_and_b32_e32 v11, 7, v0
	v_and_b32_e32 v12, 8, v0
	v_cmp_lt_u32_e32 vcc, s0, v0
	v_lshrrev_b32_e32 v0, 1, v0
	v_lshlrev_b32_e32 v22, 3, v1
	v_and_b32_e32 v23, 24, v0
	v_xor_b32_e32 v0, v22, v23
	v_cndmask_b32_e64 v13, 0, 1, vcc
	v_or_b32_e32 v1, 0x440, v0
	v_cmp_eq_u32_e32 vcc, 0, v12
	v_lshlrev_b32_e32 v20, 3, v11
	v_lshlrev_b32_e32 v11, 7, v11
	v_cndmask_b32_e32 v0, v1, v0, vcc
	v_or_b32_e32 v0, v0, v49
	v_lshlrev_b32_e32 v21, 13, v13
	v_xad_u32 v24, v0, v20, v11
	v_add_u32_e32 v0, v21, v24
	s_waitcnt lgkmcnt(0)
	s_barrier
	ds_read_b64 v[0:1], v0
	ds_read2st64_b64 v[12:15], v10 offset1:1
	ds_read2st64_b64 v[16:19], v10 offset0:2 offset1:3
	s_waitcnt lgkmcnt(1)
	v_mfma_f32_16x16x16_bf16 a[0:3], v[0:1], v[12:13], 0
	v_or_b32_e32 v0, 32, v23
	v_xor_b32_e32 v0, v22, v0
	v_or_b32_e32 v1, 0x440, v0
	v_cndmask_b32_e32 v0, v1, v0, vcc
	v_or_b32_e32 v0, v0, v49
	v_xad_u32 v25, v0, v20, v11
	v_add_u32_e32 v0, v21, v25
	ds_read_b64 v[0:1], v0
	v_or_b32_e32 v10, 0x60, v23
	s_waitcnt lgkmcnt(0)
	v_mfma_f32_16x16x16_bf16 a[0:3], v[0:1], v[14:15], a[0:3]
	v_or_b32_e32 v0, 64, v23
	v_xor_b32_e32 v0, v22, v0
	v_xor_b32_e32 v1, 0x440, v0
	v_cndmask_b32_e32 v0, v1, v0, vcc
	v_or_b32_e32 v0, v0, v49
	v_xad_u32 v26, v0, v20, v11
	v_add_u32_e32 v0, v21, v26
	ds_read_b64 v[0:1], v0
	v_xor_b32_e32 v10, v22, v10
	v_xor_b32_e32 v22, 0x440, v10
	v_cndmask_b32_e32 v10, v22, v10, vcc
	v_or_b32_e32 v10, v10, v49
	v_xad_u32 v22, v10, v20, v11
	v_add_u32_e32 v10, v21, v22
	ds_read_b64 v[10:11], v10
	s_waitcnt lgkmcnt(1)
	v_mfma_f32_16x16x16_bf16 a[0:3], v[0:1], v[16:17], a[0:3]
	ds_read_b64 v[0:1], v24 offset:8192
	ds_read_b64 v[20:21], v25 offset:8192
	v_mov_b32_e32 v23, 0x3fb8aa3b
	s_waitcnt lgkmcnt(2)
	v_mfma_f32_16x16x16_bf16 a[0:3], v[10:11], v[18:19], a[0:3]
	v_mul_f32_e32 v10, s16, v23
	v_exp_f32_e32 v23, v10
	ds_read_b64 v[10:11], v26 offset:8192
	s_waitcnt lgkmcnt(2)
	v_mfma_f32_16x16x16_bf16 a[4:7], v[0:1], v[12:13], 0
	ds_read_b64 v[12:13], v22 offset:8192
	s_nop 0
	v_accvgpr_read_b32 v0, a0
	v_accvgpr_read_b32 v1, a1
	s_waitcnt lgkmcnt(2)
	v_mfma_f32_16x16x16_bf16 a[4:7], v[20:21], v[14:15], a[4:7]
	v_fma_f32 v0, v2, v23, v0
	v_fma_f32 v1, v3, v23, v1
	v_accvgpr_read_b32 v2, a2
	s_waitcnt lgkmcnt(1)
	v_mfma_f32_16x16x16_bf16 a[4:7], v[10:11], v[16:17], a[4:7]
	v_accvgpr_read_b32 v3, a3
	v_fma_f32 v2, v4, v23, v2
	v_fmac_f32_e32 v3, v5, v23
	s_waitcnt lgkmcnt(0)
	v_mfma_f32_16x16x16_bf16 a[0:3], v[12:13], v[18:19], a[4:7]
	s_nop 6
	v_accvgpr_read_b32 v4, a0
	v_accvgpr_read_b32 v5, a1
	v_fma_f32 v4, v6, v23, v4
	v_fma_f32 v5, v7, v23, v5
	v_accvgpr_read_b32 v6, a2
	v_accvgpr_read_b32 v7, a3
	v_fma_f32 v6, v8, v23, v6
	v_fmac_f32_e32 v7, v9, v23
	v_mov_b64_e32 v[8:9], v[6:7]
	v_mov_b64_e32 v[6:7], v[4:5]
	;; [unrolled: 1-line block ×4, first 2 shown]
.LBB626_76:
	s_add_u32 s0, s12, s14
	s_addc_u32 s1, s13, s15
	v_lshl_add_u64 v[0:1], v[42:43], 1, s[0:1]
	v_mov_b32_e32 v45, 0
	s_mov_b32 s0, 0x7060302
	v_lshl_add_u64 v[0:1], v[0:1], 0, v[44:45]
	v_perm_b32 v5, v5, v4, s0
	v_perm_b32 v4, v3, v2, s0
	;; [unrolled: 1-line block ×4, first 2 shown]
	global_store_dwordx2 v[0:1], v[4:5], off
	global_store_dwordx2 v[0:1], v[2:3], off offset:128
	s_endpgm
	.section	.rodata,"a",@progbits
	.p2align	6, 0x0
	.amdhsa_kernel _ZN12_GLOBAL__N_139chunk_gated_delta_rule_fwd_h_hip_kernelILi16ELb1ELb1ELb0ELb1ELb0ELb0ELb0ELb1EEEvPK12hip_bfloat16S3_S3_PKfS5_PKvPS1_S8_PvPKiSB_iiiiilll
		.amdhsa_group_segment_fixed_size 40960
		.amdhsa_private_segment_fixed_size 0
		.amdhsa_kernarg_size 136
		.amdhsa_user_sgpr_count 2
		.amdhsa_user_sgpr_dispatch_ptr 0
		.amdhsa_user_sgpr_queue_ptr 0
		.amdhsa_user_sgpr_kernarg_segment_ptr 1
		.amdhsa_user_sgpr_dispatch_id 0
		.amdhsa_user_sgpr_kernarg_preload_length 0
		.amdhsa_user_sgpr_kernarg_preload_offset 0
		.amdhsa_user_sgpr_private_segment_size 0
		.amdhsa_uses_dynamic_stack 0
		.amdhsa_enable_private_segment 0
		.amdhsa_system_sgpr_workgroup_id_x 1
		.amdhsa_system_sgpr_workgroup_id_y 1
		.amdhsa_system_sgpr_workgroup_id_z 0
		.amdhsa_system_sgpr_workgroup_info 0
		.amdhsa_system_vgpr_workitem_id 0
		.amdhsa_next_free_vgpr 120
		.amdhsa_next_free_sgpr 63
		.amdhsa_accum_offset 112
		.amdhsa_reserve_vcc 1
		.amdhsa_float_round_mode_32 0
		.amdhsa_float_round_mode_16_64 0
		.amdhsa_float_denorm_mode_32 3
		.amdhsa_float_denorm_mode_16_64 3
		.amdhsa_dx10_clamp 1
		.amdhsa_ieee_mode 1
		.amdhsa_fp16_overflow 0
		.amdhsa_tg_split 0
		.amdhsa_exception_fp_ieee_invalid_op 0
		.amdhsa_exception_fp_denorm_src 0
		.amdhsa_exception_fp_ieee_div_zero 0
		.amdhsa_exception_fp_ieee_overflow 0
		.amdhsa_exception_fp_ieee_underflow 0
		.amdhsa_exception_fp_ieee_inexact 0
		.amdhsa_exception_int_div_zero 0
	.end_amdhsa_kernel
	.section	.text._ZN12_GLOBAL__N_139chunk_gated_delta_rule_fwd_h_hip_kernelILi16ELb1ELb1ELb0ELb1ELb0ELb0ELb0ELb1EEEvPK12hip_bfloat16S3_S3_PKfS5_PKvPS1_S8_PvPKiSB_iiiiilll,"axG",@progbits,_ZN12_GLOBAL__N_139chunk_gated_delta_rule_fwd_h_hip_kernelILi16ELb1ELb1ELb0ELb1ELb0ELb0ELb0ELb1EEEvPK12hip_bfloat16S3_S3_PKfS5_PKvPS1_S8_PvPKiSB_iiiiilll,comdat
.Lfunc_end626:
	.size	_ZN12_GLOBAL__N_139chunk_gated_delta_rule_fwd_h_hip_kernelILi16ELb1ELb1ELb0ELb1ELb0ELb0ELb0ELb1EEEvPK12hip_bfloat16S3_S3_PKfS5_PKvPS1_S8_PvPKiSB_iiiiilll, .Lfunc_end626-_ZN12_GLOBAL__N_139chunk_gated_delta_rule_fwd_h_hip_kernelILi16ELb1ELb1ELb0ELb1ELb0ELb0ELb0ELb1EEEvPK12hip_bfloat16S3_S3_PKfS5_PKvPS1_S8_PvPKiSB_iiiiilll
                                        ; -- End function
	.section	.AMDGPU.csdata,"",@progbits
; Kernel info:
; codeLenInByte = 7752
; NumSgprs: 69
; NumVgprs: 110
; NumAgprs: 8
; TotalNumVgprs: 120
; ScratchSize: 0
; MemoryBound: 0
; FloatMode: 240
; IeeeMode: 1
; LDSByteSize: 40960 bytes/workgroup (compile time only)
; SGPRBlocks: 8
; VGPRBlocks: 14
; NumSGPRsForWavesPerEU: 69
; NumVGPRsForWavesPerEU: 120
; AccumOffset: 112
; Occupancy: 1
; WaveLimiterHint : 1
; COMPUTE_PGM_RSRC2:SCRATCH_EN: 0
; COMPUTE_PGM_RSRC2:USER_SGPR: 2
; COMPUTE_PGM_RSRC2:TRAP_HANDLER: 0
; COMPUTE_PGM_RSRC2:TGID_X_EN: 1
; COMPUTE_PGM_RSRC2:TGID_Y_EN: 1
; COMPUTE_PGM_RSRC2:TGID_Z_EN: 0
; COMPUTE_PGM_RSRC2:TIDIG_COMP_CNT: 0
; COMPUTE_PGM_RSRC3_GFX90A:ACCUM_OFFSET: 27
; COMPUTE_PGM_RSRC3_GFX90A:TG_SPLIT: 0
	.section	.text._ZN12_GLOBAL__N_139chunk_gated_delta_rule_fwd_h_hip_kernelILi16ELb1ELb0ELb1ELb1ELb0ELb0ELb0ELb1EEEvPK12hip_bfloat16S3_S3_PKfS5_PKvPS1_S8_PvPKiSB_iiiiilll,"axG",@progbits,_ZN12_GLOBAL__N_139chunk_gated_delta_rule_fwd_h_hip_kernelILi16ELb1ELb0ELb1ELb1ELb0ELb0ELb0ELb1EEEvPK12hip_bfloat16S3_S3_PKfS5_PKvPS1_S8_PvPKiSB_iiiiilll,comdat
	.globl	_ZN12_GLOBAL__N_139chunk_gated_delta_rule_fwd_h_hip_kernelILi16ELb1ELb0ELb1ELb1ELb0ELb0ELb0ELb1EEEvPK12hip_bfloat16S3_S3_PKfS5_PKvPS1_S8_PvPKiSB_iiiiilll ; -- Begin function _ZN12_GLOBAL__N_139chunk_gated_delta_rule_fwd_h_hip_kernelILi16ELb1ELb0ELb1ELb1ELb0ELb0ELb0ELb1EEEvPK12hip_bfloat16S3_S3_PKfS5_PKvPS1_S8_PvPKiSB_iiiiilll
	.p2align	8
	.type	_ZN12_GLOBAL__N_139chunk_gated_delta_rule_fwd_h_hip_kernelILi16ELb1ELb0ELb1ELb1ELb0ELb0ELb0ELb1EEEvPK12hip_bfloat16S3_S3_PKfS5_PKvPS1_S8_PvPKiSB_iiiiilll,@function
_ZN12_GLOBAL__N_139chunk_gated_delta_rule_fwd_h_hip_kernelILi16ELb1ELb0ELb1ELb1ELb0ELb0ELb0ELb1EEEvPK12hip_bfloat16S3_S3_PKfS5_PKvPS1_S8_PvPKiSB_iiiiilll: ; @_ZN12_GLOBAL__N_139chunk_gated_delta_rule_fwd_h_hip_kernelILi16ELb1ELb0ELb1ELb1ELb0ELb0ELb0ELb1EEEvPK12hip_bfloat16S3_S3_PKfS5_PKvPS1_S8_PvPKiSB_iiiiilll
; %bb.0:
	s_load_dwordx4 s[12:15], s[0:1], 0x5c
	s_load_dwordx4 s[4:7], s[0:1], 0x48
	s_abs_i32 s9, s3
	s_ashr_i32 s8, s3, 31
	v_and_b32_e32 v45, 15, v0
	s_waitcnt lgkmcnt(0)
	s_abs_i32 s10, s13
	v_cvt_f32_u32_e32 v1, s10
	s_sub_i32 s16, 0, s10
	s_ashr_i32 s11, s13, 31
	s_xor_b32 s8, s8, s11
	v_rcp_iflag_f32_e32 v1, v1
	v_lshrrev_b32_e32 v43, 6, v0
	v_bfe_u32 v44, v0, 4, 2
	v_mov_b32_e32 v5, 0
	v_mul_f32_e32 v1, 0x4f7ffffe, v1
	v_cvt_u32_f32_e32 v1, v1
	v_and_b32_e32 v42, 63, v0
	v_lshlrev_b32_e32 v46, 3, v0
	v_lshrrev_b32_e32 v47, 3, v42
	v_readfirstlane_b32 s17, v1
	s_mul_i32 s16, s16, s17
	s_mul_hi_u32 s16, s17, s16
	s_add_i32 s17, s17, s16
	s_mul_hi_u32 s16, s9, s17
	s_mul_i32 s17, s16, s10
	s_sub_i32 s9, s9, s17
	s_add_i32 s18, s16, 1
	s_sub_i32 s17, s9, s10
	s_cmp_ge_u32 s9, s10
	s_cselect_b32 s16, s18, s16
	s_cselect_b32 s9, s17, s9
	s_add_i32 s17, s16, 1
	s_cmp_ge_u32 s9, s10
	s_cselect_b32 s9, s17, s16
	s_xor_b32 s9, s9, s8
	s_sub_i32 s20, s9, s8
	s_mul_i32 s24, s20, s13
	s_ashr_i32 s21, s20, 31
	s_sub_i32 s47, s3, s24
	s_lshl_b64 s[8:9], s[20:21], 2
	s_add_u32 s4, s4, s8
	s_addc_u32 s5, s5, s9
	s_add_u32 s22, s6, s8
	s_addc_u32 s23, s7, s9
	s_abs_i32 s3, s14
	v_cvt_f32_u32_e32 v1, s3
	s_load_dwordx2 s[34:35], s[4:5], 0x0
	s_sub_i32 s5, 0, s3
	s_lshl_b32 s2, s2, 4
	v_rcp_iflag_f32_e32 v1, v1
	s_load_dwordx4 s[16:19], s[0:1], 0x28
	s_load_dwordx2 s[28:29], s[0:1], 0x38
	s_waitcnt lgkmcnt(0)
	s_sub_i32 s50, s35, s34
	s_ashr_i32 s4, s50, 31
	v_mul_f32_e32 v1, 0x4f7ffffe, v1
	v_cvt_u32_f32_e32 v1, v1
	s_lshr_b32 s4, s4, 26
	s_add_i32 s4, s50, s4
	s_ashr_i32 s48, s4, 6
	v_readfirstlane_b32 s6, v1
	s_mul_i32 s5, s5, s6
	s_mul_hi_u32 s5, s6, s5
	s_add_i32 s6, s6, s5
	s_mul_hi_u32 s5, s10, s6
	s_mul_i32 s6, s5, s3
	s_ashr_i32 s4, s14, 31
	s_sub_i32 s6, s10, s6
	s_xor_b32 s4, s11, s4
	s_add_i32 s7, s5, 1
	s_sub_i32 s8, s6, s3
	s_cmp_ge_u32 s6, s3
	s_cselect_b32 s5, s7, s5
	s_cselect_b32 s6, s8, s6
	s_add_i32 s7, s5, 1
	s_cmp_ge_u32 s6, s3
	s_cselect_b32 s3, s7, s5
	s_xor_b32 s3, s3, s4
	s_sub_i32 s3, s3, s4
	s_abs_i32 s4, s3
	v_cvt_f32_u32_e32 v1, s4
	s_sub_i32 s6, 0, s4
	s_abs_i32 s5, s47
	s_xor_b32 s3, s47, s3
	v_rcp_iflag_f32_e32 v1, v1
	s_ashr_i32 s3, s3, 31
	v_or_b32_e32 v34, s2, v45
	v_lshlrev_b32_e32 v2, 7, v34
	v_mul_f32_e32 v1, 0x4f7ffffe, v1
	v_cvt_u32_f32_e32 v1, v1
	v_ashrrev_i32_e32 v3, 31, v2
	s_mul_hi_i32 s52, s47, s12
	s_mul_i32 s53, s47, s12
	v_readfirstlane_b32 s7, v1
	s_mul_i32 s6, s6, s7
	s_mul_hi_u32 s6, s7, s6
	s_add_i32 s7, s7, s6
	s_mul_hi_u32 s6, s5, s7
	s_mul_i32 s7, s6, s4
	s_sub_i32 s5, s5, s7
	s_add_i32 s7, s6, 1
	s_sub_i32 s8, s5, s4
	s_cmp_ge_u32 s5, s4
	s_cselect_b32 s6, s7, s6
	s_cselect_b32 s5, s8, s5
	s_add_i32 s7, s6, 1
	s_cmp_ge_u32 s5, s4
	s_cselect_b32 s4, s7, s6
	s_xor_b32 s4, s4, s3
	s_sub_i32 s51, s4, s3
	s_ashr_i32 s49, s47, 31
	s_mul_hi_i32 s3, s20, s13
	s_add_u32 s4, s24, s47
	s_addc_u32 s5, s3, s49
	s_lshl_b64 s[4:5], s[4:5], 15
	v_lshlrev_b32_e32 v1, 4, v43
	s_add_u32 s4, s16, s4
	v_lshl_or_b32 v48, v44, 2, v1
	s_addc_u32 s5, s17, s5
	v_lshl_add_u64 v[2:3], v[2:3], 1, s[4:5]
	v_lshlrev_b32_e32 v4, 1, v48
	v_lshl_add_u64 v[2:3], v[2:3], 0, v[4:5]
	global_load_dwordx2 v[4:5], v[2:3], off
	global_load_dwordx2 v[6:7], v[2:3], off offset:128
	s_load_dwordx8 s[4:11], s[0:1], 0x0
	s_load_dwordx2 s[30:31], s[0:1], 0x80
	s_load_dwordx4 s[24:27], s[0:1], 0x70
	s_load_dword s54, s[22:23], 0x0
	v_or_b32_e32 v49, 64, v48
	s_cmp_lt_i32 s50, 64
	s_waitcnt lgkmcnt(0)
	s_mul_i32 s33, s20, s25
	s_mul_hi_u32 s42, s20, s24
	s_mul_i32 s38, s20, s24
	s_mul_i32 s43, s21, s24
	;; [unrolled: 1-line block ×3, first 2 shown]
	s_mul_hi_u32 s45, s47, s26
	s_mul_i32 s46, s49, s26
	s_mul_i32 s36, s47, s26
	s_waitcnt vmcnt(1)
	v_and_b32_e32 v50, 0xffff0000, v4
	v_lshlrev_b32_e32 v52, 16, v4
	v_and_b32_e32 v56, 0xffff0000, v5
	v_lshlrev_b32_e32 v54, 16, v5
	s_waitcnt vmcnt(0)
	v_and_b32_e32 v51, 0xffff0000, v6
	v_lshlrev_b32_e32 v53, 16, v6
	v_and_b32_e32 v57, 0xffff0000, v7
	v_lshlrev_b32_e32 v55, 16, v7
	s_cbranch_scc1 .LBB627_3
; %bb.1:
	s_ashr_i32 s1, s34, 31
	s_add_u32 s0, s53, s34
	s_addc_u32 s1, s52, s1
	s_lshl_b64 s[0:1], s[0:1], 8
	v_and_b32_e32 v59, 56, v46
	s_add_u32 s20, s6, s0
	v_lshl_or_b32 v58, v43, 3, v47
	v_lshlrev_b32_e32 v2, 1, v59
	s_addc_u32 s0, s7, s1
	v_lshl_or_b32 v60, v58, 8, v2
	s_and_b32 s21, s0, 0xffff
	s_mov_b32 s23, 0x20000
	s_movk_i32 s22, 0x4000
	s_movk_i32 s0, 0x80
	v_or_b32_e32 v61, 0x2000, v60
	buffer_load_dwordx4 v[4:7], v60, s[20:23], 0 offen
	buffer_load_dwordx4 v[8:11], v60, s[20:23], s0 offen
	;; [unrolled: 1-line block ×4, first 2 shown]
	v_lshlrev_b32_e32 v3, 3, v58
	v_and_or_b32 v21, v0, 7, v3
	v_and_b32_e32 v3, 0x78, v3
	v_lshlrev_b32_e32 v21, 4, v21
	v_xor_b32_e32 v62, v21, v3
	v_mul_lo_u32 v20, v58, s15
	v_or_b32_e32 v63, 0x1000, v62
	v_xor_b32_e32 v3, 8, v62
	s_cmpk_eq_i32 s15, 0x80
	s_mov_b32 s55, s34
	v_xor_b32_e32 v21, 8, v63
	s_cselect_b64 s[0:1], -1, 0
	s_cmpk_lg_i32 s15, 0x80
	s_waitcnt vmcnt(3)
	ds_write_b64 v62, v[4:5] offset:16384
	ds_write_b64 v3, v[6:7] offset:16384
	s_waitcnt vmcnt(2)
	ds_write_b64 v62, v[8:9] offset:24576
	ds_write_b64 v3, v[10:11] offset:24576
	;; [unrolled: 3-line block ×4, first 2 shown]
	v_lshl_add_u32 v3, v20, 1, v59
	s_cbranch_scc0 .LBB627_29
; %bb.2:
	v_lshlrev_b32_e32 v5, 1, v3
	v_add_lshl_u32 v4, v3, s15, 1
	s_lshl_b32 s22, s15, 7
	v_lshl_or_b32 v2, v58, 9, v2
	s_cbranch_execz .LBB627_30
	s_branch .LBB627_31
.LBB627_3:
	v_mov_b32_e32 v2, v57
	v_mov_b32_e32 v3, v56
.LBB627_4:
	s_lshl_b32 s26, s48, 6
	s_sub_i32 s27, s50, s26
	s_cmp_gt_i32 s27, 0
	s_cbranch_scc0 .LBB627_76
; %bb.5:
	s_add_i32 s26, s26, s34
	s_ashr_i32 s3, s26, 31
	s_cmpk_lg_i32 s15, 0x80
	s_cselect_b64 s[22:23], -1, 0
	s_and_b64 vcc, exec, s[22:23]
	s_cbranch_vccz .LBB627_7
; %bb.6:
	s_mul_hi_i32 s0, s26, s14
	s_mul_i32 s1, s26, s14
	s_ashr_i32 s14, s51, 31
	s_add_u32 s24, s1, s51
	s_addc_u32 s25, s0, s14
	s_cbranch_execz .LBB627_8
	s_branch .LBB627_9
.LBB627_7:
                                        ; implicit-def: $sgpr24_sgpr25
.LBB627_8:
	s_mul_i32 s1, s51, s12
	s_mul_hi_i32 s0, s51, s12
	s_add_u32 s24, s1, s26
	s_addc_u32 s25, s0, s3
.LBB627_9:
	s_add_i32 s12, s48, s54
	s_add_u32 s0, s53, s26
	s_addc_u32 s1, s52, s3
	s_mov_b32 s3, 0x7060302
	v_lshlrev_b32_e32 v6, 3, v45
	v_perm_b32 v5, v3, v54, s3
	v_perm_b32 v4, v50, v52, s3
	;; [unrolled: 1-line block ×4, first 2 shown]
	v_lshlrev_b32_e32 v36, 2, v45
	v_lshl_or_b32 v6, v48, 5, v6
	s_lshl_b64 s[20:21], s[0:1], 8
	ds_write2st64_b64 v6, v[4:5], v[2:3] offset0:72 offset1:76
	v_xor_b32_e32 v6, v48, v36
	v_lshlrev_b32_e32 v7, 8, v45
	s_add_u32 s0, s6, s20
	v_lshl_or_b32 v6, v6, 1, v7
	s_addc_u32 s1, s7, s21
	ds_write_b64 v6, v[4:5] offset:32768
	v_xor_b32_e32 v4, v49, v36
	s_mul_hi_i32 s3, s12, s13
	s_mul_i32 s12, s12, s13
	v_lshl_or_b32 v4, v4, 1, v7
	s_add_u32 s6, s12, s47
	ds_write_b64 v4, v[2:3] offset:32768
	s_addc_u32 s7, s3, s49
	v_lshlrev_b32_e32 v3, 1, v45
	v_lshrrev_b32_e32 v2, 4, v0
	s_ashr_i32 s3, s2, 31
	s_lshl_b64 s[6:7], s[6:7], 15
	v_or_b32_e32 v4, 1, v3
	s_add_u32 s6, s18, s6
	v_xor_b32_e32 v3, v2, v3
	v_xor_b32_e32 v4, v4, v2
	v_lshlrev_b32_e32 v6, 8, v2
	s_addc_u32 s7, s19, s7
	s_lshl_b64 s[2:3], s[2:3], 8
	v_lshl_or_b32 v2, v3, 3, v6
	v_lshl_or_b32 v4, v4, 3, v6
	s_waitcnt lgkmcnt(0)
	s_barrier
	s_add_u32 s2, s6, s2
	ds_read_b64 v[2:3], v2 offset:32768
	ds_read_b64 v[4:5], v4 offset:32768
	s_addc_u32 s3, s7, s3
	v_mov_b32_e32 v7, 0
	s_cmp_lg_u32 s27, 64
	v_lshl_add_u64 v[8:9], s[2:3], 0, v[6:7]
	v_lshlrev_b32_e32 v6, 4, v45
	s_cselect_b64 s[6:7], -1, 0
	v_lshl_or_b32 v35, v43, 3, v47
	s_mov_b32 s16, 0
	v_lshl_add_u64 v[6:7], v[8:9], 0, v[6:7]
	s_waitcnt vmcnt(1)
	v_or_b32_e32 v19, 32, v35
	v_and_b32_e32 v18, 56, v46
	s_and_b64 vcc, exec, s[6:7]
	s_waitcnt lgkmcnt(0)
	global_store_dwordx4 v[6:7], v[2:5], off
	s_cbranch_vccz .LBB627_15
; %bb.10:
	s_mov_b32 s17, s16
	s_mov_b32 s18, s16
	;; [unrolled: 1-line block ×3, first 2 shown]
	v_mov_b64_e32 v[6:7], s[16:17]
	v_mov_b64_e32 v[8:9], s[18:19]
	;; [unrolled: 1-line block ×3, first 2 shown]
	v_cmp_gt_i32_e32 vcc, s27, v35
	v_mov_b64_e32 v[4:5], v[8:9]
	s_and_saveexec_b64 s[2:3], vcc
	s_cbranch_execz .LBB627_12
; %bb.11:
	v_lshlrev_b32_e32 v2, 8, v35
	v_mov_b32_e32 v3, 0
	v_lshl_add_u64 v[4:5], s[0:1], 0, v[2:3]
	v_lshlrev_b32_e32 v2, 1, v18
	v_lshl_add_u64 v[10:11], v[4:5], 0, v[2:3]
	global_load_dwordx4 v[6:9], v[10:11], off
	global_load_dwordx4 v[2:5], v[10:11], off offset:128
.LBB627_12:
	s_or_b64 exec, exec, s[2:3]
	s_mov_b32 s17, s16
	s_mov_b32 s18, s16
	;; [unrolled: 1-line block ×3, first 2 shown]
	v_mov_b64_e32 v[14:15], s[16:17]
	v_mov_b64_e32 v[16:17], s[18:19]
	v_mov_b64_e32 v[10:11], v[14:15]
	v_cmp_gt_i32_e32 vcc, s27, v19
	v_lshlrev_b32_e32 v20, 7, v19
	v_mov_b64_e32 v[12:13], v[16:17]
	s_and_saveexec_b64 s[2:3], vcc
	s_cbranch_execz .LBB627_14
; %bb.13:
	v_lshlrev_b32_e32 v10, 1, v20
	v_mov_b32_e32 v11, 0
	v_lshl_add_u64 v[12:13], s[0:1], 0, v[10:11]
	v_lshlrev_b32_e32 v10, 1, v18
	v_lshl_add_u64 v[22:23], v[12:13], 0, v[10:11]
	global_load_dwordx4 v[14:17], v[22:23], off
	global_load_dwordx4 v[10:13], v[22:23], off offset:128
.LBB627_14:
	s_or_b64 exec, exec, s[2:3]
	v_lshrrev_b32_e32 v21, 3, v18
	v_lshlrev_b32_e32 v22, 3, v35
	v_or_b32_e32 v21, v22, v21
	v_lshlrev_b32_e32 v21, 4, v21
	v_and_b32_e32 v22, 0x78, v22
	v_xor_b32_e32 v21, v21, v22
	s_branch .LBB627_17
.LBB627_15:
                                        ; implicit-def: $vgpr21
                                        ; implicit-def: $vgpr20
                                        ; implicit-def: $vgpr6_vgpr7_vgpr8_vgpr9
                                        ; implicit-def: $vgpr2_vgpr3_vgpr4_vgpr5
                                        ; implicit-def: $vgpr14_vgpr15_vgpr16_vgpr17
                                        ; implicit-def: $vgpr10_vgpr11_vgpr12_vgpr13
	s_cbranch_execz .LBB627_17
; %bb.16:
	s_waitcnt vmcnt(0)
	v_lshlrev_b32_e32 v2, 1, v18
	v_lshl_or_b32 v20, v35, 8, v2
	s_and_b32 s1, s1, 0xffff
	s_mov_b32 s3, 0x20000
	s_movk_i32 s2, 0x4000
	v_lshl_or_b32 v21, v19, 8, v2
	s_movk_i32 s12, 0x80
	buffer_load_dwordx4 v[6:9], v20, s[0:3], 0 offen
	buffer_load_dwordx4 v[2:5], v20, s[0:3], s12 offen
	buffer_load_dwordx4 v[14:17], v21, s[0:3], 0 offen
	buffer_load_dwordx4 v[10:13], v21, s[0:3], s12 offen
	v_lshrrev_b32_e32 v20, 3, v18
	v_lshlrev_b32_e32 v21, 3, v35
	v_or_b32_e32 v20, v21, v20
	v_lshlrev_b32_e32 v20, 4, v20
	v_and_b32_e32 v21, 0x78, v21
	v_xor_b32_e32 v21, v20, v21
	v_lshlrev_b32_e32 v20, 7, v19
.LBB627_17:
	s_lshl_b64 s[0:1], s[24:25], 8
	s_add_u32 s4, s4, s0
	s_movk_i32 s0, 0x1000
	v_and_or_b32 v19, v20, s0, v21
	s_waitcnt vmcnt(1)
	ds_write_b64 v21, v[6:7] offset:16384
	v_xor_b32_e32 v6, 8, v21
	ds_write_b64 v6, v[8:9] offset:16384
	s_waitcnt vmcnt(0)
	ds_write_b64 v21, v[2:3] offset:24576
	ds_write_b64 v6, v[4:5] offset:24576
	ds_write_b64 v19, v[14:15] offset:16384
	v_xor_b32_e32 v2, 8, v19
	ds_write_b64 v2, v[16:17] offset:16384
	ds_write_b64 v19, v[10:11] offset:24576
	;; [unrolled: 1-line block ×3, first 2 shown]
	v_or_b32_e32 v2, v1, v45
	v_lshlrev_b32_e32 v2, 3, v2
	v_lshrrev_b32_e32 v4, 5, v42
	s_movk_i32 s12, 0xf8
	v_and_or_b32 v4, v2, s12, v4
	v_lshlrev_b32_e32 v3, 11, v43
	v_lshlrev_b32_e32 v12, 4, v4
	v_and_b32_e32 v13, 0x78, v2
	v_and_b32_e32 v14, 0x1000, v3
	v_lshlrev_b32_e32 v3, 2, v0
	v_xor_b32_e32 v2, v12, v13
	v_lshrrev_b32_e32 v4, 1, v42
	v_and_b32_e32 v3, 60, v3
	v_or_b32_e32 v2, v2, v14
	v_and_b32_e32 v15, 8, v4
	v_xor_b32_e32 v26, v2, v15
	v_lshl_or_b32 v2, v44, 6, v3
	v_lshlrev_b32_e32 v19, 1, v2
	v_or_b32_e32 v2, 32, v12
	v_xor_b32_e32 v2, v2, v13
	s_waitcnt lgkmcnt(0)
	s_barrier
	ds_read_b64 v[10:11], v26 offset:16384
	v_or_b32_e32 v2, v2, v14
	v_xor_b32_e32 v27, v2, v15
	v_or_b32_e32 v2, 64, v12
	v_xor_b32_e32 v2, v2, v13
	v_or_b32_e32 v2, v2, v14
	v_or_b32_e32 v12, 0x60, v12
	v_xor_b32_e32 v28, v2, v15
	ds_read2st64_b64 v[2:5], v19 offset0:72 offset1:73
	ds_read2st64_b64 v[6:9], v19 offset0:74 offset1:75
	v_xor_b32_e32 v16, v12, v13
	ds_read_b64 v[12:13], v27 offset:16384
	s_addc_u32 s5, s5, s1
	s_add_i32 s1, s42, s33
	s_waitcnt lgkmcnt(2)
	v_mfma_f32_16x16x16_bf16 a[0:3], v[10:11], v[2:3], 0
	s_add_i32 s0, s35, -1
	s_add_i32 s39, s1, s43
	s_add_i32 s1, s45, s44
	s_add_i32 s37, s1, s46
	s_ashr_i32 s1, s0, 31
	s_mul_i32 s2, s0, s31
	s_mul_hi_u32 s3, s0, s30
	s_add_i32 s2, s3, s2
	s_mul_i32 s1, s1, s30
	v_or_b32_e32 v14, v16, v14
	s_add_i32 s1, s2, s1
	s_lshl_b64 s[2:3], s[38:39], 2
	v_xor_b32_e32 v37, v14, v15
	ds_read_b64 v[14:15], v28 offset:16384
	ds_read_b64 v[16:17], v37 offset:16384
	s_waitcnt lgkmcnt(2)
	v_mfma_f32_16x16x16_bf16 a[0:3], v[12:13], v[4:5], a[0:3]
	s_add_u32 s10, s10, s2
	s_addc_u32 s11, s11, s3
	s_lshl_b64 s[2:3], s[36:37], 2
	s_mul_i32 s0, s0, s30
	s_add_u32 s10, s10, s2
	s_addc_u32 s11, s11, s3
	s_lshl_b64 s[0:1], s[0:1], 2
	s_waitcnt lgkmcnt(1)
	v_mfma_f32_16x16x16_bf16 a[0:3], v[14:15], v[6:7], a[0:3]
	s_add_u32 s0, s10, s0
	s_addc_u32 s1, s11, s1
	s_load_dword s12, s[0:1], 0x0
	s_waitcnt lgkmcnt(0)
	v_mfma_f32_16x16x16_bf16 a[0:3], v[16:17], v[8:9], a[0:3]
	s_and_b64 vcc, exec, s[22:23]
	s_cbranch_vccz .LBB627_28
; %bb.18:
	v_lshlrev_b32_e32 v20, 1, v35
	s_and_b64 vcc, exec, s[6:7]
	s_cbranch_vccz .LBB627_44
; %bb.19:
	v_cmp_gt_i32_e32 vcc, s27, v20
	v_mov_b32_e32 v6, 0
	v_mov_b32_e32 v2, 0
	;; [unrolled: 1-line block ×5, first 2 shown]
	s_and_saveexec_b64 s[0:1], vcc
	s_cbranch_execz .LBB627_21
; %bb.20:
	v_mad_i64_i32 v[2:3], s[2:3], s15, v20, 0
	v_lshl_add_u64 v[2:3], v[2:3], 1, s[4:5]
	v_lshlrev_b32_e32 v4, 1, v18
	v_mov_b32_e32 v5, 0
	v_lshl_add_u64 v[2:3], v[2:3], 0, v[4:5]
	global_load_dwordx4 v[2:5], v[2:3], off
.LBB627_21:
	s_or_b64 exec, exec, s[0:1]
	v_or_b32_e32 v21, 1, v20
	v_cmp_gt_i32_e64 s[0:1], s27, v21
	v_mov_b32_e32 v7, 0
	v_mov_b32_e32 v8, 0
	;; [unrolled: 1-line block ×3, first 2 shown]
	s_and_saveexec_b64 s[2:3], s[0:1]
	s_cbranch_execz .LBB627_23
; %bb.22:
	v_mad_i64_i32 v[6:7], s[16:17], s15, v21, 0
	v_lshl_add_u64 v[6:7], v[6:7], 1, s[4:5]
	v_lshlrev_b32_e32 v8, 1, v18
	v_mov_b32_e32 v9, 0
	v_lshl_add_u64 v[6:7], v[6:7], 0, v[8:9]
	global_load_dwordx4 v[6:9], v[6:7], off
.LBB627_23:
	s_or_b64 exec, exec, s[2:3]
	v_mov_b32_e32 v17, 0
	v_mov_b32_e32 v10, 0
	;; [unrolled: 1-line block ×5, first 2 shown]
	s_and_saveexec_b64 s[2:3], vcc
	s_cbranch_execz .LBB627_25
; %bb.24:
	v_mad_i64_i32 v[10:11], s[16:17], s15, v20, 0
	v_lshl_add_u64 v[10:11], v[10:11], 1, s[4:5]
	v_lshlrev_b32_e32 v12, 1, v18
	v_mov_b32_e32 v13, 0
	v_lshl_add_u64 v[10:11], v[10:11], 0, v[12:13]
	global_load_dwordx4 v[10:13], v[10:11], off offset:128
.LBB627_25:
	s_or_b64 exec, exec, s[2:3]
	v_mov_b32_e32 v16, 0
	v_mov_b32_e32 v15, 0
	;; [unrolled: 1-line block ×3, first 2 shown]
	s_and_saveexec_b64 s[2:3], s[0:1]
	s_cbranch_execz .LBB627_27
; %bb.26:
	v_mad_i64_i32 v[14:15], s[0:1], s15, v21, 0
	v_lshl_add_u64 v[14:15], v[14:15], 1, s[4:5]
	v_lshlrev_b32_e32 v16, 1, v18
	v_mov_b32_e32 v17, 0
	v_lshl_add_u64 v[14:15], v[14:15], 0, v[16:17]
	global_load_dwordx4 v[14:17], v[14:15], off offset:128
.LBB627_27:
	s_or_b64 exec, exec, s[2:3]
	s_branch .LBB627_46
.LBB627_28:
                                        ; implicit-def: $vgpr5
                                        ; implicit-def: $vgpr9
                                        ; implicit-def: $vgpr13
                                        ; implicit-def: $vgpr17
	v_lshrrev_b32_e32 v38, 2, v42
	s_branch .LBB627_47
.LBB627_29:
                                        ; implicit-def: $vgpr4
                                        ; implicit-def: $vgpr5
                                        ; implicit-def: $sgpr22
	v_lshl_or_b32 v2, v58, 9, v2
.LBB627_30:
	v_or_b32_e32 v4, 0x100, v2
	s_movk_i32 s22, 0x4000
	v_mov_b32_e32 v5, v2
.LBB627_31:
	s_mul_i32 s16, s34, s14
	s_ashr_i32 s56, s51, 31
	s_mul_hi_i32 s3, s34, s14
	s_add_u32 s16, s16, s51
	s_addc_u32 s17, s3, s56
	s_lshl_b64 s[16:17], s[16:17], 8
	s_add_u32 s20, s4, s16
	s_addc_u32 s3, s5, s17
	s_and_b32 s21, s3, 0xffff
	s_movk_i32 s57, 0x80
	buffer_load_dwordx4 v[6:9], v5, s[20:23], 0 offen
	buffer_load_dwordx4 v[10:13], v5, s[20:23], s57 offen
	buffer_load_dwordx4 v[14:17], v4, s[20:23], 0 offen
	buffer_load_dwordx4 v[18:21], v4, s[20:23], s57 offen
	v_and_b32_e32 v4, 6, v0
	v_lshlrev_b32_e32 v22, 2, v45
	v_lshlrev_b32_e32 v23, 3, v45
	v_xor_b32_e32 v26, v58, v4
	v_and_b32_e32 v5, 1, v0
	v_lshl_or_b32 v23, v48, 5, v23
	v_xor_b32_e32 v27, v48, v22
	v_lshlrev_b32_e32 v26, 2, v26
	v_or_b32_e32 v64, 0x9000, v23
	v_or_b32_e32 v65, 0x9800, v23
	v_lshlrev_b32_e32 v23, 1, v27
	v_xor_b32_e32 v27, 0x440, v26
	v_cmp_eq_u32_e32 vcc, 0, v5
	s_add_i32 s3, s42, s33
	s_add_i32 s16, s45, s44
	v_cndmask_b32_e32 v5, v27, v26, vcc
	s_add_i32 s39, s3, s43
	v_lshl_or_b32 v4, v4, 10, v5
	s_add_i32 s37, s16, s46
	s_lshl_b64 s[16:17], s[38:39], 2
	s_mov_b32 s58, 0x1000504
	v_lshlrev_b32_e32 v24, 8, v45
	s_mov_b32 s22, 0x8000
	v_xor_b32_e32 v22, v49, v22
	v_xor_b32_e32 v5, 8, v4
	s_add_u32 s3, s10, s16
	s_mov_b32 s59, 0x3020706
	v_or_b32_e32 v25, v1, v45
	v_lshlrev_b32_e32 v22, 1, v22
	v_or3_b32 v66, v23, v24, s22
	v_xor_b32_e32 v23, 24, v4
	v_xor_b32_e32 v26, 40, v4
	;; [unrolled: 1-line block ×3, first 2 shown]
	v_add_u32_e32 v5, 0x80, v5
	s_addc_u32 s20, s11, s17
	s_lshl_b64 s[16:17], s[36:37], 2
	v_lshlrev_b32_e32 v25, 3, v25
	v_or3_b32 v67, v22, v24, s22
	v_xor_b32_e32 v22, 16, v4
	v_xor_b32_e32 v24, 32, v4
	;; [unrolled: 1-line block ×3, first 2 shown]
	v_add_u32_e32 v23, 0x80, v23
	v_add_u32_e32 v26, 0x80, v26
	;; [unrolled: 1-line block ×3, first 2 shown]
	s_add_u32 s16, s3, s16
	s_movk_i32 s3, 0xf8
	s_addc_u32 s17, s20, s17
	v_ashrrev_i32_e32 v35, 31, v34
	s_lshl_b32 s26, s15, 7
	s_mov_b32 s60, 0
	v_mov_b32_e32 v81, 0x3fb8aa3b
	s_waitcnt vmcnt(1)
	v_perm_b32 v29, v6, v14, s58
	s_waitcnt vmcnt(0)
	v_perm_b32 v30, v10, v18, s58
	v_perm_b32 v6, v6, v14, s59
	;; [unrolled: 1-line block ×15, first 2 shown]
	ds_write2st64_b32 v4, v29, v30 offset1:32
	ds_write2st64_b32 v5, v6, v10 offset1:32
	ds_write2st64_b32 v22, v14, v18 offset0:1 offset1:33
	ds_write2st64_b32 v23, v7, v11 offset0:1 offset1:33
	;; [unrolled: 1-line block ×6, first 2 shown]
	v_lshrrev_b32_e32 v5, 5, v42
	v_and_or_b32 v5, v25, s3, v5
	v_lshlrev_b32_e32 v5, 4, v5
	v_lshlrev_b32_e32 v12, 11, v43
	v_and_b32_e32 v6, 0x78, v25
	v_or_b32_e32 v9, 32, v5
	v_and_b32_e32 v4, 0x1000, v12
	v_lshrrev_b32_e32 v13, 1, v0
	v_xor_b32_e32 v9, v9, v6
	v_and_b32_e32 v8, 8, v13
	v_or_b32_e32 v9, v9, v4
	v_xor_b32_e32 v7, v5, v6
	v_xor_b32_e32 v70, v9, v8
	v_or_b32_e32 v9, 64, v5
	v_or_b32_e32 v5, 0x60, v5
	v_xor_b32_e32 v9, v9, v6
	v_xor_b32_e32 v5, v5, v6
	v_or_b32_e32 v7, v7, v4
	v_or_b32_e32 v9, v9, v4
	;; [unrolled: 1-line block ×3, first 2 shown]
	v_xor_b32_e32 v68, v7, v8
	v_xor_b32_e32 v71, v9, v8
	;; [unrolled: 1-line block ×3, first 2 shown]
	v_lshrrev_b32_e32 v8, 4, v0
	v_lshlrev_b32_e32 v9, 1, v45
	s_ashr_i32 s3, s2, 31
	v_or_b32_e32 v10, 1, v9
	v_xor_b32_e32 v9, v8, v9
	s_lshl_b64 s[20:21], s[2:3], 8
	v_xor_b32_e32 v10, v10, v8
	v_lshlrev_b32_e32 v9, 3, v9
	v_lshlrev_b32_e32 v8, 8, v8
	v_lshlrev_b64 v[4:5], 1, v[34:35]
	s_add_u32 s20, s18, s20
	v_or3_b32 v35, v9, v8, s22
	v_lshlrev_b32_e32 v9, 3, v10
	s_addc_u32 s21, s19, s21
	v_or3_b32 v74, v9, v8, s22
	v_mov_b32_e32 v9, 0
	v_lshl_add_u64 v[10:11], s[20:21], 0, v[8:9]
	v_lshlrev_b32_e32 v8, 4, v45
	s_movk_i32 s3, 0xff
	v_lshlrev_b32_e32 v17, 3, v43
	v_and_b32_e32 v13, 24, v13
	v_lshl_add_u64 v[36:37], v[10:11], 0, v[8:9]
	v_and_b32_e32 v10, 8, v0
	v_cmp_lt_u32_e32 vcc, s3, v0
	v_xor_b32_e32 v18, v17, v13
	v_or_b32_e32 v19, 0x440, v18
	v_cndmask_b32_e64 v16, 0, 1, vcc
	v_cmp_eq_u32_e32 vcc, 0, v10
	v_and_b32_e32 v8, 7, v0
	v_lshlrev_b32_e32 v11, 3, v8
	v_cndmask_b32_e32 v10, v19, v18, vcc
	v_lshlrev_b32_e32 v8, 7, v8
	v_or_b32_e32 v10, v10, v12
	v_xad_u32 v75, v10, v11, v8
	v_or_b32_e32 v10, 32, v13
	v_xor_b32_e32 v10, v17, v10
	v_or_b32_e32 v18, 0x440, v10
	v_cndmask_b32_e32 v10, v18, v10, vcc
	v_or_b32_e32 v10, v10, v12
	v_xad_u32 v76, v10, v11, v8
	v_or_b32_e32 v10, 64, v13
	v_xor_b32_e32 v10, v17, v10
	v_xor_b32_e32 v18, 0x440, v10
	v_cndmask_b32_e32 v10, v18, v10, vcc
	v_or_b32_e32 v10, v10, v12
	v_xad_u32 v77, v10, v11, v8
	v_or_b32_e32 v10, 0x60, v13
	v_xor_b32_e32 v10, v17, v10
	v_xor_b32_e32 v13, 0x440, v10
	v_and_b32_e32 v7, 0x78, v46
	v_cndmask_b32_e32 v10, v13, v10, vcc
	v_lshl_or_b32 v7, v44, 7, v7
	v_or_b32_e32 v10, v10, v12
	v_or_b32_e32 v69, 0x9000, v7
	;; [unrolled: 1-line block ×3, first 2 shown]
	v_lshl_add_u64 v[6:7], s[8:9], 0, v[4:5]
	v_lshl_add_u64 v[4:5], s[28:29], 0, v[4:5]
	v_lshlrev_b32_e32 v14, 1, v3
	v_add_lshl_u32 v3, v3, s15, 1
	v_or_b32_e32 v15, 0x100, v2
	v_lshlrev_b32_e32 v16, 13, v16
	v_xad_u32 v78, v10, v11, v8
	v_lshlrev_b32_e32 v8, 8, v48
	v_cndmask_b32_e64 v79, v14, v2, s[0:1]
	v_cndmask_b32_e64 v80, v3, v15, s[0:1]
	v_lshl_add_u64 v[38:39], v[6:7], 0, v[8:9]
	v_lshl_add_u64 v[40:41], v[4:5], 0, v[8:9]
	s_mov_b32 s3, 0x7060302
	s_movk_i32 s22, 0x4000
	v_add_u32_e32 v82, v16, v75
	v_add_u32_e32 v83, v16, v76
	;; [unrolled: 1-line block ×4, first 2 shown]
	s_waitcnt lgkmcnt(0)
	s_barrier
.LBB627_32:                             ; =>This Inner Loop Header: Depth=1
	s_add_i32 s37, s60, 1
	s_cmp_lt_i32 s37, s48
	s_mov_b64 s[24:25], 0
	s_cselect_b64 s[40:41], -1, 0
	s_cmp_ge_i32 s37, s48
	s_mov_b64 s[20:21], 0
	s_cbranch_scc1 .LBB627_34
; %bb.33:                               ;   in Loop: Header=BB627_32 Depth=1
	s_add_i32 s0, s55, 64
	s_ashr_i32 s1, s0, 31
	s_add_u32 s0, s53, s0
	s_addc_u32 s1, s52, s1
	s_lshl_b64 s[0:1], s[0:1], 8
	s_add_u32 s20, s6, s0
	s_addc_u32 s21, s7, s1
.LBB627_34:                             ;   in Loop: Header=BB627_32 Depth=1
	v_cndmask_b32_e64 v2, 0, 1, s[40:41]
	v_cmp_ne_u32_e64 s[0:1], 1, v2
	s_andn2_b64 vcc, exec, s[40:41]
	s_cbranch_vccnz .LBB627_36
; %bb.35:                               ;   in Loop: Header=BB627_32 Depth=1
	s_add_i32 s24, s55, 64
	s_mul_hi_i32 s25, s24, s14
	s_mul_i32 s24, s24, s14
	s_add_u32 s24, s24, s51
	s_addc_u32 s25, s25, s56
	s_lshl_b64 s[24:25], s[24:25], 8
	s_add_u32 s24, s4, s24
	s_addc_u32 s25, s5, s25
.LBB627_36:                             ;   in Loop: Header=BB627_32 Depth=1
	v_perm_b32 v3, v56, v54, s3
	v_perm_b32 v2, v50, v52, s3
	;; [unrolled: 1-line block ×4, first 2 shown]
	ds_write_b64 v64, v[2:3]
	ds_write_b64 v65, v[4:5]
	;; [unrolled: 1-line block ×4, first 2 shown]
	s_waitcnt lgkmcnt(0)
	s_barrier
	ds_read_b64 v[10:11], v68 offset:16384
	ds_read_b64 v[12:13], v70 offset:16384
	ds_read2st64_b64 v[2:5], v69 offset1:1
	s_waitcnt lgkmcnt(0)
	v_mfma_f32_16x16x16_bf16 a[0:3], v[10:11], v[2:3], 0
	ds_read2st64_b64 v[6:9], v69 offset0:2 offset1:3
	ds_read_b64 v[14:15], v71 offset:16384
	ds_read_b64 v[2:3], v72 offset:16384
	s_add_i32 s27, s55, 63
	v_mfma_f32_16x16x16_bf16 a[0:3], v[12:13], v[4:5], a[0:3]
	s_ashr_i32 s39, s27, 31
	s_mul_i32 s40, s27, s31
	s_mul_hi_u32 s41, s27, s30
	s_waitcnt lgkmcnt(1)
	v_mfma_f32_16x16x16_bf16 a[0:3], v[14:15], v[6:7], a[0:3]
	s_add_i32 s40, s41, s40
	s_mul_i32 s39, s39, s30
	s_add_i32 s41, s40, s39
	s_mul_i32 s40, s27, s30
	s_waitcnt lgkmcnt(0)
	v_mfma_f32_16x16x16_bf16 a[0:3], v[2:3], v[8:9], a[0:3]
	s_lshl_b64 s[40:41], s[40:41], 2
	s_add_u32 s40, s16, s40
	s_addc_u32 s41, s17, s41
	s_and_b64 vcc, exec, s[0:1]
	v_mov_b32_e32 v88, 0
	v_mov_b32_e32 v87, 0
	v_mov_b32_e32 v86, 0
	v_mov_b32_e32 v2, 0
	v_mov_b32_e32 v3, 0
	v_mov_b32_e32 v4, 0
	v_mov_b32_e32 v5, 0
	v_mov_b32_e32 v6, 0
	v_mov_b32_e32 v7, 0
	v_mov_b32_e32 v8, 0
	v_mov_b32_e32 v9, 0
	v_mov_b32_e32 v10, 0
	v_mov_b32_e32 v11, 0
	v_mov_b32_e32 v12, 0
	v_mov_b32_e32 v13, 0
	v_mov_b32_e32 v14, 0
	v_mov_b32_e32 v15, 0
	v_mov_b32_e32 v16, 0
	v_mov_b32_e32 v17, 0
	s_cbranch_vccnz .LBB627_38
; %bb.37:                               ;   in Loop: Header=BB627_32 Depth=1
	s_and_b32 s21, s21, 0xffff
	buffer_load_dwordx4 v[14:17], v60, s[20:23], 0 offen
	buffer_load_dwordx4 v[10:13], v60, s[20:23], s57 offen
	;; [unrolled: 1-line block ×4, first 2 shown]
	v_mov_b32_e32 v87, v62
	v_mov_b32_e32 v86, v63
.LBB627_38:                             ;   in Loop: Header=BB627_32 Depth=1
	s_waitcnt vmcnt(3)
	v_add_u32_e32 v22, s55, v48
	s_waitcnt vmcnt(1)
	v_ashrrev_i32_e32 v18, 31, v22
	v_mul_lo_u32 v20, v18, s30
	v_mul_lo_u32 v21, v22, s31
	v_mad_u64_u32 v[18:19], s[20:21], v22, s30, 0
	v_add3_u32 v19, v19, v21, v20
	v_lshl_add_u64 v[18:19], v[18:19], 2, s[16:17]
	global_load_dword v90, v[18:19], off
	v_add_u32_e32 v18, 1, v22
	v_ashrrev_i32_e32 v19, 31, v18
	v_mul_lo_u32 v20, v19, s30
	v_mul_lo_u32 v21, v18, s31
	v_mad_u64_u32 v[18:19], s[20:21], v18, s30, 0
	v_add3_u32 v19, v19, v21, v20
	v_add_u32_e32 v20, 2, v22
	v_ashrrev_i32_e32 v21, 31, v20
	v_mul_lo_u32 v23, v21, s30
	v_mul_lo_u32 v24, v20, s31
	v_mad_u64_u32 v[20:21], s[20:21], v20, s30, 0
	v_add_u32_e32 v22, 3, v22
	v_add3_u32 v21, v21, v24, v23
	v_ashrrev_i32_e32 v23, 31, v22
	v_mul_lo_u32 v26, v23, s30
	v_mul_lo_u32 v27, v22, s31
	v_mad_u64_u32 v[22:23], s[20:21], v22, s30, 0
	s_ashr_i32 s21, s55, 31
	s_add_u32 s20, s53, s55
	s_addc_u32 s21, s52, s21
	s_lshl_b64 s[62:63], s[20:21], 8
	v_lshl_add_u64 v[18:19], v[18:19], 2, s[16:17]
	v_lshl_add_u64 v[24:25], v[38:39], 0, s[62:63]
	v_add3_u32 v23, v23, v27, v26
	v_lshl_add_u64 v[20:21], v[20:21], 2, s[16:17]
	global_load_ushort v91, v[24:25], off
	global_load_ushort v92, v[24:25], off offset:256
	global_load_ushort v93, v[24:25], off offset:512
	;; [unrolled: 1-line block ×3, first 2 shown]
	v_lshl_add_u64 v[22:23], v[22:23], 2, s[16:17]
	global_load_dword v95, v[18:19], off
	global_load_dword v96, v[20:21], off
	;; [unrolled: 1-line block ×3, first 2 shown]
	ds_read_b64 v[22:23], v68 offset:24576
	ds_read_b64 v[28:29], v70 offset:24576
	ds_read2st64_b64 v[18:21], v73 offset1:1
	s_waitcnt lgkmcnt(0)
	v_mfma_f32_16x16x16_bf16 a[0:3], v[22:23], v[18:19], a[0:3]
	s_load_dword s20, s[40:41], 0x0
	ds_read2st64_b64 v[24:27], v73 offset0:2 offset1:3
	ds_read_b64 v[30:31], v71 offset:24576
	ds_read_b64 v[32:33], v72 offset:24576
	v_mov_b32_e32 v89, 0
	v_mfma_f32_16x16x16_bf16 a[0:3], v[28:29], v[20:21], a[0:3]
	v_mov_b32_e32 v18, 0
	v_mov_b32_e32 v19, 0
	;; [unrolled: 1-line block ×3, first 2 shown]
	s_waitcnt lgkmcnt(0)
	v_mfma_f32_16x16x16_bf16 a[0:3], v[30:31], v[24:25], a[0:3]
	v_lshl_add_u64 v[24:25], v[40:41], 0, s[62:63]
	v_mov_b32_e32 v21, 0
	v_mov_b32_e32 v22, 0
	v_mfma_f32_16x16x16_bf16 a[0:3], v[32:33], v[26:27], a[0:3]
	v_mov_b32_e32 v23, 0
	s_and_b64 vcc, exec, s[0:1]
	s_waitcnt vmcnt(7)
	v_sub_f32_e32 v90, s20, v90
	s_nop 2
	v_accvgpr_read_b32 v29, a1
	v_accvgpr_read_b32 v27, a3
	;; [unrolled: 1-line block ×4, first 2 shown]
	v_mul_f32_e32 v90, 0x3fb8aa3b, v90
	s_waitcnt vmcnt(6)
	v_lshlrev_b32_e32 v30, 16, v91
	s_waitcnt vmcnt(5)
	v_lshlrev_b32_e32 v31, 16, v92
	;; [unrolled: 2-line block ×4, first 2 shown]
	s_waitcnt vmcnt(2)
	v_sub_f32_e32 v91, s20, v95
	s_waitcnt vmcnt(1)
	v_sub_f32_e32 v92, s20, v96
	;; [unrolled: 2-line block ×3, first 2 shown]
	v_pk_add_f32 v[28:29], v[30:31], v[28:29] neg_lo:[0,1] neg_hi:[0,1]
	v_pk_add_f32 v[26:27], v[32:33], v[26:27] neg_lo:[0,1] neg_hi:[0,1]
	v_mul_f32_e32 v31, 0x3fb8aa3b, v91
	v_mul_f32_e32 v32, 0x3fb8aa3b, v92
	;; [unrolled: 1-line block ×3, first 2 shown]
	v_exp_f32_e32 v30, v90
	v_exp_f32_e32 v31, v31
	;; [unrolled: 1-line block ×4, first 2 shown]
	global_store_short_d16_hi v[24:25], v28, off
	global_store_short_d16_hi v[24:25], v29, off offset:256
	global_store_short_d16_hi v[24:25], v26, off offset:512
	;; [unrolled: 1-line block ×3, first 2 shown]
	v_pk_mul_f32 v[24:25], v[30:31], v[28:29]
	v_pk_mul_f32 v[26:27], v[32:33], v[26:27]
	v_perm_b32 v24, v25, v24, s3
	v_perm_b32 v25, v27, v26, s3
	ds_write_b64 v65, v[24:25]
	v_mov_b32_e32 v24, 0
	v_mov_b32_e32 v25, 0
	;; [unrolled: 1-line block ×10, first 2 shown]
	s_cbranch_vccnz .LBB627_40
; %bb.39:                               ;   in Loop: Header=BB627_32 Depth=1
	s_and_b32 s25, s25, 0xffff
	s_mov_b32 s27, s23
	buffer_load_dwordx4 v[30:33], v79, s[24:27], 0 offen
	buffer_load_dwordx4 v[22:25], v79, s[24:27], s57 offen
	;; [unrolled: 1-line block ×4, first 2 shown]
	v_mov_b32_e32 v88, v59
	v_mov_b32_e32 v89, v58
.LBB627_40:                             ;   in Loop: Header=BB627_32 Depth=1
	s_waitcnt lgkmcnt(0)
	s_barrier
	ds_read_b64 v[98:99], v82
	ds_read2st64_b64 v[90:93], v73 offset1:1
	ds_read2st64_b64 v[94:97], v73 offset0:2 offset1:3
	ds_read_b64 v[100:101], v83
	ds_read_b64 v[102:103], v84
	;; [unrolled: 1-line block ×3, first 2 shown]
	s_waitcnt lgkmcnt(4)
	v_mfma_f32_16x16x16_bf16 a[0:3], v[98:99], v[90:91], 0
	ds_read_b64 v[98:99], v75 offset:8192
	ds_read_b64 v[106:107], v76 offset:8192
	s_add_i32 s21, s54, s60
	s_mul_hi_i32 s25, s21, s13
	s_waitcnt lgkmcnt(1)
	v_mfma_f32_16x16x16_bf16 a[4:7], v[98:99], v[90:91], 0
	s_mul_i32 s21, s21, s13
	s_add_u32 s24, s21, s47
	s_addc_u32 s25, s25, s49
	v_mfma_f32_16x16x16_bf16 a[0:3], v[100:101], v[92:93], a[0:3]
	ds_read_b64 v[98:99], v35
	ds_read_b64 v[100:101], v74
	ds_read_b64 v[90:91], v77 offset:8192
	s_lshl_b64 s[24:25], s[24:25], 15
	v_mfma_f32_16x16x16_bf16 a[0:3], v[102:103], v[94:95], a[0:3]
	ds_read_b64 v[102:103], v78 offset:8192
	s_and_b64 vcc, exec, s[0:1]
	s_waitcnt lgkmcnt(4)
	v_mfma_f32_16x16x16_bf16 a[4:7], v[106:107], v[92:93], a[4:7]
	s_waitcnt lgkmcnt(1)
	v_mfma_f32_16x16x16_bf16 a[4:7], v[90:91], v[94:95], a[4:7]
	v_lshl_add_u64 v[90:91], v[36:37], 0, s[24:25]
	global_store_dwordx4 v[90:91], v[98:101], off
	v_mfma_f32_16x16x16_bf16 a[0:3], v[104:105], v[96:97], a[0:3]
	s_waitcnt lgkmcnt(0)
	v_mfma_f32_16x16x16_bf16 a[4:7], v[102:103], v[96:97], a[4:7]
	s_cbranch_vccnz .LBB627_42
; %bb.41:                               ;   in Loop: Header=BB627_32 Depth=1
	v_lshrrev_b32_e32 v90, 3, v88
	v_and_b32_e32 v90, 6, v90
	v_xor_b32_e32 v89, v90, v89
	v_lshlrev_b32_e32 v89, 2, v89
	v_and_b32_e32 v88, 8, v88
	v_xor_b32_e32 v91, 0x440, v89
	v_cmp_eq_u32_e32 vcc, 0, v88
	s_barrier
	s_nop 0
	v_cndmask_b32_e32 v88, v91, v89, vcc
	v_lshl_or_b32 v88, v90, 10, v88
	s_waitcnt vmcnt(2)
	v_perm_b32 v89, v30, v26, s58
	s_waitcnt vmcnt(1)
	v_perm_b32 v90, v22, v18, s58
	ds_write2st64_b32 v88, v89, v90 offset1:32
	v_xor_b32_e32 v89, 8, v88
	v_perm_b32 v26, v30, v26, s59
	v_perm_b32 v18, v22, v18, s59
	v_add_u32_e32 v22, 0x80, v89
	ds_write2st64_b32 v22, v26, v18 offset1:32
	v_xor_b32_e32 v18, 16, v88
	v_perm_b32 v22, v31, v27, s58
	v_perm_b32 v26, v23, v19, s58
	ds_write2st64_b32 v18, v22, v26 offset0:1 offset1:33
	v_xor_b32_e32 v18, 24, v88
	v_perm_b32 v22, v31, v27, s59
	v_perm_b32 v19, v23, v19, s59
	v_add_u32_e32 v18, 0x80, v18
	ds_write2st64_b32 v18, v22, v19 offset0:1 offset1:33
	v_xor_b32_e32 v18, 32, v88
	v_perm_b32 v19, v32, v28, s58
	v_perm_b32 v22, v24, v20, s58
	ds_write2st64_b32 v18, v19, v22 offset0:2 offset1:34
	v_xor_b32_e32 v18, 40, v88
	v_perm_b32 v19, v32, v28, s59
	v_perm_b32 v20, v24, v20, s59
	v_add_u32_e32 v18, 0x80, v18
	ds_write2st64_b32 v18, v19, v20 offset0:2 offset1:34
	;; [unrolled: 9-line block ×3, first 2 shown]
	ds_write_b64 v87, v[14:15] offset:16384
	v_xor_b32_e32 v14, 8, v87
	ds_write_b64 v14, v[16:17] offset:16384
	ds_write_b64 v87, v[10:11] offset:24576
	ds_write_b64 v14, v[12:13] offset:24576
	ds_write_b64 v86, v[6:7] offset:16384
	v_xor_b32_e32 v6, 8, v86
	ds_write_b64 v6, v[8:9] offset:16384
	ds_write_b64 v86, v[2:3] offset:24576
	ds_write_b64 v6, v[4:5] offset:24576
.LBB627_42:                             ;   in Loop: Header=BB627_32 Depth=1
	v_mul_f32_e32 v2, s20, v81
	v_exp_f32_e32 v4, v2
	s_nop 1
	v_accvgpr_read_b32 v2, a0
	v_accvgpr_read_b32 v3, a1
	s_add_i32 s55, s55, 64
	v_fma_f32 v52, v52, v4, v2
	v_accvgpr_read_b32 v2, a2
	v_fma_f32 v54, v54, v4, v2
	v_accvgpr_read_b32 v2, a4
	;; [unrolled: 2-line block ×6, first 2 shown]
	v_fmac_f32_e32 v3, v56, v4
	s_cmp_eq_u32 s48, s37
	v_fmac_f32_e32 v2, v57, v4
	s_cbranch_scc1 .LBB627_4
; %bb.43:                               ;   in Loop: Header=BB627_32 Depth=1
	s_mov_b32 s60, s37
	v_mov_b32_e32 v56, v3
	v_mov_b32_e32 v57, v2
	s_branch .LBB627_32
.LBB627_44:
                                        ; implicit-def: $vgpr5
                                        ; implicit-def: $vgpr9
                                        ; implicit-def: $vgpr13
                                        ; implicit-def: $vgpr17
	s_cbranch_execz .LBB627_46
; %bb.45:
	s_waitcnt vmcnt(0)
	v_mad_u64_u32 v[2:3], s[0:1], v20, s15, v[18:19]
	v_lshlrev_b32_e32 v20, 1, v2
	s_lshl_b32 s2, s15, 7
	s_and_b32 s1, s5, 0xffff
	s_mov_b32 s3, 0x20000
	s_mov_b32 s0, s4
	v_add_lshl_u32 v21, v2, s15, 1
	s_movk_i32 s13, 0x80
	buffer_load_dwordx4 v[2:5], v20, s[0:3], 0 offen
	buffer_load_dwordx4 v[10:13], v20, s[0:3], s13 offen
	;; [unrolled: 1-line block ×4, first 2 shown]
.LBB627_46:
	v_lshrrev_b32_e32 v38, 2, v42
	s_cbranch_execnz .LBB627_59
.LBB627_47:
	s_and_b64 vcc, exec, s[6:7]
	s_cbranch_vccz .LBB627_57
; %bb.48:
	s_waitcnt vmcnt(0)
	v_lshlrev_b32_e32 v7, 1, v35
	v_cmp_gt_i32_e32 vcc, s27, v7
	v_mov_b32_e32 v6, 0
	v_lshlrev_b32_e32 v14, 9, v35
	v_mov_b32_e32 v2, 0
	v_mov_b32_e32 v3, 0
	;; [unrolled: 1-line block ×4, first 2 shown]
	s_and_saveexec_b64 s[0:1], vcc
	s_cbranch_execz .LBB627_50
; %bb.49:
	v_mov_b32_e32 v15, 0
	v_lshl_add_u64 v[2:3], s[4:5], 0, v[14:15]
	v_lshlrev_b32_e32 v4, 1, v18
	v_mov_b32_e32 v5, v15
	v_lshl_add_u64 v[2:3], v[2:3], 0, v[4:5]
	global_load_dwordx4 v[2:5], v[2:3], off
.LBB627_50:
	s_or_b64 exec, exec, s[0:1]
	v_or_b32_e32 v7, 1, v7
	v_cmp_gt_i32_e64 s[0:1], s27, v7
	v_lshlrev_b32_e32 v20, 8, v7
	v_mov_b32_e32 v7, 0
	v_mov_b32_e32 v8, 0
	v_mov_b32_e32 v9, 0
	s_and_saveexec_b64 s[2:3], s[0:1]
	s_cbranch_execz .LBB627_52
; %bb.51:
	v_mov_b32_e32 v21, 0
	v_lshl_add_u64 v[6:7], s[4:5], 0, v[20:21]
	v_lshlrev_b32_e32 v8, 1, v18
	v_mov_b32_e32 v9, v21
	v_lshl_add_u64 v[6:7], v[6:7], 0, v[8:9]
	global_load_dwordx4 v[6:9], v[6:7], off
.LBB627_52:
	s_or_b64 exec, exec, s[2:3]
	v_mov_b32_e32 v17, 0
	v_mov_b32_e32 v10, 0
	v_mov_b32_e32 v11, 0
	v_mov_b32_e32 v12, 0
	v_mov_b32_e32 v13, 0
	s_and_saveexec_b64 s[2:3], vcc
	s_cbranch_execz .LBB627_54
; %bb.53:
	v_mov_b32_e32 v15, 0
	v_lshl_add_u64 v[10:11], s[4:5], 0, v[14:15]
	v_lshlrev_b32_e32 v14, 1, v18
	v_lshl_add_u64 v[10:11], v[10:11], 0, v[14:15]
	global_load_dwordx4 v[10:13], v[10:11], off offset:128
.LBB627_54:
	s_or_b64 exec, exec, s[2:3]
	v_mov_b32_e32 v16, 0
	v_mov_b32_e32 v15, 0
	;; [unrolled: 1-line block ×3, first 2 shown]
	s_and_saveexec_b64 s[2:3], s[0:1]
	s_cbranch_execz .LBB627_56
; %bb.55:
	v_mov_b32_e32 v21, 0
	v_lshl_add_u64 v[14:15], s[4:5], 0, v[20:21]
	v_lshlrev_b32_e32 v20, 1, v18
	v_lshl_add_u64 v[14:15], v[14:15], 0, v[20:21]
	global_load_dwordx4 v[14:17], v[14:15], off offset:128
.LBB627_56:
	s_or_b64 exec, exec, s[2:3]
	s_branch .LBB627_59
.LBB627_57:
                                        ; implicit-def: $vgpr5
                                        ; implicit-def: $vgpr9
                                        ; implicit-def: $vgpr13
                                        ; implicit-def: $vgpr17
	s_cbranch_execz .LBB627_59
; %bb.58:
	s_waitcnt vmcnt(0)
	v_lshlrev_b32_e32 v2, 1, v18
	v_lshl_or_b32 v18, v35, 9, v2
	s_and_b32 s5, s5, 0xffff
	s_mov_b32 s7, 0x20000
	s_movk_i32 s6, 0x4000
	s_movk_i32 s0, 0x80
	buffer_load_dwordx4 v[2:5], v18, s[4:7], 0 offen
	buffer_load_dwordx4 v[6:9], v18, s[4:7], 0 offen offset:256
	buffer_load_dwordx4 v[10:13], v18, s[4:7], s0 offen
	buffer_load_dwordx4 v[14:17], v18, s[4:7], s0 offen offset:256
.LBB627_59:
	ds_read2st64_b64 v[22:25], v19 offset0:76 offset1:77
	ds_read2st64_b64 v[18:21], v19 offset0:78 offset1:79
	ds_read_b64 v[32:33], v26 offset:24576
	ds_read_b64 v[30:31], v27 offset:24576
	ds_read_b64 v[28:29], v28 offset:24576
	ds_read_b64 v[26:27], v37 offset:24576
	v_and_b32_e32 v37, 6, v0
	v_xor_b32_e32 v35, v35, v37
	v_lshlrev_b32_e32 v35, 2, v35
	v_and_b32_e32 v0, 1, v0
	v_xor_b32_e32 v39, 0x440, v35
	v_cmp_eq_u32_e32 vcc, 0, v0
	s_mov_b32 s0, 0x1000504
	s_mov_b32 s1, 0x3020706
	v_cndmask_b32_e32 v0, v39, v35, vcc
	v_lshl_or_b32 v0, v37, 10, v0
	s_waitcnt vmcnt(0)
	v_perm_b32 v35, v2, v6, s0
	v_perm_b32 v37, v10, v14, s0
	ds_write2st64_b32 v0, v35, v37 offset1:32
	v_xor_b32_e32 v35, 8, v0
	v_perm_b32 v2, v2, v6, s1
	v_perm_b32 v6, v10, v14, s1
	v_add_u32_e32 v10, 0x80, v35
	ds_write2st64_b32 v10, v2, v6 offset1:32
	v_xor_b32_e32 v2, 16, v0
	v_perm_b32 v6, v3, v7, s0
	v_perm_b32 v10, v11, v15, s0
	ds_write2st64_b32 v2, v6, v10 offset0:1 offset1:33
	v_xor_b32_e32 v2, 24, v0
	v_perm_b32 v3, v3, v7, s1
	v_perm_b32 v6, v11, v15, s1
	v_add_u32_e32 v2, 0x80, v2
	ds_write2st64_b32 v2, v3, v6 offset0:1 offset1:33
	v_xor_b32_e32 v2, 32, v0
	v_perm_b32 v3, v4, v8, s0
	v_perm_b32 v6, v12, v16, s0
	ds_write2st64_b32 v2, v3, v6 offset0:2 offset1:34
	v_xor_b32_e32 v2, 40, v0
	v_perm_b32 v3, v4, v8, s1
	v_perm_b32 v4, v12, v16, s1
	v_add_u32_e32 v2, 0x80, v2
	ds_write2st64_b32 v2, v3, v4 offset0:2 offset1:34
	v_xor_b32_e32 v2, 48, v0
	v_perm_b32 v3, v5, v9, s0
	v_perm_b32 v4, v13, v17, s0
	v_xor_b32_e32 v0, 56, v0
	v_and_or_b32 v8, v38, 12, v1
	ds_write2st64_b32 v2, v3, v4 offset0:3 offset1:35
	v_perm_b32 v2, v5, v9, s1
	v_perm_b32 v3, v13, v17, s1
	v_add_u32_e32 v0, 0x80, v0
	v_cmp_gt_i32_e32 vcc, s27, v8
	v_mov_b32_e32 v9, 0
	v_mov_b32_e32 v14, 0
	ds_write2st64_b32 v0, v2, v3 offset0:3 offset1:35
	s_and_saveexec_b64 s[0:1], vcc
	s_cbranch_execz .LBB627_61
; %bb.60:
	v_add_u32_e32 v0, s26, v8
	v_ashrrev_i32_e32 v1, 31, v0
	v_mul_lo_u32 v2, v1, s30
	v_mul_lo_u32 v3, v0, s31
	v_mad_u64_u32 v[0:1], s[2:3], v0, s30, 0
	v_add3_u32 v1, v1, v3, v2
	v_lshl_add_u64 v[0:1], v[0:1], 2, s[10:11]
	global_load_dword v0, v[0:1], off
	s_waitcnt vmcnt(0)
	v_sub_f32_e32 v0, s12, v0
	v_mul_f32_e32 v0, 0x3fb8aa3b, v0
	v_exp_f32_e32 v14, v0
.LBB627_61:
	s_or_b64 exec, exec, s[0:1]
	v_or_b32_e32 v12, 1, v8
	v_cmp_gt_i32_e64 s[2:3], s27, v12
	s_and_saveexec_b64 s[0:1], s[2:3]
	s_cbranch_execz .LBB627_63
; %bb.62:
	v_add_u32_e32 v0, s26, v12
	v_ashrrev_i32_e32 v1, 31, v0
	v_mul_lo_u32 v2, v1, s30
	v_mul_lo_u32 v3, v0, s31
	v_mad_u64_u32 v[0:1], s[4:5], v0, s30, 0
	v_add3_u32 v1, v1, v3, v2
	v_lshl_add_u64 v[0:1], v[0:1], 2, s[10:11]
	global_load_dword v0, v[0:1], off
	s_waitcnt vmcnt(0)
	v_sub_f32_e32 v0, s12, v0
	v_mul_f32_e32 v0, 0x3fb8aa3b, v0
	v_exp_f32_e32 v9, v0
.LBB627_63:
	s_or_b64 exec, exec, s[0:1]
	v_or_b32_e32 v11, 2, v8
	v_cmp_gt_i32_e64 s[0:1], s27, v11
	v_mov_b32_e32 v10, 0
	v_mov_b32_e32 v15, 0
	s_and_saveexec_b64 s[4:5], s[0:1]
	s_cbranch_execz .LBB627_65
; %bb.64:
	v_add_u32_e32 v0, s26, v11
	v_ashrrev_i32_e32 v1, 31, v0
	v_mul_lo_u32 v2, v1, s30
	v_mul_lo_u32 v3, v0, s31
	v_mad_u64_u32 v[0:1], s[6:7], v0, s30, 0
	v_add3_u32 v1, v1, v3, v2
	v_lshl_add_u64 v[0:1], v[0:1], 2, s[10:11]
	global_load_dword v0, v[0:1], off
	s_waitcnt vmcnt(0)
	v_sub_f32_e32 v0, s12, v0
	v_mul_f32_e32 v0, 0x3fb8aa3b, v0
	v_exp_f32_e32 v15, v0
.LBB627_65:
	s_or_b64 exec, exec, s[4:5]
	v_or_b32_e32 v13, 3, v8
	v_cmp_gt_i32_e64 s[4:5], s27, v13
	s_and_saveexec_b64 s[6:7], s[4:5]
	s_cbranch_execz .LBB627_67
; %bb.66:
	v_add_u32_e32 v0, s26, v13
	v_ashrrev_i32_e32 v1, 31, v0
	v_mul_lo_u32 v2, v1, s30
	v_mul_lo_u32 v3, v0, s31
	v_mad_u64_u32 v[0:1], s[14:15], v0, s30, 0
	v_add3_u32 v1, v1, v3, v2
	v_lshl_add_u64 v[0:1], v[0:1], 2, s[10:11]
	global_load_dword v0, v[0:1], off
	s_waitcnt vmcnt(0)
	v_sub_f32_e32 v0, s12, v0
	v_mul_f32_e32 v0, 0x3fb8aa3b, v0
	v_exp_f32_e32 v10, v0
.LBB627_67:
	s_or_b64 exec, exec, s[6:7]
	s_waitcnt lgkmcnt(11)
	v_mfma_f32_16x16x16_bf16 a[0:3], v[32:33], v[22:23], a[0:3]
	s_add_u32 s6, s8, s20
	v_ashrrev_i32_e32 v35, 31, v34
	s_addc_u32 s7, s9, s21
	s_waitcnt lgkmcnt(10)
	v_mfma_f32_16x16x16_bf16 a[0:3], v[30:31], v[24:25], a[0:3]
	v_lshlrev_b64 v[0:1], 1, v[34:35]
	v_lshl_add_u64 v[4:5], s[6:7], 0, v[0:1]
	s_add_u32 s6, s28, s20
	s_waitcnt lgkmcnt(9)
	v_mfma_f32_16x16x16_bf16 a[0:3], v[28:29], v[18:19], a[0:3]
	s_addc_u32 s7, s29, s21
	v_lshl_add_u64 v[6:7], s[6:7], 0, v[0:1]
	v_mov_b32_e32 v16, 0
	s_waitcnt lgkmcnt(8)
	v_mfma_f32_16x16x16_bf16 a[0:3], v[26:27], v[20:21], a[0:3]
	v_mov_b32_e32 v17, 0
	s_nop 5
	v_accvgpr_read_b32 v0, a0
	v_accvgpr_read_b32 v1, a1
	;; [unrolled: 1-line block ×4, first 2 shown]
	s_and_saveexec_b64 s[6:7], vcc
	s_cbranch_execz .LBB627_69
; %bb.68:
	v_lshlrev_b32_e32 v18, 8, v8
	v_mov_b32_e32 v19, 0
	v_lshl_add_u64 v[20:21], v[4:5], 0, v[18:19]
	global_load_ushort v17, v[20:21], off
	v_lshl_add_u64 v[18:19], v[6:7], 0, v[18:19]
	s_waitcnt vmcnt(0)
	v_lshlrev_b32_e32 v17, 16, v17
	v_sub_f32_e32 v0, v17, v0
	global_store_short_d16_hi v[18:19], v0, off
	v_mul_f32_e32 v0, v14, v0
	v_lshrrev_b32_e32 v17, 16, v0
.LBB627_69:
	s_or_b64 exec, exec, s[6:7]
	s_and_saveexec_b64 s[6:7], s[2:3]
	s_cbranch_execz .LBB627_71
; %bb.70:
	v_lshlrev_b32_e32 v18, 8, v12
	v_mov_b32_e32 v19, 0
	v_lshl_add_u64 v[20:21], v[4:5], 0, v[18:19]
	global_load_ushort v0, v[20:21], off
	v_lshl_add_u64 v[18:19], v[6:7], 0, v[18:19]
	s_waitcnt vmcnt(0)
	v_lshlrev_b32_e32 v0, 16, v0
	v_sub_f32_e32 v0, v0, v1
	global_store_short_d16_hi v[18:19], v0, off
	v_mul_f32_e32 v0, v9, v0
	v_lshrrev_b32_e32 v16, 16, v0
.LBB627_71:
	s_or_b64 exec, exec, s[6:7]
	v_mov_b32_e32 v0, 0
	v_mov_b32_e32 v1, 0
	s_and_saveexec_b64 s[2:3], s[0:1]
	s_cbranch_execz .LBB627_73
; %bb.72:
	v_lshlrev_b32_e32 v18, 8, v11
	v_mov_b32_e32 v19, 0
	v_lshl_add_u64 v[20:21], v[4:5], 0, v[18:19]
	global_load_ushort v1, v[20:21], off
	v_lshl_add_u64 v[18:19], v[6:7], 0, v[18:19]
	s_waitcnt vmcnt(0)
	v_lshlrev_b32_e32 v1, 16, v1
	v_sub_f32_e32 v1, v1, v2
	global_store_short_d16_hi v[18:19], v1, off
	v_mul_f32_e32 v1, v15, v1
	v_lshrrev_b32_e32 v1, 16, v1
.LBB627_73:
	s_or_b64 exec, exec, s[2:3]
	s_and_saveexec_b64 s[0:1], s[4:5]
	s_cbranch_execz .LBB627_75
; %bb.74:
	v_lshlrev_b32_e32 v12, 8, v13
	v_mov_b32_e32 v13, 0
	v_lshl_add_u64 v[4:5], v[4:5], 0, v[12:13]
	global_load_ushort v0, v[4:5], off
	v_lshl_add_u64 v[4:5], v[6:7], 0, v[12:13]
	s_waitcnt vmcnt(0)
	v_lshlrev_b32_e32 v0, 16, v0
	v_sub_f32_e32 v0, v0, v3
	global_store_short_d16_hi v[4:5], v0, off
	v_mul_f32_e32 v0, v10, v0
	v_lshrrev_b32_e32 v0, 16, v0
.LBB627_75:
	s_or_b64 exec, exec, s[0:1]
	s_mov_b32 s0, 0x5040100
	v_lshlrev_b32_e32 v2, 1, v36
	v_perm_b32 v1, v0, v1, s0
	v_perm_b32 v0, v16, v17, s0
	v_lshl_or_b32 v2, v8, 5, v2
	ds_write_b64 v2, v[0:1] offset:38912
	s_waitcnt lgkmcnt(0)
	s_barrier
.LBB627_76:
	s_endpgm
	.section	.rodata,"a",@progbits
	.p2align	6, 0x0
	.amdhsa_kernel _ZN12_GLOBAL__N_139chunk_gated_delta_rule_fwd_h_hip_kernelILi16ELb1ELb0ELb1ELb1ELb0ELb0ELb0ELb1EEEvPK12hip_bfloat16S3_S3_PKfS5_PKvPS1_S8_PvPKiSB_iiiiilll
		.amdhsa_group_segment_fixed_size 40960
		.amdhsa_private_segment_fixed_size 0
		.amdhsa_kernarg_size 136
		.amdhsa_user_sgpr_count 2
		.amdhsa_user_sgpr_dispatch_ptr 0
		.amdhsa_user_sgpr_queue_ptr 0
		.amdhsa_user_sgpr_kernarg_segment_ptr 1
		.amdhsa_user_sgpr_dispatch_id 0
		.amdhsa_user_sgpr_kernarg_preload_length 0
		.amdhsa_user_sgpr_kernarg_preload_offset 0
		.amdhsa_user_sgpr_private_segment_size 0
		.amdhsa_uses_dynamic_stack 0
		.amdhsa_enable_private_segment 0
		.amdhsa_system_sgpr_workgroup_id_x 1
		.amdhsa_system_sgpr_workgroup_id_y 1
		.amdhsa_system_sgpr_workgroup_id_z 0
		.amdhsa_system_sgpr_workgroup_info 0
		.amdhsa_system_vgpr_workitem_id 0
		.amdhsa_next_free_vgpr 116
		.amdhsa_next_free_sgpr 64
		.amdhsa_accum_offset 108
		.amdhsa_reserve_vcc 1
		.amdhsa_float_round_mode_32 0
		.amdhsa_float_round_mode_16_64 0
		.amdhsa_float_denorm_mode_32 3
		.amdhsa_float_denorm_mode_16_64 3
		.amdhsa_dx10_clamp 1
		.amdhsa_ieee_mode 1
		.amdhsa_fp16_overflow 0
		.amdhsa_tg_split 0
		.amdhsa_exception_fp_ieee_invalid_op 0
		.amdhsa_exception_fp_denorm_src 0
		.amdhsa_exception_fp_ieee_div_zero 0
		.amdhsa_exception_fp_ieee_overflow 0
		.amdhsa_exception_fp_ieee_underflow 0
		.amdhsa_exception_fp_ieee_inexact 0
		.amdhsa_exception_int_div_zero 0
	.end_amdhsa_kernel
	.section	.text._ZN12_GLOBAL__N_139chunk_gated_delta_rule_fwd_h_hip_kernelILi16ELb1ELb0ELb1ELb1ELb0ELb0ELb0ELb1EEEvPK12hip_bfloat16S3_S3_PKfS5_PKvPS1_S8_PvPKiSB_iiiiilll,"axG",@progbits,_ZN12_GLOBAL__N_139chunk_gated_delta_rule_fwd_h_hip_kernelILi16ELb1ELb0ELb1ELb1ELb0ELb0ELb0ELb1EEEvPK12hip_bfloat16S3_S3_PKfS5_PKvPS1_S8_PvPKiSB_iiiiilll,comdat
.Lfunc_end627:
	.size	_ZN12_GLOBAL__N_139chunk_gated_delta_rule_fwd_h_hip_kernelILi16ELb1ELb0ELb1ELb1ELb0ELb0ELb0ELb1EEEvPK12hip_bfloat16S3_S3_PKfS5_PKvPS1_S8_PvPKiSB_iiiiilll, .Lfunc_end627-_ZN12_GLOBAL__N_139chunk_gated_delta_rule_fwd_h_hip_kernelILi16ELb1ELb0ELb1ELb1ELb0ELb0ELb0ELb1EEEvPK12hip_bfloat16S3_S3_PKfS5_PKvPS1_S8_PvPKiSB_iiiiilll
                                        ; -- End function
	.section	.AMDGPU.csdata,"",@progbits
; Kernel info:
; codeLenInByte = 7292
; NumSgprs: 70
; NumVgprs: 108
; NumAgprs: 8
; TotalNumVgprs: 116
; ScratchSize: 0
; MemoryBound: 0
; FloatMode: 240
; IeeeMode: 1
; LDSByteSize: 40960 bytes/workgroup (compile time only)
; SGPRBlocks: 8
; VGPRBlocks: 14
; NumSGPRsForWavesPerEU: 70
; NumVGPRsForWavesPerEU: 116
; AccumOffset: 108
; Occupancy: 1
; WaveLimiterHint : 1
; COMPUTE_PGM_RSRC2:SCRATCH_EN: 0
; COMPUTE_PGM_RSRC2:USER_SGPR: 2
; COMPUTE_PGM_RSRC2:TRAP_HANDLER: 0
; COMPUTE_PGM_RSRC2:TGID_X_EN: 1
; COMPUTE_PGM_RSRC2:TGID_Y_EN: 1
; COMPUTE_PGM_RSRC2:TGID_Z_EN: 0
; COMPUTE_PGM_RSRC2:TIDIG_COMP_CNT: 0
; COMPUTE_PGM_RSRC3_GFX90A:ACCUM_OFFSET: 26
; COMPUTE_PGM_RSRC3_GFX90A:TG_SPLIT: 0
	.section	.text._ZN12_GLOBAL__N_139chunk_gated_delta_rule_fwd_h_hip_kernelILi16ELb1ELb0ELb0ELb1ELb0ELb0ELb0ELb1EEEvPK12hip_bfloat16S3_S3_PKfS5_PKvPS1_S8_PvPKiSB_iiiiilll,"axG",@progbits,_ZN12_GLOBAL__N_139chunk_gated_delta_rule_fwd_h_hip_kernelILi16ELb1ELb0ELb0ELb1ELb0ELb0ELb0ELb1EEEvPK12hip_bfloat16S3_S3_PKfS5_PKvPS1_S8_PvPKiSB_iiiiilll,comdat
	.globl	_ZN12_GLOBAL__N_139chunk_gated_delta_rule_fwd_h_hip_kernelILi16ELb1ELb0ELb0ELb1ELb0ELb0ELb0ELb1EEEvPK12hip_bfloat16S3_S3_PKfS5_PKvPS1_S8_PvPKiSB_iiiiilll ; -- Begin function _ZN12_GLOBAL__N_139chunk_gated_delta_rule_fwd_h_hip_kernelILi16ELb1ELb0ELb0ELb1ELb0ELb0ELb0ELb1EEEvPK12hip_bfloat16S3_S3_PKfS5_PKvPS1_S8_PvPKiSB_iiiiilll
	.p2align	8
	.type	_ZN12_GLOBAL__N_139chunk_gated_delta_rule_fwd_h_hip_kernelILi16ELb1ELb0ELb0ELb1ELb0ELb0ELb0ELb1EEEvPK12hip_bfloat16S3_S3_PKfS5_PKvPS1_S8_PvPKiSB_iiiiilll,@function
_ZN12_GLOBAL__N_139chunk_gated_delta_rule_fwd_h_hip_kernelILi16ELb1ELb0ELb0ELb1ELb0ELb0ELb0ELb1EEEvPK12hip_bfloat16S3_S3_PKfS5_PKvPS1_S8_PvPKiSB_iiiiilll: ; @_ZN12_GLOBAL__N_139chunk_gated_delta_rule_fwd_h_hip_kernelILi16ELb1ELb0ELb0ELb1ELb0ELb0ELb0ELb1EEEvPK12hip_bfloat16S3_S3_PKfS5_PKvPS1_S8_PvPKiSB_iiiiilll
; %bb.0:
	s_load_dwordx4 s[12:15], s[0:1], 0x5c
	s_load_dwordx4 s[20:23], s[0:1], 0x70
	s_abs_i32 s9, s3
	s_ashr_i32 s8, s3, 31
	s_load_dwordx4 s[4:7], s[0:1], 0x48
	s_waitcnt lgkmcnt(0)
	s_abs_i32 s10, s13
	v_cvt_f32_u32_e32 v1, s10
	s_sub_i32 s16, 0, s10
	s_ashr_i32 s11, s13, 31
	s_xor_b32 s8, s8, s11
	v_rcp_iflag_f32_e32 v1, v1
	v_and_b32_e32 v43, 15, v0
	v_lshrrev_b32_e32 v41, 6, v0
	v_bfe_u32 v42, v0, 4, 2
	v_mul_f32_e32 v1, 0x4f7ffffe, v1
	v_cvt_u32_f32_e32 v1, v1
	v_mov_b32_e32 v5, 0
	v_and_b32_e32 v40, 63, v0
	v_lshlrev_b32_e32 v44, 3, v0
	v_readfirstlane_b32 s17, v1
	s_mul_i32 s16, s16, s17
	s_mul_hi_u32 s16, s17, s16
	s_add_i32 s17, s17, s16
	s_mul_hi_u32 s16, s9, s17
	s_mul_i32 s17, s16, s10
	s_sub_i32 s9, s9, s17
	s_add_i32 s18, s16, 1
	s_sub_i32 s17, s9, s10
	s_cmp_ge_u32 s9, s10
	s_cselect_b32 s16, s18, s16
	s_cselect_b32 s9, s17, s9
	s_add_i32 s17, s16, 1
	s_cmp_ge_u32 s9, s10
	s_cselect_b32 s9, s17, s16
	s_load_dwordx4 s[16:19], s[0:1], 0x28
	s_xor_b32 s9, s9, s8
	s_sub_i32 s24, s9, s8
	s_mul_i32 s28, s24, s13
	s_ashr_i32 s25, s24, 31
	s_sub_i32 s45, s3, s28
	s_lshl_b64 s[8:9], s[24:25], 2
	s_add_u32 s4, s4, s8
	s_addc_u32 s5, s5, s9
	s_add_u32 s26, s6, s8
	s_addc_u32 s27, s7, s9
	s_abs_i32 s3, s14
	v_cvt_f32_u32_e32 v1, s3
	s_load_dwordx2 s[30:31], s[4:5], 0x0
	s_sub_i32 s5, 0, s3
	s_lshl_b32 s2, s2, 4
	v_rcp_iflag_f32_e32 v1, v1
	v_or_b32_e32 v34, s2, v43
	s_waitcnt lgkmcnt(0)
	s_sub_i32 s48, s31, s30
	s_ashr_i32 s4, s48, 31
	v_mul_f32_e32 v1, 0x4f7ffffe, v1
	v_cvt_u32_f32_e32 v1, v1
	s_lshr_b32 s4, s4, 26
	s_add_i32 s4, s48, s4
	s_ashr_i32 s46, s4, 6
	v_readfirstlane_b32 s6, v1
	s_mul_i32 s5, s5, s6
	s_mul_hi_u32 s5, s6, s5
	s_add_i32 s6, s6, s5
	s_mul_hi_u32 s5, s10, s6
	s_mul_i32 s6, s5, s3
	s_ashr_i32 s4, s14, 31
	s_sub_i32 s6, s10, s6
	s_xor_b32 s4, s11, s4
	s_add_i32 s7, s5, 1
	s_sub_i32 s8, s6, s3
	s_cmp_ge_u32 s6, s3
	s_cselect_b32 s5, s7, s5
	s_cselect_b32 s6, s8, s6
	s_add_i32 s7, s5, 1
	s_cmp_ge_u32 s6, s3
	s_cselect_b32 s3, s7, s5
	s_xor_b32 s3, s3, s4
	s_sub_i32 s3, s3, s4
	s_abs_i32 s4, s3
	v_cvt_f32_u32_e32 v1, s4
	s_sub_i32 s6, 0, s4
	s_abs_i32 s5, s45
	s_xor_b32 s3, s45, s3
	v_rcp_iflag_f32_e32 v1, v1
	s_ashr_i32 s3, s3, 31
	v_lshlrev_b32_e32 v2, 7, v34
	v_ashrrev_i32_e32 v3, 31, v2
	v_mul_f32_e32 v1, 0x4f7ffffe, v1
	v_cvt_u32_f32_e32 v1, v1
	v_lshrrev_b32_e32 v45, 3, v40
	s_mul_i32 s33, s24, s21
	s_mul_hi_u32 s40, s24, s20
	v_readfirstlane_b32 s7, v1
	s_mul_i32 s6, s6, s7
	s_mul_hi_u32 s6, s7, s6
	s_add_i32 s7, s7, s6
	s_mul_hi_u32 s6, s5, s7
	s_mul_i32 s7, s6, s4
	s_sub_i32 s5, s5, s7
	s_add_i32 s7, s6, 1
	s_sub_i32 s8, s5, s4
	s_cmp_ge_u32 s5, s4
	s_cselect_b32 s6, s7, s6
	s_cselect_b32 s5, s8, s5
	s_add_i32 s7, s6, 1
	s_cmp_ge_u32 s5, s4
	s_cselect_b32 s4, s7, s6
	s_xor_b32 s4, s4, s3
	s_sub_i32 s49, s4, s3
	s_ashr_i32 s47, s45, 31
	s_mul_hi_i32 s3, s24, s13
	s_add_u32 s4, s28, s45
	s_addc_u32 s5, s3, s47
	s_lshl_b64 s[4:5], s[4:5], 15
	v_lshlrev_b32_e32 v1, 4, v41
	s_add_u32 s4, s16, s4
	v_lshl_or_b32 v46, v42, 2, v1
	s_addc_u32 s5, s17, s5
	v_lshl_add_u64 v[2:3], v[2:3], 1, s[4:5]
	v_lshlrev_b32_e32 v4, 1, v46
	v_lshl_add_u64 v[2:3], v[2:3], 0, v[4:5]
	global_load_dwordx2 v[4:5], v[2:3], off
	global_load_dwordx2 v[6:7], v[2:3], off offset:128
	s_load_dwordx8 s[4:11], s[0:1], 0x0
	s_load_dwordx2 s[28:29], s[0:1], 0x80
	s_load_dword s52, s[26:27], 0x0
	v_or_b32_e32 v47, 64, v46
	s_mul_i32 s36, s24, s20
	s_mul_i32 s41, s25, s20
	s_mul_hi_i32 s50, s45, s12
	s_mul_i32 s51, s45, s12
	s_mul_i32 s42, s45, s23
	s_mul_hi_u32 s43, s45, s22
	s_mul_i32 s44, s47, s22
	s_cmp_lt_i32 s48, 64
	s_mul_i32 s34, s45, s22
	s_waitcnt vmcnt(1)
	v_and_b32_e32 v48, 0xffff0000, v4
	v_lshlrev_b32_e32 v50, 16, v4
	v_and_b32_e32 v54, 0xffff0000, v5
	v_lshlrev_b32_e32 v52, 16, v5
	s_waitcnt vmcnt(0)
	v_and_b32_e32 v49, 0xffff0000, v6
	v_lshlrev_b32_e32 v51, 16, v6
	v_and_b32_e32 v55, 0xffff0000, v7
	v_lshlrev_b32_e32 v53, 16, v7
	s_cbranch_scc1 .LBB628_3
; %bb.1:
	s_ashr_i32 s1, s30, 31
	s_add_u32 s0, s51, s30
	s_addc_u32 s1, s50, s1
	s_lshl_b64 s[0:1], s[0:1], 8
	v_and_b32_e32 v57, 56, v44
	s_waitcnt lgkmcnt(0)
	s_add_u32 s20, s6, s0
	v_lshl_or_b32 v56, v41, 3, v45
	v_lshlrev_b32_e32 v2, 1, v57
	s_addc_u32 s0, s7, s1
	v_lshl_or_b32 v58, v56, 8, v2
	s_and_b32 s21, s0, 0xffff
	s_mov_b32 s23, 0x20000
	s_movk_i32 s22, 0x4000
	s_movk_i32 s0, 0x80
	v_or_b32_e32 v59, 0x2000, v58
	buffer_load_dwordx4 v[4:7], v58, s[20:23], 0 offen
	buffer_load_dwordx4 v[8:11], v58, s[20:23], s0 offen
	;; [unrolled: 1-line block ×4, first 2 shown]
	v_lshlrev_b32_e32 v3, 3, v56
	v_and_or_b32 v21, v0, 7, v3
	v_and_b32_e32 v3, 0x78, v3
	v_lshlrev_b32_e32 v21, 4, v21
	v_xor_b32_e32 v60, v21, v3
	v_mul_lo_u32 v20, v56, s15
	v_or_b32_e32 v61, 0x1000, v60
	v_xor_b32_e32 v3, 8, v60
	s_cmpk_eq_i32 s15, 0x80
	s_mov_b32 s53, s30
	v_xor_b32_e32 v21, 8, v61
	s_cselect_b64 s[0:1], -1, 0
	s_cmpk_lg_i32 s15, 0x80
	s_waitcnt vmcnt(3)
	ds_write_b64 v60, v[4:5] offset:16384
	ds_write_b64 v3, v[6:7] offset:16384
	s_waitcnt vmcnt(2)
	ds_write_b64 v60, v[8:9] offset:24576
	ds_write_b64 v3, v[10:11] offset:24576
	;; [unrolled: 3-line block ×4, first 2 shown]
	v_lshl_add_u32 v3, v20, 1, v57
	s_cbranch_scc0 .LBB628_29
; %bb.2:
	v_lshlrev_b32_e32 v5, 1, v3
	v_add_lshl_u32 v4, v3, s15, 1
	s_lshl_b32 s22, s15, 7
	v_lshl_or_b32 v2, v56, 9, v2
	s_cbranch_execz .LBB628_30
	s_branch .LBB628_31
.LBB628_3:
	v_mov_b32_e32 v2, v55
	v_mov_b32_e32 v3, v54
.LBB628_4:
	s_lshl_b32 s26, s46, 6
	s_sub_i32 s27, s48, s26
	s_cmp_gt_i32 s27, 0
	s_cbranch_scc0 .LBB628_76
; %bb.5:
	s_add_i32 s26, s26, s30
	s_ashr_i32 s3, s26, 31
	s_cmpk_lg_i32 s15, 0x80
	s_cselect_b64 s[22:23], -1, 0
	s_and_b64 vcc, exec, s[22:23]
	s_cbranch_vccz .LBB628_7
; %bb.6:
	s_mul_hi_i32 s0, s26, s14
	s_mul_i32 s1, s26, s14
	s_ashr_i32 s14, s49, 31
	s_add_u32 s24, s1, s49
	s_addc_u32 s25, s0, s14
	s_cbranch_execz .LBB628_8
	s_branch .LBB628_9
.LBB628_7:
                                        ; implicit-def: $sgpr24_sgpr25
.LBB628_8:
	s_mul_i32 s1, s49, s12
	s_mul_hi_i32 s0, s49, s12
	s_add_u32 s24, s1, s26
	s_addc_u32 s25, s0, s3
.LBB628_9:
	s_waitcnt lgkmcnt(0)
	s_add_i32 s12, s46, s52
	s_add_u32 s0, s51, s26
	s_addc_u32 s1, s50, s3
	s_mov_b32 s3, 0x7060302
	v_lshlrev_b32_e32 v6, 3, v43
	v_perm_b32 v5, v3, v52, s3
	v_perm_b32 v4, v48, v50, s3
	;; [unrolled: 1-line block ×4, first 2 shown]
	v_lshlrev_b32_e32 v36, 2, v43
	v_lshl_or_b32 v6, v46, 5, v6
	s_lshl_b64 s[20:21], s[0:1], 8
	ds_write2st64_b64 v6, v[4:5], v[2:3] offset0:72 offset1:76
	v_xor_b32_e32 v6, v46, v36
	v_lshlrev_b32_e32 v7, 8, v43
	s_add_u32 s0, s6, s20
	v_lshl_or_b32 v6, v6, 1, v7
	s_addc_u32 s1, s7, s21
	ds_write_b64 v6, v[4:5] offset:32768
	v_xor_b32_e32 v4, v47, v36
	s_mul_hi_i32 s3, s12, s13
	s_mul_i32 s12, s12, s13
	v_lshl_or_b32 v4, v4, 1, v7
	s_add_u32 s6, s12, s45
	ds_write_b64 v4, v[2:3] offset:32768
	s_addc_u32 s7, s3, s47
	v_lshlrev_b32_e32 v3, 1, v43
	v_lshrrev_b32_e32 v2, 4, v0
	s_ashr_i32 s3, s2, 31
	s_lshl_b64 s[6:7], s[6:7], 15
	v_or_b32_e32 v4, 1, v3
	s_add_u32 s6, s18, s6
	v_xor_b32_e32 v3, v2, v3
	v_xor_b32_e32 v4, v4, v2
	v_lshlrev_b32_e32 v6, 8, v2
	s_addc_u32 s7, s19, s7
	s_lshl_b64 s[2:3], s[2:3], 8
	v_lshl_or_b32 v2, v3, 3, v6
	v_lshl_or_b32 v4, v4, 3, v6
	s_waitcnt lgkmcnt(0)
	s_barrier
	s_add_u32 s2, s6, s2
	ds_read_b64 v[2:3], v2 offset:32768
	ds_read_b64 v[4:5], v4 offset:32768
	s_addc_u32 s3, s7, s3
	v_mov_b32_e32 v7, 0
	s_cmp_lg_u32 s27, 64
	v_lshl_add_u64 v[8:9], s[2:3], 0, v[6:7]
	v_lshlrev_b32_e32 v6, 4, v43
	s_cselect_b64 s[6:7], -1, 0
	v_lshl_or_b32 v35, v41, 3, v45
	s_mov_b32 s16, 0
	v_lshl_add_u64 v[6:7], v[8:9], 0, v[6:7]
	s_waitcnt vmcnt(1)
	v_or_b32_e32 v19, 32, v35
	v_and_b32_e32 v18, 56, v44
	s_and_b64 vcc, exec, s[6:7]
	s_waitcnt lgkmcnt(0)
	global_store_dwordx4 v[6:7], v[2:5], off
	s_cbranch_vccz .LBB628_15
; %bb.10:
	s_mov_b32 s17, s16
	s_mov_b32 s18, s16
	s_mov_b32 s19, s16
	v_mov_b64_e32 v[6:7], s[16:17]
	v_mov_b64_e32 v[8:9], s[18:19]
	;; [unrolled: 1-line block ×3, first 2 shown]
	v_cmp_gt_i32_e32 vcc, s27, v35
	v_mov_b64_e32 v[4:5], v[8:9]
	s_and_saveexec_b64 s[2:3], vcc
	s_cbranch_execz .LBB628_12
; %bb.11:
	v_lshlrev_b32_e32 v2, 8, v35
	v_mov_b32_e32 v3, 0
	v_lshl_add_u64 v[4:5], s[0:1], 0, v[2:3]
	v_lshlrev_b32_e32 v2, 1, v18
	v_lshl_add_u64 v[10:11], v[4:5], 0, v[2:3]
	global_load_dwordx4 v[6:9], v[10:11], off
	global_load_dwordx4 v[2:5], v[10:11], off offset:128
.LBB628_12:
	s_or_b64 exec, exec, s[2:3]
	s_mov_b32 s17, s16
	s_mov_b32 s18, s16
	;; [unrolled: 1-line block ×3, first 2 shown]
	v_mov_b64_e32 v[14:15], s[16:17]
	v_mov_b64_e32 v[16:17], s[18:19]
	;; [unrolled: 1-line block ×3, first 2 shown]
	v_cmp_gt_i32_e32 vcc, s27, v19
	v_lshlrev_b32_e32 v20, 7, v19
	v_mov_b64_e32 v[12:13], v[16:17]
	s_and_saveexec_b64 s[2:3], vcc
	s_cbranch_execz .LBB628_14
; %bb.13:
	v_lshlrev_b32_e32 v10, 1, v20
	v_mov_b32_e32 v11, 0
	v_lshl_add_u64 v[12:13], s[0:1], 0, v[10:11]
	v_lshlrev_b32_e32 v10, 1, v18
	v_lshl_add_u64 v[22:23], v[12:13], 0, v[10:11]
	global_load_dwordx4 v[14:17], v[22:23], off
	global_load_dwordx4 v[10:13], v[22:23], off offset:128
.LBB628_14:
	s_or_b64 exec, exec, s[2:3]
	v_lshrrev_b32_e32 v21, 3, v18
	v_lshlrev_b32_e32 v22, 3, v35
	v_or_b32_e32 v21, v22, v21
	v_lshlrev_b32_e32 v21, 4, v21
	v_and_b32_e32 v22, 0x78, v22
	v_xor_b32_e32 v21, v21, v22
	s_branch .LBB628_17
.LBB628_15:
                                        ; implicit-def: $vgpr21
                                        ; implicit-def: $vgpr20
                                        ; implicit-def: $vgpr6_vgpr7_vgpr8_vgpr9
                                        ; implicit-def: $vgpr2_vgpr3_vgpr4_vgpr5
                                        ; implicit-def: $vgpr14_vgpr15_vgpr16_vgpr17
                                        ; implicit-def: $vgpr10_vgpr11_vgpr12_vgpr13
	s_cbranch_execz .LBB628_17
; %bb.16:
	s_waitcnt vmcnt(0)
	v_lshlrev_b32_e32 v2, 1, v18
	v_lshl_or_b32 v20, v35, 8, v2
	s_and_b32 s1, s1, 0xffff
	s_mov_b32 s3, 0x20000
	s_movk_i32 s2, 0x4000
	v_lshl_or_b32 v21, v19, 8, v2
	s_movk_i32 s12, 0x80
	buffer_load_dwordx4 v[6:9], v20, s[0:3], 0 offen
	buffer_load_dwordx4 v[2:5], v20, s[0:3], s12 offen
	buffer_load_dwordx4 v[14:17], v21, s[0:3], 0 offen
	buffer_load_dwordx4 v[10:13], v21, s[0:3], s12 offen
	v_lshrrev_b32_e32 v20, 3, v18
	v_lshlrev_b32_e32 v21, 3, v35
	v_or_b32_e32 v20, v21, v20
	v_lshlrev_b32_e32 v20, 4, v20
	v_and_b32_e32 v21, 0x78, v21
	v_xor_b32_e32 v21, v20, v21
	v_lshlrev_b32_e32 v20, 7, v19
.LBB628_17:
	s_lshl_b64 s[0:1], s[24:25], 8
	s_add_u32 s4, s4, s0
	s_movk_i32 s0, 0x1000
	v_and_or_b32 v19, v20, s0, v21
	s_waitcnt vmcnt(1)
	ds_write_b64 v21, v[6:7] offset:16384
	v_xor_b32_e32 v6, 8, v21
	ds_write_b64 v6, v[8:9] offset:16384
	s_waitcnt vmcnt(0)
	ds_write_b64 v21, v[2:3] offset:24576
	ds_write_b64 v6, v[4:5] offset:24576
	;; [unrolled: 1-line block ×3, first 2 shown]
	v_xor_b32_e32 v2, 8, v19
	ds_write_b64 v2, v[16:17] offset:16384
	ds_write_b64 v19, v[10:11] offset:24576
	;; [unrolled: 1-line block ×3, first 2 shown]
	v_or_b32_e32 v2, v1, v43
	v_lshlrev_b32_e32 v2, 3, v2
	v_lshrrev_b32_e32 v4, 5, v40
	s_movk_i32 s12, 0xf8
	v_and_or_b32 v4, v2, s12, v4
	v_lshlrev_b32_e32 v3, 11, v41
	v_lshlrev_b32_e32 v12, 4, v4
	v_and_b32_e32 v13, 0x78, v2
	v_and_b32_e32 v14, 0x1000, v3
	v_lshlrev_b32_e32 v3, 2, v0
	v_xor_b32_e32 v2, v12, v13
	v_lshrrev_b32_e32 v4, 1, v40
	v_and_b32_e32 v3, 60, v3
	v_or_b32_e32 v2, v2, v14
	v_and_b32_e32 v15, 8, v4
	v_xor_b32_e32 v26, v2, v15
	v_lshl_or_b32 v2, v42, 6, v3
	v_lshlrev_b32_e32 v19, 1, v2
	v_or_b32_e32 v2, 32, v12
	v_xor_b32_e32 v2, v2, v13
	s_waitcnt lgkmcnt(0)
	s_barrier
	ds_read_b64 v[10:11], v26 offset:16384
	v_or_b32_e32 v2, v2, v14
	v_xor_b32_e32 v27, v2, v15
	v_or_b32_e32 v2, 64, v12
	v_xor_b32_e32 v2, v2, v13
	v_or_b32_e32 v2, v2, v14
	v_or_b32_e32 v12, 0x60, v12
	v_xor_b32_e32 v28, v2, v15
	ds_read2st64_b64 v[2:5], v19 offset0:72 offset1:73
	ds_read2st64_b64 v[6:9], v19 offset0:74 offset1:75
	v_xor_b32_e32 v16, v12, v13
	ds_read_b64 v[12:13], v27 offset:16384
	s_addc_u32 s5, s5, s1
	s_add_i32 s1, s40, s33
	s_waitcnt lgkmcnt(2)
	v_mfma_f32_16x16x16_bf16 a[0:3], v[10:11], v[2:3], 0
	s_add_i32 s0, s31, -1
	s_add_i32 s37, s1, s41
	s_add_i32 s1, s43, s42
	;; [unrolled: 1-line block ×3, first 2 shown]
	s_ashr_i32 s1, s0, 31
	s_mul_i32 s2, s0, s29
	s_mul_hi_u32 s3, s0, s28
	s_add_i32 s2, s3, s2
	s_mul_i32 s1, s1, s28
	v_or_b32_e32 v14, v16, v14
	s_add_i32 s1, s2, s1
	s_lshl_b64 s[2:3], s[36:37], 2
	v_xor_b32_e32 v37, v14, v15
	ds_read_b64 v[14:15], v28 offset:16384
	ds_read_b64 v[16:17], v37 offset:16384
	s_waitcnt lgkmcnt(2)
	v_mfma_f32_16x16x16_bf16 a[0:3], v[12:13], v[4:5], a[0:3]
	s_add_u32 s10, s10, s2
	s_addc_u32 s11, s11, s3
	s_lshl_b64 s[2:3], s[34:35], 2
	s_mul_i32 s0, s0, s28
	s_add_u32 s10, s10, s2
	s_addc_u32 s11, s11, s3
	s_lshl_b64 s[0:1], s[0:1], 2
	s_waitcnt lgkmcnt(1)
	v_mfma_f32_16x16x16_bf16 a[0:3], v[14:15], v[6:7], a[0:3]
	s_add_u32 s0, s10, s0
	s_addc_u32 s1, s11, s1
	s_load_dword s12, s[0:1], 0x0
	s_waitcnt lgkmcnt(0)
	v_mfma_f32_16x16x16_bf16 a[0:3], v[16:17], v[8:9], a[0:3]
	s_and_b64 vcc, exec, s[22:23]
	s_cbranch_vccz .LBB628_28
; %bb.18:
	v_lshlrev_b32_e32 v20, 1, v35
	s_and_b64 vcc, exec, s[6:7]
	s_cbranch_vccz .LBB628_44
; %bb.19:
	v_cmp_gt_i32_e32 vcc, s27, v20
	v_mov_b32_e32 v6, 0
	v_mov_b32_e32 v2, 0
	v_mov_b32_e32 v3, 0
	v_mov_b32_e32 v4, 0
	v_mov_b32_e32 v5, 0
	s_and_saveexec_b64 s[0:1], vcc
	s_cbranch_execz .LBB628_21
; %bb.20:
	v_mad_i64_i32 v[2:3], s[2:3], s15, v20, 0
	v_lshl_add_u64 v[2:3], v[2:3], 1, s[4:5]
	v_lshlrev_b32_e32 v4, 1, v18
	v_mov_b32_e32 v5, 0
	v_lshl_add_u64 v[2:3], v[2:3], 0, v[4:5]
	global_load_dwordx4 v[2:5], v[2:3], off
.LBB628_21:
	s_or_b64 exec, exec, s[0:1]
	v_or_b32_e32 v21, 1, v20
	v_cmp_gt_i32_e64 s[0:1], s27, v21
	v_mov_b32_e32 v7, 0
	v_mov_b32_e32 v8, 0
	;; [unrolled: 1-line block ×3, first 2 shown]
	s_and_saveexec_b64 s[2:3], s[0:1]
	s_cbranch_execz .LBB628_23
; %bb.22:
	v_mad_i64_i32 v[6:7], s[16:17], s15, v21, 0
	v_lshl_add_u64 v[6:7], v[6:7], 1, s[4:5]
	v_lshlrev_b32_e32 v8, 1, v18
	v_mov_b32_e32 v9, 0
	v_lshl_add_u64 v[6:7], v[6:7], 0, v[8:9]
	global_load_dwordx4 v[6:9], v[6:7], off
.LBB628_23:
	s_or_b64 exec, exec, s[2:3]
	v_mov_b32_e32 v17, 0
	v_mov_b32_e32 v10, 0
	;; [unrolled: 1-line block ×5, first 2 shown]
	s_and_saveexec_b64 s[2:3], vcc
	s_cbranch_execz .LBB628_25
; %bb.24:
	v_mad_i64_i32 v[10:11], s[16:17], s15, v20, 0
	v_lshl_add_u64 v[10:11], v[10:11], 1, s[4:5]
	v_lshlrev_b32_e32 v12, 1, v18
	v_mov_b32_e32 v13, 0
	v_lshl_add_u64 v[10:11], v[10:11], 0, v[12:13]
	global_load_dwordx4 v[10:13], v[10:11], off offset:128
.LBB628_25:
	s_or_b64 exec, exec, s[2:3]
	v_mov_b32_e32 v16, 0
	v_mov_b32_e32 v15, 0
	;; [unrolled: 1-line block ×3, first 2 shown]
	s_and_saveexec_b64 s[2:3], s[0:1]
	s_cbranch_execz .LBB628_27
; %bb.26:
	v_mad_i64_i32 v[14:15], s[0:1], s15, v21, 0
	v_lshl_add_u64 v[14:15], v[14:15], 1, s[4:5]
	v_lshlrev_b32_e32 v16, 1, v18
	v_mov_b32_e32 v17, 0
	v_lshl_add_u64 v[14:15], v[14:15], 0, v[16:17]
	global_load_dwordx4 v[14:17], v[14:15], off offset:128
.LBB628_27:
	s_or_b64 exec, exec, s[2:3]
	s_branch .LBB628_46
.LBB628_28:
                                        ; implicit-def: $vgpr5
                                        ; implicit-def: $vgpr9
                                        ; implicit-def: $vgpr13
                                        ; implicit-def: $vgpr17
	v_lshrrev_b32_e32 v38, 2, v40
	s_branch .LBB628_47
.LBB628_29:
                                        ; implicit-def: $vgpr4
                                        ; implicit-def: $vgpr5
                                        ; implicit-def: $sgpr22
	v_lshl_or_b32 v2, v56, 9, v2
.LBB628_30:
	v_or_b32_e32 v4, 0x100, v2
	s_movk_i32 s22, 0x4000
	v_mov_b32_e32 v5, v2
.LBB628_31:
	s_mul_i32 s16, s30, s14
	s_ashr_i32 s54, s49, 31
	s_mul_hi_i32 s3, s30, s14
	s_add_u32 s16, s16, s49
	s_addc_u32 s17, s3, s54
	s_lshl_b64 s[16:17], s[16:17], 8
	s_add_u32 s20, s4, s16
	s_addc_u32 s3, s5, s17
	s_and_b32 s21, s3, 0xffff
	s_movk_i32 s55, 0x80
	buffer_load_dwordx4 v[6:9], v5, s[20:23], 0 offen
	buffer_load_dwordx4 v[10:13], v5, s[20:23], s55 offen
	buffer_load_dwordx4 v[14:17], v4, s[20:23], 0 offen
	buffer_load_dwordx4 v[18:21], v4, s[20:23], s55 offen
	v_and_b32_e32 v4, 6, v0
	v_lshlrev_b32_e32 v22, 2, v43
	v_lshlrev_b32_e32 v23, 3, v43
	v_xor_b32_e32 v26, v56, v4
	v_and_b32_e32 v5, 1, v0
	v_lshl_or_b32 v23, v46, 5, v23
	v_xor_b32_e32 v27, v46, v22
	v_lshlrev_b32_e32 v26, 2, v26
	v_or_b32_e32 v62, 0x9000, v23
	v_or_b32_e32 v63, 0x9800, v23
	v_lshlrev_b32_e32 v23, 1, v27
	v_xor_b32_e32 v27, 0x440, v26
	v_cmp_eq_u32_e32 vcc, 0, v5
	s_add_i32 s3, s40, s33
	s_add_i32 s16, s43, s42
	v_cndmask_b32_e32 v5, v27, v26, vcc
	s_add_i32 s37, s3, s41
	v_lshl_or_b32 v4, v4, 10, v5
	s_add_i32 s35, s16, s44
	s_lshl_b64 s[16:17], s[36:37], 2
	s_mov_b32 s56, 0x1000504
	v_lshlrev_b32_e32 v24, 8, v43
	s_mov_b32 s22, 0x8000
	v_xor_b32_e32 v22, v47, v22
	v_xor_b32_e32 v5, 8, v4
	s_add_u32 s3, s10, s16
	s_mov_b32 s57, 0x3020706
	v_or_b32_e32 v25, v1, v43
	v_lshlrev_b32_e32 v22, 1, v22
	v_or3_b32 v64, v23, v24, s22
	v_xor_b32_e32 v23, 24, v4
	v_xor_b32_e32 v26, 40, v4
	;; [unrolled: 1-line block ×3, first 2 shown]
	v_add_u32_e32 v5, 0x80, v5
	s_addc_u32 s20, s11, s17
	s_lshl_b64 s[16:17], s[34:35], 2
	v_lshlrev_b32_e32 v25, 3, v25
	v_or3_b32 v65, v22, v24, s22
	v_xor_b32_e32 v22, 16, v4
	v_xor_b32_e32 v24, 32, v4
	;; [unrolled: 1-line block ×3, first 2 shown]
	v_add_u32_e32 v23, 0x80, v23
	v_add_u32_e32 v26, 0x80, v26
	v_add_u32_e32 v28, 0x80, v28
	s_add_u32 s16, s3, s16
	s_movk_i32 s3, 0xf8
	s_addc_u32 s17, s20, s17
	v_ashrrev_i32_e32 v35, 31, v34
	s_lshl_b32 s26, s15, 7
	s_mov_b32 s58, 0
	v_mov_b32_e32 v79, 0x3fb8aa3b
	s_waitcnt vmcnt(1)
	v_perm_b32 v29, v6, v14, s56
	s_waitcnt vmcnt(0)
	v_perm_b32 v30, v10, v18, s56
	v_perm_b32 v6, v6, v14, s57
	;; [unrolled: 1-line block ×15, first 2 shown]
	ds_write2st64_b32 v4, v29, v30 offset1:32
	ds_write2st64_b32 v5, v6, v10 offset1:32
	ds_write2st64_b32 v22, v14, v18 offset0:1 offset1:33
	ds_write2st64_b32 v23, v7, v11 offset0:1 offset1:33
	;; [unrolled: 1-line block ×6, first 2 shown]
	v_lshrrev_b32_e32 v5, 5, v40
	v_and_or_b32 v5, v25, s3, v5
	v_lshlrev_b32_e32 v5, 4, v5
	v_lshlrev_b32_e32 v10, 11, v41
	v_and_b32_e32 v6, 0x78, v25
	v_or_b32_e32 v9, 32, v5
	v_and_b32_e32 v4, 0x1000, v10
	v_xor_b32_e32 v7, v5, v6
	v_lshrrev_b32_e32 v11, 1, v0
	v_xor_b32_e32 v9, v9, v6
	v_or_b32_e32 v7, v7, v4
	v_and_b32_e32 v8, 8, v11
	v_or_b32_e32 v9, v9, v4
	v_xor_b32_e32 v66, v7, v8
	v_and_b32_e32 v7, 0x78, v44
	v_xor_b32_e32 v68, v9, v8
	v_or_b32_e32 v9, 64, v5
	v_or_b32_e32 v5, 0x60, v5
	v_lshl_or_b32 v7, v42, 7, v7
	v_xor_b32_e32 v9, v9, v6
	v_xor_b32_e32 v5, v5, v6
	v_or_b32_e32 v67, 0x9000, v7
	v_or_b32_e32 v9, v9, v4
	;; [unrolled: 1-line block ×4, first 2 shown]
	v_lshrrev_b32_e32 v6, 4, v0
	v_lshlrev_b32_e32 v7, 1, v43
	v_xor_b32_e32 v69, v9, v8
	v_xor_b32_e32 v70, v4, v8
	s_ashr_i32 s3, s2, 31
	v_or_b32_e32 v8, 1, v7
	v_xor_b32_e32 v7, v6, v7
	s_lshl_b64 s[20:21], s[2:3], 8
	v_xor_b32_e32 v8, v8, v6
	v_lshlrev_b32_e32 v7, 3, v7
	v_lshlrev_b32_e32 v6, 8, v6
	v_lshl_add_u64 v[4:5], v[34:35], 1, s[8:9]
	s_add_u32 s20, s18, s20
	v_or3_b32 v35, v7, v6, s22
	v_lshlrev_b32_e32 v7, 3, v8
	s_addc_u32 s21, s19, s21
	v_or3_b32 v72, v7, v6, s22
	v_mov_b32_e32 v7, 0
	v_lshl_add_u64 v[8:9], s[20:21], 0, v[6:7]
	v_lshlrev_b32_e32 v6, 4, v43
	s_movk_i32 s3, 0xff
	v_lshlrev_b32_e32 v15, 3, v41
	v_and_b32_e32 v11, 24, v11
	v_lshl_add_u64 v[36:37], v[8:9], 0, v[6:7]
	v_and_b32_e32 v8, 8, v0
	v_cmp_lt_u32_e32 vcc, s3, v0
	v_xor_b32_e32 v16, v15, v11
	v_or_b32_e32 v17, 0x440, v16
	v_cndmask_b32_e64 v14, 0, 1, vcc
	v_cmp_eq_u32_e32 vcc, 0, v8
	v_and_b32_e32 v6, 7, v0
	v_lshlrev_b32_e32 v9, 3, v6
	v_cndmask_b32_e32 v8, v17, v16, vcc
	v_lshlrev_b32_e32 v6, 7, v6
	v_or_b32_e32 v8, v8, v10
	v_xad_u32 v73, v8, v9, v6
	v_or_b32_e32 v8, 32, v11
	v_xor_b32_e32 v8, v15, v8
	v_or_b32_e32 v16, 0x440, v8
	v_cndmask_b32_e32 v8, v16, v8, vcc
	v_or_b32_e32 v8, v8, v10
	v_xad_u32 v74, v8, v9, v6
	v_or_b32_e32 v8, 64, v11
	v_xor_b32_e32 v8, v15, v8
	v_xor_b32_e32 v16, 0x440, v8
	v_cndmask_b32_e32 v8, v16, v8, vcc
	v_or_b32_e32 v8, v8, v10
	v_xad_u32 v75, v8, v9, v6
	v_or_b32_e32 v8, 0x60, v11
	v_xor_b32_e32 v8, v15, v8
	v_xor_b32_e32 v11, 0x440, v8
	v_cndmask_b32_e32 v8, v11, v8, vcc
	v_or_b32_e32 v8, v8, v10
	v_lshlrev_b32_e32 v12, 1, v3
	v_add_lshl_u32 v3, v3, s15, 1
	v_or_b32_e32 v13, 0x100, v2
	v_lshlrev_b32_e32 v14, 13, v14
	v_xad_u32 v76, v8, v9, v6
	v_lshlrev_b32_e32 v6, 8, v46
	v_cndmask_b32_e64 v77, v12, v2, s[0:1]
	v_cndmask_b32_e64 v78, v3, v13, s[0:1]
	v_lshl_add_u64 v[38:39], v[4:5], 0, v[6:7]
	s_mov_b32 s3, 0x7060302
	s_movk_i32 s22, 0x4000
	v_add_u32_e32 v80, v14, v73
	v_add_u32_e32 v81, v14, v74
	;; [unrolled: 1-line block ×4, first 2 shown]
	s_waitcnt lgkmcnt(0)
	s_barrier
.LBB628_32:                             ; =>This Inner Loop Header: Depth=1
	s_add_i32 s35, s58, 1
	s_cmp_lt_i32 s35, s46
	s_mov_b64 s[24:25], 0
	s_cselect_b64 s[38:39], -1, 0
	s_cmp_ge_i32 s35, s46
	s_mov_b64 s[20:21], 0
	s_cbranch_scc1 .LBB628_34
; %bb.33:                               ;   in Loop: Header=BB628_32 Depth=1
	s_add_i32 s0, s53, 64
	s_ashr_i32 s1, s0, 31
	s_add_u32 s0, s51, s0
	s_addc_u32 s1, s50, s1
	s_lshl_b64 s[0:1], s[0:1], 8
	s_add_u32 s20, s6, s0
	s_addc_u32 s21, s7, s1
.LBB628_34:                             ;   in Loop: Header=BB628_32 Depth=1
	v_cndmask_b32_e64 v2, 0, 1, s[38:39]
	v_cmp_ne_u32_e64 s[0:1], 1, v2
	s_andn2_b64 vcc, exec, s[38:39]
	s_cbranch_vccnz .LBB628_36
; %bb.35:                               ;   in Loop: Header=BB628_32 Depth=1
	s_add_i32 s24, s53, 64
	s_mul_hi_i32 s25, s24, s14
	s_mul_i32 s24, s24, s14
	s_add_u32 s24, s24, s49
	s_addc_u32 s25, s25, s54
	s_lshl_b64 s[24:25], s[24:25], 8
	s_add_u32 s24, s4, s24
	s_addc_u32 s25, s5, s25
.LBB628_36:                             ;   in Loop: Header=BB628_32 Depth=1
	v_perm_b32 v3, v54, v52, s3
	v_perm_b32 v2, v48, v50, s3
	;; [unrolled: 1-line block ×4, first 2 shown]
	ds_write_b64 v62, v[2:3]
	ds_write_b64 v63, v[4:5]
	;; [unrolled: 1-line block ×4, first 2 shown]
	s_waitcnt lgkmcnt(0)
	s_barrier
	ds_read_b64 v[10:11], v66 offset:16384
	ds_read_b64 v[12:13], v68 offset:16384
	ds_read2st64_b64 v[2:5], v67 offset1:1
	s_waitcnt lgkmcnt(0)
	v_mfma_f32_16x16x16_bf16 a[0:3], v[10:11], v[2:3], 0
	ds_read2st64_b64 v[6:9], v67 offset0:2 offset1:3
	ds_read_b64 v[14:15], v69 offset:16384
	ds_read_b64 v[2:3], v70 offset:16384
	s_add_i32 s27, s53, 63
	v_mfma_f32_16x16x16_bf16 a[0:3], v[12:13], v[4:5], a[0:3]
	s_ashr_i32 s37, s27, 31
	s_mul_i32 s38, s27, s29
	s_mul_hi_u32 s39, s27, s28
	s_waitcnt lgkmcnt(1)
	v_mfma_f32_16x16x16_bf16 a[0:3], v[14:15], v[6:7], a[0:3]
	s_add_i32 s38, s39, s38
	s_mul_i32 s37, s37, s28
	s_add_i32 s39, s38, s37
	s_mul_i32 s38, s27, s28
	s_waitcnt lgkmcnt(0)
	v_mfma_f32_16x16x16_bf16 a[0:3], v[2:3], v[8:9], a[0:3]
	s_lshl_b64 s[38:39], s[38:39], 2
	s_add_u32 s38, s16, s38
	s_addc_u32 s39, s17, s39
	s_and_b64 vcc, exec, s[0:1]
	v_mov_b32_e32 v86, 0
	v_mov_b32_e32 v85, 0
	v_mov_b32_e32 v84, 0
	v_mov_b32_e32 v2, 0
	v_mov_b32_e32 v3, 0
	v_mov_b32_e32 v4, 0
	v_mov_b32_e32 v5, 0
	v_mov_b32_e32 v6, 0
	v_mov_b32_e32 v7, 0
	v_mov_b32_e32 v8, 0
	v_mov_b32_e32 v9, 0
	v_mov_b32_e32 v10, 0
	v_mov_b32_e32 v11, 0
	v_mov_b32_e32 v12, 0
	v_mov_b32_e32 v13, 0
	v_mov_b32_e32 v14, 0
	v_mov_b32_e32 v15, 0
	v_mov_b32_e32 v16, 0
	v_mov_b32_e32 v17, 0
	s_cbranch_vccnz .LBB628_38
; %bb.37:                               ;   in Loop: Header=BB628_32 Depth=1
	s_and_b32 s21, s21, 0xffff
	buffer_load_dwordx4 v[14:17], v58, s[20:23], 0 offen
	buffer_load_dwordx4 v[10:13], v58, s[20:23], s55 offen
	;; [unrolled: 1-line block ×4, first 2 shown]
	v_mov_b32_e32 v85, v60
	v_mov_b32_e32 v84, v61
.LBB628_38:                             ;   in Loop: Header=BB628_32 Depth=1
	s_waitcnt vmcnt(3)
	v_add_u32_e32 v22, s53, v46
	s_waitcnt vmcnt(1)
	v_ashrrev_i32_e32 v18, 31, v22
	v_mul_lo_u32 v20, v18, s28
	v_mul_lo_u32 v21, v22, s29
	v_mad_u64_u32 v[18:19], s[20:21], v22, s28, 0
	v_add3_u32 v19, v19, v21, v20
	v_lshl_add_u64 v[18:19], v[18:19], 2, s[16:17]
	global_load_dword v92, v[18:19], off
	v_add_u32_e32 v18, 1, v22
	v_ashrrev_i32_e32 v19, 31, v18
	v_mul_lo_u32 v20, v19, s28
	v_mul_lo_u32 v21, v18, s29
	v_mad_u64_u32 v[18:19], s[20:21], v18, s28, 0
	v_add3_u32 v19, v19, v21, v20
	v_add_u32_e32 v20, 2, v22
	v_ashrrev_i32_e32 v21, 31, v20
	v_mul_lo_u32 v23, v21, s28
	v_mul_lo_u32 v24, v20, s29
	v_mad_u64_u32 v[20:21], s[20:21], v20, s28, 0
	v_add_u32_e32 v22, 3, v22
	v_add3_u32 v21, v21, v24, v23
	v_ashrrev_i32_e32 v23, 31, v22
	v_mul_lo_u32 v26, v23, s28
	v_mul_lo_u32 v27, v22, s29
	v_mad_u64_u32 v[22:23], s[20:21], v22, s28, 0
	s_ashr_i32 s21, s53, 31
	s_add_u32 s20, s51, s53
	s_addc_u32 s21, s50, s21
	s_lshl_b64 s[20:21], s[20:21], 8
	v_lshl_add_u64 v[18:19], v[18:19], 2, s[16:17]
	v_lshl_add_u64 v[24:25], v[38:39], 0, s[20:21]
	v_add3_u32 v23, v23, v27, v26
	v_lshl_add_u64 v[20:21], v[20:21], 2, s[16:17]
	global_load_ushort v93, v[24:25], off
	global_load_ushort v94, v[24:25], off offset:256
	global_load_ushort v95, v[24:25], off offset:512
	;; [unrolled: 1-line block ×3, first 2 shown]
	v_lshl_add_u64 v[22:23], v[22:23], 2, s[16:17]
	global_load_dword v97, v[18:19], off
	global_load_dword v98, v[20:21], off
	global_load_dword v99, v[22:23], off
	s_load_dword s20, s[38:39], 0x0
	ds_read_b64 v[26:27], v66 offset:24576
	ds_read2st64_b64 v[22:25], v71 offset1:1
	ds_read2st64_b64 v[28:31], v71 offset0:2 offset1:3
	ds_read_b64 v[32:33], v68 offset:24576
	ds_read_b64 v[88:89], v69 offset:24576
	;; [unrolled: 1-line block ×3, first 2 shown]
	s_waitcnt lgkmcnt(0)
	v_mfma_f32_16x16x16_bf16 a[0:3], v[26:27], v[22:23], a[0:3]
	v_mov_b32_e32 v87, 0
	v_mov_b32_e32 v18, 0
	v_mov_b32_e32 v19, 0
	v_mfma_f32_16x16x16_bf16 a[0:3], v[32:33], v[24:25], a[0:3]
	v_mov_b32_e32 v20, 0
	v_mov_b32_e32 v21, 0
	v_mov_b32_e32 v22, 0
	;; [unrolled: 4-line block ×4, first 2 shown]
	s_and_b64 vcc, exec, s[0:1]
	s_waitcnt vmcnt(7)
	v_sub_f32_e32 v29, s20, v92
	v_mul_f32_e32 v29, 0x3fb8aa3b, v29
	v_exp_f32_e32 v92, v29
	v_accvgpr_read_b32 v33, a1
	v_accvgpr_read_b32 v31, a3
	v_accvgpr_read_b32 v30, a2
	v_accvgpr_read_b32 v32, a0
	s_waitcnt vmcnt(6)
	v_lshlrev_b32_e32 v88, 16, v93
	s_waitcnt vmcnt(5)
	v_lshlrev_b32_e32 v89, 16, v94
	;; [unrolled: 2-line block ×3, first 2 shown]
	s_waitcnt vmcnt(2)
	v_sub_f32_e32 v93, s20, v97
	s_waitcnt vmcnt(1)
	v_sub_f32_e32 v94, s20, v98
	;; [unrolled: 2-line block ×3, first 2 shown]
	v_mul_f32_e32 v29, 0x3fb8aa3b, v93
	v_mul_f32_e32 v94, 0x3fb8aa3b, v94
	v_mul_f32_e32 v95, 0x3fb8aa3b, v95
	v_exp_f32_e32 v93, v29
	v_exp_f32_e32 v94, v94
	;; [unrolled: 1-line block ×3, first 2 shown]
	v_lshlrev_b32_e32 v91, 16, v96
	v_pk_add_f32 v[32:33], v[88:89], v[32:33] neg_lo:[0,1] neg_hi:[0,1]
	v_pk_add_f32 v[30:31], v[90:91], v[30:31] neg_lo:[0,1] neg_hi:[0,1]
	v_pk_mul_f32 v[32:33], v[92:93], v[32:33]
	v_pk_mul_f32 v[30:31], v[94:95], v[30:31]
	v_mov_b32_e32 v29, 0
	v_perm_b32 v31, v31, v30, s3
	v_perm_b32 v30, v33, v32, s3
	ds_write_b64 v63, v[30:31]
	v_mov_b32_e32 v30, 0
	v_mov_b32_e32 v31, 0
	;; [unrolled: 1-line block ×4, first 2 shown]
	s_cbranch_vccnz .LBB628_40
; %bb.39:                               ;   in Loop: Header=BB628_32 Depth=1
	s_and_b32 s25, s25, 0xffff
	s_mov_b32 s27, s23
	buffer_load_dwordx4 v[30:33], v77, s[24:27], 0 offen
	buffer_load_dwordx4 v[22:25], v77, s[24:27], s55 offen
	;; [unrolled: 1-line block ×4, first 2 shown]
	v_mov_b32_e32 v86, v57
	v_mov_b32_e32 v87, v56
.LBB628_40:                             ;   in Loop: Header=BB628_32 Depth=1
	s_waitcnt lgkmcnt(0)
	s_barrier
	ds_read_b64 v[96:97], v80
	ds_read2st64_b64 v[88:91], v71 offset1:1
	ds_read2st64_b64 v[92:95], v71 offset0:2 offset1:3
	ds_read_b64 v[98:99], v81
	ds_read_b64 v[100:101], v82
	;; [unrolled: 1-line block ×3, first 2 shown]
	s_waitcnt lgkmcnt(4)
	v_mfma_f32_16x16x16_bf16 a[0:3], v[96:97], v[88:89], 0
	ds_read_b64 v[96:97], v73 offset:8192
	ds_read_b64 v[104:105], v74 offset:8192
	s_add_i32 s21, s52, s58
	s_mul_hi_i32 s25, s21, s13
	s_waitcnt lgkmcnt(1)
	v_mfma_f32_16x16x16_bf16 a[4:7], v[96:97], v[88:89], 0
	s_mul_i32 s21, s21, s13
	s_add_u32 s24, s21, s45
	s_addc_u32 s25, s25, s47
	v_mfma_f32_16x16x16_bf16 a[0:3], v[98:99], v[90:91], a[0:3]
	ds_read_b64 v[96:97], v35
	ds_read_b64 v[98:99], v72
	ds_read_b64 v[88:89], v75 offset:8192
	s_lshl_b64 s[24:25], s[24:25], 15
	v_mfma_f32_16x16x16_bf16 a[0:3], v[100:101], v[92:93], a[0:3]
	ds_read_b64 v[100:101], v76 offset:8192
	s_and_b64 vcc, exec, s[0:1]
	s_waitcnt lgkmcnt(4)
	v_mfma_f32_16x16x16_bf16 a[4:7], v[104:105], v[90:91], a[4:7]
	s_waitcnt lgkmcnt(1)
	v_mfma_f32_16x16x16_bf16 a[4:7], v[88:89], v[92:93], a[4:7]
	v_lshl_add_u64 v[88:89], v[36:37], 0, s[24:25]
	global_store_dwordx4 v[88:89], v[96:99], off
	v_mfma_f32_16x16x16_bf16 a[0:3], v[102:103], v[94:95], a[0:3]
	s_waitcnt lgkmcnt(0)
	v_mfma_f32_16x16x16_bf16 a[4:7], v[100:101], v[94:95], a[4:7]
	s_cbranch_vccnz .LBB628_42
; %bb.41:                               ;   in Loop: Header=BB628_32 Depth=1
	v_lshrrev_b32_e32 v88, 3, v86
	v_and_b32_e32 v88, 6, v88
	v_xor_b32_e32 v87, v88, v87
	v_lshlrev_b32_e32 v87, 2, v87
	v_and_b32_e32 v86, 8, v86
	v_xor_b32_e32 v89, 0x440, v87
	v_cmp_eq_u32_e32 vcc, 0, v86
	s_barrier
	s_nop 0
	v_cndmask_b32_e32 v86, v89, v87, vcc
	v_lshl_or_b32 v86, v88, 10, v86
	s_waitcnt vmcnt(2)
	v_perm_b32 v87, v30, v26, s56
	s_waitcnt vmcnt(1)
	v_perm_b32 v88, v22, v18, s56
	ds_write2st64_b32 v86, v87, v88 offset1:32
	v_xor_b32_e32 v87, 8, v86
	v_perm_b32 v26, v30, v26, s57
	v_perm_b32 v18, v22, v18, s57
	v_add_u32_e32 v22, 0x80, v87
	ds_write2st64_b32 v22, v26, v18 offset1:32
	v_xor_b32_e32 v18, 16, v86
	v_perm_b32 v22, v31, v27, s56
	v_perm_b32 v26, v23, v19, s56
	ds_write2st64_b32 v18, v22, v26 offset0:1 offset1:33
	v_xor_b32_e32 v18, 24, v86
	v_perm_b32 v22, v31, v27, s57
	v_perm_b32 v19, v23, v19, s57
	v_add_u32_e32 v18, 0x80, v18
	ds_write2st64_b32 v18, v22, v19 offset0:1 offset1:33
	v_xor_b32_e32 v18, 32, v86
	v_perm_b32 v19, v32, v28, s56
	v_perm_b32 v22, v24, v20, s56
	ds_write2st64_b32 v18, v19, v22 offset0:2 offset1:34
	v_xor_b32_e32 v18, 40, v86
	v_perm_b32 v19, v32, v28, s57
	v_perm_b32 v20, v24, v20, s57
	v_add_u32_e32 v18, 0x80, v18
	ds_write2st64_b32 v18, v19, v20 offset0:2 offset1:34
	;; [unrolled: 9-line block ×3, first 2 shown]
	ds_write_b64 v85, v[14:15] offset:16384
	v_xor_b32_e32 v14, 8, v85
	ds_write_b64 v14, v[16:17] offset:16384
	ds_write_b64 v85, v[10:11] offset:24576
	;; [unrolled: 1-line block ×4, first 2 shown]
	v_xor_b32_e32 v6, 8, v84
	ds_write_b64 v6, v[8:9] offset:16384
	ds_write_b64 v84, v[2:3] offset:24576
	;; [unrolled: 1-line block ×3, first 2 shown]
.LBB628_42:                             ;   in Loop: Header=BB628_32 Depth=1
	v_mul_f32_e32 v2, s20, v79
	v_exp_f32_e32 v4, v2
	s_nop 1
	v_accvgpr_read_b32 v2, a0
	v_accvgpr_read_b32 v3, a1
	s_add_i32 s53, s53, 64
	v_fma_f32 v50, v50, v4, v2
	v_accvgpr_read_b32 v2, a2
	v_fma_f32 v52, v52, v4, v2
	v_accvgpr_read_b32 v2, a4
	;; [unrolled: 2-line block ×6, first 2 shown]
	v_fmac_f32_e32 v3, v54, v4
	s_cmp_eq_u32 s46, s35
	v_fmac_f32_e32 v2, v55, v4
	s_cbranch_scc1 .LBB628_4
; %bb.43:                               ;   in Loop: Header=BB628_32 Depth=1
	s_mov_b32 s58, s35
	v_mov_b32_e32 v54, v3
	v_mov_b32_e32 v55, v2
	s_branch .LBB628_32
.LBB628_44:
                                        ; implicit-def: $vgpr5
                                        ; implicit-def: $vgpr9
                                        ; implicit-def: $vgpr13
                                        ; implicit-def: $vgpr17
	s_cbranch_execz .LBB628_46
; %bb.45:
	s_waitcnt vmcnt(0)
	v_mad_u64_u32 v[2:3], s[0:1], v20, s15, v[18:19]
	v_lshlrev_b32_e32 v20, 1, v2
	s_lshl_b32 s2, s15, 7
	s_and_b32 s1, s5, 0xffff
	s_mov_b32 s3, 0x20000
	s_mov_b32 s0, s4
	v_add_lshl_u32 v21, v2, s15, 1
	s_movk_i32 s13, 0x80
	buffer_load_dwordx4 v[2:5], v20, s[0:3], 0 offen
	buffer_load_dwordx4 v[10:13], v20, s[0:3], s13 offen
	;; [unrolled: 1-line block ×4, first 2 shown]
.LBB628_46:
	v_lshrrev_b32_e32 v38, 2, v40
	s_cbranch_execnz .LBB628_59
.LBB628_47:
	s_and_b64 vcc, exec, s[6:7]
	s_cbranch_vccz .LBB628_57
; %bb.48:
	s_waitcnt vmcnt(0)
	v_lshlrev_b32_e32 v7, 1, v35
	v_cmp_gt_i32_e32 vcc, s27, v7
	v_mov_b32_e32 v6, 0
	v_lshlrev_b32_e32 v14, 9, v35
	v_mov_b32_e32 v2, 0
	v_mov_b32_e32 v3, 0
	;; [unrolled: 1-line block ×4, first 2 shown]
	s_and_saveexec_b64 s[0:1], vcc
	s_cbranch_execz .LBB628_50
; %bb.49:
	v_mov_b32_e32 v15, 0
	v_lshl_add_u64 v[2:3], s[4:5], 0, v[14:15]
	v_lshlrev_b32_e32 v4, 1, v18
	v_mov_b32_e32 v5, v15
	v_lshl_add_u64 v[2:3], v[2:3], 0, v[4:5]
	global_load_dwordx4 v[2:5], v[2:3], off
.LBB628_50:
	s_or_b64 exec, exec, s[0:1]
	v_or_b32_e32 v7, 1, v7
	v_cmp_gt_i32_e64 s[0:1], s27, v7
	v_lshlrev_b32_e32 v20, 8, v7
	v_mov_b32_e32 v7, 0
	v_mov_b32_e32 v8, 0
	;; [unrolled: 1-line block ×3, first 2 shown]
	s_and_saveexec_b64 s[2:3], s[0:1]
	s_cbranch_execz .LBB628_52
; %bb.51:
	v_mov_b32_e32 v21, 0
	v_lshl_add_u64 v[6:7], s[4:5], 0, v[20:21]
	v_lshlrev_b32_e32 v8, 1, v18
	v_mov_b32_e32 v9, v21
	v_lshl_add_u64 v[6:7], v[6:7], 0, v[8:9]
	global_load_dwordx4 v[6:9], v[6:7], off
.LBB628_52:
	s_or_b64 exec, exec, s[2:3]
	v_mov_b32_e32 v17, 0
	v_mov_b32_e32 v10, 0
	;; [unrolled: 1-line block ×5, first 2 shown]
	s_and_saveexec_b64 s[2:3], vcc
	s_cbranch_execz .LBB628_54
; %bb.53:
	v_mov_b32_e32 v15, 0
	v_lshl_add_u64 v[10:11], s[4:5], 0, v[14:15]
	v_lshlrev_b32_e32 v14, 1, v18
	v_lshl_add_u64 v[10:11], v[10:11], 0, v[14:15]
	global_load_dwordx4 v[10:13], v[10:11], off offset:128
.LBB628_54:
	s_or_b64 exec, exec, s[2:3]
	v_mov_b32_e32 v16, 0
	v_mov_b32_e32 v15, 0
	;; [unrolled: 1-line block ×3, first 2 shown]
	s_and_saveexec_b64 s[2:3], s[0:1]
	s_cbranch_execz .LBB628_56
; %bb.55:
	v_mov_b32_e32 v21, 0
	v_lshl_add_u64 v[14:15], s[4:5], 0, v[20:21]
	v_lshlrev_b32_e32 v20, 1, v18
	v_lshl_add_u64 v[14:15], v[14:15], 0, v[20:21]
	global_load_dwordx4 v[14:17], v[14:15], off offset:128
.LBB628_56:
	s_or_b64 exec, exec, s[2:3]
	s_branch .LBB628_59
.LBB628_57:
                                        ; implicit-def: $vgpr5
                                        ; implicit-def: $vgpr9
                                        ; implicit-def: $vgpr13
                                        ; implicit-def: $vgpr17
	s_cbranch_execz .LBB628_59
; %bb.58:
	s_waitcnt vmcnt(0)
	v_lshlrev_b32_e32 v2, 1, v18
	v_lshl_or_b32 v18, v35, 9, v2
	s_and_b32 s5, s5, 0xffff
	s_mov_b32 s7, 0x20000
	s_movk_i32 s6, 0x4000
	s_movk_i32 s0, 0x80
	buffer_load_dwordx4 v[2:5], v18, s[4:7], 0 offen
	buffer_load_dwordx4 v[6:9], v18, s[4:7], 0 offen offset:256
	buffer_load_dwordx4 v[10:13], v18, s[4:7], s0 offen
	buffer_load_dwordx4 v[14:17], v18, s[4:7], s0 offen offset:256
.LBB628_59:
	ds_read2st64_b64 v[22:25], v19 offset0:76 offset1:77
	ds_read2st64_b64 v[18:21], v19 offset0:78 offset1:79
	ds_read_b64 v[30:31], v26 offset:24576
	ds_read_b64 v[32:33], v27 offset:24576
	;; [unrolled: 1-line block ×4, first 2 shown]
	v_and_b32_e32 v37, 6, v0
	v_xor_b32_e32 v35, v35, v37
	v_lshlrev_b32_e32 v35, 2, v35
	v_and_b32_e32 v0, 1, v0
	v_xor_b32_e32 v39, 0x440, v35
	v_cmp_eq_u32_e32 vcc, 0, v0
	s_mov_b32 s0, 0x1000504
	s_mov_b32 s1, 0x3020706
	v_cndmask_b32_e32 v0, v39, v35, vcc
	v_lshl_or_b32 v0, v37, 10, v0
	s_waitcnt vmcnt(0)
	v_perm_b32 v35, v2, v6, s0
	v_perm_b32 v37, v10, v14, s0
	ds_write2st64_b32 v0, v35, v37 offset1:32
	v_xor_b32_e32 v35, 8, v0
	v_perm_b32 v2, v2, v6, s1
	v_perm_b32 v6, v10, v14, s1
	v_add_u32_e32 v10, 0x80, v35
	ds_write2st64_b32 v10, v2, v6 offset1:32
	v_xor_b32_e32 v2, 16, v0
	v_perm_b32 v6, v3, v7, s0
	v_perm_b32 v10, v11, v15, s0
	ds_write2st64_b32 v2, v6, v10 offset0:1 offset1:33
	v_xor_b32_e32 v2, 24, v0
	v_perm_b32 v3, v3, v7, s1
	v_perm_b32 v6, v11, v15, s1
	v_add_u32_e32 v2, 0x80, v2
	ds_write2st64_b32 v2, v3, v6 offset0:1 offset1:33
	v_xor_b32_e32 v2, 32, v0
	v_perm_b32 v3, v4, v8, s0
	v_perm_b32 v6, v12, v16, s0
	ds_write2st64_b32 v2, v3, v6 offset0:2 offset1:34
	v_xor_b32_e32 v2, 40, v0
	v_perm_b32 v3, v4, v8, s1
	v_perm_b32 v4, v12, v16, s1
	v_add_u32_e32 v2, 0x80, v2
	ds_write2st64_b32 v2, v3, v4 offset0:2 offset1:34
	v_xor_b32_e32 v2, 48, v0
	v_perm_b32 v3, v5, v9, s0
	v_perm_b32 v4, v13, v17, s0
	v_xor_b32_e32 v0, 56, v0
	v_and_or_b32 v6, v38, 12, v1
	ds_write2st64_b32 v2, v3, v4 offset0:3 offset1:35
	v_perm_b32 v2, v5, v9, s1
	v_perm_b32 v3, v13, v17, s1
	v_add_u32_e32 v0, 0x80, v0
	v_cmp_gt_i32_e32 vcc, s27, v6
	v_mov_b32_e32 v7, 0
	v_mov_b32_e32 v11, 0
	ds_write2st64_b32 v0, v2, v3 offset0:3 offset1:35
	s_and_saveexec_b64 s[0:1], vcc
	s_cbranch_execz .LBB628_61
; %bb.60:
	v_add_u32_e32 v0, s26, v6
	v_ashrrev_i32_e32 v1, 31, v0
	v_mul_lo_u32 v2, v1, s28
	v_mul_lo_u32 v3, v0, s29
	v_mad_u64_u32 v[0:1], s[2:3], v0, s28, 0
	v_add3_u32 v1, v1, v3, v2
	v_lshl_add_u64 v[0:1], v[0:1], 2, s[10:11]
	global_load_dword v0, v[0:1], off
	s_waitcnt vmcnt(0)
	v_sub_f32_e32 v0, s12, v0
	v_mul_f32_e32 v0, 0x3fb8aa3b, v0
	v_exp_f32_e32 v11, v0
.LBB628_61:
	s_or_b64 exec, exec, s[0:1]
	v_or_b32_e32 v9, 1, v6
	v_cmp_gt_i32_e64 s[0:1], s27, v9
	s_and_saveexec_b64 s[2:3], s[0:1]
	s_cbranch_execz .LBB628_63
; %bb.62:
	v_add_u32_e32 v0, s26, v9
	v_ashrrev_i32_e32 v1, 31, v0
	v_mul_lo_u32 v2, v1, s28
	v_mul_lo_u32 v3, v0, s29
	v_mad_u64_u32 v[0:1], s[4:5], v0, s28, 0
	v_add3_u32 v1, v1, v3, v2
	v_lshl_add_u64 v[0:1], v[0:1], 2, s[10:11]
	global_load_dword v0, v[0:1], off
	s_waitcnt vmcnt(0)
	v_sub_f32_e32 v0, s12, v0
	v_mul_f32_e32 v0, 0x3fb8aa3b, v0
	v_exp_f32_e32 v7, v0
.LBB628_63:
	s_or_b64 exec, exec, s[2:3]
	v_or_b32_e32 v10, 2, v6
	v_cmp_gt_i32_e64 s[2:3], s27, v10
	v_mov_b32_e32 v8, 0
	v_mov_b32_e32 v13, 0
	s_and_saveexec_b64 s[4:5], s[2:3]
	s_cbranch_execz .LBB628_65
; %bb.64:
	v_add_u32_e32 v0, s26, v10
	v_ashrrev_i32_e32 v1, 31, v0
	v_mul_lo_u32 v2, v1, s28
	v_mul_lo_u32 v3, v0, s29
	v_mad_u64_u32 v[0:1], s[6:7], v0, s28, 0
	v_add3_u32 v1, v1, v3, v2
	v_lshl_add_u64 v[0:1], v[0:1], 2, s[10:11]
	global_load_dword v0, v[0:1], off
	s_waitcnt vmcnt(0)
	v_sub_f32_e32 v0, s12, v0
	v_mul_f32_e32 v0, 0x3fb8aa3b, v0
	v_exp_f32_e32 v13, v0
.LBB628_65:
	s_or_b64 exec, exec, s[4:5]
	v_or_b32_e32 v12, 3, v6
	v_cmp_gt_i32_e64 s[4:5], s27, v12
	s_and_saveexec_b64 s[6:7], s[4:5]
	s_cbranch_execz .LBB628_67
; %bb.66:
	v_add_u32_e32 v0, s26, v12
	v_ashrrev_i32_e32 v1, 31, v0
	v_mul_lo_u32 v2, v1, s28
	v_mul_lo_u32 v3, v0, s29
	v_mad_u64_u32 v[0:1], s[14:15], v0, s28, 0
	v_add3_u32 v1, v1, v3, v2
	v_lshl_add_u64 v[0:1], v[0:1], 2, s[10:11]
	global_load_dword v0, v[0:1], off
	s_waitcnt vmcnt(0)
	v_sub_f32_e32 v0, s12, v0
	v_mul_f32_e32 v0, 0x3fb8aa3b, v0
	v_exp_f32_e32 v8, v0
.LBB628_67:
	s_or_b64 exec, exec, s[6:7]
	s_waitcnt lgkmcnt(11)
	v_mfma_f32_16x16x16_bf16 a[0:3], v[30:31], v[22:23], a[0:3]
	s_add_u32 s6, s8, s20
	v_ashrrev_i32_e32 v35, 31, v34
	s_addc_u32 s7, s9, s21
	s_waitcnt lgkmcnt(10)
	v_mfma_f32_16x16x16_bf16 a[0:3], v[32:33], v[24:25], a[0:3]
	v_mov_b32_e32 v14, 0
	v_lshl_add_u64 v[4:5], v[34:35], 1, s[6:7]
	v_mov_b32_e32 v15, 0
	s_waitcnt lgkmcnt(9)
	v_mfma_f32_16x16x16_bf16 a[0:3], v[28:29], v[18:19], a[0:3]
	s_waitcnt lgkmcnt(8)
	v_mfma_f32_16x16x16_bf16 a[0:3], v[26:27], v[20:21], a[0:3]
	s_nop 6
	v_accvgpr_read_b32 v0, a0
	v_accvgpr_read_b32 v1, a1
	;; [unrolled: 1-line block ×4, first 2 shown]
	s_and_saveexec_b64 s[6:7], vcc
	s_cbranch_execz .LBB628_69
; %bb.68:
	v_lshlrev_b32_e32 v16, 8, v6
	v_mov_b32_e32 v17, 0
	v_lshl_add_u64 v[16:17], v[4:5], 0, v[16:17]
	global_load_ushort v15, v[16:17], off
	s_waitcnt vmcnt(0)
	v_lshlrev_b32_e32 v15, 16, v15
	v_sub_f32_e32 v0, v15, v0
	v_mul_f32_e32 v0, v11, v0
	v_lshrrev_b32_e32 v15, 16, v0
.LBB628_69:
	s_or_b64 exec, exec, s[6:7]
	s_and_saveexec_b64 s[6:7], s[0:1]
	s_cbranch_execz .LBB628_71
; %bb.70:
	v_lshlrev_b32_e32 v16, 8, v9
	v_mov_b32_e32 v17, 0
	v_lshl_add_u64 v[16:17], v[4:5], 0, v[16:17]
	global_load_ushort v0, v[16:17], off
	s_waitcnt vmcnt(0)
	v_lshlrev_b32_e32 v0, 16, v0
	v_sub_f32_e32 v0, v0, v1
	v_mul_f32_e32 v0, v7, v0
	v_lshrrev_b32_e32 v14, 16, v0
.LBB628_71:
	s_or_b64 exec, exec, s[6:7]
	v_mov_b32_e32 v0, 0
	v_mov_b32_e32 v1, 0
	s_and_saveexec_b64 s[0:1], s[2:3]
	s_cbranch_execz .LBB628_73
; %bb.72:
	v_lshlrev_b32_e32 v10, 8, v10
	v_mov_b32_e32 v11, 0
	v_lshl_add_u64 v[10:11], v[4:5], 0, v[10:11]
	global_load_ushort v1, v[10:11], off
	s_waitcnt vmcnt(0)
	v_lshlrev_b32_e32 v1, 16, v1
	v_sub_f32_e32 v1, v1, v2
	v_mul_f32_e32 v1, v13, v1
	v_lshrrev_b32_e32 v1, 16, v1
.LBB628_73:
	s_or_b64 exec, exec, s[0:1]
	s_and_saveexec_b64 s[0:1], s[4:5]
	s_cbranch_execz .LBB628_75
; %bb.74:
	v_lshlrev_b32_e32 v10, 8, v12
	v_mov_b32_e32 v11, 0
	v_lshl_add_u64 v[4:5], v[4:5], 0, v[10:11]
	global_load_ushort v0, v[4:5], off
	s_waitcnt vmcnt(0)
	v_lshlrev_b32_e32 v0, 16, v0
	v_sub_f32_e32 v0, v0, v3
	v_mul_f32_e32 v0, v8, v0
	v_lshrrev_b32_e32 v0, 16, v0
.LBB628_75:
	s_or_b64 exec, exec, s[0:1]
	s_mov_b32 s0, 0x5040100
	v_lshlrev_b32_e32 v2, 1, v36
	v_perm_b32 v1, v0, v1, s0
	v_perm_b32 v0, v14, v15, s0
	v_lshl_or_b32 v2, v6, 5, v2
	ds_write_b64 v2, v[0:1] offset:38912
	s_waitcnt lgkmcnt(0)
	s_barrier
.LBB628_76:
	s_endpgm
	.section	.rodata,"a",@progbits
	.p2align	6, 0x0
	.amdhsa_kernel _ZN12_GLOBAL__N_139chunk_gated_delta_rule_fwd_h_hip_kernelILi16ELb1ELb0ELb0ELb1ELb0ELb0ELb0ELb1EEEvPK12hip_bfloat16S3_S3_PKfS5_PKvPS1_S8_PvPKiSB_iiiiilll
		.amdhsa_group_segment_fixed_size 40960
		.amdhsa_private_segment_fixed_size 0
		.amdhsa_kernarg_size 136
		.amdhsa_user_sgpr_count 2
		.amdhsa_user_sgpr_dispatch_ptr 0
		.amdhsa_user_sgpr_queue_ptr 0
		.amdhsa_user_sgpr_kernarg_segment_ptr 1
		.amdhsa_user_sgpr_dispatch_id 0
		.amdhsa_user_sgpr_kernarg_preload_length 0
		.amdhsa_user_sgpr_kernarg_preload_offset 0
		.amdhsa_user_sgpr_private_segment_size 0
		.amdhsa_uses_dynamic_stack 0
		.amdhsa_enable_private_segment 0
		.amdhsa_system_sgpr_workgroup_id_x 1
		.amdhsa_system_sgpr_workgroup_id_y 1
		.amdhsa_system_sgpr_workgroup_id_z 0
		.amdhsa_system_sgpr_workgroup_info 0
		.amdhsa_system_vgpr_workitem_id 0
		.amdhsa_next_free_vgpr 116
		.amdhsa_next_free_sgpr 59
		.amdhsa_accum_offset 108
		.amdhsa_reserve_vcc 1
		.amdhsa_float_round_mode_32 0
		.amdhsa_float_round_mode_16_64 0
		.amdhsa_float_denorm_mode_32 3
		.amdhsa_float_denorm_mode_16_64 3
		.amdhsa_dx10_clamp 1
		.amdhsa_ieee_mode 1
		.amdhsa_fp16_overflow 0
		.amdhsa_tg_split 0
		.amdhsa_exception_fp_ieee_invalid_op 0
		.amdhsa_exception_fp_denorm_src 0
		.amdhsa_exception_fp_ieee_div_zero 0
		.amdhsa_exception_fp_ieee_overflow 0
		.amdhsa_exception_fp_ieee_underflow 0
		.amdhsa_exception_fp_ieee_inexact 0
		.amdhsa_exception_int_div_zero 0
	.end_amdhsa_kernel
	.section	.text._ZN12_GLOBAL__N_139chunk_gated_delta_rule_fwd_h_hip_kernelILi16ELb1ELb0ELb0ELb1ELb0ELb0ELb0ELb1EEEvPK12hip_bfloat16S3_S3_PKfS5_PKvPS1_S8_PvPKiSB_iiiiilll,"axG",@progbits,_ZN12_GLOBAL__N_139chunk_gated_delta_rule_fwd_h_hip_kernelILi16ELb1ELb0ELb0ELb1ELb0ELb0ELb0ELb1EEEvPK12hip_bfloat16S3_S3_PKfS5_PKvPS1_S8_PvPKiSB_iiiiilll,comdat
.Lfunc_end628:
	.size	_ZN12_GLOBAL__N_139chunk_gated_delta_rule_fwd_h_hip_kernelILi16ELb1ELb0ELb0ELb1ELb0ELb0ELb0ELb1EEEvPK12hip_bfloat16S3_S3_PKfS5_PKvPS1_S8_PvPKiSB_iiiiilll, .Lfunc_end628-_ZN12_GLOBAL__N_139chunk_gated_delta_rule_fwd_h_hip_kernelILi16ELb1ELb0ELb0ELb1ELb0ELb0ELb0ELb1EEEvPK12hip_bfloat16S3_S3_PKfS5_PKvPS1_S8_PvPKiSB_iiiiilll
                                        ; -- End function
	.section	.AMDGPU.csdata,"",@progbits
; Kernel info:
; codeLenInByte = 7124
; NumSgprs: 65
; NumVgprs: 106
; NumAgprs: 8
; TotalNumVgprs: 116
; ScratchSize: 0
; MemoryBound: 0
; FloatMode: 240
; IeeeMode: 1
; LDSByteSize: 40960 bytes/workgroup (compile time only)
; SGPRBlocks: 8
; VGPRBlocks: 14
; NumSGPRsForWavesPerEU: 65
; NumVGPRsForWavesPerEU: 116
; AccumOffset: 108
; Occupancy: 1
; WaveLimiterHint : 1
; COMPUTE_PGM_RSRC2:SCRATCH_EN: 0
; COMPUTE_PGM_RSRC2:USER_SGPR: 2
; COMPUTE_PGM_RSRC2:TRAP_HANDLER: 0
; COMPUTE_PGM_RSRC2:TGID_X_EN: 1
; COMPUTE_PGM_RSRC2:TGID_Y_EN: 1
; COMPUTE_PGM_RSRC2:TGID_Z_EN: 0
; COMPUTE_PGM_RSRC2:TIDIG_COMP_CNT: 0
; COMPUTE_PGM_RSRC3_GFX90A:ACCUM_OFFSET: 26
; COMPUTE_PGM_RSRC3_GFX90A:TG_SPLIT: 0
	.section	.text._ZN12_GLOBAL__N_139chunk_gated_delta_rule_fwd_h_hip_kernelILi16ELb0ELb1ELb1ELb1ELb0ELb0ELb0ELb1EEEvPK12hip_bfloat16S3_S3_PKfS5_PKvPS1_S8_PvPKiSB_iiiiilll,"axG",@progbits,_ZN12_GLOBAL__N_139chunk_gated_delta_rule_fwd_h_hip_kernelILi16ELb0ELb1ELb1ELb1ELb0ELb0ELb0ELb1EEEvPK12hip_bfloat16S3_S3_PKfS5_PKvPS1_S8_PvPKiSB_iiiiilll,comdat
	.globl	_ZN12_GLOBAL__N_139chunk_gated_delta_rule_fwd_h_hip_kernelILi16ELb0ELb1ELb1ELb1ELb0ELb0ELb0ELb1EEEvPK12hip_bfloat16S3_S3_PKfS5_PKvPS1_S8_PvPKiSB_iiiiilll ; -- Begin function _ZN12_GLOBAL__N_139chunk_gated_delta_rule_fwd_h_hip_kernelILi16ELb0ELb1ELb1ELb1ELb0ELb0ELb0ELb1EEEvPK12hip_bfloat16S3_S3_PKfS5_PKvPS1_S8_PvPKiSB_iiiiilll
	.p2align	8
	.type	_ZN12_GLOBAL__N_139chunk_gated_delta_rule_fwd_h_hip_kernelILi16ELb0ELb1ELb1ELb1ELb0ELb0ELb0ELb1EEEvPK12hip_bfloat16S3_S3_PKfS5_PKvPS1_S8_PvPKiSB_iiiiilll,@function
_ZN12_GLOBAL__N_139chunk_gated_delta_rule_fwd_h_hip_kernelILi16ELb0ELb1ELb1ELb1ELb0ELb0ELb0ELb1EEEvPK12hip_bfloat16S3_S3_PKfS5_PKvPS1_S8_PvPKiSB_iiiiilll: ; @_ZN12_GLOBAL__N_139chunk_gated_delta_rule_fwd_h_hip_kernelILi16ELb0ELb1ELb1ELb1ELb0ELb0ELb0ELb1EEEvPK12hip_bfloat16S3_S3_PKfS5_PKvPS1_S8_PvPKiSB_iiiiilll
; %bb.0:
	s_load_dwordx4 s[20:23], s[0:1], 0x5c
	s_abs_i32 s27, s3
	s_ashr_i32 s26, s3, 31
	s_load_dwordx2 s[24:25], s[0:1], 0x50
	s_load_dwordx8 s[4:11], s[0:1], 0x30
	s_load_dwordx8 s[12:19], s[0:1], 0x0
	s_waitcnt lgkmcnt(0)
	s_abs_i32 s30, s21
	v_cvt_f32_u32_e32 v1, s30
	s_sub_i32 s28, 0, s30
	s_ashr_i32 s33, s21, 31
	s_xor_b32 s26, s26, s33
	v_rcp_iflag_f32_e32 v1, v1
	v_lshrrev_b32_e32 v48, 6, v0
	v_bfe_u32 v51, v0, 4, 2
	v_lshlrev_b32_e32 v49, 4, v48
	v_mul_f32_e32 v1, 0x4f7ffffe, v1
	v_cvt_u32_f32_e32 v1, v1
	v_lshlrev_b32_e32 v10, 2, v51
	v_and_b32_e32 v50, 63, v0
	v_mov_b32_e32 v9, 0
	v_readfirstlane_b32 s29, v1
	s_mul_i32 s28, s28, s29
	s_mul_hi_u32 s28, s29, s28
	s_add_i32 s29, s29, s28
	s_mul_hi_u32 s28, s27, s29
	s_mul_i32 s29, s28, s30
	s_sub_i32 s27, s27, s29
	s_add_i32 s31, s28, 1
	s_sub_i32 s29, s27, s30
	s_cmp_ge_u32 s27, s30
	s_cselect_b32 s28, s31, s28
	s_cselect_b32 s27, s29, s27
	s_add_i32 s29, s28, 1
	s_cmp_ge_u32 s27, s30
	s_cselect_b32 s27, s29, s28
	s_xor_b32 s27, s27, s26
	s_sub_i32 s34, s27, s26
	s_mul_i32 s26, s34, s21
	s_ashr_i32 s35, s34, 31
	s_sub_i32 s46, s3, s26
	s_lshl_b64 s[26:27], s[34:35], 2
	s_add_u32 s10, s10, s26
	s_addc_u32 s11, s11, s27
	s_add_u32 s28, s24, s26
	s_addc_u32 s29, s25, s27
	s_abs_i32 s3, s22
	v_cvt_f32_u32_e32 v1, s3
	s_load_dwordx2 s[40:41], s[10:11], 0x0
	s_sub_i32 s11, 0, s3
	s_mov_b32 s47, s21
	v_rcp_iflag_f32_e32 v1, v1
	v_and_b32_e32 v52, 15, v0
	s_waitcnt lgkmcnt(0)
	s_sub_i32 s51, s41, s40
	s_ashr_i32 s10, s51, 31
	v_mul_f32_e32 v1, 0x4f7ffffe, v1
	v_cvt_u32_f32_e32 v1, v1
	s_lshr_b32 s10, s10, 26
	s_add_i32 s10, s51, s10
	s_ashr_i32 s52, s10, 6
	v_readfirstlane_b32 s24, v1
	s_mul_i32 s11, s11, s24
	s_mul_hi_u32 s11, s24, s11
	s_add_i32 s24, s24, s11
	s_mul_hi_u32 s11, s30, s24
	s_mul_i32 s24, s11, s3
	s_ashr_i32 s10, s22, 31
	s_sub_i32 s24, s30, s24
	s_xor_b32 s10, s33, s10
	s_add_i32 s25, s11, 1
	s_sub_i32 s26, s24, s3
	s_cmp_ge_u32 s24, s3
	s_cselect_b32 s11, s25, s11
	s_cselect_b32 s24, s26, s24
	s_add_i32 s25, s11, 1
	s_cmp_ge_u32 s24, s3
	s_cselect_b32 s3, s25, s11
	s_xor_b32 s3, s3, s10
	s_sub_i32 s3, s3, s10
	s_abs_i32 s30, s3
	v_cvt_f32_u32_e32 v1, s30
	s_load_dwordx2 s[10:11], s[0:1], 0x80
	s_load_dwordx4 s[24:27], s[0:1], 0x70
	s_load_dword s53, s[28:29], 0x0
	s_xor_b32 s0, s46, s3
	v_rcp_iflag_f32_e32 v1, v1
	s_sub_i32 s3, 0, s30
	s_abs_i32 s1, s46
	s_ashr_i32 s0, s0, 31
	v_mul_f32_e32 v1, 0x4f7ffffe, v1
	v_cvt_u32_f32_e32 v1, v1
	s_mul_hi_i32 s54, s46, s20
	s_mul_i32 s55, s46, s20
	v_lshrrev_b32_e32 v54, 3, v50
	v_readfirstlane_b32 s28, v1
	s_mul_i32 s3, s3, s28
	s_mul_hi_u32 s3, s28, s3
	s_add_i32 s28, s28, s3
	s_mul_hi_u32 s3, s1, s28
	s_mul_i32 s28, s3, s30
	s_sub_i32 s1, s1, s28
	s_add_i32 s28, s3, 1
	s_sub_i32 s29, s1, s30
	s_cmp_ge_u32 s1, s30
	s_cselect_b32 s3, s28, s3
	s_cselect_b32 s1, s29, s1
	s_add_i32 s28, s3, 1
	s_cmp_ge_u32 s1, s30
	s_cselect_b32 s1, s28, s3
	s_xor_b32 s1, s1, s0
	s_sub_i32 s56, s1, s0
	v_or_b32_e32 v1, v10, v49
	s_lshl_b32 s2, s2, 4
	v_or_b32_e32 v55, 64, v1
	s_cmp_lt_i32 s51, 64
	v_lshlrev_b32_e32 v53, 3, v0
	s_waitcnt lgkmcnt(0)
	s_mul_i32 s48, s34, s25
	s_mul_hi_u32 s49, s34, s24
	s_mul_i32 s50, s35, s24
	s_mul_i32 s42, s34, s24
	v_mov_b32_e32 v8, v9
	v_mov_b32_e32 v7, v9
	;; [unrolled: 1-line block ×7, first 2 shown]
	s_cbranch_scc1 .LBB629_18
; %bb.1:
	s_ashr_i32 s58, s46, 31
	s_ashr_i32 s1, s40, 31
	s_add_u32 s0, s55, s40
	s_addc_u32 s1, s54, s1
	s_lshl_b64 s[0:1], s[0:1], 8
	v_and_b32_e32 v57, 56, v53
	s_add_u32 s28, s14, s0
	v_lshl_or_b32 v56, v48, 3, v54
	v_lshlrev_b32_e32 v3, 1, v57
	s_addc_u32 s0, s15, s1
	v_lshl_or_b32 v58, v56, 8, v3
	s_and_b32 s29, s0, 0xffff
	s_mov_b32 s31, 0x20000
	s_movk_i32 s30, 0x4000
	s_movk_i32 s0, 0x80
	v_or_b32_e32 v59, 0x2000, v58
	buffer_load_dwordx4 v[4:7], v58, s[28:31], 0 offen
	buffer_load_dwordx4 v[12:15], v58, s[28:31], s0 offen
	;; [unrolled: 1-line block ×4, first 2 shown]
	v_lshlrev_b32_e32 v2, 3, v56
	v_and_or_b32 v9, v0, 7, v2
	v_and_b32_e32 v2, 0x78, v2
	v_lshlrev_b32_e32 v9, 4, v9
	v_xor_b32_e32 v60, v9, v2
	v_mul_lo_u32 v8, v56, s23
	v_or_b32_e32 v61, 0x1000, v60
	v_xor_b32_e32 v2, 8, v60
	s_cmpk_eq_i32 s23, 0x80
	s_mov_b32 s57, s40
	v_xor_b32_e32 v9, 8, v61
	s_cselect_b64 s[0:1], -1, 0
	s_cmpk_lg_i32 s23, 0x80
	s_waitcnt vmcnt(3)
	ds_write_b64 v60, v[4:5] offset:16384
	ds_write_b64 v2, v[6:7] offset:16384
	s_waitcnt vmcnt(2)
	ds_write_b64 v60, v[12:13] offset:24576
	ds_write_b64 v2, v[14:15] offset:24576
	;; [unrolled: 3-line block ×4, first 2 shown]
	v_lshl_add_u32 v2, v8, 1, v57
	s_cbranch_scc0 .LBB629_3
; %bb.2:
	v_lshlrev_b32_e32 v6, 1, v2
	v_add_lshl_u32 v5, v2, s23, 1
	s_lshl_b32 s30, s23, 7
	v_lshl_or_b32 v4, v56, 9, v3
	s_cbranch_execz .LBB629_4
	s_branch .LBB629_5
.LBB629_3:
                                        ; implicit-def: $vgpr5
                                        ; implicit-def: $vgpr6
                                        ; implicit-def: $sgpr30
	v_lshl_or_b32 v4, v56, 9, v3
.LBB629_4:
	v_or_b32_e32 v5, 0x100, v4
	s_movk_i32 s30, 0x4000
	v_mov_b32_e32 v6, v4
.LBB629_5:
	s_mul_i32 s24, s40, s22
	s_ashr_i32 s59, s56, 31
	s_mul_hi_i32 s3, s40, s22
	s_add_u32 s24, s24, s56
	s_addc_u32 s25, s3, s59
	s_lshl_b64 s[24:25], s[24:25], 8
	s_add_u32 s28, s12, s24
	s_addc_u32 s3, s13, s25
	s_and_b32 s29, s3, 0xffff
	s_movk_i32 s60, 0x80
	buffer_load_dwordx4 v[12:15], v6, s[28:31], 0 offen
	s_nop 0
	buffer_load_dwordx4 v[6:9], v6, s[28:31], s60 offen
	s_nop 0
	buffer_load_dwordx4 v[16:19], v5, s[28:31], 0 offen
	buffer_load_dwordx4 v[20:23], v5, s[28:31], s60 offen
	v_and_b32_e32 v3, 6, v0
	v_lshlrev_b32_e32 v11, 2, v52
	v_lshlrev_b32_e32 v24, 3, v52
	v_xor_b32_e32 v26, v56, v3
	v_and_b32_e32 v5, 1, v0
	v_lshl_or_b32 v24, v1, 5, v24
	v_xor_b32_e32 v27, v1, v11
	v_lshlrev_b32_e32 v26, 2, v26
	s_mul_i32 s3, s46, s27
	s_mul_hi_u32 s25, s46, s26
	v_or_b32_e32 v62, 0x9000, v24
	v_or_b32_e32 v63, 0x9800, v24
	v_lshlrev_b32_e32 v24, 1, v27
	v_xor_b32_e32 v27, 0x440, v26
	v_cmp_eq_u32_e32 vcc, 0, v5
	s_add_i32 s29, s49, s48
	s_mul_i32 s28, s58, s26
	v_cndmask_b32_e32 v5, v27, v26, vcc
	s_add_i32 s3, s25, s3
	s_add_i32 s43, s29, s50
	s_mov_b32 s61, 0x1000504
	v_lshlrev_b32_e32 v25, 8, v52
	s_mov_b32 s30, 0x8000
	v_xor_b32_e32 v11, v55, v11
	v_lshl_or_b32 v3, v3, 10, v5
	s_add_i32 s25, s3, s28
	s_lshl_b64 s[28:29], s[42:43], 2
	s_mov_b32 s62, 0x3020706
	s_mul_i32 s24, s46, s26
	v_lshlrev_b32_e32 v11, 1, v11
	v_or3_b32 v64, v24, v25, s30
	v_xor_b32_e32 v5, 8, v3
	v_xor_b32_e32 v24, 24, v3
	v_xor_b32_e32 v26, 40, v3
	v_xor_b32_e32 v28, 56, v3
	s_add_u32 s3, s18, s28
	v_or3_b32 v65, v11, v25, s30
	v_xor_b32_e32 v11, 16, v3
	v_xor_b32_e32 v25, 32, v3
	;; [unrolled: 1-line block ×3, first 2 shown]
	v_add_u32_e32 v5, 0x80, v5
	v_add_u32_e32 v24, 0x80, v24
	;; [unrolled: 1-line block ×4, first 2 shown]
	s_addc_u32 s28, s19, s29
	s_lshl_b64 s[24:25], s[24:25], 2
	s_add_u32 s24, s3, s24
	s_movk_i32 s3, 0xf8
	s_addc_u32 s25, s28, s25
	s_lshl_b32 s38, s23, 7
	s_mov_b32 s63, 0
	v_add_u32_e32 v80, v49, v10
	v_mov_b32_e32 v81, 0x3fb8aa3b
	s_waitcnt vmcnt(1)
	v_perm_b32 v29, v12, v16, s61
	s_waitcnt vmcnt(0)
	v_perm_b32 v30, v6, v20, s61
	v_perm_b32 v12, v12, v16, s62
	;; [unrolled: 1-line block ×15, first 2 shown]
	ds_write2st64_b32 v3, v29, v30 offset1:32
	ds_write2st64_b32 v5, v12, v6 offset1:32
	ds_write2st64_b32 v11, v16, v20 offset0:1 offset1:33
	ds_write2st64_b32 v24, v13, v7 offset0:1 offset1:33
	;; [unrolled: 1-line block ×6, first 2 shown]
	v_or_b32_e32 v3, v49, v52
	v_lshlrev_b32_e32 v3, 3, v3
	v_lshrrev_b32_e32 v7, 5, v50
	v_and_or_b32 v7, v3, s3, v7
	v_lshlrev_b32_e32 v7, 4, v7
	v_lshlrev_b32_e32 v5, 11, v48
	v_and_b32_e32 v3, 0x78, v3
	v_or_b32_e32 v12, 32, v7
	v_and_b32_e32 v6, 0x1000, v5
	v_lshrrev_b32_e32 v11, 1, v0
	v_xor_b32_e32 v12, v12, v3
	v_and_b32_e32 v9, 8, v11
	v_or_b32_e32 v12, v12, v6
	v_xor_b32_e32 v8, v7, v3
	v_xor_b32_e32 v68, v12, v9
	v_or_b32_e32 v12, 64, v7
	v_or_b32_e32 v7, 0x60, v7
	v_xor_b32_e32 v12, v12, v3
	v_xor_b32_e32 v3, v7, v3
	v_or_b32_e32 v3, v3, v6
	v_or_b32_e32 v12, v12, v6
	v_xor_b32_e32 v70, v3, v9
	v_lshlrev_b32_e32 v14, 1, v2
	v_add_lshl_u32 v15, v2, s23, 1
	v_lshrrev_b32_e32 v2, 4, v0
	v_lshlrev_b32_e32 v3, 1, v52
	v_xor_b32_e32 v69, v12, v9
	s_ashr_i32 s3, s2, 31
	v_or_b32_e32 v12, 1, v3
	v_xor_b32_e32 v3, v2, v3
	s_lshl_b64 s[28:29], s[2:3], 8
	v_xor_b32_e32 v12, v12, v2
	v_lshlrev_b32_e32 v3, 3, v3
	v_lshlrev_b32_e32 v2, 8, v2
	s_add_u32 s28, s4, s28
	v_or3_b32 v72, v3, v2, s30
	v_lshlrev_b32_e32 v3, 3, v12
	s_addc_u32 s29, s5, s29
	v_or3_b32 v73, v3, v2, s30
	v_mov_b32_e32 v3, 0
	v_lshl_add_u64 v[12:13], s[28:29], 0, v[2:3]
	v_lshlrev_b32_e32 v2, 4, v52
	s_movk_i32 s3, 0xff
	v_lshlrev_b32_e32 v18, 3, v48
	v_and_b32_e32 v11, 24, v11
	v_lshl_add_u64 v[42:43], v[12:13], 0, v[2:3]
	v_and_b32_e32 v12, 8, v0
	v_cmp_lt_u32_e32 vcc, s3, v0
	v_xor_b32_e32 v19, v18, v11
	v_or_b32_e32 v20, 0x440, v19
	v_cndmask_b32_e64 v17, 0, 1, vcc
	v_cmp_eq_u32_e32 vcc, 0, v12
	v_and_b32_e32 v2, 7, v0
	v_lshlrev_b32_e32 v13, 3, v2
	v_cndmask_b32_e32 v12, v20, v19, vcc
	v_lshlrev_b32_e32 v2, 7, v2
	v_or_b32_e32 v12, v12, v5
	v_xad_u32 v74, v12, v13, v2
	v_or_b32_e32 v12, 32, v11
	v_xor_b32_e32 v12, v18, v12
	v_or_b32_e32 v19, 0x440, v12
	v_cndmask_b32_e32 v12, v19, v12, vcc
	v_or_b32_e32 v12, v12, v5
	v_xad_u32 v75, v12, v13, v2
	v_or_b32_e32 v12, 64, v11
	v_xor_b32_e32 v12, v18, v12
	v_xor_b32_e32 v19, 0x440, v12
	v_cndmask_b32_e32 v12, v19, v12, vcc
	v_or_b32_e32 v11, 0x60, v11
	v_or_b32_e32 v12, v12, v5
	v_xor_b32_e32 v11, v18, v11
	v_or_b32_e32 v8, v8, v6
	v_or_b32_e32 v6, s2, v52
	v_xad_u32 v76, v12, v13, v2
	v_xor_b32_e32 v12, 0x440, v11
	v_xor_b32_e32 v66, v8, v9
	v_and_b32_e32 v8, 0x78, v53
	v_ashrrev_i32_e32 v7, 31, v6
	v_cndmask_b32_e32 v11, v12, v11, vcc
	v_lshl_or_b32 v8, v51, 7, v8
	v_lshlrev_b64 v[6:7], 1, v[6:7]
	v_or_b32_e32 v5, v11, v5
	v_or_b32_e32 v67, 0x9000, v8
	;; [unrolled: 1-line block ×3, first 2 shown]
	v_lshl_add_u64 v[8:9], s[16:17], 0, v[6:7]
	v_lshl_add_u64 v[6:7], s[6:7], 0, v[6:7]
	v_or_b32_e32 v16, 0x100, v4
	v_lshlrev_b32_e32 v17, 13, v17
	v_xad_u32 v77, v5, v13, v2
	v_lshlrev_b32_e32 v2, 8, v1
	v_cndmask_b32_e64 v78, v14, v4, s[0:1]
	v_cndmask_b32_e64 v79, v15, v16, s[0:1]
	v_lshl_add_u64 v[44:45], v[8:9], 0, v[2:3]
	v_lshl_add_u64 v[46:47], v[6:7], 0, v[2:3]
	s_mov_b32 s3, 0x7060302
	s_movk_i32 s30, 0x4000
	v_add_u32_e32 v82, v17, v74
	v_add_u32_e32 v83, v17, v75
	;; [unrolled: 1-line block ×4, first 2 shown]
	v_mov_b32_e32 v2, v3
	v_mov_b32_e32 v4, v3
	;; [unrolled: 1-line block ×7, first 2 shown]
	s_waitcnt lgkmcnt(0)
	s_barrier
.LBB629_6:                              ; =>This Inner Loop Header: Depth=1
	s_add_i32 s43, s63, 1
	s_cmp_lt_i32 s43, s52
	s_mov_b64 s[36:37], 0
	s_cselect_b64 s[44:45], -1, 0
	s_cmp_ge_i32 s43, s52
	s_mov_b64 s[28:29], 0
	s_cbranch_scc1 .LBB629_8
; %bb.7:                                ;   in Loop: Header=BB629_6 Depth=1
	s_add_i32 s0, s57, 64
	s_ashr_i32 s1, s0, 31
	s_add_u32 s0, s55, s0
	s_addc_u32 s1, s54, s1
	s_lshl_b64 s[0:1], s[0:1], 8
	s_add_u32 s28, s14, s0
	s_addc_u32 s29, s15, s1
.LBB629_8:                              ;   in Loop: Header=BB629_6 Depth=1
	v_cndmask_b32_e64 v5, 0, 1, s[44:45]
	v_cmp_ne_u32_e64 s[0:1], 1, v5
	s_andn2_b64 vcc, exec, s[44:45]
	s_cbranch_vccnz .LBB629_10
; %bb.9:                                ;   in Loop: Header=BB629_6 Depth=1
	s_add_i32 s36, s57, 64
	s_mul_hi_i32 s37, s36, s22
	s_mul_i32 s36, s36, s22
	s_add_u32 s36, s36, s56
	s_addc_u32 s37, s37, s59
	s_lshl_b64 s[36:37], s[36:37], 8
	s_add_u32 s36, s12, s36
	s_addc_u32 s37, s13, s37
.LBB629_10:                             ;   in Loop: Header=BB629_6 Depth=1
	v_perm_b32 v11, v87, v4, s3
	v_perm_b32 v10, v3, v2, s3
	;; [unrolled: 1-line block ×4, first 2 shown]
	ds_write_b64 v62, v[10:11]
	ds_write_b64 v63, v[12:13]
	;; [unrolled: 1-line block ×4, first 2 shown]
	s_waitcnt lgkmcnt(0)
	s_barrier
	ds_read_b64 v[18:19], v66 offset:16384
	ds_read_b64 v[20:21], v68 offset:16384
	ds_read2st64_b64 v[10:13], v67 offset1:1
	s_waitcnt lgkmcnt(0)
	v_mfma_f32_16x16x16_bf16 a[0:3], v[18:19], v[10:11], 0
	ds_read2st64_b64 v[14:17], v67 offset0:2 offset1:3
	ds_read_b64 v[22:23], v69 offset:16384
	ds_read_b64 v[10:11], v70 offset:16384
	s_add_i32 s39, s57, 63
	v_mfma_f32_16x16x16_bf16 a[0:3], v[20:21], v[12:13], a[0:3]
	s_ashr_i32 s44, s39, 31
	s_mul_i32 s45, s39, s11
	s_mul_hi_u32 s64, s39, s10
	s_waitcnt lgkmcnt(1)
	v_mfma_f32_16x16x16_bf16 a[0:3], v[22:23], v[14:15], a[0:3]
	s_add_i32 s45, s64, s45
	s_mul_i32 s44, s44, s10
	s_add_i32 s45, s45, s44
	s_mul_i32 s44, s39, s10
	s_waitcnt lgkmcnt(0)
	v_mfma_f32_16x16x16_bf16 a[0:3], v[10:11], v[16:17], a[0:3]
	s_lshl_b64 s[44:45], s[44:45], 2
	s_add_u32 s44, s24, s44
	s_addc_u32 s45, s25, s45
	s_and_b64 vcc, exec, s[0:1]
	v_mov_b32_e32 v88, 0
	v_mov_b32_e32 v9, 0
	;; [unrolled: 1-line block ×19, first 2 shown]
	s_cbranch_vccnz .LBB629_12
; %bb.11:                               ;   in Loop: Header=BB629_6 Depth=1
	s_and_b32 s29, s29, 0xffff
	buffer_load_dwordx4 v[22:25], v58, s[28:31], 0 offen
	buffer_load_dwordx4 v[18:21], v58, s[28:31], s60 offen
	;; [unrolled: 1-line block ×4, first 2 shown]
	v_mov_b32_e32 v9, v60
	v_mov_b32_e32 v5, v61
.LBB629_12:                             ;   in Loop: Header=BB629_6 Depth=1
	s_waitcnt vmcnt(3)
	v_add_u32_e32 v30, s57, v80
	s_waitcnt vmcnt(1)
	v_ashrrev_i32_e32 v26, 31, v30
	v_mul_lo_u32 v28, v26, s10
	v_mul_lo_u32 v29, v30, s11
	v_mad_u64_u32 v[26:27], s[28:29], v30, s10, 0
	v_add3_u32 v27, v27, v29, v28
	v_lshl_add_u64 v[26:27], v[26:27], 2, s[24:25]
	global_load_dword v90, v[26:27], off
	v_add_u32_e32 v26, 1, v30
	v_ashrrev_i32_e32 v27, 31, v26
	v_mul_lo_u32 v28, v27, s10
	v_mul_lo_u32 v29, v26, s11
	v_mad_u64_u32 v[26:27], s[28:29], v26, s10, 0
	v_add3_u32 v27, v27, v29, v28
	v_add_u32_e32 v28, 2, v30
	v_ashrrev_i32_e32 v29, 31, v28
	v_mul_lo_u32 v31, v29, s10
	v_mul_lo_u32 v32, v28, s11
	v_mad_u64_u32 v[28:29], s[28:29], v28, s10, 0
	v_add_u32_e32 v30, 3, v30
	v_add3_u32 v29, v29, v32, v31
	v_ashrrev_i32_e32 v31, 31, v30
	v_mul_lo_u32 v34, v31, s10
	v_mul_lo_u32 v35, v30, s11
	v_mad_u64_u32 v[30:31], s[28:29], v30, s10, 0
	s_ashr_i32 s29, s57, 31
	s_add_u32 s28, s55, s57
	s_addc_u32 s29, s54, s29
	s_lshl_b64 s[64:65], s[28:29], 8
	v_lshl_add_u64 v[26:27], v[26:27], 2, s[24:25]
	v_lshl_add_u64 v[32:33], v[44:45], 0, s[64:65]
	v_add3_u32 v31, v31, v35, v34
	v_lshl_add_u64 v[28:29], v[28:29], 2, s[24:25]
	global_load_ushort v91, v[32:33], off
	global_load_ushort v92, v[32:33], off offset:256
	global_load_ushort v93, v[32:33], off offset:512
	;; [unrolled: 1-line block ×3, first 2 shown]
	v_lshl_add_u64 v[30:31], v[30:31], 2, s[24:25]
	global_load_dword v95, v[26:27], off
	global_load_dword v96, v[28:29], off
	;; [unrolled: 1-line block ×3, first 2 shown]
	ds_read_b64 v[30:31], v66 offset:24576
	ds_read_b64 v[36:37], v68 offset:24576
	ds_read2st64_b64 v[26:29], v71 offset1:1
	s_waitcnt lgkmcnt(0)
	v_mfma_f32_16x16x16_bf16 a[0:3], v[30:31], v[26:27], a[0:3]
	s_load_dword s28, s[44:45], 0x0
	ds_read2st64_b64 v[32:35], v71 offset0:2 offset1:3
	ds_read_b64 v[38:39], v69 offset:24576
	ds_read_b64 v[40:41], v70 offset:24576
	v_mov_b32_e32 v89, 0
	v_mfma_f32_16x16x16_bf16 a[0:3], v[36:37], v[28:29], a[0:3]
	v_mov_b32_e32 v26, 0
	v_mov_b32_e32 v27, 0
	;; [unrolled: 1-line block ×3, first 2 shown]
	s_waitcnt lgkmcnt(0)
	v_mfma_f32_16x16x16_bf16 a[0:3], v[38:39], v[32:33], a[0:3]
	v_lshl_add_u64 v[32:33], v[46:47], 0, s[64:65]
	v_mov_b32_e32 v29, 0
	v_mov_b32_e32 v30, 0
	v_mfma_f32_16x16x16_bf16 a[0:3], v[40:41], v[34:35], a[0:3]
	v_mov_b32_e32 v31, 0
	s_and_b64 vcc, exec, s[0:1]
	s_waitcnt vmcnt(7)
	v_sub_f32_e32 v90, s28, v90
	s_nop 2
	v_accvgpr_read_b32 v37, a1
	v_accvgpr_read_b32 v35, a3
	;; [unrolled: 1-line block ×4, first 2 shown]
	v_mul_f32_e32 v90, 0x3fb8aa3b, v90
	s_waitcnt vmcnt(6)
	v_lshlrev_b32_e32 v38, 16, v91
	s_waitcnt vmcnt(5)
	v_lshlrev_b32_e32 v39, 16, v92
	s_waitcnt vmcnt(4)
	v_lshlrev_b32_e32 v40, 16, v93
	s_waitcnt vmcnt(3)
	v_lshlrev_b32_e32 v41, 16, v94
	s_waitcnt vmcnt(2)
	v_sub_f32_e32 v91, s28, v95
	s_waitcnt vmcnt(1)
	v_sub_f32_e32 v92, s28, v96
	;; [unrolled: 2-line block ×3, first 2 shown]
	v_pk_add_f32 v[36:37], v[38:39], v[36:37] neg_lo:[0,1] neg_hi:[0,1]
	v_pk_add_f32 v[34:35], v[40:41], v[34:35] neg_lo:[0,1] neg_hi:[0,1]
	v_mul_f32_e32 v39, 0x3fb8aa3b, v91
	v_mul_f32_e32 v40, 0x3fb8aa3b, v92
	v_mul_f32_e32 v41, 0x3fb8aa3b, v93
	v_exp_f32_e32 v38, v90
	v_exp_f32_e32 v39, v39
	;; [unrolled: 1-line block ×4, first 2 shown]
	global_store_short_d16_hi v[32:33], v36, off
	global_store_short_d16_hi v[32:33], v37, off offset:256
	global_store_short_d16_hi v[32:33], v34, off offset:512
	;; [unrolled: 1-line block ×3, first 2 shown]
	v_pk_mul_f32 v[32:33], v[38:39], v[36:37]
	v_pk_mul_f32 v[34:35], v[40:41], v[34:35]
	v_perm_b32 v32, v33, v32, s3
	v_perm_b32 v33, v35, v34, s3
	ds_write_b64 v63, v[32:33]
	v_mov_b32_e32 v32, 0
	v_mov_b32_e32 v33, 0
	;; [unrolled: 1-line block ×10, first 2 shown]
	s_cbranch_vccnz .LBB629_14
; %bb.13:                               ;   in Loop: Header=BB629_6 Depth=1
	s_and_b32 s37, s37, 0xffff
	s_mov_b32 s39, s31
	buffer_load_dwordx4 v[38:41], v78, s[36:39], 0 offen
	buffer_load_dwordx4 v[30:33], v78, s[36:39], s60 offen
	;; [unrolled: 1-line block ×4, first 2 shown]
	v_mov_b32_e32 v88, v57
	v_mov_b32_e32 v89, v56
.LBB629_14:                             ;   in Loop: Header=BB629_6 Depth=1
	s_waitcnt lgkmcnt(0)
	s_barrier
	ds_read_b64 v[98:99], v82
	ds_read2st64_b64 v[90:93], v71 offset1:1
	ds_read2st64_b64 v[94:97], v71 offset0:2 offset1:3
	ds_read_b64 v[100:101], v83
	ds_read_b64 v[102:103], v84
	;; [unrolled: 1-line block ×3, first 2 shown]
	s_waitcnt lgkmcnt(4)
	v_mfma_f32_16x16x16_bf16 a[0:3], v[98:99], v[90:91], 0
	ds_read_b64 v[98:99], v74 offset:8192
	ds_read_b64 v[106:107], v75 offset:8192
	s_add_i32 s29, s53, s63
	s_mul_hi_i32 s37, s29, s47
	s_waitcnt lgkmcnt(1)
	v_mfma_f32_16x16x16_bf16 a[4:7], v[98:99], v[90:91], 0
	s_mul_i32 s29, s29, s47
	s_add_u32 s36, s29, s46
	s_addc_u32 s37, s37, s58
	v_mfma_f32_16x16x16_bf16 a[0:3], v[100:101], v[92:93], a[0:3]
	ds_read_b64 v[98:99], v72
	ds_read_b64 v[100:101], v73
	ds_read_b64 v[90:91], v76 offset:8192
	s_lshl_b64 s[36:37], s[36:37], 15
	v_mfma_f32_16x16x16_bf16 a[0:3], v[102:103], v[94:95], a[0:3]
	ds_read_b64 v[102:103], v77 offset:8192
	s_and_b64 vcc, exec, s[0:1]
	s_waitcnt lgkmcnt(4)
	v_mfma_f32_16x16x16_bf16 a[4:7], v[106:107], v[92:93], a[4:7]
	s_waitcnt lgkmcnt(1)
	v_mfma_f32_16x16x16_bf16 a[4:7], v[90:91], v[94:95], a[4:7]
	v_lshl_add_u64 v[90:91], v[42:43], 0, s[36:37]
	global_store_dwordx4 v[90:91], v[98:101], off
	v_mfma_f32_16x16x16_bf16 a[0:3], v[104:105], v[96:97], a[0:3]
	s_waitcnt lgkmcnt(0)
	v_mfma_f32_16x16x16_bf16 a[4:7], v[102:103], v[96:97], a[4:7]
	s_cbranch_vccnz .LBB629_16
; %bb.15:                               ;   in Loop: Header=BB629_6 Depth=1
	v_lshrrev_b32_e32 v90, 3, v88
	v_and_b32_e32 v90, 6, v90
	v_xor_b32_e32 v89, v90, v89
	v_lshlrev_b32_e32 v89, 2, v89
	v_and_b32_e32 v88, 8, v88
	v_xor_b32_e32 v91, 0x440, v89
	v_cmp_eq_u32_e32 vcc, 0, v88
	s_barrier
	s_nop 0
	v_cndmask_b32_e32 v88, v91, v89, vcc
	v_lshl_or_b32 v88, v90, 10, v88
	s_waitcnt vmcnt(2)
	v_perm_b32 v89, v38, v34, s61
	s_waitcnt vmcnt(1)
	v_perm_b32 v90, v30, v26, s61
	ds_write2st64_b32 v88, v89, v90 offset1:32
	v_xor_b32_e32 v89, 8, v88
	v_perm_b32 v34, v38, v34, s62
	v_perm_b32 v26, v30, v26, s62
	v_add_u32_e32 v30, 0x80, v89
	ds_write2st64_b32 v30, v34, v26 offset1:32
	v_xor_b32_e32 v26, 16, v88
	v_perm_b32 v30, v39, v35, s61
	v_perm_b32 v34, v31, v27, s61
	ds_write2st64_b32 v26, v30, v34 offset0:1 offset1:33
	v_xor_b32_e32 v26, 24, v88
	v_perm_b32 v30, v39, v35, s62
	v_perm_b32 v27, v31, v27, s62
	v_add_u32_e32 v26, 0x80, v26
	ds_write2st64_b32 v26, v30, v27 offset0:1 offset1:33
	v_xor_b32_e32 v26, 32, v88
	v_perm_b32 v27, v40, v36, s61
	v_perm_b32 v30, v32, v28, s61
	ds_write2st64_b32 v26, v27, v30 offset0:2 offset1:34
	v_xor_b32_e32 v26, 40, v88
	v_perm_b32 v27, v40, v36, s62
	v_perm_b32 v28, v32, v28, s62
	v_add_u32_e32 v26, 0x80, v26
	ds_write2st64_b32 v26, v27, v28 offset0:2 offset1:34
	;; [unrolled: 9-line block ×3, first 2 shown]
	ds_write_b64 v9, v[22:23] offset:16384
	v_xor_b32_e32 v22, 8, v9
	ds_write_b64 v22, v[24:25] offset:16384
	ds_write_b64 v9, v[18:19] offset:24576
	ds_write_b64 v22, v[20:21] offset:24576
	ds_write_b64 v5, v[14:15] offset:16384
	v_xor_b32_e32 v9, 8, v5
	ds_write_b64 v9, v[16:17] offset:16384
	ds_write_b64 v5, v[10:11] offset:24576
	;; [unrolled: 1-line block ×3, first 2 shown]
.LBB629_16:                             ;   in Loop: Header=BB629_6 Depth=1
	v_mul_f32_e32 v5, s28, v81
	v_exp_f32_e32 v10, v5
	s_nop 1
	v_accvgpr_read_b32 v9, a1
	v_accvgpr_read_b32 v5, a0
	s_add_i32 s57, s57, 64
	v_fma_f32 v3, v3, v10, v9
	v_accvgpr_read_b32 v9, a4
	v_fma_f32 v6, v6, v10, v9
	v_accvgpr_read_b32 v9, a5
	;; [unrolled: 2-line block ×6, first 2 shown]
	v_fmac_f32_e32 v5, v87, v10
	s_cmp_eq_u32 s52, s43
	v_fmac_f32_e32 v9, v86, v10
	s_cbranch_scc1 .LBB629_18
; %bb.17:                               ;   in Loop: Header=BB629_6 Depth=1
	s_mov_b32 s63, s43
	v_mov_b32_e32 v87, v5
	v_mov_b32_e32 v86, v9
	s_branch .LBB629_6
.LBB629_18:
	s_lshl_b32 s3, s52, 6
	s_sub_i32 s51, s51, s3
	s_cmp_gt_i32 s51, 0
	s_waitcnt vmcnt(2)
	v_or_b32_e32 v34, s2, v52
	s_cbranch_scc1 .LBB629_20
; %bb.19:
	s_ashr_i32 s25, s46, 31
	v_or_b32_e32 v10, s2, v52
	s_cbranch_execz .LBB629_21
	s_branch .LBB629_77
.LBB629_20:
                                        ; implicit-def: $vgpr10
                                        ; implicit-def: $sgpr24_sgpr25
.LBB629_21:
	s_add_i32 s24, s3, s40
	s_ashr_i32 s3, s24, 31
	s_cmpk_lg_i32 s23, 0x80
	s_cselect_b64 s[38:39], -1, 0
	s_and_b64 vcc, exec, s[38:39]
	s_cbranch_vccz .LBB629_23
; %bb.22:
	s_mul_hi_i32 s0, s24, s22
	s_mul_i32 s1, s24, s22
	s_ashr_i32 s22, s56, 31
	s_add_u32 s44, s1, s56
	s_addc_u32 s45, s0, s22
	s_cbranch_execz .LBB629_24
	s_branch .LBB629_25
.LBB629_23:
                                        ; implicit-def: $sgpr44_sgpr45
.LBB629_24:
	s_mul_i32 s1, s56, s20
	s_mul_hi_i32 s0, s56, s20
	s_add_u32 s44, s1, s24
	s_addc_u32 s45, s0, s3
.LBB629_25:
	s_add_i32 s20, s52, s53
	s_ashr_i32 s25, s46, 31
	s_add_u32 s0, s55, s24
	s_addc_u32 s1, s54, s3
	s_mov_b32 s3, 0x7060302
	v_lshlrev_b32_e32 v14, 3, v52
	s_lshl_b64 s[36:37], s[0:1], 8
	v_perm_b32 v11, v5, v4, s3
	v_perm_b32 v10, v3, v2, s3
	;; [unrolled: 1-line block ×4, first 2 shown]
	v_lshlrev_b32_e32 v44, 2, v52
	v_lshl_or_b32 v14, v1, 5, v14
	s_add_u32 s0, s14, s36
	ds_write2st64_b64 v14, v[10:11], v[12:13] offset0:72 offset1:76
	v_xor_b32_e32 v14, v1, v44
	v_lshlrev_b32_e32 v15, 8, v52
	s_addc_u32 s1, s15, s37
	v_lshl_or_b32 v14, v14, 1, v15
	s_mul_hi_i32 s3, s20, s21
	s_mul_i32 s20, s20, s21
	ds_write_b64 v14, v[10:11] offset:32768
	v_xor_b32_e32 v10, v55, v44
	s_add_u32 s14, s20, s46
	v_lshl_or_b32 v10, v10, 1, v15
	s_addc_u32 s15, s3, s25
	v_lshlrev_b32_e32 v11, 1, v52
	ds_write_b64 v10, v[12:13] offset:32768
	v_lshrrev_b32_e32 v10, 4, v0
	s_ashr_i32 s3, s2, 31
	s_lshl_b64 s[14:15], s[14:15], 15
	v_or_b32_e32 v12, 1, v11
	s_add_u32 s4, s4, s14
	v_xor_b32_e32 v11, v10, v11
	v_xor_b32_e32 v12, v12, v10
	v_lshlrev_b32_e32 v14, 8, v10
	s_addc_u32 s5, s5, s15
	s_lshl_b64 s[2:3], s[2:3], 8
	v_lshl_or_b32 v10, v11, 3, v14
	v_lshl_or_b32 v12, v12, 3, v14
	s_waitcnt lgkmcnt(0)
	s_barrier
	s_add_u32 s2, s4, s2
	ds_read_b64 v[10:11], v10 offset:32768
	ds_read_b64 v[12:13], v12 offset:32768
	s_addc_u32 s3, s5, s3
	v_mov_b32_e32 v15, 0
	s_cmp_lg_u32 s51, 64
	v_lshl_add_u64 v[16:17], s[2:3], 0, v[14:15]
	v_lshlrev_b32_e32 v14, 4, v52
	s_cselect_b64 s[4:5], -1, 0
	v_lshl_or_b32 v35, v48, 3, v54
	s_mov_b32 s28, 0
	v_lshl_add_u64 v[14:15], v[16:17], 0, v[14:15]
	s_waitcnt vmcnt(1)
	v_or_b32_e32 v27, 32, v35
	v_and_b32_e32 v26, 56, v53
	s_and_b64 vcc, exec, s[4:5]
	s_waitcnt lgkmcnt(0)
	global_store_dwordx4 v[14:15], v[10:13], off
	s_cbranch_vccz .LBB629_31
; %bb.26:
	s_mov_b32 s29, s28
	s_mov_b32 s30, s28
	;; [unrolled: 1-line block ×3, first 2 shown]
	v_mov_b64_e32 v[14:15], s[28:29]
	v_mov_b64_e32 v[16:17], s[30:31]
	v_mov_b64_e32 v[10:11], v[14:15]
	v_cmp_gt_i32_e32 vcc, s51, v35
	v_mov_b64_e32 v[12:13], v[16:17]
	s_and_saveexec_b64 s[2:3], vcc
	s_cbranch_execz .LBB629_28
; %bb.27:
	v_lshlrev_b32_e32 v10, 8, v35
	v_mov_b32_e32 v11, 0
	v_lshl_add_u64 v[12:13], s[0:1], 0, v[10:11]
	v_lshlrev_b32_e32 v10, 1, v26
	v_lshl_add_u64 v[18:19], v[12:13], 0, v[10:11]
	global_load_dwordx4 v[14:17], v[18:19], off
	global_load_dwordx4 v[10:13], v[18:19], off offset:128
.LBB629_28:
	s_or_b64 exec, exec, s[2:3]
	s_mov_b32 s29, s28
	s_mov_b32 s30, s28
	;; [unrolled: 1-line block ×3, first 2 shown]
	v_mov_b64_e32 v[22:23], s[28:29]
	v_mov_b64_e32 v[24:25], s[30:31]
	;; [unrolled: 1-line block ×3, first 2 shown]
	v_cmp_gt_i32_e32 vcc, s51, v27
	v_lshlrev_b32_e32 v28, 7, v27
	v_mov_b64_e32 v[20:21], v[24:25]
	s_and_saveexec_b64 s[2:3], vcc
	s_cbranch_execz .LBB629_30
; %bb.29:
	v_lshlrev_b32_e32 v18, 1, v28
	v_mov_b32_e32 v19, 0
	v_lshl_add_u64 v[20:21], s[0:1], 0, v[18:19]
	v_lshlrev_b32_e32 v18, 1, v26
	v_lshl_add_u64 v[30:31], v[20:21], 0, v[18:19]
	global_load_dwordx4 v[22:25], v[30:31], off
	global_load_dwordx4 v[18:21], v[30:31], off offset:128
.LBB629_30:
	s_or_b64 exec, exec, s[2:3]
	v_lshrrev_b32_e32 v29, 3, v26
	v_lshlrev_b32_e32 v30, 3, v35
	v_or_b32_e32 v29, v30, v29
	v_lshlrev_b32_e32 v29, 4, v29
	v_and_b32_e32 v30, 0x78, v30
	v_xor_b32_e32 v29, v29, v30
	s_branch .LBB629_33
.LBB629_31:
                                        ; implicit-def: $vgpr29
                                        ; implicit-def: $vgpr28
                                        ; implicit-def: $vgpr14_vgpr15_vgpr16_vgpr17
                                        ; implicit-def: $vgpr10_vgpr11_vgpr12_vgpr13
                                        ; implicit-def: $vgpr22_vgpr23_vgpr24_vgpr25
                                        ; implicit-def: $vgpr18_vgpr19_vgpr20_vgpr21
	s_cbranch_execz .LBB629_33
; %bb.32:
	s_waitcnt vmcnt(0)
	v_lshlrev_b32_e32 v10, 1, v26
	v_lshl_or_b32 v28, v35, 8, v10
	s_and_b32 s1, s1, 0xffff
	s_mov_b32 s3, 0x20000
	s_movk_i32 s2, 0x4000
	v_lshl_or_b32 v29, v27, 8, v10
	s_movk_i32 s14, 0x80
	buffer_load_dwordx4 v[14:17], v28, s[0:3], 0 offen
	buffer_load_dwordx4 v[10:13], v28, s[0:3], s14 offen
	;; [unrolled: 1-line block ×4, first 2 shown]
	v_lshrrev_b32_e32 v28, 3, v26
	v_lshlrev_b32_e32 v29, 3, v35
	v_or_b32_e32 v28, v29, v28
	v_lshlrev_b32_e32 v28, 4, v28
	v_and_b32_e32 v29, 0x78, v29
	v_xor_b32_e32 v29, v28, v29
	v_lshlrev_b32_e32 v28, 7, v27
.LBB629_33:
	s_lshl_b64 s[0:1], s[44:45], 8
	s_add_u32 s12, s12, s0
	s_movk_i32 s0, 0x1000
	v_and_or_b32 v27, v28, s0, v29
	s_waitcnt vmcnt(1)
	ds_write_b64 v29, v[14:15] offset:16384
	v_xor_b32_e32 v14, 8, v29
	ds_write_b64 v14, v[16:17] offset:16384
	s_waitcnt vmcnt(0)
	ds_write_b64 v29, v[10:11] offset:24576
	ds_write_b64 v14, v[12:13] offset:24576
	;; [unrolled: 1-line block ×3, first 2 shown]
	v_xor_b32_e32 v10, 8, v27
	ds_write_b64 v10, v[24:25] offset:16384
	ds_write_b64 v27, v[18:19] offset:24576
	;; [unrolled: 1-line block ×3, first 2 shown]
	v_or_b32_e32 v10, v49, v52
	v_lshlrev_b32_e32 v10, 3, v10
	v_lshrrev_b32_e32 v12, 5, v50
	s_movk_i32 s20, 0xf8
	v_and_or_b32 v12, v10, s20, v12
	v_lshlrev_b32_e32 v45, 11, v48
	v_lshlrev_b32_e32 v20, 4, v12
	v_and_b32_e32 v21, 0x78, v10
	v_and_b32_e32 v22, 0x1000, v45
	v_lshlrev_b32_e32 v11, 2, v0
	v_xor_b32_e32 v10, v20, v21
	v_lshrrev_b32_e32 v12, 1, v50
	v_and_b32_e32 v11, 60, v11
	v_or_b32_e32 v10, v10, v22
	v_and_b32_e32 v23, 8, v12
	v_xor_b32_e32 v36, v10, v23
	v_lshl_or_b32 v10, v51, 6, v11
	v_lshlrev_b32_e32 v46, 1, v10
	v_or_b32_e32 v10, 32, v20
	v_xor_b32_e32 v10, v10, v21
	s_waitcnt lgkmcnt(0)
	s_barrier
	ds_read_b64 v[18:19], v36 offset:16384
	v_or_b32_e32 v10, v10, v22
	v_xor_b32_e32 v37, v10, v23
	v_or_b32_e32 v10, 64, v20
	v_xor_b32_e32 v10, v10, v21
	v_or_b32_e32 v10, v10, v22
	v_or_b32_e32 v20, 0x60, v20
	v_xor_b32_e32 v38, v10, v23
	ds_read2st64_b64 v[10:13], v46 offset0:72 offset1:73
	ds_read2st64_b64 v[14:17], v46 offset0:74 offset1:75
	v_xor_b32_e32 v24, v20, v21
	ds_read_b64 v[20:21], v37 offset:16384
	s_waitcnt lgkmcnt(2)
	v_mfma_f32_16x16x16_bf16 a[0:3], v[18:19], v[10:11], 0
	s_addc_u32 s13, s13, s1
	s_add_i32 s2, s41, -1
	s_add_i32 s0, s49, s48
	s_add_i32 s43, s0, s50
	s_mul_i32 s0, s46, s27
	s_mul_hi_u32 s1, s46, s26
	s_ashr_i32 s3, s2, 31
	s_mul_i32 s14, s2, s11
	s_mul_hi_u32 s15, s2, s10
	s_add_i32 s0, s1, s0
	s_mul_i32 s1, s25, s26
	s_add_i32 s14, s15, s14
	s_mul_i32 s3, s3, s10
	v_or_b32_e32 v22, v24, v22
	s_add_i32 s1, s0, s1
	s_add_i32 s3, s14, s3
	s_lshl_b64 s[14:15], s[42:43], 2
	v_xor_b32_e32 v47, v22, v23
	ds_read_b64 v[22:23], v38 offset:16384
	ds_read_b64 v[24:25], v47 offset:16384
	s_waitcnt lgkmcnt(2)
	v_mfma_f32_16x16x16_bf16 a[0:3], v[20:21], v[12:13], a[0:3]
	s_mul_i32 s0, s46, s26
	s_add_u32 s14, s18, s14
	s_addc_u32 s15, s19, s15
	s_lshl_b64 s[0:1], s[0:1], 2
	s_mul_i32 s2, s2, s10
	s_add_u32 s18, s14, s0
	s_addc_u32 s19, s15, s1
	s_lshl_b64 s[0:1], s[2:3], 2
	s_waitcnt lgkmcnt(1)
	v_mfma_f32_16x16x16_bf16 a[0:3], v[22:23], v[14:15], a[0:3]
	s_add_u32 s0, s18, s0
	s_addc_u32 s1, s19, s1
	s_load_dword s20, s[0:1], 0x0
	s_waitcnt lgkmcnt(0)
	v_mfma_f32_16x16x16_bf16 a[0:3], v[24:25], v[16:17], a[0:3]
	s_and_b64 vcc, exec, s[38:39]
	s_cbranch_vccz .LBB629_44
; %bb.34:
	v_lshlrev_b32_e32 v27, 1, v35
	s_and_b64 vcc, exec, s[4:5]
	s_cbranch_vccz .LBB629_45
; %bb.35:
	v_cmp_gt_i32_e32 vcc, s51, v27
	v_mov_b32_e32 v14, 0
	v_mov_b32_e32 v10, 0
	v_mov_b32_e32 v11, 0
	v_mov_b32_e32 v12, 0
	v_mov_b32_e32 v13, 0
	s_and_saveexec_b64 s[0:1], vcc
	s_cbranch_execz .LBB629_37
; %bb.36:
	v_mad_i64_i32 v[10:11], s[2:3], s23, v27, 0
	v_lshl_add_u64 v[10:11], v[10:11], 1, s[12:13]
	v_lshlrev_b32_e32 v12, 1, v26
	v_mov_b32_e32 v13, 0
	v_lshl_add_u64 v[10:11], v[10:11], 0, v[12:13]
	global_load_dwordx4 v[10:13], v[10:11], off
.LBB629_37:
	s_or_b64 exec, exec, s[0:1]
	v_or_b32_e32 v28, 1, v27
	v_cmp_gt_i32_e64 s[0:1], s51, v28
	v_mov_b32_e32 v15, 0
	v_mov_b32_e32 v16, 0
	v_mov_b32_e32 v17, 0
	s_and_saveexec_b64 s[2:3], s[0:1]
	s_cbranch_execz .LBB629_39
; %bb.38:
	v_mad_i64_i32 v[14:15], s[14:15], s23, v28, 0
	v_lshl_add_u64 v[14:15], v[14:15], 1, s[12:13]
	v_lshlrev_b32_e32 v16, 1, v26
	v_mov_b32_e32 v17, 0
	v_lshl_add_u64 v[14:15], v[14:15], 0, v[16:17]
	global_load_dwordx4 v[14:17], v[14:15], off
.LBB629_39:
	s_or_b64 exec, exec, s[2:3]
	v_mov_b32_e32 v25, 0
	v_mov_b32_e32 v18, 0
	;; [unrolled: 1-line block ×5, first 2 shown]
	s_and_saveexec_b64 s[2:3], vcc
	s_cbranch_execz .LBB629_41
; %bb.40:
	v_mad_i64_i32 v[18:19], s[14:15], s23, v27, 0
	v_lshl_add_u64 v[18:19], v[18:19], 1, s[12:13]
	v_lshlrev_b32_e32 v20, 1, v26
	v_mov_b32_e32 v21, 0
	v_lshl_add_u64 v[18:19], v[18:19], 0, v[20:21]
	global_load_dwordx4 v[18:21], v[18:19], off offset:128
.LBB629_41:
	s_or_b64 exec, exec, s[2:3]
	v_mov_b32_e32 v24, 0
	v_mov_b32_e32 v23, 0
	;; [unrolled: 1-line block ×3, first 2 shown]
	s_and_saveexec_b64 s[2:3], s[0:1]
	s_cbranch_execz .LBB629_43
; %bb.42:
	v_mad_i64_i32 v[22:23], s[0:1], s23, v28, 0
	v_lshl_add_u64 v[22:23], v[22:23], 1, s[12:13]
	v_lshlrev_b32_e32 v24, 1, v26
	v_mov_b32_e32 v25, 0
	v_lshl_add_u64 v[22:23], v[22:23], 0, v[24:25]
	global_load_dwordx4 v[22:25], v[22:23], off offset:128
.LBB629_43:
	s_or_b64 exec, exec, s[2:3]
	s_branch .LBB629_47
.LBB629_44:
                                        ; implicit-def: $vgpr13
                                        ; implicit-def: $vgpr17
                                        ; implicit-def: $vgpr21
                                        ; implicit-def: $vgpr25
	v_lshrrev_b32_e32 v50, 2, v50
	s_branch .LBB629_48
.LBB629_45:
                                        ; implicit-def: $vgpr13
                                        ; implicit-def: $vgpr17
                                        ; implicit-def: $vgpr21
                                        ; implicit-def: $vgpr25
	s_cbranch_execz .LBB629_47
; %bb.46:
	s_waitcnt vmcnt(0)
	v_mad_u64_u32 v[10:11], s[0:1], v27, s23, v[26:27]
	v_lshlrev_b32_e32 v27, 1, v10
	s_lshl_b32 s2, s23, 7
	s_and_b32 s1, s13, 0xffff
	s_mov_b32 s3, 0x20000
	s_mov_b32 s0, s12
	v_add_lshl_u32 v28, v10, s23, 1
	s_movk_i32 s14, 0x80
	buffer_load_dwordx4 v[10:13], v27, s[0:3], 0 offen
	buffer_load_dwordx4 v[18:21], v27, s[0:3], s14 offen
	buffer_load_dwordx4 v[14:17], v28, s[0:3], 0 offen
	buffer_load_dwordx4 v[22:25], v28, s[0:3], s14 offen
.LBB629_47:
	v_lshrrev_b32_e32 v50, 2, v50
	s_cbranch_execnz .LBB629_60
.LBB629_48:
	s_and_b64 vcc, exec, s[4:5]
	s_cbranch_vccz .LBB629_58
; %bb.49:
	s_waitcnt vmcnt(0)
	v_lshlrev_b32_e32 v15, 1, v35
	v_cmp_gt_i32_e32 vcc, s51, v15
	v_mov_b32_e32 v14, 0
	v_lshlrev_b32_e32 v22, 9, v35
	v_mov_b32_e32 v10, 0
	v_mov_b32_e32 v11, 0
	;; [unrolled: 1-line block ×4, first 2 shown]
	s_and_saveexec_b64 s[0:1], vcc
	s_cbranch_execz .LBB629_51
; %bb.50:
	v_mov_b32_e32 v23, 0
	v_lshl_add_u64 v[10:11], s[12:13], 0, v[22:23]
	v_lshlrev_b32_e32 v12, 1, v26
	v_mov_b32_e32 v13, v23
	v_lshl_add_u64 v[10:11], v[10:11], 0, v[12:13]
	global_load_dwordx4 v[10:13], v[10:11], off
.LBB629_51:
	s_or_b64 exec, exec, s[0:1]
	v_or_b32_e32 v15, 1, v15
	v_cmp_gt_i32_e64 s[0:1], s51, v15
	v_lshlrev_b32_e32 v28, 8, v15
	v_mov_b32_e32 v15, 0
	v_mov_b32_e32 v16, 0
	;; [unrolled: 1-line block ×3, first 2 shown]
	s_and_saveexec_b64 s[2:3], s[0:1]
	s_cbranch_execz .LBB629_53
; %bb.52:
	v_mov_b32_e32 v29, 0
	v_lshl_add_u64 v[14:15], s[12:13], 0, v[28:29]
	v_lshlrev_b32_e32 v16, 1, v26
	v_mov_b32_e32 v17, v29
	v_lshl_add_u64 v[14:15], v[14:15], 0, v[16:17]
	global_load_dwordx4 v[14:17], v[14:15], off
.LBB629_53:
	s_or_b64 exec, exec, s[2:3]
	v_mov_b32_e32 v25, 0
	v_mov_b32_e32 v18, 0
	;; [unrolled: 1-line block ×5, first 2 shown]
	s_and_saveexec_b64 s[2:3], vcc
	s_cbranch_execz .LBB629_55
; %bb.54:
	v_mov_b32_e32 v23, 0
	v_lshl_add_u64 v[18:19], s[12:13], 0, v[22:23]
	v_lshlrev_b32_e32 v22, 1, v26
	v_lshl_add_u64 v[18:19], v[18:19], 0, v[22:23]
	global_load_dwordx4 v[18:21], v[18:19], off offset:128
.LBB629_55:
	s_or_b64 exec, exec, s[2:3]
	v_mov_b32_e32 v24, 0
	v_mov_b32_e32 v23, 0
	;; [unrolled: 1-line block ×3, first 2 shown]
	s_and_saveexec_b64 s[2:3], s[0:1]
	s_cbranch_execz .LBB629_57
; %bb.56:
	v_mov_b32_e32 v29, 0
	v_lshl_add_u64 v[22:23], s[12:13], 0, v[28:29]
	v_lshlrev_b32_e32 v28, 1, v26
	v_lshl_add_u64 v[22:23], v[22:23], 0, v[28:29]
	global_load_dwordx4 v[22:25], v[22:23], off offset:128
.LBB629_57:
	s_or_b64 exec, exec, s[2:3]
	s_branch .LBB629_60
.LBB629_58:
                                        ; implicit-def: $vgpr13
                                        ; implicit-def: $vgpr17
                                        ; implicit-def: $vgpr21
                                        ; implicit-def: $vgpr25
	s_cbranch_execz .LBB629_60
; %bb.59:
	s_waitcnt vmcnt(0)
	v_lshlrev_b32_e32 v10, 1, v26
	v_lshl_or_b32 v26, v35, 9, v10
	s_and_b32 s13, s13, 0xffff
	s_mov_b32 s15, 0x20000
	s_movk_i32 s14, 0x4000
	s_movk_i32 s0, 0x80
	buffer_load_dwordx4 v[10:13], v26, s[12:15], 0 offen
	buffer_load_dwordx4 v[14:17], v26, s[12:15], 0 offen offset:256
	buffer_load_dwordx4 v[18:21], v26, s[12:15], s0 offen
	buffer_load_dwordx4 v[22:25], v26, s[12:15], s0 offen offset:256
.LBB629_60:
	ds_read2st64_b64 v[30:33], v46 offset0:76 offset1:77
	ds_read2st64_b64 v[26:29], v46 offset0:78 offset1:79
	ds_read_b64 v[42:43], v36 offset:24576
	ds_read_b64 v[40:41], v37 offset:24576
	;; [unrolled: 1-line block ×4, first 2 shown]
	v_and_b32_e32 v47, 6, v0
	v_xor_b32_e32 v35, v35, v47
	v_lshlrev_b32_e32 v35, 2, v35
	v_and_b32_e32 v51, 1, v0
	v_xor_b32_e32 v52, 0x440, v35
	v_cmp_eq_u32_e32 vcc, 0, v51
	s_mov_b32 s0, 0x1000504
	s_waitcnt vmcnt(0)
	v_perm_b32 v51, v18, v22, s0
	v_cndmask_b32_e32 v35, v52, v35, vcc
	v_lshl_or_b32 v35, v47, 10, v35
	v_perm_b32 v47, v10, v14, s0
	ds_write2st64_b32 v35, v47, v51 offset1:32
	v_xor_b32_e32 v47, 8, v35
	s_mov_b32 s1, 0x3020706
	v_perm_b32 v10, v10, v14, s1
	v_perm_b32 v14, v18, v22, s1
	v_add_u32_e32 v18, 0x80, v47
	ds_write2st64_b32 v18, v10, v14 offset1:32
	v_xor_b32_e32 v10, 16, v35
	v_perm_b32 v14, v11, v15, s0
	v_perm_b32 v18, v19, v23, s0
	ds_write2st64_b32 v10, v14, v18 offset0:1 offset1:33
	v_xor_b32_e32 v10, 24, v35
	v_perm_b32 v11, v11, v15, s1
	v_perm_b32 v14, v19, v23, s1
	v_add_u32_e32 v10, 0x80, v10
	ds_write2st64_b32 v10, v11, v14 offset0:1 offset1:33
	v_xor_b32_e32 v10, 32, v35
	v_perm_b32 v11, v12, v16, s0
	v_perm_b32 v14, v20, v24, s0
	ds_write2st64_b32 v10, v11, v14 offset0:2 offset1:34
	v_xor_b32_e32 v10, 40, v35
	v_perm_b32 v11, v12, v16, s1
	v_perm_b32 v12, v20, v24, s1
	v_add_u32_e32 v10, 0x80, v10
	ds_write2st64_b32 v10, v11, v12 offset0:2 offset1:34
	v_xor_b32_e32 v10, 48, v35
	v_perm_b32 v11, v13, v17, s0
	v_perm_b32 v12, v21, v25, s0
	ds_write2st64_b32 v10, v11, v12 offset0:3 offset1:35
	v_xor_b32_e32 v10, 56, v35
	v_and_or_b32 v18, v50, 12, v49
	v_perm_b32 v11, v13, v17, s1
	v_perm_b32 v12, v21, v25, s1
	v_add_u32_e32 v10, 0x80, v10
	v_cmp_gt_i32_e32 vcc, s51, v18
	v_mov_b32_e32 v20, 0
	v_mov_b32_e32 v24, 0
	ds_write2st64_b32 v10, v11, v12 offset0:3 offset1:35
	s_and_saveexec_b64 s[0:1], vcc
	s_cbranch_execz .LBB629_62
; %bb.61:
	v_add_u32_e32 v10, s24, v18
	v_ashrrev_i32_e32 v11, 31, v10
	v_mul_lo_u32 v12, v11, s10
	v_mul_lo_u32 v13, v10, s11
	v_mad_u64_u32 v[10:11], s[2:3], v10, s10, 0
	v_add3_u32 v11, v11, v13, v12
	v_lshl_add_u64 v[10:11], v[10:11], 2, s[18:19]
	global_load_dword v10, v[10:11], off
	s_waitcnt vmcnt(0)
	v_sub_f32_e32 v10, s20, v10
	v_mul_f32_e32 v10, 0x3fb8aa3b, v10
	v_exp_f32_e32 v24, v10
.LBB629_62:
	s_or_b64 exec, exec, s[0:1]
	v_or_b32_e32 v23, 1, v18
	v_cmp_gt_i32_e64 s[4:5], s51, v23
	s_and_saveexec_b64 s[0:1], s[4:5]
	s_cbranch_execz .LBB629_64
; %bb.63:
	v_add_u32_e32 v10, s24, v23
	v_ashrrev_i32_e32 v11, 31, v10
	v_mul_lo_u32 v12, v11, s10
	v_mul_lo_u32 v13, v10, s11
	v_mad_u64_u32 v[10:11], s[2:3], v10, s10, 0
	v_add3_u32 v11, v11, v13, v12
	v_lshl_add_u64 v[10:11], v[10:11], 2, s[18:19]
	global_load_dword v10, v[10:11], off
	s_waitcnt vmcnt(0)
	v_sub_f32_e32 v10, s20, v10
	v_mul_f32_e32 v10, 0x3fb8aa3b, v10
	v_exp_f32_e32 v20, v10
.LBB629_64:
	s_or_b64 exec, exec, s[0:1]
	v_or_b32_e32 v21, 2, v18
	v_cmp_gt_i32_e64 s[0:1], s51, v21
	v_mov_b32_e32 v19, 0
	v_mov_b32_e32 v25, 0
	s_and_saveexec_b64 s[2:3], s[0:1]
	s_cbranch_execz .LBB629_66
; %bb.65:
	v_add_u32_e32 v10, s24, v21
	v_ashrrev_i32_e32 v11, 31, v10
	v_mul_lo_u32 v12, v11, s10
	v_mul_lo_u32 v13, v10, s11
	v_mad_u64_u32 v[10:11], s[12:13], v10, s10, 0
	v_add3_u32 v11, v11, v13, v12
	v_lshl_add_u64 v[10:11], v[10:11], 2, s[18:19]
	global_load_dword v10, v[10:11], off
	s_waitcnt vmcnt(0)
	v_sub_f32_e32 v10, s20, v10
	v_mul_f32_e32 v10, 0x3fb8aa3b, v10
	v_exp_f32_e32 v25, v10
.LBB629_66:
	s_or_b64 exec, exec, s[2:3]
	v_or_b32_e32 v22, 3, v18
	v_cmp_gt_i32_e64 s[2:3], s51, v22
	s_and_saveexec_b64 s[12:13], s[2:3]
	s_cbranch_execz .LBB629_68
; %bb.67:
	v_add_u32_e32 v10, s24, v22
	v_ashrrev_i32_e32 v11, 31, v10
	v_mul_lo_u32 v12, v11, s10
	v_mul_lo_u32 v13, v10, s11
	v_mad_u64_u32 v[10:11], s[10:11], v10, s10, 0
	v_add3_u32 v11, v11, v13, v12
	v_lshl_add_u64 v[10:11], v[10:11], 2, s[18:19]
	global_load_dword v10, v[10:11], off
	s_waitcnt vmcnt(0)
	v_sub_f32_e32 v10, s20, v10
	v_mul_f32_e32 v10, 0x3fb8aa3b, v10
	v_exp_f32_e32 v19, v10
.LBB629_68:
	s_or_b64 exec, exec, s[12:13]
	s_waitcnt lgkmcnt(11)
	v_mfma_f32_16x16x16_bf16 a[0:3], v[42:43], v[30:31], a[0:3]
	s_add_u32 s10, s16, s36
	s_addc_u32 s11, s17, s37
	v_ashrrev_i32_e32 v35, 31, v34
	s_waitcnt lgkmcnt(10)
	v_mfma_f32_16x16x16_bf16 a[0:3], v[40:41], v[32:33], a[0:3]
	s_add_u32 s6, s6, s36
	v_lshlrev_b64 v[10:11], 1, v[34:35]
	s_addc_u32 s7, s7, s37
	s_waitcnt lgkmcnt(9)
	v_mfma_f32_16x16x16_bf16 a[0:3], v[38:39], v[26:27], a[0:3]
	v_lshl_add_u64 v[14:15], s[10:11], 0, v[10:11]
	v_lshl_add_u64 v[16:17], s[6:7], 0, v[10:11]
	v_mov_b32_e32 v26, 0
	s_waitcnt lgkmcnt(8)
	v_mfma_f32_16x16x16_bf16 a[0:3], v[36:37], v[28:29], a[0:3]
	v_mov_b32_e32 v27, 0
	s_nop 5
	v_accvgpr_read_b32 v13, a3
	v_accvgpr_read_b32 v12, a2
	;; [unrolled: 1-line block ×4, first 2 shown]
	s_and_saveexec_b64 s[6:7], vcc
	s_cbranch_execz .LBB629_70
; %bb.69:
	v_lshlrev_b32_e32 v28, 8, v18
	v_mov_b32_e32 v29, 0
	v_lshl_add_u64 v[30:31], v[14:15], 0, v[28:29]
	global_load_ushort v27, v[30:31], off
	v_lshl_add_u64 v[28:29], v[16:17], 0, v[28:29]
	s_waitcnt vmcnt(0)
	v_lshlrev_b32_e32 v27, 16, v27
	v_sub_f32_e32 v10, v27, v10
	global_store_short_d16_hi v[28:29], v10, off
	v_mul_f32_e32 v10, v24, v10
	v_lshrrev_b32_e32 v27, 16, v10
.LBB629_70:
	s_or_b64 exec, exec, s[6:7]
	s_and_saveexec_b64 s[6:7], s[4:5]
	s_cbranch_execz .LBB629_72
; %bb.71:
	v_lshlrev_b32_e32 v28, 8, v23
	v_mov_b32_e32 v29, 0
	v_lshl_add_u64 v[30:31], v[14:15], 0, v[28:29]
	global_load_ushort v10, v[30:31], off
	v_lshl_add_u64 v[28:29], v[16:17], 0, v[28:29]
	s_waitcnt vmcnt(0)
	v_lshlrev_b32_e32 v10, 16, v10
	v_sub_f32_e32 v10, v10, v11
	global_store_short_d16_hi v[28:29], v10, off
	v_mul_f32_e32 v10, v20, v10
	v_lshrrev_b32_e32 v26, 16, v10
.LBB629_72:
	s_or_b64 exec, exec, s[6:7]
	v_mov_b32_e32 v11, 0
	v_mov_b32_e32 v20, 0
	s_and_saveexec_b64 s[4:5], s[0:1]
	s_cbranch_execz .LBB629_74
; %bb.73:
	v_lshlrev_b32_e32 v20, 8, v21
	v_mov_b32_e32 v21, 0
	v_lshl_add_u64 v[28:29], v[14:15], 0, v[20:21]
	global_load_ushort v10, v[28:29], off
	v_lshl_add_u64 v[20:21], v[16:17], 0, v[20:21]
	s_waitcnt vmcnt(0)
	v_lshlrev_b32_e32 v10, 16, v10
	v_sub_f32_e32 v10, v10, v12
	global_store_short_d16_hi v[20:21], v10, off
	v_mul_f32_e32 v10, v25, v10
	v_lshrrev_b32_e32 v20, 16, v10
.LBB629_74:
	s_or_b64 exec, exec, s[4:5]
	v_or_b32_e32 v10, 0x9800, v46
	s_and_saveexec_b64 s[0:1], s[2:3]
	s_cbranch_execz .LBB629_76
; %bb.75:
	v_lshlrev_b32_e32 v22, 8, v22
	v_mov_b32_e32 v23, 0
	v_lshl_add_u64 v[14:15], v[14:15], 0, v[22:23]
	global_load_ushort v11, v[14:15], off
	v_lshl_add_u64 v[14:15], v[16:17], 0, v[22:23]
	s_waitcnt vmcnt(0)
	v_lshlrev_b32_e32 v11, 16, v11
	v_sub_f32_e32 v11, v11, v13
	global_store_short_d16_hi v[14:15], v11, off
	v_mul_f32_e32 v11, v19, v11
	v_lshrrev_b32_e32 v11, 16, v11
.LBB629_76:
	s_or_b64 exec, exec, s[0:1]
	s_mov_b32 s0, 0x5040100
	v_perm_b32 v13, v11, v20, s0
	v_lshlrev_b32_e32 v11, 1, v44
	v_perm_b32 v12, v26, v27, s0
	v_lshl_or_b32 v11, v18, 5, v11
	s_movk_i32 s0, 0xff
	ds_write_b64 v11, v[12:13] offset:38912
	v_and_b32_e32 v11, 7, v0
	v_and_b32_e32 v12, 8, v0
	v_cmp_lt_u32_e32 vcc, s0, v0
	v_lshrrev_b32_e32 v0, 1, v0
	v_lshlrev_b32_e32 v22, 3, v11
	v_lshlrev_b32_e32 v23, 7, v11
	v_cndmask_b32_e64 v11, 0, 1, vcc
	v_lshlrev_b32_e32 v25, 3, v48
	v_and_b32_e32 v0, 24, v0
	v_lshlrev_b32_e32 v24, 13, v11
	v_xor_b32_e32 v11, v25, v0
	v_or_b32_e32 v13, 0x440, v11
	v_cmp_eq_u32_e32 vcc, 0, v12
	s_waitcnt lgkmcnt(0)
	s_barrier
	v_cndmask_b32_e32 v11, v13, v11, vcc
	v_or_b32_e32 v11, v11, v45
	v_xad_u32 v26, v11, v22, v23
	v_add_u32_e32 v11, v24, v26
	ds_read_b64 v[20:21], v11
	ds_read2st64_b64 v[12:15], v10 offset1:1
	ds_read2st64_b64 v[16:19], v10 offset0:2 offset1:3
	v_or_b32_e32 v10, 32, v0
	v_xor_b32_e32 v10, v25, v10
	v_or_b32_e32 v11, 0x440, v10
	v_cndmask_b32_e32 v10, v11, v10, vcc
	v_or_b32_e32 v10, v10, v45
	v_xad_u32 v27, v10, v22, v23
	v_add_u32_e32 v10, v24, v27
	ds_read_b64 v[10:11], v10
	s_waitcnt lgkmcnt(2)
	v_mfma_f32_16x16x16_bf16 a[0:3], v[20:21], v[12:13], 0
	s_waitcnt lgkmcnt(0)
	v_mfma_f32_16x16x16_bf16 a[0:3], v[10:11], v[14:15], a[0:3]
	v_or_b32_e32 v10, 64, v0
	v_xor_b32_e32 v10, v25, v10
	v_xor_b32_e32 v11, 0x440, v10
	v_cndmask_b32_e32 v10, v11, v10, vcc
	v_or_b32_e32 v10, v10, v45
	v_xad_u32 v28, v10, v22, v23
	v_add_u32_e32 v10, v24, v28
	ds_read_b64 v[10:11], v10
	v_or_b32_e32 v0, 0x60, v0
	v_xor_b32_e32 v0, v25, v0
	v_xor_b32_e32 v20, 0x440, v0
	v_cndmask_b32_e32 v0, v20, v0, vcc
	v_or_b32_e32 v0, v0, v45
	v_xad_u32 v0, v0, v22, v23
	v_add_u32_e32 v20, v24, v0
	ds_read_b64 v[20:21], v20
	s_waitcnt lgkmcnt(1)
	v_mfma_f32_16x16x16_bf16 a[0:3], v[10:11], v[16:17], a[0:3]
	ds_read_b64 v[10:11], v26 offset:8192
	ds_read_b64 v[22:23], v27 offset:8192
	v_mov_b32_e32 v24, 0x3fb8aa3b
	s_waitcnt lgkmcnt(2)
	v_mfma_f32_16x16x16_bf16 a[0:3], v[20:21], v[18:19], a[0:3]
	v_mul_f32_e32 v20, s20, v24
	v_exp_f32_e32 v24, v20
	ds_read_b64 v[20:21], v28 offset:8192
	s_waitcnt lgkmcnt(2)
	v_mfma_f32_16x16x16_bf16 a[4:7], v[10:11], v[12:13], 0
	s_nop 1
	v_accvgpr_read_b32 v10, a0
	v_fma_f32 v12, v2, v24, v10
	ds_read_b64 v[10:11], v0 offset:8192
	s_waitcnt lgkmcnt(2)
	v_mfma_f32_16x16x16_bf16 a[4:7], v[22:23], v[14:15], a[4:7]
	v_accvgpr_read_b32 v0, a1
	v_fma_f32 v13, v3, v24, v0
	v_accvgpr_read_b32 v0, a2
	s_waitcnt lgkmcnt(1)
	v_mfma_f32_16x16x16_bf16 a[4:7], v[20:21], v[16:17], a[4:7]
	v_accvgpr_read_b32 v15, a3
	v_fma_f32 v14, v4, v24, v0
	v_fmac_f32_e32 v15, v5, v24
	s_waitcnt lgkmcnt(0)
	v_mfma_f32_16x16x16_bf16 a[0:3], v[10:11], v[18:19], a[4:7]
	v_mov_b32_e32 v10, v34
	s_nop 5
	v_accvgpr_read_b32 v0, a0
	v_fma_f32 v16, v6, v24, v0
	v_accvgpr_read_b32 v0, a1
	v_fma_f32 v17, v7, v24, v0
	v_accvgpr_read_b32 v0, a2
	v_accvgpr_read_b32 v19, a3
	v_fma_f32 v18, v8, v24, v0
	v_fmac_f32_e32 v19, v9, v24
	v_mov_b64_e32 v[2:3], v[12:13]
	v_mov_b64_e32 v[4:5], v[14:15]
	;; [unrolled: 1-line block ×4, first 2 shown]
.LBB629_77:
	s_mul_i32 s0, s47, s35
	s_mul_hi_u32 s1, s47, s34
	s_add_i32 s0, s1, s0
	s_mul_i32 s1, s33, s34
	s_add_i32 s1, s0, s1
	s_mul_i32 s0, s47, s34
	s_add_u32 s0, s0, s46
	s_addc_u32 s1, s1, s25
	s_lshl_b64 s[0:1], s[0:1], 15
	s_add_u32 s0, s8, s0
	v_lshlrev_b32_e32 v10, 7, v10
	s_addc_u32 s1, s9, s1
	v_ashrrev_i32_e32 v11, 31, v10
	v_lshl_add_u64 v[10:11], v[10:11], 1, s[0:1]
	v_lshlrev_b32_e32 v0, 1, v1
	v_mov_b32_e32 v1, 0
	s_mov_b32 s0, 0x7060302
	v_lshl_add_u64 v[0:1], v[10:11], 0, v[0:1]
	v_perm_b32 v5, v5, v4, s0
	v_perm_b32 v4, v3, v2, s0
	;; [unrolled: 1-line block ×4, first 2 shown]
	global_store_dwordx2 v[0:1], v[4:5], off
	global_store_dwordx2 v[0:1], v[2:3], off offset:128
	s_endpgm
	.section	.rodata,"a",@progbits
	.p2align	6, 0x0
	.amdhsa_kernel _ZN12_GLOBAL__N_139chunk_gated_delta_rule_fwd_h_hip_kernelILi16ELb0ELb1ELb1ELb1ELb0ELb0ELb0ELb1EEEvPK12hip_bfloat16S3_S3_PKfS5_PKvPS1_S8_PvPKiSB_iiiiilll
		.amdhsa_group_segment_fixed_size 40960
		.amdhsa_private_segment_fixed_size 0
		.amdhsa_kernarg_size 136
		.amdhsa_user_sgpr_count 2
		.amdhsa_user_sgpr_dispatch_ptr 0
		.amdhsa_user_sgpr_queue_ptr 0
		.amdhsa_user_sgpr_kernarg_segment_ptr 1
		.amdhsa_user_sgpr_dispatch_id 0
		.amdhsa_user_sgpr_kernarg_preload_length 0
		.amdhsa_user_sgpr_kernarg_preload_offset 0
		.amdhsa_user_sgpr_private_segment_size 0
		.amdhsa_uses_dynamic_stack 0
		.amdhsa_enable_private_segment 0
		.amdhsa_system_sgpr_workgroup_id_x 1
		.amdhsa_system_sgpr_workgroup_id_y 1
		.amdhsa_system_sgpr_workgroup_id_z 0
		.amdhsa_system_sgpr_workgroup_info 0
		.amdhsa_system_vgpr_workitem_id 0
		.amdhsa_next_free_vgpr 116
		.amdhsa_next_free_sgpr 66
		.amdhsa_accum_offset 108
		.amdhsa_reserve_vcc 1
		.amdhsa_float_round_mode_32 0
		.amdhsa_float_round_mode_16_64 0
		.amdhsa_float_denorm_mode_32 3
		.amdhsa_float_denorm_mode_16_64 3
		.amdhsa_dx10_clamp 1
		.amdhsa_ieee_mode 1
		.amdhsa_fp16_overflow 0
		.amdhsa_tg_split 0
		.amdhsa_exception_fp_ieee_invalid_op 0
		.amdhsa_exception_fp_denorm_src 0
		.amdhsa_exception_fp_ieee_div_zero 0
		.amdhsa_exception_fp_ieee_overflow 0
		.amdhsa_exception_fp_ieee_underflow 0
		.amdhsa_exception_fp_ieee_inexact 0
		.amdhsa_exception_int_div_zero 0
	.end_amdhsa_kernel
	.section	.text._ZN12_GLOBAL__N_139chunk_gated_delta_rule_fwd_h_hip_kernelILi16ELb0ELb1ELb1ELb1ELb0ELb0ELb0ELb1EEEvPK12hip_bfloat16S3_S3_PKfS5_PKvPS1_S8_PvPKiSB_iiiiilll,"axG",@progbits,_ZN12_GLOBAL__N_139chunk_gated_delta_rule_fwd_h_hip_kernelILi16ELb0ELb1ELb1ELb1ELb0ELb0ELb0ELb1EEEvPK12hip_bfloat16S3_S3_PKfS5_PKvPS1_S8_PvPKiSB_iiiiilll,comdat
.Lfunc_end629:
	.size	_ZN12_GLOBAL__N_139chunk_gated_delta_rule_fwd_h_hip_kernelILi16ELb0ELb1ELb1ELb1ELb0ELb0ELb0ELb1EEEvPK12hip_bfloat16S3_S3_PKfS5_PKvPS1_S8_PvPKiSB_iiiiilll, .Lfunc_end629-_ZN12_GLOBAL__N_139chunk_gated_delta_rule_fwd_h_hip_kernelILi16ELb0ELb1ELb1ELb1ELb0ELb0ELb0ELb1EEEvPK12hip_bfloat16S3_S3_PKfS5_PKvPS1_S8_PvPKiSB_iiiiilll
                                        ; -- End function
	.section	.AMDGPU.csdata,"",@progbits
; Kernel info:
; codeLenInByte = 7944
; NumSgprs: 72
; NumVgprs: 108
; NumAgprs: 8
; TotalNumVgprs: 116
; ScratchSize: 0
; MemoryBound: 0
; FloatMode: 240
; IeeeMode: 1
; LDSByteSize: 40960 bytes/workgroup (compile time only)
; SGPRBlocks: 8
; VGPRBlocks: 14
; NumSGPRsForWavesPerEU: 72
; NumVGPRsForWavesPerEU: 116
; AccumOffset: 108
; Occupancy: 1
; WaveLimiterHint : 1
; COMPUTE_PGM_RSRC2:SCRATCH_EN: 0
; COMPUTE_PGM_RSRC2:USER_SGPR: 2
; COMPUTE_PGM_RSRC2:TRAP_HANDLER: 0
; COMPUTE_PGM_RSRC2:TGID_X_EN: 1
; COMPUTE_PGM_RSRC2:TGID_Y_EN: 1
; COMPUTE_PGM_RSRC2:TGID_Z_EN: 0
; COMPUTE_PGM_RSRC2:TIDIG_COMP_CNT: 0
; COMPUTE_PGM_RSRC3_GFX90A:ACCUM_OFFSET: 26
; COMPUTE_PGM_RSRC3_GFX90A:TG_SPLIT: 0
	.section	.text._ZN12_GLOBAL__N_139chunk_gated_delta_rule_fwd_h_hip_kernelILi16ELb0ELb1ELb0ELb1ELb0ELb0ELb0ELb1EEEvPK12hip_bfloat16S3_S3_PKfS5_PKvPS1_S8_PvPKiSB_iiiiilll,"axG",@progbits,_ZN12_GLOBAL__N_139chunk_gated_delta_rule_fwd_h_hip_kernelILi16ELb0ELb1ELb0ELb1ELb0ELb0ELb0ELb1EEEvPK12hip_bfloat16S3_S3_PKfS5_PKvPS1_S8_PvPKiSB_iiiiilll,comdat
	.globl	_ZN12_GLOBAL__N_139chunk_gated_delta_rule_fwd_h_hip_kernelILi16ELb0ELb1ELb0ELb1ELb0ELb0ELb0ELb1EEEvPK12hip_bfloat16S3_S3_PKfS5_PKvPS1_S8_PvPKiSB_iiiiilll ; -- Begin function _ZN12_GLOBAL__N_139chunk_gated_delta_rule_fwd_h_hip_kernelILi16ELb0ELb1ELb0ELb1ELb0ELb0ELb0ELb1EEEvPK12hip_bfloat16S3_S3_PKfS5_PKvPS1_S8_PvPKiSB_iiiiilll
	.p2align	8
	.type	_ZN12_GLOBAL__N_139chunk_gated_delta_rule_fwd_h_hip_kernelILi16ELb0ELb1ELb0ELb1ELb0ELb0ELb0ELb1EEEvPK12hip_bfloat16S3_S3_PKfS5_PKvPS1_S8_PvPKiSB_iiiiilll,@function
_ZN12_GLOBAL__N_139chunk_gated_delta_rule_fwd_h_hip_kernelILi16ELb0ELb1ELb0ELb1ELb0ELb0ELb0ELb1EEEvPK12hip_bfloat16S3_S3_PKfS5_PKvPS1_S8_PvPKiSB_iiiiilll: ; @_ZN12_GLOBAL__N_139chunk_gated_delta_rule_fwd_h_hip_kernelILi16ELb0ELb1ELb0ELb1ELb0ELb0ELb0ELb1EEEvPK12hip_bfloat16S3_S3_PKfS5_PKvPS1_S8_PvPKiSB_iiiiilll
; %bb.0:
	s_load_dwordx4 s[16:19], s[0:1], 0x5c
	s_abs_i32 s23, s3
	s_ashr_i32 s22, s3, 31
	s_load_dwordx2 s[20:21], s[0:1], 0x50
	s_load_dwordx8 s[4:11], s[0:1], 0x0
	s_load_dwordx4 s[12:15], s[0:1], 0x40
	s_load_dwordx2 s[40:41], s[0:1], 0x30
	s_waitcnt lgkmcnt(0)
	s_abs_i32 s26, s17
	v_cvt_f32_u32_e32 v1, s26
	s_sub_i32 s24, 0, s26
	s_ashr_i32 s33, s17, 31
	s_xor_b32 s22, s22, s33
	v_rcp_iflag_f32_e32 v1, v1
	v_lshrrev_b32_e32 v46, 6, v0
	v_bfe_u32 v49, v0, 4, 2
	v_lshlrev_b32_e32 v47, 4, v46
	v_mul_f32_e32 v1, 0x4f7ffffe, v1
	v_cvt_u32_f32_e32 v1, v1
	v_lshlrev_b32_e32 v10, 2, v49
	v_and_b32_e32 v48, 63, v0
	v_mov_b32_e32 v9, 0
	v_readfirstlane_b32 s25, v1
	s_mul_i32 s24, s24, s25
	s_mul_hi_u32 s24, s25, s24
	s_add_i32 s25, s25, s24
	s_mul_hi_u32 s24, s23, s25
	s_mul_i32 s25, s24, s26
	s_sub_i32 s23, s23, s25
	s_add_i32 s27, s24, 1
	s_sub_i32 s25, s23, s26
	s_cmp_ge_u32 s23, s26
	s_cselect_b32 s24, s27, s24
	s_cselect_b32 s23, s25, s23
	s_add_i32 s25, s24, 1
	s_cmp_ge_u32 s23, s26
	s_cselect_b32 s23, s25, s24
	s_xor_b32 s23, s23, s22
	s_sub_i32 s34, s23, s22
	s_mul_i32 s22, s34, s17
	s_ashr_i32 s35, s34, 31
	s_sub_i32 s44, s3, s22
	s_lshl_b64 s[22:23], s[34:35], 2
	s_add_u32 s14, s14, s22
	s_addc_u32 s15, s15, s23
	s_add_u32 s24, s20, s22
	s_addc_u32 s25, s21, s23
	s_abs_i32 s3, s18
	v_cvt_f32_u32_e32 v1, s3
	s_load_dwordx2 s[36:37], s[14:15], 0x0
	s_sub_i32 s15, 0, s3
	s_mov_b32 s45, s17
	v_rcp_iflag_f32_e32 v1, v1
	v_and_b32_e32 v50, 15, v0
	s_waitcnt lgkmcnt(0)
	s_sub_i32 s49, s37, s36
	s_ashr_i32 s14, s49, 31
	v_mul_f32_e32 v1, 0x4f7ffffe, v1
	v_cvt_u32_f32_e32 v1, v1
	s_lshr_b32 s14, s14, 26
	s_add_i32 s14, s49, s14
	s_ashr_i32 s50, s14, 6
	v_readfirstlane_b32 s20, v1
	s_mul_i32 s15, s15, s20
	s_mul_hi_u32 s15, s20, s15
	s_add_i32 s20, s20, s15
	s_mul_hi_u32 s15, s26, s20
	s_mul_i32 s20, s15, s3
	s_ashr_i32 s14, s18, 31
	s_sub_i32 s20, s26, s20
	s_xor_b32 s14, s33, s14
	s_add_i32 s21, s15, 1
	s_sub_i32 s22, s20, s3
	s_cmp_ge_u32 s20, s3
	s_cselect_b32 s15, s21, s15
	s_cselect_b32 s20, s22, s20
	s_add_i32 s21, s15, 1
	s_cmp_ge_u32 s20, s3
	s_cselect_b32 s3, s21, s15
	s_xor_b32 s3, s3, s14
	s_sub_i32 s3, s3, s14
	s_abs_i32 s26, s3
	v_cvt_f32_u32_e32 v1, s26
	s_load_dwordx2 s[14:15], s[0:1], 0x80
	s_load_dwordx4 s[20:23], s[0:1], 0x70
	s_load_dword s51, s[24:25], 0x0
	s_xor_b32 s0, s44, s3
	v_rcp_iflag_f32_e32 v1, v1
	s_sub_i32 s3, 0, s26
	s_abs_i32 s1, s44
	s_ashr_i32 s0, s0, 31
	v_mul_f32_e32 v1, 0x4f7ffffe, v1
	v_cvt_u32_f32_e32 v1, v1
	s_mul_hi_i32 s52, s44, s16
	s_mul_i32 s53, s44, s16
	v_lshrrev_b32_e32 v52, 3, v48
	v_readfirstlane_b32 s24, v1
	s_mul_i32 s3, s3, s24
	s_mul_hi_u32 s3, s24, s3
	s_add_i32 s24, s24, s3
	s_mul_hi_u32 s3, s1, s24
	s_mul_i32 s24, s3, s26
	s_sub_i32 s1, s1, s24
	s_add_i32 s24, s3, 1
	s_sub_i32 s25, s1, s26
	s_cmp_ge_u32 s1, s26
	s_cselect_b32 s3, s24, s3
	s_cselect_b32 s1, s25, s1
	s_add_i32 s24, s3, 1
	s_cmp_ge_u32 s1, s26
	s_cselect_b32 s1, s24, s3
	s_xor_b32 s1, s1, s0
	s_sub_i32 s54, s1, s0
	v_or_b32_e32 v1, v10, v47
	s_lshl_b32 s2, s2, 4
	v_or_b32_e32 v53, 64, v1
	s_cmp_lt_i32 s49, 64
	v_lshlrev_b32_e32 v51, 3, v0
	s_waitcnt lgkmcnt(0)
	s_mul_i32 s46, s34, s21
	s_mul_hi_u32 s47, s34, s20
	s_mul_i32 s48, s35, s20
	s_mul_i32 s38, s34, s20
	v_mov_b32_e32 v8, v9
	v_mov_b32_e32 v7, v9
	;; [unrolled: 1-line block ×7, first 2 shown]
	s_cbranch_scc1 .LBB630_18
; %bb.1:
	s_ashr_i32 s56, s44, 31
	s_ashr_i32 s1, s36, 31
	s_add_u32 s0, s53, s36
	s_addc_u32 s1, s52, s1
	s_lshl_b64 s[0:1], s[0:1], 8
	v_and_b32_e32 v55, 56, v51
	s_add_u32 s24, s6, s0
	v_lshl_or_b32 v54, v46, 3, v52
	v_lshlrev_b32_e32 v3, 1, v55
	s_addc_u32 s0, s7, s1
	v_lshl_or_b32 v56, v54, 8, v3
	s_and_b32 s25, s0, 0xffff
	s_mov_b32 s27, 0x20000
	s_movk_i32 s26, 0x4000
	s_movk_i32 s0, 0x80
	v_or_b32_e32 v57, 0x2000, v56
	buffer_load_dwordx4 v[4:7], v56, s[24:27], 0 offen
	buffer_load_dwordx4 v[12:15], v56, s[24:27], s0 offen
	;; [unrolled: 1-line block ×4, first 2 shown]
	v_lshlrev_b32_e32 v2, 3, v54
	v_and_or_b32 v9, v0, 7, v2
	v_and_b32_e32 v2, 0x78, v2
	v_lshlrev_b32_e32 v9, 4, v9
	v_xor_b32_e32 v58, v9, v2
	v_mul_lo_u32 v8, v54, s19
	v_or_b32_e32 v59, 0x1000, v58
	v_xor_b32_e32 v2, 8, v58
	s_cmpk_eq_i32 s19, 0x80
	s_mov_b32 s55, s36
	v_xor_b32_e32 v9, 8, v59
	s_cselect_b64 s[0:1], -1, 0
	s_cmpk_lg_i32 s19, 0x80
	s_waitcnt vmcnt(3)
	ds_write_b64 v58, v[4:5] offset:16384
	ds_write_b64 v2, v[6:7] offset:16384
	s_waitcnt vmcnt(2)
	ds_write_b64 v58, v[12:13] offset:24576
	ds_write_b64 v2, v[14:15] offset:24576
	;; [unrolled: 3-line block ×4, first 2 shown]
	v_lshl_add_u32 v2, v8, 1, v55
	s_cbranch_scc0 .LBB630_3
; %bb.2:
	v_lshlrev_b32_e32 v6, 1, v2
	v_add_lshl_u32 v5, v2, s19, 1
	s_lshl_b32 s26, s19, 7
	v_lshl_or_b32 v4, v54, 9, v3
	s_cbranch_execz .LBB630_4
	s_branch .LBB630_5
.LBB630_3:
                                        ; implicit-def: $vgpr5
                                        ; implicit-def: $vgpr6
                                        ; implicit-def: $sgpr26
	v_lshl_or_b32 v4, v54, 9, v3
.LBB630_4:
	v_or_b32_e32 v5, 0x100, v4
	s_movk_i32 s26, 0x4000
	v_mov_b32_e32 v6, v4
.LBB630_5:
	s_mul_i32 s20, s36, s18
	s_ashr_i32 s57, s54, 31
	s_mul_hi_i32 s3, s36, s18
	s_add_u32 s20, s20, s54
	s_addc_u32 s21, s3, s57
	s_lshl_b64 s[20:21], s[20:21], 8
	s_add_u32 s24, s4, s20
	s_addc_u32 s3, s5, s21
	s_and_b32 s25, s3, 0xffff
	s_movk_i32 s58, 0x80
	buffer_load_dwordx4 v[12:15], v6, s[24:27], 0 offen
	buffer_load_dwordx4 v[16:19], v6, s[24:27], s58 offen
	;; [unrolled: 1-line block ×4, first 2 shown]
	v_and_b32_e32 v3, 6, v0
	v_lshlrev_b32_e32 v6, 2, v50
	v_lshlrev_b32_e32 v7, 3, v50
	v_xor_b32_e32 v9, v54, v3
	v_and_b32_e32 v5, 1, v0
	v_lshl_or_b32 v7, v1, 5, v7
	v_xor_b32_e32 v11, v1, v6
	v_lshlrev_b32_e32 v9, 2, v9
	s_mul_i32 s3, s44, s23
	s_mul_hi_u32 s21, s44, s22
	v_or_b32_e32 v60, 0x9000, v7
	v_or_b32_e32 v61, 0x9800, v7
	v_lshlrev_b32_e32 v7, 1, v11
	v_xor_b32_e32 v11, 0x440, v9
	v_cmp_eq_u32_e32 vcc, 0, v5
	s_add_i32 s25, s47, s46
	s_mul_i32 s24, s56, s22
	v_cndmask_b32_e32 v5, v11, v9, vcc
	s_add_i32 s3, s21, s3
	s_add_i32 s39, s25, s48
	s_mov_b32 s59, 0x1000504
	v_lshlrev_b32_e32 v8, 8, v50
	s_mov_b32 s26, 0x8000
	v_xor_b32_e32 v6, v53, v6
	v_lshl_or_b32 v3, v3, 10, v5
	s_add_i32 s21, s3, s24
	s_lshl_b64 s[24:25], s[38:39], 2
	s_mov_b32 s60, 0x3020706
	s_mul_i32 s20, s44, s22
	v_lshlrev_b32_e32 v6, 1, v6
	v_or3_b32 v62, v7, v8, s26
	v_xor_b32_e32 v5, 8, v3
	v_xor_b32_e32 v7, 24, v3
	;; [unrolled: 1-line block ×4, first 2 shown]
	s_add_u32 s3, s10, s24
	v_or3_b32 v63, v6, v8, s26
	v_xor_b32_e32 v6, 16, v3
	v_xor_b32_e32 v8, 32, v3
	;; [unrolled: 1-line block ×3, first 2 shown]
	v_add_u32_e32 v5, 0x80, v5
	v_add_u32_e32 v7, 0x80, v7
	v_add_u32_e32 v9, 0x80, v9
	v_add_u32_e32 v28, 0x80, v28
	s_addc_u32 s24, s11, s25
	s_lshl_b64 s[20:21], s[20:21], 2
	s_add_u32 s20, s3, s20
	s_movk_i32 s3, 0xf8
	s_addc_u32 s21, s24, s21
	s_lshl_b32 s30, s19, 7
	s_mov_b32 s61, 0
	v_add_u32_e32 v78, v47, v10
	v_mov_b32_e32 v79, 0x3fb8aa3b
	s_waitcnt vmcnt(1)
	v_perm_b32 v29, v12, v20, s59
	s_waitcnt vmcnt(0)
	v_perm_b32 v30, v16, v24, s59
	v_perm_b32 v12, v12, v20, s60
	;; [unrolled: 1-line block ×15, first 2 shown]
	ds_write2st64_b32 v3, v29, v30 offset1:32
	ds_write2st64_b32 v5, v12, v16 offset1:32
	ds_write2st64_b32 v6, v20, v24 offset0:1 offset1:33
	ds_write2st64_b32 v7, v13, v17 offset0:1 offset1:33
	;; [unrolled: 1-line block ×6, first 2 shown]
	v_or_b32_e32 v3, v47, v50
	v_lshlrev_b32_e32 v3, 3, v3
	v_lshrrev_b32_e32 v7, 5, v48
	v_and_or_b32 v7, v3, s3, v7
	v_lshlrev_b32_e32 v7, 4, v7
	v_lshlrev_b32_e32 v5, 11, v46
	v_and_b32_e32 v3, 0x78, v3
	v_or_b32_e32 v12, 32, v7
	v_and_b32_e32 v6, 0x1000, v5
	v_lshrrev_b32_e32 v11, 1, v0
	v_xor_b32_e32 v12, v12, v3
	v_and_b32_e32 v9, 8, v11
	v_or_b32_e32 v12, v12, v6
	v_xor_b32_e32 v8, v7, v3
	v_xor_b32_e32 v66, v12, v9
	v_or_b32_e32 v12, 64, v7
	v_or_b32_e32 v7, 0x60, v7
	;; [unrolled: 1-line block ×3, first 2 shown]
	v_xor_b32_e32 v12, v12, v3
	v_xor_b32_e32 v3, v7, v3
	;; [unrolled: 1-line block ×3, first 2 shown]
	v_and_b32_e32 v8, 0x78, v51
	v_or_b32_e32 v12, v12, v6
	v_or_b32_e32 v3, v3, v6
	v_lshl_or_b32 v8, v49, 7, v8
	v_xor_b32_e32 v67, v12, v9
	v_xor_b32_e32 v68, v3, v9
	v_lshlrev_b32_e32 v12, 1, v2
	v_add_lshl_u32 v13, v2, s19, 1
	v_lshrrev_b32_e32 v2, 4, v0
	v_lshlrev_b32_e32 v3, 1, v50
	v_or_b32_e32 v65, 0x9000, v8
	v_or_b32_e32 v69, 0x9800, v8
	s_ashr_i32 s3, s2, 31
	v_or_b32_e32 v8, 1, v3
	v_xor_b32_e32 v3, v2, v3
	s_lshl_b64 s[24:25], s[2:3], 8
	v_xor_b32_e32 v8, v8, v2
	v_lshlrev_b32_e32 v3, 3, v3
	v_lshlrev_b32_e32 v2, 8, v2
	s_add_u32 s24, s40, s24
	v_or3_b32 v70, v3, v2, s26
	v_lshlrev_b32_e32 v3, 3, v8
	s_addc_u32 s25, s41, s25
	v_or3_b32 v71, v3, v2, s26
	v_mov_b32_e32 v3, 0
	v_lshl_add_u64 v[8:9], s[24:25], 0, v[2:3]
	v_lshlrev_b32_e32 v2, 4, v50
	s_movk_i32 s3, 0xff
	v_lshlrev_b32_e32 v16, 3, v46
	v_and_b32_e32 v11, 24, v11
	v_lshl_add_u64 v[42:43], v[8:9], 0, v[2:3]
	v_and_b32_e32 v8, 8, v0
	v_cmp_lt_u32_e32 vcc, s3, v0
	v_xor_b32_e32 v17, v16, v11
	v_or_b32_e32 v18, 0x440, v17
	v_cndmask_b32_e64 v15, 0, 1, vcc
	v_cmp_eq_u32_e32 vcc, 0, v8
	v_and_b32_e32 v2, 7, v0
	v_lshlrev_b32_e32 v9, 3, v2
	v_cndmask_b32_e32 v8, v18, v17, vcc
	v_lshlrev_b32_e32 v2, 7, v2
	v_or_b32_e32 v8, v8, v5
	v_xad_u32 v72, v8, v9, v2
	v_or_b32_e32 v8, 32, v11
	v_xor_b32_e32 v8, v16, v8
	v_or_b32_e32 v17, 0x440, v8
	v_cndmask_b32_e32 v8, v17, v8, vcc
	v_or_b32_e32 v8, v8, v5
	v_xad_u32 v73, v8, v9, v2
	v_or_b32_e32 v8, 64, v11
	v_xor_b32_e32 v8, v16, v8
	v_xor_b32_e32 v17, 0x440, v8
	v_cndmask_b32_e32 v8, v17, v8, vcc
	v_or_b32_e32 v8, v8, v5
	v_xad_u32 v74, v8, v9, v2
	v_or_b32_e32 v8, 0x60, v11
	v_xor_b32_e32 v8, v16, v8
	v_xor_b32_e32 v11, 0x440, v8
	v_or_b32_e32 v6, s2, v50
	v_cndmask_b32_e32 v8, v11, v8, vcc
	v_ashrrev_i32_e32 v7, 31, v6
	v_or_b32_e32 v5, v8, v5
	v_lshl_add_u64 v[6:7], v[6:7], 1, s[8:9]
	v_or_b32_e32 v14, 0x100, v4
	v_lshlrev_b32_e32 v15, 13, v15
	v_xad_u32 v75, v5, v9, v2
	v_lshlrev_b32_e32 v2, 8, v1
	v_cndmask_b32_e64 v76, v12, v4, s[0:1]
	v_cndmask_b32_e64 v77, v13, v14, s[0:1]
	v_lshl_add_u64 v[44:45], v[6:7], 0, v[2:3]
	s_mov_b32 s3, 0x7060302
	s_movk_i32 s26, 0x4000
	v_add_u32_e32 v80, v15, v72
	v_add_u32_e32 v81, v15, v73
	;; [unrolled: 1-line block ×4, first 2 shown]
	v_mov_b32_e32 v2, v3
	v_mov_b32_e32 v4, v3
	;; [unrolled: 1-line block ×7, first 2 shown]
	s_waitcnt lgkmcnt(0)
	s_barrier
.LBB630_6:                              ; =>This Inner Loop Header: Depth=1
	s_add_i32 s39, s61, 1
	s_cmp_lt_i32 s39, s50
	s_mov_b64 s[28:29], 0
	s_cselect_b64 s[42:43], -1, 0
	s_cmp_ge_i32 s39, s50
	s_mov_b64 s[24:25], 0
	s_cbranch_scc1 .LBB630_8
; %bb.7:                                ;   in Loop: Header=BB630_6 Depth=1
	s_add_i32 s0, s55, 64
	s_ashr_i32 s1, s0, 31
	s_add_u32 s0, s53, s0
	s_addc_u32 s1, s52, s1
	s_lshl_b64 s[0:1], s[0:1], 8
	s_add_u32 s24, s6, s0
	s_addc_u32 s25, s7, s1
.LBB630_8:                              ;   in Loop: Header=BB630_6 Depth=1
	v_cndmask_b32_e64 v5, 0, 1, s[42:43]
	v_cmp_ne_u32_e64 s[0:1], 1, v5
	s_andn2_b64 vcc, exec, s[42:43]
	s_cbranch_vccnz .LBB630_10
; %bb.9:                                ;   in Loop: Header=BB630_6 Depth=1
	s_add_i32 s28, s55, 64
	s_mul_hi_i32 s29, s28, s18
	s_mul_i32 s28, s28, s18
	s_add_u32 s28, s28, s54
	s_addc_u32 s29, s29, s57
	s_lshl_b64 s[28:29], s[28:29], 8
	s_add_u32 s28, s4, s28
	s_addc_u32 s29, s5, s29
.LBB630_10:                             ;   in Loop: Header=BB630_6 Depth=1
	v_perm_b32 v11, v85, v4, s3
	v_perm_b32 v10, v3, v2, s3
	;; [unrolled: 1-line block ×4, first 2 shown]
	ds_write_b64 v60, v[10:11]
	ds_write_b64 v61, v[12:13]
	;; [unrolled: 1-line block ×4, first 2 shown]
	s_waitcnt lgkmcnt(0)
	s_barrier
	ds_read_b64 v[18:19], v64 offset:16384
	ds_read_b64 v[20:21], v66 offset:16384
	ds_read2st64_b64 v[10:13], v65 offset1:1
	s_waitcnt lgkmcnt(0)
	v_mfma_f32_16x16x16_bf16 a[0:3], v[18:19], v[10:11], 0
	ds_read2st64_b64 v[14:17], v65 offset0:2 offset1:3
	ds_read_b64 v[22:23], v67 offset:16384
	ds_read_b64 v[10:11], v68 offset:16384
	s_add_i32 s31, s55, 63
	v_mfma_f32_16x16x16_bf16 a[0:3], v[20:21], v[12:13], a[0:3]
	s_ashr_i32 s42, s31, 31
	s_mul_i32 s43, s31, s15
	s_mul_hi_u32 s62, s31, s14
	s_waitcnt lgkmcnt(1)
	v_mfma_f32_16x16x16_bf16 a[0:3], v[22:23], v[14:15], a[0:3]
	s_add_i32 s43, s62, s43
	s_mul_i32 s42, s42, s14
	s_add_i32 s43, s43, s42
	s_mul_i32 s42, s31, s14
	s_waitcnt lgkmcnt(0)
	v_mfma_f32_16x16x16_bf16 a[0:3], v[10:11], v[16:17], a[0:3]
	s_lshl_b64 s[42:43], s[42:43], 2
	s_add_u32 s42, s20, s42
	s_addc_u32 s43, s21, s43
	s_and_b64 vcc, exec, s[0:1]
	v_mov_b32_e32 v86, 0
	v_mov_b32_e32 v9, 0
	;; [unrolled: 1-line block ×19, first 2 shown]
	s_cbranch_vccnz .LBB630_12
; %bb.11:                               ;   in Loop: Header=BB630_6 Depth=1
	s_and_b32 s25, s25, 0xffff
	buffer_load_dwordx4 v[22:25], v56, s[24:27], 0 offen
	buffer_load_dwordx4 v[18:21], v56, s[24:27], s58 offen
	;; [unrolled: 1-line block ×4, first 2 shown]
	v_mov_b32_e32 v9, v58
	v_mov_b32_e32 v5, v59
.LBB630_12:                             ;   in Loop: Header=BB630_6 Depth=1
	s_waitcnt vmcnt(3)
	v_add_u32_e32 v30, s55, v78
	s_waitcnt vmcnt(1)
	v_ashrrev_i32_e32 v26, 31, v30
	v_mul_lo_u32 v28, v26, s14
	v_mul_lo_u32 v29, v30, s15
	v_mad_u64_u32 v[26:27], s[24:25], v30, s14, 0
	v_add3_u32 v27, v27, v29, v28
	v_lshl_add_u64 v[26:27], v[26:27], 2, s[20:21]
	global_load_dword v92, v[26:27], off
	v_add_u32_e32 v26, 1, v30
	v_ashrrev_i32_e32 v27, 31, v26
	v_mul_lo_u32 v28, v27, s14
	v_mul_lo_u32 v29, v26, s15
	v_mad_u64_u32 v[26:27], s[24:25], v26, s14, 0
	v_add3_u32 v27, v27, v29, v28
	v_add_u32_e32 v28, 2, v30
	v_ashrrev_i32_e32 v29, 31, v28
	v_mul_lo_u32 v31, v29, s14
	v_mul_lo_u32 v32, v28, s15
	v_mad_u64_u32 v[28:29], s[24:25], v28, s14, 0
	v_add_u32_e32 v30, 3, v30
	v_add3_u32 v29, v29, v32, v31
	v_ashrrev_i32_e32 v31, 31, v30
	v_mul_lo_u32 v34, v31, s14
	v_mul_lo_u32 v35, v30, s15
	v_mad_u64_u32 v[30:31], s[24:25], v30, s14, 0
	s_ashr_i32 s25, s55, 31
	s_add_u32 s24, s53, s55
	s_addc_u32 s25, s52, s25
	s_lshl_b64 s[24:25], s[24:25], 8
	v_lshl_add_u64 v[26:27], v[26:27], 2, s[20:21]
	v_lshl_add_u64 v[32:33], v[44:45], 0, s[24:25]
	v_add3_u32 v31, v31, v35, v34
	v_lshl_add_u64 v[28:29], v[28:29], 2, s[20:21]
	global_load_ushort v93, v[32:33], off
	global_load_ushort v94, v[32:33], off offset:256
	global_load_ushort v95, v[32:33], off offset:512
	;; [unrolled: 1-line block ×3, first 2 shown]
	v_lshl_add_u64 v[30:31], v[30:31], 2, s[20:21]
	global_load_dword v97, v[26:27], off
	global_load_dword v98, v[28:29], off
	;; [unrolled: 1-line block ×3, first 2 shown]
	s_load_dword s24, s[42:43], 0x0
	ds_read_b64 v[34:35], v64 offset:24576
	ds_read2st64_b64 v[30:33], v69 offset1:1
	ds_read2st64_b64 v[36:39], v69 offset0:2 offset1:3
	ds_read_b64 v[40:41], v66 offset:24576
	ds_read_b64 v[88:89], v67 offset:24576
	;; [unrolled: 1-line block ×3, first 2 shown]
	s_waitcnt lgkmcnt(0)
	v_mfma_f32_16x16x16_bf16 a[0:3], v[34:35], v[30:31], a[0:3]
	v_mov_b32_e32 v87, 0
	v_mov_b32_e32 v26, 0
	v_mov_b32_e32 v27, 0
	v_mfma_f32_16x16x16_bf16 a[0:3], v[40:41], v[32:33], a[0:3]
	v_mov_b32_e32 v28, 0
	v_mov_b32_e32 v29, 0
	v_mov_b32_e32 v30, 0
	;; [unrolled: 4-line block ×4, first 2 shown]
	s_and_b64 vcc, exec, s[0:1]
	s_waitcnt vmcnt(7)
	v_sub_f32_e32 v37, s24, v92
	v_mul_f32_e32 v37, 0x3fb8aa3b, v37
	v_exp_f32_e32 v92, v37
	v_accvgpr_read_b32 v41, a1
	v_accvgpr_read_b32 v39, a3
	;; [unrolled: 1-line block ×4, first 2 shown]
	s_waitcnt vmcnt(6)
	v_lshlrev_b32_e32 v88, 16, v93
	s_waitcnt vmcnt(5)
	v_lshlrev_b32_e32 v89, 16, v94
	s_waitcnt vmcnt(4)
	v_lshlrev_b32_e32 v90, 16, v95
	s_waitcnt vmcnt(2)
	v_sub_f32_e32 v93, s24, v97
	s_waitcnt vmcnt(1)
	v_sub_f32_e32 v94, s24, v98
	;; [unrolled: 2-line block ×3, first 2 shown]
	v_mul_f32_e32 v37, 0x3fb8aa3b, v93
	v_mul_f32_e32 v94, 0x3fb8aa3b, v94
	;; [unrolled: 1-line block ×3, first 2 shown]
	v_exp_f32_e32 v93, v37
	v_exp_f32_e32 v94, v94
	;; [unrolled: 1-line block ×3, first 2 shown]
	v_lshlrev_b32_e32 v91, 16, v96
	v_pk_add_f32 v[40:41], v[88:89], v[40:41] neg_lo:[0,1] neg_hi:[0,1]
	v_pk_add_f32 v[38:39], v[90:91], v[38:39] neg_lo:[0,1] neg_hi:[0,1]
	v_pk_mul_f32 v[40:41], v[92:93], v[40:41]
	v_pk_mul_f32 v[38:39], v[94:95], v[38:39]
	v_mov_b32_e32 v37, 0
	v_perm_b32 v39, v39, v38, s3
	v_perm_b32 v38, v41, v40, s3
	ds_write_b64 v61, v[38:39]
	v_mov_b32_e32 v38, 0
	v_mov_b32_e32 v39, 0
	;; [unrolled: 1-line block ×4, first 2 shown]
	s_cbranch_vccnz .LBB630_14
; %bb.13:                               ;   in Loop: Header=BB630_6 Depth=1
	s_and_b32 s29, s29, 0xffff
	s_mov_b32 s31, s27
	buffer_load_dwordx4 v[38:41], v76, s[28:31], 0 offen
	buffer_load_dwordx4 v[30:33], v76, s[28:31], s58 offen
	;; [unrolled: 1-line block ×4, first 2 shown]
	v_mov_b32_e32 v86, v55
	v_mov_b32_e32 v87, v54
.LBB630_14:                             ;   in Loop: Header=BB630_6 Depth=1
	s_waitcnt lgkmcnt(0)
	s_barrier
	ds_read_b64 v[96:97], v80
	ds_read2st64_b64 v[88:91], v69 offset1:1
	ds_read2st64_b64 v[92:95], v69 offset0:2 offset1:3
	ds_read_b64 v[98:99], v81
	ds_read_b64 v[100:101], v82
	;; [unrolled: 1-line block ×3, first 2 shown]
	s_waitcnt lgkmcnt(4)
	v_mfma_f32_16x16x16_bf16 a[0:3], v[96:97], v[88:89], 0
	ds_read_b64 v[96:97], v72 offset:8192
	ds_read_b64 v[104:105], v73 offset:8192
	s_add_i32 s25, s51, s61
	s_mul_hi_i32 s29, s25, s45
	s_waitcnt lgkmcnt(1)
	v_mfma_f32_16x16x16_bf16 a[4:7], v[96:97], v[88:89], 0
	s_mul_i32 s25, s25, s45
	s_add_u32 s28, s25, s44
	s_addc_u32 s29, s29, s56
	v_mfma_f32_16x16x16_bf16 a[0:3], v[98:99], v[90:91], a[0:3]
	ds_read_b64 v[96:97], v70
	ds_read_b64 v[98:99], v71
	ds_read_b64 v[88:89], v74 offset:8192
	s_lshl_b64 s[28:29], s[28:29], 15
	v_mfma_f32_16x16x16_bf16 a[0:3], v[100:101], v[92:93], a[0:3]
	ds_read_b64 v[100:101], v75 offset:8192
	s_and_b64 vcc, exec, s[0:1]
	s_waitcnt lgkmcnt(4)
	v_mfma_f32_16x16x16_bf16 a[4:7], v[104:105], v[90:91], a[4:7]
	s_waitcnt lgkmcnt(1)
	v_mfma_f32_16x16x16_bf16 a[4:7], v[88:89], v[92:93], a[4:7]
	v_lshl_add_u64 v[88:89], v[42:43], 0, s[28:29]
	global_store_dwordx4 v[88:89], v[96:99], off
	v_mfma_f32_16x16x16_bf16 a[0:3], v[102:103], v[94:95], a[0:3]
	s_waitcnt lgkmcnt(0)
	v_mfma_f32_16x16x16_bf16 a[4:7], v[100:101], v[94:95], a[4:7]
	s_cbranch_vccnz .LBB630_16
; %bb.15:                               ;   in Loop: Header=BB630_6 Depth=1
	v_lshrrev_b32_e32 v88, 3, v86
	v_and_b32_e32 v88, 6, v88
	v_xor_b32_e32 v87, v88, v87
	v_lshlrev_b32_e32 v87, 2, v87
	v_and_b32_e32 v86, 8, v86
	v_xor_b32_e32 v89, 0x440, v87
	v_cmp_eq_u32_e32 vcc, 0, v86
	s_barrier
	s_nop 0
	v_cndmask_b32_e32 v86, v89, v87, vcc
	v_lshl_or_b32 v86, v88, 10, v86
	s_waitcnt vmcnt(2)
	v_perm_b32 v87, v38, v34, s59
	s_waitcnt vmcnt(1)
	v_perm_b32 v88, v30, v26, s59
	ds_write2st64_b32 v86, v87, v88 offset1:32
	v_xor_b32_e32 v87, 8, v86
	v_perm_b32 v34, v38, v34, s60
	v_perm_b32 v26, v30, v26, s60
	v_add_u32_e32 v30, 0x80, v87
	ds_write2st64_b32 v30, v34, v26 offset1:32
	v_xor_b32_e32 v26, 16, v86
	v_perm_b32 v30, v39, v35, s59
	v_perm_b32 v34, v31, v27, s59
	ds_write2st64_b32 v26, v30, v34 offset0:1 offset1:33
	v_xor_b32_e32 v26, 24, v86
	v_perm_b32 v30, v39, v35, s60
	v_perm_b32 v27, v31, v27, s60
	v_add_u32_e32 v26, 0x80, v26
	ds_write2st64_b32 v26, v30, v27 offset0:1 offset1:33
	v_xor_b32_e32 v26, 32, v86
	v_perm_b32 v27, v40, v36, s59
	v_perm_b32 v30, v32, v28, s59
	ds_write2st64_b32 v26, v27, v30 offset0:2 offset1:34
	v_xor_b32_e32 v26, 40, v86
	v_perm_b32 v27, v40, v36, s60
	v_perm_b32 v28, v32, v28, s60
	v_add_u32_e32 v26, 0x80, v26
	ds_write2st64_b32 v26, v27, v28 offset0:2 offset1:34
	;; [unrolled: 9-line block ×3, first 2 shown]
	ds_write_b64 v9, v[22:23] offset:16384
	v_xor_b32_e32 v22, 8, v9
	ds_write_b64 v22, v[24:25] offset:16384
	ds_write_b64 v9, v[18:19] offset:24576
	;; [unrolled: 1-line block ×4, first 2 shown]
	v_xor_b32_e32 v9, 8, v5
	ds_write_b64 v9, v[16:17] offset:16384
	ds_write_b64 v5, v[10:11] offset:24576
	;; [unrolled: 1-line block ×3, first 2 shown]
.LBB630_16:                             ;   in Loop: Header=BB630_6 Depth=1
	v_mul_f32_e32 v5, s24, v79
	v_exp_f32_e32 v10, v5
	s_nop 1
	v_accvgpr_read_b32 v9, a1
	v_accvgpr_read_b32 v5, a0
	s_add_i32 s55, s55, 64
	v_fma_f32 v3, v3, v10, v9
	v_accvgpr_read_b32 v9, a4
	v_fma_f32 v6, v6, v10, v9
	v_accvgpr_read_b32 v9, a5
	v_fma_f32 v2, v2, v10, v5
	v_accvgpr_read_b32 v5, a2
	v_fma_f32 v7, v7, v10, v9
	v_accvgpr_read_b32 v9, a6
	v_fma_f32 v4, v4, v10, v5
	v_accvgpr_read_b32 v5, a3
	v_fma_f32 v8, v8, v10, v9
	v_accvgpr_read_b32 v9, a7
	v_fmac_f32_e32 v5, v85, v10
	s_cmp_eq_u32 s50, s39
	v_fmac_f32_e32 v9, v84, v10
	s_cbranch_scc1 .LBB630_18
; %bb.17:                               ;   in Loop: Header=BB630_6 Depth=1
	s_mov_b32 s61, s39
	v_mov_b32_e32 v85, v5
	v_mov_b32_e32 v84, v9
	s_branch .LBB630_6
.LBB630_18:
	s_lshl_b32 s3, s50, 6
	s_sub_i32 s49, s49, s3
	s_cmp_gt_i32 s49, 0
	s_waitcnt vmcnt(2)
	v_or_b32_e32 v34, s2, v50
	s_cbranch_scc1 .LBB630_20
; %bb.19:
	s_ashr_i32 s21, s44, 31
	v_or_b32_e32 v10, s2, v50
	s_cbranch_execz .LBB630_21
	s_branch .LBB630_77
.LBB630_20:
                                        ; implicit-def: $vgpr10
                                        ; implicit-def: $sgpr20_sgpr21
.LBB630_21:
	s_add_i32 s20, s3, s36
	s_ashr_i32 s3, s20, 31
	s_cmpk_lg_i32 s19, 0x80
	s_cselect_b64 s[30:31], -1, 0
	s_and_b64 vcc, exec, s[30:31]
	s_cbranch_vccz .LBB630_23
; %bb.22:
	s_mul_hi_i32 s0, s20, s18
	s_mul_i32 s1, s20, s18
	s_ashr_i32 s18, s54, 31
	s_add_u32 s42, s1, s54
	s_addc_u32 s43, s0, s18
	s_cbranch_execz .LBB630_24
	s_branch .LBB630_25
.LBB630_23:
                                        ; implicit-def: $sgpr42_sgpr43
.LBB630_24:
	s_mul_i32 s1, s54, s16
	s_mul_hi_i32 s0, s54, s16
	s_add_u32 s42, s1, s20
	s_addc_u32 s43, s0, s3
.LBB630_25:
	s_add_i32 s16, s50, s51
	s_ashr_i32 s21, s44, 31
	s_add_u32 s0, s53, s20
	s_addc_u32 s1, s52, s3
	s_mov_b32 s3, 0x7060302
	v_lshlrev_b32_e32 v14, 3, v50
	s_lshl_b64 s[28:29], s[0:1], 8
	v_perm_b32 v11, v5, v4, s3
	v_perm_b32 v10, v3, v2, s3
	;; [unrolled: 1-line block ×4, first 2 shown]
	v_lshlrev_b32_e32 v44, 2, v50
	v_lshl_or_b32 v14, v1, 5, v14
	s_add_u32 s0, s6, s28
	ds_write2st64_b64 v14, v[10:11], v[12:13] offset0:72 offset1:76
	v_xor_b32_e32 v14, v1, v44
	v_lshlrev_b32_e32 v15, 8, v50
	s_addc_u32 s1, s7, s29
	v_lshl_or_b32 v14, v14, 1, v15
	s_mul_hi_i32 s3, s16, s17
	s_mul_i32 s16, s16, s17
	ds_write_b64 v14, v[10:11] offset:32768
	v_xor_b32_e32 v10, v53, v44
	s_add_u32 s6, s16, s44
	v_lshl_or_b32 v10, v10, 1, v15
	s_addc_u32 s7, s3, s21
	v_lshlrev_b32_e32 v11, 1, v50
	ds_write_b64 v10, v[12:13] offset:32768
	v_lshrrev_b32_e32 v10, 4, v0
	s_ashr_i32 s3, s2, 31
	s_lshl_b64 s[6:7], s[6:7], 15
	v_or_b32_e32 v12, 1, v11
	s_add_u32 s6, s40, s6
	v_xor_b32_e32 v11, v10, v11
	v_xor_b32_e32 v12, v12, v10
	v_lshlrev_b32_e32 v14, 8, v10
	s_addc_u32 s7, s41, s7
	s_lshl_b64 s[2:3], s[2:3], 8
	v_lshl_or_b32 v10, v11, 3, v14
	v_lshl_or_b32 v12, v12, 3, v14
	s_waitcnt lgkmcnt(0)
	s_barrier
	s_add_u32 s2, s6, s2
	ds_read_b64 v[10:11], v10 offset:32768
	ds_read_b64 v[12:13], v12 offset:32768
	s_addc_u32 s3, s7, s3
	v_mov_b32_e32 v15, 0
	s_cmp_lg_u32 s49, 64
	v_lshl_add_u64 v[16:17], s[2:3], 0, v[14:15]
	v_lshlrev_b32_e32 v14, 4, v50
	s_cselect_b64 s[6:7], -1, 0
	v_lshl_or_b32 v35, v46, 3, v52
	s_mov_b32 s24, 0
	v_lshl_add_u64 v[14:15], v[16:17], 0, v[14:15]
	s_waitcnt vmcnt(1)
	v_or_b32_e32 v27, 32, v35
	v_and_b32_e32 v26, 56, v51
	s_and_b64 vcc, exec, s[6:7]
	s_waitcnt lgkmcnt(0)
	global_store_dwordx4 v[14:15], v[10:13], off
	s_cbranch_vccz .LBB630_31
; %bb.26:
	s_mov_b32 s25, s24
	s_mov_b32 s26, s24
	;; [unrolled: 1-line block ×3, first 2 shown]
	v_mov_b64_e32 v[14:15], s[24:25]
	v_mov_b64_e32 v[16:17], s[26:27]
	;; [unrolled: 1-line block ×3, first 2 shown]
	v_cmp_gt_i32_e32 vcc, s49, v35
	v_mov_b64_e32 v[12:13], v[16:17]
	s_and_saveexec_b64 s[2:3], vcc
	s_cbranch_execz .LBB630_28
; %bb.27:
	v_lshlrev_b32_e32 v10, 8, v35
	v_mov_b32_e32 v11, 0
	v_lshl_add_u64 v[12:13], s[0:1], 0, v[10:11]
	v_lshlrev_b32_e32 v10, 1, v26
	v_lshl_add_u64 v[18:19], v[12:13], 0, v[10:11]
	global_load_dwordx4 v[14:17], v[18:19], off
	global_load_dwordx4 v[10:13], v[18:19], off offset:128
.LBB630_28:
	s_or_b64 exec, exec, s[2:3]
	s_mov_b32 s25, s24
	s_mov_b32 s26, s24
	s_mov_b32 s27, s24
	v_mov_b64_e32 v[22:23], s[24:25]
	v_mov_b64_e32 v[24:25], s[26:27]
	;; [unrolled: 1-line block ×3, first 2 shown]
	v_cmp_gt_i32_e32 vcc, s49, v27
	v_lshlrev_b32_e32 v28, 7, v27
	v_mov_b64_e32 v[20:21], v[24:25]
	s_and_saveexec_b64 s[2:3], vcc
	s_cbranch_execz .LBB630_30
; %bb.29:
	v_lshlrev_b32_e32 v18, 1, v28
	v_mov_b32_e32 v19, 0
	v_lshl_add_u64 v[20:21], s[0:1], 0, v[18:19]
	v_lshlrev_b32_e32 v18, 1, v26
	v_lshl_add_u64 v[30:31], v[20:21], 0, v[18:19]
	global_load_dwordx4 v[22:25], v[30:31], off
	global_load_dwordx4 v[18:21], v[30:31], off offset:128
.LBB630_30:
	s_or_b64 exec, exec, s[2:3]
	v_lshrrev_b32_e32 v29, 3, v26
	v_lshlrev_b32_e32 v30, 3, v35
	v_or_b32_e32 v29, v30, v29
	v_lshlrev_b32_e32 v29, 4, v29
	v_and_b32_e32 v30, 0x78, v30
	v_xor_b32_e32 v29, v29, v30
	s_branch .LBB630_33
.LBB630_31:
                                        ; implicit-def: $vgpr29
                                        ; implicit-def: $vgpr28
                                        ; implicit-def: $vgpr14_vgpr15_vgpr16_vgpr17
                                        ; implicit-def: $vgpr10_vgpr11_vgpr12_vgpr13
                                        ; implicit-def: $vgpr22_vgpr23_vgpr24_vgpr25
                                        ; implicit-def: $vgpr18_vgpr19_vgpr20_vgpr21
	s_cbranch_execz .LBB630_33
; %bb.32:
	s_waitcnt vmcnt(0)
	v_lshlrev_b32_e32 v10, 1, v26
	v_lshl_or_b32 v28, v35, 8, v10
	s_and_b32 s1, s1, 0xffff
	s_mov_b32 s3, 0x20000
	s_movk_i32 s2, 0x4000
	v_lshl_or_b32 v29, v27, 8, v10
	s_movk_i32 s16, 0x80
	buffer_load_dwordx4 v[14:17], v28, s[0:3], 0 offen
	buffer_load_dwordx4 v[10:13], v28, s[0:3], s16 offen
	;; [unrolled: 1-line block ×4, first 2 shown]
	v_lshrrev_b32_e32 v28, 3, v26
	v_lshlrev_b32_e32 v29, 3, v35
	v_or_b32_e32 v28, v29, v28
	v_lshlrev_b32_e32 v28, 4, v28
	v_and_b32_e32 v29, 0x78, v29
	v_xor_b32_e32 v29, v28, v29
	v_lshlrev_b32_e32 v28, 7, v27
.LBB630_33:
	s_lshl_b64 s[0:1], s[42:43], 8
	s_add_u32 s4, s4, s0
	s_movk_i32 s0, 0x1000
	v_and_or_b32 v27, v28, s0, v29
	s_waitcnt vmcnt(1)
	ds_write_b64 v29, v[14:15] offset:16384
	v_xor_b32_e32 v14, 8, v29
	ds_write_b64 v14, v[16:17] offset:16384
	s_waitcnt vmcnt(0)
	ds_write_b64 v29, v[10:11] offset:24576
	ds_write_b64 v14, v[12:13] offset:24576
	;; [unrolled: 1-line block ×3, first 2 shown]
	v_xor_b32_e32 v10, 8, v27
	ds_write_b64 v10, v[24:25] offset:16384
	ds_write_b64 v27, v[18:19] offset:24576
	;; [unrolled: 1-line block ×3, first 2 shown]
	v_or_b32_e32 v10, v47, v50
	v_lshlrev_b32_e32 v10, 3, v10
	v_lshrrev_b32_e32 v12, 5, v48
	s_movk_i32 s18, 0xf8
	v_and_or_b32 v12, v10, s18, v12
	v_lshlrev_b32_e32 v45, 11, v46
	v_lshlrev_b32_e32 v20, 4, v12
	v_and_b32_e32 v21, 0x78, v10
	v_and_b32_e32 v22, 0x1000, v45
	v_lshlrev_b32_e32 v11, 2, v0
	v_xor_b32_e32 v10, v20, v21
	v_lshrrev_b32_e32 v12, 1, v48
	v_and_b32_e32 v11, 60, v11
	v_or_b32_e32 v10, v10, v22
	v_and_b32_e32 v23, 8, v12
	v_xor_b32_e32 v36, v10, v23
	v_lshl_or_b32 v10, v49, 6, v11
	v_lshlrev_b32_e32 v49, 1, v10
	v_or_b32_e32 v10, 32, v20
	v_xor_b32_e32 v10, v10, v21
	s_waitcnt lgkmcnt(0)
	s_barrier
	ds_read_b64 v[18:19], v36 offset:16384
	v_or_b32_e32 v10, v10, v22
	v_xor_b32_e32 v37, v10, v23
	v_or_b32_e32 v10, 64, v20
	v_xor_b32_e32 v10, v10, v21
	v_or_b32_e32 v10, v10, v22
	v_or_b32_e32 v20, 0x60, v20
	v_xor_b32_e32 v38, v10, v23
	ds_read2st64_b64 v[10:13], v49 offset0:72 offset1:73
	ds_read2st64_b64 v[14:17], v49 offset0:74 offset1:75
	v_xor_b32_e32 v24, v20, v21
	ds_read_b64 v[20:21], v37 offset:16384
	s_waitcnt lgkmcnt(2)
	v_mfma_f32_16x16x16_bf16 a[0:3], v[18:19], v[10:11], 0
	s_addc_u32 s5, s5, s1
	s_add_i32 s2, s37, -1
	s_add_i32 s0, s47, s46
	s_add_i32 s39, s0, s48
	s_mul_i32 s0, s44, s23
	s_mul_hi_u32 s1, s44, s22
	s_ashr_i32 s3, s2, 31
	s_mul_i32 s16, s2, s15
	s_mul_hi_u32 s17, s2, s14
	s_add_i32 s0, s1, s0
	s_mul_i32 s1, s21, s22
	s_add_i32 s16, s17, s16
	s_mul_i32 s3, s3, s14
	v_or_b32_e32 v22, v24, v22
	s_add_i32 s1, s0, s1
	s_add_i32 s3, s16, s3
	s_lshl_b64 s[16:17], s[38:39], 2
	v_xor_b32_e32 v50, v22, v23
	ds_read_b64 v[22:23], v38 offset:16384
	ds_read_b64 v[24:25], v50 offset:16384
	s_waitcnt lgkmcnt(2)
	v_mfma_f32_16x16x16_bf16 a[0:3], v[20:21], v[12:13], a[0:3]
	s_mul_i32 s0, s44, s22
	s_add_u32 s10, s10, s16
	s_addc_u32 s11, s11, s17
	s_lshl_b64 s[0:1], s[0:1], 2
	s_mul_i32 s2, s2, s14
	s_add_u32 s10, s10, s0
	s_addc_u32 s11, s11, s1
	s_lshl_b64 s[0:1], s[2:3], 2
	s_waitcnt lgkmcnt(1)
	v_mfma_f32_16x16x16_bf16 a[0:3], v[22:23], v[14:15], a[0:3]
	s_add_u32 s0, s10, s0
	s_addc_u32 s1, s11, s1
	s_load_dword s16, s[0:1], 0x0
	s_waitcnt lgkmcnt(0)
	v_mfma_f32_16x16x16_bf16 a[0:3], v[24:25], v[16:17], a[0:3]
	s_and_b64 vcc, exec, s[30:31]
	s_cbranch_vccz .LBB630_44
; %bb.34:
	v_lshlrev_b32_e32 v27, 1, v35
	s_and_b64 vcc, exec, s[6:7]
	s_cbranch_vccz .LBB630_45
; %bb.35:
	v_cmp_gt_i32_e32 vcc, s49, v27
	v_mov_b32_e32 v14, 0
	v_mov_b32_e32 v10, 0
	;; [unrolled: 1-line block ×5, first 2 shown]
	s_and_saveexec_b64 s[0:1], vcc
	s_cbranch_execz .LBB630_37
; %bb.36:
	v_mad_i64_i32 v[10:11], s[2:3], s19, v27, 0
	v_lshl_add_u64 v[10:11], v[10:11], 1, s[4:5]
	v_lshlrev_b32_e32 v12, 1, v26
	v_mov_b32_e32 v13, 0
	v_lshl_add_u64 v[10:11], v[10:11], 0, v[12:13]
	global_load_dwordx4 v[10:13], v[10:11], off
.LBB630_37:
	s_or_b64 exec, exec, s[0:1]
	v_or_b32_e32 v28, 1, v27
	v_cmp_gt_i32_e64 s[0:1], s49, v28
	v_mov_b32_e32 v15, 0
	v_mov_b32_e32 v16, 0
	v_mov_b32_e32 v17, 0
	s_and_saveexec_b64 s[2:3], s[0:1]
	s_cbranch_execz .LBB630_39
; %bb.38:
	v_mad_i64_i32 v[14:15], s[22:23], s19, v28, 0
	v_lshl_add_u64 v[14:15], v[14:15], 1, s[4:5]
	v_lshlrev_b32_e32 v16, 1, v26
	v_mov_b32_e32 v17, 0
	v_lshl_add_u64 v[14:15], v[14:15], 0, v[16:17]
	global_load_dwordx4 v[14:17], v[14:15], off
.LBB630_39:
	s_or_b64 exec, exec, s[2:3]
	v_mov_b32_e32 v25, 0
	v_mov_b32_e32 v18, 0
	;; [unrolled: 1-line block ×5, first 2 shown]
	s_and_saveexec_b64 s[2:3], vcc
	s_cbranch_execz .LBB630_41
; %bb.40:
	v_mad_i64_i32 v[18:19], s[22:23], s19, v27, 0
	v_lshl_add_u64 v[18:19], v[18:19], 1, s[4:5]
	v_lshlrev_b32_e32 v20, 1, v26
	v_mov_b32_e32 v21, 0
	v_lshl_add_u64 v[18:19], v[18:19], 0, v[20:21]
	global_load_dwordx4 v[18:21], v[18:19], off offset:128
.LBB630_41:
	s_or_b64 exec, exec, s[2:3]
	v_mov_b32_e32 v24, 0
	v_mov_b32_e32 v23, 0
	;; [unrolled: 1-line block ×3, first 2 shown]
	s_and_saveexec_b64 s[2:3], s[0:1]
	s_cbranch_execz .LBB630_43
; %bb.42:
	v_mad_i64_i32 v[22:23], s[0:1], s19, v28, 0
	v_lshl_add_u64 v[22:23], v[22:23], 1, s[4:5]
	v_lshlrev_b32_e32 v24, 1, v26
	v_mov_b32_e32 v25, 0
	v_lshl_add_u64 v[22:23], v[22:23], 0, v[24:25]
	global_load_dwordx4 v[22:25], v[22:23], off offset:128
.LBB630_43:
	s_or_b64 exec, exec, s[2:3]
	s_branch .LBB630_47
.LBB630_44:
                                        ; implicit-def: $vgpr13
                                        ; implicit-def: $vgpr17
                                        ; implicit-def: $vgpr21
                                        ; implicit-def: $vgpr25
	v_lshrrev_b32_e32 v48, 2, v48
	s_branch .LBB630_48
.LBB630_45:
                                        ; implicit-def: $vgpr13
                                        ; implicit-def: $vgpr17
                                        ; implicit-def: $vgpr21
                                        ; implicit-def: $vgpr25
	s_cbranch_execz .LBB630_47
; %bb.46:
	s_waitcnt vmcnt(0)
	v_mad_u64_u32 v[10:11], s[0:1], v27, s19, v[26:27]
	v_lshlrev_b32_e32 v27, 1, v10
	s_lshl_b32 s2, s19, 7
	s_and_b32 s1, s5, 0xffff
	s_mov_b32 s3, 0x20000
	s_mov_b32 s0, s4
	v_add_lshl_u32 v28, v10, s19, 1
	s_movk_i32 s17, 0x80
	buffer_load_dwordx4 v[10:13], v27, s[0:3], 0 offen
	buffer_load_dwordx4 v[18:21], v27, s[0:3], s17 offen
	;; [unrolled: 1-line block ×4, first 2 shown]
.LBB630_47:
	v_lshrrev_b32_e32 v48, 2, v48
	s_cbranch_execnz .LBB630_60
.LBB630_48:
	s_and_b64 vcc, exec, s[6:7]
	s_cbranch_vccz .LBB630_58
; %bb.49:
	s_waitcnt vmcnt(0)
	v_lshlrev_b32_e32 v15, 1, v35
	v_cmp_gt_i32_e32 vcc, s49, v15
	v_mov_b32_e32 v14, 0
	v_lshlrev_b32_e32 v22, 9, v35
	v_mov_b32_e32 v10, 0
	v_mov_b32_e32 v11, 0
	;; [unrolled: 1-line block ×4, first 2 shown]
	s_and_saveexec_b64 s[0:1], vcc
	s_cbranch_execz .LBB630_51
; %bb.50:
	v_mov_b32_e32 v23, 0
	v_lshl_add_u64 v[10:11], s[4:5], 0, v[22:23]
	v_lshlrev_b32_e32 v12, 1, v26
	v_mov_b32_e32 v13, v23
	v_lshl_add_u64 v[10:11], v[10:11], 0, v[12:13]
	global_load_dwordx4 v[10:13], v[10:11], off
.LBB630_51:
	s_or_b64 exec, exec, s[0:1]
	v_or_b32_e32 v15, 1, v15
	v_cmp_gt_i32_e64 s[0:1], s49, v15
	v_lshlrev_b32_e32 v28, 8, v15
	v_mov_b32_e32 v15, 0
	v_mov_b32_e32 v16, 0
	;; [unrolled: 1-line block ×3, first 2 shown]
	s_and_saveexec_b64 s[2:3], s[0:1]
	s_cbranch_execz .LBB630_53
; %bb.52:
	v_mov_b32_e32 v29, 0
	v_lshl_add_u64 v[14:15], s[4:5], 0, v[28:29]
	v_lshlrev_b32_e32 v16, 1, v26
	v_mov_b32_e32 v17, v29
	v_lshl_add_u64 v[14:15], v[14:15], 0, v[16:17]
	global_load_dwordx4 v[14:17], v[14:15], off
.LBB630_53:
	s_or_b64 exec, exec, s[2:3]
	v_mov_b32_e32 v25, 0
	v_mov_b32_e32 v18, 0
	v_mov_b32_e32 v19, 0
	v_mov_b32_e32 v20, 0
	v_mov_b32_e32 v21, 0
	s_and_saveexec_b64 s[2:3], vcc
	s_cbranch_execz .LBB630_55
; %bb.54:
	v_mov_b32_e32 v23, 0
	v_lshl_add_u64 v[18:19], s[4:5], 0, v[22:23]
	v_lshlrev_b32_e32 v22, 1, v26
	v_lshl_add_u64 v[18:19], v[18:19], 0, v[22:23]
	global_load_dwordx4 v[18:21], v[18:19], off offset:128
.LBB630_55:
	s_or_b64 exec, exec, s[2:3]
	v_mov_b32_e32 v24, 0
	v_mov_b32_e32 v23, 0
	;; [unrolled: 1-line block ×3, first 2 shown]
	s_and_saveexec_b64 s[2:3], s[0:1]
	s_cbranch_execz .LBB630_57
; %bb.56:
	v_mov_b32_e32 v29, 0
	v_lshl_add_u64 v[22:23], s[4:5], 0, v[28:29]
	v_lshlrev_b32_e32 v28, 1, v26
	v_lshl_add_u64 v[22:23], v[22:23], 0, v[28:29]
	global_load_dwordx4 v[22:25], v[22:23], off offset:128
.LBB630_57:
	s_or_b64 exec, exec, s[2:3]
	s_branch .LBB630_60
.LBB630_58:
                                        ; implicit-def: $vgpr13
                                        ; implicit-def: $vgpr17
                                        ; implicit-def: $vgpr21
                                        ; implicit-def: $vgpr25
	s_cbranch_execz .LBB630_60
; %bb.59:
	s_waitcnt vmcnt(0)
	v_lshlrev_b32_e32 v10, 1, v26
	v_lshl_or_b32 v26, v35, 9, v10
	s_and_b32 s5, s5, 0xffff
	s_mov_b32 s7, 0x20000
	s_movk_i32 s6, 0x4000
	s_movk_i32 s0, 0x80
	buffer_load_dwordx4 v[10:13], v26, s[4:7], 0 offen
	buffer_load_dwordx4 v[14:17], v26, s[4:7], 0 offen offset:256
	buffer_load_dwordx4 v[18:21], v26, s[4:7], s0 offen
	buffer_load_dwordx4 v[22:25], v26, s[4:7], s0 offen offset:256
.LBB630_60:
	ds_read2st64_b64 v[30:33], v49 offset0:76 offset1:77
	ds_read2st64_b64 v[26:29], v49 offset0:78 offset1:79
	ds_read_b64 v[40:41], v36 offset:24576
	ds_read_b64 v[42:43], v37 offset:24576
	;; [unrolled: 1-line block ×4, first 2 shown]
	v_and_b32_e32 v50, 6, v0
	v_xor_b32_e32 v35, v35, v50
	v_lshlrev_b32_e32 v35, 2, v35
	v_and_b32_e32 v51, 1, v0
	v_xor_b32_e32 v52, 0x440, v35
	v_cmp_eq_u32_e32 vcc, 0, v51
	s_mov_b32 s0, 0x1000504
	s_waitcnt vmcnt(0)
	v_perm_b32 v51, v18, v22, s0
	v_cndmask_b32_e32 v35, v52, v35, vcc
	v_lshl_or_b32 v35, v50, 10, v35
	v_perm_b32 v50, v10, v14, s0
	ds_write2st64_b32 v35, v50, v51 offset1:32
	v_xor_b32_e32 v50, 8, v35
	s_mov_b32 s1, 0x3020706
	v_perm_b32 v10, v10, v14, s1
	v_perm_b32 v14, v18, v22, s1
	v_add_u32_e32 v18, 0x80, v50
	ds_write2st64_b32 v18, v10, v14 offset1:32
	v_xor_b32_e32 v10, 16, v35
	v_perm_b32 v14, v11, v15, s0
	v_perm_b32 v18, v19, v23, s0
	ds_write2st64_b32 v10, v14, v18 offset0:1 offset1:33
	v_xor_b32_e32 v10, 24, v35
	v_perm_b32 v11, v11, v15, s1
	v_perm_b32 v14, v19, v23, s1
	v_add_u32_e32 v10, 0x80, v10
	ds_write2st64_b32 v10, v11, v14 offset0:1 offset1:33
	v_xor_b32_e32 v10, 32, v35
	v_perm_b32 v11, v12, v16, s0
	v_perm_b32 v14, v20, v24, s0
	ds_write2st64_b32 v10, v11, v14 offset0:2 offset1:34
	v_xor_b32_e32 v10, 40, v35
	v_perm_b32 v11, v12, v16, s1
	v_perm_b32 v12, v20, v24, s1
	v_add_u32_e32 v10, 0x80, v10
	ds_write2st64_b32 v10, v11, v12 offset0:2 offset1:34
	v_xor_b32_e32 v10, 48, v35
	v_perm_b32 v11, v13, v17, s0
	v_perm_b32 v12, v21, v25, s0
	ds_write2st64_b32 v10, v11, v12 offset0:3 offset1:35
	v_xor_b32_e32 v10, 56, v35
	v_and_or_b32 v16, v48, 12, v47
	v_perm_b32 v11, v13, v17, s1
	v_perm_b32 v12, v21, v25, s1
	v_add_u32_e32 v10, 0x80, v10
	v_cmp_gt_i32_e32 vcc, s49, v16
	v_mov_b32_e32 v17, 0
	v_mov_b32_e32 v21, 0
	ds_write2st64_b32 v10, v11, v12 offset0:3 offset1:35
	s_and_saveexec_b64 s[0:1], vcc
	s_cbranch_execz .LBB630_62
; %bb.61:
	v_add_u32_e32 v10, s20, v16
	v_ashrrev_i32_e32 v11, 31, v10
	v_mul_lo_u32 v12, v11, s14
	v_mul_lo_u32 v13, v10, s15
	v_mad_u64_u32 v[10:11], s[2:3], v10, s14, 0
	v_add3_u32 v11, v11, v13, v12
	v_lshl_add_u64 v[10:11], v[10:11], 2, s[10:11]
	global_load_dword v10, v[10:11], off
	s_waitcnt vmcnt(0)
	v_sub_f32_e32 v10, s16, v10
	v_mul_f32_e32 v10, 0x3fb8aa3b, v10
	v_exp_f32_e32 v21, v10
.LBB630_62:
	s_or_b64 exec, exec, s[0:1]
	v_or_b32_e32 v19, 1, v16
	v_cmp_gt_i32_e64 s[0:1], s49, v19
	s_and_saveexec_b64 s[2:3], s[0:1]
	s_cbranch_execz .LBB630_64
; %bb.63:
	v_add_u32_e32 v10, s20, v19
	v_ashrrev_i32_e32 v11, 31, v10
	v_mul_lo_u32 v12, v11, s14
	v_mul_lo_u32 v13, v10, s15
	v_mad_u64_u32 v[10:11], s[4:5], v10, s14, 0
	v_add3_u32 v11, v11, v13, v12
	v_lshl_add_u64 v[10:11], v[10:11], 2, s[10:11]
	global_load_dword v10, v[10:11], off
	s_waitcnt vmcnt(0)
	v_sub_f32_e32 v10, s16, v10
	v_mul_f32_e32 v10, 0x3fb8aa3b, v10
	v_exp_f32_e32 v17, v10
.LBB630_64:
	s_or_b64 exec, exec, s[2:3]
	v_or_b32_e32 v20, 2, v16
	v_cmp_gt_i32_e64 s[2:3], s49, v20
	v_mov_b32_e32 v18, 0
	v_mov_b32_e32 v23, 0
	s_and_saveexec_b64 s[4:5], s[2:3]
	s_cbranch_execz .LBB630_66
; %bb.65:
	v_add_u32_e32 v10, s20, v20
	v_ashrrev_i32_e32 v11, 31, v10
	v_mul_lo_u32 v12, v11, s14
	v_mul_lo_u32 v13, v10, s15
	v_mad_u64_u32 v[10:11], s[6:7], v10, s14, 0
	v_add3_u32 v11, v11, v13, v12
	v_lshl_add_u64 v[10:11], v[10:11], 2, s[10:11]
	global_load_dword v10, v[10:11], off
	s_waitcnt vmcnt(0)
	v_sub_f32_e32 v10, s16, v10
	v_mul_f32_e32 v10, 0x3fb8aa3b, v10
	v_exp_f32_e32 v23, v10
.LBB630_66:
	s_or_b64 exec, exec, s[4:5]
	v_or_b32_e32 v22, 3, v16
	v_cmp_gt_i32_e64 s[4:5], s49, v22
	s_and_saveexec_b64 s[6:7], s[4:5]
	s_cbranch_execz .LBB630_68
; %bb.67:
	v_add_u32_e32 v10, s20, v22
	v_ashrrev_i32_e32 v11, 31, v10
	v_mul_lo_u32 v12, v11, s14
	v_mul_lo_u32 v13, v10, s15
	v_mad_u64_u32 v[10:11], s[14:15], v10, s14, 0
	v_add3_u32 v11, v11, v13, v12
	v_lshl_add_u64 v[10:11], v[10:11], 2, s[10:11]
	global_load_dword v10, v[10:11], off
	s_waitcnt vmcnt(0)
	v_sub_f32_e32 v10, s16, v10
	v_mul_f32_e32 v10, 0x3fb8aa3b, v10
	v_exp_f32_e32 v18, v10
.LBB630_68:
	s_or_b64 exec, exec, s[6:7]
	s_waitcnt lgkmcnt(11)
	v_mfma_f32_16x16x16_bf16 a[0:3], v[40:41], v[30:31], a[0:3]
	s_add_u32 s6, s8, s28
	v_ashrrev_i32_e32 v35, 31, v34
	s_addc_u32 s7, s9, s29
	s_waitcnt lgkmcnt(10)
	v_mfma_f32_16x16x16_bf16 a[0:3], v[42:43], v[32:33], a[0:3]
	v_mov_b32_e32 v24, 0
	v_lshl_add_u64 v[14:15], v[34:35], 1, s[6:7]
	v_mov_b32_e32 v25, 0
	s_waitcnt lgkmcnt(9)
	v_mfma_f32_16x16x16_bf16 a[0:3], v[38:39], v[26:27], a[0:3]
	s_waitcnt lgkmcnt(8)
	v_mfma_f32_16x16x16_bf16 a[0:3], v[36:37], v[28:29], a[0:3]
	s_nop 6
	v_accvgpr_read_b32 v13, a3
	v_accvgpr_read_b32 v12, a2
	;; [unrolled: 1-line block ×4, first 2 shown]
	s_and_saveexec_b64 s[6:7], vcc
	s_cbranch_execz .LBB630_70
; %bb.69:
	v_lshlrev_b32_e32 v26, 8, v16
	v_mov_b32_e32 v27, 0
	v_lshl_add_u64 v[26:27], v[14:15], 0, v[26:27]
	global_load_ushort v25, v[26:27], off
	s_waitcnt vmcnt(0)
	v_lshlrev_b32_e32 v25, 16, v25
	v_sub_f32_e32 v10, v25, v10
	v_mul_f32_e32 v10, v21, v10
	v_lshrrev_b32_e32 v25, 16, v10
.LBB630_70:
	s_or_b64 exec, exec, s[6:7]
	s_and_saveexec_b64 s[6:7], s[0:1]
	s_cbranch_execz .LBB630_72
; %bb.71:
	v_lshlrev_b32_e32 v26, 8, v19
	v_mov_b32_e32 v27, 0
	v_lshl_add_u64 v[26:27], v[14:15], 0, v[26:27]
	global_load_ushort v10, v[26:27], off
	s_waitcnt vmcnt(0)
	v_lshlrev_b32_e32 v10, 16, v10
	v_sub_f32_e32 v10, v10, v11
	v_mul_f32_e32 v10, v17, v10
	v_lshrrev_b32_e32 v24, 16, v10
.LBB630_72:
	s_or_b64 exec, exec, s[6:7]
	v_mov_b32_e32 v11, 0
	v_mov_b32_e32 v17, 0
	s_and_saveexec_b64 s[0:1], s[2:3]
	s_cbranch_execz .LBB630_74
; %bb.73:
	v_lshlrev_b32_e32 v20, 8, v20
	v_mov_b32_e32 v21, 0
	v_lshl_add_u64 v[20:21], v[14:15], 0, v[20:21]
	global_load_ushort v10, v[20:21], off
	s_waitcnt vmcnt(0)
	v_lshlrev_b32_e32 v10, 16, v10
	v_sub_f32_e32 v10, v10, v12
	v_mul_f32_e32 v10, v23, v10
	v_lshrrev_b32_e32 v17, 16, v10
.LBB630_74:
	s_or_b64 exec, exec, s[0:1]
	v_or_b32_e32 v10, 0x9800, v49
	s_and_saveexec_b64 s[0:1], s[4:5]
	s_cbranch_execz .LBB630_76
; %bb.75:
	v_lshlrev_b32_e32 v20, 8, v22
	v_mov_b32_e32 v21, 0
	v_lshl_add_u64 v[14:15], v[14:15], 0, v[20:21]
	global_load_ushort v11, v[14:15], off
	s_waitcnt vmcnt(0)
	v_lshlrev_b32_e32 v11, 16, v11
	v_sub_f32_e32 v11, v11, v13
	v_mul_f32_e32 v11, v18, v11
	v_lshrrev_b32_e32 v11, 16, v11
.LBB630_76:
	s_or_b64 exec, exec, s[0:1]
	s_mov_b32 s0, 0x5040100
	v_perm_b32 v13, v11, v17, s0
	v_lshlrev_b32_e32 v11, 1, v44
	v_perm_b32 v12, v24, v25, s0
	v_lshl_or_b32 v11, v16, 5, v11
	s_movk_i32 s0, 0xff
	ds_write_b64 v11, v[12:13] offset:38912
	v_and_b32_e32 v11, 7, v0
	v_and_b32_e32 v12, 8, v0
	v_cmp_lt_u32_e32 vcc, s0, v0
	v_lshrrev_b32_e32 v0, 1, v0
	v_lshlrev_b32_e32 v22, 3, v11
	v_lshlrev_b32_e32 v23, 7, v11
	v_cndmask_b32_e64 v11, 0, 1, vcc
	v_lshlrev_b32_e32 v25, 3, v46
	v_and_b32_e32 v0, 24, v0
	v_lshlrev_b32_e32 v24, 13, v11
	v_xor_b32_e32 v11, v25, v0
	v_or_b32_e32 v13, 0x440, v11
	v_cmp_eq_u32_e32 vcc, 0, v12
	s_waitcnt lgkmcnt(0)
	s_barrier
	v_cndmask_b32_e32 v11, v13, v11, vcc
	v_or_b32_e32 v11, v11, v45
	v_xad_u32 v26, v11, v22, v23
	v_add_u32_e32 v11, v24, v26
	ds_read_b64 v[20:21], v11
	ds_read2st64_b64 v[12:15], v10 offset1:1
	ds_read2st64_b64 v[16:19], v10 offset0:2 offset1:3
	v_or_b32_e32 v10, 32, v0
	v_xor_b32_e32 v10, v25, v10
	v_or_b32_e32 v11, 0x440, v10
	v_cndmask_b32_e32 v10, v11, v10, vcc
	v_or_b32_e32 v10, v10, v45
	v_xad_u32 v27, v10, v22, v23
	v_add_u32_e32 v10, v24, v27
	ds_read_b64 v[10:11], v10
	s_waitcnt lgkmcnt(2)
	v_mfma_f32_16x16x16_bf16 a[0:3], v[20:21], v[12:13], 0
	s_waitcnt lgkmcnt(0)
	v_mfma_f32_16x16x16_bf16 a[0:3], v[10:11], v[14:15], a[0:3]
	v_or_b32_e32 v10, 64, v0
	v_xor_b32_e32 v10, v25, v10
	v_xor_b32_e32 v11, 0x440, v10
	v_cndmask_b32_e32 v10, v11, v10, vcc
	v_or_b32_e32 v10, v10, v45
	v_xad_u32 v28, v10, v22, v23
	v_add_u32_e32 v10, v24, v28
	ds_read_b64 v[10:11], v10
	v_or_b32_e32 v0, 0x60, v0
	v_xor_b32_e32 v0, v25, v0
	v_xor_b32_e32 v20, 0x440, v0
	v_cndmask_b32_e32 v0, v20, v0, vcc
	v_or_b32_e32 v0, v0, v45
	v_xad_u32 v0, v0, v22, v23
	v_add_u32_e32 v20, v24, v0
	ds_read_b64 v[20:21], v20
	s_waitcnt lgkmcnt(1)
	v_mfma_f32_16x16x16_bf16 a[0:3], v[10:11], v[16:17], a[0:3]
	ds_read_b64 v[10:11], v26 offset:8192
	ds_read_b64 v[22:23], v27 offset:8192
	v_mov_b32_e32 v24, 0x3fb8aa3b
	s_waitcnt lgkmcnt(2)
	v_mfma_f32_16x16x16_bf16 a[0:3], v[20:21], v[18:19], a[0:3]
	v_mul_f32_e32 v20, s16, v24
	v_exp_f32_e32 v24, v20
	ds_read_b64 v[20:21], v28 offset:8192
	s_waitcnt lgkmcnt(2)
	v_mfma_f32_16x16x16_bf16 a[4:7], v[10:11], v[12:13], 0
	s_nop 1
	v_accvgpr_read_b32 v10, a0
	v_fma_f32 v12, v2, v24, v10
	ds_read_b64 v[10:11], v0 offset:8192
	s_waitcnt lgkmcnt(2)
	v_mfma_f32_16x16x16_bf16 a[4:7], v[22:23], v[14:15], a[4:7]
	v_accvgpr_read_b32 v0, a1
	v_fma_f32 v13, v3, v24, v0
	v_accvgpr_read_b32 v0, a2
	s_waitcnt lgkmcnt(1)
	v_mfma_f32_16x16x16_bf16 a[4:7], v[20:21], v[16:17], a[4:7]
	v_accvgpr_read_b32 v15, a3
	v_fma_f32 v14, v4, v24, v0
	v_fmac_f32_e32 v15, v5, v24
	s_waitcnt lgkmcnt(0)
	v_mfma_f32_16x16x16_bf16 a[0:3], v[10:11], v[18:19], a[4:7]
	v_mov_b32_e32 v10, v34
	s_nop 5
	v_accvgpr_read_b32 v0, a0
	v_fma_f32 v16, v6, v24, v0
	v_accvgpr_read_b32 v0, a1
	v_fma_f32 v17, v7, v24, v0
	v_accvgpr_read_b32 v0, a2
	v_accvgpr_read_b32 v19, a3
	v_fma_f32 v18, v8, v24, v0
	v_fmac_f32_e32 v19, v9, v24
	v_mov_b64_e32 v[2:3], v[12:13]
	v_mov_b64_e32 v[4:5], v[14:15]
	;; [unrolled: 1-line block ×4, first 2 shown]
.LBB630_77:
	s_mul_i32 s0, s45, s35
	s_mul_hi_u32 s1, s45, s34
	s_add_i32 s0, s1, s0
	s_mul_i32 s1, s33, s34
	s_add_i32 s1, s0, s1
	s_mul_i32 s0, s45, s34
	s_add_u32 s0, s0, s44
	s_addc_u32 s1, s1, s21
	s_lshl_b64 s[0:1], s[0:1], 15
	s_add_u32 s0, s12, s0
	v_lshlrev_b32_e32 v10, 7, v10
	s_addc_u32 s1, s13, s1
	v_ashrrev_i32_e32 v11, 31, v10
	v_lshl_add_u64 v[10:11], v[10:11], 1, s[0:1]
	v_lshlrev_b32_e32 v0, 1, v1
	v_mov_b32_e32 v1, 0
	s_mov_b32 s0, 0x7060302
	v_lshl_add_u64 v[0:1], v[10:11], 0, v[0:1]
	v_perm_b32 v5, v5, v4, s0
	v_perm_b32 v4, v3, v2, s0
	;; [unrolled: 1-line block ×4, first 2 shown]
	global_store_dwordx2 v[0:1], v[4:5], off
	global_store_dwordx2 v[0:1], v[2:3], off offset:128
	s_endpgm
	.section	.rodata,"a",@progbits
	.p2align	6, 0x0
	.amdhsa_kernel _ZN12_GLOBAL__N_139chunk_gated_delta_rule_fwd_h_hip_kernelILi16ELb0ELb1ELb0ELb1ELb0ELb0ELb0ELb1EEEvPK12hip_bfloat16S3_S3_PKfS5_PKvPS1_S8_PvPKiSB_iiiiilll
		.amdhsa_group_segment_fixed_size 40960
		.amdhsa_private_segment_fixed_size 0
		.amdhsa_kernarg_size 136
		.amdhsa_user_sgpr_count 2
		.amdhsa_user_sgpr_dispatch_ptr 0
		.amdhsa_user_sgpr_queue_ptr 0
		.amdhsa_user_sgpr_kernarg_segment_ptr 1
		.amdhsa_user_sgpr_dispatch_id 0
		.amdhsa_user_sgpr_kernarg_preload_length 0
		.amdhsa_user_sgpr_kernarg_preload_offset 0
		.amdhsa_user_sgpr_private_segment_size 0
		.amdhsa_uses_dynamic_stack 0
		.amdhsa_enable_private_segment 0
		.amdhsa_system_sgpr_workgroup_id_x 1
		.amdhsa_system_sgpr_workgroup_id_y 1
		.amdhsa_system_sgpr_workgroup_id_z 0
		.amdhsa_system_sgpr_workgroup_info 0
		.amdhsa_system_vgpr_workitem_id 0
		.amdhsa_next_free_vgpr 116
		.amdhsa_next_free_sgpr 63
		.amdhsa_accum_offset 108
		.amdhsa_reserve_vcc 1
		.amdhsa_float_round_mode_32 0
		.amdhsa_float_round_mode_16_64 0
		.amdhsa_float_denorm_mode_32 3
		.amdhsa_float_denorm_mode_16_64 3
		.amdhsa_dx10_clamp 1
		.amdhsa_ieee_mode 1
		.amdhsa_fp16_overflow 0
		.amdhsa_tg_split 0
		.amdhsa_exception_fp_ieee_invalid_op 0
		.amdhsa_exception_fp_denorm_src 0
		.amdhsa_exception_fp_ieee_div_zero 0
		.amdhsa_exception_fp_ieee_overflow 0
		.amdhsa_exception_fp_ieee_underflow 0
		.amdhsa_exception_fp_ieee_inexact 0
		.amdhsa_exception_int_div_zero 0
	.end_amdhsa_kernel
	.section	.text._ZN12_GLOBAL__N_139chunk_gated_delta_rule_fwd_h_hip_kernelILi16ELb0ELb1ELb0ELb1ELb0ELb0ELb0ELb1EEEvPK12hip_bfloat16S3_S3_PKfS5_PKvPS1_S8_PvPKiSB_iiiiilll,"axG",@progbits,_ZN12_GLOBAL__N_139chunk_gated_delta_rule_fwd_h_hip_kernelILi16ELb0ELb1ELb0ELb1ELb0ELb0ELb0ELb1EEEvPK12hip_bfloat16S3_S3_PKfS5_PKvPS1_S8_PvPKiSB_iiiiilll,comdat
.Lfunc_end630:
	.size	_ZN12_GLOBAL__N_139chunk_gated_delta_rule_fwd_h_hip_kernelILi16ELb0ELb1ELb0ELb1ELb0ELb0ELb0ELb1EEEvPK12hip_bfloat16S3_S3_PKfS5_PKvPS1_S8_PvPKiSB_iiiiilll, .Lfunc_end630-_ZN12_GLOBAL__N_139chunk_gated_delta_rule_fwd_h_hip_kernelILi16ELb0ELb1ELb0ELb1ELb0ELb0ELb0ELb1EEEvPK12hip_bfloat16S3_S3_PKfS5_PKvPS1_S8_PvPKiSB_iiiiilll
                                        ; -- End function
	.section	.AMDGPU.csdata,"",@progbits
; Kernel info:
; codeLenInByte = 7780
; NumSgprs: 69
; NumVgprs: 106
; NumAgprs: 8
; TotalNumVgprs: 116
; ScratchSize: 0
; MemoryBound: 0
; FloatMode: 240
; IeeeMode: 1
; LDSByteSize: 40960 bytes/workgroup (compile time only)
; SGPRBlocks: 8
; VGPRBlocks: 14
; NumSGPRsForWavesPerEU: 69
; NumVGPRsForWavesPerEU: 116
; AccumOffset: 108
; Occupancy: 1
; WaveLimiterHint : 1
; COMPUTE_PGM_RSRC2:SCRATCH_EN: 0
; COMPUTE_PGM_RSRC2:USER_SGPR: 2
; COMPUTE_PGM_RSRC2:TRAP_HANDLER: 0
; COMPUTE_PGM_RSRC2:TGID_X_EN: 1
; COMPUTE_PGM_RSRC2:TGID_Y_EN: 1
; COMPUTE_PGM_RSRC2:TGID_Z_EN: 0
; COMPUTE_PGM_RSRC2:TIDIG_COMP_CNT: 0
; COMPUTE_PGM_RSRC3_GFX90A:ACCUM_OFFSET: 26
; COMPUTE_PGM_RSRC3_GFX90A:TG_SPLIT: 0
	.section	.text._ZN12_GLOBAL__N_139chunk_gated_delta_rule_fwd_h_hip_kernelILi16ELb0ELb0ELb1ELb1ELb0ELb0ELb0ELb1EEEvPK12hip_bfloat16S3_S3_PKfS5_PKvPS1_S8_PvPKiSB_iiiiilll,"axG",@progbits,_ZN12_GLOBAL__N_139chunk_gated_delta_rule_fwd_h_hip_kernelILi16ELb0ELb0ELb1ELb1ELb0ELb0ELb0ELb1EEEvPK12hip_bfloat16S3_S3_PKfS5_PKvPS1_S8_PvPKiSB_iiiiilll,comdat
	.globl	_ZN12_GLOBAL__N_139chunk_gated_delta_rule_fwd_h_hip_kernelILi16ELb0ELb0ELb1ELb1ELb0ELb0ELb0ELb1EEEvPK12hip_bfloat16S3_S3_PKfS5_PKvPS1_S8_PvPKiSB_iiiiilll ; -- Begin function _ZN12_GLOBAL__N_139chunk_gated_delta_rule_fwd_h_hip_kernelILi16ELb0ELb0ELb1ELb1ELb0ELb0ELb0ELb1EEEvPK12hip_bfloat16S3_S3_PKfS5_PKvPS1_S8_PvPKiSB_iiiiilll
	.p2align	8
	.type	_ZN12_GLOBAL__N_139chunk_gated_delta_rule_fwd_h_hip_kernelILi16ELb0ELb0ELb1ELb1ELb0ELb0ELb0ELb1EEEvPK12hip_bfloat16S3_S3_PKfS5_PKvPS1_S8_PvPKiSB_iiiiilll,@function
_ZN12_GLOBAL__N_139chunk_gated_delta_rule_fwd_h_hip_kernelILi16ELb0ELb0ELb1ELb1ELb0ELb0ELb0ELb1EEEvPK12hip_bfloat16S3_S3_PKfS5_PKvPS1_S8_PvPKiSB_iiiiilll: ; @_ZN12_GLOBAL__N_139chunk_gated_delta_rule_fwd_h_hip_kernelILi16ELb0ELb0ELb1ELb1ELb0ELb0ELb0ELb1EEEvPK12hip_bfloat16S3_S3_PKfS5_PKvPS1_S8_PvPKiSB_iiiiilll
; %bb.0:
	s_load_dwordx4 s[16:19], s[0:1], 0x5c
	s_load_dwordx4 s[20:23], s[0:1], 0x70
	s_abs_i32 s25, s3
	s_ashr_i32 s24, s3, 31
	s_load_dwordx4 s[12:15], s[0:1], 0x30
	s_load_dwordx4 s[28:31], s[0:1], 0x48
	s_waitcnt lgkmcnt(0)
	s_abs_i32 s34, s17
	v_cvt_f32_u32_e32 v1, s34
	s_sub_i32 s26, 0, s34
	s_ashr_i32 s35, s17, 31
	s_xor_b32 s24, s24, s35
	v_rcp_iflag_f32_e32 v1, v1
	s_load_dwordx8 s[4:11], s[0:1], 0x0
	v_lshrrev_b32_e32 v44, 6, v0
	v_bfe_u32 v45, v0, 4, 2
	v_mul_f32_e32 v1, 0x4f7ffffe, v1
	v_cvt_u32_f32_e32 v1, v1
	v_lshlrev_b32_e32 v42, 4, v44
	v_lshlrev_b32_e32 v2, 2, v45
	v_and_b32_e32 v43, 63, v0
	v_readfirstlane_b32 s27, v1
	s_mul_i32 s26, s26, s27
	s_mul_hi_u32 s26, s27, s26
	s_add_i32 s27, s27, s26
	s_mul_hi_u32 s26, s25, s27
	s_mul_i32 s27, s26, s34
	s_sub_i32 s25, s25, s27
	s_add_i32 s33, s26, 1
	s_sub_i32 s27, s25, s34
	s_cmp_ge_u32 s25, s34
	s_cselect_b32 s26, s33, s26
	s_cselect_b32 s25, s27, s25
	s_add_i32 s27, s26, 1
	s_cmp_ge_u32 s25, s34
	s_cselect_b32 s25, s27, s26
	s_xor_b32 s25, s25, s24
	s_sub_i32 s24, s25, s24
	s_mul_i32 s25, s24, s17
	s_sub_i32 s33, s3, s25
	s_ashr_i32 s25, s24, 31
	s_lshl_b64 s[26:27], s[24:25], 2
	s_add_u32 s28, s28, s26
	s_addc_u32 s29, s29, s27
	s_add_u32 s26, s30, s26
	s_addc_u32 s27, s31, s27
	s_abs_i32 s3, s18
	v_cvt_f32_u32_e32 v1, s3
	s_load_dwordx2 s[38:39], s[28:29], 0x0
	s_sub_i32 s29, 0, s3
	s_load_dword s47, s[26:27], 0x0
	v_rcp_iflag_f32_e32 v1, v1
	v_or_b32_e32 v49, v2, v42
	s_waitcnt lgkmcnt(0)
	s_sub_i32 s45, s39, s38
	s_ashr_i32 s28, s45, 31
	v_mul_f32_e32 v1, 0x4f7ffffe, v1
	v_cvt_u32_f32_e32 v1, v1
	s_lshr_b32 s28, s28, 26
	s_add_i32 s28, s45, s28
	s_ashr_i32 s46, s28, 6
	v_readfirstlane_b32 s30, v1
	s_mul_i32 s29, s29, s30
	s_mul_hi_u32 s29, s30, s29
	s_add_i32 s30, s30, s29
	s_mul_hi_u32 s29, s34, s30
	s_mul_i32 s30, s29, s3
	s_ashr_i32 s28, s18, 31
	s_sub_i32 s30, s34, s30
	s_xor_b32 s28, s35, s28
	s_add_i32 s31, s29, 1
	s_sub_i32 s34, s30, s3
	s_cmp_ge_u32 s30, s3
	s_cselect_b32 s29, s31, s29
	s_cselect_b32 s30, s34, s30
	s_add_i32 s31, s29, 1
	s_cmp_ge_u32 s30, s3
	s_cselect_b32 s3, s31, s29
	s_xor_b32 s3, s3, s28
	s_sub_i32 s3, s3, s28
	s_abs_i32 s28, s3
	v_cvt_f32_u32_e32 v1, s28
	s_load_dwordx2 s[34:35], s[0:1], 0x80
	s_xor_b32 s0, s33, s3
	s_sub_i32 s3, 0, s28
	v_rcp_iflag_f32_e32 v1, v1
	s_abs_i32 s1, s33
	s_ashr_i32 s0, s0, 31
	v_or_b32_e32 v48, 64, v49
	v_mul_f32_e32 v1, 0x4f7ffffe, v1
	v_cvt_u32_f32_e32 v1, v1
	v_mov_b32_e32 v3, 0
	s_mul_hi_i32 s48, s33, s16
	s_mul_i32 s49, s33, s16
	v_readfirstlane_b32 s26, v1
	s_mul_i32 s3, s3, s26
	s_mul_hi_u32 s3, s26, s3
	s_add_i32 s26, s26, s3
	s_mul_hi_u32 s3, s1, s26
	s_mul_i32 s26, s3, s28
	s_sub_i32 s1, s1, s26
	s_add_i32 s26, s3, 1
	s_sub_i32 s27, s1, s28
	s_cmp_ge_u32 s1, s28
	s_cselect_b32 s3, s26, s3
	s_cselect_b32 s1, s27, s1
	s_add_i32 s26, s3, 1
	s_cmp_ge_u32 s1, s28
	s_cselect_b32 s1, s26, s3
	s_xor_b32 s1, s1, s0
	s_sub_i32 s51, s1, s0
	s_lshl_b32 s36, s2, 4
	v_and_b32_e32 v1, 15, v0
	s_cmp_lt_i32 s45, 64
	v_lshrrev_b32_e32 v47, 3, v43
	v_lshlrev_b32_e32 v46, 3, v0
	s_mul_i32 s42, s24, s21
	s_mul_hi_u32 s43, s24, s20
	s_mul_i32 s44, s25, s20
	s_mul_i32 s20, s24, s20
	v_mov_b32_e32 v66, 0
	v_mov_b32_e32 v34, 0
	v_mov_b32_e32 v64, 0
	v_mov_b32_e32 v4, 0
	v_mov_b32_e32 v69, 0
	v_mov_b32_e32 v68, 0
	v_mov_b32_e32 v35, 0
	s_cbranch_scc1 .LBB631_18
; %bb.1:
	s_ashr_i32 s53, s33, 31
	s_ashr_i32 s1, s38, 31
	s_add_u32 s0, s49, s38
	s_addc_u32 s1, s48, s1
	s_lshl_b64 s[0:1], s[0:1], 8
	v_and_b32_e32 v51, 56, v46
	s_add_u32 s0, s6, s0
	v_lshl_or_b32 v50, v44, 3, v47
	v_lshlrev_b32_e32 v3, 1, v51
	s_addc_u32 s1, s7, s1
	v_lshl_or_b32 v52, v50, 8, v3
	s_and_b32 s1, s1, 0xffff
	s_mov_b32 s3, 0x20000
	s_movk_i32 s2, 0x4000
	s_movk_i32 s21, 0x80
	v_or_b32_e32 v53, 0x2000, v52
	buffer_load_dwordx4 v[4:7], v52, s[0:3], 0 offen
	buffer_load_dwordx4 v[8:11], v52, s[0:3], s21 offen
	;; [unrolled: 1-line block ×4, first 2 shown]
	v_lshlrev_b32_e32 v20, 3, v50
	v_and_or_b32 v22, v0, 7, v20
	v_and_b32_e32 v20, 0x78, v20
	v_lshlrev_b32_e32 v22, 4, v22
	v_xor_b32_e32 v54, v22, v20
	v_mul_lo_u32 v21, v50, s19
	v_or_b32_e32 v55, 0x1000, v54
	s_cmpk_eq_i32 s19, 0x80
	s_mov_b32 s50, s17
	s_mov_b32 s52, s38
	v_xor_b32_e32 v20, 8, v54
	v_xor_b32_e32 v22, 8, v55
	s_cselect_b64 s[0:1], -1, 0
	s_cmpk_lg_i32 s19, 0x80
	s_waitcnt vmcnt(3)
	ds_write_b64 v54, v[4:5] offset:16384
	ds_write_b64 v20, v[6:7] offset:16384
	s_waitcnt vmcnt(2)
	ds_write_b64 v54, v[8:9] offset:24576
	ds_write_b64 v20, v[10:11] offset:24576
	;; [unrolled: 3-line block ×4, first 2 shown]
	v_lshl_add_u32 v4, v21, 1, v51
	s_cbranch_scc0 .LBB631_3
; %bb.2:
	v_lshlrev_b32_e32 v6, 1, v4
	v_add_lshl_u32 v5, v4, s19, 1
	s_lshl_b32 s26, s19, 7
	v_lshl_or_b32 v3, v50, 9, v3
	s_cbranch_execz .LBB631_4
	s_branch .LBB631_5
.LBB631_3:
                                        ; implicit-def: $vgpr5
                                        ; implicit-def: $vgpr6
                                        ; implicit-def: $sgpr26
	v_lshl_or_b32 v3, v50, 9, v3
.LBB631_4:
	v_or_b32_e32 v5, 0x100, v3
	s_movk_i32 s26, 0x4000
	v_mov_b32_e32 v6, v3
.LBB631_5:
	s_mul_i32 s2, s38, s18
	s_ashr_i32 s54, s51, 31
	s_mul_hi_i32 s3, s38, s18
	s_add_u32 s2, s2, s51
	s_addc_u32 s3, s3, s54
	s_lshl_b64 s[2:3], s[2:3], 8
	s_add_u32 s24, s4, s2
	s_addc_u32 s2, s5, s3
	s_and_b32 s25, s2, 0xffff
	s_mov_b32 s27, 0x20000
	s_movk_i32 s55, 0x80
	buffer_load_dwordx4 v[8:11], v6, s[24:27], 0 offen
	buffer_load_dwordx4 v[12:15], v6, s[24:27], s55 offen
	buffer_load_dwordx4 v[16:19], v5, s[24:27], 0 offen
	buffer_load_dwordx4 v[20:23], v5, s[24:27], s55 offen
	v_and_b32_e32 v5, 6, v0
	v_lshlrev_b32_e32 v7, 2, v1
	v_lshlrev_b32_e32 v24, 3, v1
	v_xor_b32_e32 v26, v50, v5
	v_and_b32_e32 v6, 1, v0
	v_lshl_or_b32 v24, v49, 5, v24
	v_xor_b32_e32 v27, v49, v7
	v_lshlrev_b32_e32 v26, 2, v26
	s_mul_i32 s3, s33, s23
	s_mul_hi_u32 s21, s33, s22
	v_or_b32_e32 v56, 0x9000, v24
	v_or_b32_e32 v57, 0x9800, v24
	v_lshlrev_b32_e32 v24, 1, v27
	v_xor_b32_e32 v27, 0x440, v26
	v_cmp_eq_u32_e32 vcc, 0, v6
	s_add_i32 s25, s43, s42
	s_mul_i32 s24, s53, s22
	v_cndmask_b32_e32 v6, v27, v26, vcc
	s_add_i32 s3, s21, s3
	s_add_i32 s21, s25, s44
	s_mov_b32 s56, 0x1000504
	v_lshlrev_b32_e32 v25, 8, v1
	s_mov_b32 s26, 0x8000
	v_xor_b32_e32 v7, v48, v7
	v_lshl_or_b32 v5, v5, 10, v6
	s_add_i32 s3, s3, s24
	s_lshl_b64 s[24:25], s[20:21], 2
	s_mov_b32 s57, 0x3020706
	s_mul_i32 s2, s33, s22
	v_lshlrev_b32_e32 v7, 1, v7
	v_or3_b32 v58, v24, v25, s26
	v_xor_b32_e32 v6, 8, v5
	v_xor_b32_e32 v24, 24, v5
	;; [unrolled: 1-line block ×4, first 2 shown]
	s_add_u32 s21, s10, s24
	v_or3_b32 v59, v7, v25, s26
	v_xor_b32_e32 v7, 16, v5
	v_xor_b32_e32 v25, 32, v5
	;; [unrolled: 1-line block ×3, first 2 shown]
	v_add_u32_e32 v6, 0x80, v6
	v_add_u32_e32 v24, 0x80, v24
	;; [unrolled: 1-line block ×4, first 2 shown]
	s_addc_u32 s24, s11, s25
	s_lshl_b64 s[2:3], s[2:3], 2
	s_add_u32 s2, s21, s2
	s_movk_i32 s21, 0xf8
	s_addc_u32 s3, s24, s3
	s_ashr_i32 s37, s36, 31
	s_lshl_b32 s30, s19, 7
	s_lshl_b64 s[24:25], s[36:37], 8
	s_add_u32 s24, s12, s24
	s_addc_u32 s25, s13, s25
	v_mov_b32_e32 v35, 0
	s_mov_b32 s58, 0
	v_add_u32_e32 v78, v42, v2
	v_mov_b32_e32 v79, 0x3fb8aa3b
	v_mov_b32_e32 v68, v35
	;; [unrolled: 1-line block ×7, first 2 shown]
	s_waitcnt vmcnt(1)
	v_perm_b32 v29, v8, v16, s56
	s_waitcnt vmcnt(0)
	v_perm_b32 v30, v12, v20, s56
	v_perm_b32 v8, v8, v16, s57
	;; [unrolled: 1-line block ×15, first 2 shown]
	ds_write2st64_b32 v5, v29, v30 offset1:32
	ds_write2st64_b32 v6, v8, v12 offset1:32
	ds_write2st64_b32 v7, v16, v20 offset0:1 offset1:33
	ds_write2st64_b32 v24, v9, v13 offset0:1 offset1:33
	;; [unrolled: 1-line block ×6, first 2 shown]
	v_or_b32_e32 v5, v42, v1
	v_lshlrev_b32_e32 v5, 3, v5
	v_lshrrev_b32_e32 v7, 5, v43
	v_and_or_b32 v7, v5, s21, v7
	v_lshlrev_b32_e32 v7, 4, v7
	v_lshlrev_b32_e32 v10, 11, v44
	v_and_b32_e32 v5, 0x78, v5
	v_or_b32_e32 v12, 32, v7
	v_and_b32_e32 v6, 0x1000, v10
	v_lshrrev_b32_e32 v11, 1, v0
	v_xor_b32_e32 v12, v12, v5
	v_and_b32_e32 v9, 8, v11
	v_or_b32_e32 v12, v12, v6
	v_xor_b32_e32 v8, v7, v5
	v_xor_b32_e32 v62, v12, v9
	v_or_b32_e32 v12, 64, v7
	v_or_b32_e32 v7, 0x60, v7
	v_xor_b32_e32 v12, v12, v5
	v_xor_b32_e32 v5, v7, v5
	v_or_b32_e32 v5, v5, v6
	v_or_b32_e32 v12, v12, v6
	v_xor_b32_e32 v65, v5, v9
	v_lshlrev_b32_e32 v5, 1, v1
	v_xor_b32_e32 v63, v12, v9
	v_lshlrev_b32_e32 v12, 1, v4
	v_add_lshl_u32 v13, v4, s19, 1
	v_lshrrev_b32_e32 v4, 4, v0
	v_or_b32_e32 v15, 1, v5
	v_xor_b32_e32 v5, v4, v5
	v_xor_b32_e32 v15, v15, v4
	v_lshlrev_b32_e32 v5, 3, v5
	v_lshlrev_b32_e32 v34, 8, v4
	;; [unrolled: 1-line block ×3, first 2 shown]
	v_or3_b32 v70, v5, v34, s26
	v_or3_b32 v71, v4, v34, s26
	v_lshl_add_u64 v[4:5], s[24:25], 0, v[34:35]
	v_lshlrev_b32_e32 v34, 4, v1
	s_movk_i32 s21, 0xff
	v_lshlrev_b32_e32 v17, 3, v44
	v_and_b32_e32 v11, 24, v11
	v_lshl_add_u64 v[36:37], v[4:5], 0, v[34:35]
	v_and_b32_e32 v5, 8, v0
	v_cmp_lt_u32_e32 vcc, s21, v0
	v_xor_b32_e32 v18, v17, v11
	v_or_b32_e32 v19, 0x440, v18
	v_cndmask_b32_e64 v16, 0, 1, vcc
	v_cmp_eq_u32_e32 vcc, 0, v5
	v_and_b32_e32 v4, 7, v0
	v_lshlrev_b32_e32 v15, 3, v4
	v_cndmask_b32_e32 v5, v19, v18, vcc
	v_lshlrev_b32_e32 v4, 7, v4
	v_or_b32_e32 v5, v5, v10
	v_xad_u32 v72, v5, v15, v4
	v_or_b32_e32 v5, 32, v11
	v_xor_b32_e32 v5, v17, v5
	v_or_b32_e32 v18, 0x440, v5
	v_cndmask_b32_e32 v5, v18, v5, vcc
	v_or_b32_e32 v5, v5, v10
	v_xad_u32 v73, v5, v15, v4
	v_or_b32_e32 v5, 64, v11
	v_xor_b32_e32 v5, v17, v5
	v_xor_b32_e32 v18, 0x440, v5
	v_cndmask_b32_e32 v5, v18, v5, vcc
	v_or_b32_e32 v5, v5, v10
	v_xad_u32 v74, v5, v15, v4
	v_or_b32_e32 v5, 0x60, v11
	v_xor_b32_e32 v5, v17, v5
	v_or_b32_e32 v8, v8, v6
	v_or_b32_e32 v6, s36, v1
	v_xor_b32_e32 v11, 0x440, v5
	v_xor_b32_e32 v60, v8, v9
	v_and_b32_e32 v8, 0x78, v46
	v_ashrrev_i32_e32 v7, 31, v6
	v_cndmask_b32_e32 v5, v11, v5, vcc
	v_lshl_or_b32 v8, v45, 7, v8
	v_lshlrev_b64 v[6:7], 1, v[6:7]
	v_or_b32_e32 v5, v5, v10
	v_or_b32_e32 v61, 0x9000, v8
	;; [unrolled: 1-line block ×3, first 2 shown]
	v_lshl_add_u64 v[8:9], s[8:9], 0, v[6:7]
	v_lshl_add_u64 v[6:7], s[14:15], 0, v[6:7]
	v_or_b32_e32 v14, 0x100, v3
	v_lshlrev_b32_e32 v16, 13, v16
	v_xad_u32 v75, v5, v15, v4
	v_lshlrev_b32_e32 v34, 8, v49
	v_cndmask_b32_e64 v76, v12, v3, s[0:1]
	v_cndmask_b32_e64 v77, v13, v14, s[0:1]
	v_lshl_add_u64 v[38:39], v[8:9], 0, v[34:35]
	v_lshl_add_u64 v[40:41], v[6:7], 0, v[34:35]
	s_mov_b32 s21, 0x7060302
	s_movk_i32 s26, 0x4000
	v_add_u32_e32 v80, v16, v72
	v_add_u32_e32 v81, v16, v73
	;; [unrolled: 1-line block ×4, first 2 shown]
	v_mov_b32_e32 v34, v35
	s_waitcnt lgkmcnt(0)
	s_barrier
.LBB631_6:                              ; =>This Inner Loop Header: Depth=1
	s_add_i32 s37, s58, 1
	s_cmp_lt_i32 s37, s46
	s_mov_b64 s[28:29], 0
	s_cselect_b64 s[40:41], -1, 0
	s_cmp_ge_i32 s37, s46
	s_mov_b64 s[24:25], 0
	s_cbranch_scc1 .LBB631_8
; %bb.7:                                ;   in Loop: Header=BB631_6 Depth=1
	s_add_i32 s0, s52, 64
	s_ashr_i32 s1, s0, 31
	s_add_u32 s0, s49, s0
	s_addc_u32 s1, s48, s1
	s_lshl_b64 s[0:1], s[0:1], 8
	s_add_u32 s24, s6, s0
	s_addc_u32 s25, s7, s1
.LBB631_8:                              ;   in Loop: Header=BB631_6 Depth=1
	v_cndmask_b32_e64 v2, 0, 1, s[40:41]
	v_cmp_ne_u32_e64 s[0:1], 1, v2
	s_andn2_b64 vcc, exec, s[40:41]
	s_cbranch_vccnz .LBB631_10
; %bb.9:                                ;   in Loop: Header=BB631_6 Depth=1
	s_add_i32 s28, s52, 64
	s_mul_hi_i32 s29, s28, s18
	s_mul_i32 s28, s28, s18
	s_add_u32 s28, s28, s51
	s_addc_u32 s29, s29, s54
	s_lshl_b64 s[28:29], s[28:29], 8
	s_add_u32 s28, s4, s28
	s_addc_u32 s29, s5, s29
.LBB631_10:                             ;   in Loop: Header=BB631_6 Depth=1
	v_perm_b32 v3, v85, v69, s21
	v_perm_b32 v2, v68, v35, s21
	;; [unrolled: 1-line block ×4, first 2 shown]
	ds_write_b64 v56, v[2:3]
	ds_write_b64 v57, v[4:5]
	;; [unrolled: 1-line block ×4, first 2 shown]
	s_waitcnt lgkmcnt(0)
	s_barrier
	ds_read_b64 v[10:11], v60 offset:16384
	ds_read_b64 v[12:13], v62 offset:16384
	ds_read2st64_b64 v[2:5], v61 offset1:1
	s_waitcnt lgkmcnt(0)
	v_mfma_f32_16x16x16_bf16 a[0:3], v[10:11], v[2:3], 0
	ds_read2st64_b64 v[6:9], v61 offset0:2 offset1:3
	ds_read_b64 v[14:15], v63 offset:16384
	ds_read_b64 v[2:3], v65 offset:16384
	s_add_i32 s31, s52, 63
	v_mfma_f32_16x16x16_bf16 a[0:3], v[12:13], v[4:5], a[0:3]
	s_ashr_i32 s40, s31, 31
	s_mul_i32 s41, s31, s35
	s_mul_hi_u32 s59, s31, s34
	s_waitcnt lgkmcnt(1)
	v_mfma_f32_16x16x16_bf16 a[0:3], v[14:15], v[6:7], a[0:3]
	s_add_i32 s41, s59, s41
	s_mul_i32 s40, s40, s34
	s_add_i32 s41, s41, s40
	s_mul_i32 s40, s31, s34
	s_waitcnt lgkmcnt(0)
	v_mfma_f32_16x16x16_bf16 a[0:3], v[2:3], v[8:9], a[0:3]
	s_lshl_b64 s[40:41], s[40:41], 2
	s_add_u32 s40, s2, s40
	s_addc_u32 s41, s3, s41
	s_and_b64 vcc, exec, s[0:1]
	v_mov_b32_e32 v88, 0
	v_mov_b32_e32 v87, 0
	;; [unrolled: 1-line block ×19, first 2 shown]
	s_cbranch_vccnz .LBB631_12
; %bb.11:                               ;   in Loop: Header=BB631_6 Depth=1
	s_and_b32 s25, s25, 0xffff
	buffer_load_dwordx4 v[14:17], v52, s[24:27], 0 offen
	buffer_load_dwordx4 v[10:13], v52, s[24:27], s55 offen
	;; [unrolled: 1-line block ×4, first 2 shown]
	v_mov_b32_e32 v87, v54
	v_mov_b32_e32 v86, v55
.LBB631_12:                             ;   in Loop: Header=BB631_6 Depth=1
	s_waitcnt vmcnt(3)
	v_add_u32_e32 v22, s52, v78
	s_waitcnt vmcnt(1)
	v_ashrrev_i32_e32 v18, 31, v22
	v_mul_lo_u32 v20, v18, s34
	v_mul_lo_u32 v21, v22, s35
	v_mad_u64_u32 v[18:19], s[24:25], v22, s34, 0
	v_add3_u32 v19, v19, v21, v20
	v_lshl_add_u64 v[18:19], v[18:19], 2, s[2:3]
	global_load_dword v90, v[18:19], off
	v_add_u32_e32 v18, 1, v22
	v_ashrrev_i32_e32 v19, 31, v18
	v_mul_lo_u32 v20, v19, s34
	v_mul_lo_u32 v21, v18, s35
	v_mad_u64_u32 v[18:19], s[24:25], v18, s34, 0
	v_add3_u32 v19, v19, v21, v20
	v_add_u32_e32 v20, 2, v22
	v_ashrrev_i32_e32 v21, 31, v20
	v_mul_lo_u32 v23, v21, s34
	v_mul_lo_u32 v24, v20, s35
	v_mad_u64_u32 v[20:21], s[24:25], v20, s34, 0
	v_add_u32_e32 v22, 3, v22
	v_add3_u32 v21, v21, v24, v23
	v_ashrrev_i32_e32 v23, 31, v22
	v_mul_lo_u32 v26, v23, s34
	v_mul_lo_u32 v27, v22, s35
	v_mad_u64_u32 v[22:23], s[24:25], v22, s34, 0
	s_ashr_i32 s25, s52, 31
	s_add_u32 s24, s49, s52
	s_addc_u32 s25, s48, s25
	s_lshl_b64 s[60:61], s[24:25], 8
	v_lshl_add_u64 v[18:19], v[18:19], 2, s[2:3]
	v_lshl_add_u64 v[24:25], v[38:39], 0, s[60:61]
	v_add3_u32 v23, v23, v27, v26
	v_lshl_add_u64 v[20:21], v[20:21], 2, s[2:3]
	global_load_ushort v91, v[24:25], off
	global_load_ushort v92, v[24:25], off offset:256
	global_load_ushort v93, v[24:25], off offset:512
	;; [unrolled: 1-line block ×3, first 2 shown]
	v_lshl_add_u64 v[22:23], v[22:23], 2, s[2:3]
	global_load_dword v95, v[18:19], off
	global_load_dword v96, v[20:21], off
	global_load_dword v97, v[22:23], off
	ds_read_b64 v[22:23], v60 offset:24576
	ds_read_b64 v[28:29], v62 offset:24576
	ds_read2st64_b64 v[18:21], v67 offset1:1
	s_waitcnt lgkmcnt(0)
	v_mfma_f32_16x16x16_bf16 a[0:3], v[22:23], v[18:19], a[0:3]
	s_load_dword s24, s[40:41], 0x0
	ds_read2st64_b64 v[24:27], v67 offset0:2 offset1:3
	ds_read_b64 v[30:31], v63 offset:24576
	ds_read_b64 v[32:33], v65 offset:24576
	v_mov_b32_e32 v89, 0
	v_mfma_f32_16x16x16_bf16 a[0:3], v[28:29], v[20:21], a[0:3]
	v_mov_b32_e32 v18, 0
	v_mov_b32_e32 v19, 0
	;; [unrolled: 1-line block ×3, first 2 shown]
	s_waitcnt lgkmcnt(0)
	v_mfma_f32_16x16x16_bf16 a[0:3], v[30:31], v[24:25], a[0:3]
	v_lshl_add_u64 v[24:25], v[40:41], 0, s[60:61]
	v_mov_b32_e32 v21, 0
	v_mov_b32_e32 v22, 0
	v_mfma_f32_16x16x16_bf16 a[0:3], v[32:33], v[26:27], a[0:3]
	v_mov_b32_e32 v23, 0
	s_and_b64 vcc, exec, s[0:1]
	s_waitcnt vmcnt(7)
	v_sub_f32_e32 v90, s24, v90
	s_nop 2
	v_accvgpr_read_b32 v29, a1
	v_accvgpr_read_b32 v27, a3
	;; [unrolled: 1-line block ×4, first 2 shown]
	v_mul_f32_e32 v90, 0x3fb8aa3b, v90
	s_waitcnt vmcnt(6)
	v_lshlrev_b32_e32 v30, 16, v91
	s_waitcnt vmcnt(5)
	v_lshlrev_b32_e32 v31, 16, v92
	;; [unrolled: 2-line block ×4, first 2 shown]
	s_waitcnt vmcnt(2)
	v_sub_f32_e32 v91, s24, v95
	s_waitcnt vmcnt(1)
	v_sub_f32_e32 v92, s24, v96
	;; [unrolled: 2-line block ×3, first 2 shown]
	v_pk_add_f32 v[28:29], v[30:31], v[28:29] neg_lo:[0,1] neg_hi:[0,1]
	v_pk_add_f32 v[26:27], v[32:33], v[26:27] neg_lo:[0,1] neg_hi:[0,1]
	v_mul_f32_e32 v31, 0x3fb8aa3b, v91
	v_mul_f32_e32 v32, 0x3fb8aa3b, v92
	v_mul_f32_e32 v33, 0x3fb8aa3b, v93
	v_exp_f32_e32 v30, v90
	v_exp_f32_e32 v31, v31
	;; [unrolled: 1-line block ×4, first 2 shown]
	global_store_short_d16_hi v[24:25], v28, off
	global_store_short_d16_hi v[24:25], v29, off offset:256
	global_store_short_d16_hi v[24:25], v26, off offset:512
	;; [unrolled: 1-line block ×3, first 2 shown]
	v_pk_mul_f32 v[24:25], v[30:31], v[28:29]
	v_pk_mul_f32 v[26:27], v[32:33], v[26:27]
	v_perm_b32 v24, v25, v24, s21
	v_perm_b32 v25, v27, v26, s21
	ds_write_b64 v57, v[24:25]
	v_mov_b32_e32 v24, 0
	v_mov_b32_e32 v25, 0
	;; [unrolled: 1-line block ×10, first 2 shown]
	s_cbranch_vccnz .LBB631_14
; %bb.13:                               ;   in Loop: Header=BB631_6 Depth=1
	s_and_b32 s29, s29, 0xffff
	s_mov_b32 s31, s27
	buffer_load_dwordx4 v[30:33], v76, s[28:31], 0 offen
	buffer_load_dwordx4 v[22:25], v76, s[28:31], s55 offen
	;; [unrolled: 1-line block ×4, first 2 shown]
	v_mov_b32_e32 v88, v51
	v_mov_b32_e32 v89, v50
.LBB631_14:                             ;   in Loop: Header=BB631_6 Depth=1
	s_waitcnt lgkmcnt(0)
	s_barrier
	ds_read_b64 v[98:99], v80
	ds_read2st64_b64 v[90:93], v67 offset1:1
	ds_read2st64_b64 v[94:97], v67 offset0:2 offset1:3
	ds_read_b64 v[100:101], v81
	ds_read_b64 v[102:103], v82
	;; [unrolled: 1-line block ×3, first 2 shown]
	s_waitcnt lgkmcnt(4)
	v_mfma_f32_16x16x16_bf16 a[0:3], v[98:99], v[90:91], 0
	ds_read_b64 v[98:99], v72 offset:8192
	ds_read_b64 v[106:107], v73 offset:8192
	s_add_i32 s25, s47, s58
	s_mul_hi_i32 s29, s25, s50
	s_waitcnt lgkmcnt(1)
	v_mfma_f32_16x16x16_bf16 a[4:7], v[98:99], v[90:91], 0
	s_mul_i32 s25, s25, s50
	s_add_u32 s28, s25, s33
	s_addc_u32 s29, s29, s53
	v_mfma_f32_16x16x16_bf16 a[0:3], v[100:101], v[92:93], a[0:3]
	ds_read_b64 v[98:99], v70
	ds_read_b64 v[100:101], v71
	ds_read_b64 v[90:91], v74 offset:8192
	s_lshl_b64 s[28:29], s[28:29], 15
	v_mfma_f32_16x16x16_bf16 a[0:3], v[102:103], v[94:95], a[0:3]
	ds_read_b64 v[102:103], v75 offset:8192
	s_and_b64 vcc, exec, s[0:1]
	s_waitcnt lgkmcnt(4)
	v_mfma_f32_16x16x16_bf16 a[4:7], v[106:107], v[92:93], a[4:7]
	s_waitcnt lgkmcnt(1)
	v_mfma_f32_16x16x16_bf16 a[4:7], v[90:91], v[94:95], a[4:7]
	v_lshl_add_u64 v[90:91], v[36:37], 0, s[28:29]
	global_store_dwordx4 v[90:91], v[98:101], off
	v_mfma_f32_16x16x16_bf16 a[0:3], v[104:105], v[96:97], a[0:3]
	s_waitcnt lgkmcnt(0)
	v_mfma_f32_16x16x16_bf16 a[4:7], v[102:103], v[96:97], a[4:7]
	s_cbranch_vccnz .LBB631_16
; %bb.15:                               ;   in Loop: Header=BB631_6 Depth=1
	v_lshrrev_b32_e32 v90, 3, v88
	v_and_b32_e32 v90, 6, v90
	v_xor_b32_e32 v89, v90, v89
	v_lshlrev_b32_e32 v89, 2, v89
	v_and_b32_e32 v88, 8, v88
	v_xor_b32_e32 v91, 0x440, v89
	v_cmp_eq_u32_e32 vcc, 0, v88
	s_barrier
	s_nop 0
	v_cndmask_b32_e32 v88, v91, v89, vcc
	v_lshl_or_b32 v88, v90, 10, v88
	s_waitcnt vmcnt(2)
	v_perm_b32 v89, v30, v26, s56
	s_waitcnt vmcnt(1)
	v_perm_b32 v90, v22, v18, s56
	ds_write2st64_b32 v88, v89, v90 offset1:32
	v_xor_b32_e32 v89, 8, v88
	v_perm_b32 v26, v30, v26, s57
	v_perm_b32 v18, v22, v18, s57
	v_add_u32_e32 v22, 0x80, v89
	ds_write2st64_b32 v22, v26, v18 offset1:32
	v_xor_b32_e32 v18, 16, v88
	v_perm_b32 v22, v31, v27, s56
	v_perm_b32 v26, v23, v19, s56
	ds_write2st64_b32 v18, v22, v26 offset0:1 offset1:33
	v_xor_b32_e32 v18, 24, v88
	v_perm_b32 v22, v31, v27, s57
	v_perm_b32 v19, v23, v19, s57
	v_add_u32_e32 v18, 0x80, v18
	ds_write2st64_b32 v18, v22, v19 offset0:1 offset1:33
	v_xor_b32_e32 v18, 32, v88
	v_perm_b32 v19, v32, v28, s56
	v_perm_b32 v22, v24, v20, s56
	ds_write2st64_b32 v18, v19, v22 offset0:2 offset1:34
	v_xor_b32_e32 v18, 40, v88
	v_perm_b32 v19, v32, v28, s57
	v_perm_b32 v20, v24, v20, s57
	v_add_u32_e32 v18, 0x80, v18
	ds_write2st64_b32 v18, v19, v20 offset0:2 offset1:34
	;; [unrolled: 9-line block ×3, first 2 shown]
	ds_write_b64 v87, v[14:15] offset:16384
	v_xor_b32_e32 v14, 8, v87
	ds_write_b64 v14, v[16:17] offset:16384
	ds_write_b64 v87, v[10:11] offset:24576
	ds_write_b64 v14, v[12:13] offset:24576
	ds_write_b64 v86, v[6:7] offset:16384
	v_xor_b32_e32 v6, 8, v86
	ds_write_b64 v6, v[8:9] offset:16384
	ds_write_b64 v86, v[2:3] offset:24576
	;; [unrolled: 1-line block ×3, first 2 shown]
.LBB631_16:                             ;   in Loop: Header=BB631_6 Depth=1
	v_mul_f32_e32 v2, s24, v79
	v_exp_f32_e32 v2, v2
	s_nop 1
	v_accvgpr_read_b32 v3, a0
	v_accvgpr_read_b32 v4, a1
	s_add_i32 s52, s52, 64
	v_fma_f32 v35, v35, v2, v3
	v_accvgpr_read_b32 v3, a2
	v_fma_f32 v69, v69, v2, v3
	v_accvgpr_read_b32 v3, a4
	;; [unrolled: 2-line block ×6, first 2 shown]
	v_fmac_f32_e32 v4, v85, v2
	s_cmp_eq_u32 s46, s37
	v_fmac_f32_e32 v3, v84, v2
	s_cbranch_scc1 .LBB631_18
; %bb.17:                               ;   in Loop: Header=BB631_6 Depth=1
	s_mov_b32 s58, s37
	v_mov_b32_e32 v85, v4
	v_mov_b32_e32 v84, v3
	s_branch .LBB631_6
.LBB631_18:
	s_lshl_b32 s0, s46, 6
	s_sub_i32 s45, s45, s0
	s_cmp_gt_i32 s45, 0
	s_cbranch_scc0 .LBB631_75
; %bb.19:
	s_add_i32 s38, s0, s38
	s_ashr_i32 s2, s38, 31
	s_cmpk_lg_i32 s19, 0x80
	s_cselect_b64 s[30:31], -1, 0
	s_and_b64 vcc, exec, s[30:31]
	s_cbranch_vccz .LBB631_21
; %bb.20:
	s_mul_i32 s1, s38, s18
	s_ashr_i32 s3, s51, 31
	s_mul_hi_i32 s0, s38, s18
	s_add_u32 s40, s1, s51
	s_addc_u32 s41, s0, s3
	s_cbranch_execz .LBB631_22
	s_branch .LBB631_23
.LBB631_21:
                                        ; implicit-def: $sgpr40_sgpr41
.LBB631_22:
	s_mul_i32 s1, s51, s16
	s_mul_hi_i32 s0, s51, s16
	s_add_u32 s40, s1, s38
	s_addc_u32 s41, s0, s2
.LBB631_23:
	s_add_i32 s3, s46, s47
	s_ashr_i32 s16, s33, 31
	s_add_u32 s0, s49, s38
	s_addc_u32 s1, s48, s2
	s_mov_b32 s2, 0x7060302
	v_lshlrev_b32_e32 v6, 3, v1
	v_perm_b32 v5, v4, v69, s2
	v_perm_b32 v4, v68, v35, s2
	;; [unrolled: 1-line block ×4, first 2 shown]
	v_lshlrev_b32_e32 v34, 2, v1
	v_lshl_or_b32 v6, v49, 5, v6
	s_lshl_b64 s[28:29], s[0:1], 8
	ds_write2st64_b64 v6, v[4:5], v[2:3] offset0:72 offset1:76
	v_xor_b32_e32 v6, v49, v34
	v_lshlrev_b32_e32 v7, 8, v1
	s_add_u32 s0, s6, s28
	v_lshl_or_b32 v6, v6, 1, v7
	s_addc_u32 s1, s7, s29
	ds_write_b64 v6, v[4:5] offset:32768
	v_xor_b32_e32 v4, v48, v34
	s_mul_hi_i32 s6, s3, s17
	s_mul_i32 s3, s3, s17
	v_lshl_or_b32 v4, v4, 1, v7
	s_add_u32 s2, s3, s33
	ds_write_b64 v4, v[2:3] offset:32768
	s_addc_u32 s3, s6, s16
	v_lshlrev_b32_e32 v3, 1, v1
	v_lshrrev_b32_e32 v2, 4, v0
	s_ashr_i32 s37, s36, 31
	s_lshl_b64 s[2:3], s[2:3], 15
	v_or_b32_e32 v4, 1, v3
	s_add_u32 s6, s12, s2
	v_xor_b32_e32 v3, v2, v3
	v_xor_b32_e32 v4, v4, v2
	v_lshlrev_b32_e32 v6, 8, v2
	s_addc_u32 s7, s13, s3
	s_lshl_b64 s[2:3], s[36:37], 8
	v_lshl_or_b32 v2, v3, 3, v6
	v_lshl_or_b32 v4, v4, 3, v6
	s_waitcnt lgkmcnt(0)
	s_barrier
	s_add_u32 s2, s6, s2
	ds_read_b64 v[2:3], v2 offset:32768
	ds_read_b64 v[4:5], v4 offset:32768
	s_addc_u32 s3, s7, s3
	v_mov_b32_e32 v7, 0
	s_cmp_lg_u32 s45, 64
	v_lshl_add_u64 v[8:9], s[2:3], 0, v[6:7]
	v_lshlrev_b32_e32 v6, 4, v1
	s_cselect_b64 s[6:7], -1, 0
	v_lshl_or_b32 v35, v44, 3, v47
	s_mov_b32 s24, 0
	v_lshl_add_u64 v[6:7], v[8:9], 0, v[6:7]
	s_waitcnt vmcnt(1)
	v_or_b32_e32 v19, 32, v35
	v_and_b32_e32 v18, 56, v46
	s_and_b64 vcc, exec, s[6:7]
	s_waitcnt lgkmcnt(0)
	global_store_dwordx4 v[6:7], v[2:5], off
	s_cbranch_vccz .LBB631_29
; %bb.24:
	s_mov_b32 s25, s24
	s_mov_b32 s26, s24
	s_mov_b32 s27, s24
	v_mov_b64_e32 v[6:7], s[24:25]
	v_mov_b64_e32 v[8:9], s[26:27]
	;; [unrolled: 1-line block ×3, first 2 shown]
	v_cmp_gt_i32_e32 vcc, s45, v35
	v_mov_b64_e32 v[4:5], v[8:9]
	s_and_saveexec_b64 s[2:3], vcc
	s_cbranch_execz .LBB631_26
; %bb.25:
	v_lshlrev_b32_e32 v2, 8, v35
	v_mov_b32_e32 v3, 0
	v_lshl_add_u64 v[4:5], s[0:1], 0, v[2:3]
	v_lshlrev_b32_e32 v2, 1, v18
	v_lshl_add_u64 v[10:11], v[4:5], 0, v[2:3]
	global_load_dwordx4 v[6:9], v[10:11], off
	global_load_dwordx4 v[2:5], v[10:11], off offset:128
.LBB631_26:
	s_or_b64 exec, exec, s[2:3]
	s_mov_b32 s25, s24
	s_mov_b32 s26, s24
	;; [unrolled: 1-line block ×3, first 2 shown]
	v_mov_b64_e32 v[14:15], s[24:25]
	v_mov_b64_e32 v[16:17], s[26:27]
	;; [unrolled: 1-line block ×3, first 2 shown]
	v_cmp_gt_i32_e32 vcc, s45, v19
	v_lshlrev_b32_e32 v20, 7, v19
	v_mov_b64_e32 v[12:13], v[16:17]
	s_and_saveexec_b64 s[2:3], vcc
	s_cbranch_execz .LBB631_28
; %bb.27:
	v_lshlrev_b32_e32 v10, 1, v20
	v_mov_b32_e32 v11, 0
	v_lshl_add_u64 v[12:13], s[0:1], 0, v[10:11]
	v_lshlrev_b32_e32 v10, 1, v18
	v_lshl_add_u64 v[22:23], v[12:13], 0, v[10:11]
	global_load_dwordx4 v[14:17], v[22:23], off
	global_load_dwordx4 v[10:13], v[22:23], off offset:128
.LBB631_28:
	s_or_b64 exec, exec, s[2:3]
	v_lshrrev_b32_e32 v21, 3, v18
	v_lshlrev_b32_e32 v22, 3, v35
	v_or_b32_e32 v21, v22, v21
	v_lshlrev_b32_e32 v21, 4, v21
	v_and_b32_e32 v22, 0x78, v22
	v_xor_b32_e32 v21, v21, v22
	s_branch .LBB631_31
.LBB631_29:
                                        ; implicit-def: $vgpr21
                                        ; implicit-def: $vgpr20
                                        ; implicit-def: $vgpr6_vgpr7_vgpr8_vgpr9
                                        ; implicit-def: $vgpr2_vgpr3_vgpr4_vgpr5
                                        ; implicit-def: $vgpr14_vgpr15_vgpr16_vgpr17
                                        ; implicit-def: $vgpr10_vgpr11_vgpr12_vgpr13
	s_cbranch_execz .LBB631_31
; %bb.30:
	s_waitcnt vmcnt(0)
	v_lshlrev_b32_e32 v2, 1, v18
	v_lshl_or_b32 v20, v35, 8, v2
	s_and_b32 s1, s1, 0xffff
	s_mov_b32 s3, 0x20000
	s_movk_i32 s2, 0x4000
	v_lshl_or_b32 v21, v19, 8, v2
	s_movk_i32 s12, 0x80
	buffer_load_dwordx4 v[6:9], v20, s[0:3], 0 offen
	buffer_load_dwordx4 v[2:5], v20, s[0:3], s12 offen
	;; [unrolled: 1-line block ×4, first 2 shown]
	v_lshrrev_b32_e32 v20, 3, v18
	v_lshlrev_b32_e32 v21, 3, v35
	v_or_b32_e32 v20, v21, v20
	v_lshlrev_b32_e32 v20, 4, v20
	v_and_b32_e32 v21, 0x78, v21
	v_xor_b32_e32 v21, v20, v21
	v_lshlrev_b32_e32 v20, 7, v19
.LBB631_31:
	s_lshl_b64 s[0:1], s[40:41], 8
	s_add_u32 s4, s4, s0
	s_movk_i32 s0, 0x1000
	v_and_or_b32 v19, v20, s0, v21
	s_waitcnt vmcnt(1)
	ds_write_b64 v21, v[6:7] offset:16384
	v_xor_b32_e32 v6, 8, v21
	s_addc_u32 s5, s5, s1
	ds_write_b64 v6, v[8:9] offset:16384
	s_waitcnt vmcnt(0)
	ds_write_b64 v21, v[2:3] offset:24576
	ds_write_b64 v6, v[4:5] offset:24576
	;; [unrolled: 1-line block ×3, first 2 shown]
	v_xor_b32_e32 v2, 8, v19
	s_add_i32 s0, s43, s42
	ds_write_b64 v2, v[16:17] offset:16384
	ds_write_b64 v19, v[10:11] offset:24576
	;; [unrolled: 1-line block ×3, first 2 shown]
	s_add_i32 s21, s0, s44
	s_mul_i32 s0, s33, s23
	s_mul_hi_u32 s1, s33, s22
	v_or_b32_e32 v2, v42, v1
	s_add_i32 s0, s1, s0
	s_mul_i32 s1, s16, s22
	v_lshlrev_b32_e32 v2, 3, v2
	v_lshrrev_b32_e32 v4, 5, v43
	s_movk_i32 s16, 0xf8
	v_and_or_b32 v4, v2, s16, v4
	v_lshlrev_b32_e32 v3, 11, v44
	v_lshlrev_b32_e32 v12, 4, v4
	v_and_b32_e32 v13, 0x78, v2
	v_and_b32_e32 v14, 0x1000, v3
	v_lshlrev_b32_e32 v3, 2, v0
	v_xor_b32_e32 v2, v12, v13
	v_lshrrev_b32_e32 v4, 1, v43
	v_and_b32_e32 v3, 60, v3
	v_or_b32_e32 v2, v2, v14
	v_and_b32_e32 v15, 8, v4
	v_xor_b32_e32 v26, v2, v15
	v_lshl_or_b32 v2, v45, 6, v3
	v_lshlrev_b32_e32 v19, 1, v2
	v_or_b32_e32 v2, 32, v12
	v_xor_b32_e32 v2, v2, v13
	s_waitcnt lgkmcnt(0)
	s_barrier
	ds_read_b64 v[10:11], v26 offset:16384
	v_or_b32_e32 v2, v2, v14
	v_xor_b32_e32 v27, v2, v15
	v_or_b32_e32 v2, 64, v12
	v_xor_b32_e32 v2, v2, v13
	v_or_b32_e32 v2, v2, v14
	v_or_b32_e32 v12, 0x60, v12
	v_xor_b32_e32 v28, v2, v15
	ds_read2st64_b64 v[2:5], v19 offset0:72 offset1:73
	ds_read2st64_b64 v[6:9], v19 offset0:74 offset1:75
	v_xor_b32_e32 v16, v12, v13
	ds_read_b64 v[12:13], v27 offset:16384
	s_waitcnt lgkmcnt(2)
	v_mfma_f32_16x16x16_bf16 a[0:3], v[10:11], v[2:3], 0
	s_add_i32 s2, s39, -1
	s_ashr_i32 s3, s2, 31
	s_mul_i32 s12, s2, s35
	s_mul_hi_u32 s13, s2, s34
	s_add_i32 s12, s13, s12
	s_mul_i32 s3, s3, s34
	v_or_b32_e32 v14, v16, v14
	s_add_i32 s1, s0, s1
	s_add_i32 s3, s12, s3
	s_lshl_b64 s[12:13], s[20:21], 2
	v_xor_b32_e32 v36, v14, v15
	ds_read_b64 v[14:15], v28 offset:16384
	ds_read_b64 v[16:17], v36 offset:16384
	s_waitcnt lgkmcnt(2)
	v_mfma_f32_16x16x16_bf16 a[0:3], v[12:13], v[4:5], a[0:3]
	s_mul_i32 s0, s33, s22
	s_add_u32 s10, s10, s12
	s_addc_u32 s11, s11, s13
	s_lshl_b64 s[0:1], s[0:1], 2
	s_mul_i32 s2, s2, s34
	s_add_u32 s10, s10, s0
	s_addc_u32 s11, s11, s1
	s_lshl_b64 s[0:1], s[2:3], 2
	s_waitcnt lgkmcnt(1)
	v_mfma_f32_16x16x16_bf16 a[0:3], v[14:15], v[6:7], a[0:3]
	s_add_u32 s0, s10, s0
	s_addc_u32 s1, s11, s1
	s_load_dword s12, s[0:1], 0x0
	s_waitcnt lgkmcnt(0)
	v_mfma_f32_16x16x16_bf16 a[0:3], v[16:17], v[8:9], a[0:3]
	s_and_b64 vcc, exec, s[30:31]
	s_cbranch_vccz .LBB631_42
; %bb.32:
	v_lshlrev_b32_e32 v20, 1, v35
	s_and_b64 vcc, exec, s[6:7]
	s_cbranch_vccz .LBB631_43
; %bb.33:
	v_cmp_gt_i32_e32 vcc, s45, v20
	v_mov_b32_e32 v6, 0
	v_mov_b32_e32 v2, 0
	;; [unrolled: 1-line block ×5, first 2 shown]
	s_and_saveexec_b64 s[0:1], vcc
	s_cbranch_execz .LBB631_35
; %bb.34:
	v_mad_i64_i32 v[2:3], s[2:3], s19, v20, 0
	v_lshl_add_u64 v[2:3], v[2:3], 1, s[4:5]
	v_lshlrev_b32_e32 v4, 1, v18
	v_mov_b32_e32 v5, 0
	v_lshl_add_u64 v[2:3], v[2:3], 0, v[4:5]
	global_load_dwordx4 v[2:5], v[2:3], off
.LBB631_35:
	s_or_b64 exec, exec, s[0:1]
	v_or_b32_e32 v21, 1, v20
	v_cmp_gt_i32_e64 s[0:1], s45, v21
	v_mov_b32_e32 v7, 0
	v_mov_b32_e32 v8, 0
	;; [unrolled: 1-line block ×3, first 2 shown]
	s_and_saveexec_b64 s[2:3], s[0:1]
	s_cbranch_execz .LBB631_37
; %bb.36:
	v_mad_i64_i32 v[6:7], s[16:17], s19, v21, 0
	v_lshl_add_u64 v[6:7], v[6:7], 1, s[4:5]
	v_lshlrev_b32_e32 v8, 1, v18
	v_mov_b32_e32 v9, 0
	v_lshl_add_u64 v[6:7], v[6:7], 0, v[8:9]
	global_load_dwordx4 v[6:9], v[6:7], off
.LBB631_37:
	s_or_b64 exec, exec, s[2:3]
	v_mov_b32_e32 v17, 0
	v_mov_b32_e32 v10, 0
	;; [unrolled: 1-line block ×5, first 2 shown]
	s_and_saveexec_b64 s[2:3], vcc
	s_cbranch_execz .LBB631_39
; %bb.38:
	v_mad_i64_i32 v[10:11], s[16:17], s19, v20, 0
	v_lshl_add_u64 v[10:11], v[10:11], 1, s[4:5]
	v_lshlrev_b32_e32 v12, 1, v18
	v_mov_b32_e32 v13, 0
	v_lshl_add_u64 v[10:11], v[10:11], 0, v[12:13]
	global_load_dwordx4 v[10:13], v[10:11], off offset:128
.LBB631_39:
	s_or_b64 exec, exec, s[2:3]
	v_mov_b32_e32 v16, 0
	v_mov_b32_e32 v15, 0
	;; [unrolled: 1-line block ×3, first 2 shown]
	s_and_saveexec_b64 s[2:3], s[0:1]
	s_cbranch_execz .LBB631_41
; %bb.40:
	v_mad_i64_i32 v[14:15], s[0:1], s19, v21, 0
	v_lshl_add_u64 v[14:15], v[14:15], 1, s[4:5]
	v_lshlrev_b32_e32 v16, 1, v18
	v_mov_b32_e32 v17, 0
	v_lshl_add_u64 v[14:15], v[14:15], 0, v[16:17]
	global_load_dwordx4 v[14:17], v[14:15], off offset:128
.LBB631_41:
	s_or_b64 exec, exec, s[2:3]
	s_branch .LBB631_45
.LBB631_42:
                                        ; implicit-def: $vgpr5
                                        ; implicit-def: $vgpr9
                                        ; implicit-def: $vgpr13
                                        ; implicit-def: $vgpr17
	v_lshrrev_b32_e32 v37, 2, v43
	s_branch .LBB631_46
.LBB631_43:
                                        ; implicit-def: $vgpr5
                                        ; implicit-def: $vgpr9
                                        ; implicit-def: $vgpr13
                                        ; implicit-def: $vgpr17
	s_cbranch_execz .LBB631_45
; %bb.44:
	s_waitcnt vmcnt(0)
	v_mad_u64_u32 v[2:3], s[0:1], v20, s19, v[18:19]
	v_lshlrev_b32_e32 v20, 1, v2
	s_lshl_b32 s2, s19, 7
	s_and_b32 s1, s5, 0xffff
	s_mov_b32 s3, 0x20000
	s_mov_b32 s0, s4
	v_add_lshl_u32 v21, v2, s19, 1
	s_movk_i32 s13, 0x80
	buffer_load_dwordx4 v[2:5], v20, s[0:3], 0 offen
	buffer_load_dwordx4 v[10:13], v20, s[0:3], s13 offen
	;; [unrolled: 1-line block ×4, first 2 shown]
.LBB631_45:
	v_lshrrev_b32_e32 v37, 2, v43
	s_cbranch_execnz .LBB631_58
.LBB631_46:
	s_and_b64 vcc, exec, s[6:7]
	s_cbranch_vccz .LBB631_56
; %bb.47:
	s_waitcnt vmcnt(0)
	v_lshlrev_b32_e32 v7, 1, v35
	v_cmp_gt_i32_e32 vcc, s45, v7
	v_mov_b32_e32 v6, 0
	v_lshlrev_b32_e32 v14, 9, v35
	v_mov_b32_e32 v2, 0
	v_mov_b32_e32 v3, 0
	;; [unrolled: 1-line block ×4, first 2 shown]
	s_and_saveexec_b64 s[0:1], vcc
	s_cbranch_execz .LBB631_49
; %bb.48:
	v_mov_b32_e32 v15, 0
	v_lshl_add_u64 v[2:3], s[4:5], 0, v[14:15]
	v_lshlrev_b32_e32 v4, 1, v18
	v_mov_b32_e32 v5, v15
	v_lshl_add_u64 v[2:3], v[2:3], 0, v[4:5]
	global_load_dwordx4 v[2:5], v[2:3], off
.LBB631_49:
	s_or_b64 exec, exec, s[0:1]
	v_or_b32_e32 v7, 1, v7
	v_cmp_gt_i32_e64 s[0:1], s45, v7
	v_lshlrev_b32_e32 v20, 8, v7
	v_mov_b32_e32 v7, 0
	v_mov_b32_e32 v8, 0
	;; [unrolled: 1-line block ×3, first 2 shown]
	s_and_saveexec_b64 s[2:3], s[0:1]
	s_cbranch_execz .LBB631_51
; %bb.50:
	v_mov_b32_e32 v21, 0
	v_lshl_add_u64 v[6:7], s[4:5], 0, v[20:21]
	v_lshlrev_b32_e32 v8, 1, v18
	v_mov_b32_e32 v9, v21
	v_lshl_add_u64 v[6:7], v[6:7], 0, v[8:9]
	global_load_dwordx4 v[6:9], v[6:7], off
.LBB631_51:
	s_or_b64 exec, exec, s[2:3]
	v_mov_b32_e32 v17, 0
	v_mov_b32_e32 v10, 0
	;; [unrolled: 1-line block ×5, first 2 shown]
	s_and_saveexec_b64 s[2:3], vcc
	s_cbranch_execz .LBB631_53
; %bb.52:
	v_mov_b32_e32 v15, 0
	v_lshl_add_u64 v[10:11], s[4:5], 0, v[14:15]
	v_lshlrev_b32_e32 v14, 1, v18
	v_lshl_add_u64 v[10:11], v[10:11], 0, v[14:15]
	global_load_dwordx4 v[10:13], v[10:11], off offset:128
.LBB631_53:
	s_or_b64 exec, exec, s[2:3]
	v_mov_b32_e32 v16, 0
	v_mov_b32_e32 v15, 0
	;; [unrolled: 1-line block ×3, first 2 shown]
	s_and_saveexec_b64 s[2:3], s[0:1]
	s_cbranch_execz .LBB631_55
; %bb.54:
	v_mov_b32_e32 v21, 0
	v_lshl_add_u64 v[14:15], s[4:5], 0, v[20:21]
	v_lshlrev_b32_e32 v20, 1, v18
	v_lshl_add_u64 v[14:15], v[14:15], 0, v[20:21]
	global_load_dwordx4 v[14:17], v[14:15], off offset:128
.LBB631_55:
	s_or_b64 exec, exec, s[2:3]
	s_branch .LBB631_58
.LBB631_56:
                                        ; implicit-def: $vgpr5
                                        ; implicit-def: $vgpr9
                                        ; implicit-def: $vgpr13
                                        ; implicit-def: $vgpr17
	s_cbranch_execz .LBB631_58
; %bb.57:
	s_waitcnt vmcnt(0)
	v_lshlrev_b32_e32 v2, 1, v18
	v_lshl_or_b32 v18, v35, 9, v2
	s_and_b32 s5, s5, 0xffff
	s_mov_b32 s7, 0x20000
	s_movk_i32 s6, 0x4000
	s_movk_i32 s0, 0x80
	buffer_load_dwordx4 v[2:5], v18, s[4:7], 0 offen
	buffer_load_dwordx4 v[6:9], v18, s[4:7], 0 offen offset:256
	buffer_load_dwordx4 v[10:13], v18, s[4:7], s0 offen
	buffer_load_dwordx4 v[14:17], v18, s[4:7], s0 offen offset:256
.LBB631_58:
	ds_read2st64_b64 v[22:25], v19 offset0:76 offset1:77
	ds_read2st64_b64 v[18:21], v19 offset0:78 offset1:79
	ds_read_b64 v[32:33], v26 offset:24576
	ds_read_b64 v[30:31], v27 offset:24576
	;; [unrolled: 1-line block ×4, first 2 shown]
	v_and_b32_e32 v36, 6, v0
	v_xor_b32_e32 v35, v35, v36
	v_lshlrev_b32_e32 v35, 2, v35
	v_and_b32_e32 v0, 1, v0
	v_xor_b32_e32 v38, 0x440, v35
	v_cmp_eq_u32_e32 vcc, 0, v0
	s_mov_b32 s0, 0x1000504
	s_mov_b32 s1, 0x3020706
	v_cndmask_b32_e32 v0, v38, v35, vcc
	v_lshl_or_b32 v0, v36, 10, v0
	s_waitcnt vmcnt(0)
	v_perm_b32 v35, v2, v6, s0
	v_perm_b32 v36, v10, v14, s0
	ds_write2st64_b32 v0, v35, v36 offset1:32
	v_xor_b32_e32 v35, 8, v0
	v_perm_b32 v2, v2, v6, s1
	v_perm_b32 v6, v10, v14, s1
	v_add_u32_e32 v10, 0x80, v35
	ds_write2st64_b32 v10, v2, v6 offset1:32
	v_xor_b32_e32 v2, 16, v0
	v_perm_b32 v6, v3, v7, s0
	v_perm_b32 v10, v11, v15, s0
	ds_write2st64_b32 v2, v6, v10 offset0:1 offset1:33
	v_xor_b32_e32 v2, 24, v0
	v_perm_b32 v3, v3, v7, s1
	v_perm_b32 v6, v11, v15, s1
	v_add_u32_e32 v2, 0x80, v2
	ds_write2st64_b32 v2, v3, v6 offset0:1 offset1:33
	v_xor_b32_e32 v2, 32, v0
	v_perm_b32 v3, v4, v8, s0
	v_perm_b32 v6, v12, v16, s0
	ds_write2st64_b32 v2, v3, v6 offset0:2 offset1:34
	v_xor_b32_e32 v2, 40, v0
	v_perm_b32 v3, v4, v8, s1
	v_perm_b32 v4, v12, v16, s1
	v_add_u32_e32 v2, 0x80, v2
	ds_write2st64_b32 v2, v3, v4 offset0:2 offset1:34
	v_xor_b32_e32 v2, 48, v0
	v_perm_b32 v3, v5, v9, s0
	v_perm_b32 v4, v13, v17, s0
	v_xor_b32_e32 v0, 56, v0
	v_and_or_b32 v8, v37, 12, v42
	ds_write2st64_b32 v2, v3, v4 offset0:3 offset1:35
	v_perm_b32 v2, v5, v9, s1
	v_perm_b32 v3, v13, v17, s1
	v_add_u32_e32 v0, 0x80, v0
	v_cmp_gt_i32_e32 vcc, s45, v8
	v_mov_b32_e32 v9, 0
	v_mov_b32_e32 v14, 0
	ds_write2st64_b32 v0, v2, v3 offset0:3 offset1:35
	s_and_saveexec_b64 s[0:1], vcc
	s_cbranch_execz .LBB631_60
; %bb.59:
	v_add_u32_e32 v0, s38, v8
	v_ashrrev_i32_e32 v2, 31, v0
	v_mul_lo_u32 v4, v2, s34
	v_mul_lo_u32 v5, v0, s35
	v_mad_u64_u32 v[2:3], s[2:3], v0, s34, 0
	v_add3_u32 v3, v3, v5, v4
	v_lshl_add_u64 v[2:3], v[2:3], 2, s[10:11]
	global_load_dword v0, v[2:3], off
	s_waitcnt vmcnt(0)
	v_sub_f32_e32 v0, s12, v0
	v_mul_f32_e32 v0, 0x3fb8aa3b, v0
	v_exp_f32_e32 v14, v0
.LBB631_60:
	s_or_b64 exec, exec, s[0:1]
	v_or_b32_e32 v12, 1, v8
	v_cmp_gt_i32_e64 s[2:3], s45, v12
	s_and_saveexec_b64 s[0:1], s[2:3]
	s_cbranch_execz .LBB631_62
; %bb.61:
	v_add_u32_e32 v0, s38, v12
	v_ashrrev_i32_e32 v2, 31, v0
	v_mul_lo_u32 v4, v2, s34
	v_mul_lo_u32 v5, v0, s35
	v_mad_u64_u32 v[2:3], s[4:5], v0, s34, 0
	v_add3_u32 v3, v3, v5, v4
	v_lshl_add_u64 v[2:3], v[2:3], 2, s[10:11]
	global_load_dword v0, v[2:3], off
	s_waitcnt vmcnt(0)
	v_sub_f32_e32 v0, s12, v0
	v_mul_f32_e32 v0, 0x3fb8aa3b, v0
	v_exp_f32_e32 v9, v0
.LBB631_62:
	s_or_b64 exec, exec, s[0:1]
	v_or_b32_e32 v11, 2, v8
	v_cmp_gt_i32_e64 s[0:1], s45, v11
	v_mov_b32_e32 v10, 0
	v_mov_b32_e32 v15, 0
	s_and_saveexec_b64 s[4:5], s[0:1]
	s_cbranch_execz .LBB631_64
; %bb.63:
	v_add_u32_e32 v0, s38, v11
	v_ashrrev_i32_e32 v2, 31, v0
	v_mul_lo_u32 v4, v2, s34
	v_mul_lo_u32 v5, v0, s35
	v_mad_u64_u32 v[2:3], s[6:7], v0, s34, 0
	v_add3_u32 v3, v3, v5, v4
	v_lshl_add_u64 v[2:3], v[2:3], 2, s[10:11]
	global_load_dword v0, v[2:3], off
	s_waitcnt vmcnt(0)
	v_sub_f32_e32 v0, s12, v0
	v_mul_f32_e32 v0, 0x3fb8aa3b, v0
	v_exp_f32_e32 v15, v0
.LBB631_64:
	s_or_b64 exec, exec, s[4:5]
	v_or_b32_e32 v13, 3, v8
	v_cmp_gt_i32_e64 s[4:5], s45, v13
	s_and_saveexec_b64 s[6:7], s[4:5]
	s_cbranch_execz .LBB631_66
; %bb.65:
	v_add_u32_e32 v0, s38, v13
	v_ashrrev_i32_e32 v2, 31, v0
	v_mul_lo_u32 v4, v2, s34
	v_mul_lo_u32 v5, v0, s35
	v_mad_u64_u32 v[2:3], s[16:17], v0, s34, 0
	v_add3_u32 v3, v3, v5, v4
	v_lshl_add_u64 v[2:3], v[2:3], 2, s[10:11]
	global_load_dword v0, v[2:3], off
	s_waitcnt vmcnt(0)
	v_sub_f32_e32 v0, s12, v0
	v_mul_f32_e32 v0, 0x3fb8aa3b, v0
	v_exp_f32_e32 v10, v0
.LBB631_66:
	s_or_b64 exec, exec, s[6:7]
	s_waitcnt lgkmcnt(11)
	v_mfma_f32_16x16x16_bf16 a[0:3], v[32:33], v[22:23], a[0:3]
	v_or_b32_e32 v0, s36, v1
	s_add_u32 s6, s8, s28
	v_ashrrev_i32_e32 v1, 31, v0
	s_waitcnt lgkmcnt(10)
	v_mfma_f32_16x16x16_bf16 a[0:3], v[30:31], v[24:25], a[0:3]
	s_addc_u32 s7, s9, s29
	v_lshlrev_b64 v[0:1], 1, v[0:1]
	v_lshl_add_u64 v[4:5], s[6:7], 0, v[0:1]
	s_waitcnt lgkmcnt(9)
	v_mfma_f32_16x16x16_bf16 a[0:3], v[28:29], v[18:19], a[0:3]
	s_add_u32 s6, s14, s28
	s_addc_u32 s7, s15, s29
	v_lshl_add_u64 v[6:7], s[6:7], 0, v[0:1]
	s_waitcnt lgkmcnt(8)
	v_mfma_f32_16x16x16_bf16 a[0:3], v[26:27], v[20:21], a[0:3]
	v_mov_b32_e32 v16, 0
	v_mov_b32_e32 v17, 0
	s_nop 4
	v_accvgpr_read_b32 v0, a0
	v_accvgpr_read_b32 v1, a1
	;; [unrolled: 1-line block ×4, first 2 shown]
	s_and_saveexec_b64 s[6:7], vcc
	s_cbranch_execz .LBB631_68
; %bb.67:
	v_lshlrev_b32_e32 v18, 8, v8
	v_mov_b32_e32 v19, 0
	v_lshl_add_u64 v[20:21], v[4:5], 0, v[18:19]
	global_load_ushort v17, v[20:21], off
	v_lshl_add_u64 v[18:19], v[6:7], 0, v[18:19]
	s_waitcnt vmcnt(0)
	v_lshlrev_b32_e32 v17, 16, v17
	v_sub_f32_e32 v0, v17, v0
	global_store_short_d16_hi v[18:19], v0, off
	v_mul_f32_e32 v0, v14, v0
	v_lshrrev_b32_e32 v17, 16, v0
.LBB631_68:
	s_or_b64 exec, exec, s[6:7]
	s_and_saveexec_b64 s[6:7], s[2:3]
	s_cbranch_execz .LBB631_70
; %bb.69:
	v_lshlrev_b32_e32 v18, 8, v12
	v_mov_b32_e32 v19, 0
	v_lshl_add_u64 v[20:21], v[4:5], 0, v[18:19]
	global_load_ushort v0, v[20:21], off
	v_lshl_add_u64 v[18:19], v[6:7], 0, v[18:19]
	s_waitcnt vmcnt(0)
	v_lshlrev_b32_e32 v0, 16, v0
	v_sub_f32_e32 v0, v0, v1
	global_store_short_d16_hi v[18:19], v0, off
	v_mul_f32_e32 v0, v9, v0
	v_lshrrev_b32_e32 v16, 16, v0
.LBB631_70:
	s_or_b64 exec, exec, s[6:7]
	v_mov_b32_e32 v0, 0
	v_mov_b32_e32 v1, 0
	s_and_saveexec_b64 s[2:3], s[0:1]
	s_cbranch_execz .LBB631_72
; %bb.71:
	v_lshlrev_b32_e32 v18, 8, v11
	v_mov_b32_e32 v19, 0
	v_lshl_add_u64 v[20:21], v[4:5], 0, v[18:19]
	global_load_ushort v1, v[20:21], off
	v_lshl_add_u64 v[18:19], v[6:7], 0, v[18:19]
	s_waitcnt vmcnt(0)
	v_lshlrev_b32_e32 v1, 16, v1
	v_sub_f32_e32 v1, v1, v2
	global_store_short_d16_hi v[18:19], v1, off
	v_mul_f32_e32 v1, v15, v1
	v_lshrrev_b32_e32 v1, 16, v1
.LBB631_72:
	s_or_b64 exec, exec, s[2:3]
	s_and_saveexec_b64 s[0:1], s[4:5]
	s_cbranch_execz .LBB631_74
; %bb.73:
	v_lshlrev_b32_e32 v12, 8, v13
	v_mov_b32_e32 v13, 0
	v_lshl_add_u64 v[4:5], v[4:5], 0, v[12:13]
	global_load_ushort v0, v[4:5], off
	v_lshl_add_u64 v[4:5], v[6:7], 0, v[12:13]
	s_waitcnt vmcnt(0)
	v_lshlrev_b32_e32 v0, 16, v0
	v_sub_f32_e32 v0, v0, v3
	global_store_short_d16_hi v[4:5], v0, off
	v_mul_f32_e32 v0, v10, v0
	v_lshrrev_b32_e32 v0, 16, v0
.LBB631_74:
	s_or_b64 exec, exec, s[0:1]
	s_mov_b32 s0, 0x5040100
	v_lshlrev_b32_e32 v2, 1, v34
	v_perm_b32 v1, v0, v1, s0
	v_perm_b32 v0, v16, v17, s0
	v_lshl_or_b32 v2, v8, 5, v2
	ds_write_b64 v2, v[0:1] offset:38912
	s_waitcnt lgkmcnt(0)
	s_barrier
.LBB631_75:
	s_endpgm
	.section	.rodata,"a",@progbits
	.p2align	6, 0x0
	.amdhsa_kernel _ZN12_GLOBAL__N_139chunk_gated_delta_rule_fwd_h_hip_kernelILi16ELb0ELb0ELb1ELb1ELb0ELb0ELb0ELb1EEEvPK12hip_bfloat16S3_S3_PKfS5_PKvPS1_S8_PvPKiSB_iiiiilll
		.amdhsa_group_segment_fixed_size 40960
		.amdhsa_private_segment_fixed_size 0
		.amdhsa_kernarg_size 136
		.amdhsa_user_sgpr_count 2
		.amdhsa_user_sgpr_dispatch_ptr 0
		.amdhsa_user_sgpr_queue_ptr 0
		.amdhsa_user_sgpr_kernarg_segment_ptr 1
		.amdhsa_user_sgpr_dispatch_id 0
		.amdhsa_user_sgpr_kernarg_preload_length 0
		.amdhsa_user_sgpr_kernarg_preload_offset 0
		.amdhsa_user_sgpr_private_segment_size 0
		.amdhsa_uses_dynamic_stack 0
		.amdhsa_enable_private_segment 0
		.amdhsa_system_sgpr_workgroup_id_x 1
		.amdhsa_system_sgpr_workgroup_id_y 1
		.amdhsa_system_sgpr_workgroup_id_z 0
		.amdhsa_system_sgpr_workgroup_info 0
		.amdhsa_system_vgpr_workitem_id 0
		.amdhsa_next_free_vgpr 116
		.amdhsa_next_free_sgpr 62
		.amdhsa_accum_offset 108
		.amdhsa_reserve_vcc 1
		.amdhsa_float_round_mode_32 0
		.amdhsa_float_round_mode_16_64 0
		.amdhsa_float_denorm_mode_32 3
		.amdhsa_float_denorm_mode_16_64 3
		.amdhsa_dx10_clamp 1
		.amdhsa_ieee_mode 1
		.amdhsa_fp16_overflow 0
		.amdhsa_tg_split 0
		.amdhsa_exception_fp_ieee_invalid_op 0
		.amdhsa_exception_fp_denorm_src 0
		.amdhsa_exception_fp_ieee_div_zero 0
		.amdhsa_exception_fp_ieee_overflow 0
		.amdhsa_exception_fp_ieee_underflow 0
		.amdhsa_exception_fp_ieee_inexact 0
		.amdhsa_exception_int_div_zero 0
	.end_amdhsa_kernel
	.section	.text._ZN12_GLOBAL__N_139chunk_gated_delta_rule_fwd_h_hip_kernelILi16ELb0ELb0ELb1ELb1ELb0ELb0ELb0ELb1EEEvPK12hip_bfloat16S3_S3_PKfS5_PKvPS1_S8_PvPKiSB_iiiiilll,"axG",@progbits,_ZN12_GLOBAL__N_139chunk_gated_delta_rule_fwd_h_hip_kernelILi16ELb0ELb0ELb1ELb1ELb0ELb0ELb0ELb1EEEvPK12hip_bfloat16S3_S3_PKfS5_PKvPS1_S8_PvPKiSB_iiiiilll,comdat
.Lfunc_end631:
	.size	_ZN12_GLOBAL__N_139chunk_gated_delta_rule_fwd_h_hip_kernelILi16ELb0ELb0ELb1ELb1ELb0ELb0ELb0ELb1EEEvPK12hip_bfloat16S3_S3_PKfS5_PKvPS1_S8_PvPKiSB_iiiiilll, .Lfunc_end631-_ZN12_GLOBAL__N_139chunk_gated_delta_rule_fwd_h_hip_kernelILi16ELb0ELb0ELb1ELb1ELb0ELb0ELb0ELb1EEEvPK12hip_bfloat16S3_S3_PKfS5_PKvPS1_S8_PvPKiSB_iiiiilll
                                        ; -- End function
	.section	.AMDGPU.csdata,"",@progbits
; Kernel info:
; codeLenInByte = 7244
; NumSgprs: 68
; NumVgprs: 108
; NumAgprs: 8
; TotalNumVgprs: 116
; ScratchSize: 0
; MemoryBound: 0
; FloatMode: 240
; IeeeMode: 1
; LDSByteSize: 40960 bytes/workgroup (compile time only)
; SGPRBlocks: 8
; VGPRBlocks: 14
; NumSGPRsForWavesPerEU: 68
; NumVGPRsForWavesPerEU: 116
; AccumOffset: 108
; Occupancy: 1
; WaveLimiterHint : 1
; COMPUTE_PGM_RSRC2:SCRATCH_EN: 0
; COMPUTE_PGM_RSRC2:USER_SGPR: 2
; COMPUTE_PGM_RSRC2:TRAP_HANDLER: 0
; COMPUTE_PGM_RSRC2:TGID_X_EN: 1
; COMPUTE_PGM_RSRC2:TGID_Y_EN: 1
; COMPUTE_PGM_RSRC2:TGID_Z_EN: 0
; COMPUTE_PGM_RSRC2:TIDIG_COMP_CNT: 0
; COMPUTE_PGM_RSRC3_GFX90A:ACCUM_OFFSET: 26
; COMPUTE_PGM_RSRC3_GFX90A:TG_SPLIT: 0
	.section	.text._ZN12_GLOBAL__N_139chunk_gated_delta_rule_fwd_h_hip_kernelILi16ELb0ELb0ELb0ELb1ELb0ELb0ELb0ELb1EEEvPK12hip_bfloat16S3_S3_PKfS5_PKvPS1_S8_PvPKiSB_iiiiilll,"axG",@progbits,_ZN12_GLOBAL__N_139chunk_gated_delta_rule_fwd_h_hip_kernelILi16ELb0ELb0ELb0ELb1ELb0ELb0ELb0ELb1EEEvPK12hip_bfloat16S3_S3_PKfS5_PKvPS1_S8_PvPKiSB_iiiiilll,comdat
	.globl	_ZN12_GLOBAL__N_139chunk_gated_delta_rule_fwd_h_hip_kernelILi16ELb0ELb0ELb0ELb1ELb0ELb0ELb0ELb1EEEvPK12hip_bfloat16S3_S3_PKfS5_PKvPS1_S8_PvPKiSB_iiiiilll ; -- Begin function _ZN12_GLOBAL__N_139chunk_gated_delta_rule_fwd_h_hip_kernelILi16ELb0ELb0ELb0ELb1ELb0ELb0ELb0ELb1EEEvPK12hip_bfloat16S3_S3_PKfS5_PKvPS1_S8_PvPKiSB_iiiiilll
	.p2align	8
	.type	_ZN12_GLOBAL__N_139chunk_gated_delta_rule_fwd_h_hip_kernelILi16ELb0ELb0ELb0ELb1ELb0ELb0ELb0ELb1EEEvPK12hip_bfloat16S3_S3_PKfS5_PKvPS1_S8_PvPKiSB_iiiiilll,@function
_ZN12_GLOBAL__N_139chunk_gated_delta_rule_fwd_h_hip_kernelILi16ELb0ELb0ELb0ELb1ELb0ELb0ELb0ELb1EEEvPK12hip_bfloat16S3_S3_PKfS5_PKvPS1_S8_PvPKiSB_iiiiilll: ; @_ZN12_GLOBAL__N_139chunk_gated_delta_rule_fwd_h_hip_kernelILi16ELb0ELb0ELb0ELb1ELb0ELb0ELb0ELb1EEEvPK12hip_bfloat16S3_S3_PKfS5_PKvPS1_S8_PvPKiSB_iiiiilll
; %bb.0:
	s_load_dwordx4 s[12:15], s[0:1], 0x5c
	s_load_dwordx4 s[16:19], s[0:1], 0x70
	s_abs_i32 s21, s3
	s_ashr_i32 s20, s3, 31
	s_load_dwordx2 s[36:37], s[0:1], 0x30
	s_load_dwordx4 s[24:27], s[0:1], 0x48
	s_waitcnt lgkmcnt(0)
	s_abs_i32 s28, s13
	v_cvt_f32_u32_e32 v1, s28
	s_sub_i32 s22, 0, s28
	s_ashr_i32 s29, s13, 31
	s_xor_b32 s20, s20, s29
	v_rcp_iflag_f32_e32 v1, v1
	s_load_dwordx8 s[4:11], s[0:1], 0x0
	v_lshrrev_b32_e32 v42, 6, v0
	v_bfe_u32 v43, v0, 4, 2
	v_mul_f32_e32 v1, 0x4f7ffffe, v1
	v_cvt_u32_f32_e32 v1, v1
	v_lshlrev_b32_e32 v40, 4, v42
	v_lshlrev_b32_e32 v2, 2, v43
	v_and_b32_e32 v41, 63, v0
	v_readfirstlane_b32 s23, v1
	s_mul_i32 s22, s22, s23
	s_mul_hi_u32 s22, s23, s22
	s_add_i32 s23, s23, s22
	s_mul_hi_u32 s22, s21, s23
	s_mul_i32 s23, s22, s28
	s_sub_i32 s21, s21, s23
	s_add_i32 s30, s22, 1
	s_sub_i32 s23, s21, s28
	s_cmp_ge_u32 s21, s28
	s_cselect_b32 s22, s30, s22
	s_cselect_b32 s21, s23, s21
	s_add_i32 s23, s22, 1
	s_cmp_ge_u32 s21, s28
	s_cselect_b32 s21, s23, s22
	s_xor_b32 s21, s21, s20
	s_sub_i32 s20, s21, s20
	s_mul_i32 s21, s20, s13
	s_sub_i32 s33, s3, s21
	s_ashr_i32 s21, s20, 31
	s_lshl_b64 s[22:23], s[20:21], 2
	s_add_u32 s24, s24, s22
	s_addc_u32 s25, s25, s23
	s_add_u32 s22, s26, s22
	s_addc_u32 s23, s27, s23
	s_abs_i32 s3, s14
	v_cvt_f32_u32_e32 v1, s3
	s_load_dwordx2 s[34:35], s[24:25], 0x0
	s_sub_i32 s25, 0, s3
	s_load_dword s45, s[22:23], 0x0
	v_rcp_iflag_f32_e32 v1, v1
	v_or_b32_e32 v47, v2, v40
	s_waitcnt lgkmcnt(0)
	s_sub_i32 s43, s35, s34
	s_ashr_i32 s24, s43, 31
	v_mul_f32_e32 v1, 0x4f7ffffe, v1
	v_cvt_u32_f32_e32 v1, v1
	s_lshr_b32 s24, s24, 26
	s_add_i32 s24, s43, s24
	s_ashr_i32 s44, s24, 6
	v_readfirstlane_b32 s26, v1
	s_mul_i32 s25, s25, s26
	s_mul_hi_u32 s25, s26, s25
	s_add_i32 s26, s26, s25
	s_mul_hi_u32 s25, s28, s26
	s_mul_i32 s26, s25, s3
	s_ashr_i32 s24, s14, 31
	s_sub_i32 s26, s28, s26
	s_xor_b32 s24, s29, s24
	s_add_i32 s27, s25, 1
	s_sub_i32 s28, s26, s3
	s_cmp_ge_u32 s26, s3
	s_cselect_b32 s25, s27, s25
	s_cselect_b32 s26, s28, s26
	s_add_i32 s27, s25, 1
	s_cmp_ge_u32 s26, s3
	s_cselect_b32 s3, s27, s25
	s_xor_b32 s3, s3, s24
	s_sub_i32 s3, s3, s24
	s_abs_i32 s24, s3
	v_cvt_f32_u32_e32 v1, s24
	s_load_dwordx2 s[28:29], s[0:1], 0x80
	s_xor_b32 s0, s33, s3
	s_sub_i32 s3, 0, s24
	v_rcp_iflag_f32_e32 v1, v1
	s_abs_i32 s1, s33
	s_ashr_i32 s0, s0, 31
	v_or_b32_e32 v46, 64, v47
	v_mul_f32_e32 v1, 0x4f7ffffe, v1
	v_cvt_u32_f32_e32 v1, v1
	v_mov_b32_e32 v3, 0
	s_mul_hi_i32 s46, s33, s12
	s_mul_i32 s47, s33, s12
	v_readfirstlane_b32 s22, v1
	s_mul_i32 s3, s3, s22
	s_mul_hi_u32 s3, s22, s3
	s_add_i32 s22, s22, s3
	s_mul_hi_u32 s3, s1, s22
	s_mul_i32 s22, s3, s24
	s_sub_i32 s1, s1, s22
	s_add_i32 s22, s3, 1
	s_sub_i32 s23, s1, s24
	s_cmp_ge_u32 s1, s24
	s_cselect_b32 s3, s22, s3
	s_cselect_b32 s1, s23, s1
	s_add_i32 s22, s3, 1
	s_cmp_ge_u32 s1, s24
	s_cselect_b32 s1, s22, s3
	s_xor_b32 s1, s1, s0
	s_sub_i32 s49, s1, s0
	s_lshl_b32 s30, s2, 4
	v_and_b32_e32 v1, 15, v0
	s_cmp_lt_i32 s43, 64
	v_lshrrev_b32_e32 v45, 3, v41
	v_lshlrev_b32_e32 v44, 3, v0
	s_mul_i32 s40, s20, s17
	s_mul_hi_u32 s41, s20, s16
	s_mul_i32 s42, s21, s16
	s_mul_i32 s16, s20, s16
	v_mov_b32_e32 v63, 0
	v_mov_b32_e32 v34, 0
	;; [unrolled: 1-line block ×7, first 2 shown]
	s_cbranch_scc1 .LBB632_18
; %bb.1:
	s_ashr_i32 s51, s33, 31
	s_ashr_i32 s1, s34, 31
	s_add_u32 s0, s47, s34
	s_addc_u32 s1, s46, s1
	s_lshl_b64 s[0:1], s[0:1], 8
	v_and_b32_e32 v49, 56, v44
	s_add_u32 s0, s6, s0
	v_lshl_or_b32 v48, v42, 3, v45
	v_lshlrev_b32_e32 v3, 1, v49
	s_addc_u32 s1, s7, s1
	v_lshl_or_b32 v50, v48, 8, v3
	s_and_b32 s1, s1, 0xffff
	s_mov_b32 s3, 0x20000
	s_movk_i32 s2, 0x4000
	s_movk_i32 s17, 0x80
	v_or_b32_e32 v51, 0x2000, v50
	buffer_load_dwordx4 v[4:7], v50, s[0:3], 0 offen
	buffer_load_dwordx4 v[8:11], v50, s[0:3], s17 offen
	;; [unrolled: 1-line block ×4, first 2 shown]
	v_lshlrev_b32_e32 v20, 3, v48
	v_and_or_b32 v22, v0, 7, v20
	v_and_b32_e32 v20, 0x78, v20
	v_lshlrev_b32_e32 v22, 4, v22
	v_xor_b32_e32 v52, v22, v20
	v_mul_lo_u32 v21, v48, s15
	v_or_b32_e32 v53, 0x1000, v52
	s_cmpk_eq_i32 s15, 0x80
	s_mov_b32 s48, s13
	s_mov_b32 s50, s34
	v_xor_b32_e32 v20, 8, v52
	v_xor_b32_e32 v22, 8, v53
	s_cselect_b64 s[0:1], -1, 0
	s_cmpk_lg_i32 s15, 0x80
	s_waitcnt vmcnt(3)
	ds_write_b64 v52, v[4:5] offset:16384
	ds_write_b64 v20, v[6:7] offset:16384
	s_waitcnt vmcnt(2)
	ds_write_b64 v52, v[8:9] offset:24576
	ds_write_b64 v20, v[10:11] offset:24576
	;; [unrolled: 3-line block ×4, first 2 shown]
	v_lshl_add_u32 v4, v21, 1, v49
	s_cbranch_scc0 .LBB632_3
; %bb.2:
	v_lshlrev_b32_e32 v6, 1, v4
	v_add_lshl_u32 v5, v4, s15, 1
	s_lshl_b32 s22, s15, 7
	v_lshl_or_b32 v3, v48, 9, v3
	s_cbranch_execz .LBB632_4
	s_branch .LBB632_5
.LBB632_3:
                                        ; implicit-def: $vgpr5
                                        ; implicit-def: $vgpr6
                                        ; implicit-def: $sgpr22
	v_lshl_or_b32 v3, v48, 9, v3
.LBB632_4:
	v_or_b32_e32 v5, 0x100, v3
	s_movk_i32 s22, 0x4000
	v_mov_b32_e32 v6, v3
.LBB632_5:
	s_mul_i32 s2, s34, s14
	s_ashr_i32 s52, s49, 31
	s_mul_hi_i32 s3, s34, s14
	s_add_u32 s2, s2, s49
	s_addc_u32 s3, s3, s52
	s_lshl_b64 s[2:3], s[2:3], 8
	s_add_u32 s20, s4, s2
	s_addc_u32 s2, s5, s3
	s_and_b32 s21, s2, 0xffff
	s_mov_b32 s23, 0x20000
	s_movk_i32 s53, 0x80
	buffer_load_dwordx4 v[8:11], v6, s[20:23], 0 offen
	buffer_load_dwordx4 v[12:15], v6, s[20:23], s53 offen
	buffer_load_dwordx4 v[16:19], v5, s[20:23], 0 offen
	buffer_load_dwordx4 v[20:23], v5, s[20:23], s53 offen
	v_and_b32_e32 v5, 6, v0
	v_lshlrev_b32_e32 v7, 2, v1
	v_lshlrev_b32_e32 v24, 3, v1
	v_xor_b32_e32 v26, v48, v5
	v_and_b32_e32 v6, 1, v0
	v_lshl_or_b32 v24, v47, 5, v24
	v_xor_b32_e32 v27, v47, v7
	v_lshlrev_b32_e32 v26, 2, v26
	s_mul_i32 s3, s33, s19
	s_mul_hi_u32 s17, s33, s18
	v_or_b32_e32 v54, 0x9000, v24
	v_or_b32_e32 v55, 0x9800, v24
	v_lshlrev_b32_e32 v24, 1, v27
	v_xor_b32_e32 v27, 0x440, v26
	v_cmp_eq_u32_e32 vcc, 0, v6
	s_add_i32 s21, s41, s40
	s_mul_i32 s20, s51, s18
	v_cndmask_b32_e32 v6, v27, v26, vcc
	s_add_i32 s3, s17, s3
	s_add_i32 s17, s21, s42
	s_mov_b32 s54, 0x1000504
	v_lshlrev_b32_e32 v25, 8, v1
	s_mov_b32 s22, 0x8000
	v_xor_b32_e32 v7, v46, v7
	v_lshl_or_b32 v5, v5, 10, v6
	s_add_i32 s3, s3, s20
	s_lshl_b64 s[20:21], s[16:17], 2
	s_mov_b32 s55, 0x3020706
	s_mul_i32 s2, s33, s18
	v_lshlrev_b32_e32 v7, 1, v7
	v_or3_b32 v56, v24, v25, s22
	v_xor_b32_e32 v6, 8, v5
	v_xor_b32_e32 v24, 24, v5
	;; [unrolled: 1-line block ×4, first 2 shown]
	s_add_u32 s17, s10, s20
	v_or3_b32 v57, v7, v25, s22
	v_xor_b32_e32 v7, 16, v5
	v_xor_b32_e32 v25, 32, v5
	;; [unrolled: 1-line block ×3, first 2 shown]
	v_add_u32_e32 v6, 0x80, v6
	v_add_u32_e32 v24, 0x80, v24
	;; [unrolled: 1-line block ×4, first 2 shown]
	s_addc_u32 s20, s11, s21
	s_lshl_b64 s[2:3], s[2:3], 2
	s_add_u32 s2, s17, s2
	s_movk_i32 s17, 0xf8
	s_addc_u32 s3, s20, s3
	s_ashr_i32 s31, s30, 31
	s_lshl_b32 s26, s15, 7
	s_lshl_b64 s[20:21], s[30:31], 8
	s_add_u32 s20, s36, s20
	s_addc_u32 s21, s37, s21
	v_mov_b32_e32 v35, 0
	s_mov_b32 s56, 0
	v_add_u32_e32 v76, v40, v2
	v_mov_b32_e32 v77, 0x3fb8aa3b
	v_mov_b32_e32 v65, v35
	;; [unrolled: 1-line block ×7, first 2 shown]
	s_waitcnt vmcnt(1)
	v_perm_b32 v29, v8, v16, s54
	s_waitcnt vmcnt(0)
	v_perm_b32 v30, v12, v20, s54
	v_perm_b32 v8, v8, v16, s55
	;; [unrolled: 1-line block ×15, first 2 shown]
	ds_write2st64_b32 v5, v29, v30 offset1:32
	ds_write2st64_b32 v6, v8, v12 offset1:32
	ds_write2st64_b32 v7, v16, v20 offset0:1 offset1:33
	ds_write2st64_b32 v24, v9, v13 offset0:1 offset1:33
	;; [unrolled: 1-line block ×6, first 2 shown]
	v_or_b32_e32 v5, v40, v1
	v_lshlrev_b32_e32 v5, 3, v5
	v_lshrrev_b32_e32 v7, 5, v41
	v_and_or_b32 v7, v5, s17, v7
	v_lshlrev_b32_e32 v7, 4, v7
	v_lshlrev_b32_e32 v8, 11, v42
	v_and_b32_e32 v5, 0x78, v5
	v_or_b32_e32 v12, 32, v7
	v_and_b32_e32 v6, 0x1000, v8
	v_lshrrev_b32_e32 v10, 1, v0
	v_xor_b32_e32 v12, v12, v5
	v_and_b32_e32 v11, 8, v10
	v_or_b32_e32 v12, v12, v6
	v_xor_b32_e32 v9, v7, v5
	v_xor_b32_e32 v60, v12, v11
	v_or_b32_e32 v12, 64, v7
	v_or_b32_e32 v7, 0x60, v7
	v_or_b32_e32 v9, v9, v6
	v_xor_b32_e32 v12, v12, v5
	v_xor_b32_e32 v5, v7, v5
	;; [unrolled: 1-line block ×3, first 2 shown]
	v_and_b32_e32 v9, 0x78, v44
	v_or_b32_e32 v5, v5, v6
	v_lshl_or_b32 v9, v43, 7, v9
	v_or_b32_e32 v12, v12, v6
	v_xor_b32_e32 v64, v5, v11
	v_lshlrev_b32_e32 v5, 1, v1
	v_or_b32_e32 v59, 0x9000, v9
	v_xor_b32_e32 v61, v12, v11
	v_or_b32_e32 v66, 0x9800, v9
	v_lshlrev_b32_e32 v9, 1, v4
	v_add_lshl_u32 v11, v4, s15, 1
	v_lshrrev_b32_e32 v4, 4, v0
	v_or_b32_e32 v13, 1, v5
	v_xor_b32_e32 v5, v4, v5
	v_xor_b32_e32 v13, v13, v4
	v_lshlrev_b32_e32 v5, 3, v5
	v_lshlrev_b32_e32 v34, 8, v4
	;; [unrolled: 1-line block ×3, first 2 shown]
	v_or3_b32 v68, v5, v34, s22
	v_or3_b32 v69, v4, v34, s22
	v_lshl_add_u64 v[4:5], s[20:21], 0, v[34:35]
	v_lshlrev_b32_e32 v34, 4, v1
	s_movk_i32 s17, 0xff
	v_lshlrev_b32_e32 v15, 3, v42
	v_and_b32_e32 v10, 24, v10
	v_lshl_add_u64 v[36:37], v[4:5], 0, v[34:35]
	v_and_b32_e32 v5, 8, v0
	v_cmp_lt_u32_e32 vcc, s17, v0
	v_xor_b32_e32 v16, v15, v10
	v_or_b32_e32 v17, 0x440, v16
	v_cndmask_b32_e64 v14, 0, 1, vcc
	v_cmp_eq_u32_e32 vcc, 0, v5
	v_and_b32_e32 v4, 7, v0
	v_lshlrev_b32_e32 v13, 3, v4
	v_cndmask_b32_e32 v5, v17, v16, vcc
	v_lshlrev_b32_e32 v4, 7, v4
	v_or_b32_e32 v5, v5, v8
	v_xad_u32 v70, v5, v13, v4
	v_or_b32_e32 v5, 32, v10
	v_xor_b32_e32 v5, v15, v5
	v_or_b32_e32 v16, 0x440, v5
	v_cndmask_b32_e32 v5, v16, v5, vcc
	v_or_b32_e32 v5, v5, v8
	v_xad_u32 v71, v5, v13, v4
	v_or_b32_e32 v5, 64, v10
	v_xor_b32_e32 v5, v15, v5
	v_xor_b32_e32 v16, 0x440, v5
	v_cndmask_b32_e32 v5, v16, v5, vcc
	v_or_b32_e32 v5, v5, v8
	v_xad_u32 v72, v5, v13, v4
	v_or_b32_e32 v5, 0x60, v10
	v_xor_b32_e32 v5, v15, v5
	v_xor_b32_e32 v10, 0x440, v5
	v_or_b32_e32 v6, s30, v1
	v_cndmask_b32_e32 v5, v10, v5, vcc
	v_ashrrev_i32_e32 v7, 31, v6
	v_or_b32_e32 v5, v5, v8
	v_lshl_add_u64 v[6:7], v[6:7], 1, s[8:9]
	v_or_b32_e32 v12, 0x100, v3
	v_lshlrev_b32_e32 v14, 13, v14
	v_xad_u32 v73, v5, v13, v4
	v_lshlrev_b32_e32 v34, 8, v47
	v_cndmask_b32_e64 v74, v9, v3, s[0:1]
	v_cndmask_b32_e64 v75, v11, v12, s[0:1]
	v_lshl_add_u64 v[38:39], v[6:7], 0, v[34:35]
	s_mov_b32 s17, 0x7060302
	s_movk_i32 s22, 0x4000
	v_add_u32_e32 v78, v14, v70
	v_add_u32_e32 v79, v14, v71
	;; [unrolled: 1-line block ×4, first 2 shown]
	v_mov_b32_e32 v34, v35
	s_waitcnt lgkmcnt(0)
	s_barrier
.LBB632_6:                              ; =>This Inner Loop Header: Depth=1
	s_add_i32 s31, s56, 1
	s_cmp_lt_i32 s31, s44
	s_mov_b64 s[24:25], 0
	s_cselect_b64 s[38:39], -1, 0
	s_cmp_ge_i32 s31, s44
	s_mov_b64 s[20:21], 0
	s_cbranch_scc1 .LBB632_8
; %bb.7:                                ;   in Loop: Header=BB632_6 Depth=1
	s_add_i32 s0, s50, 64
	s_ashr_i32 s1, s0, 31
	s_add_u32 s0, s47, s0
	s_addc_u32 s1, s46, s1
	s_lshl_b64 s[0:1], s[0:1], 8
	s_add_u32 s20, s6, s0
	s_addc_u32 s21, s7, s1
.LBB632_8:                              ;   in Loop: Header=BB632_6 Depth=1
	v_cndmask_b32_e64 v2, 0, 1, s[38:39]
	v_cmp_ne_u32_e64 s[0:1], 1, v2
	s_andn2_b64 vcc, exec, s[38:39]
	s_cbranch_vccnz .LBB632_10
; %bb.9:                                ;   in Loop: Header=BB632_6 Depth=1
	s_add_i32 s24, s50, 64
	s_mul_hi_i32 s25, s24, s14
	s_mul_i32 s24, s24, s14
	s_add_u32 s24, s24, s49
	s_addc_u32 s25, s25, s52
	s_lshl_b64 s[24:25], s[24:25], 8
	s_add_u32 s24, s4, s24
	s_addc_u32 s25, s5, s25
.LBB632_10:                             ;   in Loop: Header=BB632_6 Depth=1
	v_perm_b32 v3, v83, v67, s17
	v_perm_b32 v2, v65, v35, s17
	;; [unrolled: 1-line block ×4, first 2 shown]
	ds_write_b64 v54, v[2:3]
	ds_write_b64 v55, v[4:5]
	ds_write_b64 v56, v[2:3]
	ds_write_b64 v57, v[4:5]
	s_waitcnt lgkmcnt(0)
	s_barrier
	ds_read_b64 v[10:11], v58 offset:16384
	ds_read_b64 v[12:13], v60 offset:16384
	ds_read2st64_b64 v[2:5], v59 offset1:1
	s_waitcnt lgkmcnt(0)
	v_mfma_f32_16x16x16_bf16 a[0:3], v[10:11], v[2:3], 0
	ds_read2st64_b64 v[6:9], v59 offset0:2 offset1:3
	ds_read_b64 v[14:15], v61 offset:16384
	ds_read_b64 v[2:3], v64 offset:16384
	s_add_i32 s27, s50, 63
	v_mfma_f32_16x16x16_bf16 a[0:3], v[12:13], v[4:5], a[0:3]
	s_ashr_i32 s38, s27, 31
	s_mul_i32 s39, s27, s29
	s_mul_hi_u32 s57, s27, s28
	s_waitcnt lgkmcnt(1)
	v_mfma_f32_16x16x16_bf16 a[0:3], v[14:15], v[6:7], a[0:3]
	s_add_i32 s39, s57, s39
	s_mul_i32 s38, s38, s28
	s_add_i32 s39, s39, s38
	s_mul_i32 s38, s27, s28
	s_waitcnt lgkmcnt(0)
	v_mfma_f32_16x16x16_bf16 a[0:3], v[2:3], v[8:9], a[0:3]
	s_lshl_b64 s[38:39], s[38:39], 2
	s_add_u32 s38, s2, s38
	s_addc_u32 s39, s3, s39
	s_and_b64 vcc, exec, s[0:1]
	v_mov_b32_e32 v86, 0
	v_mov_b32_e32 v85, 0
	;; [unrolled: 1-line block ×19, first 2 shown]
	s_cbranch_vccnz .LBB632_12
; %bb.11:                               ;   in Loop: Header=BB632_6 Depth=1
	s_and_b32 s21, s21, 0xffff
	buffer_load_dwordx4 v[14:17], v50, s[20:23], 0 offen
	buffer_load_dwordx4 v[10:13], v50, s[20:23], s53 offen
	;; [unrolled: 1-line block ×4, first 2 shown]
	v_mov_b32_e32 v85, v52
	v_mov_b32_e32 v84, v53
.LBB632_12:                             ;   in Loop: Header=BB632_6 Depth=1
	s_waitcnt vmcnt(3)
	v_add_u32_e32 v22, s50, v76
	s_waitcnt vmcnt(1)
	v_ashrrev_i32_e32 v18, 31, v22
	v_mul_lo_u32 v20, v18, s28
	v_mul_lo_u32 v21, v22, s29
	v_mad_u64_u32 v[18:19], s[20:21], v22, s28, 0
	v_add3_u32 v19, v19, v21, v20
	v_lshl_add_u64 v[18:19], v[18:19], 2, s[2:3]
	global_load_dword v92, v[18:19], off
	v_add_u32_e32 v18, 1, v22
	v_ashrrev_i32_e32 v19, 31, v18
	v_mul_lo_u32 v20, v19, s28
	v_mul_lo_u32 v21, v18, s29
	v_mad_u64_u32 v[18:19], s[20:21], v18, s28, 0
	v_add3_u32 v19, v19, v21, v20
	v_add_u32_e32 v20, 2, v22
	v_ashrrev_i32_e32 v21, 31, v20
	v_mul_lo_u32 v23, v21, s28
	v_mul_lo_u32 v24, v20, s29
	v_mad_u64_u32 v[20:21], s[20:21], v20, s28, 0
	v_add_u32_e32 v22, 3, v22
	v_add3_u32 v21, v21, v24, v23
	v_ashrrev_i32_e32 v23, 31, v22
	v_mul_lo_u32 v26, v23, s28
	v_mul_lo_u32 v27, v22, s29
	v_mad_u64_u32 v[22:23], s[20:21], v22, s28, 0
	s_ashr_i32 s21, s50, 31
	s_add_u32 s20, s47, s50
	s_addc_u32 s21, s46, s21
	s_lshl_b64 s[20:21], s[20:21], 8
	v_lshl_add_u64 v[18:19], v[18:19], 2, s[2:3]
	v_lshl_add_u64 v[24:25], v[38:39], 0, s[20:21]
	v_add3_u32 v23, v23, v27, v26
	v_lshl_add_u64 v[20:21], v[20:21], 2, s[2:3]
	global_load_ushort v93, v[24:25], off
	global_load_ushort v94, v[24:25], off offset:256
	global_load_ushort v95, v[24:25], off offset:512
	global_load_ushort v96, v[24:25], off offset:768
	v_lshl_add_u64 v[22:23], v[22:23], 2, s[2:3]
	global_load_dword v97, v[18:19], off
	global_load_dword v98, v[20:21], off
	;; [unrolled: 1-line block ×3, first 2 shown]
	s_load_dword s20, s[38:39], 0x0
	ds_read_b64 v[26:27], v58 offset:24576
	ds_read2st64_b64 v[22:25], v66 offset1:1
	ds_read2st64_b64 v[28:31], v66 offset0:2 offset1:3
	ds_read_b64 v[32:33], v60 offset:24576
	ds_read_b64 v[88:89], v61 offset:24576
	ds_read_b64 v[90:91], v64 offset:24576
	s_waitcnt lgkmcnt(0)
	v_mfma_f32_16x16x16_bf16 a[0:3], v[26:27], v[22:23], a[0:3]
	v_mov_b32_e32 v87, 0
	v_mov_b32_e32 v18, 0
	v_mov_b32_e32 v19, 0
	v_mfma_f32_16x16x16_bf16 a[0:3], v[32:33], v[24:25], a[0:3]
	v_mov_b32_e32 v20, 0
	v_mov_b32_e32 v21, 0
	v_mov_b32_e32 v22, 0
	;; [unrolled: 4-line block ×4, first 2 shown]
	s_and_b64 vcc, exec, s[0:1]
	s_waitcnt vmcnt(7)
	v_sub_f32_e32 v29, s20, v92
	v_mul_f32_e32 v29, 0x3fb8aa3b, v29
	v_exp_f32_e32 v92, v29
	v_accvgpr_read_b32 v33, a1
	v_accvgpr_read_b32 v31, a3
	;; [unrolled: 1-line block ×4, first 2 shown]
	s_waitcnt vmcnt(6)
	v_lshlrev_b32_e32 v88, 16, v93
	s_waitcnt vmcnt(5)
	v_lshlrev_b32_e32 v89, 16, v94
	;; [unrolled: 2-line block ×3, first 2 shown]
	s_waitcnt vmcnt(2)
	v_sub_f32_e32 v93, s20, v97
	s_waitcnt vmcnt(1)
	v_sub_f32_e32 v94, s20, v98
	;; [unrolled: 2-line block ×3, first 2 shown]
	v_mul_f32_e32 v29, 0x3fb8aa3b, v93
	v_mul_f32_e32 v94, 0x3fb8aa3b, v94
	;; [unrolled: 1-line block ×3, first 2 shown]
	v_exp_f32_e32 v93, v29
	v_exp_f32_e32 v94, v94
	;; [unrolled: 1-line block ×3, first 2 shown]
	v_lshlrev_b32_e32 v91, 16, v96
	v_pk_add_f32 v[32:33], v[88:89], v[32:33] neg_lo:[0,1] neg_hi:[0,1]
	v_pk_add_f32 v[30:31], v[90:91], v[30:31] neg_lo:[0,1] neg_hi:[0,1]
	v_pk_mul_f32 v[32:33], v[92:93], v[32:33]
	v_pk_mul_f32 v[30:31], v[94:95], v[30:31]
	v_mov_b32_e32 v29, 0
	v_perm_b32 v31, v31, v30, s17
	v_perm_b32 v30, v33, v32, s17
	ds_write_b64 v55, v[30:31]
	v_mov_b32_e32 v30, 0
	v_mov_b32_e32 v31, 0
	v_mov_b32_e32 v32, 0
	v_mov_b32_e32 v33, 0
	s_cbranch_vccnz .LBB632_14
; %bb.13:                               ;   in Loop: Header=BB632_6 Depth=1
	s_and_b32 s25, s25, 0xffff
	s_mov_b32 s27, s23
	buffer_load_dwordx4 v[30:33], v74, s[24:27], 0 offen
	buffer_load_dwordx4 v[22:25], v74, s[24:27], s53 offen
	;; [unrolled: 1-line block ×4, first 2 shown]
	v_mov_b32_e32 v86, v49
	v_mov_b32_e32 v87, v48
.LBB632_14:                             ;   in Loop: Header=BB632_6 Depth=1
	s_waitcnt lgkmcnt(0)
	s_barrier
	ds_read_b64 v[96:97], v78
	ds_read2st64_b64 v[88:91], v66 offset1:1
	ds_read2st64_b64 v[92:95], v66 offset0:2 offset1:3
	ds_read_b64 v[98:99], v79
	ds_read_b64 v[100:101], v80
	;; [unrolled: 1-line block ×3, first 2 shown]
	s_waitcnt lgkmcnt(4)
	v_mfma_f32_16x16x16_bf16 a[0:3], v[96:97], v[88:89], 0
	ds_read_b64 v[96:97], v70 offset:8192
	ds_read_b64 v[104:105], v71 offset:8192
	s_add_i32 s21, s45, s56
	s_mul_hi_i32 s25, s21, s48
	s_waitcnt lgkmcnt(1)
	v_mfma_f32_16x16x16_bf16 a[4:7], v[96:97], v[88:89], 0
	s_mul_i32 s21, s21, s48
	s_add_u32 s24, s21, s33
	s_addc_u32 s25, s25, s51
	v_mfma_f32_16x16x16_bf16 a[0:3], v[98:99], v[90:91], a[0:3]
	ds_read_b64 v[96:97], v68
	ds_read_b64 v[98:99], v69
	ds_read_b64 v[88:89], v72 offset:8192
	s_lshl_b64 s[24:25], s[24:25], 15
	v_mfma_f32_16x16x16_bf16 a[0:3], v[100:101], v[92:93], a[0:3]
	ds_read_b64 v[100:101], v73 offset:8192
	s_and_b64 vcc, exec, s[0:1]
	s_waitcnt lgkmcnt(4)
	v_mfma_f32_16x16x16_bf16 a[4:7], v[104:105], v[90:91], a[4:7]
	s_waitcnt lgkmcnt(1)
	v_mfma_f32_16x16x16_bf16 a[4:7], v[88:89], v[92:93], a[4:7]
	v_lshl_add_u64 v[88:89], v[36:37], 0, s[24:25]
	global_store_dwordx4 v[88:89], v[96:99], off
	v_mfma_f32_16x16x16_bf16 a[0:3], v[102:103], v[94:95], a[0:3]
	s_waitcnt lgkmcnt(0)
	v_mfma_f32_16x16x16_bf16 a[4:7], v[100:101], v[94:95], a[4:7]
	s_cbranch_vccnz .LBB632_16
; %bb.15:                               ;   in Loop: Header=BB632_6 Depth=1
	v_lshrrev_b32_e32 v88, 3, v86
	v_and_b32_e32 v88, 6, v88
	v_xor_b32_e32 v87, v88, v87
	v_lshlrev_b32_e32 v87, 2, v87
	v_and_b32_e32 v86, 8, v86
	v_xor_b32_e32 v89, 0x440, v87
	v_cmp_eq_u32_e32 vcc, 0, v86
	s_barrier
	s_nop 0
	v_cndmask_b32_e32 v86, v89, v87, vcc
	v_lshl_or_b32 v86, v88, 10, v86
	s_waitcnt vmcnt(2)
	v_perm_b32 v87, v30, v26, s54
	s_waitcnt vmcnt(1)
	v_perm_b32 v88, v22, v18, s54
	ds_write2st64_b32 v86, v87, v88 offset1:32
	v_xor_b32_e32 v87, 8, v86
	v_perm_b32 v26, v30, v26, s55
	v_perm_b32 v18, v22, v18, s55
	v_add_u32_e32 v22, 0x80, v87
	ds_write2st64_b32 v22, v26, v18 offset1:32
	v_xor_b32_e32 v18, 16, v86
	v_perm_b32 v22, v31, v27, s54
	v_perm_b32 v26, v23, v19, s54
	ds_write2st64_b32 v18, v22, v26 offset0:1 offset1:33
	v_xor_b32_e32 v18, 24, v86
	v_perm_b32 v22, v31, v27, s55
	v_perm_b32 v19, v23, v19, s55
	v_add_u32_e32 v18, 0x80, v18
	ds_write2st64_b32 v18, v22, v19 offset0:1 offset1:33
	v_xor_b32_e32 v18, 32, v86
	v_perm_b32 v19, v32, v28, s54
	v_perm_b32 v22, v24, v20, s54
	ds_write2st64_b32 v18, v19, v22 offset0:2 offset1:34
	v_xor_b32_e32 v18, 40, v86
	v_perm_b32 v19, v32, v28, s55
	v_perm_b32 v20, v24, v20, s55
	v_add_u32_e32 v18, 0x80, v18
	ds_write2st64_b32 v18, v19, v20 offset0:2 offset1:34
	;; [unrolled: 9-line block ×3, first 2 shown]
	ds_write_b64 v85, v[14:15] offset:16384
	v_xor_b32_e32 v14, 8, v85
	ds_write_b64 v14, v[16:17] offset:16384
	ds_write_b64 v85, v[10:11] offset:24576
	;; [unrolled: 1-line block ×4, first 2 shown]
	v_xor_b32_e32 v6, 8, v84
	ds_write_b64 v6, v[8:9] offset:16384
	ds_write_b64 v84, v[2:3] offset:24576
	;; [unrolled: 1-line block ×3, first 2 shown]
.LBB632_16:                             ;   in Loop: Header=BB632_6 Depth=1
	v_mul_f32_e32 v2, s20, v77
	v_exp_f32_e32 v2, v2
	s_nop 1
	v_accvgpr_read_b32 v3, a0
	v_accvgpr_read_b32 v4, a1
	s_add_i32 s50, s50, 64
	v_fma_f32 v35, v35, v2, v3
	v_accvgpr_read_b32 v3, a2
	v_fma_f32 v67, v67, v2, v3
	v_accvgpr_read_b32 v3, a4
	;; [unrolled: 2-line block ×6, first 2 shown]
	v_fmac_f32_e32 v4, v83, v2
	s_cmp_eq_u32 s44, s31
	v_fmac_f32_e32 v3, v82, v2
	s_cbranch_scc1 .LBB632_18
; %bb.17:                               ;   in Loop: Header=BB632_6 Depth=1
	s_mov_b32 s56, s31
	v_mov_b32_e32 v83, v4
	v_mov_b32_e32 v82, v3
	s_branch .LBB632_6
.LBB632_18:
	s_lshl_b32 s0, s44, 6
	s_sub_i32 s43, s43, s0
	s_cmp_gt_i32 s43, 0
	s_cbranch_scc0 .LBB632_75
; %bb.19:
	s_add_i32 s34, s0, s34
	s_ashr_i32 s2, s34, 31
	s_cmpk_lg_i32 s15, 0x80
	s_cselect_b64 s[26:27], -1, 0
	s_and_b64 vcc, exec, s[26:27]
	s_cbranch_vccz .LBB632_21
; %bb.20:
	s_mul_i32 s1, s34, s14
	s_ashr_i32 s3, s49, 31
	s_mul_hi_i32 s0, s34, s14
	s_add_u32 s38, s1, s49
	s_addc_u32 s39, s0, s3
	s_cbranch_execz .LBB632_22
	s_branch .LBB632_23
.LBB632_21:
                                        ; implicit-def: $sgpr38_sgpr39
.LBB632_22:
	s_mul_i32 s1, s49, s12
	s_mul_hi_i32 s0, s49, s12
	s_add_u32 s38, s1, s34
	s_addc_u32 s39, s0, s2
.LBB632_23:
	s_add_i32 s3, s44, s45
	s_ashr_i32 s12, s33, 31
	s_add_u32 s0, s47, s34
	s_addc_u32 s1, s46, s2
	s_mov_b32 s2, 0x7060302
	v_lshlrev_b32_e32 v6, 3, v1
	v_perm_b32 v5, v4, v67, s2
	v_perm_b32 v4, v65, v35, s2
	;; [unrolled: 1-line block ×4, first 2 shown]
	v_lshlrev_b32_e32 v34, 2, v1
	v_lshl_or_b32 v6, v47, 5, v6
	s_lshl_b64 s[24:25], s[0:1], 8
	ds_write2st64_b64 v6, v[4:5], v[2:3] offset0:72 offset1:76
	v_xor_b32_e32 v6, v47, v34
	v_lshlrev_b32_e32 v7, 8, v1
	s_add_u32 s0, s6, s24
	v_lshl_or_b32 v6, v6, 1, v7
	s_addc_u32 s1, s7, s25
	ds_write_b64 v6, v[4:5] offset:32768
	v_xor_b32_e32 v4, v46, v34
	s_mul_hi_i32 s6, s3, s13
	s_mul_i32 s3, s3, s13
	v_lshl_or_b32 v4, v4, 1, v7
	s_add_u32 s2, s3, s33
	ds_write_b64 v4, v[2:3] offset:32768
	s_addc_u32 s3, s6, s12
	v_lshlrev_b32_e32 v3, 1, v1
	v_lshrrev_b32_e32 v2, 4, v0
	s_ashr_i32 s31, s30, 31
	s_lshl_b64 s[2:3], s[2:3], 15
	v_or_b32_e32 v4, 1, v3
	s_add_u32 s6, s36, s2
	v_xor_b32_e32 v3, v2, v3
	v_xor_b32_e32 v4, v4, v2
	v_lshlrev_b32_e32 v6, 8, v2
	s_addc_u32 s7, s37, s3
	s_lshl_b64 s[2:3], s[30:31], 8
	v_lshl_or_b32 v2, v3, 3, v6
	v_lshl_or_b32 v4, v4, 3, v6
	s_waitcnt lgkmcnt(0)
	s_barrier
	s_add_u32 s2, s6, s2
	ds_read_b64 v[2:3], v2 offset:32768
	ds_read_b64 v[4:5], v4 offset:32768
	s_addc_u32 s3, s7, s3
	v_mov_b32_e32 v7, 0
	s_cmp_lg_u32 s43, 64
	v_lshl_add_u64 v[8:9], s[2:3], 0, v[6:7]
	v_lshlrev_b32_e32 v6, 4, v1
	s_cselect_b64 s[6:7], -1, 0
	v_lshl_or_b32 v35, v42, 3, v45
	s_mov_b32 s20, 0
	v_lshl_add_u64 v[6:7], v[8:9], 0, v[6:7]
	s_waitcnt vmcnt(1)
	v_or_b32_e32 v19, 32, v35
	v_and_b32_e32 v18, 56, v44
	s_and_b64 vcc, exec, s[6:7]
	s_waitcnt lgkmcnt(0)
	global_store_dwordx4 v[6:7], v[2:5], off
	s_cbranch_vccz .LBB632_29
; %bb.24:
	s_mov_b32 s21, s20
	s_mov_b32 s22, s20
	;; [unrolled: 1-line block ×3, first 2 shown]
	v_mov_b64_e32 v[6:7], s[20:21]
	v_mov_b64_e32 v[8:9], s[22:23]
	v_mov_b64_e32 v[2:3], v[6:7]
	v_cmp_gt_i32_e32 vcc, s43, v35
	v_mov_b64_e32 v[4:5], v[8:9]
	s_and_saveexec_b64 s[2:3], vcc
	s_cbranch_execz .LBB632_26
; %bb.25:
	v_lshlrev_b32_e32 v2, 8, v35
	v_mov_b32_e32 v3, 0
	v_lshl_add_u64 v[4:5], s[0:1], 0, v[2:3]
	v_lshlrev_b32_e32 v2, 1, v18
	v_lshl_add_u64 v[10:11], v[4:5], 0, v[2:3]
	global_load_dwordx4 v[6:9], v[10:11], off
	global_load_dwordx4 v[2:5], v[10:11], off offset:128
.LBB632_26:
	s_or_b64 exec, exec, s[2:3]
	s_mov_b32 s21, s20
	s_mov_b32 s22, s20
	;; [unrolled: 1-line block ×3, first 2 shown]
	v_mov_b64_e32 v[14:15], s[20:21]
	v_mov_b64_e32 v[16:17], s[22:23]
	;; [unrolled: 1-line block ×3, first 2 shown]
	v_cmp_gt_i32_e32 vcc, s43, v19
	v_lshlrev_b32_e32 v20, 7, v19
	v_mov_b64_e32 v[12:13], v[16:17]
	s_and_saveexec_b64 s[2:3], vcc
	s_cbranch_execz .LBB632_28
; %bb.27:
	v_lshlrev_b32_e32 v10, 1, v20
	v_mov_b32_e32 v11, 0
	v_lshl_add_u64 v[12:13], s[0:1], 0, v[10:11]
	v_lshlrev_b32_e32 v10, 1, v18
	v_lshl_add_u64 v[22:23], v[12:13], 0, v[10:11]
	global_load_dwordx4 v[14:17], v[22:23], off
	global_load_dwordx4 v[10:13], v[22:23], off offset:128
.LBB632_28:
	s_or_b64 exec, exec, s[2:3]
	v_lshrrev_b32_e32 v21, 3, v18
	v_lshlrev_b32_e32 v22, 3, v35
	v_or_b32_e32 v21, v22, v21
	v_lshlrev_b32_e32 v21, 4, v21
	v_and_b32_e32 v22, 0x78, v22
	v_xor_b32_e32 v21, v21, v22
	s_branch .LBB632_31
.LBB632_29:
                                        ; implicit-def: $vgpr21
                                        ; implicit-def: $vgpr20
                                        ; implicit-def: $vgpr6_vgpr7_vgpr8_vgpr9
                                        ; implicit-def: $vgpr2_vgpr3_vgpr4_vgpr5
                                        ; implicit-def: $vgpr14_vgpr15_vgpr16_vgpr17
                                        ; implicit-def: $vgpr10_vgpr11_vgpr12_vgpr13
	s_cbranch_execz .LBB632_31
; %bb.30:
	s_waitcnt vmcnt(0)
	v_lshlrev_b32_e32 v2, 1, v18
	v_lshl_or_b32 v20, v35, 8, v2
	s_and_b32 s1, s1, 0xffff
	s_mov_b32 s3, 0x20000
	s_movk_i32 s2, 0x4000
	v_lshl_or_b32 v21, v19, 8, v2
	s_movk_i32 s13, 0x80
	buffer_load_dwordx4 v[6:9], v20, s[0:3], 0 offen
	buffer_load_dwordx4 v[2:5], v20, s[0:3], s13 offen
	;; [unrolled: 1-line block ×4, first 2 shown]
	v_lshrrev_b32_e32 v20, 3, v18
	v_lshlrev_b32_e32 v21, 3, v35
	v_or_b32_e32 v20, v21, v20
	v_lshlrev_b32_e32 v20, 4, v20
	v_and_b32_e32 v21, 0x78, v21
	v_xor_b32_e32 v21, v20, v21
	v_lshlrev_b32_e32 v20, 7, v19
.LBB632_31:
	s_lshl_b64 s[0:1], s[38:39], 8
	s_add_u32 s4, s4, s0
	s_movk_i32 s0, 0x1000
	v_and_or_b32 v19, v20, s0, v21
	s_waitcnt vmcnt(1)
	ds_write_b64 v21, v[6:7] offset:16384
	v_xor_b32_e32 v6, 8, v21
	ds_write_b64 v6, v[8:9] offset:16384
	s_waitcnt vmcnt(0)
	ds_write_b64 v21, v[2:3] offset:24576
	ds_write_b64 v6, v[4:5] offset:24576
	;; [unrolled: 1-line block ×3, first 2 shown]
	v_xor_b32_e32 v2, 8, v19
	ds_write_b64 v2, v[16:17] offset:16384
	ds_write_b64 v19, v[10:11] offset:24576
	;; [unrolled: 1-line block ×3, first 2 shown]
	v_or_b32_e32 v2, v40, v1
	v_lshlrev_b32_e32 v2, 3, v2
	v_lshrrev_b32_e32 v4, 5, v41
	s_movk_i32 s14, 0xf8
	v_and_or_b32 v4, v2, s14, v4
	v_lshlrev_b32_e32 v3, 11, v42
	v_lshlrev_b32_e32 v12, 4, v4
	v_and_b32_e32 v13, 0x78, v2
	v_and_b32_e32 v14, 0x1000, v3
	v_lshlrev_b32_e32 v3, 2, v0
	v_xor_b32_e32 v2, v12, v13
	v_lshrrev_b32_e32 v4, 1, v41
	v_and_b32_e32 v3, 60, v3
	v_or_b32_e32 v2, v2, v14
	v_and_b32_e32 v15, 8, v4
	v_xor_b32_e32 v26, v2, v15
	v_lshl_or_b32 v2, v43, 6, v3
	v_lshlrev_b32_e32 v19, 1, v2
	v_or_b32_e32 v2, 32, v12
	v_xor_b32_e32 v2, v2, v13
	s_waitcnt lgkmcnt(0)
	s_barrier
	ds_read_b64 v[10:11], v26 offset:16384
	v_or_b32_e32 v2, v2, v14
	v_xor_b32_e32 v27, v2, v15
	v_or_b32_e32 v2, 64, v12
	v_xor_b32_e32 v2, v2, v13
	v_or_b32_e32 v2, v2, v14
	v_or_b32_e32 v12, 0x60, v12
	v_xor_b32_e32 v28, v2, v15
	ds_read2st64_b64 v[2:5], v19 offset0:72 offset1:73
	ds_read2st64_b64 v[6:9], v19 offset0:74 offset1:75
	v_xor_b32_e32 v16, v12, v13
	ds_read_b64 v[12:13], v27 offset:16384
	s_addc_u32 s5, s5, s1
	s_add_i32 s0, s41, s40
	s_waitcnt lgkmcnt(2)
	v_mfma_f32_16x16x16_bf16 a[0:3], v[10:11], v[2:3], 0
	s_add_i32 s2, s35, -1
	s_add_i32 s17, s0, s42
	s_mul_i32 s0, s33, s19
	s_mul_hi_u32 s1, s33, s18
	s_add_i32 s0, s1, s0
	s_mul_i32 s1, s12, s18
	s_ashr_i32 s3, s2, 31
	s_mul_i32 s12, s2, s29
	s_mul_hi_u32 s13, s2, s28
	s_add_i32 s12, s13, s12
	s_mul_i32 s3, s3, s28
	v_or_b32_e32 v14, v16, v14
	s_add_i32 s1, s0, s1
	s_add_i32 s3, s12, s3
	s_lshl_b64 s[12:13], s[16:17], 2
	v_xor_b32_e32 v36, v14, v15
	ds_read_b64 v[14:15], v28 offset:16384
	ds_read_b64 v[16:17], v36 offset:16384
	s_waitcnt lgkmcnt(2)
	v_mfma_f32_16x16x16_bf16 a[0:3], v[12:13], v[4:5], a[0:3]
	s_mul_i32 s0, s33, s18
	s_add_u32 s10, s10, s12
	s_addc_u32 s11, s11, s13
	s_lshl_b64 s[0:1], s[0:1], 2
	s_mul_i32 s2, s2, s28
	s_add_u32 s10, s10, s0
	s_addc_u32 s11, s11, s1
	s_lshl_b64 s[0:1], s[2:3], 2
	s_waitcnt lgkmcnt(1)
	v_mfma_f32_16x16x16_bf16 a[0:3], v[14:15], v[6:7], a[0:3]
	s_add_u32 s0, s10, s0
	s_addc_u32 s1, s11, s1
	s_load_dword s12, s[0:1], 0x0
	s_waitcnt lgkmcnt(0)
	v_mfma_f32_16x16x16_bf16 a[0:3], v[16:17], v[8:9], a[0:3]
	s_and_b64 vcc, exec, s[26:27]
	s_cbranch_vccz .LBB632_42
; %bb.32:
	v_lshlrev_b32_e32 v20, 1, v35
	s_and_b64 vcc, exec, s[6:7]
	s_cbranch_vccz .LBB632_43
; %bb.33:
	v_cmp_gt_i32_e32 vcc, s43, v20
	v_mov_b32_e32 v6, 0
	v_mov_b32_e32 v2, 0
	;; [unrolled: 1-line block ×5, first 2 shown]
	s_and_saveexec_b64 s[0:1], vcc
	s_cbranch_execz .LBB632_35
; %bb.34:
	v_mad_i64_i32 v[2:3], s[2:3], s15, v20, 0
	v_lshl_add_u64 v[2:3], v[2:3], 1, s[4:5]
	v_lshlrev_b32_e32 v4, 1, v18
	v_mov_b32_e32 v5, 0
	v_lshl_add_u64 v[2:3], v[2:3], 0, v[4:5]
	global_load_dwordx4 v[2:5], v[2:3], off
.LBB632_35:
	s_or_b64 exec, exec, s[0:1]
	v_or_b32_e32 v21, 1, v20
	v_cmp_gt_i32_e64 s[0:1], s43, v21
	v_mov_b32_e32 v7, 0
	v_mov_b32_e32 v8, 0
	;; [unrolled: 1-line block ×3, first 2 shown]
	s_and_saveexec_b64 s[2:3], s[0:1]
	s_cbranch_execz .LBB632_37
; %bb.36:
	v_mad_i64_i32 v[6:7], s[16:17], s15, v21, 0
	v_lshl_add_u64 v[6:7], v[6:7], 1, s[4:5]
	v_lshlrev_b32_e32 v8, 1, v18
	v_mov_b32_e32 v9, 0
	v_lshl_add_u64 v[6:7], v[6:7], 0, v[8:9]
	global_load_dwordx4 v[6:9], v[6:7], off
.LBB632_37:
	s_or_b64 exec, exec, s[2:3]
	v_mov_b32_e32 v17, 0
	v_mov_b32_e32 v10, 0
	;; [unrolled: 1-line block ×5, first 2 shown]
	s_and_saveexec_b64 s[2:3], vcc
	s_cbranch_execz .LBB632_39
; %bb.38:
	v_mad_i64_i32 v[10:11], s[16:17], s15, v20, 0
	v_lshl_add_u64 v[10:11], v[10:11], 1, s[4:5]
	v_lshlrev_b32_e32 v12, 1, v18
	v_mov_b32_e32 v13, 0
	v_lshl_add_u64 v[10:11], v[10:11], 0, v[12:13]
	global_load_dwordx4 v[10:13], v[10:11], off offset:128
.LBB632_39:
	s_or_b64 exec, exec, s[2:3]
	v_mov_b32_e32 v16, 0
	v_mov_b32_e32 v15, 0
	;; [unrolled: 1-line block ×3, first 2 shown]
	s_and_saveexec_b64 s[2:3], s[0:1]
	s_cbranch_execz .LBB632_41
; %bb.40:
	v_mad_i64_i32 v[14:15], s[0:1], s15, v21, 0
	v_lshl_add_u64 v[14:15], v[14:15], 1, s[4:5]
	v_lshlrev_b32_e32 v16, 1, v18
	v_mov_b32_e32 v17, 0
	v_lshl_add_u64 v[14:15], v[14:15], 0, v[16:17]
	global_load_dwordx4 v[14:17], v[14:15], off offset:128
.LBB632_41:
	s_or_b64 exec, exec, s[2:3]
	s_branch .LBB632_45
.LBB632_42:
                                        ; implicit-def: $vgpr5
                                        ; implicit-def: $vgpr9
                                        ; implicit-def: $vgpr13
                                        ; implicit-def: $vgpr17
	v_lshrrev_b32_e32 v37, 2, v41
	s_branch .LBB632_46
.LBB632_43:
                                        ; implicit-def: $vgpr5
                                        ; implicit-def: $vgpr9
                                        ; implicit-def: $vgpr13
                                        ; implicit-def: $vgpr17
	s_cbranch_execz .LBB632_45
; %bb.44:
	s_waitcnt vmcnt(0)
	v_mad_u64_u32 v[2:3], s[0:1], v20, s15, v[18:19]
	v_lshlrev_b32_e32 v20, 1, v2
	s_lshl_b32 s2, s15, 7
	s_and_b32 s1, s5, 0xffff
	s_mov_b32 s3, 0x20000
	s_mov_b32 s0, s4
	v_add_lshl_u32 v21, v2, s15, 1
	s_movk_i32 s13, 0x80
	buffer_load_dwordx4 v[2:5], v20, s[0:3], 0 offen
	buffer_load_dwordx4 v[10:13], v20, s[0:3], s13 offen
	;; [unrolled: 1-line block ×4, first 2 shown]
.LBB632_45:
	v_lshrrev_b32_e32 v37, 2, v41
	s_cbranch_execnz .LBB632_58
.LBB632_46:
	s_and_b64 vcc, exec, s[6:7]
	s_cbranch_vccz .LBB632_56
; %bb.47:
	s_waitcnt vmcnt(0)
	v_lshlrev_b32_e32 v7, 1, v35
	v_cmp_gt_i32_e32 vcc, s43, v7
	v_mov_b32_e32 v6, 0
	v_lshlrev_b32_e32 v14, 9, v35
	v_mov_b32_e32 v2, 0
	v_mov_b32_e32 v3, 0
	;; [unrolled: 1-line block ×4, first 2 shown]
	s_and_saveexec_b64 s[0:1], vcc
	s_cbranch_execz .LBB632_49
; %bb.48:
	v_mov_b32_e32 v15, 0
	v_lshl_add_u64 v[2:3], s[4:5], 0, v[14:15]
	v_lshlrev_b32_e32 v4, 1, v18
	v_mov_b32_e32 v5, v15
	v_lshl_add_u64 v[2:3], v[2:3], 0, v[4:5]
	global_load_dwordx4 v[2:5], v[2:3], off
.LBB632_49:
	s_or_b64 exec, exec, s[0:1]
	v_or_b32_e32 v7, 1, v7
	v_cmp_gt_i32_e64 s[0:1], s43, v7
	v_lshlrev_b32_e32 v20, 8, v7
	v_mov_b32_e32 v7, 0
	v_mov_b32_e32 v8, 0
	;; [unrolled: 1-line block ×3, first 2 shown]
	s_and_saveexec_b64 s[2:3], s[0:1]
	s_cbranch_execz .LBB632_51
; %bb.50:
	v_mov_b32_e32 v21, 0
	v_lshl_add_u64 v[6:7], s[4:5], 0, v[20:21]
	v_lshlrev_b32_e32 v8, 1, v18
	v_mov_b32_e32 v9, v21
	v_lshl_add_u64 v[6:7], v[6:7], 0, v[8:9]
	global_load_dwordx4 v[6:9], v[6:7], off
.LBB632_51:
	s_or_b64 exec, exec, s[2:3]
	v_mov_b32_e32 v17, 0
	v_mov_b32_e32 v10, 0
	;; [unrolled: 1-line block ×5, first 2 shown]
	s_and_saveexec_b64 s[2:3], vcc
	s_cbranch_execz .LBB632_53
; %bb.52:
	v_mov_b32_e32 v15, 0
	v_lshl_add_u64 v[10:11], s[4:5], 0, v[14:15]
	v_lshlrev_b32_e32 v14, 1, v18
	v_lshl_add_u64 v[10:11], v[10:11], 0, v[14:15]
	global_load_dwordx4 v[10:13], v[10:11], off offset:128
.LBB632_53:
	s_or_b64 exec, exec, s[2:3]
	v_mov_b32_e32 v16, 0
	v_mov_b32_e32 v15, 0
	;; [unrolled: 1-line block ×3, first 2 shown]
	s_and_saveexec_b64 s[2:3], s[0:1]
	s_cbranch_execz .LBB632_55
; %bb.54:
	v_mov_b32_e32 v21, 0
	v_lshl_add_u64 v[14:15], s[4:5], 0, v[20:21]
	v_lshlrev_b32_e32 v20, 1, v18
	v_lshl_add_u64 v[14:15], v[14:15], 0, v[20:21]
	global_load_dwordx4 v[14:17], v[14:15], off offset:128
.LBB632_55:
	s_or_b64 exec, exec, s[2:3]
	s_branch .LBB632_58
.LBB632_56:
                                        ; implicit-def: $vgpr5
                                        ; implicit-def: $vgpr9
                                        ; implicit-def: $vgpr13
                                        ; implicit-def: $vgpr17
	s_cbranch_execz .LBB632_58
; %bb.57:
	s_waitcnt vmcnt(0)
	v_lshlrev_b32_e32 v2, 1, v18
	v_lshl_or_b32 v18, v35, 9, v2
	s_and_b32 s5, s5, 0xffff
	s_mov_b32 s7, 0x20000
	s_movk_i32 s6, 0x4000
	s_movk_i32 s0, 0x80
	buffer_load_dwordx4 v[2:5], v18, s[4:7], 0 offen
	buffer_load_dwordx4 v[6:9], v18, s[4:7], 0 offen offset:256
	buffer_load_dwordx4 v[10:13], v18, s[4:7], s0 offen
	buffer_load_dwordx4 v[14:17], v18, s[4:7], s0 offen offset:256
.LBB632_58:
	ds_read2st64_b64 v[22:25], v19 offset0:76 offset1:77
	ds_read2st64_b64 v[18:21], v19 offset0:78 offset1:79
	ds_read_b64 v[30:31], v26 offset:24576
	ds_read_b64 v[32:33], v27 offset:24576
	;; [unrolled: 1-line block ×4, first 2 shown]
	v_and_b32_e32 v36, 6, v0
	v_xor_b32_e32 v35, v35, v36
	v_lshlrev_b32_e32 v35, 2, v35
	v_and_b32_e32 v0, 1, v0
	v_xor_b32_e32 v38, 0x440, v35
	v_cmp_eq_u32_e32 vcc, 0, v0
	s_mov_b32 s0, 0x1000504
	s_mov_b32 s1, 0x3020706
	v_cndmask_b32_e32 v0, v38, v35, vcc
	v_lshl_or_b32 v0, v36, 10, v0
	s_waitcnt vmcnt(0)
	v_perm_b32 v35, v2, v6, s0
	v_perm_b32 v36, v10, v14, s0
	ds_write2st64_b32 v0, v35, v36 offset1:32
	v_xor_b32_e32 v35, 8, v0
	v_perm_b32 v2, v2, v6, s1
	v_perm_b32 v6, v10, v14, s1
	v_add_u32_e32 v10, 0x80, v35
	ds_write2st64_b32 v10, v2, v6 offset1:32
	v_xor_b32_e32 v2, 16, v0
	v_perm_b32 v6, v3, v7, s0
	v_perm_b32 v10, v11, v15, s0
	ds_write2st64_b32 v2, v6, v10 offset0:1 offset1:33
	v_xor_b32_e32 v2, 24, v0
	v_perm_b32 v3, v3, v7, s1
	v_perm_b32 v6, v11, v15, s1
	v_add_u32_e32 v2, 0x80, v2
	ds_write2st64_b32 v2, v3, v6 offset0:1 offset1:33
	v_xor_b32_e32 v2, 32, v0
	v_perm_b32 v3, v4, v8, s0
	v_perm_b32 v6, v12, v16, s0
	ds_write2st64_b32 v2, v3, v6 offset0:2 offset1:34
	v_xor_b32_e32 v2, 40, v0
	v_perm_b32 v3, v4, v8, s1
	v_perm_b32 v4, v12, v16, s1
	v_add_u32_e32 v2, 0x80, v2
	ds_write2st64_b32 v2, v3, v4 offset0:2 offset1:34
	v_xor_b32_e32 v2, 48, v0
	v_perm_b32 v3, v5, v9, s0
	v_perm_b32 v4, v13, v17, s0
	v_xor_b32_e32 v0, 56, v0
	v_and_or_b32 v6, v37, 12, v40
	ds_write2st64_b32 v2, v3, v4 offset0:3 offset1:35
	v_perm_b32 v2, v5, v9, s1
	v_perm_b32 v3, v13, v17, s1
	v_add_u32_e32 v0, 0x80, v0
	v_cmp_gt_i32_e32 vcc, s43, v6
	v_mov_b32_e32 v7, 0
	v_mov_b32_e32 v11, 0
	ds_write2st64_b32 v0, v2, v3 offset0:3 offset1:35
	s_and_saveexec_b64 s[0:1], vcc
	s_cbranch_execz .LBB632_60
; %bb.59:
	v_add_u32_e32 v0, s34, v6
	v_ashrrev_i32_e32 v2, 31, v0
	v_mul_lo_u32 v4, v2, s28
	v_mul_lo_u32 v5, v0, s29
	v_mad_u64_u32 v[2:3], s[2:3], v0, s28, 0
	v_add3_u32 v3, v3, v5, v4
	v_lshl_add_u64 v[2:3], v[2:3], 2, s[10:11]
	global_load_dword v0, v[2:3], off
	s_waitcnt vmcnt(0)
	v_sub_f32_e32 v0, s12, v0
	v_mul_f32_e32 v0, 0x3fb8aa3b, v0
	v_exp_f32_e32 v11, v0
.LBB632_60:
	s_or_b64 exec, exec, s[0:1]
	v_or_b32_e32 v9, 1, v6
	v_cmp_gt_i32_e64 s[0:1], s43, v9
	s_and_saveexec_b64 s[2:3], s[0:1]
	s_cbranch_execz .LBB632_62
; %bb.61:
	v_add_u32_e32 v0, s34, v9
	v_ashrrev_i32_e32 v2, 31, v0
	v_mul_lo_u32 v4, v2, s28
	v_mul_lo_u32 v5, v0, s29
	v_mad_u64_u32 v[2:3], s[4:5], v0, s28, 0
	v_add3_u32 v3, v3, v5, v4
	v_lshl_add_u64 v[2:3], v[2:3], 2, s[10:11]
	global_load_dword v0, v[2:3], off
	s_waitcnt vmcnt(0)
	v_sub_f32_e32 v0, s12, v0
	v_mul_f32_e32 v0, 0x3fb8aa3b, v0
	v_exp_f32_e32 v7, v0
.LBB632_62:
	s_or_b64 exec, exec, s[2:3]
	v_or_b32_e32 v10, 2, v6
	v_cmp_gt_i32_e64 s[2:3], s43, v10
	v_mov_b32_e32 v8, 0
	v_mov_b32_e32 v13, 0
	s_and_saveexec_b64 s[4:5], s[2:3]
	s_cbranch_execz .LBB632_64
; %bb.63:
	v_add_u32_e32 v0, s34, v10
	v_ashrrev_i32_e32 v2, 31, v0
	v_mul_lo_u32 v4, v2, s28
	v_mul_lo_u32 v5, v0, s29
	v_mad_u64_u32 v[2:3], s[6:7], v0, s28, 0
	v_add3_u32 v3, v3, v5, v4
	v_lshl_add_u64 v[2:3], v[2:3], 2, s[10:11]
	global_load_dword v0, v[2:3], off
	s_waitcnt vmcnt(0)
	v_sub_f32_e32 v0, s12, v0
	v_mul_f32_e32 v0, 0x3fb8aa3b, v0
	v_exp_f32_e32 v13, v0
.LBB632_64:
	s_or_b64 exec, exec, s[4:5]
	v_or_b32_e32 v12, 3, v6
	v_cmp_gt_i32_e64 s[4:5], s43, v12
	s_and_saveexec_b64 s[6:7], s[4:5]
	s_cbranch_execz .LBB632_66
; %bb.65:
	v_add_u32_e32 v0, s34, v12
	v_ashrrev_i32_e32 v2, 31, v0
	v_mul_lo_u32 v4, v2, s28
	v_mul_lo_u32 v5, v0, s29
	v_mad_u64_u32 v[2:3], s[14:15], v0, s28, 0
	v_add3_u32 v3, v3, v5, v4
	v_lshl_add_u64 v[2:3], v[2:3], 2, s[10:11]
	global_load_dword v0, v[2:3], off
	s_waitcnt vmcnt(0)
	v_sub_f32_e32 v0, s12, v0
	v_mul_f32_e32 v0, 0x3fb8aa3b, v0
	v_exp_f32_e32 v8, v0
.LBB632_66:
	s_or_b64 exec, exec, s[6:7]
	s_waitcnt lgkmcnt(11)
	v_mfma_f32_16x16x16_bf16 a[0:3], v[30:31], v[22:23], a[0:3]
	v_or_b32_e32 v0, s30, v1
	s_add_u32 s6, s8, s24
	s_addc_u32 s7, s9, s25
	s_waitcnt lgkmcnt(10)
	v_mfma_f32_16x16x16_bf16 a[0:3], v[32:33], v[24:25], a[0:3]
	v_ashrrev_i32_e32 v1, 31, v0
	v_lshl_add_u64 v[4:5], v[0:1], 1, s[6:7]
	v_mov_b32_e32 v14, 0
	s_waitcnt lgkmcnt(9)
	v_mfma_f32_16x16x16_bf16 a[0:3], v[28:29], v[18:19], a[0:3]
	v_mov_b32_e32 v15, 0
	s_waitcnt lgkmcnt(8)
	v_mfma_f32_16x16x16_bf16 a[0:3], v[26:27], v[20:21], a[0:3]
	s_nop 6
	v_accvgpr_read_b32 v0, a0
	v_accvgpr_read_b32 v1, a1
	;; [unrolled: 1-line block ×4, first 2 shown]
	s_and_saveexec_b64 s[6:7], vcc
	s_cbranch_execz .LBB632_68
; %bb.67:
	v_lshlrev_b32_e32 v16, 8, v6
	v_mov_b32_e32 v17, 0
	v_lshl_add_u64 v[16:17], v[4:5], 0, v[16:17]
	global_load_ushort v15, v[16:17], off
	s_waitcnt vmcnt(0)
	v_lshlrev_b32_e32 v15, 16, v15
	v_sub_f32_e32 v0, v15, v0
	v_mul_f32_e32 v0, v11, v0
	v_lshrrev_b32_e32 v15, 16, v0
.LBB632_68:
	s_or_b64 exec, exec, s[6:7]
	s_and_saveexec_b64 s[6:7], s[0:1]
	s_cbranch_execz .LBB632_70
; %bb.69:
	v_lshlrev_b32_e32 v16, 8, v9
	v_mov_b32_e32 v17, 0
	v_lshl_add_u64 v[16:17], v[4:5], 0, v[16:17]
	global_load_ushort v0, v[16:17], off
	s_waitcnt vmcnt(0)
	v_lshlrev_b32_e32 v0, 16, v0
	v_sub_f32_e32 v0, v0, v1
	v_mul_f32_e32 v0, v7, v0
	v_lshrrev_b32_e32 v14, 16, v0
.LBB632_70:
	s_or_b64 exec, exec, s[6:7]
	v_mov_b32_e32 v0, 0
	v_mov_b32_e32 v1, 0
	s_and_saveexec_b64 s[0:1], s[2:3]
	s_cbranch_execz .LBB632_72
; %bb.71:
	v_lshlrev_b32_e32 v10, 8, v10
	v_mov_b32_e32 v11, 0
	v_lshl_add_u64 v[10:11], v[4:5], 0, v[10:11]
	global_load_ushort v1, v[10:11], off
	s_waitcnt vmcnt(0)
	v_lshlrev_b32_e32 v1, 16, v1
	v_sub_f32_e32 v1, v1, v2
	v_mul_f32_e32 v1, v13, v1
	v_lshrrev_b32_e32 v1, 16, v1
.LBB632_72:
	s_or_b64 exec, exec, s[0:1]
	s_and_saveexec_b64 s[0:1], s[4:5]
	s_cbranch_execz .LBB632_74
; %bb.73:
	v_lshlrev_b32_e32 v10, 8, v12
	v_mov_b32_e32 v11, 0
	v_lshl_add_u64 v[4:5], v[4:5], 0, v[10:11]
	global_load_ushort v0, v[4:5], off
	s_waitcnt vmcnt(0)
	v_lshlrev_b32_e32 v0, 16, v0
	v_sub_f32_e32 v0, v0, v3
	v_mul_f32_e32 v0, v8, v0
	v_lshrrev_b32_e32 v0, 16, v0
.LBB632_74:
	s_or_b64 exec, exec, s[0:1]
	s_mov_b32 s0, 0x5040100
	v_lshlrev_b32_e32 v2, 1, v34
	v_perm_b32 v1, v0, v1, s0
	v_perm_b32 v0, v14, v15, s0
	v_lshl_or_b32 v2, v6, 5, v2
	ds_write_b64 v2, v[0:1] offset:38912
	s_waitcnt lgkmcnt(0)
	s_barrier
.LBB632_75:
	s_endpgm
	.section	.rodata,"a",@progbits
	.p2align	6, 0x0
	.amdhsa_kernel _ZN12_GLOBAL__N_139chunk_gated_delta_rule_fwd_h_hip_kernelILi16ELb0ELb0ELb0ELb1ELb0ELb0ELb0ELb1EEEvPK12hip_bfloat16S3_S3_PKfS5_PKvPS1_S8_PvPKiSB_iiiiilll
		.amdhsa_group_segment_fixed_size 40960
		.amdhsa_private_segment_fixed_size 0
		.amdhsa_kernarg_size 136
		.amdhsa_user_sgpr_count 2
		.amdhsa_user_sgpr_dispatch_ptr 0
		.amdhsa_user_sgpr_queue_ptr 0
		.amdhsa_user_sgpr_kernarg_segment_ptr 1
		.amdhsa_user_sgpr_dispatch_id 0
		.amdhsa_user_sgpr_kernarg_preload_length 0
		.amdhsa_user_sgpr_kernarg_preload_offset 0
		.amdhsa_user_sgpr_private_segment_size 0
		.amdhsa_uses_dynamic_stack 0
		.amdhsa_enable_private_segment 0
		.amdhsa_system_sgpr_workgroup_id_x 1
		.amdhsa_system_sgpr_workgroup_id_y 1
		.amdhsa_system_sgpr_workgroup_id_z 0
		.amdhsa_system_sgpr_workgroup_info 0
		.amdhsa_system_vgpr_workitem_id 0
		.amdhsa_next_free_vgpr 116
		.amdhsa_next_free_sgpr 58
		.amdhsa_accum_offset 108
		.amdhsa_reserve_vcc 1
		.amdhsa_float_round_mode_32 0
		.amdhsa_float_round_mode_16_64 0
		.amdhsa_float_denorm_mode_32 3
		.amdhsa_float_denorm_mode_16_64 3
		.amdhsa_dx10_clamp 1
		.amdhsa_ieee_mode 1
		.amdhsa_fp16_overflow 0
		.amdhsa_tg_split 0
		.amdhsa_exception_fp_ieee_invalid_op 0
		.amdhsa_exception_fp_denorm_src 0
		.amdhsa_exception_fp_ieee_div_zero 0
		.amdhsa_exception_fp_ieee_overflow 0
		.amdhsa_exception_fp_ieee_underflow 0
		.amdhsa_exception_fp_ieee_inexact 0
		.amdhsa_exception_int_div_zero 0
	.end_amdhsa_kernel
	.section	.text._ZN12_GLOBAL__N_139chunk_gated_delta_rule_fwd_h_hip_kernelILi16ELb0ELb0ELb0ELb1ELb0ELb0ELb0ELb1EEEvPK12hip_bfloat16S3_S3_PKfS5_PKvPS1_S8_PvPKiSB_iiiiilll,"axG",@progbits,_ZN12_GLOBAL__N_139chunk_gated_delta_rule_fwd_h_hip_kernelILi16ELb0ELb0ELb0ELb1ELb0ELb0ELb0ELb1EEEvPK12hip_bfloat16S3_S3_PKfS5_PKvPS1_S8_PvPKiSB_iiiiilll,comdat
.Lfunc_end632:
	.size	_ZN12_GLOBAL__N_139chunk_gated_delta_rule_fwd_h_hip_kernelILi16ELb0ELb0ELb0ELb1ELb0ELb0ELb0ELb1EEEvPK12hip_bfloat16S3_S3_PKfS5_PKvPS1_S8_PvPKiSB_iiiiilll, .Lfunc_end632-_ZN12_GLOBAL__N_139chunk_gated_delta_rule_fwd_h_hip_kernelILi16ELb0ELb0ELb0ELb1ELb0ELb0ELb0ELb1EEEvPK12hip_bfloat16S3_S3_PKfS5_PKvPS1_S8_PvPKiSB_iiiiilll
                                        ; -- End function
	.section	.AMDGPU.csdata,"",@progbits
; Kernel info:
; codeLenInByte = 7080
; NumSgprs: 64
; NumVgprs: 106
; NumAgprs: 8
; TotalNumVgprs: 116
; ScratchSize: 0
; MemoryBound: 0
; FloatMode: 240
; IeeeMode: 1
; LDSByteSize: 40960 bytes/workgroup (compile time only)
; SGPRBlocks: 7
; VGPRBlocks: 14
; NumSGPRsForWavesPerEU: 64
; NumVGPRsForWavesPerEU: 116
; AccumOffset: 108
; Occupancy: 1
; WaveLimiterHint : 1
; COMPUTE_PGM_RSRC2:SCRATCH_EN: 0
; COMPUTE_PGM_RSRC2:USER_SGPR: 2
; COMPUTE_PGM_RSRC2:TRAP_HANDLER: 0
; COMPUTE_PGM_RSRC2:TGID_X_EN: 1
; COMPUTE_PGM_RSRC2:TGID_Y_EN: 1
; COMPUTE_PGM_RSRC2:TGID_Z_EN: 0
; COMPUTE_PGM_RSRC2:TIDIG_COMP_CNT: 0
; COMPUTE_PGM_RSRC3_GFX90A:ACCUM_OFFSET: 26
; COMPUTE_PGM_RSRC3_GFX90A:TG_SPLIT: 0
	.section	.text._ZN12_GLOBAL__N_139chunk_gated_delta_rule_fwd_h_hip_kernelILi16ELb1ELb1ELb1ELb0ELb0ELb0ELb0ELb1EEEvPK12hip_bfloat16S3_S3_PKfS5_PKvPS1_S8_PvPKiSB_iiiiilll,"axG",@progbits,_ZN12_GLOBAL__N_139chunk_gated_delta_rule_fwd_h_hip_kernelILi16ELb1ELb1ELb1ELb0ELb0ELb0ELb0ELb1EEEvPK12hip_bfloat16S3_S3_PKfS5_PKvPS1_S8_PvPKiSB_iiiiilll,comdat
	.globl	_ZN12_GLOBAL__N_139chunk_gated_delta_rule_fwd_h_hip_kernelILi16ELb1ELb1ELb1ELb0ELb0ELb0ELb0ELb1EEEvPK12hip_bfloat16S3_S3_PKfS5_PKvPS1_S8_PvPKiSB_iiiiilll ; -- Begin function _ZN12_GLOBAL__N_139chunk_gated_delta_rule_fwd_h_hip_kernelILi16ELb1ELb1ELb1ELb0ELb0ELb0ELb0ELb1EEEvPK12hip_bfloat16S3_S3_PKfS5_PKvPS1_S8_PvPKiSB_iiiiilll
	.p2align	8
	.type	_ZN12_GLOBAL__N_139chunk_gated_delta_rule_fwd_h_hip_kernelILi16ELb1ELb1ELb1ELb0ELb0ELb0ELb0ELb1EEEvPK12hip_bfloat16S3_S3_PKfS5_PKvPS1_S8_PvPKiSB_iiiiilll,@function
_ZN12_GLOBAL__N_139chunk_gated_delta_rule_fwd_h_hip_kernelILi16ELb1ELb1ELb1ELb0ELb0ELb0ELb0ELb1EEEvPK12hip_bfloat16S3_S3_PKfS5_PKvPS1_S8_PvPKiSB_iiiiilll: ; @_ZN12_GLOBAL__N_139chunk_gated_delta_rule_fwd_h_hip_kernelILi16ELb1ELb1ELb1ELb0ELb0ELb0ELb0ELb1EEEvPK12hip_bfloat16S3_S3_PKfS5_PKvPS1_S8_PvPKiSB_iiiiilll
; %bb.0:
	s_load_dwordx4 s[20:23], s[0:1], 0x5c
	s_load_dwordx4 s[24:27], s[0:1], 0x70
	s_abs_i32 s6, s3
	s_ashr_i32 s5, s3, 31
	v_and_b32_e32 v56, 15, v0
	s_waitcnt lgkmcnt(0)
	s_abs_i32 s4, s21
	v_cvt_f32_u32_e32 v1, s4
	s_sub_i32 s8, 0, s4
	s_ashr_i32 s7, s21, 31
	s_xor_b32 s5, s5, s7
	v_rcp_iflag_f32_e32 v1, v1
	v_bfe_u32 v55, v0, 4, 2
	v_mov_b32_e32 v45, 0
	v_lshlrev_b32_e32 v57, 3, v0
	v_mul_f32_e32 v1, 0x4f7ffffe, v1
	v_cvt_u32_f32_e32 v1, v1
	s_nop 0
	v_readfirstlane_b32 s9, v1
	s_mul_i32 s8, s8, s9
	s_mul_hi_u32 s8, s9, s8
	s_add_i32 s9, s9, s8
	s_mul_hi_u32 s8, s6, s9
	s_mul_i32 s9, s8, s4
	s_sub_i32 s6, s6, s9
	s_add_i32 s10, s8, 1
	s_sub_i32 s9, s6, s4
	s_cmp_ge_u32 s6, s4
	s_cselect_b32 s8, s10, s8
	s_cselect_b32 s6, s9, s6
	s_add_i32 s9, s8, 1
	s_cmp_ge_u32 s6, s4
	s_cselect_b32 s6, s9, s8
	s_xor_b32 s6, s6, s5
	s_add_i32 s8, s20, 63
	s_sub_i32 s55, s6, s5
	s_ashr_i32 s9, s8, 31
	s_mul_i32 s12, s55, s21
	s_sub_i32 s53, s3, s12
	s_lshr_b32 s3, s9, 26
	s_add_i32 s8, s8, s3
	s_abs_i32 s3, s22
	v_cvt_f32_u32_e32 v1, s3
	s_ashr_i32 s54, s20, 31
	s_lshr_b32 s5, s54, 26
	s_add_i32 s5, s20, s5
	v_rcp_iflag_f32_e32 v1, v1
	s_ashr_i32 s58, s22, 31
	s_ashr_i32 s56, s5, 6
	s_xor_b32 s5, s7, s58
	v_mul_f32_e32 v1, 0x4f7ffffe, v1
	v_cvt_u32_f32_e32 v1, v1
	s_sub_i32 s6, 0, s3
	s_ashr_i32 s28, s8, 6
	s_lshl_b32 s2, s2, 4
	v_readfirstlane_b32 s7, v1
	s_mul_i32 s6, s6, s7
	s_mul_hi_u32 s6, s7, s6
	s_add_i32 s7, s7, s6
	s_mul_hi_u32 s6, s4, s7
	s_mul_i32 s7, s6, s3
	s_sub_i32 s4, s4, s7
	s_add_i32 s7, s6, 1
	s_sub_i32 s8, s4, s3
	s_cmp_ge_u32 s4, s3
	s_cselect_b32 s6, s7, s6
	s_cselect_b32 s4, s8, s4
	s_add_i32 s7, s6, 1
	s_cmp_ge_u32 s4, s3
	s_cselect_b32 s3, s7, s6
	s_xor_b32 s3, s3, s5
	s_sub_i32 s3, s3, s5
	s_abs_i32 s13, s3
	v_cvt_f32_u32_e32 v1, s13
	s_sub_i32 s15, 0, s13
	s_abs_i32 s14, s53
	s_xor_b32 s3, s53, s3
	v_rcp_iflag_f32_e32 v2, v1
	s_ashr_i32 s3, s3, 31
	s_load_dwordx8 s[4:11], s[0:1], 0x28
	v_lshrrev_b32_e32 v1, 6, v0
	v_mul_f32_e32 v2, 0x4f7ffffe, v2
	v_cvt_u32_f32_e32 v2, v2
	v_or_b32_e32 v46, s2, v56
	v_lshlrev_b32_e32 v54, 4, v1
	v_lshlrev_b32_e32 v42, 7, v46
	v_readfirstlane_b32 s16, v2
	s_mul_i32 s15, s15, s16
	s_mul_hi_u32 s15, s16, s15
	s_add_i32 s16, s16, s15
	s_mul_hi_u32 s15, s14, s16
	s_mul_i32 s16, s15, s13
	s_sub_i32 s14, s14, s16
	s_add_i32 s16, s15, 1
	s_sub_i32 s17, s14, s13
	s_cmp_ge_u32 s14, s13
	s_cselect_b32 s15, s16, s15
	s_cselect_b32 s14, s17, s14
	s_add_i32 s16, s15, 1
	s_cmp_ge_u32 s14, s13
	s_cselect_b32 s13, s16, s15
	s_xor_b32 s13, s13, s3
	s_sub_i32 s59, s13, s3
	s_ashr_i32 s3, s55, 31
	s_ashr_i32 s57, s53, 31
	s_mul_hi_i32 s13, s55, s21
	s_add_u32 s42, s12, s53
	s_addc_u32 s43, s13, s57
	s_lshl_b64 s[34:35], s[42:43], 15
	s_waitcnt lgkmcnt(0)
	s_add_u32 s4, s4, s34
	v_lshl_or_b32 v59, v55, 2, v54
	s_addc_u32 s5, s5, s35
	v_ashrrev_i32_e32 v43, 31, v42
	v_lshl_add_u64 v[2:3], v[42:43], 1, s[4:5]
	v_lshlrev_b32_e32 v44, 1, v59
	v_lshl_add_u64 v[2:3], v[2:3], 0, v[44:45]
	global_load_dwordx2 v[4:5], v[2:3], off
	global_load_dwordx2 v[8:9], v[2:3], off offset:128
	s_load_dwordx8 s[12:19], s[0:1], 0x0
	s_load_dwordx2 s[36:37], s[0:1], 0x80
	v_and_b32_e32 v45, 63, v0
	v_lshrrev_b32_e32 v58, 3, v45
	v_or_b32_e32 v60, 64, v59
	s_mul_i32 s33, s55, s25
	s_mul_hi_u32 s48, s55, s24
	s_mul_i32 s40, s55, s24
	s_mul_i32 s60, s55, s28
	;; [unrolled: 1-line block ×3, first 2 shown]
	s_mul_hi_u32 s50, s53, s26
	s_mul_i32 s52, s3, s24
	s_mul_i32 s51, s57, s26
	s_mul_hi_u32 s61, s42, s20
	s_mul_i32 s4, s42, s20
	s_mul_i32 s43, s43, s20
	s_cmp_lt_i32 s20, 64
	s_mul_i32 s38, s53, s26
	s_waitcnt vmcnt(1)
	v_and_b32_e32 v3, 0xffff0000, v4
	v_lshlrev_b32_e32 v2, 16, v4
	v_and_b32_e32 v61, 0xffff0000, v5
	v_lshlrev_b32_e32 v4, 16, v5
	s_waitcnt vmcnt(0)
	v_and_b32_e32 v7, 0xffff0000, v8
	v_lshlrev_b32_e32 v6, 16, v8
	v_and_b32_e32 v62, 0xffff0000, v9
	v_lshlrev_b32_e32 v8, 16, v9
	s_cbranch_scc1 .LBB633_3
; %bb.1:
	s_add_i32 s5, s61, s43
	s_lshl_b64 s[0:1], s[4:5], 8
	v_and_b32_e32 v64, 56, v57
	s_waitcnt lgkmcnt(0)
	s_add_u32 s24, s14, s0
	v_lshl_or_b32 v63, v1, 3, v58
	v_lshlrev_b32_e32 v5, 1, v64
	s_addc_u32 s0, s15, s1
	v_lshl_or_b32 v65, v63, 8, v5
	s_and_b32 s25, s0, 0xffff
	s_mov_b32 s27, 0x20000
	s_movk_i32 s26, 0x4000
	s_movk_i32 s0, 0x80
	v_or_b32_e32 v66, 0x2000, v65
	buffer_load_dwordx4 v[10:13], v65, s[24:27], 0 offen
	buffer_load_dwordx4 v[14:17], v65, s[24:27], s0 offen
	;; [unrolled: 1-line block ×4, first 2 shown]
	v_lshlrev_b32_e32 v9, 3, v63
	v_and_or_b32 v27, v0, 7, v9
	v_and_b32_e32 v9, 0x78, v9
	v_lshlrev_b32_e32 v27, 4, v27
	v_xor_b32_e32 v67, v27, v9
	v_mul_lo_u32 v26, v63, s23
	v_or_b32_e32 v68, 0x1000, v67
	v_xor_b32_e32 v9, 8, v67
	s_cmpk_eq_i32 s23, 0x80
	s_mov_b32 s62, s22
	v_xor_b32_e32 v27, 8, v68
	s_cselect_b64 s[0:1], -1, 0
	s_cmpk_lg_i32 s23, 0x80
	s_waitcnt vmcnt(3)
	ds_write_b64 v67, v[10:11] offset:16384
	ds_write_b64 v9, v[12:13] offset:16384
	s_waitcnt vmcnt(2)
	ds_write_b64 v67, v[14:15] offset:24576
	ds_write_b64 v9, v[16:17] offset:24576
	s_waitcnt vmcnt(1)
	ds_write_b64 v67, v[18:19] offset:20480
	ds_write_b64 v27, v[20:21] offset:16384
	s_waitcnt vmcnt(0)
	ds_write_b64 v67, v[22:23] offset:28672
	ds_write_b64 v27, v[24:25] offset:24576
	v_lshl_add_u32 v9, v26, 1, v64
	s_cbranch_scc0 .LBB633_29
; %bb.2:
	v_lshlrev_b32_e32 v11, 1, v9
	v_add_lshl_u32 v10, v9, s23, 1
	s_lshl_b32 s26, s23, 7
	v_lshl_or_b32 v5, v63, 9, v5
	s_cbranch_execz .LBB633_30
	s_branch .LBB633_31
.LBB633_3:
	v_mov_b32_e32 v9, v62
	v_mov_b32_e32 v5, v61
.LBB633_4:
	s_lshl_b32 s30, s56, 6
	s_sub_i32 s31, s20, s30
	s_cmp_gt_i32 s31, 0
	s_cbranch_scc0 .LBB633_76
; %bb.5:
	s_ashr_i32 s3, s30, 31
	s_cmpk_lg_i32 s23, 0x80
	s_cselect_b64 s[26:27], -1, 0
	s_and_b64 vcc, exec, s[26:27]
	s_cbranch_vccz .LBB633_7
; %bb.6:
	s_mul_i32 s1, s55, s20
	s_mul_hi_i32 s0, s55, s20
	s_add_u32 s1, s1, s30
	s_addc_u32 s0, s0, s3
	s_mul_i32 s5, s1, s58
	s_mul_hi_u32 s24, s1, s22
	s_add_i32 s5, s24, s5
	s_mul_i32 s0, s0, s22
	s_add_i32 s5, s5, s0
	s_mul_i32 s1, s1, s22
	s_ashr_i32 s0, s59, 31
	s_add_u32 s28, s1, s59
	s_addc_u32 s29, s5, s0
	s_cbranch_execz .LBB633_8
	s_branch .LBB633_9
.LBB633_7:
                                        ; implicit-def: $sgpr28_sgpr29
.LBB633_8:
	s_mul_hi_i32 s0, s55, s22
	s_mul_i32 s55, s55, s22
	s_ashr_i32 s1, s59, 31
	s_add_u32 s5, s55, s59
	s_addc_u32 s0, s0, s1
	s_mul_i32 s1, s5, s54
	s_mul_hi_u32 s22, s5, s20
	s_add_i32 s1, s22, s1
	s_mul_i32 s0, s0, s20
	s_add_i32 s1, s1, s0
	s_mul_i32 s5, s5, s20
	s_add_u32 s28, s5, s30
	s_addc_u32 s29, s1, s3
.LBB633_9:
	s_mul_i32 s0, s42, s54
	s_add_i32 s0, s61, s0
	s_add_i32 s5, s60, s56
	;; [unrolled: 1-line block ×3, first 2 shown]
	s_add_u32 s0, s4, s30
	s_addc_u32 s1, s1, s3
	s_mov_b32 s3, 0x7060302
	v_lshlrev_b32_e32 v14, 3, v56
	s_lshl_b64 s[24:25], s[0:1], 8
	v_perm_b32 v11, v5, v4, s3
	v_perm_b32 v10, v3, v2, s3
	;; [unrolled: 1-line block ×4, first 2 shown]
	v_lshlrev_b32_e32 v48, 2, v56
	v_lshl_or_b32 v14, v59, 5, v14
	s_waitcnt lgkmcnt(0)
	s_add_u32 s0, s14, s24
	ds_write2st64_b64 v14, v[10:11], v[12:13] offset0:72 offset1:76
	v_xor_b32_e32 v14, v59, v48
	v_lshlrev_b32_e32 v15, 8, v56
	s_addc_u32 s1, s15, s25
	v_lshl_or_b32 v14, v14, 1, v15
	s_mul_hi_i32 s3, s5, s21
	s_mul_i32 s5, s5, s21
	ds_write_b64 v14, v[10:11] offset:32768
	v_xor_b32_e32 v10, v60, v48
	s_add_u32 s4, s5, s53
	v_lshl_or_b32 v10, v10, 1, v15
	s_addc_u32 s5, s3, s57
	v_lshlrev_b32_e32 v11, 1, v56
	ds_write_b64 v10, v[12:13] offset:32768
	v_lshrrev_b32_e32 v10, 4, v0
	s_ashr_i32 s3, s2, 31
	s_lshl_b64 s[4:5], s[4:5], 15
	v_or_b32_e32 v12, 1, v11
	s_add_u32 s4, s6, s4
	v_xor_b32_e32 v11, v10, v11
	v_xor_b32_e32 v12, v12, v10
	v_lshlrev_b32_e32 v14, 8, v10
	s_addc_u32 s5, s7, s5
	s_lshl_b64 s[2:3], s[2:3], 8
	v_lshl_or_b32 v10, v11, 3, v14
	v_lshl_or_b32 v12, v12, 3, v14
	s_waitcnt lgkmcnt(0)
	s_barrier
	s_add_u32 s2, s4, s2
	ds_read_b64 v[10:11], v10 offset:32768
	ds_read_b64 v[12:13], v12 offset:32768
	s_addc_u32 s3, s5, s3
	v_mov_b32_e32 v15, 0
	s_cmp_lg_u32 s31, 64
	v_lshl_add_u64 v[16:17], s[2:3], 0, v[14:15]
	v_lshlrev_b32_e32 v14, 4, v56
	s_cselect_b64 s[14:15], -1, 0
	v_lshl_or_b32 v47, v1, 3, v58
	s_mov_b32 s4, 0
	v_lshl_add_u64 v[14:15], v[16:17], 0, v[14:15]
	s_waitcnt vmcnt(1)
	v_or_b32_e32 v27, 32, v47
	v_and_b32_e32 v26, 56, v57
	s_and_b64 vcc, exec, s[14:15]
	s_waitcnt lgkmcnt(0)
	global_store_dwordx4 v[14:15], v[10:13], off
	s_cbranch_vccz .LBB633_15
; %bb.10:
	s_mov_b32 s6, s4
	s_mov_b32 s7, s4
	;; [unrolled: 1-line block ×3, first 2 shown]
	v_mov_b64_e32 v[16:17], s[6:7]
	v_mov_b64_e32 v[14:15], s[4:5]
	;; [unrolled: 1-line block ×3, first 2 shown]
	v_cmp_gt_i32_e32 vcc, s31, v47
	v_mov_b64_e32 v[12:13], v[16:17]
	s_and_saveexec_b64 s[2:3], vcc
	s_cbranch_execz .LBB633_12
; %bb.11:
	v_lshlrev_b32_e32 v10, 8, v47
	v_mov_b32_e32 v11, 0
	v_lshl_add_u64 v[12:13], s[0:1], 0, v[10:11]
	v_lshlrev_b32_e32 v10, 1, v26
	v_lshl_add_u64 v[18:19], v[12:13], 0, v[10:11]
	global_load_dwordx4 v[14:17], v[18:19], off
	global_load_dwordx4 v[10:13], v[18:19], off offset:128
.LBB633_12:
	s_or_b64 exec, exec, s[2:3]
	s_mov_b32 s6, s4
	s_mov_b32 s7, s4
	;; [unrolled: 1-line block ×3, first 2 shown]
	v_mov_b64_e32 v[24:25], s[6:7]
	v_mov_b64_e32 v[22:23], s[4:5]
	;; [unrolled: 1-line block ×3, first 2 shown]
	v_cmp_gt_i32_e32 vcc, s31, v27
	v_lshlrev_b32_e32 v28, 7, v27
	v_mov_b64_e32 v[20:21], v[24:25]
	s_and_saveexec_b64 s[2:3], vcc
	s_cbranch_execz .LBB633_14
; %bb.13:
	v_lshlrev_b32_e32 v18, 1, v28
	v_mov_b32_e32 v19, 0
	v_lshl_add_u64 v[20:21], s[0:1], 0, v[18:19]
	v_lshlrev_b32_e32 v18, 1, v26
	v_lshl_add_u64 v[30:31], v[20:21], 0, v[18:19]
	global_load_dwordx4 v[22:25], v[30:31], off
	global_load_dwordx4 v[18:21], v[30:31], off offset:128
.LBB633_14:
	s_or_b64 exec, exec, s[2:3]
	v_lshrrev_b32_e32 v29, 3, v26
	v_lshlrev_b32_e32 v30, 3, v47
	v_or_b32_e32 v29, v30, v29
	v_lshlrev_b32_e32 v29, 4, v29
	v_and_b32_e32 v30, 0x78, v30
	v_xor_b32_e32 v29, v29, v30
	s_branch .LBB633_17
.LBB633_15:
                                        ; implicit-def: $vgpr29
                                        ; implicit-def: $vgpr28
                                        ; implicit-def: $vgpr14_vgpr15_vgpr16_vgpr17
                                        ; implicit-def: $vgpr10_vgpr11_vgpr12_vgpr13
                                        ; implicit-def: $vgpr22_vgpr23_vgpr24_vgpr25
                                        ; implicit-def: $vgpr18_vgpr19_vgpr20_vgpr21
	s_cbranch_execz .LBB633_17
; %bb.16:
	s_waitcnt vmcnt(0)
	v_lshlrev_b32_e32 v10, 1, v26
	v_lshl_or_b32 v28, v47, 8, v10
	s_and_b32 s1, s1, 0xffff
	s_mov_b32 s3, 0x20000
	s_movk_i32 s2, 0x4000
	v_lshl_or_b32 v29, v27, 8, v10
	s_movk_i32 s4, 0x80
	buffer_load_dwordx4 v[14:17], v28, s[0:3], 0 offen
	buffer_load_dwordx4 v[10:13], v28, s[0:3], s4 offen
	;; [unrolled: 1-line block ×4, first 2 shown]
	v_lshrrev_b32_e32 v28, 3, v26
	v_lshlrev_b32_e32 v29, 3, v47
	v_or_b32_e32 v28, v29, v28
	v_lshlrev_b32_e32 v28, 4, v28
	v_and_b32_e32 v29, 0x78, v29
	v_xor_b32_e32 v29, v28, v29
	v_lshlrev_b32_e32 v28, 7, v27
.LBB633_17:
	s_lshl_b64 s[0:1], s[28:29], 8
	s_add_u32 s4, s12, s0
	s_movk_i32 s0, 0x1000
	v_and_or_b32 v27, v28, s0, v29
	s_waitcnt vmcnt(1)
	ds_write_b64 v29, v[14:15] offset:16384
	v_xor_b32_e32 v14, 8, v29
	ds_write_b64 v14, v[16:17] offset:16384
	s_waitcnt vmcnt(0)
	ds_write_b64 v29, v[10:11] offset:24576
	ds_write_b64 v14, v[12:13] offset:24576
	;; [unrolled: 1-line block ×3, first 2 shown]
	v_xor_b32_e32 v10, 8, v27
	ds_write_b64 v10, v[24:25] offset:16384
	ds_write_b64 v27, v[18:19] offset:24576
	ds_write_b64 v10, v[20:21] offset:24576
	v_or_b32_e32 v10, v54, v56
	v_lshlrev_b32_e32 v10, 3, v10
	v_lshrrev_b32_e32 v12, 5, v45
	s_movk_i32 s6, 0xf8
	v_and_or_b32 v12, v10, s6, v12
	v_lshlrev_b32_e32 v49, 11, v1
	v_lshlrev_b32_e32 v20, 4, v12
	v_and_b32_e32 v21, 0x78, v10
	v_and_b32_e32 v22, 0x1000, v49
	v_lshlrev_b32_e32 v11, 2, v0
	v_xor_b32_e32 v10, v20, v21
	v_lshrrev_b32_e32 v12, 1, v45
	v_and_b32_e32 v11, 60, v11
	v_or_b32_e32 v10, v10, v22
	v_and_b32_e32 v23, 8, v12
	v_xor_b32_e32 v34, v10, v23
	v_lshl_or_b32 v10, v55, 6, v11
	v_lshlrev_b32_e32 v50, 1, v10
	v_or_b32_e32 v10, 32, v20
	v_xor_b32_e32 v10, v10, v21
	s_waitcnt lgkmcnt(0)
	s_barrier
	ds_read_b64 v[18:19], v34 offset:16384
	v_or_b32_e32 v10, v10, v22
	v_xor_b32_e32 v35, v10, v23
	v_or_b32_e32 v10, 64, v20
	v_xor_b32_e32 v10, v10, v21
	v_or_b32_e32 v10, v10, v22
	v_or_b32_e32 v20, 0x60, v20
	v_xor_b32_e32 v36, v10, v23
	ds_read2st64_b64 v[10:13], v50 offset0:72 offset1:73
	ds_read2st64_b64 v[14:17], v50 offset0:74 offset1:75
	v_xor_b32_e32 v24, v20, v21
	ds_read_b64 v[20:21], v35 offset:16384
	s_addc_u32 s5, s13, s1
	s_add_i32 s1, s48, s33
	s_waitcnt lgkmcnt(2)
	v_mfma_f32_16x16x16_bf16 a[0:3], v[18:19], v[10:11], 0
	s_add_i32 s0, s20, -1
	s_add_i32 s41, s1, s52
	s_add_i32 s1, s50, s49
	;; [unrolled: 1-line block ×3, first 2 shown]
	s_ashr_i32 s1, s0, 31
	s_mul_i32 s2, s0, s37
	s_mul_hi_u32 s3, s0, s36
	s_add_i32 s2, s3, s2
	s_mul_i32 s1, s1, s36
	v_or_b32_e32 v22, v24, v22
	s_add_i32 s1, s2, s1
	s_lshl_b64 s[2:3], s[40:41], 2
	v_xor_b32_e32 v51, v22, v23
	ds_read_b64 v[22:23], v36 offset:16384
	ds_read_b64 v[24:25], v51 offset:16384
	s_waitcnt lgkmcnt(2)
	v_mfma_f32_16x16x16_bf16 a[0:3], v[20:21], v[12:13], a[0:3]
	s_add_u32 s6, s18, s2
	s_addc_u32 s7, s19, s3
	s_lshl_b64 s[2:3], s[38:39], 2
	s_mul_i32 s0, s0, s36
	s_add_u32 s12, s6, s2
	s_addc_u32 s13, s7, s3
	s_lshl_b64 s[0:1], s[0:1], 2
	s_waitcnt lgkmcnt(1)
	v_mfma_f32_16x16x16_bf16 a[0:3], v[22:23], v[14:15], a[0:3]
	s_add_u32 s0, s12, s0
	s_addc_u32 s1, s13, s1
	s_load_dword s18, s[0:1], 0x0
	s_waitcnt lgkmcnt(0)
	v_mfma_f32_16x16x16_bf16 a[0:3], v[24:25], v[16:17], a[0:3]
	s_and_b64 vcc, exec, s[26:27]
	s_cbranch_vccz .LBB633_28
; %bb.18:
	v_lshlrev_b32_e32 v27, 1, v47
	s_and_b64 vcc, exec, s[14:15]
	s_cbranch_vccz .LBB633_44
; %bb.19:
	v_cmp_gt_i32_e32 vcc, s31, v27
	v_mov_b32_e32 v14, 0
	v_mov_b32_e32 v10, 0
	;; [unrolled: 1-line block ×5, first 2 shown]
	s_and_saveexec_b64 s[0:1], vcc
	s_cbranch_execz .LBB633_21
; %bb.20:
	v_mad_i64_i32 v[10:11], s[2:3], s23, v27, 0
	v_lshl_add_u64 v[10:11], v[10:11], 1, s[4:5]
	v_lshlrev_b32_e32 v12, 1, v26
	v_mov_b32_e32 v13, 0
	v_lshl_add_u64 v[10:11], v[10:11], 0, v[12:13]
	global_load_dwordx4 v[10:13], v[10:11], off
.LBB633_21:
	s_or_b64 exec, exec, s[0:1]
	v_or_b32_e32 v28, 1, v27
	v_cmp_gt_i32_e64 s[0:1], s31, v28
	v_mov_b32_e32 v15, 0
	v_mov_b32_e32 v16, 0
	;; [unrolled: 1-line block ×3, first 2 shown]
	s_and_saveexec_b64 s[2:3], s[0:1]
	s_cbranch_execz .LBB633_23
; %bb.22:
	v_mad_i64_i32 v[14:15], s[6:7], s23, v28, 0
	v_lshl_add_u64 v[14:15], v[14:15], 1, s[4:5]
	v_lshlrev_b32_e32 v16, 1, v26
	v_mov_b32_e32 v17, 0
	v_lshl_add_u64 v[14:15], v[14:15], 0, v[16:17]
	global_load_dwordx4 v[14:17], v[14:15], off
.LBB633_23:
	s_or_b64 exec, exec, s[2:3]
	v_mov_b32_e32 v25, 0
	v_mov_b32_e32 v18, 0
	;; [unrolled: 1-line block ×5, first 2 shown]
	s_and_saveexec_b64 s[2:3], vcc
	s_cbranch_execz .LBB633_25
; %bb.24:
	v_mad_i64_i32 v[18:19], s[6:7], s23, v27, 0
	v_lshl_add_u64 v[18:19], v[18:19], 1, s[4:5]
	v_lshlrev_b32_e32 v20, 1, v26
	v_mov_b32_e32 v21, 0
	v_lshl_add_u64 v[18:19], v[18:19], 0, v[20:21]
	global_load_dwordx4 v[18:21], v[18:19], off offset:128
.LBB633_25:
	s_or_b64 exec, exec, s[2:3]
	v_mov_b32_e32 v24, 0
	v_mov_b32_e32 v23, 0
	;; [unrolled: 1-line block ×3, first 2 shown]
	s_and_saveexec_b64 s[2:3], s[0:1]
	s_cbranch_execz .LBB633_27
; %bb.26:
	v_mad_i64_i32 v[22:23], s[0:1], s23, v28, 0
	v_lshl_add_u64 v[22:23], v[22:23], 1, s[4:5]
	v_lshlrev_b32_e32 v24, 1, v26
	v_mov_b32_e32 v25, 0
	v_lshl_add_u64 v[22:23], v[22:23], 0, v[24:25]
	global_load_dwordx4 v[22:25], v[22:23], off offset:128
.LBB633_27:
	s_or_b64 exec, exec, s[2:3]
	s_branch .LBB633_46
.LBB633_28:
                                        ; implicit-def: $vgpr13
                                        ; implicit-def: $vgpr17
                                        ; implicit-def: $vgpr21
                                        ; implicit-def: $vgpr25
	v_lshrrev_b32_e32 v45, 2, v45
	s_branch .LBB633_47
.LBB633_29:
                                        ; implicit-def: $vgpr10
                                        ; implicit-def: $vgpr11
                                        ; implicit-def: $sgpr26
	v_lshl_or_b32 v5, v63, 9, v5
.LBB633_30:
	v_or_b32_e32 v10, 0x100, v5
	s_movk_i32 s26, 0x4000
	v_mov_b32_e32 v11, v5
.LBB633_31:
	s_mul_hi_u32 s24, s22, s20
	s_mul_i32 s25, s58, s20
	s_add_i32 s24, s24, s25
	s_mul_i32 s25, s22, s20
	s_mul_i32 s27, s25, s3
	s_mul_hi_u32 s28, s25, s55
	s_add_i32 s27, s28, s27
	s_mul_i32 s24, s24, s55
	s_add_i32 s27, s27, s24
	s_mul_i32 s25, s25, s55
	s_ashr_i32 s63, s59, 31
	s_add_u32 s24, s25, s59
	s_addc_u32 s25, s27, s63
	s_lshl_b64 s[24:25], s[24:25], 8
	s_add_u32 s24, s12, s24
	s_addc_u32 s25, s13, s25
	s_and_b32 s25, s25, 0xffff
	s_mov_b32 s27, 0x20000
	s_movk_i32 s64, 0x80
	buffer_load_dwordx4 v[12:15], v11, s[24:27], 0 offen
	buffer_load_dwordx4 v[16:19], v11, s[24:27], s64 offen
	buffer_load_dwordx4 v[20:23], v10, s[24:27], 0 offen
	buffer_load_dwordx4 v[24:27], v10, s[24:27], s64 offen
	v_and_b32_e32 v10, 6, v0
	v_lshlrev_b32_e32 v28, 2, v56
	v_lshlrev_b32_e32 v29, 3, v56
	v_xor_b32_e32 v31, v63, v10
	v_and_b32_e32 v11, 1, v0
	s_mul_i32 s3, s3, s20
	s_mul_hi_u32 s24, s55, s20
	v_lshl_or_b32 v29, v59, 5, v29
	v_xor_b32_e32 v32, v59, v28
	v_lshlrev_b32_e32 v31, 2, v31
	v_or_b32_e32 v69, 0x9000, v29
	v_or_b32_e32 v70, 0x9800, v29
	v_lshlrev_b32_e32 v29, 1, v32
	v_xor_b32_e32 v32, 0x440, v31
	v_cmp_eq_u32_e32 vcc, 0, v11
	s_add_i32 s69, s24, s3
	s_add_i32 s3, s48, s33
	v_cndmask_b32_e32 v11, v32, v31, vcc
	s_add_i32 s24, s50, s49
	s_add_i32 s41, s3, s52
	s_mov_b32 s66, 0x1000504
	v_lshlrev_b32_e32 v30, 8, v56
	s_mov_b32 s26, 0x8000
	v_xor_b32_e32 v28, v60, v28
	v_lshl_or_b32 v10, v10, 10, v11
	s_add_i32 s39, s24, s51
	s_lshl_b64 s[24:25], s[40:41], 2
	s_mov_b32 s67, 0x3020706
	v_lshlrev_b32_e32 v28, 1, v28
	v_or3_b32 v71, v29, v30, s26
	v_xor_b32_e32 v11, 8, v10
	v_xor_b32_e32 v29, 24, v10
	;; [unrolled: 1-line block ×4, first 2 shown]
	s_add_u32 s3, s18, s24
	v_or3_b32 v72, v28, v30, s26
	v_xor_b32_e32 v28, 16, v10
	v_xor_b32_e32 v30, 32, v10
	;; [unrolled: 1-line block ×3, first 2 shown]
	v_add_u32_e32 v11, 0x80, v11
	v_add_u32_e32 v29, 0x80, v29
	;; [unrolled: 1-line block ×4, first 2 shown]
	s_addc_u32 s28, s19, s25
	s_lshl_b64 s[24:25], s[38:39], 2
	s_add_u32 s44, s3, s24
	s_movk_i32 s3, 0xf8
	s_addc_u32 s45, s28, s25
	v_ashrrev_i32_e32 v47, 31, v46
	s_lshl_b32 s30, s23, 7
	s_mov_b32 s65, 0
	s_mul_i32 s68, s55, s20
	v_mov_b32_e32 v86, 0x3fb8aa3b
	s_mov_b32 s41, 0
	s_waitcnt vmcnt(1)
	v_perm_b32 v34, v12, v20, s66
	s_waitcnt vmcnt(0)
	v_perm_b32 v35, v16, v24, s66
	v_perm_b32 v12, v12, v20, s67
	;; [unrolled: 1-line block ×15, first 2 shown]
	ds_write2st64_b32 v10, v34, v35 offset1:32
	ds_write2st64_b32 v11, v12, v16 offset1:32
	ds_write2st64_b32 v28, v20, v24 offset0:1 offset1:33
	ds_write2st64_b32 v29, v13, v17 offset0:1 offset1:33
	;; [unrolled: 1-line block ×6, first 2 shown]
	v_or_b32_e32 v10, v54, v56
	v_lshlrev_b32_e32 v10, 3, v10
	v_lshrrev_b32_e32 v12, 5, v45
	v_and_or_b32 v12, v10, s3, v12
	v_lshlrev_b32_e32 v12, 4, v12
	v_lshlrev_b32_e32 v18, 11, v1
	v_and_b32_e32 v10, 0x78, v10
	v_or_b32_e32 v15, 32, v12
	v_and_b32_e32 v11, 0x1000, v18
	v_lshrrev_b32_e32 v19, 1, v0
	v_xor_b32_e32 v15, v15, v10
	v_and_b32_e32 v14, 8, v19
	v_or_b32_e32 v15, v15, v11
	v_xor_b32_e32 v13, v12, v10
	v_xor_b32_e32 v75, v15, v14
	v_or_b32_e32 v15, 64, v12
	v_or_b32_e32 v12, 0x60, v12
	v_xor_b32_e32 v15, v15, v10
	v_xor_b32_e32 v10, v12, v10
	v_or_b32_e32 v13, v13, v11
	v_or_b32_e32 v15, v15, v11
	;; [unrolled: 1-line block ×3, first 2 shown]
	v_xor_b32_e32 v73, v13, v14
	v_xor_b32_e32 v76, v15, v14
	;; [unrolled: 1-line block ×3, first 2 shown]
	v_lshrrev_b32_e32 v14, 4, v0
	v_lshlrev_b32_e32 v15, 1, v56
	s_ashr_i32 s3, s2, 31
	v_or_b32_e32 v16, 1, v15
	v_xor_b32_e32 v15, v14, v15
	s_lshl_b64 s[24:25], s[2:3], 8
	v_xor_b32_e32 v16, v16, v14
	v_lshlrev_b32_e32 v15, 3, v15
	v_lshlrev_b32_e32 v14, 8, v14
	v_lshlrev_b64 v[10:11], 1, v[46:47]
	s_add_u32 s24, s6, s24
	v_or3_b32 v47, v15, v14, s26
	v_lshlrev_b32_e32 v15, 3, v16
	s_addc_u32 s25, s7, s25
	v_or3_b32 v79, v15, v14, s26
	v_mov_b32_e32 v15, 0
	v_lshl_add_u64 v[16:17], s[24:25], 0, v[14:15]
	v_lshlrev_b32_e32 v14, 4, v56
	s_movk_i32 s3, 0xff
	v_lshlrev_b32_e32 v23, 3, v1
	v_and_b32_e32 v19, 24, v19
	v_lshl_add_u64 v[48:49], v[16:17], 0, v[14:15]
	v_and_b32_e32 v16, 8, v0
	v_cmp_lt_u32_e32 vcc, s3, v0
	v_xor_b32_e32 v24, v23, v19
	v_or_b32_e32 v25, 0x440, v24
	v_cndmask_b32_e64 v22, 0, 1, vcc
	v_cmp_eq_u32_e32 vcc, 0, v16
	v_and_b32_e32 v14, 7, v0
	v_lshlrev_b32_e32 v17, 3, v14
	v_cndmask_b32_e32 v16, v25, v24, vcc
	v_lshlrev_b32_e32 v14, 7, v14
	v_or_b32_e32 v16, v16, v18
	v_xad_u32 v80, v16, v17, v14
	v_or_b32_e32 v16, 32, v19
	v_xor_b32_e32 v16, v23, v16
	v_or_b32_e32 v24, 0x440, v16
	v_cndmask_b32_e32 v16, v24, v16, vcc
	v_or_b32_e32 v16, v16, v18
	v_xad_u32 v81, v16, v17, v14
	v_or_b32_e32 v16, 64, v19
	v_xor_b32_e32 v16, v23, v16
	v_xor_b32_e32 v24, 0x440, v16
	v_cndmask_b32_e32 v16, v24, v16, vcc
	v_or_b32_e32 v16, v16, v18
	v_xad_u32 v82, v16, v17, v14
	v_or_b32_e32 v16, 0x60, v19
	v_xor_b32_e32 v16, v23, v16
	v_xor_b32_e32 v19, 0x440, v16
	v_and_b32_e32 v13, 0x78, v57
	v_cndmask_b32_e32 v16, v19, v16, vcc
	v_lshl_or_b32 v13, v55, 7, v13
	v_or_b32_e32 v16, v16, v18
	v_or_b32_e32 v74, 0x9000, v13
	;; [unrolled: 1-line block ×3, first 2 shown]
	v_lshl_add_u64 v[12:13], s[16:17], 0, v[10:11]
	v_lshl_add_u64 v[10:11], s[8:9], 0, v[10:11]
	v_lshlrev_b32_e32 v20, 1, v9
	v_add_lshl_u32 v9, v9, s23, 1
	v_or_b32_e32 v21, 0x100, v5
	v_lshlrev_b32_e32 v22, 13, v22
	v_xad_u32 v83, v16, v17, v14
	v_lshlrev_b32_e32 v14, 8, v59
	v_cndmask_b32_e64 v84, v20, v5, s[0:1]
	v_cndmask_b32_e64 v85, v9, v21, s[0:1]
	v_lshl_add_u64 v[50:51], v[12:13], 0, v[14:15]
	v_lshl_add_u64 v[52:53], v[10:11], 0, v[14:15]
	s_mov_b32 s3, 0x7060302
	s_movk_i32 s26, 0x4000
	v_add_u32_e32 v87, v22, v80
	v_add_u32_e32 v88, v22, v81
	;; [unrolled: 1-line block ×4, first 2 shown]
	s_waitcnt lgkmcnt(0)
	s_barrier
.LBB633_32:                             ; =>This Inner Loop Header: Depth=1
	s_add_i32 s39, s41, 1
	s_cmp_lt_i32 s39, s56
	s_mov_b64 s[28:29], 0
	s_cselect_b64 s[46:47], -1, 0
	s_cmp_ge_i32 s39, s56
	s_mov_b64 s[24:25], 0
	s_cbranch_scc1 .LBB633_34
; %bb.33:                               ;   in Loop: Header=BB633_32 Depth=1
	s_add_i32 s0, s65, 64
	s_add_u32 s0, s4, s0
	s_addc_u32 s1, s5, 0
	s_lshl_b64 s[0:1], s[0:1], 8
	s_add_u32 s24, s14, s0
	s_addc_u32 s25, s15, s1
.LBB633_34:                             ;   in Loop: Header=BB633_32 Depth=1
	v_cndmask_b32_e64 v5, 0, 1, s[46:47]
	v_cmp_ne_u32_e64 s[0:1], 1, v5
	s_andn2_b64 vcc, exec, s[46:47]
	s_cbranch_vccnz .LBB633_36
; %bb.35:                               ;   in Loop: Header=BB633_32 Depth=1
	s_add_i32 s28, s65, 64
	s_add_u32 s28, s68, s28
	s_addc_u32 s29, s69, 0
	s_mul_i32 s31, s28, s58
	s_mul_hi_u32 s46, s28, s62
	s_add_i32 s31, s46, s31
	s_mul_i32 s29, s29, s62
	s_add_i32 s31, s31, s29
	s_mul_i32 s28, s28, s62
	s_add_u32 s28, s28, s59
	s_addc_u32 s29, s31, s63
	s_lshl_b64 s[28:29], s[28:29], 8
	s_add_u32 s28, s12, s28
	s_addc_u32 s29, s13, s29
.LBB633_36:                             ;   in Loop: Header=BB633_32 Depth=1
	v_perm_b32 v11, v61, v4, s3
	v_perm_b32 v10, v3, v2, s3
	;; [unrolled: 1-line block ×4, first 2 shown]
	ds_write_b64 v69, v[10:11]
	ds_write_b64 v70, v[12:13]
	;; [unrolled: 1-line block ×4, first 2 shown]
	s_waitcnt lgkmcnt(0)
	s_barrier
	ds_read_b64 v[18:19], v73 offset:16384
	ds_read_b64 v[20:21], v75 offset:16384
	ds_read2st64_b64 v[10:13], v74 offset1:1
	ds_read2st64_b64 v[14:17], v74 offset0:2 offset1:3
	ds_read_b64 v[22:23], v76 offset:16384
	s_waitcnt lgkmcnt(2)
	v_mfma_f32_16x16x16_bf16 a[0:3], v[18:19], v[10:11], 0
	ds_read_b64 v[10:11], v77 offset:16384
	s_add_i32 s31, s65, 63
	s_mul_i32 s46, s31, s37
	v_mfma_f32_16x16x16_bf16 a[0:3], v[20:21], v[12:13], a[0:3]
	s_mul_hi_u32 s47, s31, s36
	s_add_i32 s47, s47, s46
	s_mul_i32 s46, s31, s36
	s_waitcnt lgkmcnt(1)
	v_mfma_f32_16x16x16_bf16 a[0:3], v[22:23], v[14:15], a[0:3]
	s_lshl_b64 s[46:47], s[46:47], 2
	s_add_u32 s46, s44, s46
	s_addc_u32 s47, s45, s47
	s_waitcnt lgkmcnt(0)
	v_mfma_f32_16x16x16_bf16 a[0:3], v[10:11], v[16:17], a[0:3]
	s_and_b64 vcc, exec, s[0:1]
	v_mov_b32_e32 v91, 0
	v_mov_b32_e32 v9, 0
	;; [unrolled: 1-line block ×19, first 2 shown]
	s_cbranch_vccnz .LBB633_38
; %bb.37:                               ;   in Loop: Header=BB633_32 Depth=1
	s_and_b32 s25, s25, 0xffff
	buffer_load_dwordx4 v[22:25], v65, s[24:27], 0 offen
	buffer_load_dwordx4 v[18:21], v65, s[24:27], s64 offen
	;; [unrolled: 1-line block ×4, first 2 shown]
	v_mov_b32_e32 v9, v67
	v_mov_b32_e32 v5, v68
.LBB633_38:                             ;   in Loop: Header=BB633_32 Depth=1
	s_waitcnt vmcnt(3)
	v_add_u32_e32 v32, s65, v59
	s_waitcnt vmcnt(1)
	v_ashrrev_i32_e32 v26, 31, v32
	v_mul_lo_u32 v28, v26, s36
	v_mul_lo_u32 v29, v32, s37
	v_mad_u64_u32 v[26:27], s[24:25], v32, s36, 0
	v_add3_u32 v27, v27, v29, v28
	v_add_u32_e32 v28, 1, v32
	v_ashrrev_i32_e32 v29, 31, v28
	v_mul_lo_u32 v30, v29, s36
	v_mul_lo_u32 v31, v28, s37
	v_mad_u64_u32 v[28:29], s[24:25], v28, s36, 0
	v_add3_u32 v29, v29, v31, v30
	v_add_u32_e32 v30, 2, v32
	v_ashrrev_i32_e32 v31, 31, v30
	v_mul_lo_u32 v33, v31, s36
	v_mul_lo_u32 v34, v30, s37
	v_mad_u64_u32 v[30:31], s[24:25], v30, s36, 0
	s_add_u32 s24, s4, s65
	v_add3_u32 v31, v31, v34, v33
	v_add_u32_e32 v34, 3, v32
	s_addc_u32 s25, s5, 0
	v_ashrrev_i32_e32 v32, 31, v34
	s_lshl_b64 s[70:71], s[24:25], 8
	v_lshl_add_u64 v[26:27], v[26:27], 2, s[44:45]
	v_mul_lo_u32 v35, v32, s36
	v_lshl_add_u64 v[32:33], v[50:51], 0, s[70:71]
	v_mul_lo_u32 v36, v34, s37
	global_load_ushort v93, v[32:33], off
	global_load_ushort v94, v[32:33], off offset:256
	global_load_ushort v96, v[32:33], off offset:512
	;; [unrolled: 1-line block ×3, first 2 shown]
	global_load_dword v97, v[26:27], off
	v_mad_u64_u32 v[26:27], s[24:25], v34, s36, 0
	v_lshl_add_u64 v[28:29], v[28:29], 2, s[44:45]
	v_add3_u32 v27, v27, v36, v35
	v_lshl_add_u64 v[30:31], v[30:31], 2, s[44:45]
	v_lshl_add_u64 v[26:27], v[26:27], 2, s[44:45]
	global_load_dword v98, v[28:29], off
	global_load_dword v99, v[30:31], off
	global_load_dword v100, v[26:27], off
	ds_read_b64 v[26:27], v73 offset:24576
	s_load_dword s24, s[46:47], 0x0
	ds_read_b64 v[36:37], v75 offset:24576
	ds_read2st64_b64 v[28:31], v78 offset1:1
	ds_read2st64_b64 v[32:35], v78 offset0:2 offset1:3
	ds_read_b64 v[38:39], v76 offset:24576
	ds_read_b64 v[40:41], v77 offset:24576
	s_waitcnt lgkmcnt(0)
	v_mfma_f32_16x16x16_bf16 a[0:3], v[26:27], v[28:29], a[0:3]
	v_mov_b32_e32 v92, 0
	v_mov_b32_e32 v26, 0
	;; [unrolled: 1-line block ×3, first 2 shown]
	v_mfma_f32_16x16x16_bf16 a[0:3], v[36:37], v[30:31], a[0:3]
	v_lshl_add_u64 v[36:37], v[52:53], 0, s[70:71]
	v_mov_b32_e32 v28, 0
	v_mov_b32_e32 v29, 0
	v_mfma_f32_16x16x16_bf16 a[0:3], v[38:39], v[32:33], a[0:3]
	v_mov_b32_e32 v30, 0
	v_mov_b32_e32 v31, 0
	;; [unrolled: 1-line block ×3, first 2 shown]
	v_mfma_f32_16x16x16_bf16 a[0:3], v[40:41], v[34:35], a[0:3]
	s_and_b64 vcc, exec, s[0:1]
	s_waitcnt vmcnt(7)
	v_lshlrev_b32_e32 v40, 16, v93
	s_nop 3
	v_accvgpr_read_b32 v39, a1
	v_accvgpr_read_b32 v35, a3
	;; [unrolled: 1-line block ×4, first 2 shown]
	s_waitcnt vmcnt(6)
	v_lshlrev_b32_e32 v41, 16, v94
	s_waitcnt vmcnt(4)
	v_lshlrev_b32_e32 v95, 16, v95
	v_lshlrev_b32_e32 v94, 16, v96
	s_waitcnt vmcnt(3)
	v_sub_f32_e32 v33, s24, v97
	v_pk_add_f32 v[38:39], v[40:41], v[38:39] neg_lo:[0,1] neg_hi:[0,1]
	v_pk_add_f32 v[34:35], v[94:95], v[34:35] neg_lo:[0,1] neg_hi:[0,1]
	v_mul_f32_e32 v33, 0x3fb8aa3b, v33
	s_waitcnt vmcnt(2)
	v_sub_f32_e32 v41, s24, v98
	s_waitcnt vmcnt(1)
	v_sub_f32_e32 v93, s24, v99
	;; [unrolled: 2-line block ×3, first 2 shown]
	v_exp_f32_e32 v40, v33
	v_mul_f32_e32 v33, 0x3fb8aa3b, v41
	v_mul_f32_e32 v93, 0x3fb8aa3b, v93
	;; [unrolled: 1-line block ×3, first 2 shown]
	v_exp_f32_e32 v41, v33
	v_exp_f32_e32 v94, v93
	;; [unrolled: 1-line block ×3, first 2 shown]
	global_store_short_d16_hi v[36:37], v38, off
	global_store_short_d16_hi v[36:37], v39, off offset:256
	global_store_short_d16_hi v[36:37], v34, off offset:512
	global_store_short_d16_hi v[36:37], v35, off offset:768
	v_pk_mul_f32 v[36:37], v[40:41], v[38:39]
	v_pk_mul_f32 v[34:35], v[94:95], v[34:35]
	v_mov_b32_e32 v33, 0
	v_perm_b32 v35, v35, v34, s3
	v_perm_b32 v34, v37, v36, s3
	ds_write_b64 v70, v[34:35]
	v_mov_b32_e32 v34, 0
	v_mov_b32_e32 v35, 0
	v_mov_b32_e32 v36, 0
	v_mov_b32_e32 v37, 0
	v_mov_b32_e32 v38, 0
	v_mov_b32_e32 v39, 0
	v_mov_b32_e32 v40, 0
	v_mov_b32_e32 v41, 0
	s_cbranch_vccnz .LBB633_40
; %bb.39:                               ;   in Loop: Header=BB633_32 Depth=1
	s_and_b32 s29, s29, 0xffff
	s_mov_b32 s31, s27
	buffer_load_dwordx4 v[38:41], v84, s[28:31], 0 offen
	buffer_load_dwordx4 v[30:33], v84, s[28:31], s64 offen
	;; [unrolled: 1-line block ×4, first 2 shown]
	v_mov_b32_e32 v91, v64
	v_mov_b32_e32 v92, v63
.LBB633_40:                             ;   in Loop: Header=BB633_32 Depth=1
	s_waitcnt lgkmcnt(0)
	s_barrier
	ds_read_b64 v[102:103], v87
	ds_read2st64_b64 v[94:97], v78 offset1:1
	ds_read2st64_b64 v[98:101], v78 offset0:2 offset1:3
	ds_read_b64 v[104:105], v88
	ds_read_b64 v[106:107], v89
	ds_read_b64 v[108:109], v90
	s_waitcnt lgkmcnt(4)
	v_mfma_f32_16x16x16_bf16 a[0:3], v[102:103], v[94:95], 0
	ds_read_b64 v[102:103], v80 offset:8192
	ds_read_b64 v[110:111], v81 offset:8192
	s_add_i32 s25, s60, s41
	s_mul_hi_i32 s29, s25, s21
	s_waitcnt lgkmcnt(1)
	v_mfma_f32_16x16x16_bf16 a[4:7], v[102:103], v[94:95], 0
	s_mul_i32 s25, s25, s21
	s_add_u32 s28, s25, s53
	s_addc_u32 s29, s29, s57
	v_mfma_f32_16x16x16_bf16 a[0:3], v[104:105], v[96:97], a[0:3]
	ds_read_b64 v[102:103], v47
	ds_read_b64 v[104:105], v79
	ds_read_b64 v[94:95], v82 offset:8192
	s_lshl_b64 s[28:29], s[28:29], 15
	v_mfma_f32_16x16x16_bf16 a[0:3], v[106:107], v[98:99], a[0:3]
	ds_read_b64 v[106:107], v83 offset:8192
	s_and_b64 vcc, exec, s[0:1]
	s_waitcnt lgkmcnt(4)
	v_mfma_f32_16x16x16_bf16 a[4:7], v[110:111], v[96:97], a[4:7]
	s_waitcnt lgkmcnt(1)
	v_mfma_f32_16x16x16_bf16 a[4:7], v[94:95], v[98:99], a[4:7]
	v_lshl_add_u64 v[94:95], v[48:49], 0, s[28:29]
	global_store_dwordx4 v[94:95], v[102:105], off
	v_mfma_f32_16x16x16_bf16 a[0:3], v[108:109], v[100:101], a[0:3]
	s_waitcnt lgkmcnt(0)
	v_mfma_f32_16x16x16_bf16 a[4:7], v[106:107], v[100:101], a[4:7]
	s_cbranch_vccnz .LBB633_42
; %bb.41:                               ;   in Loop: Header=BB633_32 Depth=1
	v_lshrrev_b32_e32 v93, 3, v91
	v_and_b32_e32 v93, 6, v93
	v_xor_b32_e32 v92, v93, v92
	v_lshlrev_b32_e32 v92, 2, v92
	v_and_b32_e32 v91, 8, v91
	v_xor_b32_e32 v94, 0x440, v92
	v_cmp_eq_u32_e32 vcc, 0, v91
	s_barrier
	s_nop 0
	v_cndmask_b32_e32 v91, v94, v92, vcc
	v_lshl_or_b32 v91, v93, 10, v91
	s_waitcnt vmcnt(2)
	v_perm_b32 v92, v38, v34, s66
	s_waitcnt vmcnt(1)
	v_perm_b32 v93, v30, v26, s66
	ds_write2st64_b32 v91, v92, v93 offset1:32
	v_xor_b32_e32 v92, 8, v91
	v_perm_b32 v34, v38, v34, s67
	v_perm_b32 v26, v30, v26, s67
	v_add_u32_e32 v30, 0x80, v92
	ds_write2st64_b32 v30, v34, v26 offset1:32
	v_xor_b32_e32 v26, 16, v91
	v_perm_b32 v30, v39, v35, s66
	v_perm_b32 v34, v31, v27, s66
	ds_write2st64_b32 v26, v30, v34 offset0:1 offset1:33
	v_xor_b32_e32 v26, 24, v91
	v_perm_b32 v30, v39, v35, s67
	v_perm_b32 v27, v31, v27, s67
	v_add_u32_e32 v26, 0x80, v26
	ds_write2st64_b32 v26, v30, v27 offset0:1 offset1:33
	v_xor_b32_e32 v26, 32, v91
	v_perm_b32 v27, v40, v36, s66
	v_perm_b32 v30, v32, v28, s66
	ds_write2st64_b32 v26, v27, v30 offset0:2 offset1:34
	v_xor_b32_e32 v26, 40, v91
	v_perm_b32 v27, v40, v36, s67
	v_perm_b32 v28, v32, v28, s67
	v_add_u32_e32 v26, 0x80, v26
	ds_write2st64_b32 v26, v27, v28 offset0:2 offset1:34
	;; [unrolled: 9-line block ×3, first 2 shown]
	ds_write_b64 v9, v[22:23] offset:16384
	v_xor_b32_e32 v22, 8, v9
	ds_write_b64 v22, v[24:25] offset:16384
	ds_write_b64 v9, v[18:19] offset:24576
	;; [unrolled: 1-line block ×4, first 2 shown]
	v_xor_b32_e32 v9, 8, v5
	ds_write_b64 v9, v[16:17] offset:16384
	ds_write_b64 v5, v[10:11] offset:24576
	;; [unrolled: 1-line block ×3, first 2 shown]
.LBB633_42:                             ;   in Loop: Header=BB633_32 Depth=1
	v_mul_f32_e32 v5, s24, v86
	v_exp_f32_e32 v10, v5
	s_nop 1
	v_accvgpr_read_b32 v9, a1
	v_accvgpr_read_b32 v5, a0
	s_add_i32 s65, s65, 64
	v_fma_f32 v3, v3, v10, v9
	v_accvgpr_read_b32 v9, a4
	v_fma_f32 v6, v6, v10, v9
	v_accvgpr_read_b32 v9, a5
	;; [unrolled: 2-line block ×6, first 2 shown]
	v_fmac_f32_e32 v5, v61, v10
	s_cmp_eq_u32 s56, s39
	v_fmac_f32_e32 v9, v62, v10
	s_cbranch_scc1 .LBB633_4
; %bb.43:                               ;   in Loop: Header=BB633_32 Depth=1
	s_mov_b32 s41, s39
	v_mov_b32_e32 v61, v5
	v_mov_b32_e32 v62, v9
	s_branch .LBB633_32
.LBB633_44:
                                        ; implicit-def: $vgpr13
                                        ; implicit-def: $vgpr17
                                        ; implicit-def: $vgpr21
                                        ; implicit-def: $vgpr25
	s_cbranch_execz .LBB633_46
; %bb.45:
	s_waitcnt vmcnt(0)
	v_mad_u64_u32 v[10:11], s[0:1], v27, s23, v[26:27]
	v_lshlrev_b32_e32 v27, 1, v10
	s_lshl_b32 s2, s23, 7
	s_and_b32 s1, s5, 0xffff
	s_mov_b32 s3, 0x20000
	s_mov_b32 s0, s4
	v_add_lshl_u32 v28, v10, s23, 1
	s_movk_i32 s6, 0x80
	buffer_load_dwordx4 v[10:13], v27, s[0:3], 0 offen
	buffer_load_dwordx4 v[18:21], v27, s[0:3], s6 offen
	buffer_load_dwordx4 v[14:17], v28, s[0:3], 0 offen
	buffer_load_dwordx4 v[22:25], v28, s[0:3], s6 offen
.LBB633_46:
	v_lshrrev_b32_e32 v45, 2, v45
	s_cbranch_execnz .LBB633_59
.LBB633_47:
	s_and_b64 vcc, exec, s[14:15]
	s_cbranch_vccz .LBB633_57
; %bb.48:
	s_waitcnt vmcnt(0)
	v_lshlrev_b32_e32 v15, 1, v47
	v_cmp_gt_i32_e32 vcc, s31, v15
	v_mov_b32_e32 v14, 0
	v_lshlrev_b32_e32 v22, 9, v47
	v_mov_b32_e32 v10, 0
	v_mov_b32_e32 v11, 0
	;; [unrolled: 1-line block ×4, first 2 shown]
	s_and_saveexec_b64 s[0:1], vcc
	s_cbranch_execz .LBB633_50
; %bb.49:
	v_mov_b32_e32 v23, 0
	v_lshl_add_u64 v[10:11], s[4:5], 0, v[22:23]
	v_lshlrev_b32_e32 v12, 1, v26
	v_mov_b32_e32 v13, v23
	v_lshl_add_u64 v[10:11], v[10:11], 0, v[12:13]
	global_load_dwordx4 v[10:13], v[10:11], off
.LBB633_50:
	s_or_b64 exec, exec, s[0:1]
	v_or_b32_e32 v15, 1, v15
	v_cmp_gt_i32_e64 s[0:1], s31, v15
	v_lshlrev_b32_e32 v28, 8, v15
	v_mov_b32_e32 v15, 0
	v_mov_b32_e32 v16, 0
	;; [unrolled: 1-line block ×3, first 2 shown]
	s_and_saveexec_b64 s[2:3], s[0:1]
	s_cbranch_execz .LBB633_52
; %bb.51:
	v_mov_b32_e32 v29, 0
	v_lshl_add_u64 v[14:15], s[4:5], 0, v[28:29]
	v_lshlrev_b32_e32 v16, 1, v26
	v_mov_b32_e32 v17, v29
	v_lshl_add_u64 v[14:15], v[14:15], 0, v[16:17]
	global_load_dwordx4 v[14:17], v[14:15], off
.LBB633_52:
	s_or_b64 exec, exec, s[2:3]
	v_mov_b32_e32 v25, 0
	v_mov_b32_e32 v18, 0
	;; [unrolled: 1-line block ×5, first 2 shown]
	s_and_saveexec_b64 s[2:3], vcc
	s_cbranch_execz .LBB633_54
; %bb.53:
	v_mov_b32_e32 v23, 0
	v_lshl_add_u64 v[18:19], s[4:5], 0, v[22:23]
	v_lshlrev_b32_e32 v22, 1, v26
	v_lshl_add_u64 v[18:19], v[18:19], 0, v[22:23]
	global_load_dwordx4 v[18:21], v[18:19], off offset:128
.LBB633_54:
	s_or_b64 exec, exec, s[2:3]
	v_mov_b32_e32 v24, 0
	v_mov_b32_e32 v23, 0
	;; [unrolled: 1-line block ×3, first 2 shown]
	s_and_saveexec_b64 s[2:3], s[0:1]
	s_cbranch_execz .LBB633_56
; %bb.55:
	v_mov_b32_e32 v29, 0
	v_lshl_add_u64 v[22:23], s[4:5], 0, v[28:29]
	v_lshlrev_b32_e32 v28, 1, v26
	v_lshl_add_u64 v[22:23], v[22:23], 0, v[28:29]
	global_load_dwordx4 v[22:25], v[22:23], off offset:128
.LBB633_56:
	s_or_b64 exec, exec, s[2:3]
	s_branch .LBB633_59
.LBB633_57:
                                        ; implicit-def: $vgpr13
                                        ; implicit-def: $vgpr17
                                        ; implicit-def: $vgpr21
                                        ; implicit-def: $vgpr25
	s_cbranch_execz .LBB633_59
; %bb.58:
	s_waitcnt vmcnt(0)
	v_lshlrev_b32_e32 v10, 1, v26
	v_lshl_or_b32 v26, v47, 9, v10
	s_and_b32 s5, s5, 0xffff
	s_mov_b32 s7, 0x20000
	s_movk_i32 s6, 0x4000
	s_movk_i32 s0, 0x80
	buffer_load_dwordx4 v[10:13], v26, s[4:7], 0 offen
	buffer_load_dwordx4 v[14:17], v26, s[4:7], 0 offen offset:256
	buffer_load_dwordx4 v[18:21], v26, s[4:7], s0 offen
	buffer_load_dwordx4 v[22:25], v26, s[4:7], s0 offen offset:256
.LBB633_59:
	ds_read2st64_b64 v[30:33], v50 offset0:76 offset1:77
	ds_read2st64_b64 v[26:29], v50 offset0:78 offset1:79
	ds_read_b64 v[40:41], v34 offset:24576
	ds_read_b64 v[38:39], v35 offset:24576
	;; [unrolled: 1-line block ×4, first 2 shown]
	v_and_b32_e32 v51, 6, v0
	v_xor_b32_e32 v47, v47, v51
	v_lshlrev_b32_e32 v47, 2, v47
	v_and_b32_e32 v52, 1, v0
	v_xor_b32_e32 v53, 0x440, v47
	v_cmp_eq_u32_e32 vcc, 0, v52
	s_mov_b32 s0, 0x1000504
	s_waitcnt vmcnt(0)
	v_perm_b32 v52, v18, v22, s0
	v_cndmask_b32_e32 v47, v53, v47, vcc
	v_lshl_or_b32 v47, v51, 10, v47
	v_perm_b32 v51, v10, v14, s0
	ds_write2st64_b32 v47, v51, v52 offset1:32
	v_xor_b32_e32 v51, 8, v47
	s_mov_b32 s1, 0x3020706
	v_perm_b32 v10, v10, v14, s1
	v_perm_b32 v14, v18, v22, s1
	v_add_u32_e32 v18, 0x80, v51
	ds_write2st64_b32 v18, v10, v14 offset1:32
	v_xor_b32_e32 v10, 16, v47
	v_perm_b32 v14, v11, v15, s0
	v_perm_b32 v18, v19, v23, s0
	ds_write2st64_b32 v10, v14, v18 offset0:1 offset1:33
	v_xor_b32_e32 v10, 24, v47
	v_perm_b32 v11, v11, v15, s1
	v_perm_b32 v14, v19, v23, s1
	v_add_u32_e32 v10, 0x80, v10
	ds_write2st64_b32 v10, v11, v14 offset0:1 offset1:33
	v_xor_b32_e32 v10, 32, v47
	v_perm_b32 v11, v12, v16, s0
	v_perm_b32 v14, v20, v24, s0
	ds_write2st64_b32 v10, v11, v14 offset0:2 offset1:34
	v_xor_b32_e32 v10, 40, v47
	v_perm_b32 v11, v12, v16, s1
	v_perm_b32 v12, v20, v24, s1
	v_add_u32_e32 v10, 0x80, v10
	ds_write2st64_b32 v10, v11, v12 offset0:2 offset1:34
	v_xor_b32_e32 v10, 48, v47
	v_perm_b32 v11, v13, v17, s0
	v_perm_b32 v12, v21, v25, s0
	ds_write2st64_b32 v10, v11, v12 offset0:3 offset1:35
	v_xor_b32_e32 v10, 56, v47
	v_and_or_b32 v18, v45, 12, v54
	v_perm_b32 v11, v13, v17, s1
	v_perm_b32 v12, v21, v25, s1
	v_add_u32_e32 v10, 0x80, v10
	v_cmp_gt_i32_e32 vcc, s31, v18
	v_mov_b32_e32 v20, 0
	v_mov_b32_e32 v24, 0
	ds_write2st64_b32 v10, v11, v12 offset0:3 offset1:35
	s_and_saveexec_b64 s[0:1], vcc
	s_cbranch_execz .LBB633_61
; %bb.60:
	v_add_u32_e32 v10, s30, v18
	v_ashrrev_i32_e32 v11, 31, v10
	v_mul_lo_u32 v12, v11, s36
	v_mul_lo_u32 v13, v10, s37
	v_mad_u64_u32 v[10:11], s[2:3], v10, s36, 0
	v_add3_u32 v11, v11, v13, v12
	v_lshl_add_u64 v[10:11], v[10:11], 2, s[12:13]
	global_load_dword v10, v[10:11], off
	s_waitcnt vmcnt(0)
	v_sub_f32_e32 v10, s18, v10
	v_mul_f32_e32 v10, 0x3fb8aa3b, v10
	v_exp_f32_e32 v24, v10
.LBB633_61:
	s_or_b64 exec, exec, s[0:1]
	v_or_b32_e32 v23, 1, v18
	v_cmp_gt_i32_e64 s[4:5], s31, v23
	s_and_saveexec_b64 s[0:1], s[4:5]
	s_cbranch_execz .LBB633_63
; %bb.62:
	v_add_u32_e32 v10, s30, v23
	v_ashrrev_i32_e32 v11, 31, v10
	v_mul_lo_u32 v12, v11, s36
	v_mul_lo_u32 v13, v10, s37
	v_mad_u64_u32 v[10:11], s[2:3], v10, s36, 0
	v_add3_u32 v11, v11, v13, v12
	v_lshl_add_u64 v[10:11], v[10:11], 2, s[12:13]
	global_load_dword v10, v[10:11], off
	s_waitcnt vmcnt(0)
	v_sub_f32_e32 v10, s18, v10
	v_mul_f32_e32 v10, 0x3fb8aa3b, v10
	v_exp_f32_e32 v20, v10
.LBB633_63:
	s_or_b64 exec, exec, s[0:1]
	v_or_b32_e32 v21, 2, v18
	v_cmp_gt_i32_e64 s[0:1], s31, v21
	v_mov_b32_e32 v19, 0
	v_mov_b32_e32 v25, 0
	s_and_saveexec_b64 s[2:3], s[0:1]
	s_cbranch_execz .LBB633_65
; %bb.64:
	v_add_u32_e32 v10, s30, v21
	v_ashrrev_i32_e32 v11, 31, v10
	v_mul_lo_u32 v12, v11, s36
	v_mul_lo_u32 v13, v10, s37
	v_mad_u64_u32 v[10:11], s[6:7], v10, s36, 0
	v_add3_u32 v11, v11, v13, v12
	v_lshl_add_u64 v[10:11], v[10:11], 2, s[12:13]
	global_load_dword v10, v[10:11], off
	s_waitcnt vmcnt(0)
	v_sub_f32_e32 v10, s18, v10
	v_mul_f32_e32 v10, 0x3fb8aa3b, v10
	v_exp_f32_e32 v25, v10
.LBB633_65:
	s_or_b64 exec, exec, s[2:3]
	v_or_b32_e32 v22, 3, v18
	v_cmp_gt_i32_e64 s[2:3], s31, v22
	s_and_saveexec_b64 s[6:7], s[2:3]
	s_cbranch_execz .LBB633_67
; %bb.66:
	v_add_u32_e32 v10, s30, v22
	v_ashrrev_i32_e32 v11, 31, v10
	v_mul_lo_u32 v12, v11, s36
	v_mul_lo_u32 v13, v10, s37
	v_mad_u64_u32 v[10:11], s[14:15], v10, s36, 0
	v_add3_u32 v11, v11, v13, v12
	v_lshl_add_u64 v[10:11], v[10:11], 2, s[12:13]
	global_load_dword v10, v[10:11], off
	s_waitcnt vmcnt(0)
	v_sub_f32_e32 v10, s18, v10
	v_mul_f32_e32 v10, 0x3fb8aa3b, v10
	v_exp_f32_e32 v19, v10
.LBB633_67:
	s_or_b64 exec, exec, s[6:7]
	s_waitcnt lgkmcnt(11)
	v_mfma_f32_16x16x16_bf16 a[0:3], v[40:41], v[30:31], a[0:3]
	s_add_u32 s6, s16, s24
	v_ashrrev_i32_e32 v47, 31, v46
	s_addc_u32 s7, s17, s25
	s_waitcnt lgkmcnt(10)
	v_mfma_f32_16x16x16_bf16 a[0:3], v[38:39], v[32:33], a[0:3]
	v_lshlrev_b64 v[10:11], 1, v[46:47]
	v_lshl_add_u64 v[14:15], s[6:7], 0, v[10:11]
	s_add_u32 s6, s8, s24
	s_waitcnt lgkmcnt(9)
	v_mfma_f32_16x16x16_bf16 a[0:3], v[36:37], v[26:27], a[0:3]
	s_addc_u32 s7, s9, s25
	v_lshl_add_u64 v[16:17], s[6:7], 0, v[10:11]
	v_mov_b32_e32 v26, 0
	s_waitcnt lgkmcnt(8)
	v_mfma_f32_16x16x16_bf16 a[0:3], v[34:35], v[28:29], a[0:3]
	v_mov_b32_e32 v27, 0
	s_nop 5
	v_accvgpr_read_b32 v13, a3
	v_accvgpr_read_b32 v12, a2
	;; [unrolled: 1-line block ×4, first 2 shown]
	s_and_saveexec_b64 s[6:7], vcc
	s_cbranch_execz .LBB633_69
; %bb.68:
	v_lshlrev_b32_e32 v28, 8, v18
	v_mov_b32_e32 v29, 0
	v_lshl_add_u64 v[30:31], v[14:15], 0, v[28:29]
	global_load_ushort v27, v[30:31], off
	v_lshl_add_u64 v[28:29], v[16:17], 0, v[28:29]
	s_waitcnt vmcnt(0)
	v_lshlrev_b32_e32 v27, 16, v27
	v_sub_f32_e32 v10, v27, v10
	global_store_short_d16_hi v[28:29], v10, off
	v_mul_f32_e32 v10, v24, v10
	v_lshrrev_b32_e32 v27, 16, v10
.LBB633_69:
	s_or_b64 exec, exec, s[6:7]
	s_and_saveexec_b64 s[6:7], s[4:5]
	s_cbranch_execz .LBB633_71
; %bb.70:
	v_lshlrev_b32_e32 v28, 8, v23
	v_mov_b32_e32 v29, 0
	v_lshl_add_u64 v[30:31], v[14:15], 0, v[28:29]
	global_load_ushort v10, v[30:31], off
	v_lshl_add_u64 v[28:29], v[16:17], 0, v[28:29]
	s_waitcnt vmcnt(0)
	v_lshlrev_b32_e32 v10, 16, v10
	v_sub_f32_e32 v10, v10, v11
	global_store_short_d16_hi v[28:29], v10, off
	v_mul_f32_e32 v10, v20, v10
	v_lshrrev_b32_e32 v26, 16, v10
.LBB633_71:
	s_or_b64 exec, exec, s[6:7]
	v_mov_b32_e32 v11, 0
	v_mov_b32_e32 v20, 0
	s_and_saveexec_b64 s[4:5], s[0:1]
	s_cbranch_execz .LBB633_73
; %bb.72:
	v_lshlrev_b32_e32 v20, 8, v21
	v_mov_b32_e32 v21, 0
	v_lshl_add_u64 v[28:29], v[14:15], 0, v[20:21]
	global_load_ushort v10, v[28:29], off
	v_lshl_add_u64 v[20:21], v[16:17], 0, v[20:21]
	s_waitcnt vmcnt(0)
	v_lshlrev_b32_e32 v10, 16, v10
	v_sub_f32_e32 v10, v10, v12
	global_store_short_d16_hi v[20:21], v10, off
	v_mul_f32_e32 v10, v25, v10
	v_lshrrev_b32_e32 v20, 16, v10
.LBB633_73:
	s_or_b64 exec, exec, s[4:5]
	v_or_b32_e32 v10, 0x9800, v50
	s_and_saveexec_b64 s[0:1], s[2:3]
	s_cbranch_execz .LBB633_75
; %bb.74:
	v_lshlrev_b32_e32 v22, 8, v22
	v_mov_b32_e32 v23, 0
	v_lshl_add_u64 v[14:15], v[14:15], 0, v[22:23]
	global_load_ushort v11, v[14:15], off
	v_lshl_add_u64 v[14:15], v[16:17], 0, v[22:23]
	s_waitcnt vmcnt(0)
	v_lshlrev_b32_e32 v11, 16, v11
	v_sub_f32_e32 v11, v11, v13
	global_store_short_d16_hi v[14:15], v11, off
	v_mul_f32_e32 v11, v19, v11
	v_lshrrev_b32_e32 v11, 16, v11
.LBB633_75:
	s_or_b64 exec, exec, s[0:1]
	s_mov_b32 s0, 0x5040100
	v_perm_b32 v13, v11, v20, s0
	v_lshlrev_b32_e32 v11, 1, v48
	v_perm_b32 v12, v26, v27, s0
	v_lshl_or_b32 v11, v18, 5, v11
	s_movk_i32 s0, 0xff
	ds_write_b64 v11, v[12:13] offset:38912
	v_and_b32_e32 v11, 7, v0
	v_and_b32_e32 v12, 8, v0
	v_cmp_lt_u32_e32 vcc, s0, v0
	v_lshrrev_b32_e32 v0, 1, v0
	v_lshlrev_b32_e32 v22, 3, v1
	v_and_b32_e32 v23, 24, v0
	v_xor_b32_e32 v0, v22, v23
	v_cndmask_b32_e64 v13, 0, 1, vcc
	v_or_b32_e32 v1, 0x440, v0
	v_cmp_eq_u32_e32 vcc, 0, v12
	v_lshlrev_b32_e32 v20, 3, v11
	v_lshlrev_b32_e32 v11, 7, v11
	v_cndmask_b32_e32 v0, v1, v0, vcc
	v_or_b32_e32 v0, v0, v49
	v_lshlrev_b32_e32 v21, 13, v13
	v_xad_u32 v24, v0, v20, v11
	v_add_u32_e32 v0, v21, v24
	s_waitcnt lgkmcnt(0)
	s_barrier
	ds_read_b64 v[0:1], v0
	ds_read2st64_b64 v[12:15], v10 offset1:1
	ds_read2st64_b64 v[16:19], v10 offset0:2 offset1:3
	s_waitcnt lgkmcnt(1)
	v_mfma_f32_16x16x16_bf16 a[0:3], v[0:1], v[12:13], 0
	v_or_b32_e32 v0, 32, v23
	v_xor_b32_e32 v0, v22, v0
	v_or_b32_e32 v1, 0x440, v0
	v_cndmask_b32_e32 v0, v1, v0, vcc
	v_or_b32_e32 v0, v0, v49
	v_xad_u32 v25, v0, v20, v11
	v_add_u32_e32 v0, v21, v25
	ds_read_b64 v[0:1], v0
	v_or_b32_e32 v10, 0x60, v23
	s_waitcnt lgkmcnt(0)
	v_mfma_f32_16x16x16_bf16 a[0:3], v[0:1], v[14:15], a[0:3]
	v_or_b32_e32 v0, 64, v23
	v_xor_b32_e32 v0, v22, v0
	v_xor_b32_e32 v1, 0x440, v0
	v_cndmask_b32_e32 v0, v1, v0, vcc
	v_or_b32_e32 v0, v0, v49
	v_xad_u32 v26, v0, v20, v11
	v_add_u32_e32 v0, v21, v26
	ds_read_b64 v[0:1], v0
	v_xor_b32_e32 v10, v22, v10
	v_xor_b32_e32 v22, 0x440, v10
	v_cndmask_b32_e32 v10, v22, v10, vcc
	v_or_b32_e32 v10, v10, v49
	v_xad_u32 v22, v10, v20, v11
	v_add_u32_e32 v10, v21, v22
	ds_read_b64 v[10:11], v10
	s_waitcnt lgkmcnt(1)
	v_mfma_f32_16x16x16_bf16 a[0:3], v[0:1], v[16:17], a[0:3]
	ds_read_b64 v[0:1], v24 offset:8192
	ds_read_b64 v[20:21], v25 offset:8192
	v_mov_b32_e32 v23, 0x3fb8aa3b
	s_waitcnt lgkmcnt(2)
	v_mfma_f32_16x16x16_bf16 a[0:3], v[10:11], v[18:19], a[0:3]
	v_mul_f32_e32 v10, s18, v23
	v_exp_f32_e32 v23, v10
	ds_read_b64 v[10:11], v26 offset:8192
	s_waitcnt lgkmcnt(2)
	v_mfma_f32_16x16x16_bf16 a[4:7], v[0:1], v[12:13], 0
	ds_read_b64 v[12:13], v22 offset:8192
	s_nop 0
	v_accvgpr_read_b32 v0, a0
	v_accvgpr_read_b32 v1, a1
	s_waitcnt lgkmcnt(2)
	v_mfma_f32_16x16x16_bf16 a[4:7], v[20:21], v[14:15], a[4:7]
	v_fma_f32 v0, v2, v23, v0
	v_fma_f32 v1, v3, v23, v1
	v_accvgpr_read_b32 v2, a2
	s_waitcnt lgkmcnt(1)
	v_mfma_f32_16x16x16_bf16 a[4:7], v[10:11], v[16:17], a[4:7]
	v_accvgpr_read_b32 v3, a3
	v_fma_f32 v2, v4, v23, v2
	v_fmac_f32_e32 v3, v5, v23
	s_waitcnt lgkmcnt(0)
	v_mfma_f32_16x16x16_bf16 a[0:3], v[12:13], v[18:19], a[4:7]
	s_nop 6
	v_accvgpr_read_b32 v4, a0
	v_accvgpr_read_b32 v5, a1
	v_fma_f32 v4, v6, v23, v4
	v_fma_f32 v5, v7, v23, v5
	v_accvgpr_read_b32 v6, a2
	v_accvgpr_read_b32 v7, a3
	v_fma_f32 v6, v8, v23, v6
	v_fmac_f32_e32 v7, v9, v23
	v_mov_b64_e32 v[8:9], v[6:7]
	v_mov_b64_e32 v[6:7], v[4:5]
	;; [unrolled: 1-line block ×4, first 2 shown]
.LBB633_76:
	s_add_u32 s0, s10, s34
	s_addc_u32 s1, s11, s35
	v_lshl_add_u64 v[0:1], v[42:43], 1, s[0:1]
	v_mov_b32_e32 v45, 0
	s_mov_b32 s0, 0x7060302
	v_lshl_add_u64 v[0:1], v[0:1], 0, v[44:45]
	v_perm_b32 v5, v5, v4, s0
	v_perm_b32 v4, v3, v2, s0
	;; [unrolled: 1-line block ×4, first 2 shown]
	global_store_dwordx2 v[0:1], v[4:5], off
	global_store_dwordx2 v[0:1], v[2:3], off offset:128
	s_endpgm
	.section	.rodata,"a",@progbits
	.p2align	6, 0x0
	.amdhsa_kernel _ZN12_GLOBAL__N_139chunk_gated_delta_rule_fwd_h_hip_kernelILi16ELb1ELb1ELb1ELb0ELb0ELb0ELb0ELb1EEEvPK12hip_bfloat16S3_S3_PKfS5_PKvPS1_S8_PvPKiSB_iiiiilll
		.amdhsa_group_segment_fixed_size 40960
		.amdhsa_private_segment_fixed_size 0
		.amdhsa_kernarg_size 136
		.amdhsa_user_sgpr_count 2
		.amdhsa_user_sgpr_dispatch_ptr 0
		.amdhsa_user_sgpr_queue_ptr 0
		.amdhsa_user_sgpr_kernarg_segment_ptr 1
		.amdhsa_user_sgpr_dispatch_id 0
		.amdhsa_user_sgpr_kernarg_preload_length 0
		.amdhsa_user_sgpr_kernarg_preload_offset 0
		.amdhsa_user_sgpr_private_segment_size 0
		.amdhsa_uses_dynamic_stack 0
		.amdhsa_enable_private_segment 0
		.amdhsa_system_sgpr_workgroup_id_x 1
		.amdhsa_system_sgpr_workgroup_id_y 1
		.amdhsa_system_sgpr_workgroup_id_z 0
		.amdhsa_system_sgpr_workgroup_info 0
		.amdhsa_system_vgpr_workitem_id 0
		.amdhsa_next_free_vgpr 120
		.amdhsa_next_free_sgpr 72
		.amdhsa_accum_offset 112
		.amdhsa_reserve_vcc 1
		.amdhsa_float_round_mode_32 0
		.amdhsa_float_round_mode_16_64 0
		.amdhsa_float_denorm_mode_32 3
		.amdhsa_float_denorm_mode_16_64 3
		.amdhsa_dx10_clamp 1
		.amdhsa_ieee_mode 1
		.amdhsa_fp16_overflow 0
		.amdhsa_tg_split 0
		.amdhsa_exception_fp_ieee_invalid_op 0
		.amdhsa_exception_fp_denorm_src 0
		.amdhsa_exception_fp_ieee_div_zero 0
		.amdhsa_exception_fp_ieee_overflow 0
		.amdhsa_exception_fp_ieee_underflow 0
		.amdhsa_exception_fp_ieee_inexact 0
		.amdhsa_exception_int_div_zero 0
	.end_amdhsa_kernel
	.section	.text._ZN12_GLOBAL__N_139chunk_gated_delta_rule_fwd_h_hip_kernelILi16ELb1ELb1ELb1ELb0ELb0ELb0ELb0ELb1EEEvPK12hip_bfloat16S3_S3_PKfS5_PKvPS1_S8_PvPKiSB_iiiiilll,"axG",@progbits,_ZN12_GLOBAL__N_139chunk_gated_delta_rule_fwd_h_hip_kernelILi16ELb1ELb1ELb1ELb0ELb0ELb0ELb0ELb1EEEvPK12hip_bfloat16S3_S3_PKfS5_PKvPS1_S8_PvPKiSB_iiiiilll,comdat
.Lfunc_end633:
	.size	_ZN12_GLOBAL__N_139chunk_gated_delta_rule_fwd_h_hip_kernelILi16ELb1ELb1ELb1ELb0ELb0ELb0ELb0ELb1EEEvPK12hip_bfloat16S3_S3_PKfS5_PKvPS1_S8_PvPKiSB_iiiiilll, .Lfunc_end633-_ZN12_GLOBAL__N_139chunk_gated_delta_rule_fwd_h_hip_kernelILi16ELb1ELb1ELb1ELb0ELb0ELb0ELb0ELb1EEEvPK12hip_bfloat16S3_S3_PKfS5_PKvPS1_S8_PvPKiSB_iiiiilll
                                        ; -- End function
	.section	.AMDGPU.csdata,"",@progbits
; Kernel info:
; codeLenInByte = 8020
; NumSgprs: 78
; NumVgprs: 112
; NumAgprs: 8
; TotalNumVgprs: 120
; ScratchSize: 0
; MemoryBound: 0
; FloatMode: 240
; IeeeMode: 1
; LDSByteSize: 40960 bytes/workgroup (compile time only)
; SGPRBlocks: 9
; VGPRBlocks: 14
; NumSGPRsForWavesPerEU: 78
; NumVGPRsForWavesPerEU: 120
; AccumOffset: 112
; Occupancy: 1
; WaveLimiterHint : 1
; COMPUTE_PGM_RSRC2:SCRATCH_EN: 0
; COMPUTE_PGM_RSRC2:USER_SGPR: 2
; COMPUTE_PGM_RSRC2:TRAP_HANDLER: 0
; COMPUTE_PGM_RSRC2:TGID_X_EN: 1
; COMPUTE_PGM_RSRC2:TGID_Y_EN: 1
; COMPUTE_PGM_RSRC2:TGID_Z_EN: 0
; COMPUTE_PGM_RSRC2:TIDIG_COMP_CNT: 0
; COMPUTE_PGM_RSRC3_GFX90A:ACCUM_OFFSET: 27
; COMPUTE_PGM_RSRC3_GFX90A:TG_SPLIT: 0
	.section	.text._ZN12_GLOBAL__N_139chunk_gated_delta_rule_fwd_h_hip_kernelILi16ELb1ELb1ELb0ELb0ELb0ELb0ELb0ELb1EEEvPK12hip_bfloat16S3_S3_PKfS5_PKvPS1_S8_PvPKiSB_iiiiilll,"axG",@progbits,_ZN12_GLOBAL__N_139chunk_gated_delta_rule_fwd_h_hip_kernelILi16ELb1ELb1ELb0ELb0ELb0ELb0ELb0ELb1EEEvPK12hip_bfloat16S3_S3_PKfS5_PKvPS1_S8_PvPKiSB_iiiiilll,comdat
	.globl	_ZN12_GLOBAL__N_139chunk_gated_delta_rule_fwd_h_hip_kernelILi16ELb1ELb1ELb0ELb0ELb0ELb0ELb0ELb1EEEvPK12hip_bfloat16S3_S3_PKfS5_PKvPS1_S8_PvPKiSB_iiiiilll ; -- Begin function _ZN12_GLOBAL__N_139chunk_gated_delta_rule_fwd_h_hip_kernelILi16ELb1ELb1ELb0ELb0ELb0ELb0ELb0ELb1EEEvPK12hip_bfloat16S3_S3_PKfS5_PKvPS1_S8_PvPKiSB_iiiiilll
	.p2align	8
	.type	_ZN12_GLOBAL__N_139chunk_gated_delta_rule_fwd_h_hip_kernelILi16ELb1ELb1ELb0ELb0ELb0ELb0ELb0ELb1EEEvPK12hip_bfloat16S3_S3_PKfS5_PKvPS1_S8_PvPKiSB_iiiiilll,@function
_ZN12_GLOBAL__N_139chunk_gated_delta_rule_fwd_h_hip_kernelILi16ELb1ELb1ELb0ELb0ELb0ELb0ELb0ELb1EEEvPK12hip_bfloat16S3_S3_PKfS5_PKvPS1_S8_PvPKiSB_iiiiilll: ; @_ZN12_GLOBAL__N_139chunk_gated_delta_rule_fwd_h_hip_kernelILi16ELb1ELb1ELb0ELb0ELb0ELb0ELb0ELb1EEEvPK12hip_bfloat16S3_S3_PKfS5_PKvPS1_S8_PvPKiSB_iiiiilll
; %bb.0:
	s_load_dwordx4 s[12:15], s[0:1], 0x5c
	s_load_dwordx4 s[20:23], s[0:1], 0x70
	s_abs_i32 s6, s3
	s_ashr_i32 s5, s3, 31
	s_load_dwordx4 s[16:19], s[0:1], 0x28
	s_waitcnt lgkmcnt(0)
	s_abs_i32 s4, s13
	v_cvt_f32_u32_e32 v1, s4
	s_sub_i32 s8, 0, s4
	s_ashr_i32 s7, s13, 31
	s_xor_b32 s5, s5, s7
	v_rcp_iflag_f32_e32 v1, v1
	v_and_b32_e32 v54, 15, v0
	v_bfe_u32 v53, v0, 4, 2
	v_mov_b32_e32 v45, 0
	v_mul_f32_e32 v1, 0x4f7ffffe, v1
	v_cvt_u32_f32_e32 v1, v1
	v_lshlrev_b32_e32 v55, 3, v0
	v_readfirstlane_b32 s9, v1
	s_mul_i32 s8, s8, s9
	s_mul_hi_u32 s8, s9, s8
	s_add_i32 s9, s9, s8
	s_mul_hi_u32 s8, s6, s9
	s_mul_i32 s9, s8, s4
	s_sub_i32 s6, s6, s9
	s_add_i32 s10, s8, 1
	s_sub_i32 s9, s6, s4
	s_cmp_ge_u32 s6, s4
	s_cselect_b32 s8, s10, s8
	s_cselect_b32 s6, s9, s6
	s_add_i32 s9, s8, 1
	s_cmp_ge_u32 s6, s4
	s_cselect_b32 s6, s9, s8
	s_xor_b32 s6, s6, s5
	s_add_i32 s8, s12, 63
	s_sub_i32 s53, s6, s5
	s_ashr_i32 s9, s8, 31
	s_mul_i32 s5, s53, s13
	s_sub_i32 s51, s3, s5
	s_lshr_b32 s3, s9, 26
	s_add_i32 s8, s8, s3
	s_abs_i32 s3, s14
	v_cvt_f32_u32_e32 v1, s3
	s_ashr_i32 s52, s12, 31
	s_lshr_b32 s6, s52, 26
	s_add_i32 s6, s12, s6
	v_rcp_iflag_f32_e32 v1, v1
	s_ashr_i32 s56, s14, 31
	s_ashr_i32 s24, s8, 6
	;; [unrolled: 1-line block ×3, first 2 shown]
	v_mul_f32_e32 v1, 0x4f7ffffe, v1
	v_cvt_u32_f32_e32 v1, v1
	s_xor_b32 s6, s7, s56
	s_sub_i32 s7, 0, s3
	s_lshl_b32 s2, s2, 4
	v_readfirstlane_b32 s8, v1
	s_mul_i32 s7, s7, s8
	s_mul_hi_u32 s7, s8, s7
	s_add_i32 s8, s8, s7
	s_mul_hi_u32 s7, s4, s8
	s_mul_i32 s8, s7, s3
	s_sub_i32 s4, s4, s8
	s_add_i32 s8, s7, 1
	s_sub_i32 s9, s4, s3
	s_cmp_ge_u32 s4, s3
	s_cselect_b32 s7, s8, s7
	s_cselect_b32 s4, s9, s4
	s_add_i32 s8, s7, 1
	s_cmp_ge_u32 s4, s3
	s_cselect_b32 s3, s8, s7
	s_xor_b32 s3, s3, s6
	s_sub_i32 s3, s3, s6
	s_abs_i32 s4, s3
	v_cvt_f32_u32_e32 v1, s4
	s_sub_i32 s7, 0, s4
	s_abs_i32 s6, s51
	s_xor_b32 s3, s51, s3
	v_rcp_iflag_f32_e32 v2, v1
	s_ashr_i32 s3, s3, 31
	v_lshrrev_b32_e32 v1, 6, v0
	v_or_b32_e32 v46, s2, v54
	v_mul_f32_e32 v2, 0x4f7ffffe, v2
	v_cvt_u32_f32_e32 v2, v2
	v_lshlrev_b32_e32 v52, 4, v1
	v_lshlrev_b32_e32 v42, 7, v46
	v_lshl_or_b32 v57, v53, 2, v52
	v_readfirstlane_b32 s8, v2
	s_mul_i32 s7, s7, s8
	s_mul_hi_u32 s7, s8, s7
	s_add_i32 s8, s8, s7
	s_mul_hi_u32 s7, s6, s8
	s_mul_i32 s8, s7, s4
	s_sub_i32 s6, s6, s8
	s_add_i32 s8, s7, 1
	s_sub_i32 s9, s6, s4
	s_cmp_ge_u32 s6, s4
	s_cselect_b32 s7, s8, s7
	s_cselect_b32 s6, s9, s6
	s_add_i32 s8, s7, 1
	s_cmp_ge_u32 s6, s4
	s_cselect_b32 s4, s8, s7
	s_xor_b32 s4, s4, s3
	s_sub_i32 s57, s4, s3
	s_ashr_i32 s3, s53, 31
	s_ashr_i32 s55, s51, 31
	s_mul_hi_i32 s4, s53, s13
	s_add_u32 s40, s5, s51
	s_addc_u32 s41, s4, s55
	s_lshl_b64 s[28:29], s[40:41], 15
	s_add_u32 s4, s16, s28
	s_addc_u32 s5, s17, s29
	v_ashrrev_i32_e32 v43, 31, v42
	v_lshl_add_u64 v[2:3], v[42:43], 1, s[4:5]
	v_lshlrev_b32_e32 v44, 1, v57
	v_lshl_add_u64 v[2:3], v[2:3], 0, v[44:45]
	global_load_dwordx2 v[4:5], v[2:3], off
	global_load_dwordx2 v[8:9], v[2:3], off offset:128
	s_load_dwordx2 s[30:31], s[0:1], 0x40
	s_load_dwordx8 s[4:11], s[0:1], 0x0
	s_load_dwordx2 s[34:35], s[0:1], 0x80
	v_and_b32_e32 v45, 63, v0
	v_lshrrev_b32_e32 v56, 3, v45
	v_or_b32_e32 v58, 64, v57
	s_mul_i32 s33, s53, s21
	s_mul_hi_u32 s46, s53, s20
	s_mul_i32 s38, s53, s20
	s_mul_i32 s58, s53, s24
	;; [unrolled: 1-line block ×3, first 2 shown]
	s_mul_hi_u32 s48, s51, s22
	s_mul_i32 s50, s3, s20
	s_mul_i32 s49, s55, s22
	s_mul_hi_u32 s59, s40, s12
	s_mul_i32 s16, s40, s12
	s_mul_i32 s41, s41, s12
	s_cmp_lt_i32 s12, 64
	s_mul_i32 s36, s51, s22
	s_waitcnt vmcnt(1)
	v_and_b32_e32 v3, 0xffff0000, v4
	v_lshlrev_b32_e32 v2, 16, v4
	v_and_b32_e32 v59, 0xffff0000, v5
	v_lshlrev_b32_e32 v4, 16, v5
	s_waitcnt vmcnt(0)
	v_and_b32_e32 v7, 0xffff0000, v8
	v_lshlrev_b32_e32 v6, 16, v8
	v_and_b32_e32 v60, 0xffff0000, v9
	v_lshlrev_b32_e32 v8, 16, v9
	s_cbranch_scc1 .LBB634_3
; %bb.1:
	s_add_i32 s17, s59, s41
	s_lshl_b64 s[0:1], s[16:17], 8
	v_and_b32_e32 v62, 56, v55
	s_waitcnt lgkmcnt(0)
	s_add_u32 s20, s6, s0
	v_lshl_or_b32 v61, v1, 3, v56
	v_lshlrev_b32_e32 v5, 1, v62
	s_addc_u32 s0, s7, s1
	v_lshl_or_b32 v63, v61, 8, v5
	s_and_b32 s21, s0, 0xffff
	s_mov_b32 s23, 0x20000
	s_movk_i32 s22, 0x4000
	s_movk_i32 s0, 0x80
	v_or_b32_e32 v64, 0x2000, v63
	buffer_load_dwordx4 v[10:13], v63, s[20:23], 0 offen
	buffer_load_dwordx4 v[14:17], v63, s[20:23], s0 offen
	;; [unrolled: 1-line block ×4, first 2 shown]
	v_lshlrev_b32_e32 v9, 3, v61
	v_and_or_b32 v27, v0, 7, v9
	v_and_b32_e32 v9, 0x78, v9
	v_lshlrev_b32_e32 v27, 4, v27
	v_xor_b32_e32 v65, v27, v9
	v_mul_lo_u32 v26, v61, s15
	v_or_b32_e32 v66, 0x1000, v65
	v_xor_b32_e32 v9, 8, v65
	s_cmpk_eq_i32 s15, 0x80
	s_mov_b32 s60, s14
	v_xor_b32_e32 v27, 8, v66
	s_cselect_b64 s[0:1], -1, 0
	s_cmpk_lg_i32 s15, 0x80
	s_waitcnt vmcnt(3)
	ds_write_b64 v65, v[10:11] offset:16384
	ds_write_b64 v9, v[12:13] offset:16384
	s_waitcnt vmcnt(2)
	ds_write_b64 v65, v[14:15] offset:24576
	ds_write_b64 v9, v[16:17] offset:24576
	;; [unrolled: 3-line block ×4, first 2 shown]
	v_lshl_add_u32 v9, v26, 1, v62
	s_cbranch_scc0 .LBB634_29
; %bb.2:
	v_lshlrev_b32_e32 v11, 1, v9
	v_add_lshl_u32 v10, v9, s15, 1
	s_lshl_b32 s22, s15, 7
	v_lshl_or_b32 v5, v61, 9, v5
	s_cbranch_execz .LBB634_30
	s_branch .LBB634_31
.LBB634_3:
	v_mov_b32_e32 v9, v60
	v_mov_b32_e32 v5, v59
.LBB634_4:
	s_lshl_b32 s26, s54, 6
	s_sub_i32 s27, s12, s26
	s_cmp_gt_i32 s27, 0
	s_cbranch_scc0 .LBB634_76
; %bb.5:
	s_ashr_i32 s3, s26, 31
	s_cmpk_lg_i32 s15, 0x80
	s_cselect_b64 s[22:23], -1, 0
	s_and_b64 vcc, exec, s[22:23]
	s_cbranch_vccz .LBB634_7
; %bb.6:
	s_mul_i32 s1, s53, s12
	s_mul_hi_i32 s0, s53, s12
	s_add_u32 s1, s1, s26
	s_addc_u32 s0, s0, s3
	s_mul_i32 s17, s1, s56
	s_mul_hi_u32 s20, s1, s14
	s_add_i32 s17, s20, s17
	s_mul_i32 s0, s0, s14
	s_add_i32 s17, s17, s0
	s_mul_i32 s1, s1, s14
	s_ashr_i32 s0, s57, 31
	s_add_u32 s24, s1, s57
	s_addc_u32 s25, s17, s0
	s_cbranch_execz .LBB634_8
	s_branch .LBB634_9
.LBB634_7:
                                        ; implicit-def: $sgpr24_sgpr25
.LBB634_8:
	s_mul_hi_i32 s0, s53, s14
	s_mul_i32 s53, s53, s14
	s_ashr_i32 s1, s57, 31
	s_add_u32 s14, s53, s57
	s_addc_u32 s0, s0, s1
	s_mul_i32 s1, s14, s52
	s_mul_hi_u32 s17, s14, s12
	s_add_i32 s1, s17, s1
	s_mul_i32 s0, s0, s12
	s_add_i32 s1, s1, s0
	s_mul_i32 s14, s14, s12
	s_add_u32 s24, s14, s26
	s_addc_u32 s25, s1, s3
.LBB634_9:
	s_mul_i32 s0, s40, s52
	s_add_i32 s0, s59, s0
	s_add_i32 s14, s58, s54
	;; [unrolled: 1-line block ×3, first 2 shown]
	s_add_u32 s0, s16, s26
	s_addc_u32 s1, s1, s3
	s_mov_b32 s3, 0x7060302
	v_lshlrev_b32_e32 v14, 3, v54
	s_lshl_b64 s[20:21], s[0:1], 8
	v_perm_b32 v11, v5, v4, s3
	v_perm_b32 v10, v3, v2, s3
	;; [unrolled: 1-line block ×4, first 2 shown]
	v_lshlrev_b32_e32 v48, 2, v54
	v_lshl_or_b32 v14, v57, 5, v14
	s_waitcnt lgkmcnt(0)
	s_add_u32 s0, s6, s20
	ds_write2st64_b64 v14, v[10:11], v[12:13] offset0:72 offset1:76
	v_xor_b32_e32 v14, v57, v48
	v_lshlrev_b32_e32 v15, 8, v54
	s_addc_u32 s1, s7, s21
	v_lshl_or_b32 v14, v14, 1, v15
	s_mul_hi_i32 s3, s14, s13
	s_mul_i32 s14, s14, s13
	ds_write_b64 v14, v[10:11] offset:32768
	v_xor_b32_e32 v10, v58, v48
	s_add_u32 s6, s14, s51
	v_lshl_or_b32 v10, v10, 1, v15
	s_addc_u32 s7, s3, s55
	v_lshlrev_b32_e32 v11, 1, v54
	ds_write_b64 v10, v[12:13] offset:32768
	v_lshrrev_b32_e32 v10, 4, v0
	s_ashr_i32 s3, s2, 31
	s_lshl_b64 s[6:7], s[6:7], 15
	v_or_b32_e32 v12, 1, v11
	s_add_u32 s6, s18, s6
	v_xor_b32_e32 v11, v10, v11
	v_xor_b32_e32 v12, v12, v10
	v_lshlrev_b32_e32 v14, 8, v10
	s_addc_u32 s7, s19, s7
	s_lshl_b64 s[2:3], s[2:3], 8
	v_lshl_or_b32 v10, v11, 3, v14
	v_lshl_or_b32 v12, v12, 3, v14
	s_waitcnt lgkmcnt(0)
	s_barrier
	s_add_u32 s2, s6, s2
	ds_read_b64 v[10:11], v10 offset:32768
	ds_read_b64 v[12:13], v12 offset:32768
	s_addc_u32 s3, s7, s3
	v_mov_b32_e32 v15, 0
	s_cmp_lg_u32 s27, 64
	v_lshl_add_u64 v[16:17], s[2:3], 0, v[14:15]
	v_lshlrev_b32_e32 v14, 4, v54
	s_cselect_b64 s[6:7], -1, 0
	v_lshl_or_b32 v47, v1, 3, v56
	s_mov_b32 s16, 0
	v_lshl_add_u64 v[14:15], v[16:17], 0, v[14:15]
	s_waitcnt vmcnt(1)
	v_or_b32_e32 v27, 32, v47
	v_and_b32_e32 v26, 56, v55
	s_and_b64 vcc, exec, s[6:7]
	s_waitcnt lgkmcnt(0)
	global_store_dwordx4 v[14:15], v[10:13], off
	s_cbranch_vccz .LBB634_15
; %bb.10:
	s_mov_b32 s17, s16
	s_mov_b32 s18, s16
	;; [unrolled: 1-line block ×3, first 2 shown]
	v_mov_b64_e32 v[14:15], s[16:17]
	v_mov_b64_e32 v[16:17], s[18:19]
	v_mov_b64_e32 v[10:11], v[14:15]
	v_cmp_gt_i32_e32 vcc, s27, v47
	v_mov_b64_e32 v[12:13], v[16:17]
	s_and_saveexec_b64 s[2:3], vcc
	s_cbranch_execz .LBB634_12
; %bb.11:
	v_lshlrev_b32_e32 v10, 8, v47
	v_mov_b32_e32 v11, 0
	v_lshl_add_u64 v[12:13], s[0:1], 0, v[10:11]
	v_lshlrev_b32_e32 v10, 1, v26
	v_lshl_add_u64 v[18:19], v[12:13], 0, v[10:11]
	global_load_dwordx4 v[14:17], v[18:19], off
	global_load_dwordx4 v[10:13], v[18:19], off offset:128
.LBB634_12:
	s_or_b64 exec, exec, s[2:3]
	s_mov_b32 s18, s16
	s_mov_b32 s19, s16
	;; [unrolled: 1-line block ×3, first 2 shown]
	v_mov_b64_e32 v[24:25], s[18:19]
	v_mov_b64_e32 v[22:23], s[16:17]
	;; [unrolled: 1-line block ×3, first 2 shown]
	v_cmp_gt_i32_e32 vcc, s27, v27
	v_lshlrev_b32_e32 v28, 7, v27
	v_mov_b64_e32 v[20:21], v[24:25]
	s_and_saveexec_b64 s[2:3], vcc
	s_cbranch_execz .LBB634_14
; %bb.13:
	v_lshlrev_b32_e32 v18, 1, v28
	v_mov_b32_e32 v19, 0
	v_lshl_add_u64 v[20:21], s[0:1], 0, v[18:19]
	v_lshlrev_b32_e32 v18, 1, v26
	v_lshl_add_u64 v[30:31], v[20:21], 0, v[18:19]
	global_load_dwordx4 v[22:25], v[30:31], off
	global_load_dwordx4 v[18:21], v[30:31], off offset:128
.LBB634_14:
	s_or_b64 exec, exec, s[2:3]
	v_lshrrev_b32_e32 v29, 3, v26
	v_lshlrev_b32_e32 v30, 3, v47
	v_or_b32_e32 v29, v30, v29
	v_lshlrev_b32_e32 v29, 4, v29
	v_and_b32_e32 v30, 0x78, v30
	v_xor_b32_e32 v29, v29, v30
	s_branch .LBB634_17
.LBB634_15:
                                        ; implicit-def: $vgpr29
                                        ; implicit-def: $vgpr28
                                        ; implicit-def: $vgpr14_vgpr15_vgpr16_vgpr17
                                        ; implicit-def: $vgpr10_vgpr11_vgpr12_vgpr13
                                        ; implicit-def: $vgpr22_vgpr23_vgpr24_vgpr25
                                        ; implicit-def: $vgpr18_vgpr19_vgpr20_vgpr21
	s_cbranch_execz .LBB634_17
; %bb.16:
	s_waitcnt vmcnt(0)
	v_lshlrev_b32_e32 v10, 1, v26
	v_lshl_or_b32 v28, v47, 8, v10
	s_and_b32 s1, s1, 0xffff
	s_mov_b32 s3, 0x20000
	s_movk_i32 s2, 0x4000
	v_lshl_or_b32 v29, v27, 8, v10
	s_movk_i32 s13, 0x80
	buffer_load_dwordx4 v[14:17], v28, s[0:3], 0 offen
	buffer_load_dwordx4 v[10:13], v28, s[0:3], s13 offen
	;; [unrolled: 1-line block ×4, first 2 shown]
	v_lshrrev_b32_e32 v28, 3, v26
	v_lshlrev_b32_e32 v29, 3, v47
	v_or_b32_e32 v28, v29, v28
	v_lshlrev_b32_e32 v28, 4, v28
	v_and_b32_e32 v29, 0x78, v29
	v_xor_b32_e32 v29, v28, v29
	v_lshlrev_b32_e32 v28, 7, v27
.LBB634_17:
	s_lshl_b64 s[0:1], s[24:25], 8
	s_add_u32 s4, s4, s0
	s_movk_i32 s0, 0x1000
	v_and_or_b32 v27, v28, s0, v29
	s_waitcnt vmcnt(1)
	ds_write_b64 v29, v[14:15] offset:16384
	v_xor_b32_e32 v14, 8, v29
	ds_write_b64 v14, v[16:17] offset:16384
	s_waitcnt vmcnt(0)
	ds_write_b64 v29, v[10:11] offset:24576
	ds_write_b64 v14, v[12:13] offset:24576
	;; [unrolled: 1-line block ×3, first 2 shown]
	v_xor_b32_e32 v10, 8, v27
	ds_write_b64 v10, v[24:25] offset:16384
	ds_write_b64 v27, v[18:19] offset:24576
	;; [unrolled: 1-line block ×3, first 2 shown]
	v_or_b32_e32 v10, v52, v54
	s_addc_u32 s5, s5, s1
	s_add_i32 s0, s12, -1
	v_lshlrev_b32_e32 v10, 3, v10
	v_lshrrev_b32_e32 v12, 5, v45
	s_movk_i32 s12, 0xf8
	v_and_or_b32 v12, v10, s12, v12
	v_lshlrev_b32_e32 v49, 11, v1
	v_lshlrev_b32_e32 v20, 4, v12
	v_and_b32_e32 v21, 0x78, v10
	v_and_b32_e32 v22, 0x1000, v49
	v_lshlrev_b32_e32 v11, 2, v0
	v_xor_b32_e32 v10, v20, v21
	v_lshrrev_b32_e32 v12, 1, v45
	v_and_b32_e32 v11, 60, v11
	v_or_b32_e32 v10, v10, v22
	v_and_b32_e32 v23, 8, v12
	v_xor_b32_e32 v34, v10, v23
	v_lshl_or_b32 v10, v53, 6, v11
	v_lshlrev_b32_e32 v50, 1, v10
	v_or_b32_e32 v10, 32, v20
	v_xor_b32_e32 v10, v10, v21
	s_waitcnt lgkmcnt(0)
	s_barrier
	ds_read_b64 v[18:19], v34 offset:16384
	v_or_b32_e32 v10, v10, v22
	v_xor_b32_e32 v35, v10, v23
	v_or_b32_e32 v10, 64, v20
	v_xor_b32_e32 v10, v10, v21
	v_or_b32_e32 v10, v10, v22
	v_or_b32_e32 v20, 0x60, v20
	v_xor_b32_e32 v36, v10, v23
	ds_read2st64_b64 v[10:13], v50 offset0:72 offset1:73
	ds_read2st64_b64 v[14:17], v50 offset0:74 offset1:75
	v_xor_b32_e32 v24, v20, v21
	ds_read_b64 v[20:21], v35 offset:16384
	s_add_i32 s1, s46, s33
	s_waitcnt lgkmcnt(2)
	v_mfma_f32_16x16x16_bf16 a[0:3], v[18:19], v[10:11], 0
	s_add_i32 s39, s1, s50
	s_add_i32 s1, s48, s47
	;; [unrolled: 1-line block ×3, first 2 shown]
	s_ashr_i32 s1, s0, 31
	s_mul_i32 s2, s0, s35
	s_mul_hi_u32 s3, s0, s34
	s_add_i32 s2, s3, s2
	s_mul_i32 s1, s1, s34
	v_or_b32_e32 v22, v24, v22
	s_add_i32 s1, s2, s1
	s_lshl_b64 s[2:3], s[38:39], 2
	v_xor_b32_e32 v51, v22, v23
	ds_read_b64 v[22:23], v36 offset:16384
	ds_read_b64 v[24:25], v51 offset:16384
	s_waitcnt lgkmcnt(2)
	v_mfma_f32_16x16x16_bf16 a[0:3], v[20:21], v[12:13], a[0:3]
	s_add_u32 s10, s10, s2
	s_addc_u32 s11, s11, s3
	s_lshl_b64 s[2:3], s[36:37], 2
	s_mul_i32 s0, s0, s34
	s_add_u32 s10, s10, s2
	s_addc_u32 s11, s11, s3
	s_lshl_b64 s[0:1], s[0:1], 2
	s_waitcnt lgkmcnt(1)
	v_mfma_f32_16x16x16_bf16 a[0:3], v[22:23], v[14:15], a[0:3]
	s_add_u32 s0, s10, s0
	s_addc_u32 s1, s11, s1
	s_load_dword s12, s[0:1], 0x0
	s_waitcnt lgkmcnt(0)
	v_mfma_f32_16x16x16_bf16 a[0:3], v[24:25], v[16:17], a[0:3]
	s_and_b64 vcc, exec, s[22:23]
	s_cbranch_vccz .LBB634_28
; %bb.18:
	v_lshlrev_b32_e32 v27, 1, v47
	s_and_b64 vcc, exec, s[6:7]
	s_cbranch_vccz .LBB634_44
; %bb.19:
	v_cmp_gt_i32_e32 vcc, s27, v27
	v_mov_b32_e32 v14, 0
	v_mov_b32_e32 v10, 0
	;; [unrolled: 1-line block ×5, first 2 shown]
	s_and_saveexec_b64 s[0:1], vcc
	s_cbranch_execz .LBB634_21
; %bb.20:
	v_mad_i64_i32 v[10:11], s[2:3], s15, v27, 0
	v_lshl_add_u64 v[10:11], v[10:11], 1, s[4:5]
	v_lshlrev_b32_e32 v12, 1, v26
	v_mov_b32_e32 v13, 0
	v_lshl_add_u64 v[10:11], v[10:11], 0, v[12:13]
	global_load_dwordx4 v[10:13], v[10:11], off
.LBB634_21:
	s_or_b64 exec, exec, s[0:1]
	v_or_b32_e32 v28, 1, v27
	v_cmp_gt_i32_e64 s[0:1], s27, v28
	v_mov_b32_e32 v15, 0
	v_mov_b32_e32 v16, 0
	;; [unrolled: 1-line block ×3, first 2 shown]
	s_and_saveexec_b64 s[2:3], s[0:1]
	s_cbranch_execz .LBB634_23
; %bb.22:
	v_mad_i64_i32 v[14:15], s[16:17], s15, v28, 0
	v_lshl_add_u64 v[14:15], v[14:15], 1, s[4:5]
	v_lshlrev_b32_e32 v16, 1, v26
	v_mov_b32_e32 v17, 0
	v_lshl_add_u64 v[14:15], v[14:15], 0, v[16:17]
	global_load_dwordx4 v[14:17], v[14:15], off
.LBB634_23:
	s_or_b64 exec, exec, s[2:3]
	v_mov_b32_e32 v25, 0
	v_mov_b32_e32 v18, 0
	;; [unrolled: 1-line block ×5, first 2 shown]
	s_and_saveexec_b64 s[2:3], vcc
	s_cbranch_execz .LBB634_25
; %bb.24:
	v_mad_i64_i32 v[18:19], s[16:17], s15, v27, 0
	v_lshl_add_u64 v[18:19], v[18:19], 1, s[4:5]
	v_lshlrev_b32_e32 v20, 1, v26
	v_mov_b32_e32 v21, 0
	v_lshl_add_u64 v[18:19], v[18:19], 0, v[20:21]
	global_load_dwordx4 v[18:21], v[18:19], off offset:128
.LBB634_25:
	s_or_b64 exec, exec, s[2:3]
	v_mov_b32_e32 v24, 0
	v_mov_b32_e32 v23, 0
	;; [unrolled: 1-line block ×3, first 2 shown]
	s_and_saveexec_b64 s[2:3], s[0:1]
	s_cbranch_execz .LBB634_27
; %bb.26:
	v_mad_i64_i32 v[22:23], s[0:1], s15, v28, 0
	v_lshl_add_u64 v[22:23], v[22:23], 1, s[4:5]
	v_lshlrev_b32_e32 v24, 1, v26
	v_mov_b32_e32 v25, 0
	v_lshl_add_u64 v[22:23], v[22:23], 0, v[24:25]
	global_load_dwordx4 v[22:25], v[22:23], off offset:128
.LBB634_27:
	s_or_b64 exec, exec, s[2:3]
	s_branch .LBB634_46
.LBB634_28:
                                        ; implicit-def: $vgpr13
                                        ; implicit-def: $vgpr17
                                        ; implicit-def: $vgpr21
                                        ; implicit-def: $vgpr25
	v_lshrrev_b32_e32 v45, 2, v45
	s_branch .LBB634_47
.LBB634_29:
                                        ; implicit-def: $vgpr10
                                        ; implicit-def: $vgpr11
                                        ; implicit-def: $sgpr22
	v_lshl_or_b32 v5, v61, 9, v5
.LBB634_30:
	v_or_b32_e32 v10, 0x100, v5
	s_movk_i32 s22, 0x4000
	v_mov_b32_e32 v11, v5
.LBB634_31:
	s_mul_hi_u32 s20, s14, s12
	s_mul_i32 s21, s56, s12
	s_add_i32 s20, s20, s21
	s_mul_i32 s21, s14, s12
	s_mul_i32 s23, s21, s3
	s_mul_hi_u32 s24, s21, s53
	s_add_i32 s23, s24, s23
	s_mul_i32 s20, s20, s53
	s_add_i32 s23, s23, s20
	s_mul_i32 s21, s21, s53
	s_ashr_i32 s61, s57, 31
	s_add_u32 s20, s21, s57
	s_addc_u32 s21, s23, s61
	s_lshl_b64 s[20:21], s[20:21], 8
	s_add_u32 s20, s4, s20
	s_addc_u32 s21, s5, s21
	s_and_b32 s21, s21, 0xffff
	s_mov_b32 s23, 0x20000
	s_movk_i32 s62, 0x80
	buffer_load_dwordx4 v[12:15], v11, s[20:23], 0 offen
	buffer_load_dwordx4 v[16:19], v11, s[20:23], s62 offen
	;; [unrolled: 1-line block ×4, first 2 shown]
	v_and_b32_e32 v10, 6, v0
	v_lshlrev_b32_e32 v28, 2, v54
	v_lshlrev_b32_e32 v29, 3, v54
	v_xor_b32_e32 v31, v61, v10
	v_and_b32_e32 v11, 1, v0
	s_mul_i32 s3, s3, s12
	s_mul_hi_u32 s20, s53, s12
	v_lshl_or_b32 v29, v57, 5, v29
	v_xor_b32_e32 v32, v57, v28
	v_lshlrev_b32_e32 v31, 2, v31
	v_or_b32_e32 v67, 0x9000, v29
	v_or_b32_e32 v68, 0x9800, v29
	v_lshlrev_b32_e32 v29, 1, v32
	v_xor_b32_e32 v32, 0x440, v31
	v_cmp_eq_u32_e32 vcc, 0, v11
	s_add_i32 s67, s20, s3
	s_add_i32 s3, s46, s33
	v_cndmask_b32_e32 v11, v32, v31, vcc
	s_add_i32 s20, s48, s47
	s_add_i32 s39, s3, s50
	s_mov_b32 s64, 0x1000504
	v_lshlrev_b32_e32 v30, 8, v54
	s_mov_b32 s22, 0x8000
	v_xor_b32_e32 v28, v58, v28
	v_lshl_or_b32 v10, v10, 10, v11
	s_add_i32 s37, s20, s49
	s_lshl_b64 s[20:21], s[38:39], 2
	s_mov_b32 s65, 0x3020706
	v_lshlrev_b32_e32 v28, 1, v28
	v_or3_b32 v69, v29, v30, s22
	v_xor_b32_e32 v11, 8, v10
	v_xor_b32_e32 v29, 24, v10
	;; [unrolled: 1-line block ×4, first 2 shown]
	s_add_u32 s3, s10, s20
	v_or3_b32 v70, v28, v30, s22
	v_xor_b32_e32 v28, 16, v10
	v_xor_b32_e32 v30, 32, v10
	;; [unrolled: 1-line block ×3, first 2 shown]
	v_add_u32_e32 v11, 0x80, v11
	v_add_u32_e32 v29, 0x80, v29
	;; [unrolled: 1-line block ×4, first 2 shown]
	s_addc_u32 s24, s11, s21
	s_lshl_b64 s[20:21], s[36:37], 2
	s_add_u32 s42, s3, s20
	s_movk_i32 s3, 0xf8
	s_addc_u32 s43, s24, s21
	v_ashrrev_i32_e32 v47, 31, v46
	s_lshl_b32 s26, s15, 7
	s_mov_b32 s63, 0
	s_mul_i32 s66, s53, s12
	v_mov_b32_e32 v84, 0x3fb8aa3b
	s_mov_b32 s39, 0
	s_waitcnt vmcnt(1)
	v_perm_b32 v34, v12, v20, s64
	s_waitcnt vmcnt(0)
	v_perm_b32 v35, v16, v24, s64
	v_perm_b32 v12, v12, v20, s65
	;; [unrolled: 1-line block ×15, first 2 shown]
	ds_write2st64_b32 v10, v34, v35 offset1:32
	ds_write2st64_b32 v11, v12, v16 offset1:32
	ds_write2st64_b32 v28, v20, v24 offset0:1 offset1:33
	ds_write2st64_b32 v29, v13, v17 offset0:1 offset1:33
	;; [unrolled: 1-line block ×6, first 2 shown]
	v_or_b32_e32 v10, v52, v54
	v_lshlrev_b32_e32 v10, 3, v10
	v_lshrrev_b32_e32 v12, 5, v45
	v_and_or_b32 v12, v10, s3, v12
	v_lshlrev_b32_e32 v12, 4, v12
	v_lshlrev_b32_e32 v16, 11, v1
	v_and_b32_e32 v10, 0x78, v10
	v_or_b32_e32 v15, 32, v12
	v_and_b32_e32 v11, 0x1000, v16
	v_xor_b32_e32 v13, v12, v10
	v_lshrrev_b32_e32 v17, 1, v0
	v_xor_b32_e32 v15, v15, v10
	v_or_b32_e32 v13, v13, v11
	v_and_b32_e32 v14, 8, v17
	v_or_b32_e32 v15, v15, v11
	v_xor_b32_e32 v71, v13, v14
	v_and_b32_e32 v13, 0x78, v55
	v_xor_b32_e32 v73, v15, v14
	v_or_b32_e32 v15, 64, v12
	v_or_b32_e32 v12, 0x60, v12
	v_lshl_or_b32 v13, v53, 7, v13
	v_xor_b32_e32 v15, v15, v10
	v_xor_b32_e32 v10, v12, v10
	v_or_b32_e32 v72, 0x9000, v13
	v_or_b32_e32 v15, v15, v11
	;; [unrolled: 1-line block ×4, first 2 shown]
	v_lshrrev_b32_e32 v12, 4, v0
	v_lshlrev_b32_e32 v13, 1, v54
	v_xor_b32_e32 v74, v15, v14
	v_xor_b32_e32 v75, v10, v14
	s_ashr_i32 s3, s2, 31
	v_or_b32_e32 v14, 1, v13
	v_xor_b32_e32 v13, v12, v13
	s_lshl_b64 s[20:21], s[2:3], 8
	v_xor_b32_e32 v14, v14, v12
	v_lshlrev_b32_e32 v13, 3, v13
	v_lshlrev_b32_e32 v12, 8, v12
	v_lshl_add_u64 v[10:11], v[46:47], 1, s[8:9]
	s_add_u32 s20, s18, s20
	v_or3_b32 v47, v13, v12, s22
	v_lshlrev_b32_e32 v13, 3, v14
	s_addc_u32 s21, s19, s21
	v_or3_b32 v77, v13, v12, s22
	v_mov_b32_e32 v13, 0
	v_lshl_add_u64 v[14:15], s[20:21], 0, v[12:13]
	v_lshlrev_b32_e32 v12, 4, v54
	s_movk_i32 s3, 0xff
	v_lshlrev_b32_e32 v21, 3, v1
	v_and_b32_e32 v17, 24, v17
	v_lshl_add_u64 v[48:49], v[14:15], 0, v[12:13]
	v_and_b32_e32 v14, 8, v0
	v_cmp_lt_u32_e32 vcc, s3, v0
	v_xor_b32_e32 v22, v21, v17
	v_or_b32_e32 v23, 0x440, v22
	v_cndmask_b32_e64 v20, 0, 1, vcc
	v_cmp_eq_u32_e32 vcc, 0, v14
	v_and_b32_e32 v12, 7, v0
	v_lshlrev_b32_e32 v15, 3, v12
	v_cndmask_b32_e32 v14, v23, v22, vcc
	v_lshlrev_b32_e32 v12, 7, v12
	v_or_b32_e32 v14, v14, v16
	v_xad_u32 v78, v14, v15, v12
	v_or_b32_e32 v14, 32, v17
	v_xor_b32_e32 v14, v21, v14
	v_or_b32_e32 v22, 0x440, v14
	v_cndmask_b32_e32 v14, v22, v14, vcc
	v_or_b32_e32 v14, v14, v16
	v_xad_u32 v79, v14, v15, v12
	v_or_b32_e32 v14, 64, v17
	v_xor_b32_e32 v14, v21, v14
	v_xor_b32_e32 v22, 0x440, v14
	v_cndmask_b32_e32 v14, v22, v14, vcc
	v_or_b32_e32 v14, v14, v16
	v_xad_u32 v80, v14, v15, v12
	v_or_b32_e32 v14, 0x60, v17
	v_xor_b32_e32 v14, v21, v14
	v_xor_b32_e32 v17, 0x440, v14
	v_cndmask_b32_e32 v14, v17, v14, vcc
	v_or_b32_e32 v14, v14, v16
	v_lshlrev_b32_e32 v18, 1, v9
	v_add_lshl_u32 v9, v9, s15, 1
	v_or_b32_e32 v19, 0x100, v5
	v_lshlrev_b32_e32 v20, 13, v20
	v_xad_u32 v81, v14, v15, v12
	v_lshlrev_b32_e32 v12, 8, v57
	v_cndmask_b32_e64 v82, v18, v5, s[0:1]
	v_cndmask_b32_e64 v83, v9, v19, s[0:1]
	v_lshl_add_u64 v[50:51], v[10:11], 0, v[12:13]
	s_mov_b32 s3, 0x7060302
	s_movk_i32 s22, 0x4000
	v_add_u32_e32 v85, v20, v78
	v_add_u32_e32 v86, v20, v79
	;; [unrolled: 1-line block ×4, first 2 shown]
	s_waitcnt lgkmcnt(0)
	s_barrier
.LBB634_32:                             ; =>This Inner Loop Header: Depth=1
	s_add_i32 s37, s39, 1
	s_cmp_lt_i32 s37, s54
	s_mov_b64 s[24:25], 0
	s_cselect_b64 s[44:45], -1, 0
	s_cmp_ge_i32 s37, s54
	s_mov_b64 s[20:21], 0
	s_cbranch_scc1 .LBB634_34
; %bb.33:                               ;   in Loop: Header=BB634_32 Depth=1
	s_add_i32 s0, s63, 64
	s_add_u32 s0, s16, s0
	s_addc_u32 s1, s17, 0
	s_lshl_b64 s[0:1], s[0:1], 8
	s_add_u32 s20, s6, s0
	s_addc_u32 s21, s7, s1
.LBB634_34:                             ;   in Loop: Header=BB634_32 Depth=1
	v_cndmask_b32_e64 v5, 0, 1, s[44:45]
	v_cmp_ne_u32_e64 s[0:1], 1, v5
	s_andn2_b64 vcc, exec, s[44:45]
	s_cbranch_vccnz .LBB634_36
; %bb.35:                               ;   in Loop: Header=BB634_32 Depth=1
	s_add_i32 s24, s63, 64
	s_add_u32 s24, s66, s24
	s_addc_u32 s25, s67, 0
	s_mul_i32 s27, s24, s56
	s_mul_hi_u32 s44, s24, s60
	s_add_i32 s27, s44, s27
	s_mul_i32 s25, s25, s60
	s_add_i32 s27, s27, s25
	s_mul_i32 s24, s24, s60
	s_add_u32 s24, s24, s57
	s_addc_u32 s25, s27, s61
	s_lshl_b64 s[24:25], s[24:25], 8
	s_add_u32 s24, s4, s24
	s_addc_u32 s25, s5, s25
.LBB634_36:                             ;   in Loop: Header=BB634_32 Depth=1
	v_perm_b32 v11, v59, v4, s3
	v_perm_b32 v10, v3, v2, s3
	;; [unrolled: 1-line block ×4, first 2 shown]
	ds_write_b64 v67, v[10:11]
	ds_write_b64 v68, v[12:13]
	;; [unrolled: 1-line block ×4, first 2 shown]
	s_waitcnt lgkmcnt(0)
	s_barrier
	ds_read_b64 v[18:19], v71 offset:16384
	ds_read_b64 v[20:21], v73 offset:16384
	ds_read2st64_b64 v[10:13], v72 offset1:1
	ds_read2st64_b64 v[14:17], v72 offset0:2 offset1:3
	ds_read_b64 v[22:23], v74 offset:16384
	s_waitcnt lgkmcnt(2)
	v_mfma_f32_16x16x16_bf16 a[0:3], v[18:19], v[10:11], 0
	ds_read_b64 v[10:11], v75 offset:16384
	s_add_i32 s27, s63, 63
	s_mul_i32 s44, s27, s35
	v_mfma_f32_16x16x16_bf16 a[0:3], v[20:21], v[12:13], a[0:3]
	s_mul_hi_u32 s45, s27, s34
	s_add_i32 s45, s45, s44
	s_mul_i32 s44, s27, s34
	s_waitcnt lgkmcnt(1)
	v_mfma_f32_16x16x16_bf16 a[0:3], v[22:23], v[14:15], a[0:3]
	s_lshl_b64 s[44:45], s[44:45], 2
	s_add_u32 s44, s42, s44
	s_addc_u32 s45, s43, s45
	s_waitcnt lgkmcnt(0)
	v_mfma_f32_16x16x16_bf16 a[0:3], v[10:11], v[16:17], a[0:3]
	s_and_b64 vcc, exec, s[0:1]
	v_mov_b32_e32 v89, 0
	v_mov_b32_e32 v9, 0
	;; [unrolled: 1-line block ×19, first 2 shown]
	s_cbranch_vccnz .LBB634_38
; %bb.37:                               ;   in Loop: Header=BB634_32 Depth=1
	s_and_b32 s21, s21, 0xffff
	buffer_load_dwordx4 v[22:25], v63, s[20:23], 0 offen
	buffer_load_dwordx4 v[18:21], v63, s[20:23], s62 offen
	;; [unrolled: 1-line block ×4, first 2 shown]
	v_mov_b32_e32 v9, v65
	v_mov_b32_e32 v5, v66
.LBB634_38:                             ;   in Loop: Header=BB634_32 Depth=1
	s_waitcnt vmcnt(3)
	v_add_u32_e32 v32, s63, v57
	s_waitcnt vmcnt(1)
	v_ashrrev_i32_e32 v26, 31, v32
	v_mul_lo_u32 v28, v26, s34
	v_mul_lo_u32 v29, v32, s35
	v_mad_u64_u32 v[26:27], s[20:21], v32, s34, 0
	v_add3_u32 v27, v27, v29, v28
	v_add_u32_e32 v28, 1, v32
	v_ashrrev_i32_e32 v29, 31, v28
	v_mul_lo_u32 v30, v29, s34
	v_mul_lo_u32 v31, v28, s35
	v_mad_u64_u32 v[28:29], s[20:21], v28, s34, 0
	v_add3_u32 v29, v29, v31, v30
	v_add_u32_e32 v30, 2, v32
	v_ashrrev_i32_e32 v31, 31, v30
	v_mul_lo_u32 v33, v31, s34
	v_mul_lo_u32 v34, v30, s35
	v_mad_u64_u32 v[30:31], s[20:21], v30, s34, 0
	v_add_u32_e32 v32, 3, v32
	v_add3_u32 v31, v31, v34, v33
	v_ashrrev_i32_e32 v33, 31, v32
	v_mul_lo_u32 v36, v33, s34
	v_mul_lo_u32 v37, v32, s35
	v_mad_u64_u32 v[32:33], s[20:21], v32, s34, 0
	s_add_u32 s20, s16, s63
	s_addc_u32 s21, s17, 0
	s_lshl_b64 s[20:21], s[20:21], 8
	v_lshl_add_u64 v[26:27], v[26:27], 2, s[42:43]
	v_lshl_add_u64 v[34:35], v[50:51], 0, s[20:21]
	;; [unrolled: 1-line block ×3, first 2 shown]
	global_load_ushort v91, v[34:35], off
	global_load_ushort v96, v[34:35], off offset:256
	global_load_ushort v97, v[34:35], off offset:512
	;; [unrolled: 1-line block ×3, first 2 shown]
	v_add3_u32 v33, v33, v37, v36
	global_load_dword v99, v[26:27], off
	v_lshl_add_u64 v[30:31], v[30:31], 2, s[42:43]
	v_lshl_add_u64 v[26:27], v[32:33], 2, s[42:43]
	global_load_dword v100, v[28:29], off
	global_load_dword v101, v[30:31], off
	;; [unrolled: 1-line block ×3, first 2 shown]
	s_load_dword s20, s[44:45], 0x0
	ds_read2st64_b64 v[32:35], v76 offset1:1
	ds_read2st64_b64 v[36:39], v76 offset0:2 offset1:3
	ds_read_b64 v[30:31], v71 offset:24576
	ds_read_b64 v[40:41], v73 offset:24576
	;; [unrolled: 1-line block ×4, first 2 shown]
	s_waitcnt lgkmcnt(0)
	v_mfma_f32_16x16x16_bf16 a[0:3], v[30:31], v[32:33], a[0:3]
	v_mov_b32_e32 v90, 0
	v_mov_b32_e32 v26, 0
	v_mov_b32_e32 v27, 0
	v_mfma_f32_16x16x16_bf16 a[0:3], v[40:41], v[34:35], a[0:3]
	v_mov_b32_e32 v28, 0
	v_mov_b32_e32 v29, 0
	v_mov_b32_e32 v30, 0
	;; [unrolled: 4-line block ×4, first 2 shown]
	v_mov_b32_e32 v37, 0
	s_and_b64 vcc, exec, s[0:1]
	s_waitcnt vmcnt(7)
	v_lshlrev_b32_e32 v92, 16, v91
	s_waitcnt vmcnt(6)
	v_lshlrev_b32_e32 v93, 16, v96
	;; [unrolled: 2-line block ×4, first 2 shown]
	v_accvgpr_read_b32 v41, a1
	s_waitcnt vmcnt(3)
	v_sub_f32_e32 v91, s20, v99
	v_mul_f32_e32 v91, 0x3fb8aa3b, v91
	s_waitcnt vmcnt(2)
	v_sub_f32_e32 v97, s20, v100
	s_waitcnt vmcnt(1)
	v_sub_f32_e32 v98, s20, v101
	;; [unrolled: 2-line block ×3, first 2 shown]
	v_exp_f32_e32 v96, v91
	v_mul_f32_e32 v91, 0x3fb8aa3b, v97
	v_mul_f32_e32 v98, 0x3fb8aa3b, v98
	;; [unrolled: 1-line block ×3, first 2 shown]
	v_exp_f32_e32 v97, v91
	v_exp_f32_e32 v98, v98
	;; [unrolled: 1-line block ×3, first 2 shown]
	v_accvgpr_read_b32 v39, a3
	v_accvgpr_read_b32 v38, a2
	;; [unrolled: 1-line block ×3, first 2 shown]
	v_pk_add_f32 v[40:41], v[92:93], v[40:41] neg_lo:[0,1] neg_hi:[0,1]
	v_pk_add_f32 v[38:39], v[94:95], v[38:39] neg_lo:[0,1] neg_hi:[0,1]
	v_pk_mul_f32 v[40:41], v[96:97], v[40:41]
	v_pk_mul_f32 v[38:39], v[98:99], v[38:39]
	s_nop 0
	v_perm_b32 v39, v39, v38, s3
	v_perm_b32 v38, v41, v40, s3
	ds_write_b64 v68, v[38:39]
	v_mov_b32_e32 v38, 0
	v_mov_b32_e32 v39, 0
	;; [unrolled: 1-line block ×4, first 2 shown]
	s_cbranch_vccnz .LBB634_40
; %bb.39:                               ;   in Loop: Header=BB634_32 Depth=1
	s_and_b32 s25, s25, 0xffff
	s_mov_b32 s27, s23
	buffer_load_dwordx4 v[38:41], v82, s[24:27], 0 offen
	buffer_load_dwordx4 v[30:33], v82, s[24:27], s62 offen
	;; [unrolled: 1-line block ×4, first 2 shown]
	v_mov_b32_e32 v89, v62
	v_mov_b32_e32 v90, v61
.LBB634_40:                             ;   in Loop: Header=BB634_32 Depth=1
	s_waitcnt lgkmcnt(0)
	s_barrier
	ds_read_b64 v[100:101], v85
	ds_read2st64_b64 v[92:95], v76 offset1:1
	ds_read2st64_b64 v[96:99], v76 offset0:2 offset1:3
	ds_read_b64 v[102:103], v86
	ds_read_b64 v[104:105], v87
	;; [unrolled: 1-line block ×3, first 2 shown]
	s_waitcnt lgkmcnt(4)
	v_mfma_f32_16x16x16_bf16 a[0:3], v[100:101], v[92:93], 0
	ds_read_b64 v[100:101], v78 offset:8192
	ds_read_b64 v[108:109], v79 offset:8192
	s_add_i32 s21, s58, s39
	s_mul_hi_i32 s25, s21, s13
	s_waitcnt lgkmcnt(1)
	v_mfma_f32_16x16x16_bf16 a[4:7], v[100:101], v[92:93], 0
	s_mul_i32 s21, s21, s13
	s_add_u32 s24, s21, s51
	s_addc_u32 s25, s25, s55
	v_mfma_f32_16x16x16_bf16 a[0:3], v[102:103], v[94:95], a[0:3]
	ds_read_b64 v[100:101], v47
	ds_read_b64 v[102:103], v77
	ds_read_b64 v[92:93], v80 offset:8192
	s_lshl_b64 s[24:25], s[24:25], 15
	v_mfma_f32_16x16x16_bf16 a[0:3], v[104:105], v[96:97], a[0:3]
	ds_read_b64 v[104:105], v81 offset:8192
	s_and_b64 vcc, exec, s[0:1]
	s_waitcnt lgkmcnt(4)
	v_mfma_f32_16x16x16_bf16 a[4:7], v[108:109], v[94:95], a[4:7]
	s_waitcnt lgkmcnt(1)
	v_mfma_f32_16x16x16_bf16 a[4:7], v[92:93], v[96:97], a[4:7]
	v_lshl_add_u64 v[92:93], v[48:49], 0, s[24:25]
	global_store_dwordx4 v[92:93], v[100:103], off
	v_mfma_f32_16x16x16_bf16 a[0:3], v[106:107], v[98:99], a[0:3]
	s_waitcnt lgkmcnt(0)
	v_mfma_f32_16x16x16_bf16 a[4:7], v[104:105], v[98:99], a[4:7]
	s_cbranch_vccnz .LBB634_42
; %bb.41:                               ;   in Loop: Header=BB634_32 Depth=1
	v_lshrrev_b32_e32 v91, 3, v89
	v_and_b32_e32 v91, 6, v91
	v_xor_b32_e32 v90, v91, v90
	v_lshlrev_b32_e32 v90, 2, v90
	v_and_b32_e32 v89, 8, v89
	v_xor_b32_e32 v92, 0x440, v90
	v_cmp_eq_u32_e32 vcc, 0, v89
	s_barrier
	s_nop 0
	v_cndmask_b32_e32 v89, v92, v90, vcc
	v_lshl_or_b32 v89, v91, 10, v89
	s_waitcnt vmcnt(2)
	v_perm_b32 v90, v38, v34, s64
	s_waitcnt vmcnt(1)
	v_perm_b32 v91, v30, v26, s64
	ds_write2st64_b32 v89, v90, v91 offset1:32
	v_xor_b32_e32 v90, 8, v89
	v_perm_b32 v34, v38, v34, s65
	v_perm_b32 v26, v30, v26, s65
	v_add_u32_e32 v30, 0x80, v90
	ds_write2st64_b32 v30, v34, v26 offset1:32
	v_xor_b32_e32 v26, 16, v89
	v_perm_b32 v30, v39, v35, s64
	v_perm_b32 v34, v31, v27, s64
	ds_write2st64_b32 v26, v30, v34 offset0:1 offset1:33
	v_xor_b32_e32 v26, 24, v89
	v_perm_b32 v30, v39, v35, s65
	v_perm_b32 v27, v31, v27, s65
	v_add_u32_e32 v26, 0x80, v26
	ds_write2st64_b32 v26, v30, v27 offset0:1 offset1:33
	v_xor_b32_e32 v26, 32, v89
	v_perm_b32 v27, v40, v36, s64
	v_perm_b32 v30, v32, v28, s64
	ds_write2st64_b32 v26, v27, v30 offset0:2 offset1:34
	v_xor_b32_e32 v26, 40, v89
	v_perm_b32 v27, v40, v36, s65
	v_perm_b32 v28, v32, v28, s65
	v_add_u32_e32 v26, 0x80, v26
	ds_write2st64_b32 v26, v27, v28 offset0:2 offset1:34
	;; [unrolled: 9-line block ×3, first 2 shown]
	ds_write_b64 v9, v[22:23] offset:16384
	v_xor_b32_e32 v22, 8, v9
	ds_write_b64 v22, v[24:25] offset:16384
	ds_write_b64 v9, v[18:19] offset:24576
	;; [unrolled: 1-line block ×4, first 2 shown]
	v_xor_b32_e32 v9, 8, v5
	ds_write_b64 v9, v[16:17] offset:16384
	ds_write_b64 v5, v[10:11] offset:24576
	;; [unrolled: 1-line block ×3, first 2 shown]
.LBB634_42:                             ;   in Loop: Header=BB634_32 Depth=1
	v_mul_f32_e32 v5, s20, v84
	v_exp_f32_e32 v10, v5
	s_nop 1
	v_accvgpr_read_b32 v9, a1
	v_accvgpr_read_b32 v5, a0
	s_add_i32 s63, s63, 64
	v_fma_f32 v3, v3, v10, v9
	v_accvgpr_read_b32 v9, a4
	v_fma_f32 v6, v6, v10, v9
	v_accvgpr_read_b32 v9, a5
	;; [unrolled: 2-line block ×6, first 2 shown]
	v_fmac_f32_e32 v5, v59, v10
	s_cmp_eq_u32 s54, s37
	v_fmac_f32_e32 v9, v60, v10
	s_cbranch_scc1 .LBB634_4
; %bb.43:                               ;   in Loop: Header=BB634_32 Depth=1
	s_mov_b32 s39, s37
	v_mov_b32_e32 v59, v5
	v_mov_b32_e32 v60, v9
	s_branch .LBB634_32
.LBB634_44:
                                        ; implicit-def: $vgpr13
                                        ; implicit-def: $vgpr17
                                        ; implicit-def: $vgpr21
                                        ; implicit-def: $vgpr25
	s_cbranch_execz .LBB634_46
; %bb.45:
	s_waitcnt vmcnt(0)
	v_mad_u64_u32 v[10:11], s[0:1], v27, s15, v[26:27]
	v_lshlrev_b32_e32 v27, 1, v10
	s_lshl_b32 s2, s15, 7
	s_and_b32 s1, s5, 0xffff
	s_mov_b32 s3, 0x20000
	s_mov_b32 s0, s4
	v_add_lshl_u32 v28, v10, s15, 1
	s_movk_i32 s13, 0x80
	buffer_load_dwordx4 v[10:13], v27, s[0:3], 0 offen
	buffer_load_dwordx4 v[18:21], v27, s[0:3], s13 offen
	buffer_load_dwordx4 v[14:17], v28, s[0:3], 0 offen
	buffer_load_dwordx4 v[22:25], v28, s[0:3], s13 offen
.LBB634_46:
	v_lshrrev_b32_e32 v45, 2, v45
	s_cbranch_execnz .LBB634_59
.LBB634_47:
	s_and_b64 vcc, exec, s[6:7]
	s_cbranch_vccz .LBB634_57
; %bb.48:
	s_waitcnt vmcnt(0)
	v_lshlrev_b32_e32 v15, 1, v47
	v_cmp_gt_i32_e32 vcc, s27, v15
	v_mov_b32_e32 v14, 0
	v_lshlrev_b32_e32 v22, 9, v47
	v_mov_b32_e32 v10, 0
	v_mov_b32_e32 v11, 0
	;; [unrolled: 1-line block ×4, first 2 shown]
	s_and_saveexec_b64 s[0:1], vcc
	s_cbranch_execz .LBB634_50
; %bb.49:
	v_mov_b32_e32 v23, 0
	v_lshl_add_u64 v[10:11], s[4:5], 0, v[22:23]
	v_lshlrev_b32_e32 v12, 1, v26
	v_mov_b32_e32 v13, v23
	v_lshl_add_u64 v[10:11], v[10:11], 0, v[12:13]
	global_load_dwordx4 v[10:13], v[10:11], off
.LBB634_50:
	s_or_b64 exec, exec, s[0:1]
	v_or_b32_e32 v15, 1, v15
	v_cmp_gt_i32_e64 s[0:1], s27, v15
	v_lshlrev_b32_e32 v28, 8, v15
	v_mov_b32_e32 v15, 0
	v_mov_b32_e32 v16, 0
	;; [unrolled: 1-line block ×3, first 2 shown]
	s_and_saveexec_b64 s[2:3], s[0:1]
	s_cbranch_execz .LBB634_52
; %bb.51:
	v_mov_b32_e32 v29, 0
	v_lshl_add_u64 v[14:15], s[4:5], 0, v[28:29]
	v_lshlrev_b32_e32 v16, 1, v26
	v_mov_b32_e32 v17, v29
	v_lshl_add_u64 v[14:15], v[14:15], 0, v[16:17]
	global_load_dwordx4 v[14:17], v[14:15], off
.LBB634_52:
	s_or_b64 exec, exec, s[2:3]
	v_mov_b32_e32 v25, 0
	v_mov_b32_e32 v18, 0
	;; [unrolled: 1-line block ×5, first 2 shown]
	s_and_saveexec_b64 s[2:3], vcc
	s_cbranch_execz .LBB634_54
; %bb.53:
	v_mov_b32_e32 v23, 0
	v_lshl_add_u64 v[18:19], s[4:5], 0, v[22:23]
	v_lshlrev_b32_e32 v22, 1, v26
	v_lshl_add_u64 v[18:19], v[18:19], 0, v[22:23]
	global_load_dwordx4 v[18:21], v[18:19], off offset:128
.LBB634_54:
	s_or_b64 exec, exec, s[2:3]
	v_mov_b32_e32 v24, 0
	v_mov_b32_e32 v23, 0
	;; [unrolled: 1-line block ×3, first 2 shown]
	s_and_saveexec_b64 s[2:3], s[0:1]
	s_cbranch_execz .LBB634_56
; %bb.55:
	v_mov_b32_e32 v29, 0
	v_lshl_add_u64 v[22:23], s[4:5], 0, v[28:29]
	v_lshlrev_b32_e32 v28, 1, v26
	v_lshl_add_u64 v[22:23], v[22:23], 0, v[28:29]
	global_load_dwordx4 v[22:25], v[22:23], off offset:128
.LBB634_56:
	s_or_b64 exec, exec, s[2:3]
	s_branch .LBB634_59
.LBB634_57:
                                        ; implicit-def: $vgpr13
                                        ; implicit-def: $vgpr17
                                        ; implicit-def: $vgpr21
                                        ; implicit-def: $vgpr25
	s_cbranch_execz .LBB634_59
; %bb.58:
	s_waitcnt vmcnt(0)
	v_lshlrev_b32_e32 v10, 1, v26
	v_lshl_or_b32 v26, v47, 9, v10
	s_and_b32 s5, s5, 0xffff
	s_mov_b32 s7, 0x20000
	s_movk_i32 s6, 0x4000
	s_movk_i32 s0, 0x80
	buffer_load_dwordx4 v[10:13], v26, s[4:7], 0 offen
	buffer_load_dwordx4 v[14:17], v26, s[4:7], 0 offen offset:256
	buffer_load_dwordx4 v[18:21], v26, s[4:7], s0 offen
	buffer_load_dwordx4 v[22:25], v26, s[4:7], s0 offen offset:256
.LBB634_59:
	ds_read2st64_b64 v[30:33], v50 offset0:76 offset1:77
	ds_read2st64_b64 v[26:29], v50 offset0:78 offset1:79
	ds_read_b64 v[38:39], v34 offset:24576
	ds_read_b64 v[40:41], v35 offset:24576
	;; [unrolled: 1-line block ×4, first 2 shown]
	v_and_b32_e32 v51, 6, v0
	v_xor_b32_e32 v47, v47, v51
	v_lshlrev_b32_e32 v47, 2, v47
	v_and_b32_e32 v53, 1, v0
	v_xor_b32_e32 v54, 0x440, v47
	v_cmp_eq_u32_e32 vcc, 0, v53
	s_mov_b32 s0, 0x1000504
	s_waitcnt vmcnt(0)
	v_perm_b32 v53, v18, v22, s0
	v_cndmask_b32_e32 v47, v54, v47, vcc
	v_lshl_or_b32 v47, v51, 10, v47
	v_perm_b32 v51, v10, v14, s0
	ds_write2st64_b32 v47, v51, v53 offset1:32
	v_xor_b32_e32 v51, 8, v47
	s_mov_b32 s1, 0x3020706
	v_perm_b32 v10, v10, v14, s1
	v_perm_b32 v14, v18, v22, s1
	v_add_u32_e32 v18, 0x80, v51
	ds_write2st64_b32 v18, v10, v14 offset1:32
	v_xor_b32_e32 v10, 16, v47
	v_perm_b32 v14, v11, v15, s0
	v_perm_b32 v18, v19, v23, s0
	ds_write2st64_b32 v10, v14, v18 offset0:1 offset1:33
	v_xor_b32_e32 v10, 24, v47
	v_perm_b32 v11, v11, v15, s1
	v_perm_b32 v14, v19, v23, s1
	v_add_u32_e32 v10, 0x80, v10
	ds_write2st64_b32 v10, v11, v14 offset0:1 offset1:33
	v_xor_b32_e32 v10, 32, v47
	v_perm_b32 v11, v12, v16, s0
	v_perm_b32 v14, v20, v24, s0
	ds_write2st64_b32 v10, v11, v14 offset0:2 offset1:34
	v_xor_b32_e32 v10, 40, v47
	v_perm_b32 v11, v12, v16, s1
	v_perm_b32 v12, v20, v24, s1
	v_add_u32_e32 v10, 0x80, v10
	ds_write2st64_b32 v10, v11, v12 offset0:2 offset1:34
	v_xor_b32_e32 v10, 48, v47
	v_perm_b32 v11, v13, v17, s0
	v_perm_b32 v12, v21, v25, s0
	ds_write2st64_b32 v10, v11, v12 offset0:3 offset1:35
	v_xor_b32_e32 v10, 56, v47
	v_and_or_b32 v16, v45, 12, v52
	v_perm_b32 v11, v13, v17, s1
	v_perm_b32 v12, v21, v25, s1
	v_add_u32_e32 v10, 0x80, v10
	v_cmp_gt_i32_e32 vcc, s27, v16
	v_mov_b32_e32 v17, 0
	v_mov_b32_e32 v21, 0
	ds_write2st64_b32 v10, v11, v12 offset0:3 offset1:35
	s_and_saveexec_b64 s[0:1], vcc
	s_cbranch_execz .LBB634_61
; %bb.60:
	v_add_u32_e32 v10, s26, v16
	v_ashrrev_i32_e32 v11, 31, v10
	v_mul_lo_u32 v12, v11, s34
	v_mul_lo_u32 v13, v10, s35
	v_mad_u64_u32 v[10:11], s[2:3], v10, s34, 0
	v_add3_u32 v11, v11, v13, v12
	v_lshl_add_u64 v[10:11], v[10:11], 2, s[10:11]
	global_load_dword v10, v[10:11], off
	s_waitcnt vmcnt(0)
	v_sub_f32_e32 v10, s12, v10
	v_mul_f32_e32 v10, 0x3fb8aa3b, v10
	v_exp_f32_e32 v21, v10
.LBB634_61:
	s_or_b64 exec, exec, s[0:1]
	v_or_b32_e32 v19, 1, v16
	v_cmp_gt_i32_e64 s[0:1], s27, v19
	s_and_saveexec_b64 s[2:3], s[0:1]
	s_cbranch_execz .LBB634_63
; %bb.62:
	v_add_u32_e32 v10, s26, v19
	v_ashrrev_i32_e32 v11, 31, v10
	v_mul_lo_u32 v12, v11, s34
	v_mul_lo_u32 v13, v10, s35
	v_mad_u64_u32 v[10:11], s[4:5], v10, s34, 0
	v_add3_u32 v11, v11, v13, v12
	v_lshl_add_u64 v[10:11], v[10:11], 2, s[10:11]
	global_load_dword v10, v[10:11], off
	s_waitcnt vmcnt(0)
	v_sub_f32_e32 v10, s12, v10
	v_mul_f32_e32 v10, 0x3fb8aa3b, v10
	v_exp_f32_e32 v17, v10
.LBB634_63:
	s_or_b64 exec, exec, s[2:3]
	v_or_b32_e32 v20, 2, v16
	v_cmp_gt_i32_e64 s[2:3], s27, v20
	v_mov_b32_e32 v18, 0
	v_mov_b32_e32 v23, 0
	s_and_saveexec_b64 s[4:5], s[2:3]
	s_cbranch_execz .LBB634_65
; %bb.64:
	v_add_u32_e32 v10, s26, v20
	v_ashrrev_i32_e32 v11, 31, v10
	v_mul_lo_u32 v12, v11, s34
	v_mul_lo_u32 v13, v10, s35
	v_mad_u64_u32 v[10:11], s[6:7], v10, s34, 0
	v_add3_u32 v11, v11, v13, v12
	v_lshl_add_u64 v[10:11], v[10:11], 2, s[10:11]
	global_load_dword v10, v[10:11], off
	s_waitcnt vmcnt(0)
	v_sub_f32_e32 v10, s12, v10
	v_mul_f32_e32 v10, 0x3fb8aa3b, v10
	v_exp_f32_e32 v23, v10
.LBB634_65:
	s_or_b64 exec, exec, s[4:5]
	v_or_b32_e32 v22, 3, v16
	v_cmp_gt_i32_e64 s[4:5], s27, v22
	s_and_saveexec_b64 s[6:7], s[4:5]
	s_cbranch_execz .LBB634_67
; %bb.66:
	v_add_u32_e32 v10, s26, v22
	v_ashrrev_i32_e32 v11, 31, v10
	v_mul_lo_u32 v12, v11, s34
	v_mul_lo_u32 v13, v10, s35
	v_mad_u64_u32 v[10:11], s[14:15], v10, s34, 0
	v_add3_u32 v11, v11, v13, v12
	v_lshl_add_u64 v[10:11], v[10:11], 2, s[10:11]
	global_load_dword v10, v[10:11], off
	s_waitcnt vmcnt(0)
	v_sub_f32_e32 v10, s12, v10
	v_mul_f32_e32 v10, 0x3fb8aa3b, v10
	v_exp_f32_e32 v18, v10
.LBB634_67:
	s_or_b64 exec, exec, s[6:7]
	s_waitcnt lgkmcnt(11)
	v_mfma_f32_16x16x16_bf16 a[0:3], v[38:39], v[30:31], a[0:3]
	s_add_u32 s6, s8, s20
	v_ashrrev_i32_e32 v47, 31, v46
	s_addc_u32 s7, s9, s21
	s_waitcnt lgkmcnt(10)
	v_mfma_f32_16x16x16_bf16 a[0:3], v[40:41], v[32:33], a[0:3]
	v_mov_b32_e32 v24, 0
	v_lshl_add_u64 v[14:15], v[46:47], 1, s[6:7]
	v_mov_b32_e32 v25, 0
	s_waitcnt lgkmcnt(9)
	v_mfma_f32_16x16x16_bf16 a[0:3], v[36:37], v[26:27], a[0:3]
	s_waitcnt lgkmcnt(8)
	v_mfma_f32_16x16x16_bf16 a[0:3], v[34:35], v[28:29], a[0:3]
	s_nop 6
	v_accvgpr_read_b32 v13, a3
	v_accvgpr_read_b32 v12, a2
	;; [unrolled: 1-line block ×4, first 2 shown]
	s_and_saveexec_b64 s[6:7], vcc
	s_cbranch_execz .LBB634_69
; %bb.68:
	v_lshlrev_b32_e32 v26, 8, v16
	v_mov_b32_e32 v27, 0
	v_lshl_add_u64 v[26:27], v[14:15], 0, v[26:27]
	global_load_ushort v25, v[26:27], off
	s_waitcnt vmcnt(0)
	v_lshlrev_b32_e32 v25, 16, v25
	v_sub_f32_e32 v10, v25, v10
	v_mul_f32_e32 v10, v21, v10
	v_lshrrev_b32_e32 v25, 16, v10
.LBB634_69:
	s_or_b64 exec, exec, s[6:7]
	s_and_saveexec_b64 s[6:7], s[0:1]
	s_cbranch_execz .LBB634_71
; %bb.70:
	v_lshlrev_b32_e32 v26, 8, v19
	v_mov_b32_e32 v27, 0
	v_lshl_add_u64 v[26:27], v[14:15], 0, v[26:27]
	global_load_ushort v10, v[26:27], off
	s_waitcnt vmcnt(0)
	v_lshlrev_b32_e32 v10, 16, v10
	v_sub_f32_e32 v10, v10, v11
	v_mul_f32_e32 v10, v17, v10
	v_lshrrev_b32_e32 v24, 16, v10
.LBB634_71:
	s_or_b64 exec, exec, s[6:7]
	v_mov_b32_e32 v11, 0
	v_mov_b32_e32 v17, 0
	s_and_saveexec_b64 s[0:1], s[2:3]
	s_cbranch_execz .LBB634_73
; %bb.72:
	v_lshlrev_b32_e32 v20, 8, v20
	v_mov_b32_e32 v21, 0
	v_lshl_add_u64 v[20:21], v[14:15], 0, v[20:21]
	global_load_ushort v10, v[20:21], off
	s_waitcnt vmcnt(0)
	v_lshlrev_b32_e32 v10, 16, v10
	v_sub_f32_e32 v10, v10, v12
	v_mul_f32_e32 v10, v23, v10
	v_lshrrev_b32_e32 v17, 16, v10
.LBB634_73:
	s_or_b64 exec, exec, s[0:1]
	v_or_b32_e32 v10, 0x9800, v50
	s_and_saveexec_b64 s[0:1], s[4:5]
	s_cbranch_execz .LBB634_75
; %bb.74:
	v_lshlrev_b32_e32 v20, 8, v22
	v_mov_b32_e32 v21, 0
	v_lshl_add_u64 v[14:15], v[14:15], 0, v[20:21]
	global_load_ushort v11, v[14:15], off
	s_waitcnt vmcnt(0)
	v_lshlrev_b32_e32 v11, 16, v11
	v_sub_f32_e32 v11, v11, v13
	v_mul_f32_e32 v11, v18, v11
	v_lshrrev_b32_e32 v11, 16, v11
.LBB634_75:
	s_or_b64 exec, exec, s[0:1]
	s_mov_b32 s0, 0x5040100
	v_perm_b32 v13, v11, v17, s0
	v_lshlrev_b32_e32 v11, 1, v48
	v_perm_b32 v12, v24, v25, s0
	v_lshl_or_b32 v11, v16, 5, v11
	s_movk_i32 s0, 0xff
	ds_write_b64 v11, v[12:13] offset:38912
	v_and_b32_e32 v11, 7, v0
	v_and_b32_e32 v12, 8, v0
	v_cmp_lt_u32_e32 vcc, s0, v0
	v_lshrrev_b32_e32 v0, 1, v0
	v_lshlrev_b32_e32 v22, 3, v1
	v_and_b32_e32 v23, 24, v0
	v_xor_b32_e32 v0, v22, v23
	v_cndmask_b32_e64 v13, 0, 1, vcc
	v_or_b32_e32 v1, 0x440, v0
	v_cmp_eq_u32_e32 vcc, 0, v12
	v_lshlrev_b32_e32 v20, 3, v11
	v_lshlrev_b32_e32 v11, 7, v11
	v_cndmask_b32_e32 v0, v1, v0, vcc
	v_or_b32_e32 v0, v0, v49
	v_lshlrev_b32_e32 v21, 13, v13
	v_xad_u32 v24, v0, v20, v11
	v_add_u32_e32 v0, v21, v24
	s_waitcnt lgkmcnt(0)
	s_barrier
	ds_read_b64 v[0:1], v0
	ds_read2st64_b64 v[12:15], v10 offset1:1
	ds_read2st64_b64 v[16:19], v10 offset0:2 offset1:3
	s_waitcnt lgkmcnt(1)
	v_mfma_f32_16x16x16_bf16 a[0:3], v[0:1], v[12:13], 0
	v_or_b32_e32 v0, 32, v23
	v_xor_b32_e32 v0, v22, v0
	v_or_b32_e32 v1, 0x440, v0
	v_cndmask_b32_e32 v0, v1, v0, vcc
	v_or_b32_e32 v0, v0, v49
	v_xad_u32 v25, v0, v20, v11
	v_add_u32_e32 v0, v21, v25
	ds_read_b64 v[0:1], v0
	v_or_b32_e32 v10, 0x60, v23
	s_waitcnt lgkmcnt(0)
	v_mfma_f32_16x16x16_bf16 a[0:3], v[0:1], v[14:15], a[0:3]
	v_or_b32_e32 v0, 64, v23
	v_xor_b32_e32 v0, v22, v0
	v_xor_b32_e32 v1, 0x440, v0
	v_cndmask_b32_e32 v0, v1, v0, vcc
	v_or_b32_e32 v0, v0, v49
	v_xad_u32 v26, v0, v20, v11
	v_add_u32_e32 v0, v21, v26
	ds_read_b64 v[0:1], v0
	v_xor_b32_e32 v10, v22, v10
	v_xor_b32_e32 v22, 0x440, v10
	v_cndmask_b32_e32 v10, v22, v10, vcc
	v_or_b32_e32 v10, v10, v49
	v_xad_u32 v22, v10, v20, v11
	v_add_u32_e32 v10, v21, v22
	ds_read_b64 v[10:11], v10
	s_waitcnt lgkmcnt(1)
	v_mfma_f32_16x16x16_bf16 a[0:3], v[0:1], v[16:17], a[0:3]
	ds_read_b64 v[0:1], v24 offset:8192
	ds_read_b64 v[20:21], v25 offset:8192
	v_mov_b32_e32 v23, 0x3fb8aa3b
	s_waitcnt lgkmcnt(2)
	v_mfma_f32_16x16x16_bf16 a[0:3], v[10:11], v[18:19], a[0:3]
	v_mul_f32_e32 v10, s12, v23
	v_exp_f32_e32 v23, v10
	ds_read_b64 v[10:11], v26 offset:8192
	s_waitcnt lgkmcnt(2)
	v_mfma_f32_16x16x16_bf16 a[4:7], v[0:1], v[12:13], 0
	ds_read_b64 v[12:13], v22 offset:8192
	s_nop 0
	v_accvgpr_read_b32 v0, a0
	v_accvgpr_read_b32 v1, a1
	s_waitcnt lgkmcnt(2)
	v_mfma_f32_16x16x16_bf16 a[4:7], v[20:21], v[14:15], a[4:7]
	v_fma_f32 v0, v2, v23, v0
	v_fma_f32 v1, v3, v23, v1
	v_accvgpr_read_b32 v2, a2
	s_waitcnt lgkmcnt(1)
	v_mfma_f32_16x16x16_bf16 a[4:7], v[10:11], v[16:17], a[4:7]
	v_accvgpr_read_b32 v3, a3
	v_fma_f32 v2, v4, v23, v2
	v_fmac_f32_e32 v3, v5, v23
	s_waitcnt lgkmcnt(0)
	v_mfma_f32_16x16x16_bf16 a[0:3], v[12:13], v[18:19], a[4:7]
	s_nop 6
	v_accvgpr_read_b32 v4, a0
	v_accvgpr_read_b32 v5, a1
	v_fma_f32 v4, v6, v23, v4
	v_fma_f32 v5, v7, v23, v5
	v_accvgpr_read_b32 v6, a2
	v_accvgpr_read_b32 v7, a3
	v_fma_f32 v6, v8, v23, v6
	v_fmac_f32_e32 v7, v9, v23
	v_mov_b64_e32 v[8:9], v[6:7]
	v_mov_b64_e32 v[6:7], v[4:5]
	;; [unrolled: 1-line block ×4, first 2 shown]
.LBB634_76:
	s_waitcnt lgkmcnt(0)
	s_add_u32 s0, s30, s28
	s_addc_u32 s1, s31, s29
	v_lshl_add_u64 v[0:1], v[42:43], 1, s[0:1]
	v_mov_b32_e32 v45, 0
	s_mov_b32 s0, 0x7060302
	v_lshl_add_u64 v[0:1], v[0:1], 0, v[44:45]
	v_perm_b32 v5, v5, v4, s0
	v_perm_b32 v4, v3, v2, s0
	;; [unrolled: 1-line block ×4, first 2 shown]
	global_store_dwordx2 v[0:1], v[4:5], off
	global_store_dwordx2 v[0:1], v[2:3], off offset:128
	s_endpgm
	.section	.rodata,"a",@progbits
	.p2align	6, 0x0
	.amdhsa_kernel _ZN12_GLOBAL__N_139chunk_gated_delta_rule_fwd_h_hip_kernelILi16ELb1ELb1ELb0ELb0ELb0ELb0ELb0ELb1EEEvPK12hip_bfloat16S3_S3_PKfS5_PKvPS1_S8_PvPKiSB_iiiiilll
		.amdhsa_group_segment_fixed_size 40960
		.amdhsa_private_segment_fixed_size 0
		.amdhsa_kernarg_size 136
		.amdhsa_user_sgpr_count 2
		.amdhsa_user_sgpr_dispatch_ptr 0
		.amdhsa_user_sgpr_queue_ptr 0
		.amdhsa_user_sgpr_kernarg_segment_ptr 1
		.amdhsa_user_sgpr_dispatch_id 0
		.amdhsa_user_sgpr_kernarg_preload_length 0
		.amdhsa_user_sgpr_kernarg_preload_offset 0
		.amdhsa_user_sgpr_private_segment_size 0
		.amdhsa_uses_dynamic_stack 0
		.amdhsa_enable_private_segment 0
		.amdhsa_system_sgpr_workgroup_id_x 1
		.amdhsa_system_sgpr_workgroup_id_y 1
		.amdhsa_system_sgpr_workgroup_id_z 0
		.amdhsa_system_sgpr_workgroup_info 0
		.amdhsa_system_vgpr_workitem_id 0
		.amdhsa_next_free_vgpr 120
		.amdhsa_next_free_sgpr 68
		.amdhsa_accum_offset 112
		.amdhsa_reserve_vcc 1
		.amdhsa_float_round_mode_32 0
		.amdhsa_float_round_mode_16_64 0
		.amdhsa_float_denorm_mode_32 3
		.amdhsa_float_denorm_mode_16_64 3
		.amdhsa_dx10_clamp 1
		.amdhsa_ieee_mode 1
		.amdhsa_fp16_overflow 0
		.amdhsa_tg_split 0
		.amdhsa_exception_fp_ieee_invalid_op 0
		.amdhsa_exception_fp_denorm_src 0
		.amdhsa_exception_fp_ieee_div_zero 0
		.amdhsa_exception_fp_ieee_overflow 0
		.amdhsa_exception_fp_ieee_underflow 0
		.amdhsa_exception_fp_ieee_inexact 0
		.amdhsa_exception_int_div_zero 0
	.end_amdhsa_kernel
	.section	.text._ZN12_GLOBAL__N_139chunk_gated_delta_rule_fwd_h_hip_kernelILi16ELb1ELb1ELb0ELb0ELb0ELb0ELb0ELb1EEEvPK12hip_bfloat16S3_S3_PKfS5_PKvPS1_S8_PvPKiSB_iiiiilll,"axG",@progbits,_ZN12_GLOBAL__N_139chunk_gated_delta_rule_fwd_h_hip_kernelILi16ELb1ELb1ELb0ELb0ELb0ELb0ELb0ELb1EEEvPK12hip_bfloat16S3_S3_PKfS5_PKvPS1_S8_PvPKiSB_iiiiilll,comdat
.Lfunc_end634:
	.size	_ZN12_GLOBAL__N_139chunk_gated_delta_rule_fwd_h_hip_kernelILi16ELb1ELb1ELb0ELb0ELb0ELb0ELb0ELb1EEEvPK12hip_bfloat16S3_S3_PKfS5_PKvPS1_S8_PvPKiSB_iiiiilll, .Lfunc_end634-_ZN12_GLOBAL__N_139chunk_gated_delta_rule_fwd_h_hip_kernelILi16ELb1ELb1ELb0ELb0ELb0ELb0ELb0ELb1EEEvPK12hip_bfloat16S3_S3_PKfS5_PKvPS1_S8_PvPKiSB_iiiiilll
                                        ; -- End function
	.section	.AMDGPU.csdata,"",@progbits
; Kernel info:
; codeLenInByte = 7876
; NumSgprs: 74
; NumVgprs: 110
; NumAgprs: 8
; TotalNumVgprs: 120
; ScratchSize: 0
; MemoryBound: 0
; FloatMode: 240
; IeeeMode: 1
; LDSByteSize: 40960 bytes/workgroup (compile time only)
; SGPRBlocks: 9
; VGPRBlocks: 14
; NumSGPRsForWavesPerEU: 74
; NumVGPRsForWavesPerEU: 120
; AccumOffset: 112
; Occupancy: 1
; WaveLimiterHint : 1
; COMPUTE_PGM_RSRC2:SCRATCH_EN: 0
; COMPUTE_PGM_RSRC2:USER_SGPR: 2
; COMPUTE_PGM_RSRC2:TRAP_HANDLER: 0
; COMPUTE_PGM_RSRC2:TGID_X_EN: 1
; COMPUTE_PGM_RSRC2:TGID_Y_EN: 1
; COMPUTE_PGM_RSRC2:TGID_Z_EN: 0
; COMPUTE_PGM_RSRC2:TIDIG_COMP_CNT: 0
; COMPUTE_PGM_RSRC3_GFX90A:ACCUM_OFFSET: 27
; COMPUTE_PGM_RSRC3_GFX90A:TG_SPLIT: 0
	.section	.text._ZN12_GLOBAL__N_139chunk_gated_delta_rule_fwd_h_hip_kernelILi16ELb1ELb0ELb1ELb0ELb0ELb0ELb0ELb1EEEvPK12hip_bfloat16S3_S3_PKfS5_PKvPS1_S8_PvPKiSB_iiiiilll,"axG",@progbits,_ZN12_GLOBAL__N_139chunk_gated_delta_rule_fwd_h_hip_kernelILi16ELb1ELb0ELb1ELb0ELb0ELb0ELb0ELb1EEEvPK12hip_bfloat16S3_S3_PKfS5_PKvPS1_S8_PvPKiSB_iiiiilll,comdat
	.globl	_ZN12_GLOBAL__N_139chunk_gated_delta_rule_fwd_h_hip_kernelILi16ELb1ELb0ELb1ELb0ELb0ELb0ELb0ELb1EEEvPK12hip_bfloat16S3_S3_PKfS5_PKvPS1_S8_PvPKiSB_iiiiilll ; -- Begin function _ZN12_GLOBAL__N_139chunk_gated_delta_rule_fwd_h_hip_kernelILi16ELb1ELb0ELb1ELb0ELb0ELb0ELb0ELb1EEEvPK12hip_bfloat16S3_S3_PKfS5_PKvPS1_S8_PvPKiSB_iiiiilll
	.p2align	8
	.type	_ZN12_GLOBAL__N_139chunk_gated_delta_rule_fwd_h_hip_kernelILi16ELb1ELb0ELb1ELb0ELb0ELb0ELb0ELb1EEEvPK12hip_bfloat16S3_S3_PKfS5_PKvPS1_S8_PvPKiSB_iiiiilll,@function
_ZN12_GLOBAL__N_139chunk_gated_delta_rule_fwd_h_hip_kernelILi16ELb1ELb0ELb1ELb0ELb0ELb0ELb0ELb1EEEvPK12hip_bfloat16S3_S3_PKfS5_PKvPS1_S8_PvPKiSB_iiiiilll: ; @_ZN12_GLOBAL__N_139chunk_gated_delta_rule_fwd_h_hip_kernelILi16ELb1ELb0ELb1ELb0ELb0ELb0ELb0ELb1EEEvPK12hip_bfloat16S3_S3_PKfS5_PKvPS1_S8_PvPKiSB_iiiiilll
; %bb.0:
	s_load_dwordx4 s[12:15], s[0:1], 0x5c
	s_load_dwordx4 s[20:23], s[0:1], 0x70
	s_abs_i32 s6, s3
	s_ashr_i32 s5, s3, 31
	s_load_dwordx4 s[16:19], s[0:1], 0x28
	s_load_dwordx2 s[28:29], s[0:1], 0x38
	s_waitcnt lgkmcnt(0)
	s_abs_i32 s4, s13
	v_cvt_f32_u32_e32 v1, s4
	s_sub_i32 s8, 0, s4
	s_ashr_i32 s7, s13, 31
	s_xor_b32 s5, s5, s7
	v_rcp_iflag_f32_e32 v1, v1
	v_and_b32_e32 v45, 15, v0
	v_lshrrev_b32_e32 v43, 6, v0
	v_bfe_u32 v44, v0, 4, 2
	v_mul_f32_e32 v1, 0x4f7ffffe, v1
	v_cvt_u32_f32_e32 v1, v1
	v_mov_b32_e32 v5, 0
	v_and_b32_e32 v42, 63, v0
	v_lshlrev_b32_e32 v46, 3, v0
	v_readfirstlane_b32 s9, v1
	s_mul_i32 s8, s8, s9
	s_mul_hi_u32 s8, s9, s8
	s_add_i32 s9, s9, s8
	s_mul_hi_u32 s8, s6, s9
	s_mul_i32 s9, s8, s4
	s_sub_i32 s6, s6, s9
	s_add_i32 s10, s8, 1
	s_sub_i32 s9, s6, s4
	s_cmp_ge_u32 s6, s4
	s_cselect_b32 s8, s10, s8
	s_cselect_b32 s6, s9, s6
	s_add_i32 s9, s8, 1
	s_cmp_ge_u32 s6, s4
	s_cselect_b32 s6, s9, s8
	s_xor_b32 s6, s6, s5
	s_add_i32 s8, s12, 63
	s_sub_i32 s51, s6, s5
	s_ashr_i32 s9, s8, 31
	s_mul_i32 s5, s51, s13
	s_sub_i32 s49, s3, s5
	s_lshr_b32 s3, s9, 26
	s_add_i32 s8, s8, s3
	s_abs_i32 s3, s14
	v_cvt_f32_u32_e32 v1, s3
	s_ashr_i32 s50, s12, 31
	s_lshr_b32 s6, s50, 26
	s_add_i32 s6, s12, s6
	v_rcp_iflag_f32_e32 v1, v1
	s_ashr_i32 s54, s14, 31
	s_ashr_i32 s24, s8, 6
	;; [unrolled: 1-line block ×3, first 2 shown]
	v_mul_f32_e32 v1, 0x4f7ffffe, v1
	v_cvt_u32_f32_e32 v1, v1
	s_xor_b32 s6, s7, s54
	s_sub_i32 s7, 0, s3
	s_lshl_b32 s2, s2, 4
	v_readfirstlane_b32 s8, v1
	s_mul_i32 s7, s7, s8
	s_mul_hi_u32 s7, s8, s7
	s_add_i32 s8, s8, s7
	s_mul_hi_u32 s7, s4, s8
	s_mul_i32 s8, s7, s3
	s_sub_i32 s4, s4, s8
	s_add_i32 s8, s7, 1
	s_sub_i32 s9, s4, s3
	s_cmp_ge_u32 s4, s3
	s_cselect_b32 s7, s8, s7
	s_cselect_b32 s4, s9, s4
	s_add_i32 s8, s7, 1
	s_cmp_ge_u32 s4, s3
	s_cselect_b32 s3, s8, s7
	s_xor_b32 s3, s3, s6
	s_sub_i32 s3, s3, s6
	s_abs_i32 s4, s3
	v_cvt_f32_u32_e32 v1, s4
	s_sub_i32 s7, 0, s4
	s_abs_i32 s6, s49
	s_xor_b32 s3, s49, s3
	v_rcp_iflag_f32_e32 v1, v1
	s_ashr_i32 s3, s3, 31
	v_or_b32_e32 v34, s2, v45
	v_lshlrev_b32_e32 v2, 7, v34
	v_mul_f32_e32 v1, 0x4f7ffffe, v1
	v_cvt_u32_f32_e32 v1, v1
	v_ashrrev_i32_e32 v3, 31, v2
	v_lshrrev_b32_e32 v47, 3, v42
	s_mul_i32 s33, s51, s21
	v_readfirstlane_b32 s8, v1
	s_mul_i32 s7, s7, s8
	s_mul_hi_u32 s7, s8, s7
	s_add_i32 s8, s8, s7
	s_mul_hi_u32 s7, s6, s8
	s_mul_i32 s8, s7, s4
	s_sub_i32 s6, s6, s8
	s_add_i32 s8, s7, 1
	s_sub_i32 s9, s6, s4
	s_cmp_ge_u32 s6, s4
	s_cselect_b32 s7, s8, s7
	s_cselect_b32 s6, s9, s6
	s_add_i32 s8, s7, 1
	s_cmp_ge_u32 s6, s4
	s_cselect_b32 s4, s8, s7
	s_xor_b32 s4, s4, s3
	s_sub_i32 s55, s4, s3
	s_ashr_i32 s3, s51, 31
	s_ashr_i32 s53, s49, 31
	s_mul_hi_i32 s4, s51, s13
	s_add_u32 s38, s5, s49
	s_addc_u32 s39, s4, s53
	s_lshl_b64 s[4:5], s[38:39], 15
	v_lshlrev_b32_e32 v1, 4, v43
	s_add_u32 s4, s16, s4
	v_lshl_or_b32 v48, v44, 2, v1
	s_addc_u32 s5, s17, s5
	v_lshl_add_u64 v[2:3], v[2:3], 1, s[4:5]
	v_lshlrev_b32_e32 v4, 1, v48
	v_lshl_add_u64 v[2:3], v[2:3], 0, v[4:5]
	global_load_dwordx2 v[4:5], v[2:3], off
	global_load_dwordx2 v[6:7], v[2:3], off offset:128
	s_load_dwordx8 s[4:11], s[0:1], 0x0
	s_load_dwordx2 s[30:31], s[0:1], 0x80
	v_or_b32_e32 v49, 64, v48
	s_mul_hi_u32 s44, s51, s20
	s_mul_i32 s36, s51, s20
	s_mul_i32 s56, s51, s24
	;; [unrolled: 1-line block ×3, first 2 shown]
	s_mul_hi_u32 s46, s49, s22
	s_mul_i32 s48, s3, s20
	s_mul_i32 s47, s53, s22
	s_mul_hi_u32 s57, s38, s12
	s_mul_i32 s16, s38, s12
	s_mul_i32 s39, s39, s12
	s_cmp_lt_i32 s12, 64
	s_mul_i32 s34, s49, s22
	s_waitcnt vmcnt(1)
	v_and_b32_e32 v50, 0xffff0000, v4
	v_lshlrev_b32_e32 v52, 16, v4
	v_and_b32_e32 v56, 0xffff0000, v5
	v_lshlrev_b32_e32 v54, 16, v5
	s_waitcnt vmcnt(0)
	v_and_b32_e32 v51, 0xffff0000, v6
	v_lshlrev_b32_e32 v53, 16, v6
	v_and_b32_e32 v57, 0xffff0000, v7
	v_lshlrev_b32_e32 v55, 16, v7
	s_cbranch_scc1 .LBB635_3
; %bb.1:
	s_add_i32 s17, s57, s39
	s_lshl_b64 s[0:1], s[16:17], 8
	v_and_b32_e32 v59, 56, v46
	s_waitcnt lgkmcnt(0)
	s_add_u32 s20, s6, s0
	v_lshl_or_b32 v58, v43, 3, v47
	v_lshlrev_b32_e32 v2, 1, v59
	s_addc_u32 s0, s7, s1
	v_lshl_or_b32 v60, v58, 8, v2
	s_and_b32 s21, s0, 0xffff
	s_mov_b32 s23, 0x20000
	s_movk_i32 s22, 0x4000
	s_movk_i32 s0, 0x80
	v_or_b32_e32 v61, 0x2000, v60
	buffer_load_dwordx4 v[4:7], v60, s[20:23], 0 offen
	buffer_load_dwordx4 v[8:11], v60, s[20:23], s0 offen
	;; [unrolled: 1-line block ×4, first 2 shown]
	v_lshlrev_b32_e32 v3, 3, v58
	v_and_or_b32 v21, v0, 7, v3
	v_and_b32_e32 v3, 0x78, v3
	v_lshlrev_b32_e32 v21, 4, v21
	v_xor_b32_e32 v62, v21, v3
	v_mul_lo_u32 v20, v58, s15
	v_or_b32_e32 v63, 0x1000, v62
	v_xor_b32_e32 v3, 8, v62
	s_cmpk_eq_i32 s15, 0x80
	s_mov_b32 s58, s14
	v_xor_b32_e32 v21, 8, v63
	s_cselect_b64 s[0:1], -1, 0
	s_cmpk_lg_i32 s15, 0x80
	s_waitcnt vmcnt(3)
	ds_write_b64 v62, v[4:5] offset:16384
	ds_write_b64 v3, v[6:7] offset:16384
	s_waitcnt vmcnt(2)
	ds_write_b64 v62, v[8:9] offset:24576
	ds_write_b64 v3, v[10:11] offset:24576
	;; [unrolled: 3-line block ×4, first 2 shown]
	v_lshl_add_u32 v3, v20, 1, v59
	s_cbranch_scc0 .LBB635_29
; %bb.2:
	v_lshlrev_b32_e32 v5, 1, v3
	v_add_lshl_u32 v4, v3, s15, 1
	s_lshl_b32 s22, s15, 7
	v_lshl_or_b32 v2, v58, 9, v2
	s_cbranch_execz .LBB635_30
	s_branch .LBB635_31
.LBB635_3:
	v_mov_b32_e32 v2, v57
	v_mov_b32_e32 v3, v56
.LBB635_4:
	s_lshl_b32 s26, s52, 6
	s_sub_i32 s27, s12, s26
	s_cmp_gt_i32 s27, 0
	s_cbranch_scc0 .LBB635_76
; %bb.5:
	s_ashr_i32 s3, s26, 31
	s_cmpk_lg_i32 s15, 0x80
	s_cselect_b64 s[22:23], -1, 0
	s_and_b64 vcc, exec, s[22:23]
	s_cbranch_vccz .LBB635_7
; %bb.6:
	s_mul_i32 s1, s51, s12
	s_mul_hi_i32 s0, s51, s12
	s_add_u32 s1, s1, s26
	s_addc_u32 s0, s0, s3
	s_mul_i32 s17, s1, s54
	s_mul_hi_u32 s20, s1, s14
	s_add_i32 s17, s20, s17
	s_mul_i32 s0, s0, s14
	s_add_i32 s17, s17, s0
	s_mul_i32 s1, s1, s14
	s_ashr_i32 s0, s55, 31
	s_add_u32 s24, s1, s55
	s_addc_u32 s25, s17, s0
	s_cbranch_execz .LBB635_8
	s_branch .LBB635_9
.LBB635_7:
                                        ; implicit-def: $sgpr24_sgpr25
.LBB635_8:
	s_mul_hi_i32 s0, s51, s14
	s_mul_i32 s51, s51, s14
	s_ashr_i32 s1, s55, 31
	s_add_u32 s14, s51, s55
	s_addc_u32 s0, s0, s1
	s_mul_i32 s1, s14, s50
	s_mul_hi_u32 s17, s14, s12
	s_add_i32 s1, s17, s1
	s_mul_i32 s0, s0, s12
	s_add_i32 s1, s1, s0
	s_mul_i32 s14, s14, s12
	s_add_u32 s24, s14, s26
	s_addc_u32 s25, s1, s3
.LBB635_9:
	s_mul_i32 s0, s38, s50
	s_add_i32 s0, s57, s0
	s_add_i32 s14, s56, s52
	;; [unrolled: 1-line block ×3, first 2 shown]
	s_add_u32 s0, s16, s26
	s_addc_u32 s1, s1, s3
	s_mov_b32 s3, 0x7060302
	v_lshlrev_b32_e32 v6, 3, v45
	v_perm_b32 v5, v3, v54, s3
	v_perm_b32 v4, v50, v52, s3
	;; [unrolled: 1-line block ×4, first 2 shown]
	v_lshlrev_b32_e32 v36, 2, v45
	v_lshl_or_b32 v6, v48, 5, v6
	s_lshl_b64 s[20:21], s[0:1], 8
	ds_write2st64_b64 v6, v[4:5], v[2:3] offset0:72 offset1:76
	v_xor_b32_e32 v6, v48, v36
	v_lshlrev_b32_e32 v7, 8, v45
	s_waitcnt lgkmcnt(0)
	s_add_u32 s0, s6, s20
	v_lshl_or_b32 v6, v6, 1, v7
	s_addc_u32 s1, s7, s21
	ds_write_b64 v6, v[4:5] offset:32768
	v_xor_b32_e32 v4, v49, v36
	s_mul_hi_i32 s3, s14, s13
	s_mul_i32 s14, s14, s13
	v_lshl_or_b32 v4, v4, 1, v7
	s_add_u32 s6, s14, s49
	ds_write_b64 v4, v[2:3] offset:32768
	s_addc_u32 s7, s3, s53
	v_lshlrev_b32_e32 v3, 1, v45
	v_lshrrev_b32_e32 v2, 4, v0
	s_ashr_i32 s3, s2, 31
	s_lshl_b64 s[6:7], s[6:7], 15
	v_or_b32_e32 v4, 1, v3
	s_add_u32 s6, s18, s6
	v_xor_b32_e32 v3, v2, v3
	v_xor_b32_e32 v4, v4, v2
	v_lshlrev_b32_e32 v6, 8, v2
	s_addc_u32 s7, s19, s7
	s_lshl_b64 s[2:3], s[2:3], 8
	v_lshl_or_b32 v2, v3, 3, v6
	v_lshl_or_b32 v4, v4, 3, v6
	s_waitcnt lgkmcnt(0)
	s_barrier
	s_add_u32 s2, s6, s2
	ds_read_b64 v[2:3], v2 offset:32768
	ds_read_b64 v[4:5], v4 offset:32768
	s_addc_u32 s3, s7, s3
	v_mov_b32_e32 v7, 0
	s_cmp_lg_u32 s27, 64
	v_lshl_add_u64 v[8:9], s[2:3], 0, v[6:7]
	v_lshlrev_b32_e32 v6, 4, v45
	s_cselect_b64 s[6:7], -1, 0
	v_lshl_or_b32 v35, v43, 3, v47
	s_mov_b32 s16, 0
	v_lshl_add_u64 v[6:7], v[8:9], 0, v[6:7]
	s_waitcnt vmcnt(1)
	v_or_b32_e32 v19, 32, v35
	v_and_b32_e32 v18, 56, v46
	s_and_b64 vcc, exec, s[6:7]
	s_waitcnt lgkmcnt(0)
	global_store_dwordx4 v[6:7], v[2:5], off
	s_cbranch_vccz .LBB635_15
; %bb.10:
	s_mov_b32 s17, s16
	s_mov_b32 s18, s16
	;; [unrolled: 1-line block ×3, first 2 shown]
	v_mov_b64_e32 v[6:7], s[16:17]
	v_mov_b64_e32 v[8:9], s[18:19]
	;; [unrolled: 1-line block ×3, first 2 shown]
	v_cmp_gt_i32_e32 vcc, s27, v35
	v_mov_b64_e32 v[4:5], v[8:9]
	s_and_saveexec_b64 s[2:3], vcc
	s_cbranch_execz .LBB635_12
; %bb.11:
	v_lshlrev_b32_e32 v2, 8, v35
	v_mov_b32_e32 v3, 0
	v_lshl_add_u64 v[4:5], s[0:1], 0, v[2:3]
	v_lshlrev_b32_e32 v2, 1, v18
	v_lshl_add_u64 v[10:11], v[4:5], 0, v[2:3]
	global_load_dwordx4 v[6:9], v[10:11], off
	global_load_dwordx4 v[2:5], v[10:11], off offset:128
.LBB635_12:
	s_or_b64 exec, exec, s[2:3]
	s_mov_b32 s17, s16
	s_mov_b32 s18, s16
	;; [unrolled: 1-line block ×3, first 2 shown]
	v_mov_b64_e32 v[14:15], s[16:17]
	v_mov_b64_e32 v[16:17], s[18:19]
	;; [unrolled: 1-line block ×3, first 2 shown]
	v_cmp_gt_i32_e32 vcc, s27, v19
	v_lshlrev_b32_e32 v20, 7, v19
	v_mov_b64_e32 v[12:13], v[16:17]
	s_and_saveexec_b64 s[2:3], vcc
	s_cbranch_execz .LBB635_14
; %bb.13:
	v_lshlrev_b32_e32 v10, 1, v20
	v_mov_b32_e32 v11, 0
	v_lshl_add_u64 v[12:13], s[0:1], 0, v[10:11]
	v_lshlrev_b32_e32 v10, 1, v18
	v_lshl_add_u64 v[22:23], v[12:13], 0, v[10:11]
	global_load_dwordx4 v[14:17], v[22:23], off
	global_load_dwordx4 v[10:13], v[22:23], off offset:128
.LBB635_14:
	s_or_b64 exec, exec, s[2:3]
	v_lshrrev_b32_e32 v21, 3, v18
	v_lshlrev_b32_e32 v22, 3, v35
	v_or_b32_e32 v21, v22, v21
	v_lshlrev_b32_e32 v21, 4, v21
	v_and_b32_e32 v22, 0x78, v22
	v_xor_b32_e32 v21, v21, v22
	s_branch .LBB635_17
.LBB635_15:
                                        ; implicit-def: $vgpr21
                                        ; implicit-def: $vgpr20
                                        ; implicit-def: $vgpr6_vgpr7_vgpr8_vgpr9
                                        ; implicit-def: $vgpr2_vgpr3_vgpr4_vgpr5
                                        ; implicit-def: $vgpr14_vgpr15_vgpr16_vgpr17
                                        ; implicit-def: $vgpr10_vgpr11_vgpr12_vgpr13
	s_cbranch_execz .LBB635_17
; %bb.16:
	s_waitcnt vmcnt(0)
	v_lshlrev_b32_e32 v2, 1, v18
	v_lshl_or_b32 v20, v35, 8, v2
	s_and_b32 s1, s1, 0xffff
	s_mov_b32 s3, 0x20000
	s_movk_i32 s2, 0x4000
	v_lshl_or_b32 v21, v19, 8, v2
	s_movk_i32 s13, 0x80
	buffer_load_dwordx4 v[6:9], v20, s[0:3], 0 offen
	buffer_load_dwordx4 v[2:5], v20, s[0:3], s13 offen
	;; [unrolled: 1-line block ×4, first 2 shown]
	v_lshrrev_b32_e32 v20, 3, v18
	v_lshlrev_b32_e32 v21, 3, v35
	v_or_b32_e32 v20, v21, v20
	v_lshlrev_b32_e32 v20, 4, v20
	v_and_b32_e32 v21, 0x78, v21
	v_xor_b32_e32 v21, v20, v21
	v_lshlrev_b32_e32 v20, 7, v19
.LBB635_17:
	s_lshl_b64 s[0:1], s[24:25], 8
	s_add_u32 s4, s4, s0
	s_movk_i32 s0, 0x1000
	v_and_or_b32 v19, v20, s0, v21
	s_waitcnt vmcnt(1)
	ds_write_b64 v21, v[6:7] offset:16384
	v_xor_b32_e32 v6, 8, v21
	ds_write_b64 v6, v[8:9] offset:16384
	s_waitcnt vmcnt(0)
	ds_write_b64 v21, v[2:3] offset:24576
	ds_write_b64 v6, v[4:5] offset:24576
	;; [unrolled: 1-line block ×3, first 2 shown]
	v_xor_b32_e32 v2, 8, v19
	ds_write_b64 v2, v[16:17] offset:16384
	ds_write_b64 v19, v[10:11] offset:24576
	;; [unrolled: 1-line block ×3, first 2 shown]
	v_or_b32_e32 v2, v1, v45
	s_addc_u32 s5, s5, s1
	s_add_i32 s0, s12, -1
	v_lshlrev_b32_e32 v2, 3, v2
	v_lshrrev_b32_e32 v4, 5, v42
	s_movk_i32 s12, 0xf8
	v_and_or_b32 v4, v2, s12, v4
	v_lshlrev_b32_e32 v3, 11, v43
	v_lshlrev_b32_e32 v12, 4, v4
	v_and_b32_e32 v13, 0x78, v2
	v_and_b32_e32 v14, 0x1000, v3
	v_lshlrev_b32_e32 v3, 2, v0
	v_xor_b32_e32 v2, v12, v13
	v_lshrrev_b32_e32 v4, 1, v42
	v_and_b32_e32 v3, 60, v3
	v_or_b32_e32 v2, v2, v14
	v_and_b32_e32 v15, 8, v4
	v_xor_b32_e32 v26, v2, v15
	v_lshl_or_b32 v2, v44, 6, v3
	v_lshlrev_b32_e32 v19, 1, v2
	v_or_b32_e32 v2, 32, v12
	v_xor_b32_e32 v2, v2, v13
	s_waitcnt lgkmcnt(0)
	s_barrier
	ds_read_b64 v[10:11], v26 offset:16384
	v_or_b32_e32 v2, v2, v14
	v_xor_b32_e32 v27, v2, v15
	v_or_b32_e32 v2, 64, v12
	v_xor_b32_e32 v2, v2, v13
	v_or_b32_e32 v2, v2, v14
	v_or_b32_e32 v12, 0x60, v12
	v_xor_b32_e32 v28, v2, v15
	ds_read2st64_b64 v[2:5], v19 offset0:72 offset1:73
	ds_read2st64_b64 v[6:9], v19 offset0:74 offset1:75
	v_xor_b32_e32 v16, v12, v13
	ds_read_b64 v[12:13], v27 offset:16384
	s_add_i32 s1, s44, s33
	s_waitcnt lgkmcnt(2)
	v_mfma_f32_16x16x16_bf16 a[0:3], v[10:11], v[2:3], 0
	s_add_i32 s37, s1, s48
	s_add_i32 s1, s46, s45
	;; [unrolled: 1-line block ×3, first 2 shown]
	s_ashr_i32 s1, s0, 31
	s_mul_i32 s2, s0, s31
	s_mul_hi_u32 s3, s0, s30
	s_add_i32 s2, s3, s2
	s_mul_i32 s1, s1, s30
	v_or_b32_e32 v14, v16, v14
	s_add_i32 s1, s2, s1
	s_lshl_b64 s[2:3], s[36:37], 2
	v_xor_b32_e32 v37, v14, v15
	ds_read_b64 v[14:15], v28 offset:16384
	ds_read_b64 v[16:17], v37 offset:16384
	s_waitcnt lgkmcnt(2)
	v_mfma_f32_16x16x16_bf16 a[0:3], v[12:13], v[4:5], a[0:3]
	s_add_u32 s10, s10, s2
	s_addc_u32 s11, s11, s3
	s_lshl_b64 s[2:3], s[34:35], 2
	s_mul_i32 s0, s0, s30
	s_add_u32 s10, s10, s2
	s_addc_u32 s11, s11, s3
	s_lshl_b64 s[0:1], s[0:1], 2
	s_waitcnt lgkmcnt(1)
	v_mfma_f32_16x16x16_bf16 a[0:3], v[14:15], v[6:7], a[0:3]
	s_add_u32 s0, s10, s0
	s_addc_u32 s1, s11, s1
	s_load_dword s12, s[0:1], 0x0
	s_waitcnt lgkmcnt(0)
	v_mfma_f32_16x16x16_bf16 a[0:3], v[16:17], v[8:9], a[0:3]
	s_and_b64 vcc, exec, s[22:23]
	s_cbranch_vccz .LBB635_28
; %bb.18:
	v_lshlrev_b32_e32 v20, 1, v35
	s_and_b64 vcc, exec, s[6:7]
	s_cbranch_vccz .LBB635_44
; %bb.19:
	v_cmp_gt_i32_e32 vcc, s27, v20
	v_mov_b32_e32 v6, 0
	v_mov_b32_e32 v2, 0
	;; [unrolled: 1-line block ×5, first 2 shown]
	s_and_saveexec_b64 s[0:1], vcc
	s_cbranch_execz .LBB635_21
; %bb.20:
	v_mad_i64_i32 v[2:3], s[2:3], s15, v20, 0
	v_lshl_add_u64 v[2:3], v[2:3], 1, s[4:5]
	v_lshlrev_b32_e32 v4, 1, v18
	v_mov_b32_e32 v5, 0
	v_lshl_add_u64 v[2:3], v[2:3], 0, v[4:5]
	global_load_dwordx4 v[2:5], v[2:3], off
.LBB635_21:
	s_or_b64 exec, exec, s[0:1]
	v_or_b32_e32 v21, 1, v20
	v_cmp_gt_i32_e64 s[0:1], s27, v21
	v_mov_b32_e32 v7, 0
	v_mov_b32_e32 v8, 0
	v_mov_b32_e32 v9, 0
	s_and_saveexec_b64 s[2:3], s[0:1]
	s_cbranch_execz .LBB635_23
; %bb.22:
	v_mad_i64_i32 v[6:7], s[16:17], s15, v21, 0
	v_lshl_add_u64 v[6:7], v[6:7], 1, s[4:5]
	v_lshlrev_b32_e32 v8, 1, v18
	v_mov_b32_e32 v9, 0
	v_lshl_add_u64 v[6:7], v[6:7], 0, v[8:9]
	global_load_dwordx4 v[6:9], v[6:7], off
.LBB635_23:
	s_or_b64 exec, exec, s[2:3]
	v_mov_b32_e32 v17, 0
	v_mov_b32_e32 v10, 0
	;; [unrolled: 1-line block ×5, first 2 shown]
	s_and_saveexec_b64 s[2:3], vcc
	s_cbranch_execz .LBB635_25
; %bb.24:
	v_mad_i64_i32 v[10:11], s[16:17], s15, v20, 0
	v_lshl_add_u64 v[10:11], v[10:11], 1, s[4:5]
	v_lshlrev_b32_e32 v12, 1, v18
	v_mov_b32_e32 v13, 0
	v_lshl_add_u64 v[10:11], v[10:11], 0, v[12:13]
	global_load_dwordx4 v[10:13], v[10:11], off offset:128
.LBB635_25:
	s_or_b64 exec, exec, s[2:3]
	v_mov_b32_e32 v16, 0
	v_mov_b32_e32 v15, 0
	;; [unrolled: 1-line block ×3, first 2 shown]
	s_and_saveexec_b64 s[2:3], s[0:1]
	s_cbranch_execz .LBB635_27
; %bb.26:
	v_mad_i64_i32 v[14:15], s[0:1], s15, v21, 0
	v_lshl_add_u64 v[14:15], v[14:15], 1, s[4:5]
	v_lshlrev_b32_e32 v16, 1, v18
	v_mov_b32_e32 v17, 0
	v_lshl_add_u64 v[14:15], v[14:15], 0, v[16:17]
	global_load_dwordx4 v[14:17], v[14:15], off offset:128
.LBB635_27:
	s_or_b64 exec, exec, s[2:3]
	s_branch .LBB635_46
.LBB635_28:
                                        ; implicit-def: $vgpr5
                                        ; implicit-def: $vgpr9
                                        ; implicit-def: $vgpr13
                                        ; implicit-def: $vgpr17
	v_lshrrev_b32_e32 v38, 2, v42
	s_branch .LBB635_47
.LBB635_29:
                                        ; implicit-def: $vgpr4
                                        ; implicit-def: $vgpr5
                                        ; implicit-def: $sgpr22
	v_lshl_or_b32 v2, v58, 9, v2
.LBB635_30:
	v_or_b32_e32 v4, 0x100, v2
	s_movk_i32 s22, 0x4000
	v_mov_b32_e32 v5, v2
.LBB635_31:
	s_mul_hi_u32 s20, s14, s12
	s_mul_i32 s21, s54, s12
	s_add_i32 s20, s20, s21
	s_mul_i32 s21, s14, s12
	s_mul_i32 s23, s21, s3
	s_mul_hi_u32 s24, s21, s51
	s_add_i32 s23, s24, s23
	s_mul_i32 s20, s20, s51
	s_add_i32 s23, s23, s20
	s_mul_i32 s21, s21, s51
	s_ashr_i32 s59, s55, 31
	s_add_u32 s20, s21, s55
	s_addc_u32 s21, s23, s59
	s_lshl_b64 s[20:21], s[20:21], 8
	s_add_u32 s20, s4, s20
	s_addc_u32 s21, s5, s21
	s_and_b32 s21, s21, 0xffff
	s_mov_b32 s23, 0x20000
	s_movk_i32 s60, 0x80
	buffer_load_dwordx4 v[6:9], v5, s[20:23], 0 offen
	buffer_load_dwordx4 v[10:13], v5, s[20:23], s60 offen
	;; [unrolled: 1-line block ×4, first 2 shown]
	v_and_b32_e32 v4, 6, v0
	v_lshlrev_b32_e32 v22, 2, v45
	v_lshlrev_b32_e32 v23, 3, v45
	v_xor_b32_e32 v25, v58, v4
	v_and_b32_e32 v5, 1, v0
	s_mul_i32 s3, s3, s12
	s_mul_hi_u32 s20, s51, s12
	v_lshl_or_b32 v23, v48, 5, v23
	v_xor_b32_e32 v26, v48, v22
	v_lshlrev_b32_e32 v25, 2, v25
	v_or_b32_e32 v64, 0x9000, v23
	v_or_b32_e32 v65, 0x9800, v23
	v_lshlrev_b32_e32 v23, 1, v26
	v_xor_b32_e32 v26, 0x440, v25
	v_cmp_eq_u32_e32 vcc, 0, v5
	s_add_i32 s65, s20, s3
	s_add_i32 s3, s44, s33
	v_cndmask_b32_e32 v5, v26, v25, vcc
	s_add_i32 s20, s46, s45
	s_add_i32 s37, s3, s48
	s_mov_b32 s62, 0x1000504
	v_lshlrev_b32_e32 v24, 8, v45
	s_mov_b32 s22, 0x8000
	v_xor_b32_e32 v22, v49, v22
	v_lshl_or_b32 v4, v4, 10, v5
	s_add_i32 s35, s20, s47
	s_lshl_b64 s[20:21], s[36:37], 2
	s_mov_b32 s63, 0x3020706
	v_lshlrev_b32_e32 v22, 1, v22
	v_or3_b32 v66, v23, v24, s22
	v_xor_b32_e32 v5, 8, v4
	v_xor_b32_e32 v23, 24, v4
	;; [unrolled: 1-line block ×4, first 2 shown]
	s_add_u32 s3, s10, s20
	v_or3_b32 v67, v22, v24, s22
	v_xor_b32_e32 v22, 16, v4
	v_xor_b32_e32 v24, 32, v4
	;; [unrolled: 1-line block ×3, first 2 shown]
	v_add_u32_e32 v5, 0x80, v5
	v_add_u32_e32 v23, 0x80, v23
	;; [unrolled: 1-line block ×4, first 2 shown]
	s_addc_u32 s24, s11, s21
	s_lshl_b64 s[20:21], s[34:35], 2
	s_add_u32 s40, s3, s20
	s_movk_i32 s3, 0xf8
	s_addc_u32 s41, s24, s21
	v_ashrrev_i32_e32 v35, 31, v34
	s_lshl_b32 s26, s15, 7
	s_mov_b32 s61, 0
	s_mul_i32 s64, s51, s12
	v_mov_b32_e32 v81, 0x3fb8aa3b
	s_mov_b32 s37, 0
	s_waitcnt vmcnt(1)
	v_perm_b32 v28, v6, v14, s62
	s_waitcnt vmcnt(0)
	v_perm_b32 v29, v10, v18, s62
	v_perm_b32 v6, v6, v14, s63
	;; [unrolled: 1-line block ×15, first 2 shown]
	ds_write2st64_b32 v4, v28, v29 offset1:32
	ds_write2st64_b32 v5, v6, v10 offset1:32
	ds_write2st64_b32 v22, v14, v18 offset0:1 offset1:33
	ds_write2st64_b32 v23, v7, v11 offset0:1 offset1:33
	;; [unrolled: 1-line block ×6, first 2 shown]
	v_or_b32_e32 v4, v1, v45
	v_lshlrev_b32_e32 v4, 3, v4
	v_lshrrev_b32_e32 v6, 5, v42
	v_and_or_b32 v6, v4, s3, v6
	v_lshlrev_b32_e32 v6, 4, v6
	v_lshlrev_b32_e32 v12, 11, v43
	v_and_b32_e32 v4, 0x78, v4
	v_or_b32_e32 v9, 32, v6
	v_and_b32_e32 v5, 0x1000, v12
	v_lshrrev_b32_e32 v13, 1, v0
	v_xor_b32_e32 v9, v9, v4
	v_and_b32_e32 v8, 8, v13
	v_or_b32_e32 v9, v9, v5
	v_xor_b32_e32 v7, v6, v4
	v_xor_b32_e32 v70, v9, v8
	v_or_b32_e32 v9, 64, v6
	v_or_b32_e32 v6, 0x60, v6
	v_xor_b32_e32 v9, v9, v4
	v_xor_b32_e32 v4, v6, v4
	v_or_b32_e32 v7, v7, v5
	v_or_b32_e32 v9, v9, v5
	;; [unrolled: 1-line block ×3, first 2 shown]
	v_xor_b32_e32 v68, v7, v8
	v_xor_b32_e32 v71, v9, v8
	;; [unrolled: 1-line block ×3, first 2 shown]
	v_lshrrev_b32_e32 v8, 4, v0
	v_lshlrev_b32_e32 v9, 1, v45
	s_ashr_i32 s3, s2, 31
	v_or_b32_e32 v10, 1, v9
	v_xor_b32_e32 v9, v8, v9
	s_lshl_b64 s[20:21], s[2:3], 8
	v_xor_b32_e32 v10, v10, v8
	v_lshlrev_b32_e32 v9, 3, v9
	v_lshlrev_b32_e32 v8, 8, v8
	v_lshlrev_b64 v[4:5], 1, v[34:35]
	s_add_u32 s20, s18, s20
	v_or3_b32 v35, v9, v8, s22
	v_lshlrev_b32_e32 v9, 3, v10
	s_addc_u32 s21, s19, s21
	v_or3_b32 v74, v9, v8, s22
	v_mov_b32_e32 v9, 0
	v_lshl_add_u64 v[10:11], s[20:21], 0, v[8:9]
	v_lshlrev_b32_e32 v8, 4, v45
	s_movk_i32 s3, 0xff
	v_lshlrev_b32_e32 v17, 3, v43
	v_and_b32_e32 v13, 24, v13
	v_lshl_add_u64 v[36:37], v[10:11], 0, v[8:9]
	v_and_b32_e32 v10, 8, v0
	v_cmp_lt_u32_e32 vcc, s3, v0
	v_xor_b32_e32 v18, v17, v13
	v_or_b32_e32 v19, 0x440, v18
	v_cndmask_b32_e64 v16, 0, 1, vcc
	v_cmp_eq_u32_e32 vcc, 0, v10
	v_and_b32_e32 v8, 7, v0
	v_lshlrev_b32_e32 v11, 3, v8
	v_cndmask_b32_e32 v10, v19, v18, vcc
	v_lshlrev_b32_e32 v8, 7, v8
	v_or_b32_e32 v10, v10, v12
	v_xad_u32 v75, v10, v11, v8
	v_or_b32_e32 v10, 32, v13
	v_xor_b32_e32 v10, v17, v10
	v_or_b32_e32 v18, 0x440, v10
	v_cndmask_b32_e32 v10, v18, v10, vcc
	v_or_b32_e32 v10, v10, v12
	v_xad_u32 v76, v10, v11, v8
	v_or_b32_e32 v10, 64, v13
	v_xor_b32_e32 v10, v17, v10
	v_xor_b32_e32 v18, 0x440, v10
	v_cndmask_b32_e32 v10, v18, v10, vcc
	v_or_b32_e32 v10, v10, v12
	v_xad_u32 v77, v10, v11, v8
	v_or_b32_e32 v10, 0x60, v13
	v_xor_b32_e32 v10, v17, v10
	v_xor_b32_e32 v13, 0x440, v10
	v_and_b32_e32 v7, 0x78, v46
	v_cndmask_b32_e32 v10, v13, v10, vcc
	v_lshl_or_b32 v7, v44, 7, v7
	v_or_b32_e32 v10, v10, v12
	v_or_b32_e32 v69, 0x9000, v7
	;; [unrolled: 1-line block ×3, first 2 shown]
	v_lshl_add_u64 v[6:7], s[8:9], 0, v[4:5]
	v_lshl_add_u64 v[4:5], s[28:29], 0, v[4:5]
	v_lshlrev_b32_e32 v14, 1, v3
	v_add_lshl_u32 v3, v3, s15, 1
	v_or_b32_e32 v15, 0x100, v2
	v_lshlrev_b32_e32 v16, 13, v16
	v_xad_u32 v78, v10, v11, v8
	v_lshlrev_b32_e32 v8, 8, v48
	v_cndmask_b32_e64 v79, v14, v2, s[0:1]
	v_cndmask_b32_e64 v80, v3, v15, s[0:1]
	v_lshl_add_u64 v[38:39], v[6:7], 0, v[8:9]
	v_lshl_add_u64 v[40:41], v[4:5], 0, v[8:9]
	s_mov_b32 s3, 0x7060302
	s_movk_i32 s22, 0x4000
	v_add_u32_e32 v82, v16, v75
	v_add_u32_e32 v83, v16, v76
	;; [unrolled: 1-line block ×4, first 2 shown]
	s_waitcnt lgkmcnt(0)
	s_barrier
.LBB635_32:                             ; =>This Inner Loop Header: Depth=1
	s_add_i32 s35, s37, 1
	s_cmp_lt_i32 s35, s52
	s_mov_b64 s[24:25], 0
	s_cselect_b64 s[42:43], -1, 0
	s_cmp_ge_i32 s35, s52
	s_mov_b64 s[20:21], 0
	s_cbranch_scc1 .LBB635_34
; %bb.33:                               ;   in Loop: Header=BB635_32 Depth=1
	s_add_i32 s0, s61, 64
	s_add_u32 s0, s16, s0
	s_addc_u32 s1, s17, 0
	s_lshl_b64 s[0:1], s[0:1], 8
	s_add_u32 s20, s6, s0
	s_addc_u32 s21, s7, s1
.LBB635_34:                             ;   in Loop: Header=BB635_32 Depth=1
	v_cndmask_b32_e64 v2, 0, 1, s[42:43]
	v_cmp_ne_u32_e64 s[0:1], 1, v2
	s_andn2_b64 vcc, exec, s[42:43]
	s_cbranch_vccnz .LBB635_36
; %bb.35:                               ;   in Loop: Header=BB635_32 Depth=1
	s_add_i32 s24, s61, 64
	s_add_u32 s24, s64, s24
	s_addc_u32 s25, s65, 0
	s_mul_i32 s27, s24, s54
	s_mul_hi_u32 s42, s24, s58
	s_add_i32 s27, s42, s27
	s_mul_i32 s25, s25, s58
	s_add_i32 s27, s27, s25
	s_mul_i32 s24, s24, s58
	s_add_u32 s24, s24, s55
	s_addc_u32 s25, s27, s59
	s_lshl_b64 s[24:25], s[24:25], 8
	s_add_u32 s24, s4, s24
	s_addc_u32 s25, s5, s25
.LBB635_36:                             ;   in Loop: Header=BB635_32 Depth=1
	v_perm_b32 v3, v56, v54, s3
	v_perm_b32 v2, v50, v52, s3
	;; [unrolled: 1-line block ×4, first 2 shown]
	ds_write_b64 v64, v[2:3]
	ds_write_b64 v65, v[4:5]
	;; [unrolled: 1-line block ×4, first 2 shown]
	s_waitcnt lgkmcnt(0)
	s_barrier
	ds_read_b64 v[10:11], v68 offset:16384
	ds_read_b64 v[12:13], v70 offset:16384
	ds_read2st64_b64 v[2:5], v69 offset1:1
	ds_read2st64_b64 v[6:9], v69 offset0:2 offset1:3
	ds_read_b64 v[14:15], v71 offset:16384
	s_waitcnt lgkmcnt(2)
	v_mfma_f32_16x16x16_bf16 a[0:3], v[10:11], v[2:3], 0
	ds_read_b64 v[2:3], v72 offset:16384
	s_add_i32 s27, s61, 63
	s_mul_i32 s42, s27, s31
	v_mfma_f32_16x16x16_bf16 a[0:3], v[12:13], v[4:5], a[0:3]
	s_mul_hi_u32 s43, s27, s30
	s_add_i32 s43, s43, s42
	s_mul_i32 s42, s27, s30
	s_waitcnt lgkmcnt(1)
	v_mfma_f32_16x16x16_bf16 a[0:3], v[14:15], v[6:7], a[0:3]
	s_lshl_b64 s[42:43], s[42:43], 2
	s_add_u32 s42, s40, s42
	s_addc_u32 s43, s41, s43
	s_waitcnt lgkmcnt(0)
	v_mfma_f32_16x16x16_bf16 a[0:3], v[2:3], v[8:9], a[0:3]
	s_and_b64 vcc, exec, s[0:1]
	v_mov_b32_e32 v88, 0
	v_mov_b32_e32 v87, 0
	;; [unrolled: 1-line block ×19, first 2 shown]
	s_cbranch_vccnz .LBB635_38
; %bb.37:                               ;   in Loop: Header=BB635_32 Depth=1
	s_and_b32 s21, s21, 0xffff
	buffer_load_dwordx4 v[14:17], v60, s[20:23], 0 offen
	buffer_load_dwordx4 v[10:13], v60, s[20:23], s60 offen
	;; [unrolled: 1-line block ×4, first 2 shown]
	v_mov_b32_e32 v87, v62
	v_mov_b32_e32 v86, v63
.LBB635_38:                             ;   in Loop: Header=BB635_32 Depth=1
	s_waitcnt vmcnt(3)
	v_add_u32_e32 v24, s61, v48
	s_waitcnt vmcnt(1)
	v_ashrrev_i32_e32 v18, 31, v24
	v_mul_lo_u32 v20, v18, s30
	v_mul_lo_u32 v21, v24, s31
	v_mad_u64_u32 v[18:19], s[20:21], v24, s30, 0
	v_add3_u32 v19, v19, v21, v20
	v_add_u32_e32 v20, 1, v24
	v_ashrrev_i32_e32 v21, 31, v20
	v_mul_lo_u32 v22, v21, s30
	v_mul_lo_u32 v23, v20, s31
	v_mad_u64_u32 v[20:21], s[20:21], v20, s30, 0
	v_add3_u32 v21, v21, v23, v22
	v_add_u32_e32 v22, 2, v24
	v_ashrrev_i32_e32 v23, 31, v22
	v_mul_lo_u32 v25, v23, s30
	v_mul_lo_u32 v26, v22, s31
	v_mad_u64_u32 v[22:23], s[20:21], v22, s30, 0
	s_add_u32 s20, s16, s61
	v_add3_u32 v23, v23, v26, v25
	v_add_u32_e32 v26, 3, v24
	s_addc_u32 s21, s17, 0
	v_ashrrev_i32_e32 v24, 31, v26
	s_lshl_b64 s[66:67], s[20:21], 8
	v_lshl_add_u64 v[18:19], v[18:19], 2, s[40:41]
	v_mul_lo_u32 v27, v24, s30
	v_lshl_add_u64 v[24:25], v[38:39], 0, s[66:67]
	v_mul_lo_u32 v28, v26, s31
	global_load_ushort v90, v[24:25], off
	global_load_ushort v91, v[24:25], off offset:256
	global_load_ushort v92, v[24:25], off offset:512
	;; [unrolled: 1-line block ×3, first 2 shown]
	global_load_dword v94, v[18:19], off
	v_mad_u64_u32 v[18:19], s[20:21], v26, s30, 0
	v_lshl_add_u64 v[20:21], v[20:21], 2, s[40:41]
	v_add3_u32 v19, v19, v28, v27
	v_lshl_add_u64 v[22:23], v[22:23], 2, s[40:41]
	v_lshl_add_u64 v[18:19], v[18:19], 2, s[40:41]
	global_load_dword v95, v[20:21], off
	global_load_dword v96, v[22:23], off
	global_load_dword v97, v[18:19], off
	ds_read_b64 v[18:19], v68 offset:24576
	s_load_dword s20, s[42:43], 0x0
	ds_read_b64 v[28:29], v70 offset:24576
	ds_read2st64_b64 v[20:23], v73 offset1:1
	ds_read2st64_b64 v[24:27], v73 offset0:2 offset1:3
	ds_read_b64 v[30:31], v71 offset:24576
	ds_read_b64 v[32:33], v72 offset:24576
	s_waitcnt lgkmcnt(0)
	v_mfma_f32_16x16x16_bf16 a[0:3], v[18:19], v[20:21], a[0:3]
	v_mov_b32_e32 v89, 0
	v_mov_b32_e32 v18, 0
	v_mov_b32_e32 v19, 0
	v_mfma_f32_16x16x16_bf16 a[0:3], v[28:29], v[22:23], a[0:3]
	v_lshl_add_u64 v[28:29], v[40:41], 0, s[66:67]
	v_mov_b32_e32 v20, 0
	v_mov_b32_e32 v21, 0
	v_mfma_f32_16x16x16_bf16 a[0:3], v[30:31], v[24:25], a[0:3]
	v_mov_b32_e32 v22, 0
	v_mov_b32_e32 v23, 0
	;; [unrolled: 1-line block ×3, first 2 shown]
	v_mfma_f32_16x16x16_bf16 a[0:3], v[32:33], v[26:27], a[0:3]
	s_and_b64 vcc, exec, s[0:1]
	s_waitcnt vmcnt(7)
	v_lshlrev_b32_e32 v32, 16, v90
	s_nop 3
	v_accvgpr_read_b32 v31, a1
	v_accvgpr_read_b32 v27, a3
	;; [unrolled: 1-line block ×4, first 2 shown]
	s_waitcnt vmcnt(6)
	v_lshlrev_b32_e32 v33, 16, v91
	s_waitcnt vmcnt(4)
	v_lshlrev_b32_e32 v91, 16, v93
	v_lshlrev_b32_e32 v90, 16, v92
	s_waitcnt vmcnt(3)
	v_sub_f32_e32 v25, s20, v94
	v_pk_add_f32 v[30:31], v[32:33], v[30:31] neg_lo:[0,1] neg_hi:[0,1]
	v_pk_add_f32 v[26:27], v[90:91], v[26:27] neg_lo:[0,1] neg_hi:[0,1]
	v_mul_f32_e32 v25, 0x3fb8aa3b, v25
	s_waitcnt vmcnt(2)
	v_sub_f32_e32 v33, s20, v95
	s_waitcnt vmcnt(1)
	v_sub_f32_e32 v90, s20, v96
	;; [unrolled: 2-line block ×3, first 2 shown]
	v_exp_f32_e32 v32, v25
	v_mul_f32_e32 v25, 0x3fb8aa3b, v33
	v_mul_f32_e32 v90, 0x3fb8aa3b, v90
	;; [unrolled: 1-line block ×3, first 2 shown]
	v_exp_f32_e32 v33, v25
	v_exp_f32_e32 v90, v90
	;; [unrolled: 1-line block ×3, first 2 shown]
	global_store_short_d16_hi v[28:29], v30, off
	global_store_short_d16_hi v[28:29], v31, off offset:256
	global_store_short_d16_hi v[28:29], v26, off offset:512
	;; [unrolled: 1-line block ×3, first 2 shown]
	v_pk_mul_f32 v[28:29], v[32:33], v[30:31]
	v_pk_mul_f32 v[26:27], v[90:91], v[26:27]
	v_mov_b32_e32 v25, 0
	v_perm_b32 v27, v27, v26, s3
	v_perm_b32 v26, v29, v28, s3
	ds_write_b64 v65, v[26:27]
	v_mov_b32_e32 v26, 0
	v_mov_b32_e32 v27, 0
	;; [unrolled: 1-line block ×8, first 2 shown]
	s_cbranch_vccnz .LBB635_40
; %bb.39:                               ;   in Loop: Header=BB635_32 Depth=1
	s_and_b32 s25, s25, 0xffff
	s_mov_b32 s27, s23
	buffer_load_dwordx4 v[30:33], v79, s[24:27], 0 offen
	buffer_load_dwordx4 v[22:25], v79, s[24:27], s60 offen
	;; [unrolled: 1-line block ×4, first 2 shown]
	v_mov_b32_e32 v88, v59
	v_mov_b32_e32 v89, v58
.LBB635_40:                             ;   in Loop: Header=BB635_32 Depth=1
	s_waitcnt lgkmcnt(0)
	s_barrier
	ds_read_b64 v[98:99], v82
	ds_read2st64_b64 v[90:93], v73 offset1:1
	ds_read2st64_b64 v[94:97], v73 offset0:2 offset1:3
	ds_read_b64 v[100:101], v83
	ds_read_b64 v[102:103], v84
	;; [unrolled: 1-line block ×3, first 2 shown]
	s_waitcnt lgkmcnt(4)
	v_mfma_f32_16x16x16_bf16 a[0:3], v[98:99], v[90:91], 0
	ds_read_b64 v[98:99], v75 offset:8192
	ds_read_b64 v[106:107], v76 offset:8192
	s_add_i32 s21, s56, s37
	s_mul_hi_i32 s25, s21, s13
	s_waitcnt lgkmcnt(1)
	v_mfma_f32_16x16x16_bf16 a[4:7], v[98:99], v[90:91], 0
	s_mul_i32 s21, s21, s13
	s_add_u32 s24, s21, s49
	s_addc_u32 s25, s25, s53
	v_mfma_f32_16x16x16_bf16 a[0:3], v[100:101], v[92:93], a[0:3]
	ds_read_b64 v[98:99], v35
	ds_read_b64 v[100:101], v74
	ds_read_b64 v[90:91], v77 offset:8192
	s_lshl_b64 s[24:25], s[24:25], 15
	v_mfma_f32_16x16x16_bf16 a[0:3], v[102:103], v[94:95], a[0:3]
	ds_read_b64 v[102:103], v78 offset:8192
	s_and_b64 vcc, exec, s[0:1]
	s_waitcnt lgkmcnt(4)
	v_mfma_f32_16x16x16_bf16 a[4:7], v[106:107], v[92:93], a[4:7]
	s_waitcnt lgkmcnt(1)
	v_mfma_f32_16x16x16_bf16 a[4:7], v[90:91], v[94:95], a[4:7]
	v_lshl_add_u64 v[90:91], v[36:37], 0, s[24:25]
	global_store_dwordx4 v[90:91], v[98:101], off
	v_mfma_f32_16x16x16_bf16 a[0:3], v[104:105], v[96:97], a[0:3]
	s_waitcnt lgkmcnt(0)
	v_mfma_f32_16x16x16_bf16 a[4:7], v[102:103], v[96:97], a[4:7]
	s_cbranch_vccnz .LBB635_42
; %bb.41:                               ;   in Loop: Header=BB635_32 Depth=1
	v_lshrrev_b32_e32 v90, 3, v88
	v_and_b32_e32 v90, 6, v90
	v_xor_b32_e32 v89, v90, v89
	v_lshlrev_b32_e32 v89, 2, v89
	v_and_b32_e32 v88, 8, v88
	v_xor_b32_e32 v91, 0x440, v89
	v_cmp_eq_u32_e32 vcc, 0, v88
	s_barrier
	s_nop 0
	v_cndmask_b32_e32 v88, v91, v89, vcc
	v_lshl_or_b32 v88, v90, 10, v88
	s_waitcnt vmcnt(2)
	v_perm_b32 v89, v30, v26, s62
	s_waitcnt vmcnt(1)
	v_perm_b32 v90, v22, v18, s62
	ds_write2st64_b32 v88, v89, v90 offset1:32
	v_xor_b32_e32 v89, 8, v88
	v_perm_b32 v26, v30, v26, s63
	v_perm_b32 v18, v22, v18, s63
	v_add_u32_e32 v22, 0x80, v89
	ds_write2st64_b32 v22, v26, v18 offset1:32
	v_xor_b32_e32 v18, 16, v88
	v_perm_b32 v22, v31, v27, s62
	v_perm_b32 v26, v23, v19, s62
	ds_write2st64_b32 v18, v22, v26 offset0:1 offset1:33
	v_xor_b32_e32 v18, 24, v88
	v_perm_b32 v22, v31, v27, s63
	v_perm_b32 v19, v23, v19, s63
	v_add_u32_e32 v18, 0x80, v18
	ds_write2st64_b32 v18, v22, v19 offset0:1 offset1:33
	v_xor_b32_e32 v18, 32, v88
	v_perm_b32 v19, v32, v28, s62
	v_perm_b32 v22, v24, v20, s62
	ds_write2st64_b32 v18, v19, v22 offset0:2 offset1:34
	v_xor_b32_e32 v18, 40, v88
	v_perm_b32 v19, v32, v28, s63
	v_perm_b32 v20, v24, v20, s63
	v_add_u32_e32 v18, 0x80, v18
	ds_write2st64_b32 v18, v19, v20 offset0:2 offset1:34
	;; [unrolled: 9-line block ×3, first 2 shown]
	ds_write_b64 v87, v[14:15] offset:16384
	v_xor_b32_e32 v14, 8, v87
	ds_write_b64 v14, v[16:17] offset:16384
	ds_write_b64 v87, v[10:11] offset:24576
	ds_write_b64 v14, v[12:13] offset:24576
	ds_write_b64 v86, v[6:7] offset:16384
	v_xor_b32_e32 v6, 8, v86
	ds_write_b64 v6, v[8:9] offset:16384
	ds_write_b64 v86, v[2:3] offset:24576
	ds_write_b64 v6, v[4:5] offset:24576
.LBB635_42:                             ;   in Loop: Header=BB635_32 Depth=1
	v_mul_f32_e32 v2, s20, v81
	v_exp_f32_e32 v4, v2
	s_nop 1
	v_accvgpr_read_b32 v2, a0
	v_accvgpr_read_b32 v3, a1
	s_add_i32 s61, s61, 64
	v_fma_f32 v52, v52, v4, v2
	v_accvgpr_read_b32 v2, a2
	v_fma_f32 v54, v54, v4, v2
	v_accvgpr_read_b32 v2, a4
	v_fma_f32 v53, v53, v4, v2
	v_accvgpr_read_b32 v2, a5
	v_fma_f32 v51, v51, v4, v2
	v_accvgpr_read_b32 v2, a6
	v_fma_f32 v50, v50, v4, v3
	v_accvgpr_read_b32 v3, a3
	v_fma_f32 v55, v55, v4, v2
	v_accvgpr_read_b32 v2, a7
	v_fmac_f32_e32 v3, v56, v4
	s_cmp_eq_u32 s52, s35
	v_fmac_f32_e32 v2, v57, v4
	s_cbranch_scc1 .LBB635_4
; %bb.43:                               ;   in Loop: Header=BB635_32 Depth=1
	s_mov_b32 s37, s35
	v_mov_b32_e32 v56, v3
	v_mov_b32_e32 v57, v2
	s_branch .LBB635_32
.LBB635_44:
                                        ; implicit-def: $vgpr5
                                        ; implicit-def: $vgpr9
                                        ; implicit-def: $vgpr13
                                        ; implicit-def: $vgpr17
	s_cbranch_execz .LBB635_46
; %bb.45:
	s_waitcnt vmcnt(0)
	v_mad_u64_u32 v[2:3], s[0:1], v20, s15, v[18:19]
	v_lshlrev_b32_e32 v20, 1, v2
	s_lshl_b32 s2, s15, 7
	s_and_b32 s1, s5, 0xffff
	s_mov_b32 s3, 0x20000
	s_mov_b32 s0, s4
	v_add_lshl_u32 v21, v2, s15, 1
	s_movk_i32 s13, 0x80
	buffer_load_dwordx4 v[2:5], v20, s[0:3], 0 offen
	buffer_load_dwordx4 v[10:13], v20, s[0:3], s13 offen
	;; [unrolled: 1-line block ×4, first 2 shown]
.LBB635_46:
	v_lshrrev_b32_e32 v38, 2, v42
	s_cbranch_execnz .LBB635_59
.LBB635_47:
	s_and_b64 vcc, exec, s[6:7]
	s_cbranch_vccz .LBB635_57
; %bb.48:
	s_waitcnt vmcnt(0)
	v_lshlrev_b32_e32 v7, 1, v35
	v_cmp_gt_i32_e32 vcc, s27, v7
	v_mov_b32_e32 v6, 0
	v_lshlrev_b32_e32 v14, 9, v35
	v_mov_b32_e32 v2, 0
	v_mov_b32_e32 v3, 0
	;; [unrolled: 1-line block ×4, first 2 shown]
	s_and_saveexec_b64 s[0:1], vcc
	s_cbranch_execz .LBB635_50
; %bb.49:
	v_mov_b32_e32 v15, 0
	v_lshl_add_u64 v[2:3], s[4:5], 0, v[14:15]
	v_lshlrev_b32_e32 v4, 1, v18
	v_mov_b32_e32 v5, v15
	v_lshl_add_u64 v[2:3], v[2:3], 0, v[4:5]
	global_load_dwordx4 v[2:5], v[2:3], off
.LBB635_50:
	s_or_b64 exec, exec, s[0:1]
	v_or_b32_e32 v7, 1, v7
	v_cmp_gt_i32_e64 s[0:1], s27, v7
	v_lshlrev_b32_e32 v20, 8, v7
	v_mov_b32_e32 v7, 0
	v_mov_b32_e32 v8, 0
	;; [unrolled: 1-line block ×3, first 2 shown]
	s_and_saveexec_b64 s[2:3], s[0:1]
	s_cbranch_execz .LBB635_52
; %bb.51:
	v_mov_b32_e32 v21, 0
	v_lshl_add_u64 v[6:7], s[4:5], 0, v[20:21]
	v_lshlrev_b32_e32 v8, 1, v18
	v_mov_b32_e32 v9, v21
	v_lshl_add_u64 v[6:7], v[6:7], 0, v[8:9]
	global_load_dwordx4 v[6:9], v[6:7], off
.LBB635_52:
	s_or_b64 exec, exec, s[2:3]
	v_mov_b32_e32 v17, 0
	v_mov_b32_e32 v10, 0
	v_mov_b32_e32 v11, 0
	v_mov_b32_e32 v12, 0
	v_mov_b32_e32 v13, 0
	s_and_saveexec_b64 s[2:3], vcc
	s_cbranch_execz .LBB635_54
; %bb.53:
	v_mov_b32_e32 v15, 0
	v_lshl_add_u64 v[10:11], s[4:5], 0, v[14:15]
	v_lshlrev_b32_e32 v14, 1, v18
	v_lshl_add_u64 v[10:11], v[10:11], 0, v[14:15]
	global_load_dwordx4 v[10:13], v[10:11], off offset:128
.LBB635_54:
	s_or_b64 exec, exec, s[2:3]
	v_mov_b32_e32 v16, 0
	v_mov_b32_e32 v15, 0
	;; [unrolled: 1-line block ×3, first 2 shown]
	s_and_saveexec_b64 s[2:3], s[0:1]
	s_cbranch_execz .LBB635_56
; %bb.55:
	v_mov_b32_e32 v21, 0
	v_lshl_add_u64 v[14:15], s[4:5], 0, v[20:21]
	v_lshlrev_b32_e32 v20, 1, v18
	v_lshl_add_u64 v[14:15], v[14:15], 0, v[20:21]
	global_load_dwordx4 v[14:17], v[14:15], off offset:128
.LBB635_56:
	s_or_b64 exec, exec, s[2:3]
	s_branch .LBB635_59
.LBB635_57:
                                        ; implicit-def: $vgpr5
                                        ; implicit-def: $vgpr9
                                        ; implicit-def: $vgpr13
                                        ; implicit-def: $vgpr17
	s_cbranch_execz .LBB635_59
; %bb.58:
	s_waitcnt vmcnt(0)
	v_lshlrev_b32_e32 v2, 1, v18
	v_lshl_or_b32 v18, v35, 9, v2
	s_and_b32 s5, s5, 0xffff
	s_mov_b32 s7, 0x20000
	s_movk_i32 s6, 0x4000
	s_movk_i32 s0, 0x80
	buffer_load_dwordx4 v[2:5], v18, s[4:7], 0 offen
	buffer_load_dwordx4 v[6:9], v18, s[4:7], 0 offen offset:256
	buffer_load_dwordx4 v[10:13], v18, s[4:7], s0 offen
	buffer_load_dwordx4 v[14:17], v18, s[4:7], s0 offen offset:256
.LBB635_59:
	ds_read2st64_b64 v[22:25], v19 offset0:76 offset1:77
	ds_read2st64_b64 v[18:21], v19 offset0:78 offset1:79
	ds_read_b64 v[32:33], v26 offset:24576
	ds_read_b64 v[30:31], v27 offset:24576
	;; [unrolled: 1-line block ×4, first 2 shown]
	v_and_b32_e32 v37, 6, v0
	v_xor_b32_e32 v35, v35, v37
	v_lshlrev_b32_e32 v35, 2, v35
	v_and_b32_e32 v0, 1, v0
	v_xor_b32_e32 v39, 0x440, v35
	v_cmp_eq_u32_e32 vcc, 0, v0
	s_mov_b32 s0, 0x1000504
	s_mov_b32 s1, 0x3020706
	v_cndmask_b32_e32 v0, v39, v35, vcc
	v_lshl_or_b32 v0, v37, 10, v0
	s_waitcnt vmcnt(0)
	v_perm_b32 v35, v2, v6, s0
	v_perm_b32 v37, v10, v14, s0
	ds_write2st64_b32 v0, v35, v37 offset1:32
	v_xor_b32_e32 v35, 8, v0
	v_perm_b32 v2, v2, v6, s1
	v_perm_b32 v6, v10, v14, s1
	v_add_u32_e32 v10, 0x80, v35
	ds_write2st64_b32 v10, v2, v6 offset1:32
	v_xor_b32_e32 v2, 16, v0
	v_perm_b32 v6, v3, v7, s0
	v_perm_b32 v10, v11, v15, s0
	ds_write2st64_b32 v2, v6, v10 offset0:1 offset1:33
	v_xor_b32_e32 v2, 24, v0
	v_perm_b32 v3, v3, v7, s1
	v_perm_b32 v6, v11, v15, s1
	v_add_u32_e32 v2, 0x80, v2
	ds_write2st64_b32 v2, v3, v6 offset0:1 offset1:33
	v_xor_b32_e32 v2, 32, v0
	v_perm_b32 v3, v4, v8, s0
	v_perm_b32 v6, v12, v16, s0
	ds_write2st64_b32 v2, v3, v6 offset0:2 offset1:34
	v_xor_b32_e32 v2, 40, v0
	v_perm_b32 v3, v4, v8, s1
	v_perm_b32 v4, v12, v16, s1
	v_add_u32_e32 v2, 0x80, v2
	ds_write2st64_b32 v2, v3, v4 offset0:2 offset1:34
	v_xor_b32_e32 v2, 48, v0
	v_perm_b32 v3, v5, v9, s0
	v_perm_b32 v4, v13, v17, s0
	v_xor_b32_e32 v0, 56, v0
	v_and_or_b32 v8, v38, 12, v1
	ds_write2st64_b32 v2, v3, v4 offset0:3 offset1:35
	v_perm_b32 v2, v5, v9, s1
	v_perm_b32 v3, v13, v17, s1
	v_add_u32_e32 v0, 0x80, v0
	v_cmp_gt_i32_e32 vcc, s27, v8
	v_mov_b32_e32 v9, 0
	v_mov_b32_e32 v14, 0
	ds_write2st64_b32 v0, v2, v3 offset0:3 offset1:35
	s_and_saveexec_b64 s[0:1], vcc
	s_cbranch_execz .LBB635_61
; %bb.60:
	v_add_u32_e32 v0, s26, v8
	v_ashrrev_i32_e32 v1, 31, v0
	v_mul_lo_u32 v2, v1, s30
	v_mul_lo_u32 v3, v0, s31
	v_mad_u64_u32 v[0:1], s[2:3], v0, s30, 0
	v_add3_u32 v1, v1, v3, v2
	v_lshl_add_u64 v[0:1], v[0:1], 2, s[10:11]
	global_load_dword v0, v[0:1], off
	s_waitcnt vmcnt(0)
	v_sub_f32_e32 v0, s12, v0
	v_mul_f32_e32 v0, 0x3fb8aa3b, v0
	v_exp_f32_e32 v14, v0
.LBB635_61:
	s_or_b64 exec, exec, s[0:1]
	v_or_b32_e32 v12, 1, v8
	v_cmp_gt_i32_e64 s[2:3], s27, v12
	s_and_saveexec_b64 s[0:1], s[2:3]
	s_cbranch_execz .LBB635_63
; %bb.62:
	v_add_u32_e32 v0, s26, v12
	v_ashrrev_i32_e32 v1, 31, v0
	v_mul_lo_u32 v2, v1, s30
	v_mul_lo_u32 v3, v0, s31
	v_mad_u64_u32 v[0:1], s[4:5], v0, s30, 0
	v_add3_u32 v1, v1, v3, v2
	v_lshl_add_u64 v[0:1], v[0:1], 2, s[10:11]
	global_load_dword v0, v[0:1], off
	s_waitcnt vmcnt(0)
	v_sub_f32_e32 v0, s12, v0
	v_mul_f32_e32 v0, 0x3fb8aa3b, v0
	v_exp_f32_e32 v9, v0
.LBB635_63:
	s_or_b64 exec, exec, s[0:1]
	v_or_b32_e32 v11, 2, v8
	v_cmp_gt_i32_e64 s[0:1], s27, v11
	v_mov_b32_e32 v10, 0
	v_mov_b32_e32 v15, 0
	s_and_saveexec_b64 s[4:5], s[0:1]
	s_cbranch_execz .LBB635_65
; %bb.64:
	v_add_u32_e32 v0, s26, v11
	v_ashrrev_i32_e32 v1, 31, v0
	v_mul_lo_u32 v2, v1, s30
	v_mul_lo_u32 v3, v0, s31
	v_mad_u64_u32 v[0:1], s[6:7], v0, s30, 0
	v_add3_u32 v1, v1, v3, v2
	v_lshl_add_u64 v[0:1], v[0:1], 2, s[10:11]
	global_load_dword v0, v[0:1], off
	s_waitcnt vmcnt(0)
	v_sub_f32_e32 v0, s12, v0
	v_mul_f32_e32 v0, 0x3fb8aa3b, v0
	v_exp_f32_e32 v15, v0
.LBB635_65:
	s_or_b64 exec, exec, s[4:5]
	v_or_b32_e32 v13, 3, v8
	v_cmp_gt_i32_e64 s[4:5], s27, v13
	s_and_saveexec_b64 s[6:7], s[4:5]
	s_cbranch_execz .LBB635_67
; %bb.66:
	v_add_u32_e32 v0, s26, v13
	v_ashrrev_i32_e32 v1, 31, v0
	v_mul_lo_u32 v2, v1, s30
	v_mul_lo_u32 v3, v0, s31
	v_mad_u64_u32 v[0:1], s[14:15], v0, s30, 0
	v_add3_u32 v1, v1, v3, v2
	v_lshl_add_u64 v[0:1], v[0:1], 2, s[10:11]
	global_load_dword v0, v[0:1], off
	s_waitcnt vmcnt(0)
	v_sub_f32_e32 v0, s12, v0
	v_mul_f32_e32 v0, 0x3fb8aa3b, v0
	v_exp_f32_e32 v10, v0
.LBB635_67:
	s_or_b64 exec, exec, s[6:7]
	s_waitcnt lgkmcnt(11)
	v_mfma_f32_16x16x16_bf16 a[0:3], v[32:33], v[22:23], a[0:3]
	s_add_u32 s6, s8, s20
	v_ashrrev_i32_e32 v35, 31, v34
	s_addc_u32 s7, s9, s21
	s_waitcnt lgkmcnt(10)
	v_mfma_f32_16x16x16_bf16 a[0:3], v[30:31], v[24:25], a[0:3]
	v_lshlrev_b64 v[0:1], 1, v[34:35]
	v_lshl_add_u64 v[4:5], s[6:7], 0, v[0:1]
	s_add_u32 s6, s28, s20
	s_waitcnt lgkmcnt(9)
	v_mfma_f32_16x16x16_bf16 a[0:3], v[28:29], v[18:19], a[0:3]
	s_addc_u32 s7, s29, s21
	v_lshl_add_u64 v[6:7], s[6:7], 0, v[0:1]
	v_mov_b32_e32 v16, 0
	s_waitcnt lgkmcnt(8)
	v_mfma_f32_16x16x16_bf16 a[0:3], v[26:27], v[20:21], a[0:3]
	v_mov_b32_e32 v17, 0
	s_nop 5
	v_accvgpr_read_b32 v0, a0
	v_accvgpr_read_b32 v1, a1
	;; [unrolled: 1-line block ×4, first 2 shown]
	s_and_saveexec_b64 s[6:7], vcc
	s_cbranch_execz .LBB635_69
; %bb.68:
	v_lshlrev_b32_e32 v18, 8, v8
	v_mov_b32_e32 v19, 0
	v_lshl_add_u64 v[20:21], v[4:5], 0, v[18:19]
	global_load_ushort v17, v[20:21], off
	v_lshl_add_u64 v[18:19], v[6:7], 0, v[18:19]
	s_waitcnt vmcnt(0)
	v_lshlrev_b32_e32 v17, 16, v17
	v_sub_f32_e32 v0, v17, v0
	global_store_short_d16_hi v[18:19], v0, off
	v_mul_f32_e32 v0, v14, v0
	v_lshrrev_b32_e32 v17, 16, v0
.LBB635_69:
	s_or_b64 exec, exec, s[6:7]
	s_and_saveexec_b64 s[6:7], s[2:3]
	s_cbranch_execz .LBB635_71
; %bb.70:
	v_lshlrev_b32_e32 v18, 8, v12
	v_mov_b32_e32 v19, 0
	v_lshl_add_u64 v[20:21], v[4:5], 0, v[18:19]
	global_load_ushort v0, v[20:21], off
	v_lshl_add_u64 v[18:19], v[6:7], 0, v[18:19]
	s_waitcnt vmcnt(0)
	v_lshlrev_b32_e32 v0, 16, v0
	v_sub_f32_e32 v0, v0, v1
	global_store_short_d16_hi v[18:19], v0, off
	v_mul_f32_e32 v0, v9, v0
	v_lshrrev_b32_e32 v16, 16, v0
.LBB635_71:
	s_or_b64 exec, exec, s[6:7]
	v_mov_b32_e32 v0, 0
	v_mov_b32_e32 v1, 0
	s_and_saveexec_b64 s[2:3], s[0:1]
	s_cbranch_execz .LBB635_73
; %bb.72:
	v_lshlrev_b32_e32 v18, 8, v11
	v_mov_b32_e32 v19, 0
	v_lshl_add_u64 v[20:21], v[4:5], 0, v[18:19]
	global_load_ushort v1, v[20:21], off
	v_lshl_add_u64 v[18:19], v[6:7], 0, v[18:19]
	s_waitcnt vmcnt(0)
	v_lshlrev_b32_e32 v1, 16, v1
	v_sub_f32_e32 v1, v1, v2
	global_store_short_d16_hi v[18:19], v1, off
	v_mul_f32_e32 v1, v15, v1
	v_lshrrev_b32_e32 v1, 16, v1
.LBB635_73:
	s_or_b64 exec, exec, s[2:3]
	s_and_saveexec_b64 s[0:1], s[4:5]
	s_cbranch_execz .LBB635_75
; %bb.74:
	v_lshlrev_b32_e32 v12, 8, v13
	v_mov_b32_e32 v13, 0
	v_lshl_add_u64 v[4:5], v[4:5], 0, v[12:13]
	global_load_ushort v0, v[4:5], off
	v_lshl_add_u64 v[4:5], v[6:7], 0, v[12:13]
	s_waitcnt vmcnt(0)
	v_lshlrev_b32_e32 v0, 16, v0
	v_sub_f32_e32 v0, v0, v3
	global_store_short_d16_hi v[4:5], v0, off
	v_mul_f32_e32 v0, v10, v0
	v_lshrrev_b32_e32 v0, 16, v0
.LBB635_75:
	s_or_b64 exec, exec, s[0:1]
	s_mov_b32 s0, 0x5040100
	v_lshlrev_b32_e32 v2, 1, v36
	v_perm_b32 v1, v0, v1, s0
	v_perm_b32 v0, v16, v17, s0
	v_lshl_or_b32 v2, v8, 5, v2
	ds_write_b64 v2, v[0:1] offset:38912
	s_waitcnt lgkmcnt(0)
	s_barrier
.LBB635_76:
	s_endpgm
	.section	.rodata,"a",@progbits
	.p2align	6, 0x0
	.amdhsa_kernel _ZN12_GLOBAL__N_139chunk_gated_delta_rule_fwd_h_hip_kernelILi16ELb1ELb0ELb1ELb0ELb0ELb0ELb0ELb1EEEvPK12hip_bfloat16S3_S3_PKfS5_PKvPS1_S8_PvPKiSB_iiiiilll
		.amdhsa_group_segment_fixed_size 40960
		.amdhsa_private_segment_fixed_size 0
		.amdhsa_kernarg_size 136
		.amdhsa_user_sgpr_count 2
		.amdhsa_user_sgpr_dispatch_ptr 0
		.amdhsa_user_sgpr_queue_ptr 0
		.amdhsa_user_sgpr_kernarg_segment_ptr 1
		.amdhsa_user_sgpr_dispatch_id 0
		.amdhsa_user_sgpr_kernarg_preload_length 0
		.amdhsa_user_sgpr_kernarg_preload_offset 0
		.amdhsa_user_sgpr_private_segment_size 0
		.amdhsa_uses_dynamic_stack 0
		.amdhsa_enable_private_segment 0
		.amdhsa_system_sgpr_workgroup_id_x 1
		.amdhsa_system_sgpr_workgroup_id_y 1
		.amdhsa_system_sgpr_workgroup_id_z 0
		.amdhsa_system_sgpr_workgroup_info 0
		.amdhsa_system_vgpr_workitem_id 0
		.amdhsa_next_free_vgpr 116
		.amdhsa_next_free_sgpr 68
		.amdhsa_accum_offset 108
		.amdhsa_reserve_vcc 1
		.amdhsa_float_round_mode_32 0
		.amdhsa_float_round_mode_16_64 0
		.amdhsa_float_denorm_mode_32 3
		.amdhsa_float_denorm_mode_16_64 3
		.amdhsa_dx10_clamp 1
		.amdhsa_ieee_mode 1
		.amdhsa_fp16_overflow 0
		.amdhsa_tg_split 0
		.amdhsa_exception_fp_ieee_invalid_op 0
		.amdhsa_exception_fp_denorm_src 0
		.amdhsa_exception_fp_ieee_div_zero 0
		.amdhsa_exception_fp_ieee_overflow 0
		.amdhsa_exception_fp_ieee_underflow 0
		.amdhsa_exception_fp_ieee_inexact 0
		.amdhsa_exception_int_div_zero 0
	.end_amdhsa_kernel
	.section	.text._ZN12_GLOBAL__N_139chunk_gated_delta_rule_fwd_h_hip_kernelILi16ELb1ELb0ELb1ELb0ELb0ELb0ELb0ELb1EEEvPK12hip_bfloat16S3_S3_PKfS5_PKvPS1_S8_PvPKiSB_iiiiilll,"axG",@progbits,_ZN12_GLOBAL__N_139chunk_gated_delta_rule_fwd_h_hip_kernelILi16ELb1ELb0ELb1ELb0ELb0ELb0ELb0ELb1EEEvPK12hip_bfloat16S3_S3_PKfS5_PKvPS1_S8_PvPKiSB_iiiiilll,comdat
.Lfunc_end635:
	.size	_ZN12_GLOBAL__N_139chunk_gated_delta_rule_fwd_h_hip_kernelILi16ELb1ELb0ELb1ELb0ELb0ELb0ELb0ELb1EEEvPK12hip_bfloat16S3_S3_PKfS5_PKvPS1_S8_PvPKiSB_iiiiilll, .Lfunc_end635-_ZN12_GLOBAL__N_139chunk_gated_delta_rule_fwd_h_hip_kernelILi16ELb1ELb0ELb1ELb0ELb0ELb0ELb0ELb1EEEvPK12hip_bfloat16S3_S3_PKfS5_PKvPS1_S8_PvPKiSB_iiiiilll
                                        ; -- End function
	.section	.AMDGPU.csdata,"",@progbits
; Kernel info:
; codeLenInByte = 7396
; NumSgprs: 74
; NumVgprs: 108
; NumAgprs: 8
; TotalNumVgprs: 116
; ScratchSize: 0
; MemoryBound: 0
; FloatMode: 240
; IeeeMode: 1
; LDSByteSize: 40960 bytes/workgroup (compile time only)
; SGPRBlocks: 9
; VGPRBlocks: 14
; NumSGPRsForWavesPerEU: 74
; NumVGPRsForWavesPerEU: 116
; AccumOffset: 108
; Occupancy: 1
; WaveLimiterHint : 1
; COMPUTE_PGM_RSRC2:SCRATCH_EN: 0
; COMPUTE_PGM_RSRC2:USER_SGPR: 2
; COMPUTE_PGM_RSRC2:TRAP_HANDLER: 0
; COMPUTE_PGM_RSRC2:TGID_X_EN: 1
; COMPUTE_PGM_RSRC2:TGID_Y_EN: 1
; COMPUTE_PGM_RSRC2:TGID_Z_EN: 0
; COMPUTE_PGM_RSRC2:TIDIG_COMP_CNT: 0
; COMPUTE_PGM_RSRC3_GFX90A:ACCUM_OFFSET: 26
; COMPUTE_PGM_RSRC3_GFX90A:TG_SPLIT: 0
	.section	.text._ZN12_GLOBAL__N_139chunk_gated_delta_rule_fwd_h_hip_kernelILi16ELb1ELb0ELb0ELb0ELb0ELb0ELb0ELb1EEEvPK12hip_bfloat16S3_S3_PKfS5_PKvPS1_S8_PvPKiSB_iiiiilll,"axG",@progbits,_ZN12_GLOBAL__N_139chunk_gated_delta_rule_fwd_h_hip_kernelILi16ELb1ELb0ELb0ELb0ELb0ELb0ELb0ELb1EEEvPK12hip_bfloat16S3_S3_PKfS5_PKvPS1_S8_PvPKiSB_iiiiilll,comdat
	.globl	_ZN12_GLOBAL__N_139chunk_gated_delta_rule_fwd_h_hip_kernelILi16ELb1ELb0ELb0ELb0ELb0ELb0ELb0ELb1EEEvPK12hip_bfloat16S3_S3_PKfS5_PKvPS1_S8_PvPKiSB_iiiiilll ; -- Begin function _ZN12_GLOBAL__N_139chunk_gated_delta_rule_fwd_h_hip_kernelILi16ELb1ELb0ELb0ELb0ELb0ELb0ELb0ELb1EEEvPK12hip_bfloat16S3_S3_PKfS5_PKvPS1_S8_PvPKiSB_iiiiilll
	.p2align	8
	.type	_ZN12_GLOBAL__N_139chunk_gated_delta_rule_fwd_h_hip_kernelILi16ELb1ELb0ELb0ELb0ELb0ELb0ELb0ELb1EEEvPK12hip_bfloat16S3_S3_PKfS5_PKvPS1_S8_PvPKiSB_iiiiilll,@function
_ZN12_GLOBAL__N_139chunk_gated_delta_rule_fwd_h_hip_kernelILi16ELb1ELb0ELb0ELb0ELb0ELb0ELb0ELb1EEEvPK12hip_bfloat16S3_S3_PKfS5_PKvPS1_S8_PvPKiSB_iiiiilll: ; @_ZN12_GLOBAL__N_139chunk_gated_delta_rule_fwd_h_hip_kernelILi16ELb1ELb0ELb0ELb0ELb0ELb0ELb0ELb1EEEvPK12hip_bfloat16S3_S3_PKfS5_PKvPS1_S8_PvPKiSB_iiiiilll
; %bb.0:
	s_load_dwordx4 s[12:15], s[0:1], 0x5c
	s_load_dwordx4 s[16:19], s[0:1], 0x28
	s_abs_i32 s6, s3
	s_ashr_i32 s5, s3, 31
	v_and_b32_e32 v43, 15, v0
	s_waitcnt lgkmcnt(0)
	s_abs_i32 s4, s13
	v_cvt_f32_u32_e32 v1, s4
	s_sub_i32 s8, 0, s4
	s_ashr_i32 s7, s13, 31
	s_xor_b32 s5, s5, s7
	v_rcp_iflag_f32_e32 v1, v1
	v_lshrrev_b32_e32 v41, 6, v0
	v_bfe_u32 v42, v0, 4, 2
	v_mov_b32_e32 v5, 0
	v_mul_f32_e32 v1, 0x4f7ffffe, v1
	v_cvt_u32_f32_e32 v1, v1
	v_and_b32_e32 v40, 63, v0
	v_lshlrev_b32_e32 v44, 3, v0
	v_lshrrev_b32_e32 v45, 3, v40
	v_readfirstlane_b32 s9, v1
	s_mul_i32 s8, s8, s9
	s_mul_hi_u32 s8, s9, s8
	s_add_i32 s9, s9, s8
	s_mul_hi_u32 s8, s6, s9
	s_mul_i32 s9, s8, s4
	s_sub_i32 s6, s6, s9
	s_add_i32 s10, s8, 1
	s_sub_i32 s9, s6, s4
	s_cmp_ge_u32 s6, s4
	s_cselect_b32 s8, s10, s8
	s_cselect_b32 s6, s9, s6
	s_add_i32 s9, s8, 1
	s_cmp_ge_u32 s6, s4
	s_cselect_b32 s6, s9, s8
	s_xor_b32 s6, s6, s5
	s_sub_i32 s49, s6, s5
	s_mul_i32 s6, s49, s13
	s_sub_i32 s47, s3, s6
	s_abs_i32 s3, s14
	v_cvt_f32_u32_e32 v1, s3
	s_add_i32 s8, s12, 63
	s_ashr_i32 s9, s8, 31
	s_lshr_b32 s5, s9, 26
	v_rcp_iflag_f32_e32 v1, v1
	s_ashr_i32 s48, s12, 31
	s_add_i32 s8, s8, s5
	s_lshr_b32 s5, s48, 26
	v_mul_f32_e32 v1, 0x4f7ffffe, v1
	v_cvt_u32_f32_e32 v1, v1
	s_add_i32 s5, s12, s5
	s_ashr_i32 s52, s14, 31
	s_ashr_i32 s24, s8, 6
	;; [unrolled: 1-line block ×3, first 2 shown]
	s_xor_b32 s5, s7, s52
	s_sub_i32 s7, 0, s3
	v_readfirstlane_b32 s8, v1
	s_mul_i32 s7, s7, s8
	s_mul_hi_u32 s7, s8, s7
	s_add_i32 s8, s8, s7
	s_mul_hi_u32 s7, s4, s8
	s_mul_i32 s8, s7, s3
	s_sub_i32 s4, s4, s8
	s_lshl_b32 s2, s2, 4
	s_add_i32 s8, s7, 1
	s_sub_i32 s9, s4, s3
	s_cmp_ge_u32 s4, s3
	s_cselect_b32 s7, s8, s7
	s_cselect_b32 s4, s9, s4
	s_add_i32 s8, s7, 1
	s_cmp_ge_u32 s4, s3
	s_cselect_b32 s3, s8, s7
	s_xor_b32 s3, s3, s5
	s_sub_i32 s3, s3, s5
	s_abs_i32 s4, s3
	v_cvt_f32_u32_e32 v1, s4
	s_sub_i32 s7, 0, s4
	s_abs_i32 s5, s47
	s_xor_b32 s3, s47, s3
	v_rcp_iflag_f32_e32 v1, v1
	s_ashr_i32 s3, s3, 31
	v_or_b32_e32 v34, s2, v43
	v_lshlrev_b32_e32 v2, 7, v34
	v_mul_f32_e32 v1, 0x4f7ffffe, v1
	v_cvt_u32_f32_e32 v1, v1
	v_ashrrev_i32_e32 v3, 31, v2
	s_mul_i32 s54, s49, s24
	v_readfirstlane_b32 s8, v1
	s_mul_i32 s7, s7, s8
	s_mul_hi_u32 s7, s8, s7
	s_add_i32 s8, s8, s7
	s_mul_hi_u32 s7, s5, s8
	s_mul_i32 s8, s7, s4
	s_sub_i32 s5, s5, s8
	s_add_i32 s8, s7, 1
	s_sub_i32 s9, s5, s4
	s_cmp_ge_u32 s5, s4
	s_cselect_b32 s7, s8, s7
	s_cselect_b32 s5, s9, s5
	s_add_i32 s8, s7, 1
	s_cmp_ge_u32 s5, s4
	s_cselect_b32 s4, s8, s7
	s_xor_b32 s4, s4, s3
	s_sub_i32 s53, s4, s3
	s_ashr_i32 s3, s49, 31
	s_ashr_i32 s51, s47, 31
	s_mul_hi_i32 s4, s49, s13
	s_add_u32 s36, s6, s47
	s_addc_u32 s37, s4, s51
	s_lshl_b64 s[4:5], s[36:37], 15
	v_lshlrev_b32_e32 v1, 4, v41
	s_add_u32 s4, s16, s4
	v_lshl_or_b32 v46, v42, 2, v1
	s_addc_u32 s5, s17, s5
	v_lshl_add_u64 v[2:3], v[2:3], 1, s[4:5]
	v_lshlrev_b32_e32 v4, 1, v46
	v_lshl_add_u64 v[2:3], v[2:3], 0, v[4:5]
	global_load_dwordx2 v[4:5], v[2:3], off
	global_load_dwordx2 v[6:7], v[2:3], off offset:128
	s_load_dwordx8 s[4:11], s[0:1], 0x0
	s_load_dwordx2 s[28:29], s[0:1], 0x80
	s_load_dwordx4 s[20:23], s[0:1], 0x70
	v_or_b32_e32 v47, 64, v46
	s_mul_hi_u32 s55, s36, s12
	s_mul_i32 s16, s36, s12
	s_mul_i32 s37, s37, s12
	s_waitcnt lgkmcnt(0)
	s_mul_i32 s33, s49, s21
	s_mul_hi_u32 s42, s49, s20
	s_mul_i32 s34, s49, s20
	s_mul_i32 s43, s47, s23
	s_mul_hi_u32 s44, s47, s22
	s_mul_i32 s46, s3, s20
	s_mul_i32 s45, s51, s22
	s_cmp_lt_i32 s12, 64
	s_mul_i32 s30, s47, s22
	s_waitcnt vmcnt(1)
	v_and_b32_e32 v48, 0xffff0000, v4
	v_lshlrev_b32_e32 v50, 16, v4
	v_and_b32_e32 v54, 0xffff0000, v5
	v_lshlrev_b32_e32 v52, 16, v5
	s_waitcnt vmcnt(0)
	v_and_b32_e32 v49, 0xffff0000, v6
	v_lshlrev_b32_e32 v51, 16, v6
	v_and_b32_e32 v55, 0xffff0000, v7
	v_lshlrev_b32_e32 v53, 16, v7
	s_cbranch_scc1 .LBB636_3
; %bb.1:
	s_add_i32 s17, s55, s37
	s_lshl_b64 s[0:1], s[16:17], 8
	v_and_b32_e32 v57, 56, v44
	s_add_u32 s20, s6, s0
	v_lshl_or_b32 v56, v41, 3, v45
	v_lshlrev_b32_e32 v2, 1, v57
	s_addc_u32 s0, s7, s1
	v_lshl_or_b32 v58, v56, 8, v2
	s_and_b32 s21, s0, 0xffff
	s_mov_b32 s23, 0x20000
	s_movk_i32 s22, 0x4000
	s_movk_i32 s0, 0x80
	v_or_b32_e32 v59, 0x2000, v58
	buffer_load_dwordx4 v[4:7], v58, s[20:23], 0 offen
	buffer_load_dwordx4 v[8:11], v58, s[20:23], s0 offen
	;; [unrolled: 1-line block ×4, first 2 shown]
	v_lshlrev_b32_e32 v3, 3, v56
	v_and_or_b32 v21, v0, 7, v3
	v_and_b32_e32 v3, 0x78, v3
	v_lshlrev_b32_e32 v21, 4, v21
	v_xor_b32_e32 v60, v21, v3
	v_mul_lo_u32 v20, v56, s15
	v_or_b32_e32 v61, 0x1000, v60
	v_xor_b32_e32 v3, 8, v60
	s_cmpk_eq_i32 s15, 0x80
	s_mov_b32 s56, s14
	v_xor_b32_e32 v21, 8, v61
	s_cselect_b64 s[0:1], -1, 0
	s_cmpk_lg_i32 s15, 0x80
	s_waitcnt vmcnt(3)
	ds_write_b64 v60, v[4:5] offset:16384
	ds_write_b64 v3, v[6:7] offset:16384
	s_waitcnt vmcnt(2)
	ds_write_b64 v60, v[8:9] offset:24576
	ds_write_b64 v3, v[10:11] offset:24576
	;; [unrolled: 3-line block ×4, first 2 shown]
	v_lshl_add_u32 v3, v20, 1, v57
	s_cbranch_scc0 .LBB636_29
; %bb.2:
	v_lshlrev_b32_e32 v5, 1, v3
	v_add_lshl_u32 v4, v3, s15, 1
	s_lshl_b32 s22, s15, 7
	v_lshl_or_b32 v2, v56, 9, v2
	s_cbranch_execz .LBB636_30
	s_branch .LBB636_31
.LBB636_3:
	v_mov_b32_e32 v2, v55
	v_mov_b32_e32 v3, v54
.LBB636_4:
	s_lshl_b32 s26, s50, 6
	s_sub_i32 s27, s12, s26
	s_cmp_gt_i32 s27, 0
	s_cbranch_scc0 .LBB636_76
; %bb.5:
	s_ashr_i32 s3, s26, 31
	s_cmpk_lg_i32 s15, 0x80
	s_cselect_b64 s[22:23], -1, 0
	s_and_b64 vcc, exec, s[22:23]
	s_cbranch_vccz .LBB636_7
; %bb.6:
	s_mul_i32 s1, s49, s12
	s_mul_hi_i32 s0, s49, s12
	s_add_u32 s1, s1, s26
	s_addc_u32 s0, s0, s3
	s_mul_i32 s17, s1, s52
	s_mul_hi_u32 s20, s1, s14
	s_add_i32 s17, s20, s17
	s_mul_i32 s0, s0, s14
	s_add_i32 s17, s17, s0
	s_mul_i32 s1, s1, s14
	s_ashr_i32 s0, s53, 31
	s_add_u32 s24, s1, s53
	s_addc_u32 s25, s17, s0
	s_cbranch_execz .LBB636_8
	s_branch .LBB636_9
.LBB636_7:
                                        ; implicit-def: $sgpr24_sgpr25
.LBB636_8:
	s_mul_hi_i32 s0, s49, s14
	s_mul_i32 s49, s49, s14
	s_ashr_i32 s1, s53, 31
	s_add_u32 s14, s49, s53
	s_addc_u32 s0, s0, s1
	s_mul_i32 s1, s14, s48
	s_mul_hi_u32 s17, s14, s12
	s_add_i32 s1, s17, s1
	s_mul_i32 s0, s0, s12
	s_add_i32 s1, s1, s0
	s_mul_i32 s14, s14, s12
	s_add_u32 s24, s14, s26
	s_addc_u32 s25, s1, s3
.LBB636_9:
	s_mul_i32 s0, s36, s48
	s_add_i32 s0, s55, s0
	s_add_i32 s14, s54, s50
	s_add_i32 s1, s0, s37
	s_add_u32 s0, s16, s26
	s_addc_u32 s1, s1, s3
	s_mov_b32 s3, 0x7060302
	v_lshlrev_b32_e32 v6, 3, v43
	v_perm_b32 v5, v3, v52, s3
	v_perm_b32 v4, v48, v50, s3
	;; [unrolled: 1-line block ×4, first 2 shown]
	v_lshlrev_b32_e32 v36, 2, v43
	v_lshl_or_b32 v6, v46, 5, v6
	s_lshl_b64 s[20:21], s[0:1], 8
	ds_write2st64_b64 v6, v[4:5], v[2:3] offset0:72 offset1:76
	v_xor_b32_e32 v6, v46, v36
	v_lshlrev_b32_e32 v7, 8, v43
	s_add_u32 s0, s6, s20
	v_lshl_or_b32 v6, v6, 1, v7
	s_addc_u32 s1, s7, s21
	ds_write_b64 v6, v[4:5] offset:32768
	v_xor_b32_e32 v4, v47, v36
	s_mul_hi_i32 s3, s14, s13
	s_mul_i32 s14, s14, s13
	v_lshl_or_b32 v4, v4, 1, v7
	s_add_u32 s6, s14, s47
	ds_write_b64 v4, v[2:3] offset:32768
	s_addc_u32 s7, s3, s51
	v_lshlrev_b32_e32 v3, 1, v43
	v_lshrrev_b32_e32 v2, 4, v0
	s_ashr_i32 s3, s2, 31
	s_lshl_b64 s[6:7], s[6:7], 15
	v_or_b32_e32 v4, 1, v3
	s_add_u32 s6, s18, s6
	v_xor_b32_e32 v3, v2, v3
	v_xor_b32_e32 v4, v4, v2
	v_lshlrev_b32_e32 v6, 8, v2
	s_addc_u32 s7, s19, s7
	s_lshl_b64 s[2:3], s[2:3], 8
	v_lshl_or_b32 v2, v3, 3, v6
	v_lshl_or_b32 v4, v4, 3, v6
	s_waitcnt lgkmcnt(0)
	s_barrier
	s_add_u32 s2, s6, s2
	ds_read_b64 v[2:3], v2 offset:32768
	ds_read_b64 v[4:5], v4 offset:32768
	s_addc_u32 s3, s7, s3
	v_mov_b32_e32 v7, 0
	s_cmp_lg_u32 s27, 64
	v_lshl_add_u64 v[8:9], s[2:3], 0, v[6:7]
	v_lshlrev_b32_e32 v6, 4, v43
	s_cselect_b64 s[6:7], -1, 0
	v_lshl_or_b32 v35, v41, 3, v45
	s_mov_b32 s16, 0
	v_lshl_add_u64 v[6:7], v[8:9], 0, v[6:7]
	s_waitcnt vmcnt(1)
	v_or_b32_e32 v19, 32, v35
	v_and_b32_e32 v18, 56, v44
	s_and_b64 vcc, exec, s[6:7]
	s_waitcnt lgkmcnt(0)
	global_store_dwordx4 v[6:7], v[2:5], off
	s_cbranch_vccz .LBB636_15
; %bb.10:
	s_mov_b32 s17, s16
	s_mov_b32 s18, s16
	;; [unrolled: 1-line block ×3, first 2 shown]
	v_mov_b64_e32 v[6:7], s[16:17]
	v_mov_b64_e32 v[8:9], s[18:19]
	;; [unrolled: 1-line block ×3, first 2 shown]
	v_cmp_gt_i32_e32 vcc, s27, v35
	v_mov_b64_e32 v[4:5], v[8:9]
	s_and_saveexec_b64 s[2:3], vcc
	s_cbranch_execz .LBB636_12
; %bb.11:
	v_lshlrev_b32_e32 v2, 8, v35
	v_mov_b32_e32 v3, 0
	v_lshl_add_u64 v[4:5], s[0:1], 0, v[2:3]
	v_lshlrev_b32_e32 v2, 1, v18
	v_lshl_add_u64 v[10:11], v[4:5], 0, v[2:3]
	global_load_dwordx4 v[6:9], v[10:11], off
	global_load_dwordx4 v[2:5], v[10:11], off offset:128
.LBB636_12:
	s_or_b64 exec, exec, s[2:3]
	s_mov_b32 s17, s16
	s_mov_b32 s18, s16
	;; [unrolled: 1-line block ×3, first 2 shown]
	v_mov_b64_e32 v[14:15], s[16:17]
	v_mov_b64_e32 v[16:17], s[18:19]
	;; [unrolled: 1-line block ×3, first 2 shown]
	v_cmp_gt_i32_e32 vcc, s27, v19
	v_lshlrev_b32_e32 v20, 7, v19
	v_mov_b64_e32 v[12:13], v[16:17]
	s_and_saveexec_b64 s[2:3], vcc
	s_cbranch_execz .LBB636_14
; %bb.13:
	v_lshlrev_b32_e32 v10, 1, v20
	v_mov_b32_e32 v11, 0
	v_lshl_add_u64 v[12:13], s[0:1], 0, v[10:11]
	v_lshlrev_b32_e32 v10, 1, v18
	v_lshl_add_u64 v[22:23], v[12:13], 0, v[10:11]
	global_load_dwordx4 v[14:17], v[22:23], off
	global_load_dwordx4 v[10:13], v[22:23], off offset:128
.LBB636_14:
	s_or_b64 exec, exec, s[2:3]
	v_lshrrev_b32_e32 v21, 3, v18
	v_lshlrev_b32_e32 v22, 3, v35
	v_or_b32_e32 v21, v22, v21
	v_lshlrev_b32_e32 v21, 4, v21
	v_and_b32_e32 v22, 0x78, v22
	v_xor_b32_e32 v21, v21, v22
	s_branch .LBB636_17
.LBB636_15:
                                        ; implicit-def: $vgpr21
                                        ; implicit-def: $vgpr20
                                        ; implicit-def: $vgpr6_vgpr7_vgpr8_vgpr9
                                        ; implicit-def: $vgpr2_vgpr3_vgpr4_vgpr5
                                        ; implicit-def: $vgpr14_vgpr15_vgpr16_vgpr17
                                        ; implicit-def: $vgpr10_vgpr11_vgpr12_vgpr13
	s_cbranch_execz .LBB636_17
; %bb.16:
	s_waitcnt vmcnt(0)
	v_lshlrev_b32_e32 v2, 1, v18
	v_lshl_or_b32 v20, v35, 8, v2
	s_and_b32 s1, s1, 0xffff
	s_mov_b32 s3, 0x20000
	s_movk_i32 s2, 0x4000
	v_lshl_or_b32 v21, v19, 8, v2
	s_movk_i32 s13, 0x80
	buffer_load_dwordx4 v[6:9], v20, s[0:3], 0 offen
	buffer_load_dwordx4 v[2:5], v20, s[0:3], s13 offen
	;; [unrolled: 1-line block ×4, first 2 shown]
	v_lshrrev_b32_e32 v20, 3, v18
	v_lshlrev_b32_e32 v21, 3, v35
	v_or_b32_e32 v20, v21, v20
	v_lshlrev_b32_e32 v20, 4, v20
	v_and_b32_e32 v21, 0x78, v21
	v_xor_b32_e32 v21, v20, v21
	v_lshlrev_b32_e32 v20, 7, v19
.LBB636_17:
	s_lshl_b64 s[0:1], s[24:25], 8
	s_add_u32 s4, s4, s0
	s_movk_i32 s0, 0x1000
	v_and_or_b32 v19, v20, s0, v21
	s_waitcnt vmcnt(1)
	ds_write_b64 v21, v[6:7] offset:16384
	v_xor_b32_e32 v6, 8, v21
	ds_write_b64 v6, v[8:9] offset:16384
	s_waitcnt vmcnt(0)
	ds_write_b64 v21, v[2:3] offset:24576
	ds_write_b64 v6, v[4:5] offset:24576
	;; [unrolled: 1-line block ×3, first 2 shown]
	v_xor_b32_e32 v2, 8, v19
	ds_write_b64 v2, v[16:17] offset:16384
	ds_write_b64 v19, v[10:11] offset:24576
	;; [unrolled: 1-line block ×3, first 2 shown]
	v_or_b32_e32 v2, v1, v43
	s_addc_u32 s5, s5, s1
	s_add_i32 s0, s12, -1
	v_lshlrev_b32_e32 v2, 3, v2
	v_lshrrev_b32_e32 v4, 5, v40
	s_movk_i32 s12, 0xf8
	v_and_or_b32 v4, v2, s12, v4
	v_lshlrev_b32_e32 v3, 11, v41
	v_lshlrev_b32_e32 v12, 4, v4
	v_and_b32_e32 v13, 0x78, v2
	v_and_b32_e32 v14, 0x1000, v3
	v_lshlrev_b32_e32 v3, 2, v0
	v_xor_b32_e32 v2, v12, v13
	v_lshrrev_b32_e32 v4, 1, v40
	v_and_b32_e32 v3, 60, v3
	v_or_b32_e32 v2, v2, v14
	v_and_b32_e32 v15, 8, v4
	v_xor_b32_e32 v26, v2, v15
	v_lshl_or_b32 v2, v42, 6, v3
	v_lshlrev_b32_e32 v19, 1, v2
	v_or_b32_e32 v2, 32, v12
	v_xor_b32_e32 v2, v2, v13
	s_waitcnt lgkmcnt(0)
	s_barrier
	ds_read_b64 v[10:11], v26 offset:16384
	v_or_b32_e32 v2, v2, v14
	v_xor_b32_e32 v27, v2, v15
	v_or_b32_e32 v2, 64, v12
	v_xor_b32_e32 v2, v2, v13
	v_or_b32_e32 v2, v2, v14
	v_or_b32_e32 v12, 0x60, v12
	v_xor_b32_e32 v28, v2, v15
	ds_read2st64_b64 v[2:5], v19 offset0:72 offset1:73
	ds_read2st64_b64 v[6:9], v19 offset0:74 offset1:75
	v_xor_b32_e32 v16, v12, v13
	ds_read_b64 v[12:13], v27 offset:16384
	s_add_i32 s1, s42, s33
	s_waitcnt lgkmcnt(2)
	v_mfma_f32_16x16x16_bf16 a[0:3], v[10:11], v[2:3], 0
	s_add_i32 s35, s1, s46
	s_add_i32 s1, s44, s43
	;; [unrolled: 1-line block ×3, first 2 shown]
	s_ashr_i32 s1, s0, 31
	s_mul_i32 s2, s0, s29
	s_mul_hi_u32 s3, s0, s28
	s_add_i32 s2, s3, s2
	s_mul_i32 s1, s1, s28
	v_or_b32_e32 v14, v16, v14
	s_add_i32 s1, s2, s1
	s_lshl_b64 s[2:3], s[34:35], 2
	v_xor_b32_e32 v37, v14, v15
	ds_read_b64 v[14:15], v28 offset:16384
	ds_read_b64 v[16:17], v37 offset:16384
	s_waitcnt lgkmcnt(2)
	v_mfma_f32_16x16x16_bf16 a[0:3], v[12:13], v[4:5], a[0:3]
	s_add_u32 s10, s10, s2
	s_addc_u32 s11, s11, s3
	s_lshl_b64 s[2:3], s[30:31], 2
	s_mul_i32 s0, s0, s28
	s_add_u32 s10, s10, s2
	s_addc_u32 s11, s11, s3
	s_lshl_b64 s[0:1], s[0:1], 2
	s_waitcnt lgkmcnt(1)
	v_mfma_f32_16x16x16_bf16 a[0:3], v[14:15], v[6:7], a[0:3]
	s_add_u32 s0, s10, s0
	s_addc_u32 s1, s11, s1
	s_load_dword s12, s[0:1], 0x0
	s_waitcnt lgkmcnt(0)
	v_mfma_f32_16x16x16_bf16 a[0:3], v[16:17], v[8:9], a[0:3]
	s_and_b64 vcc, exec, s[22:23]
	s_cbranch_vccz .LBB636_28
; %bb.18:
	v_lshlrev_b32_e32 v20, 1, v35
	s_and_b64 vcc, exec, s[6:7]
	s_cbranch_vccz .LBB636_44
; %bb.19:
	v_cmp_gt_i32_e32 vcc, s27, v20
	v_mov_b32_e32 v6, 0
	v_mov_b32_e32 v2, 0
	;; [unrolled: 1-line block ×5, first 2 shown]
	s_and_saveexec_b64 s[0:1], vcc
	s_cbranch_execz .LBB636_21
; %bb.20:
	v_mad_i64_i32 v[2:3], s[2:3], s15, v20, 0
	v_lshl_add_u64 v[2:3], v[2:3], 1, s[4:5]
	v_lshlrev_b32_e32 v4, 1, v18
	v_mov_b32_e32 v5, 0
	v_lshl_add_u64 v[2:3], v[2:3], 0, v[4:5]
	global_load_dwordx4 v[2:5], v[2:3], off
.LBB636_21:
	s_or_b64 exec, exec, s[0:1]
	v_or_b32_e32 v21, 1, v20
	v_cmp_gt_i32_e64 s[0:1], s27, v21
	v_mov_b32_e32 v7, 0
	v_mov_b32_e32 v8, 0
	;; [unrolled: 1-line block ×3, first 2 shown]
	s_and_saveexec_b64 s[2:3], s[0:1]
	s_cbranch_execz .LBB636_23
; %bb.22:
	v_mad_i64_i32 v[6:7], s[16:17], s15, v21, 0
	v_lshl_add_u64 v[6:7], v[6:7], 1, s[4:5]
	v_lshlrev_b32_e32 v8, 1, v18
	v_mov_b32_e32 v9, 0
	v_lshl_add_u64 v[6:7], v[6:7], 0, v[8:9]
	global_load_dwordx4 v[6:9], v[6:7], off
.LBB636_23:
	s_or_b64 exec, exec, s[2:3]
	v_mov_b32_e32 v17, 0
	v_mov_b32_e32 v10, 0
	;; [unrolled: 1-line block ×5, first 2 shown]
	s_and_saveexec_b64 s[2:3], vcc
	s_cbranch_execz .LBB636_25
; %bb.24:
	v_mad_i64_i32 v[10:11], s[16:17], s15, v20, 0
	v_lshl_add_u64 v[10:11], v[10:11], 1, s[4:5]
	v_lshlrev_b32_e32 v12, 1, v18
	v_mov_b32_e32 v13, 0
	v_lshl_add_u64 v[10:11], v[10:11], 0, v[12:13]
	global_load_dwordx4 v[10:13], v[10:11], off offset:128
.LBB636_25:
	s_or_b64 exec, exec, s[2:3]
	v_mov_b32_e32 v16, 0
	v_mov_b32_e32 v15, 0
	;; [unrolled: 1-line block ×3, first 2 shown]
	s_and_saveexec_b64 s[2:3], s[0:1]
	s_cbranch_execz .LBB636_27
; %bb.26:
	v_mad_i64_i32 v[14:15], s[0:1], s15, v21, 0
	v_lshl_add_u64 v[14:15], v[14:15], 1, s[4:5]
	v_lshlrev_b32_e32 v16, 1, v18
	v_mov_b32_e32 v17, 0
	v_lshl_add_u64 v[14:15], v[14:15], 0, v[16:17]
	global_load_dwordx4 v[14:17], v[14:15], off offset:128
.LBB636_27:
	s_or_b64 exec, exec, s[2:3]
	s_branch .LBB636_46
.LBB636_28:
                                        ; implicit-def: $vgpr5
                                        ; implicit-def: $vgpr9
                                        ; implicit-def: $vgpr13
                                        ; implicit-def: $vgpr17
	v_lshrrev_b32_e32 v38, 2, v40
	s_branch .LBB636_47
.LBB636_29:
                                        ; implicit-def: $vgpr4
                                        ; implicit-def: $vgpr5
                                        ; implicit-def: $sgpr22
	v_lshl_or_b32 v2, v56, 9, v2
.LBB636_30:
	v_or_b32_e32 v4, 0x100, v2
	s_movk_i32 s22, 0x4000
	v_mov_b32_e32 v5, v2
.LBB636_31:
	s_mul_hi_u32 s20, s14, s12
	s_mul_i32 s21, s52, s12
	s_add_i32 s20, s20, s21
	s_mul_i32 s21, s14, s12
	s_mul_i32 s23, s21, s3
	s_mul_hi_u32 s24, s21, s49
	s_add_i32 s23, s24, s23
	s_mul_i32 s20, s20, s49
	s_add_i32 s23, s23, s20
	s_mul_i32 s21, s21, s49
	s_ashr_i32 s57, s53, 31
	s_add_u32 s20, s21, s53
	s_addc_u32 s21, s23, s57
	s_lshl_b64 s[20:21], s[20:21], 8
	s_add_u32 s20, s4, s20
	s_addc_u32 s21, s5, s21
	s_and_b32 s21, s21, 0xffff
	s_mov_b32 s23, 0x20000
	s_movk_i32 s58, 0x80
	buffer_load_dwordx4 v[6:9], v5, s[20:23], 0 offen
	buffer_load_dwordx4 v[10:13], v5, s[20:23], s58 offen
	;; [unrolled: 1-line block ×4, first 2 shown]
	v_and_b32_e32 v4, 6, v0
	v_lshlrev_b32_e32 v22, 2, v43
	v_lshlrev_b32_e32 v23, 3, v43
	v_xor_b32_e32 v25, v56, v4
	v_and_b32_e32 v5, 1, v0
	s_mul_i32 s3, s3, s12
	s_mul_hi_u32 s20, s49, s12
	v_lshl_or_b32 v23, v46, 5, v23
	v_xor_b32_e32 v26, v46, v22
	v_lshlrev_b32_e32 v25, 2, v25
	v_or_b32_e32 v62, 0x9000, v23
	v_or_b32_e32 v63, 0x9800, v23
	v_lshlrev_b32_e32 v23, 1, v26
	v_xor_b32_e32 v26, 0x440, v25
	v_cmp_eq_u32_e32 vcc, 0, v5
	s_add_i32 s63, s20, s3
	s_add_i32 s3, s42, s33
	v_cndmask_b32_e32 v5, v26, v25, vcc
	s_add_i32 s20, s44, s43
	s_add_i32 s35, s3, s46
	s_mov_b32 s60, 0x1000504
	v_lshlrev_b32_e32 v24, 8, v43
	s_mov_b32 s22, 0x8000
	v_xor_b32_e32 v22, v47, v22
	v_lshl_or_b32 v4, v4, 10, v5
	s_add_i32 s31, s20, s45
	s_lshl_b64 s[20:21], s[34:35], 2
	s_mov_b32 s61, 0x3020706
	v_lshlrev_b32_e32 v22, 1, v22
	v_or3_b32 v64, v23, v24, s22
	v_xor_b32_e32 v5, 8, v4
	v_xor_b32_e32 v23, 24, v4
	;; [unrolled: 1-line block ×4, first 2 shown]
	s_add_u32 s3, s10, s20
	v_or3_b32 v65, v22, v24, s22
	v_xor_b32_e32 v22, 16, v4
	v_xor_b32_e32 v24, 32, v4
	;; [unrolled: 1-line block ×3, first 2 shown]
	v_add_u32_e32 v5, 0x80, v5
	v_add_u32_e32 v23, 0x80, v23
	;; [unrolled: 1-line block ×4, first 2 shown]
	s_addc_u32 s24, s11, s21
	s_lshl_b64 s[20:21], s[30:31], 2
	s_add_u32 s38, s3, s20
	s_movk_i32 s3, 0xf8
	s_addc_u32 s39, s24, s21
	v_ashrrev_i32_e32 v35, 31, v34
	s_lshl_b32 s26, s15, 7
	s_mov_b32 s59, 0
	s_mul_i32 s62, s49, s12
	v_mov_b32_e32 v79, 0x3fb8aa3b
	s_mov_b32 s35, 0
	s_waitcnt vmcnt(1)
	v_perm_b32 v28, v6, v14, s60
	s_waitcnt vmcnt(0)
	v_perm_b32 v29, v10, v18, s60
	v_perm_b32 v6, v6, v14, s61
	;; [unrolled: 1-line block ×15, first 2 shown]
	ds_write2st64_b32 v4, v28, v29 offset1:32
	ds_write2st64_b32 v5, v6, v10 offset1:32
	ds_write2st64_b32 v22, v14, v18 offset0:1 offset1:33
	ds_write2st64_b32 v23, v7, v11 offset0:1 offset1:33
	;; [unrolled: 1-line block ×6, first 2 shown]
	v_or_b32_e32 v4, v1, v43
	v_lshlrev_b32_e32 v4, 3, v4
	v_lshrrev_b32_e32 v6, 5, v40
	v_and_or_b32 v6, v4, s3, v6
	v_lshlrev_b32_e32 v6, 4, v6
	v_lshlrev_b32_e32 v10, 11, v41
	v_and_b32_e32 v4, 0x78, v4
	v_or_b32_e32 v9, 32, v6
	v_and_b32_e32 v5, 0x1000, v10
	v_xor_b32_e32 v7, v6, v4
	v_lshrrev_b32_e32 v11, 1, v0
	v_xor_b32_e32 v9, v9, v4
	v_or_b32_e32 v7, v7, v5
	v_and_b32_e32 v8, 8, v11
	v_or_b32_e32 v9, v9, v5
	v_xor_b32_e32 v66, v7, v8
	v_and_b32_e32 v7, 0x78, v44
	v_xor_b32_e32 v68, v9, v8
	v_or_b32_e32 v9, 64, v6
	v_or_b32_e32 v6, 0x60, v6
	v_lshl_or_b32 v7, v42, 7, v7
	v_xor_b32_e32 v9, v9, v4
	v_xor_b32_e32 v4, v6, v4
	v_or_b32_e32 v67, 0x9000, v7
	v_or_b32_e32 v9, v9, v5
	;; [unrolled: 1-line block ×4, first 2 shown]
	v_lshrrev_b32_e32 v6, 4, v0
	v_lshlrev_b32_e32 v7, 1, v43
	v_xor_b32_e32 v69, v9, v8
	v_xor_b32_e32 v70, v4, v8
	s_ashr_i32 s3, s2, 31
	v_or_b32_e32 v8, 1, v7
	v_xor_b32_e32 v7, v6, v7
	s_lshl_b64 s[20:21], s[2:3], 8
	v_xor_b32_e32 v8, v8, v6
	v_lshlrev_b32_e32 v7, 3, v7
	v_lshlrev_b32_e32 v6, 8, v6
	v_lshl_add_u64 v[4:5], v[34:35], 1, s[8:9]
	s_add_u32 s20, s18, s20
	v_or3_b32 v35, v7, v6, s22
	v_lshlrev_b32_e32 v7, 3, v8
	s_addc_u32 s21, s19, s21
	v_or3_b32 v72, v7, v6, s22
	v_mov_b32_e32 v7, 0
	v_lshl_add_u64 v[8:9], s[20:21], 0, v[6:7]
	v_lshlrev_b32_e32 v6, 4, v43
	s_movk_i32 s3, 0xff
	v_lshlrev_b32_e32 v15, 3, v41
	v_and_b32_e32 v11, 24, v11
	v_lshl_add_u64 v[36:37], v[8:9], 0, v[6:7]
	v_and_b32_e32 v8, 8, v0
	v_cmp_lt_u32_e32 vcc, s3, v0
	v_xor_b32_e32 v16, v15, v11
	v_or_b32_e32 v17, 0x440, v16
	v_cndmask_b32_e64 v14, 0, 1, vcc
	v_cmp_eq_u32_e32 vcc, 0, v8
	v_and_b32_e32 v6, 7, v0
	v_lshlrev_b32_e32 v9, 3, v6
	v_cndmask_b32_e32 v8, v17, v16, vcc
	v_lshlrev_b32_e32 v6, 7, v6
	v_or_b32_e32 v8, v8, v10
	v_xad_u32 v73, v8, v9, v6
	v_or_b32_e32 v8, 32, v11
	v_xor_b32_e32 v8, v15, v8
	v_or_b32_e32 v16, 0x440, v8
	v_cndmask_b32_e32 v8, v16, v8, vcc
	v_or_b32_e32 v8, v8, v10
	v_xad_u32 v74, v8, v9, v6
	v_or_b32_e32 v8, 64, v11
	v_xor_b32_e32 v8, v15, v8
	v_xor_b32_e32 v16, 0x440, v8
	v_cndmask_b32_e32 v8, v16, v8, vcc
	v_or_b32_e32 v8, v8, v10
	v_xad_u32 v75, v8, v9, v6
	v_or_b32_e32 v8, 0x60, v11
	v_xor_b32_e32 v8, v15, v8
	v_xor_b32_e32 v11, 0x440, v8
	v_cndmask_b32_e32 v8, v11, v8, vcc
	v_or_b32_e32 v8, v8, v10
	v_lshlrev_b32_e32 v12, 1, v3
	v_add_lshl_u32 v3, v3, s15, 1
	v_or_b32_e32 v13, 0x100, v2
	v_lshlrev_b32_e32 v14, 13, v14
	v_xad_u32 v76, v8, v9, v6
	v_lshlrev_b32_e32 v6, 8, v46
	v_cndmask_b32_e64 v77, v12, v2, s[0:1]
	v_cndmask_b32_e64 v78, v3, v13, s[0:1]
	v_lshl_add_u64 v[38:39], v[4:5], 0, v[6:7]
	s_mov_b32 s3, 0x7060302
	s_movk_i32 s22, 0x4000
	v_add_u32_e32 v80, v14, v73
	v_add_u32_e32 v81, v14, v74
	v_add_u32_e32 v82, v14, v75
	v_add_u32_e32 v83, v14, v76
	s_waitcnt lgkmcnt(0)
	s_barrier
.LBB636_32:                             ; =>This Inner Loop Header: Depth=1
	s_add_i32 s31, s35, 1
	s_cmp_lt_i32 s31, s50
	s_mov_b64 s[24:25], 0
	s_cselect_b64 s[40:41], -1, 0
	s_cmp_ge_i32 s31, s50
	s_mov_b64 s[20:21], 0
	s_cbranch_scc1 .LBB636_34
; %bb.33:                               ;   in Loop: Header=BB636_32 Depth=1
	s_add_i32 s0, s59, 64
	s_add_u32 s0, s16, s0
	s_addc_u32 s1, s17, 0
	s_lshl_b64 s[0:1], s[0:1], 8
	s_add_u32 s20, s6, s0
	s_addc_u32 s21, s7, s1
.LBB636_34:                             ;   in Loop: Header=BB636_32 Depth=1
	v_cndmask_b32_e64 v2, 0, 1, s[40:41]
	v_cmp_ne_u32_e64 s[0:1], 1, v2
	s_andn2_b64 vcc, exec, s[40:41]
	s_cbranch_vccnz .LBB636_36
; %bb.35:                               ;   in Loop: Header=BB636_32 Depth=1
	s_add_i32 s24, s59, 64
	s_add_u32 s24, s62, s24
	s_addc_u32 s25, s63, 0
	s_mul_i32 s27, s24, s52
	s_mul_hi_u32 s40, s24, s56
	s_add_i32 s27, s40, s27
	s_mul_i32 s25, s25, s56
	s_add_i32 s27, s27, s25
	s_mul_i32 s24, s24, s56
	s_add_u32 s24, s24, s53
	s_addc_u32 s25, s27, s57
	s_lshl_b64 s[24:25], s[24:25], 8
	s_add_u32 s24, s4, s24
	s_addc_u32 s25, s5, s25
.LBB636_36:                             ;   in Loop: Header=BB636_32 Depth=1
	v_perm_b32 v3, v54, v52, s3
	v_perm_b32 v2, v48, v50, s3
	v_perm_b32 v5, v55, v53, s3
	v_perm_b32 v4, v49, v51, s3
	ds_write_b64 v62, v[2:3]
	ds_write_b64 v63, v[4:5]
	;; [unrolled: 1-line block ×4, first 2 shown]
	s_waitcnt lgkmcnt(0)
	s_barrier
	ds_read_b64 v[10:11], v66 offset:16384
	ds_read_b64 v[12:13], v68 offset:16384
	ds_read2st64_b64 v[2:5], v67 offset1:1
	ds_read2st64_b64 v[6:9], v67 offset0:2 offset1:3
	ds_read_b64 v[14:15], v69 offset:16384
	s_waitcnt lgkmcnt(2)
	v_mfma_f32_16x16x16_bf16 a[0:3], v[10:11], v[2:3], 0
	ds_read_b64 v[2:3], v70 offset:16384
	s_add_i32 s27, s59, 63
	s_mul_i32 s40, s27, s29
	v_mfma_f32_16x16x16_bf16 a[0:3], v[12:13], v[4:5], a[0:3]
	s_mul_hi_u32 s41, s27, s28
	s_add_i32 s41, s41, s40
	s_mul_i32 s40, s27, s28
	s_waitcnt lgkmcnt(1)
	v_mfma_f32_16x16x16_bf16 a[0:3], v[14:15], v[6:7], a[0:3]
	s_lshl_b64 s[40:41], s[40:41], 2
	s_add_u32 s40, s38, s40
	s_addc_u32 s41, s39, s41
	s_waitcnt lgkmcnt(0)
	v_mfma_f32_16x16x16_bf16 a[0:3], v[2:3], v[8:9], a[0:3]
	s_and_b64 vcc, exec, s[0:1]
	v_mov_b32_e32 v86, 0
	v_mov_b32_e32 v85, 0
	;; [unrolled: 1-line block ×19, first 2 shown]
	s_cbranch_vccnz .LBB636_38
; %bb.37:                               ;   in Loop: Header=BB636_32 Depth=1
	s_and_b32 s21, s21, 0xffff
	buffer_load_dwordx4 v[14:17], v58, s[20:23], 0 offen
	buffer_load_dwordx4 v[10:13], v58, s[20:23], s58 offen
	;; [unrolled: 1-line block ×4, first 2 shown]
	v_mov_b32_e32 v85, v60
	v_mov_b32_e32 v84, v61
.LBB636_38:                             ;   in Loop: Header=BB636_32 Depth=1
	s_waitcnt vmcnt(3)
	v_add_u32_e32 v24, s59, v46
	s_waitcnt vmcnt(1)
	v_ashrrev_i32_e32 v18, 31, v24
	v_mul_lo_u32 v20, v18, s28
	v_mul_lo_u32 v21, v24, s29
	v_mad_u64_u32 v[18:19], s[20:21], v24, s28, 0
	v_add3_u32 v19, v19, v21, v20
	v_add_u32_e32 v20, 1, v24
	v_ashrrev_i32_e32 v21, 31, v20
	v_mul_lo_u32 v22, v21, s28
	v_mul_lo_u32 v23, v20, s29
	v_mad_u64_u32 v[20:21], s[20:21], v20, s28, 0
	v_add3_u32 v21, v21, v23, v22
	v_add_u32_e32 v22, 2, v24
	v_ashrrev_i32_e32 v23, 31, v22
	v_mul_lo_u32 v25, v23, s28
	v_mul_lo_u32 v26, v22, s29
	v_mad_u64_u32 v[22:23], s[20:21], v22, s28, 0
	v_add_u32_e32 v24, 3, v24
	v_add3_u32 v23, v23, v26, v25
	v_ashrrev_i32_e32 v25, 31, v24
	v_mul_lo_u32 v28, v25, s28
	v_mul_lo_u32 v29, v24, s29
	v_mad_u64_u32 v[24:25], s[20:21], v24, s28, 0
	s_add_u32 s20, s16, s59
	s_addc_u32 s21, s17, 0
	s_lshl_b64 s[20:21], s[20:21], 8
	v_lshl_add_u64 v[18:19], v[18:19], 2, s[38:39]
	v_lshl_add_u64 v[20:21], v[20:21], 2, s[38:39]
	;; [unrolled: 1-line block ×3, first 2 shown]
	v_add3_u32 v25, v25, v29, v28
	v_lshl_add_u64 v[22:23], v[22:23], 2, s[38:39]
	global_load_ushort v92, v[26:27], off
	global_load_ushort v93, v[26:27], off offset:256
	global_load_ushort v94, v[26:27], off offset:512
	;; [unrolled: 1-line block ×3, first 2 shown]
	global_load_dword v96, v[18:19], off
	v_lshl_add_u64 v[18:19], v[24:25], 2, s[38:39]
	global_load_dword v97, v[20:21], off
	global_load_dword v98, v[22:23], off
	global_load_dword v99, v[18:19], off
	s_load_dword s20, s[40:41], 0x0
	ds_read2st64_b64 v[24:27], v71 offset1:1
	ds_read2st64_b64 v[28:31], v71 offset0:2 offset1:3
	ds_read_b64 v[22:23], v66 offset:24576
	ds_read_b64 v[32:33], v68 offset:24576
	;; [unrolled: 1-line block ×4, first 2 shown]
	s_waitcnt lgkmcnt(0)
	v_mfma_f32_16x16x16_bf16 a[0:3], v[22:23], v[24:25], a[0:3]
	v_mov_b32_e32 v87, 0
	v_mov_b32_e32 v18, 0
	v_mov_b32_e32 v19, 0
	v_mfma_f32_16x16x16_bf16 a[0:3], v[32:33], v[26:27], a[0:3]
	v_mov_b32_e32 v20, 0
	v_mov_b32_e32 v21, 0
	v_mov_b32_e32 v22, 0
	;; [unrolled: 4-line block ×4, first 2 shown]
	v_mov_b32_e32 v29, 0
	s_and_b64 vcc, exec, s[0:1]
	s_waitcnt vmcnt(7)
	v_lshlrev_b32_e32 v88, 16, v92
	s_waitcnt vmcnt(6)
	v_lshlrev_b32_e32 v89, 16, v93
	;; [unrolled: 2-line block ×4, first 2 shown]
	s_waitcnt vmcnt(3)
	v_sub_f32_e32 v92, s20, v96
	s_waitcnt vmcnt(2)
	v_sub_f32_e32 v93, s20, v97
	s_waitcnt vmcnt(1)
	v_sub_f32_e32 v94, s20, v98
	s_waitcnt vmcnt(0)
	v_sub_f32_e32 v95, s20, v99
	v_mul_f32_e32 v92, 0x3fb8aa3b, v92
	v_mul_f32_e32 v93, 0x3fb8aa3b, v93
	;; [unrolled: 1-line block ×4, first 2 shown]
	v_exp_f32_e32 v92, v92
	v_exp_f32_e32 v93, v93
	;; [unrolled: 1-line block ×4, first 2 shown]
	v_accvgpr_read_b32 v33, a1
	v_accvgpr_read_b32 v31, a3
	;; [unrolled: 1-line block ×4, first 2 shown]
	v_pk_add_f32 v[32:33], v[88:89], v[32:33] neg_lo:[0,1] neg_hi:[0,1]
	v_pk_add_f32 v[30:31], v[90:91], v[30:31] neg_lo:[0,1] neg_hi:[0,1]
	v_pk_mul_f32 v[32:33], v[92:93], v[32:33]
	v_pk_mul_f32 v[30:31], v[94:95], v[30:31]
	s_nop 0
	v_perm_b32 v31, v31, v30, s3
	v_perm_b32 v30, v33, v32, s3
	ds_write_b64 v63, v[30:31]
	v_mov_b32_e32 v30, 0
	v_mov_b32_e32 v31, 0
	;; [unrolled: 1-line block ×4, first 2 shown]
	s_cbranch_vccnz .LBB636_40
; %bb.39:                               ;   in Loop: Header=BB636_32 Depth=1
	s_and_b32 s25, s25, 0xffff
	s_mov_b32 s27, s23
	buffer_load_dwordx4 v[30:33], v77, s[24:27], 0 offen
	buffer_load_dwordx4 v[22:25], v77, s[24:27], s58 offen
	;; [unrolled: 1-line block ×4, first 2 shown]
	v_mov_b32_e32 v86, v57
	v_mov_b32_e32 v87, v56
.LBB636_40:                             ;   in Loop: Header=BB636_32 Depth=1
	s_waitcnt lgkmcnt(0)
	s_barrier
	ds_read_b64 v[96:97], v80
	ds_read2st64_b64 v[88:91], v71 offset1:1
	ds_read2st64_b64 v[92:95], v71 offset0:2 offset1:3
	ds_read_b64 v[98:99], v81
	ds_read_b64 v[100:101], v82
	;; [unrolled: 1-line block ×3, first 2 shown]
	s_waitcnt lgkmcnt(4)
	v_mfma_f32_16x16x16_bf16 a[0:3], v[96:97], v[88:89], 0
	ds_read_b64 v[96:97], v73 offset:8192
	ds_read_b64 v[104:105], v74 offset:8192
	s_add_i32 s21, s54, s35
	s_mul_hi_i32 s25, s21, s13
	s_waitcnt lgkmcnt(1)
	v_mfma_f32_16x16x16_bf16 a[4:7], v[96:97], v[88:89], 0
	s_mul_i32 s21, s21, s13
	s_add_u32 s24, s21, s47
	s_addc_u32 s25, s25, s51
	v_mfma_f32_16x16x16_bf16 a[0:3], v[98:99], v[90:91], a[0:3]
	ds_read_b64 v[96:97], v35
	ds_read_b64 v[98:99], v72
	ds_read_b64 v[88:89], v75 offset:8192
	s_lshl_b64 s[24:25], s[24:25], 15
	v_mfma_f32_16x16x16_bf16 a[0:3], v[100:101], v[92:93], a[0:3]
	ds_read_b64 v[100:101], v76 offset:8192
	s_and_b64 vcc, exec, s[0:1]
	s_waitcnt lgkmcnt(4)
	v_mfma_f32_16x16x16_bf16 a[4:7], v[104:105], v[90:91], a[4:7]
	s_waitcnt lgkmcnt(1)
	v_mfma_f32_16x16x16_bf16 a[4:7], v[88:89], v[92:93], a[4:7]
	v_lshl_add_u64 v[88:89], v[36:37], 0, s[24:25]
	global_store_dwordx4 v[88:89], v[96:99], off
	v_mfma_f32_16x16x16_bf16 a[0:3], v[102:103], v[94:95], a[0:3]
	s_waitcnt lgkmcnt(0)
	v_mfma_f32_16x16x16_bf16 a[4:7], v[100:101], v[94:95], a[4:7]
	s_cbranch_vccnz .LBB636_42
; %bb.41:                               ;   in Loop: Header=BB636_32 Depth=1
	v_lshrrev_b32_e32 v88, 3, v86
	v_and_b32_e32 v88, 6, v88
	v_xor_b32_e32 v87, v88, v87
	v_lshlrev_b32_e32 v87, 2, v87
	v_and_b32_e32 v86, 8, v86
	v_xor_b32_e32 v89, 0x440, v87
	v_cmp_eq_u32_e32 vcc, 0, v86
	s_barrier
	s_nop 0
	v_cndmask_b32_e32 v86, v89, v87, vcc
	v_lshl_or_b32 v86, v88, 10, v86
	s_waitcnt vmcnt(2)
	v_perm_b32 v87, v30, v26, s60
	s_waitcnt vmcnt(1)
	v_perm_b32 v88, v22, v18, s60
	ds_write2st64_b32 v86, v87, v88 offset1:32
	v_xor_b32_e32 v87, 8, v86
	v_perm_b32 v26, v30, v26, s61
	v_perm_b32 v18, v22, v18, s61
	v_add_u32_e32 v22, 0x80, v87
	ds_write2st64_b32 v22, v26, v18 offset1:32
	v_xor_b32_e32 v18, 16, v86
	v_perm_b32 v22, v31, v27, s60
	v_perm_b32 v26, v23, v19, s60
	ds_write2st64_b32 v18, v22, v26 offset0:1 offset1:33
	v_xor_b32_e32 v18, 24, v86
	v_perm_b32 v22, v31, v27, s61
	v_perm_b32 v19, v23, v19, s61
	v_add_u32_e32 v18, 0x80, v18
	ds_write2st64_b32 v18, v22, v19 offset0:1 offset1:33
	v_xor_b32_e32 v18, 32, v86
	v_perm_b32 v19, v32, v28, s60
	v_perm_b32 v22, v24, v20, s60
	ds_write2st64_b32 v18, v19, v22 offset0:2 offset1:34
	v_xor_b32_e32 v18, 40, v86
	v_perm_b32 v19, v32, v28, s61
	v_perm_b32 v20, v24, v20, s61
	v_add_u32_e32 v18, 0x80, v18
	ds_write2st64_b32 v18, v19, v20 offset0:2 offset1:34
	;; [unrolled: 9-line block ×3, first 2 shown]
	ds_write_b64 v85, v[14:15] offset:16384
	v_xor_b32_e32 v14, 8, v85
	ds_write_b64 v14, v[16:17] offset:16384
	ds_write_b64 v85, v[10:11] offset:24576
	;; [unrolled: 1-line block ×4, first 2 shown]
	v_xor_b32_e32 v6, 8, v84
	ds_write_b64 v6, v[8:9] offset:16384
	ds_write_b64 v84, v[2:3] offset:24576
	;; [unrolled: 1-line block ×3, first 2 shown]
.LBB636_42:                             ;   in Loop: Header=BB636_32 Depth=1
	v_mul_f32_e32 v2, s20, v79
	v_exp_f32_e32 v4, v2
	s_nop 1
	v_accvgpr_read_b32 v2, a0
	v_accvgpr_read_b32 v3, a1
	s_add_i32 s59, s59, 64
	v_fma_f32 v50, v50, v4, v2
	v_accvgpr_read_b32 v2, a2
	v_fma_f32 v52, v52, v4, v2
	v_accvgpr_read_b32 v2, a4
	;; [unrolled: 2-line block ×6, first 2 shown]
	v_fmac_f32_e32 v3, v54, v4
	s_cmp_eq_u32 s50, s31
	v_fmac_f32_e32 v2, v55, v4
	s_cbranch_scc1 .LBB636_4
; %bb.43:                               ;   in Loop: Header=BB636_32 Depth=1
	s_mov_b32 s35, s31
	v_mov_b32_e32 v54, v3
	v_mov_b32_e32 v55, v2
	s_branch .LBB636_32
.LBB636_44:
                                        ; implicit-def: $vgpr5
                                        ; implicit-def: $vgpr9
                                        ; implicit-def: $vgpr13
                                        ; implicit-def: $vgpr17
	s_cbranch_execz .LBB636_46
; %bb.45:
	s_waitcnt vmcnt(0)
	v_mad_u64_u32 v[2:3], s[0:1], v20, s15, v[18:19]
	v_lshlrev_b32_e32 v20, 1, v2
	s_lshl_b32 s2, s15, 7
	s_and_b32 s1, s5, 0xffff
	s_mov_b32 s3, 0x20000
	s_mov_b32 s0, s4
	v_add_lshl_u32 v21, v2, s15, 1
	s_movk_i32 s13, 0x80
	buffer_load_dwordx4 v[2:5], v20, s[0:3], 0 offen
	buffer_load_dwordx4 v[10:13], v20, s[0:3], s13 offen
	;; [unrolled: 1-line block ×4, first 2 shown]
.LBB636_46:
	v_lshrrev_b32_e32 v38, 2, v40
	s_cbranch_execnz .LBB636_59
.LBB636_47:
	s_and_b64 vcc, exec, s[6:7]
	s_cbranch_vccz .LBB636_57
; %bb.48:
	s_waitcnt vmcnt(0)
	v_lshlrev_b32_e32 v7, 1, v35
	v_cmp_gt_i32_e32 vcc, s27, v7
	v_mov_b32_e32 v6, 0
	v_lshlrev_b32_e32 v14, 9, v35
	v_mov_b32_e32 v2, 0
	v_mov_b32_e32 v3, 0
	v_mov_b32_e32 v4, 0
	v_mov_b32_e32 v5, 0
	s_and_saveexec_b64 s[0:1], vcc
	s_cbranch_execz .LBB636_50
; %bb.49:
	v_mov_b32_e32 v15, 0
	v_lshl_add_u64 v[2:3], s[4:5], 0, v[14:15]
	v_lshlrev_b32_e32 v4, 1, v18
	v_mov_b32_e32 v5, v15
	v_lshl_add_u64 v[2:3], v[2:3], 0, v[4:5]
	global_load_dwordx4 v[2:5], v[2:3], off
.LBB636_50:
	s_or_b64 exec, exec, s[0:1]
	v_or_b32_e32 v7, 1, v7
	v_cmp_gt_i32_e64 s[0:1], s27, v7
	v_lshlrev_b32_e32 v20, 8, v7
	v_mov_b32_e32 v7, 0
	v_mov_b32_e32 v8, 0
	;; [unrolled: 1-line block ×3, first 2 shown]
	s_and_saveexec_b64 s[2:3], s[0:1]
	s_cbranch_execz .LBB636_52
; %bb.51:
	v_mov_b32_e32 v21, 0
	v_lshl_add_u64 v[6:7], s[4:5], 0, v[20:21]
	v_lshlrev_b32_e32 v8, 1, v18
	v_mov_b32_e32 v9, v21
	v_lshl_add_u64 v[6:7], v[6:7], 0, v[8:9]
	global_load_dwordx4 v[6:9], v[6:7], off
.LBB636_52:
	s_or_b64 exec, exec, s[2:3]
	v_mov_b32_e32 v17, 0
	v_mov_b32_e32 v10, 0
	;; [unrolled: 1-line block ×5, first 2 shown]
	s_and_saveexec_b64 s[2:3], vcc
	s_cbranch_execz .LBB636_54
; %bb.53:
	v_mov_b32_e32 v15, 0
	v_lshl_add_u64 v[10:11], s[4:5], 0, v[14:15]
	v_lshlrev_b32_e32 v14, 1, v18
	v_lshl_add_u64 v[10:11], v[10:11], 0, v[14:15]
	global_load_dwordx4 v[10:13], v[10:11], off offset:128
.LBB636_54:
	s_or_b64 exec, exec, s[2:3]
	v_mov_b32_e32 v16, 0
	v_mov_b32_e32 v15, 0
	;; [unrolled: 1-line block ×3, first 2 shown]
	s_and_saveexec_b64 s[2:3], s[0:1]
	s_cbranch_execz .LBB636_56
; %bb.55:
	v_mov_b32_e32 v21, 0
	v_lshl_add_u64 v[14:15], s[4:5], 0, v[20:21]
	v_lshlrev_b32_e32 v20, 1, v18
	v_lshl_add_u64 v[14:15], v[14:15], 0, v[20:21]
	global_load_dwordx4 v[14:17], v[14:15], off offset:128
.LBB636_56:
	s_or_b64 exec, exec, s[2:3]
	s_branch .LBB636_59
.LBB636_57:
                                        ; implicit-def: $vgpr5
                                        ; implicit-def: $vgpr9
                                        ; implicit-def: $vgpr13
                                        ; implicit-def: $vgpr17
	s_cbranch_execz .LBB636_59
; %bb.58:
	s_waitcnt vmcnt(0)
	v_lshlrev_b32_e32 v2, 1, v18
	v_lshl_or_b32 v18, v35, 9, v2
	s_and_b32 s5, s5, 0xffff
	s_mov_b32 s7, 0x20000
	s_movk_i32 s6, 0x4000
	s_movk_i32 s0, 0x80
	buffer_load_dwordx4 v[2:5], v18, s[4:7], 0 offen
	buffer_load_dwordx4 v[6:9], v18, s[4:7], 0 offen offset:256
	buffer_load_dwordx4 v[10:13], v18, s[4:7], s0 offen
	buffer_load_dwordx4 v[14:17], v18, s[4:7], s0 offen offset:256
.LBB636_59:
	ds_read2st64_b64 v[22:25], v19 offset0:76 offset1:77
	ds_read2st64_b64 v[18:21], v19 offset0:78 offset1:79
	ds_read_b64 v[30:31], v26 offset:24576
	ds_read_b64 v[32:33], v27 offset:24576
	ds_read_b64 v[28:29], v28 offset:24576
	ds_read_b64 v[26:27], v37 offset:24576
	v_and_b32_e32 v37, 6, v0
	v_xor_b32_e32 v35, v35, v37
	v_lshlrev_b32_e32 v35, 2, v35
	v_and_b32_e32 v0, 1, v0
	v_xor_b32_e32 v39, 0x440, v35
	v_cmp_eq_u32_e32 vcc, 0, v0
	s_mov_b32 s0, 0x1000504
	s_mov_b32 s1, 0x3020706
	v_cndmask_b32_e32 v0, v39, v35, vcc
	v_lshl_or_b32 v0, v37, 10, v0
	s_waitcnt vmcnt(0)
	v_perm_b32 v35, v2, v6, s0
	v_perm_b32 v37, v10, v14, s0
	ds_write2st64_b32 v0, v35, v37 offset1:32
	v_xor_b32_e32 v35, 8, v0
	v_perm_b32 v2, v2, v6, s1
	v_perm_b32 v6, v10, v14, s1
	v_add_u32_e32 v10, 0x80, v35
	ds_write2st64_b32 v10, v2, v6 offset1:32
	v_xor_b32_e32 v2, 16, v0
	v_perm_b32 v6, v3, v7, s0
	v_perm_b32 v10, v11, v15, s0
	ds_write2st64_b32 v2, v6, v10 offset0:1 offset1:33
	v_xor_b32_e32 v2, 24, v0
	v_perm_b32 v3, v3, v7, s1
	v_perm_b32 v6, v11, v15, s1
	v_add_u32_e32 v2, 0x80, v2
	ds_write2st64_b32 v2, v3, v6 offset0:1 offset1:33
	v_xor_b32_e32 v2, 32, v0
	v_perm_b32 v3, v4, v8, s0
	v_perm_b32 v6, v12, v16, s0
	ds_write2st64_b32 v2, v3, v6 offset0:2 offset1:34
	v_xor_b32_e32 v2, 40, v0
	v_perm_b32 v3, v4, v8, s1
	v_perm_b32 v4, v12, v16, s1
	v_add_u32_e32 v2, 0x80, v2
	ds_write2st64_b32 v2, v3, v4 offset0:2 offset1:34
	v_xor_b32_e32 v2, 48, v0
	v_perm_b32 v3, v5, v9, s0
	v_perm_b32 v4, v13, v17, s0
	v_xor_b32_e32 v0, 56, v0
	v_and_or_b32 v6, v38, 12, v1
	ds_write2st64_b32 v2, v3, v4 offset0:3 offset1:35
	v_perm_b32 v2, v5, v9, s1
	v_perm_b32 v3, v13, v17, s1
	v_add_u32_e32 v0, 0x80, v0
	v_cmp_gt_i32_e32 vcc, s27, v6
	v_mov_b32_e32 v7, 0
	v_mov_b32_e32 v11, 0
	ds_write2st64_b32 v0, v2, v3 offset0:3 offset1:35
	s_and_saveexec_b64 s[0:1], vcc
	s_cbranch_execz .LBB636_61
; %bb.60:
	v_add_u32_e32 v0, s26, v6
	v_ashrrev_i32_e32 v1, 31, v0
	v_mul_lo_u32 v2, v1, s28
	v_mul_lo_u32 v3, v0, s29
	v_mad_u64_u32 v[0:1], s[2:3], v0, s28, 0
	v_add3_u32 v1, v1, v3, v2
	v_lshl_add_u64 v[0:1], v[0:1], 2, s[10:11]
	global_load_dword v0, v[0:1], off
	s_waitcnt vmcnt(0)
	v_sub_f32_e32 v0, s12, v0
	v_mul_f32_e32 v0, 0x3fb8aa3b, v0
	v_exp_f32_e32 v11, v0
.LBB636_61:
	s_or_b64 exec, exec, s[0:1]
	v_or_b32_e32 v9, 1, v6
	v_cmp_gt_i32_e64 s[0:1], s27, v9
	s_and_saveexec_b64 s[2:3], s[0:1]
	s_cbranch_execz .LBB636_63
; %bb.62:
	v_add_u32_e32 v0, s26, v9
	v_ashrrev_i32_e32 v1, 31, v0
	v_mul_lo_u32 v2, v1, s28
	v_mul_lo_u32 v3, v0, s29
	v_mad_u64_u32 v[0:1], s[4:5], v0, s28, 0
	v_add3_u32 v1, v1, v3, v2
	v_lshl_add_u64 v[0:1], v[0:1], 2, s[10:11]
	global_load_dword v0, v[0:1], off
	s_waitcnt vmcnt(0)
	v_sub_f32_e32 v0, s12, v0
	v_mul_f32_e32 v0, 0x3fb8aa3b, v0
	v_exp_f32_e32 v7, v0
.LBB636_63:
	s_or_b64 exec, exec, s[2:3]
	v_or_b32_e32 v10, 2, v6
	v_cmp_gt_i32_e64 s[2:3], s27, v10
	v_mov_b32_e32 v8, 0
	v_mov_b32_e32 v13, 0
	s_and_saveexec_b64 s[4:5], s[2:3]
	s_cbranch_execz .LBB636_65
; %bb.64:
	v_add_u32_e32 v0, s26, v10
	v_ashrrev_i32_e32 v1, 31, v0
	v_mul_lo_u32 v2, v1, s28
	v_mul_lo_u32 v3, v0, s29
	v_mad_u64_u32 v[0:1], s[6:7], v0, s28, 0
	v_add3_u32 v1, v1, v3, v2
	v_lshl_add_u64 v[0:1], v[0:1], 2, s[10:11]
	global_load_dword v0, v[0:1], off
	s_waitcnt vmcnt(0)
	v_sub_f32_e32 v0, s12, v0
	v_mul_f32_e32 v0, 0x3fb8aa3b, v0
	v_exp_f32_e32 v13, v0
.LBB636_65:
	s_or_b64 exec, exec, s[4:5]
	v_or_b32_e32 v12, 3, v6
	v_cmp_gt_i32_e64 s[4:5], s27, v12
	s_and_saveexec_b64 s[6:7], s[4:5]
	s_cbranch_execz .LBB636_67
; %bb.66:
	v_add_u32_e32 v0, s26, v12
	v_ashrrev_i32_e32 v1, 31, v0
	v_mul_lo_u32 v2, v1, s28
	v_mul_lo_u32 v3, v0, s29
	v_mad_u64_u32 v[0:1], s[14:15], v0, s28, 0
	v_add3_u32 v1, v1, v3, v2
	v_lshl_add_u64 v[0:1], v[0:1], 2, s[10:11]
	global_load_dword v0, v[0:1], off
	s_waitcnt vmcnt(0)
	v_sub_f32_e32 v0, s12, v0
	v_mul_f32_e32 v0, 0x3fb8aa3b, v0
	v_exp_f32_e32 v8, v0
.LBB636_67:
	s_or_b64 exec, exec, s[6:7]
	s_waitcnt lgkmcnt(11)
	v_mfma_f32_16x16x16_bf16 a[0:3], v[30:31], v[22:23], a[0:3]
	s_add_u32 s6, s8, s20
	v_ashrrev_i32_e32 v35, 31, v34
	s_addc_u32 s7, s9, s21
	s_waitcnt lgkmcnt(10)
	v_mfma_f32_16x16x16_bf16 a[0:3], v[32:33], v[24:25], a[0:3]
	v_mov_b32_e32 v14, 0
	v_lshl_add_u64 v[4:5], v[34:35], 1, s[6:7]
	v_mov_b32_e32 v15, 0
	s_waitcnt lgkmcnt(9)
	v_mfma_f32_16x16x16_bf16 a[0:3], v[28:29], v[18:19], a[0:3]
	s_waitcnt lgkmcnt(8)
	v_mfma_f32_16x16x16_bf16 a[0:3], v[26:27], v[20:21], a[0:3]
	s_nop 6
	v_accvgpr_read_b32 v0, a0
	v_accvgpr_read_b32 v1, a1
	;; [unrolled: 1-line block ×4, first 2 shown]
	s_and_saveexec_b64 s[6:7], vcc
	s_cbranch_execz .LBB636_69
; %bb.68:
	v_lshlrev_b32_e32 v16, 8, v6
	v_mov_b32_e32 v17, 0
	v_lshl_add_u64 v[16:17], v[4:5], 0, v[16:17]
	global_load_ushort v15, v[16:17], off
	s_waitcnt vmcnt(0)
	v_lshlrev_b32_e32 v15, 16, v15
	v_sub_f32_e32 v0, v15, v0
	v_mul_f32_e32 v0, v11, v0
	v_lshrrev_b32_e32 v15, 16, v0
.LBB636_69:
	s_or_b64 exec, exec, s[6:7]
	s_and_saveexec_b64 s[6:7], s[0:1]
	s_cbranch_execz .LBB636_71
; %bb.70:
	v_lshlrev_b32_e32 v16, 8, v9
	v_mov_b32_e32 v17, 0
	v_lshl_add_u64 v[16:17], v[4:5], 0, v[16:17]
	global_load_ushort v0, v[16:17], off
	s_waitcnt vmcnt(0)
	v_lshlrev_b32_e32 v0, 16, v0
	v_sub_f32_e32 v0, v0, v1
	v_mul_f32_e32 v0, v7, v0
	v_lshrrev_b32_e32 v14, 16, v0
.LBB636_71:
	s_or_b64 exec, exec, s[6:7]
	v_mov_b32_e32 v0, 0
	v_mov_b32_e32 v1, 0
	s_and_saveexec_b64 s[0:1], s[2:3]
	s_cbranch_execz .LBB636_73
; %bb.72:
	v_lshlrev_b32_e32 v10, 8, v10
	v_mov_b32_e32 v11, 0
	v_lshl_add_u64 v[10:11], v[4:5], 0, v[10:11]
	global_load_ushort v1, v[10:11], off
	s_waitcnt vmcnt(0)
	v_lshlrev_b32_e32 v1, 16, v1
	v_sub_f32_e32 v1, v1, v2
	v_mul_f32_e32 v1, v13, v1
	v_lshrrev_b32_e32 v1, 16, v1
.LBB636_73:
	s_or_b64 exec, exec, s[0:1]
	s_and_saveexec_b64 s[0:1], s[4:5]
	s_cbranch_execz .LBB636_75
; %bb.74:
	v_lshlrev_b32_e32 v10, 8, v12
	v_mov_b32_e32 v11, 0
	v_lshl_add_u64 v[4:5], v[4:5], 0, v[10:11]
	global_load_ushort v0, v[4:5], off
	s_waitcnt vmcnt(0)
	v_lshlrev_b32_e32 v0, 16, v0
	v_sub_f32_e32 v0, v0, v3
	v_mul_f32_e32 v0, v8, v0
	v_lshrrev_b32_e32 v0, 16, v0
.LBB636_75:
	s_or_b64 exec, exec, s[0:1]
	s_mov_b32 s0, 0x5040100
	v_lshlrev_b32_e32 v2, 1, v36
	v_perm_b32 v1, v0, v1, s0
	v_perm_b32 v0, v14, v15, s0
	v_lshl_or_b32 v2, v6, 5, v2
	ds_write_b64 v2, v[0:1] offset:38912
	s_waitcnt lgkmcnt(0)
	s_barrier
.LBB636_76:
	s_endpgm
	.section	.rodata,"a",@progbits
	.p2align	6, 0x0
	.amdhsa_kernel _ZN12_GLOBAL__N_139chunk_gated_delta_rule_fwd_h_hip_kernelILi16ELb1ELb0ELb0ELb0ELb0ELb0ELb0ELb1EEEvPK12hip_bfloat16S3_S3_PKfS5_PKvPS1_S8_PvPKiSB_iiiiilll
		.amdhsa_group_segment_fixed_size 40960
		.amdhsa_private_segment_fixed_size 0
		.amdhsa_kernarg_size 136
		.amdhsa_user_sgpr_count 2
		.amdhsa_user_sgpr_dispatch_ptr 0
		.amdhsa_user_sgpr_queue_ptr 0
		.amdhsa_user_sgpr_kernarg_segment_ptr 1
		.amdhsa_user_sgpr_dispatch_id 0
		.amdhsa_user_sgpr_kernarg_preload_length 0
		.amdhsa_user_sgpr_kernarg_preload_offset 0
		.amdhsa_user_sgpr_private_segment_size 0
		.amdhsa_uses_dynamic_stack 0
		.amdhsa_enable_private_segment 0
		.amdhsa_system_sgpr_workgroup_id_x 1
		.amdhsa_system_sgpr_workgroup_id_y 1
		.amdhsa_system_sgpr_workgroup_id_z 0
		.amdhsa_system_sgpr_workgroup_info 0
		.amdhsa_system_vgpr_workitem_id 0
		.amdhsa_next_free_vgpr 116
		.amdhsa_next_free_sgpr 64
		.amdhsa_accum_offset 108
		.amdhsa_reserve_vcc 1
		.amdhsa_float_round_mode_32 0
		.amdhsa_float_round_mode_16_64 0
		.amdhsa_float_denorm_mode_32 3
		.amdhsa_float_denorm_mode_16_64 3
		.amdhsa_dx10_clamp 1
		.amdhsa_ieee_mode 1
		.amdhsa_fp16_overflow 0
		.amdhsa_tg_split 0
		.amdhsa_exception_fp_ieee_invalid_op 0
		.amdhsa_exception_fp_denorm_src 0
		.amdhsa_exception_fp_ieee_div_zero 0
		.amdhsa_exception_fp_ieee_overflow 0
		.amdhsa_exception_fp_ieee_underflow 0
		.amdhsa_exception_fp_ieee_inexact 0
		.amdhsa_exception_int_div_zero 0
	.end_amdhsa_kernel
	.section	.text._ZN12_GLOBAL__N_139chunk_gated_delta_rule_fwd_h_hip_kernelILi16ELb1ELb0ELb0ELb0ELb0ELb0ELb0ELb1EEEvPK12hip_bfloat16S3_S3_PKfS5_PKvPS1_S8_PvPKiSB_iiiiilll,"axG",@progbits,_ZN12_GLOBAL__N_139chunk_gated_delta_rule_fwd_h_hip_kernelILi16ELb1ELb0ELb0ELb0ELb0ELb0ELb0ELb1EEEvPK12hip_bfloat16S3_S3_PKfS5_PKvPS1_S8_PvPKiSB_iiiiilll,comdat
.Lfunc_end636:
	.size	_ZN12_GLOBAL__N_139chunk_gated_delta_rule_fwd_h_hip_kernelILi16ELb1ELb0ELb0ELb0ELb0ELb0ELb0ELb1EEEvPK12hip_bfloat16S3_S3_PKfS5_PKvPS1_S8_PvPKiSB_iiiiilll, .Lfunc_end636-_ZN12_GLOBAL__N_139chunk_gated_delta_rule_fwd_h_hip_kernelILi16ELb1ELb0ELb0ELb0ELb0ELb0ELb0ELb1EEEvPK12hip_bfloat16S3_S3_PKfS5_PKvPS1_S8_PvPKiSB_iiiiilll
                                        ; -- End function
	.section	.AMDGPU.csdata,"",@progbits
; Kernel info:
; codeLenInByte = 7236
; NumSgprs: 70
; NumVgprs: 106
; NumAgprs: 8
; TotalNumVgprs: 116
; ScratchSize: 0
; MemoryBound: 0
; FloatMode: 240
; IeeeMode: 1
; LDSByteSize: 40960 bytes/workgroup (compile time only)
; SGPRBlocks: 8
; VGPRBlocks: 14
; NumSGPRsForWavesPerEU: 70
; NumVGPRsForWavesPerEU: 116
; AccumOffset: 108
; Occupancy: 1
; WaveLimiterHint : 1
; COMPUTE_PGM_RSRC2:SCRATCH_EN: 0
; COMPUTE_PGM_RSRC2:USER_SGPR: 2
; COMPUTE_PGM_RSRC2:TRAP_HANDLER: 0
; COMPUTE_PGM_RSRC2:TGID_X_EN: 1
; COMPUTE_PGM_RSRC2:TGID_Y_EN: 1
; COMPUTE_PGM_RSRC2:TGID_Z_EN: 0
; COMPUTE_PGM_RSRC2:TIDIG_COMP_CNT: 0
; COMPUTE_PGM_RSRC3_GFX90A:ACCUM_OFFSET: 26
; COMPUTE_PGM_RSRC3_GFX90A:TG_SPLIT: 0
	.section	.text._ZN12_GLOBAL__N_139chunk_gated_delta_rule_fwd_h_hip_kernelILi16ELb0ELb1ELb1ELb0ELb0ELb0ELb0ELb1EEEvPK12hip_bfloat16S3_S3_PKfS5_PKvPS1_S8_PvPKiSB_iiiiilll,"axG",@progbits,_ZN12_GLOBAL__N_139chunk_gated_delta_rule_fwd_h_hip_kernelILi16ELb0ELb1ELb1ELb0ELb0ELb0ELb0ELb1EEEvPK12hip_bfloat16S3_S3_PKfS5_PKvPS1_S8_PvPKiSB_iiiiilll,comdat
	.globl	_ZN12_GLOBAL__N_139chunk_gated_delta_rule_fwd_h_hip_kernelILi16ELb0ELb1ELb1ELb0ELb0ELb0ELb0ELb1EEEvPK12hip_bfloat16S3_S3_PKfS5_PKvPS1_S8_PvPKiSB_iiiiilll ; -- Begin function _ZN12_GLOBAL__N_139chunk_gated_delta_rule_fwd_h_hip_kernelILi16ELb0ELb1ELb1ELb0ELb0ELb0ELb0ELb1EEEvPK12hip_bfloat16S3_S3_PKfS5_PKvPS1_S8_PvPKiSB_iiiiilll
	.p2align	8
	.type	_ZN12_GLOBAL__N_139chunk_gated_delta_rule_fwd_h_hip_kernelILi16ELb0ELb1ELb1ELb0ELb0ELb0ELb0ELb1EEEvPK12hip_bfloat16S3_S3_PKfS5_PKvPS1_S8_PvPKiSB_iiiiilll,@function
_ZN12_GLOBAL__N_139chunk_gated_delta_rule_fwd_h_hip_kernelILi16ELb0ELb1ELb1ELb0ELb0ELb0ELb0ELb1EEEvPK12hip_bfloat16S3_S3_PKfS5_PKvPS1_S8_PvPKiSB_iiiiilll: ; @_ZN12_GLOBAL__N_139chunk_gated_delta_rule_fwd_h_hip_kernelILi16ELb0ELb1ELb1ELb0ELb0ELb0ELb0ELb1EEEvPK12hip_bfloat16S3_S3_PKfS5_PKvPS1_S8_PvPKiSB_iiiiilll
; %bb.0:
	s_load_dwordx4 s[16:19], s[0:1], 0x5c
	s_load_dwordx4 s[20:23], s[0:1], 0x70
	s_abs_i32 s14, s3
	s_ashr_i32 s13, s3, 31
	s_load_dwordx8 s[4:11], s[0:1], 0x0
	s_waitcnt lgkmcnt(0)
	s_abs_i32 s12, s17
	v_cvt_f32_u32_e32 v1, s12
	s_sub_i32 s24, 0, s12
	s_ashr_i32 s15, s17, 31
	s_xor_b32 s13, s13, s15
	v_rcp_iflag_f32_e32 v1, v1
	v_lshrrev_b32_e32 v48, 6, v0
	v_bfe_u32 v51, v0, 4, 2
	v_lshlrev_b32_e32 v49, 4, v48
	v_mul_f32_e32 v1, 0x4f7ffffe, v1
	v_cvt_u32_f32_e32 v1, v1
	v_lshlrev_b32_e32 v10, 2, v51
	v_and_b32_e32 v50, 63, v0
	v_mov_b32_e32 v9, 0
	v_readfirstlane_b32 s25, v1
	s_mul_i32 s24, s24, s25
	s_mul_hi_u32 s24, s25, s24
	s_add_i32 s25, s25, s24
	s_mul_hi_u32 s24, s14, s25
	s_mul_i32 s25, s24, s12
	s_sub_i32 s14, s14, s25
	s_add_i32 s26, s24, 1
	s_sub_i32 s25, s14, s12
	s_cmp_ge_u32 s14, s12
	s_cselect_b32 s24, s26, s24
	s_cselect_b32 s14, s25, s14
	s_add_i32 s25, s24, 1
	s_cmp_ge_u32 s14, s12
	s_cselect_b32 s14, s25, s24
	s_xor_b32 s14, s14, s13
	s_sub_i32 s49, s14, s13
	s_abs_i32 s13, s18
	v_cvt_f32_u32_e32 v1, s13
	s_add_i32 s24, s16, 63
	s_mul_i32 s47, s49, s17
	s_sub_i32 s33, s3, s47
	v_rcp_iflag_f32_e32 v1, v1
	s_ashr_i32 s3, s24, 31
	s_ashr_i32 s48, s16, 31
	s_lshr_b32 s3, s3, 26
	v_mul_f32_e32 v1, 0x4f7ffffe, v1
	v_cvt_u32_f32_e32 v1, v1
	s_lshr_b32 s14, s48, 26
	s_add_i32 s24, s24, s3
	s_add_i32 s14, s16, s14
	s_ashr_i32 s51, s18, 31
	s_ashr_i32 s3, s24, 6
	;; [unrolled: 1-line block ×3, first 2 shown]
	s_xor_b32 s14, s15, s51
	s_sub_i32 s15, 0, s13
	v_readfirstlane_b32 s24, v1
	s_mul_i32 s15, s15, s24
	s_mul_hi_u32 s15, s24, s15
	s_add_i32 s24, s24, s15
	s_mul_hi_u32 s15, s12, s24
	s_mul_i32 s24, s15, s13
	s_sub_i32 s12, s12, s24
	s_add_i32 s24, s15, 1
	s_sub_i32 s25, s12, s13
	s_cmp_ge_u32 s12, s13
	s_cselect_b32 s15, s24, s15
	s_cselect_b32 s12, s25, s12
	s_add_i32 s24, s15, 1
	s_cmp_ge_u32 s12, s13
	s_cselect_b32 s12, s24, s15
	s_xor_b32 s12, s12, s14
	s_sub_i32 s24, s12, s14
	s_abs_i32 s25, s24
	v_cvt_f32_u32_e32 v1, s25
	s_load_dwordx2 s[34:35], s[0:1], 0x40
	s_load_dwordx4 s[12:15], s[0:1], 0x30
	s_load_dwordx2 s[36:37], s[0:1], 0x80
	s_xor_b32 s0, s33, s24
	s_sub_i32 s24, 0, s25
	v_rcp_iflag_f32_e32 v1, v1
	s_abs_i32 s1, s33
	s_ashr_i32 s0, s0, 31
	s_mul_i32 s52, s49, s3
	v_mul_f32_e32 v1, 0x4f7ffffe, v1
	v_cvt_u32_f32_e32 v1, v1
	v_and_b32_e32 v52, 15, v0
	s_mul_hi_i32 s53, s49, s17
	v_lshrrev_b32_e32 v54, 3, v50
	v_readfirstlane_b32 s26, v1
	s_mul_i32 s24, s24, s26
	s_mul_hi_u32 s24, s26, s24
	s_add_i32 s26, s26, s24
	s_mul_hi_u32 s24, s1, s26
	s_mul_i32 s26, s24, s25
	s_sub_i32 s1, s1, s26
	s_add_i32 s26, s24, 1
	s_sub_i32 s27, s1, s25
	s_cmp_ge_u32 s1, s25
	s_cselect_b32 s24, s26, s24
	s_cselect_b32 s1, s27, s1
	s_add_i32 s26, s24, 1
	s_cmp_ge_u32 s1, s25
	s_cselect_b32 s1, s26, s24
	s_xor_b32 s1, s1, s0
	s_sub_i32 s54, s1, s0
	v_or_b32_e32 v1, v10, v49
	s_lshl_b32 s2, s2, 4
	v_or_b32_e32 v55, 64, v1
	s_cmp_lt_i32 s16, 64
	v_lshlrev_b32_e32 v53, 3, v0
	s_mul_i32 s21, s49, s21
	s_mul_hi_u32 s46, s49, s20
	s_mul_i32 s38, s49, s20
	v_mov_b32_e32 v8, v9
	v_mov_b32_e32 v7, v9
	;; [unrolled: 1-line block ×7, first 2 shown]
	s_cbranch_scc1 .LBB637_18
; %bb.1:
	s_ashr_i32 s3, s49, 31
	s_ashr_i32 s56, s33, 31
	s_add_u32 s0, s47, s33
	s_addc_u32 s1, s53, s56
	s_mul_i32 s1, s16, s1
	s_mul_hi_u32 s24, s16, s0
	s_add_i32 s41, s24, s1
	s_mul_i32 s40, s16, s0
	s_lshl_b64 s[0:1], s[40:41], 8
	v_and_b32_e32 v57, 56, v53
	s_add_u32 s24, s6, s0
	v_lshl_or_b32 v56, v48, 3, v54
	v_lshlrev_b32_e32 v3, 1, v57
	s_addc_u32 s0, s7, s1
	v_lshl_or_b32 v58, v56, 8, v3
	s_and_b32 s25, s0, 0xffff
	s_mov_b32 s27, 0x20000
	s_movk_i32 s26, 0x4000
	s_movk_i32 s0, 0x80
	v_or_b32_e32 v59, 0x2000, v58
	buffer_load_dwordx4 v[4:7], v58, s[24:27], 0 offen
	buffer_load_dwordx4 v[12:15], v58, s[24:27], s0 offen
	;; [unrolled: 1-line block ×4, first 2 shown]
	v_lshlrev_b32_e32 v2, 3, v56
	v_and_or_b32 v9, v0, 7, v2
	v_and_b32_e32 v2, 0x78, v2
	v_lshlrev_b32_e32 v9, 4, v9
	v_xor_b32_e32 v60, v9, v2
	v_mul_lo_u32 v8, v56, s19
	v_or_b32_e32 v61, 0x1000, v60
	v_xor_b32_e32 v2, 8, v60
	s_cmpk_eq_i32 s19, 0x80
	s_mov_b32 s55, s18
	v_xor_b32_e32 v9, 8, v61
	s_cselect_b64 s[0:1], -1, 0
	s_cmpk_lg_i32 s19, 0x80
	s_waitcnt vmcnt(3)
	ds_write_b64 v60, v[4:5] offset:16384
	ds_write_b64 v2, v[6:7] offset:16384
	s_waitcnt vmcnt(2)
	ds_write_b64 v60, v[12:13] offset:24576
	ds_write_b64 v2, v[14:15] offset:24576
	;; [unrolled: 3-line block ×4, first 2 shown]
	v_lshl_add_u32 v2, v8, 1, v57
	s_cbranch_scc0 .LBB637_3
; %bb.2:
	v_lshlrev_b32_e32 v6, 1, v2
	v_add_lshl_u32 v5, v2, s19, 1
	s_lshl_b32 s26, s19, 7
	v_lshl_or_b32 v4, v56, 9, v3
	s_cbranch_execz .LBB637_4
	s_branch .LBB637_5
.LBB637_3:
                                        ; implicit-def: $vgpr5
                                        ; implicit-def: $vgpr6
                                        ; implicit-def: $sgpr26
	v_lshl_or_b32 v4, v56, 9, v3
.LBB637_4:
	v_or_b32_e32 v5, 0x100, v4
	s_movk_i32 s26, 0x4000
	v_mov_b32_e32 v6, v4
.LBB637_5:
	s_mul_hi_u32 s24, s18, s16
	s_mul_i32 s25, s51, s16
	s_add_i32 s24, s24, s25
	s_mul_i32 s25, s18, s16
	s_mul_i32 s27, s25, s3
	s_mul_hi_u32 s28, s25, s49
	s_add_i32 s27, s28, s27
	s_mul_i32 s24, s24, s49
	s_add_i32 s27, s27, s24
	s_mul_i32 s25, s25, s49
	s_ashr_i32 s57, s54, 31
	s_add_u32 s24, s25, s54
	s_addc_u32 s25, s27, s57
	s_lshl_b64 s[24:25], s[24:25], 8
	s_add_u32 s24, s4, s24
	s_addc_u32 s25, s5, s25
	s_and_b32 s25, s25, 0xffff
	s_mov_b32 s27, 0x20000
	s_movk_i32 s58, 0x80
	buffer_load_dwordx4 v[12:15], v6, s[24:27], 0 offen
	buffer_load_dwordx4 v[16:19], v6, s[24:27], s58 offen
	buffer_load_dwordx4 v[20:23], v5, s[24:27], 0 offen
	buffer_load_dwordx4 v[24:27], v5, s[24:27], s58 offen
	v_and_b32_e32 v3, 6, v0
	s_mul_i32 s24, s3, s16
	s_mul_hi_u32 s25, s49, s16
	v_lshlrev_b32_e32 v6, 2, v52
	v_lshlrev_b32_e32 v7, 3, v52
	v_xor_b32_e32 v9, v56, v3
	v_and_b32_e32 v5, 1, v0
	s_mul_i32 s3, s3, s20
	v_lshl_or_b32 v7, v1, 5, v7
	v_xor_b32_e32 v11, v1, v6
	v_lshlrev_b32_e32 v9, 2, v9
	s_add_i32 s63, s25, s24
	s_add_i32 s24, s46, s21
	v_or_b32_e32 v62, 0x9000, v7
	v_or_b32_e32 v63, 0x9800, v7
	v_lshlrev_b32_e32 v7, 1, v11
	v_xor_b32_e32 v11, 0x440, v9
	v_cmp_eq_u32_e32 vcc, 0, v5
	s_add_i32 s39, s24, s3
	s_mul_i32 s3, s33, s23
	s_mul_hi_u32 s24, s33, s22
	v_cndmask_b32_e32 v5, v11, v9, vcc
	s_add_i32 s3, s24, s3
	s_mul_i32 s24, s56, s22
	s_mov_b32 s60, 0x1000504
	v_lshlrev_b32_e32 v8, 8, v52
	s_mov_b32 s26, 0x8000
	v_xor_b32_e32 v6, v55, v6
	v_lshl_or_b32 v3, v3, 10, v5
	s_add_i32 s25, s3, s24
	s_lshl_b64 s[28:29], s[38:39], 2
	s_mov_b32 s61, 0x3020706
	v_lshlrev_b32_e32 v6, 1, v6
	v_or3_b32 v64, v7, v8, s26
	v_xor_b32_e32 v5, 8, v3
	v_xor_b32_e32 v7, 24, v3
	;; [unrolled: 1-line block ×4, first 2 shown]
	s_mul_i32 s24, s33, s22
	s_add_u32 s3, s10, s28
	v_or3_b32 v65, v6, v8, s26
	v_xor_b32_e32 v6, 16, v3
	v_xor_b32_e32 v8, 32, v3
	;; [unrolled: 1-line block ×3, first 2 shown]
	v_add_u32_e32 v5, 0x80, v5
	v_add_u32_e32 v7, 0x80, v7
	;; [unrolled: 1-line block ×4, first 2 shown]
	s_addc_u32 s28, s11, s29
	s_lshl_b64 s[24:25], s[24:25], 2
	s_add_u32 s42, s3, s24
	s_movk_i32 s3, 0xf8
	s_addc_u32 s43, s28, s25
	s_lshl_b32 s30, s19, 7
	s_mov_b32 s59, 0
	s_mul_i32 s62, s49, s16
	v_add_u32_e32 v80, v49, v10
	v_mov_b32_e32 v81, 0x3fb8aa3b
	s_mov_b32 s64, 0
	s_waitcnt vmcnt(1)
	v_perm_b32 v29, v12, v20, s60
	s_waitcnt vmcnt(0)
	v_perm_b32 v30, v16, v24, s60
	v_perm_b32 v12, v12, v20, s61
	;; [unrolled: 1-line block ×15, first 2 shown]
	ds_write2st64_b32 v3, v29, v30 offset1:32
	ds_write2st64_b32 v5, v12, v16 offset1:32
	ds_write2st64_b32 v6, v20, v24 offset0:1 offset1:33
	ds_write2st64_b32 v7, v13, v17 offset0:1 offset1:33
	;; [unrolled: 1-line block ×6, first 2 shown]
	v_or_b32_e32 v3, v49, v52
	v_lshlrev_b32_e32 v3, 3, v3
	v_lshrrev_b32_e32 v7, 5, v50
	v_and_or_b32 v7, v3, s3, v7
	v_lshlrev_b32_e32 v7, 4, v7
	v_lshlrev_b32_e32 v5, 11, v48
	v_and_b32_e32 v3, 0x78, v3
	v_or_b32_e32 v12, 32, v7
	v_and_b32_e32 v6, 0x1000, v5
	v_lshrrev_b32_e32 v11, 1, v0
	v_xor_b32_e32 v12, v12, v3
	v_and_b32_e32 v9, 8, v11
	v_or_b32_e32 v12, v12, v6
	v_xor_b32_e32 v8, v7, v3
	v_xor_b32_e32 v68, v12, v9
	v_or_b32_e32 v12, 64, v7
	v_or_b32_e32 v7, 0x60, v7
	v_xor_b32_e32 v12, v12, v3
	v_xor_b32_e32 v3, v7, v3
	v_or_b32_e32 v3, v3, v6
	v_or_b32_e32 v12, v12, v6
	v_xor_b32_e32 v70, v3, v9
	v_lshlrev_b32_e32 v14, 1, v2
	v_add_lshl_u32 v15, v2, s19, 1
	v_lshrrev_b32_e32 v2, 4, v0
	v_lshlrev_b32_e32 v3, 1, v52
	v_xor_b32_e32 v69, v12, v9
	s_ashr_i32 s3, s2, 31
	v_or_b32_e32 v12, 1, v3
	v_xor_b32_e32 v3, v2, v3
	s_lshl_b64 s[24:25], s[2:3], 8
	v_xor_b32_e32 v12, v12, v2
	v_lshlrev_b32_e32 v3, 3, v3
	v_lshlrev_b32_e32 v2, 8, v2
	s_waitcnt lgkmcnt(0)
	s_add_u32 s24, s12, s24
	v_or3_b32 v72, v3, v2, s26
	v_lshlrev_b32_e32 v3, 3, v12
	s_addc_u32 s25, s13, s25
	v_or3_b32 v73, v3, v2, s26
	v_mov_b32_e32 v3, 0
	v_lshl_add_u64 v[12:13], s[24:25], 0, v[2:3]
	v_lshlrev_b32_e32 v2, 4, v52
	s_movk_i32 s3, 0xff
	v_lshlrev_b32_e32 v18, 3, v48
	v_and_b32_e32 v11, 24, v11
	v_lshl_add_u64 v[42:43], v[12:13], 0, v[2:3]
	v_and_b32_e32 v12, 8, v0
	v_cmp_lt_u32_e32 vcc, s3, v0
	v_xor_b32_e32 v19, v18, v11
	v_or_b32_e32 v20, 0x440, v19
	v_cndmask_b32_e64 v17, 0, 1, vcc
	v_cmp_eq_u32_e32 vcc, 0, v12
	v_and_b32_e32 v2, 7, v0
	v_lshlrev_b32_e32 v13, 3, v2
	v_cndmask_b32_e32 v12, v20, v19, vcc
	v_lshlrev_b32_e32 v2, 7, v2
	v_or_b32_e32 v12, v12, v5
	v_xad_u32 v74, v12, v13, v2
	v_or_b32_e32 v12, 32, v11
	v_xor_b32_e32 v12, v18, v12
	v_or_b32_e32 v19, 0x440, v12
	v_cndmask_b32_e32 v12, v19, v12, vcc
	v_or_b32_e32 v12, v12, v5
	v_xad_u32 v75, v12, v13, v2
	v_or_b32_e32 v12, 64, v11
	v_xor_b32_e32 v12, v18, v12
	v_xor_b32_e32 v19, 0x440, v12
	v_cndmask_b32_e32 v12, v19, v12, vcc
	v_or_b32_e32 v11, 0x60, v11
	v_or_b32_e32 v12, v12, v5
	v_xor_b32_e32 v11, v18, v11
	v_or_b32_e32 v8, v8, v6
	v_or_b32_e32 v6, s2, v52
	v_xad_u32 v76, v12, v13, v2
	v_xor_b32_e32 v12, 0x440, v11
	v_xor_b32_e32 v66, v8, v9
	v_and_b32_e32 v8, 0x78, v53
	v_ashrrev_i32_e32 v7, 31, v6
	v_cndmask_b32_e32 v11, v12, v11, vcc
	v_lshl_or_b32 v8, v51, 7, v8
	v_lshlrev_b64 v[6:7], 1, v[6:7]
	v_or_b32_e32 v5, v11, v5
	v_or_b32_e32 v67, 0x9000, v8
	;; [unrolled: 1-line block ×3, first 2 shown]
	v_lshl_add_u64 v[8:9], s[8:9], 0, v[6:7]
	v_lshl_add_u64 v[6:7], s[14:15], 0, v[6:7]
	v_or_b32_e32 v16, 0x100, v4
	v_lshlrev_b32_e32 v17, 13, v17
	v_xad_u32 v77, v5, v13, v2
	v_lshlrev_b32_e32 v2, 8, v1
	v_cndmask_b32_e64 v78, v14, v4, s[0:1]
	v_cndmask_b32_e64 v79, v15, v16, s[0:1]
	v_lshl_add_u64 v[44:45], v[8:9], 0, v[2:3]
	v_lshl_add_u64 v[46:47], v[6:7], 0, v[2:3]
	s_mov_b32 s3, 0x7060302
	s_movk_i32 s26, 0x4000
	v_add_u32_e32 v82, v17, v74
	v_add_u32_e32 v83, v17, v75
	v_add_u32_e32 v84, v17, v76
	v_add_u32_e32 v85, v17, v77
	v_mov_b32_e32 v2, v3
	v_mov_b32_e32 v4, v3
	;; [unrolled: 1-line block ×7, first 2 shown]
	s_barrier
.LBB637_6:                              ; =>This Inner Loop Header: Depth=1
	s_add_i32 s39, s64, 1
	s_cmp_lt_i32 s39, s50
	s_mov_b64 s[28:29], 0
	s_cselect_b64 s[44:45], -1, 0
	s_cmp_ge_i32 s39, s50
	s_mov_b64 s[24:25], 0
	s_cbranch_scc1 .LBB637_8
; %bb.7:                                ;   in Loop: Header=BB637_6 Depth=1
	s_add_i32 s0, s59, 64
	s_add_u32 s0, s40, s0
	s_addc_u32 s1, s41, 0
	s_lshl_b64 s[0:1], s[0:1], 8
	s_add_u32 s24, s6, s0
	s_addc_u32 s25, s7, s1
.LBB637_8:                              ;   in Loop: Header=BB637_6 Depth=1
	v_cndmask_b32_e64 v5, 0, 1, s[44:45]
	v_cmp_ne_u32_e64 s[0:1], 1, v5
	s_andn2_b64 vcc, exec, s[44:45]
	s_cbranch_vccnz .LBB637_10
; %bb.9:                                ;   in Loop: Header=BB637_6 Depth=1
	s_add_i32 s28, s59, 64
	s_add_u32 s28, s62, s28
	s_addc_u32 s29, s63, 0
	s_mul_i32 s31, s28, s51
	s_mul_hi_u32 s44, s28, s55
	s_add_i32 s31, s44, s31
	s_mul_i32 s29, s29, s55
	s_add_i32 s31, s31, s29
	s_mul_i32 s28, s28, s55
	s_add_u32 s28, s28, s54
	s_addc_u32 s29, s31, s57
	s_lshl_b64 s[28:29], s[28:29], 8
	s_add_u32 s28, s4, s28
	s_addc_u32 s29, s5, s29
.LBB637_10:                             ;   in Loop: Header=BB637_6 Depth=1
	v_perm_b32 v11, v87, v4, s3
	v_perm_b32 v10, v3, v2, s3
	;; [unrolled: 1-line block ×4, first 2 shown]
	ds_write_b64 v62, v[10:11]
	ds_write_b64 v63, v[12:13]
	;; [unrolled: 1-line block ×4, first 2 shown]
	s_waitcnt lgkmcnt(0)
	s_barrier
	ds_read_b64 v[18:19], v66 offset:16384
	ds_read_b64 v[20:21], v68 offset:16384
	ds_read2st64_b64 v[10:13], v67 offset1:1
	ds_read2st64_b64 v[14:17], v67 offset0:2 offset1:3
	ds_read_b64 v[22:23], v69 offset:16384
	s_waitcnt lgkmcnt(2)
	v_mfma_f32_16x16x16_bf16 a[0:3], v[18:19], v[10:11], 0
	ds_read_b64 v[10:11], v70 offset:16384
	s_add_i32 s31, s59, 63
	s_mul_i32 s44, s31, s37
	v_mfma_f32_16x16x16_bf16 a[0:3], v[20:21], v[12:13], a[0:3]
	s_mul_hi_u32 s45, s31, s36
	s_add_i32 s45, s45, s44
	s_mul_i32 s44, s31, s36
	s_waitcnt lgkmcnt(1)
	v_mfma_f32_16x16x16_bf16 a[0:3], v[22:23], v[14:15], a[0:3]
	s_lshl_b64 s[44:45], s[44:45], 2
	s_add_u32 s44, s42, s44
	s_addc_u32 s45, s43, s45
	s_waitcnt lgkmcnt(0)
	v_mfma_f32_16x16x16_bf16 a[0:3], v[10:11], v[16:17], a[0:3]
	s_and_b64 vcc, exec, s[0:1]
	v_mov_b32_e32 v88, 0
	v_mov_b32_e32 v9, 0
	v_mov_b32_e32 v5, 0
	v_mov_b32_e32 v10, 0
	v_mov_b32_e32 v11, 0
	v_mov_b32_e32 v12, 0
	v_mov_b32_e32 v13, 0
	v_mov_b32_e32 v14, 0
	v_mov_b32_e32 v15, 0
	v_mov_b32_e32 v16, 0
	v_mov_b32_e32 v17, 0
	v_mov_b32_e32 v18, 0
	v_mov_b32_e32 v19, 0
	v_mov_b32_e32 v20, 0
	v_mov_b32_e32 v21, 0
	v_mov_b32_e32 v22, 0
	v_mov_b32_e32 v23, 0
	v_mov_b32_e32 v24, 0
	v_mov_b32_e32 v25, 0
	s_cbranch_vccnz .LBB637_12
; %bb.11:                               ;   in Loop: Header=BB637_6 Depth=1
	s_and_b32 s25, s25, 0xffff
	buffer_load_dwordx4 v[22:25], v58, s[24:27], 0 offen
	buffer_load_dwordx4 v[18:21], v58, s[24:27], s58 offen
	;; [unrolled: 1-line block ×4, first 2 shown]
	v_mov_b32_e32 v9, v60
	v_mov_b32_e32 v5, v61
.LBB637_12:                             ;   in Loop: Header=BB637_6 Depth=1
	s_waitcnt vmcnt(3)
	v_add_u32_e32 v32, s59, v80
	s_waitcnt vmcnt(1)
	v_ashrrev_i32_e32 v26, 31, v32
	v_mul_lo_u32 v28, v26, s36
	v_mul_lo_u32 v29, v32, s37
	v_mad_u64_u32 v[26:27], s[24:25], v32, s36, 0
	v_add3_u32 v27, v27, v29, v28
	v_add_u32_e32 v28, 1, v32
	v_ashrrev_i32_e32 v29, 31, v28
	v_mul_lo_u32 v30, v29, s36
	v_mul_lo_u32 v31, v28, s37
	v_mad_u64_u32 v[28:29], s[24:25], v28, s36, 0
	v_add3_u32 v29, v29, v31, v30
	v_add_u32_e32 v30, 2, v32
	v_ashrrev_i32_e32 v31, 31, v30
	v_mul_lo_u32 v33, v31, s36
	v_mul_lo_u32 v34, v30, s37
	v_mad_u64_u32 v[30:31], s[24:25], v30, s36, 0
	s_add_u32 s24, s40, s59
	v_add3_u32 v31, v31, v34, v33
	v_add_u32_e32 v34, 3, v32
	s_addc_u32 s25, s41, 0
	v_ashrrev_i32_e32 v32, 31, v34
	s_lshl_b64 s[66:67], s[24:25], 8
	v_lshl_add_u64 v[26:27], v[26:27], 2, s[42:43]
	v_mul_lo_u32 v35, v32, s36
	v_lshl_add_u64 v[32:33], v[44:45], 0, s[66:67]
	v_mul_lo_u32 v36, v34, s37
	global_load_ushort v90, v[32:33], off
	global_load_ushort v91, v[32:33], off offset:256
	global_load_ushort v92, v[32:33], off offset:512
	global_load_ushort v93, v[32:33], off offset:768
	global_load_dword v94, v[26:27], off
	v_mad_u64_u32 v[26:27], s[24:25], v34, s36, 0
	v_lshl_add_u64 v[28:29], v[28:29], 2, s[42:43]
	v_add3_u32 v27, v27, v36, v35
	v_lshl_add_u64 v[30:31], v[30:31], 2, s[42:43]
	v_lshl_add_u64 v[26:27], v[26:27], 2, s[42:43]
	global_load_dword v95, v[28:29], off
	global_load_dword v96, v[30:31], off
	global_load_dword v97, v[26:27], off
	ds_read_b64 v[26:27], v66 offset:24576
	s_load_dword s24, s[44:45], 0x0
	ds_read_b64 v[36:37], v68 offset:24576
	ds_read2st64_b64 v[28:31], v71 offset1:1
	ds_read2st64_b64 v[32:35], v71 offset0:2 offset1:3
	ds_read_b64 v[38:39], v69 offset:24576
	ds_read_b64 v[40:41], v70 offset:24576
	s_waitcnt lgkmcnt(0)
	v_mfma_f32_16x16x16_bf16 a[0:3], v[26:27], v[28:29], a[0:3]
	v_mov_b32_e32 v89, 0
	v_mov_b32_e32 v26, 0
	;; [unrolled: 1-line block ×3, first 2 shown]
	v_mfma_f32_16x16x16_bf16 a[0:3], v[36:37], v[30:31], a[0:3]
	v_lshl_add_u64 v[36:37], v[46:47], 0, s[66:67]
	v_mov_b32_e32 v28, 0
	v_mov_b32_e32 v29, 0
	v_mfma_f32_16x16x16_bf16 a[0:3], v[38:39], v[32:33], a[0:3]
	v_mov_b32_e32 v30, 0
	v_mov_b32_e32 v31, 0
	;; [unrolled: 1-line block ×3, first 2 shown]
	v_mfma_f32_16x16x16_bf16 a[0:3], v[40:41], v[34:35], a[0:3]
	s_and_b64 vcc, exec, s[0:1]
	s_waitcnt vmcnt(7)
	v_lshlrev_b32_e32 v40, 16, v90
	s_nop 3
	v_accvgpr_read_b32 v39, a1
	v_accvgpr_read_b32 v35, a3
	;; [unrolled: 1-line block ×4, first 2 shown]
	s_waitcnt vmcnt(6)
	v_lshlrev_b32_e32 v41, 16, v91
	s_waitcnt vmcnt(4)
	v_lshlrev_b32_e32 v91, 16, v93
	v_lshlrev_b32_e32 v90, 16, v92
	s_waitcnt vmcnt(3)
	v_sub_f32_e32 v33, s24, v94
	v_pk_add_f32 v[38:39], v[40:41], v[38:39] neg_lo:[0,1] neg_hi:[0,1]
	v_pk_add_f32 v[34:35], v[90:91], v[34:35] neg_lo:[0,1] neg_hi:[0,1]
	v_mul_f32_e32 v33, 0x3fb8aa3b, v33
	s_waitcnt vmcnt(2)
	v_sub_f32_e32 v41, s24, v95
	s_waitcnt vmcnt(1)
	v_sub_f32_e32 v90, s24, v96
	;; [unrolled: 2-line block ×3, first 2 shown]
	v_exp_f32_e32 v40, v33
	v_mul_f32_e32 v33, 0x3fb8aa3b, v41
	v_mul_f32_e32 v90, 0x3fb8aa3b, v90
	;; [unrolled: 1-line block ×3, first 2 shown]
	v_exp_f32_e32 v41, v33
	v_exp_f32_e32 v90, v90
	;; [unrolled: 1-line block ×3, first 2 shown]
	global_store_short_d16_hi v[36:37], v38, off
	global_store_short_d16_hi v[36:37], v39, off offset:256
	global_store_short_d16_hi v[36:37], v34, off offset:512
	;; [unrolled: 1-line block ×3, first 2 shown]
	v_pk_mul_f32 v[36:37], v[40:41], v[38:39]
	v_pk_mul_f32 v[34:35], v[90:91], v[34:35]
	v_mov_b32_e32 v33, 0
	v_perm_b32 v35, v35, v34, s3
	v_perm_b32 v34, v37, v36, s3
	ds_write_b64 v63, v[34:35]
	v_mov_b32_e32 v34, 0
	v_mov_b32_e32 v35, 0
	;; [unrolled: 1-line block ×8, first 2 shown]
	s_cbranch_vccnz .LBB637_14
; %bb.13:                               ;   in Loop: Header=BB637_6 Depth=1
	s_and_b32 s29, s29, 0xffff
	s_mov_b32 s31, s27
	buffer_load_dwordx4 v[38:41], v78, s[28:31], 0 offen
	buffer_load_dwordx4 v[30:33], v78, s[28:31], s58 offen
	buffer_load_dwordx4 v[34:37], v79, s[28:31], 0 offen
	buffer_load_dwordx4 v[26:29], v79, s[28:31], s58 offen
	v_mov_b32_e32 v88, v57
	v_mov_b32_e32 v89, v56
.LBB637_14:                             ;   in Loop: Header=BB637_6 Depth=1
	s_waitcnt lgkmcnt(0)
	s_barrier
	ds_read_b64 v[98:99], v82
	ds_read2st64_b64 v[90:93], v71 offset1:1
	ds_read2st64_b64 v[94:97], v71 offset0:2 offset1:3
	ds_read_b64 v[100:101], v83
	ds_read_b64 v[102:103], v84
	;; [unrolled: 1-line block ×3, first 2 shown]
	s_waitcnt lgkmcnt(4)
	v_mfma_f32_16x16x16_bf16 a[0:3], v[98:99], v[90:91], 0
	ds_read_b64 v[98:99], v74 offset:8192
	ds_read_b64 v[106:107], v75 offset:8192
	s_add_i32 s25, s52, s64
	s_mul_hi_i32 s29, s25, s17
	s_waitcnt lgkmcnt(1)
	v_mfma_f32_16x16x16_bf16 a[4:7], v[98:99], v[90:91], 0
	s_mul_i32 s25, s25, s17
	s_add_u32 s28, s25, s33
	s_addc_u32 s29, s29, s56
	v_mfma_f32_16x16x16_bf16 a[0:3], v[100:101], v[92:93], a[0:3]
	ds_read_b64 v[98:99], v72
	ds_read_b64 v[100:101], v73
	ds_read_b64 v[90:91], v76 offset:8192
	s_lshl_b64 s[28:29], s[28:29], 15
	v_mfma_f32_16x16x16_bf16 a[0:3], v[102:103], v[94:95], a[0:3]
	ds_read_b64 v[102:103], v77 offset:8192
	s_and_b64 vcc, exec, s[0:1]
	s_waitcnt lgkmcnt(4)
	v_mfma_f32_16x16x16_bf16 a[4:7], v[106:107], v[92:93], a[4:7]
	s_waitcnt lgkmcnt(1)
	v_mfma_f32_16x16x16_bf16 a[4:7], v[90:91], v[94:95], a[4:7]
	v_lshl_add_u64 v[90:91], v[42:43], 0, s[28:29]
	global_store_dwordx4 v[90:91], v[98:101], off
	v_mfma_f32_16x16x16_bf16 a[0:3], v[104:105], v[96:97], a[0:3]
	s_waitcnt lgkmcnt(0)
	v_mfma_f32_16x16x16_bf16 a[4:7], v[102:103], v[96:97], a[4:7]
	s_cbranch_vccnz .LBB637_16
; %bb.15:                               ;   in Loop: Header=BB637_6 Depth=1
	v_lshrrev_b32_e32 v90, 3, v88
	v_and_b32_e32 v90, 6, v90
	v_xor_b32_e32 v89, v90, v89
	v_lshlrev_b32_e32 v89, 2, v89
	v_and_b32_e32 v88, 8, v88
	v_xor_b32_e32 v91, 0x440, v89
	v_cmp_eq_u32_e32 vcc, 0, v88
	s_barrier
	s_nop 0
	v_cndmask_b32_e32 v88, v91, v89, vcc
	v_lshl_or_b32 v88, v90, 10, v88
	s_waitcnt vmcnt(2)
	v_perm_b32 v89, v38, v34, s60
	s_waitcnt vmcnt(1)
	v_perm_b32 v90, v30, v26, s60
	ds_write2st64_b32 v88, v89, v90 offset1:32
	v_xor_b32_e32 v89, 8, v88
	v_perm_b32 v34, v38, v34, s61
	v_perm_b32 v26, v30, v26, s61
	v_add_u32_e32 v30, 0x80, v89
	ds_write2st64_b32 v30, v34, v26 offset1:32
	v_xor_b32_e32 v26, 16, v88
	v_perm_b32 v30, v39, v35, s60
	v_perm_b32 v34, v31, v27, s60
	ds_write2st64_b32 v26, v30, v34 offset0:1 offset1:33
	v_xor_b32_e32 v26, 24, v88
	v_perm_b32 v30, v39, v35, s61
	v_perm_b32 v27, v31, v27, s61
	v_add_u32_e32 v26, 0x80, v26
	ds_write2st64_b32 v26, v30, v27 offset0:1 offset1:33
	v_xor_b32_e32 v26, 32, v88
	v_perm_b32 v27, v40, v36, s60
	v_perm_b32 v30, v32, v28, s60
	ds_write2st64_b32 v26, v27, v30 offset0:2 offset1:34
	v_xor_b32_e32 v26, 40, v88
	v_perm_b32 v27, v40, v36, s61
	v_perm_b32 v28, v32, v28, s61
	v_add_u32_e32 v26, 0x80, v26
	ds_write2st64_b32 v26, v27, v28 offset0:2 offset1:34
	;; [unrolled: 9-line block ×3, first 2 shown]
	ds_write_b64 v9, v[22:23] offset:16384
	v_xor_b32_e32 v22, 8, v9
	ds_write_b64 v22, v[24:25] offset:16384
	ds_write_b64 v9, v[18:19] offset:24576
	;; [unrolled: 1-line block ×4, first 2 shown]
	v_xor_b32_e32 v9, 8, v5
	ds_write_b64 v9, v[16:17] offset:16384
	ds_write_b64 v5, v[10:11] offset:24576
	;; [unrolled: 1-line block ×3, first 2 shown]
.LBB637_16:                             ;   in Loop: Header=BB637_6 Depth=1
	v_mul_f32_e32 v5, s24, v81
	v_exp_f32_e32 v10, v5
	s_nop 1
	v_accvgpr_read_b32 v9, a1
	v_accvgpr_read_b32 v5, a0
	s_add_i32 s59, s59, 64
	v_fma_f32 v3, v3, v10, v9
	v_accvgpr_read_b32 v9, a4
	v_fma_f32 v6, v6, v10, v9
	v_accvgpr_read_b32 v9, a5
	;; [unrolled: 2-line block ×6, first 2 shown]
	v_fmac_f32_e32 v5, v87, v10
	s_cmp_eq_u32 s50, s39
	v_fmac_f32_e32 v9, v86, v10
	s_cbranch_scc1 .LBB637_18
; %bb.17:                               ;   in Loop: Header=BB637_6 Depth=1
	s_mov_b32 s64, s39
	v_mov_b32_e32 v87, v5
	v_mov_b32_e32 v86, v9
	s_branch .LBB637_6
.LBB637_18:
	s_lshl_b32 s44, s50, 6
	s_sub_i32 s45, s16, s44
	s_cmp_gt_i32 s45, 0
	s_waitcnt vmcnt(2)
	v_or_b32_e32 v34, s2, v52
	s_cbranch_scc1 .LBB637_20
; %bb.19:
	s_ashr_i32 s0, s33, 31
	s_add_u32 s28, s47, s33
	s_addc_u32 s29, s53, s0
	v_or_b32_e32 v10, s2, v52
	s_cbranch_execz .LBB637_21
	s_branch .LBB637_77
.LBB637_20:
                                        ; implicit-def: $sgpr28_sgpr29
                                        ; implicit-def: $vgpr10
.LBB637_21:
	s_ashr_i32 s39, s49, 31
	s_ashr_i32 s3, s44, 31
	s_cmpk_lg_i32 s19, 0x80
	s_cselect_b64 s[40:41], -1, 0
	s_and_b64 vcc, exec, s[40:41]
	s_cbranch_vccz .LBB637_23
; %bb.22:
	s_mul_i32 s1, s49, s16
	s_mul_hi_i32 s0, s49, s16
	s_add_u32 s1, s1, s44
	s_addc_u32 s0, s0, s3
	s_mul_i32 s24, s1, s51
	s_mul_hi_u32 s25, s1, s18
	s_add_i32 s24, s25, s24
	s_mul_i32 s0, s0, s18
	s_add_i32 s24, s24, s0
	s_mul_i32 s1, s1, s18
	s_ashr_i32 s0, s54, 31
	s_add_u32 s42, s1, s54
	s_addc_u32 s43, s24, s0
	s_cbranch_execz .LBB637_24
	s_branch .LBB637_25
.LBB637_23:
                                        ; implicit-def: $sgpr42_sgpr43
.LBB637_24:
	s_mul_hi_i32 s0, s49, s18
	s_mul_i32 s49, s49, s18
	s_ashr_i32 s1, s54, 31
	s_add_u32 s18, s49, s54
	s_addc_u32 s0, s0, s1
	s_mul_i32 s1, s18, s48
	s_mul_hi_u32 s24, s18, s16
	s_add_i32 s1, s24, s1
	s_mul_i32 s0, s0, s16
	s_add_i32 s1, s1, s0
	s_mul_i32 s18, s18, s16
	s_add_u32 s42, s18, s44
	s_addc_u32 s43, s1, s3
.LBB637_25:
	s_add_i32 s24, s52, s50
	s_ashr_i32 s18, s33, 31
	s_add_u32 s28, s47, s33
	s_addc_u32 s29, s53, s18
	s_mul_i32 s0, s28, s48
	s_mul_hi_u32 s1, s28, s16
	s_add_i32 s0, s1, s0
	s_mul_i32 s1, s29, s16
	s_add_i32 s1, s0, s1
	s_mul_i32 s0, s28, s16
	s_add_u32 s0, s0, s44
	s_addc_u32 s1, s1, s3
	s_mov_b32 s3, 0x7060302
	v_lshlrev_b32_e32 v14, 3, v52
	s_lshl_b64 s[30:31], s[0:1], 8
	v_perm_b32 v11, v5, v4, s3
	v_perm_b32 v10, v3, v2, s3
	v_perm_b32 v13, v9, v8, s3
	v_perm_b32 v12, v7, v6, s3
	v_lshlrev_b32_e32 v44, 2, v52
	v_lshl_or_b32 v14, v1, 5, v14
	s_add_u32 s0, s6, s30
	ds_write2st64_b64 v14, v[10:11], v[12:13] offset0:72 offset1:76
	v_xor_b32_e32 v14, v1, v44
	v_lshlrev_b32_e32 v15, 8, v52
	s_addc_u32 s1, s7, s31
	v_lshl_or_b32 v14, v14, 1, v15
	s_mul_hi_i32 s3, s24, s17
	s_mul_i32 s24, s24, s17
	ds_write_b64 v14, v[10:11] offset:32768
	v_xor_b32_e32 v10, v55, v44
	s_add_u32 s6, s24, s33
	v_lshl_or_b32 v10, v10, 1, v15
	s_addc_u32 s7, s3, s18
	v_lshlrev_b32_e32 v11, 1, v52
	ds_write_b64 v10, v[12:13] offset:32768
	v_lshrrev_b32_e32 v10, 4, v0
	s_ashr_i32 s3, s2, 31
	s_lshl_b64 s[6:7], s[6:7], 15
	v_or_b32_e32 v12, 1, v11
	s_waitcnt lgkmcnt(0)
	s_add_u32 s6, s12, s6
	v_xor_b32_e32 v11, v10, v11
	v_xor_b32_e32 v12, v12, v10
	v_lshlrev_b32_e32 v14, 8, v10
	s_addc_u32 s7, s13, s7
	s_lshl_b64 s[2:3], s[2:3], 8
	v_lshl_or_b32 v10, v11, 3, v14
	v_lshl_or_b32 v12, v12, 3, v14
	s_barrier
	s_add_u32 s2, s6, s2
	ds_read_b64 v[10:11], v10 offset:32768
	ds_read_b64 v[12:13], v12 offset:32768
	s_addc_u32 s3, s7, s3
	v_mov_b32_e32 v15, 0
	s_cmp_lg_u32 s45, 64
	v_lshl_add_u64 v[16:17], s[2:3], 0, v[14:15]
	v_lshlrev_b32_e32 v14, 4, v52
	s_cselect_b64 s[6:7], -1, 0
	v_lshl_or_b32 v35, v48, 3, v54
	s_mov_b32 s24, 0
	v_lshl_add_u64 v[14:15], v[16:17], 0, v[14:15]
	s_waitcnt vmcnt(1)
	v_or_b32_e32 v27, 32, v35
	v_and_b32_e32 v26, 56, v53
	s_and_b64 vcc, exec, s[6:7]
	s_waitcnt lgkmcnt(0)
	global_store_dwordx4 v[14:15], v[10:13], off
	s_cbranch_vccz .LBB637_31
; %bb.26:
	s_mov_b32 s25, s24
	s_mov_b32 s26, s24
	;; [unrolled: 1-line block ×3, first 2 shown]
	v_mov_b64_e32 v[14:15], s[24:25]
	v_mov_b64_e32 v[16:17], s[26:27]
	;; [unrolled: 1-line block ×3, first 2 shown]
	v_cmp_gt_i32_e32 vcc, s45, v35
	v_mov_b64_e32 v[12:13], v[16:17]
	s_and_saveexec_b64 s[2:3], vcc
	s_cbranch_execz .LBB637_28
; %bb.27:
	v_lshlrev_b32_e32 v10, 8, v35
	v_mov_b32_e32 v11, 0
	v_lshl_add_u64 v[12:13], s[0:1], 0, v[10:11]
	v_lshlrev_b32_e32 v10, 1, v26
	v_lshl_add_u64 v[18:19], v[12:13], 0, v[10:11]
	global_load_dwordx4 v[14:17], v[18:19], off
	global_load_dwordx4 v[10:13], v[18:19], off offset:128
.LBB637_28:
	s_or_b64 exec, exec, s[2:3]
	s_mov_b32 s25, s24
	s_mov_b32 s26, s24
	;; [unrolled: 1-line block ×3, first 2 shown]
	v_mov_b64_e32 v[22:23], s[24:25]
	v_mov_b64_e32 v[24:25], s[26:27]
	;; [unrolled: 1-line block ×3, first 2 shown]
	v_cmp_gt_i32_e32 vcc, s45, v27
	v_lshlrev_b32_e32 v28, 7, v27
	v_mov_b64_e32 v[20:21], v[24:25]
	s_and_saveexec_b64 s[2:3], vcc
	s_cbranch_execz .LBB637_30
; %bb.29:
	v_lshlrev_b32_e32 v18, 1, v28
	v_mov_b32_e32 v19, 0
	v_lshl_add_u64 v[20:21], s[0:1], 0, v[18:19]
	v_lshlrev_b32_e32 v18, 1, v26
	v_lshl_add_u64 v[30:31], v[20:21], 0, v[18:19]
	global_load_dwordx4 v[22:25], v[30:31], off
	global_load_dwordx4 v[18:21], v[30:31], off offset:128
.LBB637_30:
	s_or_b64 exec, exec, s[2:3]
	v_lshrrev_b32_e32 v29, 3, v26
	v_lshlrev_b32_e32 v30, 3, v35
	v_or_b32_e32 v29, v30, v29
	v_lshlrev_b32_e32 v29, 4, v29
	v_and_b32_e32 v30, 0x78, v30
	v_xor_b32_e32 v29, v29, v30
	s_branch .LBB637_33
.LBB637_31:
                                        ; implicit-def: $vgpr29
                                        ; implicit-def: $vgpr28
                                        ; implicit-def: $vgpr14_vgpr15_vgpr16_vgpr17
                                        ; implicit-def: $vgpr10_vgpr11_vgpr12_vgpr13
                                        ; implicit-def: $vgpr22_vgpr23_vgpr24_vgpr25
                                        ; implicit-def: $vgpr18_vgpr19_vgpr20_vgpr21
	s_cbranch_execz .LBB637_33
; %bb.32:
	s_waitcnt vmcnt(0)
	v_lshlrev_b32_e32 v10, 1, v26
	v_lshl_or_b32 v28, v35, 8, v10
	s_and_b32 s1, s1, 0xffff
	s_mov_b32 s3, 0x20000
	s_movk_i32 s2, 0x4000
	v_lshl_or_b32 v29, v27, 8, v10
	s_movk_i32 s12, 0x80
	buffer_load_dwordx4 v[14:17], v28, s[0:3], 0 offen
	buffer_load_dwordx4 v[10:13], v28, s[0:3], s12 offen
	;; [unrolled: 1-line block ×4, first 2 shown]
	v_lshrrev_b32_e32 v28, 3, v26
	v_lshlrev_b32_e32 v29, 3, v35
	v_or_b32_e32 v28, v29, v28
	v_lshlrev_b32_e32 v28, 4, v28
	v_and_b32_e32 v29, 0x78, v29
	v_xor_b32_e32 v29, v28, v29
	v_lshlrev_b32_e32 v28, 7, v27
.LBB637_33:
	s_lshl_b64 s[0:1], s[42:43], 8
	s_add_u32 s4, s4, s0
	s_movk_i32 s0, 0x1000
	v_and_or_b32 v27, v28, s0, v29
	s_waitcnt vmcnt(1)
	ds_write_b64 v29, v[14:15] offset:16384
	v_xor_b32_e32 v14, 8, v29
	ds_write_b64 v14, v[16:17] offset:16384
	s_waitcnt vmcnt(0)
	ds_write_b64 v29, v[10:11] offset:24576
	ds_write_b64 v14, v[12:13] offset:24576
	;; [unrolled: 1-line block ×3, first 2 shown]
	v_xor_b32_e32 v10, 8, v27
	ds_write_b64 v10, v[24:25] offset:16384
	ds_write_b64 v27, v[18:19] offset:24576
	;; [unrolled: 1-line block ×3, first 2 shown]
	v_or_b32_e32 v10, v49, v52
	s_addc_u32 s5, s5, s1
	s_add_i32 s2, s16, -1
	v_lshlrev_b32_e32 v10, 3, v10
	v_lshrrev_b32_e32 v12, 5, v50
	s_movk_i32 s16, 0xf8
	v_and_or_b32 v12, v10, s16, v12
	v_lshlrev_b32_e32 v45, 11, v48
	v_lshlrev_b32_e32 v20, 4, v12
	v_and_b32_e32 v21, 0x78, v10
	v_and_b32_e32 v22, 0x1000, v45
	v_lshlrev_b32_e32 v11, 2, v0
	v_xor_b32_e32 v10, v20, v21
	v_lshrrev_b32_e32 v12, 1, v50
	v_and_b32_e32 v11, 60, v11
	v_or_b32_e32 v10, v10, v22
	v_and_b32_e32 v23, 8, v12
	v_xor_b32_e32 v36, v10, v23
	v_lshl_or_b32 v10, v51, 6, v11
	v_lshlrev_b32_e32 v46, 1, v10
	v_or_b32_e32 v10, 32, v20
	v_xor_b32_e32 v10, v10, v21
	s_waitcnt lgkmcnt(0)
	s_barrier
	ds_read_b64 v[18:19], v36 offset:16384
	v_or_b32_e32 v10, v10, v22
	v_xor_b32_e32 v37, v10, v23
	v_or_b32_e32 v10, 64, v20
	v_xor_b32_e32 v10, v10, v21
	v_or_b32_e32 v10, v10, v22
	v_or_b32_e32 v20, 0x60, v20
	v_xor_b32_e32 v38, v10, v23
	ds_read2st64_b64 v[10:13], v46 offset0:72 offset1:73
	ds_read2st64_b64 v[14:17], v46 offset0:74 offset1:75
	v_xor_b32_e32 v24, v20, v21
	ds_read_b64 v[20:21], v37 offset:16384
	s_waitcnt lgkmcnt(2)
	v_mfma_f32_16x16x16_bf16 a[0:3], v[18:19], v[10:11], 0
	s_add_i32 s0, s46, s21
	s_mul_i32 s39, s39, s20
	s_add_i32 s39, s0, s39
	s_mul_i32 s0, s33, s23
	s_mul_hi_u32 s1, s33, s22
	s_ashr_i32 s3, s2, 31
	s_mul_i32 s12, s2, s37
	s_mul_hi_u32 s13, s2, s36
	s_add_i32 s0, s1, s0
	s_mul_i32 s1, s18, s22
	s_add_i32 s12, s13, s12
	s_mul_i32 s3, s3, s36
	v_or_b32_e32 v22, v24, v22
	s_add_i32 s1, s0, s1
	s_add_i32 s3, s12, s3
	s_lshl_b64 s[12:13], s[38:39], 2
	v_xor_b32_e32 v47, v22, v23
	ds_read_b64 v[22:23], v38 offset:16384
	ds_read_b64 v[24:25], v47 offset:16384
	s_waitcnt lgkmcnt(2)
	v_mfma_f32_16x16x16_bf16 a[0:3], v[20:21], v[12:13], a[0:3]
	s_mul_i32 s0, s33, s22
	s_add_u32 s10, s10, s12
	s_addc_u32 s11, s11, s13
	s_lshl_b64 s[0:1], s[0:1], 2
	s_mul_i32 s2, s2, s36
	s_add_u32 s10, s10, s0
	s_addc_u32 s11, s11, s1
	s_lshl_b64 s[0:1], s[2:3], 2
	s_waitcnt lgkmcnt(1)
	v_mfma_f32_16x16x16_bf16 a[0:3], v[22:23], v[14:15], a[0:3]
	s_add_u32 s0, s10, s0
	s_addc_u32 s1, s11, s1
	s_load_dword s12, s[0:1], 0x0
	s_waitcnt lgkmcnt(0)
	v_mfma_f32_16x16x16_bf16 a[0:3], v[24:25], v[16:17], a[0:3]
	s_and_b64 vcc, exec, s[40:41]
	s_cbranch_vccz .LBB637_44
; %bb.34:
	v_lshlrev_b32_e32 v27, 1, v35
	s_and_b64 vcc, exec, s[6:7]
	s_cbranch_vccz .LBB637_45
; %bb.35:
	v_cmp_gt_i32_e32 vcc, s45, v27
	v_mov_b32_e32 v14, 0
	v_mov_b32_e32 v10, 0
	;; [unrolled: 1-line block ×5, first 2 shown]
	s_and_saveexec_b64 s[0:1], vcc
	s_cbranch_execz .LBB637_37
; %bb.36:
	v_mad_i64_i32 v[10:11], s[2:3], s19, v27, 0
	v_lshl_add_u64 v[10:11], v[10:11], 1, s[4:5]
	v_lshlrev_b32_e32 v12, 1, v26
	v_mov_b32_e32 v13, 0
	v_lshl_add_u64 v[10:11], v[10:11], 0, v[12:13]
	global_load_dwordx4 v[10:13], v[10:11], off
.LBB637_37:
	s_or_b64 exec, exec, s[0:1]
	v_or_b32_e32 v28, 1, v27
	v_cmp_gt_i32_e64 s[0:1], s45, v28
	v_mov_b32_e32 v15, 0
	v_mov_b32_e32 v16, 0
	;; [unrolled: 1-line block ×3, first 2 shown]
	s_and_saveexec_b64 s[2:3], s[0:1]
	s_cbranch_execz .LBB637_39
; %bb.38:
	v_mad_i64_i32 v[14:15], s[16:17], s19, v28, 0
	v_lshl_add_u64 v[14:15], v[14:15], 1, s[4:5]
	v_lshlrev_b32_e32 v16, 1, v26
	v_mov_b32_e32 v17, 0
	v_lshl_add_u64 v[14:15], v[14:15], 0, v[16:17]
	global_load_dwordx4 v[14:17], v[14:15], off
.LBB637_39:
	s_or_b64 exec, exec, s[2:3]
	v_mov_b32_e32 v25, 0
	v_mov_b32_e32 v18, 0
	;; [unrolled: 1-line block ×5, first 2 shown]
	s_and_saveexec_b64 s[2:3], vcc
	s_cbranch_execz .LBB637_41
; %bb.40:
	v_mad_i64_i32 v[18:19], s[16:17], s19, v27, 0
	v_lshl_add_u64 v[18:19], v[18:19], 1, s[4:5]
	v_lshlrev_b32_e32 v20, 1, v26
	v_mov_b32_e32 v21, 0
	v_lshl_add_u64 v[18:19], v[18:19], 0, v[20:21]
	global_load_dwordx4 v[18:21], v[18:19], off offset:128
.LBB637_41:
	s_or_b64 exec, exec, s[2:3]
	v_mov_b32_e32 v24, 0
	v_mov_b32_e32 v23, 0
	;; [unrolled: 1-line block ×3, first 2 shown]
	s_and_saveexec_b64 s[2:3], s[0:1]
	s_cbranch_execz .LBB637_43
; %bb.42:
	v_mad_i64_i32 v[22:23], s[0:1], s19, v28, 0
	v_lshl_add_u64 v[22:23], v[22:23], 1, s[4:5]
	v_lshlrev_b32_e32 v24, 1, v26
	v_mov_b32_e32 v25, 0
	v_lshl_add_u64 v[22:23], v[22:23], 0, v[24:25]
	global_load_dwordx4 v[22:25], v[22:23], off offset:128
.LBB637_43:
	s_or_b64 exec, exec, s[2:3]
	s_branch .LBB637_47
.LBB637_44:
                                        ; implicit-def: $vgpr13
                                        ; implicit-def: $vgpr17
                                        ; implicit-def: $vgpr21
                                        ; implicit-def: $vgpr25
	v_lshrrev_b32_e32 v50, 2, v50
	s_branch .LBB637_48
.LBB637_45:
                                        ; implicit-def: $vgpr13
                                        ; implicit-def: $vgpr17
                                        ; implicit-def: $vgpr21
                                        ; implicit-def: $vgpr25
	s_cbranch_execz .LBB637_47
; %bb.46:
	s_waitcnt vmcnt(0)
	v_mad_u64_u32 v[10:11], s[0:1], v27, s19, v[26:27]
	v_lshlrev_b32_e32 v27, 1, v10
	s_lshl_b32 s2, s19, 7
	s_and_b32 s1, s5, 0xffff
	s_mov_b32 s3, 0x20000
	s_mov_b32 s0, s4
	v_add_lshl_u32 v28, v10, s19, 1
	s_movk_i32 s13, 0x80
	buffer_load_dwordx4 v[10:13], v27, s[0:3], 0 offen
	buffer_load_dwordx4 v[18:21], v27, s[0:3], s13 offen
	;; [unrolled: 1-line block ×4, first 2 shown]
.LBB637_47:
	v_lshrrev_b32_e32 v50, 2, v50
	s_cbranch_execnz .LBB637_60
.LBB637_48:
	s_and_b64 vcc, exec, s[6:7]
	s_cbranch_vccz .LBB637_58
; %bb.49:
	s_waitcnt vmcnt(0)
	v_lshlrev_b32_e32 v15, 1, v35
	v_cmp_gt_i32_e32 vcc, s45, v15
	v_mov_b32_e32 v14, 0
	v_lshlrev_b32_e32 v22, 9, v35
	v_mov_b32_e32 v10, 0
	v_mov_b32_e32 v11, 0
	;; [unrolled: 1-line block ×4, first 2 shown]
	s_and_saveexec_b64 s[0:1], vcc
	s_cbranch_execz .LBB637_51
; %bb.50:
	v_mov_b32_e32 v23, 0
	v_lshl_add_u64 v[10:11], s[4:5], 0, v[22:23]
	v_lshlrev_b32_e32 v12, 1, v26
	v_mov_b32_e32 v13, v23
	v_lshl_add_u64 v[10:11], v[10:11], 0, v[12:13]
	global_load_dwordx4 v[10:13], v[10:11], off
.LBB637_51:
	s_or_b64 exec, exec, s[0:1]
	v_or_b32_e32 v15, 1, v15
	v_cmp_gt_i32_e64 s[0:1], s45, v15
	v_lshlrev_b32_e32 v28, 8, v15
	v_mov_b32_e32 v15, 0
	v_mov_b32_e32 v16, 0
	;; [unrolled: 1-line block ×3, first 2 shown]
	s_and_saveexec_b64 s[2:3], s[0:1]
	s_cbranch_execz .LBB637_53
; %bb.52:
	v_mov_b32_e32 v29, 0
	v_lshl_add_u64 v[14:15], s[4:5], 0, v[28:29]
	v_lshlrev_b32_e32 v16, 1, v26
	v_mov_b32_e32 v17, v29
	v_lshl_add_u64 v[14:15], v[14:15], 0, v[16:17]
	global_load_dwordx4 v[14:17], v[14:15], off
.LBB637_53:
	s_or_b64 exec, exec, s[2:3]
	v_mov_b32_e32 v25, 0
	v_mov_b32_e32 v18, 0
	;; [unrolled: 1-line block ×5, first 2 shown]
	s_and_saveexec_b64 s[2:3], vcc
	s_cbranch_execz .LBB637_55
; %bb.54:
	v_mov_b32_e32 v23, 0
	v_lshl_add_u64 v[18:19], s[4:5], 0, v[22:23]
	v_lshlrev_b32_e32 v22, 1, v26
	v_lshl_add_u64 v[18:19], v[18:19], 0, v[22:23]
	global_load_dwordx4 v[18:21], v[18:19], off offset:128
.LBB637_55:
	s_or_b64 exec, exec, s[2:3]
	v_mov_b32_e32 v24, 0
	v_mov_b32_e32 v23, 0
	;; [unrolled: 1-line block ×3, first 2 shown]
	s_and_saveexec_b64 s[2:3], s[0:1]
	s_cbranch_execz .LBB637_57
; %bb.56:
	v_mov_b32_e32 v29, 0
	v_lshl_add_u64 v[22:23], s[4:5], 0, v[28:29]
	v_lshlrev_b32_e32 v28, 1, v26
	v_lshl_add_u64 v[22:23], v[22:23], 0, v[28:29]
	global_load_dwordx4 v[22:25], v[22:23], off offset:128
.LBB637_57:
	s_or_b64 exec, exec, s[2:3]
	s_branch .LBB637_60
.LBB637_58:
                                        ; implicit-def: $vgpr13
                                        ; implicit-def: $vgpr17
                                        ; implicit-def: $vgpr21
                                        ; implicit-def: $vgpr25
	s_cbranch_execz .LBB637_60
; %bb.59:
	s_waitcnt vmcnt(0)
	v_lshlrev_b32_e32 v10, 1, v26
	v_lshl_or_b32 v26, v35, 9, v10
	s_and_b32 s5, s5, 0xffff
	s_mov_b32 s7, 0x20000
	s_movk_i32 s6, 0x4000
	s_movk_i32 s0, 0x80
	buffer_load_dwordx4 v[10:13], v26, s[4:7], 0 offen
	buffer_load_dwordx4 v[14:17], v26, s[4:7], 0 offen offset:256
	buffer_load_dwordx4 v[18:21], v26, s[4:7], s0 offen
	buffer_load_dwordx4 v[22:25], v26, s[4:7], s0 offen offset:256
.LBB637_60:
	ds_read2st64_b64 v[30:33], v46 offset0:76 offset1:77
	ds_read2st64_b64 v[26:29], v46 offset0:78 offset1:79
	ds_read_b64 v[42:43], v36 offset:24576
	ds_read_b64 v[40:41], v37 offset:24576
	;; [unrolled: 1-line block ×4, first 2 shown]
	v_and_b32_e32 v47, 6, v0
	v_xor_b32_e32 v35, v35, v47
	v_lshlrev_b32_e32 v35, 2, v35
	v_and_b32_e32 v51, 1, v0
	v_xor_b32_e32 v52, 0x440, v35
	v_cmp_eq_u32_e32 vcc, 0, v51
	s_mov_b32 s0, 0x1000504
	s_waitcnt vmcnt(0)
	v_perm_b32 v51, v18, v22, s0
	v_cndmask_b32_e32 v35, v52, v35, vcc
	v_lshl_or_b32 v35, v47, 10, v35
	v_perm_b32 v47, v10, v14, s0
	ds_write2st64_b32 v35, v47, v51 offset1:32
	v_xor_b32_e32 v47, 8, v35
	s_mov_b32 s1, 0x3020706
	v_perm_b32 v10, v10, v14, s1
	v_perm_b32 v14, v18, v22, s1
	v_add_u32_e32 v18, 0x80, v47
	ds_write2st64_b32 v18, v10, v14 offset1:32
	v_xor_b32_e32 v10, 16, v35
	v_perm_b32 v14, v11, v15, s0
	v_perm_b32 v18, v19, v23, s0
	ds_write2st64_b32 v10, v14, v18 offset0:1 offset1:33
	v_xor_b32_e32 v10, 24, v35
	v_perm_b32 v11, v11, v15, s1
	v_perm_b32 v14, v19, v23, s1
	v_add_u32_e32 v10, 0x80, v10
	ds_write2st64_b32 v10, v11, v14 offset0:1 offset1:33
	v_xor_b32_e32 v10, 32, v35
	v_perm_b32 v11, v12, v16, s0
	v_perm_b32 v14, v20, v24, s0
	ds_write2st64_b32 v10, v11, v14 offset0:2 offset1:34
	v_xor_b32_e32 v10, 40, v35
	v_perm_b32 v11, v12, v16, s1
	v_perm_b32 v12, v20, v24, s1
	v_add_u32_e32 v10, 0x80, v10
	ds_write2st64_b32 v10, v11, v12 offset0:2 offset1:34
	v_xor_b32_e32 v10, 48, v35
	v_perm_b32 v11, v13, v17, s0
	v_perm_b32 v12, v21, v25, s0
	ds_write2st64_b32 v10, v11, v12 offset0:3 offset1:35
	v_xor_b32_e32 v10, 56, v35
	v_and_or_b32 v18, v50, 12, v49
	v_perm_b32 v11, v13, v17, s1
	v_perm_b32 v12, v21, v25, s1
	v_add_u32_e32 v10, 0x80, v10
	v_cmp_gt_i32_e32 vcc, s45, v18
	v_mov_b32_e32 v20, 0
	v_mov_b32_e32 v24, 0
	ds_write2st64_b32 v10, v11, v12 offset0:3 offset1:35
	s_and_saveexec_b64 s[0:1], vcc
	s_cbranch_execz .LBB637_62
; %bb.61:
	v_add_u32_e32 v10, s44, v18
	v_ashrrev_i32_e32 v11, 31, v10
	v_mul_lo_u32 v12, v11, s36
	v_mul_lo_u32 v13, v10, s37
	v_mad_u64_u32 v[10:11], s[2:3], v10, s36, 0
	v_add3_u32 v11, v11, v13, v12
	v_lshl_add_u64 v[10:11], v[10:11], 2, s[10:11]
	global_load_dword v10, v[10:11], off
	s_waitcnt vmcnt(0)
	v_sub_f32_e32 v10, s12, v10
	v_mul_f32_e32 v10, 0x3fb8aa3b, v10
	v_exp_f32_e32 v24, v10
.LBB637_62:
	s_or_b64 exec, exec, s[0:1]
	v_or_b32_e32 v23, 1, v18
	v_cmp_gt_i32_e64 s[4:5], s45, v23
	s_and_saveexec_b64 s[0:1], s[4:5]
	s_cbranch_execz .LBB637_64
; %bb.63:
	v_add_u32_e32 v10, s44, v23
	v_ashrrev_i32_e32 v11, 31, v10
	v_mul_lo_u32 v12, v11, s36
	v_mul_lo_u32 v13, v10, s37
	v_mad_u64_u32 v[10:11], s[2:3], v10, s36, 0
	v_add3_u32 v11, v11, v13, v12
	v_lshl_add_u64 v[10:11], v[10:11], 2, s[10:11]
	global_load_dword v10, v[10:11], off
	s_waitcnt vmcnt(0)
	v_sub_f32_e32 v10, s12, v10
	v_mul_f32_e32 v10, 0x3fb8aa3b, v10
	v_exp_f32_e32 v20, v10
.LBB637_64:
	s_or_b64 exec, exec, s[0:1]
	v_or_b32_e32 v21, 2, v18
	v_cmp_gt_i32_e64 s[0:1], s45, v21
	v_mov_b32_e32 v19, 0
	v_mov_b32_e32 v25, 0
	s_and_saveexec_b64 s[2:3], s[0:1]
	s_cbranch_execz .LBB637_66
; %bb.65:
	v_add_u32_e32 v10, s44, v21
	v_ashrrev_i32_e32 v11, 31, v10
	v_mul_lo_u32 v12, v11, s36
	v_mul_lo_u32 v13, v10, s37
	v_mad_u64_u32 v[10:11], s[6:7], v10, s36, 0
	v_add3_u32 v11, v11, v13, v12
	v_lshl_add_u64 v[10:11], v[10:11], 2, s[10:11]
	global_load_dword v10, v[10:11], off
	s_waitcnt vmcnt(0)
	v_sub_f32_e32 v10, s12, v10
	v_mul_f32_e32 v10, 0x3fb8aa3b, v10
	v_exp_f32_e32 v25, v10
.LBB637_66:
	s_or_b64 exec, exec, s[2:3]
	v_or_b32_e32 v22, 3, v18
	v_cmp_gt_i32_e64 s[2:3], s45, v22
	s_and_saveexec_b64 s[6:7], s[2:3]
	s_cbranch_execz .LBB637_68
; %bb.67:
	v_add_u32_e32 v10, s44, v22
	v_ashrrev_i32_e32 v11, 31, v10
	v_mul_lo_u32 v12, v11, s36
	v_mul_lo_u32 v13, v10, s37
	v_mad_u64_u32 v[10:11], s[16:17], v10, s36, 0
	v_add3_u32 v11, v11, v13, v12
	v_lshl_add_u64 v[10:11], v[10:11], 2, s[10:11]
	global_load_dword v10, v[10:11], off
	s_waitcnt vmcnt(0)
	v_sub_f32_e32 v10, s12, v10
	v_mul_f32_e32 v10, 0x3fb8aa3b, v10
	v_exp_f32_e32 v19, v10
.LBB637_68:
	s_or_b64 exec, exec, s[6:7]
	s_waitcnt lgkmcnt(11)
	v_mfma_f32_16x16x16_bf16 a[0:3], v[42:43], v[30:31], a[0:3]
	s_add_u32 s6, s8, s30
	v_ashrrev_i32_e32 v35, 31, v34
	s_addc_u32 s7, s9, s31
	s_waitcnt lgkmcnt(10)
	v_mfma_f32_16x16x16_bf16 a[0:3], v[40:41], v[32:33], a[0:3]
	v_lshlrev_b64 v[10:11], 1, v[34:35]
	v_lshl_add_u64 v[14:15], s[6:7], 0, v[10:11]
	s_add_u32 s6, s14, s30
	s_waitcnt lgkmcnt(9)
	v_mfma_f32_16x16x16_bf16 a[0:3], v[38:39], v[26:27], a[0:3]
	s_addc_u32 s7, s15, s31
	v_lshl_add_u64 v[16:17], s[6:7], 0, v[10:11]
	v_mov_b32_e32 v26, 0
	s_waitcnt lgkmcnt(8)
	v_mfma_f32_16x16x16_bf16 a[0:3], v[36:37], v[28:29], a[0:3]
	v_mov_b32_e32 v27, 0
	s_nop 5
	v_accvgpr_read_b32 v13, a3
	v_accvgpr_read_b32 v12, a2
	;; [unrolled: 1-line block ×4, first 2 shown]
	s_and_saveexec_b64 s[6:7], vcc
	s_cbranch_execz .LBB637_70
; %bb.69:
	v_lshlrev_b32_e32 v28, 8, v18
	v_mov_b32_e32 v29, 0
	v_lshl_add_u64 v[30:31], v[14:15], 0, v[28:29]
	global_load_ushort v27, v[30:31], off
	v_lshl_add_u64 v[28:29], v[16:17], 0, v[28:29]
	s_waitcnt vmcnt(0)
	v_lshlrev_b32_e32 v27, 16, v27
	v_sub_f32_e32 v10, v27, v10
	global_store_short_d16_hi v[28:29], v10, off
	v_mul_f32_e32 v10, v24, v10
	v_lshrrev_b32_e32 v27, 16, v10
.LBB637_70:
	s_or_b64 exec, exec, s[6:7]
	s_and_saveexec_b64 s[6:7], s[4:5]
	s_cbranch_execz .LBB637_72
; %bb.71:
	v_lshlrev_b32_e32 v28, 8, v23
	v_mov_b32_e32 v29, 0
	v_lshl_add_u64 v[30:31], v[14:15], 0, v[28:29]
	global_load_ushort v10, v[30:31], off
	v_lshl_add_u64 v[28:29], v[16:17], 0, v[28:29]
	s_waitcnt vmcnt(0)
	v_lshlrev_b32_e32 v10, 16, v10
	v_sub_f32_e32 v10, v10, v11
	global_store_short_d16_hi v[28:29], v10, off
	v_mul_f32_e32 v10, v20, v10
	v_lshrrev_b32_e32 v26, 16, v10
.LBB637_72:
	s_or_b64 exec, exec, s[6:7]
	v_mov_b32_e32 v11, 0
	v_mov_b32_e32 v20, 0
	s_and_saveexec_b64 s[4:5], s[0:1]
	s_cbranch_execz .LBB637_74
; %bb.73:
	v_lshlrev_b32_e32 v20, 8, v21
	v_mov_b32_e32 v21, 0
	v_lshl_add_u64 v[28:29], v[14:15], 0, v[20:21]
	global_load_ushort v10, v[28:29], off
	v_lshl_add_u64 v[20:21], v[16:17], 0, v[20:21]
	s_waitcnt vmcnt(0)
	v_lshlrev_b32_e32 v10, 16, v10
	v_sub_f32_e32 v10, v10, v12
	global_store_short_d16_hi v[20:21], v10, off
	v_mul_f32_e32 v10, v25, v10
	v_lshrrev_b32_e32 v20, 16, v10
.LBB637_74:
	s_or_b64 exec, exec, s[4:5]
	v_or_b32_e32 v10, 0x9800, v46
	s_and_saveexec_b64 s[0:1], s[2:3]
	s_cbranch_execz .LBB637_76
; %bb.75:
	v_lshlrev_b32_e32 v22, 8, v22
	v_mov_b32_e32 v23, 0
	v_lshl_add_u64 v[14:15], v[14:15], 0, v[22:23]
	global_load_ushort v11, v[14:15], off
	v_lshl_add_u64 v[14:15], v[16:17], 0, v[22:23]
	s_waitcnt vmcnt(0)
	v_lshlrev_b32_e32 v11, 16, v11
	v_sub_f32_e32 v11, v11, v13
	global_store_short_d16_hi v[14:15], v11, off
	v_mul_f32_e32 v11, v19, v11
	v_lshrrev_b32_e32 v11, 16, v11
.LBB637_76:
	s_or_b64 exec, exec, s[0:1]
	s_mov_b32 s0, 0x5040100
	v_perm_b32 v13, v11, v20, s0
	v_lshlrev_b32_e32 v11, 1, v44
	v_perm_b32 v12, v26, v27, s0
	v_lshl_or_b32 v11, v18, 5, v11
	s_movk_i32 s0, 0xff
	ds_write_b64 v11, v[12:13] offset:38912
	v_and_b32_e32 v11, 7, v0
	v_and_b32_e32 v12, 8, v0
	v_cmp_lt_u32_e32 vcc, s0, v0
	v_lshrrev_b32_e32 v0, 1, v0
	v_lshlrev_b32_e32 v22, 3, v11
	v_lshlrev_b32_e32 v23, 7, v11
	v_cndmask_b32_e64 v11, 0, 1, vcc
	v_lshlrev_b32_e32 v25, 3, v48
	v_and_b32_e32 v0, 24, v0
	v_lshlrev_b32_e32 v24, 13, v11
	v_xor_b32_e32 v11, v25, v0
	v_or_b32_e32 v13, 0x440, v11
	v_cmp_eq_u32_e32 vcc, 0, v12
	s_waitcnt lgkmcnt(0)
	s_barrier
	v_cndmask_b32_e32 v11, v13, v11, vcc
	v_or_b32_e32 v11, v11, v45
	v_xad_u32 v26, v11, v22, v23
	v_add_u32_e32 v11, v24, v26
	ds_read_b64 v[20:21], v11
	ds_read2st64_b64 v[12:15], v10 offset1:1
	ds_read2st64_b64 v[16:19], v10 offset0:2 offset1:3
	v_or_b32_e32 v10, 32, v0
	v_xor_b32_e32 v10, v25, v10
	v_or_b32_e32 v11, 0x440, v10
	v_cndmask_b32_e32 v10, v11, v10, vcc
	v_or_b32_e32 v10, v10, v45
	v_xad_u32 v27, v10, v22, v23
	v_add_u32_e32 v10, v24, v27
	ds_read_b64 v[10:11], v10
	s_waitcnt lgkmcnt(2)
	v_mfma_f32_16x16x16_bf16 a[0:3], v[20:21], v[12:13], 0
	s_waitcnt lgkmcnt(0)
	v_mfma_f32_16x16x16_bf16 a[0:3], v[10:11], v[14:15], a[0:3]
	v_or_b32_e32 v10, 64, v0
	v_xor_b32_e32 v10, v25, v10
	v_xor_b32_e32 v11, 0x440, v10
	v_cndmask_b32_e32 v10, v11, v10, vcc
	v_or_b32_e32 v10, v10, v45
	v_xad_u32 v28, v10, v22, v23
	v_add_u32_e32 v10, v24, v28
	ds_read_b64 v[10:11], v10
	v_or_b32_e32 v0, 0x60, v0
	v_xor_b32_e32 v0, v25, v0
	v_xor_b32_e32 v20, 0x440, v0
	v_cndmask_b32_e32 v0, v20, v0, vcc
	v_or_b32_e32 v0, v0, v45
	v_xad_u32 v0, v0, v22, v23
	v_add_u32_e32 v20, v24, v0
	ds_read_b64 v[20:21], v20
	s_waitcnt lgkmcnt(1)
	v_mfma_f32_16x16x16_bf16 a[0:3], v[10:11], v[16:17], a[0:3]
	ds_read_b64 v[10:11], v26 offset:8192
	ds_read_b64 v[22:23], v27 offset:8192
	v_mov_b32_e32 v24, 0x3fb8aa3b
	s_waitcnt lgkmcnt(2)
	v_mfma_f32_16x16x16_bf16 a[0:3], v[20:21], v[18:19], a[0:3]
	v_mul_f32_e32 v20, s12, v24
	v_exp_f32_e32 v24, v20
	ds_read_b64 v[20:21], v28 offset:8192
	s_waitcnt lgkmcnt(2)
	v_mfma_f32_16x16x16_bf16 a[4:7], v[10:11], v[12:13], 0
	s_nop 1
	v_accvgpr_read_b32 v10, a0
	v_fma_f32 v12, v2, v24, v10
	ds_read_b64 v[10:11], v0 offset:8192
	s_waitcnt lgkmcnt(2)
	v_mfma_f32_16x16x16_bf16 a[4:7], v[22:23], v[14:15], a[4:7]
	v_accvgpr_read_b32 v0, a1
	v_fma_f32 v13, v3, v24, v0
	v_accvgpr_read_b32 v0, a2
	s_waitcnt lgkmcnt(1)
	v_mfma_f32_16x16x16_bf16 a[4:7], v[20:21], v[16:17], a[4:7]
	v_accvgpr_read_b32 v15, a3
	v_fma_f32 v14, v4, v24, v0
	v_fmac_f32_e32 v15, v5, v24
	s_waitcnt lgkmcnt(0)
	v_mfma_f32_16x16x16_bf16 a[0:3], v[10:11], v[18:19], a[4:7]
	v_mov_b32_e32 v10, v34
	s_nop 5
	v_accvgpr_read_b32 v0, a0
	v_fma_f32 v16, v6, v24, v0
	v_accvgpr_read_b32 v0, a1
	v_fma_f32 v17, v7, v24, v0
	v_accvgpr_read_b32 v0, a2
	v_accvgpr_read_b32 v19, a3
	v_fma_f32 v18, v8, v24, v0
	v_fmac_f32_e32 v19, v9, v24
	v_mov_b64_e32 v[2:3], v[12:13]
	v_mov_b64_e32 v[4:5], v[14:15]
	;; [unrolled: 1-line block ×4, first 2 shown]
.LBB637_77:
	s_lshl_b64 s[0:1], s[28:29], 15
	s_waitcnt lgkmcnt(0)
	s_add_u32 s0, s34, s0
	v_lshlrev_b32_e32 v10, 7, v10
	s_addc_u32 s1, s35, s1
	v_ashrrev_i32_e32 v11, 31, v10
	v_lshl_add_u64 v[10:11], v[10:11], 1, s[0:1]
	v_lshlrev_b32_e32 v0, 1, v1
	v_mov_b32_e32 v1, 0
	s_mov_b32 s0, 0x7060302
	v_lshl_add_u64 v[0:1], v[10:11], 0, v[0:1]
	v_perm_b32 v5, v5, v4, s0
	v_perm_b32 v4, v3, v2, s0
	;; [unrolled: 1-line block ×4, first 2 shown]
	global_store_dwordx2 v[0:1], v[4:5], off
	global_store_dwordx2 v[0:1], v[2:3], off offset:128
	s_endpgm
	.section	.rodata,"a",@progbits
	.p2align	6, 0x0
	.amdhsa_kernel _ZN12_GLOBAL__N_139chunk_gated_delta_rule_fwd_h_hip_kernelILi16ELb0ELb1ELb1ELb0ELb0ELb0ELb0ELb1EEEvPK12hip_bfloat16S3_S3_PKfS5_PKvPS1_S8_PvPKiSB_iiiiilll
		.amdhsa_group_segment_fixed_size 40960
		.amdhsa_private_segment_fixed_size 0
		.amdhsa_kernarg_size 136
		.amdhsa_user_sgpr_count 2
		.amdhsa_user_sgpr_dispatch_ptr 0
		.amdhsa_user_sgpr_queue_ptr 0
		.amdhsa_user_sgpr_kernarg_segment_ptr 1
		.amdhsa_user_sgpr_dispatch_id 0
		.amdhsa_user_sgpr_kernarg_preload_length 0
		.amdhsa_user_sgpr_kernarg_preload_offset 0
		.amdhsa_user_sgpr_private_segment_size 0
		.amdhsa_uses_dynamic_stack 0
		.amdhsa_enable_private_segment 0
		.amdhsa_system_sgpr_workgroup_id_x 1
		.amdhsa_system_sgpr_workgroup_id_y 1
		.amdhsa_system_sgpr_workgroup_id_z 0
		.amdhsa_system_sgpr_workgroup_info 0
		.amdhsa_system_vgpr_workitem_id 0
		.amdhsa_next_free_vgpr 116
		.amdhsa_next_free_sgpr 68
		.amdhsa_accum_offset 108
		.amdhsa_reserve_vcc 1
		.amdhsa_float_round_mode_32 0
		.amdhsa_float_round_mode_16_64 0
		.amdhsa_float_denorm_mode_32 3
		.amdhsa_float_denorm_mode_16_64 3
		.amdhsa_dx10_clamp 1
		.amdhsa_ieee_mode 1
		.amdhsa_fp16_overflow 0
		.amdhsa_tg_split 0
		.amdhsa_exception_fp_ieee_invalid_op 0
		.amdhsa_exception_fp_denorm_src 0
		.amdhsa_exception_fp_ieee_div_zero 0
		.amdhsa_exception_fp_ieee_overflow 0
		.amdhsa_exception_fp_ieee_underflow 0
		.amdhsa_exception_fp_ieee_inexact 0
		.amdhsa_exception_int_div_zero 0
	.end_amdhsa_kernel
	.section	.text._ZN12_GLOBAL__N_139chunk_gated_delta_rule_fwd_h_hip_kernelILi16ELb0ELb1ELb1ELb0ELb0ELb0ELb0ELb1EEEvPK12hip_bfloat16S3_S3_PKfS5_PKvPS1_S8_PvPKiSB_iiiiilll,"axG",@progbits,_ZN12_GLOBAL__N_139chunk_gated_delta_rule_fwd_h_hip_kernelILi16ELb0ELb1ELb1ELb0ELb0ELb0ELb0ELb1EEEvPK12hip_bfloat16S3_S3_PKfS5_PKvPS1_S8_PvPKiSB_iiiiilll,comdat
.Lfunc_end637:
	.size	_ZN12_GLOBAL__N_139chunk_gated_delta_rule_fwd_h_hip_kernelILi16ELb0ELb1ELb1ELb0ELb0ELb0ELb0ELb1EEEvPK12hip_bfloat16S3_S3_PKfS5_PKvPS1_S8_PvPKiSB_iiiiilll, .Lfunc_end637-_ZN12_GLOBAL__N_139chunk_gated_delta_rule_fwd_h_hip_kernelILi16ELb0ELb1ELb1ELb0ELb0ELb0ELb0ELb1EEEvPK12hip_bfloat16S3_S3_PKfS5_PKvPS1_S8_PvPKiSB_iiiiilll
                                        ; -- End function
	.section	.AMDGPU.csdata,"",@progbits
; Kernel info:
; codeLenInByte = 8056
; NumSgprs: 74
; NumVgprs: 108
; NumAgprs: 8
; TotalNumVgprs: 116
; ScratchSize: 0
; MemoryBound: 0
; FloatMode: 240
; IeeeMode: 1
; LDSByteSize: 40960 bytes/workgroup (compile time only)
; SGPRBlocks: 9
; VGPRBlocks: 14
; NumSGPRsForWavesPerEU: 74
; NumVGPRsForWavesPerEU: 116
; AccumOffset: 108
; Occupancy: 1
; WaveLimiterHint : 1
; COMPUTE_PGM_RSRC2:SCRATCH_EN: 0
; COMPUTE_PGM_RSRC2:USER_SGPR: 2
; COMPUTE_PGM_RSRC2:TRAP_HANDLER: 0
; COMPUTE_PGM_RSRC2:TGID_X_EN: 1
; COMPUTE_PGM_RSRC2:TGID_Y_EN: 1
; COMPUTE_PGM_RSRC2:TGID_Z_EN: 0
; COMPUTE_PGM_RSRC2:TIDIG_COMP_CNT: 0
; COMPUTE_PGM_RSRC3_GFX90A:ACCUM_OFFSET: 26
; COMPUTE_PGM_RSRC3_GFX90A:TG_SPLIT: 0
	.section	.text._ZN12_GLOBAL__N_139chunk_gated_delta_rule_fwd_h_hip_kernelILi16ELb0ELb1ELb0ELb0ELb0ELb0ELb0ELb1EEEvPK12hip_bfloat16S3_S3_PKfS5_PKvPS1_S8_PvPKiSB_iiiiilll,"axG",@progbits,_ZN12_GLOBAL__N_139chunk_gated_delta_rule_fwd_h_hip_kernelILi16ELb0ELb1ELb0ELb0ELb0ELb0ELb0ELb1EEEvPK12hip_bfloat16S3_S3_PKfS5_PKvPS1_S8_PvPKiSB_iiiiilll,comdat
	.globl	_ZN12_GLOBAL__N_139chunk_gated_delta_rule_fwd_h_hip_kernelILi16ELb0ELb1ELb0ELb0ELb0ELb0ELb0ELb1EEEvPK12hip_bfloat16S3_S3_PKfS5_PKvPS1_S8_PvPKiSB_iiiiilll ; -- Begin function _ZN12_GLOBAL__N_139chunk_gated_delta_rule_fwd_h_hip_kernelILi16ELb0ELb1ELb0ELb0ELb0ELb0ELb0ELb1EEEvPK12hip_bfloat16S3_S3_PKfS5_PKvPS1_S8_PvPKiSB_iiiiilll
	.p2align	8
	.type	_ZN12_GLOBAL__N_139chunk_gated_delta_rule_fwd_h_hip_kernelILi16ELb0ELb1ELb0ELb0ELb0ELb0ELb0ELb1EEEvPK12hip_bfloat16S3_S3_PKfS5_PKvPS1_S8_PvPKiSB_iiiiilll,@function
_ZN12_GLOBAL__N_139chunk_gated_delta_rule_fwd_h_hip_kernelILi16ELb0ELb1ELb0ELb0ELb0ELb0ELb0ELb1EEEvPK12hip_bfloat16S3_S3_PKfS5_PKvPS1_S8_PvPKiSB_iiiiilll: ; @_ZN12_GLOBAL__N_139chunk_gated_delta_rule_fwd_h_hip_kernelILi16ELb0ELb1ELb0ELb0ELb0ELb0ELb0ELb1EEEvPK12hip_bfloat16S3_S3_PKfS5_PKvPS1_S8_PvPKiSB_iiiiilll
; %bb.0:
	s_load_dwordx4 s[12:15], s[0:1], 0x5c
	s_load_dwordx4 s[16:19], s[0:1], 0x70
	s_abs_i32 s22, s3
	s_ashr_i32 s21, s3, 31
	s_load_dwordx8 s[4:11], s[0:1], 0x0
	s_waitcnt lgkmcnt(0)
	s_abs_i32 s20, s13
	v_cvt_f32_u32_e32 v1, s20
	s_sub_i32 s24, 0, s20
	s_ashr_i32 s23, s13, 31
	s_xor_b32 s21, s21, s23
	v_rcp_iflag_f32_e32 v1, v1
	s_load_dwordx2 s[28:29], s[0:1], 0x40
	s_load_dwordx2 s[36:37], s[0:1], 0x30
	;; [unrolled: 1-line block ×3, first 2 shown]
	v_lshrrev_b32_e32 v46, 6, v0
	v_bfe_u32 v49, v0, 4, 2
	v_mul_f32_e32 v1, 0x4f7ffffe, v1
	v_cvt_u32_f32_e32 v1, v1
	v_lshlrev_b32_e32 v47, 4, v46
	v_lshlrev_b32_e32 v10, 2, v49
	v_and_b32_e32 v48, 63, v0
	v_readfirstlane_b32 s25, v1
	s_mul_i32 s24, s24, s25
	s_mul_hi_u32 s24, s25, s24
	s_add_i32 s25, s25, s24
	s_mul_hi_u32 s24, s22, s25
	s_mul_i32 s25, s24, s20
	s_sub_i32 s22, s22, s25
	s_add_i32 s26, s24, 1
	s_sub_i32 s25, s22, s20
	s_cmp_ge_u32 s22, s20
	s_cselect_b32 s24, s26, s24
	s_cselect_b32 s22, s25, s22
	s_add_i32 s25, s24, 1
	s_cmp_ge_u32 s22, s20
	s_cselect_b32 s22, s25, s24
	s_xor_b32 s22, s22, s21
	s_sub_i32 s47, s22, s21
	s_abs_i32 s21, s14
	v_cvt_f32_u32_e32 v1, s21
	s_add_i32 s24, s12, 63
	s_mul_i32 s45, s47, s13
	s_sub_i32 s33, s3, s45
	v_rcp_iflag_f32_e32 v1, v1
	s_ashr_i32 s3, s24, 31
	s_ashr_i32 s46, s12, 31
	s_lshr_b32 s3, s3, 26
	v_mul_f32_e32 v1, 0x4f7ffffe, v1
	v_cvt_u32_f32_e32 v1, v1
	s_lshr_b32 s22, s46, 26
	s_add_i32 s24, s24, s3
	s_add_i32 s22, s12, s22
	s_ashr_i32 s49, s14, 31
	s_ashr_i32 s3, s24, 6
	;; [unrolled: 1-line block ×3, first 2 shown]
	s_xor_b32 s22, s23, s49
	s_sub_i32 s23, 0, s21
	v_readfirstlane_b32 s24, v1
	s_mul_i32 s23, s23, s24
	s_mul_hi_u32 s23, s24, s23
	s_add_i32 s24, s24, s23
	s_mul_hi_u32 s23, s20, s24
	s_mul_i32 s24, s23, s21
	s_sub_i32 s20, s20, s24
	s_add_i32 s24, s23, 1
	s_sub_i32 s25, s20, s21
	s_cmp_ge_u32 s20, s21
	s_cselect_b32 s23, s24, s23
	s_cselect_b32 s20, s25, s20
	s_add_i32 s24, s23, 1
	s_cmp_ge_u32 s20, s21
	s_cselect_b32 s20, s24, s23
	s_xor_b32 s20, s20, s22
	s_sub_i32 s20, s20, s22
	s_abs_i32 s21, s20
	v_cvt_f32_u32_e32 v1, s21
	s_xor_b32 s0, s33, s20
	s_sub_i32 s20, 0, s21
	s_abs_i32 s1, s33
	v_rcp_iflag_f32_e32 v1, v1
	s_ashr_i32 s0, s0, 31
	v_mov_b32_e32 v9, 0
	s_mul_i32 s50, s47, s3
	v_mul_f32_e32 v1, 0x4f7ffffe, v1
	v_cvt_u32_f32_e32 v1, v1
	v_and_b32_e32 v50, 15, v0
	s_mul_hi_i32 s51, s47, s13
	v_lshrrev_b32_e32 v52, 3, v48
	v_readfirstlane_b32 s22, v1
	s_mul_i32 s20, s20, s22
	s_mul_hi_u32 s20, s22, s20
	s_add_i32 s22, s22, s20
	s_mul_hi_u32 s20, s1, s22
	s_mul_i32 s22, s20, s21
	s_sub_i32 s1, s1, s22
	s_add_i32 s22, s20, 1
	s_sub_i32 s23, s1, s21
	s_cmp_ge_u32 s1, s21
	s_cselect_b32 s20, s22, s20
	s_cselect_b32 s1, s23, s1
	s_add_i32 s22, s20, 1
	s_cmp_ge_u32 s1, s21
	s_cselect_b32 s1, s22, s20
	s_xor_b32 s1, s1, s0
	s_sub_i32 s52, s1, s0
	v_or_b32_e32 v1, v10, v47
	s_lshl_b32 s2, s2, 4
	v_or_b32_e32 v53, 64, v1
	s_cmp_lt_i32 s12, 64
	v_lshlrev_b32_e32 v51, 3, v0
	s_mul_i32 s17, s47, s17
	s_mul_hi_u32 s44, s47, s16
	s_mul_i32 s34, s47, s16
	v_mov_b32_e32 v8, v9
	v_mov_b32_e32 v7, v9
	v_mov_b32_e32 v6, v9
	v_mov_b32_e32 v5, v9
	v_mov_b32_e32 v4, v9
	v_mov_b32_e32 v3, v9
	v_mov_b32_e32 v2, v9
	s_cbranch_scc1 .LBB638_18
; %bb.1:
	s_ashr_i32 s3, s47, 31
	s_ashr_i32 s54, s33, 31
	s_add_u32 s0, s45, s33
	s_addc_u32 s1, s51, s54
	s_mul_i32 s1, s12, s1
	s_mul_hi_u32 s20, s12, s0
	s_add_i32 s39, s20, s1
	s_mul_i32 s38, s12, s0
	s_lshl_b64 s[0:1], s[38:39], 8
	v_and_b32_e32 v55, 56, v51
	s_add_u32 s20, s6, s0
	v_lshl_or_b32 v54, v46, 3, v52
	v_lshlrev_b32_e32 v3, 1, v55
	s_addc_u32 s0, s7, s1
	v_lshl_or_b32 v56, v54, 8, v3
	s_and_b32 s21, s0, 0xffff
	s_mov_b32 s23, 0x20000
	s_movk_i32 s22, 0x4000
	s_movk_i32 s0, 0x80
	v_or_b32_e32 v57, 0x2000, v56
	buffer_load_dwordx4 v[4:7], v56, s[20:23], 0 offen
	buffer_load_dwordx4 v[12:15], v56, s[20:23], s0 offen
	;; [unrolled: 1-line block ×4, first 2 shown]
	v_lshlrev_b32_e32 v2, 3, v54
	v_and_or_b32 v9, v0, 7, v2
	v_and_b32_e32 v2, 0x78, v2
	v_lshlrev_b32_e32 v9, 4, v9
	v_xor_b32_e32 v58, v9, v2
	v_mul_lo_u32 v8, v54, s15
	v_or_b32_e32 v59, 0x1000, v58
	v_xor_b32_e32 v2, 8, v58
	s_cmpk_eq_i32 s15, 0x80
	s_mov_b32 s53, s14
	v_xor_b32_e32 v9, 8, v59
	s_cselect_b64 s[0:1], -1, 0
	s_cmpk_lg_i32 s15, 0x80
	s_waitcnt vmcnt(3)
	ds_write_b64 v58, v[4:5] offset:16384
	ds_write_b64 v2, v[6:7] offset:16384
	s_waitcnt vmcnt(2)
	ds_write_b64 v58, v[12:13] offset:24576
	ds_write_b64 v2, v[14:15] offset:24576
	;; [unrolled: 3-line block ×4, first 2 shown]
	v_lshl_add_u32 v2, v8, 1, v55
	s_cbranch_scc0 .LBB638_3
; %bb.2:
	v_lshlrev_b32_e32 v6, 1, v2
	v_add_lshl_u32 v5, v2, s15, 1
	s_lshl_b32 s22, s15, 7
	v_lshl_or_b32 v4, v54, 9, v3
	s_cbranch_execz .LBB638_4
	s_branch .LBB638_5
.LBB638_3:
                                        ; implicit-def: $vgpr5
                                        ; implicit-def: $vgpr6
                                        ; implicit-def: $sgpr22
	v_lshl_or_b32 v4, v54, 9, v3
.LBB638_4:
	v_or_b32_e32 v5, 0x100, v4
	s_movk_i32 s22, 0x4000
	v_mov_b32_e32 v6, v4
.LBB638_5:
	s_mul_hi_u32 s20, s14, s12
	s_mul_i32 s21, s49, s12
	s_add_i32 s20, s20, s21
	s_mul_i32 s21, s14, s12
	s_mul_i32 s23, s21, s3
	s_mul_hi_u32 s24, s21, s47
	s_add_i32 s23, s24, s23
	s_mul_i32 s20, s20, s47
	s_add_i32 s23, s23, s20
	s_mul_i32 s21, s21, s47
	s_ashr_i32 s55, s52, 31
	s_add_u32 s20, s21, s52
	s_addc_u32 s21, s23, s55
	s_lshl_b64 s[20:21], s[20:21], 8
	s_add_u32 s20, s4, s20
	s_addc_u32 s21, s5, s21
	s_and_b32 s21, s21, 0xffff
	s_mov_b32 s23, 0x20000
	s_movk_i32 s56, 0x80
	buffer_load_dwordx4 v[12:15], v6, s[20:23], 0 offen
	buffer_load_dwordx4 v[16:19], v6, s[20:23], s56 offen
	;; [unrolled: 1-line block ×4, first 2 shown]
	v_and_b32_e32 v3, 6, v0
	s_mul_i32 s20, s3, s12
	s_mul_hi_u32 s21, s47, s12
	v_lshlrev_b32_e32 v6, 2, v50
	v_lshlrev_b32_e32 v7, 3, v50
	v_xor_b32_e32 v9, v54, v3
	v_and_b32_e32 v5, 1, v0
	s_mul_i32 s3, s3, s16
	v_lshl_or_b32 v7, v1, 5, v7
	v_xor_b32_e32 v11, v1, v6
	v_lshlrev_b32_e32 v9, 2, v9
	s_add_i32 s61, s21, s20
	s_add_i32 s20, s44, s17
	v_or_b32_e32 v60, 0x9000, v7
	v_or_b32_e32 v61, 0x9800, v7
	v_lshlrev_b32_e32 v7, 1, v11
	v_xor_b32_e32 v11, 0x440, v9
	v_cmp_eq_u32_e32 vcc, 0, v5
	s_add_i32 s35, s20, s3
	s_mul_i32 s3, s33, s19
	s_mul_hi_u32 s20, s33, s18
	v_cndmask_b32_e32 v5, v11, v9, vcc
	s_add_i32 s3, s20, s3
	s_mul_i32 s20, s54, s18
	s_mov_b32 s58, 0x1000504
	v_lshlrev_b32_e32 v8, 8, v50
	s_mov_b32 s22, 0x8000
	v_xor_b32_e32 v6, v53, v6
	v_lshl_or_b32 v3, v3, 10, v5
	s_add_i32 s21, s3, s20
	s_lshl_b64 s[24:25], s[34:35], 2
	s_mov_b32 s59, 0x3020706
	v_lshlrev_b32_e32 v6, 1, v6
	v_or3_b32 v62, v7, v8, s22
	v_xor_b32_e32 v5, 8, v3
	v_xor_b32_e32 v7, 24, v3
	;; [unrolled: 1-line block ×4, first 2 shown]
	s_mul_i32 s20, s33, s18
	s_add_u32 s3, s10, s24
	v_or3_b32 v63, v6, v8, s22
	v_xor_b32_e32 v6, 16, v3
	v_xor_b32_e32 v8, 32, v3
	;; [unrolled: 1-line block ×3, first 2 shown]
	v_add_u32_e32 v5, 0x80, v5
	v_add_u32_e32 v7, 0x80, v7
	v_add_u32_e32 v9, 0x80, v9
	v_add_u32_e32 v28, 0x80, v28
	s_addc_u32 s24, s11, s25
	s_lshl_b64 s[20:21], s[20:21], 2
	s_add_u32 s40, s3, s20
	s_movk_i32 s3, 0xf8
	s_addc_u32 s41, s24, s21
	s_lshl_b32 s26, s15, 7
	s_mov_b32 s57, 0
	s_mul_i32 s60, s47, s12
	v_add_u32_e32 v78, v47, v10
	v_mov_b32_e32 v79, 0x3fb8aa3b
	s_mov_b32 s62, 0
	s_waitcnt vmcnt(1)
	v_perm_b32 v29, v12, v20, s58
	s_waitcnt vmcnt(0)
	v_perm_b32 v30, v16, v24, s58
	v_perm_b32 v12, v12, v20, s59
	;; [unrolled: 1-line block ×15, first 2 shown]
	ds_write2st64_b32 v3, v29, v30 offset1:32
	ds_write2st64_b32 v5, v12, v16 offset1:32
	ds_write2st64_b32 v6, v20, v24 offset0:1 offset1:33
	ds_write2st64_b32 v7, v13, v17 offset0:1 offset1:33
	;; [unrolled: 1-line block ×6, first 2 shown]
	v_or_b32_e32 v3, v47, v50
	v_lshlrev_b32_e32 v3, 3, v3
	v_lshrrev_b32_e32 v7, 5, v48
	v_and_or_b32 v7, v3, s3, v7
	v_lshlrev_b32_e32 v7, 4, v7
	v_lshlrev_b32_e32 v5, 11, v46
	v_and_b32_e32 v3, 0x78, v3
	v_or_b32_e32 v12, 32, v7
	v_and_b32_e32 v6, 0x1000, v5
	v_lshrrev_b32_e32 v11, 1, v0
	v_xor_b32_e32 v12, v12, v3
	v_and_b32_e32 v9, 8, v11
	v_or_b32_e32 v12, v12, v6
	v_xor_b32_e32 v8, v7, v3
	v_xor_b32_e32 v66, v12, v9
	v_or_b32_e32 v12, 64, v7
	v_or_b32_e32 v7, 0x60, v7
	v_or_b32_e32 v8, v8, v6
	v_xor_b32_e32 v12, v12, v3
	v_xor_b32_e32 v3, v7, v3
	;; [unrolled: 1-line block ×3, first 2 shown]
	v_and_b32_e32 v8, 0x78, v51
	v_or_b32_e32 v12, v12, v6
	v_or_b32_e32 v3, v3, v6
	v_lshl_or_b32 v8, v49, 7, v8
	v_xor_b32_e32 v67, v12, v9
	v_xor_b32_e32 v68, v3, v9
	v_lshlrev_b32_e32 v12, 1, v2
	v_add_lshl_u32 v13, v2, s15, 1
	v_lshrrev_b32_e32 v2, 4, v0
	v_lshlrev_b32_e32 v3, 1, v50
	v_or_b32_e32 v65, 0x9000, v8
	v_or_b32_e32 v69, 0x9800, v8
	s_ashr_i32 s3, s2, 31
	v_or_b32_e32 v8, 1, v3
	v_xor_b32_e32 v3, v2, v3
	s_lshl_b64 s[20:21], s[2:3], 8
	v_xor_b32_e32 v8, v8, v2
	v_lshlrev_b32_e32 v3, 3, v3
	v_lshlrev_b32_e32 v2, 8, v2
	s_waitcnt lgkmcnt(0)
	s_add_u32 s20, s36, s20
	v_or3_b32 v70, v3, v2, s22
	v_lshlrev_b32_e32 v3, 3, v8
	s_addc_u32 s21, s37, s21
	v_or3_b32 v71, v3, v2, s22
	v_mov_b32_e32 v3, 0
	v_lshl_add_u64 v[8:9], s[20:21], 0, v[2:3]
	v_lshlrev_b32_e32 v2, 4, v50
	s_movk_i32 s3, 0xff
	v_lshlrev_b32_e32 v16, 3, v46
	v_and_b32_e32 v11, 24, v11
	v_lshl_add_u64 v[42:43], v[8:9], 0, v[2:3]
	v_and_b32_e32 v8, 8, v0
	v_cmp_lt_u32_e32 vcc, s3, v0
	v_xor_b32_e32 v17, v16, v11
	v_or_b32_e32 v18, 0x440, v17
	v_cndmask_b32_e64 v15, 0, 1, vcc
	v_cmp_eq_u32_e32 vcc, 0, v8
	v_and_b32_e32 v2, 7, v0
	v_lshlrev_b32_e32 v9, 3, v2
	v_cndmask_b32_e32 v8, v18, v17, vcc
	v_lshlrev_b32_e32 v2, 7, v2
	v_or_b32_e32 v8, v8, v5
	v_xad_u32 v72, v8, v9, v2
	v_or_b32_e32 v8, 32, v11
	v_xor_b32_e32 v8, v16, v8
	v_or_b32_e32 v17, 0x440, v8
	v_cndmask_b32_e32 v8, v17, v8, vcc
	v_or_b32_e32 v8, v8, v5
	v_xad_u32 v73, v8, v9, v2
	v_or_b32_e32 v8, 64, v11
	v_xor_b32_e32 v8, v16, v8
	v_xor_b32_e32 v17, 0x440, v8
	v_cndmask_b32_e32 v8, v17, v8, vcc
	v_or_b32_e32 v8, v8, v5
	v_xad_u32 v74, v8, v9, v2
	v_or_b32_e32 v8, 0x60, v11
	v_xor_b32_e32 v8, v16, v8
	v_xor_b32_e32 v11, 0x440, v8
	v_or_b32_e32 v6, s2, v50
	v_cndmask_b32_e32 v8, v11, v8, vcc
	v_ashrrev_i32_e32 v7, 31, v6
	v_or_b32_e32 v5, v8, v5
	v_lshl_add_u64 v[6:7], v[6:7], 1, s[8:9]
	v_or_b32_e32 v14, 0x100, v4
	v_lshlrev_b32_e32 v15, 13, v15
	v_xad_u32 v75, v5, v9, v2
	v_lshlrev_b32_e32 v2, 8, v1
	v_cndmask_b32_e64 v76, v12, v4, s[0:1]
	v_cndmask_b32_e64 v77, v13, v14, s[0:1]
	v_lshl_add_u64 v[44:45], v[6:7], 0, v[2:3]
	s_mov_b32 s3, 0x7060302
	s_movk_i32 s22, 0x4000
	v_add_u32_e32 v80, v15, v72
	v_add_u32_e32 v81, v15, v73
	;; [unrolled: 1-line block ×4, first 2 shown]
	v_mov_b32_e32 v2, v3
	v_mov_b32_e32 v4, v3
	;; [unrolled: 1-line block ×7, first 2 shown]
	s_barrier
.LBB638_6:                              ; =>This Inner Loop Header: Depth=1
	s_add_i32 s35, s62, 1
	s_cmp_lt_i32 s35, s48
	s_mov_b64 s[24:25], 0
	s_cselect_b64 s[42:43], -1, 0
	s_cmp_ge_i32 s35, s48
	s_mov_b64 s[20:21], 0
	s_cbranch_scc1 .LBB638_8
; %bb.7:                                ;   in Loop: Header=BB638_6 Depth=1
	s_add_i32 s0, s57, 64
	s_add_u32 s0, s38, s0
	s_addc_u32 s1, s39, 0
	s_lshl_b64 s[0:1], s[0:1], 8
	s_add_u32 s20, s6, s0
	s_addc_u32 s21, s7, s1
.LBB638_8:                              ;   in Loop: Header=BB638_6 Depth=1
	v_cndmask_b32_e64 v5, 0, 1, s[42:43]
	v_cmp_ne_u32_e64 s[0:1], 1, v5
	s_andn2_b64 vcc, exec, s[42:43]
	s_cbranch_vccnz .LBB638_10
; %bb.9:                                ;   in Loop: Header=BB638_6 Depth=1
	s_add_i32 s24, s57, 64
	s_add_u32 s24, s60, s24
	s_addc_u32 s25, s61, 0
	s_mul_i32 s27, s24, s49
	s_mul_hi_u32 s42, s24, s53
	s_add_i32 s27, s42, s27
	s_mul_i32 s25, s25, s53
	s_add_i32 s27, s27, s25
	s_mul_i32 s24, s24, s53
	s_add_u32 s24, s24, s52
	s_addc_u32 s25, s27, s55
	s_lshl_b64 s[24:25], s[24:25], 8
	s_add_u32 s24, s4, s24
	s_addc_u32 s25, s5, s25
.LBB638_10:                             ;   in Loop: Header=BB638_6 Depth=1
	v_perm_b32 v11, v85, v4, s3
	v_perm_b32 v10, v3, v2, s3
	;; [unrolled: 1-line block ×4, first 2 shown]
	ds_write_b64 v60, v[10:11]
	ds_write_b64 v61, v[12:13]
	;; [unrolled: 1-line block ×4, first 2 shown]
	s_waitcnt lgkmcnt(0)
	s_barrier
	ds_read_b64 v[18:19], v64 offset:16384
	ds_read_b64 v[20:21], v66 offset:16384
	ds_read2st64_b64 v[10:13], v65 offset1:1
	ds_read2st64_b64 v[14:17], v65 offset0:2 offset1:3
	ds_read_b64 v[22:23], v67 offset:16384
	s_waitcnt lgkmcnt(2)
	v_mfma_f32_16x16x16_bf16 a[0:3], v[18:19], v[10:11], 0
	ds_read_b64 v[10:11], v68 offset:16384
	s_add_i32 s27, s57, 63
	s_mul_i32 s42, s27, s31
	v_mfma_f32_16x16x16_bf16 a[0:3], v[20:21], v[12:13], a[0:3]
	s_mul_hi_u32 s43, s27, s30
	s_add_i32 s43, s43, s42
	s_mul_i32 s42, s27, s30
	s_waitcnt lgkmcnt(1)
	v_mfma_f32_16x16x16_bf16 a[0:3], v[22:23], v[14:15], a[0:3]
	s_lshl_b64 s[42:43], s[42:43], 2
	s_add_u32 s42, s40, s42
	s_addc_u32 s43, s41, s43
	s_waitcnt lgkmcnt(0)
	v_mfma_f32_16x16x16_bf16 a[0:3], v[10:11], v[16:17], a[0:3]
	s_and_b64 vcc, exec, s[0:1]
	v_mov_b32_e32 v86, 0
	v_mov_b32_e32 v9, 0
	;; [unrolled: 1-line block ×19, first 2 shown]
	s_cbranch_vccnz .LBB638_12
; %bb.11:                               ;   in Loop: Header=BB638_6 Depth=1
	s_and_b32 s21, s21, 0xffff
	buffer_load_dwordx4 v[22:25], v56, s[20:23], 0 offen
	buffer_load_dwordx4 v[18:21], v56, s[20:23], s56 offen
	;; [unrolled: 1-line block ×4, first 2 shown]
	v_mov_b32_e32 v9, v58
	v_mov_b32_e32 v5, v59
.LBB638_12:                             ;   in Loop: Header=BB638_6 Depth=1
	s_waitcnt vmcnt(3)
	v_add_u32_e32 v32, s57, v78
	s_waitcnt vmcnt(1)
	v_ashrrev_i32_e32 v26, 31, v32
	v_mul_lo_u32 v28, v26, s30
	v_mul_lo_u32 v29, v32, s31
	v_mad_u64_u32 v[26:27], s[20:21], v32, s30, 0
	v_add3_u32 v27, v27, v29, v28
	v_add_u32_e32 v28, 1, v32
	v_ashrrev_i32_e32 v29, 31, v28
	v_mul_lo_u32 v30, v29, s30
	v_mul_lo_u32 v31, v28, s31
	v_mad_u64_u32 v[28:29], s[20:21], v28, s30, 0
	v_add3_u32 v29, v29, v31, v30
	v_add_u32_e32 v30, 2, v32
	v_ashrrev_i32_e32 v31, 31, v30
	v_mul_lo_u32 v33, v31, s30
	v_mul_lo_u32 v34, v30, s31
	v_mad_u64_u32 v[30:31], s[20:21], v30, s30, 0
	v_add_u32_e32 v32, 3, v32
	v_add3_u32 v31, v31, v34, v33
	v_ashrrev_i32_e32 v33, 31, v32
	v_mul_lo_u32 v36, v33, s30
	v_mul_lo_u32 v37, v32, s31
	v_mad_u64_u32 v[32:33], s[20:21], v32, s30, 0
	s_add_u32 s20, s38, s57
	s_addc_u32 s21, s39, 0
	s_lshl_b64 s[20:21], s[20:21], 8
	v_lshl_add_u64 v[26:27], v[26:27], 2, s[40:41]
	v_lshl_add_u64 v[28:29], v[28:29], 2, s[40:41]
	;; [unrolled: 1-line block ×3, first 2 shown]
	v_add3_u32 v33, v33, v37, v36
	v_lshl_add_u64 v[30:31], v[30:31], 2, s[40:41]
	global_load_ushort v92, v[34:35], off
	global_load_ushort v93, v[34:35], off offset:256
	global_load_ushort v94, v[34:35], off offset:512
	global_load_ushort v95, v[34:35], off offset:768
	global_load_dword v96, v[26:27], off
	v_lshl_add_u64 v[26:27], v[32:33], 2, s[40:41]
	global_load_dword v97, v[28:29], off
	global_load_dword v98, v[30:31], off
	;; [unrolled: 1-line block ×3, first 2 shown]
	s_load_dword s20, s[42:43], 0x0
	ds_read2st64_b64 v[32:35], v69 offset1:1
	ds_read2st64_b64 v[36:39], v69 offset0:2 offset1:3
	ds_read_b64 v[30:31], v64 offset:24576
	ds_read_b64 v[40:41], v66 offset:24576
	;; [unrolled: 1-line block ×4, first 2 shown]
	s_waitcnt lgkmcnt(0)
	v_mfma_f32_16x16x16_bf16 a[0:3], v[30:31], v[32:33], a[0:3]
	v_mov_b32_e32 v87, 0
	v_mov_b32_e32 v26, 0
	v_mov_b32_e32 v27, 0
	v_mfma_f32_16x16x16_bf16 a[0:3], v[40:41], v[34:35], a[0:3]
	v_mov_b32_e32 v28, 0
	v_mov_b32_e32 v29, 0
	v_mov_b32_e32 v30, 0
	;; [unrolled: 4-line block ×4, first 2 shown]
	v_mov_b32_e32 v37, 0
	s_and_b64 vcc, exec, s[0:1]
	s_waitcnt vmcnt(7)
	v_lshlrev_b32_e32 v88, 16, v92
	s_waitcnt vmcnt(6)
	v_lshlrev_b32_e32 v89, 16, v93
	;; [unrolled: 2-line block ×4, first 2 shown]
	s_waitcnt vmcnt(3)
	v_sub_f32_e32 v92, s20, v96
	s_waitcnt vmcnt(2)
	v_sub_f32_e32 v93, s20, v97
	;; [unrolled: 2-line block ×4, first 2 shown]
	v_mul_f32_e32 v92, 0x3fb8aa3b, v92
	v_mul_f32_e32 v93, 0x3fb8aa3b, v93
	;; [unrolled: 1-line block ×4, first 2 shown]
	v_exp_f32_e32 v92, v92
	v_exp_f32_e32 v93, v93
	;; [unrolled: 1-line block ×4, first 2 shown]
	v_accvgpr_read_b32 v41, a1
	v_accvgpr_read_b32 v39, a3
	;; [unrolled: 1-line block ×4, first 2 shown]
	v_pk_add_f32 v[40:41], v[88:89], v[40:41] neg_lo:[0,1] neg_hi:[0,1]
	v_pk_add_f32 v[38:39], v[90:91], v[38:39] neg_lo:[0,1] neg_hi:[0,1]
	v_pk_mul_f32 v[40:41], v[92:93], v[40:41]
	v_pk_mul_f32 v[38:39], v[94:95], v[38:39]
	s_nop 0
	v_perm_b32 v39, v39, v38, s3
	v_perm_b32 v38, v41, v40, s3
	ds_write_b64 v61, v[38:39]
	v_mov_b32_e32 v38, 0
	v_mov_b32_e32 v39, 0
	;; [unrolled: 1-line block ×4, first 2 shown]
	s_cbranch_vccnz .LBB638_14
; %bb.13:                               ;   in Loop: Header=BB638_6 Depth=1
	s_and_b32 s25, s25, 0xffff
	s_mov_b32 s27, s23
	buffer_load_dwordx4 v[38:41], v76, s[24:27], 0 offen
	buffer_load_dwordx4 v[30:33], v76, s[24:27], s56 offen
	;; [unrolled: 1-line block ×4, first 2 shown]
	v_mov_b32_e32 v86, v55
	v_mov_b32_e32 v87, v54
.LBB638_14:                             ;   in Loop: Header=BB638_6 Depth=1
	s_waitcnt lgkmcnt(0)
	s_barrier
	ds_read_b64 v[96:97], v80
	ds_read2st64_b64 v[88:91], v69 offset1:1
	ds_read2st64_b64 v[92:95], v69 offset0:2 offset1:3
	ds_read_b64 v[98:99], v81
	ds_read_b64 v[100:101], v82
	;; [unrolled: 1-line block ×3, first 2 shown]
	s_waitcnt lgkmcnt(4)
	v_mfma_f32_16x16x16_bf16 a[0:3], v[96:97], v[88:89], 0
	ds_read_b64 v[96:97], v72 offset:8192
	ds_read_b64 v[104:105], v73 offset:8192
	s_add_i32 s21, s50, s62
	s_mul_hi_i32 s25, s21, s13
	s_waitcnt lgkmcnt(1)
	v_mfma_f32_16x16x16_bf16 a[4:7], v[96:97], v[88:89], 0
	s_mul_i32 s21, s21, s13
	s_add_u32 s24, s21, s33
	s_addc_u32 s25, s25, s54
	v_mfma_f32_16x16x16_bf16 a[0:3], v[98:99], v[90:91], a[0:3]
	ds_read_b64 v[96:97], v70
	ds_read_b64 v[98:99], v71
	ds_read_b64 v[88:89], v74 offset:8192
	s_lshl_b64 s[24:25], s[24:25], 15
	v_mfma_f32_16x16x16_bf16 a[0:3], v[100:101], v[92:93], a[0:3]
	ds_read_b64 v[100:101], v75 offset:8192
	s_and_b64 vcc, exec, s[0:1]
	s_waitcnt lgkmcnt(4)
	v_mfma_f32_16x16x16_bf16 a[4:7], v[104:105], v[90:91], a[4:7]
	s_waitcnt lgkmcnt(1)
	v_mfma_f32_16x16x16_bf16 a[4:7], v[88:89], v[92:93], a[4:7]
	v_lshl_add_u64 v[88:89], v[42:43], 0, s[24:25]
	global_store_dwordx4 v[88:89], v[96:99], off
	v_mfma_f32_16x16x16_bf16 a[0:3], v[102:103], v[94:95], a[0:3]
	s_waitcnt lgkmcnt(0)
	v_mfma_f32_16x16x16_bf16 a[4:7], v[100:101], v[94:95], a[4:7]
	s_cbranch_vccnz .LBB638_16
; %bb.15:                               ;   in Loop: Header=BB638_6 Depth=1
	v_lshrrev_b32_e32 v88, 3, v86
	v_and_b32_e32 v88, 6, v88
	v_xor_b32_e32 v87, v88, v87
	v_lshlrev_b32_e32 v87, 2, v87
	v_and_b32_e32 v86, 8, v86
	v_xor_b32_e32 v89, 0x440, v87
	v_cmp_eq_u32_e32 vcc, 0, v86
	s_barrier
	s_nop 0
	v_cndmask_b32_e32 v86, v89, v87, vcc
	v_lshl_or_b32 v86, v88, 10, v86
	s_waitcnt vmcnt(2)
	v_perm_b32 v87, v38, v34, s58
	s_waitcnt vmcnt(1)
	v_perm_b32 v88, v30, v26, s58
	ds_write2st64_b32 v86, v87, v88 offset1:32
	v_xor_b32_e32 v87, 8, v86
	v_perm_b32 v34, v38, v34, s59
	v_perm_b32 v26, v30, v26, s59
	v_add_u32_e32 v30, 0x80, v87
	ds_write2st64_b32 v30, v34, v26 offset1:32
	v_xor_b32_e32 v26, 16, v86
	v_perm_b32 v30, v39, v35, s58
	v_perm_b32 v34, v31, v27, s58
	ds_write2st64_b32 v26, v30, v34 offset0:1 offset1:33
	v_xor_b32_e32 v26, 24, v86
	v_perm_b32 v30, v39, v35, s59
	v_perm_b32 v27, v31, v27, s59
	v_add_u32_e32 v26, 0x80, v26
	ds_write2st64_b32 v26, v30, v27 offset0:1 offset1:33
	v_xor_b32_e32 v26, 32, v86
	v_perm_b32 v27, v40, v36, s58
	v_perm_b32 v30, v32, v28, s58
	ds_write2st64_b32 v26, v27, v30 offset0:2 offset1:34
	v_xor_b32_e32 v26, 40, v86
	v_perm_b32 v27, v40, v36, s59
	v_perm_b32 v28, v32, v28, s59
	v_add_u32_e32 v26, 0x80, v26
	ds_write2st64_b32 v26, v27, v28 offset0:2 offset1:34
	;; [unrolled: 9-line block ×3, first 2 shown]
	ds_write_b64 v9, v[22:23] offset:16384
	v_xor_b32_e32 v22, 8, v9
	ds_write_b64 v22, v[24:25] offset:16384
	ds_write_b64 v9, v[18:19] offset:24576
	;; [unrolled: 1-line block ×4, first 2 shown]
	v_xor_b32_e32 v9, 8, v5
	ds_write_b64 v9, v[16:17] offset:16384
	ds_write_b64 v5, v[10:11] offset:24576
	ds_write_b64 v9, v[12:13] offset:24576
.LBB638_16:                             ;   in Loop: Header=BB638_6 Depth=1
	v_mul_f32_e32 v5, s20, v79
	v_exp_f32_e32 v10, v5
	s_nop 1
	v_accvgpr_read_b32 v9, a1
	v_accvgpr_read_b32 v5, a0
	s_add_i32 s57, s57, 64
	v_fma_f32 v3, v3, v10, v9
	v_accvgpr_read_b32 v9, a4
	v_fma_f32 v6, v6, v10, v9
	v_accvgpr_read_b32 v9, a5
	;; [unrolled: 2-line block ×6, first 2 shown]
	v_fmac_f32_e32 v5, v85, v10
	s_cmp_eq_u32 s48, s35
	v_fmac_f32_e32 v9, v84, v10
	s_cbranch_scc1 .LBB638_18
; %bb.17:                               ;   in Loop: Header=BB638_6 Depth=1
	s_mov_b32 s62, s35
	v_mov_b32_e32 v85, v5
	v_mov_b32_e32 v84, v9
	s_branch .LBB638_6
.LBB638_18:
	s_lshl_b32 s42, s48, 6
	s_sub_i32 s43, s12, s42
	s_cmp_gt_i32 s43, 0
	s_waitcnt vmcnt(2)
	v_or_b32_e32 v34, s2, v50
	s_cbranch_scc1 .LBB638_20
; %bb.19:
	s_ashr_i32 s0, s33, 31
	s_add_u32 s24, s45, s33
	s_addc_u32 s25, s51, s0
	v_or_b32_e32 v10, s2, v50
	s_cbranch_execz .LBB638_21
	s_branch .LBB638_77
.LBB638_20:
                                        ; implicit-def: $sgpr24_sgpr25
                                        ; implicit-def: $vgpr10
.LBB638_21:
	s_ashr_i32 s35, s47, 31
	s_ashr_i32 s3, s42, 31
	s_cmpk_lg_i32 s15, 0x80
	s_cselect_b64 s[38:39], -1, 0
	s_and_b64 vcc, exec, s[38:39]
	s_cbranch_vccz .LBB638_23
; %bb.22:
	s_mul_i32 s1, s47, s12
	s_mul_hi_i32 s0, s47, s12
	s_add_u32 s1, s1, s42
	s_addc_u32 s0, s0, s3
	s_mul_i32 s20, s1, s49
	s_mul_hi_u32 s21, s1, s14
	s_add_i32 s20, s21, s20
	s_mul_i32 s0, s0, s14
	s_add_i32 s20, s20, s0
	s_mul_i32 s1, s1, s14
	s_ashr_i32 s0, s52, 31
	s_add_u32 s40, s1, s52
	s_addc_u32 s41, s20, s0
	s_cbranch_execz .LBB638_24
	s_branch .LBB638_25
.LBB638_23:
                                        ; implicit-def: $sgpr40_sgpr41
.LBB638_24:
	s_mul_hi_i32 s0, s47, s14
	s_mul_i32 s47, s47, s14
	s_ashr_i32 s1, s52, 31
	s_add_u32 s14, s47, s52
	s_addc_u32 s0, s0, s1
	s_mul_i32 s1, s14, s46
	s_mul_hi_u32 s20, s14, s12
	s_add_i32 s1, s20, s1
	s_mul_i32 s0, s0, s12
	s_add_i32 s1, s1, s0
	s_mul_i32 s14, s14, s12
	s_add_u32 s40, s14, s42
	s_addc_u32 s41, s1, s3
.LBB638_25:
	s_add_i32 s20, s50, s48
	s_ashr_i32 s14, s33, 31
	s_add_u32 s24, s45, s33
	s_addc_u32 s25, s51, s14
	s_mul_i32 s0, s24, s46
	s_mul_hi_u32 s1, s24, s12
	s_add_i32 s0, s1, s0
	s_mul_i32 s1, s25, s12
	s_add_i32 s1, s0, s1
	s_mul_i32 s0, s24, s12
	s_add_u32 s0, s0, s42
	s_addc_u32 s1, s1, s3
	s_mov_b32 s3, 0x7060302
	v_lshlrev_b32_e32 v14, 3, v50
	s_lshl_b64 s[26:27], s[0:1], 8
	v_perm_b32 v11, v5, v4, s3
	v_perm_b32 v10, v3, v2, s3
	;; [unrolled: 1-line block ×4, first 2 shown]
	v_lshlrev_b32_e32 v44, 2, v50
	v_lshl_or_b32 v14, v1, 5, v14
	s_add_u32 s0, s6, s26
	ds_write2st64_b64 v14, v[10:11], v[12:13] offset0:72 offset1:76
	v_xor_b32_e32 v14, v1, v44
	v_lshlrev_b32_e32 v15, 8, v50
	s_addc_u32 s1, s7, s27
	v_lshl_or_b32 v14, v14, 1, v15
	s_mul_hi_i32 s3, s20, s13
	s_mul_i32 s20, s20, s13
	ds_write_b64 v14, v[10:11] offset:32768
	v_xor_b32_e32 v10, v53, v44
	s_add_u32 s6, s20, s33
	v_lshl_or_b32 v10, v10, 1, v15
	s_addc_u32 s7, s3, s14
	v_lshlrev_b32_e32 v11, 1, v50
	ds_write_b64 v10, v[12:13] offset:32768
	v_lshrrev_b32_e32 v10, 4, v0
	s_ashr_i32 s3, s2, 31
	s_lshl_b64 s[6:7], s[6:7], 15
	v_or_b32_e32 v12, 1, v11
	s_waitcnt lgkmcnt(0)
	s_add_u32 s6, s36, s6
	v_xor_b32_e32 v11, v10, v11
	v_xor_b32_e32 v12, v12, v10
	v_lshlrev_b32_e32 v14, 8, v10
	s_addc_u32 s7, s37, s7
	s_lshl_b64 s[2:3], s[2:3], 8
	v_lshl_or_b32 v10, v11, 3, v14
	v_lshl_or_b32 v12, v12, 3, v14
	s_barrier
	s_add_u32 s2, s6, s2
	ds_read_b64 v[10:11], v10 offset:32768
	ds_read_b64 v[12:13], v12 offset:32768
	s_addc_u32 s3, s7, s3
	v_mov_b32_e32 v15, 0
	s_cmp_lg_u32 s43, 64
	v_lshl_add_u64 v[16:17], s[2:3], 0, v[14:15]
	v_lshlrev_b32_e32 v14, 4, v50
	s_cselect_b64 s[6:7], -1, 0
	v_lshl_or_b32 v35, v46, 3, v52
	s_mov_b32 s20, 0
	v_lshl_add_u64 v[14:15], v[16:17], 0, v[14:15]
	s_waitcnt vmcnt(1)
	v_or_b32_e32 v27, 32, v35
	v_and_b32_e32 v26, 56, v51
	s_and_b64 vcc, exec, s[6:7]
	s_waitcnt lgkmcnt(0)
	global_store_dwordx4 v[14:15], v[10:13], off
	s_cbranch_vccz .LBB638_31
; %bb.26:
	s_mov_b32 s21, s20
	s_mov_b32 s22, s20
	;; [unrolled: 1-line block ×3, first 2 shown]
	v_mov_b64_e32 v[14:15], s[20:21]
	v_mov_b64_e32 v[16:17], s[22:23]
	;; [unrolled: 1-line block ×3, first 2 shown]
	v_cmp_gt_i32_e32 vcc, s43, v35
	v_mov_b64_e32 v[12:13], v[16:17]
	s_and_saveexec_b64 s[2:3], vcc
	s_cbranch_execz .LBB638_28
; %bb.27:
	v_lshlrev_b32_e32 v10, 8, v35
	v_mov_b32_e32 v11, 0
	v_lshl_add_u64 v[12:13], s[0:1], 0, v[10:11]
	v_lshlrev_b32_e32 v10, 1, v26
	v_lshl_add_u64 v[18:19], v[12:13], 0, v[10:11]
	global_load_dwordx4 v[14:17], v[18:19], off
	global_load_dwordx4 v[10:13], v[18:19], off offset:128
.LBB638_28:
	s_or_b64 exec, exec, s[2:3]
	s_mov_b32 s22, s20
	s_mov_b32 s23, s20
	;; [unrolled: 1-line block ×3, first 2 shown]
	v_mov_b64_e32 v[24:25], s[22:23]
	v_mov_b64_e32 v[22:23], s[20:21]
	;; [unrolled: 1-line block ×3, first 2 shown]
	v_cmp_gt_i32_e32 vcc, s43, v27
	v_lshlrev_b32_e32 v28, 7, v27
	v_mov_b64_e32 v[20:21], v[24:25]
	s_and_saveexec_b64 s[2:3], vcc
	s_cbranch_execz .LBB638_30
; %bb.29:
	v_lshlrev_b32_e32 v18, 1, v28
	v_mov_b32_e32 v19, 0
	v_lshl_add_u64 v[20:21], s[0:1], 0, v[18:19]
	v_lshlrev_b32_e32 v18, 1, v26
	v_lshl_add_u64 v[30:31], v[20:21], 0, v[18:19]
	global_load_dwordx4 v[22:25], v[30:31], off
	global_load_dwordx4 v[18:21], v[30:31], off offset:128
.LBB638_30:
	s_or_b64 exec, exec, s[2:3]
	v_lshrrev_b32_e32 v29, 3, v26
	v_lshlrev_b32_e32 v30, 3, v35
	v_or_b32_e32 v29, v30, v29
	v_lshlrev_b32_e32 v29, 4, v29
	v_and_b32_e32 v30, 0x78, v30
	v_xor_b32_e32 v29, v29, v30
	s_branch .LBB638_33
.LBB638_31:
                                        ; implicit-def: $vgpr29
                                        ; implicit-def: $vgpr28
                                        ; implicit-def: $vgpr14_vgpr15_vgpr16_vgpr17
                                        ; implicit-def: $vgpr10_vgpr11_vgpr12_vgpr13
                                        ; implicit-def: $vgpr22_vgpr23_vgpr24_vgpr25
                                        ; implicit-def: $vgpr18_vgpr19_vgpr20_vgpr21
	s_cbranch_execz .LBB638_33
; %bb.32:
	s_waitcnt vmcnt(0)
	v_lshlrev_b32_e32 v10, 1, v26
	v_lshl_or_b32 v28, v35, 8, v10
	s_and_b32 s1, s1, 0xffff
	s_mov_b32 s3, 0x20000
	s_movk_i32 s2, 0x4000
	v_lshl_or_b32 v29, v27, 8, v10
	s_movk_i32 s13, 0x80
	buffer_load_dwordx4 v[14:17], v28, s[0:3], 0 offen
	buffer_load_dwordx4 v[10:13], v28, s[0:3], s13 offen
	buffer_load_dwordx4 v[22:25], v29, s[0:3], 0 offen
	buffer_load_dwordx4 v[18:21], v29, s[0:3], s13 offen
	v_lshrrev_b32_e32 v28, 3, v26
	v_lshlrev_b32_e32 v29, 3, v35
	v_or_b32_e32 v28, v29, v28
	v_lshlrev_b32_e32 v28, 4, v28
	v_and_b32_e32 v29, 0x78, v29
	v_xor_b32_e32 v29, v28, v29
	v_lshlrev_b32_e32 v28, 7, v27
.LBB638_33:
	s_lshl_b64 s[0:1], s[40:41], 8
	s_add_u32 s4, s4, s0
	s_movk_i32 s0, 0x1000
	v_and_or_b32 v27, v28, s0, v29
	s_waitcnt vmcnt(1)
	ds_write_b64 v29, v[14:15] offset:16384
	v_xor_b32_e32 v14, 8, v29
	s_addc_u32 s5, s5, s1
	ds_write_b64 v14, v[16:17] offset:16384
	s_waitcnt vmcnt(0)
	ds_write_b64 v29, v[10:11] offset:24576
	ds_write_b64 v14, v[12:13] offset:24576
	;; [unrolled: 1-line block ×3, first 2 shown]
	v_xor_b32_e32 v10, 8, v27
	s_add_i32 s0, s44, s17
	s_mul_i32 s35, s35, s16
	ds_write_b64 v10, v[24:25] offset:16384
	ds_write_b64 v27, v[18:19] offset:24576
	;; [unrolled: 1-line block ×3, first 2 shown]
	s_add_i32 s35, s0, s35
	s_mul_i32 s0, s33, s19
	s_mul_hi_u32 s1, s33, s18
	v_or_b32_e32 v10, v47, v50
	s_add_i32 s0, s1, s0
	s_mul_i32 s1, s14, s18
	v_lshlrev_b32_e32 v10, 3, v10
	v_lshrrev_b32_e32 v12, 5, v48
	s_movk_i32 s14, 0xf8
	v_and_or_b32 v12, v10, s14, v12
	v_lshlrev_b32_e32 v45, 11, v46
	v_lshlrev_b32_e32 v20, 4, v12
	v_and_b32_e32 v21, 0x78, v10
	v_and_b32_e32 v22, 0x1000, v45
	v_lshlrev_b32_e32 v11, 2, v0
	v_xor_b32_e32 v10, v20, v21
	v_lshrrev_b32_e32 v12, 1, v48
	v_and_b32_e32 v11, 60, v11
	v_or_b32_e32 v10, v10, v22
	v_and_b32_e32 v23, 8, v12
	v_xor_b32_e32 v36, v10, v23
	v_lshl_or_b32 v10, v49, 6, v11
	v_lshlrev_b32_e32 v49, 1, v10
	v_or_b32_e32 v10, 32, v20
	v_xor_b32_e32 v10, v10, v21
	s_waitcnt lgkmcnt(0)
	s_barrier
	ds_read_b64 v[18:19], v36 offset:16384
	v_or_b32_e32 v10, v10, v22
	v_xor_b32_e32 v37, v10, v23
	v_or_b32_e32 v10, 64, v20
	v_xor_b32_e32 v10, v10, v21
	v_or_b32_e32 v10, v10, v22
	v_or_b32_e32 v20, 0x60, v20
	v_xor_b32_e32 v38, v10, v23
	ds_read2st64_b64 v[10:13], v49 offset0:72 offset1:73
	ds_read2st64_b64 v[14:17], v49 offset0:74 offset1:75
	v_xor_b32_e32 v24, v20, v21
	ds_read_b64 v[20:21], v37 offset:16384
	s_waitcnt lgkmcnt(2)
	v_mfma_f32_16x16x16_bf16 a[0:3], v[18:19], v[10:11], 0
	s_add_i32 s2, s12, -1
	s_ashr_i32 s3, s2, 31
	s_mul_i32 s12, s2, s31
	s_mul_hi_u32 s13, s2, s30
	s_add_i32 s12, s13, s12
	s_mul_i32 s3, s3, s30
	v_or_b32_e32 v22, v24, v22
	s_add_i32 s1, s0, s1
	s_add_i32 s3, s12, s3
	s_lshl_b64 s[12:13], s[34:35], 2
	v_xor_b32_e32 v50, v22, v23
	ds_read_b64 v[22:23], v38 offset:16384
	ds_read_b64 v[24:25], v50 offset:16384
	s_waitcnt lgkmcnt(2)
	v_mfma_f32_16x16x16_bf16 a[0:3], v[20:21], v[12:13], a[0:3]
	s_mul_i32 s0, s33, s18
	s_add_u32 s10, s10, s12
	s_addc_u32 s11, s11, s13
	s_lshl_b64 s[0:1], s[0:1], 2
	s_mul_i32 s2, s2, s30
	s_add_u32 s10, s10, s0
	s_addc_u32 s11, s11, s1
	s_lshl_b64 s[0:1], s[2:3], 2
	s_waitcnt lgkmcnt(1)
	v_mfma_f32_16x16x16_bf16 a[0:3], v[22:23], v[14:15], a[0:3]
	s_add_u32 s0, s10, s0
	s_addc_u32 s1, s11, s1
	s_load_dword s12, s[0:1], 0x0
	s_waitcnt lgkmcnt(0)
	v_mfma_f32_16x16x16_bf16 a[0:3], v[24:25], v[16:17], a[0:3]
	s_and_b64 vcc, exec, s[38:39]
	s_cbranch_vccz .LBB638_44
; %bb.34:
	v_lshlrev_b32_e32 v27, 1, v35
	s_and_b64 vcc, exec, s[6:7]
	s_cbranch_vccz .LBB638_45
; %bb.35:
	v_cmp_gt_i32_e32 vcc, s43, v27
	v_mov_b32_e32 v14, 0
	v_mov_b32_e32 v10, 0
	;; [unrolled: 1-line block ×5, first 2 shown]
	s_and_saveexec_b64 s[0:1], vcc
	s_cbranch_execz .LBB638_37
; %bb.36:
	v_mad_i64_i32 v[10:11], s[2:3], s15, v27, 0
	v_lshl_add_u64 v[10:11], v[10:11], 1, s[4:5]
	v_lshlrev_b32_e32 v12, 1, v26
	v_mov_b32_e32 v13, 0
	v_lshl_add_u64 v[10:11], v[10:11], 0, v[12:13]
	global_load_dwordx4 v[10:13], v[10:11], off
.LBB638_37:
	s_or_b64 exec, exec, s[0:1]
	v_or_b32_e32 v28, 1, v27
	v_cmp_gt_i32_e64 s[0:1], s43, v28
	v_mov_b32_e32 v15, 0
	v_mov_b32_e32 v16, 0
	;; [unrolled: 1-line block ×3, first 2 shown]
	s_and_saveexec_b64 s[2:3], s[0:1]
	s_cbranch_execz .LBB638_39
; %bb.38:
	v_mad_i64_i32 v[14:15], s[16:17], s15, v28, 0
	v_lshl_add_u64 v[14:15], v[14:15], 1, s[4:5]
	v_lshlrev_b32_e32 v16, 1, v26
	v_mov_b32_e32 v17, 0
	v_lshl_add_u64 v[14:15], v[14:15], 0, v[16:17]
	global_load_dwordx4 v[14:17], v[14:15], off
.LBB638_39:
	s_or_b64 exec, exec, s[2:3]
	v_mov_b32_e32 v25, 0
	v_mov_b32_e32 v18, 0
	;; [unrolled: 1-line block ×5, first 2 shown]
	s_and_saveexec_b64 s[2:3], vcc
	s_cbranch_execz .LBB638_41
; %bb.40:
	v_mad_i64_i32 v[18:19], s[16:17], s15, v27, 0
	v_lshl_add_u64 v[18:19], v[18:19], 1, s[4:5]
	v_lshlrev_b32_e32 v20, 1, v26
	v_mov_b32_e32 v21, 0
	v_lshl_add_u64 v[18:19], v[18:19], 0, v[20:21]
	global_load_dwordx4 v[18:21], v[18:19], off offset:128
.LBB638_41:
	s_or_b64 exec, exec, s[2:3]
	v_mov_b32_e32 v24, 0
	v_mov_b32_e32 v23, 0
	;; [unrolled: 1-line block ×3, first 2 shown]
	s_and_saveexec_b64 s[2:3], s[0:1]
	s_cbranch_execz .LBB638_43
; %bb.42:
	v_mad_i64_i32 v[22:23], s[0:1], s15, v28, 0
	v_lshl_add_u64 v[22:23], v[22:23], 1, s[4:5]
	v_lshlrev_b32_e32 v24, 1, v26
	v_mov_b32_e32 v25, 0
	v_lshl_add_u64 v[22:23], v[22:23], 0, v[24:25]
	global_load_dwordx4 v[22:25], v[22:23], off offset:128
.LBB638_43:
	s_or_b64 exec, exec, s[2:3]
	s_branch .LBB638_47
.LBB638_44:
                                        ; implicit-def: $vgpr13
                                        ; implicit-def: $vgpr17
                                        ; implicit-def: $vgpr21
                                        ; implicit-def: $vgpr25
	v_lshrrev_b32_e32 v48, 2, v48
	s_branch .LBB638_48
.LBB638_45:
                                        ; implicit-def: $vgpr13
                                        ; implicit-def: $vgpr17
                                        ; implicit-def: $vgpr21
                                        ; implicit-def: $vgpr25
	s_cbranch_execz .LBB638_47
; %bb.46:
	s_waitcnt vmcnt(0)
	v_mad_u64_u32 v[10:11], s[0:1], v27, s15, v[26:27]
	v_lshlrev_b32_e32 v27, 1, v10
	s_lshl_b32 s2, s15, 7
	s_and_b32 s1, s5, 0xffff
	s_mov_b32 s3, 0x20000
	s_mov_b32 s0, s4
	v_add_lshl_u32 v28, v10, s15, 1
	s_movk_i32 s13, 0x80
	buffer_load_dwordx4 v[10:13], v27, s[0:3], 0 offen
	buffer_load_dwordx4 v[18:21], v27, s[0:3], s13 offen
	;; [unrolled: 1-line block ×4, first 2 shown]
.LBB638_47:
	v_lshrrev_b32_e32 v48, 2, v48
	s_cbranch_execnz .LBB638_60
.LBB638_48:
	s_and_b64 vcc, exec, s[6:7]
	s_cbranch_vccz .LBB638_58
; %bb.49:
	s_waitcnt vmcnt(0)
	v_lshlrev_b32_e32 v15, 1, v35
	v_cmp_gt_i32_e32 vcc, s43, v15
	v_mov_b32_e32 v14, 0
	v_lshlrev_b32_e32 v22, 9, v35
	v_mov_b32_e32 v10, 0
	v_mov_b32_e32 v11, 0
	;; [unrolled: 1-line block ×4, first 2 shown]
	s_and_saveexec_b64 s[0:1], vcc
	s_cbranch_execz .LBB638_51
; %bb.50:
	v_mov_b32_e32 v23, 0
	v_lshl_add_u64 v[10:11], s[4:5], 0, v[22:23]
	v_lshlrev_b32_e32 v12, 1, v26
	v_mov_b32_e32 v13, v23
	v_lshl_add_u64 v[10:11], v[10:11], 0, v[12:13]
	global_load_dwordx4 v[10:13], v[10:11], off
.LBB638_51:
	s_or_b64 exec, exec, s[0:1]
	v_or_b32_e32 v15, 1, v15
	v_cmp_gt_i32_e64 s[0:1], s43, v15
	v_lshlrev_b32_e32 v28, 8, v15
	v_mov_b32_e32 v15, 0
	v_mov_b32_e32 v16, 0
	;; [unrolled: 1-line block ×3, first 2 shown]
	s_and_saveexec_b64 s[2:3], s[0:1]
	s_cbranch_execz .LBB638_53
; %bb.52:
	v_mov_b32_e32 v29, 0
	v_lshl_add_u64 v[14:15], s[4:5], 0, v[28:29]
	v_lshlrev_b32_e32 v16, 1, v26
	v_mov_b32_e32 v17, v29
	v_lshl_add_u64 v[14:15], v[14:15], 0, v[16:17]
	global_load_dwordx4 v[14:17], v[14:15], off
.LBB638_53:
	s_or_b64 exec, exec, s[2:3]
	v_mov_b32_e32 v25, 0
	v_mov_b32_e32 v18, 0
	;; [unrolled: 1-line block ×5, first 2 shown]
	s_and_saveexec_b64 s[2:3], vcc
	s_cbranch_execz .LBB638_55
; %bb.54:
	v_mov_b32_e32 v23, 0
	v_lshl_add_u64 v[18:19], s[4:5], 0, v[22:23]
	v_lshlrev_b32_e32 v22, 1, v26
	v_lshl_add_u64 v[18:19], v[18:19], 0, v[22:23]
	global_load_dwordx4 v[18:21], v[18:19], off offset:128
.LBB638_55:
	s_or_b64 exec, exec, s[2:3]
	v_mov_b32_e32 v24, 0
	v_mov_b32_e32 v23, 0
	;; [unrolled: 1-line block ×3, first 2 shown]
	s_and_saveexec_b64 s[2:3], s[0:1]
	s_cbranch_execz .LBB638_57
; %bb.56:
	v_mov_b32_e32 v29, 0
	v_lshl_add_u64 v[22:23], s[4:5], 0, v[28:29]
	v_lshlrev_b32_e32 v28, 1, v26
	v_lshl_add_u64 v[22:23], v[22:23], 0, v[28:29]
	global_load_dwordx4 v[22:25], v[22:23], off offset:128
.LBB638_57:
	s_or_b64 exec, exec, s[2:3]
	s_branch .LBB638_60
.LBB638_58:
                                        ; implicit-def: $vgpr13
                                        ; implicit-def: $vgpr17
                                        ; implicit-def: $vgpr21
                                        ; implicit-def: $vgpr25
	s_cbranch_execz .LBB638_60
; %bb.59:
	s_waitcnt vmcnt(0)
	v_lshlrev_b32_e32 v10, 1, v26
	v_lshl_or_b32 v26, v35, 9, v10
	s_and_b32 s5, s5, 0xffff
	s_mov_b32 s7, 0x20000
	s_movk_i32 s6, 0x4000
	s_movk_i32 s0, 0x80
	buffer_load_dwordx4 v[10:13], v26, s[4:7], 0 offen
	buffer_load_dwordx4 v[14:17], v26, s[4:7], 0 offen offset:256
	buffer_load_dwordx4 v[18:21], v26, s[4:7], s0 offen
	buffer_load_dwordx4 v[22:25], v26, s[4:7], s0 offen offset:256
.LBB638_60:
	ds_read2st64_b64 v[30:33], v49 offset0:76 offset1:77
	ds_read2st64_b64 v[26:29], v49 offset0:78 offset1:79
	ds_read_b64 v[40:41], v36 offset:24576
	ds_read_b64 v[42:43], v37 offset:24576
	ds_read_b64 v[38:39], v38 offset:24576
	ds_read_b64 v[36:37], v50 offset:24576
	v_and_b32_e32 v50, 6, v0
	v_xor_b32_e32 v35, v35, v50
	v_lshlrev_b32_e32 v35, 2, v35
	v_and_b32_e32 v51, 1, v0
	v_xor_b32_e32 v52, 0x440, v35
	v_cmp_eq_u32_e32 vcc, 0, v51
	s_mov_b32 s0, 0x1000504
	s_waitcnt vmcnt(0)
	v_perm_b32 v51, v18, v22, s0
	v_cndmask_b32_e32 v35, v52, v35, vcc
	v_lshl_or_b32 v35, v50, 10, v35
	v_perm_b32 v50, v10, v14, s0
	ds_write2st64_b32 v35, v50, v51 offset1:32
	v_xor_b32_e32 v50, 8, v35
	s_mov_b32 s1, 0x3020706
	v_perm_b32 v10, v10, v14, s1
	v_perm_b32 v14, v18, v22, s1
	v_add_u32_e32 v18, 0x80, v50
	ds_write2st64_b32 v18, v10, v14 offset1:32
	v_xor_b32_e32 v10, 16, v35
	v_perm_b32 v14, v11, v15, s0
	v_perm_b32 v18, v19, v23, s0
	ds_write2st64_b32 v10, v14, v18 offset0:1 offset1:33
	v_xor_b32_e32 v10, 24, v35
	v_perm_b32 v11, v11, v15, s1
	v_perm_b32 v14, v19, v23, s1
	v_add_u32_e32 v10, 0x80, v10
	ds_write2st64_b32 v10, v11, v14 offset0:1 offset1:33
	v_xor_b32_e32 v10, 32, v35
	v_perm_b32 v11, v12, v16, s0
	v_perm_b32 v14, v20, v24, s0
	ds_write2st64_b32 v10, v11, v14 offset0:2 offset1:34
	v_xor_b32_e32 v10, 40, v35
	v_perm_b32 v11, v12, v16, s1
	v_perm_b32 v12, v20, v24, s1
	v_add_u32_e32 v10, 0x80, v10
	ds_write2st64_b32 v10, v11, v12 offset0:2 offset1:34
	v_xor_b32_e32 v10, 48, v35
	v_perm_b32 v11, v13, v17, s0
	v_perm_b32 v12, v21, v25, s0
	ds_write2st64_b32 v10, v11, v12 offset0:3 offset1:35
	v_xor_b32_e32 v10, 56, v35
	v_and_or_b32 v16, v48, 12, v47
	v_perm_b32 v11, v13, v17, s1
	v_perm_b32 v12, v21, v25, s1
	v_add_u32_e32 v10, 0x80, v10
	v_cmp_gt_i32_e32 vcc, s43, v16
	v_mov_b32_e32 v17, 0
	v_mov_b32_e32 v21, 0
	ds_write2st64_b32 v10, v11, v12 offset0:3 offset1:35
	s_and_saveexec_b64 s[0:1], vcc
	s_cbranch_execz .LBB638_62
; %bb.61:
	v_add_u32_e32 v10, s42, v16
	v_ashrrev_i32_e32 v11, 31, v10
	v_mul_lo_u32 v12, v11, s30
	v_mul_lo_u32 v13, v10, s31
	v_mad_u64_u32 v[10:11], s[2:3], v10, s30, 0
	v_add3_u32 v11, v11, v13, v12
	v_lshl_add_u64 v[10:11], v[10:11], 2, s[10:11]
	global_load_dword v10, v[10:11], off
	s_waitcnt vmcnt(0)
	v_sub_f32_e32 v10, s12, v10
	v_mul_f32_e32 v10, 0x3fb8aa3b, v10
	v_exp_f32_e32 v21, v10
.LBB638_62:
	s_or_b64 exec, exec, s[0:1]
	v_or_b32_e32 v19, 1, v16
	v_cmp_gt_i32_e64 s[0:1], s43, v19
	s_and_saveexec_b64 s[2:3], s[0:1]
	s_cbranch_execz .LBB638_64
; %bb.63:
	v_add_u32_e32 v10, s42, v19
	v_ashrrev_i32_e32 v11, 31, v10
	v_mul_lo_u32 v12, v11, s30
	v_mul_lo_u32 v13, v10, s31
	v_mad_u64_u32 v[10:11], s[4:5], v10, s30, 0
	v_add3_u32 v11, v11, v13, v12
	v_lshl_add_u64 v[10:11], v[10:11], 2, s[10:11]
	global_load_dword v10, v[10:11], off
	s_waitcnt vmcnt(0)
	v_sub_f32_e32 v10, s12, v10
	v_mul_f32_e32 v10, 0x3fb8aa3b, v10
	v_exp_f32_e32 v17, v10
.LBB638_64:
	s_or_b64 exec, exec, s[2:3]
	v_or_b32_e32 v20, 2, v16
	v_cmp_gt_i32_e64 s[2:3], s43, v20
	v_mov_b32_e32 v18, 0
	v_mov_b32_e32 v23, 0
	s_and_saveexec_b64 s[4:5], s[2:3]
	s_cbranch_execz .LBB638_66
; %bb.65:
	v_add_u32_e32 v10, s42, v20
	v_ashrrev_i32_e32 v11, 31, v10
	v_mul_lo_u32 v12, v11, s30
	v_mul_lo_u32 v13, v10, s31
	v_mad_u64_u32 v[10:11], s[6:7], v10, s30, 0
	v_add3_u32 v11, v11, v13, v12
	v_lshl_add_u64 v[10:11], v[10:11], 2, s[10:11]
	global_load_dword v10, v[10:11], off
	s_waitcnt vmcnt(0)
	v_sub_f32_e32 v10, s12, v10
	v_mul_f32_e32 v10, 0x3fb8aa3b, v10
	v_exp_f32_e32 v23, v10
.LBB638_66:
	s_or_b64 exec, exec, s[4:5]
	v_or_b32_e32 v22, 3, v16
	v_cmp_gt_i32_e64 s[4:5], s43, v22
	s_and_saveexec_b64 s[6:7], s[4:5]
	s_cbranch_execz .LBB638_68
; %bb.67:
	v_add_u32_e32 v10, s42, v22
	v_ashrrev_i32_e32 v11, 31, v10
	v_mul_lo_u32 v12, v11, s30
	v_mul_lo_u32 v13, v10, s31
	v_mad_u64_u32 v[10:11], s[14:15], v10, s30, 0
	v_add3_u32 v11, v11, v13, v12
	v_lshl_add_u64 v[10:11], v[10:11], 2, s[10:11]
	global_load_dword v10, v[10:11], off
	s_waitcnt vmcnt(0)
	v_sub_f32_e32 v10, s12, v10
	v_mul_f32_e32 v10, 0x3fb8aa3b, v10
	v_exp_f32_e32 v18, v10
.LBB638_68:
	s_or_b64 exec, exec, s[6:7]
	s_waitcnt lgkmcnt(11)
	v_mfma_f32_16x16x16_bf16 a[0:3], v[40:41], v[30:31], a[0:3]
	s_add_u32 s6, s8, s26
	v_ashrrev_i32_e32 v35, 31, v34
	s_addc_u32 s7, s9, s27
	s_waitcnt lgkmcnt(10)
	v_mfma_f32_16x16x16_bf16 a[0:3], v[42:43], v[32:33], a[0:3]
	v_mov_b32_e32 v24, 0
	v_lshl_add_u64 v[14:15], v[34:35], 1, s[6:7]
	v_mov_b32_e32 v25, 0
	s_waitcnt lgkmcnt(9)
	v_mfma_f32_16x16x16_bf16 a[0:3], v[38:39], v[26:27], a[0:3]
	s_waitcnt lgkmcnt(8)
	v_mfma_f32_16x16x16_bf16 a[0:3], v[36:37], v[28:29], a[0:3]
	s_nop 6
	v_accvgpr_read_b32 v13, a3
	v_accvgpr_read_b32 v12, a2
	;; [unrolled: 1-line block ×4, first 2 shown]
	s_and_saveexec_b64 s[6:7], vcc
	s_cbranch_execz .LBB638_70
; %bb.69:
	v_lshlrev_b32_e32 v26, 8, v16
	v_mov_b32_e32 v27, 0
	v_lshl_add_u64 v[26:27], v[14:15], 0, v[26:27]
	global_load_ushort v25, v[26:27], off
	s_waitcnt vmcnt(0)
	v_lshlrev_b32_e32 v25, 16, v25
	v_sub_f32_e32 v10, v25, v10
	v_mul_f32_e32 v10, v21, v10
	v_lshrrev_b32_e32 v25, 16, v10
.LBB638_70:
	s_or_b64 exec, exec, s[6:7]
	s_and_saveexec_b64 s[6:7], s[0:1]
	s_cbranch_execz .LBB638_72
; %bb.71:
	v_lshlrev_b32_e32 v26, 8, v19
	v_mov_b32_e32 v27, 0
	v_lshl_add_u64 v[26:27], v[14:15], 0, v[26:27]
	global_load_ushort v10, v[26:27], off
	s_waitcnt vmcnt(0)
	v_lshlrev_b32_e32 v10, 16, v10
	v_sub_f32_e32 v10, v10, v11
	v_mul_f32_e32 v10, v17, v10
	v_lshrrev_b32_e32 v24, 16, v10
.LBB638_72:
	s_or_b64 exec, exec, s[6:7]
	v_mov_b32_e32 v11, 0
	v_mov_b32_e32 v17, 0
	s_and_saveexec_b64 s[0:1], s[2:3]
	s_cbranch_execz .LBB638_74
; %bb.73:
	v_lshlrev_b32_e32 v20, 8, v20
	v_mov_b32_e32 v21, 0
	v_lshl_add_u64 v[20:21], v[14:15], 0, v[20:21]
	global_load_ushort v10, v[20:21], off
	s_waitcnt vmcnt(0)
	v_lshlrev_b32_e32 v10, 16, v10
	v_sub_f32_e32 v10, v10, v12
	v_mul_f32_e32 v10, v23, v10
	v_lshrrev_b32_e32 v17, 16, v10
.LBB638_74:
	s_or_b64 exec, exec, s[0:1]
	v_or_b32_e32 v10, 0x9800, v49
	s_and_saveexec_b64 s[0:1], s[4:5]
	s_cbranch_execz .LBB638_76
; %bb.75:
	v_lshlrev_b32_e32 v20, 8, v22
	v_mov_b32_e32 v21, 0
	v_lshl_add_u64 v[14:15], v[14:15], 0, v[20:21]
	global_load_ushort v11, v[14:15], off
	s_waitcnt vmcnt(0)
	v_lshlrev_b32_e32 v11, 16, v11
	v_sub_f32_e32 v11, v11, v13
	v_mul_f32_e32 v11, v18, v11
	v_lshrrev_b32_e32 v11, 16, v11
.LBB638_76:
	s_or_b64 exec, exec, s[0:1]
	s_mov_b32 s0, 0x5040100
	v_perm_b32 v13, v11, v17, s0
	v_lshlrev_b32_e32 v11, 1, v44
	v_perm_b32 v12, v24, v25, s0
	v_lshl_or_b32 v11, v16, 5, v11
	s_movk_i32 s0, 0xff
	ds_write_b64 v11, v[12:13] offset:38912
	v_and_b32_e32 v11, 7, v0
	v_and_b32_e32 v12, 8, v0
	v_cmp_lt_u32_e32 vcc, s0, v0
	v_lshrrev_b32_e32 v0, 1, v0
	v_lshlrev_b32_e32 v22, 3, v11
	v_lshlrev_b32_e32 v23, 7, v11
	v_cndmask_b32_e64 v11, 0, 1, vcc
	v_lshlrev_b32_e32 v25, 3, v46
	v_and_b32_e32 v0, 24, v0
	v_lshlrev_b32_e32 v24, 13, v11
	v_xor_b32_e32 v11, v25, v0
	v_or_b32_e32 v13, 0x440, v11
	v_cmp_eq_u32_e32 vcc, 0, v12
	s_waitcnt lgkmcnt(0)
	s_barrier
	v_cndmask_b32_e32 v11, v13, v11, vcc
	v_or_b32_e32 v11, v11, v45
	v_xad_u32 v26, v11, v22, v23
	v_add_u32_e32 v11, v24, v26
	ds_read_b64 v[20:21], v11
	ds_read2st64_b64 v[12:15], v10 offset1:1
	ds_read2st64_b64 v[16:19], v10 offset0:2 offset1:3
	v_or_b32_e32 v10, 32, v0
	v_xor_b32_e32 v10, v25, v10
	v_or_b32_e32 v11, 0x440, v10
	v_cndmask_b32_e32 v10, v11, v10, vcc
	v_or_b32_e32 v10, v10, v45
	v_xad_u32 v27, v10, v22, v23
	v_add_u32_e32 v10, v24, v27
	ds_read_b64 v[10:11], v10
	s_waitcnt lgkmcnt(2)
	v_mfma_f32_16x16x16_bf16 a[0:3], v[20:21], v[12:13], 0
	s_waitcnt lgkmcnt(0)
	v_mfma_f32_16x16x16_bf16 a[0:3], v[10:11], v[14:15], a[0:3]
	v_or_b32_e32 v10, 64, v0
	v_xor_b32_e32 v10, v25, v10
	v_xor_b32_e32 v11, 0x440, v10
	v_cndmask_b32_e32 v10, v11, v10, vcc
	v_or_b32_e32 v10, v10, v45
	v_xad_u32 v28, v10, v22, v23
	v_add_u32_e32 v10, v24, v28
	ds_read_b64 v[10:11], v10
	v_or_b32_e32 v0, 0x60, v0
	v_xor_b32_e32 v0, v25, v0
	v_xor_b32_e32 v20, 0x440, v0
	v_cndmask_b32_e32 v0, v20, v0, vcc
	v_or_b32_e32 v0, v0, v45
	v_xad_u32 v0, v0, v22, v23
	v_add_u32_e32 v20, v24, v0
	ds_read_b64 v[20:21], v20
	s_waitcnt lgkmcnt(1)
	v_mfma_f32_16x16x16_bf16 a[0:3], v[10:11], v[16:17], a[0:3]
	ds_read_b64 v[10:11], v26 offset:8192
	ds_read_b64 v[22:23], v27 offset:8192
	v_mov_b32_e32 v24, 0x3fb8aa3b
	s_waitcnt lgkmcnt(2)
	v_mfma_f32_16x16x16_bf16 a[0:3], v[20:21], v[18:19], a[0:3]
	v_mul_f32_e32 v20, s12, v24
	v_exp_f32_e32 v24, v20
	ds_read_b64 v[20:21], v28 offset:8192
	s_waitcnt lgkmcnt(2)
	v_mfma_f32_16x16x16_bf16 a[4:7], v[10:11], v[12:13], 0
	s_nop 1
	v_accvgpr_read_b32 v10, a0
	v_fma_f32 v12, v2, v24, v10
	ds_read_b64 v[10:11], v0 offset:8192
	s_waitcnt lgkmcnt(2)
	v_mfma_f32_16x16x16_bf16 a[4:7], v[22:23], v[14:15], a[4:7]
	v_accvgpr_read_b32 v0, a1
	v_fma_f32 v13, v3, v24, v0
	v_accvgpr_read_b32 v0, a2
	s_waitcnt lgkmcnt(1)
	v_mfma_f32_16x16x16_bf16 a[4:7], v[20:21], v[16:17], a[4:7]
	v_accvgpr_read_b32 v15, a3
	v_fma_f32 v14, v4, v24, v0
	v_fmac_f32_e32 v15, v5, v24
	s_waitcnt lgkmcnt(0)
	v_mfma_f32_16x16x16_bf16 a[0:3], v[10:11], v[18:19], a[4:7]
	v_mov_b32_e32 v10, v34
	s_nop 5
	v_accvgpr_read_b32 v0, a0
	v_fma_f32 v16, v6, v24, v0
	v_accvgpr_read_b32 v0, a1
	v_fma_f32 v17, v7, v24, v0
	v_accvgpr_read_b32 v0, a2
	v_accvgpr_read_b32 v19, a3
	v_fma_f32 v18, v8, v24, v0
	v_fmac_f32_e32 v19, v9, v24
	v_mov_b64_e32 v[2:3], v[12:13]
	v_mov_b64_e32 v[4:5], v[14:15]
	;; [unrolled: 1-line block ×4, first 2 shown]
.LBB638_77:
	s_lshl_b64 s[0:1], s[24:25], 15
	s_waitcnt lgkmcnt(0)
	s_add_u32 s0, s28, s0
	v_lshlrev_b32_e32 v10, 7, v10
	s_addc_u32 s1, s29, s1
	v_ashrrev_i32_e32 v11, 31, v10
	v_lshl_add_u64 v[10:11], v[10:11], 1, s[0:1]
	v_lshlrev_b32_e32 v0, 1, v1
	v_mov_b32_e32 v1, 0
	s_mov_b32 s0, 0x7060302
	v_lshl_add_u64 v[0:1], v[10:11], 0, v[0:1]
	v_perm_b32 v5, v5, v4, s0
	v_perm_b32 v4, v3, v2, s0
	;; [unrolled: 1-line block ×4, first 2 shown]
	global_store_dwordx2 v[0:1], v[4:5], off
	global_store_dwordx2 v[0:1], v[2:3], off offset:128
	s_endpgm
	.section	.rodata,"a",@progbits
	.p2align	6, 0x0
	.amdhsa_kernel _ZN12_GLOBAL__N_139chunk_gated_delta_rule_fwd_h_hip_kernelILi16ELb0ELb1ELb0ELb0ELb0ELb0ELb0ELb1EEEvPK12hip_bfloat16S3_S3_PKfS5_PKvPS1_S8_PvPKiSB_iiiiilll
		.amdhsa_group_segment_fixed_size 40960
		.amdhsa_private_segment_fixed_size 0
		.amdhsa_kernarg_size 136
		.amdhsa_user_sgpr_count 2
		.amdhsa_user_sgpr_dispatch_ptr 0
		.amdhsa_user_sgpr_queue_ptr 0
		.amdhsa_user_sgpr_kernarg_segment_ptr 1
		.amdhsa_user_sgpr_dispatch_id 0
		.amdhsa_user_sgpr_kernarg_preload_length 0
		.amdhsa_user_sgpr_kernarg_preload_offset 0
		.amdhsa_user_sgpr_private_segment_size 0
		.amdhsa_uses_dynamic_stack 0
		.amdhsa_enable_private_segment 0
		.amdhsa_system_sgpr_workgroup_id_x 1
		.amdhsa_system_sgpr_workgroup_id_y 1
		.amdhsa_system_sgpr_workgroup_id_z 0
		.amdhsa_system_sgpr_workgroup_info 0
		.amdhsa_system_vgpr_workitem_id 0
		.amdhsa_next_free_vgpr 116
		.amdhsa_next_free_sgpr 63
		.amdhsa_accum_offset 108
		.amdhsa_reserve_vcc 1
		.amdhsa_float_round_mode_32 0
		.amdhsa_float_round_mode_16_64 0
		.amdhsa_float_denorm_mode_32 3
		.amdhsa_float_denorm_mode_16_64 3
		.amdhsa_dx10_clamp 1
		.amdhsa_ieee_mode 1
		.amdhsa_fp16_overflow 0
		.amdhsa_tg_split 0
		.amdhsa_exception_fp_ieee_invalid_op 0
		.amdhsa_exception_fp_denorm_src 0
		.amdhsa_exception_fp_ieee_div_zero 0
		.amdhsa_exception_fp_ieee_overflow 0
		.amdhsa_exception_fp_ieee_underflow 0
		.amdhsa_exception_fp_ieee_inexact 0
		.amdhsa_exception_int_div_zero 0
	.end_amdhsa_kernel
	.section	.text._ZN12_GLOBAL__N_139chunk_gated_delta_rule_fwd_h_hip_kernelILi16ELb0ELb1ELb0ELb0ELb0ELb0ELb0ELb1EEEvPK12hip_bfloat16S3_S3_PKfS5_PKvPS1_S8_PvPKiSB_iiiiilll,"axG",@progbits,_ZN12_GLOBAL__N_139chunk_gated_delta_rule_fwd_h_hip_kernelILi16ELb0ELb1ELb0ELb0ELb0ELb0ELb0ELb1EEEvPK12hip_bfloat16S3_S3_PKfS5_PKvPS1_S8_PvPKiSB_iiiiilll,comdat
.Lfunc_end638:
	.size	_ZN12_GLOBAL__N_139chunk_gated_delta_rule_fwd_h_hip_kernelILi16ELb0ELb1ELb0ELb0ELb0ELb0ELb0ELb1EEEvPK12hip_bfloat16S3_S3_PKfS5_PKvPS1_S8_PvPKiSB_iiiiilll, .Lfunc_end638-_ZN12_GLOBAL__N_139chunk_gated_delta_rule_fwd_h_hip_kernelILi16ELb0ELb1ELb0ELb0ELb0ELb0ELb0ELb1EEEvPK12hip_bfloat16S3_S3_PKfS5_PKvPS1_S8_PvPKiSB_iiiiilll
                                        ; -- End function
	.section	.AMDGPU.csdata,"",@progbits
; Kernel info:
; codeLenInByte = 7908
; NumSgprs: 69
; NumVgprs: 106
; NumAgprs: 8
; TotalNumVgprs: 116
; ScratchSize: 0
; MemoryBound: 0
; FloatMode: 240
; IeeeMode: 1
; LDSByteSize: 40960 bytes/workgroup (compile time only)
; SGPRBlocks: 8
; VGPRBlocks: 14
; NumSGPRsForWavesPerEU: 69
; NumVGPRsForWavesPerEU: 116
; AccumOffset: 108
; Occupancy: 1
; WaveLimiterHint : 1
; COMPUTE_PGM_RSRC2:SCRATCH_EN: 0
; COMPUTE_PGM_RSRC2:USER_SGPR: 2
; COMPUTE_PGM_RSRC2:TRAP_HANDLER: 0
; COMPUTE_PGM_RSRC2:TGID_X_EN: 1
; COMPUTE_PGM_RSRC2:TGID_Y_EN: 1
; COMPUTE_PGM_RSRC2:TGID_Z_EN: 0
; COMPUTE_PGM_RSRC2:TIDIG_COMP_CNT: 0
; COMPUTE_PGM_RSRC3_GFX90A:ACCUM_OFFSET: 26
; COMPUTE_PGM_RSRC3_GFX90A:TG_SPLIT: 0
	.section	.text._ZN12_GLOBAL__N_139chunk_gated_delta_rule_fwd_h_hip_kernelILi16ELb0ELb0ELb1ELb0ELb0ELb0ELb0ELb1EEEvPK12hip_bfloat16S3_S3_PKfS5_PKvPS1_S8_PvPKiSB_iiiiilll,"axG",@progbits,_ZN12_GLOBAL__N_139chunk_gated_delta_rule_fwd_h_hip_kernelILi16ELb0ELb0ELb1ELb0ELb0ELb0ELb0ELb1EEEvPK12hip_bfloat16S3_S3_PKfS5_PKvPS1_S8_PvPKiSB_iiiiilll,comdat
	.globl	_ZN12_GLOBAL__N_139chunk_gated_delta_rule_fwd_h_hip_kernelILi16ELb0ELb0ELb1ELb0ELb0ELb0ELb0ELb1EEEvPK12hip_bfloat16S3_S3_PKfS5_PKvPS1_S8_PvPKiSB_iiiiilll ; -- Begin function _ZN12_GLOBAL__N_139chunk_gated_delta_rule_fwd_h_hip_kernelILi16ELb0ELb0ELb1ELb0ELb0ELb0ELb0ELb1EEEvPK12hip_bfloat16S3_S3_PKfS5_PKvPS1_S8_PvPKiSB_iiiiilll
	.p2align	8
	.type	_ZN12_GLOBAL__N_139chunk_gated_delta_rule_fwd_h_hip_kernelILi16ELb0ELb0ELb1ELb0ELb0ELb0ELb0ELb1EEEvPK12hip_bfloat16S3_S3_PKfS5_PKvPS1_S8_PvPKiSB_iiiiilll,@function
_ZN12_GLOBAL__N_139chunk_gated_delta_rule_fwd_h_hip_kernelILi16ELb0ELb0ELb1ELb0ELb0ELb0ELb0ELb1EEEvPK12hip_bfloat16S3_S3_PKfS5_PKvPS1_S8_PvPKiSB_iiiiilll: ; @_ZN12_GLOBAL__N_139chunk_gated_delta_rule_fwd_h_hip_kernelILi16ELb0ELb0ELb1ELb0ELb0ELb0ELb0ELb1EEEvPK12hip_bfloat16S3_S3_PKfS5_PKvPS1_S8_PvPKiSB_iiiiilll
; %bb.0:
	s_load_dwordx4 s[16:19], s[0:1], 0x5c
	s_load_dwordx4 s[12:15], s[0:1], 0x30
	s_abs_i32 s22, s3
	s_ashr_i32 s21, s3, 31
	s_load_dwordx8 s[4:11], s[0:1], 0x0
	s_waitcnt lgkmcnt(0)
	s_abs_i32 s20, s17
	v_cvt_f32_u32_e32 v1, s20
	s_sub_i32 s24, 0, s20
	s_ashr_i32 s23, s17, 31
	s_xor_b32 s21, s21, s23
	v_rcp_iflag_f32_e32 v1, v1
	v_lshrrev_b32_e32 v44, 6, v0
	v_bfe_u32 v45, v0, 4, 2
	v_lshlrev_b32_e32 v42, 4, v44
	v_mul_f32_e32 v1, 0x4f7ffffe, v1
	v_cvt_u32_f32_e32 v1, v1
	v_lshlrev_b32_e32 v2, 2, v45
	v_and_b32_e32 v43, 63, v0
	v_or_b32_e32 v48, v2, v42
	v_readfirstlane_b32 s25, v1
	s_mul_i32 s24, s24, s25
	s_mul_hi_u32 s24, s25, s24
	s_add_i32 s25, s25, s24
	s_mul_hi_u32 s24, s22, s25
	s_mul_i32 s25, s24, s20
	s_sub_i32 s22, s22, s25
	s_add_i32 s26, s24, 1
	s_sub_i32 s25, s22, s20
	s_cmp_ge_u32 s22, s20
	s_cselect_b32 s24, s26, s24
	s_cselect_b32 s22, s25, s22
	s_add_i32 s25, s24, 1
	s_cmp_ge_u32 s22, s20
	s_cselect_b32 s22, s25, s24
	s_xor_b32 s22, s22, s21
	s_sub_i32 s47, s22, s21
	s_abs_i32 s21, s18
	v_cvt_f32_u32_e32 v1, s21
	s_add_i32 s24, s16, 63
	s_mul_i32 s45, s47, s17
	s_sub_i32 s33, s3, s45
	v_rcp_iflag_f32_e32 v1, v1
	s_ashr_i32 s3, s24, 31
	s_ashr_i32 s46, s16, 31
	s_lshr_b32 s3, s3, 26
	v_mul_f32_e32 v1, 0x4f7ffffe, v1
	v_cvt_u32_f32_e32 v1, v1
	s_lshr_b32 s22, s46, 26
	s_add_i32 s24, s24, s3
	s_add_i32 s22, s16, s22
	s_ashr_i32 s49, s18, 31
	s_ashr_i32 s3, s24, 6
	;; [unrolled: 1-line block ×3, first 2 shown]
	s_xor_b32 s22, s23, s49
	s_sub_i32 s23, 0, s21
	v_readfirstlane_b32 s24, v1
	s_mul_i32 s23, s23, s24
	s_mul_hi_u32 s23, s24, s23
	s_add_i32 s24, s24, s23
	s_mul_hi_u32 s23, s20, s24
	s_mul_i32 s24, s23, s21
	s_sub_i32 s20, s20, s24
	s_add_i32 s24, s23, 1
	s_sub_i32 s25, s20, s21
	s_cmp_ge_u32 s20, s21
	s_cselect_b32 s23, s24, s23
	s_cselect_b32 s20, s25, s20
	s_add_i32 s24, s23, 1
	s_cmp_ge_u32 s20, s21
	s_cselect_b32 s20, s24, s23
	s_xor_b32 s20, s20, s22
	s_sub_i32 s24, s20, s22
	s_abs_i32 s25, s24
	v_cvt_f32_u32_e32 v1, s25
	s_load_dwordx2 s[34:35], s[0:1], 0x80
	s_load_dwordx4 s[20:23], s[0:1], 0x70
	s_xor_b32 s0, s33, s24
	s_sub_i32 s24, 0, s25
	v_rcp_iflag_f32_e32 v1, v1
	s_abs_i32 s1, s33
	s_ashr_i32 s0, s0, 31
	s_mul_i32 s50, s47, s3
	v_mul_f32_e32 v1, 0x4f7ffffe, v1
	v_cvt_u32_f32_e32 v1, v1
	v_or_b32_e32 v49, 64, v48
	v_mov_b32_e32 v3, 0
	s_mul_hi_i32 s51, s47, s17
	v_readfirstlane_b32 s26, v1
	s_mul_i32 s24, s24, s26
	s_mul_hi_u32 s24, s26, s24
	s_add_i32 s26, s26, s24
	s_mul_hi_u32 s24, s1, s26
	s_mul_i32 s26, s24, s25
	s_sub_i32 s1, s1, s26
	s_add_i32 s26, s24, 1
	s_sub_i32 s27, s1, s25
	s_cmp_ge_u32 s1, s25
	s_cselect_b32 s24, s26, s24
	s_cselect_b32 s1, s27, s1
	s_add_i32 s26, s24, 1
	s_cmp_ge_u32 s1, s25
	s_cselect_b32 s1, s26, s24
	s_xor_b32 s1, s1, s0
	s_sub_i32 s52, s1, s0
	s_lshl_b32 s36, s2, 4
	v_and_b32_e32 v1, 15, v0
	s_cmp_lt_i32 s16, 64
	v_lshrrev_b32_e32 v47, 3, v43
	v_lshlrev_b32_e32 v46, 3, v0
	s_waitcnt lgkmcnt(0)
	s_mul_i32 s21, s47, s21
	s_mul_hi_u32 s44, s47, s20
	s_mul_i32 s38, s47, s20
	v_mov_b32_e32 v61, 0
	v_mov_b32_e32 v34, 0
	;; [unrolled: 1-line block ×7, first 2 shown]
	s_cbranch_scc1 .LBB639_18
; %bb.1:
	s_ashr_i32 s28, s47, 31
	s_ashr_i32 s54, s33, 31
	s_add_u32 s0, s45, s33
	s_addc_u32 s1, s51, s54
	s_mul_i32 s1, s16, s1
	s_mul_hi_u32 s2, s16, s0
	s_add_i32 s3, s2, s1
	s_mul_i32 s2, s16, s0
	s_lshl_b64 s[0:1], s[2:3], 8
	v_and_b32_e32 v51, 56, v46
	s_add_u32 s24, s6, s0
	v_lshl_or_b32 v50, v44, 3, v47
	v_lshlrev_b32_e32 v3, 1, v51
	s_addc_u32 s0, s7, s1
	v_lshl_or_b32 v52, v50, 8, v3
	s_and_b32 s25, s0, 0xffff
	s_mov_b32 s27, 0x20000
	s_movk_i32 s26, 0x4000
	s_movk_i32 s0, 0x80
	v_or_b32_e32 v53, 0x2000, v52
	buffer_load_dwordx4 v[4:7], v52, s[24:27], 0 offen
	buffer_load_dwordx4 v[8:11], v52, s[24:27], s0 offen
	;; [unrolled: 1-line block ×4, first 2 shown]
	v_lshlrev_b32_e32 v20, 3, v50
	v_and_or_b32 v22, v0, 7, v20
	v_and_b32_e32 v20, 0x78, v20
	v_lshlrev_b32_e32 v22, 4, v22
	v_xor_b32_e32 v54, v22, v20
	v_mul_lo_u32 v21, v50, s19
	v_or_b32_e32 v55, 0x1000, v54
	s_cmpk_eq_i32 s19, 0x80
	s_mov_b32 s53, s18
	v_xor_b32_e32 v20, 8, v54
	v_xor_b32_e32 v22, 8, v55
	s_cselect_b64 s[0:1], -1, 0
	s_cmpk_lg_i32 s19, 0x80
	s_waitcnt vmcnt(3)
	ds_write_b64 v54, v[4:5] offset:16384
	ds_write_b64 v20, v[6:7] offset:16384
	s_waitcnt vmcnt(2)
	ds_write_b64 v54, v[8:9] offset:24576
	ds_write_b64 v20, v[10:11] offset:24576
	;; [unrolled: 3-line block ×4, first 2 shown]
	v_lshl_add_u32 v4, v21, 1, v51
	s_cbranch_scc0 .LBB639_3
; %bb.2:
	v_lshlrev_b32_e32 v6, 1, v4
	v_add_lshl_u32 v5, v4, s19, 1
	s_lshl_b32 s26, s19, 7
	v_lshl_or_b32 v3, v50, 9, v3
	s_cbranch_execz .LBB639_4
	s_branch .LBB639_5
.LBB639_3:
                                        ; implicit-def: $vgpr5
                                        ; implicit-def: $vgpr6
                                        ; implicit-def: $sgpr26
	v_lshl_or_b32 v3, v50, 9, v3
.LBB639_4:
	v_or_b32_e32 v5, 0x100, v3
	s_movk_i32 s26, 0x4000
	v_mov_b32_e32 v6, v3
.LBB639_5:
	s_mul_hi_u32 s24, s18, s16
	s_mul_i32 s25, s49, s16
	s_add_i32 s24, s24, s25
	s_mul_i32 s25, s18, s16
	s_mul_i32 s27, s25, s28
	s_mul_hi_u32 s29, s25, s47
	s_add_i32 s27, s29, s27
	s_mul_i32 s24, s24, s47
	s_add_i32 s27, s27, s24
	s_mul_i32 s25, s25, s47
	s_ashr_i32 s55, s52, 31
	s_add_u32 s24, s25, s52
	s_addc_u32 s25, s27, s55
	s_lshl_b64 s[24:25], s[24:25], 8
	s_add_u32 s24, s4, s24
	s_addc_u32 s25, s5, s25
	s_and_b32 s25, s25, 0xffff
	s_mov_b32 s27, 0x20000
	s_movk_i32 s56, 0x80
	buffer_load_dwordx4 v[8:11], v6, s[24:27], 0 offen
	buffer_load_dwordx4 v[12:15], v6, s[24:27], s56 offen
	;; [unrolled: 1-line block ×4, first 2 shown]
	v_and_b32_e32 v5, 6, v0
	s_mul_i32 s24, s28, s16
	s_mul_hi_u32 s25, s47, s16
	v_lshlrev_b32_e32 v7, 2, v1
	v_lshlrev_b32_e32 v24, 3, v1
	v_xor_b32_e32 v26, v50, v5
	v_and_b32_e32 v6, 1, v0
	s_mul_i32 s28, s28, s20
	v_lshl_or_b32 v24, v48, 5, v24
	v_xor_b32_e32 v27, v48, v7
	v_lshlrev_b32_e32 v26, 2, v26
	s_add_i32 s61, s25, s24
	s_add_i32 s24, s44, s21
	v_or_b32_e32 v56, 0x9000, v24
	v_or_b32_e32 v57, 0x9800, v24
	v_lshlrev_b32_e32 v24, 1, v27
	v_xor_b32_e32 v27, 0x440, v26
	v_cmp_eq_u32_e32 vcc, 0, v6
	s_add_i32 s39, s24, s28
	s_mul_i32 s24, s33, s23
	s_mul_hi_u32 s25, s33, s22
	v_cndmask_b32_e32 v6, v27, v26, vcc
	s_add_i32 s24, s25, s24
	s_mul_i32 s25, s54, s22
	s_mov_b32 s58, 0x1000504
	v_lshlrev_b32_e32 v25, 8, v1
	s_mov_b32 s26, 0x8000
	v_xor_b32_e32 v7, v49, v7
	v_lshl_or_b32 v5, v5, 10, v6
	s_add_i32 s25, s24, s25
	s_lshl_b64 s[28:29], s[38:39], 2
	s_mov_b32 s59, 0x3020706
	v_lshlrev_b32_e32 v7, 1, v7
	v_or3_b32 v58, v24, v25, s26
	v_xor_b32_e32 v6, 8, v5
	v_xor_b32_e32 v24, 24, v5
	;; [unrolled: 1-line block ×4, first 2 shown]
	s_mul_i32 s24, s33, s22
	s_add_u32 s28, s10, s28
	v_or3_b32 v59, v7, v25, s26
	v_xor_b32_e32 v7, 16, v5
	v_xor_b32_e32 v25, 32, v5
	;; [unrolled: 1-line block ×3, first 2 shown]
	v_add_u32_e32 v6, 0x80, v6
	v_add_u32_e32 v24, 0x80, v24
	;; [unrolled: 1-line block ×4, first 2 shown]
	s_addc_u32 s29, s11, s29
	s_lshl_b64 s[24:25], s[24:25], 2
	s_add_u32 s40, s28, s24
	s_movk_i32 s24, 0xf8
	s_addc_u32 s41, s29, s25
	s_ashr_i32 s37, s36, 31
	s_lshl_b32 s30, s19, 7
	v_mov_b32_e32 v35, 0
	s_mov_b32 s57, 0
	s_mul_i32 s60, s47, s16
	v_add_u32_e32 v78, v42, v2
	v_mov_b32_e32 v79, 0x3fb8aa3b
	s_mov_b32 s62, 0
	v_mov_b32_e32 v62, v35
	v_mov_b32_e32 v63, v35
	;; [unrolled: 1-line block ×6, first 2 shown]
	s_waitcnt vmcnt(1)
	v_perm_b32 v29, v8, v16, s58
	s_waitcnt vmcnt(0)
	v_perm_b32 v30, v12, v20, s58
	v_perm_b32 v8, v8, v16, s59
	;; [unrolled: 1-line block ×15, first 2 shown]
	ds_write2st64_b32 v5, v29, v30 offset1:32
	ds_write2st64_b32 v6, v8, v12 offset1:32
	ds_write2st64_b32 v7, v16, v20 offset0:1 offset1:33
	ds_write2st64_b32 v24, v9, v13 offset0:1 offset1:33
	;; [unrolled: 1-line block ×6, first 2 shown]
	v_or_b32_e32 v5, v42, v1
	v_lshlrev_b32_e32 v5, 3, v5
	v_lshrrev_b32_e32 v7, 5, v43
	v_and_or_b32 v7, v5, s24, v7
	v_lshlrev_b32_e32 v7, 4, v7
	v_lshlrev_b32_e32 v10, 11, v44
	v_and_b32_e32 v5, 0x78, v5
	v_or_b32_e32 v12, 32, v7
	v_and_b32_e32 v6, 0x1000, v10
	v_lshrrev_b32_e32 v11, 1, v0
	v_xor_b32_e32 v12, v12, v5
	v_and_b32_e32 v9, 8, v11
	v_or_b32_e32 v12, v12, v6
	v_xor_b32_e32 v8, v7, v5
	v_xor_b32_e32 v66, v12, v9
	v_or_b32_e32 v12, 64, v7
	v_or_b32_e32 v7, 0x60, v7
	v_xor_b32_e32 v12, v12, v5
	v_xor_b32_e32 v5, v7, v5
	v_or_b32_e32 v5, v5, v6
	v_or_b32_e32 v12, v12, v6
	v_xor_b32_e32 v68, v5, v9
	v_lshlrev_b32_e32 v5, 1, v1
	v_xor_b32_e32 v67, v12, v9
	v_lshlrev_b32_e32 v12, 1, v4
	v_add_lshl_u32 v13, v4, s19, 1
	v_lshrrev_b32_e32 v4, 4, v0
	s_lshl_b64 s[24:25], s[36:37], 8
	v_or_b32_e32 v15, 1, v5
	s_add_u32 s24, s12, s24
	v_xor_b32_e32 v5, v4, v5
	v_xor_b32_e32 v15, v15, v4
	s_addc_u32 s25, s13, s25
	v_lshlrev_b32_e32 v5, 3, v5
	v_lshlrev_b32_e32 v34, 8, v4
	v_lshlrev_b32_e32 v4, 3, v15
	v_or3_b32 v70, v5, v34, s26
	v_or3_b32 v71, v4, v34, s26
	v_lshl_add_u64 v[4:5], s[24:25], 0, v[34:35]
	v_lshlrev_b32_e32 v34, 4, v1
	s_movk_i32 s24, 0xff
	v_lshlrev_b32_e32 v17, 3, v44
	v_and_b32_e32 v11, 24, v11
	v_lshl_add_u64 v[36:37], v[4:5], 0, v[34:35]
	v_and_b32_e32 v5, 8, v0
	v_cmp_lt_u32_e32 vcc, s24, v0
	v_xor_b32_e32 v18, v17, v11
	v_or_b32_e32 v19, 0x440, v18
	v_cndmask_b32_e64 v16, 0, 1, vcc
	v_cmp_eq_u32_e32 vcc, 0, v5
	v_and_b32_e32 v4, 7, v0
	v_lshlrev_b32_e32 v15, 3, v4
	v_cndmask_b32_e32 v5, v19, v18, vcc
	v_lshlrev_b32_e32 v4, 7, v4
	v_or_b32_e32 v5, v5, v10
	v_xad_u32 v72, v5, v15, v4
	v_or_b32_e32 v5, 32, v11
	v_xor_b32_e32 v5, v17, v5
	v_or_b32_e32 v18, 0x440, v5
	v_cndmask_b32_e32 v5, v18, v5, vcc
	v_or_b32_e32 v5, v5, v10
	v_xad_u32 v73, v5, v15, v4
	v_or_b32_e32 v5, 64, v11
	v_xor_b32_e32 v5, v17, v5
	v_xor_b32_e32 v18, 0x440, v5
	v_cndmask_b32_e32 v5, v18, v5, vcc
	v_or_b32_e32 v5, v5, v10
	v_xad_u32 v74, v5, v15, v4
	v_or_b32_e32 v5, 0x60, v11
	v_xor_b32_e32 v5, v17, v5
	v_or_b32_e32 v8, v8, v6
	v_or_b32_e32 v6, s36, v1
	v_xor_b32_e32 v11, 0x440, v5
	v_xor_b32_e32 v64, v8, v9
	v_and_b32_e32 v8, 0x78, v46
	v_ashrrev_i32_e32 v7, 31, v6
	v_cndmask_b32_e32 v5, v11, v5, vcc
	v_lshl_or_b32 v8, v45, 7, v8
	v_lshlrev_b64 v[6:7], 1, v[6:7]
	v_or_b32_e32 v5, v5, v10
	v_or_b32_e32 v65, 0x9000, v8
	;; [unrolled: 1-line block ×3, first 2 shown]
	v_lshl_add_u64 v[8:9], s[8:9], 0, v[6:7]
	v_lshl_add_u64 v[6:7], s[14:15], 0, v[6:7]
	v_or_b32_e32 v14, 0x100, v3
	v_lshlrev_b32_e32 v16, 13, v16
	v_xad_u32 v75, v5, v15, v4
	v_lshlrev_b32_e32 v34, 8, v48
	v_cndmask_b32_e64 v76, v12, v3, s[0:1]
	v_cndmask_b32_e64 v77, v13, v14, s[0:1]
	v_lshl_add_u64 v[38:39], v[8:9], 0, v[34:35]
	v_lshl_add_u64 v[40:41], v[6:7], 0, v[34:35]
	s_mov_b32 s37, 0x7060302
	s_movk_i32 s26, 0x4000
	v_add_u32_e32 v80, v16, v72
	v_add_u32_e32 v81, v16, v73
	;; [unrolled: 1-line block ×4, first 2 shown]
	v_mov_b32_e32 v34, v35
	s_waitcnt lgkmcnt(0)
	s_barrier
.LBB639_6:                              ; =>This Inner Loop Header: Depth=1
	s_add_i32 s39, s62, 1
	s_cmp_lt_i32 s39, s48
	s_mov_b64 s[28:29], 0
	s_cselect_b64 s[42:43], -1, 0
	s_cmp_ge_i32 s39, s48
	s_mov_b64 s[24:25], 0
	s_cbranch_scc1 .LBB639_8
; %bb.7:                                ;   in Loop: Header=BB639_6 Depth=1
	s_add_i32 s0, s57, 64
	s_add_u32 s0, s2, s0
	s_addc_u32 s1, s3, 0
	s_lshl_b64 s[0:1], s[0:1], 8
	s_add_u32 s24, s6, s0
	s_addc_u32 s25, s7, s1
.LBB639_8:                              ;   in Loop: Header=BB639_6 Depth=1
	v_cndmask_b32_e64 v2, 0, 1, s[42:43]
	v_cmp_ne_u32_e64 s[0:1], 1, v2
	s_andn2_b64 vcc, exec, s[42:43]
	s_cbranch_vccnz .LBB639_10
; %bb.9:                                ;   in Loop: Header=BB639_6 Depth=1
	s_add_i32 s28, s57, 64
	s_add_u32 s28, s60, s28
	s_addc_u32 s29, s61, 0
	s_mul_i32 s31, s28, s49
	s_mul_hi_u32 s42, s28, s53
	s_add_i32 s31, s42, s31
	s_mul_i32 s29, s29, s53
	s_add_i32 s31, s31, s29
	s_mul_i32 s28, s28, s53
	s_add_u32 s28, s28, s52
	s_addc_u32 s29, s31, s55
	s_lshl_b64 s[28:29], s[28:29], 8
	s_add_u32 s28, s4, s28
	s_addc_u32 s29, s5, s29
.LBB639_10:                             ;   in Loop: Header=BB639_6 Depth=1
	v_perm_b32 v3, v85, v63, s37
	v_perm_b32 v2, v62, v35, s37
	;; [unrolled: 1-line block ×4, first 2 shown]
	ds_write_b64 v56, v[2:3]
	ds_write_b64 v57, v[4:5]
	;; [unrolled: 1-line block ×4, first 2 shown]
	s_waitcnt lgkmcnt(0)
	s_barrier
	ds_read_b64 v[10:11], v64 offset:16384
	ds_read_b64 v[12:13], v66 offset:16384
	ds_read2st64_b64 v[2:5], v65 offset1:1
	ds_read2st64_b64 v[6:9], v65 offset0:2 offset1:3
	ds_read_b64 v[14:15], v67 offset:16384
	s_waitcnt lgkmcnt(2)
	v_mfma_f32_16x16x16_bf16 a[0:3], v[10:11], v[2:3], 0
	ds_read_b64 v[2:3], v68 offset:16384
	s_add_i32 s31, s57, 63
	s_mul_i32 s42, s31, s35
	v_mfma_f32_16x16x16_bf16 a[0:3], v[12:13], v[4:5], a[0:3]
	s_mul_hi_u32 s43, s31, s34
	s_add_i32 s43, s43, s42
	s_mul_i32 s42, s31, s34
	s_waitcnt lgkmcnt(1)
	v_mfma_f32_16x16x16_bf16 a[0:3], v[14:15], v[6:7], a[0:3]
	s_lshl_b64 s[42:43], s[42:43], 2
	s_add_u32 s42, s40, s42
	s_addc_u32 s43, s41, s43
	s_waitcnt lgkmcnt(0)
	v_mfma_f32_16x16x16_bf16 a[0:3], v[2:3], v[8:9], a[0:3]
	s_and_b64 vcc, exec, s[0:1]
	v_mov_b32_e32 v88, 0
	v_mov_b32_e32 v87, 0
	;; [unrolled: 1-line block ×19, first 2 shown]
	s_cbranch_vccnz .LBB639_12
; %bb.11:                               ;   in Loop: Header=BB639_6 Depth=1
	s_and_b32 s25, s25, 0xffff
	buffer_load_dwordx4 v[14:17], v52, s[24:27], 0 offen
	buffer_load_dwordx4 v[10:13], v52, s[24:27], s56 offen
	;; [unrolled: 1-line block ×4, first 2 shown]
	v_mov_b32_e32 v87, v54
	v_mov_b32_e32 v86, v55
.LBB639_12:                             ;   in Loop: Header=BB639_6 Depth=1
	s_waitcnt vmcnt(3)
	v_add_u32_e32 v24, s57, v78
	s_waitcnt vmcnt(1)
	v_ashrrev_i32_e32 v18, 31, v24
	v_mul_lo_u32 v20, v18, s34
	v_mul_lo_u32 v21, v24, s35
	v_mad_u64_u32 v[18:19], s[24:25], v24, s34, 0
	v_add3_u32 v19, v19, v21, v20
	v_add_u32_e32 v20, 1, v24
	v_ashrrev_i32_e32 v21, 31, v20
	v_mul_lo_u32 v22, v21, s34
	v_mul_lo_u32 v23, v20, s35
	v_mad_u64_u32 v[20:21], s[24:25], v20, s34, 0
	v_add3_u32 v21, v21, v23, v22
	v_add_u32_e32 v22, 2, v24
	v_ashrrev_i32_e32 v23, 31, v22
	v_mul_lo_u32 v25, v23, s34
	v_mul_lo_u32 v26, v22, s35
	v_mad_u64_u32 v[22:23], s[24:25], v22, s34, 0
	s_add_u32 s24, s2, s57
	v_add3_u32 v23, v23, v26, v25
	v_add_u32_e32 v26, 3, v24
	s_addc_u32 s25, s3, 0
	v_ashrrev_i32_e32 v24, 31, v26
	s_lshl_b64 s[64:65], s[24:25], 8
	v_lshl_add_u64 v[18:19], v[18:19], 2, s[40:41]
	v_mul_lo_u32 v27, v24, s34
	v_lshl_add_u64 v[24:25], v[38:39], 0, s[64:65]
	v_mul_lo_u32 v28, v26, s35
	global_load_ushort v90, v[24:25], off
	global_load_ushort v91, v[24:25], off offset:256
	global_load_ushort v92, v[24:25], off offset:512
	;; [unrolled: 1-line block ×3, first 2 shown]
	global_load_dword v94, v[18:19], off
	v_mad_u64_u32 v[18:19], s[24:25], v26, s34, 0
	v_lshl_add_u64 v[20:21], v[20:21], 2, s[40:41]
	v_add3_u32 v19, v19, v28, v27
	v_lshl_add_u64 v[22:23], v[22:23], 2, s[40:41]
	v_lshl_add_u64 v[18:19], v[18:19], 2, s[40:41]
	global_load_dword v95, v[20:21], off
	global_load_dword v96, v[22:23], off
	global_load_dword v97, v[18:19], off
	ds_read_b64 v[18:19], v64 offset:24576
	s_load_dword s24, s[42:43], 0x0
	ds_read_b64 v[28:29], v66 offset:24576
	ds_read2st64_b64 v[20:23], v69 offset1:1
	ds_read2st64_b64 v[24:27], v69 offset0:2 offset1:3
	ds_read_b64 v[30:31], v67 offset:24576
	ds_read_b64 v[32:33], v68 offset:24576
	s_waitcnt lgkmcnt(0)
	v_mfma_f32_16x16x16_bf16 a[0:3], v[18:19], v[20:21], a[0:3]
	v_mov_b32_e32 v89, 0
	v_mov_b32_e32 v18, 0
	;; [unrolled: 1-line block ×3, first 2 shown]
	v_mfma_f32_16x16x16_bf16 a[0:3], v[28:29], v[22:23], a[0:3]
	v_lshl_add_u64 v[28:29], v[40:41], 0, s[64:65]
	v_mov_b32_e32 v20, 0
	v_mov_b32_e32 v21, 0
	v_mfma_f32_16x16x16_bf16 a[0:3], v[30:31], v[24:25], a[0:3]
	v_mov_b32_e32 v22, 0
	v_mov_b32_e32 v23, 0
	;; [unrolled: 1-line block ×3, first 2 shown]
	v_mfma_f32_16x16x16_bf16 a[0:3], v[32:33], v[26:27], a[0:3]
	s_and_b64 vcc, exec, s[0:1]
	s_waitcnt vmcnt(7)
	v_lshlrev_b32_e32 v32, 16, v90
	s_nop 3
	v_accvgpr_read_b32 v31, a1
	v_accvgpr_read_b32 v27, a3
	v_accvgpr_read_b32 v26, a2
	v_accvgpr_read_b32 v30, a0
	s_waitcnt vmcnt(6)
	v_lshlrev_b32_e32 v33, 16, v91
	s_waitcnt vmcnt(4)
	v_lshlrev_b32_e32 v91, 16, v93
	v_lshlrev_b32_e32 v90, 16, v92
	s_waitcnt vmcnt(3)
	v_sub_f32_e32 v25, s24, v94
	v_pk_add_f32 v[30:31], v[32:33], v[30:31] neg_lo:[0,1] neg_hi:[0,1]
	v_pk_add_f32 v[26:27], v[90:91], v[26:27] neg_lo:[0,1] neg_hi:[0,1]
	v_mul_f32_e32 v25, 0x3fb8aa3b, v25
	s_waitcnt vmcnt(2)
	v_sub_f32_e32 v33, s24, v95
	s_waitcnt vmcnt(1)
	v_sub_f32_e32 v90, s24, v96
	;; [unrolled: 2-line block ×3, first 2 shown]
	v_exp_f32_e32 v32, v25
	v_mul_f32_e32 v25, 0x3fb8aa3b, v33
	v_mul_f32_e32 v90, 0x3fb8aa3b, v90
	;; [unrolled: 1-line block ×3, first 2 shown]
	v_exp_f32_e32 v33, v25
	v_exp_f32_e32 v90, v90
	;; [unrolled: 1-line block ×3, first 2 shown]
	global_store_short_d16_hi v[28:29], v30, off
	global_store_short_d16_hi v[28:29], v31, off offset:256
	global_store_short_d16_hi v[28:29], v26, off offset:512
	;; [unrolled: 1-line block ×3, first 2 shown]
	v_pk_mul_f32 v[28:29], v[32:33], v[30:31]
	v_pk_mul_f32 v[26:27], v[90:91], v[26:27]
	v_mov_b32_e32 v25, 0
	v_perm_b32 v27, v27, v26, s37
	v_perm_b32 v26, v29, v28, s37
	ds_write_b64 v57, v[26:27]
	v_mov_b32_e32 v26, 0
	v_mov_b32_e32 v27, 0
	;; [unrolled: 1-line block ×8, first 2 shown]
	s_cbranch_vccnz .LBB639_14
; %bb.13:                               ;   in Loop: Header=BB639_6 Depth=1
	s_and_b32 s29, s29, 0xffff
	s_mov_b32 s31, s27
	buffer_load_dwordx4 v[30:33], v76, s[28:31], 0 offen
	buffer_load_dwordx4 v[22:25], v76, s[28:31], s56 offen
	;; [unrolled: 1-line block ×4, first 2 shown]
	v_mov_b32_e32 v88, v51
	v_mov_b32_e32 v89, v50
.LBB639_14:                             ;   in Loop: Header=BB639_6 Depth=1
	s_waitcnt lgkmcnt(0)
	s_barrier
	ds_read_b64 v[98:99], v80
	ds_read2st64_b64 v[90:93], v69 offset1:1
	ds_read2st64_b64 v[94:97], v69 offset0:2 offset1:3
	ds_read_b64 v[100:101], v81
	ds_read_b64 v[102:103], v82
	ds_read_b64 v[104:105], v83
	s_waitcnt lgkmcnt(4)
	v_mfma_f32_16x16x16_bf16 a[0:3], v[98:99], v[90:91], 0
	ds_read_b64 v[98:99], v72 offset:8192
	ds_read_b64 v[106:107], v73 offset:8192
	s_add_i32 s25, s50, s62
	s_mul_hi_i32 s29, s25, s17
	s_waitcnt lgkmcnt(1)
	v_mfma_f32_16x16x16_bf16 a[4:7], v[98:99], v[90:91], 0
	s_mul_i32 s25, s25, s17
	s_add_u32 s28, s25, s33
	s_addc_u32 s29, s29, s54
	v_mfma_f32_16x16x16_bf16 a[0:3], v[100:101], v[92:93], a[0:3]
	ds_read_b64 v[98:99], v70
	ds_read_b64 v[100:101], v71
	ds_read_b64 v[90:91], v74 offset:8192
	s_lshl_b64 s[28:29], s[28:29], 15
	v_mfma_f32_16x16x16_bf16 a[0:3], v[102:103], v[94:95], a[0:3]
	ds_read_b64 v[102:103], v75 offset:8192
	s_and_b64 vcc, exec, s[0:1]
	s_waitcnt lgkmcnt(4)
	v_mfma_f32_16x16x16_bf16 a[4:7], v[106:107], v[92:93], a[4:7]
	s_waitcnt lgkmcnt(1)
	v_mfma_f32_16x16x16_bf16 a[4:7], v[90:91], v[94:95], a[4:7]
	v_lshl_add_u64 v[90:91], v[36:37], 0, s[28:29]
	global_store_dwordx4 v[90:91], v[98:101], off
	v_mfma_f32_16x16x16_bf16 a[0:3], v[104:105], v[96:97], a[0:3]
	s_waitcnt lgkmcnt(0)
	v_mfma_f32_16x16x16_bf16 a[4:7], v[102:103], v[96:97], a[4:7]
	s_cbranch_vccnz .LBB639_16
; %bb.15:                               ;   in Loop: Header=BB639_6 Depth=1
	v_lshrrev_b32_e32 v90, 3, v88
	v_and_b32_e32 v90, 6, v90
	v_xor_b32_e32 v89, v90, v89
	v_lshlrev_b32_e32 v89, 2, v89
	v_and_b32_e32 v88, 8, v88
	v_xor_b32_e32 v91, 0x440, v89
	v_cmp_eq_u32_e32 vcc, 0, v88
	s_barrier
	s_nop 0
	v_cndmask_b32_e32 v88, v91, v89, vcc
	v_lshl_or_b32 v88, v90, 10, v88
	s_waitcnt vmcnt(2)
	v_perm_b32 v89, v30, v26, s58
	s_waitcnt vmcnt(1)
	v_perm_b32 v90, v22, v18, s58
	ds_write2st64_b32 v88, v89, v90 offset1:32
	v_xor_b32_e32 v89, 8, v88
	v_perm_b32 v26, v30, v26, s59
	v_perm_b32 v18, v22, v18, s59
	v_add_u32_e32 v22, 0x80, v89
	ds_write2st64_b32 v22, v26, v18 offset1:32
	v_xor_b32_e32 v18, 16, v88
	v_perm_b32 v22, v31, v27, s58
	v_perm_b32 v26, v23, v19, s58
	ds_write2st64_b32 v18, v22, v26 offset0:1 offset1:33
	v_xor_b32_e32 v18, 24, v88
	v_perm_b32 v22, v31, v27, s59
	v_perm_b32 v19, v23, v19, s59
	v_add_u32_e32 v18, 0x80, v18
	ds_write2st64_b32 v18, v22, v19 offset0:1 offset1:33
	v_xor_b32_e32 v18, 32, v88
	v_perm_b32 v19, v32, v28, s58
	v_perm_b32 v22, v24, v20, s58
	ds_write2st64_b32 v18, v19, v22 offset0:2 offset1:34
	v_xor_b32_e32 v18, 40, v88
	v_perm_b32 v19, v32, v28, s59
	v_perm_b32 v20, v24, v20, s59
	v_add_u32_e32 v18, 0x80, v18
	ds_write2st64_b32 v18, v19, v20 offset0:2 offset1:34
	;; [unrolled: 9-line block ×3, first 2 shown]
	ds_write_b64 v87, v[14:15] offset:16384
	v_xor_b32_e32 v14, 8, v87
	ds_write_b64 v14, v[16:17] offset:16384
	ds_write_b64 v87, v[10:11] offset:24576
	;; [unrolled: 1-line block ×4, first 2 shown]
	v_xor_b32_e32 v6, 8, v86
	ds_write_b64 v6, v[8:9] offset:16384
	ds_write_b64 v86, v[2:3] offset:24576
	;; [unrolled: 1-line block ×3, first 2 shown]
.LBB639_16:                             ;   in Loop: Header=BB639_6 Depth=1
	v_mul_f32_e32 v2, s24, v79
	v_exp_f32_e32 v2, v2
	s_nop 1
	v_accvgpr_read_b32 v3, a0
	v_accvgpr_read_b32 v4, a1
	s_add_i32 s57, s57, 64
	v_fma_f32 v35, v35, v2, v3
	v_accvgpr_read_b32 v3, a2
	v_fma_f32 v63, v63, v2, v3
	v_accvgpr_read_b32 v3, a4
	v_fma_f32 v60, v60, v2, v3
	v_accvgpr_read_b32 v3, a5
	v_fma_f32 v34, v34, v2, v3
	v_accvgpr_read_b32 v3, a6
	v_fma_f32 v62, v62, v2, v4
	v_accvgpr_read_b32 v4, a3
	v_fma_f32 v61, v61, v2, v3
	v_accvgpr_read_b32 v3, a7
	v_fmac_f32_e32 v4, v85, v2
	s_cmp_eq_u32 s48, s39
	v_fmac_f32_e32 v3, v84, v2
	s_cbranch_scc1 .LBB639_18
; %bb.17:                               ;   in Loop: Header=BB639_6 Depth=1
	s_mov_b32 s62, s39
	v_mov_b32_e32 v85, v4
	v_mov_b32_e32 v84, v3
	s_branch .LBB639_6
.LBB639_18:
	s_lshl_b32 s42, s48, 6
	s_sub_i32 s43, s16, s42
	s_cmp_gt_i32 s43, 0
	s_cbranch_scc0 .LBB639_75
; %bb.19:
	s_ashr_i32 s39, s47, 31
	s_ashr_i32 s2, s42, 31
	s_cmpk_lg_i32 s19, 0x80
	s_cselect_b64 s[30:31], -1, 0
	s_and_b64 vcc, exec, s[30:31]
	s_cbranch_vccz .LBB639_21
; %bb.20:
	s_mul_i32 s1, s47, s16
	s_mul_hi_i32 s0, s47, s16
	s_add_u32 s1, s1, s42
	s_addc_u32 s0, s0, s2
	s_mul_i32 s3, s1, s49
	s_mul_hi_u32 s24, s1, s18
	s_add_i32 s3, s24, s3
	s_mul_i32 s0, s0, s18
	s_add_i32 s3, s3, s0
	s_mul_i32 s1, s1, s18
	s_ashr_i32 s0, s52, 31
	s_add_u32 s40, s1, s52
	s_addc_u32 s41, s3, s0
	s_cbranch_execz .LBB639_22
	s_branch .LBB639_23
.LBB639_21:
                                        ; implicit-def: $sgpr40_sgpr41
.LBB639_22:
	s_mul_hi_i32 s0, s47, s18
	s_mul_i32 s47, s47, s18
	s_ashr_i32 s1, s52, 31
	s_add_u32 s3, s47, s52
	s_addc_u32 s0, s0, s1
	s_mul_i32 s1, s3, s46
	s_mul_hi_u32 s18, s3, s16
	s_add_i32 s1, s18, s1
	s_mul_i32 s0, s0, s16
	s_add_i32 s1, s1, s0
	s_mul_i32 s3, s3, s16
	s_add_u32 s40, s3, s42
	s_addc_u32 s41, s1, s2
.LBB639_23:
	s_add_i32 s3, s50, s48
	s_ashr_i32 s18, s33, 31
	s_add_u32 s0, s45, s33
	s_addc_u32 s1, s51, s18
	s_mul_i32 s24, s0, s46
	s_mul_hi_u32 s25, s0, s16
	s_add_i32 s24, s25, s24
	s_mul_i32 s1, s1, s16
	s_add_i32 s24, s24, s1
	s_mul_i32 s0, s0, s16
	s_add_u32 s0, s0, s42
	s_addc_u32 s1, s24, s2
	s_mov_b32 s2, 0x7060302
	v_lshlrev_b32_e32 v6, 3, v1
	v_perm_b32 v5, v4, v63, s2
	v_perm_b32 v4, v62, v35, s2
	;; [unrolled: 1-line block ×4, first 2 shown]
	v_lshlrev_b32_e32 v34, 2, v1
	v_lshl_or_b32 v6, v48, 5, v6
	s_lshl_b64 s[28:29], s[0:1], 8
	ds_write2st64_b64 v6, v[4:5], v[2:3] offset0:72 offset1:76
	v_xor_b32_e32 v6, v48, v34
	v_lshlrev_b32_e32 v7, 8, v1
	s_add_u32 s0, s6, s28
	v_lshl_or_b32 v6, v6, 1, v7
	s_addc_u32 s1, s7, s29
	ds_write_b64 v6, v[4:5] offset:32768
	v_xor_b32_e32 v4, v49, v34
	s_mul_hi_i32 s6, s3, s17
	s_mul_i32 s3, s3, s17
	v_lshl_or_b32 v4, v4, 1, v7
	s_add_u32 s2, s3, s33
	ds_write_b64 v4, v[2:3] offset:32768
	s_addc_u32 s3, s6, s18
	v_lshlrev_b32_e32 v3, 1, v1
	v_lshrrev_b32_e32 v2, 4, v0
	s_ashr_i32 s37, s36, 31
	s_lshl_b64 s[2:3], s[2:3], 15
	v_or_b32_e32 v4, 1, v3
	s_add_u32 s6, s12, s2
	v_xor_b32_e32 v3, v2, v3
	v_xor_b32_e32 v4, v4, v2
	v_lshlrev_b32_e32 v6, 8, v2
	s_addc_u32 s7, s13, s3
	s_lshl_b64 s[2:3], s[36:37], 8
	v_lshl_or_b32 v2, v3, 3, v6
	v_lshl_or_b32 v4, v4, 3, v6
	s_waitcnt lgkmcnt(0)
	s_barrier
	s_add_u32 s2, s6, s2
	ds_read_b64 v[2:3], v2 offset:32768
	ds_read_b64 v[4:5], v4 offset:32768
	s_addc_u32 s3, s7, s3
	v_mov_b32_e32 v7, 0
	s_cmp_lg_u32 s43, 64
	v_lshl_add_u64 v[8:9], s[2:3], 0, v[6:7]
	v_lshlrev_b32_e32 v6, 4, v1
	s_cselect_b64 s[6:7], -1, 0
	v_lshl_or_b32 v35, v44, 3, v47
	s_mov_b32 s24, 0
	v_lshl_add_u64 v[6:7], v[8:9], 0, v[6:7]
	s_waitcnt vmcnt(1)
	v_or_b32_e32 v19, 32, v35
	v_and_b32_e32 v18, 56, v46
	s_and_b64 vcc, exec, s[6:7]
	s_waitcnt lgkmcnt(0)
	global_store_dwordx4 v[6:7], v[2:5], off
	s_cbranch_vccz .LBB639_29
; %bb.24:
	s_mov_b32 s25, s24
	s_mov_b32 s26, s24
	;; [unrolled: 1-line block ×3, first 2 shown]
	v_mov_b64_e32 v[6:7], s[24:25]
	v_mov_b64_e32 v[8:9], s[26:27]
	;; [unrolled: 1-line block ×3, first 2 shown]
	v_cmp_gt_i32_e32 vcc, s43, v35
	v_mov_b64_e32 v[4:5], v[8:9]
	s_and_saveexec_b64 s[2:3], vcc
	s_cbranch_execz .LBB639_26
; %bb.25:
	v_lshlrev_b32_e32 v2, 8, v35
	v_mov_b32_e32 v3, 0
	v_lshl_add_u64 v[4:5], s[0:1], 0, v[2:3]
	v_lshlrev_b32_e32 v2, 1, v18
	v_lshl_add_u64 v[10:11], v[4:5], 0, v[2:3]
	global_load_dwordx4 v[6:9], v[10:11], off
	global_load_dwordx4 v[2:5], v[10:11], off offset:128
.LBB639_26:
	s_or_b64 exec, exec, s[2:3]
	s_mov_b32 s25, s24
	s_mov_b32 s26, s24
	;; [unrolled: 1-line block ×3, first 2 shown]
	v_mov_b64_e32 v[14:15], s[24:25]
	v_mov_b64_e32 v[16:17], s[26:27]
	;; [unrolled: 1-line block ×3, first 2 shown]
	v_cmp_gt_i32_e32 vcc, s43, v19
	v_lshlrev_b32_e32 v20, 7, v19
	v_mov_b64_e32 v[12:13], v[16:17]
	s_and_saveexec_b64 s[2:3], vcc
	s_cbranch_execz .LBB639_28
; %bb.27:
	v_lshlrev_b32_e32 v10, 1, v20
	v_mov_b32_e32 v11, 0
	v_lshl_add_u64 v[12:13], s[0:1], 0, v[10:11]
	v_lshlrev_b32_e32 v10, 1, v18
	v_lshl_add_u64 v[22:23], v[12:13], 0, v[10:11]
	global_load_dwordx4 v[14:17], v[22:23], off
	global_load_dwordx4 v[10:13], v[22:23], off offset:128
.LBB639_28:
	s_or_b64 exec, exec, s[2:3]
	v_lshrrev_b32_e32 v21, 3, v18
	v_lshlrev_b32_e32 v22, 3, v35
	v_or_b32_e32 v21, v22, v21
	v_lshlrev_b32_e32 v21, 4, v21
	v_and_b32_e32 v22, 0x78, v22
	v_xor_b32_e32 v21, v21, v22
	s_branch .LBB639_31
.LBB639_29:
                                        ; implicit-def: $vgpr21
                                        ; implicit-def: $vgpr20
                                        ; implicit-def: $vgpr6_vgpr7_vgpr8_vgpr9
                                        ; implicit-def: $vgpr2_vgpr3_vgpr4_vgpr5
                                        ; implicit-def: $vgpr14_vgpr15_vgpr16_vgpr17
                                        ; implicit-def: $vgpr10_vgpr11_vgpr12_vgpr13
	s_cbranch_execz .LBB639_31
; %bb.30:
	s_waitcnt vmcnt(0)
	v_lshlrev_b32_e32 v2, 1, v18
	v_lshl_or_b32 v20, v35, 8, v2
	s_and_b32 s1, s1, 0xffff
	s_mov_b32 s3, 0x20000
	s_movk_i32 s2, 0x4000
	v_lshl_or_b32 v21, v19, 8, v2
	s_movk_i32 s12, 0x80
	buffer_load_dwordx4 v[6:9], v20, s[0:3], 0 offen
	buffer_load_dwordx4 v[2:5], v20, s[0:3], s12 offen
	;; [unrolled: 1-line block ×4, first 2 shown]
	v_lshrrev_b32_e32 v20, 3, v18
	v_lshlrev_b32_e32 v21, 3, v35
	v_or_b32_e32 v20, v21, v20
	v_lshlrev_b32_e32 v20, 4, v20
	v_and_b32_e32 v21, 0x78, v21
	v_xor_b32_e32 v21, v20, v21
	v_lshlrev_b32_e32 v20, 7, v19
.LBB639_31:
	s_lshl_b64 s[0:1], s[40:41], 8
	s_add_u32 s4, s4, s0
	s_movk_i32 s0, 0x1000
	v_and_or_b32 v19, v20, s0, v21
	s_waitcnt vmcnt(1)
	ds_write_b64 v21, v[6:7] offset:16384
	v_xor_b32_e32 v6, 8, v21
	ds_write_b64 v6, v[8:9] offset:16384
	s_waitcnt vmcnt(0)
	ds_write_b64 v21, v[2:3] offset:24576
	ds_write_b64 v6, v[4:5] offset:24576
	;; [unrolled: 1-line block ×3, first 2 shown]
	v_xor_b32_e32 v2, 8, v19
	ds_write_b64 v2, v[16:17] offset:16384
	ds_write_b64 v19, v[10:11] offset:24576
	;; [unrolled: 1-line block ×3, first 2 shown]
	v_or_b32_e32 v2, v42, v1
	s_addc_u32 s5, s5, s1
	s_add_i32 s2, s16, -1
	v_lshlrev_b32_e32 v2, 3, v2
	v_lshrrev_b32_e32 v4, 5, v43
	s_movk_i32 s16, 0xf8
	v_and_or_b32 v4, v2, s16, v4
	v_lshlrev_b32_e32 v3, 11, v44
	v_lshlrev_b32_e32 v12, 4, v4
	v_and_b32_e32 v13, 0x78, v2
	v_and_b32_e32 v14, 0x1000, v3
	v_lshlrev_b32_e32 v3, 2, v0
	v_xor_b32_e32 v2, v12, v13
	v_lshrrev_b32_e32 v4, 1, v43
	v_and_b32_e32 v3, 60, v3
	v_or_b32_e32 v2, v2, v14
	v_and_b32_e32 v15, 8, v4
	v_xor_b32_e32 v26, v2, v15
	v_lshl_or_b32 v2, v45, 6, v3
	v_lshlrev_b32_e32 v19, 1, v2
	v_or_b32_e32 v2, 32, v12
	v_xor_b32_e32 v2, v2, v13
	s_waitcnt lgkmcnt(0)
	s_barrier
	ds_read_b64 v[10:11], v26 offset:16384
	v_or_b32_e32 v2, v2, v14
	v_xor_b32_e32 v27, v2, v15
	v_or_b32_e32 v2, 64, v12
	v_xor_b32_e32 v2, v2, v13
	v_or_b32_e32 v2, v2, v14
	v_or_b32_e32 v12, 0x60, v12
	v_xor_b32_e32 v28, v2, v15
	ds_read2st64_b64 v[2:5], v19 offset0:72 offset1:73
	ds_read2st64_b64 v[6:9], v19 offset0:74 offset1:75
	v_xor_b32_e32 v16, v12, v13
	ds_read_b64 v[12:13], v27 offset:16384
	s_waitcnt lgkmcnt(2)
	v_mfma_f32_16x16x16_bf16 a[0:3], v[10:11], v[2:3], 0
	s_add_i32 s0, s44, s21
	s_mul_i32 s39, s39, s20
	s_add_i32 s39, s0, s39
	s_mul_i32 s0, s33, s23
	s_mul_hi_u32 s1, s33, s22
	s_ashr_i32 s3, s2, 31
	s_mul_i32 s12, s2, s35
	s_mul_hi_u32 s13, s2, s34
	s_add_i32 s0, s1, s0
	s_mul_i32 s1, s18, s22
	s_add_i32 s12, s13, s12
	s_mul_i32 s3, s3, s34
	v_or_b32_e32 v14, v16, v14
	s_add_i32 s1, s0, s1
	s_add_i32 s3, s12, s3
	s_lshl_b64 s[12:13], s[38:39], 2
	v_xor_b32_e32 v36, v14, v15
	ds_read_b64 v[14:15], v28 offset:16384
	ds_read_b64 v[16:17], v36 offset:16384
	s_waitcnt lgkmcnt(2)
	v_mfma_f32_16x16x16_bf16 a[0:3], v[12:13], v[4:5], a[0:3]
	s_mul_i32 s0, s33, s22
	s_add_u32 s10, s10, s12
	s_addc_u32 s11, s11, s13
	s_lshl_b64 s[0:1], s[0:1], 2
	s_mul_i32 s2, s2, s34
	s_add_u32 s10, s10, s0
	s_addc_u32 s11, s11, s1
	s_lshl_b64 s[0:1], s[2:3], 2
	s_waitcnt lgkmcnt(1)
	v_mfma_f32_16x16x16_bf16 a[0:3], v[14:15], v[6:7], a[0:3]
	s_add_u32 s0, s10, s0
	s_addc_u32 s1, s11, s1
	s_load_dword s12, s[0:1], 0x0
	s_waitcnt lgkmcnt(0)
	v_mfma_f32_16x16x16_bf16 a[0:3], v[16:17], v[8:9], a[0:3]
	s_and_b64 vcc, exec, s[30:31]
	s_cbranch_vccz .LBB639_42
; %bb.32:
	v_lshlrev_b32_e32 v20, 1, v35
	s_and_b64 vcc, exec, s[6:7]
	s_cbranch_vccz .LBB639_43
; %bb.33:
	v_cmp_gt_i32_e32 vcc, s43, v20
	v_mov_b32_e32 v6, 0
	v_mov_b32_e32 v2, 0
	;; [unrolled: 1-line block ×5, first 2 shown]
	s_and_saveexec_b64 s[0:1], vcc
	s_cbranch_execz .LBB639_35
; %bb.34:
	v_mad_i64_i32 v[2:3], s[2:3], s19, v20, 0
	v_lshl_add_u64 v[2:3], v[2:3], 1, s[4:5]
	v_lshlrev_b32_e32 v4, 1, v18
	v_mov_b32_e32 v5, 0
	v_lshl_add_u64 v[2:3], v[2:3], 0, v[4:5]
	global_load_dwordx4 v[2:5], v[2:3], off
.LBB639_35:
	s_or_b64 exec, exec, s[0:1]
	v_or_b32_e32 v21, 1, v20
	v_cmp_gt_i32_e64 s[0:1], s43, v21
	v_mov_b32_e32 v7, 0
	v_mov_b32_e32 v8, 0
	;; [unrolled: 1-line block ×3, first 2 shown]
	s_and_saveexec_b64 s[2:3], s[0:1]
	s_cbranch_execz .LBB639_37
; %bb.36:
	v_mad_i64_i32 v[6:7], s[16:17], s19, v21, 0
	v_lshl_add_u64 v[6:7], v[6:7], 1, s[4:5]
	v_lshlrev_b32_e32 v8, 1, v18
	v_mov_b32_e32 v9, 0
	v_lshl_add_u64 v[6:7], v[6:7], 0, v[8:9]
	global_load_dwordx4 v[6:9], v[6:7], off
.LBB639_37:
	s_or_b64 exec, exec, s[2:3]
	v_mov_b32_e32 v17, 0
	v_mov_b32_e32 v10, 0
	;; [unrolled: 1-line block ×5, first 2 shown]
	s_and_saveexec_b64 s[2:3], vcc
	s_cbranch_execz .LBB639_39
; %bb.38:
	v_mad_i64_i32 v[10:11], s[16:17], s19, v20, 0
	v_lshl_add_u64 v[10:11], v[10:11], 1, s[4:5]
	v_lshlrev_b32_e32 v12, 1, v18
	v_mov_b32_e32 v13, 0
	v_lshl_add_u64 v[10:11], v[10:11], 0, v[12:13]
	global_load_dwordx4 v[10:13], v[10:11], off offset:128
.LBB639_39:
	s_or_b64 exec, exec, s[2:3]
	v_mov_b32_e32 v16, 0
	v_mov_b32_e32 v15, 0
	;; [unrolled: 1-line block ×3, first 2 shown]
	s_and_saveexec_b64 s[2:3], s[0:1]
	s_cbranch_execz .LBB639_41
; %bb.40:
	v_mad_i64_i32 v[14:15], s[0:1], s19, v21, 0
	v_lshl_add_u64 v[14:15], v[14:15], 1, s[4:5]
	v_lshlrev_b32_e32 v16, 1, v18
	v_mov_b32_e32 v17, 0
	v_lshl_add_u64 v[14:15], v[14:15], 0, v[16:17]
	global_load_dwordx4 v[14:17], v[14:15], off offset:128
.LBB639_41:
	s_or_b64 exec, exec, s[2:3]
	s_branch .LBB639_45
.LBB639_42:
                                        ; implicit-def: $vgpr5
                                        ; implicit-def: $vgpr9
                                        ; implicit-def: $vgpr13
                                        ; implicit-def: $vgpr17
	v_lshrrev_b32_e32 v37, 2, v43
	s_branch .LBB639_46
.LBB639_43:
                                        ; implicit-def: $vgpr5
                                        ; implicit-def: $vgpr9
                                        ; implicit-def: $vgpr13
                                        ; implicit-def: $vgpr17
	s_cbranch_execz .LBB639_45
; %bb.44:
	s_waitcnt vmcnt(0)
	v_mad_u64_u32 v[2:3], s[0:1], v20, s19, v[18:19]
	v_lshlrev_b32_e32 v20, 1, v2
	s_lshl_b32 s2, s19, 7
	s_and_b32 s1, s5, 0xffff
	s_mov_b32 s3, 0x20000
	s_mov_b32 s0, s4
	v_add_lshl_u32 v21, v2, s19, 1
	s_movk_i32 s13, 0x80
	buffer_load_dwordx4 v[2:5], v20, s[0:3], 0 offen
	buffer_load_dwordx4 v[10:13], v20, s[0:3], s13 offen
	;; [unrolled: 1-line block ×4, first 2 shown]
.LBB639_45:
	v_lshrrev_b32_e32 v37, 2, v43
	s_cbranch_execnz .LBB639_58
.LBB639_46:
	s_and_b64 vcc, exec, s[6:7]
	s_cbranch_vccz .LBB639_56
; %bb.47:
	s_waitcnt vmcnt(0)
	v_lshlrev_b32_e32 v7, 1, v35
	v_cmp_gt_i32_e32 vcc, s43, v7
	v_mov_b32_e32 v6, 0
	v_lshlrev_b32_e32 v14, 9, v35
	v_mov_b32_e32 v2, 0
	v_mov_b32_e32 v3, 0
	v_mov_b32_e32 v4, 0
	v_mov_b32_e32 v5, 0
	s_and_saveexec_b64 s[0:1], vcc
	s_cbranch_execz .LBB639_49
; %bb.48:
	v_mov_b32_e32 v15, 0
	v_lshl_add_u64 v[2:3], s[4:5], 0, v[14:15]
	v_lshlrev_b32_e32 v4, 1, v18
	v_mov_b32_e32 v5, v15
	v_lshl_add_u64 v[2:3], v[2:3], 0, v[4:5]
	global_load_dwordx4 v[2:5], v[2:3], off
.LBB639_49:
	s_or_b64 exec, exec, s[0:1]
	v_or_b32_e32 v7, 1, v7
	v_cmp_gt_i32_e64 s[0:1], s43, v7
	v_lshlrev_b32_e32 v20, 8, v7
	v_mov_b32_e32 v7, 0
	v_mov_b32_e32 v8, 0
	;; [unrolled: 1-line block ×3, first 2 shown]
	s_and_saveexec_b64 s[2:3], s[0:1]
	s_cbranch_execz .LBB639_51
; %bb.50:
	v_mov_b32_e32 v21, 0
	v_lshl_add_u64 v[6:7], s[4:5], 0, v[20:21]
	v_lshlrev_b32_e32 v8, 1, v18
	v_mov_b32_e32 v9, v21
	v_lshl_add_u64 v[6:7], v[6:7], 0, v[8:9]
	global_load_dwordx4 v[6:9], v[6:7], off
.LBB639_51:
	s_or_b64 exec, exec, s[2:3]
	v_mov_b32_e32 v17, 0
	v_mov_b32_e32 v10, 0
	;; [unrolled: 1-line block ×5, first 2 shown]
	s_and_saveexec_b64 s[2:3], vcc
	s_cbranch_execz .LBB639_53
; %bb.52:
	v_mov_b32_e32 v15, 0
	v_lshl_add_u64 v[10:11], s[4:5], 0, v[14:15]
	v_lshlrev_b32_e32 v14, 1, v18
	v_lshl_add_u64 v[10:11], v[10:11], 0, v[14:15]
	global_load_dwordx4 v[10:13], v[10:11], off offset:128
.LBB639_53:
	s_or_b64 exec, exec, s[2:3]
	v_mov_b32_e32 v16, 0
	v_mov_b32_e32 v15, 0
	;; [unrolled: 1-line block ×3, first 2 shown]
	s_and_saveexec_b64 s[2:3], s[0:1]
	s_cbranch_execz .LBB639_55
; %bb.54:
	v_mov_b32_e32 v21, 0
	v_lshl_add_u64 v[14:15], s[4:5], 0, v[20:21]
	v_lshlrev_b32_e32 v20, 1, v18
	v_lshl_add_u64 v[14:15], v[14:15], 0, v[20:21]
	global_load_dwordx4 v[14:17], v[14:15], off offset:128
.LBB639_55:
	s_or_b64 exec, exec, s[2:3]
	s_branch .LBB639_58
.LBB639_56:
                                        ; implicit-def: $vgpr5
                                        ; implicit-def: $vgpr9
                                        ; implicit-def: $vgpr13
                                        ; implicit-def: $vgpr17
	s_cbranch_execz .LBB639_58
; %bb.57:
	s_waitcnt vmcnt(0)
	v_lshlrev_b32_e32 v2, 1, v18
	v_lshl_or_b32 v18, v35, 9, v2
	s_and_b32 s5, s5, 0xffff
	s_mov_b32 s7, 0x20000
	s_movk_i32 s6, 0x4000
	s_movk_i32 s0, 0x80
	buffer_load_dwordx4 v[2:5], v18, s[4:7], 0 offen
	buffer_load_dwordx4 v[6:9], v18, s[4:7], 0 offen offset:256
	buffer_load_dwordx4 v[10:13], v18, s[4:7], s0 offen
	buffer_load_dwordx4 v[14:17], v18, s[4:7], s0 offen offset:256
.LBB639_58:
	ds_read2st64_b64 v[22:25], v19 offset0:76 offset1:77
	ds_read2st64_b64 v[18:21], v19 offset0:78 offset1:79
	ds_read_b64 v[32:33], v26 offset:24576
	ds_read_b64 v[30:31], v27 offset:24576
	;; [unrolled: 1-line block ×4, first 2 shown]
	v_and_b32_e32 v36, 6, v0
	v_xor_b32_e32 v35, v35, v36
	v_lshlrev_b32_e32 v35, 2, v35
	v_and_b32_e32 v0, 1, v0
	v_xor_b32_e32 v38, 0x440, v35
	v_cmp_eq_u32_e32 vcc, 0, v0
	s_mov_b32 s0, 0x1000504
	s_mov_b32 s1, 0x3020706
	v_cndmask_b32_e32 v0, v38, v35, vcc
	v_lshl_or_b32 v0, v36, 10, v0
	s_waitcnt vmcnt(0)
	v_perm_b32 v35, v2, v6, s0
	v_perm_b32 v36, v10, v14, s0
	ds_write2st64_b32 v0, v35, v36 offset1:32
	v_xor_b32_e32 v35, 8, v0
	v_perm_b32 v2, v2, v6, s1
	v_perm_b32 v6, v10, v14, s1
	v_add_u32_e32 v10, 0x80, v35
	ds_write2st64_b32 v10, v2, v6 offset1:32
	v_xor_b32_e32 v2, 16, v0
	v_perm_b32 v6, v3, v7, s0
	v_perm_b32 v10, v11, v15, s0
	ds_write2st64_b32 v2, v6, v10 offset0:1 offset1:33
	v_xor_b32_e32 v2, 24, v0
	v_perm_b32 v3, v3, v7, s1
	v_perm_b32 v6, v11, v15, s1
	v_add_u32_e32 v2, 0x80, v2
	ds_write2st64_b32 v2, v3, v6 offset0:1 offset1:33
	v_xor_b32_e32 v2, 32, v0
	v_perm_b32 v3, v4, v8, s0
	v_perm_b32 v6, v12, v16, s0
	ds_write2st64_b32 v2, v3, v6 offset0:2 offset1:34
	v_xor_b32_e32 v2, 40, v0
	v_perm_b32 v3, v4, v8, s1
	v_perm_b32 v4, v12, v16, s1
	v_add_u32_e32 v2, 0x80, v2
	ds_write2st64_b32 v2, v3, v4 offset0:2 offset1:34
	v_xor_b32_e32 v2, 48, v0
	v_perm_b32 v3, v5, v9, s0
	v_perm_b32 v4, v13, v17, s0
	v_xor_b32_e32 v0, 56, v0
	v_and_or_b32 v8, v37, 12, v42
	ds_write2st64_b32 v2, v3, v4 offset0:3 offset1:35
	v_perm_b32 v2, v5, v9, s1
	v_perm_b32 v3, v13, v17, s1
	v_add_u32_e32 v0, 0x80, v0
	v_cmp_gt_i32_e32 vcc, s43, v8
	v_mov_b32_e32 v9, 0
	v_mov_b32_e32 v14, 0
	ds_write2st64_b32 v0, v2, v3 offset0:3 offset1:35
	s_and_saveexec_b64 s[0:1], vcc
	s_cbranch_execz .LBB639_60
; %bb.59:
	v_add_u32_e32 v0, s42, v8
	v_ashrrev_i32_e32 v2, 31, v0
	v_mul_lo_u32 v4, v2, s34
	v_mul_lo_u32 v5, v0, s35
	v_mad_u64_u32 v[2:3], s[2:3], v0, s34, 0
	v_add3_u32 v3, v3, v5, v4
	v_lshl_add_u64 v[2:3], v[2:3], 2, s[10:11]
	global_load_dword v0, v[2:3], off
	s_waitcnt vmcnt(0)
	v_sub_f32_e32 v0, s12, v0
	v_mul_f32_e32 v0, 0x3fb8aa3b, v0
	v_exp_f32_e32 v14, v0
.LBB639_60:
	s_or_b64 exec, exec, s[0:1]
	v_or_b32_e32 v12, 1, v8
	v_cmp_gt_i32_e64 s[2:3], s43, v12
	s_and_saveexec_b64 s[0:1], s[2:3]
	s_cbranch_execz .LBB639_62
; %bb.61:
	v_add_u32_e32 v0, s42, v12
	v_ashrrev_i32_e32 v2, 31, v0
	v_mul_lo_u32 v4, v2, s34
	v_mul_lo_u32 v5, v0, s35
	v_mad_u64_u32 v[2:3], s[4:5], v0, s34, 0
	v_add3_u32 v3, v3, v5, v4
	v_lshl_add_u64 v[2:3], v[2:3], 2, s[10:11]
	global_load_dword v0, v[2:3], off
	s_waitcnt vmcnt(0)
	v_sub_f32_e32 v0, s12, v0
	v_mul_f32_e32 v0, 0x3fb8aa3b, v0
	v_exp_f32_e32 v9, v0
.LBB639_62:
	s_or_b64 exec, exec, s[0:1]
	v_or_b32_e32 v11, 2, v8
	v_cmp_gt_i32_e64 s[0:1], s43, v11
	v_mov_b32_e32 v10, 0
	v_mov_b32_e32 v15, 0
	s_and_saveexec_b64 s[4:5], s[0:1]
	s_cbranch_execz .LBB639_64
; %bb.63:
	v_add_u32_e32 v0, s42, v11
	v_ashrrev_i32_e32 v2, 31, v0
	v_mul_lo_u32 v4, v2, s34
	v_mul_lo_u32 v5, v0, s35
	v_mad_u64_u32 v[2:3], s[6:7], v0, s34, 0
	v_add3_u32 v3, v3, v5, v4
	v_lshl_add_u64 v[2:3], v[2:3], 2, s[10:11]
	global_load_dword v0, v[2:3], off
	s_waitcnt vmcnt(0)
	v_sub_f32_e32 v0, s12, v0
	v_mul_f32_e32 v0, 0x3fb8aa3b, v0
	v_exp_f32_e32 v15, v0
.LBB639_64:
	s_or_b64 exec, exec, s[4:5]
	v_or_b32_e32 v13, 3, v8
	v_cmp_gt_i32_e64 s[4:5], s43, v13
	s_and_saveexec_b64 s[6:7], s[4:5]
	s_cbranch_execz .LBB639_66
; %bb.65:
	v_add_u32_e32 v0, s42, v13
	v_ashrrev_i32_e32 v2, 31, v0
	v_mul_lo_u32 v4, v2, s34
	v_mul_lo_u32 v5, v0, s35
	v_mad_u64_u32 v[2:3], s[16:17], v0, s34, 0
	v_add3_u32 v3, v3, v5, v4
	v_lshl_add_u64 v[2:3], v[2:3], 2, s[10:11]
	global_load_dword v0, v[2:3], off
	s_waitcnt vmcnt(0)
	v_sub_f32_e32 v0, s12, v0
	v_mul_f32_e32 v0, 0x3fb8aa3b, v0
	v_exp_f32_e32 v10, v0
.LBB639_66:
	s_or_b64 exec, exec, s[6:7]
	s_waitcnt lgkmcnt(11)
	v_mfma_f32_16x16x16_bf16 a[0:3], v[32:33], v[22:23], a[0:3]
	v_or_b32_e32 v0, s36, v1
	s_add_u32 s6, s8, s28
	v_ashrrev_i32_e32 v1, 31, v0
	s_waitcnt lgkmcnt(10)
	v_mfma_f32_16x16x16_bf16 a[0:3], v[30:31], v[24:25], a[0:3]
	s_addc_u32 s7, s9, s29
	v_lshlrev_b64 v[0:1], 1, v[0:1]
	v_lshl_add_u64 v[4:5], s[6:7], 0, v[0:1]
	s_waitcnt lgkmcnt(9)
	v_mfma_f32_16x16x16_bf16 a[0:3], v[28:29], v[18:19], a[0:3]
	s_add_u32 s6, s14, s28
	s_addc_u32 s7, s15, s29
	v_lshl_add_u64 v[6:7], s[6:7], 0, v[0:1]
	s_waitcnt lgkmcnt(8)
	v_mfma_f32_16x16x16_bf16 a[0:3], v[26:27], v[20:21], a[0:3]
	v_mov_b32_e32 v16, 0
	v_mov_b32_e32 v17, 0
	s_nop 4
	v_accvgpr_read_b32 v0, a0
	v_accvgpr_read_b32 v1, a1
	;; [unrolled: 1-line block ×4, first 2 shown]
	s_and_saveexec_b64 s[6:7], vcc
	s_cbranch_execz .LBB639_68
; %bb.67:
	v_lshlrev_b32_e32 v18, 8, v8
	v_mov_b32_e32 v19, 0
	v_lshl_add_u64 v[20:21], v[4:5], 0, v[18:19]
	global_load_ushort v17, v[20:21], off
	v_lshl_add_u64 v[18:19], v[6:7], 0, v[18:19]
	s_waitcnt vmcnt(0)
	v_lshlrev_b32_e32 v17, 16, v17
	v_sub_f32_e32 v0, v17, v0
	global_store_short_d16_hi v[18:19], v0, off
	v_mul_f32_e32 v0, v14, v0
	v_lshrrev_b32_e32 v17, 16, v0
.LBB639_68:
	s_or_b64 exec, exec, s[6:7]
	s_and_saveexec_b64 s[6:7], s[2:3]
	s_cbranch_execz .LBB639_70
; %bb.69:
	v_lshlrev_b32_e32 v18, 8, v12
	v_mov_b32_e32 v19, 0
	v_lshl_add_u64 v[20:21], v[4:5], 0, v[18:19]
	global_load_ushort v0, v[20:21], off
	v_lshl_add_u64 v[18:19], v[6:7], 0, v[18:19]
	s_waitcnt vmcnt(0)
	v_lshlrev_b32_e32 v0, 16, v0
	v_sub_f32_e32 v0, v0, v1
	global_store_short_d16_hi v[18:19], v0, off
	v_mul_f32_e32 v0, v9, v0
	v_lshrrev_b32_e32 v16, 16, v0
.LBB639_70:
	s_or_b64 exec, exec, s[6:7]
	v_mov_b32_e32 v0, 0
	v_mov_b32_e32 v1, 0
	s_and_saveexec_b64 s[2:3], s[0:1]
	s_cbranch_execz .LBB639_72
; %bb.71:
	v_lshlrev_b32_e32 v18, 8, v11
	v_mov_b32_e32 v19, 0
	v_lshl_add_u64 v[20:21], v[4:5], 0, v[18:19]
	global_load_ushort v1, v[20:21], off
	v_lshl_add_u64 v[18:19], v[6:7], 0, v[18:19]
	s_waitcnt vmcnt(0)
	v_lshlrev_b32_e32 v1, 16, v1
	v_sub_f32_e32 v1, v1, v2
	global_store_short_d16_hi v[18:19], v1, off
	v_mul_f32_e32 v1, v15, v1
	v_lshrrev_b32_e32 v1, 16, v1
.LBB639_72:
	s_or_b64 exec, exec, s[2:3]
	s_and_saveexec_b64 s[0:1], s[4:5]
	s_cbranch_execz .LBB639_74
; %bb.73:
	v_lshlrev_b32_e32 v12, 8, v13
	v_mov_b32_e32 v13, 0
	v_lshl_add_u64 v[4:5], v[4:5], 0, v[12:13]
	global_load_ushort v0, v[4:5], off
	v_lshl_add_u64 v[4:5], v[6:7], 0, v[12:13]
	s_waitcnt vmcnt(0)
	v_lshlrev_b32_e32 v0, 16, v0
	v_sub_f32_e32 v0, v0, v3
	global_store_short_d16_hi v[4:5], v0, off
	v_mul_f32_e32 v0, v10, v0
	v_lshrrev_b32_e32 v0, 16, v0
.LBB639_74:
	s_or_b64 exec, exec, s[0:1]
	s_mov_b32 s0, 0x5040100
	v_lshlrev_b32_e32 v2, 1, v34
	v_perm_b32 v1, v0, v1, s0
	v_perm_b32 v0, v16, v17, s0
	v_lshl_or_b32 v2, v8, 5, v2
	ds_write_b64 v2, v[0:1] offset:38912
	s_waitcnt lgkmcnt(0)
	s_barrier
.LBB639_75:
	s_endpgm
	.section	.rodata,"a",@progbits
	.p2align	6, 0x0
	.amdhsa_kernel _ZN12_GLOBAL__N_139chunk_gated_delta_rule_fwd_h_hip_kernelILi16ELb0ELb0ELb1ELb0ELb0ELb0ELb0ELb1EEEvPK12hip_bfloat16S3_S3_PKfS5_PKvPS1_S8_PvPKiSB_iiiiilll
		.amdhsa_group_segment_fixed_size 40960
		.amdhsa_private_segment_fixed_size 0
		.amdhsa_kernarg_size 136
		.amdhsa_user_sgpr_count 2
		.amdhsa_user_sgpr_dispatch_ptr 0
		.amdhsa_user_sgpr_queue_ptr 0
		.amdhsa_user_sgpr_kernarg_segment_ptr 1
		.amdhsa_user_sgpr_dispatch_id 0
		.amdhsa_user_sgpr_kernarg_preload_length 0
		.amdhsa_user_sgpr_kernarg_preload_offset 0
		.amdhsa_user_sgpr_private_segment_size 0
		.amdhsa_uses_dynamic_stack 0
		.amdhsa_enable_private_segment 0
		.amdhsa_system_sgpr_workgroup_id_x 1
		.amdhsa_system_sgpr_workgroup_id_y 1
		.amdhsa_system_sgpr_workgroup_id_z 0
		.amdhsa_system_sgpr_workgroup_info 0
		.amdhsa_system_vgpr_workitem_id 0
		.amdhsa_next_free_vgpr 116
		.amdhsa_next_free_sgpr 66
		.amdhsa_accum_offset 108
		.amdhsa_reserve_vcc 1
		.amdhsa_float_round_mode_32 0
		.amdhsa_float_round_mode_16_64 0
		.amdhsa_float_denorm_mode_32 3
		.amdhsa_float_denorm_mode_16_64 3
		.amdhsa_dx10_clamp 1
		.amdhsa_ieee_mode 1
		.amdhsa_fp16_overflow 0
		.amdhsa_tg_split 0
		.amdhsa_exception_fp_ieee_invalid_op 0
		.amdhsa_exception_fp_denorm_src 0
		.amdhsa_exception_fp_ieee_div_zero 0
		.amdhsa_exception_fp_ieee_overflow 0
		.amdhsa_exception_fp_ieee_underflow 0
		.amdhsa_exception_fp_ieee_inexact 0
		.amdhsa_exception_int_div_zero 0
	.end_amdhsa_kernel
	.section	.text._ZN12_GLOBAL__N_139chunk_gated_delta_rule_fwd_h_hip_kernelILi16ELb0ELb0ELb1ELb0ELb0ELb0ELb0ELb1EEEvPK12hip_bfloat16S3_S3_PKfS5_PKvPS1_S8_PvPKiSB_iiiiilll,"axG",@progbits,_ZN12_GLOBAL__N_139chunk_gated_delta_rule_fwd_h_hip_kernelILi16ELb0ELb0ELb1ELb0ELb0ELb0ELb0ELb1EEEvPK12hip_bfloat16S3_S3_PKfS5_PKvPS1_S8_PvPKiSB_iiiiilll,comdat
.Lfunc_end639:
	.size	_ZN12_GLOBAL__N_139chunk_gated_delta_rule_fwd_h_hip_kernelILi16ELb0ELb0ELb1ELb0ELb0ELb0ELb0ELb1EEEvPK12hip_bfloat16S3_S3_PKfS5_PKvPS1_S8_PvPKiSB_iiiiilll, .Lfunc_end639-_ZN12_GLOBAL__N_139chunk_gated_delta_rule_fwd_h_hip_kernelILi16ELb0ELb0ELb1ELb0ELb0ELb0ELb0ELb1EEEvPK12hip_bfloat16S3_S3_PKfS5_PKvPS1_S8_PvPKiSB_iiiiilll
                                        ; -- End function
	.section	.AMDGPU.csdata,"",@progbits
; Kernel info:
; codeLenInByte = 7376
; NumSgprs: 72
; NumVgprs: 108
; NumAgprs: 8
; TotalNumVgprs: 116
; ScratchSize: 0
; MemoryBound: 0
; FloatMode: 240
; IeeeMode: 1
; LDSByteSize: 40960 bytes/workgroup (compile time only)
; SGPRBlocks: 8
; VGPRBlocks: 14
; NumSGPRsForWavesPerEU: 72
; NumVGPRsForWavesPerEU: 116
; AccumOffset: 108
; Occupancy: 1
; WaveLimiterHint : 1
; COMPUTE_PGM_RSRC2:SCRATCH_EN: 0
; COMPUTE_PGM_RSRC2:USER_SGPR: 2
; COMPUTE_PGM_RSRC2:TRAP_HANDLER: 0
; COMPUTE_PGM_RSRC2:TGID_X_EN: 1
; COMPUTE_PGM_RSRC2:TGID_Y_EN: 1
; COMPUTE_PGM_RSRC2:TGID_Z_EN: 0
; COMPUTE_PGM_RSRC2:TIDIG_COMP_CNT: 0
; COMPUTE_PGM_RSRC3_GFX90A:ACCUM_OFFSET: 26
; COMPUTE_PGM_RSRC3_GFX90A:TG_SPLIT: 0
	.section	.text._ZN12_GLOBAL__N_139chunk_gated_delta_rule_fwd_h_hip_kernelILi16ELb0ELb0ELb0ELb0ELb0ELb0ELb0ELb1EEEvPK12hip_bfloat16S3_S3_PKfS5_PKvPS1_S8_PvPKiSB_iiiiilll,"axG",@progbits,_ZN12_GLOBAL__N_139chunk_gated_delta_rule_fwd_h_hip_kernelILi16ELb0ELb0ELb0ELb0ELb0ELb0ELb0ELb1EEEvPK12hip_bfloat16S3_S3_PKfS5_PKvPS1_S8_PvPKiSB_iiiiilll,comdat
	.globl	_ZN12_GLOBAL__N_139chunk_gated_delta_rule_fwd_h_hip_kernelILi16ELb0ELb0ELb0ELb0ELb0ELb0ELb0ELb1EEEvPK12hip_bfloat16S3_S3_PKfS5_PKvPS1_S8_PvPKiSB_iiiiilll ; -- Begin function _ZN12_GLOBAL__N_139chunk_gated_delta_rule_fwd_h_hip_kernelILi16ELb0ELb0ELb0ELb0ELb0ELb0ELb0ELb1EEEvPK12hip_bfloat16S3_S3_PKfS5_PKvPS1_S8_PvPKiSB_iiiiilll
	.p2align	8
	.type	_ZN12_GLOBAL__N_139chunk_gated_delta_rule_fwd_h_hip_kernelILi16ELb0ELb0ELb0ELb0ELb0ELb0ELb0ELb1EEEvPK12hip_bfloat16S3_S3_PKfS5_PKvPS1_S8_PvPKiSB_iiiiilll,@function
_ZN12_GLOBAL__N_139chunk_gated_delta_rule_fwd_h_hip_kernelILi16ELb0ELb0ELb0ELb0ELb0ELb0ELb0ELb1EEEvPK12hip_bfloat16S3_S3_PKfS5_PKvPS1_S8_PvPKiSB_iiiiilll: ; @_ZN12_GLOBAL__N_139chunk_gated_delta_rule_fwd_h_hip_kernelILi16ELb0ELb0ELb0ELb0ELb0ELb0ELb0ELb1EEEvPK12hip_bfloat16S3_S3_PKfS5_PKvPS1_S8_PvPKiSB_iiiiilll
; %bb.0:
	s_load_dwordx4 s[12:15], s[0:1], 0x5c
	s_load_dwordx2 s[36:37], s[0:1], 0x30
	s_abs_i32 s18, s3
	s_ashr_i32 s17, s3, 31
	s_load_dwordx8 s[4:11], s[0:1], 0x0
	s_waitcnt lgkmcnt(0)
	s_abs_i32 s16, s13
	v_cvt_f32_u32_e32 v1, s16
	s_sub_i32 s20, 0, s16
	s_ashr_i32 s19, s13, 31
	s_xor_b32 s17, s17, s19
	v_rcp_iflag_f32_e32 v1, v1
	v_lshrrev_b32_e32 v42, 6, v0
	v_bfe_u32 v43, v0, 4, 2
	v_lshlrev_b32_e32 v40, 4, v42
	v_mul_f32_e32 v1, 0x4f7ffffe, v1
	v_cvt_u32_f32_e32 v1, v1
	v_lshlrev_b32_e32 v2, 2, v43
	v_and_b32_e32 v41, 63, v0
	v_or_b32_e32 v46, v2, v40
	v_readfirstlane_b32 s21, v1
	s_mul_i32 s20, s20, s21
	s_mul_hi_u32 s20, s21, s20
	s_add_i32 s21, s21, s20
	s_mul_hi_u32 s20, s18, s21
	s_mul_i32 s21, s20, s16
	s_sub_i32 s18, s18, s21
	s_add_i32 s22, s20, 1
	s_sub_i32 s21, s18, s16
	s_cmp_ge_u32 s18, s16
	s_cselect_b32 s20, s22, s20
	s_cselect_b32 s18, s21, s18
	s_add_i32 s21, s20, 1
	s_cmp_ge_u32 s18, s16
	s_cselect_b32 s18, s21, s20
	s_xor_b32 s18, s18, s17
	s_sub_i32 s45, s18, s17
	s_abs_i32 s17, s14
	v_cvt_f32_u32_e32 v1, s17
	s_add_i32 s20, s12, 63
	s_mul_i32 s43, s45, s13
	s_sub_i32 s33, s3, s43
	v_rcp_iflag_f32_e32 v1, v1
	s_ashr_i32 s3, s20, 31
	s_ashr_i32 s44, s12, 31
	s_lshr_b32 s3, s3, 26
	v_mul_f32_e32 v1, 0x4f7ffffe, v1
	v_cvt_u32_f32_e32 v1, v1
	s_lshr_b32 s18, s44, 26
	s_add_i32 s20, s20, s3
	s_add_i32 s18, s12, s18
	s_ashr_i32 s47, s14, 31
	s_ashr_i32 s3, s20, 6
	;; [unrolled: 1-line block ×3, first 2 shown]
	s_xor_b32 s18, s19, s47
	s_sub_i32 s19, 0, s17
	v_readfirstlane_b32 s20, v1
	s_mul_i32 s19, s19, s20
	s_mul_hi_u32 s19, s20, s19
	s_add_i32 s20, s20, s19
	s_mul_hi_u32 s19, s16, s20
	s_mul_i32 s20, s19, s17
	s_sub_i32 s16, s16, s20
	s_add_i32 s20, s19, 1
	s_sub_i32 s21, s16, s17
	s_cmp_ge_u32 s16, s17
	s_cselect_b32 s19, s20, s19
	s_cselect_b32 s16, s21, s16
	s_add_i32 s20, s19, 1
	s_cmp_ge_u32 s16, s17
	s_cselect_b32 s16, s20, s19
	s_xor_b32 s16, s16, s18
	s_sub_i32 s20, s16, s18
	s_abs_i32 s21, s20
	v_cvt_f32_u32_e32 v1, s21
	s_load_dwordx2 s[28:29], s[0:1], 0x80
	s_load_dwordx4 s[16:19], s[0:1], 0x70
	s_xor_b32 s0, s33, s20
	s_sub_i32 s20, 0, s21
	v_rcp_iflag_f32_e32 v1, v1
	s_abs_i32 s1, s33
	s_ashr_i32 s0, s0, 31
	s_mul_i32 s48, s45, s3
	v_mul_f32_e32 v1, 0x4f7ffffe, v1
	v_cvt_u32_f32_e32 v1, v1
	v_or_b32_e32 v47, 64, v46
	v_mov_b32_e32 v3, 0
	s_mul_hi_i32 s49, s45, s13
	v_readfirstlane_b32 s22, v1
	s_mul_i32 s20, s20, s22
	s_mul_hi_u32 s20, s22, s20
	s_add_i32 s22, s22, s20
	s_mul_hi_u32 s20, s1, s22
	s_mul_i32 s22, s20, s21
	s_sub_i32 s1, s1, s22
	s_add_i32 s22, s20, 1
	s_sub_i32 s23, s1, s21
	s_cmp_ge_u32 s1, s21
	s_cselect_b32 s20, s22, s20
	s_cselect_b32 s1, s23, s1
	s_add_i32 s22, s20, 1
	s_cmp_ge_u32 s1, s21
	s_cselect_b32 s1, s22, s20
	s_xor_b32 s1, s1, s0
	s_sub_i32 s50, s1, s0
	s_lshl_b32 s30, s2, 4
	v_and_b32_e32 v1, 15, v0
	s_cmp_lt_i32 s12, 64
	v_lshrrev_b32_e32 v45, 3, v41
	v_lshlrev_b32_e32 v44, 3, v0
	s_waitcnt lgkmcnt(0)
	s_mul_i32 s17, s45, s17
	s_mul_hi_u32 s42, s45, s16
	s_mul_i32 s34, s45, s16
	v_mov_b32_e32 v59, 0
	v_mov_b32_e32 v34, 0
	;; [unrolled: 1-line block ×7, first 2 shown]
	s_cbranch_scc1 .LBB640_18
; %bb.1:
	s_ashr_i32 s24, s45, 31
	s_ashr_i32 s52, s33, 31
	s_add_u32 s0, s43, s33
	s_addc_u32 s1, s49, s52
	s_mul_i32 s1, s12, s1
	s_mul_hi_u32 s2, s12, s0
	s_add_i32 s3, s2, s1
	s_mul_i32 s2, s12, s0
	s_lshl_b64 s[0:1], s[2:3], 8
	v_and_b32_e32 v49, 56, v44
	s_add_u32 s20, s6, s0
	v_lshl_or_b32 v48, v42, 3, v45
	v_lshlrev_b32_e32 v3, 1, v49
	s_addc_u32 s0, s7, s1
	v_lshl_or_b32 v50, v48, 8, v3
	s_and_b32 s21, s0, 0xffff
	s_mov_b32 s23, 0x20000
	s_movk_i32 s22, 0x4000
	s_movk_i32 s0, 0x80
	v_or_b32_e32 v51, 0x2000, v50
	buffer_load_dwordx4 v[4:7], v50, s[20:23], 0 offen
	buffer_load_dwordx4 v[8:11], v50, s[20:23], s0 offen
	;; [unrolled: 1-line block ×4, first 2 shown]
	v_lshlrev_b32_e32 v20, 3, v48
	v_and_or_b32 v22, v0, 7, v20
	v_and_b32_e32 v20, 0x78, v20
	v_lshlrev_b32_e32 v22, 4, v22
	v_xor_b32_e32 v52, v22, v20
	v_mul_lo_u32 v21, v48, s15
	v_or_b32_e32 v53, 0x1000, v52
	s_cmpk_eq_i32 s15, 0x80
	s_mov_b32 s51, s14
	v_xor_b32_e32 v20, 8, v52
	v_xor_b32_e32 v22, 8, v53
	s_cselect_b64 s[0:1], -1, 0
	s_cmpk_lg_i32 s15, 0x80
	s_waitcnt vmcnt(3)
	ds_write_b64 v52, v[4:5] offset:16384
	ds_write_b64 v20, v[6:7] offset:16384
	s_waitcnt vmcnt(2)
	ds_write_b64 v52, v[8:9] offset:24576
	ds_write_b64 v20, v[10:11] offset:24576
	;; [unrolled: 3-line block ×4, first 2 shown]
	v_lshl_add_u32 v4, v21, 1, v49
	s_cbranch_scc0 .LBB640_3
; %bb.2:
	v_lshlrev_b32_e32 v6, 1, v4
	v_add_lshl_u32 v5, v4, s15, 1
	s_lshl_b32 s22, s15, 7
	v_lshl_or_b32 v3, v48, 9, v3
	s_cbranch_execz .LBB640_4
	s_branch .LBB640_5
.LBB640_3:
                                        ; implicit-def: $vgpr5
                                        ; implicit-def: $vgpr6
                                        ; implicit-def: $sgpr22
	v_lshl_or_b32 v3, v48, 9, v3
.LBB640_4:
	v_or_b32_e32 v5, 0x100, v3
	s_movk_i32 s22, 0x4000
	v_mov_b32_e32 v6, v3
.LBB640_5:
	s_mul_hi_u32 s20, s14, s12
	s_mul_i32 s21, s47, s12
	s_add_i32 s20, s20, s21
	s_mul_i32 s21, s14, s12
	s_mul_i32 s23, s21, s24
	s_mul_hi_u32 s25, s21, s45
	s_add_i32 s23, s25, s23
	s_mul_i32 s20, s20, s45
	s_add_i32 s23, s23, s20
	s_mul_i32 s21, s21, s45
	s_ashr_i32 s53, s50, 31
	s_add_u32 s20, s21, s50
	s_addc_u32 s21, s23, s53
	s_lshl_b64 s[20:21], s[20:21], 8
	s_add_u32 s20, s4, s20
	s_addc_u32 s21, s5, s21
	s_and_b32 s21, s21, 0xffff
	s_mov_b32 s23, 0x20000
	s_movk_i32 s54, 0x80
	buffer_load_dwordx4 v[8:11], v6, s[20:23], 0 offen
	buffer_load_dwordx4 v[12:15], v6, s[20:23], s54 offen
	;; [unrolled: 1-line block ×4, first 2 shown]
	v_and_b32_e32 v5, 6, v0
	s_mul_i32 s20, s24, s12
	s_mul_hi_u32 s21, s45, s12
	v_lshlrev_b32_e32 v7, 2, v1
	v_lshlrev_b32_e32 v24, 3, v1
	v_xor_b32_e32 v26, v48, v5
	v_and_b32_e32 v6, 1, v0
	s_mul_i32 s24, s24, s16
	v_lshl_or_b32 v24, v46, 5, v24
	v_xor_b32_e32 v27, v46, v7
	v_lshlrev_b32_e32 v26, 2, v26
	s_add_i32 s59, s21, s20
	s_add_i32 s20, s42, s17
	v_or_b32_e32 v54, 0x9000, v24
	v_or_b32_e32 v55, 0x9800, v24
	v_lshlrev_b32_e32 v24, 1, v27
	v_xor_b32_e32 v27, 0x440, v26
	v_cmp_eq_u32_e32 vcc, 0, v6
	s_add_i32 s35, s20, s24
	s_mul_i32 s20, s33, s19
	s_mul_hi_u32 s21, s33, s18
	v_cndmask_b32_e32 v6, v27, v26, vcc
	s_add_i32 s20, s21, s20
	s_mul_i32 s21, s52, s18
	s_mov_b32 s56, 0x1000504
	v_lshlrev_b32_e32 v25, 8, v1
	s_mov_b32 s22, 0x8000
	v_xor_b32_e32 v7, v47, v7
	v_lshl_or_b32 v5, v5, 10, v6
	s_add_i32 s21, s20, s21
	s_lshl_b64 s[24:25], s[34:35], 2
	s_mov_b32 s57, 0x3020706
	v_lshlrev_b32_e32 v7, 1, v7
	v_or3_b32 v56, v24, v25, s22
	v_xor_b32_e32 v6, 8, v5
	v_xor_b32_e32 v24, 24, v5
	;; [unrolled: 1-line block ×4, first 2 shown]
	s_mul_i32 s20, s33, s18
	s_add_u32 s24, s10, s24
	v_or3_b32 v57, v7, v25, s22
	v_xor_b32_e32 v7, 16, v5
	v_xor_b32_e32 v25, 32, v5
	;; [unrolled: 1-line block ×3, first 2 shown]
	v_add_u32_e32 v6, 0x80, v6
	v_add_u32_e32 v24, 0x80, v24
	;; [unrolled: 1-line block ×4, first 2 shown]
	s_addc_u32 s25, s11, s25
	s_lshl_b64 s[20:21], s[20:21], 2
	s_add_u32 s38, s24, s20
	s_movk_i32 s20, 0xf8
	s_addc_u32 s39, s25, s21
	s_ashr_i32 s31, s30, 31
	s_lshl_b32 s26, s15, 7
	v_mov_b32_e32 v35, 0
	s_mov_b32 s55, 0
	s_mul_i32 s58, s45, s12
	v_add_u32_e32 v76, v40, v2
	v_mov_b32_e32 v77, 0x3fb8aa3b
	s_mov_b32 s60, 0
	v_mov_b32_e32 v60, v35
	v_mov_b32_e32 v61, v35
	v_mov_b32_e32 v83, v35
	v_mov_b32_e32 v58, v35
	v_mov_b32_e32 v59, v35
	v_mov_b32_e32 v82, v35
	s_waitcnt vmcnt(1)
	v_perm_b32 v29, v8, v16, s56
	s_waitcnt vmcnt(0)
	v_perm_b32 v30, v12, v20, s56
	v_perm_b32 v8, v8, v16, s57
	;; [unrolled: 1-line block ×15, first 2 shown]
	ds_write2st64_b32 v5, v29, v30 offset1:32
	ds_write2st64_b32 v6, v8, v12 offset1:32
	ds_write2st64_b32 v7, v16, v20 offset0:1 offset1:33
	ds_write2st64_b32 v24, v9, v13 offset0:1 offset1:33
	;; [unrolled: 1-line block ×6, first 2 shown]
	v_or_b32_e32 v5, v40, v1
	v_lshlrev_b32_e32 v5, 3, v5
	v_lshrrev_b32_e32 v7, 5, v41
	v_and_or_b32 v7, v5, s20, v7
	v_lshlrev_b32_e32 v7, 4, v7
	v_lshlrev_b32_e32 v8, 11, v42
	v_and_b32_e32 v5, 0x78, v5
	v_or_b32_e32 v12, 32, v7
	v_and_b32_e32 v6, 0x1000, v8
	v_lshrrev_b32_e32 v10, 1, v0
	v_xor_b32_e32 v12, v12, v5
	v_and_b32_e32 v11, 8, v10
	v_or_b32_e32 v12, v12, v6
	v_xor_b32_e32 v9, v7, v5
	v_xor_b32_e32 v64, v12, v11
	v_or_b32_e32 v12, 64, v7
	v_or_b32_e32 v7, 0x60, v7
	;; [unrolled: 1-line block ×3, first 2 shown]
	v_xor_b32_e32 v12, v12, v5
	v_xor_b32_e32 v5, v7, v5
	;; [unrolled: 1-line block ×3, first 2 shown]
	v_and_b32_e32 v9, 0x78, v44
	v_or_b32_e32 v5, v5, v6
	v_lshl_or_b32 v9, v43, 7, v9
	v_or_b32_e32 v12, v12, v6
	v_xor_b32_e32 v66, v5, v11
	v_lshlrev_b32_e32 v5, 1, v1
	v_or_b32_e32 v63, 0x9000, v9
	v_xor_b32_e32 v65, v12, v11
	v_or_b32_e32 v67, 0x9800, v9
	v_lshlrev_b32_e32 v9, 1, v4
	v_add_lshl_u32 v11, v4, s15, 1
	v_lshrrev_b32_e32 v4, 4, v0
	s_lshl_b64 s[20:21], s[30:31], 8
	v_or_b32_e32 v13, 1, v5
	s_add_u32 s20, s36, s20
	v_xor_b32_e32 v5, v4, v5
	v_xor_b32_e32 v13, v13, v4
	s_addc_u32 s21, s37, s21
	v_lshlrev_b32_e32 v5, 3, v5
	v_lshlrev_b32_e32 v34, 8, v4
	;; [unrolled: 1-line block ×3, first 2 shown]
	v_or3_b32 v68, v5, v34, s22
	v_or3_b32 v69, v4, v34, s22
	v_lshl_add_u64 v[4:5], s[20:21], 0, v[34:35]
	v_lshlrev_b32_e32 v34, 4, v1
	s_movk_i32 s20, 0xff
	v_lshlrev_b32_e32 v15, 3, v42
	v_and_b32_e32 v10, 24, v10
	v_lshl_add_u64 v[36:37], v[4:5], 0, v[34:35]
	v_and_b32_e32 v5, 8, v0
	v_cmp_lt_u32_e32 vcc, s20, v0
	v_xor_b32_e32 v16, v15, v10
	v_or_b32_e32 v17, 0x440, v16
	v_cndmask_b32_e64 v14, 0, 1, vcc
	v_cmp_eq_u32_e32 vcc, 0, v5
	v_and_b32_e32 v4, 7, v0
	v_lshlrev_b32_e32 v13, 3, v4
	v_cndmask_b32_e32 v5, v17, v16, vcc
	v_lshlrev_b32_e32 v4, 7, v4
	v_or_b32_e32 v5, v5, v8
	v_xad_u32 v70, v5, v13, v4
	v_or_b32_e32 v5, 32, v10
	v_xor_b32_e32 v5, v15, v5
	v_or_b32_e32 v16, 0x440, v5
	v_cndmask_b32_e32 v5, v16, v5, vcc
	v_or_b32_e32 v5, v5, v8
	v_xad_u32 v71, v5, v13, v4
	v_or_b32_e32 v5, 64, v10
	v_xor_b32_e32 v5, v15, v5
	v_xor_b32_e32 v16, 0x440, v5
	v_cndmask_b32_e32 v5, v16, v5, vcc
	v_or_b32_e32 v5, v5, v8
	v_xad_u32 v72, v5, v13, v4
	v_or_b32_e32 v5, 0x60, v10
	v_xor_b32_e32 v5, v15, v5
	v_xor_b32_e32 v10, 0x440, v5
	v_or_b32_e32 v6, s30, v1
	v_cndmask_b32_e32 v5, v10, v5, vcc
	v_ashrrev_i32_e32 v7, 31, v6
	v_or_b32_e32 v5, v5, v8
	v_lshl_add_u64 v[6:7], v[6:7], 1, s[8:9]
	v_or_b32_e32 v12, 0x100, v3
	v_lshlrev_b32_e32 v14, 13, v14
	v_xad_u32 v73, v5, v13, v4
	v_lshlrev_b32_e32 v34, 8, v46
	v_cndmask_b32_e64 v74, v9, v3, s[0:1]
	v_cndmask_b32_e64 v75, v11, v12, s[0:1]
	v_lshl_add_u64 v[38:39], v[6:7], 0, v[34:35]
	s_mov_b32 s31, 0x7060302
	s_movk_i32 s22, 0x4000
	v_add_u32_e32 v78, v14, v70
	v_add_u32_e32 v79, v14, v71
	;; [unrolled: 1-line block ×4, first 2 shown]
	v_mov_b32_e32 v34, v35
	s_waitcnt lgkmcnt(0)
	s_barrier
.LBB640_6:                              ; =>This Inner Loop Header: Depth=1
	s_add_i32 s35, s60, 1
	s_cmp_lt_i32 s35, s46
	s_mov_b64 s[24:25], 0
	s_cselect_b64 s[40:41], -1, 0
	s_cmp_ge_i32 s35, s46
	s_mov_b64 s[20:21], 0
	s_cbranch_scc1 .LBB640_8
; %bb.7:                                ;   in Loop: Header=BB640_6 Depth=1
	s_add_i32 s0, s55, 64
	s_add_u32 s0, s2, s0
	s_addc_u32 s1, s3, 0
	s_lshl_b64 s[0:1], s[0:1], 8
	s_add_u32 s20, s6, s0
	s_addc_u32 s21, s7, s1
.LBB640_8:                              ;   in Loop: Header=BB640_6 Depth=1
	v_cndmask_b32_e64 v2, 0, 1, s[40:41]
	v_cmp_ne_u32_e64 s[0:1], 1, v2
	s_andn2_b64 vcc, exec, s[40:41]
	s_cbranch_vccnz .LBB640_10
; %bb.9:                                ;   in Loop: Header=BB640_6 Depth=1
	s_add_i32 s24, s55, 64
	s_add_u32 s24, s58, s24
	s_addc_u32 s25, s59, 0
	s_mul_i32 s27, s24, s47
	s_mul_hi_u32 s40, s24, s51
	s_add_i32 s27, s40, s27
	s_mul_i32 s25, s25, s51
	s_add_i32 s27, s27, s25
	s_mul_i32 s24, s24, s51
	s_add_u32 s24, s24, s50
	s_addc_u32 s25, s27, s53
	s_lshl_b64 s[24:25], s[24:25], 8
	s_add_u32 s24, s4, s24
	s_addc_u32 s25, s5, s25
.LBB640_10:                             ;   in Loop: Header=BB640_6 Depth=1
	v_perm_b32 v3, v83, v61, s31
	v_perm_b32 v2, v60, v35, s31
	;; [unrolled: 1-line block ×4, first 2 shown]
	ds_write_b64 v54, v[2:3]
	ds_write_b64 v55, v[4:5]
	;; [unrolled: 1-line block ×4, first 2 shown]
	s_waitcnt lgkmcnt(0)
	s_barrier
	ds_read_b64 v[10:11], v62 offset:16384
	ds_read_b64 v[12:13], v64 offset:16384
	ds_read2st64_b64 v[2:5], v63 offset1:1
	ds_read2st64_b64 v[6:9], v63 offset0:2 offset1:3
	ds_read_b64 v[14:15], v65 offset:16384
	s_waitcnt lgkmcnt(2)
	v_mfma_f32_16x16x16_bf16 a[0:3], v[10:11], v[2:3], 0
	ds_read_b64 v[2:3], v66 offset:16384
	s_add_i32 s27, s55, 63
	s_mul_i32 s40, s27, s29
	v_mfma_f32_16x16x16_bf16 a[0:3], v[12:13], v[4:5], a[0:3]
	s_mul_hi_u32 s41, s27, s28
	s_add_i32 s41, s41, s40
	s_mul_i32 s40, s27, s28
	s_waitcnt lgkmcnt(1)
	v_mfma_f32_16x16x16_bf16 a[0:3], v[14:15], v[6:7], a[0:3]
	s_lshl_b64 s[40:41], s[40:41], 2
	s_add_u32 s40, s38, s40
	s_addc_u32 s41, s39, s41
	s_waitcnt lgkmcnt(0)
	v_mfma_f32_16x16x16_bf16 a[0:3], v[2:3], v[8:9], a[0:3]
	s_and_b64 vcc, exec, s[0:1]
	v_mov_b32_e32 v86, 0
	v_mov_b32_e32 v85, 0
	;; [unrolled: 1-line block ×19, first 2 shown]
	s_cbranch_vccnz .LBB640_12
; %bb.11:                               ;   in Loop: Header=BB640_6 Depth=1
	s_and_b32 s21, s21, 0xffff
	buffer_load_dwordx4 v[14:17], v50, s[20:23], 0 offen
	buffer_load_dwordx4 v[10:13], v50, s[20:23], s54 offen
	;; [unrolled: 1-line block ×4, first 2 shown]
	v_mov_b32_e32 v85, v52
	v_mov_b32_e32 v84, v53
.LBB640_12:                             ;   in Loop: Header=BB640_6 Depth=1
	s_waitcnt vmcnt(3)
	v_add_u32_e32 v24, s55, v76
	s_waitcnt vmcnt(1)
	v_ashrrev_i32_e32 v18, 31, v24
	v_mul_lo_u32 v20, v18, s28
	v_mul_lo_u32 v21, v24, s29
	v_mad_u64_u32 v[18:19], s[20:21], v24, s28, 0
	v_add3_u32 v19, v19, v21, v20
	v_add_u32_e32 v20, 1, v24
	v_ashrrev_i32_e32 v21, 31, v20
	v_mul_lo_u32 v22, v21, s28
	v_mul_lo_u32 v23, v20, s29
	v_mad_u64_u32 v[20:21], s[20:21], v20, s28, 0
	v_add3_u32 v21, v21, v23, v22
	v_add_u32_e32 v22, 2, v24
	v_ashrrev_i32_e32 v23, 31, v22
	v_mul_lo_u32 v25, v23, s28
	v_mul_lo_u32 v26, v22, s29
	v_mad_u64_u32 v[22:23], s[20:21], v22, s28, 0
	v_add_u32_e32 v24, 3, v24
	v_add3_u32 v23, v23, v26, v25
	v_ashrrev_i32_e32 v25, 31, v24
	v_mul_lo_u32 v28, v25, s28
	v_mul_lo_u32 v29, v24, s29
	v_mad_u64_u32 v[24:25], s[20:21], v24, s28, 0
	s_add_u32 s20, s2, s55
	s_addc_u32 s21, s3, 0
	s_lshl_b64 s[20:21], s[20:21], 8
	v_lshl_add_u64 v[18:19], v[18:19], 2, s[38:39]
	v_lshl_add_u64 v[20:21], v[20:21], 2, s[38:39]
	;; [unrolled: 1-line block ×3, first 2 shown]
	v_add3_u32 v25, v25, v29, v28
	v_lshl_add_u64 v[22:23], v[22:23], 2, s[38:39]
	global_load_ushort v92, v[26:27], off
	global_load_ushort v93, v[26:27], off offset:256
	global_load_ushort v94, v[26:27], off offset:512
	;; [unrolled: 1-line block ×3, first 2 shown]
	global_load_dword v96, v[18:19], off
	v_lshl_add_u64 v[18:19], v[24:25], 2, s[38:39]
	global_load_dword v97, v[20:21], off
	global_load_dword v98, v[22:23], off
	;; [unrolled: 1-line block ×3, first 2 shown]
	s_load_dword s20, s[40:41], 0x0
	ds_read2st64_b64 v[24:27], v67 offset1:1
	ds_read2st64_b64 v[28:31], v67 offset0:2 offset1:3
	ds_read_b64 v[22:23], v62 offset:24576
	ds_read_b64 v[32:33], v64 offset:24576
	;; [unrolled: 1-line block ×4, first 2 shown]
	s_waitcnt lgkmcnt(0)
	v_mfma_f32_16x16x16_bf16 a[0:3], v[22:23], v[24:25], a[0:3]
	v_mov_b32_e32 v87, 0
	v_mov_b32_e32 v18, 0
	v_mov_b32_e32 v19, 0
	v_mfma_f32_16x16x16_bf16 a[0:3], v[32:33], v[26:27], a[0:3]
	v_mov_b32_e32 v20, 0
	v_mov_b32_e32 v21, 0
	v_mov_b32_e32 v22, 0
	;; [unrolled: 4-line block ×4, first 2 shown]
	v_mov_b32_e32 v29, 0
	s_and_b64 vcc, exec, s[0:1]
	s_waitcnt vmcnt(7)
	v_lshlrev_b32_e32 v88, 16, v92
	s_waitcnt vmcnt(6)
	v_lshlrev_b32_e32 v89, 16, v93
	;; [unrolled: 2-line block ×4, first 2 shown]
	s_waitcnt vmcnt(3)
	v_sub_f32_e32 v92, s20, v96
	s_waitcnt vmcnt(2)
	v_sub_f32_e32 v93, s20, v97
	s_waitcnt vmcnt(1)
	v_sub_f32_e32 v94, s20, v98
	s_waitcnt vmcnt(0)
	v_sub_f32_e32 v95, s20, v99
	v_mul_f32_e32 v92, 0x3fb8aa3b, v92
	v_mul_f32_e32 v93, 0x3fb8aa3b, v93
	;; [unrolled: 1-line block ×4, first 2 shown]
	v_exp_f32_e32 v92, v92
	v_exp_f32_e32 v93, v93
	;; [unrolled: 1-line block ×4, first 2 shown]
	v_accvgpr_read_b32 v33, a1
	v_accvgpr_read_b32 v31, a3
	;; [unrolled: 1-line block ×4, first 2 shown]
	v_pk_add_f32 v[32:33], v[88:89], v[32:33] neg_lo:[0,1] neg_hi:[0,1]
	v_pk_add_f32 v[30:31], v[90:91], v[30:31] neg_lo:[0,1] neg_hi:[0,1]
	v_pk_mul_f32 v[32:33], v[92:93], v[32:33]
	v_pk_mul_f32 v[30:31], v[94:95], v[30:31]
	s_nop 0
	v_perm_b32 v31, v31, v30, s31
	v_perm_b32 v30, v33, v32, s31
	ds_write_b64 v55, v[30:31]
	v_mov_b32_e32 v30, 0
	v_mov_b32_e32 v31, 0
	;; [unrolled: 1-line block ×4, first 2 shown]
	s_cbranch_vccnz .LBB640_14
; %bb.13:                               ;   in Loop: Header=BB640_6 Depth=1
	s_and_b32 s25, s25, 0xffff
	s_mov_b32 s27, s23
	buffer_load_dwordx4 v[30:33], v74, s[24:27], 0 offen
	buffer_load_dwordx4 v[22:25], v74, s[24:27], s54 offen
	;; [unrolled: 1-line block ×4, first 2 shown]
	v_mov_b32_e32 v86, v49
	v_mov_b32_e32 v87, v48
.LBB640_14:                             ;   in Loop: Header=BB640_6 Depth=1
	s_waitcnt lgkmcnt(0)
	s_barrier
	ds_read_b64 v[96:97], v78
	ds_read2st64_b64 v[88:91], v67 offset1:1
	ds_read2st64_b64 v[92:95], v67 offset0:2 offset1:3
	ds_read_b64 v[98:99], v79
	ds_read_b64 v[100:101], v80
	;; [unrolled: 1-line block ×3, first 2 shown]
	s_waitcnt lgkmcnt(4)
	v_mfma_f32_16x16x16_bf16 a[0:3], v[96:97], v[88:89], 0
	ds_read_b64 v[96:97], v70 offset:8192
	ds_read_b64 v[104:105], v71 offset:8192
	s_add_i32 s21, s48, s60
	s_mul_hi_i32 s25, s21, s13
	s_waitcnt lgkmcnt(1)
	v_mfma_f32_16x16x16_bf16 a[4:7], v[96:97], v[88:89], 0
	s_mul_i32 s21, s21, s13
	s_add_u32 s24, s21, s33
	s_addc_u32 s25, s25, s52
	v_mfma_f32_16x16x16_bf16 a[0:3], v[98:99], v[90:91], a[0:3]
	ds_read_b64 v[96:97], v68
	ds_read_b64 v[98:99], v69
	ds_read_b64 v[88:89], v72 offset:8192
	s_lshl_b64 s[24:25], s[24:25], 15
	v_mfma_f32_16x16x16_bf16 a[0:3], v[100:101], v[92:93], a[0:3]
	ds_read_b64 v[100:101], v73 offset:8192
	s_and_b64 vcc, exec, s[0:1]
	s_waitcnt lgkmcnt(4)
	v_mfma_f32_16x16x16_bf16 a[4:7], v[104:105], v[90:91], a[4:7]
	s_waitcnt lgkmcnt(1)
	v_mfma_f32_16x16x16_bf16 a[4:7], v[88:89], v[92:93], a[4:7]
	v_lshl_add_u64 v[88:89], v[36:37], 0, s[24:25]
	global_store_dwordx4 v[88:89], v[96:99], off
	v_mfma_f32_16x16x16_bf16 a[0:3], v[102:103], v[94:95], a[0:3]
	s_waitcnt lgkmcnt(0)
	v_mfma_f32_16x16x16_bf16 a[4:7], v[100:101], v[94:95], a[4:7]
	s_cbranch_vccnz .LBB640_16
; %bb.15:                               ;   in Loop: Header=BB640_6 Depth=1
	v_lshrrev_b32_e32 v88, 3, v86
	v_and_b32_e32 v88, 6, v88
	v_xor_b32_e32 v87, v88, v87
	v_lshlrev_b32_e32 v87, 2, v87
	v_and_b32_e32 v86, 8, v86
	v_xor_b32_e32 v89, 0x440, v87
	v_cmp_eq_u32_e32 vcc, 0, v86
	s_barrier
	s_nop 0
	v_cndmask_b32_e32 v86, v89, v87, vcc
	v_lshl_or_b32 v86, v88, 10, v86
	s_waitcnt vmcnt(2)
	v_perm_b32 v87, v30, v26, s56
	s_waitcnt vmcnt(1)
	v_perm_b32 v88, v22, v18, s56
	ds_write2st64_b32 v86, v87, v88 offset1:32
	v_xor_b32_e32 v87, 8, v86
	v_perm_b32 v26, v30, v26, s57
	v_perm_b32 v18, v22, v18, s57
	v_add_u32_e32 v22, 0x80, v87
	ds_write2st64_b32 v22, v26, v18 offset1:32
	v_xor_b32_e32 v18, 16, v86
	v_perm_b32 v22, v31, v27, s56
	v_perm_b32 v26, v23, v19, s56
	ds_write2st64_b32 v18, v22, v26 offset0:1 offset1:33
	v_xor_b32_e32 v18, 24, v86
	v_perm_b32 v22, v31, v27, s57
	v_perm_b32 v19, v23, v19, s57
	v_add_u32_e32 v18, 0x80, v18
	ds_write2st64_b32 v18, v22, v19 offset0:1 offset1:33
	v_xor_b32_e32 v18, 32, v86
	v_perm_b32 v19, v32, v28, s56
	v_perm_b32 v22, v24, v20, s56
	ds_write2st64_b32 v18, v19, v22 offset0:2 offset1:34
	v_xor_b32_e32 v18, 40, v86
	v_perm_b32 v19, v32, v28, s57
	v_perm_b32 v20, v24, v20, s57
	v_add_u32_e32 v18, 0x80, v18
	ds_write2st64_b32 v18, v19, v20 offset0:2 offset1:34
	;; [unrolled: 9-line block ×3, first 2 shown]
	ds_write_b64 v85, v[14:15] offset:16384
	v_xor_b32_e32 v14, 8, v85
	ds_write_b64 v14, v[16:17] offset:16384
	ds_write_b64 v85, v[10:11] offset:24576
	;; [unrolled: 1-line block ×4, first 2 shown]
	v_xor_b32_e32 v6, 8, v84
	ds_write_b64 v6, v[8:9] offset:16384
	ds_write_b64 v84, v[2:3] offset:24576
	;; [unrolled: 1-line block ×3, first 2 shown]
.LBB640_16:                             ;   in Loop: Header=BB640_6 Depth=1
	v_mul_f32_e32 v2, s20, v77
	v_exp_f32_e32 v2, v2
	s_nop 1
	v_accvgpr_read_b32 v3, a0
	v_accvgpr_read_b32 v4, a1
	s_add_i32 s55, s55, 64
	v_fma_f32 v35, v35, v2, v3
	v_accvgpr_read_b32 v3, a2
	v_fma_f32 v61, v61, v2, v3
	v_accvgpr_read_b32 v3, a4
	;; [unrolled: 2-line block ×6, first 2 shown]
	v_fmac_f32_e32 v4, v83, v2
	s_cmp_eq_u32 s46, s35
	v_fmac_f32_e32 v3, v82, v2
	s_cbranch_scc1 .LBB640_18
; %bb.17:                               ;   in Loop: Header=BB640_6 Depth=1
	s_mov_b32 s60, s35
	v_mov_b32_e32 v83, v4
	v_mov_b32_e32 v82, v3
	s_branch .LBB640_6
.LBB640_18:
	s_lshl_b32 s40, s46, 6
	s_sub_i32 s41, s12, s40
	s_cmp_gt_i32 s41, 0
	s_cbranch_scc0 .LBB640_75
; %bb.19:
	s_ashr_i32 s35, s45, 31
	s_ashr_i32 s2, s40, 31
	s_cmpk_lg_i32 s15, 0x80
	s_cselect_b64 s[26:27], -1, 0
	s_and_b64 vcc, exec, s[26:27]
	s_cbranch_vccz .LBB640_21
; %bb.20:
	s_mul_i32 s1, s45, s12
	s_mul_hi_i32 s0, s45, s12
	s_add_u32 s1, s1, s40
	s_addc_u32 s0, s0, s2
	s_mul_i32 s3, s1, s47
	s_mul_hi_u32 s20, s1, s14
	s_add_i32 s3, s20, s3
	s_mul_i32 s0, s0, s14
	s_add_i32 s3, s3, s0
	s_mul_i32 s1, s1, s14
	s_ashr_i32 s0, s50, 31
	s_add_u32 s38, s1, s50
	s_addc_u32 s39, s3, s0
	s_cbranch_execz .LBB640_22
	s_branch .LBB640_23
.LBB640_21:
                                        ; implicit-def: $sgpr38_sgpr39
.LBB640_22:
	s_mul_hi_i32 s0, s45, s14
	s_mul_i32 s45, s45, s14
	s_ashr_i32 s1, s50, 31
	s_add_u32 s3, s45, s50
	s_addc_u32 s0, s0, s1
	s_mul_i32 s1, s3, s44
	s_mul_hi_u32 s14, s3, s12
	s_add_i32 s1, s14, s1
	s_mul_i32 s0, s0, s12
	s_add_i32 s1, s1, s0
	s_mul_i32 s3, s3, s12
	s_add_u32 s38, s3, s40
	s_addc_u32 s39, s1, s2
.LBB640_23:
	s_add_i32 s3, s48, s46
	s_ashr_i32 s14, s33, 31
	s_add_u32 s0, s43, s33
	s_addc_u32 s1, s49, s14
	s_mul_i32 s20, s0, s44
	s_mul_hi_u32 s21, s0, s12
	s_add_i32 s20, s21, s20
	s_mul_i32 s1, s1, s12
	s_add_i32 s20, s20, s1
	s_mul_i32 s0, s0, s12
	s_add_u32 s0, s0, s40
	s_addc_u32 s1, s20, s2
	s_mov_b32 s2, 0x7060302
	v_lshlrev_b32_e32 v6, 3, v1
	v_perm_b32 v5, v4, v61, s2
	v_perm_b32 v4, v60, v35, s2
	;; [unrolled: 1-line block ×4, first 2 shown]
	v_lshlrev_b32_e32 v34, 2, v1
	v_lshl_or_b32 v6, v46, 5, v6
	s_lshl_b64 s[24:25], s[0:1], 8
	ds_write2st64_b64 v6, v[4:5], v[2:3] offset0:72 offset1:76
	v_xor_b32_e32 v6, v46, v34
	v_lshlrev_b32_e32 v7, 8, v1
	s_add_u32 s0, s6, s24
	v_lshl_or_b32 v6, v6, 1, v7
	s_addc_u32 s1, s7, s25
	ds_write_b64 v6, v[4:5] offset:32768
	v_xor_b32_e32 v4, v47, v34
	s_mul_hi_i32 s6, s3, s13
	s_mul_i32 s3, s3, s13
	v_lshl_or_b32 v4, v4, 1, v7
	s_add_u32 s2, s3, s33
	ds_write_b64 v4, v[2:3] offset:32768
	s_addc_u32 s3, s6, s14
	v_lshlrev_b32_e32 v3, 1, v1
	v_lshrrev_b32_e32 v2, 4, v0
	s_ashr_i32 s31, s30, 31
	s_lshl_b64 s[2:3], s[2:3], 15
	v_or_b32_e32 v4, 1, v3
	s_add_u32 s6, s36, s2
	v_xor_b32_e32 v3, v2, v3
	v_xor_b32_e32 v4, v4, v2
	v_lshlrev_b32_e32 v6, 8, v2
	s_addc_u32 s7, s37, s3
	s_lshl_b64 s[2:3], s[30:31], 8
	v_lshl_or_b32 v2, v3, 3, v6
	v_lshl_or_b32 v4, v4, 3, v6
	s_waitcnt lgkmcnt(0)
	s_barrier
	s_add_u32 s2, s6, s2
	ds_read_b64 v[2:3], v2 offset:32768
	ds_read_b64 v[4:5], v4 offset:32768
	s_addc_u32 s3, s7, s3
	v_mov_b32_e32 v7, 0
	s_cmp_lg_u32 s41, 64
	v_lshl_add_u64 v[8:9], s[2:3], 0, v[6:7]
	v_lshlrev_b32_e32 v6, 4, v1
	s_cselect_b64 s[6:7], -1, 0
	v_lshl_or_b32 v35, v42, 3, v45
	s_mov_b32 s20, 0
	v_lshl_add_u64 v[6:7], v[8:9], 0, v[6:7]
	s_waitcnt vmcnt(1)
	v_or_b32_e32 v19, 32, v35
	v_and_b32_e32 v18, 56, v44
	s_and_b64 vcc, exec, s[6:7]
	s_waitcnt lgkmcnt(0)
	global_store_dwordx4 v[6:7], v[2:5], off
	s_cbranch_vccz .LBB640_29
; %bb.24:
	s_mov_b32 s21, s20
	s_mov_b32 s22, s20
	s_mov_b32 s23, s20
	v_mov_b64_e32 v[6:7], s[20:21]
	v_mov_b64_e32 v[8:9], s[22:23]
	;; [unrolled: 1-line block ×3, first 2 shown]
	v_cmp_gt_i32_e32 vcc, s41, v35
	v_mov_b64_e32 v[4:5], v[8:9]
	s_and_saveexec_b64 s[2:3], vcc
	s_cbranch_execz .LBB640_26
; %bb.25:
	v_lshlrev_b32_e32 v2, 8, v35
	v_mov_b32_e32 v3, 0
	v_lshl_add_u64 v[4:5], s[0:1], 0, v[2:3]
	v_lshlrev_b32_e32 v2, 1, v18
	v_lshl_add_u64 v[10:11], v[4:5], 0, v[2:3]
	global_load_dwordx4 v[6:9], v[10:11], off
	global_load_dwordx4 v[2:5], v[10:11], off offset:128
.LBB640_26:
	s_or_b64 exec, exec, s[2:3]
	s_mov_b32 s21, s20
	s_mov_b32 s22, s20
	;; [unrolled: 1-line block ×3, first 2 shown]
	v_mov_b64_e32 v[14:15], s[20:21]
	v_mov_b64_e32 v[16:17], s[22:23]
	;; [unrolled: 1-line block ×3, first 2 shown]
	v_cmp_gt_i32_e32 vcc, s41, v19
	v_lshlrev_b32_e32 v20, 7, v19
	v_mov_b64_e32 v[12:13], v[16:17]
	s_and_saveexec_b64 s[2:3], vcc
	s_cbranch_execz .LBB640_28
; %bb.27:
	v_lshlrev_b32_e32 v10, 1, v20
	v_mov_b32_e32 v11, 0
	v_lshl_add_u64 v[12:13], s[0:1], 0, v[10:11]
	v_lshlrev_b32_e32 v10, 1, v18
	v_lshl_add_u64 v[22:23], v[12:13], 0, v[10:11]
	global_load_dwordx4 v[14:17], v[22:23], off
	global_load_dwordx4 v[10:13], v[22:23], off offset:128
.LBB640_28:
	s_or_b64 exec, exec, s[2:3]
	v_lshrrev_b32_e32 v21, 3, v18
	v_lshlrev_b32_e32 v22, 3, v35
	v_or_b32_e32 v21, v22, v21
	v_lshlrev_b32_e32 v21, 4, v21
	v_and_b32_e32 v22, 0x78, v22
	v_xor_b32_e32 v21, v21, v22
	s_branch .LBB640_31
.LBB640_29:
                                        ; implicit-def: $vgpr21
                                        ; implicit-def: $vgpr20
                                        ; implicit-def: $vgpr6_vgpr7_vgpr8_vgpr9
                                        ; implicit-def: $vgpr2_vgpr3_vgpr4_vgpr5
                                        ; implicit-def: $vgpr14_vgpr15_vgpr16_vgpr17
                                        ; implicit-def: $vgpr10_vgpr11_vgpr12_vgpr13
	s_cbranch_execz .LBB640_31
; %bb.30:
	s_waitcnt vmcnt(0)
	v_lshlrev_b32_e32 v2, 1, v18
	v_lshl_or_b32 v20, v35, 8, v2
	s_and_b32 s1, s1, 0xffff
	s_mov_b32 s3, 0x20000
	s_movk_i32 s2, 0x4000
	v_lshl_or_b32 v21, v19, 8, v2
	s_movk_i32 s13, 0x80
	buffer_load_dwordx4 v[6:9], v20, s[0:3], 0 offen
	buffer_load_dwordx4 v[2:5], v20, s[0:3], s13 offen
	;; [unrolled: 1-line block ×4, first 2 shown]
	v_lshrrev_b32_e32 v20, 3, v18
	v_lshlrev_b32_e32 v21, 3, v35
	v_or_b32_e32 v20, v21, v20
	v_lshlrev_b32_e32 v20, 4, v20
	v_and_b32_e32 v21, 0x78, v21
	v_xor_b32_e32 v21, v20, v21
	v_lshlrev_b32_e32 v20, 7, v19
.LBB640_31:
	s_lshl_b64 s[0:1], s[38:39], 8
	s_add_u32 s4, s4, s0
	s_movk_i32 s0, 0x1000
	v_and_or_b32 v19, v20, s0, v21
	s_waitcnt vmcnt(1)
	ds_write_b64 v21, v[6:7] offset:16384
	v_xor_b32_e32 v6, 8, v21
	s_addc_u32 s5, s5, s1
	ds_write_b64 v6, v[8:9] offset:16384
	s_waitcnt vmcnt(0)
	ds_write_b64 v21, v[2:3] offset:24576
	ds_write_b64 v6, v[4:5] offset:24576
	;; [unrolled: 1-line block ×3, first 2 shown]
	v_xor_b32_e32 v2, 8, v19
	s_add_i32 s0, s42, s17
	s_mul_i32 s35, s35, s16
	ds_write_b64 v2, v[16:17] offset:16384
	ds_write_b64 v19, v[10:11] offset:24576
	;; [unrolled: 1-line block ×3, first 2 shown]
	s_add_i32 s35, s0, s35
	s_mul_i32 s0, s33, s19
	s_mul_hi_u32 s1, s33, s18
	v_or_b32_e32 v2, v40, v1
	s_add_i32 s0, s1, s0
	s_mul_i32 s1, s14, s18
	v_lshlrev_b32_e32 v2, 3, v2
	v_lshrrev_b32_e32 v4, 5, v41
	s_movk_i32 s14, 0xf8
	v_and_or_b32 v4, v2, s14, v4
	v_lshlrev_b32_e32 v3, 11, v42
	v_lshlrev_b32_e32 v12, 4, v4
	v_and_b32_e32 v13, 0x78, v2
	v_and_b32_e32 v14, 0x1000, v3
	v_lshlrev_b32_e32 v3, 2, v0
	v_xor_b32_e32 v2, v12, v13
	v_lshrrev_b32_e32 v4, 1, v41
	v_and_b32_e32 v3, 60, v3
	v_or_b32_e32 v2, v2, v14
	v_and_b32_e32 v15, 8, v4
	v_xor_b32_e32 v26, v2, v15
	v_lshl_or_b32 v2, v43, 6, v3
	v_lshlrev_b32_e32 v19, 1, v2
	v_or_b32_e32 v2, 32, v12
	v_xor_b32_e32 v2, v2, v13
	s_waitcnt lgkmcnt(0)
	s_barrier
	ds_read_b64 v[10:11], v26 offset:16384
	v_or_b32_e32 v2, v2, v14
	v_xor_b32_e32 v27, v2, v15
	v_or_b32_e32 v2, 64, v12
	v_xor_b32_e32 v2, v2, v13
	v_or_b32_e32 v2, v2, v14
	v_or_b32_e32 v12, 0x60, v12
	v_xor_b32_e32 v28, v2, v15
	ds_read2st64_b64 v[2:5], v19 offset0:72 offset1:73
	ds_read2st64_b64 v[6:9], v19 offset0:74 offset1:75
	v_xor_b32_e32 v16, v12, v13
	ds_read_b64 v[12:13], v27 offset:16384
	s_waitcnt lgkmcnt(2)
	v_mfma_f32_16x16x16_bf16 a[0:3], v[10:11], v[2:3], 0
	s_add_i32 s2, s12, -1
	s_ashr_i32 s3, s2, 31
	s_mul_i32 s12, s2, s29
	s_mul_hi_u32 s13, s2, s28
	s_add_i32 s12, s13, s12
	s_mul_i32 s3, s3, s28
	v_or_b32_e32 v14, v16, v14
	s_add_i32 s1, s0, s1
	s_add_i32 s3, s12, s3
	s_lshl_b64 s[12:13], s[34:35], 2
	v_xor_b32_e32 v36, v14, v15
	ds_read_b64 v[14:15], v28 offset:16384
	ds_read_b64 v[16:17], v36 offset:16384
	s_waitcnt lgkmcnt(2)
	v_mfma_f32_16x16x16_bf16 a[0:3], v[12:13], v[4:5], a[0:3]
	s_mul_i32 s0, s33, s18
	s_add_u32 s10, s10, s12
	s_addc_u32 s11, s11, s13
	s_lshl_b64 s[0:1], s[0:1], 2
	s_mul_i32 s2, s2, s28
	s_add_u32 s10, s10, s0
	s_addc_u32 s11, s11, s1
	s_lshl_b64 s[0:1], s[2:3], 2
	s_waitcnt lgkmcnt(1)
	v_mfma_f32_16x16x16_bf16 a[0:3], v[14:15], v[6:7], a[0:3]
	s_add_u32 s0, s10, s0
	s_addc_u32 s1, s11, s1
	s_load_dword s12, s[0:1], 0x0
	s_waitcnt lgkmcnt(0)
	v_mfma_f32_16x16x16_bf16 a[0:3], v[16:17], v[8:9], a[0:3]
	s_and_b64 vcc, exec, s[26:27]
	s_cbranch_vccz .LBB640_42
; %bb.32:
	v_lshlrev_b32_e32 v20, 1, v35
	s_and_b64 vcc, exec, s[6:7]
	s_cbranch_vccz .LBB640_43
; %bb.33:
	v_cmp_gt_i32_e32 vcc, s41, v20
	v_mov_b32_e32 v6, 0
	v_mov_b32_e32 v2, 0
	;; [unrolled: 1-line block ×5, first 2 shown]
	s_and_saveexec_b64 s[0:1], vcc
	s_cbranch_execz .LBB640_35
; %bb.34:
	v_mad_i64_i32 v[2:3], s[2:3], s15, v20, 0
	v_lshl_add_u64 v[2:3], v[2:3], 1, s[4:5]
	v_lshlrev_b32_e32 v4, 1, v18
	v_mov_b32_e32 v5, 0
	v_lshl_add_u64 v[2:3], v[2:3], 0, v[4:5]
	global_load_dwordx4 v[2:5], v[2:3], off
.LBB640_35:
	s_or_b64 exec, exec, s[0:1]
	v_or_b32_e32 v21, 1, v20
	v_cmp_gt_i32_e64 s[0:1], s41, v21
	v_mov_b32_e32 v7, 0
	v_mov_b32_e32 v8, 0
	;; [unrolled: 1-line block ×3, first 2 shown]
	s_and_saveexec_b64 s[2:3], s[0:1]
	s_cbranch_execz .LBB640_37
; %bb.36:
	v_mad_i64_i32 v[6:7], s[16:17], s15, v21, 0
	v_lshl_add_u64 v[6:7], v[6:7], 1, s[4:5]
	v_lshlrev_b32_e32 v8, 1, v18
	v_mov_b32_e32 v9, 0
	v_lshl_add_u64 v[6:7], v[6:7], 0, v[8:9]
	global_load_dwordx4 v[6:9], v[6:7], off
.LBB640_37:
	s_or_b64 exec, exec, s[2:3]
	v_mov_b32_e32 v17, 0
	v_mov_b32_e32 v10, 0
	;; [unrolled: 1-line block ×5, first 2 shown]
	s_and_saveexec_b64 s[2:3], vcc
	s_cbranch_execz .LBB640_39
; %bb.38:
	v_mad_i64_i32 v[10:11], s[16:17], s15, v20, 0
	v_lshl_add_u64 v[10:11], v[10:11], 1, s[4:5]
	v_lshlrev_b32_e32 v12, 1, v18
	v_mov_b32_e32 v13, 0
	v_lshl_add_u64 v[10:11], v[10:11], 0, v[12:13]
	global_load_dwordx4 v[10:13], v[10:11], off offset:128
.LBB640_39:
	s_or_b64 exec, exec, s[2:3]
	v_mov_b32_e32 v16, 0
	v_mov_b32_e32 v15, 0
	;; [unrolled: 1-line block ×3, first 2 shown]
	s_and_saveexec_b64 s[2:3], s[0:1]
	s_cbranch_execz .LBB640_41
; %bb.40:
	v_mad_i64_i32 v[14:15], s[0:1], s15, v21, 0
	v_lshl_add_u64 v[14:15], v[14:15], 1, s[4:5]
	v_lshlrev_b32_e32 v16, 1, v18
	v_mov_b32_e32 v17, 0
	v_lshl_add_u64 v[14:15], v[14:15], 0, v[16:17]
	global_load_dwordx4 v[14:17], v[14:15], off offset:128
.LBB640_41:
	s_or_b64 exec, exec, s[2:3]
	s_branch .LBB640_45
.LBB640_42:
                                        ; implicit-def: $vgpr5
                                        ; implicit-def: $vgpr9
                                        ; implicit-def: $vgpr13
                                        ; implicit-def: $vgpr17
	v_lshrrev_b32_e32 v37, 2, v41
	s_branch .LBB640_46
.LBB640_43:
                                        ; implicit-def: $vgpr5
                                        ; implicit-def: $vgpr9
                                        ; implicit-def: $vgpr13
                                        ; implicit-def: $vgpr17
	s_cbranch_execz .LBB640_45
; %bb.44:
	s_waitcnt vmcnt(0)
	v_mad_u64_u32 v[2:3], s[0:1], v20, s15, v[18:19]
	v_lshlrev_b32_e32 v20, 1, v2
	s_lshl_b32 s2, s15, 7
	s_and_b32 s1, s5, 0xffff
	s_mov_b32 s3, 0x20000
	s_mov_b32 s0, s4
	v_add_lshl_u32 v21, v2, s15, 1
	s_movk_i32 s13, 0x80
	buffer_load_dwordx4 v[2:5], v20, s[0:3], 0 offen
	buffer_load_dwordx4 v[10:13], v20, s[0:3], s13 offen
	;; [unrolled: 1-line block ×4, first 2 shown]
.LBB640_45:
	v_lshrrev_b32_e32 v37, 2, v41
	s_cbranch_execnz .LBB640_58
.LBB640_46:
	s_and_b64 vcc, exec, s[6:7]
	s_cbranch_vccz .LBB640_56
; %bb.47:
	s_waitcnt vmcnt(0)
	v_lshlrev_b32_e32 v7, 1, v35
	v_cmp_gt_i32_e32 vcc, s41, v7
	v_mov_b32_e32 v6, 0
	v_lshlrev_b32_e32 v14, 9, v35
	v_mov_b32_e32 v2, 0
	v_mov_b32_e32 v3, 0
	;; [unrolled: 1-line block ×4, first 2 shown]
	s_and_saveexec_b64 s[0:1], vcc
	s_cbranch_execz .LBB640_49
; %bb.48:
	v_mov_b32_e32 v15, 0
	v_lshl_add_u64 v[2:3], s[4:5], 0, v[14:15]
	v_lshlrev_b32_e32 v4, 1, v18
	v_mov_b32_e32 v5, v15
	v_lshl_add_u64 v[2:3], v[2:3], 0, v[4:5]
	global_load_dwordx4 v[2:5], v[2:3], off
.LBB640_49:
	s_or_b64 exec, exec, s[0:1]
	v_or_b32_e32 v7, 1, v7
	v_cmp_gt_i32_e64 s[0:1], s41, v7
	v_lshlrev_b32_e32 v20, 8, v7
	v_mov_b32_e32 v7, 0
	v_mov_b32_e32 v8, 0
	;; [unrolled: 1-line block ×3, first 2 shown]
	s_and_saveexec_b64 s[2:3], s[0:1]
	s_cbranch_execz .LBB640_51
; %bb.50:
	v_mov_b32_e32 v21, 0
	v_lshl_add_u64 v[6:7], s[4:5], 0, v[20:21]
	v_lshlrev_b32_e32 v8, 1, v18
	v_mov_b32_e32 v9, v21
	v_lshl_add_u64 v[6:7], v[6:7], 0, v[8:9]
	global_load_dwordx4 v[6:9], v[6:7], off
.LBB640_51:
	s_or_b64 exec, exec, s[2:3]
	v_mov_b32_e32 v17, 0
	v_mov_b32_e32 v10, 0
	;; [unrolled: 1-line block ×5, first 2 shown]
	s_and_saveexec_b64 s[2:3], vcc
	s_cbranch_execz .LBB640_53
; %bb.52:
	v_mov_b32_e32 v15, 0
	v_lshl_add_u64 v[10:11], s[4:5], 0, v[14:15]
	v_lshlrev_b32_e32 v14, 1, v18
	v_lshl_add_u64 v[10:11], v[10:11], 0, v[14:15]
	global_load_dwordx4 v[10:13], v[10:11], off offset:128
.LBB640_53:
	s_or_b64 exec, exec, s[2:3]
	v_mov_b32_e32 v16, 0
	v_mov_b32_e32 v15, 0
	;; [unrolled: 1-line block ×3, first 2 shown]
	s_and_saveexec_b64 s[2:3], s[0:1]
	s_cbranch_execz .LBB640_55
; %bb.54:
	v_mov_b32_e32 v21, 0
	v_lshl_add_u64 v[14:15], s[4:5], 0, v[20:21]
	v_lshlrev_b32_e32 v20, 1, v18
	v_lshl_add_u64 v[14:15], v[14:15], 0, v[20:21]
	global_load_dwordx4 v[14:17], v[14:15], off offset:128
.LBB640_55:
	s_or_b64 exec, exec, s[2:3]
	s_branch .LBB640_58
.LBB640_56:
                                        ; implicit-def: $vgpr5
                                        ; implicit-def: $vgpr9
                                        ; implicit-def: $vgpr13
                                        ; implicit-def: $vgpr17
	s_cbranch_execz .LBB640_58
; %bb.57:
	s_waitcnt vmcnt(0)
	v_lshlrev_b32_e32 v2, 1, v18
	v_lshl_or_b32 v18, v35, 9, v2
	s_and_b32 s5, s5, 0xffff
	s_mov_b32 s7, 0x20000
	s_movk_i32 s6, 0x4000
	s_movk_i32 s0, 0x80
	buffer_load_dwordx4 v[2:5], v18, s[4:7], 0 offen
	buffer_load_dwordx4 v[6:9], v18, s[4:7], 0 offen offset:256
	buffer_load_dwordx4 v[10:13], v18, s[4:7], s0 offen
	buffer_load_dwordx4 v[14:17], v18, s[4:7], s0 offen offset:256
.LBB640_58:
	ds_read2st64_b64 v[22:25], v19 offset0:76 offset1:77
	ds_read2st64_b64 v[18:21], v19 offset0:78 offset1:79
	ds_read_b64 v[30:31], v26 offset:24576
	ds_read_b64 v[32:33], v27 offset:24576
	;; [unrolled: 1-line block ×4, first 2 shown]
	v_and_b32_e32 v36, 6, v0
	v_xor_b32_e32 v35, v35, v36
	v_lshlrev_b32_e32 v35, 2, v35
	v_and_b32_e32 v0, 1, v0
	v_xor_b32_e32 v38, 0x440, v35
	v_cmp_eq_u32_e32 vcc, 0, v0
	s_mov_b32 s0, 0x1000504
	s_mov_b32 s1, 0x3020706
	v_cndmask_b32_e32 v0, v38, v35, vcc
	v_lshl_or_b32 v0, v36, 10, v0
	s_waitcnt vmcnt(0)
	v_perm_b32 v35, v2, v6, s0
	v_perm_b32 v36, v10, v14, s0
	ds_write2st64_b32 v0, v35, v36 offset1:32
	v_xor_b32_e32 v35, 8, v0
	v_perm_b32 v2, v2, v6, s1
	v_perm_b32 v6, v10, v14, s1
	v_add_u32_e32 v10, 0x80, v35
	ds_write2st64_b32 v10, v2, v6 offset1:32
	v_xor_b32_e32 v2, 16, v0
	v_perm_b32 v6, v3, v7, s0
	v_perm_b32 v10, v11, v15, s0
	ds_write2st64_b32 v2, v6, v10 offset0:1 offset1:33
	v_xor_b32_e32 v2, 24, v0
	v_perm_b32 v3, v3, v7, s1
	v_perm_b32 v6, v11, v15, s1
	v_add_u32_e32 v2, 0x80, v2
	ds_write2st64_b32 v2, v3, v6 offset0:1 offset1:33
	v_xor_b32_e32 v2, 32, v0
	v_perm_b32 v3, v4, v8, s0
	v_perm_b32 v6, v12, v16, s0
	ds_write2st64_b32 v2, v3, v6 offset0:2 offset1:34
	v_xor_b32_e32 v2, 40, v0
	v_perm_b32 v3, v4, v8, s1
	v_perm_b32 v4, v12, v16, s1
	v_add_u32_e32 v2, 0x80, v2
	ds_write2st64_b32 v2, v3, v4 offset0:2 offset1:34
	v_xor_b32_e32 v2, 48, v0
	v_perm_b32 v3, v5, v9, s0
	v_perm_b32 v4, v13, v17, s0
	v_xor_b32_e32 v0, 56, v0
	v_and_or_b32 v6, v37, 12, v40
	ds_write2st64_b32 v2, v3, v4 offset0:3 offset1:35
	v_perm_b32 v2, v5, v9, s1
	v_perm_b32 v3, v13, v17, s1
	v_add_u32_e32 v0, 0x80, v0
	v_cmp_gt_i32_e32 vcc, s41, v6
	v_mov_b32_e32 v7, 0
	v_mov_b32_e32 v11, 0
	ds_write2st64_b32 v0, v2, v3 offset0:3 offset1:35
	s_and_saveexec_b64 s[0:1], vcc
	s_cbranch_execz .LBB640_60
; %bb.59:
	v_add_u32_e32 v0, s40, v6
	v_ashrrev_i32_e32 v2, 31, v0
	v_mul_lo_u32 v4, v2, s28
	v_mul_lo_u32 v5, v0, s29
	v_mad_u64_u32 v[2:3], s[2:3], v0, s28, 0
	v_add3_u32 v3, v3, v5, v4
	v_lshl_add_u64 v[2:3], v[2:3], 2, s[10:11]
	global_load_dword v0, v[2:3], off
	s_waitcnt vmcnt(0)
	v_sub_f32_e32 v0, s12, v0
	v_mul_f32_e32 v0, 0x3fb8aa3b, v0
	v_exp_f32_e32 v11, v0
.LBB640_60:
	s_or_b64 exec, exec, s[0:1]
	v_or_b32_e32 v9, 1, v6
	v_cmp_gt_i32_e64 s[0:1], s41, v9
	s_and_saveexec_b64 s[2:3], s[0:1]
	s_cbranch_execz .LBB640_62
; %bb.61:
	v_add_u32_e32 v0, s40, v9
	v_ashrrev_i32_e32 v2, 31, v0
	v_mul_lo_u32 v4, v2, s28
	v_mul_lo_u32 v5, v0, s29
	v_mad_u64_u32 v[2:3], s[4:5], v0, s28, 0
	v_add3_u32 v3, v3, v5, v4
	v_lshl_add_u64 v[2:3], v[2:3], 2, s[10:11]
	global_load_dword v0, v[2:3], off
	s_waitcnt vmcnt(0)
	v_sub_f32_e32 v0, s12, v0
	v_mul_f32_e32 v0, 0x3fb8aa3b, v0
	v_exp_f32_e32 v7, v0
.LBB640_62:
	s_or_b64 exec, exec, s[2:3]
	v_or_b32_e32 v10, 2, v6
	v_cmp_gt_i32_e64 s[2:3], s41, v10
	v_mov_b32_e32 v8, 0
	v_mov_b32_e32 v13, 0
	s_and_saveexec_b64 s[4:5], s[2:3]
	s_cbranch_execz .LBB640_64
; %bb.63:
	v_add_u32_e32 v0, s40, v10
	v_ashrrev_i32_e32 v2, 31, v0
	v_mul_lo_u32 v4, v2, s28
	v_mul_lo_u32 v5, v0, s29
	v_mad_u64_u32 v[2:3], s[6:7], v0, s28, 0
	v_add3_u32 v3, v3, v5, v4
	v_lshl_add_u64 v[2:3], v[2:3], 2, s[10:11]
	global_load_dword v0, v[2:3], off
	s_waitcnt vmcnt(0)
	v_sub_f32_e32 v0, s12, v0
	v_mul_f32_e32 v0, 0x3fb8aa3b, v0
	v_exp_f32_e32 v13, v0
.LBB640_64:
	s_or_b64 exec, exec, s[4:5]
	v_or_b32_e32 v12, 3, v6
	v_cmp_gt_i32_e64 s[4:5], s41, v12
	s_and_saveexec_b64 s[6:7], s[4:5]
	s_cbranch_execz .LBB640_66
; %bb.65:
	v_add_u32_e32 v0, s40, v12
	v_ashrrev_i32_e32 v2, 31, v0
	v_mul_lo_u32 v4, v2, s28
	v_mul_lo_u32 v5, v0, s29
	v_mad_u64_u32 v[2:3], s[14:15], v0, s28, 0
	v_add3_u32 v3, v3, v5, v4
	v_lshl_add_u64 v[2:3], v[2:3], 2, s[10:11]
	global_load_dword v0, v[2:3], off
	s_waitcnt vmcnt(0)
	v_sub_f32_e32 v0, s12, v0
	v_mul_f32_e32 v0, 0x3fb8aa3b, v0
	v_exp_f32_e32 v8, v0
.LBB640_66:
	s_or_b64 exec, exec, s[6:7]
	s_waitcnt lgkmcnt(11)
	v_mfma_f32_16x16x16_bf16 a[0:3], v[30:31], v[22:23], a[0:3]
	v_or_b32_e32 v0, s30, v1
	s_add_u32 s6, s8, s24
	s_addc_u32 s7, s9, s25
	s_waitcnt lgkmcnt(10)
	v_mfma_f32_16x16x16_bf16 a[0:3], v[32:33], v[24:25], a[0:3]
	v_ashrrev_i32_e32 v1, 31, v0
	v_lshl_add_u64 v[4:5], v[0:1], 1, s[6:7]
	v_mov_b32_e32 v14, 0
	s_waitcnt lgkmcnt(9)
	v_mfma_f32_16x16x16_bf16 a[0:3], v[28:29], v[18:19], a[0:3]
	v_mov_b32_e32 v15, 0
	s_waitcnt lgkmcnt(8)
	v_mfma_f32_16x16x16_bf16 a[0:3], v[26:27], v[20:21], a[0:3]
	s_nop 6
	v_accvgpr_read_b32 v0, a0
	v_accvgpr_read_b32 v1, a1
	;; [unrolled: 1-line block ×4, first 2 shown]
	s_and_saveexec_b64 s[6:7], vcc
	s_cbranch_execz .LBB640_68
; %bb.67:
	v_lshlrev_b32_e32 v16, 8, v6
	v_mov_b32_e32 v17, 0
	v_lshl_add_u64 v[16:17], v[4:5], 0, v[16:17]
	global_load_ushort v15, v[16:17], off
	s_waitcnt vmcnt(0)
	v_lshlrev_b32_e32 v15, 16, v15
	v_sub_f32_e32 v0, v15, v0
	v_mul_f32_e32 v0, v11, v0
	v_lshrrev_b32_e32 v15, 16, v0
.LBB640_68:
	s_or_b64 exec, exec, s[6:7]
	s_and_saveexec_b64 s[6:7], s[0:1]
	s_cbranch_execz .LBB640_70
; %bb.69:
	v_lshlrev_b32_e32 v16, 8, v9
	v_mov_b32_e32 v17, 0
	v_lshl_add_u64 v[16:17], v[4:5], 0, v[16:17]
	global_load_ushort v0, v[16:17], off
	s_waitcnt vmcnt(0)
	v_lshlrev_b32_e32 v0, 16, v0
	v_sub_f32_e32 v0, v0, v1
	v_mul_f32_e32 v0, v7, v0
	v_lshrrev_b32_e32 v14, 16, v0
.LBB640_70:
	s_or_b64 exec, exec, s[6:7]
	v_mov_b32_e32 v0, 0
	v_mov_b32_e32 v1, 0
	s_and_saveexec_b64 s[0:1], s[2:3]
	s_cbranch_execz .LBB640_72
; %bb.71:
	v_lshlrev_b32_e32 v10, 8, v10
	v_mov_b32_e32 v11, 0
	v_lshl_add_u64 v[10:11], v[4:5], 0, v[10:11]
	global_load_ushort v1, v[10:11], off
	s_waitcnt vmcnt(0)
	v_lshlrev_b32_e32 v1, 16, v1
	v_sub_f32_e32 v1, v1, v2
	v_mul_f32_e32 v1, v13, v1
	v_lshrrev_b32_e32 v1, 16, v1
.LBB640_72:
	s_or_b64 exec, exec, s[0:1]
	s_and_saveexec_b64 s[0:1], s[4:5]
	s_cbranch_execz .LBB640_74
; %bb.73:
	v_lshlrev_b32_e32 v10, 8, v12
	v_mov_b32_e32 v11, 0
	v_lshl_add_u64 v[4:5], v[4:5], 0, v[10:11]
	global_load_ushort v0, v[4:5], off
	s_waitcnt vmcnt(0)
	v_lshlrev_b32_e32 v0, 16, v0
	v_sub_f32_e32 v0, v0, v3
	v_mul_f32_e32 v0, v8, v0
	v_lshrrev_b32_e32 v0, 16, v0
.LBB640_74:
	s_or_b64 exec, exec, s[0:1]
	s_mov_b32 s0, 0x5040100
	v_lshlrev_b32_e32 v2, 1, v34
	v_perm_b32 v1, v0, v1, s0
	v_perm_b32 v0, v14, v15, s0
	v_lshl_or_b32 v2, v6, 5, v2
	ds_write_b64 v2, v[0:1] offset:38912
	s_waitcnt lgkmcnt(0)
	s_barrier
.LBB640_75:
	s_endpgm
	.section	.rodata,"a",@progbits
	.p2align	6, 0x0
	.amdhsa_kernel _ZN12_GLOBAL__N_139chunk_gated_delta_rule_fwd_h_hip_kernelILi16ELb0ELb0ELb0ELb0ELb0ELb0ELb0ELb1EEEvPK12hip_bfloat16S3_S3_PKfS5_PKvPS1_S8_PvPKiSB_iiiiilll
		.amdhsa_group_segment_fixed_size 40960
		.amdhsa_private_segment_fixed_size 0
		.amdhsa_kernarg_size 136
		.amdhsa_user_sgpr_count 2
		.amdhsa_user_sgpr_dispatch_ptr 0
		.amdhsa_user_sgpr_queue_ptr 0
		.amdhsa_user_sgpr_kernarg_segment_ptr 1
		.amdhsa_user_sgpr_dispatch_id 0
		.amdhsa_user_sgpr_kernarg_preload_length 0
		.amdhsa_user_sgpr_kernarg_preload_offset 0
		.amdhsa_user_sgpr_private_segment_size 0
		.amdhsa_uses_dynamic_stack 0
		.amdhsa_enable_private_segment 0
		.amdhsa_system_sgpr_workgroup_id_x 1
		.amdhsa_system_sgpr_workgroup_id_y 1
		.amdhsa_system_sgpr_workgroup_id_z 0
		.amdhsa_system_sgpr_workgroup_info 0
		.amdhsa_system_vgpr_workitem_id 0
		.amdhsa_next_free_vgpr 116
		.amdhsa_next_free_sgpr 61
		.amdhsa_accum_offset 108
		.amdhsa_reserve_vcc 1
		.amdhsa_float_round_mode_32 0
		.amdhsa_float_round_mode_16_64 0
		.amdhsa_float_denorm_mode_32 3
		.amdhsa_float_denorm_mode_16_64 3
		.amdhsa_dx10_clamp 1
		.amdhsa_ieee_mode 1
		.amdhsa_fp16_overflow 0
		.amdhsa_tg_split 0
		.amdhsa_exception_fp_ieee_invalid_op 0
		.amdhsa_exception_fp_denorm_src 0
		.amdhsa_exception_fp_ieee_div_zero 0
		.amdhsa_exception_fp_ieee_overflow 0
		.amdhsa_exception_fp_ieee_underflow 0
		.amdhsa_exception_fp_ieee_inexact 0
		.amdhsa_exception_int_div_zero 0
	.end_amdhsa_kernel
	.section	.text._ZN12_GLOBAL__N_139chunk_gated_delta_rule_fwd_h_hip_kernelILi16ELb0ELb0ELb0ELb0ELb0ELb0ELb0ELb1EEEvPK12hip_bfloat16S3_S3_PKfS5_PKvPS1_S8_PvPKiSB_iiiiilll,"axG",@progbits,_ZN12_GLOBAL__N_139chunk_gated_delta_rule_fwd_h_hip_kernelILi16ELb0ELb0ELb0ELb0ELb0ELb0ELb0ELb1EEEvPK12hip_bfloat16S3_S3_PKfS5_PKvPS1_S8_PvPKiSB_iiiiilll,comdat
.Lfunc_end640:
	.size	_ZN12_GLOBAL__N_139chunk_gated_delta_rule_fwd_h_hip_kernelILi16ELb0ELb0ELb0ELb0ELb0ELb0ELb0ELb1EEEvPK12hip_bfloat16S3_S3_PKfS5_PKvPS1_S8_PvPKiSB_iiiiilll, .Lfunc_end640-_ZN12_GLOBAL__N_139chunk_gated_delta_rule_fwd_h_hip_kernelILi16ELb0ELb0ELb0ELb0ELb0ELb0ELb0ELb1EEEvPK12hip_bfloat16S3_S3_PKfS5_PKvPS1_S8_PvPKiSB_iiiiilll
                                        ; -- End function
	.section	.AMDGPU.csdata,"",@progbits
; Kernel info:
; codeLenInByte = 7228
; NumSgprs: 67
; NumVgprs: 106
; NumAgprs: 8
; TotalNumVgprs: 116
; ScratchSize: 0
; MemoryBound: 0
; FloatMode: 240
; IeeeMode: 1
; LDSByteSize: 40960 bytes/workgroup (compile time only)
; SGPRBlocks: 8
; VGPRBlocks: 14
; NumSGPRsForWavesPerEU: 67
; NumVGPRsForWavesPerEU: 116
; AccumOffset: 108
; Occupancy: 1
; WaveLimiterHint : 1
; COMPUTE_PGM_RSRC2:SCRATCH_EN: 0
; COMPUTE_PGM_RSRC2:USER_SGPR: 2
; COMPUTE_PGM_RSRC2:TRAP_HANDLER: 0
; COMPUTE_PGM_RSRC2:TGID_X_EN: 1
; COMPUTE_PGM_RSRC2:TGID_Y_EN: 1
; COMPUTE_PGM_RSRC2:TGID_Z_EN: 0
; COMPUTE_PGM_RSRC2:TIDIG_COMP_CNT: 0
; COMPUTE_PGM_RSRC3_GFX90A:ACCUM_OFFSET: 26
; COMPUTE_PGM_RSRC3_GFX90A:TG_SPLIT: 0
	.section	.text._ZN12_GLOBAL__N_139chunk_gated_delta_rule_fwd_h_hip_kernelILi16ELb1ELb1ELb1ELb1ELb1ELb1ELb1ELb0EEEvPK12hip_bfloat16S3_S3_PKfS5_PKvPS1_S8_PvPKiSB_iiiiilll,"axG",@progbits,_ZN12_GLOBAL__N_139chunk_gated_delta_rule_fwd_h_hip_kernelILi16ELb1ELb1ELb1ELb1ELb1ELb1ELb1ELb0EEEvPK12hip_bfloat16S3_S3_PKfS5_PKvPS1_S8_PvPKiSB_iiiiilll,comdat
	.globl	_ZN12_GLOBAL__N_139chunk_gated_delta_rule_fwd_h_hip_kernelILi16ELb1ELb1ELb1ELb1ELb1ELb1ELb1ELb0EEEvPK12hip_bfloat16S3_S3_PKfS5_PKvPS1_S8_PvPKiSB_iiiiilll ; -- Begin function _ZN12_GLOBAL__N_139chunk_gated_delta_rule_fwd_h_hip_kernelILi16ELb1ELb1ELb1ELb1ELb1ELb1ELb1ELb0EEEvPK12hip_bfloat16S3_S3_PKfS5_PKvPS1_S8_PvPKiSB_iiiiilll
	.p2align	8
	.type	_ZN12_GLOBAL__N_139chunk_gated_delta_rule_fwd_h_hip_kernelILi16ELb1ELb1ELb1ELb1ELb1ELb1ELb1ELb0EEEvPK12hip_bfloat16S3_S3_PKfS5_PKvPS1_S8_PvPKiSB_iiiiilll,@function
_ZN12_GLOBAL__N_139chunk_gated_delta_rule_fwd_h_hip_kernelILi16ELb1ELb1ELb1ELb1ELb1ELb1ELb1ELb0EEEvPK12hip_bfloat16S3_S3_PKfS5_PKvPS1_S8_PvPKiSB_iiiiilll: ; @_ZN12_GLOBAL__N_139chunk_gated_delta_rule_fwd_h_hip_kernelILi16ELb1ELb1ELb1ELb1ELb1ELb1ELb1ELb0EEEvPK12hip_bfloat16S3_S3_PKfS5_PKvPS1_S8_PvPKiSB_iiiiilll
; %bb.0:
	s_load_dwordx4 s[28:31], s[0:1], 0x5c
	s_load_dwordx4 s[4:7], s[0:1], 0x70
	s_abs_i32 s11, s3
	s_ashr_i32 s10, s3, 31
	s_load_dwordx4 s[24:27], s[0:1], 0x40
	s_load_dwordx2 s[8:9], s[0:1], 0x50
	s_waitcnt lgkmcnt(0)
	s_abs_i32 s14, s29
	v_cvt_f32_u32_e32 v1, s14
	s_sub_i32 s12, 0, s14
	s_ashr_i32 s15, s29, 31
	s_xor_b32 s10, s10, s15
	v_rcp_iflag_f32_e32 v1, v1
	v_and_b32_e32 v67, 15, v0
	v_bfe_u32 v66, v0, 4, 2
	v_mov_b32_e32 v57, 0
	v_mul_f32_e32 v1, 0x4f7ffffe, v1
	v_cvt_u32_f32_e32 v1, v1
	v_lshlrev_b32_e32 v68, 3, v0
	v_readfirstlane_b32 s13, v1
	s_mul_i32 s12, s12, s13
	s_mul_hi_u32 s12, s13, s12
	s_add_i32 s13, s13, s12
	s_mul_hi_u32 s12, s11, s13
	s_mul_i32 s13, s12, s14
	s_sub_i32 s11, s11, s13
	s_add_i32 s16, s12, 1
	s_sub_i32 s13, s11, s14
	s_cmp_ge_u32 s11, s14
	s_cselect_b32 s12, s16, s12
	s_cselect_b32 s11, s13, s11
	s_add_i32 s13, s12, 1
	s_cmp_ge_u32 s11, s14
	s_cselect_b32 s11, s13, s12
	s_xor_b32 s11, s11, s10
	s_sub_i32 s36, s11, s10
	s_mul_i32 s16, s36, s29
	s_ashr_i32 s37, s36, 31
	s_sub_i32 s33, s3, s16
	s_lshl_b64 s[10:11], s[36:37], 2
	s_add_u32 s12, s26, s10
	s_addc_u32 s13, s27, s11
	s_add_u32 s38, s8, s10
	s_addc_u32 s39, s9, s11
	s_abs_i32 s3, s30
	v_cvt_f32_u32_e32 v1, s3
	s_load_dwordx2 s[34:35], s[12:13], 0x0
	s_sub_i32 s9, 0, s3
	s_lshl_b32 s2, s2, 4
	v_rcp_iflag_f32_e32 v1, v1
	v_or_b32_e32 v58, s2, v67
	s_waitcnt lgkmcnt(0)
	s_sub_i32 s56, s35, s34
	s_ashr_i32 s8, s56, 31
	v_mul_f32_e32 v1, 0x4f7ffffe, v1
	v_cvt_u32_f32_e32 v1, v1
	s_lshr_b32 s8, s8, 26
	s_add_i32 s8, s56, s8
	s_ashr_i32 s55, s8, 6
	v_readfirstlane_b32 s10, v1
	s_mul_i32 s9, s9, s10
	s_mul_hi_u32 s9, s10, s9
	s_add_i32 s10, s10, s9
	s_mul_hi_u32 s9, s14, s10
	s_mul_i32 s10, s9, s3
	s_ashr_i32 s8, s30, 31
	s_sub_i32 s10, s14, s10
	s_xor_b32 s8, s15, s8
	s_add_i32 s11, s9, 1
	s_sub_i32 s12, s10, s3
	s_cmp_ge_u32 s10, s3
	s_cselect_b32 s9, s11, s9
	s_cselect_b32 s10, s12, s10
	s_add_i32 s11, s9, 1
	s_cmp_ge_u32 s10, s3
	s_cselect_b32 s3, s11, s9
	s_xor_b32 s3, s3, s8
	s_sub_i32 s3, s3, s8
	s_abs_i32 s17, s3
	v_cvt_f32_u32_e32 v1, s17
	s_sub_i32 s19, 0, s17
	s_abs_i32 s18, s33
	s_xor_b32 s3, s33, s3
	v_rcp_iflag_f32_e32 v2, v1
	s_ashr_i32 s3, s3, 31
	s_load_dwordx8 s[8:15], s[0:1], 0x20
	v_lshrrev_b32_e32 v1, 6, v0
	v_mul_f32_e32 v2, 0x4f7ffffe, v2
	v_cvt_u32_f32_e32 v2, v2
	v_lshlrev_b32_e32 v53, 4, v1
	v_lshlrev_b32_e32 v54, 7, v58
	v_lshl_or_b32 v70, v66, 2, v53
	v_readfirstlane_b32 s20, v2
	s_mul_i32 s19, s19, s20
	s_mul_hi_u32 s19, s20, s19
	s_add_i32 s20, s20, s19
	s_mul_hi_u32 s19, s18, s20
	s_mul_i32 s20, s19, s17
	s_sub_i32 s18, s18, s20
	s_add_i32 s20, s19, 1
	s_sub_i32 s21, s18, s17
	s_cmp_ge_u32 s18, s17
	s_cselect_b32 s19, s20, s19
	s_cselect_b32 s18, s21, s18
	s_add_i32 s20, s19, 1
	s_cmp_ge_u32 s18, s17
	s_cselect_b32 s17, s20, s19
	s_xor_b32 s17, s17, s3
	s_sub_i32 s57, s17, s3
	s_ashr_i32 s48, s33, 31
	s_mul_hi_i32 s3, s36, s29
	s_add_u32 s16, s16, s33
	s_addc_u32 s17, s3, s48
	s_lshl_b64 s[26:27], s[16:17], 16
	s_waitcnt lgkmcnt(0)
	s_add_u32 s10, s10, s26
	s_addc_u32 s11, s11, s27
	v_ashrrev_i32_e32 v55, 31, v54
	v_lshl_add_u64 v[2:3], v[54:55], 2, s[10:11]
	v_lshlrev_b32_e32 v56, 2, v70
	v_lshl_add_u64 v[10:11], v[2:3], 0, v[56:57]
	global_load_dwordx4 v[6:9], v[10:11], off
	global_load_dwordx4 v[2:5], v[10:11], off offset:256
	s_load_dwordx8 s[16:23], s[0:1], 0x0
	s_load_dwordx2 s[10:11], s[0:1], 0x80
	s_load_dword s58, s[38:39], 0x0
	v_and_b32_e32 v57, 63, v0
	v_or_b32_e32 v71, 64, v70
	s_cmp_lt_i32 s56, 64
	s_mul_hi_i32 s59, s33, s28
	s_mul_i32 s60, s33, s28
	v_lshrrev_b32_e32 v69, 3, v57
	s_mul_i32 s49, s36, s5
	s_mul_hi_u32 s51, s36, s4
	s_mul_i32 s52, s37, s4
	s_mul_i32 s42, s36, s4
	;; [unrolled: 1-line block ×3, first 2 shown]
	s_mul_hi_u32 s53, s33, s6
	s_mul_i32 s54, s48, s6
	s_mul_i32 s40, s33, s6
	s_cbranch_scc1 .LBB641_18
; %bb.1:
	s_ashr_i32 s1, s34, 31
	s_add_u32 s0, s60, s34
	s_addc_u32 s1, s59, s1
	s_lshl_b64 s[0:1], s[0:1], 8
	v_and_b32_e32 v73, 56, v68
	s_waitcnt lgkmcnt(0)
	s_add_u32 s4, s18, s0
	v_lshl_or_b32 v72, v1, 3, v69
	v_lshlrev_b32_e32 v10, 1, v73
	s_addc_u32 s0, s19, s1
	v_lshl_or_b32 v74, v72, 8, v10
	s_and_b32 s5, s0, 0xffff
	s_mov_b32 s7, 0x20000
	s_movk_i32 s6, 0x4000
	s_movk_i32 s0, 0x80
	v_or_b32_e32 v75, 0x2000, v74
	buffer_load_dwordx4 v[12:15], v74, s[4:7], 0 offen
	buffer_load_dwordx4 v[16:19], v74, s[4:7], s0 offen
	;; [unrolled: 1-line block ×4, first 2 shown]
	v_lshlrev_b32_e32 v11, 3, v72
	v_and_or_b32 v29, v0, 7, v11
	v_and_b32_e32 v11, 0x78, v11
	v_lshlrev_b32_e32 v29, 4, v29
	v_xor_b32_e32 v76, v29, v11
	v_mul_lo_u32 v28, v72, s31
	v_or_b32_e32 v77, 0x1000, v76
	v_xor_b32_e32 v11, 8, v76
	s_cmpk_eq_i32 s31, 0x80
	s_mov_b32 s61, s34
	v_xor_b32_e32 v29, 8, v77
	s_cselect_b64 s[0:1], -1, 0
	s_cmpk_lg_i32 s31, 0x80
	s_waitcnt vmcnt(3)
	ds_write_b64 v76, v[12:13] offset:16384
	ds_write_b64 v11, v[14:15] offset:16384
	s_waitcnt vmcnt(2)
	ds_write_b64 v76, v[16:17] offset:24576
	ds_write_b64 v11, v[18:19] offset:24576
	;; [unrolled: 3-line block ×4, first 2 shown]
	v_lshl_add_u32 v11, v28, 1, v73
	s_cbranch_scc0 .LBB641_3
; %bb.2:
	v_lshlrev_b32_e32 v13, 1, v11
	v_add_lshl_u32 v12, v11, s31, 1
	s_lshl_b32 s6, s31, 7
	v_lshl_or_b32 v10, v72, 9, v10
	s_cbranch_execz .LBB641_4
	s_branch .LBB641_5
.LBB641_3:
                                        ; implicit-def: $vgpr12
                                        ; implicit-def: $vgpr13
                                        ; implicit-def: $sgpr6
	v_lshl_or_b32 v10, v72, 9, v10
.LBB641_4:
	v_or_b32_e32 v12, 0x100, v10
	s_movk_i32 s6, 0x4000
	v_mov_b32_e32 v13, v10
.LBB641_5:
	s_mul_i32 s4, s34, s30
	s_ashr_i32 s62, s57, 31
	s_mul_hi_i32 s3, s34, s30
	s_add_u32 s4, s4, s57
	s_addc_u32 s5, s3, s62
	s_lshl_b64 s[4:5], s[4:5], 8
	s_add_u32 s4, s16, s4
	s_addc_u32 s3, s17, s5
	s_and_b32 s5, s3, 0xffff
	s_movk_i32 s63, 0x80
	buffer_load_dwordx4 v[14:17], v13, s[4:7], 0 offen
	buffer_load_dwordx4 v[18:21], v13, s[4:7], s63 offen
	;; [unrolled: 1-line block ×4, first 2 shown]
	v_and_b32_e32 v12, 6, v0
	v_lshlrev_b32_e32 v30, 2, v67
	v_lshlrev_b32_e32 v31, 3, v67
	v_xor_b32_e32 v35, v72, v12
	v_and_b32_e32 v13, 1, v0
	v_lshl_or_b32 v31, v70, 5, v31
	v_xor_b32_e32 v36, v70, v30
	v_lshlrev_b32_e32 v35, 2, v35
	s_add_i32 s3, s51, s49
	v_or_b32_e32 v78, 0x9000, v31
	v_or_b32_e32 v79, 0x9800, v31
	v_lshlrev_b32_e32 v31, 1, v36
	v_xor_b32_e32 v36, 0x440, v35
	v_cmp_eq_u32_e32 vcc, 0, v13
	s_add_i32 s4, s53, s50
	s_add_i32 s43, s3, s52
	v_cndmask_b32_e32 v13, v36, v35, vcc
	s_add_i32 s41, s4, s54
	s_lshl_b64 s[4:5], s[42:43], 2
	s_mov_b32 s64, 0x1000504
	s_mov_b32 s65, 0x3020706
	v_lshlrev_b32_e32 v32, 8, v67
	s_mov_b32 s6, 0x8000
	v_xor_b32_e32 v30, v71, v30
	v_lshl_or_b32 v12, v12, 10, v13
	s_add_u32 s3, s22, s4
	v_or_b32_e32 v33, v53, v67
	v_lshlrev_b32_e32 v30, 1, v30
	v_or3_b32 v80, v31, v32, s6
	v_xor_b32_e32 v13, 8, v12
	v_xor_b32_e32 v31, 24, v12
	;; [unrolled: 1-line block ×4, first 2 shown]
	s_addc_u32 s36, s23, s5
	s_lshl_b64 s[4:5], s[40:41], 2
	v_or3_b32 v81, v30, v32, s6
	v_xor_b32_e32 v30, 16, v12
	v_xor_b32_e32 v32, 32, v12
	;; [unrolled: 1-line block ×3, first 2 shown]
	v_add_u32_e32 v13, 0x80, v13
	v_add_u32_e32 v31, 0x80, v31
	v_add_u32_e32 v35, 0x80, v35
	v_add_u32_e32 v37, 0x80, v37
	s_add_u32 s44, s3, s4
	s_movk_i32 s3, 0xf8
	s_addc_u32 s45, s36, s5
	v_ashrrev_i32_e32 v59, 31, v58
	s_lshl_b32 s38, s31, 7
	v_lshrrev_b32_e32 v34, 2, v57
	s_mov_b32 s66, 0
	s_waitcnt vmcnt(1)
	v_perm_b32 v38, v14, v22, s64
	s_waitcnt vmcnt(0)
	v_perm_b32 v39, v18, v26, s64
	v_perm_b32 v14, v14, v22, s65
	;; [unrolled: 1-line block ×15, first 2 shown]
	ds_write2st64_b32 v12, v38, v39 offset1:32
	ds_write2st64_b32 v13, v14, v18 offset1:32
	ds_write2st64_b32 v30, v22, v26 offset0:1 offset1:33
	ds_write2st64_b32 v31, v15, v19 offset0:1 offset1:33
	;; [unrolled: 1-line block ×6, first 2 shown]
	v_lshlrev_b32_e32 v12, 3, v33
	v_lshrrev_b32_e32 v14, 5, v57
	v_and_or_b32 v14, v12, s3, v14
	v_lshlrev_b32_e32 v14, 4, v14
	v_lshlrev_b32_e32 v21, 11, v1
	v_and_b32_e32 v12, 0x78, v12
	v_or_b32_e32 v17, 32, v14
	v_and_b32_e32 v13, 0x1000, v21
	v_lshrrev_b32_e32 v16, 1, v57
	v_xor_b32_e32 v17, v17, v12
	v_and_b32_e32 v16, 8, v16
	v_or_b32_e32 v17, v17, v13
	v_xor_b32_e32 v15, v14, v12
	v_xor_b32_e32 v84, v17, v16
	v_or_b32_e32 v17, 64, v14
	v_or_b32_e32 v14, 0x60, v14
	v_xor_b32_e32 v17, v17, v12
	v_xor_b32_e32 v12, v14, v12
	v_or_b32_e32 v15, v15, v13
	v_or_b32_e32 v17, v17, v13
	;; [unrolled: 1-line block ×3, first 2 shown]
	v_xor_b32_e32 v82, v15, v16
	v_xor_b32_e32 v85, v17, v16
	;; [unrolled: 1-line block ×3, first 2 shown]
	v_lshrrev_b32_e32 v16, 4, v0
	v_lshlrev_b32_e32 v17, 1, v67
	s_ashr_i32 s3, s2, 31
	v_or_b32_e32 v18, 1, v17
	v_xor_b32_e32 v17, v16, v17
	s_lshl_b64 s[4:5], s[2:3], 8
	v_xor_b32_e32 v18, v18, v16
	v_lshlrev_b32_e32 v17, 3, v17
	v_lshlrev_b32_e32 v16, 8, v16
	v_lshlrev_b64 v[12:13], 1, v[58:59]
	s_add_u32 s4, s12, s4
	v_or3_b32 v59, v17, v16, s6
	v_lshlrev_b32_e32 v17, 3, v18
	s_addc_u32 s5, s13, s5
	v_or3_b32 v88, v17, v16, s6
	v_mov_b32_e32 v17, 0
	v_lshrrev_b32_e32 v27, 1, v0
	v_lshl_add_u64 v[18:19], s[4:5], 0, v[16:17]
	v_lshlrev_b32_e32 v16, 4, v67
	s_movk_i32 s3, 0xff
	v_lshlrev_b32_e32 v26, 3, v1
	v_and_b32_e32 v27, 24, v27
	v_lshl_add_u64 v[60:61], v[18:19], 0, v[16:17]
	v_and_b32_e32 v16, 7, v0
	v_and_b32_e32 v19, 8, v0
	v_cmp_lt_u32_e32 vcc, s3, v0
	v_xor_b32_e32 v28, v26, v27
	v_lshlrev_b32_e32 v24, 3, v16
	v_lshlrev_b32_e32 v25, 7, v16
	v_cndmask_b32_e64 v16, 0, 1, vcc
	v_or_b32_e32 v29, 0x440, v28
	v_cmp_eq_u32_e32 vcc, 0, v19
	v_or_b32_e32 v31, 64, v27
	v_xor_b32_e32 v31, v26, v31
	v_cndmask_b32_e32 v19, v29, v28, vcc
	v_or_b32_e32 v29, 32, v27
	v_or_b32_e32 v27, 0x60, v27
	v_xor_b32_e32 v29, v26, v29
	v_xor_b32_e32 v26, v26, v27
	v_or_b32_e32 v30, 0x440, v29
	v_xor_b32_e32 v32, 0x440, v31
	v_xor_b32_e32 v27, 0x440, v26
	v_cndmask_b32_e32 v29, v30, v29, vcc
	v_cndmask_b32_e32 v31, v32, v31, vcc
	;; [unrolled: 1-line block ×3, first 2 shown]
	v_and_b32_e32 v15, 0x78, v68
	v_or_b32_e32 v19, v19, v21
	v_or_b32_e32 v29, v29, v21
	;; [unrolled: 1-line block ×4, first 2 shown]
	v_and_b32_e32 v20, 12, v34
	v_lshl_or_b32 v15, v66, 7, v15
	v_lshlrev_b32_e32 v16, 13, v16
	v_xor_b32_e32 v19, v19, v24
	v_xor_b32_e32 v29, v29, v24
	;; [unrolled: 1-line block ×4, first 2 shown]
	v_or_b32_e32 v83, 0x9000, v15
	v_or_b32_e32 v87, 0x9800, v15
	v_lshl_add_u64 v[14:15], s[20:21], 0, v[12:13]
	v_lshl_add_u64 v[12:13], s[14:15], 0, v[12:13]
	v_lshlrev_b32_e32 v22, 1, v11
	v_add_lshl_u32 v11, v11, s31, 1
	v_or_b32_e32 v23, 0x100, v10
	v_or_b32_e32 v18, v20, v53
	v_add_u32_e32 v28, v16, v19
	v_add_u32_e32 v30, v16, v29
	;; [unrolled: 1-line block ×4, first 2 shown]
	v_or3_b32 v20, v53, v20, 64
	v_add_u32_e32 v19, 0x2000, v19
	v_add_u32_e32 v26, 0x2000, v29
	;; [unrolled: 1-line block ×4, first 2 shown]
	v_lshlrev_b32_e32 v16, 8, v70
	v_cndmask_b32_e64 v89, v22, v10, s[0:1]
	v_cndmask_b32_e64 v90, v11, v23, s[0:1]
	v_lshl_add_u64 v[62:63], v[14:15], 0, v[16:17]
	v_lshl_add_u64 v[64:65], v[12:13], 0, v[16:17]
	s_mov_b32 s3, 0x7060302
	s_movk_i32 s6, 0x4000
	v_lshlrev_b32_e32 v91, 2, v18
	v_add_u32_e32 v92, v28, v25
	v_add_u32_e32 v93, v30, v25
	;; [unrolled: 1-line block ×4, first 2 shown]
	v_lshlrev_b32_e32 v96, 2, v20
	v_add_u32_e32 v97, v19, v25
	v_add_u32_e32 v98, v26, v25
	;; [unrolled: 1-line block ×4, first 2 shown]
	s_waitcnt lgkmcnt(0)
	s_barrier
.LBB641_6:                              ; =>This Inner Loop Header: Depth=1
	s_add_i32 s41, s66, 1
	s_cmp_lt_i32 s41, s55
	s_mov_b64 s[36:37], 0
	s_cselect_b64 s[46:47], -1, 0
	s_cmp_ge_i32 s41, s55
	s_mov_b64 s[4:5], 0
	s_cbranch_scc1 .LBB641_8
; %bb.7:                                ;   in Loop: Header=BB641_6 Depth=1
	s_add_i32 s0, s61, 64
	s_ashr_i32 s1, s0, 31
	s_add_u32 s0, s60, s0
	s_addc_u32 s1, s59, s1
	s_lshl_b64 s[0:1], s[0:1], 8
	s_add_u32 s4, s18, s0
	s_addc_u32 s5, s19, s1
.LBB641_8:                              ;   in Loop: Header=BB641_6 Depth=1
	v_cndmask_b32_e64 v10, 0, 1, s[46:47]
	v_cmp_ne_u32_e64 s[0:1], 1, v10
	s_andn2_b64 vcc, exec, s[46:47]
	s_cbranch_vccnz .LBB641_10
; %bb.9:                                ;   in Loop: Header=BB641_6 Depth=1
	s_add_i32 s36, s61, 64
	s_mul_hi_i32 s37, s36, s30
	s_mul_i32 s36, s36, s30
	s_add_u32 s36, s36, s57
	s_addc_u32 s37, s37, s62
	s_lshl_b64 s[36:37], s[36:37], 8
	s_add_u32 s36, s16, s36
	s_addc_u32 s37, s17, s37
.LBB641_10:                             ;   in Loop: Header=BB641_6 Depth=1
	v_perm_b32 v11, v9, v8, s3
	v_perm_b32 v10, v7, v6, s3
	;; [unrolled: 1-line block ×4, first 2 shown]
	ds_write_b64 v78, v[10:11]
	ds_write_b64 v79, v[12:13]
	;; [unrolled: 1-line block ×4, first 2 shown]
	s_waitcnt lgkmcnt(0)
	s_barrier
	ds_read_b64 v[18:19], v82 offset:16384
	ds_read_b64 v[20:21], v84 offset:16384
	ds_read2st64_b64 v[10:13], v83 offset1:1
	s_waitcnt lgkmcnt(0)
	v_mfma_f32_16x16x16_bf16 a[0:3], v[18:19], v[10:11], 0
	ds_read2st64_b64 v[14:17], v83 offset0:2 offset1:3
	ds_read_b64 v[22:23], v85 offset:16384
	ds_read_b64 v[10:11], v86 offset:16384
	s_add_i32 s43, s61, 63
	v_mfma_f32_16x16x16_bf16 a[0:3], v[20:21], v[12:13], a[0:3]
	s_ashr_i32 s39, s43, 31
	s_mul_i32 s46, s43, s11
	s_mul_hi_u32 s47, s43, s10
	s_waitcnt lgkmcnt(1)
	v_mfma_f32_16x16x16_bf16 a[0:3], v[22:23], v[14:15], a[0:3]
	s_add_i32 s46, s47, s46
	s_mul_i32 s39, s39, s10
	s_add_i32 s47, s46, s39
	s_mul_i32 s46, s43, s10
	s_waitcnt lgkmcnt(0)
	v_mfma_f32_16x16x16_bf16 a[0:3], v[10:11], v[16:17], a[0:3]
	s_lshl_b64 s[46:47], s[46:47], 2
	s_add_u32 s46, s44, s46
	s_addc_u32 s47, s45, s47
	s_and_b64 vcc, exec, s[0:1]
	v_mov_b32_e32 v103, 0
	v_mov_b32_e32 v102, 0
	;; [unrolled: 1-line block ×19, first 2 shown]
	s_cbranch_vccnz .LBB641_12
; %bb.11:                               ;   in Loop: Header=BB641_6 Depth=1
	s_and_b32 s5, s5, 0xffff
	buffer_load_dwordx4 v[22:25], v74, s[4:7], 0 offen
	buffer_load_dwordx4 v[18:21], v74, s[4:7], s63 offen
	;; [unrolled: 1-line block ×4, first 2 shown]
	v_mov_b32_e32 v102, v76
	v_mov_b32_e32 v101, v77
.LBB641_12:                             ;   in Loop: Header=BB641_6 Depth=1
	v_add_u32_e32 v30, s61, v70
	v_ashrrev_i32_e32 v26, 31, v30
	v_mul_lo_u32 v28, v26, s10
	v_mul_lo_u32 v29, v30, s11
	v_mad_u64_u32 v[26:27], s[4:5], v30, s10, 0
	v_add3_u32 v27, v27, v29, v28
	v_lshl_add_u64 v[26:27], v[26:27], 2, s[44:45]
	global_load_dword v44, v[26:27], off
	v_add_u32_e32 v26, 1, v30
	v_ashrrev_i32_e32 v27, 31, v26
	v_mul_lo_u32 v28, v27, s10
	v_mul_lo_u32 v29, v26, s11
	v_mad_u64_u32 v[26:27], s[4:5], v26, s10, 0
	v_add3_u32 v27, v27, v29, v28
	v_add_u32_e32 v28, 2, v30
	v_ashrrev_i32_e32 v29, 31, v28
	v_mul_lo_u32 v31, v29, s10
	v_mul_lo_u32 v32, v28, s11
	v_mad_u64_u32 v[28:29], s[4:5], v28, s10, 0
	v_add_u32_e32 v30, 3, v30
	v_add3_u32 v29, v29, v32, v31
	v_ashrrev_i32_e32 v31, 31, v30
	v_mul_lo_u32 v34, v31, s10
	v_mul_lo_u32 v35, v30, s11
	v_mad_u64_u32 v[30:31], s[4:5], v30, s10, 0
	s_ashr_i32 s5, s61, 31
	s_add_u32 s4, s60, s61
	s_addc_u32 s5, s59, s5
	s_lshl_b64 s[68:69], s[4:5], 8
	v_lshl_add_u64 v[26:27], v[26:27], 2, s[44:45]
	v_lshl_add_u64 v[32:33], v[62:63], 0, s[68:69]
	v_add3_u32 v31, v31, v35, v34
	v_lshl_add_u64 v[28:29], v[28:29], 2, s[44:45]
	global_load_ushort v45, v[32:33], off
	global_load_ushort v46, v[32:33], off offset:256
	global_load_ushort v47, v[32:33], off offset:512
	;; [unrolled: 1-line block ×3, first 2 shown]
	v_lshl_add_u64 v[30:31], v[30:31], 2, s[44:45]
	global_load_dword v49, v[26:27], off
	global_load_dword v50, v[28:29], off
	;; [unrolled: 1-line block ×3, first 2 shown]
	s_load_dword s4, s[46:47], 0x0
	ds_read_b64 v[28:29], v82 offset:24576
	ds_read2st64_b64 v[30:33], v87 offset1:1
	ds_read2st64_b64 v[34:37], v87 offset0:2 offset1:3
	ds_read_b64 v[38:39], v84 offset:24576
	ds_read_b64 v[40:41], v85 offset:24576
	;; [unrolled: 1-line block ×3, first 2 shown]
	s_waitcnt lgkmcnt(0)
	v_mfma_f32_16x16x16_bf16 a[0:3], v[28:29], v[30:31], a[0:3]
	v_mov_b32_e32 v104, 0
	v_mov_b32_e32 v26, 0
	;; [unrolled: 1-line block ×3, first 2 shown]
	v_mfma_f32_16x16x16_bf16 a[0:3], v[38:39], v[32:33], a[0:3]
	v_lshl_add_u64 v[38:39], v[64:65], 0, s[68:69]
	v_mov_b32_e32 v28, 0
	v_mov_b32_e32 v29, 0
	v_mfma_f32_16x16x16_bf16 a[0:3], v[40:41], v[34:35], a[0:3]
	v_mov_b32_e32 v30, 0
	v_mov_b32_e32 v31, 0
	;; [unrolled: 1-line block ×3, first 2 shown]
	v_mfma_f32_16x16x16_bf16 a[0:3], v[42:43], v[36:37], a[0:3]
	v_mov_b32_e32 v33, 0
	v_mov_b32_e32 v34, 0
	s_and_b64 vcc, exec, s[0:1]
	s_waitcnt vmcnt(7)
	v_sub_f32_e32 v35, s4, v44
	s_nop 1
	v_accvgpr_read_b32 v41, a1
	v_accvgpr_read_b32 v40, a0
	;; [unrolled: 1-line block ×4, first 2 shown]
	s_waitcnt vmcnt(6)
	v_lshlrev_b32_e32 v42, 16, v45
	s_waitcnt vmcnt(5)
	v_lshlrev_b32_e32 v43, 16, v46
	v_exp_f32_e32 v46, v35
	s_waitcnt vmcnt(3)
	v_lshlrev_b32_e32 v45, 16, v48
	s_waitcnt vmcnt(2)
	v_sub_f32_e32 v35, s4, v49
	s_waitcnt vmcnt(1)
	v_sub_f32_e32 v48, s4, v50
	;; [unrolled: 2-line block ×3, first 2 shown]
	v_lshlrev_b32_e32 v44, 16, v47
	v_pk_add_f32 v[40:41], v[42:43], v[40:41] neg_lo:[0,1] neg_hi:[0,1]
	v_exp_f32_e32 v47, v35
	v_exp_f32_e32 v42, v48
	;; [unrolled: 1-line block ×3, first 2 shown]
	v_pk_add_f32 v[36:37], v[44:45], v[36:37] neg_lo:[0,1] neg_hi:[0,1]
	global_store_short_d16_hi v[38:39], v40, off
	global_store_short_d16_hi v[38:39], v41, off offset:256
	global_store_short_d16_hi v[38:39], v36, off offset:512
	;; [unrolled: 1-line block ×3, first 2 shown]
	v_pk_mul_f32 v[38:39], v[46:47], v[40:41]
	v_pk_mul_f32 v[36:37], v[42:43], v[36:37]
	v_perm_b32 v38, v39, v38, s3
	v_perm_b32 v39, v37, v36, s3
	ds_write_b64 v79, v[38:39]
	v_mov_b32_e32 v35, 0
	v_mov_b32_e32 v36, 0
	;; [unrolled: 1-line block ×7, first 2 shown]
	s_cbranch_vccnz .LBB641_14
; %bb.13:                               ;   in Loop: Header=BB641_6 Depth=1
	s_and_b32 s37, s37, 0xffff
	s_mov_b32 s39, s7
	buffer_load_dwordx4 v[38:41], v89, s[36:39], 0 offen
	buffer_load_dwordx4 v[30:33], v89, s[36:39], s63 offen
	;; [unrolled: 1-line block ×4, first 2 shown]
	v_mov_b32_e32 v103, v73
	v_mov_b32_e32 v104, v72
.LBB641_14:                             ;   in Loop: Header=BB641_6 Depth=1
	s_waitcnt lgkmcnt(0)
	s_barrier
	ds_read_b64 v[42:43], v92
	ds_read_b64 v[48:49], v93
	ds_read2st64_b64 v[44:47], v87 offset1:1
	ds_read2st64_b64 v[106:109], v87 offset0:2 offset1:3
	ds_read_b64 v[50:51], v94
	ds_read_b64 v[114:115], v95
	s_add_i32 s5, s58, s66
	s_mul_hi_i32 s37, s5, s29
	s_mul_i32 s5, s5, s29
	s_waitcnt lgkmcnt(3)
	v_mfma_f32_16x16x16_bf16 a[0:3], v[42:43], v[44:45], 0
	ds_read_b64 v[42:43], v97
	s_add_u32 s36, s5, s33
	s_addc_u32 s37, s37, s48
	v_mfma_f32_16x16x16_bf16 a[0:3], v[48:49], v[46:47], a[0:3]
	ds_read_b64 v[48:49], v98
	s_lshl_b64 s[36:37], s[36:37], 15
	s_mul_i32 s39, s43, s29
	s_mul_hi_i32 s5, s43, s29
	s_add_u32 s46, s39, s33
	s_addc_u32 s47, s5, s48
	s_lshl_b64 s[46:47], s[46:47], 9
	s_add_u32 s46, s8, s46
	s_waitcnt lgkmcnt(1)
	v_mfma_f32_16x16x16_bf16 a[4:7], v[42:43], v[44:45], 0
	s_addc_u32 s47, s9, s47
	s_and_b64 vcc, exec, s[0:1]
	v_mfma_f32_16x16x16_bf16 a[0:3], v[50:51], v[106:107], a[0:3]
	ds_read_b64 v[50:51], v99
	ds_read_b64 v[116:117], v100
	global_load_dwordx4 v[42:45], v96, s[46:47]
	s_waitcnt lgkmcnt(2)
	v_mfma_f32_16x16x16_bf16 a[4:7], v[48:49], v[46:47], a[4:7]
	global_load_dwordx4 v[46:49], v91, s[46:47]
	ds_read_b64 v[110:111], v59
	ds_read_b64 v[112:113], v88
	s_waitcnt lgkmcnt(3)
	v_mfma_f32_16x16x16_bf16 a[8:11], v[50:51], v[106:107], a[4:7]
	v_lshl_add_u64 v[50:51], v[60:61], 0, s[36:37]
	s_waitcnt lgkmcnt(0)
	global_store_dwordx4 v[50:51], v[110:113], off
	v_mfma_f32_16x16x16_bf16 a[4:7], v[114:115], v[108:109], a[0:3]
	s_waitcnt vmcnt(2)
	v_mov_b32_e32 v52, v45
	v_mfma_f32_16x16x16_bf16 a[0:3], v[116:117], v[108:109], a[8:11]
	v_mov_b32_e32 v51, v44
	v_mov_b32_e32 v50, v43
	s_cbranch_vccnz .LBB641_16
; %bb.15:                               ;   in Loop: Header=BB641_6 Depth=1
	v_lshrrev_b32_e32 v43, 3, v103
	v_and_b32_e32 v43, 6, v43
	v_xor_b32_e32 v44, v43, v104
	v_lshlrev_b32_e32 v44, 2, v44
	v_and_b32_e32 v45, 8, v103
	v_xor_b32_e32 v103, 0x440, v44
	v_cmp_eq_u32_e32 vcc, 0, v45
	v_perm_b32 v45, v30, v26, s64
	s_nop 0
	v_cndmask_b32_e32 v44, v103, v44, vcc
	v_lshl_or_b32 v43, v43, 10, v44
	v_perm_b32 v44, v38, v34, s64
	s_barrier
	ds_write2st64_b32 v43, v44, v45 offset1:32
	v_xor_b32_e32 v44, 8, v43
	v_perm_b32 v34, v38, v34, s65
	v_perm_b32 v26, v30, v26, s65
	v_add_u32_e32 v30, 0x80, v44
	ds_write2st64_b32 v30, v34, v26 offset1:32
	v_xor_b32_e32 v26, 16, v43
	v_perm_b32 v30, v39, v35, s64
	v_perm_b32 v34, v31, v27, s64
	ds_write2st64_b32 v26, v30, v34 offset0:1 offset1:33
	v_xor_b32_e32 v26, 24, v43
	v_perm_b32 v30, v39, v35, s65
	v_perm_b32 v27, v31, v27, s65
	v_add_u32_e32 v26, 0x80, v26
	ds_write2st64_b32 v26, v30, v27 offset0:1 offset1:33
	v_xor_b32_e32 v26, 32, v43
	v_perm_b32 v27, v40, v36, s64
	v_perm_b32 v30, v32, v28, s64
	ds_write2st64_b32 v26, v27, v30 offset0:2 offset1:34
	v_xor_b32_e32 v26, 40, v43
	v_perm_b32 v27, v40, v36, s65
	v_perm_b32 v28, v32, v28, s65
	v_add_u32_e32 v26, 0x80, v26
	ds_write2st64_b32 v26, v27, v28 offset0:2 offset1:34
	;; [unrolled: 9-line block ×3, first 2 shown]
	ds_write_b64 v102, v[22:23] offset:16384
	v_xor_b32_e32 v22, 8, v102
	ds_write_b64 v22, v[24:25] offset:16384
	ds_write_b64 v102, v[18:19] offset:24576
	;; [unrolled: 1-line block ×4, first 2 shown]
	v_xor_b32_e32 v14, 8, v101
	ds_write_b64 v14, v[16:17] offset:16384
	ds_write_b64 v101, v[10:11] offset:24576
	;; [unrolled: 1-line block ×3, first 2 shown]
.LBB641_16:                             ;   in Loop: Header=BB641_6 Depth=1
	v_exp_f32_e32 v18, s4
	s_waitcnt vmcnt(1)
	v_exp_f32_e32 v20, v46
	v_exp_f32_e32 v21, v47
	;; [unrolled: 1-line block ×4, first 2 shown]
	v_accvgpr_read_b32 v13, a7
	v_accvgpr_read_b32 v11, a5
	v_accvgpr_read_b32 v10, a4
	v_pk_mul_f32 v[20:21], v[18:19], v[20:21] op_sel_hi:[0,1]
	v_pk_fma_f32 v[6:7], v[6:7], v[20:21], v[10:11]
	v_exp_f32_e32 v20, v42
	v_exp_f32_e32 v21, v50
	v_pk_mul_f32 v[10:11], v[18:19], v[22:23] op_sel_hi:[0,1]
	v_exp_f32_e32 v22, v51
	v_exp_f32_e32 v23, v52
	v_accvgpr_read_b32 v12, a6
	v_accvgpr_read_b32 v17, a3
	;; [unrolled: 1-line block ×4, first 2 shown]
	v_pk_fma_f32 v[8:9], v[8:9], v[10:11], v[12:13]
	v_pk_mul_f32 v[10:11], v[18:19], v[20:21] op_sel_hi:[0,1]
	v_accvgpr_read_b32 v16, a2
	v_pk_fma_f32 v[2:3], v[2:3], v[10:11], v[14:15]
	v_pk_mul_f32 v[10:11], v[18:19], v[22:23] op_sel_hi:[0,1]
	s_add_i32 s61, s61, 64
	s_cmp_eq_u32 s55, s41
	v_pk_fma_f32 v[4:5], v[4:5], v[10:11], v[16:17]
	s_cbranch_scc1 .LBB641_18
; %bb.17:                               ;   in Loop: Header=BB641_6 Depth=1
	s_mov_b32 s66, s41
	s_branch .LBB641_6
.LBB641_18:
	s_lshl_b32 s0, s55, 6
	s_sub_i32 s46, s56, s0
	s_cmp_gt_i32 s46, 0
	s_cbranch_scc0 .LBB641_75
; %bb.19:
	s_add_i32 s34, s0, s34
	s_ashr_i32 s3, s34, 31
	s_cmpk_lg_i32 s31, 0x80
	s_cselect_b64 s[38:39], -1, 0
	s_and_b64 vcc, exec, s[38:39]
	s_cbranch_vccz .LBB641_21
; %bb.20:
	s_mul_i32 s1, s34, s30
	s_ashr_i32 s4, s57, 31
	s_mul_hi_i32 s0, s34, s30
	s_add_u32 s44, s1, s57
	s_addc_u32 s45, s0, s4
	s_cbranch_execz .LBB641_22
	s_branch .LBB641_23
.LBB641_21:
                                        ; implicit-def: $sgpr44_sgpr45
.LBB641_22:
	s_mul_i32 s1, s57, s28
	s_mul_hi_i32 s0, s57, s28
	s_add_u32 s44, s1, s34
	s_addc_u32 s45, s0, s3
.LBB641_23:
	s_waitcnt lgkmcnt(0)
	s_add_i32 s4, s55, s58
	s_add_u32 s0, s60, s34
	s_addc_u32 s1, s59, s3
	s_mov_b32 s3, 0x7060302
	v_lshlrev_b32_e32 v14, 3, v67
	s_lshl_b64 s[36:37], s[0:1], 8
	s_waitcnt vmcnt(1)
	v_perm_b32 v11, v9, v8, s3
	v_perm_b32 v10, v7, v6, s3
	s_waitcnt vmcnt(0)
	v_perm_b32 v13, v5, v4, s3
	v_perm_b32 v12, v3, v2, s3
	v_lshlrev_b32_e32 v42, 2, v67
	v_lshl_or_b32 v14, v70, 5, v14
	s_add_u32 s0, s18, s36
	ds_write2st64_b64 v14, v[10:11], v[12:13] offset0:72 offset1:76
	v_xor_b32_e32 v14, v70, v42
	v_lshlrev_b32_e32 v15, 8, v67
	s_addc_u32 s1, s19, s37
	v_lshl_or_b32 v14, v14, 1, v15
	s_mul_hi_i32 s3, s4, s29
	s_mul_i32 s4, s4, s29
	ds_write_b64 v14, v[10:11] offset:32768
	v_xor_b32_e32 v10, v71, v42
	s_add_u32 s4, s4, s33
	v_lshl_or_b32 v10, v10, 1, v15
	s_addc_u32 s5, s3, s48
	v_lshlrev_b32_e32 v11, 1, v67
	ds_write_b64 v10, v[12:13] offset:32768
	v_lshrrev_b32_e32 v10, 4, v0
	s_ashr_i32 s3, s2, 31
	s_lshl_b64 s[4:5], s[4:5], 15
	v_or_b32_e32 v12, 1, v11
	s_add_u32 s4, s12, s4
	v_xor_b32_e32 v11, v10, v11
	v_xor_b32_e32 v12, v12, v10
	v_lshlrev_b32_e32 v14, 8, v10
	s_addc_u32 s5, s13, s5
	s_lshl_b64 s[2:3], s[2:3], 8
	v_lshl_or_b32 v10, v11, 3, v14
	v_lshl_or_b32 v12, v12, 3, v14
	s_waitcnt lgkmcnt(0)
	s_barrier
	s_add_u32 s2, s4, s2
	ds_read_b64 v[10:11], v10 offset:32768
	ds_read_b64 v[12:13], v12 offset:32768
	s_addc_u32 s3, s5, s3
	v_mov_b32_e32 v15, 0
	s_cmp_lg_u32 s46, 64
	v_lshl_add_u64 v[16:17], s[2:3], 0, v[14:15]
	v_lshlrev_b32_e32 v14, 4, v67
	s_cselect_b64 s[18:19], -1, 0
	v_lshl_or_b32 v44, v1, 3, v69
	s_mov_b32 s4, 0
	v_lshl_add_u64 v[14:15], v[16:17], 0, v[14:15]
	v_or_b32_e32 v27, 32, v44
	v_and_b32_e32 v26, 56, v68
	s_and_b64 vcc, exec, s[18:19]
	s_waitcnt lgkmcnt(0)
	global_store_dwordx4 v[14:15], v[10:13], off
	s_cbranch_vccz .LBB641_29
; %bb.24:
	s_mov_b32 s6, s4
	s_mov_b32 s7, s4
	s_mov_b32 s5, s4
	v_mov_b64_e32 v[16:17], s[6:7]
	v_mov_b64_e32 v[14:15], s[4:5]
	;; [unrolled: 1-line block ×3, first 2 shown]
	v_cmp_gt_i32_e32 vcc, s46, v44
	v_mov_b64_e32 v[12:13], v[16:17]
	s_and_saveexec_b64 s[2:3], vcc
	s_cbranch_execz .LBB641_26
; %bb.25:
	v_lshlrev_b32_e32 v10, 8, v44
	v_mov_b32_e32 v11, 0
	v_lshl_add_u64 v[12:13], s[0:1], 0, v[10:11]
	v_lshlrev_b32_e32 v10, 1, v26
	v_lshl_add_u64 v[18:19], v[12:13], 0, v[10:11]
	global_load_dwordx4 v[14:17], v[18:19], off
	global_load_dwordx4 v[10:13], v[18:19], off offset:128
.LBB641_26:
	s_or_b64 exec, exec, s[2:3]
	s_mov_b32 s6, s4
	s_mov_b32 s7, s4
	;; [unrolled: 1-line block ×3, first 2 shown]
	v_mov_b64_e32 v[24:25], s[6:7]
	v_mov_b64_e32 v[22:23], s[4:5]
	;; [unrolled: 1-line block ×3, first 2 shown]
	v_cmp_gt_i32_e32 vcc, s46, v27
	v_lshlrev_b32_e32 v28, 7, v27
	v_mov_b64_e32 v[20:21], v[24:25]
	s_and_saveexec_b64 s[2:3], vcc
	s_cbranch_execz .LBB641_28
; %bb.27:
	v_lshlrev_b32_e32 v18, 1, v28
	v_mov_b32_e32 v19, 0
	v_lshl_add_u64 v[20:21], s[0:1], 0, v[18:19]
	v_lshlrev_b32_e32 v18, 1, v26
	v_lshl_add_u64 v[30:31], v[20:21], 0, v[18:19]
	global_load_dwordx4 v[22:25], v[30:31], off
	global_load_dwordx4 v[18:21], v[30:31], off offset:128
.LBB641_28:
	s_or_b64 exec, exec, s[2:3]
	v_lshrrev_b32_e32 v29, 3, v26
	v_lshlrev_b32_e32 v30, 3, v44
	v_or_b32_e32 v29, v30, v29
	v_lshlrev_b32_e32 v29, 4, v29
	v_and_b32_e32 v30, 0x78, v30
	v_xor_b32_e32 v29, v29, v30
	s_branch .LBB641_31
.LBB641_29:
                                        ; implicit-def: $vgpr29
                                        ; implicit-def: $vgpr28
                                        ; implicit-def: $vgpr14_vgpr15_vgpr16_vgpr17
                                        ; implicit-def: $vgpr10_vgpr11_vgpr12_vgpr13
                                        ; implicit-def: $vgpr22_vgpr23_vgpr24_vgpr25
                                        ; implicit-def: $vgpr18_vgpr19_vgpr20_vgpr21
	s_cbranch_execz .LBB641_31
; %bb.30:
	s_waitcnt vmcnt(0)
	v_lshlrev_b32_e32 v10, 1, v26
	v_lshl_or_b32 v28, v44, 8, v10
	s_and_b32 s1, s1, 0xffff
	s_mov_b32 s3, 0x20000
	s_movk_i32 s2, 0x4000
	v_lshl_or_b32 v29, v27, 8, v10
	s_movk_i32 s4, 0x80
	buffer_load_dwordx4 v[14:17], v28, s[0:3], 0 offen
	buffer_load_dwordx4 v[10:13], v28, s[0:3], s4 offen
	;; [unrolled: 1-line block ×4, first 2 shown]
	v_lshrrev_b32_e32 v28, 3, v26
	v_lshlrev_b32_e32 v29, 3, v44
	v_or_b32_e32 v28, v29, v28
	v_lshlrev_b32_e32 v28, 4, v28
	v_and_b32_e32 v29, 0x78, v29
	v_xor_b32_e32 v29, v28, v29
	v_lshlrev_b32_e32 v28, 7, v27
.LBB641_31:
	s_lshl_b64 s[0:1], s[44:45], 8
	s_add_u32 s4, s16, s0
	s_movk_i32 s0, 0x1000
	v_and_or_b32 v27, v28, s0, v29
	s_waitcnt vmcnt(1)
	ds_write_b64 v29, v[14:15] offset:16384
	v_xor_b32_e32 v14, 8, v29
	ds_write_b64 v14, v[16:17] offset:16384
	s_waitcnt vmcnt(0)
	ds_write_b64 v29, v[10:11] offset:24576
	ds_write_b64 v14, v[12:13] offset:24576
	;; [unrolled: 1-line block ×3, first 2 shown]
	v_xor_b32_e32 v10, 8, v27
	ds_write_b64 v10, v[24:25] offset:16384
	ds_write_b64 v27, v[18:19] offset:24576
	;; [unrolled: 1-line block ×3, first 2 shown]
	v_or_b32_e32 v10, v53, v67
	v_lshlrev_b32_e32 v10, 3, v10
	v_lshrrev_b32_e32 v12, 5, v57
	s_movk_i32 s6, 0xf8
	v_and_or_b32 v12, v10, s6, v12
	v_lshlrev_b32_e32 v43, 11, v1
	v_lshlrev_b32_e32 v20, 4, v12
	v_and_b32_e32 v21, 0x78, v10
	v_and_b32_e32 v22, 0x1000, v43
	v_lshlrev_b32_e32 v11, 2, v0
	v_xor_b32_e32 v10, v20, v21
	v_lshrrev_b32_e32 v12, 1, v57
	v_and_b32_e32 v11, 60, v11
	v_or_b32_e32 v10, v10, v22
	v_and_b32_e32 v23, 8, v12
	v_xor_b32_e32 v34, v10, v23
	v_lshl_or_b32 v10, v66, 6, v11
	v_lshlrev_b32_e32 v45, 1, v10
	v_or_b32_e32 v10, 32, v20
	v_xor_b32_e32 v10, v10, v21
	s_waitcnt lgkmcnt(0)
	s_barrier
	ds_read_b64 v[18:19], v34 offset:16384
	v_or_b32_e32 v10, v10, v22
	v_xor_b32_e32 v35, v10, v23
	v_or_b32_e32 v10, 64, v20
	v_xor_b32_e32 v10, v10, v21
	v_or_b32_e32 v10, v10, v22
	v_or_b32_e32 v20, 0x60, v20
	v_xor_b32_e32 v36, v10, v23
	ds_read2st64_b64 v[10:13], v45 offset0:72 offset1:73
	ds_read2st64_b64 v[14:17], v45 offset0:74 offset1:75
	v_xor_b32_e32 v24, v20, v21
	ds_read_b64 v[20:21], v35 offset:16384
	s_addc_u32 s5, s17, s1
	s_add_i32 s0, s51, s49
	s_waitcnt lgkmcnt(2)
	v_mfma_f32_16x16x16_bf16 a[0:3], v[18:19], v[10:11], 0
	s_add_i32 s17, s35, -1
	s_add_i32 s43, s0, s52
	s_add_i32 s0, s53, s50
	;; [unrolled: 1-line block ×3, first 2 shown]
	s_ashr_i32 s0, s17, 31
	s_mul_i32 s1, s17, s11
	s_mul_hi_u32 s2, s17, s10
	s_add_i32 s1, s2, s1
	s_mul_i32 s0, s0, s10
	v_or_b32_e32 v22, v24, v22
	s_add_i32 s1, s1, s0
	s_lshl_b64 s[2:3], s[42:43], 2
	v_xor_b32_e32 v46, v22, v23
	ds_read_b64 v[22:23], v36 offset:16384
	ds_read_b64 v[24:25], v46 offset:16384
	s_waitcnt lgkmcnt(2)
	v_mfma_f32_16x16x16_bf16 a[0:3], v[20:21], v[12:13], a[0:3]
	s_add_u32 s6, s22, s2
	s_addc_u32 s7, s23, s3
	s_lshl_b64 s[2:3], s[40:41], 2
	s_mul_i32 s0, s17, s10
	s_add_u32 s12, s6, s2
	s_addc_u32 s13, s7, s3
	s_lshl_b64 s[0:1], s[0:1], 2
	s_waitcnt lgkmcnt(1)
	v_mfma_f32_16x16x16_bf16 a[0:3], v[22:23], v[14:15], a[0:3]
	s_add_u32 s0, s12, s0
	s_addc_u32 s1, s13, s1
	s_load_dword s16, s[0:1], 0x0
	s_waitcnt lgkmcnt(0)
	v_mfma_f32_16x16x16_bf16 a[0:3], v[24:25], v[16:17], a[0:3]
	s_and_b64 vcc, exec, s[38:39]
	s_cbranch_vccz .LBB641_42
; %bb.32:
	v_lshlrev_b32_e32 v27, 1, v44
	s_and_b64 vcc, exec, s[18:19]
	s_cbranch_vccz .LBB641_43
; %bb.33:
	v_cmp_gt_i32_e32 vcc, s46, v27
	v_mov_b32_e32 v14, 0
	v_mov_b32_e32 v10, 0
	;; [unrolled: 1-line block ×5, first 2 shown]
	s_and_saveexec_b64 s[0:1], vcc
	s_cbranch_execz .LBB641_35
; %bb.34:
	v_mad_i64_i32 v[10:11], s[2:3], s31, v27, 0
	v_lshl_add_u64 v[10:11], v[10:11], 1, s[4:5]
	v_lshlrev_b32_e32 v12, 1, v26
	v_mov_b32_e32 v13, 0
	v_lshl_add_u64 v[10:11], v[10:11], 0, v[12:13]
	global_load_dwordx4 v[10:13], v[10:11], off
.LBB641_35:
	s_or_b64 exec, exec, s[0:1]
	v_or_b32_e32 v28, 1, v27
	v_cmp_gt_i32_e64 s[0:1], s46, v28
	v_mov_b32_e32 v15, 0
	v_mov_b32_e32 v16, 0
	;; [unrolled: 1-line block ×3, first 2 shown]
	s_and_saveexec_b64 s[2:3], s[0:1]
	s_cbranch_execz .LBB641_37
; %bb.36:
	v_mad_i64_i32 v[14:15], s[6:7], s31, v28, 0
	v_lshl_add_u64 v[14:15], v[14:15], 1, s[4:5]
	v_lshlrev_b32_e32 v16, 1, v26
	v_mov_b32_e32 v17, 0
	v_lshl_add_u64 v[14:15], v[14:15], 0, v[16:17]
	global_load_dwordx4 v[14:17], v[14:15], off
.LBB641_37:
	s_or_b64 exec, exec, s[2:3]
	v_mov_b32_e32 v25, 0
	v_mov_b32_e32 v18, 0
	;; [unrolled: 1-line block ×5, first 2 shown]
	s_and_saveexec_b64 s[2:3], vcc
	s_cbranch_execz .LBB641_39
; %bb.38:
	v_mad_i64_i32 v[18:19], s[6:7], s31, v27, 0
	v_lshl_add_u64 v[18:19], v[18:19], 1, s[4:5]
	v_lshlrev_b32_e32 v20, 1, v26
	v_mov_b32_e32 v21, 0
	v_lshl_add_u64 v[18:19], v[18:19], 0, v[20:21]
	global_load_dwordx4 v[18:21], v[18:19], off offset:128
.LBB641_39:
	s_or_b64 exec, exec, s[2:3]
	v_mov_b32_e32 v24, 0
	v_mov_b32_e32 v23, 0
	v_mov_b32_e32 v22, 0
	s_and_saveexec_b64 s[2:3], s[0:1]
	s_cbranch_execz .LBB641_41
; %bb.40:
	v_mad_i64_i32 v[22:23], s[0:1], s31, v28, 0
	v_lshl_add_u64 v[22:23], v[22:23], 1, s[4:5]
	v_lshlrev_b32_e32 v24, 1, v26
	v_mov_b32_e32 v25, 0
	v_lshl_add_u64 v[22:23], v[22:23], 0, v[24:25]
	global_load_dwordx4 v[22:25], v[22:23], off offset:128
.LBB641_41:
	s_or_b64 exec, exec, s[2:3]
	s_branch .LBB641_45
.LBB641_42:
                                        ; implicit-def: $vgpr13
                                        ; implicit-def: $vgpr17
                                        ; implicit-def: $vgpr21
                                        ; implicit-def: $vgpr25
	v_lshrrev_b32_e32 v27, 2, v57
	s_branch .LBB641_46
.LBB641_43:
                                        ; implicit-def: $vgpr13
                                        ; implicit-def: $vgpr17
                                        ; implicit-def: $vgpr21
                                        ; implicit-def: $vgpr25
	s_cbranch_execz .LBB641_45
; %bb.44:
	s_waitcnt vmcnt(0)
	v_mad_u64_u32 v[10:11], s[0:1], v27, s31, v[26:27]
	v_lshlrev_b32_e32 v27, 1, v10
	s_lshl_b32 s2, s31, 7
	s_and_b32 s1, s5, 0xffff
	s_mov_b32 s3, 0x20000
	s_mov_b32 s0, s4
	v_add_lshl_u32 v28, v10, s31, 1
	s_movk_i32 s6, 0x80
	buffer_load_dwordx4 v[10:13], v27, s[0:3], 0 offen
	buffer_load_dwordx4 v[18:21], v27, s[0:3], s6 offen
	;; [unrolled: 1-line block ×4, first 2 shown]
.LBB641_45:
	v_lshrrev_b32_e32 v27, 2, v57
	s_cbranch_execnz .LBB641_58
.LBB641_46:
	s_and_b64 vcc, exec, s[18:19]
	s_cbranch_vccz .LBB641_56
; %bb.47:
	s_waitcnt vmcnt(0)
	v_lshlrev_b32_e32 v15, 1, v44
	v_cmp_gt_i32_e32 vcc, s46, v15
	v_mov_b32_e32 v14, 0
	v_lshlrev_b32_e32 v22, 9, v44
	v_mov_b32_e32 v10, 0
	v_mov_b32_e32 v11, 0
	;; [unrolled: 1-line block ×4, first 2 shown]
	s_and_saveexec_b64 s[0:1], vcc
	s_cbranch_execz .LBB641_49
; %bb.48:
	v_mov_b32_e32 v23, 0
	v_lshl_add_u64 v[10:11], s[4:5], 0, v[22:23]
	v_lshlrev_b32_e32 v12, 1, v26
	v_mov_b32_e32 v13, v23
	v_lshl_add_u64 v[10:11], v[10:11], 0, v[12:13]
	global_load_dwordx4 v[10:13], v[10:11], off
.LBB641_49:
	s_or_b64 exec, exec, s[0:1]
	v_or_b32_e32 v15, 1, v15
	v_cmp_gt_i32_e64 s[0:1], s46, v15
	v_lshlrev_b32_e32 v28, 8, v15
	v_mov_b32_e32 v15, 0
	v_mov_b32_e32 v16, 0
	;; [unrolled: 1-line block ×3, first 2 shown]
	s_and_saveexec_b64 s[2:3], s[0:1]
	s_cbranch_execz .LBB641_51
; %bb.50:
	v_mov_b32_e32 v29, 0
	v_lshl_add_u64 v[14:15], s[4:5], 0, v[28:29]
	v_lshlrev_b32_e32 v16, 1, v26
	v_mov_b32_e32 v17, v29
	v_lshl_add_u64 v[14:15], v[14:15], 0, v[16:17]
	global_load_dwordx4 v[14:17], v[14:15], off
.LBB641_51:
	s_or_b64 exec, exec, s[2:3]
	v_mov_b32_e32 v25, 0
	v_mov_b32_e32 v18, 0
	;; [unrolled: 1-line block ×5, first 2 shown]
	s_and_saveexec_b64 s[2:3], vcc
	s_cbranch_execz .LBB641_53
; %bb.52:
	v_mov_b32_e32 v23, 0
	v_lshl_add_u64 v[18:19], s[4:5], 0, v[22:23]
	v_lshlrev_b32_e32 v22, 1, v26
	v_lshl_add_u64 v[18:19], v[18:19], 0, v[22:23]
	global_load_dwordx4 v[18:21], v[18:19], off offset:128
.LBB641_53:
	s_or_b64 exec, exec, s[2:3]
	v_mov_b32_e32 v24, 0
	v_mov_b32_e32 v23, 0
	;; [unrolled: 1-line block ×3, first 2 shown]
	s_and_saveexec_b64 s[2:3], s[0:1]
	s_cbranch_execz .LBB641_55
; %bb.54:
	v_mov_b32_e32 v29, 0
	v_lshl_add_u64 v[22:23], s[4:5], 0, v[28:29]
	v_lshlrev_b32_e32 v28, 1, v26
	v_lshl_add_u64 v[22:23], v[22:23], 0, v[28:29]
	global_load_dwordx4 v[22:25], v[22:23], off offset:128
.LBB641_55:
	s_or_b64 exec, exec, s[2:3]
	s_branch .LBB641_58
.LBB641_56:
                                        ; implicit-def: $vgpr13
                                        ; implicit-def: $vgpr17
                                        ; implicit-def: $vgpr21
                                        ; implicit-def: $vgpr25
	s_cbranch_execz .LBB641_58
; %bb.57:
	s_waitcnt vmcnt(0)
	v_lshlrev_b32_e32 v10, 1, v26
	v_lshl_or_b32 v26, v44, 9, v10
	s_and_b32 s5, s5, 0xffff
	s_mov_b32 s7, 0x20000
	s_movk_i32 s6, 0x4000
	s_movk_i32 s0, 0x80
	buffer_load_dwordx4 v[10:13], v26, s[4:7], 0 offen
	buffer_load_dwordx4 v[14:17], v26, s[4:7], 0 offen offset:256
	buffer_load_dwordx4 v[18:21], v26, s[4:7], s0 offen
	buffer_load_dwordx4 v[22:25], v26, s[4:7], s0 offen offset:256
.LBB641_58:
	v_and_b32_e32 v47, 12, v27
	ds_read2st64_b64 v[30:33], v45 offset0:76 offset1:77
	ds_read2st64_b64 v[26:29], v45 offset0:78 offset1:79
	ds_read_b64 v[40:41], v34 offset:24576
	ds_read_b64 v[38:39], v35 offset:24576
	;; [unrolled: 1-line block ×4, first 2 shown]
	v_and_b32_e32 v46, 6, v0
	v_xor_b32_e32 v44, v44, v46
	v_lshlrev_b32_e32 v44, 2, v44
	v_and_b32_e32 v48, 1, v0
	v_xor_b32_e32 v49, 0x440, v44
	v_cmp_eq_u32_e32 vcc, 0, v48
	s_mov_b32 s0, 0x1000504
	s_waitcnt vmcnt(0)
	v_perm_b32 v48, v18, v22, s0
	v_cndmask_b32_e32 v44, v49, v44, vcc
	v_lshl_or_b32 v44, v46, 10, v44
	v_perm_b32 v46, v10, v14, s0
	ds_write2st64_b32 v44, v46, v48 offset1:32
	v_xor_b32_e32 v46, 8, v44
	s_mov_b32 s1, 0x3020706
	v_perm_b32 v10, v10, v14, s1
	v_perm_b32 v14, v18, v22, s1
	v_add_u32_e32 v18, 0x80, v46
	ds_write2st64_b32 v18, v10, v14 offset1:32
	v_xor_b32_e32 v10, 16, v44
	v_perm_b32 v14, v11, v15, s0
	v_perm_b32 v18, v19, v23, s0
	ds_write2st64_b32 v10, v14, v18 offset0:1 offset1:33
	v_xor_b32_e32 v10, 24, v44
	v_perm_b32 v11, v11, v15, s1
	v_perm_b32 v14, v19, v23, s1
	v_add_u32_e32 v10, 0x80, v10
	ds_write2st64_b32 v10, v11, v14 offset0:1 offset1:33
	v_xor_b32_e32 v10, 32, v44
	v_perm_b32 v11, v12, v16, s0
	v_perm_b32 v14, v20, v24, s0
	ds_write2st64_b32 v10, v11, v14 offset0:2 offset1:34
	v_xor_b32_e32 v10, 40, v44
	v_perm_b32 v11, v12, v16, s1
	v_perm_b32 v12, v20, v24, s1
	v_add_u32_e32 v10, 0x80, v10
	ds_write2st64_b32 v10, v11, v12 offset0:2 offset1:34
	v_xor_b32_e32 v10, 48, v44
	v_perm_b32 v11, v13, v17, s0
	v_perm_b32 v12, v21, v25, s0
	ds_write2st64_b32 v10, v11, v12 offset0:3 offset1:35
	v_xor_b32_e32 v10, 56, v44
	v_or_b32_e32 v18, v47, v53
	v_perm_b32 v11, v13, v17, s1
	v_perm_b32 v12, v21, v25, s1
	v_add_u32_e32 v10, 0x80, v10
	v_cmp_gt_i32_e64 s[2:3], s46, v18
	v_mov_b32_e32 v20, 0
	v_mov_b32_e32 v25, 0
	ds_write2st64_b32 v10, v11, v12 offset0:3 offset1:35
	s_and_saveexec_b64 s[0:1], s[2:3]
	s_cbranch_execz .LBB641_60
; %bb.59:
	v_add_u32_e32 v10, s34, v18
	v_ashrrev_i32_e32 v11, 31, v10
	v_mul_lo_u32 v12, v11, s10
	v_mul_lo_u32 v13, v10, s11
	v_mad_u64_u32 v[10:11], s[4:5], v10, s10, 0
	v_add3_u32 v11, v11, v13, v12
	v_lshl_add_u64 v[10:11], v[10:11], 2, s[12:13]
	global_load_dword v10, v[10:11], off
	s_waitcnt vmcnt(0)
	v_sub_f32_e32 v10, s16, v10
	v_exp_f32_e32 v25, v10
.LBB641_60:
	s_or_b64 exec, exec, s[0:1]
	v_or_b32_e32 v23, 1, v18
	v_cmp_gt_i32_e64 s[4:5], s46, v23
	s_and_saveexec_b64 s[0:1], s[4:5]
	s_cbranch_execz .LBB641_62
; %bb.61:
	v_add_u32_e32 v10, s34, v23
	v_ashrrev_i32_e32 v11, 31, v10
	v_mul_lo_u32 v12, v11, s10
	v_mul_lo_u32 v13, v10, s11
	v_mad_u64_u32 v[10:11], s[6:7], v10, s10, 0
	v_add3_u32 v11, v11, v13, v12
	v_lshl_add_u64 v[10:11], v[10:11], 2, s[12:13]
	global_load_dword v10, v[10:11], off
	s_waitcnt vmcnt(0)
	v_sub_f32_e32 v10, s16, v10
	v_exp_f32_e32 v20, v10
.LBB641_62:
	s_or_b64 exec, exec, s[0:1]
	v_or_b32_e32 v22, 2, v18
	v_cmp_gt_i32_e64 s[0:1], s46, v22
	v_mov_b32_e32 v19, 0
	v_mov_b32_e32 v24, 0
	s_and_saveexec_b64 s[6:7], s[0:1]
	s_cbranch_execz .LBB641_64
; %bb.63:
	v_add_u32_e32 v10, s34, v22
	v_ashrrev_i32_e32 v11, 31, v10
	v_mul_lo_u32 v12, v11, s10
	v_mul_lo_u32 v13, v10, s11
	v_mad_u64_u32 v[10:11], s[18:19], v10, s10, 0
	v_add3_u32 v11, v11, v13, v12
	v_lshl_add_u64 v[10:11], v[10:11], 2, s[12:13]
	global_load_dword v10, v[10:11], off
	s_waitcnt vmcnt(0)
	v_sub_f32_e32 v10, s16, v10
	v_exp_f32_e32 v24, v10
.LBB641_64:
	s_or_b64 exec, exec, s[6:7]
	v_or_b32_e32 v21, 3, v18
	v_cmp_gt_i32_e32 vcc, s46, v21
	s_and_saveexec_b64 s[6:7], vcc
	s_cbranch_execz .LBB641_66
; %bb.65:
	v_add_u32_e32 v10, s34, v21
	v_ashrrev_i32_e32 v11, 31, v10
	v_mul_lo_u32 v12, v11, s10
	v_mul_lo_u32 v13, v10, s11
	v_mad_u64_u32 v[10:11], s[10:11], v10, s10, 0
	v_add3_u32 v11, v11, v13, v12
	v_lshl_add_u64 v[10:11], v[10:11], 2, s[12:13]
	global_load_dword v10, v[10:11], off
	s_waitcnt vmcnt(0)
	v_sub_f32_e32 v10, s16, v10
	v_exp_f32_e32 v19, v10
.LBB641_66:
	s_or_b64 exec, exec, s[6:7]
	s_waitcnt lgkmcnt(11)
	v_mfma_f32_16x16x16_bf16 a[0:3], v[40:41], v[30:31], a[0:3]
	s_add_u32 s6, s20, s36
	v_ashrrev_i32_e32 v59, 31, v58
	s_addc_u32 s7, s21, s37
	s_waitcnt lgkmcnt(10)
	v_mfma_f32_16x16x16_bf16 a[0:3], v[38:39], v[32:33], a[0:3]
	v_lshlrev_b64 v[10:11], 1, v[58:59]
	v_lshl_add_u64 v[14:15], s[6:7], 0, v[10:11]
	s_add_u32 s6, s14, s36
	s_waitcnt lgkmcnt(9)
	v_mfma_f32_16x16x16_bf16 a[0:3], v[36:37], v[26:27], a[0:3]
	s_addc_u32 s7, s15, s37
	v_lshl_add_u64 v[16:17], s[6:7], 0, v[10:11]
	v_mov_b32_e32 v26, 0
	s_waitcnt lgkmcnt(8)
	v_mfma_f32_16x16x16_bf16 a[0:3], v[34:35], v[28:29], a[0:3]
	v_mov_b32_e32 v27, 0
	s_nop 5
	v_accvgpr_read_b32 v13, a3
	v_accvgpr_read_b32 v12, a2
	;; [unrolled: 1-line block ×4, first 2 shown]
	s_and_saveexec_b64 s[6:7], s[2:3]
	s_cbranch_execz .LBB641_68
; %bb.67:
	v_lshlrev_b32_e32 v28, 8, v18
	v_mov_b32_e32 v29, 0
	v_lshl_add_u64 v[30:31], v[14:15], 0, v[28:29]
	global_load_ushort v27, v[30:31], off
	v_lshl_add_u64 v[28:29], v[16:17], 0, v[28:29]
	s_waitcnt vmcnt(0)
	v_lshlrev_b32_e32 v27, 16, v27
	v_sub_f32_e32 v10, v27, v10
	global_store_short_d16_hi v[28:29], v10, off
	v_mul_f32_e32 v10, v25, v10
	v_lshrrev_b32_e32 v27, 16, v10
.LBB641_68:
	s_or_b64 exec, exec, s[6:7]
	s_and_saveexec_b64 s[2:3], s[4:5]
	s_cbranch_execz .LBB641_70
; %bb.69:
	v_lshlrev_b32_e32 v28, 8, v23
	v_mov_b32_e32 v29, 0
	v_lshl_add_u64 v[30:31], v[14:15], 0, v[28:29]
	global_load_ushort v10, v[30:31], off
	v_lshl_add_u64 v[28:29], v[16:17], 0, v[28:29]
	s_waitcnt vmcnt(0)
	v_lshlrev_b32_e32 v10, 16, v10
	v_sub_f32_e32 v10, v10, v11
	global_store_short_d16_hi v[28:29], v10, off
	v_mul_f32_e32 v10, v20, v10
	v_lshrrev_b32_e32 v26, 16, v10
.LBB641_70:
	s_or_b64 exec, exec, s[2:3]
	v_mov_b32_e32 v11, 0
	v_mov_b32_e32 v20, 0
	s_and_saveexec_b64 s[2:3], s[0:1]
	s_cbranch_execz .LBB641_72
; %bb.71:
	v_lshlrev_b32_e32 v22, 8, v22
	v_mov_b32_e32 v23, 0
	v_lshl_add_u64 v[28:29], v[14:15], 0, v[22:23]
	global_load_ushort v10, v[28:29], off
	v_lshl_add_u64 v[22:23], v[16:17], 0, v[22:23]
	s_waitcnt vmcnt(0)
	v_lshlrev_b32_e32 v10, 16, v10
	v_sub_f32_e32 v10, v10, v12
	global_store_short_d16_hi v[22:23], v10, off
	v_mul_f32_e32 v10, v24, v10
	v_lshrrev_b32_e32 v20, 16, v10
.LBB641_72:
	s_or_b64 exec, exec, s[2:3]
	v_or_b32_e32 v10, 0x9800, v45
	s_and_saveexec_b64 s[0:1], vcc
	s_cbranch_execz .LBB641_74
; %bb.73:
	v_lshlrev_b32_e32 v22, 8, v21
	v_mov_b32_e32 v23, 0
	v_lshl_add_u64 v[14:15], v[14:15], 0, v[22:23]
	global_load_ushort v11, v[14:15], off
	v_lshl_add_u64 v[14:15], v[16:17], 0, v[22:23]
	s_waitcnt vmcnt(0)
	v_lshlrev_b32_e32 v11, 16, v11
	v_sub_f32_e32 v11, v11, v13
	global_store_short_d16_hi v[14:15], v11, off
	v_mul_f32_e32 v11, v19, v11
	v_lshrrev_b32_e32 v11, 16, v11
.LBB641_74:
	s_or_b64 exec, exec, s[0:1]
	s_mov_b32 s0, 0x5040100
	v_perm_b32 v13, v11, v20, s0
	v_lshlrev_b32_e32 v11, 1, v42
	v_perm_b32 v12, v26, v27, s0
	v_lshl_or_b32 v11, v18, 5, v11
	s_movk_i32 s2, 0xff
	ds_write_b64 v11, v[12:13] offset:38912
	v_and_b32_e32 v11, 7, v0
	v_cmp_lt_u32_e32 vcc, s2, v0
	v_and_b32_e32 v12, 8, v0
	v_lshlrev_b32_e32 v19, 3, v11
	v_lshlrev_b32_e32 v28, 7, v11
	v_cndmask_b32_e64 v11, 0, 1, vcc
	v_lshrrev_b32_e32 v0, 1, v0
	v_lshlrev_b32_e32 v24, 13, v11
	v_lshlrev_b32_e32 v11, 3, v1
	v_and_b32_e32 v0, 24, v0
	v_xor_b32_e32 v13, v11, v0
	v_or_b32_e32 v14, 0x440, v13
	v_cmp_eq_u32_e32 vcc, 0, v12
	s_waitcnt lgkmcnt(0)
	s_barrier
	v_cndmask_b32_e32 v12, v14, v13, vcc
	v_or_b32_e32 v12, v12, v43
	v_xor_b32_e32 v29, v12, v19
	v_or_b32_e32 v12, 32, v0
	v_xor_b32_e32 v12, v11, v12
	v_or_b32_e32 v13, 0x440, v12
	v_cndmask_b32_e32 v12, v13, v12, vcc
	v_or_b32_e32 v12, v12, v43
	v_xor_b32_e32 v30, v12, v19
	v_or_b32_e32 v12, 64, v0
	v_xor_b32_e32 v12, v11, v12
	v_xor_b32_e32 v13, 0x440, v12
	v_cndmask_b32_e32 v12, v13, v12, vcc
	v_add3_u32 v16, v24, v29, v28
	v_or_b32_e32 v12, v12, v43
	v_or_b32_e32 v0, 0x60, v0
	v_xor_b32_e32 v31, v12, v19
	ds_read2st64_b64 v[12:15], v10 offset1:1
	ds_read2st64_b64 v[20:23], v10 offset0:2 offset1:3
	v_xor_b32_e32 v0, v11, v0
	ds_read_b64 v[10:11], v16
	v_add3_u32 v17, v24, v30, v28
	v_xor_b32_e32 v16, 0x440, v0
	v_cndmask_b32_e32 v0, v16, v0, vcc
	ds_read_b64 v[16:17], v17
	s_mul_i32 s0, s17, s29
	s_mul_hi_i32 s1, s17, s29
	s_add_u32 s0, s0, s33
	v_or_b32_e32 v0, v0, v43
	s_waitcnt lgkmcnt(1)
	v_mfma_f32_16x16x16_bf16 a[0:3], v[10:11], v[12:13], 0
	s_addc_u32 s1, s1, s48
	v_xor_b32_e32 v32, v0, v19
	s_lshl_b64 s[0:1], s[0:1], 9
	v_add3_u32 v25, v24, v31, v28
	v_add3_u32 v0, v24, v32, v28
	s_add_u32 s0, s8, s0
	ds_read_b64 v[24:25], v25
	ds_read_b64 v[26:27], v0
	s_addc_u32 s1, s9, s1
	v_lshlrev_b32_e32 v0, 2, v18
	s_waitcnt lgkmcnt(2)
	v_mfma_f32_16x16x16_bf16 a[0:3], v[16:17], v[14:15], a[0:3]
	global_load_dwordx4 v[16:19], v0, s[0:1]
	v_add_u32_e32 v0, v29, v28
	v_lshlrev_b32_e32 v10, 6, v1
	ds_read_b64 v[0:1], v0 offset:8192
	v_lshlrev_b32_e32 v11, 2, v47
	s_movk_i32 s2, 0x100
	v_or3_b32 v10, v10, v11, s2
	v_add_u32_e32 v11, v30, v28
	v_add_u32_e32 v29, v31, v28
	;; [unrolled: 1-line block ×3, first 2 shown]
	s_waitcnt lgkmcnt(2)
	v_mfma_f32_16x16x16_bf16 a[0:3], v[24:25], v[20:21], a[0:3]
	ds_read_b64 v[24:25], v11 offset:8192
	ds_read_b64 v[28:29], v29 offset:8192
	;; [unrolled: 1-line block ×3, first 2 shown]
	s_waitcnt vmcnt(0)
	v_exp_f32_e32 v16, v16
	s_waitcnt lgkmcnt(3)
	v_mfma_f32_16x16x16_bf16 a[4:7], v[0:1], v[12:13], 0
	global_load_dwordx4 v[10:13], v10, s[0:1]
	v_exp_f32_e32 v0, s16
	v_exp_f32_e32 v17, v17
	v_mfma_f32_16x16x16_bf16 a[0:3], v[26:27], v[22:23], a[0:3]
	v_exp_f32_e32 v18, v18
	v_exp_f32_e32 v19, v19
	v_pk_mul_f32 v[16:17], v[0:1], v[16:17] op_sel_hi:[0,1]
	v_pk_mul_f32 v[18:19], v[0:1], v[18:19] op_sel_hi:[0,1]
	s_waitcnt vmcnt(0)
	v_exp_f32_e32 v10, v10
	s_nop 0
	v_accvgpr_read_b32 v33, a1
	v_accvgpr_read_b32 v27, a3
	;; [unrolled: 1-line block ×4, first 2 shown]
	s_waitcnt lgkmcnt(2)
	v_mfma_f32_16x16x16_bf16 a[0:3], v[24:25], v[14:15], a[4:7]
	v_mov_b32_e32 v14, v13
	v_mov_b32_e32 v13, v12
	v_mov_b32_e32 v12, v11
	s_waitcnt lgkmcnt(1)
	v_mfma_f32_16x16x16_bf16 a[0:3], v[28:29], v[20:21], a[0:3]
	v_exp_f32_e32 v11, v12
	v_exp_f32_e32 v12, v13
	;; [unrolled: 1-line block ×3, first 2 shown]
	s_waitcnt lgkmcnt(0)
	v_mfma_f32_16x16x16_bf16 a[0:3], v[30:31], v[22:23], a[0:3]
	v_pk_fma_f32 v[6:7], v[6:7], v[16:17], v[32:33]
	v_pk_mul_f32 v[10:11], v[0:1], v[10:11] op_sel_hi:[0,1]
	v_pk_mul_f32 v[0:1], v[0:1], v[12:13] op_sel_hi:[0,1]
	v_pk_fma_f32 v[8:9], v[8:9], v[18:19], v[26:27]
	s_nop 2
	v_accvgpr_read_b32 v17, a1
	v_accvgpr_read_b32 v15, a3
	;; [unrolled: 1-line block ×4, first 2 shown]
	v_pk_fma_f32 v[2:3], v[2:3], v[10:11], v[16:17]
	v_pk_fma_f32 v[4:5], v[4:5], v[0:1], v[14:15]
.LBB641_75:
	s_add_u32 s0, s24, s26
	s_addc_u32 s1, s25, s27
	v_lshl_add_u64 v[0:1], v[54:55], 2, s[0:1]
	v_mov_b32_e32 v57, 0
	v_lshl_add_u64 v[0:1], v[0:1], 0, v[56:57]
	s_waitcnt vmcnt(1)
	global_store_dwordx4 v[0:1], v[6:9], off
	s_waitcnt vmcnt(1)
	global_store_dwordx4 v[0:1], v[2:5], off offset:256
	s_endpgm
	.section	.rodata,"a",@progbits
	.p2align	6, 0x0
	.amdhsa_kernel _ZN12_GLOBAL__N_139chunk_gated_delta_rule_fwd_h_hip_kernelILi16ELb1ELb1ELb1ELb1ELb1ELb1ELb1ELb0EEEvPK12hip_bfloat16S3_S3_PKfS5_PKvPS1_S8_PvPKiSB_iiiiilll
		.amdhsa_group_segment_fixed_size 40960
		.amdhsa_private_segment_fixed_size 0
		.amdhsa_kernarg_size 136
		.amdhsa_user_sgpr_count 2
		.amdhsa_user_sgpr_dispatch_ptr 0
		.amdhsa_user_sgpr_queue_ptr 0
		.amdhsa_user_sgpr_kernarg_segment_ptr 1
		.amdhsa_user_sgpr_dispatch_id 0
		.amdhsa_user_sgpr_kernarg_preload_length 0
		.amdhsa_user_sgpr_kernarg_preload_offset 0
		.amdhsa_user_sgpr_private_segment_size 0
		.amdhsa_uses_dynamic_stack 0
		.amdhsa_enable_private_segment 0
		.amdhsa_system_sgpr_workgroup_id_x 1
		.amdhsa_system_sgpr_workgroup_id_y 1
		.amdhsa_system_sgpr_workgroup_id_z 0
		.amdhsa_system_sgpr_workgroup_info 0
		.amdhsa_system_vgpr_workitem_id 0
		.amdhsa_next_free_vgpr 132
		.amdhsa_next_free_sgpr 70
		.amdhsa_accum_offset 120
		.amdhsa_reserve_vcc 1
		.amdhsa_float_round_mode_32 0
		.amdhsa_float_round_mode_16_64 0
		.amdhsa_float_denorm_mode_32 3
		.amdhsa_float_denorm_mode_16_64 3
		.amdhsa_dx10_clamp 1
		.amdhsa_ieee_mode 1
		.amdhsa_fp16_overflow 0
		.amdhsa_tg_split 0
		.amdhsa_exception_fp_ieee_invalid_op 0
		.amdhsa_exception_fp_denorm_src 0
		.amdhsa_exception_fp_ieee_div_zero 0
		.amdhsa_exception_fp_ieee_overflow 0
		.amdhsa_exception_fp_ieee_underflow 0
		.amdhsa_exception_fp_ieee_inexact 0
		.amdhsa_exception_int_div_zero 0
	.end_amdhsa_kernel
	.section	.text._ZN12_GLOBAL__N_139chunk_gated_delta_rule_fwd_h_hip_kernelILi16ELb1ELb1ELb1ELb1ELb1ELb1ELb1ELb0EEEvPK12hip_bfloat16S3_S3_PKfS5_PKvPS1_S8_PvPKiSB_iiiiilll,"axG",@progbits,_ZN12_GLOBAL__N_139chunk_gated_delta_rule_fwd_h_hip_kernelILi16ELb1ELb1ELb1ELb1ELb1ELb1ELb1ELb0EEEvPK12hip_bfloat16S3_S3_PKfS5_PKvPS1_S8_PvPKiSB_iiiiilll,comdat
.Lfunc_end641:
	.size	_ZN12_GLOBAL__N_139chunk_gated_delta_rule_fwd_h_hip_kernelILi16ELb1ELb1ELb1ELb1ELb1ELb1ELb1ELb0EEEvPK12hip_bfloat16S3_S3_PKfS5_PKvPS1_S8_PvPKiSB_iiiiilll, .Lfunc_end641-_ZN12_GLOBAL__N_139chunk_gated_delta_rule_fwd_h_hip_kernelILi16ELb1ELb1ELb1ELb1ELb1ELb1ELb1ELb0EEEvPK12hip_bfloat16S3_S3_PKfS5_PKvPS1_S8_PvPKiSB_iiiiilll
                                        ; -- End function
	.section	.AMDGPU.csdata,"",@progbits
; Kernel info:
; codeLenInByte = 8016
; NumSgprs: 76
; NumVgprs: 118
; NumAgprs: 12
; TotalNumVgprs: 132
; ScratchSize: 0
; MemoryBound: 0
; FloatMode: 240
; IeeeMode: 1
; LDSByteSize: 40960 bytes/workgroup (compile time only)
; SGPRBlocks: 9
; VGPRBlocks: 16
; NumSGPRsForWavesPerEU: 76
; NumVGPRsForWavesPerEU: 132
; AccumOffset: 120
; Occupancy: 1
; WaveLimiterHint : 1
; COMPUTE_PGM_RSRC2:SCRATCH_EN: 0
; COMPUTE_PGM_RSRC2:USER_SGPR: 2
; COMPUTE_PGM_RSRC2:TRAP_HANDLER: 0
; COMPUTE_PGM_RSRC2:TGID_X_EN: 1
; COMPUTE_PGM_RSRC2:TGID_Y_EN: 1
; COMPUTE_PGM_RSRC2:TGID_Z_EN: 0
; COMPUTE_PGM_RSRC2:TIDIG_COMP_CNT: 0
; COMPUTE_PGM_RSRC3_GFX90A:ACCUM_OFFSET: 29
; COMPUTE_PGM_RSRC3_GFX90A:TG_SPLIT: 0
	.section	.text._ZN12_GLOBAL__N_139chunk_gated_delta_rule_fwd_h_hip_kernelILi16ELb1ELb1ELb0ELb1ELb1ELb1ELb1ELb0EEEvPK12hip_bfloat16S3_S3_PKfS5_PKvPS1_S8_PvPKiSB_iiiiilll,"axG",@progbits,_ZN12_GLOBAL__N_139chunk_gated_delta_rule_fwd_h_hip_kernelILi16ELb1ELb1ELb0ELb1ELb1ELb1ELb1ELb0EEEvPK12hip_bfloat16S3_S3_PKfS5_PKvPS1_S8_PvPKiSB_iiiiilll,comdat
	.globl	_ZN12_GLOBAL__N_139chunk_gated_delta_rule_fwd_h_hip_kernelILi16ELb1ELb1ELb0ELb1ELb1ELb1ELb1ELb0EEEvPK12hip_bfloat16S3_S3_PKfS5_PKvPS1_S8_PvPKiSB_iiiiilll ; -- Begin function _ZN12_GLOBAL__N_139chunk_gated_delta_rule_fwd_h_hip_kernelILi16ELb1ELb1ELb0ELb1ELb1ELb1ELb1ELb0EEEvPK12hip_bfloat16S3_S3_PKfS5_PKvPS1_S8_PvPKiSB_iiiiilll
	.p2align	8
	.type	_ZN12_GLOBAL__N_139chunk_gated_delta_rule_fwd_h_hip_kernelILi16ELb1ELb1ELb0ELb1ELb1ELb1ELb1ELb0EEEvPK12hip_bfloat16S3_S3_PKfS5_PKvPS1_S8_PvPKiSB_iiiiilll,@function
_ZN12_GLOBAL__N_139chunk_gated_delta_rule_fwd_h_hip_kernelILi16ELb1ELb1ELb0ELb1ELb1ELb1ELb1ELb0EEEvPK12hip_bfloat16S3_S3_PKfS5_PKvPS1_S8_PvPKiSB_iiiiilll: ; @_ZN12_GLOBAL__N_139chunk_gated_delta_rule_fwd_h_hip_kernelILi16ELb1ELb1ELb0ELb1ELb1ELb1ELb1ELb0EEEvPK12hip_bfloat16S3_S3_PKfS5_PKvPS1_S8_PvPKiSB_iiiiilll
; %bb.0:
	s_load_dwordx4 s[16:19], s[0:1], 0x5c
	s_load_dwordx4 s[24:27], s[0:1], 0x70
	s_abs_i32 s7, s3
	s_ashr_i32 s6, s3, 31
	s_load_dwordx4 s[12:15], s[0:1], 0x40
	s_load_dwordx2 s[4:5], s[0:1], 0x50
	s_waitcnt lgkmcnt(0)
	s_abs_i32 s10, s17
	v_cvt_f32_u32_e32 v1, s10
	s_sub_i32 s8, 0, s10
	s_ashr_i32 s11, s17, 31
	s_xor_b32 s6, s6, s11
	v_rcp_iflag_f32_e32 v1, v1
	v_and_b32_e32 v65, 15, v0
	v_bfe_u32 v64, v0, 4, 2
	v_mov_b32_e32 v57, 0
	v_mul_f32_e32 v1, 0x4f7ffffe, v1
	v_cvt_u32_f32_e32 v1, v1
	v_lshlrev_b32_e32 v66, 3, v0
	v_readfirstlane_b32 s9, v1
	s_mul_i32 s8, s8, s9
	s_mul_hi_u32 s8, s9, s8
	s_add_i32 s9, s9, s8
	s_mul_hi_u32 s8, s7, s9
	s_mul_i32 s9, s8, s10
	s_sub_i32 s7, s7, s9
	s_add_i32 s20, s8, 1
	s_sub_i32 s9, s7, s10
	s_cmp_ge_u32 s7, s10
	s_cselect_b32 s8, s20, s8
	s_cselect_b32 s7, s9, s7
	s_add_i32 s9, s8, 1
	s_cmp_ge_u32 s7, s10
	s_cselect_b32 s7, s9, s8
	s_xor_b32 s7, s7, s6
	s_sub_i32 s28, s7, s6
	s_mul_i32 s36, s28, s17
	s_ashr_i32 s29, s28, 31
	s_sub_i32 s33, s3, s36
	s_lshl_b64 s[6:7], s[28:29], 2
	s_add_u32 s8, s14, s6
	s_addc_u32 s9, s15, s7
	s_add_u32 s30, s4, s6
	s_addc_u32 s31, s5, s7
	s_abs_i32 s3, s18
	v_cvt_f32_u32_e32 v1, s3
	s_load_dwordx2 s[34:35], s[8:9], 0x0
	s_sub_i32 s5, 0, s3
	s_lshl_b32 s2, s2, 4
	v_rcp_iflag_f32_e32 v1, v1
	s_load_dwordx4 s[20:23], s[0:1], 0x20
	s_load_dwordx2 s[40:41], s[0:1], 0x30
	s_waitcnt lgkmcnt(0)
	s_sub_i32 s54, s35, s34
	s_ashr_i32 s4, s54, 31
	v_mul_f32_e32 v1, 0x4f7ffffe, v1
	v_cvt_u32_f32_e32 v1, v1
	s_lshr_b32 s4, s4, 26
	s_add_i32 s4, s54, s4
	s_ashr_i32 s53, s4, 6
	v_readfirstlane_b32 s6, v1
	s_mul_i32 s5, s5, s6
	s_mul_hi_u32 s5, s6, s5
	s_add_i32 s6, s6, s5
	s_mul_hi_u32 s5, s10, s6
	s_mul_i32 s6, s5, s3
	s_ashr_i32 s4, s18, 31
	s_sub_i32 s6, s10, s6
	s_xor_b32 s4, s11, s4
	s_add_i32 s7, s5, 1
	s_sub_i32 s8, s6, s3
	s_cmp_ge_u32 s6, s3
	s_cselect_b32 s5, s7, s5
	s_cselect_b32 s6, s8, s6
	s_add_i32 s7, s5, 1
	s_cmp_ge_u32 s6, s3
	s_cselect_b32 s3, s7, s5
	s_xor_b32 s3, s3, s4
	s_sub_i32 s3, s3, s4
	s_abs_i32 s4, s3
	v_cvt_f32_u32_e32 v1, s4
	s_sub_i32 s6, 0, s4
	s_abs_i32 s5, s33
	s_xor_b32 s3, s33, s3
	v_rcp_iflag_f32_e32 v2, v1
	s_ashr_i32 s3, s3, 31
	v_lshrrev_b32_e32 v1, 6, v0
	v_or_b32_e32 v58, s2, v65
	v_mul_f32_e32 v2, 0x4f7ffffe, v2
	v_cvt_u32_f32_e32 v2, v2
	v_lshlrev_b32_e32 v53, 4, v1
	v_lshlrev_b32_e32 v54, 7, v58
	v_lshl_or_b32 v68, v64, 2, v53
	v_readfirstlane_b32 s7, v2
	s_mul_i32 s6, s6, s7
	s_mul_hi_u32 s6, s7, s6
	s_add_i32 s7, s7, s6
	s_mul_hi_u32 s6, s5, s7
	s_mul_i32 s7, s6, s4
	s_sub_i32 s5, s5, s7
	s_add_i32 s7, s6, 1
	s_sub_i32 s8, s5, s4
	s_cmp_ge_u32 s5, s4
	s_cselect_b32 s6, s7, s6
	s_cselect_b32 s5, s8, s5
	s_add_i32 s7, s6, 1
	s_cmp_ge_u32 s5, s4
	s_cselect_b32 s4, s7, s6
	s_xor_b32 s4, s4, s3
	s_sub_i32 s55, s4, s3
	s_ashr_i32 s46, s33, 31
	s_mul_hi_i32 s3, s28, s17
	s_add_u32 s4, s36, s33
	s_addc_u32 s5, s3, s46
	s_lshl_b64 s[14:15], s[4:5], 16
	s_add_u32 s4, s22, s14
	s_addc_u32 s5, s23, s15
	v_ashrrev_i32_e32 v55, 31, v54
	v_lshl_add_u64 v[2:3], v[54:55], 2, s[4:5]
	v_lshlrev_b32_e32 v56, 2, v68
	v_lshl_add_u64 v[10:11], v[2:3], 0, v[56:57]
	global_load_dwordx4 v[6:9], v[10:11], off
	global_load_dwordx4 v[2:5], v[10:11], off offset:256
	s_load_dwordx8 s[4:11], s[0:1], 0x0
	s_load_dwordx2 s[22:23], s[0:1], 0x80
	s_load_dword s56, s[30:31], 0x0
	v_and_b32_e32 v57, 63, v0
	v_or_b32_e32 v69, 64, v68
	s_cmp_lt_i32 s54, 64
	s_mul_hi_i32 s57, s33, s16
	s_mul_i32 s58, s33, s16
	v_lshrrev_b32_e32 v67, 3, v57
	s_mul_i32 s47, s28, s25
	s_mul_hi_u32 s49, s28, s24
	s_mul_i32 s50, s29, s24
	s_mul_i32 s38, s28, s24
	;; [unrolled: 1-line block ×3, first 2 shown]
	s_mul_hi_u32 s51, s33, s26
	s_mul_i32 s52, s46, s26
	s_mul_i32 s36, s33, s26
	s_cbranch_scc1 .LBB642_18
; %bb.1:
	s_ashr_i32 s1, s34, 31
	s_add_u32 s0, s58, s34
	s_addc_u32 s1, s57, s1
	s_lshl_b64 s[0:1], s[0:1], 8
	v_and_b32_e32 v71, 56, v66
	s_waitcnt lgkmcnt(0)
	s_add_u32 s24, s6, s0
	v_lshl_or_b32 v70, v1, 3, v67
	v_lshlrev_b32_e32 v10, 1, v71
	s_addc_u32 s0, s7, s1
	v_lshl_or_b32 v72, v70, 8, v10
	s_and_b32 s25, s0, 0xffff
	s_mov_b32 s27, 0x20000
	s_movk_i32 s26, 0x4000
	s_movk_i32 s0, 0x80
	v_or_b32_e32 v73, 0x2000, v72
	buffer_load_dwordx4 v[12:15], v72, s[24:27], 0 offen
	buffer_load_dwordx4 v[16:19], v72, s[24:27], s0 offen
	;; [unrolled: 1-line block ×4, first 2 shown]
	v_lshlrev_b32_e32 v11, 3, v70
	v_and_or_b32 v29, v0, 7, v11
	v_and_b32_e32 v11, 0x78, v11
	v_lshlrev_b32_e32 v29, 4, v29
	v_xor_b32_e32 v74, v29, v11
	v_mul_lo_u32 v28, v70, s19
	v_or_b32_e32 v75, 0x1000, v74
	v_xor_b32_e32 v11, 8, v74
	s_cmpk_eq_i32 s19, 0x80
	s_mov_b32 s59, s34
	v_xor_b32_e32 v29, 8, v75
	s_cselect_b64 s[0:1], -1, 0
	s_cmpk_lg_i32 s19, 0x80
	s_waitcnt vmcnt(3)
	ds_write_b64 v74, v[12:13] offset:16384
	ds_write_b64 v11, v[14:15] offset:16384
	s_waitcnt vmcnt(2)
	ds_write_b64 v74, v[16:17] offset:24576
	ds_write_b64 v11, v[18:19] offset:24576
	;; [unrolled: 3-line block ×4, first 2 shown]
	v_lshl_add_u32 v11, v28, 1, v71
	s_cbranch_scc0 .LBB642_3
; %bb.2:
	v_lshlrev_b32_e32 v13, 1, v11
	v_add_lshl_u32 v12, v11, s19, 1
	s_lshl_b32 s26, s19, 7
	v_lshl_or_b32 v10, v70, 9, v10
	s_cbranch_execz .LBB642_4
	s_branch .LBB642_5
.LBB642_3:
                                        ; implicit-def: $vgpr12
                                        ; implicit-def: $vgpr13
                                        ; implicit-def: $sgpr26
	v_lshl_or_b32 v10, v70, 9, v10
.LBB642_4:
	v_or_b32_e32 v12, 0x100, v10
	s_movk_i32 s26, 0x4000
	v_mov_b32_e32 v13, v10
.LBB642_5:
	s_mul_i32 s24, s34, s18
	s_ashr_i32 s60, s55, 31
	s_mul_hi_i32 s3, s34, s18
	s_add_u32 s24, s24, s55
	s_addc_u32 s25, s3, s60
	s_lshl_b64 s[24:25], s[24:25], 8
	s_add_u32 s24, s4, s24
	s_addc_u32 s3, s5, s25
	s_and_b32 s25, s3, 0xffff
	s_movk_i32 s61, 0x80
	buffer_load_dwordx4 v[14:17], v13, s[24:27], 0 offen
	buffer_load_dwordx4 v[18:21], v13, s[24:27], s61 offen
	buffer_load_dwordx4 v[22:25], v12, s[24:27], 0 offen
	buffer_load_dwordx4 v[26:29], v12, s[24:27], s61 offen
	v_and_b32_e32 v12, 6, v0
	v_lshlrev_b32_e32 v30, 2, v65
	v_lshlrev_b32_e32 v31, 3, v65
	v_xor_b32_e32 v35, v70, v12
	v_and_b32_e32 v13, 1, v0
	v_lshl_or_b32 v31, v68, 5, v31
	v_xor_b32_e32 v36, v68, v30
	v_lshlrev_b32_e32 v35, 2, v35
	s_add_i32 s3, s49, s47
	v_or_b32_e32 v76, 0x9000, v31
	v_or_b32_e32 v77, 0x9800, v31
	v_lshlrev_b32_e32 v31, 1, v36
	v_xor_b32_e32 v36, 0x440, v35
	v_cmp_eq_u32_e32 vcc, 0, v13
	s_add_i32 s24, s51, s48
	s_add_i32 s39, s3, s50
	v_cndmask_b32_e32 v13, v36, v35, vcc
	s_add_i32 s37, s24, s52
	s_lshl_b64 s[24:25], s[38:39], 2
	s_mov_b32 s62, 0x1000504
	s_mov_b32 s63, 0x3020706
	v_lshlrev_b32_e32 v32, 8, v65
	s_mov_b32 s26, 0x8000
	v_xor_b32_e32 v30, v69, v30
	v_lshl_or_b32 v12, v12, 10, v13
	s_add_u32 s3, s10, s24
	v_or_b32_e32 v33, v53, v65
	v_lshlrev_b32_e32 v30, 1, v30
	v_or3_b32 v78, v31, v32, s26
	v_xor_b32_e32 v13, 8, v12
	v_xor_b32_e32 v31, 24, v12
	;; [unrolled: 1-line block ×4, first 2 shown]
	s_addc_u32 s28, s11, s25
	s_lshl_b64 s[24:25], s[36:37], 2
	v_or3_b32 v79, v30, v32, s26
	v_xor_b32_e32 v30, 16, v12
	v_xor_b32_e32 v32, 32, v12
	;; [unrolled: 1-line block ×3, first 2 shown]
	v_add_u32_e32 v13, 0x80, v13
	v_add_u32_e32 v31, 0x80, v31
	;; [unrolled: 1-line block ×4, first 2 shown]
	s_add_u32 s42, s3, s24
	s_movk_i32 s3, 0xf8
	s_addc_u32 s43, s28, s25
	v_ashrrev_i32_e32 v59, 31, v58
	s_lshl_b32 s30, s19, 7
	v_lshrrev_b32_e32 v34, 2, v57
	s_mov_b32 s64, 0
	s_waitcnt vmcnt(1)
	v_perm_b32 v38, v14, v22, s62
	s_waitcnt vmcnt(0)
	v_perm_b32 v39, v18, v26, s62
	v_perm_b32 v14, v14, v22, s63
	;; [unrolled: 1-line block ×15, first 2 shown]
	ds_write2st64_b32 v12, v38, v39 offset1:32
	ds_write2st64_b32 v13, v14, v18 offset1:32
	ds_write2st64_b32 v30, v22, v26 offset0:1 offset1:33
	ds_write2st64_b32 v31, v15, v19 offset0:1 offset1:33
	;; [unrolled: 1-line block ×6, first 2 shown]
	v_lshlrev_b32_e32 v12, 3, v33
	v_lshrrev_b32_e32 v14, 5, v57
	v_and_or_b32 v14, v12, s3, v14
	v_lshlrev_b32_e32 v14, 4, v14
	v_lshlrev_b32_e32 v19, 11, v1
	v_and_b32_e32 v12, 0x78, v12
	v_or_b32_e32 v17, 32, v14
	v_and_b32_e32 v13, 0x1000, v19
	v_xor_b32_e32 v15, v14, v12
	v_lshrrev_b32_e32 v16, 1, v57
	v_xor_b32_e32 v17, v17, v12
	v_or_b32_e32 v15, v15, v13
	v_and_b32_e32 v16, 8, v16
	v_or_b32_e32 v17, v17, v13
	v_xor_b32_e32 v80, v15, v16
	v_and_b32_e32 v15, 0x78, v66
	v_xor_b32_e32 v82, v17, v16
	v_or_b32_e32 v17, 64, v14
	v_or_b32_e32 v14, 0x60, v14
	v_lshl_or_b32 v15, v64, 7, v15
	v_xor_b32_e32 v17, v17, v12
	v_xor_b32_e32 v12, v14, v12
	v_or_b32_e32 v81, 0x9000, v15
	v_or_b32_e32 v17, v17, v13
	;; [unrolled: 1-line block ×4, first 2 shown]
	v_lshrrev_b32_e32 v14, 4, v0
	v_lshlrev_b32_e32 v15, 1, v65
	v_xor_b32_e32 v83, v17, v16
	v_xor_b32_e32 v84, v12, v16
	s_ashr_i32 s3, s2, 31
	v_or_b32_e32 v16, 1, v15
	v_xor_b32_e32 v15, v14, v15
	s_lshl_b64 s[24:25], s[2:3], 8
	v_xor_b32_e32 v16, v16, v14
	v_lshlrev_b32_e32 v15, 3, v15
	v_lshlrev_b32_e32 v14, 8, v14
	v_lshl_add_u64 v[12:13], v[58:59], 1, s[8:9]
	s_add_u32 s24, s40, s24
	v_or3_b32 v59, v15, v14, s26
	v_lshlrev_b32_e32 v15, 3, v16
	s_addc_u32 s25, s41, s25
	v_or3_b32 v86, v15, v14, s26
	v_mov_b32_e32 v15, 0
	v_lshrrev_b32_e32 v25, 1, v0
	v_lshl_add_u64 v[16:17], s[24:25], 0, v[14:15]
	v_lshlrev_b32_e32 v14, 4, v65
	s_movk_i32 s3, 0xff
	v_lshlrev_b32_e32 v24, 3, v1
	v_and_b32_e32 v25, 24, v25
	v_lshl_add_u64 v[60:61], v[16:17], 0, v[14:15]
	v_and_b32_e32 v14, 7, v0
	v_and_b32_e32 v17, 8, v0
	v_cmp_lt_u32_e32 vcc, s3, v0
	v_xor_b32_e32 v26, v24, v25
	v_lshlrev_b32_e32 v22, 3, v14
	v_lshlrev_b32_e32 v23, 7, v14
	v_cndmask_b32_e64 v14, 0, 1, vcc
	v_or_b32_e32 v27, 0x440, v26
	v_cmp_eq_u32_e32 vcc, 0, v17
	v_or_b32_e32 v29, 64, v25
	v_xor_b32_e32 v29, v24, v29
	v_cndmask_b32_e32 v17, v27, v26, vcc
	v_or_b32_e32 v27, 32, v25
	v_or_b32_e32 v25, 0x60, v25
	v_xor_b32_e32 v27, v24, v27
	v_xor_b32_e32 v24, v24, v25
	v_or_b32_e32 v28, 0x440, v27
	v_xor_b32_e32 v30, 0x440, v29
	v_xor_b32_e32 v25, 0x440, v24
	v_cndmask_b32_e32 v27, v28, v27, vcc
	v_cndmask_b32_e32 v29, v30, v29, vcc
	;; [unrolled: 1-line block ×3, first 2 shown]
	v_or_b32_e32 v17, v17, v19
	v_or_b32_e32 v27, v27, v19
	;; [unrolled: 1-line block ×4, first 2 shown]
	v_and_b32_e32 v18, 12, v34
	v_lshlrev_b32_e32 v14, 13, v14
	v_xor_b32_e32 v17, v17, v22
	v_xor_b32_e32 v27, v27, v22
	;; [unrolled: 1-line block ×4, first 2 shown]
	v_lshlrev_b32_e32 v20, 1, v11
	v_add_lshl_u32 v11, v11, s19, 1
	v_or_b32_e32 v21, 0x100, v10
	v_or_b32_e32 v16, v18, v53
	v_add_u32_e32 v26, v14, v17
	v_add_u32_e32 v28, v14, v27
	v_add_u32_e32 v30, v14, v29
	v_add_u32_e32 v22, v14, v19
	v_or3_b32 v18, v53, v18, 64
	v_add_u32_e32 v17, 0x2000, v17
	v_add_u32_e32 v24, 0x2000, v27
	v_add_u32_e32 v25, 0x2000, v29
	v_add_u32_e32 v19, 0x2000, v19
	v_lshlrev_b32_e32 v14, 8, v68
	v_cndmask_b32_e64 v87, v20, v10, s[0:1]
	v_cndmask_b32_e64 v88, v11, v21, s[0:1]
	v_lshl_add_u64 v[62:63], v[12:13], 0, v[14:15]
	s_mov_b32 s3, 0x7060302
	s_movk_i32 s26, 0x4000
	v_lshlrev_b32_e32 v89, 2, v16
	v_add_u32_e32 v90, v26, v23
	v_add_u32_e32 v91, v28, v23
	;; [unrolled: 1-line block ×4, first 2 shown]
	v_lshlrev_b32_e32 v94, 2, v18
	v_add_u32_e32 v95, v17, v23
	v_add_u32_e32 v96, v24, v23
	;; [unrolled: 1-line block ×4, first 2 shown]
	s_waitcnt lgkmcnt(0)
	s_barrier
.LBB642_6:                              ; =>This Inner Loop Header: Depth=1
	s_add_i32 s37, s64, 1
	s_cmp_lt_i32 s37, s53
	s_mov_b64 s[28:29], 0
	s_cselect_b64 s[44:45], -1, 0
	s_cmp_ge_i32 s37, s53
	s_mov_b64 s[24:25], 0
	s_cbranch_scc1 .LBB642_8
; %bb.7:                                ;   in Loop: Header=BB642_6 Depth=1
	s_add_i32 s0, s59, 64
	s_ashr_i32 s1, s0, 31
	s_add_u32 s0, s58, s0
	s_addc_u32 s1, s57, s1
	s_lshl_b64 s[0:1], s[0:1], 8
	s_add_u32 s24, s6, s0
	s_addc_u32 s25, s7, s1
.LBB642_8:                              ;   in Loop: Header=BB642_6 Depth=1
	v_cndmask_b32_e64 v10, 0, 1, s[44:45]
	v_cmp_ne_u32_e64 s[0:1], 1, v10
	s_andn2_b64 vcc, exec, s[44:45]
	s_cbranch_vccnz .LBB642_10
; %bb.9:                                ;   in Loop: Header=BB642_6 Depth=1
	s_add_i32 s28, s59, 64
	s_mul_hi_i32 s29, s28, s18
	s_mul_i32 s28, s28, s18
	s_add_u32 s28, s28, s55
	s_addc_u32 s29, s29, s60
	s_lshl_b64 s[28:29], s[28:29], 8
	s_add_u32 s28, s4, s28
	s_addc_u32 s29, s5, s29
.LBB642_10:                             ;   in Loop: Header=BB642_6 Depth=1
	v_perm_b32 v11, v9, v8, s3
	v_perm_b32 v10, v7, v6, s3
	;; [unrolled: 1-line block ×4, first 2 shown]
	ds_write_b64 v76, v[10:11]
	ds_write_b64 v77, v[12:13]
	;; [unrolled: 1-line block ×4, first 2 shown]
	s_waitcnt lgkmcnt(0)
	s_barrier
	ds_read_b64 v[18:19], v80 offset:16384
	ds_read_b64 v[20:21], v82 offset:16384
	ds_read2st64_b64 v[10:13], v81 offset1:1
	s_waitcnt lgkmcnt(0)
	v_mfma_f32_16x16x16_bf16 a[0:3], v[18:19], v[10:11], 0
	ds_read2st64_b64 v[14:17], v81 offset0:2 offset1:3
	ds_read_b64 v[22:23], v83 offset:16384
	ds_read_b64 v[10:11], v84 offset:16384
	s_add_i32 s39, s59, 63
	v_mfma_f32_16x16x16_bf16 a[0:3], v[20:21], v[12:13], a[0:3]
	s_ashr_i32 s31, s39, 31
	s_mul_i32 s44, s39, s23
	s_mul_hi_u32 s45, s39, s22
	s_waitcnt lgkmcnt(1)
	v_mfma_f32_16x16x16_bf16 a[0:3], v[22:23], v[14:15], a[0:3]
	s_add_i32 s44, s45, s44
	s_mul_i32 s31, s31, s22
	s_add_i32 s45, s44, s31
	s_mul_i32 s44, s39, s22
	s_waitcnt lgkmcnt(0)
	v_mfma_f32_16x16x16_bf16 a[0:3], v[10:11], v[16:17], a[0:3]
	s_lshl_b64 s[44:45], s[44:45], 2
	s_add_u32 s44, s42, s44
	s_addc_u32 s45, s43, s45
	s_and_b64 vcc, exec, s[0:1]
	v_mov_b32_e32 v101, 0
	v_mov_b32_e32 v100, 0
	;; [unrolled: 1-line block ×19, first 2 shown]
	s_cbranch_vccnz .LBB642_12
; %bb.11:                               ;   in Loop: Header=BB642_6 Depth=1
	s_and_b32 s25, s25, 0xffff
	buffer_load_dwordx4 v[22:25], v72, s[24:27], 0 offen
	buffer_load_dwordx4 v[18:21], v72, s[24:27], s61 offen
	buffer_load_dwordx4 v[14:17], v73, s[24:27], 0 offen
	buffer_load_dwordx4 v[10:13], v73, s[24:27], s61 offen
	v_mov_b32_e32 v100, v74
	v_mov_b32_e32 v99, v75
.LBB642_12:                             ;   in Loop: Header=BB642_6 Depth=1
	v_add_u32_e32 v30, s59, v68
	v_ashrrev_i32_e32 v26, 31, v30
	v_mul_lo_u32 v28, v26, s22
	v_mul_lo_u32 v29, v30, s23
	v_mad_u64_u32 v[26:27], s[24:25], v30, s22, 0
	v_add3_u32 v27, v27, v29, v28
	v_lshl_add_u64 v[26:27], v[26:27], 2, s[42:43]
	global_load_dword v48, v[26:27], off
	v_add_u32_e32 v26, 1, v30
	v_ashrrev_i32_e32 v27, 31, v26
	v_mul_lo_u32 v28, v27, s22
	v_mul_lo_u32 v29, v26, s23
	v_mad_u64_u32 v[26:27], s[24:25], v26, s22, 0
	v_add3_u32 v27, v27, v29, v28
	v_add_u32_e32 v28, 2, v30
	v_ashrrev_i32_e32 v29, 31, v28
	v_mul_lo_u32 v31, v29, s22
	v_mul_lo_u32 v32, v28, s23
	v_mad_u64_u32 v[28:29], s[24:25], v28, s22, 0
	v_add_u32_e32 v30, 3, v30
	v_add3_u32 v29, v29, v32, v31
	v_ashrrev_i32_e32 v31, 31, v30
	v_mul_lo_u32 v34, v31, s22
	v_mul_lo_u32 v35, v30, s23
	v_mad_u64_u32 v[30:31], s[24:25], v30, s22, 0
	s_ashr_i32 s25, s59, 31
	s_add_u32 s24, s58, s59
	s_addc_u32 s25, s57, s25
	s_lshl_b64 s[24:25], s[24:25], 8
	v_lshl_add_u64 v[26:27], v[26:27], 2, s[42:43]
	v_lshl_add_u64 v[32:33], v[62:63], 0, s[24:25]
	v_add3_u32 v31, v31, v35, v34
	v_lshl_add_u64 v[28:29], v[28:29], 2, s[42:43]
	global_load_ushort v49, v[32:33], off
	global_load_ushort v50, v[32:33], off offset:256
	global_load_ushort v51, v[32:33], off offset:512
	;; [unrolled: 1-line block ×3, first 2 shown]
	v_lshl_add_u64 v[30:31], v[30:31], 2, s[42:43]
	global_load_dword v103, v[26:27], off
	global_load_dword v104, v[28:29], off
	;; [unrolled: 1-line block ×3, first 2 shown]
	s_load_dword s24, s[44:45], 0x0
	ds_read2st64_b64 v[34:37], v85 offset1:1
	ds_read2st64_b64 v[38:41], v85 offset0:2 offset1:3
	ds_read_b64 v[32:33], v80 offset:24576
	ds_read_b64 v[42:43], v82 offset:24576
	;; [unrolled: 1-line block ×4, first 2 shown]
	s_waitcnt lgkmcnt(0)
	v_mfma_f32_16x16x16_bf16 a[0:3], v[32:33], v[34:35], a[0:3]
	v_mov_b32_e32 v102, 0
	v_mov_b32_e32 v26, 0
	v_mov_b32_e32 v27, 0
	v_mfma_f32_16x16x16_bf16 a[0:3], v[42:43], v[36:37], a[0:3]
	v_mov_b32_e32 v28, 0
	v_mov_b32_e32 v29, 0
	v_mov_b32_e32 v30, 0
	;; [unrolled: 4-line block ×4, first 2 shown]
	v_mov_b32_e32 v37, 0
	v_mov_b32_e32 v38, 0
	v_mov_b32_e32 v39, 0
	s_and_b64 vcc, exec, s[0:1]
	v_accvgpr_read_b32 v43, a1
	v_accvgpr_read_b32 v41, a3
	;; [unrolled: 1-line block ×4, first 2 shown]
	s_waitcnt vmcnt(7)
	v_sub_f32_e32 v48, s24, v48
	v_exp_f32_e32 v48, v48
	s_waitcnt vmcnt(6)
	v_lshlrev_b32_e32 v44, 16, v49
	s_waitcnt vmcnt(5)
	v_lshlrev_b32_e32 v45, 16, v50
	;; [unrolled: 2-line block ×3, first 2 shown]
	s_waitcnt vmcnt(2)
	v_sub_f32_e32 v49, s24, v103
	s_waitcnt vmcnt(1)
	v_sub_f32_e32 v50, s24, v104
	s_waitcnt vmcnt(0)
	v_sub_f32_e32 v51, s24, v105
	v_exp_f32_e32 v49, v49
	v_exp_f32_e32 v50, v50
	;; [unrolled: 1-line block ×3, first 2 shown]
	v_lshlrev_b32_e32 v47, 16, v52
	v_pk_add_f32 v[42:43], v[44:45], v[42:43] neg_lo:[0,1] neg_hi:[0,1]
	v_pk_add_f32 v[40:41], v[46:47], v[40:41] neg_lo:[0,1] neg_hi:[0,1]
	v_pk_mul_f32 v[42:43], v[48:49], v[42:43]
	v_pk_mul_f32 v[40:41], v[50:51], v[40:41]
	s_nop 0
	v_perm_b32 v41, v41, v40, s3
	v_perm_b32 v40, v43, v42, s3
	ds_write_b64 v77, v[40:41]
	v_mov_b32_e32 v40, 0
	v_mov_b32_e32 v41, 0
	s_cbranch_vccnz .LBB642_14
; %bb.13:                               ;   in Loop: Header=BB642_6 Depth=1
	s_and_b32 s29, s29, 0xffff
	s_mov_b32 s31, s27
	buffer_load_dwordx4 v[38:41], v87, s[28:31], 0 offen
	buffer_load_dwordx4 v[30:33], v87, s[28:31], s61 offen
	;; [unrolled: 1-line block ×4, first 2 shown]
	v_mov_b32_e32 v101, v71
	v_mov_b32_e32 v102, v70
.LBB642_14:                             ;   in Loop: Header=BB642_6 Depth=1
	s_waitcnt lgkmcnt(0)
	s_barrier
	ds_read_b64 v[42:43], v90
	ds_read_b64 v[48:49], v91
	ds_read2st64_b64 v[44:47], v85 offset1:1
	ds_read2st64_b64 v[104:107], v85 offset0:2 offset1:3
	ds_read_b64 v[50:51], v92
	ds_read_b64 v[112:113], v93
	s_add_i32 s25, s56, s64
	s_mul_hi_i32 s29, s25, s17
	s_mul_i32 s25, s25, s17
	s_waitcnt lgkmcnt(3)
	v_mfma_f32_16x16x16_bf16 a[0:3], v[42:43], v[44:45], 0
	ds_read_b64 v[42:43], v95
	s_add_u32 s28, s25, s33
	s_addc_u32 s29, s29, s46
	v_mfma_f32_16x16x16_bf16 a[0:3], v[48:49], v[46:47], a[0:3]
	ds_read_b64 v[48:49], v96
	s_lshl_b64 s[28:29], s[28:29], 15
	s_mul_i32 s31, s39, s17
	s_mul_hi_i32 s25, s39, s17
	s_add_u32 s44, s31, s33
	s_addc_u32 s45, s25, s46
	s_lshl_b64 s[44:45], s[44:45], 9
	s_add_u32 s44, s20, s44
	s_waitcnt lgkmcnt(1)
	v_mfma_f32_16x16x16_bf16 a[4:7], v[42:43], v[44:45], 0
	s_addc_u32 s45, s21, s45
	s_and_b64 vcc, exec, s[0:1]
	v_mfma_f32_16x16x16_bf16 a[0:3], v[50:51], v[104:105], a[0:3]
	ds_read_b64 v[50:51], v97
	ds_read_b64 v[114:115], v98
	global_load_dwordx4 v[42:45], v94, s[44:45]
	s_waitcnt lgkmcnt(2)
	v_mfma_f32_16x16x16_bf16 a[4:7], v[48:49], v[46:47], a[4:7]
	global_load_dwordx4 v[46:49], v89, s[44:45]
	ds_read_b64 v[108:109], v59
	ds_read_b64 v[110:111], v86
	s_waitcnt lgkmcnt(3)
	v_mfma_f32_16x16x16_bf16 a[8:11], v[50:51], v[104:105], a[4:7]
	v_lshl_add_u64 v[50:51], v[60:61], 0, s[28:29]
	s_waitcnt lgkmcnt(0)
	global_store_dwordx4 v[50:51], v[108:111], off
	v_mfma_f32_16x16x16_bf16 a[4:7], v[112:113], v[106:107], a[0:3]
	s_waitcnt vmcnt(2)
	v_mov_b32_e32 v52, v45
	v_mfma_f32_16x16x16_bf16 a[0:3], v[114:115], v[106:107], a[8:11]
	v_mov_b32_e32 v51, v44
	v_mov_b32_e32 v50, v43
	s_cbranch_vccnz .LBB642_16
; %bb.15:                               ;   in Loop: Header=BB642_6 Depth=1
	v_lshrrev_b32_e32 v43, 3, v101
	v_and_b32_e32 v43, 6, v43
	v_xor_b32_e32 v44, v43, v102
	v_lshlrev_b32_e32 v44, 2, v44
	v_and_b32_e32 v45, 8, v101
	v_xor_b32_e32 v101, 0x440, v44
	v_cmp_eq_u32_e32 vcc, 0, v45
	v_perm_b32 v45, v30, v26, s62
	s_nop 0
	v_cndmask_b32_e32 v44, v101, v44, vcc
	v_lshl_or_b32 v43, v43, 10, v44
	v_perm_b32 v44, v38, v34, s62
	s_barrier
	ds_write2st64_b32 v43, v44, v45 offset1:32
	v_xor_b32_e32 v44, 8, v43
	v_perm_b32 v34, v38, v34, s63
	v_perm_b32 v26, v30, v26, s63
	v_add_u32_e32 v30, 0x80, v44
	ds_write2st64_b32 v30, v34, v26 offset1:32
	v_xor_b32_e32 v26, 16, v43
	v_perm_b32 v30, v39, v35, s62
	v_perm_b32 v34, v31, v27, s62
	ds_write2st64_b32 v26, v30, v34 offset0:1 offset1:33
	v_xor_b32_e32 v26, 24, v43
	v_perm_b32 v30, v39, v35, s63
	v_perm_b32 v27, v31, v27, s63
	v_add_u32_e32 v26, 0x80, v26
	ds_write2st64_b32 v26, v30, v27 offset0:1 offset1:33
	v_xor_b32_e32 v26, 32, v43
	v_perm_b32 v27, v40, v36, s62
	v_perm_b32 v30, v32, v28, s62
	ds_write2st64_b32 v26, v27, v30 offset0:2 offset1:34
	v_xor_b32_e32 v26, 40, v43
	v_perm_b32 v27, v40, v36, s63
	v_perm_b32 v28, v32, v28, s63
	v_add_u32_e32 v26, 0x80, v26
	ds_write2st64_b32 v26, v27, v28 offset0:2 offset1:34
	;; [unrolled: 9-line block ×3, first 2 shown]
	ds_write_b64 v100, v[22:23] offset:16384
	v_xor_b32_e32 v22, 8, v100
	ds_write_b64 v22, v[24:25] offset:16384
	ds_write_b64 v100, v[18:19] offset:24576
	;; [unrolled: 1-line block ×4, first 2 shown]
	v_xor_b32_e32 v14, 8, v99
	ds_write_b64 v14, v[16:17] offset:16384
	ds_write_b64 v99, v[10:11] offset:24576
	;; [unrolled: 1-line block ×3, first 2 shown]
.LBB642_16:                             ;   in Loop: Header=BB642_6 Depth=1
	v_exp_f32_e32 v18, s24
	s_waitcnt vmcnt(1)
	v_exp_f32_e32 v20, v46
	v_exp_f32_e32 v21, v47
	;; [unrolled: 1-line block ×4, first 2 shown]
	v_accvgpr_read_b32 v13, a7
	v_accvgpr_read_b32 v11, a5
	;; [unrolled: 1-line block ×3, first 2 shown]
	v_pk_mul_f32 v[20:21], v[18:19], v[20:21] op_sel_hi:[0,1]
	v_pk_fma_f32 v[6:7], v[6:7], v[20:21], v[10:11]
	v_exp_f32_e32 v20, v42
	v_exp_f32_e32 v21, v50
	v_pk_mul_f32 v[10:11], v[18:19], v[22:23] op_sel_hi:[0,1]
	v_exp_f32_e32 v22, v51
	v_exp_f32_e32 v23, v52
	v_accvgpr_read_b32 v12, a6
	v_accvgpr_read_b32 v17, a3
	;; [unrolled: 1-line block ×4, first 2 shown]
	v_pk_fma_f32 v[8:9], v[8:9], v[10:11], v[12:13]
	v_pk_mul_f32 v[10:11], v[18:19], v[20:21] op_sel_hi:[0,1]
	v_accvgpr_read_b32 v16, a2
	v_pk_fma_f32 v[2:3], v[2:3], v[10:11], v[14:15]
	v_pk_mul_f32 v[10:11], v[18:19], v[22:23] op_sel_hi:[0,1]
	s_add_i32 s59, s59, 64
	s_cmp_eq_u32 s53, s37
	v_pk_fma_f32 v[4:5], v[4:5], v[10:11], v[16:17]
	s_cbranch_scc1 .LBB642_18
; %bb.17:                               ;   in Loop: Header=BB642_6 Depth=1
	s_mov_b32 s64, s37
	s_branch .LBB642_6
.LBB642_18:
	s_lshl_b32 s0, s53, 6
	s_sub_i32 s44, s54, s0
	s_cmp_gt_i32 s44, 0
	s_cbranch_scc0 .LBB642_75
; %bb.19:
	s_add_i32 s34, s0, s34
	s_ashr_i32 s3, s34, 31
	s_cmpk_lg_i32 s19, 0x80
	s_cselect_b64 s[30:31], -1, 0
	s_and_b64 vcc, exec, s[30:31]
	s_cbranch_vccz .LBB642_21
; %bb.20:
	s_mul_hi_i32 s0, s34, s18
	s_mul_i32 s1, s34, s18
	s_ashr_i32 s18, s55, 31
	s_add_u32 s42, s1, s55
	s_addc_u32 s43, s0, s18
	s_cbranch_execz .LBB642_22
	s_branch .LBB642_23
.LBB642_21:
                                        ; implicit-def: $sgpr42_sgpr43
.LBB642_22:
	s_mul_i32 s1, s55, s16
	s_mul_hi_i32 s0, s55, s16
	s_add_u32 s42, s1, s34
	s_addc_u32 s43, s0, s3
.LBB642_23:
	s_waitcnt lgkmcnt(0)
	s_add_i32 s16, s53, s56
	s_add_u32 s0, s58, s34
	s_addc_u32 s1, s57, s3
	s_mov_b32 s3, 0x7060302
	v_lshlrev_b32_e32 v14, 3, v65
	s_lshl_b64 s[28:29], s[0:1], 8
	s_waitcnt vmcnt(1)
	v_perm_b32 v11, v9, v8, s3
	v_perm_b32 v10, v7, v6, s3
	s_waitcnt vmcnt(0)
	v_perm_b32 v13, v5, v4, s3
	v_perm_b32 v12, v3, v2, s3
	v_lshlrev_b32_e32 v42, 2, v65
	v_lshl_or_b32 v14, v68, 5, v14
	s_add_u32 s0, s6, s28
	ds_write2st64_b64 v14, v[10:11], v[12:13] offset0:72 offset1:76
	v_xor_b32_e32 v14, v68, v42
	v_lshlrev_b32_e32 v15, 8, v65
	s_addc_u32 s1, s7, s29
	v_lshl_or_b32 v14, v14, 1, v15
	s_mul_hi_i32 s3, s16, s17
	s_mul_i32 s16, s16, s17
	ds_write_b64 v14, v[10:11] offset:32768
	v_xor_b32_e32 v10, v69, v42
	s_add_u32 s6, s16, s33
	v_lshl_or_b32 v10, v10, 1, v15
	s_addc_u32 s7, s3, s46
	v_lshlrev_b32_e32 v11, 1, v65
	ds_write_b64 v10, v[12:13] offset:32768
	v_lshrrev_b32_e32 v10, 4, v0
	s_ashr_i32 s3, s2, 31
	s_lshl_b64 s[6:7], s[6:7], 15
	v_or_b32_e32 v12, 1, v11
	s_add_u32 s6, s40, s6
	v_xor_b32_e32 v11, v10, v11
	v_xor_b32_e32 v12, v12, v10
	v_lshlrev_b32_e32 v14, 8, v10
	s_addc_u32 s7, s41, s7
	s_lshl_b64 s[2:3], s[2:3], 8
	v_lshl_or_b32 v10, v11, 3, v14
	v_lshl_or_b32 v12, v12, 3, v14
	s_waitcnt lgkmcnt(0)
	s_barrier
	s_add_u32 s2, s6, s2
	ds_read_b64 v[10:11], v10 offset:32768
	ds_read_b64 v[12:13], v12 offset:32768
	s_addc_u32 s3, s7, s3
	v_mov_b32_e32 v15, 0
	s_cmp_lg_u32 s44, 64
	v_lshl_add_u64 v[16:17], s[2:3], 0, v[14:15]
	v_lshlrev_b32_e32 v14, 4, v65
	s_cselect_b64 s[6:7], -1, 0
	v_lshl_or_b32 v44, v1, 3, v67
	s_mov_b32 s24, 0
	v_lshl_add_u64 v[14:15], v[16:17], 0, v[14:15]
	v_or_b32_e32 v27, 32, v44
	v_and_b32_e32 v26, 56, v66
	s_and_b64 vcc, exec, s[6:7]
	s_waitcnt lgkmcnt(0)
	global_store_dwordx4 v[14:15], v[10:13], off
	s_cbranch_vccz .LBB642_29
; %bb.24:
	s_mov_b32 s25, s24
	s_mov_b32 s26, s24
	;; [unrolled: 1-line block ×3, first 2 shown]
	v_mov_b64_e32 v[14:15], s[24:25]
	v_mov_b64_e32 v[16:17], s[26:27]
	;; [unrolled: 1-line block ×3, first 2 shown]
	v_cmp_gt_i32_e32 vcc, s44, v44
	v_mov_b64_e32 v[12:13], v[16:17]
	s_and_saveexec_b64 s[2:3], vcc
	s_cbranch_execz .LBB642_26
; %bb.25:
	v_lshlrev_b32_e32 v10, 8, v44
	v_mov_b32_e32 v11, 0
	v_lshl_add_u64 v[12:13], s[0:1], 0, v[10:11]
	v_lshlrev_b32_e32 v10, 1, v26
	v_lshl_add_u64 v[18:19], v[12:13], 0, v[10:11]
	global_load_dwordx4 v[14:17], v[18:19], off
	global_load_dwordx4 v[10:13], v[18:19], off offset:128
.LBB642_26:
	s_or_b64 exec, exec, s[2:3]
	s_mov_b32 s25, s24
	s_mov_b32 s26, s24
	;; [unrolled: 1-line block ×3, first 2 shown]
	v_mov_b64_e32 v[22:23], s[24:25]
	v_mov_b64_e32 v[24:25], s[26:27]
	;; [unrolled: 1-line block ×3, first 2 shown]
	v_cmp_gt_i32_e32 vcc, s44, v27
	v_lshlrev_b32_e32 v28, 7, v27
	v_mov_b64_e32 v[20:21], v[24:25]
	s_and_saveexec_b64 s[2:3], vcc
	s_cbranch_execz .LBB642_28
; %bb.27:
	v_lshlrev_b32_e32 v18, 1, v28
	v_mov_b32_e32 v19, 0
	v_lshl_add_u64 v[20:21], s[0:1], 0, v[18:19]
	v_lshlrev_b32_e32 v18, 1, v26
	v_lshl_add_u64 v[30:31], v[20:21], 0, v[18:19]
	global_load_dwordx4 v[22:25], v[30:31], off
	global_load_dwordx4 v[18:21], v[30:31], off offset:128
.LBB642_28:
	s_or_b64 exec, exec, s[2:3]
	v_lshrrev_b32_e32 v29, 3, v26
	v_lshlrev_b32_e32 v30, 3, v44
	v_or_b32_e32 v29, v30, v29
	v_lshlrev_b32_e32 v29, 4, v29
	v_and_b32_e32 v30, 0x78, v30
	v_xor_b32_e32 v29, v29, v30
	s_branch .LBB642_31
.LBB642_29:
                                        ; implicit-def: $vgpr29
                                        ; implicit-def: $vgpr28
                                        ; implicit-def: $vgpr14_vgpr15_vgpr16_vgpr17
                                        ; implicit-def: $vgpr10_vgpr11_vgpr12_vgpr13
                                        ; implicit-def: $vgpr22_vgpr23_vgpr24_vgpr25
                                        ; implicit-def: $vgpr18_vgpr19_vgpr20_vgpr21
	s_cbranch_execz .LBB642_31
; %bb.30:
	s_waitcnt vmcnt(0)
	v_lshlrev_b32_e32 v10, 1, v26
	v_lshl_or_b32 v28, v44, 8, v10
	s_and_b32 s1, s1, 0xffff
	s_mov_b32 s3, 0x20000
	s_movk_i32 s2, 0x4000
	v_lshl_or_b32 v29, v27, 8, v10
	s_movk_i32 s16, 0x80
	buffer_load_dwordx4 v[14:17], v28, s[0:3], 0 offen
	buffer_load_dwordx4 v[10:13], v28, s[0:3], s16 offen
	;; [unrolled: 1-line block ×4, first 2 shown]
	v_lshrrev_b32_e32 v28, 3, v26
	v_lshlrev_b32_e32 v29, 3, v44
	v_or_b32_e32 v28, v29, v28
	v_lshlrev_b32_e32 v28, 4, v28
	v_and_b32_e32 v29, 0x78, v29
	v_xor_b32_e32 v29, v28, v29
	v_lshlrev_b32_e32 v28, 7, v27
.LBB642_31:
	s_lshl_b64 s[0:1], s[42:43], 8
	s_add_u32 s4, s4, s0
	s_movk_i32 s0, 0x1000
	v_and_or_b32 v27, v28, s0, v29
	s_waitcnt vmcnt(1)
	ds_write_b64 v29, v[14:15] offset:16384
	v_xor_b32_e32 v14, 8, v29
	ds_write_b64 v14, v[16:17] offset:16384
	s_waitcnt vmcnt(0)
	ds_write_b64 v29, v[10:11] offset:24576
	ds_write_b64 v14, v[12:13] offset:24576
	;; [unrolled: 1-line block ×3, first 2 shown]
	v_xor_b32_e32 v10, 8, v27
	ds_write_b64 v10, v[24:25] offset:16384
	ds_write_b64 v27, v[18:19] offset:24576
	ds_write_b64 v10, v[20:21] offset:24576
	v_or_b32_e32 v10, v53, v65
	v_lshlrev_b32_e32 v10, 3, v10
	v_lshrrev_b32_e32 v12, 5, v57
	s_movk_i32 s16, 0xf8
	v_and_or_b32 v12, v10, s16, v12
	v_lshlrev_b32_e32 v43, 11, v1
	v_lshlrev_b32_e32 v20, 4, v12
	v_and_b32_e32 v21, 0x78, v10
	v_and_b32_e32 v22, 0x1000, v43
	v_lshlrev_b32_e32 v11, 2, v0
	v_xor_b32_e32 v10, v20, v21
	v_lshrrev_b32_e32 v12, 1, v57
	v_and_b32_e32 v11, 60, v11
	v_or_b32_e32 v10, v10, v22
	v_and_b32_e32 v23, 8, v12
	v_xor_b32_e32 v34, v10, v23
	v_lshl_or_b32 v10, v64, 6, v11
	v_lshlrev_b32_e32 v45, 1, v10
	v_or_b32_e32 v10, 32, v20
	v_xor_b32_e32 v10, v10, v21
	s_waitcnt lgkmcnt(0)
	s_barrier
	ds_read_b64 v[18:19], v34 offset:16384
	v_or_b32_e32 v10, v10, v22
	v_xor_b32_e32 v35, v10, v23
	v_or_b32_e32 v10, 64, v20
	v_xor_b32_e32 v10, v10, v21
	v_or_b32_e32 v10, v10, v22
	v_or_b32_e32 v20, 0x60, v20
	v_xor_b32_e32 v36, v10, v23
	ds_read2st64_b64 v[10:13], v45 offset0:72 offset1:73
	ds_read2st64_b64 v[14:17], v45 offset0:74 offset1:75
	v_xor_b32_e32 v24, v20, v21
	ds_read_b64 v[20:21], v35 offset:16384
	s_addc_u32 s5, s5, s1
	s_add_i32 s0, s49, s47
	s_waitcnt lgkmcnt(2)
	v_mfma_f32_16x16x16_bf16 a[0:3], v[18:19], v[10:11], 0
	s_add_i32 s18, s35, -1
	s_add_i32 s39, s0, s50
	s_add_i32 s0, s51, s48
	;; [unrolled: 1-line block ×3, first 2 shown]
	s_ashr_i32 s0, s18, 31
	s_mul_i32 s1, s18, s23
	s_mul_hi_u32 s2, s18, s22
	s_add_i32 s1, s2, s1
	s_mul_i32 s0, s0, s22
	v_or_b32_e32 v22, v24, v22
	s_add_i32 s1, s1, s0
	s_lshl_b64 s[2:3], s[38:39], 2
	v_xor_b32_e32 v46, v22, v23
	ds_read_b64 v[22:23], v36 offset:16384
	ds_read_b64 v[24:25], v46 offset:16384
	s_waitcnt lgkmcnt(2)
	v_mfma_f32_16x16x16_bf16 a[0:3], v[20:21], v[12:13], a[0:3]
	s_add_u32 s10, s10, s2
	s_addc_u32 s11, s11, s3
	s_lshl_b64 s[2:3], s[36:37], 2
	s_mul_i32 s0, s18, s22
	s_add_u32 s10, s10, s2
	s_addc_u32 s11, s11, s3
	s_lshl_b64 s[0:1], s[0:1], 2
	s_waitcnt lgkmcnt(1)
	v_mfma_f32_16x16x16_bf16 a[0:3], v[22:23], v[14:15], a[0:3]
	s_add_u32 s0, s10, s0
	s_addc_u32 s1, s11, s1
	s_load_dword s16, s[0:1], 0x0
	s_waitcnt lgkmcnt(0)
	v_mfma_f32_16x16x16_bf16 a[0:3], v[24:25], v[16:17], a[0:3]
	s_and_b64 vcc, exec, s[30:31]
	s_cbranch_vccz .LBB642_42
; %bb.32:
	v_lshlrev_b32_e32 v27, 1, v44
	s_and_b64 vcc, exec, s[6:7]
	s_cbranch_vccz .LBB642_43
; %bb.33:
	v_cmp_gt_i32_e32 vcc, s44, v27
	v_mov_b32_e32 v14, 0
	v_mov_b32_e32 v10, 0
	;; [unrolled: 1-line block ×5, first 2 shown]
	s_and_saveexec_b64 s[0:1], vcc
	s_cbranch_execz .LBB642_35
; %bb.34:
	v_mad_i64_i32 v[10:11], s[2:3], s19, v27, 0
	v_lshl_add_u64 v[10:11], v[10:11], 1, s[4:5]
	v_lshlrev_b32_e32 v12, 1, v26
	v_mov_b32_e32 v13, 0
	v_lshl_add_u64 v[10:11], v[10:11], 0, v[12:13]
	global_load_dwordx4 v[10:13], v[10:11], off
.LBB642_35:
	s_or_b64 exec, exec, s[0:1]
	v_or_b32_e32 v28, 1, v27
	v_cmp_gt_i32_e64 s[0:1], s44, v28
	v_mov_b32_e32 v15, 0
	v_mov_b32_e32 v16, 0
	;; [unrolled: 1-line block ×3, first 2 shown]
	s_and_saveexec_b64 s[2:3], s[0:1]
	s_cbranch_execz .LBB642_37
; %bb.36:
	v_mad_i64_i32 v[14:15], s[24:25], s19, v28, 0
	v_lshl_add_u64 v[14:15], v[14:15], 1, s[4:5]
	v_lshlrev_b32_e32 v16, 1, v26
	v_mov_b32_e32 v17, 0
	v_lshl_add_u64 v[14:15], v[14:15], 0, v[16:17]
	global_load_dwordx4 v[14:17], v[14:15], off
.LBB642_37:
	s_or_b64 exec, exec, s[2:3]
	v_mov_b32_e32 v25, 0
	v_mov_b32_e32 v18, 0
	;; [unrolled: 1-line block ×5, first 2 shown]
	s_and_saveexec_b64 s[2:3], vcc
	s_cbranch_execz .LBB642_39
; %bb.38:
	v_mad_i64_i32 v[18:19], s[24:25], s19, v27, 0
	v_lshl_add_u64 v[18:19], v[18:19], 1, s[4:5]
	v_lshlrev_b32_e32 v20, 1, v26
	v_mov_b32_e32 v21, 0
	v_lshl_add_u64 v[18:19], v[18:19], 0, v[20:21]
	global_load_dwordx4 v[18:21], v[18:19], off offset:128
.LBB642_39:
	s_or_b64 exec, exec, s[2:3]
	v_mov_b32_e32 v24, 0
	v_mov_b32_e32 v23, 0
	;; [unrolled: 1-line block ×3, first 2 shown]
	s_and_saveexec_b64 s[2:3], s[0:1]
	s_cbranch_execz .LBB642_41
; %bb.40:
	v_mad_i64_i32 v[22:23], s[0:1], s19, v28, 0
	v_lshl_add_u64 v[22:23], v[22:23], 1, s[4:5]
	v_lshlrev_b32_e32 v24, 1, v26
	v_mov_b32_e32 v25, 0
	v_lshl_add_u64 v[22:23], v[22:23], 0, v[24:25]
	global_load_dwordx4 v[22:25], v[22:23], off offset:128
.LBB642_41:
	s_or_b64 exec, exec, s[2:3]
	s_branch .LBB642_45
.LBB642_42:
                                        ; implicit-def: $vgpr13
                                        ; implicit-def: $vgpr17
                                        ; implicit-def: $vgpr21
                                        ; implicit-def: $vgpr25
	v_lshrrev_b32_e32 v27, 2, v57
	s_branch .LBB642_46
.LBB642_43:
                                        ; implicit-def: $vgpr13
                                        ; implicit-def: $vgpr17
                                        ; implicit-def: $vgpr21
                                        ; implicit-def: $vgpr25
	s_cbranch_execz .LBB642_45
; %bb.44:
	s_waitcnt vmcnt(0)
	v_mad_u64_u32 v[10:11], s[0:1], v27, s19, v[26:27]
	v_lshlrev_b32_e32 v27, 1, v10
	s_lshl_b32 s2, s19, 7
	s_and_b32 s1, s5, 0xffff
	s_mov_b32 s3, 0x20000
	s_mov_b32 s0, s4
	v_add_lshl_u32 v28, v10, s19, 1
	s_movk_i32 s19, 0x80
	buffer_load_dwordx4 v[10:13], v27, s[0:3], 0 offen
	buffer_load_dwordx4 v[18:21], v27, s[0:3], s19 offen
	;; [unrolled: 1-line block ×4, first 2 shown]
.LBB642_45:
	v_lshrrev_b32_e32 v27, 2, v57
	s_cbranch_execnz .LBB642_58
.LBB642_46:
	s_and_b64 vcc, exec, s[6:7]
	s_cbranch_vccz .LBB642_56
; %bb.47:
	s_waitcnt vmcnt(0)
	v_lshlrev_b32_e32 v15, 1, v44
	v_cmp_gt_i32_e32 vcc, s44, v15
	v_mov_b32_e32 v14, 0
	v_lshlrev_b32_e32 v22, 9, v44
	v_mov_b32_e32 v10, 0
	v_mov_b32_e32 v11, 0
	;; [unrolled: 1-line block ×4, first 2 shown]
	s_and_saveexec_b64 s[0:1], vcc
	s_cbranch_execz .LBB642_49
; %bb.48:
	v_mov_b32_e32 v23, 0
	v_lshl_add_u64 v[10:11], s[4:5], 0, v[22:23]
	v_lshlrev_b32_e32 v12, 1, v26
	v_mov_b32_e32 v13, v23
	v_lshl_add_u64 v[10:11], v[10:11], 0, v[12:13]
	global_load_dwordx4 v[10:13], v[10:11], off
.LBB642_49:
	s_or_b64 exec, exec, s[0:1]
	v_or_b32_e32 v15, 1, v15
	v_cmp_gt_i32_e64 s[0:1], s44, v15
	v_lshlrev_b32_e32 v28, 8, v15
	v_mov_b32_e32 v15, 0
	v_mov_b32_e32 v16, 0
	v_mov_b32_e32 v17, 0
	s_and_saveexec_b64 s[2:3], s[0:1]
	s_cbranch_execz .LBB642_51
; %bb.50:
	v_mov_b32_e32 v29, 0
	v_lshl_add_u64 v[14:15], s[4:5], 0, v[28:29]
	v_lshlrev_b32_e32 v16, 1, v26
	v_mov_b32_e32 v17, v29
	v_lshl_add_u64 v[14:15], v[14:15], 0, v[16:17]
	global_load_dwordx4 v[14:17], v[14:15], off
.LBB642_51:
	s_or_b64 exec, exec, s[2:3]
	v_mov_b32_e32 v25, 0
	v_mov_b32_e32 v18, 0
	;; [unrolled: 1-line block ×5, first 2 shown]
	s_and_saveexec_b64 s[2:3], vcc
	s_cbranch_execz .LBB642_53
; %bb.52:
	v_mov_b32_e32 v23, 0
	v_lshl_add_u64 v[18:19], s[4:5], 0, v[22:23]
	v_lshlrev_b32_e32 v22, 1, v26
	v_lshl_add_u64 v[18:19], v[18:19], 0, v[22:23]
	global_load_dwordx4 v[18:21], v[18:19], off offset:128
.LBB642_53:
	s_or_b64 exec, exec, s[2:3]
	v_mov_b32_e32 v24, 0
	v_mov_b32_e32 v23, 0
	;; [unrolled: 1-line block ×3, first 2 shown]
	s_and_saveexec_b64 s[2:3], s[0:1]
	s_cbranch_execz .LBB642_55
; %bb.54:
	v_mov_b32_e32 v29, 0
	v_lshl_add_u64 v[22:23], s[4:5], 0, v[28:29]
	v_lshlrev_b32_e32 v28, 1, v26
	v_lshl_add_u64 v[22:23], v[22:23], 0, v[28:29]
	global_load_dwordx4 v[22:25], v[22:23], off offset:128
.LBB642_55:
	s_or_b64 exec, exec, s[2:3]
	s_branch .LBB642_58
.LBB642_56:
                                        ; implicit-def: $vgpr13
                                        ; implicit-def: $vgpr17
                                        ; implicit-def: $vgpr21
                                        ; implicit-def: $vgpr25
	s_cbranch_execz .LBB642_58
; %bb.57:
	s_waitcnt vmcnt(0)
	v_lshlrev_b32_e32 v10, 1, v26
	v_lshl_or_b32 v26, v44, 9, v10
	s_and_b32 s5, s5, 0xffff
	s_mov_b32 s7, 0x20000
	s_movk_i32 s6, 0x4000
	s_movk_i32 s0, 0x80
	buffer_load_dwordx4 v[10:13], v26, s[4:7], 0 offen
	buffer_load_dwordx4 v[14:17], v26, s[4:7], 0 offen offset:256
	buffer_load_dwordx4 v[18:21], v26, s[4:7], s0 offen
	buffer_load_dwordx4 v[22:25], v26, s[4:7], s0 offen offset:256
.LBB642_58:
	v_and_b32_e32 v47, 12, v27
	ds_read2st64_b64 v[30:33], v45 offset0:76 offset1:77
	ds_read2st64_b64 v[26:29], v45 offset0:78 offset1:79
	ds_read_b64 v[38:39], v34 offset:24576
	ds_read_b64 v[40:41], v35 offset:24576
	;; [unrolled: 1-line block ×4, first 2 shown]
	v_and_b32_e32 v46, 6, v0
	v_xor_b32_e32 v44, v44, v46
	v_lshlrev_b32_e32 v44, 2, v44
	v_and_b32_e32 v48, 1, v0
	v_xor_b32_e32 v49, 0x440, v44
	v_cmp_eq_u32_e32 vcc, 0, v48
	s_mov_b32 s0, 0x1000504
	s_waitcnt vmcnt(0)
	v_perm_b32 v48, v18, v22, s0
	v_cndmask_b32_e32 v44, v49, v44, vcc
	v_lshl_or_b32 v44, v46, 10, v44
	v_perm_b32 v46, v10, v14, s0
	ds_write2st64_b32 v44, v46, v48 offset1:32
	v_xor_b32_e32 v46, 8, v44
	s_mov_b32 s1, 0x3020706
	v_perm_b32 v10, v10, v14, s1
	v_perm_b32 v14, v18, v22, s1
	v_add_u32_e32 v18, 0x80, v46
	ds_write2st64_b32 v18, v10, v14 offset1:32
	v_xor_b32_e32 v10, 16, v44
	v_perm_b32 v14, v11, v15, s0
	v_perm_b32 v18, v19, v23, s0
	ds_write2st64_b32 v10, v14, v18 offset0:1 offset1:33
	v_xor_b32_e32 v10, 24, v44
	v_perm_b32 v11, v11, v15, s1
	v_perm_b32 v14, v19, v23, s1
	v_add_u32_e32 v10, 0x80, v10
	ds_write2st64_b32 v10, v11, v14 offset0:1 offset1:33
	v_xor_b32_e32 v10, 32, v44
	v_perm_b32 v11, v12, v16, s0
	v_perm_b32 v14, v20, v24, s0
	ds_write2st64_b32 v10, v11, v14 offset0:2 offset1:34
	v_xor_b32_e32 v10, 40, v44
	v_perm_b32 v11, v12, v16, s1
	v_perm_b32 v12, v20, v24, s1
	v_add_u32_e32 v10, 0x80, v10
	ds_write2st64_b32 v10, v11, v12 offset0:2 offset1:34
	v_xor_b32_e32 v10, 48, v44
	v_perm_b32 v11, v13, v17, s0
	v_perm_b32 v12, v21, v25, s0
	ds_write2st64_b32 v10, v11, v12 offset0:3 offset1:35
	v_xor_b32_e32 v10, 56, v44
	v_or_b32_e32 v16, v47, v53
	v_perm_b32 v11, v13, v17, s1
	v_perm_b32 v12, v21, v25, s1
	v_add_u32_e32 v10, 0x80, v10
	v_cmp_gt_i32_e32 vcc, s44, v16
	v_mov_b32_e32 v17, 0
	v_mov_b32_e32 v21, 0
	ds_write2st64_b32 v10, v11, v12 offset0:3 offset1:35
	s_and_saveexec_b64 s[0:1], vcc
	s_cbranch_execz .LBB642_60
; %bb.59:
	v_add_u32_e32 v10, s34, v16
	v_ashrrev_i32_e32 v11, 31, v10
	v_mul_lo_u32 v12, v11, s22
	v_mul_lo_u32 v13, v10, s23
	v_mad_u64_u32 v[10:11], s[2:3], v10, s22, 0
	v_add3_u32 v11, v11, v13, v12
	v_lshl_add_u64 v[10:11], v[10:11], 2, s[10:11]
	global_load_dword v10, v[10:11], off
	s_waitcnt vmcnt(0)
	v_sub_f32_e32 v10, s16, v10
	v_exp_f32_e32 v21, v10
.LBB642_60:
	s_or_b64 exec, exec, s[0:1]
	v_or_b32_e32 v19, 1, v16
	v_cmp_gt_i32_e64 s[0:1], s44, v19
	s_and_saveexec_b64 s[2:3], s[0:1]
	s_cbranch_execz .LBB642_62
; %bb.61:
	v_add_u32_e32 v10, s34, v19
	v_ashrrev_i32_e32 v11, 31, v10
	v_mul_lo_u32 v12, v11, s22
	v_mul_lo_u32 v13, v10, s23
	v_mad_u64_u32 v[10:11], s[4:5], v10, s22, 0
	v_add3_u32 v11, v11, v13, v12
	v_lshl_add_u64 v[10:11], v[10:11], 2, s[10:11]
	global_load_dword v10, v[10:11], off
	s_waitcnt vmcnt(0)
	v_sub_f32_e32 v10, s16, v10
	v_exp_f32_e32 v17, v10
.LBB642_62:
	s_or_b64 exec, exec, s[2:3]
	v_or_b32_e32 v20, 2, v16
	v_cmp_gt_i32_e64 s[2:3], s44, v20
	v_mov_b32_e32 v18, 0
	v_mov_b32_e32 v23, 0
	s_and_saveexec_b64 s[4:5], s[2:3]
	s_cbranch_execz .LBB642_64
; %bb.63:
	v_add_u32_e32 v10, s34, v20
	v_ashrrev_i32_e32 v11, 31, v10
	v_mul_lo_u32 v12, v11, s22
	v_mul_lo_u32 v13, v10, s23
	v_mad_u64_u32 v[10:11], s[6:7], v10, s22, 0
	v_add3_u32 v11, v11, v13, v12
	v_lshl_add_u64 v[10:11], v[10:11], 2, s[10:11]
	global_load_dword v10, v[10:11], off
	s_waitcnt vmcnt(0)
	v_sub_f32_e32 v10, s16, v10
	v_exp_f32_e32 v23, v10
.LBB642_64:
	s_or_b64 exec, exec, s[4:5]
	v_or_b32_e32 v22, 3, v16
	v_cmp_gt_i32_e64 s[4:5], s44, v22
	s_and_saveexec_b64 s[6:7], s[4:5]
	s_cbranch_execz .LBB642_66
; %bb.65:
	v_add_u32_e32 v10, s34, v22
	v_ashrrev_i32_e32 v11, 31, v10
	v_mul_lo_u32 v12, v11, s22
	v_mul_lo_u32 v13, v10, s23
	v_mad_u64_u32 v[10:11], s[22:23], v10, s22, 0
	v_add3_u32 v11, v11, v13, v12
	v_lshl_add_u64 v[10:11], v[10:11], 2, s[10:11]
	global_load_dword v10, v[10:11], off
	s_waitcnt vmcnt(0)
	v_sub_f32_e32 v10, s16, v10
	v_exp_f32_e32 v18, v10
.LBB642_66:
	s_or_b64 exec, exec, s[6:7]
	s_waitcnt lgkmcnt(11)
	v_mfma_f32_16x16x16_bf16 a[0:3], v[38:39], v[30:31], a[0:3]
	s_add_u32 s6, s8, s28
	v_ashrrev_i32_e32 v59, 31, v58
	s_addc_u32 s7, s9, s29
	s_waitcnt lgkmcnt(10)
	v_mfma_f32_16x16x16_bf16 a[0:3], v[40:41], v[32:33], a[0:3]
	v_mov_b32_e32 v24, 0
	v_lshl_add_u64 v[14:15], v[58:59], 1, s[6:7]
	v_mov_b32_e32 v25, 0
	s_waitcnt lgkmcnt(9)
	v_mfma_f32_16x16x16_bf16 a[0:3], v[36:37], v[26:27], a[0:3]
	s_waitcnt lgkmcnt(8)
	v_mfma_f32_16x16x16_bf16 a[0:3], v[34:35], v[28:29], a[0:3]
	s_nop 6
	v_accvgpr_read_b32 v13, a3
	v_accvgpr_read_b32 v12, a2
	;; [unrolled: 1-line block ×4, first 2 shown]
	s_and_saveexec_b64 s[6:7], vcc
	s_cbranch_execz .LBB642_68
; %bb.67:
	v_lshlrev_b32_e32 v26, 8, v16
	v_mov_b32_e32 v27, 0
	v_lshl_add_u64 v[26:27], v[14:15], 0, v[26:27]
	global_load_ushort v25, v[26:27], off
	s_waitcnt vmcnt(0)
	v_lshlrev_b32_e32 v25, 16, v25
	v_sub_f32_e32 v10, v25, v10
	v_mul_f32_e32 v10, v21, v10
	v_lshrrev_b32_e32 v25, 16, v10
.LBB642_68:
	s_or_b64 exec, exec, s[6:7]
	s_and_saveexec_b64 s[6:7], s[0:1]
	s_cbranch_execz .LBB642_70
; %bb.69:
	v_lshlrev_b32_e32 v26, 8, v19
	v_mov_b32_e32 v27, 0
	v_lshl_add_u64 v[26:27], v[14:15], 0, v[26:27]
	global_load_ushort v10, v[26:27], off
	s_waitcnt vmcnt(0)
	v_lshlrev_b32_e32 v10, 16, v10
	v_sub_f32_e32 v10, v10, v11
	v_mul_f32_e32 v10, v17, v10
	v_lshrrev_b32_e32 v24, 16, v10
.LBB642_70:
	s_or_b64 exec, exec, s[6:7]
	v_mov_b32_e32 v11, 0
	v_mov_b32_e32 v17, 0
	s_and_saveexec_b64 s[0:1], s[2:3]
	s_cbranch_execz .LBB642_72
; %bb.71:
	v_lshlrev_b32_e32 v20, 8, v20
	v_mov_b32_e32 v21, 0
	v_lshl_add_u64 v[20:21], v[14:15], 0, v[20:21]
	global_load_ushort v10, v[20:21], off
	s_waitcnt vmcnt(0)
	v_lshlrev_b32_e32 v10, 16, v10
	v_sub_f32_e32 v10, v10, v12
	v_mul_f32_e32 v10, v23, v10
	v_lshrrev_b32_e32 v17, 16, v10
.LBB642_72:
	s_or_b64 exec, exec, s[0:1]
	v_or_b32_e32 v10, 0x9800, v45
	s_and_saveexec_b64 s[0:1], s[4:5]
	s_cbranch_execz .LBB642_74
; %bb.73:
	v_lshlrev_b32_e32 v20, 8, v22
	v_mov_b32_e32 v21, 0
	v_lshl_add_u64 v[14:15], v[14:15], 0, v[20:21]
	global_load_ushort v11, v[14:15], off
	s_waitcnt vmcnt(0)
	v_lshlrev_b32_e32 v11, 16, v11
	v_sub_f32_e32 v11, v11, v13
	v_mul_f32_e32 v11, v18, v11
	v_lshrrev_b32_e32 v11, 16, v11
.LBB642_74:
	s_or_b64 exec, exec, s[0:1]
	s_mov_b32 s0, 0x5040100
	v_perm_b32 v13, v11, v17, s0
	v_lshlrev_b32_e32 v11, 1, v42
	v_perm_b32 v12, v24, v25, s0
	v_lshl_or_b32 v11, v16, 5, v11
	s_movk_i32 s2, 0xff
	ds_write_b64 v11, v[12:13] offset:38912
	v_and_b32_e32 v11, 7, v0
	v_cmp_lt_u32_e32 vcc, s2, v0
	v_and_b32_e32 v12, 8, v0
	v_lshlrev_b32_e32 v17, 3, v11
	v_lshlrev_b32_e32 v30, 7, v11
	v_cndmask_b32_e64 v11, 0, 1, vcc
	v_lshrrev_b32_e32 v0, 1, v0
	v_lshlrev_b32_e32 v24, 13, v11
	v_lshlrev_b32_e32 v11, 3, v1
	v_and_b32_e32 v0, 24, v0
	v_xor_b32_e32 v13, v11, v0
	v_or_b32_e32 v14, 0x440, v13
	v_cmp_eq_u32_e32 vcc, 0, v12
	s_waitcnt lgkmcnt(0)
	s_barrier
	v_cndmask_b32_e32 v12, v14, v13, vcc
	v_or_b32_e32 v12, v12, v43
	v_xor_b32_e32 v31, v12, v17
	v_or_b32_e32 v12, 32, v0
	v_xor_b32_e32 v12, v11, v12
	v_or_b32_e32 v13, 0x440, v12
	v_cndmask_b32_e32 v12, v13, v12, vcc
	v_or_b32_e32 v12, v12, v43
	v_xor_b32_e32 v32, v12, v17
	v_or_b32_e32 v12, 64, v0
	v_xor_b32_e32 v12, v11, v12
	v_xor_b32_e32 v13, 0x440, v12
	v_cndmask_b32_e32 v12, v13, v12, vcc
	v_add3_u32 v22, v24, v31, v30
	v_or_b32_e32 v12, v12, v43
	v_or_b32_e32 v0, 0x60, v0
	v_xor_b32_e32 v33, v12, v17
	ds_read2st64_b64 v[12:15], v10 offset1:1
	ds_read2st64_b64 v[18:21], v10 offset0:2 offset1:3
	v_xor_b32_e32 v0, v11, v0
	ds_read_b64 v[10:11], v22
	v_add3_u32 v23, v24, v32, v30
	v_xor_b32_e32 v22, 0x440, v0
	v_cndmask_b32_e32 v0, v22, v0, vcc
	ds_read_b64 v[22:23], v23
	s_mul_i32 s0, s18, s17
	s_mul_hi_i32 s1, s18, s17
	s_add_u32 s0, s0, s33
	v_or_b32_e32 v0, v0, v43
	s_waitcnt lgkmcnt(1)
	v_mfma_f32_16x16x16_bf16 a[0:3], v[10:11], v[12:13], 0
	s_addc_u32 s1, s1, s46
	v_xor_b32_e32 v17, v0, v17
	s_lshl_b64 s[0:1], s[0:1], 9
	v_add3_u32 v25, v24, v33, v30
	v_add3_u32 v0, v24, v17, v30
	s_add_u32 s0, s20, s0
	ds_read_b64 v[26:27], v25
	ds_read_b64 v[28:29], v0
	s_addc_u32 s1, s21, s1
	v_lshlrev_b32_e32 v0, 2, v16
	s_waitcnt lgkmcnt(2)
	v_mfma_f32_16x16x16_bf16 a[0:3], v[22:23], v[14:15], a[0:3]
	global_load_dwordx4 v[22:25], v0, s[0:1]
	v_add_u32_e32 v0, v31, v30
	v_lshlrev_b32_e32 v10, 6, v1
	ds_read_b64 v[0:1], v0 offset:8192
	v_lshlrev_b32_e32 v11, 2, v47
	s_movk_i32 s2, 0x100
	s_waitcnt lgkmcnt(2)
	v_mfma_f32_16x16x16_bf16 a[0:3], v[26:27], v[18:19], a[0:3]
	v_or3_b32 v10, v10, v11, s2
	v_add_u32_e32 v11, v32, v30
	v_add_u32_e32 v26, v33, v30
	;; [unrolled: 1-line block ×3, first 2 shown]
	ds_read_b64 v[16:17], v11 offset:8192
	ds_read_b64 v[26:27], v26 offset:8192
	;; [unrolled: 1-line block ×3, first 2 shown]
	s_waitcnt lgkmcnt(3)
	v_mfma_f32_16x16x16_bf16 a[4:7], v[0:1], v[12:13], 0
	global_load_dwordx4 v[10:13], v10, s[0:1]
	v_exp_f32_e32 v0, s16
	s_waitcnt vmcnt(1)
	v_exp_f32_e32 v22, v22
	v_mfma_f32_16x16x16_bf16 a[0:3], v[28:29], v[20:21], a[0:3]
	v_exp_f32_e32 v23, v23
	v_exp_f32_e32 v24, v24
	;; [unrolled: 1-line block ×3, first 2 shown]
	v_pk_mul_f32 v[22:23], v[0:1], v[22:23] op_sel_hi:[0,1]
	v_pk_mul_f32 v[24:25], v[0:1], v[24:25] op_sel_hi:[0,1]
	s_nop 1
	v_accvgpr_read_b32 v33, a1
	v_accvgpr_read_b32 v29, a3
	;; [unrolled: 1-line block ×4, first 2 shown]
	s_waitcnt lgkmcnt(2)
	v_mfma_f32_16x16x16_bf16 a[0:3], v[16:17], v[14:15], a[4:7]
	s_waitcnt vmcnt(0)
	v_mov_b32_e32 v14, v13
	v_mov_b32_e32 v13, v12
	;; [unrolled: 1-line block ×3, first 2 shown]
	s_waitcnt lgkmcnt(1)
	v_mfma_f32_16x16x16_bf16 a[0:3], v[26:27], v[18:19], a[0:3]
	v_exp_f32_e32 v10, v10
	v_exp_f32_e32 v11, v12
	;; [unrolled: 1-line block ×3, first 2 shown]
	s_waitcnt lgkmcnt(0)
	v_mfma_f32_16x16x16_bf16 a[0:3], v[30:31], v[20:21], a[0:3]
	v_exp_f32_e32 v13, v14
	v_pk_mul_f32 v[10:11], v[0:1], v[10:11] op_sel_hi:[0,1]
	v_pk_fma_f32 v[6:7], v[6:7], v[22:23], v[32:33]
	v_pk_fma_f32 v[8:9], v[8:9], v[24:25], v[28:29]
	v_pk_mul_f32 v[0:1], v[0:1], v[12:13] op_sel_hi:[0,1]
	s_nop 1
	v_accvgpr_read_b32 v17, a1
	v_accvgpr_read_b32 v15, a3
	;; [unrolled: 1-line block ×4, first 2 shown]
	v_pk_fma_f32 v[2:3], v[2:3], v[10:11], v[16:17]
	v_pk_fma_f32 v[4:5], v[4:5], v[0:1], v[14:15]
.LBB642_75:
	s_add_u32 s0, s12, s14
	s_addc_u32 s1, s13, s15
	v_lshl_add_u64 v[0:1], v[54:55], 2, s[0:1]
	v_mov_b32_e32 v57, 0
	v_lshl_add_u64 v[0:1], v[0:1], 0, v[56:57]
	s_waitcnt vmcnt(1)
	global_store_dwordx4 v[0:1], v[6:9], off
	s_waitcnt vmcnt(1)
	global_store_dwordx4 v[0:1], v[2:5], off offset:256
	s_endpgm
	.section	.rodata,"a",@progbits
	.p2align	6, 0x0
	.amdhsa_kernel _ZN12_GLOBAL__N_139chunk_gated_delta_rule_fwd_h_hip_kernelILi16ELb1ELb1ELb0ELb1ELb1ELb1ELb1ELb0EEEvPK12hip_bfloat16S3_S3_PKfS5_PKvPS1_S8_PvPKiSB_iiiiilll
		.amdhsa_group_segment_fixed_size 40960
		.amdhsa_private_segment_fixed_size 0
		.amdhsa_kernarg_size 136
		.amdhsa_user_sgpr_count 2
		.amdhsa_user_sgpr_dispatch_ptr 0
		.amdhsa_user_sgpr_queue_ptr 0
		.amdhsa_user_sgpr_kernarg_segment_ptr 1
		.amdhsa_user_sgpr_dispatch_id 0
		.amdhsa_user_sgpr_kernarg_preload_length 0
		.amdhsa_user_sgpr_kernarg_preload_offset 0
		.amdhsa_user_sgpr_private_segment_size 0
		.amdhsa_uses_dynamic_stack 0
		.amdhsa_enable_private_segment 0
		.amdhsa_system_sgpr_workgroup_id_x 1
		.amdhsa_system_sgpr_workgroup_id_y 1
		.amdhsa_system_sgpr_workgroup_id_z 0
		.amdhsa_system_sgpr_workgroup_info 0
		.amdhsa_system_vgpr_workitem_id 0
		.amdhsa_next_free_vgpr 128
		.amdhsa_next_free_sgpr 65
		.amdhsa_accum_offset 116
		.amdhsa_reserve_vcc 1
		.amdhsa_float_round_mode_32 0
		.amdhsa_float_round_mode_16_64 0
		.amdhsa_float_denorm_mode_32 3
		.amdhsa_float_denorm_mode_16_64 3
		.amdhsa_dx10_clamp 1
		.amdhsa_ieee_mode 1
		.amdhsa_fp16_overflow 0
		.amdhsa_tg_split 0
		.amdhsa_exception_fp_ieee_invalid_op 0
		.amdhsa_exception_fp_denorm_src 0
		.amdhsa_exception_fp_ieee_div_zero 0
		.amdhsa_exception_fp_ieee_overflow 0
		.amdhsa_exception_fp_ieee_underflow 0
		.amdhsa_exception_fp_ieee_inexact 0
		.amdhsa_exception_int_div_zero 0
	.end_amdhsa_kernel
	.section	.text._ZN12_GLOBAL__N_139chunk_gated_delta_rule_fwd_h_hip_kernelILi16ELb1ELb1ELb0ELb1ELb1ELb1ELb1ELb0EEEvPK12hip_bfloat16S3_S3_PKfS5_PKvPS1_S8_PvPKiSB_iiiiilll,"axG",@progbits,_ZN12_GLOBAL__N_139chunk_gated_delta_rule_fwd_h_hip_kernelILi16ELb1ELb1ELb0ELb1ELb1ELb1ELb1ELb0EEEvPK12hip_bfloat16S3_S3_PKfS5_PKvPS1_S8_PvPKiSB_iiiiilll,comdat
.Lfunc_end642:
	.size	_ZN12_GLOBAL__N_139chunk_gated_delta_rule_fwd_h_hip_kernelILi16ELb1ELb1ELb0ELb1ELb1ELb1ELb1ELb0EEEvPK12hip_bfloat16S3_S3_PKfS5_PKvPS1_S8_PvPKiSB_iiiiilll, .Lfunc_end642-_ZN12_GLOBAL__N_139chunk_gated_delta_rule_fwd_h_hip_kernelILi16ELb1ELb1ELb0ELb1ELb1ELb1ELb1ELb0EEEvPK12hip_bfloat16S3_S3_PKfS5_PKvPS1_S8_PvPKiSB_iiiiilll
                                        ; -- End function
	.section	.AMDGPU.csdata,"",@progbits
; Kernel info:
; codeLenInByte = 7868
; NumSgprs: 71
; NumVgprs: 116
; NumAgprs: 12
; TotalNumVgprs: 128
; ScratchSize: 0
; MemoryBound: 0
; FloatMode: 240
; IeeeMode: 1
; LDSByteSize: 40960 bytes/workgroup (compile time only)
; SGPRBlocks: 8
; VGPRBlocks: 15
; NumSGPRsForWavesPerEU: 71
; NumVGPRsForWavesPerEU: 128
; AccumOffset: 116
; Occupancy: 1
; WaveLimiterHint : 1
; COMPUTE_PGM_RSRC2:SCRATCH_EN: 0
; COMPUTE_PGM_RSRC2:USER_SGPR: 2
; COMPUTE_PGM_RSRC2:TRAP_HANDLER: 0
; COMPUTE_PGM_RSRC2:TGID_X_EN: 1
; COMPUTE_PGM_RSRC2:TGID_Y_EN: 1
; COMPUTE_PGM_RSRC2:TGID_Z_EN: 0
; COMPUTE_PGM_RSRC2:TIDIG_COMP_CNT: 0
; COMPUTE_PGM_RSRC3_GFX90A:ACCUM_OFFSET: 28
; COMPUTE_PGM_RSRC3_GFX90A:TG_SPLIT: 0
	.section	.text._ZN12_GLOBAL__N_139chunk_gated_delta_rule_fwd_h_hip_kernelILi16ELb1ELb0ELb1ELb1ELb1ELb1ELb1ELb0EEEvPK12hip_bfloat16S3_S3_PKfS5_PKvPS1_S8_PvPKiSB_iiiiilll,"axG",@progbits,_ZN12_GLOBAL__N_139chunk_gated_delta_rule_fwd_h_hip_kernelILi16ELb1ELb0ELb1ELb1ELb1ELb1ELb1ELb0EEEvPK12hip_bfloat16S3_S3_PKfS5_PKvPS1_S8_PvPKiSB_iiiiilll,comdat
	.globl	_ZN12_GLOBAL__N_139chunk_gated_delta_rule_fwd_h_hip_kernelILi16ELb1ELb0ELb1ELb1ELb1ELb1ELb1ELb0EEEvPK12hip_bfloat16S3_S3_PKfS5_PKvPS1_S8_PvPKiSB_iiiiilll ; -- Begin function _ZN12_GLOBAL__N_139chunk_gated_delta_rule_fwd_h_hip_kernelILi16ELb1ELb0ELb1ELb1ELb1ELb1ELb1ELb0EEEvPK12hip_bfloat16S3_S3_PKfS5_PKvPS1_S8_PvPKiSB_iiiiilll
	.p2align	8
	.type	_ZN12_GLOBAL__N_139chunk_gated_delta_rule_fwd_h_hip_kernelILi16ELb1ELb0ELb1ELb1ELb1ELb1ELb1ELb0EEEvPK12hip_bfloat16S3_S3_PKfS5_PKvPS1_S8_PvPKiSB_iiiiilll,@function
_ZN12_GLOBAL__N_139chunk_gated_delta_rule_fwd_h_hip_kernelILi16ELb1ELb0ELb1ELb1ELb1ELb1ELb1ELb0EEEvPK12hip_bfloat16S3_S3_PKfS5_PKvPS1_S8_PvPKiSB_iiiiilll: ; @_ZN12_GLOBAL__N_139chunk_gated_delta_rule_fwd_h_hip_kernelILi16ELb1ELb0ELb1ELb1ELb1ELb1ELb1ELb0EEEvPK12hip_bfloat16S3_S3_PKfS5_PKvPS1_S8_PvPKiSB_iiiiilll
; %bb.0:
	s_load_dwordx4 s[12:15], s[0:1], 0x5c
	s_load_dwordx4 s[4:7], s[0:1], 0x48
	s_abs_i32 s9, s3
	s_ashr_i32 s8, s3, 31
	v_and_b32_e32 v64, 15, v0
	s_waitcnt lgkmcnt(0)
	s_abs_i32 s10, s13
	v_cvt_f32_u32_e32 v1, s10
	s_sub_i32 s16, 0, s10
	s_ashr_i32 s11, s13, 31
	s_xor_b32 s8, s8, s11
	v_rcp_iflag_f32_e32 v1, v1
	v_lshrrev_b32_e32 v62, 6, v0
	v_bfe_u32 v63, v0, 4, 2
	v_mov_b32_e32 v5, 0
	v_mul_f32_e32 v1, 0x4f7ffffe, v1
	v_cvt_u32_f32_e32 v1, v1
	v_and_b32_e32 v53, 63, v0
	v_lshrrev_b32_e32 v66, 3, v53
	v_lshlrev_b32_e32 v65, 3, v0
	v_readfirstlane_b32 s17, v1
	s_mul_i32 s16, s16, s17
	s_mul_hi_u32 s16, s17, s16
	s_add_i32 s17, s17, s16
	s_mul_hi_u32 s16, s9, s17
	s_mul_i32 s17, s16, s10
	s_sub_i32 s9, s9, s17
	s_add_i32 s18, s16, 1
	s_sub_i32 s17, s9, s10
	s_cmp_ge_u32 s9, s10
	s_cselect_b32 s16, s18, s16
	s_cselect_b32 s9, s17, s9
	s_add_i32 s17, s16, 1
	s_cmp_ge_u32 s9, s10
	s_cselect_b32 s9, s17, s16
	s_xor_b32 s9, s9, s8
	s_sub_i32 s20, s9, s8
	s_mul_i32 s24, s20, s13
	s_ashr_i32 s21, s20, 31
	s_sub_i32 s49, s3, s24
	s_lshl_b64 s[8:9], s[20:21], 2
	s_add_u32 s4, s4, s8
	s_addc_u32 s5, s5, s9
	s_add_u32 s22, s6, s8
	s_addc_u32 s23, s7, s9
	s_abs_i32 s3, s14
	v_cvt_f32_u32_e32 v1, s3
	s_load_dwordx2 s[34:35], s[4:5], 0x0
	s_lshl_b32 s40, s2, 4
	s_ashr_i32 s2, s14, 31
	v_rcp_iflag_f32_e32 v1, v1
	s_xor_b32 s2, s11, s2
	s_waitcnt lgkmcnt(0)
	s_sub_i32 s52, s35, s34
	s_ashr_i32 s4, s52, 31
	v_mul_f32_e32 v1, 0x4f7ffffe, v1
	v_cvt_u32_f32_e32 v1, v1
	s_lshr_b32 s4, s4, 26
	s_add_i32 s4, s52, s4
	s_ashr_i32 s50, s4, 6
	s_sub_i32 s4, 0, s3
	v_readfirstlane_b32 s5, v1
	s_mul_i32 s4, s4, s5
	s_mul_hi_u32 s4, s5, s4
	s_add_i32 s5, s5, s4
	s_mul_hi_u32 s4, s10, s5
	s_mul_i32 s5, s4, s3
	s_sub_i32 s5, s10, s5
	s_add_i32 s6, s4, 1
	s_sub_i32 s7, s5, s3
	s_cmp_ge_u32 s5, s3
	s_cselect_b32 s4, s6, s4
	s_cselect_b32 s5, s7, s5
	s_add_i32 s6, s4, 1
	s_cmp_ge_u32 s5, s3
	s_cselect_b32 s3, s6, s4
	s_xor_b32 s3, s3, s2
	s_sub_i32 s2, s3, s2
	s_abs_i32 s3, s2
	v_cvt_f32_u32_e32 v1, s3
	s_sub_i32 s5, 0, s3
	s_abs_i32 s4, s49
	s_xor_b32 s2, s49, s2
	v_rcp_iflag_f32_e32 v1, v1
	s_ashr_i32 s2, s2, 31
	s_load_dwordx4 s[16:19], s[0:1], 0x28
	s_load_dwordx2 s[28:29], s[0:1], 0x38
	v_or_b32_e32 v54, s40, v64
	v_mul_f32_e32 v1, 0x4f7ffffe, v1
	v_cvt_u32_f32_e32 v1, v1
	v_lshlrev_b32_e32 v2, 7, v54
	v_ashrrev_i32_e32 v3, 31, v2
	s_mul_hi_i32 s55, s49, s12
	v_readfirstlane_b32 s6, v1
	s_mul_i32 s5, s5, s6
	s_mul_hi_u32 s5, s6, s5
	s_add_i32 s6, s6, s5
	s_mul_hi_u32 s5, s4, s6
	s_mul_i32 s6, s5, s3
	s_sub_i32 s4, s4, s6
	s_add_i32 s6, s5, 1
	s_sub_i32 s7, s4, s3
	s_cmp_ge_u32 s4, s3
	s_cselect_b32 s5, s6, s5
	s_cselect_b32 s4, s7, s4
	s_add_i32 s6, s5, 1
	s_cmp_ge_u32 s4, s3
	s_cselect_b32 s3, s6, s5
	s_xor_b32 s3, s3, s2
	s_sub_i32 s53, s3, s2
	s_ashr_i32 s51, s49, 31
	s_mul_hi_i32 s3, s20, s13
	s_add_u32 s2, s24, s49
	s_addc_u32 s3, s3, s51
	s_lshl_b64 s[2:3], s[2:3], 16
	v_lshlrev_b32_e32 v1, 4, v62
	s_waitcnt lgkmcnt(0)
	s_add_u32 s2, s16, s2
	v_lshl_or_b32 v67, v63, 2, v1
	s_addc_u32 s3, s17, s3
	v_lshl_add_u64 v[2:3], v[2:3], 2, s[2:3]
	v_lshlrev_b32_e32 v4, 2, v67
	v_lshl_add_u64 v[10:11], v[2:3], 0, v[4:5]
	global_load_dwordx4 v[6:9], v[10:11], off
	global_load_dwordx4 v[2:5], v[10:11], off offset:256
	s_load_dwordx8 s[4:11], s[0:1], 0x0
	s_load_dwordx2 s[30:31], s[0:1], 0x80
	s_load_dwordx4 s[24:27], s[0:1], 0x70
	s_load_dword s54, s[22:23], 0x0
	v_or_b32_e32 v68, 64, v67
	s_cmp_lt_i32 s52, 64
	s_mul_i32 s56, s49, s12
	s_waitcnt lgkmcnt(0)
	s_mul_i32 s33, s20, s25
	s_mul_hi_u32 s45, s20, s24
	s_mul_i32 s46, s21, s24
	s_mul_i32 s38, s20, s24
	;; [unrolled: 1-line block ×3, first 2 shown]
	s_mul_hi_u32 s47, s49, s26
	s_mul_i32 s48, s51, s26
	s_mul_i32 s36, s49, s26
	s_cbranch_scc1 .LBB643_18
; %bb.1:
	s_ashr_i32 s3, s34, 31
	s_add_u32 s2, s56, s34
	s_addc_u32 s3, s55, s3
	s_lshl_b64 s[2:3], s[2:3], 8
	v_and_b32_e32 v70, 56, v65
	s_add_u32 s20, s6, s2
	v_lshl_or_b32 v69, v62, 3, v66
	v_lshlrev_b32_e32 v10, 1, v70
	s_addc_u32 s2, s7, s3
	v_lshl_or_b32 v71, v69, 8, v10
	s_and_b32 s21, s2, 0xffff
	s_mov_b32 s23, 0x20000
	s_movk_i32 s22, 0x4000
	s_movk_i32 s2, 0x80
	v_or_b32_e32 v72, 0x2000, v71
	buffer_load_dwordx4 v[12:15], v71, s[20:23], 0 offen
	buffer_load_dwordx4 v[16:19], v71, s[20:23], s2 offen
	;; [unrolled: 1-line block ×4, first 2 shown]
	v_lshlrev_b32_e32 v11, 3, v69
	v_and_or_b32 v29, v0, 7, v11
	v_and_b32_e32 v11, 0x78, v11
	v_lshlrev_b32_e32 v29, 4, v29
	v_xor_b32_e32 v73, v29, v11
	v_mul_lo_u32 v28, v69, s15
	v_or_b32_e32 v74, 0x1000, v73
	v_xor_b32_e32 v11, 8, v73
	s_cmpk_eq_i32 s15, 0x80
	s_mov_b32 s57, s34
	v_xor_b32_e32 v29, 8, v74
	s_cselect_b64 s[2:3], -1, 0
	s_cmpk_lg_i32 s15, 0x80
	s_waitcnt vmcnt(3)
	ds_write_b64 v73, v[12:13] offset:16384
	ds_write_b64 v11, v[14:15] offset:16384
	s_waitcnt vmcnt(2)
	ds_write_b64 v73, v[16:17] offset:24576
	ds_write_b64 v11, v[18:19] offset:24576
	s_waitcnt vmcnt(1)
	ds_write_b64 v73, v[20:21] offset:20480
	ds_write_b64 v29, v[22:23] offset:16384
	s_waitcnt vmcnt(0)
	ds_write_b64 v73, v[24:25] offset:28672
	ds_write_b64 v29, v[26:27] offset:24576
	v_lshl_add_u32 v11, v28, 1, v70
	s_cbranch_scc0 .LBB643_3
; %bb.2:
	v_lshlrev_b32_e32 v13, 1, v11
	v_add_lshl_u32 v12, v11, s15, 1
	s_lshl_b32 s22, s15, 7
	s_load_dwordx2 s[16:17], s[0:1], 0x20
	v_lshl_or_b32 v10, v69, 9, v10
	s_cbranch_execz .LBB643_4
	s_branch .LBB643_5
.LBB643_3:
                                        ; implicit-def: $vgpr12
                                        ; implicit-def: $vgpr13
                                        ; implicit-def: $sgpr22
	s_load_dwordx2 s[16:17], s[0:1], 0x20
	v_lshl_or_b32 v10, v69, 9, v10
.LBB643_4:
	v_or_b32_e32 v12, 0x100, v10
	s_movk_i32 s22, 0x4000
	v_mov_b32_e32 v13, v10
.LBB643_5:
	s_mul_i32 s0, s34, s14
	s_ashr_i32 s58, s53, 31
	s_mul_hi_i32 s1, s34, s14
	s_add_u32 s0, s0, s53
	s_addc_u32 s1, s1, s58
	s_lshl_b64 s[0:1], s[0:1], 8
	s_add_u32 s20, s4, s0
	s_addc_u32 s0, s5, s1
	s_and_b32 s21, s0, 0xffff
	s_movk_i32 s59, 0x80
	buffer_load_dwordx4 v[14:17], v13, s[20:23], 0 offen
	buffer_load_dwordx4 v[18:21], v13, s[20:23], s59 offen
	;; [unrolled: 1-line block ×4, first 2 shown]
	v_and_b32_e32 v12, 6, v0
	v_lshlrev_b32_e32 v30, 2, v64
	v_lshlrev_b32_e32 v31, 3, v64
	v_xor_b32_e32 v35, v69, v12
	v_and_b32_e32 v13, 1, v0
	v_lshl_or_b32 v31, v67, 5, v31
	v_xor_b32_e32 v36, v67, v30
	v_lshlrev_b32_e32 v35, 2, v35
	s_add_i32 s0, s45, s33
	v_or_b32_e32 v75, 0x9000, v31
	v_or_b32_e32 v76, 0x9800, v31
	v_lshlrev_b32_e32 v31, 1, v36
	v_xor_b32_e32 v36, 0x440, v35
	v_cmp_eq_u32_e32 vcc, 0, v13
	s_add_i32 s1, s47, s44
	s_add_i32 s39, s0, s46
	v_cndmask_b32_e32 v13, v36, v35, vcc
	s_add_i32 s37, s1, s48
	s_lshl_b64 s[0:1], s[38:39], 2
	s_mov_b32 s60, 0x1000504
	s_mov_b32 s61, 0x3020706
	v_lshlrev_b32_e32 v32, 8, v64
	s_mov_b32 s20, 0x8000
	v_xor_b32_e32 v30, v68, v30
	v_lshl_or_b32 v12, v12, 10, v13
	s_add_u32 s21, s10, s0
	v_or_b32_e32 v33, v1, v64
	v_lshlrev_b32_e32 v30, 1, v30
	v_or3_b32 v77, v31, v32, s20
	v_xor_b32_e32 v13, 8, v12
	v_xor_b32_e32 v31, 24, v12
	;; [unrolled: 1-line block ×4, first 2 shown]
	s_addc_u32 s22, s11, s1
	s_lshl_b64 s[0:1], s[36:37], 2
	v_or3_b32 v78, v30, v32, s20
	v_xor_b32_e32 v30, 16, v12
	v_xor_b32_e32 v32, 32, v12
	;; [unrolled: 1-line block ×3, first 2 shown]
	v_add_u32_e32 v13, 0x80, v13
	v_add_u32_e32 v31, 0x80, v31
	;; [unrolled: 1-line block ×4, first 2 shown]
	s_add_u32 s42, s21, s0
	s_movk_i32 s0, 0xf8
	s_addc_u32 s43, s22, s1
	s_ashr_i32 s41, s40, 31
	v_ashrrev_i32_e32 v55, 31, v54
	s_lshl_b32 s26, s15, 7
	v_lshrrev_b32_e32 v34, 2, v53
	s_mov_b32 s62, 0
	s_mov_b32 s37, 0x7060302
	s_movk_i32 s22, 0x4000
	s_waitcnt vmcnt(1)
	v_perm_b32 v38, v14, v22, s60
	s_waitcnt vmcnt(0)
	v_perm_b32 v39, v18, v26, s60
	v_perm_b32 v14, v14, v22, s61
	;; [unrolled: 1-line block ×15, first 2 shown]
	ds_write2st64_b32 v12, v38, v39 offset1:32
	ds_write2st64_b32 v13, v14, v18 offset1:32
	ds_write2st64_b32 v30, v22, v26 offset0:1 offset1:33
	ds_write2st64_b32 v31, v15, v19 offset0:1 offset1:33
	;; [unrolled: 1-line block ×6, first 2 shown]
	v_lshlrev_b32_e32 v12, 3, v33
	v_lshrrev_b32_e32 v14, 5, v53
	v_and_or_b32 v14, v12, s0, v14
	v_lshlrev_b32_e32 v14, 4, v14
	v_lshlrev_b32_e32 v21, 11, v62
	v_and_b32_e32 v12, 0x78, v12
	v_or_b32_e32 v17, 32, v14
	v_and_b32_e32 v13, 0x1000, v21
	v_lshrrev_b32_e32 v16, 1, v53
	v_xor_b32_e32 v17, v17, v12
	v_and_b32_e32 v16, 8, v16
	v_or_b32_e32 v17, v17, v13
	v_xor_b32_e32 v15, v14, v12
	v_xor_b32_e32 v81, v17, v16
	v_or_b32_e32 v17, 64, v14
	v_or_b32_e32 v14, 0x60, v14
	v_xor_b32_e32 v17, v17, v12
	v_xor_b32_e32 v12, v14, v12
	v_or_b32_e32 v15, v15, v13
	v_or_b32_e32 v17, v17, v13
	;; [unrolled: 1-line block ×3, first 2 shown]
	v_xor_b32_e32 v79, v15, v16
	v_xor_b32_e32 v82, v17, v16
	;; [unrolled: 1-line block ×3, first 2 shown]
	v_lshrrev_b32_e32 v16, 4, v0
	v_lshlrev_b32_e32 v17, 1, v64
	v_or_b32_e32 v18, 1, v17
	v_xor_b32_e32 v17, v16, v17
	s_lshl_b64 s[0:1], s[40:41], 8
	v_xor_b32_e32 v18, v18, v16
	v_lshlrev_b32_e32 v17, 3, v17
	v_lshlrev_b32_e32 v16, 8, v16
	v_lshlrev_b64 v[12:13], 1, v[54:55]
	s_add_u32 s0, s18, s0
	v_or3_b32 v55, v17, v16, s20
	v_lshlrev_b32_e32 v17, 3, v18
	s_addc_u32 s1, s19, s1
	v_or3_b32 v85, v17, v16, s20
	v_mov_b32_e32 v17, 0
	v_lshrrev_b32_e32 v27, 1, v0
	v_lshl_add_u64 v[18:19], s[0:1], 0, v[16:17]
	v_lshlrev_b32_e32 v16, 4, v64
	s_movk_i32 s0, 0xff
	v_lshlrev_b32_e32 v26, 3, v62
	v_and_b32_e32 v27, 24, v27
	v_lshl_add_u64 v[56:57], v[18:19], 0, v[16:17]
	v_and_b32_e32 v16, 7, v0
	v_and_b32_e32 v19, 8, v0
	v_cmp_lt_u32_e32 vcc, s0, v0
	v_xor_b32_e32 v28, v26, v27
	v_lshlrev_b32_e32 v24, 3, v16
	v_lshlrev_b32_e32 v25, 7, v16
	v_cndmask_b32_e64 v16, 0, 1, vcc
	v_or_b32_e32 v29, 0x440, v28
	v_cmp_eq_u32_e32 vcc, 0, v19
	v_or_b32_e32 v31, 64, v27
	v_xor_b32_e32 v31, v26, v31
	v_cndmask_b32_e32 v19, v29, v28, vcc
	v_or_b32_e32 v29, 32, v27
	v_or_b32_e32 v27, 0x60, v27
	v_xor_b32_e32 v29, v26, v29
	v_xor_b32_e32 v26, v26, v27
	v_or_b32_e32 v30, 0x440, v29
	v_xor_b32_e32 v32, 0x440, v31
	v_xor_b32_e32 v27, 0x440, v26
	v_cndmask_b32_e32 v29, v30, v29, vcc
	v_cndmask_b32_e32 v31, v32, v31, vcc
	v_cndmask_b32_e32 v26, v27, v26, vcc
	v_and_b32_e32 v15, 0x78, v65
	v_or_b32_e32 v19, v19, v21
	v_or_b32_e32 v29, v29, v21
	v_or_b32_e32 v31, v31, v21
	v_or_b32_e32 v21, v26, v21
	v_and_b32_e32 v20, 12, v34
	v_lshl_or_b32 v15, v63, 7, v15
	v_lshlrev_b32_e32 v16, 13, v16
	v_xor_b32_e32 v19, v19, v24
	v_xor_b32_e32 v29, v29, v24
	;; [unrolled: 1-line block ×4, first 2 shown]
	v_or_b32_e32 v80, 0x9000, v15
	v_or_b32_e32 v84, 0x9800, v15
	v_lshl_add_u64 v[14:15], s[8:9], 0, v[12:13]
	v_lshl_add_u64 v[12:13], s[28:29], 0, v[12:13]
	v_lshlrev_b32_e32 v22, 1, v11
	v_add_lshl_u32 v11, v11, s15, 1
	v_or_b32_e32 v23, 0x100, v10
	v_or_b32_e32 v18, v20, v1
	v_add_u32_e32 v28, v16, v19
	v_add_u32_e32 v30, v16, v29
	v_add_u32_e32 v32, v16, v31
	v_add_u32_e32 v24, v16, v21
	v_or3_b32 v20, v1, v20, 64
	v_add_u32_e32 v19, 0x2000, v19
	v_add_u32_e32 v26, 0x2000, v29
	;; [unrolled: 1-line block ×4, first 2 shown]
	v_lshlrev_b32_e32 v16, 8, v67
	v_cndmask_b32_e64 v86, v22, v10, s[2:3]
	v_cndmask_b32_e64 v87, v11, v23, s[2:3]
	v_lshl_add_u64 v[58:59], v[14:15], 0, v[16:17]
	v_lshl_add_u64 v[60:61], v[12:13], 0, v[16:17]
	v_lshlrev_b32_e32 v88, 2, v18
	v_add_u32_e32 v89, v28, v25
	v_add_u32_e32 v90, v30, v25
	;; [unrolled: 1-line block ×4, first 2 shown]
	v_lshlrev_b32_e32 v93, 2, v20
	v_add_u32_e32 v94, v19, v25
	v_add_u32_e32 v95, v26, v25
	;; [unrolled: 1-line block ×4, first 2 shown]
	s_waitcnt lgkmcnt(0)
	s_barrier
.LBB643_6:                              ; =>This Inner Loop Header: Depth=1
	s_add_i32 s39, s62, 1
	s_cmp_lt_i32 s39, s50
	s_mov_b64 s[24:25], 0
	s_cselect_b64 s[2:3], -1, 0
	s_cmp_ge_i32 s39, s50
	s_mov_b64 s[20:21], 0
	s_cbranch_scc1 .LBB643_8
; %bb.7:                                ;   in Loop: Header=BB643_6 Depth=1
	s_add_i32 s0, s57, 64
	s_ashr_i32 s1, s0, 31
	s_add_u32 s0, s56, s0
	s_addc_u32 s1, s55, s1
	s_lshl_b64 s[0:1], s[0:1], 8
	s_add_u32 s20, s6, s0
	s_addc_u32 s21, s7, s1
.LBB643_8:                              ;   in Loop: Header=BB643_6 Depth=1
	v_cndmask_b32_e64 v10, 0, 1, s[2:3]
	v_cmp_ne_u32_e64 s[0:1], 1, v10
	s_andn2_b64 vcc, exec, s[2:3]
	s_cbranch_vccnz .LBB643_10
; %bb.9:                                ;   in Loop: Header=BB643_6 Depth=1
	s_add_i32 s2, s57, 64
	s_mul_hi_i32 s3, s2, s14
	s_mul_i32 s2, s2, s14
	s_add_u32 s2, s2, s53
	s_addc_u32 s3, s3, s58
	s_lshl_b64 s[2:3], s[2:3], 8
	s_add_u32 s24, s4, s2
	s_addc_u32 s25, s5, s3
.LBB643_10:                             ;   in Loop: Header=BB643_6 Depth=1
	v_perm_b32 v11, v9, v8, s37
	v_perm_b32 v10, v7, v6, s37
	;; [unrolled: 1-line block ×4, first 2 shown]
	ds_write_b64 v75, v[10:11]
	ds_write_b64 v76, v[12:13]
	;; [unrolled: 1-line block ×4, first 2 shown]
	s_waitcnt lgkmcnt(0)
	s_barrier
	ds_read_b64 v[18:19], v79 offset:16384
	ds_read_b64 v[20:21], v81 offset:16384
	ds_read2st64_b64 v[10:13], v80 offset1:1
	s_waitcnt lgkmcnt(0)
	v_mfma_f32_16x16x16_bf16 a[0:3], v[18:19], v[10:11], 0
	ds_read2st64_b64 v[14:17], v80 offset0:2 offset1:3
	ds_read_b64 v[22:23], v82 offset:16384
	ds_read_b64 v[10:11], v83 offset:16384
	s_add_i32 s41, s57, 63
	v_mfma_f32_16x16x16_bf16 a[0:3], v[20:21], v[12:13], a[0:3]
	s_ashr_i32 s2, s41, 31
	s_mul_i32 s3, s41, s31
	s_mul_hi_u32 s27, s41, s30
	s_waitcnt lgkmcnt(1)
	v_mfma_f32_16x16x16_bf16 a[0:3], v[22:23], v[14:15], a[0:3]
	s_add_i32 s3, s27, s3
	s_mul_i32 s2, s2, s30
	s_add_i32 s3, s3, s2
	s_mul_i32 s2, s41, s30
	s_waitcnt lgkmcnt(0)
	v_mfma_f32_16x16x16_bf16 a[0:3], v[10:11], v[16:17], a[0:3]
	s_lshl_b64 s[2:3], s[2:3], 2
	s_add_u32 s2, s42, s2
	s_addc_u32 s3, s43, s3
	s_and_b64 vcc, exec, s[0:1]
	v_mov_b32_e32 v100, 0
	v_mov_b32_e32 v99, 0
	;; [unrolled: 1-line block ×19, first 2 shown]
	s_cbranch_vccnz .LBB643_12
; %bb.11:                               ;   in Loop: Header=BB643_6 Depth=1
	s_and_b32 s21, s21, 0xffff
	buffer_load_dwordx4 v[22:25], v71, s[20:23], 0 offen
	buffer_load_dwordx4 v[18:21], v71, s[20:23], s59 offen
	;; [unrolled: 1-line block ×4, first 2 shown]
	v_mov_b32_e32 v99, v73
	v_mov_b32_e32 v98, v74
.LBB643_12:                             ;   in Loop: Header=BB643_6 Depth=1
	v_add_u32_e32 v30, s57, v67
	v_ashrrev_i32_e32 v26, 31, v30
	v_mul_lo_u32 v28, v26, s30
	v_mul_lo_u32 v29, v30, s31
	v_mad_u64_u32 v[26:27], s[20:21], v30, s30, 0
	v_add3_u32 v27, v27, v29, v28
	v_lshl_add_u64 v[26:27], v[26:27], 2, s[42:43]
	global_load_dword v44, v[26:27], off
	v_add_u32_e32 v26, 1, v30
	v_ashrrev_i32_e32 v27, 31, v26
	v_mul_lo_u32 v28, v27, s30
	v_mul_lo_u32 v29, v26, s31
	v_mad_u64_u32 v[26:27], s[20:21], v26, s30, 0
	v_add3_u32 v27, v27, v29, v28
	v_add_u32_e32 v28, 2, v30
	v_ashrrev_i32_e32 v29, 31, v28
	v_mul_lo_u32 v31, v29, s30
	v_mul_lo_u32 v32, v28, s31
	v_mad_u64_u32 v[28:29], s[20:21], v28, s30, 0
	v_add_u32_e32 v30, 3, v30
	v_add3_u32 v29, v29, v32, v31
	v_ashrrev_i32_e32 v31, 31, v30
	v_mul_lo_u32 v34, v31, s30
	v_mul_lo_u32 v35, v30, s31
	v_mad_u64_u32 v[30:31], s[20:21], v30, s30, 0
	s_ashr_i32 s21, s57, 31
	s_add_u32 s20, s56, s57
	s_addc_u32 s21, s55, s21
	s_lshl_b64 s[20:21], s[20:21], 8
	v_lshl_add_u64 v[26:27], v[26:27], 2, s[42:43]
	v_lshl_add_u64 v[32:33], v[58:59], 0, s[20:21]
	v_add3_u32 v31, v31, v35, v34
	v_lshl_add_u64 v[28:29], v[28:29], 2, s[42:43]
	global_load_ushort v45, v[32:33], off
	global_load_ushort v46, v[32:33], off offset:256
	global_load_ushort v47, v[32:33], off offset:512
	;; [unrolled: 1-line block ×3, first 2 shown]
	v_lshl_add_u64 v[30:31], v[30:31], 2, s[42:43]
	global_load_dword v49, v[26:27], off
	global_load_dword v50, v[28:29], off
	;; [unrolled: 1-line block ×3, first 2 shown]
	s_load_dword s2, s[2:3], 0x0
	ds_read_b64 v[28:29], v79 offset:24576
	ds_read2st64_b64 v[30:33], v84 offset1:1
	ds_read2st64_b64 v[34:37], v84 offset0:2 offset1:3
	ds_read_b64 v[38:39], v81 offset:24576
	ds_read_b64 v[40:41], v82 offset:24576
	;; [unrolled: 1-line block ×3, first 2 shown]
	s_waitcnt lgkmcnt(0)
	v_mfma_f32_16x16x16_bf16 a[0:3], v[28:29], v[30:31], a[0:3]
	v_mov_b32_e32 v101, 0
	v_mov_b32_e32 v26, 0
	;; [unrolled: 1-line block ×3, first 2 shown]
	v_mfma_f32_16x16x16_bf16 a[0:3], v[38:39], v[32:33], a[0:3]
	v_lshl_add_u64 v[38:39], v[60:61], 0, s[20:21]
	v_mov_b32_e32 v28, 0
	v_mov_b32_e32 v29, 0
	v_mfma_f32_16x16x16_bf16 a[0:3], v[40:41], v[34:35], a[0:3]
	v_mov_b32_e32 v30, 0
	v_mov_b32_e32 v31, 0
	;; [unrolled: 1-line block ×3, first 2 shown]
	v_mfma_f32_16x16x16_bf16 a[0:3], v[42:43], v[36:37], a[0:3]
	v_mov_b32_e32 v33, 0
	v_mov_b32_e32 v34, 0
	s_and_b64 vcc, exec, s[0:1]
	s_waitcnt vmcnt(7)
	v_sub_f32_e32 v35, s2, v44
	s_nop 1
	v_accvgpr_read_b32 v41, a1
	v_accvgpr_read_b32 v40, a0
	v_accvgpr_read_b32 v37, a3
	v_accvgpr_read_b32 v36, a2
	s_waitcnt vmcnt(6)
	v_lshlrev_b32_e32 v42, 16, v45
	s_waitcnt vmcnt(5)
	v_lshlrev_b32_e32 v43, 16, v46
	v_exp_f32_e32 v46, v35
	s_waitcnt vmcnt(3)
	v_lshlrev_b32_e32 v45, 16, v48
	s_waitcnt vmcnt(2)
	v_sub_f32_e32 v35, s2, v49
	s_waitcnt vmcnt(1)
	v_sub_f32_e32 v48, s2, v50
	;; [unrolled: 2-line block ×3, first 2 shown]
	v_lshlrev_b32_e32 v44, 16, v47
	v_pk_add_f32 v[40:41], v[42:43], v[40:41] neg_lo:[0,1] neg_hi:[0,1]
	v_exp_f32_e32 v47, v35
	v_exp_f32_e32 v42, v48
	;; [unrolled: 1-line block ×3, first 2 shown]
	v_pk_add_f32 v[36:37], v[44:45], v[36:37] neg_lo:[0,1] neg_hi:[0,1]
	global_store_short_d16_hi v[38:39], v40, off
	global_store_short_d16_hi v[38:39], v41, off offset:256
	global_store_short_d16_hi v[38:39], v36, off offset:512
	;; [unrolled: 1-line block ×3, first 2 shown]
	v_pk_mul_f32 v[38:39], v[46:47], v[40:41]
	v_pk_mul_f32 v[36:37], v[42:43], v[36:37]
	v_perm_b32 v38, v39, v38, s37
	v_perm_b32 v39, v37, v36, s37
	ds_write_b64 v76, v[38:39]
	v_mov_b32_e32 v35, 0
	v_mov_b32_e32 v36, 0
	;; [unrolled: 1-line block ×7, first 2 shown]
	s_cbranch_vccnz .LBB643_14
; %bb.13:                               ;   in Loop: Header=BB643_6 Depth=1
	s_and_b32 s25, s25, 0xffff
	s_mov_b32 s27, s23
	buffer_load_dwordx4 v[38:41], v86, s[24:27], 0 offen
	buffer_load_dwordx4 v[30:33], v86, s[24:27], s59 offen
	;; [unrolled: 1-line block ×4, first 2 shown]
	v_mov_b32_e32 v100, v70
	v_mov_b32_e32 v101, v69
.LBB643_14:                             ;   in Loop: Header=BB643_6 Depth=1
	s_waitcnt lgkmcnt(0)
	s_barrier
	ds_read_b64 v[42:43], v89
	ds_read_b64 v[48:49], v90
	ds_read2st64_b64 v[44:47], v84 offset1:1
	ds_read2st64_b64 v[102:105], v84 offset0:2 offset1:3
	ds_read_b64 v[50:51], v91
	ds_read_b64 v[110:111], v92
	s_add_i32 s3, s54, s62
	s_mul_hi_i32 s21, s3, s13
	s_mul_i32 s3, s3, s13
	s_waitcnt lgkmcnt(3)
	v_mfma_f32_16x16x16_bf16 a[0:3], v[42:43], v[44:45], 0
	ds_read_b64 v[42:43], v94
	s_add_u32 s20, s3, s49
	s_addc_u32 s21, s21, s51
	v_mfma_f32_16x16x16_bf16 a[0:3], v[48:49], v[46:47], a[0:3]
	ds_read_b64 v[48:49], v95
	s_lshl_b64 s[20:21], s[20:21], 15
	s_mul_i32 s24, s41, s13
	s_mul_hi_i32 s3, s41, s13
	s_add_u32 s24, s24, s49
	s_addc_u32 s25, s3, s51
	s_lshl_b64 s[24:25], s[24:25], 9
	s_add_u32 s24, s16, s24
	s_waitcnt lgkmcnt(1)
	v_mfma_f32_16x16x16_bf16 a[4:7], v[42:43], v[44:45], 0
	s_addc_u32 s25, s17, s25
	s_and_b64 vcc, exec, s[0:1]
	v_mfma_f32_16x16x16_bf16 a[0:3], v[50:51], v[102:103], a[0:3]
	ds_read_b64 v[50:51], v96
	ds_read_b64 v[112:113], v97
	global_load_dwordx4 v[42:45], v93, s[24:25]
	s_waitcnt lgkmcnt(2)
	v_mfma_f32_16x16x16_bf16 a[4:7], v[48:49], v[46:47], a[4:7]
	global_load_dwordx4 v[46:49], v88, s[24:25]
	ds_read_b64 v[106:107], v55
	ds_read_b64 v[108:109], v85
	s_waitcnt lgkmcnt(3)
	v_mfma_f32_16x16x16_bf16 a[8:11], v[50:51], v[102:103], a[4:7]
	v_lshl_add_u64 v[50:51], v[56:57], 0, s[20:21]
	s_waitcnt lgkmcnt(0)
	global_store_dwordx4 v[50:51], v[106:109], off
	v_mfma_f32_16x16x16_bf16 a[4:7], v[110:111], v[104:105], a[0:3]
	s_waitcnt vmcnt(2)
	v_mov_b32_e32 v52, v45
	v_mfma_f32_16x16x16_bf16 a[0:3], v[112:113], v[104:105], a[8:11]
	v_mov_b32_e32 v51, v44
	v_mov_b32_e32 v50, v43
	s_cbranch_vccnz .LBB643_16
; %bb.15:                               ;   in Loop: Header=BB643_6 Depth=1
	v_lshrrev_b32_e32 v43, 3, v100
	v_and_b32_e32 v43, 6, v43
	v_xor_b32_e32 v44, v43, v101
	v_lshlrev_b32_e32 v44, 2, v44
	v_and_b32_e32 v45, 8, v100
	v_xor_b32_e32 v100, 0x440, v44
	v_cmp_eq_u32_e32 vcc, 0, v45
	v_perm_b32 v45, v30, v26, s60
	s_nop 0
	v_cndmask_b32_e32 v44, v100, v44, vcc
	v_lshl_or_b32 v43, v43, 10, v44
	v_perm_b32 v44, v38, v34, s60
	s_barrier
	ds_write2st64_b32 v43, v44, v45 offset1:32
	v_xor_b32_e32 v44, 8, v43
	v_perm_b32 v34, v38, v34, s61
	v_perm_b32 v26, v30, v26, s61
	v_add_u32_e32 v30, 0x80, v44
	ds_write2st64_b32 v30, v34, v26 offset1:32
	v_xor_b32_e32 v26, 16, v43
	v_perm_b32 v30, v39, v35, s60
	v_perm_b32 v34, v31, v27, s60
	ds_write2st64_b32 v26, v30, v34 offset0:1 offset1:33
	v_xor_b32_e32 v26, 24, v43
	v_perm_b32 v30, v39, v35, s61
	v_perm_b32 v27, v31, v27, s61
	v_add_u32_e32 v26, 0x80, v26
	ds_write2st64_b32 v26, v30, v27 offset0:1 offset1:33
	v_xor_b32_e32 v26, 32, v43
	v_perm_b32 v27, v40, v36, s60
	v_perm_b32 v30, v32, v28, s60
	ds_write2st64_b32 v26, v27, v30 offset0:2 offset1:34
	v_xor_b32_e32 v26, 40, v43
	v_perm_b32 v27, v40, v36, s61
	v_perm_b32 v28, v32, v28, s61
	v_add_u32_e32 v26, 0x80, v26
	ds_write2st64_b32 v26, v27, v28 offset0:2 offset1:34
	;; [unrolled: 9-line block ×3, first 2 shown]
	ds_write_b64 v99, v[22:23] offset:16384
	v_xor_b32_e32 v22, 8, v99
	ds_write_b64 v22, v[24:25] offset:16384
	ds_write_b64 v99, v[18:19] offset:24576
	;; [unrolled: 1-line block ×4, first 2 shown]
	v_xor_b32_e32 v14, 8, v98
	ds_write_b64 v14, v[16:17] offset:16384
	ds_write_b64 v98, v[10:11] offset:24576
	;; [unrolled: 1-line block ×3, first 2 shown]
.LBB643_16:                             ;   in Loop: Header=BB643_6 Depth=1
	v_exp_f32_e32 v18, s2
	s_waitcnt vmcnt(1)
	v_exp_f32_e32 v20, v46
	v_exp_f32_e32 v21, v47
	;; [unrolled: 1-line block ×4, first 2 shown]
	v_accvgpr_read_b32 v13, a7
	v_accvgpr_read_b32 v11, a5
	;; [unrolled: 1-line block ×3, first 2 shown]
	v_pk_mul_f32 v[20:21], v[18:19], v[20:21] op_sel_hi:[0,1]
	v_pk_fma_f32 v[6:7], v[6:7], v[20:21], v[10:11]
	v_exp_f32_e32 v20, v42
	v_exp_f32_e32 v21, v50
	v_pk_mul_f32 v[10:11], v[18:19], v[22:23] op_sel_hi:[0,1]
	v_exp_f32_e32 v22, v51
	v_exp_f32_e32 v23, v52
	v_accvgpr_read_b32 v12, a6
	v_accvgpr_read_b32 v17, a3
	;; [unrolled: 1-line block ×4, first 2 shown]
	v_pk_fma_f32 v[8:9], v[8:9], v[10:11], v[12:13]
	v_pk_mul_f32 v[10:11], v[18:19], v[20:21] op_sel_hi:[0,1]
	v_accvgpr_read_b32 v16, a2
	v_pk_fma_f32 v[2:3], v[2:3], v[10:11], v[14:15]
	v_pk_mul_f32 v[10:11], v[18:19], v[22:23] op_sel_hi:[0,1]
	s_add_i32 s57, s57, 64
	s_cmp_eq_u32 s50, s39
	v_pk_fma_f32 v[4:5], v[4:5], v[10:11], v[16:17]
	s_cbranch_scc1 .LBB643_18
; %bb.17:                               ;   in Loop: Header=BB643_6 Depth=1
	s_mov_b32 s62, s39
	s_branch .LBB643_6
.LBB643_18:
	s_lshl_b32 s26, s50, 6
	s_sub_i32 s27, s52, s26
	s_cmp_gt_i32 s27, 0
	s_cbranch_scc0 .LBB643_75
; %bb.19:
	s_add_i32 s26, s26, s34
	s_ashr_i32 s2, s26, 31
	s_cmpk_lg_i32 s15, 0x80
	s_cselect_b64 s[22:23], -1, 0
	s_and_b64 vcc, exec, s[22:23]
	s_cbranch_vccz .LBB643_21
; %bb.20:
	s_mul_i32 s1, s26, s14
	s_ashr_i32 s3, s53, 31
	s_mul_hi_i32 s0, s26, s14
	s_add_u32 s24, s1, s53
	s_addc_u32 s25, s0, s3
	s_cbranch_execz .LBB643_22
	s_branch .LBB643_23
.LBB643_21:
                                        ; implicit-def: $sgpr24_sgpr25
.LBB643_22:
	s_mul_i32 s1, s53, s12
	s_mul_hi_i32 s0, s53, s12
	s_add_u32 s24, s1, s26
	s_addc_u32 s25, s0, s2
.LBB643_23:
	s_add_i32 s3, s50, s54
	s_add_u32 s0, s56, s26
	s_addc_u32 s1, s55, s2
	s_mov_b32 s2, 0x7060302
	s_waitcnt vmcnt(0)
	v_perm_b32 v5, v5, v4, s2
	v_perm_b32 v4, v3, v2, s2
	v_lshlrev_b32_e32 v2, 3, v64
	s_lshl_b64 s[20:21], s[0:1], 8
	v_perm_b32 v9, v9, v8, s2
	v_perm_b32 v8, v7, v6, s2
	v_lshlrev_b32_e32 v34, 2, v64
	v_lshl_or_b32 v2, v67, 5, v2
	s_add_u32 s0, s6, s20
	ds_write2st64_b64 v2, v[8:9], v[4:5] offset0:72 offset1:76
	v_xor_b32_e32 v2, v67, v34
	v_lshlrev_b32_e32 v3, 8, v64
	s_addc_u32 s1, s7, s21
	v_lshl_or_b32 v2, v2, 1, v3
	s_mul_hi_i32 s6, s3, s13
	s_mul_i32 s3, s3, s13
	ds_write_b64 v2, v[8:9] offset:32768
	v_xor_b32_e32 v2, v68, v34
	s_add_u32 s2, s3, s49
	v_lshl_or_b32 v2, v2, 1, v3
	s_addc_u32 s3, s6, s51
	v_lshlrev_b32_e32 v3, 1, v64
	ds_write_b64 v2, v[4:5] offset:32768
	v_lshrrev_b32_e32 v2, 4, v0
	s_ashr_i32 s41, s40, 31
	s_lshl_b64 s[2:3], s[2:3], 15
	v_or_b32_e32 v4, 1, v3
	s_add_u32 s6, s18, s2
	v_xor_b32_e32 v3, v2, v3
	v_xor_b32_e32 v4, v4, v2
	v_lshlrev_b32_e32 v6, 8, v2
	s_addc_u32 s7, s19, s3
	s_lshl_b64 s[2:3], s[40:41], 8
	v_lshl_or_b32 v2, v3, 3, v6
	v_lshl_or_b32 v4, v4, 3, v6
	s_waitcnt lgkmcnt(0)
	s_barrier
	s_add_u32 s2, s6, s2
	ds_read_b64 v[2:3], v2 offset:32768
	ds_read_b64 v[4:5], v4 offset:32768
	s_addc_u32 s3, s7, s3
	v_mov_b32_e32 v7, 0
	s_cmp_lg_u32 s27, 64
	v_lshl_add_u64 v[8:9], s[2:3], 0, v[6:7]
	v_lshlrev_b32_e32 v6, 4, v64
	s_cselect_b64 s[6:7], -1, 0
	v_lshl_or_b32 v35, v62, 3, v66
	s_mov_b32 s16, 0
	v_lshl_add_u64 v[6:7], v[8:9], 0, v[6:7]
	v_or_b32_e32 v19, 32, v35
	v_and_b32_e32 v18, 56, v65
	s_and_b64 vcc, exec, s[6:7]
	s_waitcnt lgkmcnt(0)
	global_store_dwordx4 v[6:7], v[2:5], off
	s_cbranch_vccz .LBB643_29
; %bb.24:
	s_mov_b32 s17, s16
	s_mov_b32 s18, s16
	;; [unrolled: 1-line block ×3, first 2 shown]
	v_mov_b64_e32 v[6:7], s[16:17]
	v_mov_b64_e32 v[8:9], s[18:19]
	;; [unrolled: 1-line block ×3, first 2 shown]
	v_cmp_gt_i32_e32 vcc, s27, v35
	v_mov_b64_e32 v[4:5], v[8:9]
	s_and_saveexec_b64 s[2:3], vcc
	s_cbranch_execz .LBB643_26
; %bb.25:
	v_lshlrev_b32_e32 v2, 8, v35
	v_mov_b32_e32 v3, 0
	v_lshl_add_u64 v[4:5], s[0:1], 0, v[2:3]
	v_lshlrev_b32_e32 v2, 1, v18
	v_lshl_add_u64 v[10:11], v[4:5], 0, v[2:3]
	global_load_dwordx4 v[6:9], v[10:11], off
	global_load_dwordx4 v[2:5], v[10:11], off offset:128
.LBB643_26:
	s_or_b64 exec, exec, s[2:3]
	s_mov_b32 s17, s16
	s_mov_b32 s18, s16
	;; [unrolled: 1-line block ×3, first 2 shown]
	v_mov_b64_e32 v[14:15], s[16:17]
	v_mov_b64_e32 v[16:17], s[18:19]
	;; [unrolled: 1-line block ×3, first 2 shown]
	v_cmp_gt_i32_e32 vcc, s27, v19
	v_lshlrev_b32_e32 v20, 7, v19
	v_mov_b64_e32 v[12:13], v[16:17]
	s_and_saveexec_b64 s[2:3], vcc
	s_cbranch_execz .LBB643_28
; %bb.27:
	v_lshlrev_b32_e32 v10, 1, v20
	v_mov_b32_e32 v11, 0
	v_lshl_add_u64 v[12:13], s[0:1], 0, v[10:11]
	v_lshlrev_b32_e32 v10, 1, v18
	v_lshl_add_u64 v[22:23], v[12:13], 0, v[10:11]
	global_load_dwordx4 v[14:17], v[22:23], off
	global_load_dwordx4 v[10:13], v[22:23], off offset:128
.LBB643_28:
	s_or_b64 exec, exec, s[2:3]
	v_lshrrev_b32_e32 v21, 3, v18
	v_lshlrev_b32_e32 v22, 3, v35
	v_or_b32_e32 v21, v22, v21
	v_lshlrev_b32_e32 v21, 4, v21
	v_and_b32_e32 v22, 0x78, v22
	v_xor_b32_e32 v21, v21, v22
	s_branch .LBB643_31
.LBB643_29:
                                        ; implicit-def: $vgpr21
                                        ; implicit-def: $vgpr20
                                        ; implicit-def: $vgpr6_vgpr7_vgpr8_vgpr9
                                        ; implicit-def: $vgpr2_vgpr3_vgpr4_vgpr5
                                        ; implicit-def: $vgpr14_vgpr15_vgpr16_vgpr17
                                        ; implicit-def: $vgpr10_vgpr11_vgpr12_vgpr13
	s_cbranch_execz .LBB643_31
; %bb.30:
	s_waitcnt vmcnt(0)
	v_lshlrev_b32_e32 v2, 1, v18
	v_lshl_or_b32 v20, v35, 8, v2
	s_and_b32 s1, s1, 0xffff
	s_mov_b32 s3, 0x20000
	s_movk_i32 s2, 0x4000
	v_lshl_or_b32 v21, v19, 8, v2
	s_movk_i32 s12, 0x80
	buffer_load_dwordx4 v[6:9], v20, s[0:3], 0 offen
	buffer_load_dwordx4 v[2:5], v20, s[0:3], s12 offen
	;; [unrolled: 1-line block ×4, first 2 shown]
	v_lshrrev_b32_e32 v20, 3, v18
	v_lshlrev_b32_e32 v21, 3, v35
	v_or_b32_e32 v20, v21, v20
	v_lshlrev_b32_e32 v20, 4, v20
	v_and_b32_e32 v21, 0x78, v21
	v_xor_b32_e32 v21, v20, v21
	v_lshlrev_b32_e32 v20, 7, v19
.LBB643_31:
	s_lshl_b64 s[0:1], s[24:25], 8
	s_add_u32 s4, s4, s0
	s_movk_i32 s0, 0x1000
	v_and_or_b32 v19, v20, s0, v21
	s_waitcnt vmcnt(1)
	ds_write_b64 v21, v[6:7] offset:16384
	v_xor_b32_e32 v6, 8, v21
	ds_write_b64 v6, v[8:9] offset:16384
	s_waitcnt vmcnt(0)
	ds_write_b64 v21, v[2:3] offset:24576
	ds_write_b64 v6, v[4:5] offset:24576
	;; [unrolled: 1-line block ×3, first 2 shown]
	v_xor_b32_e32 v2, 8, v19
	ds_write_b64 v2, v[16:17] offset:16384
	ds_write_b64 v19, v[10:11] offset:24576
	ds_write_b64 v2, v[12:13] offset:24576
	v_or_b32_e32 v2, v1, v64
	v_lshlrev_b32_e32 v2, 3, v2
	v_lshrrev_b32_e32 v4, 5, v53
	s_movk_i32 s12, 0xf8
	v_and_or_b32 v4, v2, s12, v4
	v_lshlrev_b32_e32 v3, 11, v62
	v_lshlrev_b32_e32 v12, 4, v4
	v_and_b32_e32 v13, 0x78, v2
	v_and_b32_e32 v14, 0x1000, v3
	v_lshlrev_b32_e32 v3, 2, v0
	v_xor_b32_e32 v2, v12, v13
	v_lshrrev_b32_e32 v4, 1, v53
	v_and_b32_e32 v3, 60, v3
	v_or_b32_e32 v2, v2, v14
	v_and_b32_e32 v15, 8, v4
	v_xor_b32_e32 v26, v2, v15
	v_lshl_or_b32 v2, v63, 6, v3
	v_lshlrev_b32_e32 v19, 1, v2
	v_or_b32_e32 v2, 32, v12
	v_xor_b32_e32 v2, v2, v13
	s_waitcnt lgkmcnt(0)
	s_barrier
	ds_read_b64 v[10:11], v26 offset:16384
	v_or_b32_e32 v2, v2, v14
	v_xor_b32_e32 v27, v2, v15
	v_or_b32_e32 v2, 64, v12
	v_xor_b32_e32 v2, v2, v13
	v_or_b32_e32 v2, v2, v14
	v_or_b32_e32 v12, 0x60, v12
	v_xor_b32_e32 v28, v2, v15
	ds_read2st64_b64 v[2:5], v19 offset0:72 offset1:73
	ds_read2st64_b64 v[6:9], v19 offset0:74 offset1:75
	v_xor_b32_e32 v16, v12, v13
	ds_read_b64 v[12:13], v27 offset:16384
	s_addc_u32 s5, s5, s1
	s_add_i32 s1, s45, s33
	s_waitcnt lgkmcnt(2)
	v_mfma_f32_16x16x16_bf16 a[0:3], v[10:11], v[2:3], 0
	s_add_i32 s0, s35, -1
	s_add_i32 s39, s1, s46
	s_add_i32 s1, s47, s44
	;; [unrolled: 1-line block ×3, first 2 shown]
	s_ashr_i32 s1, s0, 31
	s_mul_i32 s2, s0, s31
	s_mul_hi_u32 s3, s0, s30
	s_add_i32 s2, s3, s2
	s_mul_i32 s1, s1, s30
	v_or_b32_e32 v14, v16, v14
	s_add_i32 s1, s2, s1
	s_lshl_b64 s[2:3], s[38:39], 2
	v_xor_b32_e32 v36, v14, v15
	ds_read_b64 v[14:15], v28 offset:16384
	ds_read_b64 v[16:17], v36 offset:16384
	s_waitcnt lgkmcnt(2)
	v_mfma_f32_16x16x16_bf16 a[0:3], v[12:13], v[4:5], a[0:3]
	s_add_u32 s10, s10, s2
	s_addc_u32 s11, s11, s3
	s_lshl_b64 s[2:3], s[36:37], 2
	s_mul_i32 s0, s0, s30
	s_add_u32 s10, s10, s2
	s_addc_u32 s11, s11, s3
	s_lshl_b64 s[0:1], s[0:1], 2
	s_waitcnt lgkmcnt(1)
	v_mfma_f32_16x16x16_bf16 a[0:3], v[14:15], v[6:7], a[0:3]
	s_add_u32 s0, s10, s0
	s_addc_u32 s1, s11, s1
	s_load_dword s12, s[0:1], 0x0
	s_waitcnt lgkmcnt(0)
	v_mfma_f32_16x16x16_bf16 a[0:3], v[16:17], v[8:9], a[0:3]
	s_and_b64 vcc, exec, s[22:23]
	s_cbranch_vccz .LBB643_42
; %bb.32:
	v_lshlrev_b32_e32 v20, 1, v35
	s_and_b64 vcc, exec, s[6:7]
	s_cbranch_vccz .LBB643_43
; %bb.33:
	v_cmp_gt_i32_e32 vcc, s27, v20
	v_mov_b32_e32 v6, 0
	v_mov_b32_e32 v2, 0
	;; [unrolled: 1-line block ×5, first 2 shown]
	s_and_saveexec_b64 s[0:1], vcc
	s_cbranch_execz .LBB643_35
; %bb.34:
	v_mad_i64_i32 v[2:3], s[2:3], s15, v20, 0
	v_lshl_add_u64 v[2:3], v[2:3], 1, s[4:5]
	v_lshlrev_b32_e32 v4, 1, v18
	v_mov_b32_e32 v5, 0
	v_lshl_add_u64 v[2:3], v[2:3], 0, v[4:5]
	global_load_dwordx4 v[2:5], v[2:3], off
.LBB643_35:
	s_or_b64 exec, exec, s[0:1]
	v_or_b32_e32 v21, 1, v20
	v_cmp_gt_i32_e64 s[0:1], s27, v21
	v_mov_b32_e32 v7, 0
	v_mov_b32_e32 v8, 0
	;; [unrolled: 1-line block ×3, first 2 shown]
	s_and_saveexec_b64 s[2:3], s[0:1]
	s_cbranch_execz .LBB643_37
; %bb.36:
	v_mad_i64_i32 v[6:7], s[16:17], s15, v21, 0
	v_lshl_add_u64 v[6:7], v[6:7], 1, s[4:5]
	v_lshlrev_b32_e32 v8, 1, v18
	v_mov_b32_e32 v9, 0
	v_lshl_add_u64 v[6:7], v[6:7], 0, v[8:9]
	global_load_dwordx4 v[6:9], v[6:7], off
.LBB643_37:
	s_or_b64 exec, exec, s[2:3]
	v_mov_b32_e32 v17, 0
	v_mov_b32_e32 v10, 0
	;; [unrolled: 1-line block ×5, first 2 shown]
	s_and_saveexec_b64 s[2:3], vcc
	s_cbranch_execz .LBB643_39
; %bb.38:
	v_mad_i64_i32 v[10:11], s[16:17], s15, v20, 0
	v_lshl_add_u64 v[10:11], v[10:11], 1, s[4:5]
	v_lshlrev_b32_e32 v12, 1, v18
	v_mov_b32_e32 v13, 0
	v_lshl_add_u64 v[10:11], v[10:11], 0, v[12:13]
	global_load_dwordx4 v[10:13], v[10:11], off offset:128
.LBB643_39:
	s_or_b64 exec, exec, s[2:3]
	v_mov_b32_e32 v16, 0
	v_mov_b32_e32 v15, 0
	;; [unrolled: 1-line block ×3, first 2 shown]
	s_and_saveexec_b64 s[2:3], s[0:1]
	s_cbranch_execz .LBB643_41
; %bb.40:
	v_mad_i64_i32 v[14:15], s[0:1], s15, v21, 0
	v_lshl_add_u64 v[14:15], v[14:15], 1, s[4:5]
	v_lshlrev_b32_e32 v16, 1, v18
	v_mov_b32_e32 v17, 0
	v_lshl_add_u64 v[14:15], v[14:15], 0, v[16:17]
	global_load_dwordx4 v[14:17], v[14:15], off offset:128
.LBB643_41:
	s_or_b64 exec, exec, s[2:3]
	s_branch .LBB643_45
.LBB643_42:
                                        ; implicit-def: $vgpr5
                                        ; implicit-def: $vgpr9
                                        ; implicit-def: $vgpr13
                                        ; implicit-def: $vgpr17
	v_lshrrev_b32_e32 v37, 2, v53
	s_branch .LBB643_46
.LBB643_43:
                                        ; implicit-def: $vgpr5
                                        ; implicit-def: $vgpr9
                                        ; implicit-def: $vgpr13
                                        ; implicit-def: $vgpr17
	s_cbranch_execz .LBB643_45
; %bb.44:
	s_waitcnt vmcnt(0)
	v_mad_u64_u32 v[2:3], s[0:1], v20, s15, v[18:19]
	v_lshlrev_b32_e32 v20, 1, v2
	s_lshl_b32 s2, s15, 7
	s_and_b32 s1, s5, 0xffff
	s_mov_b32 s3, 0x20000
	s_mov_b32 s0, s4
	v_add_lshl_u32 v21, v2, s15, 1
	s_movk_i32 s13, 0x80
	buffer_load_dwordx4 v[2:5], v20, s[0:3], 0 offen
	buffer_load_dwordx4 v[10:13], v20, s[0:3], s13 offen
	;; [unrolled: 1-line block ×4, first 2 shown]
.LBB643_45:
	v_lshrrev_b32_e32 v37, 2, v53
	s_cbranch_execnz .LBB643_58
.LBB643_46:
	s_and_b64 vcc, exec, s[6:7]
	s_cbranch_vccz .LBB643_56
; %bb.47:
	s_waitcnt vmcnt(0)
	v_lshlrev_b32_e32 v7, 1, v35
	v_cmp_gt_i32_e32 vcc, s27, v7
	v_mov_b32_e32 v6, 0
	v_lshlrev_b32_e32 v14, 9, v35
	v_mov_b32_e32 v2, 0
	v_mov_b32_e32 v3, 0
	;; [unrolled: 1-line block ×4, first 2 shown]
	s_and_saveexec_b64 s[0:1], vcc
	s_cbranch_execz .LBB643_49
; %bb.48:
	v_mov_b32_e32 v15, 0
	v_lshl_add_u64 v[2:3], s[4:5], 0, v[14:15]
	v_lshlrev_b32_e32 v4, 1, v18
	v_mov_b32_e32 v5, v15
	v_lshl_add_u64 v[2:3], v[2:3], 0, v[4:5]
	global_load_dwordx4 v[2:5], v[2:3], off
.LBB643_49:
	s_or_b64 exec, exec, s[0:1]
	v_or_b32_e32 v7, 1, v7
	v_cmp_gt_i32_e64 s[0:1], s27, v7
	v_lshlrev_b32_e32 v20, 8, v7
	v_mov_b32_e32 v7, 0
	v_mov_b32_e32 v8, 0
	;; [unrolled: 1-line block ×3, first 2 shown]
	s_and_saveexec_b64 s[2:3], s[0:1]
	s_cbranch_execz .LBB643_51
; %bb.50:
	v_mov_b32_e32 v21, 0
	v_lshl_add_u64 v[6:7], s[4:5], 0, v[20:21]
	v_lshlrev_b32_e32 v8, 1, v18
	v_mov_b32_e32 v9, v21
	v_lshl_add_u64 v[6:7], v[6:7], 0, v[8:9]
	global_load_dwordx4 v[6:9], v[6:7], off
.LBB643_51:
	s_or_b64 exec, exec, s[2:3]
	v_mov_b32_e32 v17, 0
	v_mov_b32_e32 v10, 0
	;; [unrolled: 1-line block ×5, first 2 shown]
	s_and_saveexec_b64 s[2:3], vcc
	s_cbranch_execz .LBB643_53
; %bb.52:
	v_mov_b32_e32 v15, 0
	v_lshl_add_u64 v[10:11], s[4:5], 0, v[14:15]
	v_lshlrev_b32_e32 v14, 1, v18
	v_lshl_add_u64 v[10:11], v[10:11], 0, v[14:15]
	global_load_dwordx4 v[10:13], v[10:11], off offset:128
.LBB643_53:
	s_or_b64 exec, exec, s[2:3]
	v_mov_b32_e32 v16, 0
	v_mov_b32_e32 v15, 0
	;; [unrolled: 1-line block ×3, first 2 shown]
	s_and_saveexec_b64 s[2:3], s[0:1]
	s_cbranch_execz .LBB643_55
; %bb.54:
	v_mov_b32_e32 v21, 0
	v_lshl_add_u64 v[14:15], s[4:5], 0, v[20:21]
	v_lshlrev_b32_e32 v20, 1, v18
	v_lshl_add_u64 v[14:15], v[14:15], 0, v[20:21]
	global_load_dwordx4 v[14:17], v[14:15], off offset:128
.LBB643_55:
	s_or_b64 exec, exec, s[2:3]
	s_branch .LBB643_58
.LBB643_56:
                                        ; implicit-def: $vgpr5
                                        ; implicit-def: $vgpr9
                                        ; implicit-def: $vgpr13
                                        ; implicit-def: $vgpr17
	s_cbranch_execz .LBB643_58
; %bb.57:
	s_waitcnt vmcnt(0)
	v_lshlrev_b32_e32 v2, 1, v18
	v_lshl_or_b32 v18, v35, 9, v2
	s_and_b32 s5, s5, 0xffff
	s_mov_b32 s7, 0x20000
	s_movk_i32 s6, 0x4000
	s_movk_i32 s0, 0x80
	buffer_load_dwordx4 v[2:5], v18, s[4:7], 0 offen
	buffer_load_dwordx4 v[6:9], v18, s[4:7], 0 offen offset:256
	buffer_load_dwordx4 v[10:13], v18, s[4:7], s0 offen
	buffer_load_dwordx4 v[14:17], v18, s[4:7], s0 offen offset:256
.LBB643_58:
	ds_read2st64_b64 v[22:25], v19 offset0:76 offset1:77
	ds_read2st64_b64 v[18:21], v19 offset0:78 offset1:79
	ds_read_b64 v[32:33], v26 offset:24576
	ds_read_b64 v[30:31], v27 offset:24576
	;; [unrolled: 1-line block ×4, first 2 shown]
	v_and_b32_e32 v36, 6, v0
	v_xor_b32_e32 v35, v35, v36
	v_lshlrev_b32_e32 v35, 2, v35
	v_and_b32_e32 v0, 1, v0
	v_xor_b32_e32 v38, 0x440, v35
	v_cmp_eq_u32_e32 vcc, 0, v0
	s_mov_b32 s0, 0x1000504
	s_mov_b32 s1, 0x3020706
	v_cndmask_b32_e32 v0, v38, v35, vcc
	v_lshl_or_b32 v0, v36, 10, v0
	s_waitcnt vmcnt(0)
	v_perm_b32 v35, v2, v6, s0
	v_perm_b32 v36, v10, v14, s0
	ds_write2st64_b32 v0, v35, v36 offset1:32
	v_xor_b32_e32 v35, 8, v0
	v_perm_b32 v2, v2, v6, s1
	v_perm_b32 v6, v10, v14, s1
	v_add_u32_e32 v10, 0x80, v35
	ds_write2st64_b32 v10, v2, v6 offset1:32
	v_xor_b32_e32 v2, 16, v0
	v_perm_b32 v6, v3, v7, s0
	v_perm_b32 v10, v11, v15, s0
	ds_write2st64_b32 v2, v6, v10 offset0:1 offset1:33
	v_xor_b32_e32 v2, 24, v0
	v_perm_b32 v3, v3, v7, s1
	v_perm_b32 v6, v11, v15, s1
	v_add_u32_e32 v2, 0x80, v2
	ds_write2st64_b32 v2, v3, v6 offset0:1 offset1:33
	v_xor_b32_e32 v2, 32, v0
	v_perm_b32 v3, v4, v8, s0
	v_perm_b32 v6, v12, v16, s0
	ds_write2st64_b32 v2, v3, v6 offset0:2 offset1:34
	v_xor_b32_e32 v2, 40, v0
	v_perm_b32 v3, v4, v8, s1
	v_perm_b32 v4, v12, v16, s1
	v_add_u32_e32 v2, 0x80, v2
	ds_write2st64_b32 v2, v3, v4 offset0:2 offset1:34
	v_xor_b32_e32 v2, 48, v0
	v_perm_b32 v3, v5, v9, s0
	v_perm_b32 v4, v13, v17, s0
	v_xor_b32_e32 v0, 56, v0
	v_and_or_b32 v8, v37, 12, v1
	ds_write2st64_b32 v2, v3, v4 offset0:3 offset1:35
	v_perm_b32 v2, v5, v9, s1
	v_perm_b32 v3, v13, v17, s1
	v_add_u32_e32 v0, 0x80, v0
	v_cmp_gt_i32_e64 s[2:3], s27, v8
	v_mov_b32_e32 v10, 0
	v_mov_b32_e32 v15, 0
	ds_write2st64_b32 v0, v2, v3 offset0:3 offset1:35
	s_and_saveexec_b64 s[0:1], s[2:3]
	s_cbranch_execz .LBB643_60
; %bb.59:
	v_add_u32_e32 v0, s26, v8
	v_ashrrev_i32_e32 v1, 31, v0
	v_mul_lo_u32 v2, v1, s30
	v_mul_lo_u32 v3, v0, s31
	v_mad_u64_u32 v[0:1], s[4:5], v0, s30, 0
	v_add3_u32 v1, v1, v3, v2
	v_lshl_add_u64 v[0:1], v[0:1], 2, s[10:11]
	global_load_dword v0, v[0:1], off
	s_waitcnt vmcnt(0)
	v_sub_f32_e32 v0, s12, v0
	v_exp_f32_e32 v15, v0
.LBB643_60:
	s_or_b64 exec, exec, s[0:1]
	v_or_b32_e32 v13, 1, v8
	v_cmp_gt_i32_e64 s[4:5], s27, v13
	s_and_saveexec_b64 s[0:1], s[4:5]
	s_cbranch_execz .LBB643_62
; %bb.61:
	v_add_u32_e32 v0, s26, v13
	v_ashrrev_i32_e32 v1, 31, v0
	v_mul_lo_u32 v2, v1, s30
	v_mul_lo_u32 v3, v0, s31
	v_mad_u64_u32 v[0:1], s[6:7], v0, s30, 0
	v_add3_u32 v1, v1, v3, v2
	v_lshl_add_u64 v[0:1], v[0:1], 2, s[10:11]
	global_load_dword v0, v[0:1], off
	s_waitcnt vmcnt(0)
	v_sub_f32_e32 v0, s12, v0
	v_exp_f32_e32 v10, v0
.LBB643_62:
	s_or_b64 exec, exec, s[0:1]
	v_or_b32_e32 v11, 2, v8
	v_cmp_gt_i32_e32 vcc, s27, v11
	v_mov_b32_e32 v9, 0
	v_mov_b32_e32 v14, 0
	s_and_saveexec_b64 s[0:1], vcc
	s_cbranch_execz .LBB643_64
; %bb.63:
	v_add_u32_e32 v0, s26, v11
	v_ashrrev_i32_e32 v1, 31, v0
	v_mul_lo_u32 v2, v1, s30
	v_mul_lo_u32 v3, v0, s31
	v_mad_u64_u32 v[0:1], s[6:7], v0, s30, 0
	v_add3_u32 v1, v1, v3, v2
	v_lshl_add_u64 v[0:1], v[0:1], 2, s[10:11]
	global_load_dword v0, v[0:1], off
	s_waitcnt vmcnt(0)
	v_sub_f32_e32 v0, s12, v0
	v_exp_f32_e32 v14, v0
.LBB643_64:
	s_or_b64 exec, exec, s[0:1]
	v_or_b32_e32 v12, 3, v8
	v_cmp_gt_i32_e64 s[0:1], s27, v12
	s_and_saveexec_b64 s[6:7], s[0:1]
	s_cbranch_execz .LBB643_66
; %bb.65:
	v_add_u32_e32 v0, s26, v12
	v_ashrrev_i32_e32 v1, 31, v0
	v_mul_lo_u32 v2, v1, s30
	v_mul_lo_u32 v3, v0, s31
	v_mad_u64_u32 v[0:1], s[14:15], v0, s30, 0
	v_add3_u32 v1, v1, v3, v2
	v_lshl_add_u64 v[0:1], v[0:1], 2, s[10:11]
	global_load_dword v0, v[0:1], off
	s_waitcnt vmcnt(0)
	v_sub_f32_e32 v0, s12, v0
	v_exp_f32_e32 v9, v0
.LBB643_66:
	s_or_b64 exec, exec, s[6:7]
	s_waitcnt lgkmcnt(11)
	v_mfma_f32_16x16x16_bf16 a[0:3], v[32:33], v[22:23], a[0:3]
	s_add_u32 s6, s8, s20
	v_ashrrev_i32_e32 v55, 31, v54
	s_addc_u32 s7, s9, s21
	s_waitcnt lgkmcnt(10)
	v_mfma_f32_16x16x16_bf16 a[0:3], v[30:31], v[24:25], a[0:3]
	v_lshlrev_b64 v[0:1], 1, v[54:55]
	v_lshl_add_u64 v[4:5], s[6:7], 0, v[0:1]
	s_add_u32 s6, s28, s20
	s_waitcnt lgkmcnt(9)
	v_mfma_f32_16x16x16_bf16 a[0:3], v[28:29], v[18:19], a[0:3]
	s_addc_u32 s7, s29, s21
	v_lshl_add_u64 v[6:7], s[6:7], 0, v[0:1]
	v_mov_b32_e32 v16, 0
	s_waitcnt lgkmcnt(8)
	v_mfma_f32_16x16x16_bf16 a[0:3], v[26:27], v[20:21], a[0:3]
	v_mov_b32_e32 v17, 0
	s_nop 5
	v_accvgpr_read_b32 v0, a0
	v_accvgpr_read_b32 v1, a1
	v_accvgpr_read_b32 v2, a2
	v_accvgpr_read_b32 v3, a3
	s_and_saveexec_b64 s[6:7], s[2:3]
	s_cbranch_execz .LBB643_68
; %bb.67:
	v_lshlrev_b32_e32 v18, 8, v8
	v_mov_b32_e32 v19, 0
	v_lshl_add_u64 v[20:21], v[4:5], 0, v[18:19]
	global_load_ushort v17, v[20:21], off
	v_lshl_add_u64 v[18:19], v[6:7], 0, v[18:19]
	s_waitcnt vmcnt(0)
	v_lshlrev_b32_e32 v17, 16, v17
	v_sub_f32_e32 v0, v17, v0
	global_store_short_d16_hi v[18:19], v0, off
	v_mul_f32_e32 v0, v15, v0
	v_lshrrev_b32_e32 v17, 16, v0
.LBB643_68:
	s_or_b64 exec, exec, s[6:7]
	s_and_saveexec_b64 s[2:3], s[4:5]
	s_cbranch_execz .LBB643_70
; %bb.69:
	v_lshlrev_b32_e32 v18, 8, v13
	v_mov_b32_e32 v19, 0
	v_lshl_add_u64 v[20:21], v[4:5], 0, v[18:19]
	global_load_ushort v0, v[20:21], off
	v_lshl_add_u64 v[18:19], v[6:7], 0, v[18:19]
	s_waitcnt vmcnt(0)
	v_lshlrev_b32_e32 v0, 16, v0
	v_sub_f32_e32 v0, v0, v1
	global_store_short_d16_hi v[18:19], v0, off
	v_mul_f32_e32 v0, v10, v0
	v_lshrrev_b32_e32 v16, 16, v0
.LBB643_70:
	s_or_b64 exec, exec, s[2:3]
	v_mov_b32_e32 v0, 0
	v_mov_b32_e32 v1, 0
	s_and_saveexec_b64 s[2:3], vcc
	s_cbranch_execz .LBB643_72
; %bb.71:
	v_lshlrev_b32_e32 v10, 8, v11
	v_mov_b32_e32 v11, 0
	v_lshl_add_u64 v[18:19], v[4:5], 0, v[10:11]
	global_load_ushort v1, v[18:19], off
	v_lshl_add_u64 v[10:11], v[6:7], 0, v[10:11]
	s_waitcnt vmcnt(0)
	v_lshlrev_b32_e32 v1, 16, v1
	v_sub_f32_e32 v1, v1, v2
	global_store_short_d16_hi v[10:11], v1, off
	v_mul_f32_e32 v1, v14, v1
	v_lshrrev_b32_e32 v1, 16, v1
.LBB643_72:
	s_or_b64 exec, exec, s[2:3]
	s_and_saveexec_b64 s[2:3], s[0:1]
	s_cbranch_execz .LBB643_74
; %bb.73:
	v_lshlrev_b32_e32 v10, 8, v12
	v_mov_b32_e32 v11, 0
	v_lshl_add_u64 v[4:5], v[4:5], 0, v[10:11]
	global_load_ushort v0, v[4:5], off
	v_lshl_add_u64 v[4:5], v[6:7], 0, v[10:11]
	s_waitcnt vmcnt(0)
	v_lshlrev_b32_e32 v0, 16, v0
	v_sub_f32_e32 v0, v0, v3
	global_store_short_d16_hi v[4:5], v0, off
	v_mul_f32_e32 v0, v9, v0
	v_lshrrev_b32_e32 v0, 16, v0
.LBB643_74:
	s_or_b64 exec, exec, s[2:3]
	s_mov_b32 s0, 0x5040100
	v_lshlrev_b32_e32 v2, 1, v34
	v_perm_b32 v1, v0, v1, s0
	v_perm_b32 v0, v16, v17, s0
	v_lshl_or_b32 v2, v8, 5, v2
	ds_write_b64 v2, v[0:1] offset:38912
	s_waitcnt lgkmcnt(0)
	s_barrier
.LBB643_75:
	s_endpgm
	.section	.rodata,"a",@progbits
	.p2align	6, 0x0
	.amdhsa_kernel _ZN12_GLOBAL__N_139chunk_gated_delta_rule_fwd_h_hip_kernelILi16ELb1ELb0ELb1ELb1ELb1ELb1ELb1ELb0EEEvPK12hip_bfloat16S3_S3_PKfS5_PKvPS1_S8_PvPKiSB_iiiiilll
		.amdhsa_group_segment_fixed_size 40960
		.amdhsa_private_segment_fixed_size 0
		.amdhsa_kernarg_size 136
		.amdhsa_user_sgpr_count 2
		.amdhsa_user_sgpr_dispatch_ptr 0
		.amdhsa_user_sgpr_queue_ptr 0
		.amdhsa_user_sgpr_kernarg_segment_ptr 1
		.amdhsa_user_sgpr_dispatch_id 0
		.amdhsa_user_sgpr_kernarg_preload_length 0
		.amdhsa_user_sgpr_kernarg_preload_offset 0
		.amdhsa_user_sgpr_private_segment_size 0
		.amdhsa_uses_dynamic_stack 0
		.amdhsa_enable_private_segment 0
		.amdhsa_system_sgpr_workgroup_id_x 1
		.amdhsa_system_sgpr_workgroup_id_y 1
		.amdhsa_system_sgpr_workgroup_id_z 0
		.amdhsa_system_sgpr_workgroup_info 0
		.amdhsa_system_vgpr_workitem_id 0
		.amdhsa_next_free_vgpr 128
		.amdhsa_next_free_sgpr 63
		.amdhsa_accum_offset 116
		.amdhsa_reserve_vcc 1
		.amdhsa_float_round_mode_32 0
		.amdhsa_float_round_mode_16_64 0
		.amdhsa_float_denorm_mode_32 3
		.amdhsa_float_denorm_mode_16_64 3
		.amdhsa_dx10_clamp 1
		.amdhsa_ieee_mode 1
		.amdhsa_fp16_overflow 0
		.amdhsa_tg_split 0
		.amdhsa_exception_fp_ieee_invalid_op 0
		.amdhsa_exception_fp_denorm_src 0
		.amdhsa_exception_fp_ieee_div_zero 0
		.amdhsa_exception_fp_ieee_overflow 0
		.amdhsa_exception_fp_ieee_underflow 0
		.amdhsa_exception_fp_ieee_inexact 0
		.amdhsa_exception_int_div_zero 0
	.end_amdhsa_kernel
	.section	.text._ZN12_GLOBAL__N_139chunk_gated_delta_rule_fwd_h_hip_kernelILi16ELb1ELb0ELb1ELb1ELb1ELb1ELb1ELb0EEEvPK12hip_bfloat16S3_S3_PKfS5_PKvPS1_S8_PvPKiSB_iiiiilll,"axG",@progbits,_ZN12_GLOBAL__N_139chunk_gated_delta_rule_fwd_h_hip_kernelILi16ELb1ELb0ELb1ELb1ELb1ELb1ELb1ELb0EEEvPK12hip_bfloat16S3_S3_PKfS5_PKvPS1_S8_PvPKiSB_iiiiilll,comdat
.Lfunc_end643:
	.size	_ZN12_GLOBAL__N_139chunk_gated_delta_rule_fwd_h_hip_kernelILi16ELb1ELb0ELb1ELb1ELb1ELb1ELb1ELb0EEEvPK12hip_bfloat16S3_S3_PKfS5_PKvPS1_S8_PvPKiSB_iiiiilll, .Lfunc_end643-_ZN12_GLOBAL__N_139chunk_gated_delta_rule_fwd_h_hip_kernelILi16ELb1ELb0ELb1ELb1ELb1ELb1ELb1ELb0EEEvPK12hip_bfloat16S3_S3_PKfS5_PKvPS1_S8_PvPKiSB_iiiiilll
                                        ; -- End function
	.section	.AMDGPU.csdata,"",@progbits
; Kernel info:
; codeLenInByte = 7320
; NumSgprs: 69
; NumVgprs: 114
; NumAgprs: 12
; TotalNumVgprs: 128
; ScratchSize: 0
; MemoryBound: 0
; FloatMode: 240
; IeeeMode: 1
; LDSByteSize: 40960 bytes/workgroup (compile time only)
; SGPRBlocks: 8
; VGPRBlocks: 15
; NumSGPRsForWavesPerEU: 69
; NumVGPRsForWavesPerEU: 128
; AccumOffset: 116
; Occupancy: 1
; WaveLimiterHint : 1
; COMPUTE_PGM_RSRC2:SCRATCH_EN: 0
; COMPUTE_PGM_RSRC2:USER_SGPR: 2
; COMPUTE_PGM_RSRC2:TRAP_HANDLER: 0
; COMPUTE_PGM_RSRC2:TGID_X_EN: 1
; COMPUTE_PGM_RSRC2:TGID_Y_EN: 1
; COMPUTE_PGM_RSRC2:TGID_Z_EN: 0
; COMPUTE_PGM_RSRC2:TIDIG_COMP_CNT: 0
; COMPUTE_PGM_RSRC3_GFX90A:ACCUM_OFFSET: 28
; COMPUTE_PGM_RSRC3_GFX90A:TG_SPLIT: 0
	.section	.text._ZN12_GLOBAL__N_139chunk_gated_delta_rule_fwd_h_hip_kernelILi16ELb1ELb0ELb0ELb1ELb1ELb1ELb1ELb0EEEvPK12hip_bfloat16S3_S3_PKfS5_PKvPS1_S8_PvPKiSB_iiiiilll,"axG",@progbits,_ZN12_GLOBAL__N_139chunk_gated_delta_rule_fwd_h_hip_kernelILi16ELb1ELb0ELb0ELb1ELb1ELb1ELb1ELb0EEEvPK12hip_bfloat16S3_S3_PKfS5_PKvPS1_S8_PvPKiSB_iiiiilll,comdat
	.globl	_ZN12_GLOBAL__N_139chunk_gated_delta_rule_fwd_h_hip_kernelILi16ELb1ELb0ELb0ELb1ELb1ELb1ELb1ELb0EEEvPK12hip_bfloat16S3_S3_PKfS5_PKvPS1_S8_PvPKiSB_iiiiilll ; -- Begin function _ZN12_GLOBAL__N_139chunk_gated_delta_rule_fwd_h_hip_kernelILi16ELb1ELb0ELb0ELb1ELb1ELb1ELb1ELb0EEEvPK12hip_bfloat16S3_S3_PKfS5_PKvPS1_S8_PvPKiSB_iiiiilll
	.p2align	8
	.type	_ZN12_GLOBAL__N_139chunk_gated_delta_rule_fwd_h_hip_kernelILi16ELb1ELb0ELb0ELb1ELb1ELb1ELb1ELb0EEEvPK12hip_bfloat16S3_S3_PKfS5_PKvPS1_S8_PvPKiSB_iiiiilll,@function
_ZN12_GLOBAL__N_139chunk_gated_delta_rule_fwd_h_hip_kernelILi16ELb1ELb0ELb0ELb1ELb1ELb1ELb1ELb0EEEvPK12hip_bfloat16S3_S3_PKfS5_PKvPS1_S8_PvPKiSB_iiiiilll: ; @_ZN12_GLOBAL__N_139chunk_gated_delta_rule_fwd_h_hip_kernelILi16ELb1ELb0ELb0ELb1ELb1ELb1ELb1ELb0EEEvPK12hip_bfloat16S3_S3_PKfS5_PKvPS1_S8_PvPKiSB_iiiiilll
; %bb.0:
	s_load_dwordx4 s[12:15], s[0:1], 0x5c
	s_load_dwordx4 s[20:23], s[0:1], 0x70
	s_abs_i32 s9, s3
	s_ashr_i32 s8, s3, 31
	s_load_dwordx4 s[4:7], s[0:1], 0x48
	s_waitcnt lgkmcnt(0)
	s_abs_i32 s10, s13
	v_cvt_f32_u32_e32 v1, s10
	s_sub_i32 s16, 0, s10
	s_ashr_i32 s11, s13, 31
	s_xor_b32 s8, s8, s11
	v_rcp_iflag_f32_e32 v1, v1
	v_and_b32_e32 v62, 15, v0
	v_lshrrev_b32_e32 v60, 6, v0
	v_bfe_u32 v61, v0, 4, 2
	v_mul_f32_e32 v1, 0x4f7ffffe, v1
	v_cvt_u32_f32_e32 v1, v1
	v_mov_b32_e32 v5, 0
	v_and_b32_e32 v53, 63, v0
	v_lshrrev_b32_e32 v64, 3, v53
	v_readfirstlane_b32 s17, v1
	s_mul_i32 s16, s16, s17
	s_mul_hi_u32 s16, s17, s16
	s_add_i32 s17, s17, s16
	s_mul_hi_u32 s16, s9, s17
	s_mul_i32 s17, s16, s10
	s_sub_i32 s9, s9, s17
	s_add_i32 s18, s16, 1
	s_sub_i32 s17, s9, s10
	s_cmp_ge_u32 s9, s10
	s_cselect_b32 s16, s18, s16
	s_cselect_b32 s9, s17, s9
	s_add_i32 s17, s16, 1
	s_cmp_ge_u32 s9, s10
	s_cselect_b32 s9, s17, s16
	s_load_dwordx4 s[16:19], s[0:1], 0x28
	s_xor_b32 s9, s9, s8
	s_sub_i32 s24, s9, s8
	s_mul_i32 s28, s24, s13
	s_ashr_i32 s25, s24, 31
	s_sub_i32 s47, s3, s28
	s_lshl_b64 s[8:9], s[24:25], 2
	s_add_u32 s4, s4, s8
	s_addc_u32 s5, s5, s9
	s_add_u32 s26, s6, s8
	s_addc_u32 s27, s7, s9
	s_abs_i32 s3, s14
	v_cvt_f32_u32_e32 v1, s3
	s_load_dwordx2 s[30:31], s[4:5], 0x0
	s_lshl_b32 s38, s2, 4
	s_ashr_i32 s2, s14, 31
	v_rcp_iflag_f32_e32 v1, v1
	s_xor_b32 s2, s11, s2
	s_waitcnt lgkmcnt(0)
	s_sub_i32 s50, s31, s30
	s_ashr_i32 s4, s50, 31
	v_mul_f32_e32 v1, 0x4f7ffffe, v1
	v_cvt_u32_f32_e32 v1, v1
	s_lshr_b32 s4, s4, 26
	s_add_i32 s4, s50, s4
	s_ashr_i32 s48, s4, 6
	s_sub_i32 s4, 0, s3
	v_readfirstlane_b32 s5, v1
	s_mul_i32 s4, s4, s5
	s_mul_hi_u32 s4, s5, s4
	s_add_i32 s5, s5, s4
	s_mul_hi_u32 s4, s10, s5
	s_mul_i32 s5, s4, s3
	s_sub_i32 s5, s10, s5
	s_add_i32 s6, s4, 1
	s_sub_i32 s7, s5, s3
	s_cmp_ge_u32 s5, s3
	s_cselect_b32 s4, s6, s4
	s_cselect_b32 s5, s7, s5
	s_add_i32 s6, s4, 1
	s_cmp_ge_u32 s5, s3
	s_cselect_b32 s3, s6, s4
	s_xor_b32 s3, s3, s2
	s_sub_i32 s2, s3, s2
	s_abs_i32 s3, s2
	v_cvt_f32_u32_e32 v1, s3
	s_sub_i32 s5, 0, s3
	s_abs_i32 s4, s47
	s_xor_b32 s2, s47, s2
	v_rcp_iflag_f32_e32 v1, v1
	s_ashr_i32 s2, s2, 31
	v_or_b32_e32 v54, s38, v62
	v_lshlrev_b32_e32 v2, 7, v54
	v_mul_f32_e32 v1, 0x4f7ffffe, v1
	v_cvt_u32_f32_e32 v1, v1
	v_ashrrev_i32_e32 v3, 31, v2
	s_mul_hi_i32 s53, s47, s12
	s_mul_i32 s54, s47, s12
	v_readfirstlane_b32 s6, v1
	s_mul_i32 s5, s5, s6
	s_mul_hi_u32 s5, s6, s5
	s_add_i32 s6, s6, s5
	s_mul_hi_u32 s5, s4, s6
	s_mul_i32 s6, s5, s3
	s_sub_i32 s4, s4, s6
	s_add_i32 s6, s5, 1
	s_sub_i32 s7, s4, s3
	s_cmp_ge_u32 s4, s3
	s_cselect_b32 s5, s6, s5
	s_cselect_b32 s4, s7, s4
	s_add_i32 s6, s5, 1
	s_cmp_ge_u32 s4, s3
	s_cselect_b32 s3, s6, s5
	s_xor_b32 s3, s3, s2
	s_sub_i32 s51, s3, s2
	s_ashr_i32 s49, s47, 31
	s_mul_hi_i32 s3, s24, s13
	s_add_u32 s2, s28, s47
	s_addc_u32 s3, s3, s49
	s_lshl_b64 s[2:3], s[2:3], 16
	v_lshlrev_b32_e32 v1, 4, v60
	s_add_u32 s2, s16, s2
	v_lshl_or_b32 v65, v61, 2, v1
	s_addc_u32 s3, s17, s3
	v_lshl_add_u64 v[2:3], v[2:3], 2, s[2:3]
	v_lshlrev_b32_e32 v4, 2, v65
	v_lshl_add_u64 v[10:11], v[2:3], 0, v[4:5]
	global_load_dwordx4 v[6:9], v[10:11], off
	global_load_dwordx4 v[2:5], v[10:11], off offset:256
	s_load_dwordx8 s[4:11], s[0:1], 0x0
	s_load_dwordx2 s[28:29], s[0:1], 0x80
	s_load_dword s52, s[26:27], 0x0
	v_or_b32_e32 v66, 64, v65
	s_cmp_lt_i32 s50, 64
	v_lshlrev_b32_e32 v63, 3, v0
	s_mul_i32 s33, s24, s21
	s_mul_hi_u32 s43, s24, s20
	s_mul_i32 s44, s25, s20
	s_mul_i32 s36, s24, s20
	;; [unrolled: 1-line block ×3, first 2 shown]
	s_mul_hi_u32 s45, s47, s22
	s_mul_i32 s46, s49, s22
	s_mul_i32 s34, s47, s22
	s_cbranch_scc1 .LBB644_18
; %bb.1:
	s_ashr_i32 s3, s30, 31
	s_add_u32 s2, s54, s30
	s_addc_u32 s3, s53, s3
	s_lshl_b64 s[2:3], s[2:3], 8
	v_and_b32_e32 v68, 56, v63
	s_waitcnt lgkmcnt(0)
	s_add_u32 s20, s6, s2
	v_lshl_or_b32 v67, v60, 3, v64
	v_lshlrev_b32_e32 v10, 1, v68
	s_addc_u32 s2, s7, s3
	v_lshl_or_b32 v69, v67, 8, v10
	s_and_b32 s21, s2, 0xffff
	s_mov_b32 s23, 0x20000
	s_movk_i32 s22, 0x4000
	s_movk_i32 s2, 0x80
	v_or_b32_e32 v70, 0x2000, v69
	buffer_load_dwordx4 v[12:15], v69, s[20:23], 0 offen
	buffer_load_dwordx4 v[16:19], v69, s[20:23], s2 offen
	;; [unrolled: 1-line block ×4, first 2 shown]
	v_lshlrev_b32_e32 v11, 3, v67
	v_and_or_b32 v29, v0, 7, v11
	v_and_b32_e32 v11, 0x78, v11
	v_lshlrev_b32_e32 v29, 4, v29
	v_xor_b32_e32 v71, v29, v11
	v_mul_lo_u32 v28, v67, s15
	v_or_b32_e32 v72, 0x1000, v71
	v_xor_b32_e32 v11, 8, v71
	s_cmpk_eq_i32 s15, 0x80
	s_mov_b32 s55, s30
	v_xor_b32_e32 v29, 8, v72
	s_cselect_b64 s[2:3], -1, 0
	s_cmpk_lg_i32 s15, 0x80
	s_waitcnt vmcnt(3)
	ds_write_b64 v71, v[12:13] offset:16384
	ds_write_b64 v11, v[14:15] offset:16384
	s_waitcnt vmcnt(2)
	ds_write_b64 v71, v[16:17] offset:24576
	ds_write_b64 v11, v[18:19] offset:24576
	;; [unrolled: 3-line block ×4, first 2 shown]
	v_lshl_add_u32 v11, v28, 1, v68
	s_cbranch_scc0 .LBB644_3
; %bb.2:
	v_lshlrev_b32_e32 v13, 1, v11
	v_add_lshl_u32 v12, v11, s15, 1
	s_lshl_b32 s22, s15, 7
	s_load_dwordx2 s[16:17], s[0:1], 0x20
	v_lshl_or_b32 v10, v67, 9, v10
	s_cbranch_execz .LBB644_4
	s_branch .LBB644_5
.LBB644_3:
                                        ; implicit-def: $vgpr12
                                        ; implicit-def: $vgpr13
                                        ; implicit-def: $sgpr22
	s_load_dwordx2 s[16:17], s[0:1], 0x20
	v_lshl_or_b32 v10, v67, 9, v10
.LBB644_4:
	v_or_b32_e32 v12, 0x100, v10
	s_movk_i32 s22, 0x4000
	v_mov_b32_e32 v13, v10
.LBB644_5:
	s_mul_i32 s0, s30, s14
	s_ashr_i32 s56, s51, 31
	s_mul_hi_i32 s1, s30, s14
	s_add_u32 s0, s0, s51
	s_addc_u32 s1, s1, s56
	s_lshl_b64 s[0:1], s[0:1], 8
	s_add_u32 s20, s4, s0
	s_addc_u32 s0, s5, s1
	s_and_b32 s21, s0, 0xffff
	s_movk_i32 s57, 0x80
	buffer_load_dwordx4 v[14:17], v13, s[20:23], 0 offen
	buffer_load_dwordx4 v[18:21], v13, s[20:23], s57 offen
	;; [unrolled: 1-line block ×4, first 2 shown]
	v_and_b32_e32 v12, 6, v0
	v_lshlrev_b32_e32 v30, 2, v62
	v_lshlrev_b32_e32 v31, 3, v62
	v_xor_b32_e32 v35, v67, v12
	v_and_b32_e32 v13, 1, v0
	v_lshl_or_b32 v31, v65, 5, v31
	v_xor_b32_e32 v36, v65, v30
	v_lshlrev_b32_e32 v35, 2, v35
	s_add_i32 s0, s43, s33
	v_or_b32_e32 v73, 0x9000, v31
	v_or_b32_e32 v74, 0x9800, v31
	v_lshlrev_b32_e32 v31, 1, v36
	v_xor_b32_e32 v36, 0x440, v35
	v_cmp_eq_u32_e32 vcc, 0, v13
	s_add_i32 s1, s45, s42
	s_add_i32 s37, s0, s44
	v_cndmask_b32_e32 v13, v36, v35, vcc
	s_add_i32 s35, s1, s46
	s_lshl_b64 s[0:1], s[36:37], 2
	s_mov_b32 s58, 0x1000504
	s_mov_b32 s59, 0x3020706
	v_lshlrev_b32_e32 v32, 8, v62
	s_mov_b32 s20, 0x8000
	v_xor_b32_e32 v30, v66, v30
	v_lshl_or_b32 v12, v12, 10, v13
	s_add_u32 s21, s10, s0
	v_or_b32_e32 v33, v1, v62
	v_lshlrev_b32_e32 v30, 1, v30
	v_or3_b32 v75, v31, v32, s20
	v_xor_b32_e32 v13, 8, v12
	v_xor_b32_e32 v31, 24, v12
	;; [unrolled: 1-line block ×4, first 2 shown]
	s_addc_u32 s22, s11, s1
	s_lshl_b64 s[0:1], s[34:35], 2
	v_or3_b32 v76, v30, v32, s20
	v_xor_b32_e32 v30, 16, v12
	v_xor_b32_e32 v32, 32, v12
	;; [unrolled: 1-line block ×3, first 2 shown]
	v_add_u32_e32 v13, 0x80, v13
	v_add_u32_e32 v31, 0x80, v31
	;; [unrolled: 1-line block ×4, first 2 shown]
	s_add_u32 s40, s21, s0
	s_movk_i32 s0, 0xf8
	s_addc_u32 s41, s22, s1
	s_ashr_i32 s39, s38, 31
	v_ashrrev_i32_e32 v55, 31, v54
	s_lshl_b32 s26, s15, 7
	v_lshrrev_b32_e32 v34, 2, v53
	s_mov_b32 s60, 0
	s_mov_b32 s35, 0x7060302
	s_movk_i32 s22, 0x4000
	s_waitcnt vmcnt(1)
	v_perm_b32 v38, v14, v22, s58
	s_waitcnt vmcnt(0)
	v_perm_b32 v39, v18, v26, s58
	v_perm_b32 v14, v14, v22, s59
	v_perm_b32 v18, v18, v26, s59
	v_perm_b32 v22, v15, v23, s58
	v_perm_b32 v26, v19, v27, s58
	v_perm_b32 v15, v15, v23, s59
	v_perm_b32 v19, v19, v27, s59
	v_perm_b32 v23, v16, v24, s58
	v_perm_b32 v27, v20, v28, s58
	v_perm_b32 v16, v16, v24, s59
	v_perm_b32 v20, v20, v28, s59
	v_perm_b32 v24, v17, v25, s58
	v_perm_b32 v28, v21, v29, s58
	v_perm_b32 v17, v17, v25, s59
	v_perm_b32 v21, v21, v29, s59
	ds_write2st64_b32 v12, v38, v39 offset1:32
	ds_write2st64_b32 v13, v14, v18 offset1:32
	ds_write2st64_b32 v30, v22, v26 offset0:1 offset1:33
	ds_write2st64_b32 v31, v15, v19 offset0:1 offset1:33
	;; [unrolled: 1-line block ×6, first 2 shown]
	v_lshlrev_b32_e32 v12, 3, v33
	v_lshrrev_b32_e32 v14, 5, v53
	v_and_or_b32 v14, v12, s0, v14
	v_lshlrev_b32_e32 v14, 4, v14
	v_lshlrev_b32_e32 v19, 11, v60
	v_and_b32_e32 v12, 0x78, v12
	v_or_b32_e32 v17, 32, v14
	v_and_b32_e32 v13, 0x1000, v19
	v_xor_b32_e32 v15, v14, v12
	v_lshrrev_b32_e32 v16, 1, v53
	v_xor_b32_e32 v17, v17, v12
	v_or_b32_e32 v15, v15, v13
	v_and_b32_e32 v16, 8, v16
	v_or_b32_e32 v17, v17, v13
	v_xor_b32_e32 v77, v15, v16
	v_and_b32_e32 v15, 0x78, v63
	v_xor_b32_e32 v79, v17, v16
	v_or_b32_e32 v17, 64, v14
	v_or_b32_e32 v14, 0x60, v14
	v_lshl_or_b32 v15, v61, 7, v15
	v_xor_b32_e32 v17, v17, v12
	v_xor_b32_e32 v12, v14, v12
	v_or_b32_e32 v78, 0x9000, v15
	v_or_b32_e32 v17, v17, v13
	;; [unrolled: 1-line block ×4, first 2 shown]
	v_lshrrev_b32_e32 v14, 4, v0
	v_lshlrev_b32_e32 v15, 1, v62
	v_xor_b32_e32 v80, v17, v16
	v_xor_b32_e32 v81, v12, v16
	v_or_b32_e32 v16, 1, v15
	v_xor_b32_e32 v15, v14, v15
	s_lshl_b64 s[0:1], s[38:39], 8
	v_xor_b32_e32 v16, v16, v14
	v_lshlrev_b32_e32 v15, 3, v15
	v_lshlrev_b32_e32 v14, 8, v14
	v_lshl_add_u64 v[12:13], v[54:55], 1, s[8:9]
	s_add_u32 s0, s18, s0
	v_or3_b32 v55, v15, v14, s20
	v_lshlrev_b32_e32 v15, 3, v16
	s_addc_u32 s1, s19, s1
	v_or3_b32 v83, v15, v14, s20
	v_mov_b32_e32 v15, 0
	v_lshrrev_b32_e32 v25, 1, v0
	v_lshl_add_u64 v[16:17], s[0:1], 0, v[14:15]
	v_lshlrev_b32_e32 v14, 4, v62
	s_movk_i32 s0, 0xff
	v_lshlrev_b32_e32 v24, 3, v60
	v_and_b32_e32 v25, 24, v25
	v_lshl_add_u64 v[56:57], v[16:17], 0, v[14:15]
	v_and_b32_e32 v14, 7, v0
	v_and_b32_e32 v17, 8, v0
	v_cmp_lt_u32_e32 vcc, s0, v0
	v_xor_b32_e32 v26, v24, v25
	v_lshlrev_b32_e32 v22, 3, v14
	v_lshlrev_b32_e32 v23, 7, v14
	v_cndmask_b32_e64 v14, 0, 1, vcc
	v_or_b32_e32 v27, 0x440, v26
	v_cmp_eq_u32_e32 vcc, 0, v17
	v_or_b32_e32 v29, 64, v25
	v_xor_b32_e32 v29, v24, v29
	v_cndmask_b32_e32 v17, v27, v26, vcc
	v_or_b32_e32 v27, 32, v25
	v_or_b32_e32 v25, 0x60, v25
	v_xor_b32_e32 v27, v24, v27
	v_xor_b32_e32 v24, v24, v25
	v_or_b32_e32 v28, 0x440, v27
	v_xor_b32_e32 v30, 0x440, v29
	v_xor_b32_e32 v25, 0x440, v24
	v_cndmask_b32_e32 v27, v28, v27, vcc
	v_cndmask_b32_e32 v29, v30, v29, vcc
	;; [unrolled: 1-line block ×3, first 2 shown]
	v_or_b32_e32 v17, v17, v19
	v_or_b32_e32 v27, v27, v19
	;; [unrolled: 1-line block ×4, first 2 shown]
	v_and_b32_e32 v18, 12, v34
	v_lshlrev_b32_e32 v14, 13, v14
	v_xor_b32_e32 v17, v17, v22
	v_xor_b32_e32 v27, v27, v22
	;; [unrolled: 1-line block ×4, first 2 shown]
	v_lshlrev_b32_e32 v20, 1, v11
	v_add_lshl_u32 v11, v11, s15, 1
	v_or_b32_e32 v21, 0x100, v10
	v_or_b32_e32 v16, v18, v1
	v_add_u32_e32 v26, v14, v17
	v_add_u32_e32 v28, v14, v27
	;; [unrolled: 1-line block ×4, first 2 shown]
	v_or3_b32 v18, v1, v18, 64
	v_add_u32_e32 v17, 0x2000, v17
	v_add_u32_e32 v24, 0x2000, v27
	v_add_u32_e32 v25, 0x2000, v29
	v_add_u32_e32 v19, 0x2000, v19
	v_lshlrev_b32_e32 v14, 8, v65
	v_cndmask_b32_e64 v84, v20, v10, s[2:3]
	v_cndmask_b32_e64 v85, v11, v21, s[2:3]
	v_lshl_add_u64 v[58:59], v[12:13], 0, v[14:15]
	v_lshlrev_b32_e32 v86, 2, v16
	v_add_u32_e32 v87, v26, v23
	v_add_u32_e32 v88, v28, v23
	;; [unrolled: 1-line block ×4, first 2 shown]
	v_lshlrev_b32_e32 v91, 2, v18
	v_add_u32_e32 v92, v17, v23
	v_add_u32_e32 v93, v24, v23
	;; [unrolled: 1-line block ×4, first 2 shown]
	s_waitcnt lgkmcnt(0)
	s_barrier
.LBB644_6:                              ; =>This Inner Loop Header: Depth=1
	s_add_i32 s37, s60, 1
	s_cmp_lt_i32 s37, s48
	s_mov_b64 s[24:25], 0
	s_cselect_b64 s[2:3], -1, 0
	s_cmp_ge_i32 s37, s48
	s_mov_b64 s[20:21], 0
	s_cbranch_scc1 .LBB644_8
; %bb.7:                                ;   in Loop: Header=BB644_6 Depth=1
	s_add_i32 s0, s55, 64
	s_ashr_i32 s1, s0, 31
	s_add_u32 s0, s54, s0
	s_addc_u32 s1, s53, s1
	s_lshl_b64 s[0:1], s[0:1], 8
	s_add_u32 s20, s6, s0
	s_addc_u32 s21, s7, s1
.LBB644_8:                              ;   in Loop: Header=BB644_6 Depth=1
	v_cndmask_b32_e64 v10, 0, 1, s[2:3]
	v_cmp_ne_u32_e64 s[0:1], 1, v10
	s_andn2_b64 vcc, exec, s[2:3]
	s_cbranch_vccnz .LBB644_10
; %bb.9:                                ;   in Loop: Header=BB644_6 Depth=1
	s_add_i32 s2, s55, 64
	s_mul_hi_i32 s3, s2, s14
	s_mul_i32 s2, s2, s14
	s_add_u32 s2, s2, s51
	s_addc_u32 s3, s3, s56
	s_lshl_b64 s[2:3], s[2:3], 8
	s_add_u32 s24, s4, s2
	s_addc_u32 s25, s5, s3
.LBB644_10:                             ;   in Loop: Header=BB644_6 Depth=1
	v_perm_b32 v11, v9, v8, s35
	v_perm_b32 v10, v7, v6, s35
	;; [unrolled: 1-line block ×4, first 2 shown]
	ds_write_b64 v73, v[10:11]
	ds_write_b64 v74, v[12:13]
	;; [unrolled: 1-line block ×4, first 2 shown]
	s_waitcnt lgkmcnt(0)
	s_barrier
	ds_read_b64 v[18:19], v77 offset:16384
	ds_read_b64 v[20:21], v79 offset:16384
	ds_read2st64_b64 v[10:13], v78 offset1:1
	s_waitcnt lgkmcnt(0)
	v_mfma_f32_16x16x16_bf16 a[0:3], v[18:19], v[10:11], 0
	ds_read2st64_b64 v[14:17], v78 offset0:2 offset1:3
	ds_read_b64 v[22:23], v80 offset:16384
	ds_read_b64 v[10:11], v81 offset:16384
	s_add_i32 s39, s55, 63
	v_mfma_f32_16x16x16_bf16 a[0:3], v[20:21], v[12:13], a[0:3]
	s_ashr_i32 s2, s39, 31
	s_mul_i32 s3, s39, s29
	s_mul_hi_u32 s27, s39, s28
	s_waitcnt lgkmcnt(1)
	v_mfma_f32_16x16x16_bf16 a[0:3], v[22:23], v[14:15], a[0:3]
	s_add_i32 s3, s27, s3
	s_mul_i32 s2, s2, s28
	s_add_i32 s3, s3, s2
	s_mul_i32 s2, s39, s28
	s_waitcnt lgkmcnt(0)
	v_mfma_f32_16x16x16_bf16 a[0:3], v[10:11], v[16:17], a[0:3]
	s_lshl_b64 s[2:3], s[2:3], 2
	s_add_u32 s2, s40, s2
	s_addc_u32 s3, s41, s3
	s_and_b64 vcc, exec, s[0:1]
	v_mov_b32_e32 v98, 0
	v_mov_b32_e32 v97, 0
	;; [unrolled: 1-line block ×19, first 2 shown]
	s_cbranch_vccnz .LBB644_12
; %bb.11:                               ;   in Loop: Header=BB644_6 Depth=1
	s_and_b32 s21, s21, 0xffff
	buffer_load_dwordx4 v[22:25], v69, s[20:23], 0 offen
	buffer_load_dwordx4 v[18:21], v69, s[20:23], s57 offen
	;; [unrolled: 1-line block ×4, first 2 shown]
	v_mov_b32_e32 v97, v71
	v_mov_b32_e32 v96, v72
.LBB644_12:                             ;   in Loop: Header=BB644_6 Depth=1
	v_add_u32_e32 v30, s55, v65
	v_ashrrev_i32_e32 v26, 31, v30
	v_mul_lo_u32 v28, v26, s28
	v_mul_lo_u32 v29, v30, s29
	v_mad_u64_u32 v[26:27], s[20:21], v30, s28, 0
	v_add3_u32 v27, v27, v29, v28
	v_lshl_add_u64 v[26:27], v[26:27], 2, s[40:41]
	global_load_dword v48, v[26:27], off
	v_add_u32_e32 v26, 1, v30
	v_ashrrev_i32_e32 v27, 31, v26
	v_mul_lo_u32 v28, v27, s28
	v_mul_lo_u32 v29, v26, s29
	v_mad_u64_u32 v[26:27], s[20:21], v26, s28, 0
	v_add3_u32 v27, v27, v29, v28
	v_add_u32_e32 v28, 2, v30
	v_ashrrev_i32_e32 v29, 31, v28
	v_mul_lo_u32 v31, v29, s28
	v_mul_lo_u32 v32, v28, s29
	v_mad_u64_u32 v[28:29], s[20:21], v28, s28, 0
	v_add_u32_e32 v30, 3, v30
	v_add3_u32 v29, v29, v32, v31
	v_ashrrev_i32_e32 v31, 31, v30
	v_mul_lo_u32 v34, v31, s28
	v_mul_lo_u32 v35, v30, s29
	v_mad_u64_u32 v[30:31], s[20:21], v30, s28, 0
	s_ashr_i32 s21, s55, 31
	s_add_u32 s20, s54, s55
	s_addc_u32 s21, s53, s21
	s_lshl_b64 s[20:21], s[20:21], 8
	v_lshl_add_u64 v[26:27], v[26:27], 2, s[40:41]
	v_lshl_add_u64 v[32:33], v[58:59], 0, s[20:21]
	v_add3_u32 v31, v31, v35, v34
	v_lshl_add_u64 v[28:29], v[28:29], 2, s[40:41]
	global_load_ushort v49, v[32:33], off
	global_load_ushort v50, v[32:33], off offset:256
	global_load_ushort v51, v[32:33], off offset:512
	;; [unrolled: 1-line block ×3, first 2 shown]
	v_lshl_add_u64 v[30:31], v[30:31], 2, s[40:41]
	global_load_dword v100, v[26:27], off
	global_load_dword v101, v[28:29], off
	;; [unrolled: 1-line block ×3, first 2 shown]
	s_load_dword s2, s[2:3], 0x0
	ds_read2st64_b64 v[34:37], v82 offset1:1
	ds_read2st64_b64 v[38:41], v82 offset0:2 offset1:3
	ds_read_b64 v[32:33], v77 offset:24576
	ds_read_b64 v[42:43], v79 offset:24576
	;; [unrolled: 1-line block ×4, first 2 shown]
	s_waitcnt lgkmcnt(0)
	v_mfma_f32_16x16x16_bf16 a[0:3], v[32:33], v[34:35], a[0:3]
	v_mov_b32_e32 v99, 0
	v_mov_b32_e32 v26, 0
	v_mov_b32_e32 v27, 0
	v_mfma_f32_16x16x16_bf16 a[0:3], v[42:43], v[36:37], a[0:3]
	v_mov_b32_e32 v28, 0
	v_mov_b32_e32 v29, 0
	v_mov_b32_e32 v30, 0
	;; [unrolled: 4-line block ×4, first 2 shown]
	v_mov_b32_e32 v37, 0
	v_mov_b32_e32 v38, 0
	;; [unrolled: 1-line block ×3, first 2 shown]
	s_and_b64 vcc, exec, s[0:1]
	v_accvgpr_read_b32 v43, a1
	v_accvgpr_read_b32 v41, a3
	;; [unrolled: 1-line block ×4, first 2 shown]
	s_waitcnt vmcnt(7)
	v_sub_f32_e32 v48, s2, v48
	v_exp_f32_e32 v48, v48
	s_waitcnt vmcnt(6)
	v_lshlrev_b32_e32 v44, 16, v49
	s_waitcnt vmcnt(5)
	v_lshlrev_b32_e32 v45, 16, v50
	s_waitcnt vmcnt(4)
	v_lshlrev_b32_e32 v46, 16, v51
	s_waitcnt vmcnt(2)
	v_sub_f32_e32 v49, s2, v100
	s_waitcnt vmcnt(1)
	v_sub_f32_e32 v50, s2, v101
	;; [unrolled: 2-line block ×3, first 2 shown]
	v_exp_f32_e32 v49, v49
	v_exp_f32_e32 v50, v50
	;; [unrolled: 1-line block ×3, first 2 shown]
	v_lshlrev_b32_e32 v47, 16, v52
	v_pk_add_f32 v[42:43], v[44:45], v[42:43] neg_lo:[0,1] neg_hi:[0,1]
	v_pk_add_f32 v[40:41], v[46:47], v[40:41] neg_lo:[0,1] neg_hi:[0,1]
	v_pk_mul_f32 v[42:43], v[48:49], v[42:43]
	v_pk_mul_f32 v[40:41], v[50:51], v[40:41]
	s_nop 0
	v_perm_b32 v41, v41, v40, s35
	v_perm_b32 v40, v43, v42, s35
	ds_write_b64 v74, v[40:41]
	v_mov_b32_e32 v40, 0
	v_mov_b32_e32 v41, 0
	s_cbranch_vccnz .LBB644_14
; %bb.13:                               ;   in Loop: Header=BB644_6 Depth=1
	s_and_b32 s25, s25, 0xffff
	s_mov_b32 s27, s23
	buffer_load_dwordx4 v[38:41], v84, s[24:27], 0 offen
	buffer_load_dwordx4 v[30:33], v84, s[24:27], s57 offen
	;; [unrolled: 1-line block ×4, first 2 shown]
	v_mov_b32_e32 v98, v68
	v_mov_b32_e32 v99, v67
.LBB644_14:                             ;   in Loop: Header=BB644_6 Depth=1
	s_waitcnt lgkmcnt(0)
	s_barrier
	ds_read_b64 v[42:43], v87
	ds_read_b64 v[48:49], v88
	ds_read2st64_b64 v[44:47], v82 offset1:1
	ds_read2st64_b64 v[100:103], v82 offset0:2 offset1:3
	ds_read_b64 v[50:51], v89
	ds_read_b64 v[108:109], v90
	s_add_i32 s3, s52, s60
	s_mul_hi_i32 s21, s3, s13
	s_mul_i32 s3, s3, s13
	s_waitcnt lgkmcnt(3)
	v_mfma_f32_16x16x16_bf16 a[0:3], v[42:43], v[44:45], 0
	ds_read_b64 v[42:43], v92
	s_add_u32 s20, s3, s47
	s_addc_u32 s21, s21, s49
	v_mfma_f32_16x16x16_bf16 a[0:3], v[48:49], v[46:47], a[0:3]
	ds_read_b64 v[48:49], v93
	s_lshl_b64 s[20:21], s[20:21], 15
	s_mul_i32 s24, s39, s13
	s_mul_hi_i32 s3, s39, s13
	s_add_u32 s24, s24, s47
	s_addc_u32 s25, s3, s49
	s_lshl_b64 s[24:25], s[24:25], 9
	s_add_u32 s24, s16, s24
	s_waitcnt lgkmcnt(1)
	v_mfma_f32_16x16x16_bf16 a[4:7], v[42:43], v[44:45], 0
	s_addc_u32 s25, s17, s25
	s_and_b64 vcc, exec, s[0:1]
	v_mfma_f32_16x16x16_bf16 a[0:3], v[50:51], v[100:101], a[0:3]
	ds_read_b64 v[50:51], v94
	ds_read_b64 v[110:111], v95
	global_load_dwordx4 v[42:45], v91, s[24:25]
	s_waitcnt lgkmcnt(2)
	v_mfma_f32_16x16x16_bf16 a[4:7], v[48:49], v[46:47], a[4:7]
	global_load_dwordx4 v[46:49], v86, s[24:25]
	ds_read_b64 v[104:105], v55
	ds_read_b64 v[106:107], v83
	s_waitcnt lgkmcnt(3)
	v_mfma_f32_16x16x16_bf16 a[8:11], v[50:51], v[100:101], a[4:7]
	v_lshl_add_u64 v[50:51], v[56:57], 0, s[20:21]
	s_waitcnt lgkmcnt(0)
	global_store_dwordx4 v[50:51], v[104:107], off
	v_mfma_f32_16x16x16_bf16 a[4:7], v[108:109], v[102:103], a[0:3]
	s_waitcnt vmcnt(2)
	v_mov_b32_e32 v52, v45
	v_mfma_f32_16x16x16_bf16 a[0:3], v[110:111], v[102:103], a[8:11]
	v_mov_b32_e32 v51, v44
	v_mov_b32_e32 v50, v43
	s_cbranch_vccnz .LBB644_16
; %bb.15:                               ;   in Loop: Header=BB644_6 Depth=1
	v_lshrrev_b32_e32 v43, 3, v98
	v_and_b32_e32 v43, 6, v43
	v_xor_b32_e32 v44, v43, v99
	v_lshlrev_b32_e32 v44, 2, v44
	v_and_b32_e32 v45, 8, v98
	v_xor_b32_e32 v98, 0x440, v44
	v_cmp_eq_u32_e32 vcc, 0, v45
	v_perm_b32 v45, v30, v26, s58
	s_nop 0
	v_cndmask_b32_e32 v44, v98, v44, vcc
	v_lshl_or_b32 v43, v43, 10, v44
	v_perm_b32 v44, v38, v34, s58
	s_barrier
	ds_write2st64_b32 v43, v44, v45 offset1:32
	v_xor_b32_e32 v44, 8, v43
	v_perm_b32 v34, v38, v34, s59
	v_perm_b32 v26, v30, v26, s59
	v_add_u32_e32 v30, 0x80, v44
	ds_write2st64_b32 v30, v34, v26 offset1:32
	v_xor_b32_e32 v26, 16, v43
	v_perm_b32 v30, v39, v35, s58
	v_perm_b32 v34, v31, v27, s58
	ds_write2st64_b32 v26, v30, v34 offset0:1 offset1:33
	v_xor_b32_e32 v26, 24, v43
	v_perm_b32 v30, v39, v35, s59
	v_perm_b32 v27, v31, v27, s59
	v_add_u32_e32 v26, 0x80, v26
	ds_write2st64_b32 v26, v30, v27 offset0:1 offset1:33
	v_xor_b32_e32 v26, 32, v43
	v_perm_b32 v27, v40, v36, s58
	v_perm_b32 v30, v32, v28, s58
	ds_write2st64_b32 v26, v27, v30 offset0:2 offset1:34
	v_xor_b32_e32 v26, 40, v43
	v_perm_b32 v27, v40, v36, s59
	v_perm_b32 v28, v32, v28, s59
	v_add_u32_e32 v26, 0x80, v26
	ds_write2st64_b32 v26, v27, v28 offset0:2 offset1:34
	;; [unrolled: 9-line block ×3, first 2 shown]
	ds_write_b64 v97, v[22:23] offset:16384
	v_xor_b32_e32 v22, 8, v97
	ds_write_b64 v22, v[24:25] offset:16384
	ds_write_b64 v97, v[18:19] offset:24576
	;; [unrolled: 1-line block ×4, first 2 shown]
	v_xor_b32_e32 v14, 8, v96
	ds_write_b64 v14, v[16:17] offset:16384
	ds_write_b64 v96, v[10:11] offset:24576
	;; [unrolled: 1-line block ×3, first 2 shown]
.LBB644_16:                             ;   in Loop: Header=BB644_6 Depth=1
	v_exp_f32_e32 v18, s2
	s_waitcnt vmcnt(1)
	v_exp_f32_e32 v20, v46
	v_exp_f32_e32 v21, v47
	;; [unrolled: 1-line block ×4, first 2 shown]
	v_accvgpr_read_b32 v13, a7
	v_accvgpr_read_b32 v11, a5
	;; [unrolled: 1-line block ×3, first 2 shown]
	v_pk_mul_f32 v[20:21], v[18:19], v[20:21] op_sel_hi:[0,1]
	v_pk_fma_f32 v[6:7], v[6:7], v[20:21], v[10:11]
	v_exp_f32_e32 v20, v42
	v_exp_f32_e32 v21, v50
	v_pk_mul_f32 v[10:11], v[18:19], v[22:23] op_sel_hi:[0,1]
	v_exp_f32_e32 v22, v51
	v_exp_f32_e32 v23, v52
	v_accvgpr_read_b32 v12, a6
	v_accvgpr_read_b32 v17, a3
	;; [unrolled: 1-line block ×4, first 2 shown]
	v_pk_fma_f32 v[8:9], v[8:9], v[10:11], v[12:13]
	v_pk_mul_f32 v[10:11], v[18:19], v[20:21] op_sel_hi:[0,1]
	v_accvgpr_read_b32 v16, a2
	v_pk_fma_f32 v[2:3], v[2:3], v[10:11], v[14:15]
	v_pk_mul_f32 v[10:11], v[18:19], v[22:23] op_sel_hi:[0,1]
	s_add_i32 s55, s55, 64
	s_cmp_eq_u32 s48, s37
	v_pk_fma_f32 v[4:5], v[4:5], v[10:11], v[16:17]
	s_cbranch_scc1 .LBB644_18
; %bb.17:                               ;   in Loop: Header=BB644_6 Depth=1
	s_mov_b32 s60, s37
	s_branch .LBB644_6
.LBB644_18:
	s_lshl_b32 s26, s48, 6
	s_sub_i32 s27, s50, s26
	s_cmp_gt_i32 s27, 0
	s_cbranch_scc0 .LBB644_75
; %bb.19:
	s_add_i32 s26, s26, s30
	s_ashr_i32 s2, s26, 31
	s_cmpk_lg_i32 s15, 0x80
	s_cselect_b64 s[22:23], -1, 0
	s_and_b64 vcc, exec, s[22:23]
	s_cbranch_vccz .LBB644_21
; %bb.20:
	s_mul_i32 s1, s26, s14
	s_ashr_i32 s3, s51, 31
	s_mul_hi_i32 s0, s26, s14
	s_add_u32 s24, s1, s51
	s_addc_u32 s25, s0, s3
	s_cbranch_execz .LBB644_22
	s_branch .LBB644_23
.LBB644_21:
                                        ; implicit-def: $sgpr24_sgpr25
.LBB644_22:
	s_mul_i32 s1, s51, s12
	s_mul_hi_i32 s0, s51, s12
	s_add_u32 s24, s1, s26
	s_addc_u32 s25, s0, s2
.LBB644_23:
	s_waitcnt lgkmcnt(0)
	s_add_i32 s3, s48, s52
	s_add_u32 s0, s54, s26
	s_addc_u32 s1, s53, s2
	s_mov_b32 s2, 0x7060302
	s_waitcnt vmcnt(0)
	v_perm_b32 v5, v5, v4, s2
	v_perm_b32 v4, v3, v2, s2
	v_lshlrev_b32_e32 v2, 3, v62
	s_lshl_b64 s[20:21], s[0:1], 8
	v_perm_b32 v9, v9, v8, s2
	v_perm_b32 v8, v7, v6, s2
	v_lshlrev_b32_e32 v34, 2, v62
	v_lshl_or_b32 v2, v65, 5, v2
	s_add_u32 s0, s6, s20
	ds_write2st64_b64 v2, v[8:9], v[4:5] offset0:72 offset1:76
	v_xor_b32_e32 v2, v65, v34
	v_lshlrev_b32_e32 v3, 8, v62
	s_addc_u32 s1, s7, s21
	v_lshl_or_b32 v2, v2, 1, v3
	s_mul_hi_i32 s6, s3, s13
	s_mul_i32 s3, s3, s13
	ds_write_b64 v2, v[8:9] offset:32768
	v_xor_b32_e32 v2, v66, v34
	s_add_u32 s2, s3, s47
	v_lshl_or_b32 v2, v2, 1, v3
	s_addc_u32 s3, s6, s49
	v_lshlrev_b32_e32 v3, 1, v62
	ds_write_b64 v2, v[4:5] offset:32768
	v_lshrrev_b32_e32 v2, 4, v0
	s_ashr_i32 s39, s38, 31
	s_lshl_b64 s[2:3], s[2:3], 15
	v_or_b32_e32 v4, 1, v3
	s_add_u32 s6, s18, s2
	v_xor_b32_e32 v3, v2, v3
	v_xor_b32_e32 v4, v4, v2
	v_lshlrev_b32_e32 v6, 8, v2
	s_addc_u32 s7, s19, s3
	s_lshl_b64 s[2:3], s[38:39], 8
	v_lshl_or_b32 v2, v3, 3, v6
	v_lshl_or_b32 v4, v4, 3, v6
	s_waitcnt lgkmcnt(0)
	s_barrier
	s_add_u32 s2, s6, s2
	ds_read_b64 v[2:3], v2 offset:32768
	ds_read_b64 v[4:5], v4 offset:32768
	s_addc_u32 s3, s7, s3
	v_mov_b32_e32 v7, 0
	s_cmp_lg_u32 s27, 64
	v_lshl_add_u64 v[8:9], s[2:3], 0, v[6:7]
	v_lshlrev_b32_e32 v6, 4, v62
	s_cselect_b64 s[6:7], -1, 0
	v_lshl_or_b32 v35, v60, 3, v64
	s_mov_b32 s16, 0
	v_lshl_add_u64 v[6:7], v[8:9], 0, v[6:7]
	v_or_b32_e32 v19, 32, v35
	v_and_b32_e32 v18, 56, v63
	s_and_b64 vcc, exec, s[6:7]
	s_waitcnt lgkmcnt(0)
	global_store_dwordx4 v[6:7], v[2:5], off
	s_cbranch_vccz .LBB644_29
; %bb.24:
	s_mov_b32 s17, s16
	s_mov_b32 s18, s16
	;; [unrolled: 1-line block ×3, first 2 shown]
	v_mov_b64_e32 v[6:7], s[16:17]
	v_mov_b64_e32 v[8:9], s[18:19]
	v_mov_b64_e32 v[2:3], v[6:7]
	v_cmp_gt_i32_e32 vcc, s27, v35
	v_mov_b64_e32 v[4:5], v[8:9]
	s_and_saveexec_b64 s[2:3], vcc
	s_cbranch_execz .LBB644_26
; %bb.25:
	v_lshlrev_b32_e32 v2, 8, v35
	v_mov_b32_e32 v3, 0
	v_lshl_add_u64 v[4:5], s[0:1], 0, v[2:3]
	v_lshlrev_b32_e32 v2, 1, v18
	v_lshl_add_u64 v[10:11], v[4:5], 0, v[2:3]
	global_load_dwordx4 v[6:9], v[10:11], off
	global_load_dwordx4 v[2:5], v[10:11], off offset:128
.LBB644_26:
	s_or_b64 exec, exec, s[2:3]
	s_mov_b32 s17, s16
	s_mov_b32 s18, s16
	;; [unrolled: 1-line block ×3, first 2 shown]
	v_mov_b64_e32 v[14:15], s[16:17]
	v_mov_b64_e32 v[16:17], s[18:19]
	;; [unrolled: 1-line block ×3, first 2 shown]
	v_cmp_gt_i32_e32 vcc, s27, v19
	v_lshlrev_b32_e32 v20, 7, v19
	v_mov_b64_e32 v[12:13], v[16:17]
	s_and_saveexec_b64 s[2:3], vcc
	s_cbranch_execz .LBB644_28
; %bb.27:
	v_lshlrev_b32_e32 v10, 1, v20
	v_mov_b32_e32 v11, 0
	v_lshl_add_u64 v[12:13], s[0:1], 0, v[10:11]
	v_lshlrev_b32_e32 v10, 1, v18
	v_lshl_add_u64 v[22:23], v[12:13], 0, v[10:11]
	global_load_dwordx4 v[14:17], v[22:23], off
	global_load_dwordx4 v[10:13], v[22:23], off offset:128
.LBB644_28:
	s_or_b64 exec, exec, s[2:3]
	v_lshrrev_b32_e32 v21, 3, v18
	v_lshlrev_b32_e32 v22, 3, v35
	v_or_b32_e32 v21, v22, v21
	v_lshlrev_b32_e32 v21, 4, v21
	v_and_b32_e32 v22, 0x78, v22
	v_xor_b32_e32 v21, v21, v22
	s_branch .LBB644_31
.LBB644_29:
                                        ; implicit-def: $vgpr21
                                        ; implicit-def: $vgpr20
                                        ; implicit-def: $vgpr6_vgpr7_vgpr8_vgpr9
                                        ; implicit-def: $vgpr2_vgpr3_vgpr4_vgpr5
                                        ; implicit-def: $vgpr14_vgpr15_vgpr16_vgpr17
                                        ; implicit-def: $vgpr10_vgpr11_vgpr12_vgpr13
	s_cbranch_execz .LBB644_31
; %bb.30:
	s_waitcnt vmcnt(0)
	v_lshlrev_b32_e32 v2, 1, v18
	v_lshl_or_b32 v20, v35, 8, v2
	s_and_b32 s1, s1, 0xffff
	s_mov_b32 s3, 0x20000
	s_movk_i32 s2, 0x4000
	v_lshl_or_b32 v21, v19, 8, v2
	s_movk_i32 s12, 0x80
	buffer_load_dwordx4 v[6:9], v20, s[0:3], 0 offen
	buffer_load_dwordx4 v[2:5], v20, s[0:3], s12 offen
	;; [unrolled: 1-line block ×4, first 2 shown]
	v_lshrrev_b32_e32 v20, 3, v18
	v_lshlrev_b32_e32 v21, 3, v35
	v_or_b32_e32 v20, v21, v20
	v_lshlrev_b32_e32 v20, 4, v20
	v_and_b32_e32 v21, 0x78, v21
	v_xor_b32_e32 v21, v20, v21
	v_lshlrev_b32_e32 v20, 7, v19
.LBB644_31:
	s_lshl_b64 s[0:1], s[24:25], 8
	s_add_u32 s4, s4, s0
	s_movk_i32 s0, 0x1000
	v_and_or_b32 v19, v20, s0, v21
	s_waitcnt vmcnt(1)
	ds_write_b64 v21, v[6:7] offset:16384
	v_xor_b32_e32 v6, 8, v21
	ds_write_b64 v6, v[8:9] offset:16384
	s_waitcnt vmcnt(0)
	ds_write_b64 v21, v[2:3] offset:24576
	ds_write_b64 v6, v[4:5] offset:24576
	;; [unrolled: 1-line block ×3, first 2 shown]
	v_xor_b32_e32 v2, 8, v19
	ds_write_b64 v2, v[16:17] offset:16384
	ds_write_b64 v19, v[10:11] offset:24576
	ds_write_b64 v2, v[12:13] offset:24576
	v_or_b32_e32 v2, v1, v62
	v_lshlrev_b32_e32 v2, 3, v2
	v_lshrrev_b32_e32 v4, 5, v53
	s_movk_i32 s12, 0xf8
	v_and_or_b32 v4, v2, s12, v4
	v_lshlrev_b32_e32 v3, 11, v60
	v_lshlrev_b32_e32 v12, 4, v4
	v_and_b32_e32 v13, 0x78, v2
	v_and_b32_e32 v14, 0x1000, v3
	v_lshlrev_b32_e32 v3, 2, v0
	v_xor_b32_e32 v2, v12, v13
	v_lshrrev_b32_e32 v4, 1, v53
	v_and_b32_e32 v3, 60, v3
	v_or_b32_e32 v2, v2, v14
	v_and_b32_e32 v15, 8, v4
	v_xor_b32_e32 v26, v2, v15
	v_lshl_or_b32 v2, v61, 6, v3
	v_lshlrev_b32_e32 v19, 1, v2
	v_or_b32_e32 v2, 32, v12
	v_xor_b32_e32 v2, v2, v13
	s_waitcnt lgkmcnt(0)
	s_barrier
	ds_read_b64 v[10:11], v26 offset:16384
	v_or_b32_e32 v2, v2, v14
	v_xor_b32_e32 v27, v2, v15
	v_or_b32_e32 v2, 64, v12
	v_xor_b32_e32 v2, v2, v13
	v_or_b32_e32 v2, v2, v14
	v_or_b32_e32 v12, 0x60, v12
	v_xor_b32_e32 v28, v2, v15
	ds_read2st64_b64 v[2:5], v19 offset0:72 offset1:73
	ds_read2st64_b64 v[6:9], v19 offset0:74 offset1:75
	v_xor_b32_e32 v16, v12, v13
	ds_read_b64 v[12:13], v27 offset:16384
	s_addc_u32 s5, s5, s1
	s_add_i32 s1, s43, s33
	s_waitcnt lgkmcnt(2)
	v_mfma_f32_16x16x16_bf16 a[0:3], v[10:11], v[2:3], 0
	s_add_i32 s0, s31, -1
	s_add_i32 s37, s1, s44
	s_add_i32 s1, s45, s42
	;; [unrolled: 1-line block ×3, first 2 shown]
	s_ashr_i32 s1, s0, 31
	s_mul_i32 s2, s0, s29
	s_mul_hi_u32 s3, s0, s28
	s_add_i32 s2, s3, s2
	s_mul_i32 s1, s1, s28
	v_or_b32_e32 v14, v16, v14
	s_add_i32 s1, s2, s1
	s_lshl_b64 s[2:3], s[36:37], 2
	v_xor_b32_e32 v36, v14, v15
	ds_read_b64 v[14:15], v28 offset:16384
	ds_read_b64 v[16:17], v36 offset:16384
	s_waitcnt lgkmcnt(2)
	v_mfma_f32_16x16x16_bf16 a[0:3], v[12:13], v[4:5], a[0:3]
	s_add_u32 s10, s10, s2
	s_addc_u32 s11, s11, s3
	s_lshl_b64 s[2:3], s[34:35], 2
	s_mul_i32 s0, s0, s28
	s_add_u32 s10, s10, s2
	s_addc_u32 s11, s11, s3
	s_lshl_b64 s[0:1], s[0:1], 2
	s_waitcnt lgkmcnt(1)
	v_mfma_f32_16x16x16_bf16 a[0:3], v[14:15], v[6:7], a[0:3]
	s_add_u32 s0, s10, s0
	s_addc_u32 s1, s11, s1
	s_load_dword s12, s[0:1], 0x0
	s_waitcnt lgkmcnt(0)
	v_mfma_f32_16x16x16_bf16 a[0:3], v[16:17], v[8:9], a[0:3]
	s_and_b64 vcc, exec, s[22:23]
	s_cbranch_vccz .LBB644_42
; %bb.32:
	v_lshlrev_b32_e32 v20, 1, v35
	s_and_b64 vcc, exec, s[6:7]
	s_cbranch_vccz .LBB644_43
; %bb.33:
	v_cmp_gt_i32_e32 vcc, s27, v20
	v_mov_b32_e32 v6, 0
	v_mov_b32_e32 v2, 0
	;; [unrolled: 1-line block ×5, first 2 shown]
	s_and_saveexec_b64 s[0:1], vcc
	s_cbranch_execz .LBB644_35
; %bb.34:
	v_mad_i64_i32 v[2:3], s[2:3], s15, v20, 0
	v_lshl_add_u64 v[2:3], v[2:3], 1, s[4:5]
	v_lshlrev_b32_e32 v4, 1, v18
	v_mov_b32_e32 v5, 0
	v_lshl_add_u64 v[2:3], v[2:3], 0, v[4:5]
	global_load_dwordx4 v[2:5], v[2:3], off
.LBB644_35:
	s_or_b64 exec, exec, s[0:1]
	v_or_b32_e32 v21, 1, v20
	v_cmp_gt_i32_e64 s[0:1], s27, v21
	v_mov_b32_e32 v7, 0
	v_mov_b32_e32 v8, 0
	;; [unrolled: 1-line block ×3, first 2 shown]
	s_and_saveexec_b64 s[2:3], s[0:1]
	s_cbranch_execz .LBB644_37
; %bb.36:
	v_mad_i64_i32 v[6:7], s[16:17], s15, v21, 0
	v_lshl_add_u64 v[6:7], v[6:7], 1, s[4:5]
	v_lshlrev_b32_e32 v8, 1, v18
	v_mov_b32_e32 v9, 0
	v_lshl_add_u64 v[6:7], v[6:7], 0, v[8:9]
	global_load_dwordx4 v[6:9], v[6:7], off
.LBB644_37:
	s_or_b64 exec, exec, s[2:3]
	v_mov_b32_e32 v17, 0
	v_mov_b32_e32 v10, 0
	;; [unrolled: 1-line block ×5, first 2 shown]
	s_and_saveexec_b64 s[2:3], vcc
	s_cbranch_execz .LBB644_39
; %bb.38:
	v_mad_i64_i32 v[10:11], s[16:17], s15, v20, 0
	v_lshl_add_u64 v[10:11], v[10:11], 1, s[4:5]
	v_lshlrev_b32_e32 v12, 1, v18
	v_mov_b32_e32 v13, 0
	v_lshl_add_u64 v[10:11], v[10:11], 0, v[12:13]
	global_load_dwordx4 v[10:13], v[10:11], off offset:128
.LBB644_39:
	s_or_b64 exec, exec, s[2:3]
	v_mov_b32_e32 v16, 0
	v_mov_b32_e32 v15, 0
	;; [unrolled: 1-line block ×3, first 2 shown]
	s_and_saveexec_b64 s[2:3], s[0:1]
	s_cbranch_execz .LBB644_41
; %bb.40:
	v_mad_i64_i32 v[14:15], s[0:1], s15, v21, 0
	v_lshl_add_u64 v[14:15], v[14:15], 1, s[4:5]
	v_lshlrev_b32_e32 v16, 1, v18
	v_mov_b32_e32 v17, 0
	v_lshl_add_u64 v[14:15], v[14:15], 0, v[16:17]
	global_load_dwordx4 v[14:17], v[14:15], off offset:128
.LBB644_41:
	s_or_b64 exec, exec, s[2:3]
	s_branch .LBB644_45
.LBB644_42:
                                        ; implicit-def: $vgpr5
                                        ; implicit-def: $vgpr9
                                        ; implicit-def: $vgpr13
                                        ; implicit-def: $vgpr17
	v_lshrrev_b32_e32 v37, 2, v53
	s_branch .LBB644_46
.LBB644_43:
                                        ; implicit-def: $vgpr5
                                        ; implicit-def: $vgpr9
                                        ; implicit-def: $vgpr13
                                        ; implicit-def: $vgpr17
	s_cbranch_execz .LBB644_45
; %bb.44:
	s_waitcnt vmcnt(0)
	v_mad_u64_u32 v[2:3], s[0:1], v20, s15, v[18:19]
	v_lshlrev_b32_e32 v20, 1, v2
	s_lshl_b32 s2, s15, 7
	s_and_b32 s1, s5, 0xffff
	s_mov_b32 s3, 0x20000
	s_mov_b32 s0, s4
	v_add_lshl_u32 v21, v2, s15, 1
	s_movk_i32 s13, 0x80
	buffer_load_dwordx4 v[2:5], v20, s[0:3], 0 offen
	buffer_load_dwordx4 v[10:13], v20, s[0:3], s13 offen
	;; [unrolled: 1-line block ×4, first 2 shown]
.LBB644_45:
	v_lshrrev_b32_e32 v37, 2, v53
	s_cbranch_execnz .LBB644_58
.LBB644_46:
	s_and_b64 vcc, exec, s[6:7]
	s_cbranch_vccz .LBB644_56
; %bb.47:
	s_waitcnt vmcnt(0)
	v_lshlrev_b32_e32 v7, 1, v35
	v_cmp_gt_i32_e32 vcc, s27, v7
	v_mov_b32_e32 v6, 0
	v_lshlrev_b32_e32 v14, 9, v35
	v_mov_b32_e32 v2, 0
	v_mov_b32_e32 v3, 0
	;; [unrolled: 1-line block ×4, first 2 shown]
	s_and_saveexec_b64 s[0:1], vcc
	s_cbranch_execz .LBB644_49
; %bb.48:
	v_mov_b32_e32 v15, 0
	v_lshl_add_u64 v[2:3], s[4:5], 0, v[14:15]
	v_lshlrev_b32_e32 v4, 1, v18
	v_mov_b32_e32 v5, v15
	v_lshl_add_u64 v[2:3], v[2:3], 0, v[4:5]
	global_load_dwordx4 v[2:5], v[2:3], off
.LBB644_49:
	s_or_b64 exec, exec, s[0:1]
	v_or_b32_e32 v7, 1, v7
	v_cmp_gt_i32_e64 s[0:1], s27, v7
	v_lshlrev_b32_e32 v20, 8, v7
	v_mov_b32_e32 v7, 0
	v_mov_b32_e32 v8, 0
	;; [unrolled: 1-line block ×3, first 2 shown]
	s_and_saveexec_b64 s[2:3], s[0:1]
	s_cbranch_execz .LBB644_51
; %bb.50:
	v_mov_b32_e32 v21, 0
	v_lshl_add_u64 v[6:7], s[4:5], 0, v[20:21]
	v_lshlrev_b32_e32 v8, 1, v18
	v_mov_b32_e32 v9, v21
	v_lshl_add_u64 v[6:7], v[6:7], 0, v[8:9]
	global_load_dwordx4 v[6:9], v[6:7], off
.LBB644_51:
	s_or_b64 exec, exec, s[2:3]
	v_mov_b32_e32 v17, 0
	v_mov_b32_e32 v10, 0
	;; [unrolled: 1-line block ×5, first 2 shown]
	s_and_saveexec_b64 s[2:3], vcc
	s_cbranch_execz .LBB644_53
; %bb.52:
	v_mov_b32_e32 v15, 0
	v_lshl_add_u64 v[10:11], s[4:5], 0, v[14:15]
	v_lshlrev_b32_e32 v14, 1, v18
	v_lshl_add_u64 v[10:11], v[10:11], 0, v[14:15]
	global_load_dwordx4 v[10:13], v[10:11], off offset:128
.LBB644_53:
	s_or_b64 exec, exec, s[2:3]
	v_mov_b32_e32 v16, 0
	v_mov_b32_e32 v15, 0
	;; [unrolled: 1-line block ×3, first 2 shown]
	s_and_saveexec_b64 s[2:3], s[0:1]
	s_cbranch_execz .LBB644_55
; %bb.54:
	v_mov_b32_e32 v21, 0
	v_lshl_add_u64 v[14:15], s[4:5], 0, v[20:21]
	v_lshlrev_b32_e32 v20, 1, v18
	v_lshl_add_u64 v[14:15], v[14:15], 0, v[20:21]
	global_load_dwordx4 v[14:17], v[14:15], off offset:128
.LBB644_55:
	s_or_b64 exec, exec, s[2:3]
	s_branch .LBB644_58
.LBB644_56:
                                        ; implicit-def: $vgpr5
                                        ; implicit-def: $vgpr9
                                        ; implicit-def: $vgpr13
                                        ; implicit-def: $vgpr17
	s_cbranch_execz .LBB644_58
; %bb.57:
	s_waitcnt vmcnt(0)
	v_lshlrev_b32_e32 v2, 1, v18
	v_lshl_or_b32 v18, v35, 9, v2
	s_and_b32 s5, s5, 0xffff
	s_mov_b32 s7, 0x20000
	s_movk_i32 s6, 0x4000
	s_movk_i32 s0, 0x80
	buffer_load_dwordx4 v[2:5], v18, s[4:7], 0 offen
	buffer_load_dwordx4 v[6:9], v18, s[4:7], 0 offen offset:256
	buffer_load_dwordx4 v[10:13], v18, s[4:7], s0 offen
	buffer_load_dwordx4 v[14:17], v18, s[4:7], s0 offen offset:256
.LBB644_58:
	ds_read2st64_b64 v[22:25], v19 offset0:76 offset1:77
	ds_read2st64_b64 v[18:21], v19 offset0:78 offset1:79
	ds_read_b64 v[30:31], v26 offset:24576
	ds_read_b64 v[32:33], v27 offset:24576
	;; [unrolled: 1-line block ×4, first 2 shown]
	v_and_b32_e32 v36, 6, v0
	v_xor_b32_e32 v35, v35, v36
	v_lshlrev_b32_e32 v35, 2, v35
	v_and_b32_e32 v0, 1, v0
	v_xor_b32_e32 v38, 0x440, v35
	v_cmp_eq_u32_e32 vcc, 0, v0
	s_mov_b32 s0, 0x1000504
	s_mov_b32 s1, 0x3020706
	v_cndmask_b32_e32 v0, v38, v35, vcc
	v_lshl_or_b32 v0, v36, 10, v0
	s_waitcnt vmcnt(0)
	v_perm_b32 v35, v2, v6, s0
	v_perm_b32 v36, v10, v14, s0
	ds_write2st64_b32 v0, v35, v36 offset1:32
	v_xor_b32_e32 v35, 8, v0
	v_perm_b32 v2, v2, v6, s1
	v_perm_b32 v6, v10, v14, s1
	v_add_u32_e32 v10, 0x80, v35
	ds_write2st64_b32 v10, v2, v6 offset1:32
	v_xor_b32_e32 v2, 16, v0
	v_perm_b32 v6, v3, v7, s0
	v_perm_b32 v10, v11, v15, s0
	ds_write2st64_b32 v2, v6, v10 offset0:1 offset1:33
	v_xor_b32_e32 v2, 24, v0
	v_perm_b32 v3, v3, v7, s1
	v_perm_b32 v6, v11, v15, s1
	v_add_u32_e32 v2, 0x80, v2
	ds_write2st64_b32 v2, v3, v6 offset0:1 offset1:33
	v_xor_b32_e32 v2, 32, v0
	v_perm_b32 v3, v4, v8, s0
	v_perm_b32 v6, v12, v16, s0
	ds_write2st64_b32 v2, v3, v6 offset0:2 offset1:34
	v_xor_b32_e32 v2, 40, v0
	v_perm_b32 v3, v4, v8, s1
	v_perm_b32 v4, v12, v16, s1
	v_add_u32_e32 v2, 0x80, v2
	ds_write2st64_b32 v2, v3, v4 offset0:2 offset1:34
	v_xor_b32_e32 v2, 48, v0
	v_perm_b32 v3, v5, v9, s0
	v_perm_b32 v4, v13, v17, s0
	v_xor_b32_e32 v0, 56, v0
	v_and_or_b32 v6, v37, 12, v1
	ds_write2st64_b32 v2, v3, v4 offset0:3 offset1:35
	v_perm_b32 v2, v5, v9, s1
	v_perm_b32 v3, v13, v17, s1
	v_add_u32_e32 v0, 0x80, v0
	v_cmp_gt_i32_e32 vcc, s27, v6
	v_mov_b32_e32 v7, 0
	v_mov_b32_e32 v11, 0
	ds_write2st64_b32 v0, v2, v3 offset0:3 offset1:35
	s_and_saveexec_b64 s[0:1], vcc
	s_cbranch_execz .LBB644_60
; %bb.59:
	v_add_u32_e32 v0, s26, v6
	v_ashrrev_i32_e32 v1, 31, v0
	v_mul_lo_u32 v2, v1, s28
	v_mul_lo_u32 v3, v0, s29
	v_mad_u64_u32 v[0:1], s[2:3], v0, s28, 0
	v_add3_u32 v1, v1, v3, v2
	v_lshl_add_u64 v[0:1], v[0:1], 2, s[10:11]
	global_load_dword v0, v[0:1], off
	s_waitcnt vmcnt(0)
	v_sub_f32_e32 v0, s12, v0
	v_exp_f32_e32 v11, v0
.LBB644_60:
	s_or_b64 exec, exec, s[0:1]
	v_or_b32_e32 v9, 1, v6
	v_cmp_gt_i32_e64 s[0:1], s27, v9
	s_and_saveexec_b64 s[2:3], s[0:1]
	s_cbranch_execz .LBB644_62
; %bb.61:
	v_add_u32_e32 v0, s26, v9
	v_ashrrev_i32_e32 v1, 31, v0
	v_mul_lo_u32 v2, v1, s28
	v_mul_lo_u32 v3, v0, s29
	v_mad_u64_u32 v[0:1], s[4:5], v0, s28, 0
	v_add3_u32 v1, v1, v3, v2
	v_lshl_add_u64 v[0:1], v[0:1], 2, s[10:11]
	global_load_dword v0, v[0:1], off
	s_waitcnt vmcnt(0)
	v_sub_f32_e32 v0, s12, v0
	v_exp_f32_e32 v7, v0
.LBB644_62:
	s_or_b64 exec, exec, s[2:3]
	v_or_b32_e32 v10, 2, v6
	v_cmp_gt_i32_e64 s[2:3], s27, v10
	v_mov_b32_e32 v8, 0
	v_mov_b32_e32 v13, 0
	s_and_saveexec_b64 s[4:5], s[2:3]
	s_cbranch_execz .LBB644_64
; %bb.63:
	v_add_u32_e32 v0, s26, v10
	v_ashrrev_i32_e32 v1, 31, v0
	v_mul_lo_u32 v2, v1, s28
	v_mul_lo_u32 v3, v0, s29
	v_mad_u64_u32 v[0:1], s[6:7], v0, s28, 0
	v_add3_u32 v1, v1, v3, v2
	v_lshl_add_u64 v[0:1], v[0:1], 2, s[10:11]
	global_load_dword v0, v[0:1], off
	s_waitcnt vmcnt(0)
	v_sub_f32_e32 v0, s12, v0
	v_exp_f32_e32 v13, v0
.LBB644_64:
	s_or_b64 exec, exec, s[4:5]
	v_or_b32_e32 v12, 3, v6
	v_cmp_gt_i32_e64 s[4:5], s27, v12
	s_and_saveexec_b64 s[6:7], s[4:5]
	s_cbranch_execz .LBB644_66
; %bb.65:
	v_add_u32_e32 v0, s26, v12
	v_ashrrev_i32_e32 v1, 31, v0
	v_mul_lo_u32 v2, v1, s28
	v_mul_lo_u32 v3, v0, s29
	v_mad_u64_u32 v[0:1], s[14:15], v0, s28, 0
	v_add3_u32 v1, v1, v3, v2
	v_lshl_add_u64 v[0:1], v[0:1], 2, s[10:11]
	global_load_dword v0, v[0:1], off
	s_waitcnt vmcnt(0)
	v_sub_f32_e32 v0, s12, v0
	v_exp_f32_e32 v8, v0
.LBB644_66:
	s_or_b64 exec, exec, s[6:7]
	s_waitcnt lgkmcnt(11)
	v_mfma_f32_16x16x16_bf16 a[0:3], v[30:31], v[22:23], a[0:3]
	s_add_u32 s6, s8, s20
	v_ashrrev_i32_e32 v55, 31, v54
	s_addc_u32 s7, s9, s21
	s_waitcnt lgkmcnt(10)
	v_mfma_f32_16x16x16_bf16 a[0:3], v[32:33], v[24:25], a[0:3]
	v_mov_b32_e32 v14, 0
	v_lshl_add_u64 v[4:5], v[54:55], 1, s[6:7]
	v_mov_b32_e32 v15, 0
	s_waitcnt lgkmcnt(9)
	v_mfma_f32_16x16x16_bf16 a[0:3], v[28:29], v[18:19], a[0:3]
	s_waitcnt lgkmcnt(8)
	v_mfma_f32_16x16x16_bf16 a[0:3], v[26:27], v[20:21], a[0:3]
	s_nop 6
	v_accvgpr_read_b32 v0, a0
	v_accvgpr_read_b32 v1, a1
	;; [unrolled: 1-line block ×4, first 2 shown]
	s_and_saveexec_b64 s[6:7], vcc
	s_cbranch_execz .LBB644_68
; %bb.67:
	v_lshlrev_b32_e32 v16, 8, v6
	v_mov_b32_e32 v17, 0
	v_lshl_add_u64 v[16:17], v[4:5], 0, v[16:17]
	global_load_ushort v15, v[16:17], off
	s_waitcnt vmcnt(0)
	v_lshlrev_b32_e32 v15, 16, v15
	v_sub_f32_e32 v0, v15, v0
	v_mul_f32_e32 v0, v11, v0
	v_lshrrev_b32_e32 v15, 16, v0
.LBB644_68:
	s_or_b64 exec, exec, s[6:7]
	s_and_saveexec_b64 s[6:7], s[0:1]
	s_cbranch_execz .LBB644_70
; %bb.69:
	v_lshlrev_b32_e32 v16, 8, v9
	v_mov_b32_e32 v17, 0
	v_lshl_add_u64 v[16:17], v[4:5], 0, v[16:17]
	global_load_ushort v0, v[16:17], off
	s_waitcnt vmcnt(0)
	v_lshlrev_b32_e32 v0, 16, v0
	v_sub_f32_e32 v0, v0, v1
	v_mul_f32_e32 v0, v7, v0
	v_lshrrev_b32_e32 v14, 16, v0
.LBB644_70:
	s_or_b64 exec, exec, s[6:7]
	v_mov_b32_e32 v0, 0
	v_mov_b32_e32 v1, 0
	s_and_saveexec_b64 s[0:1], s[2:3]
	s_cbranch_execz .LBB644_72
; %bb.71:
	v_lshlrev_b32_e32 v10, 8, v10
	v_mov_b32_e32 v11, 0
	v_lshl_add_u64 v[10:11], v[4:5], 0, v[10:11]
	global_load_ushort v1, v[10:11], off
	s_waitcnt vmcnt(0)
	v_lshlrev_b32_e32 v1, 16, v1
	v_sub_f32_e32 v1, v1, v2
	v_mul_f32_e32 v1, v13, v1
	v_lshrrev_b32_e32 v1, 16, v1
.LBB644_72:
	s_or_b64 exec, exec, s[0:1]
	s_and_saveexec_b64 s[0:1], s[4:5]
	s_cbranch_execz .LBB644_74
; %bb.73:
	v_lshlrev_b32_e32 v10, 8, v12
	v_mov_b32_e32 v11, 0
	v_lshl_add_u64 v[4:5], v[4:5], 0, v[10:11]
	global_load_ushort v0, v[4:5], off
	s_waitcnt vmcnt(0)
	v_lshlrev_b32_e32 v0, 16, v0
	v_sub_f32_e32 v0, v0, v3
	v_mul_f32_e32 v0, v8, v0
	v_lshrrev_b32_e32 v0, 16, v0
.LBB644_74:
	s_or_b64 exec, exec, s[0:1]
	s_mov_b32 s0, 0x5040100
	v_lshlrev_b32_e32 v2, 1, v34
	v_perm_b32 v1, v0, v1, s0
	v_perm_b32 v0, v14, v15, s0
	v_lshl_or_b32 v2, v6, 5, v2
	ds_write_b64 v2, v[0:1] offset:38912
	s_waitcnt lgkmcnt(0)
	s_barrier
.LBB644_75:
	s_endpgm
	.section	.rodata,"a",@progbits
	.p2align	6, 0x0
	.amdhsa_kernel _ZN12_GLOBAL__N_139chunk_gated_delta_rule_fwd_h_hip_kernelILi16ELb1ELb0ELb0ELb1ELb1ELb1ELb1ELb0EEEvPK12hip_bfloat16S3_S3_PKfS5_PKvPS1_S8_PvPKiSB_iiiiilll
		.amdhsa_group_segment_fixed_size 40960
		.amdhsa_private_segment_fixed_size 0
		.amdhsa_kernarg_size 136
		.amdhsa_user_sgpr_count 2
		.amdhsa_user_sgpr_dispatch_ptr 0
		.amdhsa_user_sgpr_queue_ptr 0
		.amdhsa_user_sgpr_kernarg_segment_ptr 1
		.amdhsa_user_sgpr_dispatch_id 0
		.amdhsa_user_sgpr_kernarg_preload_length 0
		.amdhsa_user_sgpr_kernarg_preload_offset 0
		.amdhsa_user_sgpr_private_segment_size 0
		.amdhsa_uses_dynamic_stack 0
		.amdhsa_enable_private_segment 0
		.amdhsa_system_sgpr_workgroup_id_x 1
		.amdhsa_system_sgpr_workgroup_id_y 1
		.amdhsa_system_sgpr_workgroup_id_z 0
		.amdhsa_system_sgpr_workgroup_info 0
		.amdhsa_system_vgpr_workitem_id 0
		.amdhsa_next_free_vgpr 124
		.amdhsa_next_free_sgpr 61
		.amdhsa_accum_offset 112
		.amdhsa_reserve_vcc 1
		.amdhsa_float_round_mode_32 0
		.amdhsa_float_round_mode_16_64 0
		.amdhsa_float_denorm_mode_32 3
		.amdhsa_float_denorm_mode_16_64 3
		.amdhsa_dx10_clamp 1
		.amdhsa_ieee_mode 1
		.amdhsa_fp16_overflow 0
		.amdhsa_tg_split 0
		.amdhsa_exception_fp_ieee_invalid_op 0
		.amdhsa_exception_fp_denorm_src 0
		.amdhsa_exception_fp_ieee_div_zero 0
		.amdhsa_exception_fp_ieee_overflow 0
		.amdhsa_exception_fp_ieee_underflow 0
		.amdhsa_exception_fp_ieee_inexact 0
		.amdhsa_exception_int_div_zero 0
	.end_amdhsa_kernel
	.section	.text._ZN12_GLOBAL__N_139chunk_gated_delta_rule_fwd_h_hip_kernelILi16ELb1ELb0ELb0ELb1ELb1ELb1ELb1ELb0EEEvPK12hip_bfloat16S3_S3_PKfS5_PKvPS1_S8_PvPKiSB_iiiiilll,"axG",@progbits,_ZN12_GLOBAL__N_139chunk_gated_delta_rule_fwd_h_hip_kernelILi16ELb1ELb0ELb0ELb1ELb1ELb1ELb1ELb0EEEvPK12hip_bfloat16S3_S3_PKfS5_PKvPS1_S8_PvPKiSB_iiiiilll,comdat
.Lfunc_end644:
	.size	_ZN12_GLOBAL__N_139chunk_gated_delta_rule_fwd_h_hip_kernelILi16ELb1ELb0ELb0ELb1ELb1ELb1ELb1ELb0EEEvPK12hip_bfloat16S3_S3_PKfS5_PKvPS1_S8_PvPKiSB_iiiiilll, .Lfunc_end644-_ZN12_GLOBAL__N_139chunk_gated_delta_rule_fwd_h_hip_kernelILi16ELb1ELb0ELb0ELb1ELb1ELb1ELb1ELb0EEEvPK12hip_bfloat16S3_S3_PKfS5_PKvPS1_S8_PvPKiSB_iiiiilll
                                        ; -- End function
	.section	.AMDGPU.csdata,"",@progbits
; Kernel info:
; codeLenInByte = 7160
; NumSgprs: 67
; NumVgprs: 112
; NumAgprs: 12
; TotalNumVgprs: 124
; ScratchSize: 0
; MemoryBound: 0
; FloatMode: 240
; IeeeMode: 1
; LDSByteSize: 40960 bytes/workgroup (compile time only)
; SGPRBlocks: 8
; VGPRBlocks: 15
; NumSGPRsForWavesPerEU: 67
; NumVGPRsForWavesPerEU: 124
; AccumOffset: 112
; Occupancy: 1
; WaveLimiterHint : 1
; COMPUTE_PGM_RSRC2:SCRATCH_EN: 0
; COMPUTE_PGM_RSRC2:USER_SGPR: 2
; COMPUTE_PGM_RSRC2:TRAP_HANDLER: 0
; COMPUTE_PGM_RSRC2:TGID_X_EN: 1
; COMPUTE_PGM_RSRC2:TGID_Y_EN: 1
; COMPUTE_PGM_RSRC2:TGID_Z_EN: 0
; COMPUTE_PGM_RSRC2:TIDIG_COMP_CNT: 0
; COMPUTE_PGM_RSRC3_GFX90A:ACCUM_OFFSET: 27
; COMPUTE_PGM_RSRC3_GFX90A:TG_SPLIT: 0
	.section	.text._ZN12_GLOBAL__N_139chunk_gated_delta_rule_fwd_h_hip_kernelILi16ELb0ELb1ELb1ELb1ELb1ELb1ELb1ELb0EEEvPK12hip_bfloat16S3_S3_PKfS5_PKvPS1_S8_PvPKiSB_iiiiilll,"axG",@progbits,_ZN12_GLOBAL__N_139chunk_gated_delta_rule_fwd_h_hip_kernelILi16ELb0ELb1ELb1ELb1ELb1ELb1ELb1ELb0EEEvPK12hip_bfloat16S3_S3_PKfS5_PKvPS1_S8_PvPKiSB_iiiiilll,comdat
	.globl	_ZN12_GLOBAL__N_139chunk_gated_delta_rule_fwd_h_hip_kernelILi16ELb0ELb1ELb1ELb1ELb1ELb1ELb1ELb0EEEvPK12hip_bfloat16S3_S3_PKfS5_PKvPS1_S8_PvPKiSB_iiiiilll ; -- Begin function _ZN12_GLOBAL__N_139chunk_gated_delta_rule_fwd_h_hip_kernelILi16ELb0ELb1ELb1ELb1ELb1ELb1ELb1ELb0EEEvPK12hip_bfloat16S3_S3_PKfS5_PKvPS1_S8_PvPKiSB_iiiiilll
	.p2align	8
	.type	_ZN12_GLOBAL__N_139chunk_gated_delta_rule_fwd_h_hip_kernelILi16ELb0ELb1ELb1ELb1ELb1ELb1ELb1ELb0EEEvPK12hip_bfloat16S3_S3_PKfS5_PKvPS1_S8_PvPKiSB_iiiiilll,@function
_ZN12_GLOBAL__N_139chunk_gated_delta_rule_fwd_h_hip_kernelILi16ELb0ELb1ELb1ELb1ELb1ELb1ELb1ELb0EEEvPK12hip_bfloat16S3_S3_PKfS5_PKvPS1_S8_PvPKiSB_iiiiilll: ; @_ZN12_GLOBAL__N_139chunk_gated_delta_rule_fwd_h_hip_kernelILi16ELb0ELb1ELb1ELb1ELb1ELb1ELb1ELb0EEEvPK12hip_bfloat16S3_S3_PKfS5_PKvPS1_S8_PvPKiSB_iiiiilll
; %bb.0:
	s_load_dwordx4 s[20:23], s[0:1], 0x5c
	s_load_dwordx2 s[40:41], s[0:1], 0x20
	s_abs_i32 s27, s3
	s_ashr_i32 s26, s3, 31
	s_load_dwordx2 s[24:25], s[0:1], 0x50
	s_load_dwordx8 s[4:11], s[0:1], 0x30
	s_load_dwordx8 s[12:19], s[0:1], 0x0
	s_waitcnt lgkmcnt(0)
	s_abs_i32 s30, s21
	v_cvt_f32_u32_e32 v1, s30
	s_sub_i32 s28, 0, s30
	s_ashr_i32 s33, s21, 31
	s_xor_b32 s26, s26, s33
	v_rcp_iflag_f32_e32 v1, v1
	v_lshrrev_b32_e32 v53, 6, v0
	v_bfe_u32 v62, v0, 4, 2
	v_lshlrev_b32_e32 v60, 4, v53
	v_mul_f32_e32 v1, 0x4f7ffffe, v1
	v_cvt_u32_f32_e32 v1, v1
	v_lshlrev_b32_e32 v10, 2, v62
	v_and_b32_e32 v61, 63, v0
	v_mov_b32_e32 v9, 0
	v_readfirstlane_b32 s29, v1
	s_mul_i32 s28, s28, s29
	s_mul_hi_u32 s28, s29, s28
	s_add_i32 s29, s29, s28
	s_mul_hi_u32 s28, s27, s29
	s_mul_i32 s29, s28, s30
	s_sub_i32 s27, s27, s29
	s_add_i32 s31, s28, 1
	s_sub_i32 s29, s27, s30
	s_cmp_ge_u32 s27, s30
	s_cselect_b32 s28, s31, s28
	s_cselect_b32 s27, s29, s27
	s_add_i32 s29, s28, 1
	s_cmp_ge_u32 s27, s30
	s_cselect_b32 s27, s29, s28
	s_xor_b32 s27, s27, s26
	s_sub_i32 s34, s27, s26
	s_mul_i32 s26, s34, s21
	s_ashr_i32 s35, s34, 31
	s_sub_i32 s48, s3, s26
	s_lshl_b64 s[26:27], s[34:35], 2
	s_add_u32 s10, s10, s26
	s_addc_u32 s11, s11, s27
	s_add_u32 s28, s24, s26
	s_addc_u32 s29, s25, s27
	s_abs_i32 s3, s22
	v_cvt_f32_u32_e32 v1, s3
	s_load_dwordx2 s[42:43], s[10:11], 0x0
	s_sub_i32 s11, 0, s3
	s_mov_b32 s49, s21
	v_rcp_iflag_f32_e32 v1, v1
	v_and_b32_e32 v63, 15, v0
	s_waitcnt lgkmcnt(0)
	s_sub_i32 s53, s43, s42
	s_ashr_i32 s10, s53, 31
	v_mul_f32_e32 v1, 0x4f7ffffe, v1
	v_cvt_u32_f32_e32 v1, v1
	s_lshr_b32 s10, s10, 26
	s_add_i32 s10, s53, s10
	s_ashr_i32 s54, s10, 6
	v_readfirstlane_b32 s24, v1
	s_mul_i32 s11, s11, s24
	s_mul_hi_u32 s11, s24, s11
	s_add_i32 s24, s24, s11
	s_mul_hi_u32 s11, s30, s24
	s_mul_i32 s24, s11, s3
	s_ashr_i32 s10, s22, 31
	s_sub_i32 s24, s30, s24
	s_xor_b32 s10, s33, s10
	s_add_i32 s25, s11, 1
	s_sub_i32 s26, s24, s3
	s_cmp_ge_u32 s24, s3
	s_cselect_b32 s11, s25, s11
	s_cselect_b32 s24, s26, s24
	s_add_i32 s25, s11, 1
	s_cmp_ge_u32 s24, s3
	s_cselect_b32 s3, s25, s11
	s_xor_b32 s3, s3, s10
	s_sub_i32 s3, s3, s10
	s_abs_i32 s30, s3
	v_cvt_f32_u32_e32 v1, s30
	s_load_dwordx2 s[10:11], s[0:1], 0x80
	s_load_dwordx4 s[24:27], s[0:1], 0x70
	s_load_dword s55, s[28:29], 0x0
	s_xor_b32 s0, s48, s3
	v_rcp_iflag_f32_e32 v1, v1
	s_sub_i32 s3, 0, s30
	s_abs_i32 s1, s48
	s_ashr_i32 s0, s0, 31
	v_mul_f32_e32 v1, 0x4f7ffffe, v1
	v_cvt_u32_f32_e32 v1, v1
	s_mul_hi_i32 s56, s48, s20
	s_mul_i32 s57, s48, s20
	v_lshrrev_b32_e32 v65, 3, v61
	v_readfirstlane_b32 s28, v1
	s_mul_i32 s3, s3, s28
	s_mul_hi_u32 s3, s28, s3
	s_add_i32 s28, s28, s3
	s_mul_hi_u32 s3, s1, s28
	s_mul_i32 s28, s3, s30
	s_sub_i32 s1, s1, s28
	s_add_i32 s28, s3, 1
	s_sub_i32 s29, s1, s30
	s_cmp_ge_u32 s1, s30
	s_cselect_b32 s3, s28, s3
	s_cselect_b32 s1, s29, s1
	s_add_i32 s28, s3, 1
	s_cmp_ge_u32 s1, s30
	s_cselect_b32 s1, s28, s3
	s_xor_b32 s1, s1, s0
	s_sub_i32 s58, s1, s0
	v_or_b32_e32 v1, v10, v60
	s_lshl_b32 s2, s2, 4
	v_or_b32_e32 v66, 64, v1
	s_cmp_lt_i32 s53, 64
	v_lshlrev_b32_e32 v64, 3, v0
	s_waitcnt lgkmcnt(0)
	s_mul_i32 s50, s34, s25
	s_mul_hi_u32 s51, s34, s24
	s_mul_i32 s52, s35, s24
	s_mul_i32 s44, s34, s24
	v_mov_b32_e32 v8, v9
	v_mov_b32_e32 v7, v9
	v_mov_b32_e32 v6, v9
	v_mov_b32_e32 v5, v9
	v_mov_b32_e32 v4, v9
	v_mov_b32_e32 v3, v9
	v_mov_b32_e32 v2, v9
	s_cbranch_scc1 .LBB645_18
; %bb.1:
	s_ashr_i32 s60, s48, 31
	s_ashr_i32 s1, s42, 31
	s_add_u32 s0, s57, s42
	s_addc_u32 s1, s56, s1
	s_lshl_b64 s[0:1], s[0:1], 8
	v_and_b32_e32 v68, 56, v64
	s_add_u32 s28, s14, s0
	v_lshl_or_b32 v67, v53, 3, v65
	v_lshlrev_b32_e32 v3, 1, v68
	s_addc_u32 s0, s15, s1
	v_lshl_or_b32 v69, v67, 8, v3
	s_and_b32 s29, s0, 0xffff
	s_mov_b32 s31, 0x20000
	s_movk_i32 s30, 0x4000
	s_movk_i32 s0, 0x80
	v_or_b32_e32 v70, 0x2000, v69
	buffer_load_dwordx4 v[4:7], v69, s[28:31], 0 offen
	buffer_load_dwordx4 v[12:15], v69, s[28:31], s0 offen
	;; [unrolled: 1-line block ×4, first 2 shown]
	v_lshlrev_b32_e32 v2, 3, v67
	v_and_or_b32 v9, v0, 7, v2
	v_and_b32_e32 v2, 0x78, v2
	v_lshlrev_b32_e32 v9, 4, v9
	v_xor_b32_e32 v71, v9, v2
	v_mul_lo_u32 v8, v67, s23
	v_or_b32_e32 v72, 0x1000, v71
	v_xor_b32_e32 v2, 8, v71
	s_cmpk_eq_i32 s23, 0x80
	s_mov_b32 s59, s42
	v_xor_b32_e32 v9, 8, v72
	s_cselect_b64 s[0:1], -1, 0
	s_cmpk_lg_i32 s23, 0x80
	s_waitcnt vmcnt(3)
	ds_write_b64 v71, v[4:5] offset:16384
	ds_write_b64 v2, v[6:7] offset:16384
	s_waitcnt vmcnt(2)
	ds_write_b64 v71, v[12:13] offset:24576
	ds_write_b64 v2, v[14:15] offset:24576
	;; [unrolled: 3-line block ×4, first 2 shown]
	v_lshl_add_u32 v2, v8, 1, v68
	s_cbranch_scc0 .LBB645_3
; %bb.2:
	v_lshlrev_b32_e32 v6, 1, v2
	v_add_lshl_u32 v5, v2, s23, 1
	s_lshl_b32 s30, s23, 7
	v_lshl_or_b32 v4, v67, 9, v3
	s_cbranch_execz .LBB645_4
	s_branch .LBB645_5
.LBB645_3:
                                        ; implicit-def: $vgpr5
                                        ; implicit-def: $vgpr6
                                        ; implicit-def: $sgpr30
	v_lshl_or_b32 v4, v67, 9, v3
.LBB645_4:
	v_or_b32_e32 v5, 0x100, v4
	s_movk_i32 s30, 0x4000
	v_mov_b32_e32 v6, v4
.LBB645_5:
	s_mul_i32 s24, s42, s22
	s_ashr_i32 s61, s58, 31
	s_mul_hi_i32 s3, s42, s22
	s_add_u32 s24, s24, s58
	s_addc_u32 s25, s3, s61
	s_lshl_b64 s[24:25], s[24:25], 8
	s_add_u32 s28, s12, s24
	s_addc_u32 s3, s13, s25
	s_and_b32 s29, s3, 0xffff
	s_movk_i32 s62, 0x80
	buffer_load_dwordx4 v[12:15], v6, s[28:31], 0 offen
	s_nop 0
	buffer_load_dwordx4 v[6:9], v6, s[28:31], s62 offen
	s_nop 0
	buffer_load_dwordx4 v[16:19], v5, s[28:31], 0 offen
	buffer_load_dwordx4 v[20:23], v5, s[28:31], s62 offen
	v_and_b32_e32 v3, 6, v0
	v_lshlrev_b32_e32 v11, 2, v63
	v_lshlrev_b32_e32 v24, 3, v63
	v_xor_b32_e32 v26, v67, v3
	v_and_b32_e32 v5, 1, v0
	v_lshl_or_b32 v24, v1, 5, v24
	v_xor_b32_e32 v27, v1, v11
	v_lshlrev_b32_e32 v26, 2, v26
	s_mul_i32 s3, s48, s27
	s_mul_hi_u32 s25, s48, s26
	v_or_b32_e32 v73, 0x9000, v24
	v_or_b32_e32 v74, 0x9800, v24
	v_lshlrev_b32_e32 v24, 1, v27
	v_xor_b32_e32 v27, 0x440, v26
	v_cmp_eq_u32_e32 vcc, 0, v5
	s_add_i32 s29, s51, s50
	s_mul_i32 s28, s60, s26
	v_cndmask_b32_e32 v5, v27, v26, vcc
	s_add_i32 s3, s25, s3
	s_add_i32 s45, s29, s52
	s_mov_b32 s63, 0x1000504
	v_lshlrev_b32_e32 v25, 8, v63
	s_mov_b32 s30, 0x8000
	v_xor_b32_e32 v11, v66, v11
	v_lshl_or_b32 v3, v3, 10, v5
	s_add_i32 s25, s3, s28
	s_lshl_b64 s[28:29], s[44:45], 2
	s_mov_b32 s64, 0x3020706
	s_mul_i32 s24, s48, s26
	v_lshlrev_b32_e32 v11, 1, v11
	v_or3_b32 v75, v24, v25, s30
	v_xor_b32_e32 v5, 8, v3
	v_xor_b32_e32 v24, 24, v3
	;; [unrolled: 1-line block ×4, first 2 shown]
	s_add_u32 s3, s18, s28
	v_or3_b32 v76, v11, v25, s30
	v_xor_b32_e32 v11, 16, v3
	v_xor_b32_e32 v25, 32, v3
	;; [unrolled: 1-line block ×3, first 2 shown]
	v_add_u32_e32 v5, 0x80, v5
	v_add_u32_e32 v24, 0x80, v24
	;; [unrolled: 1-line block ×4, first 2 shown]
	s_addc_u32 s28, s19, s29
	s_lshl_b64 s[24:25], s[24:25], 2
	s_add_u32 s24, s3, s24
	s_movk_i32 s3, 0xf8
	s_addc_u32 s25, s28, s25
	s_lshl_b32 s38, s23, 7
	s_mov_b32 s65, 0
	v_add_u32_e32 v87, v60, v10
	s_waitcnt vmcnt(1)
	v_perm_b32 v29, v12, v16, s63
	s_waitcnt vmcnt(0)
	v_perm_b32 v30, v6, v20, s63
	v_perm_b32 v12, v12, v16, s64
	;; [unrolled: 1-line block ×15, first 2 shown]
	ds_write2st64_b32 v3, v29, v30 offset1:32
	ds_write2st64_b32 v5, v12, v6 offset1:32
	ds_write2st64_b32 v11, v16, v20 offset0:1 offset1:33
	ds_write2st64_b32 v24, v13, v7 offset0:1 offset1:33
	;; [unrolled: 1-line block ×6, first 2 shown]
	v_or_b32_e32 v3, v60, v63
	v_lshlrev_b32_e32 v3, 3, v3
	v_lshrrev_b32_e32 v7, 5, v61
	v_and_or_b32 v7, v3, s3, v7
	v_lshlrev_b32_e32 v7, 4, v7
	v_lshlrev_b32_e32 v11, 11, v53
	v_and_b32_e32 v3, 0x78, v3
	v_or_b32_e32 v12, 32, v7
	v_and_b32_e32 v6, 0x1000, v11
	v_lshrrev_b32_e32 v9, 1, v61
	v_xor_b32_e32 v12, v12, v3
	v_and_b32_e32 v9, 8, v9
	v_or_b32_e32 v12, v12, v6
	v_xor_b32_e32 v8, v7, v3
	v_xor_b32_e32 v79, v12, v9
	v_or_b32_e32 v12, 64, v7
	v_or_b32_e32 v7, 0x60, v7
	v_xor_b32_e32 v12, v12, v3
	v_xor_b32_e32 v3, v7, v3
	v_or_b32_e32 v3, v3, v6
	v_or_b32_e32 v12, v12, v6
	v_xor_b32_e32 v81, v3, v9
	v_lshlrev_b32_e32 v15, 1, v2
	v_add_lshl_u32 v16, v2, s23, 1
	v_lshrrev_b32_e32 v2, 4, v0
	v_lshlrev_b32_e32 v3, 1, v63
	v_xor_b32_e32 v80, v12, v9
	s_ashr_i32 s3, s2, 31
	v_or_b32_e32 v12, 1, v3
	v_xor_b32_e32 v3, v2, v3
	s_lshl_b64 s[28:29], s[2:3], 8
	v_xor_b32_e32 v12, v12, v2
	v_lshlrev_b32_e32 v3, 3, v3
	v_lshlrev_b32_e32 v2, 8, v2
	s_add_u32 s28, s4, s28
	v_or3_b32 v83, v3, v2, s30
	v_lshlrev_b32_e32 v3, 3, v12
	s_addc_u32 s29, s5, s29
	v_or3_b32 v84, v3, v2, s30
	v_mov_b32_e32 v3, 0
	v_lshrrev_b32_e32 v20, 1, v0
	v_lshl_add_u64 v[12:13], s[28:29], 0, v[2:3]
	v_lshlrev_b32_e32 v2, 4, v63
	s_movk_i32 s3, 0xff
	v_lshlrev_b32_e32 v19, 3, v53
	v_and_b32_e32 v20, 24, v20
	v_lshl_add_u64 v[54:55], v[12:13], 0, v[2:3]
	v_and_b32_e32 v2, 7, v0
	v_and_b32_e32 v13, 8, v0
	v_cmp_lt_u32_e32 vcc, s3, v0
	v_xor_b32_e32 v21, v19, v20
	v_lshlrev_b32_e32 v14, 3, v2
	v_lshlrev_b32_e32 v18, 7, v2
	v_cndmask_b32_e64 v2, 0, 1, vcc
	v_or_b32_e32 v22, 0x440, v21
	v_cmp_eq_u32_e32 vcc, 0, v13
	v_or_b32_e32 v24, 64, v20
	v_xor_b32_e32 v24, v19, v24
	v_cndmask_b32_e32 v13, v22, v21, vcc
	v_or_b32_e32 v22, 32, v20
	v_or_b32_e32 v20, 0x60, v20
	v_xor_b32_e32 v22, v19, v22
	v_xor_b32_e32 v19, v19, v20
	v_or_b32_e32 v23, 0x440, v22
	v_xor_b32_e32 v25, 0x440, v24
	v_xor_b32_e32 v20, 0x440, v19
	v_or_b32_e32 v8, v8, v6
	v_or_b32_e32 v6, s2, v63
	v_cndmask_b32_e32 v22, v23, v22, vcc
	v_cndmask_b32_e32 v24, v25, v24, vcc
	;; [unrolled: 1-line block ×3, first 2 shown]
	v_lshrrev_b32_e32 v5, 2, v61
	v_xor_b32_e32 v77, v8, v9
	v_and_b32_e32 v8, 0x78, v64
	v_ashrrev_i32_e32 v7, 31, v6
	v_or_b32_e32 v13, v13, v11
	v_or_b32_e32 v22, v22, v11
	;; [unrolled: 1-line block ×4, first 2 shown]
	v_and_b32_e32 v5, 12, v5
	v_lshl_or_b32 v8, v62, 7, v8
	v_lshlrev_b64 v[6:7], 1, v[6:7]
	v_lshlrev_b32_e32 v2, 13, v2
	v_xor_b32_e32 v13, v13, v14
	v_xor_b32_e32 v22, v22, v14
	;; [unrolled: 1-line block ×4, first 2 shown]
	v_or_b32_e32 v78, 0x9000, v8
	v_or_b32_e32 v82, 0x9800, v8
	v_lshl_add_u64 v[8:9], s[16:17], 0, v[6:7]
	v_lshl_add_u64 v[6:7], s[6:7], 0, v[6:7]
	v_or_b32_e32 v17, 0x100, v4
	v_or_b32_e32 v12, v5, v60
	v_add_u32_e32 v21, v2, v13
	v_add_u32_e32 v23, v2, v22
	;; [unrolled: 1-line block ×4, first 2 shown]
	v_or3_b32 v14, v60, v5, 64
	v_add_u32_e32 v5, 0x2000, v13
	v_add_u32_e32 v13, 0x2000, v22
	;; [unrolled: 1-line block ×4, first 2 shown]
	v_lshlrev_b32_e32 v2, 8, v1
	v_cndmask_b32_e64 v85, v15, v4, s[0:1]
	v_cndmask_b32_e64 v86, v16, v17, s[0:1]
	v_lshl_add_u64 v[56:57], v[8:9], 0, v[2:3]
	v_lshl_add_u64 v[58:59], v[6:7], 0, v[2:3]
	s_mov_b32 s3, 0x7060302
	s_movk_i32 s30, 0x4000
	v_lshlrev_b32_e32 v88, 2, v12
	v_add_u32_e32 v89, v21, v18
	v_add_u32_e32 v90, v23, v18
	;; [unrolled: 1-line block ×4, first 2 shown]
	v_lshlrev_b32_e32 v93, 2, v14
	v_add_u32_e32 v94, v5, v18
	v_add_u32_e32 v95, v13, v18
	;; [unrolled: 1-line block ×4, first 2 shown]
	v_mov_b32_e32 v2, v3
	v_mov_b32_e32 v4, v3
	;; [unrolled: 1-line block ×7, first 2 shown]
	s_waitcnt lgkmcnt(0)
	s_barrier
.LBB645_6:                              ; =>This Inner Loop Header: Depth=1
	s_add_i32 s45, s65, 1
	s_cmp_lt_i32 s45, s54
	s_mov_b64 s[36:37], 0
	s_cselect_b64 s[46:47], -1, 0
	s_cmp_ge_i32 s45, s54
	s_mov_b64 s[28:29], 0
	s_cbranch_scc1 .LBB645_8
; %bb.7:                                ;   in Loop: Header=BB645_6 Depth=1
	s_add_i32 s0, s59, 64
	s_ashr_i32 s1, s0, 31
	s_add_u32 s0, s57, s0
	s_addc_u32 s1, s56, s1
	s_lshl_b64 s[0:1], s[0:1], 8
	s_add_u32 s28, s14, s0
	s_addc_u32 s29, s15, s1
.LBB645_8:                              ;   in Loop: Header=BB645_6 Depth=1
	v_cndmask_b32_e64 v10, 0, 1, s[46:47]
	v_cmp_ne_u32_e64 s[0:1], 1, v10
	s_andn2_b64 vcc, exec, s[46:47]
	s_cbranch_vccnz .LBB645_10
; %bb.9:                                ;   in Loop: Header=BB645_6 Depth=1
	s_add_i32 s36, s59, 64
	s_mul_hi_i32 s37, s36, s22
	s_mul_i32 s36, s36, s22
	s_add_u32 s36, s36, s58
	s_addc_u32 s37, s37, s61
	s_lshl_b64 s[36:37], s[36:37], 8
	s_add_u32 s36, s12, s36
	s_addc_u32 s37, s13, s37
.LBB645_10:                             ;   in Loop: Header=BB645_6 Depth=1
	v_perm_b32 v11, v5, v4, s3
	v_perm_b32 v10, v3, v2, s3
	;; [unrolled: 1-line block ×4, first 2 shown]
	ds_write_b64 v73, v[10:11]
	ds_write_b64 v74, v[12:13]
	;; [unrolled: 1-line block ×4, first 2 shown]
	s_waitcnt lgkmcnt(0)
	s_barrier
	ds_read_b64 v[18:19], v77 offset:16384
	ds_read_b64 v[20:21], v79 offset:16384
	ds_read2st64_b64 v[10:13], v78 offset1:1
	s_waitcnt lgkmcnt(0)
	v_mfma_f32_16x16x16_bf16 a[0:3], v[18:19], v[10:11], 0
	ds_read2st64_b64 v[14:17], v78 offset0:2 offset1:3
	ds_read_b64 v[22:23], v80 offset:16384
	ds_read_b64 v[10:11], v81 offset:16384
	s_add_i32 s66, s59, 63
	v_mfma_f32_16x16x16_bf16 a[0:3], v[20:21], v[12:13], a[0:3]
	s_ashr_i32 s39, s66, 31
	s_mul_i32 s46, s66, s11
	s_mul_hi_u32 s47, s66, s10
	s_waitcnt lgkmcnt(1)
	v_mfma_f32_16x16x16_bf16 a[0:3], v[22:23], v[14:15], a[0:3]
	s_add_i32 s46, s47, s46
	s_mul_i32 s39, s39, s10
	s_add_i32 s47, s46, s39
	s_mul_i32 s46, s66, s10
	s_waitcnt lgkmcnt(0)
	v_mfma_f32_16x16x16_bf16 a[0:3], v[10:11], v[16:17], a[0:3]
	s_lshl_b64 s[46:47], s[46:47], 2
	s_add_u32 s46, s24, s46
	s_addc_u32 s47, s25, s47
	s_and_b64 vcc, exec, s[0:1]
	v_mov_b32_e32 v100, 0
	v_mov_b32_e32 v99, 0
	;; [unrolled: 1-line block ×19, first 2 shown]
	s_cbranch_vccnz .LBB645_12
; %bb.11:                               ;   in Loop: Header=BB645_6 Depth=1
	s_and_b32 s29, s29, 0xffff
	buffer_load_dwordx4 v[22:25], v69, s[28:31], 0 offen
	buffer_load_dwordx4 v[18:21], v69, s[28:31], s62 offen
	;; [unrolled: 1-line block ×4, first 2 shown]
	v_mov_b32_e32 v99, v71
	v_mov_b32_e32 v98, v72
.LBB645_12:                             ;   in Loop: Header=BB645_6 Depth=1
	v_add_u32_e32 v30, s59, v87
	v_ashrrev_i32_e32 v26, 31, v30
	v_mul_lo_u32 v28, v26, s10
	v_mul_lo_u32 v29, v30, s11
	v_mad_u64_u32 v[26:27], s[28:29], v30, s10, 0
	v_add3_u32 v27, v27, v29, v28
	v_lshl_add_u64 v[26:27], v[26:27], 2, s[24:25]
	global_load_dword v44, v[26:27], off
	v_add_u32_e32 v26, 1, v30
	v_ashrrev_i32_e32 v27, 31, v26
	v_mul_lo_u32 v28, v27, s10
	v_mul_lo_u32 v29, v26, s11
	v_mad_u64_u32 v[26:27], s[28:29], v26, s10, 0
	v_add3_u32 v27, v27, v29, v28
	v_add_u32_e32 v28, 2, v30
	v_ashrrev_i32_e32 v29, 31, v28
	v_mul_lo_u32 v31, v29, s10
	v_mul_lo_u32 v32, v28, s11
	v_mad_u64_u32 v[28:29], s[28:29], v28, s10, 0
	v_add_u32_e32 v30, 3, v30
	v_add3_u32 v29, v29, v32, v31
	v_ashrrev_i32_e32 v31, 31, v30
	v_mul_lo_u32 v34, v31, s10
	v_mul_lo_u32 v35, v30, s11
	v_mad_u64_u32 v[30:31], s[28:29], v30, s10, 0
	s_ashr_i32 s29, s59, 31
	s_add_u32 s28, s57, s59
	s_addc_u32 s29, s56, s29
	s_lshl_b64 s[68:69], s[28:29], 8
	v_lshl_add_u64 v[26:27], v[26:27], 2, s[24:25]
	v_lshl_add_u64 v[32:33], v[56:57], 0, s[68:69]
	v_add3_u32 v31, v31, v35, v34
	v_lshl_add_u64 v[28:29], v[28:29], 2, s[24:25]
	global_load_ushort v45, v[32:33], off
	global_load_ushort v46, v[32:33], off offset:256
	global_load_ushort v47, v[32:33], off offset:512
	;; [unrolled: 1-line block ×3, first 2 shown]
	v_lshl_add_u64 v[30:31], v[30:31], 2, s[24:25]
	global_load_dword v49, v[26:27], off
	global_load_dword v50, v[28:29], off
	;; [unrolled: 1-line block ×3, first 2 shown]
	s_load_dword s28, s[46:47], 0x0
	ds_read_b64 v[28:29], v77 offset:24576
	ds_read2st64_b64 v[30:33], v82 offset1:1
	ds_read2st64_b64 v[34:37], v82 offset0:2 offset1:3
	ds_read_b64 v[38:39], v79 offset:24576
	ds_read_b64 v[40:41], v80 offset:24576
	;; [unrolled: 1-line block ×3, first 2 shown]
	s_waitcnt lgkmcnt(0)
	v_mfma_f32_16x16x16_bf16 a[0:3], v[28:29], v[30:31], a[0:3]
	v_mov_b32_e32 v101, 0
	v_mov_b32_e32 v26, 0
	;; [unrolled: 1-line block ×3, first 2 shown]
	v_mfma_f32_16x16x16_bf16 a[0:3], v[38:39], v[32:33], a[0:3]
	v_lshl_add_u64 v[38:39], v[58:59], 0, s[68:69]
	v_mov_b32_e32 v28, 0
	v_mov_b32_e32 v29, 0
	v_mfma_f32_16x16x16_bf16 a[0:3], v[40:41], v[34:35], a[0:3]
	v_mov_b32_e32 v30, 0
	v_mov_b32_e32 v31, 0
	;; [unrolled: 1-line block ×3, first 2 shown]
	v_mfma_f32_16x16x16_bf16 a[0:3], v[42:43], v[36:37], a[0:3]
	v_mov_b32_e32 v33, 0
	v_mov_b32_e32 v34, 0
	s_and_b64 vcc, exec, s[0:1]
	s_waitcnt vmcnt(7)
	v_sub_f32_e32 v35, s28, v44
	s_nop 1
	v_accvgpr_read_b32 v41, a1
	v_accvgpr_read_b32 v40, a0
	;; [unrolled: 1-line block ×4, first 2 shown]
	s_waitcnt vmcnt(6)
	v_lshlrev_b32_e32 v42, 16, v45
	s_waitcnt vmcnt(5)
	v_lshlrev_b32_e32 v43, 16, v46
	v_exp_f32_e32 v46, v35
	s_waitcnt vmcnt(3)
	v_lshlrev_b32_e32 v45, 16, v48
	s_waitcnt vmcnt(2)
	v_sub_f32_e32 v35, s28, v49
	s_waitcnt vmcnt(1)
	v_sub_f32_e32 v48, s28, v50
	;; [unrolled: 2-line block ×3, first 2 shown]
	v_lshlrev_b32_e32 v44, 16, v47
	v_pk_add_f32 v[40:41], v[42:43], v[40:41] neg_lo:[0,1] neg_hi:[0,1]
	v_exp_f32_e32 v47, v35
	v_exp_f32_e32 v42, v48
	;; [unrolled: 1-line block ×3, first 2 shown]
	v_pk_add_f32 v[36:37], v[44:45], v[36:37] neg_lo:[0,1] neg_hi:[0,1]
	global_store_short_d16_hi v[38:39], v40, off
	global_store_short_d16_hi v[38:39], v41, off offset:256
	global_store_short_d16_hi v[38:39], v36, off offset:512
	;; [unrolled: 1-line block ×3, first 2 shown]
	v_pk_mul_f32 v[38:39], v[46:47], v[40:41]
	v_pk_mul_f32 v[36:37], v[42:43], v[36:37]
	v_perm_b32 v38, v39, v38, s3
	v_perm_b32 v39, v37, v36, s3
	ds_write_b64 v74, v[38:39]
	v_mov_b32_e32 v35, 0
	v_mov_b32_e32 v36, 0
	;; [unrolled: 1-line block ×7, first 2 shown]
	s_cbranch_vccnz .LBB645_14
; %bb.13:                               ;   in Loop: Header=BB645_6 Depth=1
	s_and_b32 s37, s37, 0xffff
	s_mov_b32 s39, s31
	buffer_load_dwordx4 v[38:41], v85, s[36:39], 0 offen
	buffer_load_dwordx4 v[30:33], v85, s[36:39], s62 offen
	buffer_load_dwordx4 v[34:37], v86, s[36:39], 0 offen
	buffer_load_dwordx4 v[26:29], v86, s[36:39], s62 offen
	v_mov_b32_e32 v100, v68
	v_mov_b32_e32 v101, v67
.LBB645_14:                             ;   in Loop: Header=BB645_6 Depth=1
	s_waitcnt lgkmcnt(0)
	s_barrier
	ds_read_b64 v[42:43], v89
	ds_read_b64 v[48:49], v90
	ds_read2st64_b64 v[44:47], v82 offset1:1
	ds_read2st64_b64 v[102:105], v82 offset0:2 offset1:3
	ds_read_b64 v[50:51], v91
	ds_read_b64 v[110:111], v92
	s_add_i32 s29, s55, s65
	s_mul_hi_i32 s37, s29, s49
	s_mul_i32 s29, s29, s49
	s_waitcnt lgkmcnt(3)
	v_mfma_f32_16x16x16_bf16 a[0:3], v[42:43], v[44:45], 0
	ds_read_b64 v[42:43], v94
	s_add_u32 s36, s29, s48
	s_addc_u32 s37, s37, s60
	v_mfma_f32_16x16x16_bf16 a[0:3], v[48:49], v[46:47], a[0:3]
	ds_read_b64 v[48:49], v95
	s_lshl_b64 s[36:37], s[36:37], 15
	s_mul_i32 s39, s66, s49
	s_mul_hi_i32 s29, s66, s49
	s_add_u32 s46, s39, s48
	s_addc_u32 s47, s29, s60
	s_lshl_b64 s[46:47], s[46:47], 9
	s_add_u32 s46, s40, s46
	s_waitcnt lgkmcnt(1)
	v_mfma_f32_16x16x16_bf16 a[4:7], v[42:43], v[44:45], 0
	s_addc_u32 s47, s41, s47
	s_and_b64 vcc, exec, s[0:1]
	v_mfma_f32_16x16x16_bf16 a[0:3], v[50:51], v[102:103], a[0:3]
	ds_read_b64 v[50:51], v96
	ds_read_b64 v[112:113], v97
	global_load_dwordx4 v[42:45], v93, s[46:47]
	s_waitcnt lgkmcnt(2)
	v_mfma_f32_16x16x16_bf16 a[4:7], v[48:49], v[46:47], a[4:7]
	global_load_dwordx4 v[46:49], v88, s[46:47]
	ds_read_b64 v[106:107], v83
	ds_read_b64 v[108:109], v84
	s_waitcnt lgkmcnt(3)
	v_mfma_f32_16x16x16_bf16 a[8:11], v[50:51], v[102:103], a[4:7]
	v_lshl_add_u64 v[50:51], v[54:55], 0, s[36:37]
	s_waitcnt lgkmcnt(0)
	global_store_dwordx4 v[50:51], v[106:109], off
	v_mfma_f32_16x16x16_bf16 a[4:7], v[110:111], v[104:105], a[0:3]
	s_waitcnt vmcnt(2)
	v_mov_b32_e32 v52, v45
	v_mfma_f32_16x16x16_bf16 a[0:3], v[112:113], v[104:105], a[8:11]
	v_mov_b32_e32 v51, v44
	v_mov_b32_e32 v50, v43
	s_cbranch_vccnz .LBB645_16
; %bb.15:                               ;   in Loop: Header=BB645_6 Depth=1
	v_lshrrev_b32_e32 v43, 3, v100
	v_and_b32_e32 v43, 6, v43
	v_xor_b32_e32 v44, v43, v101
	v_lshlrev_b32_e32 v44, 2, v44
	v_and_b32_e32 v45, 8, v100
	v_xor_b32_e32 v100, 0x440, v44
	v_cmp_eq_u32_e32 vcc, 0, v45
	v_perm_b32 v45, v30, v26, s63
	s_nop 0
	v_cndmask_b32_e32 v44, v100, v44, vcc
	v_lshl_or_b32 v43, v43, 10, v44
	v_perm_b32 v44, v38, v34, s63
	s_barrier
	ds_write2st64_b32 v43, v44, v45 offset1:32
	v_xor_b32_e32 v44, 8, v43
	v_perm_b32 v34, v38, v34, s64
	v_perm_b32 v26, v30, v26, s64
	v_add_u32_e32 v30, 0x80, v44
	ds_write2st64_b32 v30, v34, v26 offset1:32
	v_xor_b32_e32 v26, 16, v43
	v_perm_b32 v30, v39, v35, s63
	v_perm_b32 v34, v31, v27, s63
	ds_write2st64_b32 v26, v30, v34 offset0:1 offset1:33
	v_xor_b32_e32 v26, 24, v43
	v_perm_b32 v30, v39, v35, s64
	v_perm_b32 v27, v31, v27, s64
	v_add_u32_e32 v26, 0x80, v26
	ds_write2st64_b32 v26, v30, v27 offset0:1 offset1:33
	v_xor_b32_e32 v26, 32, v43
	v_perm_b32 v27, v40, v36, s63
	v_perm_b32 v30, v32, v28, s63
	ds_write2st64_b32 v26, v27, v30 offset0:2 offset1:34
	v_xor_b32_e32 v26, 40, v43
	v_perm_b32 v27, v40, v36, s64
	v_perm_b32 v28, v32, v28, s64
	v_add_u32_e32 v26, 0x80, v26
	ds_write2st64_b32 v26, v27, v28 offset0:2 offset1:34
	;; [unrolled: 9-line block ×3, first 2 shown]
	ds_write_b64 v99, v[22:23] offset:16384
	v_xor_b32_e32 v22, 8, v99
	ds_write_b64 v22, v[24:25] offset:16384
	ds_write_b64 v99, v[18:19] offset:24576
	;; [unrolled: 1-line block ×4, first 2 shown]
	v_xor_b32_e32 v14, 8, v98
	ds_write_b64 v14, v[16:17] offset:16384
	ds_write_b64 v98, v[10:11] offset:24576
	;; [unrolled: 1-line block ×3, first 2 shown]
.LBB645_16:                             ;   in Loop: Header=BB645_6 Depth=1
	v_exp_f32_e32 v18, s28
	s_waitcnt vmcnt(1)
	v_exp_f32_e32 v20, v46
	v_exp_f32_e32 v21, v47
	;; [unrolled: 1-line block ×4, first 2 shown]
	v_accvgpr_read_b32 v13, a7
	v_accvgpr_read_b32 v11, a5
	;; [unrolled: 1-line block ×3, first 2 shown]
	v_pk_mul_f32 v[20:21], v[18:19], v[20:21] op_sel_hi:[0,1]
	v_pk_fma_f32 v[2:3], v[2:3], v[20:21], v[10:11]
	v_exp_f32_e32 v20, v42
	v_exp_f32_e32 v21, v50
	v_pk_mul_f32 v[10:11], v[18:19], v[22:23] op_sel_hi:[0,1]
	v_exp_f32_e32 v22, v51
	v_exp_f32_e32 v23, v52
	v_accvgpr_read_b32 v12, a6
	v_accvgpr_read_b32 v17, a3
	;; [unrolled: 1-line block ×4, first 2 shown]
	v_pk_fma_f32 v[4:5], v[4:5], v[10:11], v[12:13]
	v_pk_mul_f32 v[10:11], v[18:19], v[20:21] op_sel_hi:[0,1]
	v_accvgpr_read_b32 v16, a2
	v_pk_fma_f32 v[6:7], v[6:7], v[10:11], v[14:15]
	v_pk_mul_f32 v[10:11], v[18:19], v[22:23] op_sel_hi:[0,1]
	s_add_i32 s59, s59, 64
	s_cmp_eq_u32 s54, s45
	v_pk_fma_f32 v[8:9], v[8:9], v[10:11], v[16:17]
	s_cbranch_scc1 .LBB645_18
; %bb.17:                               ;   in Loop: Header=BB645_6 Depth=1
	s_mov_b32 s65, s45
	s_branch .LBB645_6
.LBB645_18:
	s_lshl_b32 s3, s54, 6
	s_sub_i32 s53, s53, s3
	s_cmp_gt_i32 s53, 0
	v_or_b32_e32 v34, s2, v63
	s_cbranch_scc1 .LBB645_20
; %bb.19:
	s_ashr_i32 s25, s48, 31
	v_or_b32_e32 v10, s2, v63
	s_cbranch_execz .LBB645_21
	s_branch .LBB645_77
.LBB645_20:
                                        ; implicit-def: $vgpr10
                                        ; implicit-def: $sgpr24_sgpr25
.LBB645_21:
	s_add_i32 s24, s3, s42
	s_ashr_i32 s3, s24, 31
	s_cmpk_lg_i32 s23, 0x80
	s_cselect_b64 s[38:39], -1, 0
	s_and_b64 vcc, exec, s[38:39]
	s_cbranch_vccz .LBB645_23
; %bb.22:
	s_mul_hi_i32 s0, s24, s22
	s_mul_i32 s1, s24, s22
	s_ashr_i32 s22, s58, 31
	s_add_u32 s46, s1, s58
	s_addc_u32 s47, s0, s22
	s_cbranch_execz .LBB645_24
	s_branch .LBB645_25
.LBB645_23:
                                        ; implicit-def: $sgpr46_sgpr47
.LBB645_24:
	s_mul_i32 s1, s58, s20
	s_mul_hi_i32 s0, s58, s20
	s_add_u32 s46, s1, s24
	s_addc_u32 s47, s0, s3
.LBB645_25:
	s_add_i32 s20, s54, s55
	s_ashr_i32 s25, s48, 31
	s_add_u32 s0, s57, s24
	s_addc_u32 s1, s56, s3
	s_mov_b32 s3, 0x7060302
	v_lshlrev_b32_e32 v14, 3, v63
	s_lshl_b64 s[36:37], s[0:1], 8
	v_perm_b32 v11, v5, v4, s3
	v_perm_b32 v10, v3, v2, s3
	;; [unrolled: 1-line block ×4, first 2 shown]
	v_lshlrev_b32_e32 v44, 2, v63
	v_lshl_or_b32 v14, v1, 5, v14
	s_add_u32 s0, s14, s36
	ds_write2st64_b64 v14, v[10:11], v[12:13] offset0:72 offset1:76
	v_xor_b32_e32 v14, v1, v44
	v_lshlrev_b32_e32 v15, 8, v63
	s_addc_u32 s1, s15, s37
	v_lshl_or_b32 v14, v14, 1, v15
	s_mul_hi_i32 s3, s20, s21
	s_mul_i32 s20, s20, s21
	ds_write_b64 v14, v[10:11] offset:32768
	v_xor_b32_e32 v10, v66, v44
	s_add_u32 s14, s20, s48
	v_lshl_or_b32 v10, v10, 1, v15
	s_addc_u32 s15, s3, s25
	v_lshlrev_b32_e32 v11, 1, v63
	ds_write_b64 v10, v[12:13] offset:32768
	v_lshrrev_b32_e32 v10, 4, v0
	s_ashr_i32 s3, s2, 31
	s_lshl_b64 s[14:15], s[14:15], 15
	v_or_b32_e32 v12, 1, v11
	s_add_u32 s4, s4, s14
	v_xor_b32_e32 v11, v10, v11
	v_xor_b32_e32 v12, v12, v10
	v_lshlrev_b32_e32 v14, 8, v10
	s_addc_u32 s5, s5, s15
	s_lshl_b64 s[2:3], s[2:3], 8
	v_lshl_or_b32 v10, v11, 3, v14
	v_lshl_or_b32 v12, v12, 3, v14
	s_waitcnt lgkmcnt(0)
	s_barrier
	s_add_u32 s2, s4, s2
	ds_read_b64 v[10:11], v10 offset:32768
	ds_read_b64 v[12:13], v12 offset:32768
	s_addc_u32 s3, s5, s3
	v_mov_b32_e32 v15, 0
	s_cmp_lg_u32 s53, 64
	v_lshl_add_u64 v[16:17], s[2:3], 0, v[14:15]
	v_lshlrev_b32_e32 v14, 4, v63
	s_cselect_b64 s[4:5], -1, 0
	v_lshl_or_b32 v35, v53, 3, v65
	s_mov_b32 s28, 0
	v_lshl_add_u64 v[14:15], v[16:17], 0, v[14:15]
	v_or_b32_e32 v27, 32, v35
	v_and_b32_e32 v26, 56, v64
	s_and_b64 vcc, exec, s[4:5]
	s_waitcnt lgkmcnt(0)
	global_store_dwordx4 v[14:15], v[10:13], off
	s_cbranch_vccz .LBB645_31
; %bb.26:
	s_mov_b32 s29, s28
	s_mov_b32 s30, s28
	;; [unrolled: 1-line block ×3, first 2 shown]
	v_mov_b64_e32 v[14:15], s[28:29]
	v_mov_b64_e32 v[16:17], s[30:31]
	;; [unrolled: 1-line block ×3, first 2 shown]
	v_cmp_gt_i32_e32 vcc, s53, v35
	v_mov_b64_e32 v[12:13], v[16:17]
	s_and_saveexec_b64 s[2:3], vcc
	s_cbranch_execz .LBB645_28
; %bb.27:
	v_lshlrev_b32_e32 v10, 8, v35
	v_mov_b32_e32 v11, 0
	v_lshl_add_u64 v[12:13], s[0:1], 0, v[10:11]
	v_lshlrev_b32_e32 v10, 1, v26
	v_lshl_add_u64 v[18:19], v[12:13], 0, v[10:11]
	global_load_dwordx4 v[14:17], v[18:19], off
	global_load_dwordx4 v[10:13], v[18:19], off offset:128
.LBB645_28:
	s_or_b64 exec, exec, s[2:3]
	s_mov_b32 s29, s28
	s_mov_b32 s30, s28
	;; [unrolled: 1-line block ×3, first 2 shown]
	v_mov_b64_e32 v[22:23], s[28:29]
	v_mov_b64_e32 v[24:25], s[30:31]
	v_mov_b64_e32 v[18:19], v[22:23]
	v_cmp_gt_i32_e32 vcc, s53, v27
	v_lshlrev_b32_e32 v28, 7, v27
	v_mov_b64_e32 v[20:21], v[24:25]
	s_and_saveexec_b64 s[2:3], vcc
	s_cbranch_execz .LBB645_30
; %bb.29:
	v_lshlrev_b32_e32 v18, 1, v28
	v_mov_b32_e32 v19, 0
	v_lshl_add_u64 v[20:21], s[0:1], 0, v[18:19]
	v_lshlrev_b32_e32 v18, 1, v26
	v_lshl_add_u64 v[30:31], v[20:21], 0, v[18:19]
	global_load_dwordx4 v[22:25], v[30:31], off
	global_load_dwordx4 v[18:21], v[30:31], off offset:128
.LBB645_30:
	s_or_b64 exec, exec, s[2:3]
	v_lshrrev_b32_e32 v29, 3, v26
	v_lshlrev_b32_e32 v30, 3, v35
	v_or_b32_e32 v29, v30, v29
	v_lshlrev_b32_e32 v29, 4, v29
	v_and_b32_e32 v30, 0x78, v30
	v_xor_b32_e32 v29, v29, v30
	s_branch .LBB645_33
.LBB645_31:
                                        ; implicit-def: $vgpr29
                                        ; implicit-def: $vgpr28
                                        ; implicit-def: $vgpr14_vgpr15_vgpr16_vgpr17
                                        ; implicit-def: $vgpr10_vgpr11_vgpr12_vgpr13
                                        ; implicit-def: $vgpr22_vgpr23_vgpr24_vgpr25
                                        ; implicit-def: $vgpr18_vgpr19_vgpr20_vgpr21
	s_cbranch_execz .LBB645_33
; %bb.32:
	s_waitcnt vmcnt(0)
	v_lshlrev_b32_e32 v10, 1, v26
	v_lshl_or_b32 v28, v35, 8, v10
	s_and_b32 s1, s1, 0xffff
	s_mov_b32 s3, 0x20000
	s_movk_i32 s2, 0x4000
	v_lshl_or_b32 v29, v27, 8, v10
	s_movk_i32 s14, 0x80
	buffer_load_dwordx4 v[14:17], v28, s[0:3], 0 offen
	buffer_load_dwordx4 v[10:13], v28, s[0:3], s14 offen
	;; [unrolled: 1-line block ×4, first 2 shown]
	v_lshrrev_b32_e32 v28, 3, v26
	v_lshlrev_b32_e32 v29, 3, v35
	v_or_b32_e32 v28, v29, v28
	v_lshlrev_b32_e32 v28, 4, v28
	v_and_b32_e32 v29, 0x78, v29
	v_xor_b32_e32 v29, v28, v29
	v_lshlrev_b32_e32 v28, 7, v27
.LBB645_33:
	s_lshl_b64 s[0:1], s[46:47], 8
	s_add_u32 s12, s12, s0
	s_movk_i32 s0, 0x1000
	v_and_or_b32 v27, v28, s0, v29
	s_waitcnt vmcnt(1)
	ds_write_b64 v29, v[14:15] offset:16384
	v_xor_b32_e32 v14, 8, v29
	ds_write_b64 v14, v[16:17] offset:16384
	s_waitcnt vmcnt(0)
	ds_write_b64 v29, v[10:11] offset:24576
	ds_write_b64 v14, v[12:13] offset:24576
	;; [unrolled: 1-line block ×3, first 2 shown]
	v_xor_b32_e32 v10, 8, v27
	ds_write_b64 v10, v[24:25] offset:16384
	ds_write_b64 v27, v[18:19] offset:24576
	;; [unrolled: 1-line block ×3, first 2 shown]
	v_or_b32_e32 v10, v60, v63
	v_lshlrev_b32_e32 v10, 3, v10
	v_lshrrev_b32_e32 v12, 5, v61
	s_movk_i32 s20, 0xf8
	v_and_or_b32 v12, v10, s20, v12
	v_lshlrev_b32_e32 v45, 11, v53
	v_lshlrev_b32_e32 v20, 4, v12
	v_and_b32_e32 v21, 0x78, v10
	v_and_b32_e32 v22, 0x1000, v45
	v_lshlrev_b32_e32 v11, 2, v0
	v_xor_b32_e32 v10, v20, v21
	v_lshrrev_b32_e32 v12, 1, v61
	v_and_b32_e32 v11, 60, v11
	v_or_b32_e32 v10, v10, v22
	v_and_b32_e32 v23, 8, v12
	v_xor_b32_e32 v36, v10, v23
	v_lshl_or_b32 v10, v62, 6, v11
	v_lshlrev_b32_e32 v46, 1, v10
	v_or_b32_e32 v10, 32, v20
	v_xor_b32_e32 v10, v10, v21
	s_waitcnt lgkmcnt(0)
	s_barrier
	ds_read_b64 v[18:19], v36 offset:16384
	v_or_b32_e32 v10, v10, v22
	v_xor_b32_e32 v37, v10, v23
	v_or_b32_e32 v10, 64, v20
	v_xor_b32_e32 v10, v10, v21
	v_or_b32_e32 v10, v10, v22
	v_or_b32_e32 v20, 0x60, v20
	v_xor_b32_e32 v38, v10, v23
	ds_read2st64_b64 v[10:13], v46 offset0:72 offset1:73
	ds_read2st64_b64 v[14:17], v46 offset0:74 offset1:75
	v_xor_b32_e32 v24, v20, v21
	ds_read_b64 v[20:21], v37 offset:16384
	s_waitcnt lgkmcnt(2)
	v_mfma_f32_16x16x16_bf16 a[0:3], v[18:19], v[10:11], 0
	s_addc_u32 s13, s13, s1
	s_add_i32 s22, s43, -1
	s_add_i32 s0, s51, s50
	s_add_i32 s45, s0, s52
	s_mul_i32 s0, s48, s27
	s_mul_hi_u32 s1, s48, s26
	s_ashr_i32 s2, s22, 31
	s_mul_i32 s3, s22, s11
	s_mul_hi_u32 s14, s22, s10
	s_add_i32 s0, s1, s0
	s_mul_i32 s1, s25, s26
	s_add_i32 s3, s14, s3
	s_mul_i32 s2, s2, s10
	v_or_b32_e32 v22, v24, v22
	s_add_i32 s1, s0, s1
	s_add_i32 s3, s3, s2
	s_lshl_b64 s[14:15], s[44:45], 2
	v_xor_b32_e32 v47, v22, v23
	ds_read_b64 v[22:23], v38 offset:16384
	ds_read_b64 v[24:25], v47 offset:16384
	s_waitcnt lgkmcnt(2)
	v_mfma_f32_16x16x16_bf16 a[0:3], v[20:21], v[12:13], a[0:3]
	s_mul_i32 s0, s48, s26
	s_add_u32 s14, s18, s14
	s_addc_u32 s15, s19, s15
	s_lshl_b64 s[0:1], s[0:1], 2
	s_mul_i32 s2, s22, s10
	s_add_u32 s18, s14, s0
	s_addc_u32 s19, s15, s1
	s_lshl_b64 s[0:1], s[2:3], 2
	s_waitcnt lgkmcnt(1)
	v_mfma_f32_16x16x16_bf16 a[0:3], v[22:23], v[14:15], a[0:3]
	s_add_u32 s0, s18, s0
	s_addc_u32 s1, s19, s1
	s_load_dword s20, s[0:1], 0x0
	s_waitcnt lgkmcnt(0)
	v_mfma_f32_16x16x16_bf16 a[0:3], v[24:25], v[16:17], a[0:3]
	s_and_b64 vcc, exec, s[38:39]
	s_cbranch_vccz .LBB645_44
; %bb.34:
	v_lshlrev_b32_e32 v27, 1, v35
	s_and_b64 vcc, exec, s[4:5]
	s_cbranch_vccz .LBB645_45
; %bb.35:
	v_cmp_gt_i32_e32 vcc, s53, v27
	v_mov_b32_e32 v14, 0
	v_mov_b32_e32 v10, 0
	;; [unrolled: 1-line block ×5, first 2 shown]
	s_and_saveexec_b64 s[0:1], vcc
	s_cbranch_execz .LBB645_37
; %bb.36:
	v_mad_i64_i32 v[10:11], s[2:3], s23, v27, 0
	v_lshl_add_u64 v[10:11], v[10:11], 1, s[12:13]
	v_lshlrev_b32_e32 v12, 1, v26
	v_mov_b32_e32 v13, 0
	v_lshl_add_u64 v[10:11], v[10:11], 0, v[12:13]
	global_load_dwordx4 v[10:13], v[10:11], off
.LBB645_37:
	s_or_b64 exec, exec, s[0:1]
	v_or_b32_e32 v28, 1, v27
	v_cmp_gt_i32_e64 s[0:1], s53, v28
	v_mov_b32_e32 v15, 0
	v_mov_b32_e32 v16, 0
	;; [unrolled: 1-line block ×3, first 2 shown]
	s_and_saveexec_b64 s[2:3], s[0:1]
	s_cbranch_execz .LBB645_39
; %bb.38:
	v_mad_i64_i32 v[14:15], s[14:15], s23, v28, 0
	v_lshl_add_u64 v[14:15], v[14:15], 1, s[12:13]
	v_lshlrev_b32_e32 v16, 1, v26
	v_mov_b32_e32 v17, 0
	v_lshl_add_u64 v[14:15], v[14:15], 0, v[16:17]
	global_load_dwordx4 v[14:17], v[14:15], off
.LBB645_39:
	s_or_b64 exec, exec, s[2:3]
	v_mov_b32_e32 v25, 0
	v_mov_b32_e32 v18, 0
	;; [unrolled: 1-line block ×5, first 2 shown]
	s_and_saveexec_b64 s[2:3], vcc
	s_cbranch_execz .LBB645_41
; %bb.40:
	v_mad_i64_i32 v[18:19], s[14:15], s23, v27, 0
	v_lshl_add_u64 v[18:19], v[18:19], 1, s[12:13]
	v_lshlrev_b32_e32 v20, 1, v26
	v_mov_b32_e32 v21, 0
	v_lshl_add_u64 v[18:19], v[18:19], 0, v[20:21]
	global_load_dwordx4 v[18:21], v[18:19], off offset:128
.LBB645_41:
	s_or_b64 exec, exec, s[2:3]
	v_mov_b32_e32 v24, 0
	v_mov_b32_e32 v23, 0
	v_mov_b32_e32 v22, 0
	s_and_saveexec_b64 s[2:3], s[0:1]
	s_cbranch_execz .LBB645_43
; %bb.42:
	v_mad_i64_i32 v[22:23], s[0:1], s23, v28, 0
	v_lshl_add_u64 v[22:23], v[22:23], 1, s[12:13]
	v_lshlrev_b32_e32 v24, 1, v26
	v_mov_b32_e32 v25, 0
	v_lshl_add_u64 v[22:23], v[22:23], 0, v[24:25]
	global_load_dwordx4 v[22:25], v[22:23], off offset:128
.LBB645_43:
	s_or_b64 exec, exec, s[2:3]
	s_branch .LBB645_47
.LBB645_44:
                                        ; implicit-def: $vgpr13
                                        ; implicit-def: $vgpr17
                                        ; implicit-def: $vgpr21
                                        ; implicit-def: $vgpr25
	v_lshrrev_b32_e32 v27, 2, v61
	s_branch .LBB645_48
.LBB645_45:
                                        ; implicit-def: $vgpr13
                                        ; implicit-def: $vgpr17
                                        ; implicit-def: $vgpr21
                                        ; implicit-def: $vgpr25
	s_cbranch_execz .LBB645_47
; %bb.46:
	s_waitcnt vmcnt(0)
	v_mad_u64_u32 v[10:11], s[0:1], v27, s23, v[26:27]
	v_lshlrev_b32_e32 v27, 1, v10
	s_lshl_b32 s2, s23, 7
	s_and_b32 s1, s13, 0xffff
	s_mov_b32 s3, 0x20000
	s_mov_b32 s0, s12
	v_add_lshl_u32 v28, v10, s23, 1
	s_movk_i32 s14, 0x80
	buffer_load_dwordx4 v[10:13], v27, s[0:3], 0 offen
	buffer_load_dwordx4 v[18:21], v27, s[0:3], s14 offen
	buffer_load_dwordx4 v[14:17], v28, s[0:3], 0 offen
	buffer_load_dwordx4 v[22:25], v28, s[0:3], s14 offen
.LBB645_47:
	v_lshrrev_b32_e32 v27, 2, v61
	s_cbranch_execnz .LBB645_60
.LBB645_48:
	s_and_b64 vcc, exec, s[4:5]
	s_cbranch_vccz .LBB645_58
; %bb.49:
	s_waitcnt vmcnt(0)
	v_lshlrev_b32_e32 v15, 1, v35
	v_cmp_gt_i32_e32 vcc, s53, v15
	v_mov_b32_e32 v14, 0
	v_lshlrev_b32_e32 v22, 9, v35
	v_mov_b32_e32 v10, 0
	v_mov_b32_e32 v11, 0
	;; [unrolled: 1-line block ×4, first 2 shown]
	s_and_saveexec_b64 s[0:1], vcc
	s_cbranch_execz .LBB645_51
; %bb.50:
	v_mov_b32_e32 v23, 0
	v_lshl_add_u64 v[10:11], s[12:13], 0, v[22:23]
	v_lshlrev_b32_e32 v12, 1, v26
	v_mov_b32_e32 v13, v23
	v_lshl_add_u64 v[10:11], v[10:11], 0, v[12:13]
	global_load_dwordx4 v[10:13], v[10:11], off
.LBB645_51:
	s_or_b64 exec, exec, s[0:1]
	v_or_b32_e32 v15, 1, v15
	v_cmp_gt_i32_e64 s[0:1], s53, v15
	v_lshlrev_b32_e32 v28, 8, v15
	v_mov_b32_e32 v15, 0
	v_mov_b32_e32 v16, 0
	;; [unrolled: 1-line block ×3, first 2 shown]
	s_and_saveexec_b64 s[2:3], s[0:1]
	s_cbranch_execz .LBB645_53
; %bb.52:
	v_mov_b32_e32 v29, 0
	v_lshl_add_u64 v[14:15], s[12:13], 0, v[28:29]
	v_lshlrev_b32_e32 v16, 1, v26
	v_mov_b32_e32 v17, v29
	v_lshl_add_u64 v[14:15], v[14:15], 0, v[16:17]
	global_load_dwordx4 v[14:17], v[14:15], off
.LBB645_53:
	s_or_b64 exec, exec, s[2:3]
	v_mov_b32_e32 v25, 0
	v_mov_b32_e32 v18, 0
	;; [unrolled: 1-line block ×5, first 2 shown]
	s_and_saveexec_b64 s[2:3], vcc
	s_cbranch_execz .LBB645_55
; %bb.54:
	v_mov_b32_e32 v23, 0
	v_lshl_add_u64 v[18:19], s[12:13], 0, v[22:23]
	v_lshlrev_b32_e32 v22, 1, v26
	v_lshl_add_u64 v[18:19], v[18:19], 0, v[22:23]
	global_load_dwordx4 v[18:21], v[18:19], off offset:128
.LBB645_55:
	s_or_b64 exec, exec, s[2:3]
	v_mov_b32_e32 v24, 0
	v_mov_b32_e32 v23, 0
	;; [unrolled: 1-line block ×3, first 2 shown]
	s_and_saveexec_b64 s[2:3], s[0:1]
	s_cbranch_execz .LBB645_57
; %bb.56:
	v_mov_b32_e32 v29, 0
	v_lshl_add_u64 v[22:23], s[12:13], 0, v[28:29]
	v_lshlrev_b32_e32 v28, 1, v26
	v_lshl_add_u64 v[22:23], v[22:23], 0, v[28:29]
	global_load_dwordx4 v[22:25], v[22:23], off offset:128
.LBB645_57:
	s_or_b64 exec, exec, s[2:3]
	s_branch .LBB645_60
.LBB645_58:
                                        ; implicit-def: $vgpr13
                                        ; implicit-def: $vgpr17
                                        ; implicit-def: $vgpr21
                                        ; implicit-def: $vgpr25
	s_cbranch_execz .LBB645_60
; %bb.59:
	s_waitcnt vmcnt(0)
	v_lshlrev_b32_e32 v10, 1, v26
	v_lshl_or_b32 v26, v35, 9, v10
	s_and_b32 s13, s13, 0xffff
	s_mov_b32 s15, 0x20000
	s_movk_i32 s14, 0x4000
	s_movk_i32 s0, 0x80
	buffer_load_dwordx4 v[10:13], v26, s[12:15], 0 offen
	buffer_load_dwordx4 v[14:17], v26, s[12:15], 0 offen offset:256
	buffer_load_dwordx4 v[18:21], v26, s[12:15], s0 offen
	buffer_load_dwordx4 v[22:25], v26, s[12:15], s0 offen offset:256
.LBB645_60:
	v_and_b32_e32 v48, 12, v27
	ds_read2st64_b64 v[30:33], v46 offset0:76 offset1:77
	ds_read2st64_b64 v[26:29], v46 offset0:78 offset1:79
	ds_read_b64 v[42:43], v36 offset:24576
	ds_read_b64 v[40:41], v37 offset:24576
	;; [unrolled: 1-line block ×4, first 2 shown]
	v_and_b32_e32 v47, 6, v0
	v_xor_b32_e32 v35, v35, v47
	v_lshlrev_b32_e32 v35, 2, v35
	v_and_b32_e32 v49, 1, v0
	v_xor_b32_e32 v50, 0x440, v35
	v_cmp_eq_u32_e32 vcc, 0, v49
	s_mov_b32 s0, 0x1000504
	s_waitcnt vmcnt(0)
	v_perm_b32 v49, v18, v22, s0
	v_cndmask_b32_e32 v35, v50, v35, vcc
	v_lshl_or_b32 v35, v47, 10, v35
	v_perm_b32 v47, v10, v14, s0
	ds_write2st64_b32 v35, v47, v49 offset1:32
	v_xor_b32_e32 v47, 8, v35
	s_mov_b32 s1, 0x3020706
	v_perm_b32 v10, v10, v14, s1
	v_perm_b32 v14, v18, v22, s1
	v_add_u32_e32 v18, 0x80, v47
	ds_write2st64_b32 v18, v10, v14 offset1:32
	v_xor_b32_e32 v10, 16, v35
	v_perm_b32 v14, v11, v15, s0
	v_perm_b32 v18, v19, v23, s0
	ds_write2st64_b32 v10, v14, v18 offset0:1 offset1:33
	v_xor_b32_e32 v10, 24, v35
	v_perm_b32 v11, v11, v15, s1
	v_perm_b32 v14, v19, v23, s1
	v_add_u32_e32 v10, 0x80, v10
	ds_write2st64_b32 v10, v11, v14 offset0:1 offset1:33
	v_xor_b32_e32 v10, 32, v35
	v_perm_b32 v11, v12, v16, s0
	v_perm_b32 v14, v20, v24, s0
	ds_write2st64_b32 v10, v11, v14 offset0:2 offset1:34
	v_xor_b32_e32 v10, 40, v35
	v_perm_b32 v11, v12, v16, s1
	v_perm_b32 v12, v20, v24, s1
	v_add_u32_e32 v10, 0x80, v10
	ds_write2st64_b32 v10, v11, v12 offset0:2 offset1:34
	v_xor_b32_e32 v10, 48, v35
	v_perm_b32 v11, v13, v17, s0
	v_perm_b32 v12, v21, v25, s0
	ds_write2st64_b32 v10, v11, v12 offset0:3 offset1:35
	v_xor_b32_e32 v10, 56, v35
	v_or_b32_e32 v18, v48, v60
	v_perm_b32 v11, v13, v17, s1
	v_perm_b32 v12, v21, v25, s1
	v_add_u32_e32 v10, 0x80, v10
	v_cmp_gt_i32_e64 s[2:3], s53, v18
	v_mov_b32_e32 v20, 0
	v_mov_b32_e32 v25, 0
	ds_write2st64_b32 v10, v11, v12 offset0:3 offset1:35
	s_and_saveexec_b64 s[0:1], s[2:3]
	s_cbranch_execz .LBB645_62
; %bb.61:
	v_add_u32_e32 v10, s24, v18
	v_ashrrev_i32_e32 v11, 31, v10
	v_mul_lo_u32 v12, v11, s10
	v_mul_lo_u32 v13, v10, s11
	v_mad_u64_u32 v[10:11], s[4:5], v10, s10, 0
	v_add3_u32 v11, v11, v13, v12
	v_lshl_add_u64 v[10:11], v[10:11], 2, s[18:19]
	global_load_dword v10, v[10:11], off
	s_waitcnt vmcnt(0)
	v_sub_f32_e32 v10, s20, v10
	v_exp_f32_e32 v25, v10
.LBB645_62:
	s_or_b64 exec, exec, s[0:1]
	v_or_b32_e32 v23, 1, v18
	v_cmp_gt_i32_e64 s[4:5], s53, v23
	s_and_saveexec_b64 s[0:1], s[4:5]
	s_cbranch_execz .LBB645_64
; %bb.63:
	v_add_u32_e32 v10, s24, v23
	v_ashrrev_i32_e32 v11, 31, v10
	v_mul_lo_u32 v12, v11, s10
	v_mul_lo_u32 v13, v10, s11
	v_mad_u64_u32 v[10:11], s[12:13], v10, s10, 0
	v_add3_u32 v11, v11, v13, v12
	v_lshl_add_u64 v[10:11], v[10:11], 2, s[18:19]
	global_load_dword v10, v[10:11], off
	s_waitcnt vmcnt(0)
	v_sub_f32_e32 v10, s20, v10
	v_exp_f32_e32 v20, v10
.LBB645_64:
	s_or_b64 exec, exec, s[0:1]
	v_or_b32_e32 v22, 2, v18
	v_cmp_gt_i32_e64 s[0:1], s53, v22
	v_mov_b32_e32 v19, 0
	v_mov_b32_e32 v24, 0
	s_and_saveexec_b64 s[12:13], s[0:1]
	s_cbranch_execz .LBB645_66
; %bb.65:
	v_add_u32_e32 v10, s24, v22
	v_ashrrev_i32_e32 v11, 31, v10
	v_mul_lo_u32 v12, v11, s10
	v_mul_lo_u32 v13, v10, s11
	v_mad_u64_u32 v[10:11], s[14:15], v10, s10, 0
	v_add3_u32 v11, v11, v13, v12
	v_lshl_add_u64 v[10:11], v[10:11], 2, s[18:19]
	global_load_dword v10, v[10:11], off
	s_waitcnt vmcnt(0)
	v_sub_f32_e32 v10, s20, v10
	v_exp_f32_e32 v24, v10
.LBB645_66:
	s_or_b64 exec, exec, s[12:13]
	v_or_b32_e32 v21, 3, v18
	v_cmp_gt_i32_e32 vcc, s53, v21
	s_and_saveexec_b64 s[12:13], vcc
	s_cbranch_execz .LBB645_68
; %bb.67:
	v_add_u32_e32 v10, s24, v21
	v_ashrrev_i32_e32 v11, 31, v10
	v_mul_lo_u32 v12, v11, s10
	v_mul_lo_u32 v13, v10, s11
	v_mad_u64_u32 v[10:11], s[10:11], v10, s10, 0
	v_add3_u32 v11, v11, v13, v12
	v_lshl_add_u64 v[10:11], v[10:11], 2, s[18:19]
	global_load_dword v10, v[10:11], off
	s_waitcnt vmcnt(0)
	v_sub_f32_e32 v10, s20, v10
	v_exp_f32_e32 v19, v10
.LBB645_68:
	s_or_b64 exec, exec, s[12:13]
	s_waitcnt lgkmcnt(11)
	v_mfma_f32_16x16x16_bf16 a[0:3], v[42:43], v[30:31], a[0:3]
	s_add_u32 s10, s16, s36
	s_addc_u32 s11, s17, s37
	v_ashrrev_i32_e32 v35, 31, v34
	s_waitcnt lgkmcnt(10)
	v_mfma_f32_16x16x16_bf16 a[0:3], v[40:41], v[32:33], a[0:3]
	s_add_u32 s6, s6, s36
	v_lshlrev_b64 v[10:11], 1, v[34:35]
	s_addc_u32 s7, s7, s37
	s_waitcnt lgkmcnt(9)
	v_mfma_f32_16x16x16_bf16 a[0:3], v[38:39], v[26:27], a[0:3]
	v_lshl_add_u64 v[14:15], s[10:11], 0, v[10:11]
	v_lshl_add_u64 v[16:17], s[6:7], 0, v[10:11]
	v_mov_b32_e32 v26, 0
	s_waitcnt lgkmcnt(8)
	v_mfma_f32_16x16x16_bf16 a[0:3], v[36:37], v[28:29], a[0:3]
	v_mov_b32_e32 v27, 0
	s_nop 5
	v_accvgpr_read_b32 v13, a3
	v_accvgpr_read_b32 v12, a2
	v_accvgpr_read_b32 v11, a1
	v_accvgpr_read_b32 v10, a0
	s_and_saveexec_b64 s[6:7], s[2:3]
	s_cbranch_execz .LBB645_70
; %bb.69:
	v_lshlrev_b32_e32 v28, 8, v18
	v_mov_b32_e32 v29, 0
	v_lshl_add_u64 v[30:31], v[14:15], 0, v[28:29]
	global_load_ushort v27, v[30:31], off
	v_lshl_add_u64 v[28:29], v[16:17], 0, v[28:29]
	s_waitcnt vmcnt(0)
	v_lshlrev_b32_e32 v27, 16, v27
	v_sub_f32_e32 v10, v27, v10
	global_store_short_d16_hi v[28:29], v10, off
	v_mul_f32_e32 v10, v25, v10
	v_lshrrev_b32_e32 v27, 16, v10
.LBB645_70:
	s_or_b64 exec, exec, s[6:7]
	s_and_saveexec_b64 s[2:3], s[4:5]
	s_cbranch_execz .LBB645_72
; %bb.71:
	v_lshlrev_b32_e32 v28, 8, v23
	v_mov_b32_e32 v29, 0
	v_lshl_add_u64 v[30:31], v[14:15], 0, v[28:29]
	global_load_ushort v10, v[30:31], off
	v_lshl_add_u64 v[28:29], v[16:17], 0, v[28:29]
	s_waitcnt vmcnt(0)
	v_lshlrev_b32_e32 v10, 16, v10
	v_sub_f32_e32 v10, v10, v11
	global_store_short_d16_hi v[28:29], v10, off
	v_mul_f32_e32 v10, v20, v10
	v_lshrrev_b32_e32 v26, 16, v10
.LBB645_72:
	s_or_b64 exec, exec, s[2:3]
	v_mov_b32_e32 v11, 0
	v_mov_b32_e32 v20, 0
	s_and_saveexec_b64 s[2:3], s[0:1]
	s_cbranch_execz .LBB645_74
; %bb.73:
	v_lshlrev_b32_e32 v22, 8, v22
	v_mov_b32_e32 v23, 0
	v_lshl_add_u64 v[28:29], v[14:15], 0, v[22:23]
	global_load_ushort v10, v[28:29], off
	v_lshl_add_u64 v[22:23], v[16:17], 0, v[22:23]
	s_waitcnt vmcnt(0)
	v_lshlrev_b32_e32 v10, 16, v10
	v_sub_f32_e32 v10, v10, v12
	global_store_short_d16_hi v[22:23], v10, off
	v_mul_f32_e32 v10, v24, v10
	v_lshrrev_b32_e32 v20, 16, v10
.LBB645_74:
	s_or_b64 exec, exec, s[2:3]
	v_or_b32_e32 v10, 0x9800, v46
	s_and_saveexec_b64 s[0:1], vcc
	s_cbranch_execz .LBB645_76
; %bb.75:
	v_lshlrev_b32_e32 v22, 8, v21
	v_mov_b32_e32 v23, 0
	v_lshl_add_u64 v[14:15], v[14:15], 0, v[22:23]
	global_load_ushort v11, v[14:15], off
	v_lshl_add_u64 v[14:15], v[16:17], 0, v[22:23]
	s_waitcnt vmcnt(0)
	v_lshlrev_b32_e32 v11, 16, v11
	v_sub_f32_e32 v11, v11, v13
	global_store_short_d16_hi v[14:15], v11, off
	v_mul_f32_e32 v11, v19, v11
	v_lshrrev_b32_e32 v11, 16, v11
.LBB645_76:
	s_or_b64 exec, exec, s[0:1]
	s_mov_b32 s0, 0x5040100
	v_perm_b32 v13, v11, v20, s0
	v_lshlrev_b32_e32 v11, 1, v44
	v_perm_b32 v12, v26, v27, s0
	v_lshl_or_b32 v11, v18, 5, v11
	s_movk_i32 s2, 0xff
	ds_write_b64 v11, v[12:13] offset:38912
	v_and_b32_e32 v11, 7, v0
	v_cmp_lt_u32_e32 vcc, s2, v0
	v_and_b32_e32 v12, 8, v0
	v_lshlrev_b32_e32 v19, 3, v11
	v_lshlrev_b32_e32 v28, 7, v11
	v_cndmask_b32_e64 v11, 0, 1, vcc
	v_lshrrev_b32_e32 v0, 1, v0
	v_lshlrev_b32_e32 v24, 13, v11
	v_lshlrev_b32_e32 v11, 3, v53
	v_and_b32_e32 v0, 24, v0
	v_xor_b32_e32 v13, v11, v0
	v_or_b32_e32 v14, 0x440, v13
	v_cmp_eq_u32_e32 vcc, 0, v12
	s_waitcnt lgkmcnt(0)
	s_barrier
	v_cndmask_b32_e32 v12, v14, v13, vcc
	v_or_b32_e32 v12, v12, v45
	v_xor_b32_e32 v29, v12, v19
	v_or_b32_e32 v12, 32, v0
	v_xor_b32_e32 v12, v11, v12
	v_or_b32_e32 v13, 0x440, v12
	v_cndmask_b32_e32 v12, v13, v12, vcc
	v_or_b32_e32 v12, v12, v45
	v_xor_b32_e32 v30, v12, v19
	v_or_b32_e32 v12, 64, v0
	v_xor_b32_e32 v12, v11, v12
	v_xor_b32_e32 v13, 0x440, v12
	v_cndmask_b32_e32 v12, v13, v12, vcc
	v_add3_u32 v16, v24, v29, v28
	v_or_b32_e32 v12, v12, v45
	v_or_b32_e32 v0, 0x60, v0
	v_xor_b32_e32 v31, v12, v19
	ds_read2st64_b64 v[12:15], v10 offset1:1
	ds_read2st64_b64 v[20:23], v10 offset0:2 offset1:3
	v_xor_b32_e32 v0, v11, v0
	ds_read_b64 v[10:11], v16
	v_add3_u32 v17, v24, v30, v28
	v_xor_b32_e32 v16, 0x440, v0
	v_cndmask_b32_e32 v0, v16, v0, vcc
	ds_read_b64 v[16:17], v17
	s_mul_i32 s0, s22, s21
	s_mul_hi_i32 s1, s22, s21
	s_add_u32 s0, s0, s48
	s_waitcnt lgkmcnt(1)
	v_mfma_f32_16x16x16_bf16 a[0:3], v[10:11], v[12:13], 0
	s_addc_u32 s1, s1, s25
	v_or_b32_e32 v0, v0, v45
	s_lshl_b64 s[0:1], s[0:1], 9
	v_xor_b32_e32 v0, v0, v19
	s_add_u32 s0, s40, s0
	v_add3_u32 v25, v24, v31, v28
	v_add3_u32 v19, v24, v0, v28
	s_addc_u32 s1, s41, s1
	v_lshlrev_b32_e32 v10, 2, v18
	ds_read_b64 v[24:25], v25
	ds_read_b64 v[26:27], v19
	s_waitcnt lgkmcnt(2)
	v_mfma_f32_16x16x16_bf16 a[0:3], v[16:17], v[14:15], a[0:3]
	global_load_dwordx4 v[16:19], v10, s[0:1]
	v_add_u32_e32 v10, v29, v28
	ds_read_b64 v[10:11], v10 offset:8192
	s_waitcnt lgkmcnt(2)
	v_mfma_f32_16x16x16_bf16 a[0:3], v[24:25], v[20:21], a[0:3]
	v_lshlrev_b32_e32 v24, 6, v53
	v_lshlrev_b32_e32 v25, 2, v48
	s_movk_i32 s2, 0x100
	v_or3_b32 v32, v24, v25, s2
	v_add_u32_e32 v24, v30, v28
	v_add_u32_e32 v29, v31, v28
	v_add_u32_e32 v0, v0, v28
	ds_read_b64 v[24:25], v24 offset:8192
	ds_read_b64 v[28:29], v29 offset:8192
	;; [unrolled: 1-line block ×3, first 2 shown]
	s_waitcnt lgkmcnt(3)
	v_mfma_f32_16x16x16_bf16 a[4:7], v[10:11], v[12:13], 0
	global_load_dwordx4 v[10:13], v32, s[0:1]
	v_exp_f32_e32 v0, s20
	s_waitcnt vmcnt(1)
	v_exp_f32_e32 v16, v16
	v_mfma_f32_16x16x16_bf16 a[0:3], v[26:27], v[22:23], a[0:3]
	v_exp_f32_e32 v17, v17
	v_exp_f32_e32 v18, v18
	;; [unrolled: 1-line block ×3, first 2 shown]
	v_pk_mul_f32 v[16:17], v[0:1], v[16:17] op_sel_hi:[0,1]
	v_pk_mul_f32 v[18:19], v[0:1], v[18:19] op_sel_hi:[0,1]
	s_nop 1
	v_accvgpr_read_b32 v33, a1
	v_accvgpr_read_b32 v27, a3
	;; [unrolled: 1-line block ×4, first 2 shown]
	s_waitcnt lgkmcnt(2)
	v_mfma_f32_16x16x16_bf16 a[0:3], v[24:25], v[14:15], a[4:7]
	s_waitcnt vmcnt(0)
	v_mov_b32_e32 v14, v13
	v_mov_b32_e32 v13, v12
	v_mov_b32_e32 v12, v11
	s_waitcnt lgkmcnt(1)
	v_mfma_f32_16x16x16_bf16 a[0:3], v[28:29], v[20:21], a[0:3]
	v_exp_f32_e32 v10, v10
	v_exp_f32_e32 v11, v12
	;; [unrolled: 1-line block ×3, first 2 shown]
	s_waitcnt lgkmcnt(0)
	v_mfma_f32_16x16x16_bf16 a[0:3], v[30:31], v[22:23], a[0:3]
	v_exp_f32_e32 v13, v14
	v_pk_fma_f32 v[2:3], v[2:3], v[16:17], v[32:33]
	v_pk_mul_f32 v[10:11], v[0:1], v[10:11] op_sel_hi:[0,1]
	v_pk_fma_f32 v[4:5], v[4:5], v[18:19], v[26:27]
	s_nop 2
	v_accvgpr_read_b32 v17, a1
	v_accvgpr_read_b32 v16, a0
	;; [unrolled: 1-line block ×4, first 2 shown]
	v_pk_fma_f32 v[6:7], v[6:7], v[10:11], v[16:17]
	v_pk_mul_f32 v[10:11], v[0:1], v[12:13] op_sel_hi:[0,1]
	v_pk_fma_f32 v[8:9], v[8:9], v[10:11], v[14:15]
	v_mov_b32_e32 v10, v34
.LBB645_77:
	s_mul_i32 s0, s49, s35
	s_mul_hi_u32 s1, s49, s34
	s_add_i32 s0, s1, s0
	s_mul_i32 s1, s33, s34
	s_add_i32 s1, s0, s1
	s_mul_i32 s0, s49, s34
	s_add_u32 s0, s0, s48
	s_addc_u32 s1, s1, s25
	s_lshl_b64 s[0:1], s[0:1], 16
	s_add_u32 s0, s8, s0
	v_lshlrev_b32_e32 v10, 7, v10
	s_addc_u32 s1, s9, s1
	v_ashrrev_i32_e32 v11, 31, v10
	v_lshl_add_u64 v[10:11], v[10:11], 2, s[0:1]
	v_lshlrev_b32_e32 v0, 2, v1
	v_mov_b32_e32 v1, 0
	v_lshl_add_u64 v[0:1], v[10:11], 0, v[0:1]
	global_store_dwordx4 v[0:1], v[2:5], off
	global_store_dwordx4 v[0:1], v[6:9], off offset:256
	s_endpgm
	.section	.rodata,"a",@progbits
	.p2align	6, 0x0
	.amdhsa_kernel _ZN12_GLOBAL__N_139chunk_gated_delta_rule_fwd_h_hip_kernelILi16ELb0ELb1ELb1ELb1ELb1ELb1ELb1ELb0EEEvPK12hip_bfloat16S3_S3_PKfS5_PKvPS1_S8_PvPKiSB_iiiiilll
		.amdhsa_group_segment_fixed_size 40960
		.amdhsa_private_segment_fixed_size 0
		.amdhsa_kernarg_size 136
		.amdhsa_user_sgpr_count 2
		.amdhsa_user_sgpr_dispatch_ptr 0
		.amdhsa_user_sgpr_queue_ptr 0
		.amdhsa_user_sgpr_kernarg_segment_ptr 1
		.amdhsa_user_sgpr_dispatch_id 0
		.amdhsa_user_sgpr_kernarg_preload_length 0
		.amdhsa_user_sgpr_kernarg_preload_offset 0
		.amdhsa_user_sgpr_private_segment_size 0
		.amdhsa_uses_dynamic_stack 0
		.amdhsa_enable_private_segment 0
		.amdhsa_system_sgpr_workgroup_id_x 1
		.amdhsa_system_sgpr_workgroup_id_y 1
		.amdhsa_system_sgpr_workgroup_id_z 0
		.amdhsa_system_sgpr_workgroup_info 0
		.amdhsa_system_vgpr_workitem_id 0
		.amdhsa_next_free_vgpr 128
		.amdhsa_next_free_sgpr 70
		.amdhsa_accum_offset 116
		.amdhsa_reserve_vcc 1
		.amdhsa_float_round_mode_32 0
		.amdhsa_float_round_mode_16_64 0
		.amdhsa_float_denorm_mode_32 3
		.amdhsa_float_denorm_mode_16_64 3
		.amdhsa_dx10_clamp 1
		.amdhsa_ieee_mode 1
		.amdhsa_fp16_overflow 0
		.amdhsa_tg_split 0
		.amdhsa_exception_fp_ieee_invalid_op 0
		.amdhsa_exception_fp_denorm_src 0
		.amdhsa_exception_fp_ieee_div_zero 0
		.amdhsa_exception_fp_ieee_overflow 0
		.amdhsa_exception_fp_ieee_underflow 0
		.amdhsa_exception_fp_ieee_inexact 0
		.amdhsa_exception_int_div_zero 0
	.end_amdhsa_kernel
	.section	.text._ZN12_GLOBAL__N_139chunk_gated_delta_rule_fwd_h_hip_kernelILi16ELb0ELb1ELb1ELb1ELb1ELb1ELb1ELb0EEEvPK12hip_bfloat16S3_S3_PKfS5_PKvPS1_S8_PvPKiSB_iiiiilll,"axG",@progbits,_ZN12_GLOBAL__N_139chunk_gated_delta_rule_fwd_h_hip_kernelILi16ELb0ELb1ELb1ELb1ELb1ELb1ELb1ELb0EEEvPK12hip_bfloat16S3_S3_PKfS5_PKvPS1_S8_PvPKiSB_iiiiilll,comdat
.Lfunc_end645:
	.size	_ZN12_GLOBAL__N_139chunk_gated_delta_rule_fwd_h_hip_kernelILi16ELb0ELb1ELb1ELb1ELb1ELb1ELb1ELb0EEEvPK12hip_bfloat16S3_S3_PKfS5_PKvPS1_S8_PvPKiSB_iiiiilll, .Lfunc_end645-_ZN12_GLOBAL__N_139chunk_gated_delta_rule_fwd_h_hip_kernelILi16ELb0ELb1ELb1ELb1ELb1ELb1ELb1ELb0EEEvPK12hip_bfloat16S3_S3_PKfS5_PKvPS1_S8_PvPKiSB_iiiiilll
                                        ; -- End function
	.section	.AMDGPU.csdata,"",@progbits
; Kernel info:
; codeLenInByte = 8088
; NumSgprs: 76
; NumVgprs: 114
; NumAgprs: 12
; TotalNumVgprs: 128
; ScratchSize: 0
; MemoryBound: 0
; FloatMode: 240
; IeeeMode: 1
; LDSByteSize: 40960 bytes/workgroup (compile time only)
; SGPRBlocks: 9
; VGPRBlocks: 15
; NumSGPRsForWavesPerEU: 76
; NumVGPRsForWavesPerEU: 128
; AccumOffset: 116
; Occupancy: 1
; WaveLimiterHint : 1
; COMPUTE_PGM_RSRC2:SCRATCH_EN: 0
; COMPUTE_PGM_RSRC2:USER_SGPR: 2
; COMPUTE_PGM_RSRC2:TRAP_HANDLER: 0
; COMPUTE_PGM_RSRC2:TGID_X_EN: 1
; COMPUTE_PGM_RSRC2:TGID_Y_EN: 1
; COMPUTE_PGM_RSRC2:TGID_Z_EN: 0
; COMPUTE_PGM_RSRC2:TIDIG_COMP_CNT: 0
; COMPUTE_PGM_RSRC3_GFX90A:ACCUM_OFFSET: 28
; COMPUTE_PGM_RSRC3_GFX90A:TG_SPLIT: 0
	.section	.text._ZN12_GLOBAL__N_139chunk_gated_delta_rule_fwd_h_hip_kernelILi16ELb0ELb1ELb0ELb1ELb1ELb1ELb1ELb0EEEvPK12hip_bfloat16S3_S3_PKfS5_PKvPS1_S8_PvPKiSB_iiiiilll,"axG",@progbits,_ZN12_GLOBAL__N_139chunk_gated_delta_rule_fwd_h_hip_kernelILi16ELb0ELb1ELb0ELb1ELb1ELb1ELb1ELb0EEEvPK12hip_bfloat16S3_S3_PKfS5_PKvPS1_S8_PvPKiSB_iiiiilll,comdat
	.globl	_ZN12_GLOBAL__N_139chunk_gated_delta_rule_fwd_h_hip_kernelILi16ELb0ELb1ELb0ELb1ELb1ELb1ELb1ELb0EEEvPK12hip_bfloat16S3_S3_PKfS5_PKvPS1_S8_PvPKiSB_iiiiilll ; -- Begin function _ZN12_GLOBAL__N_139chunk_gated_delta_rule_fwd_h_hip_kernelILi16ELb0ELb1ELb0ELb1ELb1ELb1ELb1ELb0EEEvPK12hip_bfloat16S3_S3_PKfS5_PKvPS1_S8_PvPKiSB_iiiiilll
	.p2align	8
	.type	_ZN12_GLOBAL__N_139chunk_gated_delta_rule_fwd_h_hip_kernelILi16ELb0ELb1ELb0ELb1ELb1ELb1ELb1ELb0EEEvPK12hip_bfloat16S3_S3_PKfS5_PKvPS1_S8_PvPKiSB_iiiiilll,@function
_ZN12_GLOBAL__N_139chunk_gated_delta_rule_fwd_h_hip_kernelILi16ELb0ELb1ELb0ELb1ELb1ELb1ELb1ELb0EEEvPK12hip_bfloat16S3_S3_PKfS5_PKvPS1_S8_PvPKiSB_iiiiilll: ; @_ZN12_GLOBAL__N_139chunk_gated_delta_rule_fwd_h_hip_kernelILi16ELb0ELb1ELb0ELb1ELb1ELb1ELb1ELb0EEEvPK12hip_bfloat16S3_S3_PKfS5_PKvPS1_S8_PvPKiSB_iiiiilll
; %bb.0:
	s_load_dwordx4 s[16:19], s[0:1], 0x5c
	s_load_dwordx4 s[20:23], s[0:1], 0x70
	s_abs_i32 s27, s3
	s_ashr_i32 s26, s3, 31
	s_load_dwordx8 s[4:11], s[0:1], 0x0
	s_load_dwordx2 s[36:37], s[0:1], 0x20
	s_load_dwordx2 s[42:43], s[0:1], 0x30
	s_waitcnt lgkmcnt(0)
	s_abs_i32 s28, s17
	v_cvt_f32_u32_e32 v1, s28
	s_sub_i32 s29, 0, s28
	s_ashr_i32 s33, s17, 31
	s_xor_b32 s26, s26, s33
	v_rcp_iflag_f32_e32 v1, v1
	s_load_dwordx4 s[12:15], s[0:1], 0x40
	s_load_dwordx2 s[24:25], s[0:1], 0x50
	v_lshrrev_b32_e32 v53, 6, v0
	v_bfe_u32 v60, v0, 4, 2
	v_mul_f32_e32 v1, 0x4f7ffffe, v1
	v_cvt_u32_f32_e32 v1, v1
	v_lshlrev_b32_e32 v58, 4, v53
	v_lshlrev_b32_e32 v10, 2, v60
	v_and_b32_e32 v59, 63, v0
	v_readfirstlane_b32 s30, v1
	s_mul_i32 s29, s29, s30
	s_mul_hi_u32 s29, s30, s29
	s_add_i32 s30, s30, s29
	s_mul_hi_u32 s29, s27, s30
	s_mul_i32 s30, s29, s28
	s_sub_i32 s27, s27, s30
	s_add_i32 s30, s29, 1
	s_sub_i32 s31, s27, s28
	s_cmp_ge_u32 s27, s28
	s_cselect_b32 s29, s30, s29
	s_cselect_b32 s27, s31, s27
	s_add_i32 s30, s29, 1
	s_cmp_ge_u32 s27, s28
	s_cselect_b32 s27, s30, s29
	s_xor_b32 s27, s27, s26
	s_sub_i32 s34, s27, s26
	s_mul_i32 s26, s34, s17
	s_ashr_i32 s35, s34, 31
	s_sub_i32 s46, s3, s26
	s_lshl_b64 s[26:27], s[34:35], 2
	s_waitcnt lgkmcnt(0)
	s_add_u32 s14, s14, s26
	s_addc_u32 s15, s15, s27
	s_add_u32 s24, s24, s26
	s_addc_u32 s25, s25, s27
	s_abs_i32 s3, s18
	v_cvt_f32_u32_e32 v1, s3
	s_load_dwordx2 s[38:39], s[14:15], 0x0
	s_sub_i32 s15, 0, s3
	s_load_dword s53, s[24:25], 0x0
	v_rcp_iflag_f32_e32 v1, v1
	v_mov_b32_e32 v9, 0
	s_waitcnt lgkmcnt(0)
	s_sub_i32 s51, s39, s38
	s_ashr_i32 s14, s51, 31
	v_mul_f32_e32 v1, 0x4f7ffffe, v1
	v_cvt_u32_f32_e32 v1, v1
	s_lshr_b32 s14, s14, 26
	s_add_i32 s14, s51, s14
	s_ashr_i32 s52, s14, 6
	v_readfirstlane_b32 s26, v1
	s_mul_i32 s15, s15, s26
	s_mul_hi_u32 s15, s26, s15
	s_add_i32 s26, s26, s15
	s_mul_hi_u32 s15, s28, s26
	s_mul_i32 s26, s15, s3
	s_ashr_i32 s14, s18, 31
	s_sub_i32 s26, s28, s26
	s_xor_b32 s14, s33, s14
	s_add_i32 s27, s15, 1
	s_sub_i32 s28, s26, s3
	s_cmp_ge_u32 s26, s3
	s_cselect_b32 s15, s27, s15
	s_cselect_b32 s26, s28, s26
	s_add_i32 s27, s15, 1
	s_cmp_ge_u32 s26, s3
	s_cselect_b32 s3, s27, s15
	s_xor_b32 s3, s3, s14
	s_sub_i32 s3, s3, s14
	s_abs_i32 s26, s3
	v_cvt_f32_u32_e32 v1, s26
	s_load_dwordx2 s[14:15], s[0:1], 0x80
	s_xor_b32 s0, s46, s3
	s_sub_i32 s3, 0, s26
	v_rcp_iflag_f32_e32 v1, v1
	s_abs_i32 s1, s46
	s_ashr_i32 s0, s0, 31
	s_mov_b32 s47, s17
	v_mul_f32_e32 v1, 0x4f7ffffe, v1
	v_cvt_u32_f32_e32 v1, v1
	v_and_b32_e32 v61, 15, v0
	s_mul_hi_i32 s54, s46, s16
	s_mul_i32 s55, s46, s16
	v_readfirstlane_b32 s24, v1
	s_mul_i32 s3, s3, s24
	s_mul_hi_u32 s3, s24, s3
	s_add_i32 s24, s24, s3
	s_mul_hi_u32 s3, s1, s24
	s_mul_i32 s24, s3, s26
	s_sub_i32 s1, s1, s24
	s_add_i32 s24, s3, 1
	s_sub_i32 s25, s1, s26
	s_cmp_ge_u32 s1, s26
	s_cselect_b32 s3, s24, s3
	s_cselect_b32 s1, s25, s1
	s_add_i32 s24, s3, 1
	s_cmp_ge_u32 s1, s26
	s_cselect_b32 s1, s24, s3
	s_xor_b32 s1, s1, s0
	s_sub_i32 s56, s1, s0
	v_or_b32_e32 v1, v10, v58
	s_lshl_b32 s2, s2, 4
	v_or_b32_e32 v64, 64, v1
	s_cmp_lt_i32 s51, 64
	v_lshrrev_b32_e32 v63, 3, v59
	v_lshlrev_b32_e32 v62, 3, v0
	s_mul_i32 s48, s34, s21
	s_mul_hi_u32 s49, s34, s20
	s_mul_i32 s50, s35, s20
	s_mul_i32 s40, s34, s20
	v_mov_b32_e32 v8, v9
	v_mov_b32_e32 v7, v9
	;; [unrolled: 1-line block ×7, first 2 shown]
	s_cbranch_scc1 .LBB646_18
; %bb.1:
	s_ashr_i32 s58, s46, 31
	s_ashr_i32 s1, s38, 31
	s_add_u32 s0, s55, s38
	s_addc_u32 s1, s54, s1
	s_lshl_b64 s[0:1], s[0:1], 8
	v_and_b32_e32 v66, 56, v62
	s_add_u32 s24, s6, s0
	v_lshl_or_b32 v65, v53, 3, v63
	v_lshlrev_b32_e32 v3, 1, v66
	s_addc_u32 s0, s7, s1
	v_lshl_or_b32 v67, v65, 8, v3
	s_and_b32 s25, s0, 0xffff
	s_mov_b32 s27, 0x20000
	s_movk_i32 s26, 0x4000
	s_movk_i32 s0, 0x80
	v_or_b32_e32 v68, 0x2000, v67
	buffer_load_dwordx4 v[4:7], v67, s[24:27], 0 offen
	buffer_load_dwordx4 v[12:15], v67, s[24:27], s0 offen
	;; [unrolled: 1-line block ×4, first 2 shown]
	v_lshlrev_b32_e32 v2, 3, v65
	v_and_or_b32 v9, v0, 7, v2
	v_and_b32_e32 v2, 0x78, v2
	v_lshlrev_b32_e32 v9, 4, v9
	v_xor_b32_e32 v69, v9, v2
	v_mul_lo_u32 v8, v65, s19
	v_or_b32_e32 v70, 0x1000, v69
	v_xor_b32_e32 v2, 8, v69
	s_cmpk_eq_i32 s19, 0x80
	s_mov_b32 s57, s38
	v_xor_b32_e32 v9, 8, v70
	s_cselect_b64 s[0:1], -1, 0
	s_cmpk_lg_i32 s19, 0x80
	s_waitcnt vmcnt(3)
	ds_write_b64 v69, v[4:5] offset:16384
	ds_write_b64 v2, v[6:7] offset:16384
	s_waitcnt vmcnt(2)
	ds_write_b64 v69, v[12:13] offset:24576
	ds_write_b64 v2, v[14:15] offset:24576
	;; [unrolled: 3-line block ×4, first 2 shown]
	v_lshl_add_u32 v2, v8, 1, v66
	s_cbranch_scc0 .LBB646_3
; %bb.2:
	v_lshlrev_b32_e32 v6, 1, v2
	v_add_lshl_u32 v5, v2, s19, 1
	s_lshl_b32 s26, s19, 7
	v_lshl_or_b32 v4, v65, 9, v3
	s_cbranch_execz .LBB646_4
	s_branch .LBB646_5
.LBB646_3:
                                        ; implicit-def: $vgpr5
                                        ; implicit-def: $vgpr6
                                        ; implicit-def: $sgpr26
	v_lshl_or_b32 v4, v65, 9, v3
.LBB646_4:
	v_or_b32_e32 v5, 0x100, v4
	s_movk_i32 s26, 0x4000
	v_mov_b32_e32 v6, v4
.LBB646_5:
	s_mul_i32 s20, s38, s18
	s_ashr_i32 s59, s56, 31
	s_mul_hi_i32 s3, s38, s18
	s_add_u32 s20, s20, s56
	s_addc_u32 s21, s3, s59
	s_lshl_b64 s[20:21], s[20:21], 8
	s_add_u32 s24, s4, s20
	s_addc_u32 s3, s5, s21
	s_and_b32 s25, s3, 0xffff
	s_movk_i32 s60, 0x80
	buffer_load_dwordx4 v[12:15], v6, s[24:27], 0 offen
	s_nop 0
	buffer_load_dwordx4 v[6:9], v6, s[24:27], s60 offen
	s_nop 0
	buffer_load_dwordx4 v[16:19], v5, s[24:27], 0 offen
	buffer_load_dwordx4 v[20:23], v5, s[24:27], s60 offen
	v_and_b32_e32 v3, 6, v0
	v_lshlrev_b32_e32 v11, 2, v61
	v_lshlrev_b32_e32 v24, 3, v61
	v_xor_b32_e32 v26, v65, v3
	v_and_b32_e32 v5, 1, v0
	v_lshl_or_b32 v24, v1, 5, v24
	v_xor_b32_e32 v27, v1, v11
	v_lshlrev_b32_e32 v26, 2, v26
	s_mul_i32 s3, s46, s23
	s_mul_hi_u32 s21, s46, s22
	v_or_b32_e32 v71, 0x9000, v24
	v_or_b32_e32 v72, 0x9800, v24
	v_lshlrev_b32_e32 v24, 1, v27
	v_xor_b32_e32 v27, 0x440, v26
	v_cmp_eq_u32_e32 vcc, 0, v5
	s_add_i32 s25, s49, s48
	s_mul_i32 s24, s58, s22
	v_cndmask_b32_e32 v5, v27, v26, vcc
	s_add_i32 s3, s21, s3
	s_add_i32 s41, s25, s50
	s_mov_b32 s61, 0x1000504
	v_lshlrev_b32_e32 v25, 8, v61
	s_mov_b32 s26, 0x8000
	v_xor_b32_e32 v11, v64, v11
	v_lshl_or_b32 v3, v3, 10, v5
	s_add_i32 s21, s3, s24
	s_lshl_b64 s[24:25], s[40:41], 2
	s_mov_b32 s62, 0x3020706
	s_mul_i32 s20, s46, s22
	v_lshlrev_b32_e32 v11, 1, v11
	v_or3_b32 v73, v24, v25, s26
	v_xor_b32_e32 v5, 8, v3
	v_xor_b32_e32 v24, 24, v3
	v_xor_b32_e32 v26, 40, v3
	v_xor_b32_e32 v28, 56, v3
	s_add_u32 s3, s10, s24
	v_or3_b32 v74, v11, v25, s26
	v_xor_b32_e32 v11, 16, v3
	v_xor_b32_e32 v25, 32, v3
	;; [unrolled: 1-line block ×3, first 2 shown]
	v_add_u32_e32 v5, 0x80, v5
	v_add_u32_e32 v24, 0x80, v24
	;; [unrolled: 1-line block ×4, first 2 shown]
	s_addc_u32 s24, s11, s25
	s_lshl_b64 s[20:21], s[20:21], 2
	s_add_u32 s20, s3, s20
	s_movk_i32 s3, 0xf8
	s_addc_u32 s21, s24, s21
	s_lshl_b32 s30, s19, 7
	s_mov_b32 s63, 0
	v_add_u32_e32 v85, v58, v10
	s_waitcnt vmcnt(1)
	v_perm_b32 v29, v12, v16, s61
	s_waitcnt vmcnt(0)
	v_perm_b32 v30, v6, v20, s61
	v_perm_b32 v12, v12, v16, s62
	v_perm_b32 v6, v6, v20, s62
	v_perm_b32 v16, v13, v17, s61
	v_perm_b32 v20, v7, v21, s61
	v_perm_b32 v13, v13, v17, s62
	v_perm_b32 v7, v7, v21, s62
	v_perm_b32 v17, v14, v18, s61
	v_perm_b32 v21, v8, v22, s61
	v_perm_b32 v14, v14, v18, s62
	v_perm_b32 v8, v8, v22, s62
	v_perm_b32 v18, v15, v19, s61
	v_perm_b32 v22, v9, v23, s61
	v_perm_b32 v15, v15, v19, s62
	v_perm_b32 v9, v9, v23, s62
	ds_write2st64_b32 v3, v29, v30 offset1:32
	ds_write2st64_b32 v5, v12, v6 offset1:32
	ds_write2st64_b32 v11, v16, v20 offset0:1 offset1:33
	ds_write2st64_b32 v24, v13, v7 offset0:1 offset1:33
	;; [unrolled: 1-line block ×6, first 2 shown]
	v_or_b32_e32 v3, v58, v61
	v_lshlrev_b32_e32 v3, 3, v3
	v_lshrrev_b32_e32 v7, 5, v59
	v_and_or_b32 v7, v3, s3, v7
	v_lshlrev_b32_e32 v7, 4, v7
	v_lshlrev_b32_e32 v11, 11, v53
	v_and_b32_e32 v3, 0x78, v3
	v_or_b32_e32 v12, 32, v7
	v_and_b32_e32 v6, 0x1000, v11
	v_lshrrev_b32_e32 v9, 1, v59
	v_xor_b32_e32 v12, v12, v3
	v_and_b32_e32 v9, 8, v9
	v_or_b32_e32 v12, v12, v6
	v_xor_b32_e32 v8, v7, v3
	v_xor_b32_e32 v77, v12, v9
	v_or_b32_e32 v12, 64, v7
	v_or_b32_e32 v7, 0x60, v7
	;; [unrolled: 1-line block ×3, first 2 shown]
	v_xor_b32_e32 v12, v12, v3
	v_xor_b32_e32 v3, v7, v3
	;; [unrolled: 1-line block ×3, first 2 shown]
	v_and_b32_e32 v8, 0x78, v62
	v_or_b32_e32 v3, v3, v6
	v_lshl_or_b32 v8, v60, 7, v8
	v_xor_b32_e32 v79, v3, v9
	v_lshlrev_b32_e32 v13, 1, v2
	v_add_lshl_u32 v14, v2, s19, 1
	v_lshrrev_b32_e32 v2, 4, v0
	v_lshlrev_b32_e32 v3, 1, v61
	v_or_b32_e32 v76, 0x9000, v8
	v_or_b32_e32 v80, 0x9800, v8
	s_ashr_i32 s3, s2, 31
	v_or_b32_e32 v8, 1, v3
	v_xor_b32_e32 v3, v2, v3
	s_lshl_b64 s[24:25], s[2:3], 8
	v_xor_b32_e32 v8, v8, v2
	v_lshlrev_b32_e32 v3, 3, v3
	v_lshlrev_b32_e32 v2, 8, v2
	s_add_u32 s24, s42, s24
	v_or3_b32 v81, v3, v2, s26
	v_lshlrev_b32_e32 v3, 3, v8
	v_or_b32_e32 v12, v12, v6
	s_addc_u32 s25, s43, s25
	v_or3_b32 v82, v3, v2, s26
	v_mov_b32_e32 v3, 0
	v_lshrrev_b32_e32 v18, 1, v0
	v_xor_b32_e32 v78, v12, v9
	v_lshl_add_u64 v[8:9], s[24:25], 0, v[2:3]
	v_lshlrev_b32_e32 v2, 4, v61
	s_movk_i32 s3, 0xff
	v_lshlrev_b32_e32 v17, 3, v53
	v_and_b32_e32 v18, 24, v18
	v_lshl_add_u64 v[54:55], v[8:9], 0, v[2:3]
	v_and_b32_e32 v2, 7, v0
	v_and_b32_e32 v9, 8, v0
	v_cmp_lt_u32_e32 vcc, s3, v0
	v_xor_b32_e32 v19, v17, v18
	v_lshlrev_b32_e32 v12, 3, v2
	v_lshlrev_b32_e32 v16, 7, v2
	v_cndmask_b32_e64 v2, 0, 1, vcc
	v_or_b32_e32 v20, 0x440, v19
	v_cmp_eq_u32_e32 vcc, 0, v9
	v_or_b32_e32 v22, 64, v18
	v_xor_b32_e32 v22, v17, v22
	v_cndmask_b32_e32 v9, v20, v19, vcc
	v_or_b32_e32 v20, 32, v18
	v_or_b32_e32 v18, 0x60, v18
	v_xor_b32_e32 v20, v17, v20
	v_xor_b32_e32 v17, v17, v18
	v_or_b32_e32 v21, 0x440, v20
	v_xor_b32_e32 v23, 0x440, v22
	v_xor_b32_e32 v18, 0x440, v17
	v_cndmask_b32_e32 v20, v21, v20, vcc
	v_cndmask_b32_e32 v22, v23, v22, vcc
	;; [unrolled: 1-line block ×3, first 2 shown]
	v_lshrrev_b32_e32 v5, 2, v59
	v_or_b32_e32 v6, s2, v61
	v_or_b32_e32 v9, v9, v11
	;; [unrolled: 1-line block ×5, first 2 shown]
	v_and_b32_e32 v5, 12, v5
	v_ashrrev_i32_e32 v7, 31, v6
	v_lshlrev_b32_e32 v2, 13, v2
	v_xor_b32_e32 v9, v9, v12
	v_xor_b32_e32 v20, v20, v12
	;; [unrolled: 1-line block ×4, first 2 shown]
	v_lshl_add_u64 v[6:7], v[6:7], 1, s[8:9]
	v_or_b32_e32 v15, 0x100, v4
	v_or_b32_e32 v8, v5, v58
	v_add_u32_e32 v19, v2, v9
	v_add_u32_e32 v21, v2, v20
	;; [unrolled: 1-line block ×4, first 2 shown]
	v_or3_b32 v12, v58, v5, 64
	v_add_u32_e32 v5, 0x2000, v9
	v_add_u32_e32 v9, 0x2000, v20
	;; [unrolled: 1-line block ×4, first 2 shown]
	v_lshlrev_b32_e32 v2, 8, v1
	v_cndmask_b32_e64 v83, v13, v4, s[0:1]
	v_cndmask_b32_e64 v84, v14, v15, s[0:1]
	v_lshl_add_u64 v[56:57], v[6:7], 0, v[2:3]
	s_mov_b32 s3, 0x7060302
	s_movk_i32 s26, 0x4000
	v_lshlrev_b32_e32 v86, 2, v8
	v_add_u32_e32 v87, v19, v16
	v_add_u32_e32 v88, v21, v16
	;; [unrolled: 1-line block ×4, first 2 shown]
	v_lshlrev_b32_e32 v91, 2, v12
	v_add_u32_e32 v92, v5, v16
	v_add_u32_e32 v93, v9, v16
	;; [unrolled: 1-line block ×4, first 2 shown]
	v_mov_b32_e32 v2, v3
	v_mov_b32_e32 v4, v3
	;; [unrolled: 1-line block ×7, first 2 shown]
	s_waitcnt lgkmcnt(0)
	s_barrier
.LBB646_6:                              ; =>This Inner Loop Header: Depth=1
	s_add_i32 s41, s63, 1
	s_cmp_lt_i32 s41, s52
	s_mov_b64 s[28:29], 0
	s_cselect_b64 s[44:45], -1, 0
	s_cmp_ge_i32 s41, s52
	s_mov_b64 s[24:25], 0
	s_cbranch_scc1 .LBB646_8
; %bb.7:                                ;   in Loop: Header=BB646_6 Depth=1
	s_add_i32 s0, s57, 64
	s_ashr_i32 s1, s0, 31
	s_add_u32 s0, s55, s0
	s_addc_u32 s1, s54, s1
	s_lshl_b64 s[0:1], s[0:1], 8
	s_add_u32 s24, s6, s0
	s_addc_u32 s25, s7, s1
.LBB646_8:                              ;   in Loop: Header=BB646_6 Depth=1
	v_cndmask_b32_e64 v10, 0, 1, s[44:45]
	v_cmp_ne_u32_e64 s[0:1], 1, v10
	s_andn2_b64 vcc, exec, s[44:45]
	s_cbranch_vccnz .LBB646_10
; %bb.9:                                ;   in Loop: Header=BB646_6 Depth=1
	s_add_i32 s28, s57, 64
	s_mul_hi_i32 s29, s28, s18
	s_mul_i32 s28, s28, s18
	s_add_u32 s28, s28, s56
	s_addc_u32 s29, s29, s59
	s_lshl_b64 s[28:29], s[28:29], 8
	s_add_u32 s28, s4, s28
	s_addc_u32 s29, s5, s29
.LBB646_10:                             ;   in Loop: Header=BB646_6 Depth=1
	v_perm_b32 v11, v5, v4, s3
	v_perm_b32 v10, v3, v2, s3
	;; [unrolled: 1-line block ×4, first 2 shown]
	ds_write_b64 v71, v[10:11]
	ds_write_b64 v72, v[12:13]
	;; [unrolled: 1-line block ×4, first 2 shown]
	s_waitcnt lgkmcnt(0)
	s_barrier
	ds_read_b64 v[18:19], v75 offset:16384
	ds_read_b64 v[20:21], v77 offset:16384
	ds_read2st64_b64 v[10:13], v76 offset1:1
	s_waitcnt lgkmcnt(0)
	v_mfma_f32_16x16x16_bf16 a[0:3], v[18:19], v[10:11], 0
	ds_read2st64_b64 v[14:17], v76 offset0:2 offset1:3
	ds_read_b64 v[22:23], v78 offset:16384
	ds_read_b64 v[10:11], v79 offset:16384
	s_add_i32 s64, s57, 63
	v_mfma_f32_16x16x16_bf16 a[0:3], v[20:21], v[12:13], a[0:3]
	s_ashr_i32 s31, s64, 31
	s_mul_i32 s44, s64, s15
	s_mul_hi_u32 s45, s64, s14
	s_waitcnt lgkmcnt(1)
	v_mfma_f32_16x16x16_bf16 a[0:3], v[22:23], v[14:15], a[0:3]
	s_add_i32 s44, s45, s44
	s_mul_i32 s31, s31, s14
	s_add_i32 s45, s44, s31
	s_mul_i32 s44, s64, s14
	s_waitcnt lgkmcnt(0)
	v_mfma_f32_16x16x16_bf16 a[0:3], v[10:11], v[16:17], a[0:3]
	s_lshl_b64 s[44:45], s[44:45], 2
	s_add_u32 s44, s20, s44
	s_addc_u32 s45, s21, s45
	s_and_b64 vcc, exec, s[0:1]
	v_mov_b32_e32 v98, 0
	v_mov_b32_e32 v97, 0
	;; [unrolled: 1-line block ×19, first 2 shown]
	s_cbranch_vccnz .LBB646_12
; %bb.11:                               ;   in Loop: Header=BB646_6 Depth=1
	s_and_b32 s25, s25, 0xffff
	buffer_load_dwordx4 v[22:25], v67, s[24:27], 0 offen
	buffer_load_dwordx4 v[18:21], v67, s[24:27], s60 offen
	buffer_load_dwordx4 v[14:17], v68, s[24:27], 0 offen
	buffer_load_dwordx4 v[10:13], v68, s[24:27], s60 offen
	v_mov_b32_e32 v97, v69
	v_mov_b32_e32 v96, v70
.LBB646_12:                             ;   in Loop: Header=BB646_6 Depth=1
	v_add_u32_e32 v30, s57, v85
	v_ashrrev_i32_e32 v26, 31, v30
	v_mul_lo_u32 v28, v26, s14
	v_mul_lo_u32 v29, v30, s15
	v_mad_u64_u32 v[26:27], s[24:25], v30, s14, 0
	v_add3_u32 v27, v27, v29, v28
	v_lshl_add_u64 v[26:27], v[26:27], 2, s[20:21]
	global_load_dword v48, v[26:27], off
	v_add_u32_e32 v26, 1, v30
	v_ashrrev_i32_e32 v27, 31, v26
	v_mul_lo_u32 v28, v27, s14
	v_mul_lo_u32 v29, v26, s15
	v_mad_u64_u32 v[26:27], s[24:25], v26, s14, 0
	v_add3_u32 v27, v27, v29, v28
	v_add_u32_e32 v28, 2, v30
	v_ashrrev_i32_e32 v29, 31, v28
	v_mul_lo_u32 v31, v29, s14
	v_mul_lo_u32 v32, v28, s15
	v_mad_u64_u32 v[28:29], s[24:25], v28, s14, 0
	v_add_u32_e32 v30, 3, v30
	v_add3_u32 v29, v29, v32, v31
	v_ashrrev_i32_e32 v31, 31, v30
	v_mul_lo_u32 v34, v31, s14
	v_mul_lo_u32 v35, v30, s15
	v_mad_u64_u32 v[30:31], s[24:25], v30, s14, 0
	s_ashr_i32 s25, s57, 31
	s_add_u32 s24, s55, s57
	s_addc_u32 s25, s54, s25
	s_lshl_b64 s[24:25], s[24:25], 8
	v_lshl_add_u64 v[26:27], v[26:27], 2, s[20:21]
	v_lshl_add_u64 v[32:33], v[56:57], 0, s[24:25]
	v_add3_u32 v31, v31, v35, v34
	v_lshl_add_u64 v[28:29], v[28:29], 2, s[20:21]
	global_load_ushort v49, v[32:33], off
	global_load_ushort v50, v[32:33], off offset:256
	global_load_ushort v51, v[32:33], off offset:512
	global_load_ushort v52, v[32:33], off offset:768
	v_lshl_add_u64 v[30:31], v[30:31], 2, s[20:21]
	global_load_dword v100, v[26:27], off
	global_load_dword v101, v[28:29], off
	;; [unrolled: 1-line block ×3, first 2 shown]
	s_load_dword s24, s[44:45], 0x0
	ds_read2st64_b64 v[34:37], v80 offset1:1
	ds_read2st64_b64 v[38:41], v80 offset0:2 offset1:3
	ds_read_b64 v[32:33], v75 offset:24576
	ds_read_b64 v[42:43], v77 offset:24576
	;; [unrolled: 1-line block ×4, first 2 shown]
	s_waitcnt lgkmcnt(0)
	v_mfma_f32_16x16x16_bf16 a[0:3], v[32:33], v[34:35], a[0:3]
	v_mov_b32_e32 v99, 0
	v_mov_b32_e32 v26, 0
	v_mov_b32_e32 v27, 0
	v_mfma_f32_16x16x16_bf16 a[0:3], v[42:43], v[36:37], a[0:3]
	v_mov_b32_e32 v28, 0
	v_mov_b32_e32 v29, 0
	v_mov_b32_e32 v30, 0
	;; [unrolled: 4-line block ×4, first 2 shown]
	v_mov_b32_e32 v37, 0
	v_mov_b32_e32 v38, 0
	;; [unrolled: 1-line block ×3, first 2 shown]
	s_and_b64 vcc, exec, s[0:1]
	v_accvgpr_read_b32 v43, a1
	v_accvgpr_read_b32 v41, a3
	;; [unrolled: 1-line block ×4, first 2 shown]
	s_waitcnt vmcnt(7)
	v_sub_f32_e32 v48, s24, v48
	v_exp_f32_e32 v48, v48
	s_waitcnt vmcnt(6)
	v_lshlrev_b32_e32 v44, 16, v49
	s_waitcnt vmcnt(5)
	v_lshlrev_b32_e32 v45, 16, v50
	;; [unrolled: 2-line block ×3, first 2 shown]
	s_waitcnt vmcnt(2)
	v_sub_f32_e32 v49, s24, v100
	s_waitcnt vmcnt(1)
	v_sub_f32_e32 v50, s24, v101
	;; [unrolled: 2-line block ×3, first 2 shown]
	v_exp_f32_e32 v49, v49
	v_exp_f32_e32 v50, v50
	v_exp_f32_e32 v51, v51
	v_lshlrev_b32_e32 v47, 16, v52
	v_pk_add_f32 v[42:43], v[44:45], v[42:43] neg_lo:[0,1] neg_hi:[0,1]
	v_pk_add_f32 v[40:41], v[46:47], v[40:41] neg_lo:[0,1] neg_hi:[0,1]
	v_pk_mul_f32 v[42:43], v[48:49], v[42:43]
	v_pk_mul_f32 v[40:41], v[50:51], v[40:41]
	s_nop 0
	v_perm_b32 v41, v41, v40, s3
	v_perm_b32 v40, v43, v42, s3
	ds_write_b64 v72, v[40:41]
	v_mov_b32_e32 v40, 0
	v_mov_b32_e32 v41, 0
	s_cbranch_vccnz .LBB646_14
; %bb.13:                               ;   in Loop: Header=BB646_6 Depth=1
	s_and_b32 s29, s29, 0xffff
	s_mov_b32 s31, s27
	buffer_load_dwordx4 v[38:41], v83, s[28:31], 0 offen
	buffer_load_dwordx4 v[30:33], v83, s[28:31], s60 offen
	;; [unrolled: 1-line block ×4, first 2 shown]
	v_mov_b32_e32 v98, v66
	v_mov_b32_e32 v99, v65
.LBB646_14:                             ;   in Loop: Header=BB646_6 Depth=1
	s_waitcnt lgkmcnt(0)
	s_barrier
	ds_read_b64 v[42:43], v87
	ds_read_b64 v[48:49], v88
	ds_read2st64_b64 v[44:47], v80 offset1:1
	ds_read2st64_b64 v[100:103], v80 offset0:2 offset1:3
	ds_read_b64 v[50:51], v89
	ds_read_b64 v[108:109], v90
	s_add_i32 s25, s53, s63
	s_mul_hi_i32 s29, s25, s47
	s_mul_i32 s25, s25, s47
	s_waitcnt lgkmcnt(3)
	v_mfma_f32_16x16x16_bf16 a[0:3], v[42:43], v[44:45], 0
	ds_read_b64 v[42:43], v92
	s_add_u32 s28, s25, s46
	s_addc_u32 s29, s29, s58
	v_mfma_f32_16x16x16_bf16 a[0:3], v[48:49], v[46:47], a[0:3]
	ds_read_b64 v[48:49], v93
	s_lshl_b64 s[28:29], s[28:29], 15
	s_mul_i32 s31, s64, s47
	s_mul_hi_i32 s25, s64, s47
	s_add_u32 s44, s31, s46
	s_addc_u32 s45, s25, s58
	s_lshl_b64 s[44:45], s[44:45], 9
	s_add_u32 s44, s36, s44
	s_waitcnt lgkmcnt(1)
	v_mfma_f32_16x16x16_bf16 a[4:7], v[42:43], v[44:45], 0
	s_addc_u32 s45, s37, s45
	s_and_b64 vcc, exec, s[0:1]
	v_mfma_f32_16x16x16_bf16 a[0:3], v[50:51], v[100:101], a[0:3]
	ds_read_b64 v[50:51], v94
	ds_read_b64 v[110:111], v95
	global_load_dwordx4 v[42:45], v91, s[44:45]
	s_waitcnt lgkmcnt(2)
	v_mfma_f32_16x16x16_bf16 a[4:7], v[48:49], v[46:47], a[4:7]
	global_load_dwordx4 v[46:49], v86, s[44:45]
	ds_read_b64 v[104:105], v81
	ds_read_b64 v[106:107], v82
	s_waitcnt lgkmcnt(3)
	v_mfma_f32_16x16x16_bf16 a[8:11], v[50:51], v[100:101], a[4:7]
	v_lshl_add_u64 v[50:51], v[54:55], 0, s[28:29]
	s_waitcnt lgkmcnt(0)
	global_store_dwordx4 v[50:51], v[104:107], off
	v_mfma_f32_16x16x16_bf16 a[4:7], v[108:109], v[102:103], a[0:3]
	s_waitcnt vmcnt(2)
	v_mov_b32_e32 v52, v45
	v_mfma_f32_16x16x16_bf16 a[0:3], v[110:111], v[102:103], a[8:11]
	v_mov_b32_e32 v51, v44
	v_mov_b32_e32 v50, v43
	s_cbranch_vccnz .LBB646_16
; %bb.15:                               ;   in Loop: Header=BB646_6 Depth=1
	v_lshrrev_b32_e32 v43, 3, v98
	v_and_b32_e32 v43, 6, v43
	v_xor_b32_e32 v44, v43, v99
	v_lshlrev_b32_e32 v44, 2, v44
	v_and_b32_e32 v45, 8, v98
	v_xor_b32_e32 v98, 0x440, v44
	v_cmp_eq_u32_e32 vcc, 0, v45
	v_perm_b32 v45, v30, v26, s61
	s_nop 0
	v_cndmask_b32_e32 v44, v98, v44, vcc
	v_lshl_or_b32 v43, v43, 10, v44
	v_perm_b32 v44, v38, v34, s61
	s_barrier
	ds_write2st64_b32 v43, v44, v45 offset1:32
	v_xor_b32_e32 v44, 8, v43
	v_perm_b32 v34, v38, v34, s62
	v_perm_b32 v26, v30, v26, s62
	v_add_u32_e32 v30, 0x80, v44
	ds_write2st64_b32 v30, v34, v26 offset1:32
	v_xor_b32_e32 v26, 16, v43
	v_perm_b32 v30, v39, v35, s61
	v_perm_b32 v34, v31, v27, s61
	ds_write2st64_b32 v26, v30, v34 offset0:1 offset1:33
	v_xor_b32_e32 v26, 24, v43
	v_perm_b32 v30, v39, v35, s62
	v_perm_b32 v27, v31, v27, s62
	v_add_u32_e32 v26, 0x80, v26
	ds_write2st64_b32 v26, v30, v27 offset0:1 offset1:33
	v_xor_b32_e32 v26, 32, v43
	v_perm_b32 v27, v40, v36, s61
	v_perm_b32 v30, v32, v28, s61
	ds_write2st64_b32 v26, v27, v30 offset0:2 offset1:34
	v_xor_b32_e32 v26, 40, v43
	v_perm_b32 v27, v40, v36, s62
	v_perm_b32 v28, v32, v28, s62
	v_add_u32_e32 v26, 0x80, v26
	ds_write2st64_b32 v26, v27, v28 offset0:2 offset1:34
	;; [unrolled: 9-line block ×3, first 2 shown]
	ds_write_b64 v97, v[22:23] offset:16384
	v_xor_b32_e32 v22, 8, v97
	ds_write_b64 v22, v[24:25] offset:16384
	ds_write_b64 v97, v[18:19] offset:24576
	;; [unrolled: 1-line block ×4, first 2 shown]
	v_xor_b32_e32 v14, 8, v96
	ds_write_b64 v14, v[16:17] offset:16384
	ds_write_b64 v96, v[10:11] offset:24576
	;; [unrolled: 1-line block ×3, first 2 shown]
.LBB646_16:                             ;   in Loop: Header=BB646_6 Depth=1
	v_exp_f32_e32 v18, s24
	s_waitcnt vmcnt(1)
	v_exp_f32_e32 v20, v46
	v_exp_f32_e32 v21, v47
	;; [unrolled: 1-line block ×4, first 2 shown]
	v_accvgpr_read_b32 v13, a7
	v_accvgpr_read_b32 v11, a5
	;; [unrolled: 1-line block ×3, first 2 shown]
	v_pk_mul_f32 v[20:21], v[18:19], v[20:21] op_sel_hi:[0,1]
	v_pk_fma_f32 v[2:3], v[2:3], v[20:21], v[10:11]
	v_exp_f32_e32 v20, v42
	v_exp_f32_e32 v21, v50
	v_pk_mul_f32 v[10:11], v[18:19], v[22:23] op_sel_hi:[0,1]
	v_exp_f32_e32 v22, v51
	v_exp_f32_e32 v23, v52
	v_accvgpr_read_b32 v12, a6
	v_accvgpr_read_b32 v17, a3
	;; [unrolled: 1-line block ×4, first 2 shown]
	v_pk_fma_f32 v[4:5], v[4:5], v[10:11], v[12:13]
	v_pk_mul_f32 v[10:11], v[18:19], v[20:21] op_sel_hi:[0,1]
	v_accvgpr_read_b32 v16, a2
	v_pk_fma_f32 v[6:7], v[6:7], v[10:11], v[14:15]
	v_pk_mul_f32 v[10:11], v[18:19], v[22:23] op_sel_hi:[0,1]
	s_add_i32 s57, s57, 64
	s_cmp_eq_u32 s52, s41
	v_pk_fma_f32 v[8:9], v[8:9], v[10:11], v[16:17]
	s_cbranch_scc1 .LBB646_18
; %bb.17:                               ;   in Loop: Header=BB646_6 Depth=1
	s_mov_b32 s63, s41
	s_branch .LBB646_6
.LBB646_18:
	s_lshl_b32 s3, s52, 6
	s_sub_i32 s51, s51, s3
	s_cmp_gt_i32 s51, 0
	v_or_b32_e32 v34, s2, v61
	s_cbranch_scc1 .LBB646_20
; %bb.19:
	s_ashr_i32 s21, s46, 31
	v_or_b32_e32 v10, s2, v61
	s_cbranch_execz .LBB646_21
	s_branch .LBB646_77
.LBB646_20:
                                        ; implicit-def: $vgpr10
                                        ; implicit-def: $sgpr20_sgpr21
.LBB646_21:
	s_add_i32 s20, s3, s38
	s_ashr_i32 s3, s20, 31
	s_cmpk_lg_i32 s19, 0x80
	s_cselect_b64 s[30:31], -1, 0
	s_and_b64 vcc, exec, s[30:31]
	s_cbranch_vccz .LBB646_23
; %bb.22:
	s_mul_hi_i32 s0, s20, s18
	s_mul_i32 s1, s20, s18
	s_ashr_i32 s18, s56, 31
	s_add_u32 s44, s1, s56
	s_addc_u32 s45, s0, s18
	s_cbranch_execz .LBB646_24
	s_branch .LBB646_25
.LBB646_23:
                                        ; implicit-def: $sgpr44_sgpr45
.LBB646_24:
	s_mul_i32 s1, s56, s16
	s_mul_hi_i32 s0, s56, s16
	s_add_u32 s44, s1, s20
	s_addc_u32 s45, s0, s3
.LBB646_25:
	s_add_i32 s16, s52, s53
	s_ashr_i32 s21, s46, 31
	s_add_u32 s0, s55, s20
	s_addc_u32 s1, s54, s3
	s_mov_b32 s3, 0x7060302
	v_lshlrev_b32_e32 v14, 3, v61
	s_lshl_b64 s[28:29], s[0:1], 8
	v_perm_b32 v11, v5, v4, s3
	v_perm_b32 v10, v3, v2, s3
	;; [unrolled: 1-line block ×4, first 2 shown]
	v_lshlrev_b32_e32 v44, 2, v61
	v_lshl_or_b32 v14, v1, 5, v14
	s_add_u32 s0, s6, s28
	ds_write2st64_b64 v14, v[10:11], v[12:13] offset0:72 offset1:76
	v_xor_b32_e32 v14, v1, v44
	v_lshlrev_b32_e32 v15, 8, v61
	s_addc_u32 s1, s7, s29
	v_lshl_or_b32 v14, v14, 1, v15
	s_mul_hi_i32 s3, s16, s17
	s_mul_i32 s16, s16, s17
	ds_write_b64 v14, v[10:11] offset:32768
	v_xor_b32_e32 v10, v64, v44
	s_add_u32 s6, s16, s46
	v_lshl_or_b32 v10, v10, 1, v15
	s_addc_u32 s7, s3, s21
	v_lshlrev_b32_e32 v11, 1, v61
	ds_write_b64 v10, v[12:13] offset:32768
	v_lshrrev_b32_e32 v10, 4, v0
	s_ashr_i32 s3, s2, 31
	s_lshl_b64 s[6:7], s[6:7], 15
	v_or_b32_e32 v12, 1, v11
	s_add_u32 s6, s42, s6
	v_xor_b32_e32 v11, v10, v11
	v_xor_b32_e32 v12, v12, v10
	v_lshlrev_b32_e32 v14, 8, v10
	s_addc_u32 s7, s43, s7
	s_lshl_b64 s[2:3], s[2:3], 8
	v_lshl_or_b32 v10, v11, 3, v14
	v_lshl_or_b32 v12, v12, 3, v14
	s_waitcnt lgkmcnt(0)
	s_barrier
	s_add_u32 s2, s6, s2
	ds_read_b64 v[10:11], v10 offset:32768
	ds_read_b64 v[12:13], v12 offset:32768
	s_addc_u32 s3, s7, s3
	v_mov_b32_e32 v15, 0
	s_cmp_lg_u32 s51, 64
	v_lshl_add_u64 v[16:17], s[2:3], 0, v[14:15]
	v_lshlrev_b32_e32 v14, 4, v61
	s_cselect_b64 s[6:7], -1, 0
	v_lshl_or_b32 v35, v53, 3, v63
	s_mov_b32 s24, 0
	v_lshl_add_u64 v[14:15], v[16:17], 0, v[14:15]
	v_or_b32_e32 v27, 32, v35
	v_and_b32_e32 v26, 56, v62
	s_and_b64 vcc, exec, s[6:7]
	s_waitcnt lgkmcnt(0)
	global_store_dwordx4 v[14:15], v[10:13], off
	s_cbranch_vccz .LBB646_31
; %bb.26:
	s_mov_b32 s25, s24
	s_mov_b32 s26, s24
	;; [unrolled: 1-line block ×3, first 2 shown]
	v_mov_b64_e32 v[14:15], s[24:25]
	v_mov_b64_e32 v[16:17], s[26:27]
	;; [unrolled: 1-line block ×3, first 2 shown]
	v_cmp_gt_i32_e32 vcc, s51, v35
	v_mov_b64_e32 v[12:13], v[16:17]
	s_and_saveexec_b64 s[2:3], vcc
	s_cbranch_execz .LBB646_28
; %bb.27:
	v_lshlrev_b32_e32 v10, 8, v35
	v_mov_b32_e32 v11, 0
	v_lshl_add_u64 v[12:13], s[0:1], 0, v[10:11]
	v_lshlrev_b32_e32 v10, 1, v26
	v_lshl_add_u64 v[18:19], v[12:13], 0, v[10:11]
	global_load_dwordx4 v[14:17], v[18:19], off
	global_load_dwordx4 v[10:13], v[18:19], off offset:128
.LBB646_28:
	s_or_b64 exec, exec, s[2:3]
	s_mov_b32 s25, s24
	s_mov_b32 s26, s24
	;; [unrolled: 1-line block ×3, first 2 shown]
	v_mov_b64_e32 v[22:23], s[24:25]
	v_mov_b64_e32 v[24:25], s[26:27]
	;; [unrolled: 1-line block ×3, first 2 shown]
	v_cmp_gt_i32_e32 vcc, s51, v27
	v_lshlrev_b32_e32 v28, 7, v27
	v_mov_b64_e32 v[20:21], v[24:25]
	s_and_saveexec_b64 s[2:3], vcc
	s_cbranch_execz .LBB646_30
; %bb.29:
	v_lshlrev_b32_e32 v18, 1, v28
	v_mov_b32_e32 v19, 0
	v_lshl_add_u64 v[20:21], s[0:1], 0, v[18:19]
	v_lshlrev_b32_e32 v18, 1, v26
	v_lshl_add_u64 v[30:31], v[20:21], 0, v[18:19]
	global_load_dwordx4 v[22:25], v[30:31], off
	global_load_dwordx4 v[18:21], v[30:31], off offset:128
.LBB646_30:
	s_or_b64 exec, exec, s[2:3]
	v_lshrrev_b32_e32 v29, 3, v26
	v_lshlrev_b32_e32 v30, 3, v35
	v_or_b32_e32 v29, v30, v29
	v_lshlrev_b32_e32 v29, 4, v29
	v_and_b32_e32 v30, 0x78, v30
	v_xor_b32_e32 v29, v29, v30
	s_branch .LBB646_33
.LBB646_31:
                                        ; implicit-def: $vgpr29
                                        ; implicit-def: $vgpr28
                                        ; implicit-def: $vgpr14_vgpr15_vgpr16_vgpr17
                                        ; implicit-def: $vgpr10_vgpr11_vgpr12_vgpr13
                                        ; implicit-def: $vgpr22_vgpr23_vgpr24_vgpr25
                                        ; implicit-def: $vgpr18_vgpr19_vgpr20_vgpr21
	s_cbranch_execz .LBB646_33
; %bb.32:
	s_waitcnt vmcnt(0)
	v_lshlrev_b32_e32 v10, 1, v26
	v_lshl_or_b32 v28, v35, 8, v10
	s_and_b32 s1, s1, 0xffff
	s_mov_b32 s3, 0x20000
	s_movk_i32 s2, 0x4000
	v_lshl_or_b32 v29, v27, 8, v10
	s_movk_i32 s16, 0x80
	buffer_load_dwordx4 v[14:17], v28, s[0:3], 0 offen
	buffer_load_dwordx4 v[10:13], v28, s[0:3], s16 offen
	;; [unrolled: 1-line block ×4, first 2 shown]
	v_lshrrev_b32_e32 v28, 3, v26
	v_lshlrev_b32_e32 v29, 3, v35
	v_or_b32_e32 v28, v29, v28
	v_lshlrev_b32_e32 v28, 4, v28
	v_and_b32_e32 v29, 0x78, v29
	v_xor_b32_e32 v29, v28, v29
	v_lshlrev_b32_e32 v28, 7, v27
.LBB646_33:
	s_lshl_b64 s[0:1], s[44:45], 8
	s_add_u32 s4, s4, s0
	s_movk_i32 s0, 0x1000
	v_and_or_b32 v27, v28, s0, v29
	s_waitcnt vmcnt(1)
	ds_write_b64 v29, v[14:15] offset:16384
	v_xor_b32_e32 v14, 8, v29
	s_addc_u32 s5, s5, s1
	ds_write_b64 v14, v[16:17] offset:16384
	s_waitcnt vmcnt(0)
	ds_write_b64 v29, v[10:11] offset:24576
	ds_write_b64 v14, v[12:13] offset:24576
	;; [unrolled: 1-line block ×3, first 2 shown]
	v_xor_b32_e32 v10, 8, v27
	s_add_i32 s18, s39, -1
	ds_write_b64 v10, v[24:25] offset:16384
	ds_write_b64 v27, v[18:19] offset:24576
	;; [unrolled: 1-line block ×3, first 2 shown]
	s_mul_i32 s3, s18, s15
	s_mul_hi_u32 s16, s18, s14
	v_or_b32_e32 v10, v58, v61
	s_add_i32 s3, s16, s3
	v_lshlrev_b32_e32 v10, 3, v10
	v_lshrrev_b32_e32 v12, 5, v59
	s_movk_i32 s16, 0xf8
	v_and_or_b32 v12, v10, s16, v12
	v_lshlrev_b32_e32 v45, 11, v53
	v_lshlrev_b32_e32 v20, 4, v12
	v_and_b32_e32 v21, 0x78, v10
	v_and_b32_e32 v22, 0x1000, v45
	v_lshlrev_b32_e32 v11, 2, v0
	v_xor_b32_e32 v10, v20, v21
	v_lshrrev_b32_e32 v12, 1, v59
	v_and_b32_e32 v11, 60, v11
	v_or_b32_e32 v10, v10, v22
	v_and_b32_e32 v23, 8, v12
	v_xor_b32_e32 v36, v10, v23
	v_lshl_or_b32 v10, v60, 6, v11
	v_lshlrev_b32_e32 v46, 1, v10
	v_or_b32_e32 v10, 32, v20
	v_xor_b32_e32 v10, v10, v21
	s_waitcnt lgkmcnt(0)
	s_barrier
	ds_read_b64 v[18:19], v36 offset:16384
	v_or_b32_e32 v10, v10, v22
	v_xor_b32_e32 v37, v10, v23
	v_or_b32_e32 v10, 64, v20
	v_xor_b32_e32 v10, v10, v21
	v_or_b32_e32 v10, v10, v22
	v_or_b32_e32 v20, 0x60, v20
	v_xor_b32_e32 v38, v10, v23
	ds_read2st64_b64 v[10:13], v46 offset0:72 offset1:73
	ds_read2st64_b64 v[14:17], v46 offset0:74 offset1:75
	v_xor_b32_e32 v24, v20, v21
	ds_read_b64 v[20:21], v37 offset:16384
	s_waitcnt lgkmcnt(2)
	v_mfma_f32_16x16x16_bf16 a[0:3], v[18:19], v[10:11], 0
	s_add_i32 s0, s49, s48
	s_add_i32 s41, s0, s50
	s_mul_i32 s0, s46, s23
	s_mul_hi_u32 s1, s46, s22
	s_ashr_i32 s2, s18, 31
	s_add_i32 s0, s1, s0
	s_mul_i32 s1, s21, s22
	s_mul_i32 s2, s2, s14
	v_or_b32_e32 v22, v24, v22
	s_add_i32 s1, s0, s1
	s_mul_i32 s0, s46, s22
	s_add_i32 s3, s3, s2
	s_lshl_b64 s[22:23], s[40:41], 2
	v_xor_b32_e32 v47, v22, v23
	ds_read_b64 v[22:23], v38 offset:16384
	ds_read_b64 v[24:25], v47 offset:16384
	s_waitcnt lgkmcnt(2)
	v_mfma_f32_16x16x16_bf16 a[0:3], v[20:21], v[12:13], a[0:3]
	s_add_u32 s10, s10, s22
	s_addc_u32 s11, s11, s23
	s_lshl_b64 s[0:1], s[0:1], 2
	s_mul_i32 s2, s18, s14
	s_add_u32 s10, s10, s0
	s_addc_u32 s11, s11, s1
	s_lshl_b64 s[0:1], s[2:3], 2
	s_waitcnt lgkmcnt(1)
	v_mfma_f32_16x16x16_bf16 a[0:3], v[22:23], v[14:15], a[0:3]
	s_add_u32 s0, s10, s0
	s_addc_u32 s1, s11, s1
	s_load_dword s16, s[0:1], 0x0
	s_waitcnt lgkmcnt(0)
	v_mfma_f32_16x16x16_bf16 a[0:3], v[24:25], v[16:17], a[0:3]
	s_and_b64 vcc, exec, s[30:31]
	s_cbranch_vccz .LBB646_44
; %bb.34:
	v_lshlrev_b32_e32 v27, 1, v35
	s_and_b64 vcc, exec, s[6:7]
	s_cbranch_vccz .LBB646_45
; %bb.35:
	v_cmp_gt_i32_e32 vcc, s51, v27
	v_mov_b32_e32 v14, 0
	v_mov_b32_e32 v10, 0
	;; [unrolled: 1-line block ×5, first 2 shown]
	s_and_saveexec_b64 s[0:1], vcc
	s_cbranch_execz .LBB646_37
; %bb.36:
	v_mad_i64_i32 v[10:11], s[2:3], s19, v27, 0
	v_lshl_add_u64 v[10:11], v[10:11], 1, s[4:5]
	v_lshlrev_b32_e32 v12, 1, v26
	v_mov_b32_e32 v13, 0
	v_lshl_add_u64 v[10:11], v[10:11], 0, v[12:13]
	global_load_dwordx4 v[10:13], v[10:11], off
.LBB646_37:
	s_or_b64 exec, exec, s[0:1]
	v_or_b32_e32 v28, 1, v27
	v_cmp_gt_i32_e64 s[0:1], s51, v28
	v_mov_b32_e32 v15, 0
	v_mov_b32_e32 v16, 0
	;; [unrolled: 1-line block ×3, first 2 shown]
	s_and_saveexec_b64 s[2:3], s[0:1]
	s_cbranch_execz .LBB646_39
; %bb.38:
	v_mad_i64_i32 v[14:15], s[22:23], s19, v28, 0
	v_lshl_add_u64 v[14:15], v[14:15], 1, s[4:5]
	v_lshlrev_b32_e32 v16, 1, v26
	v_mov_b32_e32 v17, 0
	v_lshl_add_u64 v[14:15], v[14:15], 0, v[16:17]
	global_load_dwordx4 v[14:17], v[14:15], off
.LBB646_39:
	s_or_b64 exec, exec, s[2:3]
	v_mov_b32_e32 v25, 0
	v_mov_b32_e32 v18, 0
	;; [unrolled: 1-line block ×5, first 2 shown]
	s_and_saveexec_b64 s[2:3], vcc
	s_cbranch_execz .LBB646_41
; %bb.40:
	v_mad_i64_i32 v[18:19], s[22:23], s19, v27, 0
	v_lshl_add_u64 v[18:19], v[18:19], 1, s[4:5]
	v_lshlrev_b32_e32 v20, 1, v26
	v_mov_b32_e32 v21, 0
	v_lshl_add_u64 v[18:19], v[18:19], 0, v[20:21]
	global_load_dwordx4 v[18:21], v[18:19], off offset:128
.LBB646_41:
	s_or_b64 exec, exec, s[2:3]
	v_mov_b32_e32 v24, 0
	v_mov_b32_e32 v23, 0
	;; [unrolled: 1-line block ×3, first 2 shown]
	s_and_saveexec_b64 s[2:3], s[0:1]
	s_cbranch_execz .LBB646_43
; %bb.42:
	v_mad_i64_i32 v[22:23], s[0:1], s19, v28, 0
	v_lshl_add_u64 v[22:23], v[22:23], 1, s[4:5]
	v_lshlrev_b32_e32 v24, 1, v26
	v_mov_b32_e32 v25, 0
	v_lshl_add_u64 v[22:23], v[22:23], 0, v[24:25]
	global_load_dwordx4 v[22:25], v[22:23], off offset:128
.LBB646_43:
	s_or_b64 exec, exec, s[2:3]
	s_branch .LBB646_47
.LBB646_44:
                                        ; implicit-def: $vgpr13
                                        ; implicit-def: $vgpr17
                                        ; implicit-def: $vgpr21
                                        ; implicit-def: $vgpr25
	v_lshrrev_b32_e32 v27, 2, v59
	s_branch .LBB646_48
.LBB646_45:
                                        ; implicit-def: $vgpr13
                                        ; implicit-def: $vgpr17
                                        ; implicit-def: $vgpr21
                                        ; implicit-def: $vgpr25
	s_cbranch_execz .LBB646_47
; %bb.46:
	s_waitcnt vmcnt(0)
	v_mad_u64_u32 v[10:11], s[0:1], v27, s19, v[26:27]
	v_lshlrev_b32_e32 v27, 1, v10
	s_lshl_b32 s2, s19, 7
	s_and_b32 s1, s5, 0xffff
	s_mov_b32 s3, 0x20000
	s_mov_b32 s0, s4
	v_add_lshl_u32 v28, v10, s19, 1
	s_movk_i32 s19, 0x80
	buffer_load_dwordx4 v[10:13], v27, s[0:3], 0 offen
	buffer_load_dwordx4 v[18:21], v27, s[0:3], s19 offen
	;; [unrolled: 1-line block ×4, first 2 shown]
.LBB646_47:
	v_lshrrev_b32_e32 v27, 2, v59
	s_cbranch_execnz .LBB646_60
.LBB646_48:
	s_and_b64 vcc, exec, s[6:7]
	s_cbranch_vccz .LBB646_58
; %bb.49:
	s_waitcnt vmcnt(0)
	v_lshlrev_b32_e32 v15, 1, v35
	v_cmp_gt_i32_e32 vcc, s51, v15
	v_mov_b32_e32 v14, 0
	v_lshlrev_b32_e32 v22, 9, v35
	v_mov_b32_e32 v10, 0
	v_mov_b32_e32 v11, 0
	;; [unrolled: 1-line block ×4, first 2 shown]
	s_and_saveexec_b64 s[0:1], vcc
	s_cbranch_execz .LBB646_51
; %bb.50:
	v_mov_b32_e32 v23, 0
	v_lshl_add_u64 v[10:11], s[4:5], 0, v[22:23]
	v_lshlrev_b32_e32 v12, 1, v26
	v_mov_b32_e32 v13, v23
	v_lshl_add_u64 v[10:11], v[10:11], 0, v[12:13]
	global_load_dwordx4 v[10:13], v[10:11], off
.LBB646_51:
	s_or_b64 exec, exec, s[0:1]
	v_or_b32_e32 v15, 1, v15
	v_cmp_gt_i32_e64 s[0:1], s51, v15
	v_lshlrev_b32_e32 v28, 8, v15
	v_mov_b32_e32 v15, 0
	v_mov_b32_e32 v16, 0
	;; [unrolled: 1-line block ×3, first 2 shown]
	s_and_saveexec_b64 s[2:3], s[0:1]
	s_cbranch_execz .LBB646_53
; %bb.52:
	v_mov_b32_e32 v29, 0
	v_lshl_add_u64 v[14:15], s[4:5], 0, v[28:29]
	v_lshlrev_b32_e32 v16, 1, v26
	v_mov_b32_e32 v17, v29
	v_lshl_add_u64 v[14:15], v[14:15], 0, v[16:17]
	global_load_dwordx4 v[14:17], v[14:15], off
.LBB646_53:
	s_or_b64 exec, exec, s[2:3]
	v_mov_b32_e32 v25, 0
	v_mov_b32_e32 v18, 0
	;; [unrolled: 1-line block ×5, first 2 shown]
	s_and_saveexec_b64 s[2:3], vcc
	s_cbranch_execz .LBB646_55
; %bb.54:
	v_mov_b32_e32 v23, 0
	v_lshl_add_u64 v[18:19], s[4:5], 0, v[22:23]
	v_lshlrev_b32_e32 v22, 1, v26
	v_lshl_add_u64 v[18:19], v[18:19], 0, v[22:23]
	global_load_dwordx4 v[18:21], v[18:19], off offset:128
.LBB646_55:
	s_or_b64 exec, exec, s[2:3]
	v_mov_b32_e32 v24, 0
	v_mov_b32_e32 v23, 0
	;; [unrolled: 1-line block ×3, first 2 shown]
	s_and_saveexec_b64 s[2:3], s[0:1]
	s_cbranch_execz .LBB646_57
; %bb.56:
	v_mov_b32_e32 v29, 0
	v_lshl_add_u64 v[22:23], s[4:5], 0, v[28:29]
	v_lshlrev_b32_e32 v28, 1, v26
	v_lshl_add_u64 v[22:23], v[22:23], 0, v[28:29]
	global_load_dwordx4 v[22:25], v[22:23], off offset:128
.LBB646_57:
	s_or_b64 exec, exec, s[2:3]
	s_branch .LBB646_60
.LBB646_58:
                                        ; implicit-def: $vgpr13
                                        ; implicit-def: $vgpr17
                                        ; implicit-def: $vgpr21
                                        ; implicit-def: $vgpr25
	s_cbranch_execz .LBB646_60
; %bb.59:
	s_waitcnt vmcnt(0)
	v_lshlrev_b32_e32 v10, 1, v26
	v_lshl_or_b32 v26, v35, 9, v10
	s_and_b32 s5, s5, 0xffff
	s_mov_b32 s7, 0x20000
	s_movk_i32 s6, 0x4000
	s_movk_i32 s0, 0x80
	buffer_load_dwordx4 v[10:13], v26, s[4:7], 0 offen
	buffer_load_dwordx4 v[14:17], v26, s[4:7], 0 offen offset:256
	buffer_load_dwordx4 v[18:21], v26, s[4:7], s0 offen
	buffer_load_dwordx4 v[22:25], v26, s[4:7], s0 offen offset:256
.LBB646_60:
	v_and_b32_e32 v48, 12, v27
	ds_read2st64_b64 v[30:33], v46 offset0:76 offset1:77
	ds_read2st64_b64 v[26:29], v46 offset0:78 offset1:79
	ds_read_b64 v[40:41], v36 offset:24576
	ds_read_b64 v[42:43], v37 offset:24576
	;; [unrolled: 1-line block ×4, first 2 shown]
	v_and_b32_e32 v47, 6, v0
	v_xor_b32_e32 v35, v35, v47
	v_lshlrev_b32_e32 v35, 2, v35
	v_and_b32_e32 v49, 1, v0
	v_xor_b32_e32 v50, 0x440, v35
	v_cmp_eq_u32_e32 vcc, 0, v49
	s_mov_b32 s0, 0x1000504
	s_waitcnt vmcnt(0)
	v_perm_b32 v49, v18, v22, s0
	v_cndmask_b32_e32 v35, v50, v35, vcc
	v_lshl_or_b32 v35, v47, 10, v35
	v_perm_b32 v47, v10, v14, s0
	ds_write2st64_b32 v35, v47, v49 offset1:32
	v_xor_b32_e32 v47, 8, v35
	s_mov_b32 s1, 0x3020706
	v_perm_b32 v10, v10, v14, s1
	v_perm_b32 v14, v18, v22, s1
	v_add_u32_e32 v18, 0x80, v47
	ds_write2st64_b32 v18, v10, v14 offset1:32
	v_xor_b32_e32 v10, 16, v35
	v_perm_b32 v14, v11, v15, s0
	v_perm_b32 v18, v19, v23, s0
	ds_write2st64_b32 v10, v14, v18 offset0:1 offset1:33
	v_xor_b32_e32 v10, 24, v35
	v_perm_b32 v11, v11, v15, s1
	v_perm_b32 v14, v19, v23, s1
	v_add_u32_e32 v10, 0x80, v10
	ds_write2st64_b32 v10, v11, v14 offset0:1 offset1:33
	v_xor_b32_e32 v10, 32, v35
	v_perm_b32 v11, v12, v16, s0
	v_perm_b32 v14, v20, v24, s0
	ds_write2st64_b32 v10, v11, v14 offset0:2 offset1:34
	v_xor_b32_e32 v10, 40, v35
	v_perm_b32 v11, v12, v16, s1
	v_perm_b32 v12, v20, v24, s1
	v_add_u32_e32 v10, 0x80, v10
	ds_write2st64_b32 v10, v11, v12 offset0:2 offset1:34
	v_xor_b32_e32 v10, 48, v35
	v_perm_b32 v11, v13, v17, s0
	v_perm_b32 v12, v21, v25, s0
	ds_write2st64_b32 v10, v11, v12 offset0:3 offset1:35
	v_xor_b32_e32 v10, 56, v35
	v_or_b32_e32 v16, v48, v58
	v_perm_b32 v11, v13, v17, s1
	v_perm_b32 v12, v21, v25, s1
	v_add_u32_e32 v10, 0x80, v10
	v_cmp_gt_i32_e32 vcc, s51, v16
	v_mov_b32_e32 v17, 0
	v_mov_b32_e32 v22, 0
	ds_write2st64_b32 v10, v11, v12 offset0:3 offset1:35
	s_and_saveexec_b64 s[0:1], vcc
	s_cbranch_execz .LBB646_62
; %bb.61:
	v_add_u32_e32 v10, s20, v16
	v_ashrrev_i32_e32 v11, 31, v10
	v_mul_lo_u32 v12, v11, s14
	v_mul_lo_u32 v13, v10, s15
	v_mad_u64_u32 v[10:11], s[2:3], v10, s14, 0
	v_add3_u32 v11, v11, v13, v12
	v_lshl_add_u64 v[10:11], v[10:11], 2, s[10:11]
	global_load_dword v10, v[10:11], off
	s_waitcnt vmcnt(0)
	v_sub_f32_e32 v10, s16, v10
	v_exp_f32_e32 v22, v10
.LBB646_62:
	s_or_b64 exec, exec, s[0:1]
	v_or_b32_e32 v19, 1, v16
	v_cmp_gt_i32_e64 s[0:1], s51, v19
	s_and_saveexec_b64 s[2:3], s[0:1]
	s_cbranch_execz .LBB646_64
; %bb.63:
	v_add_u32_e32 v10, s20, v19
	v_ashrrev_i32_e32 v11, 31, v10
	v_mul_lo_u32 v12, v11, s14
	v_mul_lo_u32 v13, v10, s15
	v_mad_u64_u32 v[10:11], s[4:5], v10, s14, 0
	v_add3_u32 v11, v11, v13, v12
	v_lshl_add_u64 v[10:11], v[10:11], 2, s[10:11]
	global_load_dword v10, v[10:11], off
	s_waitcnt vmcnt(0)
	v_sub_f32_e32 v10, s16, v10
	v_exp_f32_e32 v17, v10
.LBB646_64:
	s_or_b64 exec, exec, s[2:3]
	v_or_b32_e32 v20, 2, v16
	v_cmp_gt_i32_e64 s[2:3], s51, v20
	v_mov_b32_e32 v18, 0
	v_mov_b32_e32 v23, 0
	s_and_saveexec_b64 s[4:5], s[2:3]
	s_cbranch_execz .LBB646_66
; %bb.65:
	v_add_u32_e32 v10, s20, v20
	v_ashrrev_i32_e32 v11, 31, v10
	v_mul_lo_u32 v12, v11, s14
	v_mul_lo_u32 v13, v10, s15
	v_mad_u64_u32 v[10:11], s[6:7], v10, s14, 0
	v_add3_u32 v11, v11, v13, v12
	v_lshl_add_u64 v[10:11], v[10:11], 2, s[10:11]
	global_load_dword v10, v[10:11], off
	s_waitcnt vmcnt(0)
	v_sub_f32_e32 v10, s16, v10
	v_exp_f32_e32 v23, v10
.LBB646_66:
	s_or_b64 exec, exec, s[4:5]
	v_or_b32_e32 v21, 3, v16
	v_cmp_gt_i32_e64 s[4:5], s51, v21
	s_and_saveexec_b64 s[6:7], s[4:5]
	s_cbranch_execz .LBB646_68
; %bb.67:
	v_add_u32_e32 v10, s20, v21
	v_ashrrev_i32_e32 v11, 31, v10
	v_mul_lo_u32 v12, v11, s14
	v_mul_lo_u32 v13, v10, s15
	v_mad_u64_u32 v[10:11], s[14:15], v10, s14, 0
	v_add3_u32 v11, v11, v13, v12
	v_lshl_add_u64 v[10:11], v[10:11], 2, s[10:11]
	global_load_dword v10, v[10:11], off
	s_waitcnt vmcnt(0)
	v_sub_f32_e32 v10, s16, v10
	v_exp_f32_e32 v18, v10
.LBB646_68:
	s_or_b64 exec, exec, s[6:7]
	s_waitcnt lgkmcnt(11)
	v_mfma_f32_16x16x16_bf16 a[0:3], v[40:41], v[30:31], a[0:3]
	s_add_u32 s6, s8, s28
	v_ashrrev_i32_e32 v35, 31, v34
	s_addc_u32 s7, s9, s29
	s_waitcnt lgkmcnt(10)
	v_mfma_f32_16x16x16_bf16 a[0:3], v[42:43], v[32:33], a[0:3]
	v_mov_b32_e32 v24, 0
	v_lshl_add_u64 v[14:15], v[34:35], 1, s[6:7]
	v_mov_b32_e32 v25, 0
	s_waitcnt lgkmcnt(9)
	v_mfma_f32_16x16x16_bf16 a[0:3], v[38:39], v[26:27], a[0:3]
	s_waitcnt lgkmcnt(8)
	v_mfma_f32_16x16x16_bf16 a[0:3], v[36:37], v[28:29], a[0:3]
	s_nop 6
	v_accvgpr_read_b32 v13, a3
	v_accvgpr_read_b32 v12, a2
	;; [unrolled: 1-line block ×4, first 2 shown]
	s_and_saveexec_b64 s[6:7], vcc
	s_cbranch_execz .LBB646_70
; %bb.69:
	v_lshlrev_b32_e32 v26, 8, v16
	v_mov_b32_e32 v27, 0
	v_lshl_add_u64 v[26:27], v[14:15], 0, v[26:27]
	global_load_ushort v25, v[26:27], off
	s_waitcnt vmcnt(0)
	v_lshlrev_b32_e32 v25, 16, v25
	v_sub_f32_e32 v10, v25, v10
	v_mul_f32_e32 v10, v22, v10
	v_lshrrev_b32_e32 v25, 16, v10
.LBB646_70:
	s_or_b64 exec, exec, s[6:7]
	s_and_saveexec_b64 s[6:7], s[0:1]
	s_cbranch_execz .LBB646_72
; %bb.71:
	v_lshlrev_b32_e32 v26, 8, v19
	v_mov_b32_e32 v27, 0
	v_lshl_add_u64 v[26:27], v[14:15], 0, v[26:27]
	global_load_ushort v10, v[26:27], off
	s_waitcnt vmcnt(0)
	v_lshlrev_b32_e32 v10, 16, v10
	v_sub_f32_e32 v10, v10, v11
	v_mul_f32_e32 v10, v17, v10
	v_lshrrev_b32_e32 v24, 16, v10
.LBB646_72:
	s_or_b64 exec, exec, s[6:7]
	v_mov_b32_e32 v11, 0
	v_mov_b32_e32 v17, 0
	s_and_saveexec_b64 s[0:1], s[2:3]
	s_cbranch_execz .LBB646_74
; %bb.73:
	v_lshlrev_b32_e32 v26, 8, v20
	v_mov_b32_e32 v27, 0
	v_lshl_add_u64 v[26:27], v[14:15], 0, v[26:27]
	global_load_ushort v10, v[26:27], off
	s_waitcnt vmcnt(0)
	v_lshlrev_b32_e32 v10, 16, v10
	v_sub_f32_e32 v10, v10, v12
	v_mul_f32_e32 v10, v23, v10
	v_lshrrev_b32_e32 v17, 16, v10
.LBB646_74:
	s_or_b64 exec, exec, s[0:1]
	v_or_b32_e32 v10, 0x9800, v46
	s_and_saveexec_b64 s[0:1], s[4:5]
	s_cbranch_execz .LBB646_76
; %bb.75:
	v_lshlrev_b32_e32 v20, 8, v21
	v_mov_b32_e32 v21, 0
	v_lshl_add_u64 v[14:15], v[14:15], 0, v[20:21]
	global_load_ushort v11, v[14:15], off
	s_waitcnt vmcnt(0)
	v_lshlrev_b32_e32 v11, 16, v11
	v_sub_f32_e32 v11, v11, v13
	v_mul_f32_e32 v11, v18, v11
	v_lshrrev_b32_e32 v11, 16, v11
.LBB646_76:
	s_or_b64 exec, exec, s[0:1]
	s_mov_b32 s0, 0x5040100
	v_perm_b32 v13, v11, v17, s0
	v_lshlrev_b32_e32 v11, 1, v44
	v_perm_b32 v12, v24, v25, s0
	v_lshl_or_b32 v11, v16, 5, v11
	s_movk_i32 s2, 0xff
	ds_write_b64 v11, v[12:13] offset:38912
	v_and_b32_e32 v11, 7, v0
	v_cmp_lt_u32_e32 vcc, s2, v0
	v_and_b32_e32 v12, 8, v0
	v_lshlrev_b32_e32 v17, 3, v11
	v_lshlrev_b32_e32 v30, 7, v11
	v_cndmask_b32_e64 v11, 0, 1, vcc
	v_lshrrev_b32_e32 v0, 1, v0
	v_lshlrev_b32_e32 v24, 13, v11
	v_lshlrev_b32_e32 v11, 3, v53
	v_and_b32_e32 v0, 24, v0
	v_xor_b32_e32 v13, v11, v0
	v_or_b32_e32 v14, 0x440, v13
	v_cmp_eq_u32_e32 vcc, 0, v12
	s_waitcnt lgkmcnt(0)
	s_barrier
	v_cndmask_b32_e32 v12, v14, v13, vcc
	v_or_b32_e32 v12, v12, v45
	v_xor_b32_e32 v31, v12, v17
	v_or_b32_e32 v12, 32, v0
	v_xor_b32_e32 v12, v11, v12
	v_or_b32_e32 v13, 0x440, v12
	v_cndmask_b32_e32 v12, v13, v12, vcc
	v_or_b32_e32 v12, v12, v45
	v_xor_b32_e32 v32, v12, v17
	v_or_b32_e32 v12, 64, v0
	v_xor_b32_e32 v12, v11, v12
	v_xor_b32_e32 v13, 0x440, v12
	v_cndmask_b32_e32 v12, v13, v12, vcc
	v_add3_u32 v22, v24, v31, v30
	v_or_b32_e32 v12, v12, v45
	v_or_b32_e32 v0, 0x60, v0
	v_xor_b32_e32 v33, v12, v17
	ds_read2st64_b64 v[12:15], v10 offset1:1
	ds_read2st64_b64 v[18:21], v10 offset0:2 offset1:3
	v_xor_b32_e32 v0, v11, v0
	ds_read_b64 v[10:11], v22
	v_add3_u32 v23, v24, v32, v30
	v_xor_b32_e32 v22, 0x440, v0
	v_cndmask_b32_e32 v0, v22, v0, vcc
	ds_read_b64 v[22:23], v23
	s_mul_i32 s0, s18, s17
	s_mul_hi_i32 s1, s18, s17
	s_add_u32 s0, s0, s46
	s_waitcnt lgkmcnt(1)
	v_mfma_f32_16x16x16_bf16 a[0:3], v[10:11], v[12:13], 0
	s_addc_u32 s1, s1, s21
	s_lshl_b64 s[0:1], s[0:1], 9
	v_or_b32_e32 v0, v0, v45
	s_add_u32 s0, s36, s0
	v_add3_u32 v25, v24, v33, v30
	v_xor_b32_e32 v0, v0, v17
	s_addc_u32 s1, s37, s1
	v_lshlrev_b32_e32 v10, 2, v16
	v_add3_u32 v17, v24, v0, v30
	ds_read_b64 v[26:27], v25
	ds_read_b64 v[28:29], v17
	s_waitcnt lgkmcnt(2)
	v_mfma_f32_16x16x16_bf16 a[0:3], v[22:23], v[14:15], a[0:3]
	global_load_dwordx4 v[22:25], v10, s[0:1]
	v_add_u32_e32 v10, v31, v30
	ds_read_b64 v[10:11], v10 offset:8192
	v_lshlrev_b32_e32 v16, 6, v53
	v_lshlrev_b32_e32 v17, 2, v48
	s_movk_i32 s2, 0x100
	s_waitcnt lgkmcnt(2)
	v_mfma_f32_16x16x16_bf16 a[0:3], v[26:27], v[18:19], a[0:3]
	v_or3_b32 v35, v16, v17, s2
	v_add_u32_e32 v16, v32, v30
	v_add_u32_e32 v26, v33, v30
	;; [unrolled: 1-line block ×3, first 2 shown]
	ds_read_b64 v[16:17], v16 offset:8192
	ds_read_b64 v[26:27], v26 offset:8192
	;; [unrolled: 1-line block ×3, first 2 shown]
	s_waitcnt lgkmcnt(3)
	v_mfma_f32_16x16x16_bf16 a[4:7], v[10:11], v[12:13], 0
	global_load_dwordx4 v[10:13], v35, s[0:1]
	v_exp_f32_e32 v0, s16
	s_waitcnt vmcnt(1)
	v_exp_f32_e32 v22, v22
	v_mfma_f32_16x16x16_bf16 a[0:3], v[28:29], v[20:21], a[0:3]
	v_exp_f32_e32 v23, v23
	v_exp_f32_e32 v24, v24
	;; [unrolled: 1-line block ×3, first 2 shown]
	v_pk_mul_f32 v[22:23], v[0:1], v[22:23] op_sel_hi:[0,1]
	v_pk_mul_f32 v[24:25], v[0:1], v[24:25] op_sel_hi:[0,1]
	s_nop 1
	v_accvgpr_read_b32 v33, a1
	v_accvgpr_read_b32 v29, a3
	;; [unrolled: 1-line block ×4, first 2 shown]
	s_waitcnt lgkmcnt(2)
	v_mfma_f32_16x16x16_bf16 a[0:3], v[16:17], v[14:15], a[4:7]
	s_waitcnt vmcnt(0)
	v_mov_b32_e32 v14, v13
	v_mov_b32_e32 v13, v12
	;; [unrolled: 1-line block ×3, first 2 shown]
	s_waitcnt lgkmcnt(1)
	v_mfma_f32_16x16x16_bf16 a[0:3], v[26:27], v[18:19], a[0:3]
	v_exp_f32_e32 v10, v10
	v_exp_f32_e32 v11, v12
	;; [unrolled: 1-line block ×3, first 2 shown]
	s_waitcnt lgkmcnt(0)
	v_mfma_f32_16x16x16_bf16 a[0:3], v[30:31], v[20:21], a[0:3]
	v_exp_f32_e32 v13, v14
	v_pk_mul_f32 v[10:11], v[0:1], v[10:11] op_sel_hi:[0,1]
	v_pk_fma_f32 v[2:3], v[2:3], v[22:23], v[32:33]
	v_pk_fma_f32 v[4:5], v[4:5], v[24:25], v[28:29]
	s_nop 2
	v_accvgpr_read_b32 v17, a1
	v_accvgpr_read_b32 v16, a0
	;; [unrolled: 1-line block ×4, first 2 shown]
	v_pk_fma_f32 v[6:7], v[6:7], v[10:11], v[16:17]
	v_pk_mul_f32 v[10:11], v[0:1], v[12:13] op_sel_hi:[0,1]
	v_pk_fma_f32 v[8:9], v[8:9], v[10:11], v[14:15]
	v_mov_b32_e32 v10, v34
.LBB646_77:
	s_mul_i32 s0, s47, s35
	s_mul_hi_u32 s1, s47, s34
	s_add_i32 s0, s1, s0
	s_mul_i32 s1, s33, s34
	s_add_i32 s1, s0, s1
	s_mul_i32 s0, s47, s34
	s_add_u32 s0, s0, s46
	s_addc_u32 s1, s1, s21
	s_lshl_b64 s[0:1], s[0:1], 16
	s_add_u32 s0, s12, s0
	v_lshlrev_b32_e32 v10, 7, v10
	s_addc_u32 s1, s13, s1
	v_ashrrev_i32_e32 v11, 31, v10
	v_lshl_add_u64 v[10:11], v[10:11], 2, s[0:1]
	v_lshlrev_b32_e32 v0, 2, v1
	v_mov_b32_e32 v1, 0
	v_lshl_add_u64 v[0:1], v[10:11], 0, v[0:1]
	global_store_dwordx4 v[0:1], v[2:5], off
	global_store_dwordx4 v[0:1], v[6:9], off offset:256
	s_endpgm
	.section	.rodata,"a",@progbits
	.p2align	6, 0x0
	.amdhsa_kernel _ZN12_GLOBAL__N_139chunk_gated_delta_rule_fwd_h_hip_kernelILi16ELb0ELb1ELb0ELb1ELb1ELb1ELb1ELb0EEEvPK12hip_bfloat16S3_S3_PKfS5_PKvPS1_S8_PvPKiSB_iiiiilll
		.amdhsa_group_segment_fixed_size 40960
		.amdhsa_private_segment_fixed_size 0
		.amdhsa_kernarg_size 136
		.amdhsa_user_sgpr_count 2
		.amdhsa_user_sgpr_dispatch_ptr 0
		.amdhsa_user_sgpr_queue_ptr 0
		.amdhsa_user_sgpr_kernarg_segment_ptr 1
		.amdhsa_user_sgpr_dispatch_id 0
		.amdhsa_user_sgpr_kernarg_preload_length 0
		.amdhsa_user_sgpr_kernarg_preload_offset 0
		.amdhsa_user_sgpr_private_segment_size 0
		.amdhsa_uses_dynamic_stack 0
		.amdhsa_enable_private_segment 0
		.amdhsa_system_sgpr_workgroup_id_x 1
		.amdhsa_system_sgpr_workgroup_id_y 1
		.amdhsa_system_sgpr_workgroup_id_z 0
		.amdhsa_system_sgpr_workgroup_info 0
		.amdhsa_system_vgpr_workitem_id 0
		.amdhsa_next_free_vgpr 124
		.amdhsa_next_free_sgpr 65
		.amdhsa_accum_offset 112
		.amdhsa_reserve_vcc 1
		.amdhsa_float_round_mode_32 0
		.amdhsa_float_round_mode_16_64 0
		.amdhsa_float_denorm_mode_32 3
		.amdhsa_float_denorm_mode_16_64 3
		.amdhsa_dx10_clamp 1
		.amdhsa_ieee_mode 1
		.amdhsa_fp16_overflow 0
		.amdhsa_tg_split 0
		.amdhsa_exception_fp_ieee_invalid_op 0
		.amdhsa_exception_fp_denorm_src 0
		.amdhsa_exception_fp_ieee_div_zero 0
		.amdhsa_exception_fp_ieee_overflow 0
		.amdhsa_exception_fp_ieee_underflow 0
		.amdhsa_exception_fp_ieee_inexact 0
		.amdhsa_exception_int_div_zero 0
	.end_amdhsa_kernel
	.section	.text._ZN12_GLOBAL__N_139chunk_gated_delta_rule_fwd_h_hip_kernelILi16ELb0ELb1ELb0ELb1ELb1ELb1ELb1ELb0EEEvPK12hip_bfloat16S3_S3_PKfS5_PKvPS1_S8_PvPKiSB_iiiiilll,"axG",@progbits,_ZN12_GLOBAL__N_139chunk_gated_delta_rule_fwd_h_hip_kernelILi16ELb0ELb1ELb0ELb1ELb1ELb1ELb1ELb0EEEvPK12hip_bfloat16S3_S3_PKfS5_PKvPS1_S8_PvPKiSB_iiiiilll,comdat
.Lfunc_end646:
	.size	_ZN12_GLOBAL__N_139chunk_gated_delta_rule_fwd_h_hip_kernelILi16ELb0ELb1ELb0ELb1ELb1ELb1ELb1ELb0EEEvPK12hip_bfloat16S3_S3_PKfS5_PKvPS1_S8_PvPKiSB_iiiiilll, .Lfunc_end646-_ZN12_GLOBAL__N_139chunk_gated_delta_rule_fwd_h_hip_kernelILi16ELb0ELb1ELb0ELb1ELb1ELb1ELb1ELb0EEEvPK12hip_bfloat16S3_S3_PKfS5_PKvPS1_S8_PvPKiSB_iiiiilll
                                        ; -- End function
	.section	.AMDGPU.csdata,"",@progbits
; Kernel info:
; codeLenInByte = 7944
; NumSgprs: 71
; NumVgprs: 112
; NumAgprs: 12
; TotalNumVgprs: 124
; ScratchSize: 0
; MemoryBound: 0
; FloatMode: 240
; IeeeMode: 1
; LDSByteSize: 40960 bytes/workgroup (compile time only)
; SGPRBlocks: 8
; VGPRBlocks: 15
; NumSGPRsForWavesPerEU: 71
; NumVGPRsForWavesPerEU: 124
; AccumOffset: 112
; Occupancy: 1
; WaveLimiterHint : 1
; COMPUTE_PGM_RSRC2:SCRATCH_EN: 0
; COMPUTE_PGM_RSRC2:USER_SGPR: 2
; COMPUTE_PGM_RSRC2:TRAP_HANDLER: 0
; COMPUTE_PGM_RSRC2:TGID_X_EN: 1
; COMPUTE_PGM_RSRC2:TGID_Y_EN: 1
; COMPUTE_PGM_RSRC2:TGID_Z_EN: 0
; COMPUTE_PGM_RSRC2:TIDIG_COMP_CNT: 0
; COMPUTE_PGM_RSRC3_GFX90A:ACCUM_OFFSET: 27
; COMPUTE_PGM_RSRC3_GFX90A:TG_SPLIT: 0
	.section	.text._ZN12_GLOBAL__N_139chunk_gated_delta_rule_fwd_h_hip_kernelILi16ELb0ELb0ELb1ELb1ELb1ELb1ELb1ELb0EEEvPK12hip_bfloat16S3_S3_PKfS5_PKvPS1_S8_PvPKiSB_iiiiilll,"axG",@progbits,_ZN12_GLOBAL__N_139chunk_gated_delta_rule_fwd_h_hip_kernelILi16ELb0ELb0ELb1ELb1ELb1ELb1ELb1ELb0EEEvPK12hip_bfloat16S3_S3_PKfS5_PKvPS1_S8_PvPKiSB_iiiiilll,comdat
	.globl	_ZN12_GLOBAL__N_139chunk_gated_delta_rule_fwd_h_hip_kernelILi16ELb0ELb0ELb1ELb1ELb1ELb1ELb1ELb0EEEvPK12hip_bfloat16S3_S3_PKfS5_PKvPS1_S8_PvPKiSB_iiiiilll ; -- Begin function _ZN12_GLOBAL__N_139chunk_gated_delta_rule_fwd_h_hip_kernelILi16ELb0ELb0ELb1ELb1ELb1ELb1ELb1ELb0EEEvPK12hip_bfloat16S3_S3_PKfS5_PKvPS1_S8_PvPKiSB_iiiiilll
	.p2align	8
	.type	_ZN12_GLOBAL__N_139chunk_gated_delta_rule_fwd_h_hip_kernelILi16ELb0ELb0ELb1ELb1ELb1ELb1ELb1ELb0EEEvPK12hip_bfloat16S3_S3_PKfS5_PKvPS1_S8_PvPKiSB_iiiiilll,@function
_ZN12_GLOBAL__N_139chunk_gated_delta_rule_fwd_h_hip_kernelILi16ELb0ELb0ELb1ELb1ELb1ELb1ELb1ELb0EEEvPK12hip_bfloat16S3_S3_PKfS5_PKvPS1_S8_PvPKiSB_iiiiilll: ; @_ZN12_GLOBAL__N_139chunk_gated_delta_rule_fwd_h_hip_kernelILi16ELb0ELb0ELb1ELb1ELb1ELb1ELb1ELb0EEEvPK12hip_bfloat16S3_S3_PKfS5_PKvPS1_S8_PvPKiSB_iiiiilll
; %bb.0:
	s_load_dwordx4 s[16:19], s[0:1], 0x5c
	s_load_dwordx4 s[20:23], s[0:1], 0x70
	s_abs_i32 s25, s3
	s_ashr_i32 s24, s3, 31
	s_load_dwordx4 s[12:15], s[0:1], 0x30
	s_load_dwordx4 s[28:31], s[0:1], 0x48
	s_waitcnt lgkmcnt(0)
	s_abs_i32 s34, s17
	v_cvt_f32_u32_e32 v1, s34
	s_sub_i32 s26, 0, s34
	s_ashr_i32 s35, s17, 31
	s_xor_b32 s24, s24, s35
	v_rcp_iflag_f32_e32 v1, v1
	s_load_dwordx8 s[4:11], s[0:1], 0x0
	v_lshrrev_b32_e32 v61, 6, v0
	v_bfe_u32 v62, v0, 4, 2
	v_mul_f32_e32 v1, 0x4f7ffffe, v1
	v_cvt_u32_f32_e32 v1, v1
	v_lshlrev_b32_e32 v45, 4, v61
	v_lshlrev_b32_e32 v2, 2, v62
	v_and_b32_e32 v60, 63, v0
	v_readfirstlane_b32 s27, v1
	s_mul_i32 s26, s26, s27
	s_mul_hi_u32 s26, s27, s26
	s_add_i32 s27, s27, s26
	s_mul_hi_u32 s26, s25, s27
	s_mul_i32 s27, s26, s34
	s_sub_i32 s25, s25, s27
	s_add_i32 s33, s26, 1
	s_sub_i32 s27, s25, s34
	s_cmp_ge_u32 s25, s34
	s_cselect_b32 s26, s33, s26
	s_cselect_b32 s25, s27, s25
	s_add_i32 s27, s26, 1
	s_cmp_ge_u32 s25, s34
	s_cselect_b32 s25, s27, s26
	s_xor_b32 s25, s25, s24
	s_sub_i32 s24, s25, s24
	s_mul_i32 s25, s24, s17
	s_sub_i32 s33, s3, s25
	s_ashr_i32 s25, s24, 31
	s_lshl_b64 s[26:27], s[24:25], 2
	s_add_u32 s28, s28, s26
	s_addc_u32 s29, s29, s27
	s_add_u32 s26, s30, s26
	s_addc_u32 s27, s31, s27
	s_abs_i32 s3, s18
	v_cvt_f32_u32_e32 v1, s3
	s_load_dwordx2 s[38:39], s[28:29], 0x0
	s_sub_i32 s29, 0, s3
	s_load_dword s48, s[26:27], 0x0
	v_rcp_iflag_f32_e32 v1, v1
	v_or_b32_e32 v66, v2, v45
	s_waitcnt lgkmcnt(0)
	s_sub_i32 s49, s39, s38
	s_ashr_i32 s28, s49, 31
	v_mul_f32_e32 v1, 0x4f7ffffe, v1
	v_cvt_u32_f32_e32 v1, v1
	s_lshr_b32 s28, s28, 26
	s_add_i32 s28, s49, s28
	s_ashr_i32 s47, s28, 6
	v_readfirstlane_b32 s30, v1
	s_mul_i32 s29, s29, s30
	s_mul_hi_u32 s29, s30, s29
	s_add_i32 s30, s30, s29
	s_mul_hi_u32 s29, s34, s30
	s_mul_i32 s30, s29, s3
	s_ashr_i32 s28, s18, 31
	s_sub_i32 s30, s34, s30
	s_xor_b32 s28, s35, s28
	s_add_i32 s31, s29, 1
	s_sub_i32 s34, s30, s3
	s_cmp_ge_u32 s30, s3
	s_cselect_b32 s29, s31, s29
	s_cselect_b32 s30, s34, s30
	s_add_i32 s31, s29, 1
	s_cmp_ge_u32 s30, s3
	s_cselect_b32 s3, s31, s29
	s_xor_b32 s3, s3, s28
	s_sub_i32 s3, s3, s28
	s_abs_i32 s28, s3
	v_cvt_f32_u32_e32 v1, s28
	s_sub_i32 s27, 0, s28
	s_abs_i32 s26, s33
	s_xor_b32 s3, s33, s3
	v_rcp_iflag_f32_e32 v1, v1
	s_ashr_i32 s3, s3, 31
	s_load_dwordx2 s[34:35], s[0:1], 0x80
	v_mov_b32_e32 v49, 0
	v_mul_f32_e32 v1, 0x4f7ffffe, v1
	v_cvt_u32_f32_e32 v1, v1
	v_or_b32_e32 v65, 64, v66
	s_mul_hi_i32 s50, s33, s16
	s_mul_i32 s51, s33, s16
	v_readfirstlane_b32 s29, v1
	s_mul_i32 s27, s27, s29
	s_mul_hi_u32 s27, s29, s27
	s_add_i32 s29, s29, s27
	s_mul_hi_u32 s27, s26, s29
	s_mul_i32 s29, s27, s28
	s_sub_i32 s26, s26, s29
	s_add_i32 s29, s27, 1
	s_sub_i32 s30, s26, s28
	s_cmp_ge_u32 s26, s28
	s_cselect_b32 s27, s29, s27
	s_cselect_b32 s26, s30, s26
	s_add_i32 s29, s27, 1
	s_cmp_ge_u32 s26, s28
	s_cselect_b32 s26, s29, s27
	s_xor_b32 s26, s26, s3
	s_sub_i32 s53, s26, s3
	s_lshl_b32 s36, s2, 4
	v_and_b32_e32 v1, 15, v0
	s_cmp_lt_i32 s49, 64
	v_lshrrev_b32_e32 v64, 3, v60
	v_lshlrev_b32_e32 v63, 3, v0
	s_mul_i32 s44, s24, s21
	s_mul_hi_u32 s45, s24, s20
	s_mul_i32 s46, s25, s20
	s_mul_i32 s20, s24, s20
	v_mov_b32_e32 v48, v49
	v_mov_b32_e32 v51, v49
	;; [unrolled: 1-line block ×7, first 2 shown]
	s_cbranch_scc1 .LBB647_18
; %bb.1:
	s_ashr_i32 s55, s33, 31
	s_ashr_i32 s3, s38, 31
	s_add_u32 s2, s51, s38
	s_addc_u32 s3, s50, s3
	s_lshl_b64 s[2:3], s[2:3], 8
	v_and_b32_e32 v68, 56, v63
	s_add_u32 s24, s6, s2
	v_lshl_or_b32 v67, v61, 3, v64
	v_lshlrev_b32_e32 v3, 1, v68
	s_addc_u32 s2, s7, s3
	v_lshl_or_b32 v69, v67, 8, v3
	s_and_b32 s25, s2, 0xffff
	s_mov_b32 s27, 0x20000
	s_movk_i32 s26, 0x4000
	s_movk_i32 s2, 0x80
	v_or_b32_e32 v70, 0x2000, v69
	buffer_load_dwordx4 v[4:7], v69, s[24:27], 0 offen
	buffer_load_dwordx4 v[8:11], v69, s[24:27], s2 offen
	;; [unrolled: 1-line block ×4, first 2 shown]
	v_lshlrev_b32_e32 v20, 3, v67
	v_and_or_b32 v22, v0, 7, v20
	v_and_b32_e32 v20, 0x78, v20
	v_lshlrev_b32_e32 v22, 4, v22
	v_xor_b32_e32 v71, v22, v20
	v_mul_lo_u32 v21, v67, s19
	v_or_b32_e32 v72, 0x1000, v71
	s_cmpk_eq_i32 s19, 0x80
	s_mov_b32 s52, s17
	s_mov_b32 s54, s38
	v_xor_b32_e32 v20, 8, v71
	v_xor_b32_e32 v22, 8, v72
	s_cselect_b64 s[2:3], -1, 0
	s_cmpk_lg_i32 s19, 0x80
	s_waitcnt vmcnt(3)
	ds_write_b64 v71, v[4:5] offset:16384
	ds_write_b64 v20, v[6:7] offset:16384
	s_waitcnt vmcnt(2)
	ds_write_b64 v71, v[8:9] offset:24576
	ds_write_b64 v20, v[10:11] offset:24576
	;; [unrolled: 3-line block ×4, first 2 shown]
	v_lshl_add_u32 v4, v21, 1, v68
	s_cbranch_scc0 .LBB647_3
; %bb.2:
	v_lshlrev_b32_e32 v6, 1, v4
	v_add_lshl_u32 v5, v4, s19, 1
	s_lshl_b32 s26, s19, 7
	s_load_dwordx2 s[40:41], s[0:1], 0x20
	v_lshl_or_b32 v3, v67, 9, v3
	s_cbranch_execz .LBB647_4
	s_branch .LBB647_5
.LBB647_3:
                                        ; implicit-def: $vgpr5
                                        ; implicit-def: $vgpr6
                                        ; implicit-def: $sgpr26
	s_load_dwordx2 s[40:41], s[0:1], 0x20
	v_lshl_or_b32 v3, v67, 9, v3
.LBB647_4:
	v_or_b32_e32 v5, 0x100, v3
	s_movk_i32 s26, 0x4000
	v_mov_b32_e32 v6, v3
.LBB647_5:
	s_mul_i32 s0, s38, s18
	s_ashr_i32 s56, s53, 31
	s_mul_hi_i32 s1, s38, s18
	s_add_u32 s0, s0, s53
	s_addc_u32 s1, s1, s56
	s_lshl_b64 s[0:1], s[0:1], 8
	s_add_u32 s24, s4, s0
	s_addc_u32 s0, s5, s1
	s_and_b32 s25, s0, 0xffff
	s_movk_i32 s57, 0x80
	buffer_load_dwordx4 v[8:11], v6, s[24:27], 0 offen
	buffer_load_dwordx4 v[12:15], v6, s[24:27], s57 offen
	;; [unrolled: 1-line block ×4, first 2 shown]
	v_and_b32_e32 v5, 6, v0
	v_lshlrev_b32_e32 v7, 2, v1
	v_lshlrev_b32_e32 v24, 3, v1
	v_xor_b32_e32 v26, v67, v5
	v_and_b32_e32 v6, 1, v0
	v_lshl_or_b32 v24, v66, 5, v24
	v_xor_b32_e32 v27, v66, v7
	v_lshlrev_b32_e32 v26, 2, v26
	s_mul_i32 s1, s33, s23
	s_mul_hi_u32 s21, s33, s22
	v_or_b32_e32 v73, 0x9000, v24
	v_or_b32_e32 v74, 0x9800, v24
	v_lshlrev_b32_e32 v24, 1, v27
	v_xor_b32_e32 v27, 0x440, v26
	v_cmp_eq_u32_e32 vcc, 0, v6
	s_add_i32 s25, s45, s44
	s_mul_i32 s24, s55, s22
	v_cndmask_b32_e32 v6, v27, v26, vcc
	s_add_i32 s1, s21, s1
	s_add_i32 s21, s25, s46
	s_mov_b32 s58, 0x1000504
	v_lshlrev_b32_e32 v25, 8, v1
	s_mov_b32 s26, 0x8000
	v_xor_b32_e32 v7, v65, v7
	v_lshl_or_b32 v5, v5, 10, v6
	s_add_i32 s1, s1, s24
	s_lshl_b64 s[24:25], s[20:21], 2
	s_mov_b32 s59, 0x3020706
	s_mul_i32 s0, s33, s22
	v_lshlrev_b32_e32 v7, 1, v7
	v_or3_b32 v75, v24, v25, s26
	v_xor_b32_e32 v6, 8, v5
	v_xor_b32_e32 v24, 24, v5
	;; [unrolled: 1-line block ×4, first 2 shown]
	s_add_u32 s21, s10, s24
	v_or3_b32 v76, v7, v25, s26
	v_xor_b32_e32 v7, 16, v5
	v_xor_b32_e32 v25, 32, v5
	;; [unrolled: 1-line block ×3, first 2 shown]
	v_add_u32_e32 v6, 0x80, v6
	v_add_u32_e32 v24, 0x80, v24
	;; [unrolled: 1-line block ×4, first 2 shown]
	s_addc_u32 s24, s11, s25
	s_lshl_b64 s[0:1], s[0:1], 2
	s_add_u32 s42, s21, s0
	s_movk_i32 s0, 0xf8
	s_addc_u32 s43, s24, s1
	s_ashr_i32 s37, s36, 31
	s_lshl_b32 s30, s19, 7
	v_mov_b32_e32 v47, 0
	s_mov_b32 s60, 0
	v_add_u32_e32 v87, v45, v2
	s_mov_b32 s21, 0x7060302
	v_mov_b32_e32 v52, v47
	v_mov_b32_e32 v53, v47
	;; [unrolled: 1-line block ×6, first 2 shown]
	s_waitcnt vmcnt(1)
	v_perm_b32 v29, v8, v16, s58
	s_waitcnt vmcnt(0)
	v_perm_b32 v30, v12, v20, s58
	v_perm_b32 v8, v8, v16, s59
	;; [unrolled: 1-line block ×15, first 2 shown]
	ds_write2st64_b32 v5, v29, v30 offset1:32
	ds_write2st64_b32 v6, v8, v12 offset1:32
	ds_write2st64_b32 v7, v16, v20 offset0:1 offset1:33
	ds_write2st64_b32 v24, v9, v13 offset0:1 offset1:33
	;; [unrolled: 1-line block ×6, first 2 shown]
	v_or_b32_e32 v5, v45, v1
	v_lshlrev_b32_e32 v5, 3, v5
	v_lshrrev_b32_e32 v7, 5, v60
	v_and_or_b32 v7, v5, s0, v7
	v_lshlrev_b32_e32 v7, 4, v7
	v_lshrrev_b32_e32 v6, 2, v60
	v_lshlrev_b32_e32 v11, 11, v61
	v_and_b32_e32 v5, 0x78, v5
	v_or_b32_e32 v12, 32, v7
	v_and_b32_e32 v10, 12, v6
	v_and_b32_e32 v6, 0x1000, v11
	v_lshrrev_b32_e32 v9, 1, v60
	v_xor_b32_e32 v12, v12, v5
	v_and_b32_e32 v9, 8, v9
	v_or_b32_e32 v12, v12, v6
	v_xor_b32_e32 v8, v7, v5
	v_xor_b32_e32 v79, v12, v9
	v_or_b32_e32 v12, 64, v7
	v_or_b32_e32 v7, 0x60, v7
	v_xor_b32_e32 v12, v12, v5
	v_xor_b32_e32 v5, v7, v5
	v_or_b32_e32 v5, v5, v6
	v_or_b32_e32 v12, v12, v6
	v_xor_b32_e32 v81, v5, v9
	v_lshlrev_b32_e32 v5, 1, v1
	v_xor_b32_e32 v80, v12, v9
	v_lshlrev_b32_e32 v12, 1, v4
	v_add_lshl_u32 v13, v4, s19, 1
	v_lshrrev_b32_e32 v4, 4, v0
	s_lshl_b64 s[0:1], s[36:37], 8
	v_or_b32_e32 v15, 1, v5
	s_add_u32 s0, s12, s0
	v_xor_b32_e32 v5, v4, v5
	v_xor_b32_e32 v15, v15, v4
	s_addc_u32 s1, s13, s1
	v_lshlrev_b32_e32 v5, 3, v5
	v_lshlrev_b32_e32 v46, 8, v4
	;; [unrolled: 1-line block ×3, first 2 shown]
	v_lshrrev_b32_e32 v19, 1, v0
	v_or3_b32 v83, v5, v46, s26
	v_or3_b32 v84, v4, v46, s26
	v_lshl_add_u64 v[4:5], s[0:1], 0, v[46:47]
	v_lshlrev_b32_e32 v46, 4, v1
	s_movk_i32 s0, 0xff
	v_lshlrev_b32_e32 v18, 3, v61
	v_and_b32_e32 v19, 24, v19
	v_lshl_add_u64 v[54:55], v[4:5], 0, v[46:47]
	v_and_b32_e32 v5, 8, v0
	v_cmp_lt_u32_e32 vcc, s0, v0
	v_xor_b32_e32 v20, v18, v19
	v_or_b32_e32 v21, 0x440, v20
	v_cndmask_b32_e64 v17, 0, 1, vcc
	v_cmp_eq_u32_e32 vcc, 0, v5
	v_or_b32_e32 v23, 64, v19
	v_xor_b32_e32 v23, v18, v23
	v_cndmask_b32_e32 v5, v21, v20, vcc
	v_or_b32_e32 v21, 32, v19
	v_or_b32_e32 v19, 0x60, v19
	v_xor_b32_e32 v21, v18, v21
	v_xor_b32_e32 v18, v18, v19
	v_or_b32_e32 v22, 0x440, v21
	v_xor_b32_e32 v24, 0x440, v23
	v_xor_b32_e32 v19, 0x440, v18
	v_or_b32_e32 v8, v8, v6
	v_or_b32_e32 v6, s36, v1
	v_and_b32_e32 v4, 7, v0
	v_cndmask_b32_e32 v21, v22, v21, vcc
	v_cndmask_b32_e32 v23, v24, v23, vcc
	;; [unrolled: 1-line block ×3, first 2 shown]
	v_xor_b32_e32 v77, v8, v9
	v_and_b32_e32 v8, 0x78, v63
	v_ashrrev_i32_e32 v7, 31, v6
	v_lshlrev_b32_e32 v15, 3, v4
	v_or_b32_e32 v5, v5, v11
	v_or_b32_e32 v21, v21, v11
	;; [unrolled: 1-line block ×4, first 2 shown]
	v_lshl_or_b32 v8, v62, 7, v8
	v_lshlrev_b64 v[6:7], 1, v[6:7]
	v_lshlrev_b32_e32 v17, 13, v17
	v_xor_b32_e32 v5, v5, v15
	v_xor_b32_e32 v21, v21, v15
	;; [unrolled: 1-line block ×4, first 2 shown]
	v_or_b32_e32 v78, 0x9000, v8
	v_or_b32_e32 v82, 0x9800, v8
	v_lshl_add_u64 v[8:9], s[8:9], 0, v[6:7]
	v_lshl_add_u64 v[6:7], s[14:15], 0, v[6:7]
	v_or_b32_e32 v14, 0x100, v3
	v_lshlrev_b32_e32 v16, 7, v4
	v_or_b32_e32 v4, v10, v45
	v_add_u32_e32 v20, v17, v5
	v_add_u32_e32 v22, v17, v21
	;; [unrolled: 1-line block ×4, first 2 shown]
	v_or3_b32 v10, v45, v10, 64
	v_add_u32_e32 v5, 0x2000, v5
	v_add_u32_e32 v17, 0x2000, v21
	v_add_u32_e32 v18, 0x2000, v23
	v_add_u32_e32 v11, 0x2000, v11
	v_lshlrev_b32_e32 v46, 8, v66
	v_cndmask_b32_e64 v85, v12, v3, s[2:3]
	v_cndmask_b32_e64 v86, v13, v14, s[2:3]
	v_lshl_add_u64 v[56:57], v[8:9], 0, v[46:47]
	v_lshl_add_u64 v[58:59], v[6:7], 0, v[46:47]
	s_movk_i32 s26, 0x4000
	v_lshlrev_b32_e32 v88, 2, v4
	v_add_u32_e32 v89, v20, v16
	v_add_u32_e32 v90, v22, v16
	;; [unrolled: 1-line block ×4, first 2 shown]
	v_lshlrev_b32_e32 v93, 2, v10
	v_add_u32_e32 v94, v5, v16
	v_add_u32_e32 v95, v17, v16
	;; [unrolled: 1-line block ×4, first 2 shown]
	v_mov_b32_e32 v46, v47
	s_waitcnt lgkmcnt(0)
	s_barrier
.LBB647_6:                              ; =>This Inner Loop Header: Depth=1
	s_add_i32 s37, s60, 1
	s_cmp_lt_i32 s37, s47
	s_mov_b64 s[28:29], 0
	s_cselect_b64 s[2:3], -1, 0
	s_cmp_ge_i32 s37, s47
	s_mov_b64 s[24:25], 0
	s_cbranch_scc1 .LBB647_8
; %bb.7:                                ;   in Loop: Header=BB647_6 Depth=1
	s_add_i32 s0, s54, 64
	s_ashr_i32 s1, s0, 31
	s_add_u32 s0, s51, s0
	s_addc_u32 s1, s50, s1
	s_lshl_b64 s[0:1], s[0:1], 8
	s_add_u32 s24, s6, s0
	s_addc_u32 s25, s7, s1
.LBB647_8:                              ;   in Loop: Header=BB647_6 Depth=1
	v_cndmask_b32_e64 v2, 0, 1, s[2:3]
	v_cmp_ne_u32_e64 s[0:1], 1, v2
	s_andn2_b64 vcc, exec, s[2:3]
	s_cbranch_vccnz .LBB647_10
; %bb.9:                                ;   in Loop: Header=BB647_6 Depth=1
	s_add_i32 s2, s54, 64
	s_mul_hi_i32 s3, s2, s18
	s_mul_i32 s2, s2, s18
	s_add_u32 s2, s2, s53
	s_addc_u32 s3, s3, s56
	s_lshl_b64 s[2:3], s[2:3], 8
	s_add_u32 s28, s4, s2
	s_addc_u32 s29, s5, s3
.LBB647_10:                             ;   in Loop: Header=BB647_6 Depth=1
	v_perm_b32 v3, v53, v52, s21
	v_perm_b32 v2, v47, v46, s21
	;; [unrolled: 1-line block ×4, first 2 shown]
	ds_write_b64 v73, v[2:3]
	ds_write_b64 v74, v[4:5]
	;; [unrolled: 1-line block ×4, first 2 shown]
	s_waitcnt lgkmcnt(0)
	s_barrier
	ds_read_b64 v[10:11], v77 offset:16384
	ds_read_b64 v[12:13], v79 offset:16384
	ds_read2st64_b64 v[2:5], v78 offset1:1
	s_waitcnt lgkmcnt(0)
	v_mfma_f32_16x16x16_bf16 a[0:3], v[10:11], v[2:3], 0
	ds_read2st64_b64 v[6:9], v78 offset0:2 offset1:3
	ds_read_b64 v[14:15], v80 offset:16384
	ds_read_b64 v[2:3], v81 offset:16384
	s_add_i32 s61, s54, 63
	v_mfma_f32_16x16x16_bf16 a[0:3], v[12:13], v[4:5], a[0:3]
	s_ashr_i32 s2, s61, 31
	s_mul_i32 s3, s61, s35
	s_mul_hi_u32 s31, s61, s34
	s_waitcnt lgkmcnt(1)
	v_mfma_f32_16x16x16_bf16 a[0:3], v[14:15], v[6:7], a[0:3]
	s_add_i32 s3, s31, s3
	s_mul_i32 s2, s2, s34
	s_add_i32 s3, s3, s2
	s_mul_i32 s2, s61, s34
	s_waitcnt lgkmcnt(0)
	v_mfma_f32_16x16x16_bf16 a[0:3], v[2:3], v[8:9], a[0:3]
	s_lshl_b64 s[2:3], s[2:3], 2
	s_add_u32 s2, s42, s2
	s_addc_u32 s3, s43, s3
	s_and_b64 vcc, exec, s[0:1]
	v_mov_b32_e32 v100, 0
	v_mov_b32_e32 v99, 0
	;; [unrolled: 1-line block ×19, first 2 shown]
	s_cbranch_vccnz .LBB647_12
; %bb.11:                               ;   in Loop: Header=BB647_6 Depth=1
	s_and_b32 s25, s25, 0xffff
	buffer_load_dwordx4 v[14:17], v69, s[24:27], 0 offen
	buffer_load_dwordx4 v[10:13], v69, s[24:27], s57 offen
	;; [unrolled: 1-line block ×4, first 2 shown]
	v_mov_b32_e32 v99, v71
	v_mov_b32_e32 v98, v72
.LBB647_12:                             ;   in Loop: Header=BB647_6 Depth=1
	v_add_u32_e32 v22, s54, v87
	v_ashrrev_i32_e32 v18, 31, v22
	v_mul_lo_u32 v20, v18, s34
	v_mul_lo_u32 v21, v22, s35
	v_mad_u64_u32 v[18:19], s[24:25], v22, s34, 0
	v_add3_u32 v19, v19, v21, v20
	v_lshl_add_u64 v[18:19], v[18:19], 2, s[42:43]
	global_load_dword v36, v[18:19], off
	v_add_u32_e32 v18, 1, v22
	v_ashrrev_i32_e32 v19, 31, v18
	v_mul_lo_u32 v20, v19, s34
	v_mul_lo_u32 v21, v18, s35
	v_mad_u64_u32 v[18:19], s[24:25], v18, s34, 0
	v_add3_u32 v19, v19, v21, v20
	v_add_u32_e32 v20, 2, v22
	v_ashrrev_i32_e32 v21, 31, v20
	v_mul_lo_u32 v23, v21, s34
	v_mul_lo_u32 v24, v20, s35
	v_mad_u64_u32 v[20:21], s[24:25], v20, s34, 0
	v_add_u32_e32 v22, 3, v22
	v_add3_u32 v21, v21, v24, v23
	v_ashrrev_i32_e32 v23, 31, v22
	v_mul_lo_u32 v26, v23, s34
	v_mul_lo_u32 v27, v22, s35
	v_mad_u64_u32 v[22:23], s[24:25], v22, s34, 0
	s_ashr_i32 s25, s54, 31
	s_add_u32 s24, s51, s54
	s_addc_u32 s25, s50, s25
	s_lshl_b64 s[24:25], s[24:25], 8
	v_lshl_add_u64 v[18:19], v[18:19], 2, s[42:43]
	v_lshl_add_u64 v[24:25], v[56:57], 0, s[24:25]
	v_add3_u32 v23, v23, v27, v26
	v_lshl_add_u64 v[20:21], v[20:21], 2, s[42:43]
	global_load_ushort v37, v[24:25], off
	global_load_ushort v38, v[24:25], off offset:256
	global_load_ushort v39, v[24:25], off offset:512
	;; [unrolled: 1-line block ×3, first 2 shown]
	v_lshl_add_u64 v[22:23], v[22:23], 2, s[42:43]
	global_load_dword v41, v[18:19], off
	global_load_dword v42, v[20:21], off
	;; [unrolled: 1-line block ×3, first 2 shown]
	s_load_dword s2, s[2:3], 0x0
	ds_read_b64 v[20:21], v77 offset:24576
	ds_read2st64_b64 v[22:25], v82 offset1:1
	ds_read2st64_b64 v[26:29], v82 offset0:2 offset1:3
	ds_read_b64 v[30:31], v79 offset:24576
	ds_read_b64 v[32:33], v80 offset:24576
	;; [unrolled: 1-line block ×3, first 2 shown]
	s_waitcnt lgkmcnt(0)
	v_mfma_f32_16x16x16_bf16 a[0:3], v[20:21], v[22:23], a[0:3]
	v_mov_b32_e32 v101, 0
	v_mov_b32_e32 v18, 0
	;; [unrolled: 1-line block ×3, first 2 shown]
	v_mfma_f32_16x16x16_bf16 a[0:3], v[30:31], v[24:25], a[0:3]
	v_lshl_add_u64 v[30:31], v[58:59], 0, s[24:25]
	v_mov_b32_e32 v20, 0
	v_mov_b32_e32 v21, 0
	v_mfma_f32_16x16x16_bf16 a[0:3], v[32:33], v[26:27], a[0:3]
	v_mov_b32_e32 v22, 0
	v_mov_b32_e32 v23, 0
	;; [unrolled: 1-line block ×3, first 2 shown]
	v_mfma_f32_16x16x16_bf16 a[0:3], v[34:35], v[28:29], a[0:3]
	v_mov_b32_e32 v25, 0
	v_mov_b32_e32 v26, 0
	s_and_b64 vcc, exec, s[0:1]
	s_waitcnt vmcnt(7)
	v_sub_f32_e32 v27, s2, v36
	s_nop 1
	v_accvgpr_read_b32 v33, a1
	v_accvgpr_read_b32 v32, a0
	;; [unrolled: 1-line block ×4, first 2 shown]
	s_waitcnt vmcnt(6)
	v_lshlrev_b32_e32 v34, 16, v37
	s_waitcnt vmcnt(5)
	v_lshlrev_b32_e32 v35, 16, v38
	v_exp_f32_e32 v38, v27
	s_waitcnt vmcnt(3)
	v_lshlrev_b32_e32 v37, 16, v40
	s_waitcnt vmcnt(2)
	v_sub_f32_e32 v27, s2, v41
	s_waitcnt vmcnt(1)
	v_sub_f32_e32 v40, s2, v42
	;; [unrolled: 2-line block ×3, first 2 shown]
	v_lshlrev_b32_e32 v36, 16, v39
	v_pk_add_f32 v[32:33], v[34:35], v[32:33] neg_lo:[0,1] neg_hi:[0,1]
	v_exp_f32_e32 v39, v27
	v_exp_f32_e32 v34, v40
	;; [unrolled: 1-line block ×3, first 2 shown]
	v_pk_add_f32 v[28:29], v[36:37], v[28:29] neg_lo:[0,1] neg_hi:[0,1]
	global_store_short_d16_hi v[30:31], v32, off
	global_store_short_d16_hi v[30:31], v33, off offset:256
	global_store_short_d16_hi v[30:31], v28, off offset:512
	;; [unrolled: 1-line block ×3, first 2 shown]
	v_pk_mul_f32 v[30:31], v[38:39], v[32:33]
	v_pk_mul_f32 v[28:29], v[34:35], v[28:29]
	v_perm_b32 v30, v31, v30, s21
	v_perm_b32 v31, v29, v28, s21
	ds_write_b64 v74, v[30:31]
	v_mov_b32_e32 v27, 0
	v_mov_b32_e32 v28, 0
	;; [unrolled: 1-line block ×7, first 2 shown]
	s_cbranch_vccnz .LBB647_14
; %bb.13:                               ;   in Loop: Header=BB647_6 Depth=1
	s_and_b32 s29, s29, 0xffff
	s_mov_b32 s31, s27
	buffer_load_dwordx4 v[30:33], v85, s[28:31], 0 offen
	buffer_load_dwordx4 v[22:25], v85, s[28:31], s57 offen
	;; [unrolled: 1-line block ×4, first 2 shown]
	v_mov_b32_e32 v100, v68
	v_mov_b32_e32 v101, v67
.LBB647_14:                             ;   in Loop: Header=BB647_6 Depth=1
	s_waitcnt lgkmcnt(0)
	s_barrier
	ds_read_b64 v[34:35], v89
	ds_read_b64 v[40:41], v90
	ds_read2st64_b64 v[36:39], v82 offset1:1
	ds_read2st64_b64 v[102:105], v82 offset0:2 offset1:3
	ds_read_b64 v[42:43], v91
	ds_read_b64 v[110:111], v92
	s_add_i32 s3, s48, s60
	s_mul_hi_i32 s25, s3, s52
	s_mul_i32 s3, s3, s52
	s_waitcnt lgkmcnt(3)
	v_mfma_f32_16x16x16_bf16 a[0:3], v[34:35], v[36:37], 0
	ds_read_b64 v[34:35], v94
	s_add_u32 s24, s3, s33
	s_addc_u32 s25, s25, s55
	v_mfma_f32_16x16x16_bf16 a[0:3], v[40:41], v[38:39], a[0:3]
	ds_read_b64 v[40:41], v95
	s_lshl_b64 s[24:25], s[24:25], 15
	s_mul_i32 s28, s61, s52
	s_mul_hi_i32 s3, s61, s52
	s_add_u32 s28, s28, s33
	s_addc_u32 s29, s3, s55
	s_lshl_b64 s[28:29], s[28:29], 9
	s_add_u32 s28, s40, s28
	s_waitcnt lgkmcnt(1)
	v_mfma_f32_16x16x16_bf16 a[4:7], v[34:35], v[36:37], 0
	s_addc_u32 s29, s41, s29
	s_and_b64 vcc, exec, s[0:1]
	v_mfma_f32_16x16x16_bf16 a[0:3], v[42:43], v[102:103], a[0:3]
	ds_read_b64 v[42:43], v96
	ds_read_b64 v[112:113], v97
	global_load_dwordx4 v[34:37], v93, s[28:29]
	s_waitcnt lgkmcnt(2)
	v_mfma_f32_16x16x16_bf16 a[4:7], v[40:41], v[38:39], a[4:7]
	global_load_dwordx4 v[38:41], v88, s[28:29]
	ds_read_b64 v[106:107], v83
	ds_read_b64 v[108:109], v84
	s_waitcnt lgkmcnt(3)
	v_mfma_f32_16x16x16_bf16 a[8:11], v[42:43], v[102:103], a[4:7]
	v_lshl_add_u64 v[42:43], v[54:55], 0, s[24:25]
	s_waitcnt lgkmcnt(0)
	global_store_dwordx4 v[42:43], v[106:109], off
	v_mfma_f32_16x16x16_bf16 a[4:7], v[110:111], v[104:105], a[0:3]
	s_waitcnt vmcnt(2)
	v_mov_b32_e32 v44, v37
	v_mfma_f32_16x16x16_bf16 a[0:3], v[112:113], v[104:105], a[8:11]
	v_mov_b32_e32 v43, v36
	v_mov_b32_e32 v42, v35
	s_cbranch_vccnz .LBB647_16
; %bb.15:                               ;   in Loop: Header=BB647_6 Depth=1
	v_lshrrev_b32_e32 v35, 3, v100
	v_and_b32_e32 v35, 6, v35
	v_xor_b32_e32 v36, v35, v101
	v_lshlrev_b32_e32 v36, 2, v36
	v_and_b32_e32 v37, 8, v100
	v_xor_b32_e32 v100, 0x440, v36
	v_cmp_eq_u32_e32 vcc, 0, v37
	v_perm_b32 v37, v22, v18, s58
	s_nop 0
	v_cndmask_b32_e32 v36, v100, v36, vcc
	v_lshl_or_b32 v35, v35, 10, v36
	v_perm_b32 v36, v30, v26, s58
	s_barrier
	ds_write2st64_b32 v35, v36, v37 offset1:32
	v_xor_b32_e32 v36, 8, v35
	v_perm_b32 v26, v30, v26, s59
	v_perm_b32 v18, v22, v18, s59
	v_add_u32_e32 v22, 0x80, v36
	ds_write2st64_b32 v22, v26, v18 offset1:32
	v_xor_b32_e32 v18, 16, v35
	v_perm_b32 v22, v31, v27, s58
	v_perm_b32 v26, v23, v19, s58
	ds_write2st64_b32 v18, v22, v26 offset0:1 offset1:33
	v_xor_b32_e32 v18, 24, v35
	v_perm_b32 v22, v31, v27, s59
	v_perm_b32 v19, v23, v19, s59
	v_add_u32_e32 v18, 0x80, v18
	ds_write2st64_b32 v18, v22, v19 offset0:1 offset1:33
	v_xor_b32_e32 v18, 32, v35
	v_perm_b32 v19, v32, v28, s58
	v_perm_b32 v22, v24, v20, s58
	ds_write2st64_b32 v18, v19, v22 offset0:2 offset1:34
	v_xor_b32_e32 v18, 40, v35
	v_perm_b32 v19, v32, v28, s59
	v_perm_b32 v20, v24, v20, s59
	v_add_u32_e32 v18, 0x80, v18
	ds_write2st64_b32 v18, v19, v20 offset0:2 offset1:34
	;; [unrolled: 9-line block ×3, first 2 shown]
	ds_write_b64 v99, v[14:15] offset:16384
	v_xor_b32_e32 v14, 8, v99
	ds_write_b64 v14, v[16:17] offset:16384
	ds_write_b64 v99, v[10:11] offset:24576
	;; [unrolled: 1-line block ×4, first 2 shown]
	v_xor_b32_e32 v6, 8, v98
	ds_write_b64 v6, v[8:9] offset:16384
	ds_write_b64 v98, v[2:3] offset:24576
	;; [unrolled: 1-line block ×3, first 2 shown]
.LBB647_16:                             ;   in Loop: Header=BB647_6 Depth=1
	v_exp_f32_e32 v10, s2
	s_waitcnt vmcnt(1)
	v_exp_f32_e32 v12, v38
	v_exp_f32_e32 v13, v39
	;; [unrolled: 1-line block ×4, first 2 shown]
	v_accvgpr_read_b32 v2, a4
	v_accvgpr_read_b32 v3, a5
	v_pk_mul_f32 v[12:13], v[10:11], v[12:13] op_sel_hi:[0,1]
	v_pk_fma_f32 v[46:47], v[46:47], v[12:13], v[2:3]
	v_exp_f32_e32 v12, v34
	v_exp_f32_e32 v13, v42
	v_pk_mul_f32 v[2:3], v[10:11], v[14:15] op_sel_hi:[0,1]
	v_exp_f32_e32 v14, v43
	v_exp_f32_e32 v15, v44
	v_accvgpr_read_b32 v4, a6
	v_accvgpr_read_b32 v5, a7
	;; [unrolled: 1-line block ×5, first 2 shown]
	v_pk_fma_f32 v[52:53], v[52:53], v[2:3], v[4:5]
	v_pk_mul_f32 v[2:3], v[10:11], v[12:13] op_sel_hi:[0,1]
	v_accvgpr_read_b32 v8, a2
	v_pk_fma_f32 v[50:51], v[50:51], v[2:3], v[6:7]
	v_pk_mul_f32 v[2:3], v[10:11], v[14:15] op_sel_hi:[0,1]
	s_add_i32 s54, s54, 64
	s_cmp_eq_u32 s47, s37
	v_pk_fma_f32 v[48:49], v[48:49], v[2:3], v[8:9]
	s_cbranch_scc1 .LBB647_18
; %bb.17:                               ;   in Loop: Header=BB647_6 Depth=1
	s_mov_b32 s60, s37
	s_branch .LBB647_6
.LBB647_18:
	s_lshl_b32 s0, s47, 6
	s_sub_i32 s42, s49, s0
	s_cmp_gt_i32 s42, 0
	s_cbranch_scc0 .LBB647_75
; %bb.19:
	s_add_i32 s38, s0, s38
	s_ashr_i32 s2, s38, 31
	s_cmpk_lg_i32 s19, 0x80
	s_cselect_b64 s[30:31], -1, 0
	s_and_b64 vcc, exec, s[30:31]
	s_cbranch_vccz .LBB647_21
; %bb.20:
	s_mul_i32 s1, s38, s18
	s_ashr_i32 s3, s53, 31
	s_mul_hi_i32 s0, s38, s18
	s_add_u32 s40, s1, s53
	s_addc_u32 s41, s0, s3
	s_cbranch_execz .LBB647_22
	s_branch .LBB647_23
.LBB647_21:
                                        ; implicit-def: $sgpr40_sgpr41
.LBB647_22:
	s_mul_i32 s1, s53, s16
	s_mul_hi_i32 s0, s53, s16
	s_add_u32 s40, s1, s38
	s_addc_u32 s41, s0, s2
.LBB647_23:
	s_add_i32 s3, s47, s48
	s_ashr_i32 s16, s33, 31
	s_add_u32 s0, s51, s38
	s_addc_u32 s1, s50, s2
	s_mov_b32 s2, 0x7060302
	v_lshlrev_b32_e32 v6, 3, v1
	s_lshl_b64 s[28:29], s[0:1], 8
	v_perm_b32 v3, v53, v52, s2
	v_perm_b32 v2, v47, v46, s2
	;; [unrolled: 1-line block ×4, first 2 shown]
	v_lshlrev_b32_e32 v34, 2, v1
	v_lshl_or_b32 v6, v66, 5, v6
	s_add_u32 s0, s6, s28
	ds_write2st64_b64 v6, v[2:3], v[4:5] offset0:72 offset1:76
	v_xor_b32_e32 v6, v66, v34
	v_lshlrev_b32_e32 v7, 8, v1
	s_addc_u32 s1, s7, s29
	v_lshl_or_b32 v6, v6, 1, v7
	s_mul_hi_i32 s6, s3, s17
	s_mul_i32 s3, s3, s17
	ds_write_b64 v6, v[2:3] offset:32768
	v_xor_b32_e32 v2, v65, v34
	s_add_u32 s2, s3, s33
	v_lshl_or_b32 v2, v2, 1, v7
	s_addc_u32 s3, s6, s16
	v_lshlrev_b32_e32 v3, 1, v1
	ds_write_b64 v2, v[4:5] offset:32768
	v_lshrrev_b32_e32 v2, 4, v0
	s_ashr_i32 s37, s36, 31
	s_lshl_b64 s[2:3], s[2:3], 15
	v_or_b32_e32 v4, 1, v3
	s_add_u32 s6, s12, s2
	v_xor_b32_e32 v3, v2, v3
	v_xor_b32_e32 v4, v4, v2
	v_lshlrev_b32_e32 v6, 8, v2
	s_addc_u32 s7, s13, s3
	s_lshl_b64 s[2:3], s[36:37], 8
	v_lshl_or_b32 v2, v3, 3, v6
	v_lshl_or_b32 v4, v4, 3, v6
	s_waitcnt lgkmcnt(0)
	s_barrier
	s_add_u32 s2, s6, s2
	ds_read_b64 v[2:3], v2 offset:32768
	ds_read_b64 v[4:5], v4 offset:32768
	s_addc_u32 s3, s7, s3
	v_mov_b32_e32 v7, 0
	s_cmp_lg_u32 s42, 64
	v_lshl_add_u64 v[8:9], s[2:3], 0, v[6:7]
	v_lshlrev_b32_e32 v6, 4, v1
	s_cselect_b64 s[6:7], -1, 0
	v_lshl_or_b32 v35, v61, 3, v64
	s_mov_b32 s24, 0
	v_lshl_add_u64 v[6:7], v[8:9], 0, v[6:7]
	v_or_b32_e32 v19, 32, v35
	v_and_b32_e32 v18, 56, v63
	s_and_b64 vcc, exec, s[6:7]
	s_waitcnt lgkmcnt(0)
	global_store_dwordx4 v[6:7], v[2:5], off
	s_cbranch_vccz .LBB647_29
; %bb.24:
	s_mov_b32 s25, s24
	s_mov_b32 s26, s24
	;; [unrolled: 1-line block ×3, first 2 shown]
	v_mov_b64_e32 v[6:7], s[24:25]
	v_mov_b64_e32 v[8:9], s[26:27]
	;; [unrolled: 1-line block ×3, first 2 shown]
	v_cmp_gt_i32_e32 vcc, s42, v35
	v_mov_b64_e32 v[4:5], v[8:9]
	s_and_saveexec_b64 s[2:3], vcc
	s_cbranch_execz .LBB647_26
; %bb.25:
	v_lshlrev_b32_e32 v2, 8, v35
	v_mov_b32_e32 v3, 0
	v_lshl_add_u64 v[4:5], s[0:1], 0, v[2:3]
	v_lshlrev_b32_e32 v2, 1, v18
	v_lshl_add_u64 v[10:11], v[4:5], 0, v[2:3]
	global_load_dwordx4 v[6:9], v[10:11], off
	global_load_dwordx4 v[2:5], v[10:11], off offset:128
.LBB647_26:
	s_or_b64 exec, exec, s[2:3]
	s_mov_b32 s25, s24
	s_mov_b32 s26, s24
	;; [unrolled: 1-line block ×3, first 2 shown]
	v_mov_b64_e32 v[14:15], s[24:25]
	v_mov_b64_e32 v[16:17], s[26:27]
	v_mov_b64_e32 v[10:11], v[14:15]
	v_cmp_gt_i32_e32 vcc, s42, v19
	v_lshlrev_b32_e32 v20, 7, v19
	v_mov_b64_e32 v[12:13], v[16:17]
	s_and_saveexec_b64 s[2:3], vcc
	s_cbranch_execz .LBB647_28
; %bb.27:
	v_lshlrev_b32_e32 v10, 1, v20
	v_mov_b32_e32 v11, 0
	v_lshl_add_u64 v[12:13], s[0:1], 0, v[10:11]
	v_lshlrev_b32_e32 v10, 1, v18
	v_lshl_add_u64 v[22:23], v[12:13], 0, v[10:11]
	global_load_dwordx4 v[14:17], v[22:23], off
	global_load_dwordx4 v[10:13], v[22:23], off offset:128
.LBB647_28:
	s_or_b64 exec, exec, s[2:3]
	v_lshrrev_b32_e32 v21, 3, v18
	v_lshlrev_b32_e32 v22, 3, v35
	v_or_b32_e32 v21, v22, v21
	v_lshlrev_b32_e32 v21, 4, v21
	v_and_b32_e32 v22, 0x78, v22
	v_xor_b32_e32 v21, v21, v22
	s_branch .LBB647_31
.LBB647_29:
                                        ; implicit-def: $vgpr21
                                        ; implicit-def: $vgpr20
                                        ; implicit-def: $vgpr6_vgpr7_vgpr8_vgpr9
                                        ; implicit-def: $vgpr2_vgpr3_vgpr4_vgpr5
                                        ; implicit-def: $vgpr14_vgpr15_vgpr16_vgpr17
                                        ; implicit-def: $vgpr10_vgpr11_vgpr12_vgpr13
	s_cbranch_execz .LBB647_31
; %bb.30:
	s_waitcnt vmcnt(0)
	v_lshlrev_b32_e32 v2, 1, v18
	v_lshl_or_b32 v20, v35, 8, v2
	s_and_b32 s1, s1, 0xffff
	s_mov_b32 s3, 0x20000
	s_movk_i32 s2, 0x4000
	v_lshl_or_b32 v21, v19, 8, v2
	s_movk_i32 s12, 0x80
	buffer_load_dwordx4 v[6:9], v20, s[0:3], 0 offen
	buffer_load_dwordx4 v[2:5], v20, s[0:3], s12 offen
	;; [unrolled: 1-line block ×4, first 2 shown]
	v_lshrrev_b32_e32 v20, 3, v18
	v_lshlrev_b32_e32 v21, 3, v35
	v_or_b32_e32 v20, v21, v20
	v_lshlrev_b32_e32 v20, 4, v20
	v_and_b32_e32 v21, 0x78, v21
	v_xor_b32_e32 v21, v20, v21
	v_lshlrev_b32_e32 v20, 7, v19
.LBB647_31:
	s_lshl_b64 s[0:1], s[40:41], 8
	s_add_u32 s4, s4, s0
	s_movk_i32 s0, 0x1000
	v_and_or_b32 v19, v20, s0, v21
	s_waitcnt vmcnt(1)
	ds_write_b64 v21, v[6:7] offset:16384
	v_xor_b32_e32 v6, 8, v21
	s_addc_u32 s5, s5, s1
	ds_write_b64 v6, v[8:9] offset:16384
	s_waitcnt vmcnt(0)
	ds_write_b64 v21, v[2:3] offset:24576
	ds_write_b64 v6, v[4:5] offset:24576
	;; [unrolled: 1-line block ×3, first 2 shown]
	v_xor_b32_e32 v2, 8, v19
	s_add_i32 s0, s45, s44
	ds_write_b64 v2, v[16:17] offset:16384
	ds_write_b64 v19, v[10:11] offset:24576
	;; [unrolled: 1-line block ×3, first 2 shown]
	s_add_i32 s21, s0, s46
	s_mul_i32 s0, s33, s23
	s_mul_hi_u32 s1, s33, s22
	v_or_b32_e32 v2, v45, v1
	s_add_i32 s0, s1, s0
	s_mul_i32 s1, s16, s22
	v_lshlrev_b32_e32 v2, 3, v2
	v_lshrrev_b32_e32 v4, 5, v60
	s_movk_i32 s16, 0xf8
	v_and_or_b32 v4, v2, s16, v4
	v_lshlrev_b32_e32 v3, 11, v61
	v_lshlrev_b32_e32 v12, 4, v4
	v_and_b32_e32 v13, 0x78, v2
	v_and_b32_e32 v14, 0x1000, v3
	v_lshlrev_b32_e32 v3, 2, v0
	v_xor_b32_e32 v2, v12, v13
	v_lshrrev_b32_e32 v4, 1, v60
	v_and_b32_e32 v3, 60, v3
	v_or_b32_e32 v2, v2, v14
	v_and_b32_e32 v15, 8, v4
	v_xor_b32_e32 v26, v2, v15
	v_lshl_or_b32 v2, v62, 6, v3
	v_lshlrev_b32_e32 v19, 1, v2
	v_or_b32_e32 v2, 32, v12
	v_xor_b32_e32 v2, v2, v13
	s_waitcnt lgkmcnt(0)
	s_barrier
	ds_read_b64 v[10:11], v26 offset:16384
	v_or_b32_e32 v2, v2, v14
	v_xor_b32_e32 v27, v2, v15
	v_or_b32_e32 v2, 64, v12
	v_xor_b32_e32 v2, v2, v13
	v_or_b32_e32 v2, v2, v14
	v_or_b32_e32 v12, 0x60, v12
	v_xor_b32_e32 v28, v2, v15
	ds_read2st64_b64 v[2:5], v19 offset0:72 offset1:73
	ds_read2st64_b64 v[6:9], v19 offset0:74 offset1:75
	v_xor_b32_e32 v16, v12, v13
	ds_read_b64 v[12:13], v27 offset:16384
	s_waitcnt lgkmcnt(2)
	v_mfma_f32_16x16x16_bf16 a[0:3], v[10:11], v[2:3], 0
	s_add_i32 s2, s39, -1
	s_ashr_i32 s3, s2, 31
	s_mul_i32 s12, s2, s35
	s_mul_hi_u32 s13, s2, s34
	s_add_i32 s12, s13, s12
	s_mul_i32 s3, s3, s34
	v_or_b32_e32 v14, v16, v14
	s_add_i32 s1, s0, s1
	s_add_i32 s3, s12, s3
	s_lshl_b64 s[12:13], s[20:21], 2
	v_xor_b32_e32 v36, v14, v15
	ds_read_b64 v[14:15], v28 offset:16384
	ds_read_b64 v[16:17], v36 offset:16384
	s_waitcnt lgkmcnt(2)
	v_mfma_f32_16x16x16_bf16 a[0:3], v[12:13], v[4:5], a[0:3]
	s_mul_i32 s0, s33, s22
	s_add_u32 s10, s10, s12
	s_addc_u32 s11, s11, s13
	s_lshl_b64 s[0:1], s[0:1], 2
	s_mul_i32 s2, s2, s34
	s_add_u32 s10, s10, s0
	s_addc_u32 s11, s11, s1
	s_lshl_b64 s[0:1], s[2:3], 2
	s_waitcnt lgkmcnt(1)
	v_mfma_f32_16x16x16_bf16 a[0:3], v[14:15], v[6:7], a[0:3]
	s_add_u32 s0, s10, s0
	s_addc_u32 s1, s11, s1
	s_load_dword s12, s[0:1], 0x0
	s_waitcnt lgkmcnt(0)
	v_mfma_f32_16x16x16_bf16 a[0:3], v[16:17], v[8:9], a[0:3]
	s_and_b64 vcc, exec, s[30:31]
	s_cbranch_vccz .LBB647_42
; %bb.32:
	v_lshlrev_b32_e32 v20, 1, v35
	s_and_b64 vcc, exec, s[6:7]
	s_cbranch_vccz .LBB647_43
; %bb.33:
	v_cmp_gt_i32_e32 vcc, s42, v20
	v_mov_b32_e32 v6, 0
	v_mov_b32_e32 v2, 0
	;; [unrolled: 1-line block ×5, first 2 shown]
	s_and_saveexec_b64 s[0:1], vcc
	s_cbranch_execz .LBB647_35
; %bb.34:
	v_mad_i64_i32 v[2:3], s[2:3], s19, v20, 0
	v_lshl_add_u64 v[2:3], v[2:3], 1, s[4:5]
	v_lshlrev_b32_e32 v4, 1, v18
	v_mov_b32_e32 v5, 0
	v_lshl_add_u64 v[2:3], v[2:3], 0, v[4:5]
	global_load_dwordx4 v[2:5], v[2:3], off
.LBB647_35:
	s_or_b64 exec, exec, s[0:1]
	v_or_b32_e32 v21, 1, v20
	v_cmp_gt_i32_e64 s[0:1], s42, v21
	v_mov_b32_e32 v7, 0
	v_mov_b32_e32 v8, 0
	;; [unrolled: 1-line block ×3, first 2 shown]
	s_and_saveexec_b64 s[2:3], s[0:1]
	s_cbranch_execz .LBB647_37
; %bb.36:
	v_mad_i64_i32 v[6:7], s[16:17], s19, v21, 0
	v_lshl_add_u64 v[6:7], v[6:7], 1, s[4:5]
	v_lshlrev_b32_e32 v8, 1, v18
	v_mov_b32_e32 v9, 0
	v_lshl_add_u64 v[6:7], v[6:7], 0, v[8:9]
	global_load_dwordx4 v[6:9], v[6:7], off
.LBB647_37:
	s_or_b64 exec, exec, s[2:3]
	v_mov_b32_e32 v17, 0
	v_mov_b32_e32 v10, 0
	;; [unrolled: 1-line block ×5, first 2 shown]
	s_and_saveexec_b64 s[2:3], vcc
	s_cbranch_execz .LBB647_39
; %bb.38:
	v_mad_i64_i32 v[10:11], s[16:17], s19, v20, 0
	v_lshl_add_u64 v[10:11], v[10:11], 1, s[4:5]
	v_lshlrev_b32_e32 v12, 1, v18
	v_mov_b32_e32 v13, 0
	v_lshl_add_u64 v[10:11], v[10:11], 0, v[12:13]
	global_load_dwordx4 v[10:13], v[10:11], off offset:128
.LBB647_39:
	s_or_b64 exec, exec, s[2:3]
	v_mov_b32_e32 v16, 0
	v_mov_b32_e32 v15, 0
	v_mov_b32_e32 v14, 0
	s_and_saveexec_b64 s[2:3], s[0:1]
	s_cbranch_execz .LBB647_41
; %bb.40:
	v_mad_i64_i32 v[14:15], s[0:1], s19, v21, 0
	v_lshl_add_u64 v[14:15], v[14:15], 1, s[4:5]
	v_lshlrev_b32_e32 v16, 1, v18
	v_mov_b32_e32 v17, 0
	v_lshl_add_u64 v[14:15], v[14:15], 0, v[16:17]
	global_load_dwordx4 v[14:17], v[14:15], off offset:128
.LBB647_41:
	s_or_b64 exec, exec, s[2:3]
	s_branch .LBB647_45
.LBB647_42:
                                        ; implicit-def: $vgpr5
                                        ; implicit-def: $vgpr9
                                        ; implicit-def: $vgpr13
                                        ; implicit-def: $vgpr17
	v_lshrrev_b32_e32 v37, 2, v60
	s_branch .LBB647_46
.LBB647_43:
                                        ; implicit-def: $vgpr5
                                        ; implicit-def: $vgpr9
                                        ; implicit-def: $vgpr13
                                        ; implicit-def: $vgpr17
	s_cbranch_execz .LBB647_45
; %bb.44:
	s_waitcnt vmcnt(0)
	v_mad_u64_u32 v[2:3], s[0:1], v20, s19, v[18:19]
	v_lshlrev_b32_e32 v20, 1, v2
	s_lshl_b32 s2, s19, 7
	s_and_b32 s1, s5, 0xffff
	s_mov_b32 s3, 0x20000
	s_mov_b32 s0, s4
	v_add_lshl_u32 v21, v2, s19, 1
	s_movk_i32 s13, 0x80
	buffer_load_dwordx4 v[2:5], v20, s[0:3], 0 offen
	buffer_load_dwordx4 v[10:13], v20, s[0:3], s13 offen
	;; [unrolled: 1-line block ×4, first 2 shown]
.LBB647_45:
	v_lshrrev_b32_e32 v37, 2, v60
	s_cbranch_execnz .LBB647_58
.LBB647_46:
	s_and_b64 vcc, exec, s[6:7]
	s_cbranch_vccz .LBB647_56
; %bb.47:
	s_waitcnt vmcnt(0)
	v_lshlrev_b32_e32 v7, 1, v35
	v_cmp_gt_i32_e32 vcc, s42, v7
	v_mov_b32_e32 v6, 0
	v_lshlrev_b32_e32 v14, 9, v35
	v_mov_b32_e32 v2, 0
	v_mov_b32_e32 v3, 0
	;; [unrolled: 1-line block ×4, first 2 shown]
	s_and_saveexec_b64 s[0:1], vcc
	s_cbranch_execz .LBB647_49
; %bb.48:
	v_mov_b32_e32 v15, 0
	v_lshl_add_u64 v[2:3], s[4:5], 0, v[14:15]
	v_lshlrev_b32_e32 v4, 1, v18
	v_mov_b32_e32 v5, v15
	v_lshl_add_u64 v[2:3], v[2:3], 0, v[4:5]
	global_load_dwordx4 v[2:5], v[2:3], off
.LBB647_49:
	s_or_b64 exec, exec, s[0:1]
	v_or_b32_e32 v7, 1, v7
	v_cmp_gt_i32_e64 s[0:1], s42, v7
	v_lshlrev_b32_e32 v20, 8, v7
	v_mov_b32_e32 v7, 0
	v_mov_b32_e32 v8, 0
	;; [unrolled: 1-line block ×3, first 2 shown]
	s_and_saveexec_b64 s[2:3], s[0:1]
	s_cbranch_execz .LBB647_51
; %bb.50:
	v_mov_b32_e32 v21, 0
	v_lshl_add_u64 v[6:7], s[4:5], 0, v[20:21]
	v_lshlrev_b32_e32 v8, 1, v18
	v_mov_b32_e32 v9, v21
	v_lshl_add_u64 v[6:7], v[6:7], 0, v[8:9]
	global_load_dwordx4 v[6:9], v[6:7], off
.LBB647_51:
	s_or_b64 exec, exec, s[2:3]
	v_mov_b32_e32 v17, 0
	v_mov_b32_e32 v10, 0
	;; [unrolled: 1-line block ×5, first 2 shown]
	s_and_saveexec_b64 s[2:3], vcc
	s_cbranch_execz .LBB647_53
; %bb.52:
	v_mov_b32_e32 v15, 0
	v_lshl_add_u64 v[10:11], s[4:5], 0, v[14:15]
	v_lshlrev_b32_e32 v14, 1, v18
	v_lshl_add_u64 v[10:11], v[10:11], 0, v[14:15]
	global_load_dwordx4 v[10:13], v[10:11], off offset:128
.LBB647_53:
	s_or_b64 exec, exec, s[2:3]
	v_mov_b32_e32 v16, 0
	v_mov_b32_e32 v15, 0
	;; [unrolled: 1-line block ×3, first 2 shown]
	s_and_saveexec_b64 s[2:3], s[0:1]
	s_cbranch_execz .LBB647_55
; %bb.54:
	v_mov_b32_e32 v21, 0
	v_lshl_add_u64 v[14:15], s[4:5], 0, v[20:21]
	v_lshlrev_b32_e32 v20, 1, v18
	v_lshl_add_u64 v[14:15], v[14:15], 0, v[20:21]
	global_load_dwordx4 v[14:17], v[14:15], off offset:128
.LBB647_55:
	s_or_b64 exec, exec, s[2:3]
	s_branch .LBB647_58
.LBB647_56:
                                        ; implicit-def: $vgpr5
                                        ; implicit-def: $vgpr9
                                        ; implicit-def: $vgpr13
                                        ; implicit-def: $vgpr17
	s_cbranch_execz .LBB647_58
; %bb.57:
	s_waitcnt vmcnt(0)
	v_lshlrev_b32_e32 v2, 1, v18
	v_lshl_or_b32 v18, v35, 9, v2
	s_and_b32 s5, s5, 0xffff
	s_mov_b32 s7, 0x20000
	s_movk_i32 s6, 0x4000
	s_movk_i32 s0, 0x80
	buffer_load_dwordx4 v[2:5], v18, s[4:7], 0 offen
	buffer_load_dwordx4 v[6:9], v18, s[4:7], 0 offen offset:256
	buffer_load_dwordx4 v[10:13], v18, s[4:7], s0 offen
	buffer_load_dwordx4 v[14:17], v18, s[4:7], s0 offen offset:256
.LBB647_58:
	ds_read2st64_b64 v[22:25], v19 offset0:76 offset1:77
	ds_read2st64_b64 v[18:21], v19 offset0:78 offset1:79
	ds_read_b64 v[32:33], v26 offset:24576
	ds_read_b64 v[30:31], v27 offset:24576
	;; [unrolled: 1-line block ×4, first 2 shown]
	v_and_b32_e32 v36, 6, v0
	v_xor_b32_e32 v35, v35, v36
	v_lshlrev_b32_e32 v35, 2, v35
	v_and_b32_e32 v0, 1, v0
	v_xor_b32_e32 v38, 0x440, v35
	v_cmp_eq_u32_e32 vcc, 0, v0
	s_mov_b32 s0, 0x1000504
	s_mov_b32 s1, 0x3020706
	v_cndmask_b32_e32 v0, v38, v35, vcc
	v_lshl_or_b32 v0, v36, 10, v0
	s_waitcnt vmcnt(0)
	v_perm_b32 v35, v2, v6, s0
	v_perm_b32 v36, v10, v14, s0
	ds_write2st64_b32 v0, v35, v36 offset1:32
	v_xor_b32_e32 v35, 8, v0
	v_perm_b32 v2, v2, v6, s1
	v_perm_b32 v6, v10, v14, s1
	v_add_u32_e32 v10, 0x80, v35
	ds_write2st64_b32 v10, v2, v6 offset1:32
	v_xor_b32_e32 v2, 16, v0
	v_perm_b32 v6, v3, v7, s0
	v_perm_b32 v10, v11, v15, s0
	ds_write2st64_b32 v2, v6, v10 offset0:1 offset1:33
	v_xor_b32_e32 v2, 24, v0
	v_perm_b32 v3, v3, v7, s1
	v_perm_b32 v6, v11, v15, s1
	v_add_u32_e32 v2, 0x80, v2
	ds_write2st64_b32 v2, v3, v6 offset0:1 offset1:33
	v_xor_b32_e32 v2, 32, v0
	v_perm_b32 v3, v4, v8, s0
	v_perm_b32 v6, v12, v16, s0
	ds_write2st64_b32 v2, v3, v6 offset0:2 offset1:34
	v_xor_b32_e32 v2, 40, v0
	v_perm_b32 v3, v4, v8, s1
	v_perm_b32 v4, v12, v16, s1
	v_add_u32_e32 v2, 0x80, v2
	ds_write2st64_b32 v2, v3, v4 offset0:2 offset1:34
	v_xor_b32_e32 v2, 48, v0
	v_perm_b32 v3, v5, v9, s0
	v_perm_b32 v4, v13, v17, s0
	v_xor_b32_e32 v0, 56, v0
	v_and_or_b32 v8, v37, 12, v45
	ds_write2st64_b32 v2, v3, v4 offset0:3 offset1:35
	v_perm_b32 v2, v5, v9, s1
	v_perm_b32 v3, v13, v17, s1
	v_add_u32_e32 v0, 0x80, v0
	v_cmp_gt_i32_e64 s[2:3], s42, v8
	v_mov_b32_e32 v10, 0
	v_mov_b32_e32 v15, 0
	ds_write2st64_b32 v0, v2, v3 offset0:3 offset1:35
	s_and_saveexec_b64 s[0:1], s[2:3]
	s_cbranch_execz .LBB647_60
; %bb.59:
	v_add_u32_e32 v0, s38, v8
	v_ashrrev_i32_e32 v2, 31, v0
	v_mul_lo_u32 v4, v2, s34
	v_mul_lo_u32 v5, v0, s35
	v_mad_u64_u32 v[2:3], s[4:5], v0, s34, 0
	v_add3_u32 v3, v3, v5, v4
	v_lshl_add_u64 v[2:3], v[2:3], 2, s[10:11]
	global_load_dword v0, v[2:3], off
	s_waitcnt vmcnt(0)
	v_sub_f32_e32 v0, s12, v0
	v_exp_f32_e32 v15, v0
.LBB647_60:
	s_or_b64 exec, exec, s[0:1]
	v_or_b32_e32 v13, 1, v8
	v_cmp_gt_i32_e64 s[4:5], s42, v13
	s_and_saveexec_b64 s[0:1], s[4:5]
	s_cbranch_execz .LBB647_62
; %bb.61:
	v_add_u32_e32 v0, s38, v13
	v_ashrrev_i32_e32 v2, 31, v0
	v_mul_lo_u32 v4, v2, s34
	v_mul_lo_u32 v5, v0, s35
	v_mad_u64_u32 v[2:3], s[6:7], v0, s34, 0
	v_add3_u32 v3, v3, v5, v4
	v_lshl_add_u64 v[2:3], v[2:3], 2, s[10:11]
	global_load_dword v0, v[2:3], off
	s_waitcnt vmcnt(0)
	v_sub_f32_e32 v0, s12, v0
	v_exp_f32_e32 v10, v0
.LBB647_62:
	s_or_b64 exec, exec, s[0:1]
	v_or_b32_e32 v11, 2, v8
	v_cmp_gt_i32_e32 vcc, s42, v11
	v_mov_b32_e32 v9, 0
	v_mov_b32_e32 v14, 0
	s_and_saveexec_b64 s[0:1], vcc
	s_cbranch_execz .LBB647_64
; %bb.63:
	v_add_u32_e32 v0, s38, v11
	v_ashrrev_i32_e32 v2, 31, v0
	v_mul_lo_u32 v4, v2, s34
	v_mul_lo_u32 v5, v0, s35
	v_mad_u64_u32 v[2:3], s[6:7], v0, s34, 0
	v_add3_u32 v3, v3, v5, v4
	v_lshl_add_u64 v[2:3], v[2:3], 2, s[10:11]
	global_load_dword v0, v[2:3], off
	s_waitcnt vmcnt(0)
	v_sub_f32_e32 v0, s12, v0
	v_exp_f32_e32 v14, v0
.LBB647_64:
	s_or_b64 exec, exec, s[0:1]
	v_or_b32_e32 v12, 3, v8
	v_cmp_gt_i32_e64 s[0:1], s42, v12
	s_and_saveexec_b64 s[6:7], s[0:1]
	s_cbranch_execz .LBB647_66
; %bb.65:
	v_add_u32_e32 v0, s38, v12
	v_ashrrev_i32_e32 v2, 31, v0
	v_mul_lo_u32 v4, v2, s34
	v_mul_lo_u32 v5, v0, s35
	v_mad_u64_u32 v[2:3], s[16:17], v0, s34, 0
	v_add3_u32 v3, v3, v5, v4
	v_lshl_add_u64 v[2:3], v[2:3], 2, s[10:11]
	global_load_dword v0, v[2:3], off
	s_waitcnt vmcnt(0)
	v_sub_f32_e32 v0, s12, v0
	v_exp_f32_e32 v9, v0
.LBB647_66:
	s_or_b64 exec, exec, s[6:7]
	s_waitcnt lgkmcnt(11)
	v_mfma_f32_16x16x16_bf16 a[0:3], v[32:33], v[22:23], a[0:3]
	v_or_b32_e32 v0, s36, v1
	s_add_u32 s6, s8, s28
	v_ashrrev_i32_e32 v1, 31, v0
	s_waitcnt lgkmcnt(10)
	v_mfma_f32_16x16x16_bf16 a[0:3], v[30:31], v[24:25], a[0:3]
	s_addc_u32 s7, s9, s29
	v_lshlrev_b64 v[0:1], 1, v[0:1]
	v_lshl_add_u64 v[4:5], s[6:7], 0, v[0:1]
	s_waitcnt lgkmcnt(9)
	v_mfma_f32_16x16x16_bf16 a[0:3], v[28:29], v[18:19], a[0:3]
	s_add_u32 s6, s14, s28
	s_addc_u32 s7, s15, s29
	v_lshl_add_u64 v[6:7], s[6:7], 0, v[0:1]
	s_waitcnt lgkmcnt(8)
	v_mfma_f32_16x16x16_bf16 a[0:3], v[26:27], v[20:21], a[0:3]
	v_mov_b32_e32 v16, 0
	v_mov_b32_e32 v17, 0
	s_nop 4
	v_accvgpr_read_b32 v0, a0
	v_accvgpr_read_b32 v1, a1
	v_accvgpr_read_b32 v2, a2
	v_accvgpr_read_b32 v3, a3
	s_and_saveexec_b64 s[6:7], s[2:3]
	s_cbranch_execz .LBB647_68
; %bb.67:
	v_lshlrev_b32_e32 v18, 8, v8
	v_mov_b32_e32 v19, 0
	v_lshl_add_u64 v[20:21], v[4:5], 0, v[18:19]
	global_load_ushort v17, v[20:21], off
	v_lshl_add_u64 v[18:19], v[6:7], 0, v[18:19]
	s_waitcnt vmcnt(0)
	v_lshlrev_b32_e32 v17, 16, v17
	v_sub_f32_e32 v0, v17, v0
	global_store_short_d16_hi v[18:19], v0, off
	v_mul_f32_e32 v0, v15, v0
	v_lshrrev_b32_e32 v17, 16, v0
.LBB647_68:
	s_or_b64 exec, exec, s[6:7]
	s_and_saveexec_b64 s[2:3], s[4:5]
	s_cbranch_execz .LBB647_70
; %bb.69:
	v_lshlrev_b32_e32 v18, 8, v13
	v_mov_b32_e32 v19, 0
	v_lshl_add_u64 v[20:21], v[4:5], 0, v[18:19]
	global_load_ushort v0, v[20:21], off
	v_lshl_add_u64 v[18:19], v[6:7], 0, v[18:19]
	s_waitcnt vmcnt(0)
	v_lshlrev_b32_e32 v0, 16, v0
	v_sub_f32_e32 v0, v0, v1
	global_store_short_d16_hi v[18:19], v0, off
	v_mul_f32_e32 v0, v10, v0
	v_lshrrev_b32_e32 v16, 16, v0
.LBB647_70:
	s_or_b64 exec, exec, s[2:3]
	v_mov_b32_e32 v0, 0
	v_mov_b32_e32 v1, 0
	s_and_saveexec_b64 s[2:3], vcc
	s_cbranch_execz .LBB647_72
; %bb.71:
	v_lshlrev_b32_e32 v10, 8, v11
	v_mov_b32_e32 v11, 0
	v_lshl_add_u64 v[18:19], v[4:5], 0, v[10:11]
	global_load_ushort v1, v[18:19], off
	v_lshl_add_u64 v[10:11], v[6:7], 0, v[10:11]
	s_waitcnt vmcnt(0)
	v_lshlrev_b32_e32 v1, 16, v1
	v_sub_f32_e32 v1, v1, v2
	global_store_short_d16_hi v[10:11], v1, off
	v_mul_f32_e32 v1, v14, v1
	v_lshrrev_b32_e32 v1, 16, v1
.LBB647_72:
	s_or_b64 exec, exec, s[2:3]
	s_and_saveexec_b64 s[2:3], s[0:1]
	s_cbranch_execz .LBB647_74
; %bb.73:
	v_lshlrev_b32_e32 v10, 8, v12
	v_mov_b32_e32 v11, 0
	v_lshl_add_u64 v[4:5], v[4:5], 0, v[10:11]
	global_load_ushort v0, v[4:5], off
	v_lshl_add_u64 v[4:5], v[6:7], 0, v[10:11]
	s_waitcnt vmcnt(0)
	v_lshlrev_b32_e32 v0, 16, v0
	v_sub_f32_e32 v0, v0, v3
	global_store_short_d16_hi v[4:5], v0, off
	v_mul_f32_e32 v0, v9, v0
	v_lshrrev_b32_e32 v0, 16, v0
.LBB647_74:
	s_or_b64 exec, exec, s[2:3]
	s_mov_b32 s0, 0x5040100
	v_lshlrev_b32_e32 v2, 1, v34
	v_perm_b32 v1, v0, v1, s0
	v_perm_b32 v0, v16, v17, s0
	v_lshl_or_b32 v2, v8, 5, v2
	ds_write_b64 v2, v[0:1] offset:38912
	s_waitcnt lgkmcnt(0)
	s_barrier
.LBB647_75:
	s_endpgm
	.section	.rodata,"a",@progbits
	.p2align	6, 0x0
	.amdhsa_kernel _ZN12_GLOBAL__N_139chunk_gated_delta_rule_fwd_h_hip_kernelILi16ELb0ELb0ELb1ELb1ELb1ELb1ELb1ELb0EEEvPK12hip_bfloat16S3_S3_PKfS5_PKvPS1_S8_PvPKiSB_iiiiilll
		.amdhsa_group_segment_fixed_size 40960
		.amdhsa_private_segment_fixed_size 0
		.amdhsa_kernarg_size 136
		.amdhsa_user_sgpr_count 2
		.amdhsa_user_sgpr_dispatch_ptr 0
		.amdhsa_user_sgpr_queue_ptr 0
		.amdhsa_user_sgpr_kernarg_segment_ptr 1
		.amdhsa_user_sgpr_dispatch_id 0
		.amdhsa_user_sgpr_kernarg_preload_length 0
		.amdhsa_user_sgpr_kernarg_preload_offset 0
		.amdhsa_user_sgpr_private_segment_size 0
		.amdhsa_uses_dynamic_stack 0
		.amdhsa_enable_private_segment 0
		.amdhsa_system_sgpr_workgroup_id_x 1
		.amdhsa_system_sgpr_workgroup_id_y 1
		.amdhsa_system_sgpr_workgroup_id_z 0
		.amdhsa_system_sgpr_workgroup_info 0
		.amdhsa_system_vgpr_workitem_id 0
		.amdhsa_next_free_vgpr 128
		.amdhsa_next_free_sgpr 62
		.amdhsa_accum_offset 116
		.amdhsa_reserve_vcc 1
		.amdhsa_float_round_mode_32 0
		.amdhsa_float_round_mode_16_64 0
		.amdhsa_float_denorm_mode_32 3
		.amdhsa_float_denorm_mode_16_64 3
		.amdhsa_dx10_clamp 1
		.amdhsa_ieee_mode 1
		.amdhsa_fp16_overflow 0
		.amdhsa_tg_split 0
		.amdhsa_exception_fp_ieee_invalid_op 0
		.amdhsa_exception_fp_denorm_src 0
		.amdhsa_exception_fp_ieee_div_zero 0
		.amdhsa_exception_fp_ieee_overflow 0
		.amdhsa_exception_fp_ieee_underflow 0
		.amdhsa_exception_fp_ieee_inexact 0
		.amdhsa_exception_int_div_zero 0
	.end_amdhsa_kernel
	.section	.text._ZN12_GLOBAL__N_139chunk_gated_delta_rule_fwd_h_hip_kernelILi16ELb0ELb0ELb1ELb1ELb1ELb1ELb1ELb0EEEvPK12hip_bfloat16S3_S3_PKfS5_PKvPS1_S8_PvPKiSB_iiiiilll,"axG",@progbits,_ZN12_GLOBAL__N_139chunk_gated_delta_rule_fwd_h_hip_kernelILi16ELb0ELb0ELb1ELb1ELb1ELb1ELb1ELb0EEEvPK12hip_bfloat16S3_S3_PKfS5_PKvPS1_S8_PvPKiSB_iiiiilll,comdat
.Lfunc_end647:
	.size	_ZN12_GLOBAL__N_139chunk_gated_delta_rule_fwd_h_hip_kernelILi16ELb0ELb0ELb1ELb1ELb1ELb1ELb1ELb0EEEvPK12hip_bfloat16S3_S3_PKfS5_PKvPS1_S8_PvPKiSB_iiiiilll, .Lfunc_end647-_ZN12_GLOBAL__N_139chunk_gated_delta_rule_fwd_h_hip_kernelILi16ELb0ELb0ELb1ELb1ELb1ELb1ELb1ELb0EEEvPK12hip_bfloat16S3_S3_PKfS5_PKvPS1_S8_PvPKiSB_iiiiilll
                                        ; -- End function
	.section	.AMDGPU.csdata,"",@progbits
; Kernel info:
; codeLenInByte = 7320
; NumSgprs: 68
; NumVgprs: 114
; NumAgprs: 12
; TotalNumVgprs: 128
; ScratchSize: 0
; MemoryBound: 0
; FloatMode: 240
; IeeeMode: 1
; LDSByteSize: 40960 bytes/workgroup (compile time only)
; SGPRBlocks: 8
; VGPRBlocks: 15
; NumSGPRsForWavesPerEU: 68
; NumVGPRsForWavesPerEU: 128
; AccumOffset: 116
; Occupancy: 1
; WaveLimiterHint : 1
; COMPUTE_PGM_RSRC2:SCRATCH_EN: 0
; COMPUTE_PGM_RSRC2:USER_SGPR: 2
; COMPUTE_PGM_RSRC2:TRAP_HANDLER: 0
; COMPUTE_PGM_RSRC2:TGID_X_EN: 1
; COMPUTE_PGM_RSRC2:TGID_Y_EN: 1
; COMPUTE_PGM_RSRC2:TGID_Z_EN: 0
; COMPUTE_PGM_RSRC2:TIDIG_COMP_CNT: 0
; COMPUTE_PGM_RSRC3_GFX90A:ACCUM_OFFSET: 28
; COMPUTE_PGM_RSRC3_GFX90A:TG_SPLIT: 0
	.section	.text._ZN12_GLOBAL__N_139chunk_gated_delta_rule_fwd_h_hip_kernelILi16ELb0ELb0ELb0ELb1ELb1ELb1ELb1ELb0EEEvPK12hip_bfloat16S3_S3_PKfS5_PKvPS1_S8_PvPKiSB_iiiiilll,"axG",@progbits,_ZN12_GLOBAL__N_139chunk_gated_delta_rule_fwd_h_hip_kernelILi16ELb0ELb0ELb0ELb1ELb1ELb1ELb1ELb0EEEvPK12hip_bfloat16S3_S3_PKfS5_PKvPS1_S8_PvPKiSB_iiiiilll,comdat
	.globl	_ZN12_GLOBAL__N_139chunk_gated_delta_rule_fwd_h_hip_kernelILi16ELb0ELb0ELb0ELb1ELb1ELb1ELb1ELb0EEEvPK12hip_bfloat16S3_S3_PKfS5_PKvPS1_S8_PvPKiSB_iiiiilll ; -- Begin function _ZN12_GLOBAL__N_139chunk_gated_delta_rule_fwd_h_hip_kernelILi16ELb0ELb0ELb0ELb1ELb1ELb1ELb1ELb0EEEvPK12hip_bfloat16S3_S3_PKfS5_PKvPS1_S8_PvPKiSB_iiiiilll
	.p2align	8
	.type	_ZN12_GLOBAL__N_139chunk_gated_delta_rule_fwd_h_hip_kernelILi16ELb0ELb0ELb0ELb1ELb1ELb1ELb1ELb0EEEvPK12hip_bfloat16S3_S3_PKfS5_PKvPS1_S8_PvPKiSB_iiiiilll,@function
_ZN12_GLOBAL__N_139chunk_gated_delta_rule_fwd_h_hip_kernelILi16ELb0ELb0ELb0ELb1ELb1ELb1ELb1ELb0EEEvPK12hip_bfloat16S3_S3_PKfS5_PKvPS1_S8_PvPKiSB_iiiiilll: ; @_ZN12_GLOBAL__N_139chunk_gated_delta_rule_fwd_h_hip_kernelILi16ELb0ELb0ELb0ELb1ELb1ELb1ELb1ELb0EEEvPK12hip_bfloat16S3_S3_PKfS5_PKvPS1_S8_PvPKiSB_iiiiilll
; %bb.0:
	s_load_dwordx4 s[12:15], s[0:1], 0x5c
	s_load_dwordx4 s[16:19], s[0:1], 0x70
	s_abs_i32 s21, s3
	s_ashr_i32 s20, s3, 31
	s_load_dwordx2 s[36:37], s[0:1], 0x30
	s_load_dwordx4 s[24:27], s[0:1], 0x48
	s_waitcnt lgkmcnt(0)
	s_abs_i32 s28, s13
	v_cvt_f32_u32_e32 v1, s28
	s_sub_i32 s22, 0, s28
	s_ashr_i32 s29, s13, 31
	s_xor_b32 s20, s20, s29
	v_rcp_iflag_f32_e32 v1, v1
	s_load_dwordx8 s[4:11], s[0:1], 0x0
	v_lshrrev_b32_e32 v59, 6, v0
	v_bfe_u32 v60, v0, 4, 2
	v_mul_f32_e32 v1, 0x4f7ffffe, v1
	v_cvt_u32_f32_e32 v1, v1
	v_lshlrev_b32_e32 v45, 4, v59
	v_lshlrev_b32_e32 v2, 2, v60
	v_and_b32_e32 v58, 63, v0
	v_readfirstlane_b32 s23, v1
	s_mul_i32 s22, s22, s23
	s_mul_hi_u32 s22, s23, s22
	s_add_i32 s23, s23, s22
	s_mul_hi_u32 s22, s21, s23
	s_mul_i32 s23, s22, s28
	s_sub_i32 s21, s21, s23
	s_add_i32 s30, s22, 1
	s_sub_i32 s23, s21, s28
	s_cmp_ge_u32 s21, s28
	s_cselect_b32 s22, s30, s22
	s_cselect_b32 s21, s23, s21
	s_add_i32 s23, s22, 1
	s_cmp_ge_u32 s21, s28
	s_cselect_b32 s21, s23, s22
	s_xor_b32 s21, s21, s20
	s_sub_i32 s20, s21, s20
	s_mul_i32 s21, s20, s13
	s_sub_i32 s33, s3, s21
	s_ashr_i32 s21, s20, 31
	s_lshl_b64 s[22:23], s[20:21], 2
	s_add_u32 s24, s24, s22
	s_addc_u32 s25, s25, s23
	s_add_u32 s22, s26, s22
	s_addc_u32 s23, s27, s23
	s_abs_i32 s3, s14
	v_cvt_f32_u32_e32 v1, s3
	s_load_dwordx2 s[34:35], s[24:25], 0x0
	s_sub_i32 s25, 0, s3
	s_load_dword s46, s[22:23], 0x0
	v_rcp_iflag_f32_e32 v1, v1
	v_or_b32_e32 v64, v2, v45
	s_waitcnt lgkmcnt(0)
	s_sub_i32 s47, s35, s34
	s_ashr_i32 s24, s47, 31
	v_mul_f32_e32 v1, 0x4f7ffffe, v1
	v_cvt_u32_f32_e32 v1, v1
	s_lshr_b32 s24, s24, 26
	s_add_i32 s24, s47, s24
	s_ashr_i32 s45, s24, 6
	v_readfirstlane_b32 s26, v1
	s_mul_i32 s25, s25, s26
	s_mul_hi_u32 s25, s26, s25
	s_add_i32 s26, s26, s25
	s_mul_hi_u32 s25, s28, s26
	s_mul_i32 s26, s25, s3
	s_ashr_i32 s24, s14, 31
	s_sub_i32 s26, s28, s26
	s_xor_b32 s24, s29, s24
	s_add_i32 s27, s25, 1
	s_sub_i32 s28, s26, s3
	s_cmp_ge_u32 s26, s3
	s_cselect_b32 s25, s27, s25
	s_cselect_b32 s26, s28, s26
	s_add_i32 s27, s25, 1
	s_cmp_ge_u32 s26, s3
	s_cselect_b32 s3, s27, s25
	s_xor_b32 s3, s3, s24
	s_sub_i32 s3, s3, s24
	s_abs_i32 s24, s3
	v_cvt_f32_u32_e32 v1, s24
	s_sub_i32 s23, 0, s24
	s_abs_i32 s22, s33
	s_xor_b32 s3, s33, s3
	v_rcp_iflag_f32_e32 v1, v1
	s_ashr_i32 s3, s3, 31
	s_load_dwordx2 s[28:29], s[0:1], 0x80
	v_mov_b32_e32 v49, 0
	v_mul_f32_e32 v1, 0x4f7ffffe, v1
	v_cvt_u32_f32_e32 v1, v1
	v_or_b32_e32 v63, 64, v64
	s_mul_hi_i32 s48, s33, s12
	s_mul_i32 s49, s33, s12
	v_readfirstlane_b32 s25, v1
	s_mul_i32 s23, s23, s25
	s_mul_hi_u32 s23, s25, s23
	s_add_i32 s25, s25, s23
	s_mul_hi_u32 s23, s22, s25
	s_mul_i32 s25, s23, s24
	s_sub_i32 s22, s22, s25
	s_add_i32 s25, s23, 1
	s_sub_i32 s26, s22, s24
	s_cmp_ge_u32 s22, s24
	s_cselect_b32 s23, s25, s23
	s_cselect_b32 s22, s26, s22
	s_add_i32 s25, s23, 1
	s_cmp_ge_u32 s22, s24
	s_cselect_b32 s22, s25, s23
	s_xor_b32 s22, s22, s3
	s_sub_i32 s51, s22, s3
	s_lshl_b32 s30, s2, 4
	v_and_b32_e32 v1, 15, v0
	s_cmp_lt_i32 s47, 64
	v_lshrrev_b32_e32 v62, 3, v58
	v_lshlrev_b32_e32 v61, 3, v0
	s_mul_i32 s42, s20, s17
	s_mul_hi_u32 s43, s20, s16
	s_mul_i32 s44, s21, s16
	s_mul_i32 s16, s20, s16
	v_mov_b32_e32 v48, v49
	v_mov_b32_e32 v51, v49
	;; [unrolled: 1-line block ×7, first 2 shown]
	s_cbranch_scc1 .LBB648_18
; %bb.1:
	s_ashr_i32 s53, s33, 31
	s_ashr_i32 s3, s34, 31
	s_add_u32 s2, s49, s34
	s_addc_u32 s3, s48, s3
	s_lshl_b64 s[2:3], s[2:3], 8
	v_and_b32_e32 v66, 56, v61
	s_add_u32 s20, s6, s2
	v_lshl_or_b32 v65, v59, 3, v62
	v_lshlrev_b32_e32 v3, 1, v66
	s_addc_u32 s2, s7, s3
	v_lshl_or_b32 v67, v65, 8, v3
	s_and_b32 s21, s2, 0xffff
	s_mov_b32 s23, 0x20000
	s_movk_i32 s22, 0x4000
	s_movk_i32 s2, 0x80
	v_or_b32_e32 v68, 0x2000, v67
	buffer_load_dwordx4 v[4:7], v67, s[20:23], 0 offen
	buffer_load_dwordx4 v[8:11], v67, s[20:23], s2 offen
	;; [unrolled: 1-line block ×4, first 2 shown]
	v_lshlrev_b32_e32 v20, 3, v65
	v_and_or_b32 v22, v0, 7, v20
	v_and_b32_e32 v20, 0x78, v20
	v_lshlrev_b32_e32 v22, 4, v22
	v_xor_b32_e32 v69, v22, v20
	v_mul_lo_u32 v21, v65, s15
	v_or_b32_e32 v70, 0x1000, v69
	s_cmpk_eq_i32 s15, 0x80
	s_mov_b32 s50, s13
	s_mov_b32 s52, s34
	v_xor_b32_e32 v20, 8, v69
	v_xor_b32_e32 v22, 8, v70
	s_cselect_b64 s[2:3], -1, 0
	s_cmpk_lg_i32 s15, 0x80
	s_waitcnt vmcnt(3)
	ds_write_b64 v69, v[4:5] offset:16384
	ds_write_b64 v20, v[6:7] offset:16384
	s_waitcnt vmcnt(2)
	ds_write_b64 v69, v[8:9] offset:24576
	ds_write_b64 v20, v[10:11] offset:24576
	;; [unrolled: 3-line block ×4, first 2 shown]
	v_lshl_add_u32 v4, v21, 1, v66
	s_cbranch_scc0 .LBB648_3
; %bb.2:
	v_lshlrev_b32_e32 v6, 1, v4
	v_add_lshl_u32 v5, v4, s15, 1
	s_lshl_b32 s22, s15, 7
	s_load_dwordx2 s[38:39], s[0:1], 0x20
	v_lshl_or_b32 v3, v65, 9, v3
	s_cbranch_execz .LBB648_4
	s_branch .LBB648_5
.LBB648_3:
                                        ; implicit-def: $vgpr5
                                        ; implicit-def: $vgpr6
                                        ; implicit-def: $sgpr22
	s_load_dwordx2 s[38:39], s[0:1], 0x20
	v_lshl_or_b32 v3, v65, 9, v3
.LBB648_4:
	v_or_b32_e32 v5, 0x100, v3
	s_movk_i32 s22, 0x4000
	v_mov_b32_e32 v6, v3
.LBB648_5:
	s_mul_i32 s0, s34, s14
	s_ashr_i32 s54, s51, 31
	s_mul_hi_i32 s1, s34, s14
	s_add_u32 s0, s0, s51
	s_addc_u32 s1, s1, s54
	s_lshl_b64 s[0:1], s[0:1], 8
	s_add_u32 s20, s4, s0
	s_addc_u32 s0, s5, s1
	s_and_b32 s21, s0, 0xffff
	s_movk_i32 s55, 0x80
	buffer_load_dwordx4 v[8:11], v6, s[20:23], 0 offen
	buffer_load_dwordx4 v[12:15], v6, s[20:23], s55 offen
	;; [unrolled: 1-line block ×4, first 2 shown]
	v_and_b32_e32 v5, 6, v0
	v_lshlrev_b32_e32 v7, 2, v1
	v_lshlrev_b32_e32 v24, 3, v1
	v_xor_b32_e32 v26, v65, v5
	v_and_b32_e32 v6, 1, v0
	v_lshl_or_b32 v24, v64, 5, v24
	v_xor_b32_e32 v27, v64, v7
	v_lshlrev_b32_e32 v26, 2, v26
	s_mul_i32 s1, s33, s19
	s_mul_hi_u32 s17, s33, s18
	v_or_b32_e32 v71, 0x9000, v24
	v_or_b32_e32 v72, 0x9800, v24
	v_lshlrev_b32_e32 v24, 1, v27
	v_xor_b32_e32 v27, 0x440, v26
	v_cmp_eq_u32_e32 vcc, 0, v6
	s_add_i32 s21, s43, s42
	s_mul_i32 s20, s53, s18
	v_cndmask_b32_e32 v6, v27, v26, vcc
	s_add_i32 s1, s17, s1
	s_add_i32 s17, s21, s44
	s_mov_b32 s56, 0x1000504
	v_lshlrev_b32_e32 v25, 8, v1
	s_mov_b32 s22, 0x8000
	v_xor_b32_e32 v7, v63, v7
	v_lshl_or_b32 v5, v5, 10, v6
	s_add_i32 s1, s1, s20
	s_lshl_b64 s[20:21], s[16:17], 2
	s_mov_b32 s57, 0x3020706
	s_mul_i32 s0, s33, s18
	v_lshlrev_b32_e32 v7, 1, v7
	v_or3_b32 v73, v24, v25, s22
	v_xor_b32_e32 v6, 8, v5
	v_xor_b32_e32 v24, 24, v5
	;; [unrolled: 1-line block ×4, first 2 shown]
	s_add_u32 s17, s10, s20
	v_or3_b32 v74, v7, v25, s22
	v_xor_b32_e32 v7, 16, v5
	v_xor_b32_e32 v25, 32, v5
	;; [unrolled: 1-line block ×3, first 2 shown]
	v_add_u32_e32 v6, 0x80, v6
	v_add_u32_e32 v24, 0x80, v24
	;; [unrolled: 1-line block ×4, first 2 shown]
	s_addc_u32 s20, s11, s21
	s_lshl_b64 s[0:1], s[0:1], 2
	s_add_u32 s40, s17, s0
	s_movk_i32 s0, 0xf8
	s_addc_u32 s41, s20, s1
	s_ashr_i32 s31, s30, 31
	s_lshl_b32 s26, s15, 7
	v_mov_b32_e32 v47, 0
	s_mov_b32 s58, 0
	v_add_u32_e32 v85, v45, v2
	s_mov_b32 s17, 0x7060302
	v_mov_b32_e32 v52, v47
	v_mov_b32_e32 v53, v47
	;; [unrolled: 1-line block ×6, first 2 shown]
	s_waitcnt vmcnt(1)
	v_perm_b32 v29, v8, v16, s56
	s_waitcnt vmcnt(0)
	v_perm_b32 v30, v12, v20, s56
	v_perm_b32 v8, v8, v16, s57
	;; [unrolled: 1-line block ×15, first 2 shown]
	ds_write2st64_b32 v5, v29, v30 offset1:32
	ds_write2st64_b32 v6, v8, v12 offset1:32
	ds_write2st64_b32 v7, v16, v20 offset0:1 offset1:33
	ds_write2st64_b32 v24, v9, v13 offset0:1 offset1:33
	;; [unrolled: 1-line block ×6, first 2 shown]
	v_or_b32_e32 v5, v45, v1
	v_lshlrev_b32_e32 v5, 3, v5
	v_lshrrev_b32_e32 v7, 5, v58
	v_and_or_b32 v7, v5, s0, v7
	v_lshlrev_b32_e32 v7, 4, v7
	v_lshrrev_b32_e32 v6, 2, v58
	v_lshlrev_b32_e32 v9, 11, v59
	v_and_b32_e32 v5, 0x78, v5
	v_or_b32_e32 v12, 32, v7
	v_and_b32_e32 v8, 12, v6
	v_and_b32_e32 v6, 0x1000, v9
	v_lshrrev_b32_e32 v11, 1, v58
	v_xor_b32_e32 v12, v12, v5
	v_and_b32_e32 v11, 8, v11
	v_or_b32_e32 v12, v12, v6
	v_xor_b32_e32 v10, v7, v5
	v_xor_b32_e32 v77, v12, v11
	v_or_b32_e32 v12, 64, v7
	v_or_b32_e32 v7, 0x60, v7
	;; [unrolled: 1-line block ×3, first 2 shown]
	v_xor_b32_e32 v12, v12, v5
	v_xor_b32_e32 v5, v7, v5
	;; [unrolled: 1-line block ×3, first 2 shown]
	v_and_b32_e32 v10, 0x78, v61
	v_or_b32_e32 v5, v5, v6
	v_lshl_or_b32 v10, v60, 7, v10
	v_or_b32_e32 v12, v12, v6
	v_xor_b32_e32 v79, v5, v11
	v_lshlrev_b32_e32 v5, 1, v1
	v_or_b32_e32 v76, 0x9000, v10
	v_xor_b32_e32 v78, v12, v11
	v_or_b32_e32 v80, 0x9800, v10
	v_lshlrev_b32_e32 v10, 1, v4
	v_add_lshl_u32 v11, v4, s15, 1
	v_lshrrev_b32_e32 v4, 4, v0
	s_lshl_b64 s[0:1], s[30:31], 8
	v_or_b32_e32 v13, 1, v5
	s_add_u32 s0, s36, s0
	v_xor_b32_e32 v5, v4, v5
	v_xor_b32_e32 v13, v13, v4
	s_addc_u32 s1, s37, s1
	v_lshlrev_b32_e32 v5, 3, v5
	v_lshlrev_b32_e32 v46, 8, v4
	;; [unrolled: 1-line block ×3, first 2 shown]
	v_lshrrev_b32_e32 v17, 1, v0
	v_or3_b32 v81, v5, v46, s22
	v_or3_b32 v82, v4, v46, s22
	v_lshl_add_u64 v[4:5], s[0:1], 0, v[46:47]
	v_lshlrev_b32_e32 v46, 4, v1
	s_movk_i32 s0, 0xff
	v_lshlrev_b32_e32 v16, 3, v59
	v_and_b32_e32 v17, 24, v17
	v_lshl_add_u64 v[54:55], v[4:5], 0, v[46:47]
	v_and_b32_e32 v5, 8, v0
	v_cmp_lt_u32_e32 vcc, s0, v0
	v_xor_b32_e32 v18, v16, v17
	v_or_b32_e32 v19, 0x440, v18
	v_cndmask_b32_e64 v15, 0, 1, vcc
	v_cmp_eq_u32_e32 vcc, 0, v5
	v_or_b32_e32 v21, 64, v17
	v_xor_b32_e32 v21, v16, v21
	v_cndmask_b32_e32 v5, v19, v18, vcc
	v_or_b32_e32 v19, 32, v17
	v_or_b32_e32 v17, 0x60, v17
	v_xor_b32_e32 v19, v16, v19
	v_xor_b32_e32 v16, v16, v17
	v_or_b32_e32 v20, 0x440, v19
	v_xor_b32_e32 v22, 0x440, v21
	v_xor_b32_e32 v17, 0x440, v16
	v_and_b32_e32 v4, 7, v0
	v_cndmask_b32_e32 v19, v20, v19, vcc
	v_cndmask_b32_e32 v21, v22, v21, vcc
	;; [unrolled: 1-line block ×3, first 2 shown]
	v_or_b32_e32 v6, s30, v1
	v_lshlrev_b32_e32 v13, 3, v4
	v_or_b32_e32 v5, v5, v9
	v_or_b32_e32 v19, v19, v9
	;; [unrolled: 1-line block ×4, first 2 shown]
	v_ashrrev_i32_e32 v7, 31, v6
	v_lshlrev_b32_e32 v15, 13, v15
	v_xor_b32_e32 v5, v5, v13
	v_xor_b32_e32 v19, v19, v13
	;; [unrolled: 1-line block ×4, first 2 shown]
	v_lshl_add_u64 v[6:7], v[6:7], 1, s[8:9]
	v_or_b32_e32 v12, 0x100, v3
	v_lshlrev_b32_e32 v14, 7, v4
	v_or_b32_e32 v4, v8, v45
	v_add_u32_e32 v18, v15, v5
	v_add_u32_e32 v20, v15, v19
	;; [unrolled: 1-line block ×4, first 2 shown]
	v_or3_b32 v8, v45, v8, 64
	v_add_u32_e32 v5, 0x2000, v5
	v_add_u32_e32 v15, 0x2000, v19
	;; [unrolled: 1-line block ×4, first 2 shown]
	v_lshlrev_b32_e32 v46, 8, v64
	v_cndmask_b32_e64 v83, v10, v3, s[2:3]
	v_cndmask_b32_e64 v84, v11, v12, s[2:3]
	v_lshl_add_u64 v[56:57], v[6:7], 0, v[46:47]
	s_movk_i32 s22, 0x4000
	v_lshlrev_b32_e32 v86, 2, v4
	v_add_u32_e32 v87, v18, v14
	v_add_u32_e32 v88, v20, v14
	;; [unrolled: 1-line block ×4, first 2 shown]
	v_lshlrev_b32_e32 v91, 2, v8
	v_add_u32_e32 v92, v5, v14
	v_add_u32_e32 v93, v15, v14
	;; [unrolled: 1-line block ×4, first 2 shown]
	v_mov_b32_e32 v46, v47
	s_waitcnt lgkmcnt(0)
	s_barrier
.LBB648_6:                              ; =>This Inner Loop Header: Depth=1
	s_add_i32 s31, s58, 1
	s_cmp_lt_i32 s31, s45
	s_mov_b64 s[24:25], 0
	s_cselect_b64 s[2:3], -1, 0
	s_cmp_ge_i32 s31, s45
	s_mov_b64 s[20:21], 0
	s_cbranch_scc1 .LBB648_8
; %bb.7:                                ;   in Loop: Header=BB648_6 Depth=1
	s_add_i32 s0, s52, 64
	s_ashr_i32 s1, s0, 31
	s_add_u32 s0, s49, s0
	s_addc_u32 s1, s48, s1
	s_lshl_b64 s[0:1], s[0:1], 8
	s_add_u32 s20, s6, s0
	s_addc_u32 s21, s7, s1
.LBB648_8:                              ;   in Loop: Header=BB648_6 Depth=1
	v_cndmask_b32_e64 v2, 0, 1, s[2:3]
	v_cmp_ne_u32_e64 s[0:1], 1, v2
	s_andn2_b64 vcc, exec, s[2:3]
	s_cbranch_vccnz .LBB648_10
; %bb.9:                                ;   in Loop: Header=BB648_6 Depth=1
	s_add_i32 s2, s52, 64
	s_mul_hi_i32 s3, s2, s14
	s_mul_i32 s2, s2, s14
	s_add_u32 s2, s2, s51
	s_addc_u32 s3, s3, s54
	s_lshl_b64 s[2:3], s[2:3], 8
	s_add_u32 s24, s4, s2
	s_addc_u32 s25, s5, s3
.LBB648_10:                             ;   in Loop: Header=BB648_6 Depth=1
	v_perm_b32 v3, v53, v52, s17
	v_perm_b32 v2, v47, v46, s17
	;; [unrolled: 1-line block ×4, first 2 shown]
	ds_write_b64 v71, v[2:3]
	ds_write_b64 v72, v[4:5]
	;; [unrolled: 1-line block ×4, first 2 shown]
	s_waitcnt lgkmcnt(0)
	s_barrier
	ds_read_b64 v[10:11], v75 offset:16384
	ds_read_b64 v[12:13], v77 offset:16384
	ds_read2st64_b64 v[2:5], v76 offset1:1
	s_waitcnt lgkmcnt(0)
	v_mfma_f32_16x16x16_bf16 a[0:3], v[10:11], v[2:3], 0
	ds_read2st64_b64 v[6:9], v76 offset0:2 offset1:3
	ds_read_b64 v[14:15], v78 offset:16384
	ds_read_b64 v[2:3], v79 offset:16384
	s_add_i32 s59, s52, 63
	v_mfma_f32_16x16x16_bf16 a[0:3], v[12:13], v[4:5], a[0:3]
	s_ashr_i32 s2, s59, 31
	s_mul_i32 s3, s59, s29
	s_mul_hi_u32 s27, s59, s28
	s_waitcnt lgkmcnt(1)
	v_mfma_f32_16x16x16_bf16 a[0:3], v[14:15], v[6:7], a[0:3]
	s_add_i32 s3, s27, s3
	s_mul_i32 s2, s2, s28
	s_add_i32 s3, s3, s2
	s_mul_i32 s2, s59, s28
	s_waitcnt lgkmcnt(0)
	v_mfma_f32_16x16x16_bf16 a[0:3], v[2:3], v[8:9], a[0:3]
	s_lshl_b64 s[2:3], s[2:3], 2
	s_add_u32 s2, s40, s2
	s_addc_u32 s3, s41, s3
	s_and_b64 vcc, exec, s[0:1]
	v_mov_b32_e32 v98, 0
	v_mov_b32_e32 v97, 0
	;; [unrolled: 1-line block ×19, first 2 shown]
	s_cbranch_vccnz .LBB648_12
; %bb.11:                               ;   in Loop: Header=BB648_6 Depth=1
	s_and_b32 s21, s21, 0xffff
	buffer_load_dwordx4 v[14:17], v67, s[20:23], 0 offen
	buffer_load_dwordx4 v[10:13], v67, s[20:23], s55 offen
	;; [unrolled: 1-line block ×4, first 2 shown]
	v_mov_b32_e32 v97, v69
	v_mov_b32_e32 v96, v70
.LBB648_12:                             ;   in Loop: Header=BB648_6 Depth=1
	v_add_u32_e32 v22, s52, v85
	v_ashrrev_i32_e32 v18, 31, v22
	v_mul_lo_u32 v20, v18, s28
	v_mul_lo_u32 v21, v22, s29
	v_mad_u64_u32 v[18:19], s[20:21], v22, s28, 0
	v_add3_u32 v19, v19, v21, v20
	v_lshl_add_u64 v[18:19], v[18:19], 2, s[40:41]
	global_load_dword v40, v[18:19], off
	v_add_u32_e32 v18, 1, v22
	v_ashrrev_i32_e32 v19, 31, v18
	v_mul_lo_u32 v20, v19, s28
	v_mul_lo_u32 v21, v18, s29
	v_mad_u64_u32 v[18:19], s[20:21], v18, s28, 0
	v_add3_u32 v19, v19, v21, v20
	v_add_u32_e32 v20, 2, v22
	v_ashrrev_i32_e32 v21, 31, v20
	v_mul_lo_u32 v23, v21, s28
	v_mul_lo_u32 v24, v20, s29
	v_mad_u64_u32 v[20:21], s[20:21], v20, s28, 0
	v_add_u32_e32 v22, 3, v22
	v_add3_u32 v21, v21, v24, v23
	v_ashrrev_i32_e32 v23, 31, v22
	v_mul_lo_u32 v26, v23, s28
	v_mul_lo_u32 v27, v22, s29
	v_mad_u64_u32 v[22:23], s[20:21], v22, s28, 0
	s_ashr_i32 s21, s52, 31
	s_add_u32 s20, s49, s52
	s_addc_u32 s21, s48, s21
	s_lshl_b64 s[20:21], s[20:21], 8
	v_lshl_add_u64 v[18:19], v[18:19], 2, s[40:41]
	v_lshl_add_u64 v[24:25], v[56:57], 0, s[20:21]
	v_add3_u32 v23, v23, v27, v26
	v_lshl_add_u64 v[20:21], v[20:21], 2, s[40:41]
	global_load_ushort v41, v[24:25], off
	global_load_ushort v42, v[24:25], off offset:256
	global_load_ushort v43, v[24:25], off offset:512
	global_load_ushort v44, v[24:25], off offset:768
	v_lshl_add_u64 v[22:23], v[22:23], 2, s[40:41]
	global_load_dword v100, v[18:19], off
	global_load_dword v101, v[20:21], off
	;; [unrolled: 1-line block ×3, first 2 shown]
	s_load_dword s2, s[2:3], 0x0
	ds_read2st64_b64 v[26:29], v80 offset1:1
	ds_read2st64_b64 v[30:33], v80 offset0:2 offset1:3
	ds_read_b64 v[24:25], v75 offset:24576
	ds_read_b64 v[34:35], v77 offset:24576
	;; [unrolled: 1-line block ×4, first 2 shown]
	s_waitcnt lgkmcnt(0)
	v_mfma_f32_16x16x16_bf16 a[0:3], v[24:25], v[26:27], a[0:3]
	v_mov_b32_e32 v99, 0
	v_mov_b32_e32 v18, 0
	v_mov_b32_e32 v19, 0
	v_mfma_f32_16x16x16_bf16 a[0:3], v[34:35], v[28:29], a[0:3]
	v_mov_b32_e32 v20, 0
	v_mov_b32_e32 v21, 0
	v_mov_b32_e32 v22, 0
	;; [unrolled: 4-line block ×4, first 2 shown]
	v_mov_b32_e32 v29, 0
	v_mov_b32_e32 v30, 0
	;; [unrolled: 1-line block ×3, first 2 shown]
	s_and_b64 vcc, exec, s[0:1]
	v_accvgpr_read_b32 v35, a1
	v_accvgpr_read_b32 v33, a3
	;; [unrolled: 1-line block ×4, first 2 shown]
	s_waitcnt vmcnt(7)
	v_sub_f32_e32 v40, s2, v40
	v_exp_f32_e32 v40, v40
	s_waitcnt vmcnt(6)
	v_lshlrev_b32_e32 v36, 16, v41
	s_waitcnt vmcnt(5)
	v_lshlrev_b32_e32 v37, 16, v42
	;; [unrolled: 2-line block ×3, first 2 shown]
	s_waitcnt vmcnt(2)
	v_sub_f32_e32 v41, s2, v100
	s_waitcnt vmcnt(1)
	v_sub_f32_e32 v42, s2, v101
	;; [unrolled: 2-line block ×3, first 2 shown]
	v_exp_f32_e32 v41, v41
	v_exp_f32_e32 v42, v42
	;; [unrolled: 1-line block ×3, first 2 shown]
	v_lshlrev_b32_e32 v39, 16, v44
	v_pk_add_f32 v[34:35], v[36:37], v[34:35] neg_lo:[0,1] neg_hi:[0,1]
	v_pk_add_f32 v[32:33], v[38:39], v[32:33] neg_lo:[0,1] neg_hi:[0,1]
	v_pk_mul_f32 v[34:35], v[40:41], v[34:35]
	v_pk_mul_f32 v[32:33], v[42:43], v[32:33]
	s_nop 0
	v_perm_b32 v33, v33, v32, s17
	v_perm_b32 v32, v35, v34, s17
	ds_write_b64 v72, v[32:33]
	v_mov_b32_e32 v32, 0
	v_mov_b32_e32 v33, 0
	s_cbranch_vccnz .LBB648_14
; %bb.13:                               ;   in Loop: Header=BB648_6 Depth=1
	s_and_b32 s25, s25, 0xffff
	s_mov_b32 s27, s23
	buffer_load_dwordx4 v[30:33], v83, s[24:27], 0 offen
	buffer_load_dwordx4 v[22:25], v83, s[24:27], s55 offen
	buffer_load_dwordx4 v[26:29], v84, s[24:27], 0 offen
	buffer_load_dwordx4 v[18:21], v84, s[24:27], s55 offen
	v_mov_b32_e32 v98, v66
	v_mov_b32_e32 v99, v65
.LBB648_14:                             ;   in Loop: Header=BB648_6 Depth=1
	s_waitcnt lgkmcnt(0)
	s_barrier
	ds_read_b64 v[34:35], v87
	ds_read_b64 v[40:41], v88
	ds_read2st64_b64 v[36:39], v80 offset1:1
	ds_read2st64_b64 v[100:103], v80 offset0:2 offset1:3
	ds_read_b64 v[42:43], v89
	ds_read_b64 v[108:109], v90
	s_add_i32 s3, s46, s58
	s_mul_hi_i32 s21, s3, s50
	s_mul_i32 s3, s3, s50
	s_waitcnt lgkmcnt(3)
	v_mfma_f32_16x16x16_bf16 a[0:3], v[34:35], v[36:37], 0
	ds_read_b64 v[34:35], v92
	s_add_u32 s20, s3, s33
	s_addc_u32 s21, s21, s53
	v_mfma_f32_16x16x16_bf16 a[0:3], v[40:41], v[38:39], a[0:3]
	ds_read_b64 v[40:41], v93
	s_lshl_b64 s[20:21], s[20:21], 15
	s_mul_i32 s24, s59, s50
	s_mul_hi_i32 s3, s59, s50
	s_add_u32 s24, s24, s33
	s_addc_u32 s25, s3, s53
	s_lshl_b64 s[24:25], s[24:25], 9
	s_add_u32 s24, s38, s24
	s_waitcnt lgkmcnt(1)
	v_mfma_f32_16x16x16_bf16 a[4:7], v[34:35], v[36:37], 0
	s_addc_u32 s25, s39, s25
	s_and_b64 vcc, exec, s[0:1]
	v_mfma_f32_16x16x16_bf16 a[0:3], v[42:43], v[100:101], a[0:3]
	ds_read_b64 v[42:43], v94
	ds_read_b64 v[110:111], v95
	global_load_dwordx4 v[34:37], v91, s[24:25]
	s_waitcnt lgkmcnt(2)
	v_mfma_f32_16x16x16_bf16 a[4:7], v[40:41], v[38:39], a[4:7]
	global_load_dwordx4 v[38:41], v86, s[24:25]
	ds_read_b64 v[104:105], v81
	ds_read_b64 v[106:107], v82
	s_waitcnt lgkmcnt(3)
	v_mfma_f32_16x16x16_bf16 a[8:11], v[42:43], v[100:101], a[4:7]
	v_lshl_add_u64 v[42:43], v[54:55], 0, s[20:21]
	s_waitcnt lgkmcnt(0)
	global_store_dwordx4 v[42:43], v[104:107], off
	v_mfma_f32_16x16x16_bf16 a[4:7], v[108:109], v[102:103], a[0:3]
	s_waitcnt vmcnt(2)
	v_mov_b32_e32 v44, v37
	v_mfma_f32_16x16x16_bf16 a[0:3], v[110:111], v[102:103], a[8:11]
	v_mov_b32_e32 v43, v36
	v_mov_b32_e32 v42, v35
	s_cbranch_vccnz .LBB648_16
; %bb.15:                               ;   in Loop: Header=BB648_6 Depth=1
	v_lshrrev_b32_e32 v35, 3, v98
	v_and_b32_e32 v35, 6, v35
	v_xor_b32_e32 v36, v35, v99
	v_lshlrev_b32_e32 v36, 2, v36
	v_and_b32_e32 v37, 8, v98
	v_xor_b32_e32 v98, 0x440, v36
	v_cmp_eq_u32_e32 vcc, 0, v37
	v_perm_b32 v37, v22, v18, s56
	s_nop 0
	v_cndmask_b32_e32 v36, v98, v36, vcc
	v_lshl_or_b32 v35, v35, 10, v36
	v_perm_b32 v36, v30, v26, s56
	s_barrier
	ds_write2st64_b32 v35, v36, v37 offset1:32
	v_xor_b32_e32 v36, 8, v35
	v_perm_b32 v26, v30, v26, s57
	v_perm_b32 v18, v22, v18, s57
	v_add_u32_e32 v22, 0x80, v36
	ds_write2st64_b32 v22, v26, v18 offset1:32
	v_xor_b32_e32 v18, 16, v35
	v_perm_b32 v22, v31, v27, s56
	v_perm_b32 v26, v23, v19, s56
	ds_write2st64_b32 v18, v22, v26 offset0:1 offset1:33
	v_xor_b32_e32 v18, 24, v35
	v_perm_b32 v22, v31, v27, s57
	v_perm_b32 v19, v23, v19, s57
	v_add_u32_e32 v18, 0x80, v18
	ds_write2st64_b32 v18, v22, v19 offset0:1 offset1:33
	v_xor_b32_e32 v18, 32, v35
	v_perm_b32 v19, v32, v28, s56
	v_perm_b32 v22, v24, v20, s56
	ds_write2st64_b32 v18, v19, v22 offset0:2 offset1:34
	v_xor_b32_e32 v18, 40, v35
	v_perm_b32 v19, v32, v28, s57
	v_perm_b32 v20, v24, v20, s57
	v_add_u32_e32 v18, 0x80, v18
	ds_write2st64_b32 v18, v19, v20 offset0:2 offset1:34
	;; [unrolled: 9-line block ×3, first 2 shown]
	ds_write_b64 v97, v[14:15] offset:16384
	v_xor_b32_e32 v14, 8, v97
	ds_write_b64 v14, v[16:17] offset:16384
	ds_write_b64 v97, v[10:11] offset:24576
	;; [unrolled: 1-line block ×4, first 2 shown]
	v_xor_b32_e32 v6, 8, v96
	ds_write_b64 v6, v[8:9] offset:16384
	ds_write_b64 v96, v[2:3] offset:24576
	;; [unrolled: 1-line block ×3, first 2 shown]
.LBB648_16:                             ;   in Loop: Header=BB648_6 Depth=1
	v_exp_f32_e32 v10, s2
	s_waitcnt vmcnt(1)
	v_exp_f32_e32 v12, v38
	v_exp_f32_e32 v13, v39
	;; [unrolled: 1-line block ×4, first 2 shown]
	v_accvgpr_read_b32 v2, a4
	v_accvgpr_read_b32 v3, a5
	v_pk_mul_f32 v[12:13], v[10:11], v[12:13] op_sel_hi:[0,1]
	v_pk_fma_f32 v[46:47], v[46:47], v[12:13], v[2:3]
	v_exp_f32_e32 v12, v34
	v_exp_f32_e32 v13, v42
	v_pk_mul_f32 v[2:3], v[10:11], v[14:15] op_sel_hi:[0,1]
	v_exp_f32_e32 v14, v43
	v_exp_f32_e32 v15, v44
	v_accvgpr_read_b32 v4, a6
	v_accvgpr_read_b32 v5, a7
	;; [unrolled: 1-line block ×5, first 2 shown]
	v_pk_fma_f32 v[52:53], v[52:53], v[2:3], v[4:5]
	v_pk_mul_f32 v[2:3], v[10:11], v[12:13] op_sel_hi:[0,1]
	v_accvgpr_read_b32 v8, a2
	v_pk_fma_f32 v[50:51], v[50:51], v[2:3], v[6:7]
	v_pk_mul_f32 v[2:3], v[10:11], v[14:15] op_sel_hi:[0,1]
	s_add_i32 s52, s52, 64
	s_cmp_eq_u32 s45, s31
	v_pk_fma_f32 v[48:49], v[48:49], v[2:3], v[8:9]
	s_cbranch_scc1 .LBB648_18
; %bb.17:                               ;   in Loop: Header=BB648_6 Depth=1
	s_mov_b32 s58, s31
	s_branch .LBB648_6
.LBB648_18:
	s_lshl_b32 s0, s45, 6
	s_sub_i32 s40, s47, s0
	s_cmp_gt_i32 s40, 0
	s_cbranch_scc0 .LBB648_75
; %bb.19:
	s_add_i32 s34, s0, s34
	s_ashr_i32 s2, s34, 31
	s_cmpk_lg_i32 s15, 0x80
	s_cselect_b64 s[26:27], -1, 0
	s_and_b64 vcc, exec, s[26:27]
	s_cbranch_vccz .LBB648_21
; %bb.20:
	s_mul_i32 s1, s34, s14
	s_ashr_i32 s3, s51, 31
	s_mul_hi_i32 s0, s34, s14
	s_add_u32 s38, s1, s51
	s_addc_u32 s39, s0, s3
	s_cbranch_execz .LBB648_22
	s_branch .LBB648_23
.LBB648_21:
                                        ; implicit-def: $sgpr38_sgpr39
.LBB648_22:
	s_mul_i32 s1, s51, s12
	s_mul_hi_i32 s0, s51, s12
	s_add_u32 s38, s1, s34
	s_addc_u32 s39, s0, s2
.LBB648_23:
	s_add_i32 s3, s45, s46
	s_ashr_i32 s12, s33, 31
	s_add_u32 s0, s49, s34
	s_addc_u32 s1, s48, s2
	s_mov_b32 s2, 0x7060302
	v_lshlrev_b32_e32 v6, 3, v1
	s_lshl_b64 s[24:25], s[0:1], 8
	v_perm_b32 v3, v53, v52, s2
	v_perm_b32 v2, v47, v46, s2
	;; [unrolled: 1-line block ×4, first 2 shown]
	v_lshlrev_b32_e32 v34, 2, v1
	v_lshl_or_b32 v6, v64, 5, v6
	s_add_u32 s0, s6, s24
	ds_write2st64_b64 v6, v[2:3], v[4:5] offset0:72 offset1:76
	v_xor_b32_e32 v6, v64, v34
	v_lshlrev_b32_e32 v7, 8, v1
	s_addc_u32 s1, s7, s25
	v_lshl_or_b32 v6, v6, 1, v7
	s_mul_hi_i32 s6, s3, s13
	s_mul_i32 s3, s3, s13
	ds_write_b64 v6, v[2:3] offset:32768
	v_xor_b32_e32 v2, v63, v34
	s_add_u32 s2, s3, s33
	v_lshl_or_b32 v2, v2, 1, v7
	s_addc_u32 s3, s6, s12
	v_lshlrev_b32_e32 v3, 1, v1
	ds_write_b64 v2, v[4:5] offset:32768
	v_lshrrev_b32_e32 v2, 4, v0
	s_ashr_i32 s31, s30, 31
	s_lshl_b64 s[2:3], s[2:3], 15
	v_or_b32_e32 v4, 1, v3
	s_add_u32 s6, s36, s2
	v_xor_b32_e32 v3, v2, v3
	v_xor_b32_e32 v4, v4, v2
	v_lshlrev_b32_e32 v6, 8, v2
	s_addc_u32 s7, s37, s3
	s_lshl_b64 s[2:3], s[30:31], 8
	v_lshl_or_b32 v2, v3, 3, v6
	v_lshl_or_b32 v4, v4, 3, v6
	s_waitcnt lgkmcnt(0)
	s_barrier
	s_add_u32 s2, s6, s2
	ds_read_b64 v[2:3], v2 offset:32768
	ds_read_b64 v[4:5], v4 offset:32768
	s_addc_u32 s3, s7, s3
	v_mov_b32_e32 v7, 0
	s_cmp_lg_u32 s40, 64
	v_lshl_add_u64 v[8:9], s[2:3], 0, v[6:7]
	v_lshlrev_b32_e32 v6, 4, v1
	s_cselect_b64 s[6:7], -1, 0
	v_lshl_or_b32 v35, v59, 3, v62
	s_mov_b32 s20, 0
	v_lshl_add_u64 v[6:7], v[8:9], 0, v[6:7]
	v_or_b32_e32 v19, 32, v35
	v_and_b32_e32 v18, 56, v61
	s_and_b64 vcc, exec, s[6:7]
	s_waitcnt lgkmcnt(0)
	global_store_dwordx4 v[6:7], v[2:5], off
	s_cbranch_vccz .LBB648_29
; %bb.24:
	s_mov_b32 s21, s20
	s_mov_b32 s22, s20
	;; [unrolled: 1-line block ×3, first 2 shown]
	v_mov_b64_e32 v[6:7], s[20:21]
	v_mov_b64_e32 v[8:9], s[22:23]
	;; [unrolled: 1-line block ×3, first 2 shown]
	v_cmp_gt_i32_e32 vcc, s40, v35
	v_mov_b64_e32 v[4:5], v[8:9]
	s_and_saveexec_b64 s[2:3], vcc
	s_cbranch_execz .LBB648_26
; %bb.25:
	v_lshlrev_b32_e32 v2, 8, v35
	v_mov_b32_e32 v3, 0
	v_lshl_add_u64 v[4:5], s[0:1], 0, v[2:3]
	v_lshlrev_b32_e32 v2, 1, v18
	v_lshl_add_u64 v[10:11], v[4:5], 0, v[2:3]
	global_load_dwordx4 v[6:9], v[10:11], off
	global_load_dwordx4 v[2:5], v[10:11], off offset:128
.LBB648_26:
	s_or_b64 exec, exec, s[2:3]
	s_mov_b32 s21, s20
	s_mov_b32 s22, s20
	;; [unrolled: 1-line block ×3, first 2 shown]
	v_mov_b64_e32 v[14:15], s[20:21]
	v_mov_b64_e32 v[16:17], s[22:23]
	v_mov_b64_e32 v[10:11], v[14:15]
	v_cmp_gt_i32_e32 vcc, s40, v19
	v_lshlrev_b32_e32 v20, 7, v19
	v_mov_b64_e32 v[12:13], v[16:17]
	s_and_saveexec_b64 s[2:3], vcc
	s_cbranch_execz .LBB648_28
; %bb.27:
	v_lshlrev_b32_e32 v10, 1, v20
	v_mov_b32_e32 v11, 0
	v_lshl_add_u64 v[12:13], s[0:1], 0, v[10:11]
	v_lshlrev_b32_e32 v10, 1, v18
	v_lshl_add_u64 v[22:23], v[12:13], 0, v[10:11]
	global_load_dwordx4 v[14:17], v[22:23], off
	global_load_dwordx4 v[10:13], v[22:23], off offset:128
.LBB648_28:
	s_or_b64 exec, exec, s[2:3]
	v_lshrrev_b32_e32 v21, 3, v18
	v_lshlrev_b32_e32 v22, 3, v35
	v_or_b32_e32 v21, v22, v21
	v_lshlrev_b32_e32 v21, 4, v21
	v_and_b32_e32 v22, 0x78, v22
	v_xor_b32_e32 v21, v21, v22
	s_branch .LBB648_31
.LBB648_29:
                                        ; implicit-def: $vgpr21
                                        ; implicit-def: $vgpr20
                                        ; implicit-def: $vgpr6_vgpr7_vgpr8_vgpr9
                                        ; implicit-def: $vgpr2_vgpr3_vgpr4_vgpr5
                                        ; implicit-def: $vgpr14_vgpr15_vgpr16_vgpr17
                                        ; implicit-def: $vgpr10_vgpr11_vgpr12_vgpr13
	s_cbranch_execz .LBB648_31
; %bb.30:
	s_waitcnt vmcnt(0)
	v_lshlrev_b32_e32 v2, 1, v18
	v_lshl_or_b32 v20, v35, 8, v2
	s_and_b32 s1, s1, 0xffff
	s_mov_b32 s3, 0x20000
	s_movk_i32 s2, 0x4000
	v_lshl_or_b32 v21, v19, 8, v2
	s_movk_i32 s13, 0x80
	buffer_load_dwordx4 v[6:9], v20, s[0:3], 0 offen
	buffer_load_dwordx4 v[2:5], v20, s[0:3], s13 offen
	buffer_load_dwordx4 v[14:17], v21, s[0:3], 0 offen
	buffer_load_dwordx4 v[10:13], v21, s[0:3], s13 offen
	v_lshrrev_b32_e32 v20, 3, v18
	v_lshlrev_b32_e32 v21, 3, v35
	v_or_b32_e32 v20, v21, v20
	v_lshlrev_b32_e32 v20, 4, v20
	v_and_b32_e32 v21, 0x78, v21
	v_xor_b32_e32 v21, v20, v21
	v_lshlrev_b32_e32 v20, 7, v19
.LBB648_31:
	s_lshl_b64 s[0:1], s[38:39], 8
	s_add_u32 s4, s4, s0
	s_movk_i32 s0, 0x1000
	v_and_or_b32 v19, v20, s0, v21
	s_waitcnt vmcnt(1)
	ds_write_b64 v21, v[6:7] offset:16384
	v_xor_b32_e32 v6, 8, v21
	ds_write_b64 v6, v[8:9] offset:16384
	s_waitcnt vmcnt(0)
	ds_write_b64 v21, v[2:3] offset:24576
	ds_write_b64 v6, v[4:5] offset:24576
	;; [unrolled: 1-line block ×3, first 2 shown]
	v_xor_b32_e32 v2, 8, v19
	ds_write_b64 v2, v[16:17] offset:16384
	ds_write_b64 v19, v[10:11] offset:24576
	;; [unrolled: 1-line block ×3, first 2 shown]
	v_or_b32_e32 v2, v45, v1
	v_lshlrev_b32_e32 v2, 3, v2
	v_lshrrev_b32_e32 v4, 5, v58
	s_movk_i32 s14, 0xf8
	v_and_or_b32 v4, v2, s14, v4
	v_lshlrev_b32_e32 v3, 11, v59
	v_lshlrev_b32_e32 v12, 4, v4
	v_and_b32_e32 v13, 0x78, v2
	v_and_b32_e32 v14, 0x1000, v3
	v_lshlrev_b32_e32 v3, 2, v0
	v_xor_b32_e32 v2, v12, v13
	v_lshrrev_b32_e32 v4, 1, v58
	v_and_b32_e32 v3, 60, v3
	v_or_b32_e32 v2, v2, v14
	v_and_b32_e32 v15, 8, v4
	v_xor_b32_e32 v26, v2, v15
	v_lshl_or_b32 v2, v60, 6, v3
	v_lshlrev_b32_e32 v19, 1, v2
	v_or_b32_e32 v2, 32, v12
	v_xor_b32_e32 v2, v2, v13
	s_waitcnt lgkmcnt(0)
	s_barrier
	ds_read_b64 v[10:11], v26 offset:16384
	v_or_b32_e32 v2, v2, v14
	v_xor_b32_e32 v27, v2, v15
	v_or_b32_e32 v2, 64, v12
	v_xor_b32_e32 v2, v2, v13
	v_or_b32_e32 v2, v2, v14
	v_or_b32_e32 v12, 0x60, v12
	v_xor_b32_e32 v28, v2, v15
	ds_read2st64_b64 v[2:5], v19 offset0:72 offset1:73
	ds_read2st64_b64 v[6:9], v19 offset0:74 offset1:75
	v_xor_b32_e32 v16, v12, v13
	ds_read_b64 v[12:13], v27 offset:16384
	s_addc_u32 s5, s5, s1
	s_add_i32 s0, s43, s42
	s_waitcnt lgkmcnt(2)
	v_mfma_f32_16x16x16_bf16 a[0:3], v[10:11], v[2:3], 0
	s_add_i32 s2, s35, -1
	s_add_i32 s17, s0, s44
	s_mul_i32 s0, s33, s19
	s_mul_hi_u32 s1, s33, s18
	s_add_i32 s0, s1, s0
	s_mul_i32 s1, s12, s18
	s_ashr_i32 s3, s2, 31
	s_mul_i32 s12, s2, s29
	s_mul_hi_u32 s13, s2, s28
	s_add_i32 s12, s13, s12
	s_mul_i32 s3, s3, s28
	v_or_b32_e32 v14, v16, v14
	s_add_i32 s1, s0, s1
	s_add_i32 s3, s12, s3
	s_lshl_b64 s[12:13], s[16:17], 2
	v_xor_b32_e32 v36, v14, v15
	ds_read_b64 v[14:15], v28 offset:16384
	ds_read_b64 v[16:17], v36 offset:16384
	s_waitcnt lgkmcnt(2)
	v_mfma_f32_16x16x16_bf16 a[0:3], v[12:13], v[4:5], a[0:3]
	s_mul_i32 s0, s33, s18
	s_add_u32 s10, s10, s12
	s_addc_u32 s11, s11, s13
	s_lshl_b64 s[0:1], s[0:1], 2
	s_mul_i32 s2, s2, s28
	s_add_u32 s10, s10, s0
	s_addc_u32 s11, s11, s1
	s_lshl_b64 s[0:1], s[2:3], 2
	s_waitcnt lgkmcnt(1)
	v_mfma_f32_16x16x16_bf16 a[0:3], v[14:15], v[6:7], a[0:3]
	s_add_u32 s0, s10, s0
	s_addc_u32 s1, s11, s1
	s_load_dword s12, s[0:1], 0x0
	s_waitcnt lgkmcnt(0)
	v_mfma_f32_16x16x16_bf16 a[0:3], v[16:17], v[8:9], a[0:3]
	s_and_b64 vcc, exec, s[26:27]
	s_cbranch_vccz .LBB648_42
; %bb.32:
	v_lshlrev_b32_e32 v20, 1, v35
	s_and_b64 vcc, exec, s[6:7]
	s_cbranch_vccz .LBB648_43
; %bb.33:
	v_cmp_gt_i32_e32 vcc, s40, v20
	v_mov_b32_e32 v6, 0
	v_mov_b32_e32 v2, 0
	;; [unrolled: 1-line block ×5, first 2 shown]
	s_and_saveexec_b64 s[0:1], vcc
	s_cbranch_execz .LBB648_35
; %bb.34:
	v_mad_i64_i32 v[2:3], s[2:3], s15, v20, 0
	v_lshl_add_u64 v[2:3], v[2:3], 1, s[4:5]
	v_lshlrev_b32_e32 v4, 1, v18
	v_mov_b32_e32 v5, 0
	v_lshl_add_u64 v[2:3], v[2:3], 0, v[4:5]
	global_load_dwordx4 v[2:5], v[2:3], off
.LBB648_35:
	s_or_b64 exec, exec, s[0:1]
	v_or_b32_e32 v21, 1, v20
	v_cmp_gt_i32_e64 s[0:1], s40, v21
	v_mov_b32_e32 v7, 0
	v_mov_b32_e32 v8, 0
	;; [unrolled: 1-line block ×3, first 2 shown]
	s_and_saveexec_b64 s[2:3], s[0:1]
	s_cbranch_execz .LBB648_37
; %bb.36:
	v_mad_i64_i32 v[6:7], s[16:17], s15, v21, 0
	v_lshl_add_u64 v[6:7], v[6:7], 1, s[4:5]
	v_lshlrev_b32_e32 v8, 1, v18
	v_mov_b32_e32 v9, 0
	v_lshl_add_u64 v[6:7], v[6:7], 0, v[8:9]
	global_load_dwordx4 v[6:9], v[6:7], off
.LBB648_37:
	s_or_b64 exec, exec, s[2:3]
	v_mov_b32_e32 v17, 0
	v_mov_b32_e32 v10, 0
	;; [unrolled: 1-line block ×5, first 2 shown]
	s_and_saveexec_b64 s[2:3], vcc
	s_cbranch_execz .LBB648_39
; %bb.38:
	v_mad_i64_i32 v[10:11], s[16:17], s15, v20, 0
	v_lshl_add_u64 v[10:11], v[10:11], 1, s[4:5]
	v_lshlrev_b32_e32 v12, 1, v18
	v_mov_b32_e32 v13, 0
	v_lshl_add_u64 v[10:11], v[10:11], 0, v[12:13]
	global_load_dwordx4 v[10:13], v[10:11], off offset:128
.LBB648_39:
	s_or_b64 exec, exec, s[2:3]
	v_mov_b32_e32 v16, 0
	v_mov_b32_e32 v15, 0
	;; [unrolled: 1-line block ×3, first 2 shown]
	s_and_saveexec_b64 s[2:3], s[0:1]
	s_cbranch_execz .LBB648_41
; %bb.40:
	v_mad_i64_i32 v[14:15], s[0:1], s15, v21, 0
	v_lshl_add_u64 v[14:15], v[14:15], 1, s[4:5]
	v_lshlrev_b32_e32 v16, 1, v18
	v_mov_b32_e32 v17, 0
	v_lshl_add_u64 v[14:15], v[14:15], 0, v[16:17]
	global_load_dwordx4 v[14:17], v[14:15], off offset:128
.LBB648_41:
	s_or_b64 exec, exec, s[2:3]
	s_branch .LBB648_45
.LBB648_42:
                                        ; implicit-def: $vgpr5
                                        ; implicit-def: $vgpr9
                                        ; implicit-def: $vgpr13
                                        ; implicit-def: $vgpr17
	v_lshrrev_b32_e32 v37, 2, v58
	s_branch .LBB648_46
.LBB648_43:
                                        ; implicit-def: $vgpr5
                                        ; implicit-def: $vgpr9
                                        ; implicit-def: $vgpr13
                                        ; implicit-def: $vgpr17
	s_cbranch_execz .LBB648_45
; %bb.44:
	s_waitcnt vmcnt(0)
	v_mad_u64_u32 v[2:3], s[0:1], v20, s15, v[18:19]
	v_lshlrev_b32_e32 v20, 1, v2
	s_lshl_b32 s2, s15, 7
	s_and_b32 s1, s5, 0xffff
	s_mov_b32 s3, 0x20000
	s_mov_b32 s0, s4
	v_add_lshl_u32 v21, v2, s15, 1
	s_movk_i32 s13, 0x80
	buffer_load_dwordx4 v[2:5], v20, s[0:3], 0 offen
	buffer_load_dwordx4 v[10:13], v20, s[0:3], s13 offen
	;; [unrolled: 1-line block ×4, first 2 shown]
.LBB648_45:
	v_lshrrev_b32_e32 v37, 2, v58
	s_cbranch_execnz .LBB648_58
.LBB648_46:
	s_and_b64 vcc, exec, s[6:7]
	s_cbranch_vccz .LBB648_56
; %bb.47:
	s_waitcnt vmcnt(0)
	v_lshlrev_b32_e32 v7, 1, v35
	v_cmp_gt_i32_e32 vcc, s40, v7
	v_mov_b32_e32 v6, 0
	v_lshlrev_b32_e32 v14, 9, v35
	v_mov_b32_e32 v2, 0
	v_mov_b32_e32 v3, 0
	v_mov_b32_e32 v4, 0
	v_mov_b32_e32 v5, 0
	s_and_saveexec_b64 s[0:1], vcc
	s_cbranch_execz .LBB648_49
; %bb.48:
	v_mov_b32_e32 v15, 0
	v_lshl_add_u64 v[2:3], s[4:5], 0, v[14:15]
	v_lshlrev_b32_e32 v4, 1, v18
	v_mov_b32_e32 v5, v15
	v_lshl_add_u64 v[2:3], v[2:3], 0, v[4:5]
	global_load_dwordx4 v[2:5], v[2:3], off
.LBB648_49:
	s_or_b64 exec, exec, s[0:1]
	v_or_b32_e32 v7, 1, v7
	v_cmp_gt_i32_e64 s[0:1], s40, v7
	v_lshlrev_b32_e32 v20, 8, v7
	v_mov_b32_e32 v7, 0
	v_mov_b32_e32 v8, 0
	;; [unrolled: 1-line block ×3, first 2 shown]
	s_and_saveexec_b64 s[2:3], s[0:1]
	s_cbranch_execz .LBB648_51
; %bb.50:
	v_mov_b32_e32 v21, 0
	v_lshl_add_u64 v[6:7], s[4:5], 0, v[20:21]
	v_lshlrev_b32_e32 v8, 1, v18
	v_mov_b32_e32 v9, v21
	v_lshl_add_u64 v[6:7], v[6:7], 0, v[8:9]
	global_load_dwordx4 v[6:9], v[6:7], off
.LBB648_51:
	s_or_b64 exec, exec, s[2:3]
	v_mov_b32_e32 v17, 0
	v_mov_b32_e32 v10, 0
	v_mov_b32_e32 v11, 0
	v_mov_b32_e32 v12, 0
	v_mov_b32_e32 v13, 0
	s_and_saveexec_b64 s[2:3], vcc
	s_cbranch_execz .LBB648_53
; %bb.52:
	v_mov_b32_e32 v15, 0
	v_lshl_add_u64 v[10:11], s[4:5], 0, v[14:15]
	v_lshlrev_b32_e32 v14, 1, v18
	v_lshl_add_u64 v[10:11], v[10:11], 0, v[14:15]
	global_load_dwordx4 v[10:13], v[10:11], off offset:128
.LBB648_53:
	s_or_b64 exec, exec, s[2:3]
	v_mov_b32_e32 v16, 0
	v_mov_b32_e32 v15, 0
	;; [unrolled: 1-line block ×3, first 2 shown]
	s_and_saveexec_b64 s[2:3], s[0:1]
	s_cbranch_execz .LBB648_55
; %bb.54:
	v_mov_b32_e32 v21, 0
	v_lshl_add_u64 v[14:15], s[4:5], 0, v[20:21]
	v_lshlrev_b32_e32 v20, 1, v18
	v_lshl_add_u64 v[14:15], v[14:15], 0, v[20:21]
	global_load_dwordx4 v[14:17], v[14:15], off offset:128
.LBB648_55:
	s_or_b64 exec, exec, s[2:3]
	s_branch .LBB648_58
.LBB648_56:
                                        ; implicit-def: $vgpr5
                                        ; implicit-def: $vgpr9
                                        ; implicit-def: $vgpr13
                                        ; implicit-def: $vgpr17
	s_cbranch_execz .LBB648_58
; %bb.57:
	s_waitcnt vmcnt(0)
	v_lshlrev_b32_e32 v2, 1, v18
	v_lshl_or_b32 v18, v35, 9, v2
	s_and_b32 s5, s5, 0xffff
	s_mov_b32 s7, 0x20000
	s_movk_i32 s6, 0x4000
	s_movk_i32 s0, 0x80
	buffer_load_dwordx4 v[2:5], v18, s[4:7], 0 offen
	buffer_load_dwordx4 v[6:9], v18, s[4:7], 0 offen offset:256
	buffer_load_dwordx4 v[10:13], v18, s[4:7], s0 offen
	buffer_load_dwordx4 v[14:17], v18, s[4:7], s0 offen offset:256
.LBB648_58:
	ds_read2st64_b64 v[22:25], v19 offset0:76 offset1:77
	ds_read2st64_b64 v[18:21], v19 offset0:78 offset1:79
	ds_read_b64 v[30:31], v26 offset:24576
	ds_read_b64 v[32:33], v27 offset:24576
	;; [unrolled: 1-line block ×4, first 2 shown]
	v_and_b32_e32 v36, 6, v0
	v_xor_b32_e32 v35, v35, v36
	v_lshlrev_b32_e32 v35, 2, v35
	v_and_b32_e32 v0, 1, v0
	v_xor_b32_e32 v38, 0x440, v35
	v_cmp_eq_u32_e32 vcc, 0, v0
	s_mov_b32 s0, 0x1000504
	s_mov_b32 s1, 0x3020706
	v_cndmask_b32_e32 v0, v38, v35, vcc
	v_lshl_or_b32 v0, v36, 10, v0
	s_waitcnt vmcnt(0)
	v_perm_b32 v35, v2, v6, s0
	v_perm_b32 v36, v10, v14, s0
	ds_write2st64_b32 v0, v35, v36 offset1:32
	v_xor_b32_e32 v35, 8, v0
	v_perm_b32 v2, v2, v6, s1
	v_perm_b32 v6, v10, v14, s1
	v_add_u32_e32 v10, 0x80, v35
	ds_write2st64_b32 v10, v2, v6 offset1:32
	v_xor_b32_e32 v2, 16, v0
	v_perm_b32 v6, v3, v7, s0
	v_perm_b32 v10, v11, v15, s0
	ds_write2st64_b32 v2, v6, v10 offset0:1 offset1:33
	v_xor_b32_e32 v2, 24, v0
	v_perm_b32 v3, v3, v7, s1
	v_perm_b32 v6, v11, v15, s1
	v_add_u32_e32 v2, 0x80, v2
	ds_write2st64_b32 v2, v3, v6 offset0:1 offset1:33
	v_xor_b32_e32 v2, 32, v0
	v_perm_b32 v3, v4, v8, s0
	v_perm_b32 v6, v12, v16, s0
	ds_write2st64_b32 v2, v3, v6 offset0:2 offset1:34
	v_xor_b32_e32 v2, 40, v0
	v_perm_b32 v3, v4, v8, s1
	v_perm_b32 v4, v12, v16, s1
	v_add_u32_e32 v2, 0x80, v2
	ds_write2st64_b32 v2, v3, v4 offset0:2 offset1:34
	v_xor_b32_e32 v2, 48, v0
	v_perm_b32 v3, v5, v9, s0
	v_perm_b32 v4, v13, v17, s0
	v_xor_b32_e32 v0, 56, v0
	v_and_or_b32 v6, v37, 12, v45
	ds_write2st64_b32 v2, v3, v4 offset0:3 offset1:35
	v_perm_b32 v2, v5, v9, s1
	v_perm_b32 v3, v13, v17, s1
	v_add_u32_e32 v0, 0x80, v0
	v_cmp_gt_i32_e32 vcc, s40, v6
	v_mov_b32_e32 v7, 0
	v_mov_b32_e32 v11, 0
	ds_write2st64_b32 v0, v2, v3 offset0:3 offset1:35
	s_and_saveexec_b64 s[0:1], vcc
	s_cbranch_execz .LBB648_60
; %bb.59:
	v_add_u32_e32 v0, s34, v6
	v_ashrrev_i32_e32 v2, 31, v0
	v_mul_lo_u32 v4, v2, s28
	v_mul_lo_u32 v5, v0, s29
	v_mad_u64_u32 v[2:3], s[2:3], v0, s28, 0
	v_add3_u32 v3, v3, v5, v4
	v_lshl_add_u64 v[2:3], v[2:3], 2, s[10:11]
	global_load_dword v0, v[2:3], off
	s_waitcnt vmcnt(0)
	v_sub_f32_e32 v0, s12, v0
	v_exp_f32_e32 v11, v0
.LBB648_60:
	s_or_b64 exec, exec, s[0:1]
	v_or_b32_e32 v9, 1, v6
	v_cmp_gt_i32_e64 s[0:1], s40, v9
	s_and_saveexec_b64 s[2:3], s[0:1]
	s_cbranch_execz .LBB648_62
; %bb.61:
	v_add_u32_e32 v0, s34, v9
	v_ashrrev_i32_e32 v2, 31, v0
	v_mul_lo_u32 v4, v2, s28
	v_mul_lo_u32 v5, v0, s29
	v_mad_u64_u32 v[2:3], s[4:5], v0, s28, 0
	v_add3_u32 v3, v3, v5, v4
	v_lshl_add_u64 v[2:3], v[2:3], 2, s[10:11]
	global_load_dword v0, v[2:3], off
	s_waitcnt vmcnt(0)
	v_sub_f32_e32 v0, s12, v0
	v_exp_f32_e32 v7, v0
.LBB648_62:
	s_or_b64 exec, exec, s[2:3]
	v_or_b32_e32 v10, 2, v6
	v_cmp_gt_i32_e64 s[2:3], s40, v10
	v_mov_b32_e32 v8, 0
	v_mov_b32_e32 v13, 0
	s_and_saveexec_b64 s[4:5], s[2:3]
	s_cbranch_execz .LBB648_64
; %bb.63:
	v_add_u32_e32 v0, s34, v10
	v_ashrrev_i32_e32 v2, 31, v0
	v_mul_lo_u32 v4, v2, s28
	v_mul_lo_u32 v5, v0, s29
	v_mad_u64_u32 v[2:3], s[6:7], v0, s28, 0
	v_add3_u32 v3, v3, v5, v4
	v_lshl_add_u64 v[2:3], v[2:3], 2, s[10:11]
	global_load_dword v0, v[2:3], off
	s_waitcnt vmcnt(0)
	v_sub_f32_e32 v0, s12, v0
	v_exp_f32_e32 v13, v0
.LBB648_64:
	s_or_b64 exec, exec, s[4:5]
	v_or_b32_e32 v12, 3, v6
	v_cmp_gt_i32_e64 s[4:5], s40, v12
	s_and_saveexec_b64 s[6:7], s[4:5]
	s_cbranch_execz .LBB648_66
; %bb.65:
	v_add_u32_e32 v0, s34, v12
	v_ashrrev_i32_e32 v2, 31, v0
	v_mul_lo_u32 v4, v2, s28
	v_mul_lo_u32 v5, v0, s29
	v_mad_u64_u32 v[2:3], s[14:15], v0, s28, 0
	v_add3_u32 v3, v3, v5, v4
	v_lshl_add_u64 v[2:3], v[2:3], 2, s[10:11]
	global_load_dword v0, v[2:3], off
	s_waitcnt vmcnt(0)
	v_sub_f32_e32 v0, s12, v0
	v_exp_f32_e32 v8, v0
.LBB648_66:
	s_or_b64 exec, exec, s[6:7]
	s_waitcnt lgkmcnt(11)
	v_mfma_f32_16x16x16_bf16 a[0:3], v[30:31], v[22:23], a[0:3]
	v_or_b32_e32 v0, s30, v1
	s_add_u32 s6, s8, s24
	s_addc_u32 s7, s9, s25
	s_waitcnt lgkmcnt(10)
	v_mfma_f32_16x16x16_bf16 a[0:3], v[32:33], v[24:25], a[0:3]
	v_ashrrev_i32_e32 v1, 31, v0
	v_lshl_add_u64 v[4:5], v[0:1], 1, s[6:7]
	v_mov_b32_e32 v14, 0
	s_waitcnt lgkmcnt(9)
	v_mfma_f32_16x16x16_bf16 a[0:3], v[28:29], v[18:19], a[0:3]
	v_mov_b32_e32 v15, 0
	s_waitcnt lgkmcnt(8)
	v_mfma_f32_16x16x16_bf16 a[0:3], v[26:27], v[20:21], a[0:3]
	s_nop 6
	v_accvgpr_read_b32 v0, a0
	v_accvgpr_read_b32 v1, a1
	;; [unrolled: 1-line block ×4, first 2 shown]
	s_and_saveexec_b64 s[6:7], vcc
	s_cbranch_execz .LBB648_68
; %bb.67:
	v_lshlrev_b32_e32 v16, 8, v6
	v_mov_b32_e32 v17, 0
	v_lshl_add_u64 v[16:17], v[4:5], 0, v[16:17]
	global_load_ushort v15, v[16:17], off
	s_waitcnt vmcnt(0)
	v_lshlrev_b32_e32 v15, 16, v15
	v_sub_f32_e32 v0, v15, v0
	v_mul_f32_e32 v0, v11, v0
	v_lshrrev_b32_e32 v15, 16, v0
.LBB648_68:
	s_or_b64 exec, exec, s[6:7]
	s_and_saveexec_b64 s[6:7], s[0:1]
	s_cbranch_execz .LBB648_70
; %bb.69:
	v_lshlrev_b32_e32 v16, 8, v9
	v_mov_b32_e32 v17, 0
	v_lshl_add_u64 v[16:17], v[4:5], 0, v[16:17]
	global_load_ushort v0, v[16:17], off
	s_waitcnt vmcnt(0)
	v_lshlrev_b32_e32 v0, 16, v0
	v_sub_f32_e32 v0, v0, v1
	v_mul_f32_e32 v0, v7, v0
	v_lshrrev_b32_e32 v14, 16, v0
.LBB648_70:
	s_or_b64 exec, exec, s[6:7]
	v_mov_b32_e32 v0, 0
	v_mov_b32_e32 v1, 0
	s_and_saveexec_b64 s[0:1], s[2:3]
	s_cbranch_execz .LBB648_72
; %bb.71:
	v_lshlrev_b32_e32 v10, 8, v10
	v_mov_b32_e32 v11, 0
	v_lshl_add_u64 v[10:11], v[4:5], 0, v[10:11]
	global_load_ushort v1, v[10:11], off
	s_waitcnt vmcnt(0)
	v_lshlrev_b32_e32 v1, 16, v1
	v_sub_f32_e32 v1, v1, v2
	v_mul_f32_e32 v1, v13, v1
	v_lshrrev_b32_e32 v1, 16, v1
.LBB648_72:
	s_or_b64 exec, exec, s[0:1]
	s_and_saveexec_b64 s[0:1], s[4:5]
	s_cbranch_execz .LBB648_74
; %bb.73:
	v_lshlrev_b32_e32 v10, 8, v12
	v_mov_b32_e32 v11, 0
	v_lshl_add_u64 v[4:5], v[4:5], 0, v[10:11]
	global_load_ushort v0, v[4:5], off
	s_waitcnt vmcnt(0)
	v_lshlrev_b32_e32 v0, 16, v0
	v_sub_f32_e32 v0, v0, v3
	v_mul_f32_e32 v0, v8, v0
	v_lshrrev_b32_e32 v0, 16, v0
.LBB648_74:
	s_or_b64 exec, exec, s[0:1]
	s_mov_b32 s0, 0x5040100
	v_lshlrev_b32_e32 v2, 1, v34
	v_perm_b32 v1, v0, v1, s0
	v_perm_b32 v0, v14, v15, s0
	v_lshl_or_b32 v2, v6, 5, v2
	ds_write_b64 v2, v[0:1] offset:38912
	s_waitcnt lgkmcnt(0)
	s_barrier
.LBB648_75:
	s_endpgm
	.section	.rodata,"a",@progbits
	.p2align	6, 0x0
	.amdhsa_kernel _ZN12_GLOBAL__N_139chunk_gated_delta_rule_fwd_h_hip_kernelILi16ELb0ELb0ELb0ELb1ELb1ELb1ELb1ELb0EEEvPK12hip_bfloat16S3_S3_PKfS5_PKvPS1_S8_PvPKiSB_iiiiilll
		.amdhsa_group_segment_fixed_size 40960
		.amdhsa_private_segment_fixed_size 0
		.amdhsa_kernarg_size 136
		.amdhsa_user_sgpr_count 2
		.amdhsa_user_sgpr_dispatch_ptr 0
		.amdhsa_user_sgpr_queue_ptr 0
		.amdhsa_user_sgpr_kernarg_segment_ptr 1
		.amdhsa_user_sgpr_dispatch_id 0
		.amdhsa_user_sgpr_kernarg_preload_length 0
		.amdhsa_user_sgpr_kernarg_preload_offset 0
		.amdhsa_user_sgpr_private_segment_size 0
		.amdhsa_uses_dynamic_stack 0
		.amdhsa_enable_private_segment 0
		.amdhsa_system_sgpr_workgroup_id_x 1
		.amdhsa_system_sgpr_workgroup_id_y 1
		.amdhsa_system_sgpr_workgroup_id_z 0
		.amdhsa_system_sgpr_workgroup_info 0
		.amdhsa_system_vgpr_workitem_id 0
		.amdhsa_next_free_vgpr 124
		.amdhsa_next_free_sgpr 60
		.amdhsa_accum_offset 112
		.amdhsa_reserve_vcc 1
		.amdhsa_float_round_mode_32 0
		.amdhsa_float_round_mode_16_64 0
		.amdhsa_float_denorm_mode_32 3
		.amdhsa_float_denorm_mode_16_64 3
		.amdhsa_dx10_clamp 1
		.amdhsa_ieee_mode 1
		.amdhsa_fp16_overflow 0
		.amdhsa_tg_split 0
		.amdhsa_exception_fp_ieee_invalid_op 0
		.amdhsa_exception_fp_denorm_src 0
		.amdhsa_exception_fp_ieee_div_zero 0
		.amdhsa_exception_fp_ieee_overflow 0
		.amdhsa_exception_fp_ieee_underflow 0
		.amdhsa_exception_fp_ieee_inexact 0
		.amdhsa_exception_int_div_zero 0
	.end_amdhsa_kernel
	.section	.text._ZN12_GLOBAL__N_139chunk_gated_delta_rule_fwd_h_hip_kernelILi16ELb0ELb0ELb0ELb1ELb1ELb1ELb1ELb0EEEvPK12hip_bfloat16S3_S3_PKfS5_PKvPS1_S8_PvPKiSB_iiiiilll,"axG",@progbits,_ZN12_GLOBAL__N_139chunk_gated_delta_rule_fwd_h_hip_kernelILi16ELb0ELb0ELb0ELb1ELb1ELb1ELb1ELb0EEEvPK12hip_bfloat16S3_S3_PKfS5_PKvPS1_S8_PvPKiSB_iiiiilll,comdat
.Lfunc_end648:
	.size	_ZN12_GLOBAL__N_139chunk_gated_delta_rule_fwd_h_hip_kernelILi16ELb0ELb0ELb0ELb1ELb1ELb1ELb1ELb0EEEvPK12hip_bfloat16S3_S3_PKfS5_PKvPS1_S8_PvPKiSB_iiiiilll, .Lfunc_end648-_ZN12_GLOBAL__N_139chunk_gated_delta_rule_fwd_h_hip_kernelILi16ELb0ELb0ELb0ELb1ELb1ELb1ELb1ELb0EEEvPK12hip_bfloat16S3_S3_PKfS5_PKvPS1_S8_PvPKiSB_iiiiilll
                                        ; -- End function
	.section	.AMDGPU.csdata,"",@progbits
; Kernel info:
; codeLenInByte = 7168
; NumSgprs: 66
; NumVgprs: 112
; NumAgprs: 12
; TotalNumVgprs: 124
; ScratchSize: 0
; MemoryBound: 0
; FloatMode: 240
; IeeeMode: 1
; LDSByteSize: 40960 bytes/workgroup (compile time only)
; SGPRBlocks: 8
; VGPRBlocks: 15
; NumSGPRsForWavesPerEU: 66
; NumVGPRsForWavesPerEU: 124
; AccumOffset: 112
; Occupancy: 1
; WaveLimiterHint : 1
; COMPUTE_PGM_RSRC2:SCRATCH_EN: 0
; COMPUTE_PGM_RSRC2:USER_SGPR: 2
; COMPUTE_PGM_RSRC2:TRAP_HANDLER: 0
; COMPUTE_PGM_RSRC2:TGID_X_EN: 1
; COMPUTE_PGM_RSRC2:TGID_Y_EN: 1
; COMPUTE_PGM_RSRC2:TGID_Z_EN: 0
; COMPUTE_PGM_RSRC2:TIDIG_COMP_CNT: 0
; COMPUTE_PGM_RSRC3_GFX90A:ACCUM_OFFSET: 27
; COMPUTE_PGM_RSRC3_GFX90A:TG_SPLIT: 0
	.section	.text._ZN12_GLOBAL__N_139chunk_gated_delta_rule_fwd_h_hip_kernelILi16ELb1ELb1ELb1ELb0ELb1ELb1ELb1ELb0EEEvPK12hip_bfloat16S3_S3_PKfS5_PKvPS1_S8_PvPKiSB_iiiiilll,"axG",@progbits,_ZN12_GLOBAL__N_139chunk_gated_delta_rule_fwd_h_hip_kernelILi16ELb1ELb1ELb1ELb0ELb1ELb1ELb1ELb0EEEvPK12hip_bfloat16S3_S3_PKfS5_PKvPS1_S8_PvPKiSB_iiiiilll,comdat
	.globl	_ZN12_GLOBAL__N_139chunk_gated_delta_rule_fwd_h_hip_kernelILi16ELb1ELb1ELb1ELb0ELb1ELb1ELb1ELb0EEEvPK12hip_bfloat16S3_S3_PKfS5_PKvPS1_S8_PvPKiSB_iiiiilll ; -- Begin function _ZN12_GLOBAL__N_139chunk_gated_delta_rule_fwd_h_hip_kernelILi16ELb1ELb1ELb1ELb0ELb1ELb1ELb1ELb0EEEvPK12hip_bfloat16S3_S3_PKfS5_PKvPS1_S8_PvPKiSB_iiiiilll
	.p2align	8
	.type	_ZN12_GLOBAL__N_139chunk_gated_delta_rule_fwd_h_hip_kernelILi16ELb1ELb1ELb1ELb0ELb1ELb1ELb1ELb0EEEvPK12hip_bfloat16S3_S3_PKfS5_PKvPS1_S8_PvPKiSB_iiiiilll,@function
_ZN12_GLOBAL__N_139chunk_gated_delta_rule_fwd_h_hip_kernelILi16ELb1ELb1ELb1ELb0ELb1ELb1ELb1ELb0EEEvPK12hip_bfloat16S3_S3_PKfS5_PKvPS1_S8_PvPKiSB_iiiiilll: ; @_ZN12_GLOBAL__N_139chunk_gated_delta_rule_fwd_h_hip_kernelILi16ELb1ELb1ELb1ELb0ELb1ELb1ELb1ELb0EEEvPK12hip_bfloat16S3_S3_PKfS5_PKvPS1_S8_PvPKiSB_iiiiilll
; %bb.0:
	s_load_dwordx4 s[24:27], s[0:1], 0x5c
	s_abs_i32 s6, s3
	s_ashr_i32 s5, s3, 31
	v_and_b32_e32 v67, 15, v0
	v_bfe_u32 v66, v0, 4, 2
	s_waitcnt lgkmcnt(0)
	s_abs_i32 s4, s25
	v_cvt_f32_u32_e32 v1, s4
	s_sub_i32 s8, 0, s4
	s_ashr_i32 s7, s25, 31
	s_xor_b32 s5, s5, s7
	v_rcp_iflag_f32_e32 v1, v1
	v_mov_b32_e32 v57, 0
	v_lshlrev_b32_e32 v68, 3, v0
	v_mul_f32_e32 v1, 0x4f7ffffe, v1
	v_cvt_u32_f32_e32 v1, v1
	s_nop 0
	v_readfirstlane_b32 s9, v1
	s_mul_i32 s8, s8, s9
	s_mul_hi_u32 s8, s9, s8
	s_add_i32 s9, s9, s8
	s_mul_hi_u32 s8, s6, s9
	s_mul_i32 s9, s8, s4
	s_sub_i32 s6, s6, s9
	s_add_i32 s10, s8, 1
	s_sub_i32 s9, s6, s4
	s_cmp_ge_u32 s6, s4
	s_cselect_b32 s8, s10, s8
	s_cselect_b32 s6, s9, s6
	s_add_i32 s9, s8, 1
	s_cmp_ge_u32 s6, s4
	s_cselect_b32 s6, s9, s8
	s_xor_b32 s6, s6, s5
	s_sub_i32 s58, s6, s5
	s_mul_i32 s6, s58, s25
	s_sub_i32 s33, s3, s6
	s_abs_i32 s3, s26
	v_cvt_f32_u32_e32 v1, s3
	s_add_i32 s8, s24, 63
	s_ashr_i32 s9, s8, 31
	s_lshr_b32 s5, s9, 26
	v_rcp_iflag_f32_e32 v1, v1
	s_ashr_i32 s57, s24, 31
	s_add_i32 s8, s8, s5
	s_lshr_b32 s5, s57, 26
	v_mul_f32_e32 v1, 0x4f7ffffe, v1
	v_cvt_u32_f32_e32 v1, v1
	s_add_i32 s5, s24, s5
	s_ashr_i32 s60, s26, 31
	s_ashr_i32 s28, s8, 6
	;; [unrolled: 1-line block ×3, first 2 shown]
	s_xor_b32 s5, s7, s60
	s_sub_i32 s7, 0, s3
	v_readfirstlane_b32 s8, v1
	s_mul_i32 s7, s7, s8
	s_mul_hi_u32 s7, s8, s7
	s_add_i32 s8, s8, s7
	s_mul_hi_u32 s7, s4, s8
	s_mul_i32 s8, s7, s3
	s_sub_i32 s4, s4, s8
	s_lshl_b32 s2, s2, 4
	s_add_i32 s8, s7, 1
	s_sub_i32 s9, s4, s3
	s_cmp_ge_u32 s4, s3
	s_cselect_b32 s7, s8, s7
	s_cselect_b32 s4, s9, s4
	s_add_i32 s8, s7, 1
	s_cmp_ge_u32 s4, s3
	s_cselect_b32 s3, s8, s7
	s_xor_b32 s3, s3, s5
	s_sub_i32 s3, s3, s5
	s_abs_i32 s4, s3
	v_cvt_f32_u32_e32 v1, s4
	s_sub_i32 s7, 0, s4
	s_abs_i32 s5, s33
	s_xor_b32 s3, s33, s3
	v_rcp_iflag_f32_e32 v2, v1
	s_ashr_i32 s3, s3, 31
	s_load_dwordx8 s[8:15], s[0:1], 0x20
	v_lshrrev_b32_e32 v1, 6, v0
	v_mul_f32_e32 v2, 0x4f7ffffe, v2
	v_cvt_u32_f32_e32 v2, v2
	v_or_b32_e32 v58, s2, v67
	v_lshlrev_b32_e32 v53, 4, v1
	v_lshlrev_b32_e32 v54, 7, v58
	v_readfirstlane_b32 s16, v2
	s_mul_i32 s7, s7, s16
	s_mul_hi_u32 s7, s16, s7
	s_add_i32 s16, s16, s7
	s_mul_hi_u32 s7, s5, s16
	s_mul_i32 s16, s7, s4
	s_sub_i32 s5, s5, s16
	s_add_i32 s16, s7, 1
	s_sub_i32 s17, s5, s4
	s_cmp_ge_u32 s5, s4
	s_cselect_b32 s7, s16, s7
	s_cselect_b32 s5, s17, s5
	s_add_i32 s16, s7, 1
	s_cmp_ge_u32 s5, s4
	s_cselect_b32 s4, s16, s7
	s_xor_b32 s4, s4, s3
	s_sub_i32 s61, s4, s3
	s_ashr_i32 s3, s58, 31
	s_ashr_i32 s50, s33, 31
	s_mul_hi_i32 s4, s58, s25
	s_add_u32 s42, s6, s33
	s_addc_u32 s43, s4, s50
	s_lshl_b64 s[34:35], s[42:43], 16
	s_waitcnt lgkmcnt(0)
	s_add_u32 s4, s10, s34
	v_lshl_or_b32 v70, v66, 2, v53
	s_addc_u32 s5, s11, s35
	v_ashrrev_i32_e32 v55, 31, v54
	v_lshl_add_u64 v[2:3], v[54:55], 2, s[4:5]
	v_lshlrev_b32_e32 v56, 2, v70
	v_lshl_add_u64 v[10:11], v[2:3], 0, v[56:57]
	global_load_dwordx4 v[6:9], v[10:11], off
	global_load_dwordx4 v[2:5], v[10:11], off offset:256
	s_load_dwordx2 s[10:11], s[0:1], 0x40
	s_load_dwordx8 s[16:23], s[0:1], 0x0
	s_load_dwordx2 s[36:37], s[0:1], 0x80
	s_load_dwordx4 s[4:7], s[0:1], 0x70
	v_and_b32_e32 v57, 63, v0
	s_mul_i32 s51, s58, s24
	s_mul_i32 s62, s58, s28
	v_or_b32_e32 v71, 64, v70
	s_cmp_lt_i32 s24, 64
	v_lshrrev_b32_e32 v69, 3, v57
	s_mul_i32 s63, s43, s24
	s_mul_hi_u32 s64, s42, s24
	s_mul_i32 s44, s42, s24
	s_waitcnt lgkmcnt(0)
	s_mul_i32 s43, s58, s5
	s_mul_hi_u32 s53, s58, s4
	s_mul_i32 s54, s3, s4
	s_mul_i32 s40, s58, s4
	;; [unrolled: 1-line block ×3, first 2 shown]
	s_mul_hi_u32 s55, s33, s6
	s_mul_i32 s56, s50, s6
	s_mul_i32 s38, s33, s6
	s_cbranch_scc1 .LBB649_18
; %bb.1:
	s_add_i32 s45, s64, s63
	s_lshl_b64 s[0:1], s[44:45], 8
	v_and_b32_e32 v73, 56, v68
	s_add_u32 s4, s18, s0
	v_lshl_or_b32 v72, v1, 3, v69
	v_lshlrev_b32_e32 v10, 1, v73
	s_addc_u32 s0, s19, s1
	v_lshl_or_b32 v74, v72, 8, v10
	s_and_b32 s5, s0, 0xffff
	s_mov_b32 s7, 0x20000
	s_movk_i32 s6, 0x4000
	s_movk_i32 s0, 0x80
	v_or_b32_e32 v75, 0x2000, v74
	buffer_load_dwordx4 v[12:15], v74, s[4:7], 0 offen
	buffer_load_dwordx4 v[16:19], v74, s[4:7], s0 offen
	;; [unrolled: 1-line block ×4, first 2 shown]
	v_lshlrev_b32_e32 v11, 3, v72
	v_and_or_b32 v29, v0, 7, v11
	v_and_b32_e32 v11, 0x78, v11
	v_lshlrev_b32_e32 v29, 4, v29
	v_xor_b32_e32 v76, v29, v11
	v_mul_lo_u32 v28, v72, s27
	v_or_b32_e32 v77, 0x1000, v76
	v_xor_b32_e32 v11, 8, v76
	s_cmpk_eq_i32 s27, 0x80
	s_mov_b32 s65, s26
	v_xor_b32_e32 v29, 8, v77
	s_cselect_b64 s[0:1], -1, 0
	s_cmpk_lg_i32 s27, 0x80
	s_waitcnt vmcnt(3)
	ds_write_b64 v76, v[12:13] offset:16384
	ds_write_b64 v11, v[14:15] offset:16384
	s_waitcnt vmcnt(2)
	ds_write_b64 v76, v[16:17] offset:24576
	ds_write_b64 v11, v[18:19] offset:24576
	;; [unrolled: 3-line block ×4, first 2 shown]
	v_lshl_add_u32 v11, v28, 1, v73
	s_cbranch_scc0 .LBB649_3
; %bb.2:
	v_lshlrev_b32_e32 v13, 1, v11
	v_add_lshl_u32 v12, v11, s27, 1
	s_lshl_b32 s6, s27, 7
	v_lshl_or_b32 v10, v72, 9, v10
	s_cbranch_execz .LBB649_4
	s_branch .LBB649_5
.LBB649_3:
                                        ; implicit-def: $vgpr12
                                        ; implicit-def: $vgpr13
                                        ; implicit-def: $sgpr6
	v_lshl_or_b32 v10, v72, 9, v10
.LBB649_4:
	v_or_b32_e32 v12, 0x100, v10
	s_movk_i32 s6, 0x4000
	v_mov_b32_e32 v13, v10
.LBB649_5:
	s_mul_hi_u32 s4, s26, s24
	s_mul_i32 s5, s60, s24
	s_add_i32 s4, s4, s5
	s_mul_i32 s5, s26, s24
	s_mul_i32 s7, s5, s3
	s_mul_hi_u32 s28, s5, s58
	s_add_i32 s7, s28, s7
	s_mul_i32 s4, s4, s58
	s_add_i32 s7, s7, s4
	s_mul_i32 s5, s5, s58
	s_ashr_i32 s66, s61, 31
	s_add_u32 s4, s5, s61
	s_addc_u32 s5, s7, s66
	s_lshl_b64 s[4:5], s[4:5], 8
	s_add_u32 s4, s16, s4
	s_addc_u32 s5, s17, s5
	s_and_b32 s5, s5, 0xffff
	s_mov_b32 s7, 0x20000
	s_movk_i32 s67, 0x80
	buffer_load_dwordx4 v[14:17], v13, s[4:7], 0 offen
	buffer_load_dwordx4 v[18:21], v13, s[4:7], s67 offen
	;; [unrolled: 1-line block ×4, first 2 shown]
	v_and_b32_e32 v12, 6, v0
	v_lshlrev_b32_e32 v30, 2, v67
	v_lshlrev_b32_e32 v31, 3, v67
	v_xor_b32_e32 v33, v72, v12
	v_and_b32_e32 v13, 1, v0
	s_mul_i32 s3, s3, s24
	s_mul_hi_u32 s4, s58, s24
	v_lshl_or_b32 v31, v70, 5, v31
	v_xor_b32_e32 v34, v70, v30
	v_lshlrev_b32_e32 v33, 2, v33
	v_or_b32_e32 v78, 0x9000, v31
	v_or_b32_e32 v79, 0x9800, v31
	v_lshlrev_b32_e32 v31, 1, v34
	v_xor_b32_e32 v34, 0x440, v33
	v_cmp_eq_u32_e32 vcc, 0, v13
	s_add_i32 s71, s4, s3
	s_add_i32 s3, s53, s43
	v_cndmask_b32_e32 v13, v34, v33, vcc
	s_add_i32 s4, s55, s52
	s_add_i32 s41, s3, s54
	s_mov_b32 s69, 0x1000504
	v_lshlrev_b32_e32 v32, 8, v67
	s_mov_b32 s6, 0x8000
	v_xor_b32_e32 v30, v71, v30
	v_lshl_or_b32 v12, v12, 10, v13
	s_add_i32 s39, s4, s56
	s_lshl_b64 s[4:5], s[40:41], 2
	s_mov_b32 s70, 0x3020706
	v_lshlrev_b32_e32 v30, 1, v30
	v_or3_b32 v80, v31, v32, s6
	v_xor_b32_e32 v13, 8, v12
	v_xor_b32_e32 v31, 24, v12
	;; [unrolled: 1-line block ×4, first 2 shown]
	s_add_u32 s3, s22, s4
	v_or3_b32 v81, v30, v32, s6
	v_xor_b32_e32 v30, 16, v12
	v_xor_b32_e32 v32, 32, v12
	;; [unrolled: 1-line block ×3, first 2 shown]
	v_add_u32_e32 v13, 0x80, v13
	v_add_u32_e32 v31, 0x80, v31
	;; [unrolled: 1-line block ×4, first 2 shown]
	s_addc_u32 s28, s23, s5
	s_lshl_b64 s[4:5], s[38:39], 2
	s_add_u32 s46, s3, s4
	s_movk_i32 s3, 0xf8
	s_addc_u32 s47, s28, s5
	v_ashrrev_i32_e32 v59, 31, v58
	s_lshl_b32 s30, s27, 7
	s_mov_b32 s68, 0
	s_mov_b32 s39, 0x7060302
	;; [unrolled: 1-line block ×3, first 2 shown]
	s_waitcnt vmcnt(1)
	v_perm_b32 v36, v14, v22, s69
	s_waitcnt vmcnt(0)
	v_perm_b32 v37, v18, v26, s69
	v_perm_b32 v14, v14, v22, s70
	;; [unrolled: 1-line block ×15, first 2 shown]
	ds_write2st64_b32 v12, v36, v37 offset1:32
	ds_write2st64_b32 v13, v14, v18 offset1:32
	ds_write2st64_b32 v30, v22, v26 offset0:1 offset1:33
	ds_write2st64_b32 v31, v15, v19 offset0:1 offset1:33
	;; [unrolled: 1-line block ×6, first 2 shown]
	v_or_b32_e32 v12, v53, v67
	v_lshlrev_b32_e32 v12, 3, v12
	v_lshrrev_b32_e32 v14, 5, v57
	v_and_or_b32 v14, v12, s3, v14
	v_lshlrev_b32_e32 v14, 4, v14
	v_lshrrev_b32_e32 v13, 2, v57
	v_lshlrev_b32_e32 v21, 11, v1
	v_and_b32_e32 v12, 0x78, v12
	v_or_b32_e32 v17, 32, v14
	v_and_b32_e32 v20, 12, v13
	v_and_b32_e32 v13, 0x1000, v21
	v_lshrrev_b32_e32 v16, 1, v57
	v_xor_b32_e32 v17, v17, v12
	v_and_b32_e32 v16, 8, v16
	v_or_b32_e32 v17, v17, v13
	v_xor_b32_e32 v15, v14, v12
	v_xor_b32_e32 v84, v17, v16
	v_or_b32_e32 v17, 64, v14
	v_or_b32_e32 v14, 0x60, v14
	v_xor_b32_e32 v17, v17, v12
	v_xor_b32_e32 v12, v14, v12
	v_or_b32_e32 v15, v15, v13
	v_or_b32_e32 v17, v17, v13
	;; [unrolled: 1-line block ×3, first 2 shown]
	v_xor_b32_e32 v82, v15, v16
	v_xor_b32_e32 v85, v17, v16
	;; [unrolled: 1-line block ×3, first 2 shown]
	v_lshrrev_b32_e32 v16, 4, v0
	v_lshlrev_b32_e32 v17, 1, v67
	s_ashr_i32 s3, s2, 31
	v_or_b32_e32 v18, 1, v17
	v_xor_b32_e32 v17, v16, v17
	s_lshl_b64 s[4:5], s[2:3], 8
	v_xor_b32_e32 v18, v18, v16
	v_lshlrev_b32_e32 v17, 3, v17
	v_lshlrev_b32_e32 v16, 8, v16
	v_lshlrev_b64 v[12:13], 1, v[58:59]
	s_add_u32 s4, s12, s4
	v_or3_b32 v59, v17, v16, s6
	v_lshlrev_b32_e32 v17, 3, v18
	s_addc_u32 s5, s13, s5
	v_or3_b32 v88, v17, v16, s6
	v_mov_b32_e32 v17, 0
	v_lshrrev_b32_e32 v27, 1, v0
	v_lshl_add_u64 v[18:19], s[4:5], 0, v[16:17]
	v_lshlrev_b32_e32 v16, 4, v67
	s_movk_i32 s3, 0xff
	v_lshlrev_b32_e32 v26, 3, v1
	v_and_b32_e32 v27, 24, v27
	v_lshl_add_u64 v[60:61], v[18:19], 0, v[16:17]
	v_and_b32_e32 v16, 7, v0
	v_and_b32_e32 v19, 8, v0
	v_cmp_lt_u32_e32 vcc, s3, v0
	v_xor_b32_e32 v28, v26, v27
	v_lshlrev_b32_e32 v24, 3, v16
	v_lshlrev_b32_e32 v25, 7, v16
	v_cndmask_b32_e64 v16, 0, 1, vcc
	v_or_b32_e32 v29, 0x440, v28
	v_cmp_eq_u32_e32 vcc, 0, v19
	v_or_b32_e32 v31, 64, v27
	v_xor_b32_e32 v31, v26, v31
	v_cndmask_b32_e32 v19, v29, v28, vcc
	v_or_b32_e32 v29, 32, v27
	v_or_b32_e32 v27, 0x60, v27
	v_xor_b32_e32 v29, v26, v29
	v_xor_b32_e32 v26, v26, v27
	v_or_b32_e32 v30, 0x440, v29
	v_xor_b32_e32 v32, 0x440, v31
	v_xor_b32_e32 v27, 0x440, v26
	v_cndmask_b32_e32 v29, v30, v29, vcc
	v_cndmask_b32_e32 v31, v32, v31, vcc
	;; [unrolled: 1-line block ×3, first 2 shown]
	v_and_b32_e32 v15, 0x78, v68
	v_or_b32_e32 v19, v19, v21
	v_or_b32_e32 v29, v29, v21
	v_or_b32_e32 v31, v31, v21
	v_or_b32_e32 v21, v26, v21
	v_lshl_or_b32 v15, v66, 7, v15
	v_lshlrev_b32_e32 v16, 13, v16
	v_xor_b32_e32 v19, v19, v24
	v_xor_b32_e32 v29, v29, v24
	;; [unrolled: 1-line block ×4, first 2 shown]
	v_or_b32_e32 v83, 0x9000, v15
	v_or_b32_e32 v87, 0x9800, v15
	v_lshl_add_u64 v[14:15], s[20:21], 0, v[12:13]
	v_lshl_add_u64 v[12:13], s[14:15], 0, v[12:13]
	v_lshlrev_b32_e32 v22, 1, v11
	v_add_lshl_u32 v11, v11, s27, 1
	v_or_b32_e32 v23, 0x100, v10
	v_or_b32_e32 v18, v20, v53
	v_add_u32_e32 v28, v16, v19
	v_add_u32_e32 v30, v16, v29
	;; [unrolled: 1-line block ×4, first 2 shown]
	v_or3_b32 v20, v53, v20, 64
	v_add_u32_e32 v19, 0x2000, v19
	v_add_u32_e32 v26, 0x2000, v29
	;; [unrolled: 1-line block ×4, first 2 shown]
	v_lshlrev_b32_e32 v16, 8, v70
	v_cndmask_b32_e64 v89, v22, v10, s[0:1]
	v_cndmask_b32_e64 v90, v11, v23, s[0:1]
	v_lshl_add_u64 v[62:63], v[14:15], 0, v[16:17]
	v_lshl_add_u64 v[64:65], v[12:13], 0, v[16:17]
	s_add_i32 s3, s51, 63
	s_movk_i32 s6, 0x4000
	v_lshlrev_b32_e32 v91, 2, v18
	v_add_u32_e32 v92, v28, v25
	v_add_u32_e32 v93, v30, v25
	;; [unrolled: 1-line block ×4, first 2 shown]
	v_lshlrev_b32_e32 v96, 2, v20
	v_add_u32_e32 v97, v19, v25
	v_add_u32_e32 v98, v26, v25
	;; [unrolled: 1-line block ×4, first 2 shown]
	s_waitcnt lgkmcnt(0)
	s_barrier
.LBB649_6:                              ; =>This Inner Loop Header: Depth=1
	s_add_i32 s41, s72, 1
	s_cmp_lt_i32 s41, s59
	s_mov_b64 s[28:29], 0
	s_cselect_b64 s[48:49], -1, 0
	s_cmp_ge_i32 s41, s59
	s_mov_b64 s[4:5], 0
	s_cbranch_scc1 .LBB649_8
; %bb.7:                                ;   in Loop: Header=BB649_6 Depth=1
	s_add_i32 s0, s68, 64
	s_add_u32 s0, s44, s0
	s_addc_u32 s1, s45, 0
	s_lshl_b64 s[0:1], s[0:1], 8
	s_add_u32 s4, s18, s0
	s_addc_u32 s5, s19, s1
.LBB649_8:                              ;   in Loop: Header=BB649_6 Depth=1
	v_cndmask_b32_e64 v10, 0, 1, s[48:49]
	v_cmp_ne_u32_e64 s[0:1], 1, v10
	s_andn2_b64 vcc, exec, s[48:49]
	s_cbranch_vccnz .LBB649_10
; %bb.9:                                ;   in Loop: Header=BB649_6 Depth=1
	s_add_i32 s28, s68, 64
	s_add_u32 s28, s51, s28
	s_addc_u32 s29, s71, 0
	s_mul_i32 s31, s28, s60
	s_mul_hi_u32 s48, s28, s65
	s_add_i32 s31, s48, s31
	s_mul_i32 s29, s29, s65
	s_add_i32 s31, s31, s29
	s_mul_i32 s28, s28, s65
	s_add_u32 s28, s28, s61
	s_addc_u32 s29, s31, s66
	s_lshl_b64 s[28:29], s[28:29], 8
	s_add_u32 s28, s16, s28
	s_addc_u32 s29, s17, s29
.LBB649_10:                             ;   in Loop: Header=BB649_6 Depth=1
	v_perm_b32 v11, v9, v8, s39
	v_perm_b32 v10, v7, v6, s39
	v_perm_b32 v13, v5, v4, s39
	v_perm_b32 v12, v3, v2, s39
	ds_write_b64 v78, v[10:11]
	ds_write_b64 v79, v[12:13]
	;; [unrolled: 1-line block ×4, first 2 shown]
	s_waitcnt lgkmcnt(0)
	s_barrier
	ds_read_b64 v[18:19], v82 offset:16384
	ds_read_b64 v[20:21], v84 offset:16384
	ds_read2st64_b64 v[10:13], v83 offset1:1
	ds_read2st64_b64 v[14:17], v83 offset0:2 offset1:3
	ds_read_b64 v[22:23], v85 offset:16384
	s_waitcnt lgkmcnt(2)
	v_mfma_f32_16x16x16_bf16 a[0:3], v[18:19], v[10:11], 0
	ds_read_b64 v[10:11], v86 offset:16384
	s_add_i32 s31, s68, 63
	s_mul_i32 s48, s31, s37
	v_mfma_f32_16x16x16_bf16 a[0:3], v[20:21], v[12:13], a[0:3]
	s_mul_hi_u32 s49, s31, s36
	s_add_i32 s49, s49, s48
	s_mul_i32 s48, s31, s36
	s_waitcnt lgkmcnt(1)
	v_mfma_f32_16x16x16_bf16 a[0:3], v[22:23], v[14:15], a[0:3]
	s_lshl_b64 s[48:49], s[48:49], 2
	s_add_u32 s48, s46, s48
	s_addc_u32 s49, s47, s49
	s_waitcnt lgkmcnt(0)
	v_mfma_f32_16x16x16_bf16 a[0:3], v[10:11], v[16:17], a[0:3]
	s_and_b64 vcc, exec, s[0:1]
	v_mov_b32_e32 v103, 0
	v_mov_b32_e32 v102, 0
	;; [unrolled: 1-line block ×19, first 2 shown]
	s_cbranch_vccnz .LBB649_12
; %bb.11:                               ;   in Loop: Header=BB649_6 Depth=1
	s_and_b32 s5, s5, 0xffff
	buffer_load_dwordx4 v[22:25], v74, s[4:7], 0 offen
	buffer_load_dwordx4 v[18:21], v74, s[4:7], s67 offen
	;; [unrolled: 1-line block ×4, first 2 shown]
	v_mov_b32_e32 v102, v76
	v_mov_b32_e32 v101, v77
.LBB649_12:                             ;   in Loop: Header=BB649_6 Depth=1
	v_add_u32_e32 v32, s68, v70
	v_ashrrev_i32_e32 v26, 31, v32
	v_mul_lo_u32 v28, v26, s36
	v_mul_lo_u32 v29, v32, s37
	v_mad_u64_u32 v[26:27], s[4:5], v32, s36, 0
	v_add3_u32 v27, v27, v29, v28
	v_add_u32_e32 v28, 1, v32
	v_ashrrev_i32_e32 v29, 31, v28
	v_mul_lo_u32 v30, v29, s36
	v_mul_lo_u32 v31, v28, s37
	v_mad_u64_u32 v[28:29], s[4:5], v28, s36, 0
	v_add3_u32 v29, v29, v31, v30
	v_add_u32_e32 v30, 2, v32
	v_ashrrev_i32_e32 v31, 31, v30
	v_mul_lo_u32 v33, v31, s36
	v_mul_lo_u32 v34, v30, s37
	v_mad_u64_u32 v[30:31], s[4:5], v30, s36, 0
	s_add_u32 s4, s44, s68
	v_add3_u32 v31, v31, v34, v33
	v_add_u32_e32 v34, 3, v32
	s_addc_u32 s5, s45, 0
	v_ashrrev_i32_e32 v32, 31, v34
	s_lshl_b64 s[74:75], s[4:5], 8
	v_lshl_add_u64 v[26:27], v[26:27], 2, s[46:47]
	v_mul_lo_u32 v35, v32, s36
	v_lshl_add_u64 v[32:33], v[62:63], 0, s[74:75]
	v_mul_lo_u32 v36, v34, s37
	global_load_ushort v46, v[32:33], off
	global_load_ushort v47, v[32:33], off offset:256
	global_load_ushort v48, v[32:33], off offset:512
	;; [unrolled: 1-line block ×3, first 2 shown]
	global_load_dword v50, v[26:27], off
	v_mad_u64_u32 v[26:27], s[4:5], v34, s36, 0
	v_lshl_add_u64 v[28:29], v[28:29], 2, s[46:47]
	v_add3_u32 v27, v27, v36, v35
	v_lshl_add_u64 v[30:31], v[30:31], 2, s[46:47]
	v_lshl_add_u64 v[26:27], v[26:27], 2, s[46:47]
	global_load_dword v51, v[28:29], off
	global_load_dword v52, v[30:31], off
	global_load_dword v105, v[26:27], off
	s_load_dword s4, s[48:49], 0x0
	ds_read_b64 v[34:35], v82 offset:24576
	ds_read2st64_b64 v[30:33], v87 offset1:1
	ds_read2st64_b64 v[36:39], v87 offset0:2 offset1:3
	ds_read_b64 v[40:41], v84 offset:24576
	ds_read_b64 v[42:43], v85 offset:24576
	;; [unrolled: 1-line block ×3, first 2 shown]
	s_waitcnt lgkmcnt(0)
	v_mfma_f32_16x16x16_bf16 a[0:3], v[34:35], v[30:31], a[0:3]
	v_mov_b32_e32 v104, 0
	v_mov_b32_e32 v26, 0
	;; [unrolled: 1-line block ×3, first 2 shown]
	v_mfma_f32_16x16x16_bf16 a[0:3], v[40:41], v[32:33], a[0:3]
	v_mov_b32_e32 v28, 0
	v_mov_b32_e32 v29, 0
	;; [unrolled: 1-line block ×3, first 2 shown]
	v_mfma_f32_16x16x16_bf16 a[0:3], v[42:43], v[36:37], a[0:3]
	v_lshl_add_u64 v[36:37], v[64:65], 0, s[74:75]
	v_mov_b32_e32 v31, 0
	v_mov_b32_e32 v32, 0
	v_mfma_f32_16x16x16_bf16 a[0:3], v[44:45], v[38:39], a[0:3]
	v_mov_b32_e32 v33, 0
	v_mov_b32_e32 v34, 0
	;; [unrolled: 1-line block ×3, first 2 shown]
	s_and_b64 vcc, exec, s[0:1]
	s_waitcnt vmcnt(7)
	v_lshlrev_b32_e32 v42, 16, v46
	s_nop 0
	v_accvgpr_read_b32 v41, a1
	v_accvgpr_read_b32 v39, a3
	;; [unrolled: 1-line block ×4, first 2 shown]
	s_waitcnt vmcnt(6)
	v_lshlrev_b32_e32 v43, 16, v47
	s_waitcnt vmcnt(4)
	v_lshlrev_b32_e32 v45, 16, v49
	v_lshlrev_b32_e32 v44, 16, v48
	s_waitcnt vmcnt(3)
	v_sub_f32_e32 v46, s4, v50
	v_pk_add_f32 v[40:41], v[42:43], v[40:41] neg_lo:[0,1] neg_hi:[0,1]
	v_pk_add_f32 v[38:39], v[44:45], v[38:39] neg_lo:[0,1] neg_hi:[0,1]
	s_waitcnt vmcnt(2)
	v_sub_f32_e32 v43, s4, v51
	s_waitcnt vmcnt(1)
	v_sub_f32_e32 v44, s4, v52
	;; [unrolled: 2-line block ×3, first 2 shown]
	v_exp_f32_e32 v42, v46
	v_exp_f32_e32 v43, v43
	;; [unrolled: 1-line block ×4, first 2 shown]
	global_store_short_d16_hi v[36:37], v40, off
	global_store_short_d16_hi v[36:37], v41, off offset:256
	global_store_short_d16_hi v[36:37], v38, off offset:512
	;; [unrolled: 1-line block ×3, first 2 shown]
	v_pk_mul_f32 v[36:37], v[42:43], v[40:41]
	v_pk_mul_f32 v[38:39], v[44:45], v[38:39]
	v_perm_b32 v36, v37, v36, s39
	v_perm_b32 v37, v39, v38, s39
	ds_write_b64 v79, v[36:37]
	v_mov_b32_e32 v36, 0
	v_mov_b32_e32 v37, 0
	;; [unrolled: 1-line block ×6, first 2 shown]
	s_cbranch_vccnz .LBB649_14
; %bb.13:                               ;   in Loop: Header=BB649_6 Depth=1
	s_and_b32 s29, s29, 0xffff
	s_mov_b32 s31, s7
	buffer_load_dwordx4 v[38:41], v89, s[28:31], 0 offen
	buffer_load_dwordx4 v[30:33], v89, s[28:31], s67 offen
	buffer_load_dwordx4 v[34:37], v90, s[28:31], 0 offen
	buffer_load_dwordx4 v[26:29], v90, s[28:31], s67 offen
	v_mov_b32_e32 v103, v73
	v_mov_b32_e32 v104, v72
.LBB649_14:                             ;   in Loop: Header=BB649_6 Depth=1
	s_waitcnt lgkmcnt(0)
	s_barrier
	ds_read_b64 v[42:43], v92
	ds_read_b64 v[48:49], v93
	ds_read2st64_b64 v[44:47], v87 offset1:1
	ds_read2st64_b64 v[106:109], v87 offset0:2 offset1:3
	ds_read_b64 v[50:51], v94
	ds_read_b64 v[114:115], v95
	s_add_i32 s5, s62, s72
	s_mul_hi_i32 s29, s5, s25
	s_mul_i32 s5, s5, s25
	s_waitcnt lgkmcnt(3)
	v_mfma_f32_16x16x16_bf16 a[0:3], v[42:43], v[44:45], 0
	ds_read_b64 v[42:43], v97
	s_add_u32 s28, s5, s33
	s_addc_u32 s29, s29, s50
	s_add_i32 s5, s3, s68
	v_mfma_f32_16x16x16_bf16 a[0:3], v[48:49], v[46:47], a[0:3]
	ds_read_b64 v[48:49], v98
	s_lshl_b64 s[28:29], s[28:29], 15
	s_mul_hi_i32 s31, s5, s25
	s_mul_i32 s5, s5, s25
	s_add_u32 s48, s5, s33
	s_addc_u32 s49, s31, s50
	s_lshl_b64 s[48:49], s[48:49], 9
	s_add_u32 s48, s8, s48
	s_waitcnt lgkmcnt(1)
	v_mfma_f32_16x16x16_bf16 a[4:7], v[42:43], v[44:45], 0
	s_addc_u32 s49, s9, s49
	s_and_b64 vcc, exec, s[0:1]
	v_mfma_f32_16x16x16_bf16 a[0:3], v[50:51], v[106:107], a[0:3]
	ds_read_b64 v[50:51], v99
	ds_read_b64 v[116:117], v100
	global_load_dwordx4 v[42:45], v96, s[48:49]
	s_waitcnt lgkmcnt(2)
	v_mfma_f32_16x16x16_bf16 a[4:7], v[48:49], v[46:47], a[4:7]
	global_load_dwordx4 v[46:49], v91, s[48:49]
	ds_read_b64 v[110:111], v59
	ds_read_b64 v[112:113], v88
	s_waitcnt lgkmcnt(3)
	v_mfma_f32_16x16x16_bf16 a[8:11], v[50:51], v[106:107], a[4:7]
	v_lshl_add_u64 v[50:51], v[60:61], 0, s[28:29]
	s_waitcnt lgkmcnt(0)
	global_store_dwordx4 v[50:51], v[110:113], off
	v_mfma_f32_16x16x16_bf16 a[4:7], v[114:115], v[108:109], a[0:3]
	s_waitcnt vmcnt(2)
	v_mov_b32_e32 v52, v45
	v_mfma_f32_16x16x16_bf16 a[0:3], v[116:117], v[108:109], a[8:11]
	v_mov_b32_e32 v51, v44
	v_mov_b32_e32 v50, v43
	s_cbranch_vccnz .LBB649_16
; %bb.15:                               ;   in Loop: Header=BB649_6 Depth=1
	v_lshrrev_b32_e32 v43, 3, v103
	v_and_b32_e32 v43, 6, v43
	v_xor_b32_e32 v44, v43, v104
	v_lshlrev_b32_e32 v44, 2, v44
	v_and_b32_e32 v45, 8, v103
	v_xor_b32_e32 v103, 0x440, v44
	v_cmp_eq_u32_e32 vcc, 0, v45
	v_perm_b32 v45, v30, v26, s69
	s_nop 0
	v_cndmask_b32_e32 v44, v103, v44, vcc
	v_lshl_or_b32 v43, v43, 10, v44
	v_perm_b32 v44, v38, v34, s69
	s_barrier
	ds_write2st64_b32 v43, v44, v45 offset1:32
	v_xor_b32_e32 v44, 8, v43
	v_perm_b32 v34, v38, v34, s70
	v_perm_b32 v26, v30, v26, s70
	v_add_u32_e32 v30, 0x80, v44
	ds_write2st64_b32 v30, v34, v26 offset1:32
	v_xor_b32_e32 v26, 16, v43
	v_perm_b32 v30, v39, v35, s69
	v_perm_b32 v34, v31, v27, s69
	ds_write2st64_b32 v26, v30, v34 offset0:1 offset1:33
	v_xor_b32_e32 v26, 24, v43
	v_perm_b32 v30, v39, v35, s70
	v_perm_b32 v27, v31, v27, s70
	v_add_u32_e32 v26, 0x80, v26
	ds_write2st64_b32 v26, v30, v27 offset0:1 offset1:33
	v_xor_b32_e32 v26, 32, v43
	v_perm_b32 v27, v40, v36, s69
	v_perm_b32 v30, v32, v28, s69
	ds_write2st64_b32 v26, v27, v30 offset0:2 offset1:34
	v_xor_b32_e32 v26, 40, v43
	v_perm_b32 v27, v40, v36, s70
	v_perm_b32 v28, v32, v28, s70
	v_add_u32_e32 v26, 0x80, v26
	ds_write2st64_b32 v26, v27, v28 offset0:2 offset1:34
	v_xor_b32_e32 v26, 48, v43
	v_perm_b32 v27, v41, v37, s69
	v_perm_b32 v28, v33, v29, s69
	ds_write2st64_b32 v26, v27, v28 offset0:3 offset1:35
	v_xor_b32_e32 v26, 56, v43
	v_perm_b32 v27, v41, v37, s70
	v_perm_b32 v28, v33, v29, s70
	v_add_u32_e32 v26, 0x80, v26
	ds_write2st64_b32 v26, v27, v28 offset0:3 offset1:35
	ds_write_b64 v102, v[22:23] offset:16384
	v_xor_b32_e32 v22, 8, v102
	ds_write_b64 v22, v[24:25] offset:16384
	ds_write_b64 v102, v[18:19] offset:24576
	;; [unrolled: 1-line block ×4, first 2 shown]
	v_xor_b32_e32 v14, 8, v101
	ds_write_b64 v14, v[16:17] offset:16384
	ds_write_b64 v101, v[10:11] offset:24576
	;; [unrolled: 1-line block ×3, first 2 shown]
.LBB649_16:                             ;   in Loop: Header=BB649_6 Depth=1
	v_exp_f32_e32 v18, s4
	s_waitcnt vmcnt(1)
	v_exp_f32_e32 v20, v46
	v_exp_f32_e32 v21, v47
	;; [unrolled: 1-line block ×4, first 2 shown]
	v_accvgpr_read_b32 v13, a7
	v_accvgpr_read_b32 v11, a5
	v_accvgpr_read_b32 v10, a4
	v_pk_mul_f32 v[20:21], v[18:19], v[20:21] op_sel_hi:[0,1]
	v_pk_fma_f32 v[6:7], v[6:7], v[20:21], v[10:11]
	v_exp_f32_e32 v20, v42
	v_exp_f32_e32 v21, v50
	v_pk_mul_f32 v[10:11], v[18:19], v[22:23] op_sel_hi:[0,1]
	v_exp_f32_e32 v22, v51
	v_exp_f32_e32 v23, v52
	v_accvgpr_read_b32 v12, a6
	v_accvgpr_read_b32 v17, a3
	v_accvgpr_read_b32 v15, a1
	v_accvgpr_read_b32 v14, a0
	v_pk_fma_f32 v[8:9], v[8:9], v[10:11], v[12:13]
	v_pk_mul_f32 v[10:11], v[18:19], v[20:21] op_sel_hi:[0,1]
	v_accvgpr_read_b32 v16, a2
	v_pk_fma_f32 v[2:3], v[2:3], v[10:11], v[14:15]
	v_pk_mul_f32 v[10:11], v[18:19], v[22:23] op_sel_hi:[0,1]
	s_add_i32 s68, s68, 64
	s_cmp_eq_u32 s59, s41
	v_pk_fma_f32 v[4:5], v[4:5], v[10:11], v[16:17]
	s_cbranch_scc1 .LBB649_18
; %bb.17:                               ;   in Loop: Header=BB649_6 Depth=1
	s_mov_b32 s72, s41
	s_branch .LBB649_6
.LBB649_18:
	s_lshl_b32 s45, s59, 6
	s_sub_i32 s48, s24, s45
	s_cmp_gt_i32 s48, 0
	s_cbranch_scc0 .LBB649_75
; %bb.19:
	s_ashr_i32 s3, s45, 31
	s_cmpk_lg_i32 s27, 0x80
	s_cselect_b64 s[30:31], -1, 0
	s_and_b64 vcc, exec, s[30:31]
	s_cbranch_vccz .LBB649_21
; %bb.20:
	s_mul_hi_i32 s0, s58, s24
	s_add_u32 s1, s51, s45
	s_addc_u32 s0, s0, s3
	s_mul_i32 s4, s1, s60
	s_mul_hi_u32 s5, s1, s26
	s_add_i32 s4, s5, s4
	s_mul_i32 s0, s0, s26
	s_add_i32 s4, s4, s0
	s_mul_i32 s1, s1, s26
	s_ashr_i32 s0, s61, 31
	s_add_u32 s46, s1, s61
	s_addc_u32 s47, s4, s0
	s_cbranch_execz .LBB649_22
	s_branch .LBB649_23
.LBB649_21:
                                        ; implicit-def: $sgpr46_sgpr47
.LBB649_22:
	s_mul_hi_i32 s0, s58, s26
	s_mul_i32 s58, s58, s26
	s_ashr_i32 s1, s61, 31
	s_add_u32 s4, s58, s61
	s_addc_u32 s0, s0, s1
	s_mul_i32 s1, s4, s57
	s_mul_hi_u32 s5, s4, s24
	s_add_i32 s1, s5, s1
	s_mul_i32 s0, s0, s24
	s_add_i32 s1, s1, s0
	s_mul_i32 s4, s4, s24
	s_add_u32 s46, s4, s45
	s_addc_u32 s47, s1, s3
.LBB649_23:
	s_mul_i32 s0, s42, s57
	s_add_i32 s0, s64, s0
	s_add_i32 s4, s62, s59
	;; [unrolled: 1-line block ×3, first 2 shown]
	s_add_u32 s0, s44, s45
	s_addc_u32 s1, s1, s3
	s_mov_b32 s3, 0x7060302
	v_lshlrev_b32_e32 v14, 3, v67
	s_lshl_b64 s[28:29], s[0:1], 8
	s_waitcnt vmcnt(1)
	v_perm_b32 v11, v9, v8, s3
	v_perm_b32 v10, v7, v6, s3
	s_waitcnt vmcnt(0)
	v_perm_b32 v13, v5, v4, s3
	v_perm_b32 v12, v3, v2, s3
	v_lshlrev_b32_e32 v42, 2, v67
	v_lshl_or_b32 v14, v70, 5, v14
	s_add_u32 s0, s18, s28
	ds_write2st64_b64 v14, v[10:11], v[12:13] offset0:72 offset1:76
	v_xor_b32_e32 v14, v70, v42
	v_lshlrev_b32_e32 v15, 8, v67
	s_addc_u32 s1, s19, s29
	v_lshl_or_b32 v14, v14, 1, v15
	s_mul_hi_i32 s3, s4, s25
	s_mul_i32 s4, s4, s25
	ds_write_b64 v14, v[10:11] offset:32768
	v_xor_b32_e32 v10, v71, v42
	s_add_u32 s4, s4, s33
	v_lshl_or_b32 v10, v10, 1, v15
	s_addc_u32 s5, s3, s50
	v_lshlrev_b32_e32 v11, 1, v67
	ds_write_b64 v10, v[12:13] offset:32768
	v_lshrrev_b32_e32 v10, 4, v0
	s_ashr_i32 s3, s2, 31
	s_lshl_b64 s[4:5], s[4:5], 15
	v_or_b32_e32 v12, 1, v11
	s_add_u32 s4, s12, s4
	v_xor_b32_e32 v11, v10, v11
	v_xor_b32_e32 v12, v12, v10
	v_lshlrev_b32_e32 v14, 8, v10
	s_addc_u32 s5, s13, s5
	s_lshl_b64 s[2:3], s[2:3], 8
	v_lshl_or_b32 v10, v11, 3, v14
	v_lshl_or_b32 v12, v12, 3, v14
	s_waitcnt lgkmcnt(0)
	s_barrier
	s_add_u32 s2, s4, s2
	ds_read_b64 v[10:11], v10 offset:32768
	ds_read_b64 v[12:13], v12 offset:32768
	s_addc_u32 s3, s5, s3
	v_mov_b32_e32 v15, 0
	s_cmp_lg_u32 s48, 64
	v_lshl_add_u64 v[16:17], s[2:3], 0, v[14:15]
	v_lshlrev_b32_e32 v14, 4, v67
	s_cselect_b64 s[18:19], -1, 0
	v_lshl_or_b32 v44, v1, 3, v69
	s_mov_b32 s4, 0
	v_lshl_add_u64 v[14:15], v[16:17], 0, v[14:15]
	v_or_b32_e32 v27, 32, v44
	v_and_b32_e32 v26, 56, v68
	s_and_b64 vcc, exec, s[18:19]
	s_waitcnt lgkmcnt(0)
	global_store_dwordx4 v[14:15], v[10:13], off
	s_cbranch_vccz .LBB649_29
; %bb.24:
	s_mov_b32 s6, s4
	s_mov_b32 s7, s4
	;; [unrolled: 1-line block ×3, first 2 shown]
	v_mov_b64_e32 v[16:17], s[6:7]
	v_mov_b64_e32 v[14:15], s[4:5]
	;; [unrolled: 1-line block ×3, first 2 shown]
	v_cmp_gt_i32_e32 vcc, s48, v44
	v_mov_b64_e32 v[12:13], v[16:17]
	s_and_saveexec_b64 s[2:3], vcc
	s_cbranch_execz .LBB649_26
; %bb.25:
	v_lshlrev_b32_e32 v10, 8, v44
	v_mov_b32_e32 v11, 0
	v_lshl_add_u64 v[12:13], s[0:1], 0, v[10:11]
	v_lshlrev_b32_e32 v10, 1, v26
	v_lshl_add_u64 v[18:19], v[12:13], 0, v[10:11]
	global_load_dwordx4 v[14:17], v[18:19], off
	global_load_dwordx4 v[10:13], v[18:19], off offset:128
.LBB649_26:
	s_or_b64 exec, exec, s[2:3]
	s_mov_b32 s6, s4
	s_mov_b32 s7, s4
	;; [unrolled: 1-line block ×3, first 2 shown]
	v_mov_b64_e32 v[24:25], s[6:7]
	v_mov_b64_e32 v[22:23], s[4:5]
	;; [unrolled: 1-line block ×3, first 2 shown]
	v_cmp_gt_i32_e32 vcc, s48, v27
	v_lshlrev_b32_e32 v28, 7, v27
	v_mov_b64_e32 v[20:21], v[24:25]
	s_and_saveexec_b64 s[2:3], vcc
	s_cbranch_execz .LBB649_28
; %bb.27:
	v_lshlrev_b32_e32 v18, 1, v28
	v_mov_b32_e32 v19, 0
	v_lshl_add_u64 v[20:21], s[0:1], 0, v[18:19]
	v_lshlrev_b32_e32 v18, 1, v26
	v_lshl_add_u64 v[30:31], v[20:21], 0, v[18:19]
	global_load_dwordx4 v[22:25], v[30:31], off
	global_load_dwordx4 v[18:21], v[30:31], off offset:128
.LBB649_28:
	s_or_b64 exec, exec, s[2:3]
	v_lshrrev_b32_e32 v29, 3, v26
	v_lshlrev_b32_e32 v30, 3, v44
	v_or_b32_e32 v29, v30, v29
	v_lshlrev_b32_e32 v29, 4, v29
	v_and_b32_e32 v30, 0x78, v30
	v_xor_b32_e32 v29, v29, v30
	s_branch .LBB649_31
.LBB649_29:
                                        ; implicit-def: $vgpr29
                                        ; implicit-def: $vgpr28
                                        ; implicit-def: $vgpr14_vgpr15_vgpr16_vgpr17
                                        ; implicit-def: $vgpr10_vgpr11_vgpr12_vgpr13
                                        ; implicit-def: $vgpr22_vgpr23_vgpr24_vgpr25
                                        ; implicit-def: $vgpr18_vgpr19_vgpr20_vgpr21
	s_cbranch_execz .LBB649_31
; %bb.30:
	s_waitcnt vmcnt(0)
	v_lshlrev_b32_e32 v10, 1, v26
	v_lshl_or_b32 v28, v44, 8, v10
	s_and_b32 s1, s1, 0xffff
	s_mov_b32 s3, 0x20000
	s_movk_i32 s2, 0x4000
	v_lshl_or_b32 v29, v27, 8, v10
	s_movk_i32 s4, 0x80
	buffer_load_dwordx4 v[14:17], v28, s[0:3], 0 offen
	buffer_load_dwordx4 v[10:13], v28, s[0:3], s4 offen
	;; [unrolled: 1-line block ×4, first 2 shown]
	v_lshrrev_b32_e32 v28, 3, v26
	v_lshlrev_b32_e32 v29, 3, v44
	v_or_b32_e32 v28, v29, v28
	v_lshlrev_b32_e32 v28, 4, v28
	v_and_b32_e32 v29, 0x78, v29
	v_xor_b32_e32 v29, v28, v29
	v_lshlrev_b32_e32 v28, 7, v27
.LBB649_31:
	s_lshl_b64 s[0:1], s[46:47], 8
	s_add_u32 s4, s16, s0
	s_movk_i32 s0, 0x1000
	v_and_or_b32 v27, v28, s0, v29
	s_waitcnt vmcnt(1)
	ds_write_b64 v29, v[14:15] offset:16384
	v_xor_b32_e32 v14, 8, v29
	ds_write_b64 v14, v[16:17] offset:16384
	s_waitcnt vmcnt(0)
	ds_write_b64 v29, v[10:11] offset:24576
	ds_write_b64 v14, v[12:13] offset:24576
	ds_write_b64 v27, v[22:23] offset:16384
	v_xor_b32_e32 v10, 8, v27
	ds_write_b64 v10, v[24:25] offset:16384
	ds_write_b64 v27, v[18:19] offset:24576
	;; [unrolled: 1-line block ×3, first 2 shown]
	v_or_b32_e32 v10, v53, v67
	v_lshlrev_b32_e32 v10, 3, v10
	v_lshrrev_b32_e32 v12, 5, v57
	s_movk_i32 s6, 0xf8
	v_and_or_b32 v12, v10, s6, v12
	v_lshlrev_b32_e32 v43, 11, v1
	v_lshlrev_b32_e32 v20, 4, v12
	v_and_b32_e32 v21, 0x78, v10
	v_and_b32_e32 v22, 0x1000, v43
	v_lshlrev_b32_e32 v11, 2, v0
	v_xor_b32_e32 v10, v20, v21
	v_lshrrev_b32_e32 v12, 1, v57
	v_and_b32_e32 v11, 60, v11
	v_or_b32_e32 v10, v10, v22
	v_and_b32_e32 v23, 8, v12
	v_xor_b32_e32 v34, v10, v23
	v_lshl_or_b32 v10, v66, 6, v11
	v_lshlrev_b32_e32 v45, 1, v10
	v_or_b32_e32 v10, 32, v20
	v_xor_b32_e32 v10, v10, v21
	s_waitcnt lgkmcnt(0)
	s_barrier
	ds_read_b64 v[18:19], v34 offset:16384
	v_or_b32_e32 v10, v10, v22
	v_xor_b32_e32 v35, v10, v23
	v_or_b32_e32 v10, 64, v20
	v_xor_b32_e32 v10, v10, v21
	v_or_b32_e32 v10, v10, v22
	v_or_b32_e32 v20, 0x60, v20
	v_xor_b32_e32 v36, v10, v23
	ds_read2st64_b64 v[10:13], v45 offset0:72 offset1:73
	ds_read2st64_b64 v[14:17], v45 offset0:74 offset1:75
	v_xor_b32_e32 v24, v20, v21
	ds_read_b64 v[20:21], v35 offset:16384
	s_addc_u32 s5, s17, s1
	s_add_i32 s0, s53, s43
	s_waitcnt lgkmcnt(2)
	v_mfma_f32_16x16x16_bf16 a[0:3], v[18:19], v[10:11], 0
	s_add_i32 s17, s24, -1
	s_add_i32 s41, s0, s54
	s_add_i32 s0, s55, s52
	;; [unrolled: 1-line block ×3, first 2 shown]
	s_ashr_i32 s0, s17, 31
	s_mul_i32 s1, s17, s37
	s_mul_hi_u32 s2, s17, s36
	s_add_i32 s1, s2, s1
	s_mul_i32 s0, s0, s36
	v_or_b32_e32 v22, v24, v22
	s_add_i32 s1, s1, s0
	s_lshl_b64 s[2:3], s[40:41], 2
	v_xor_b32_e32 v46, v22, v23
	ds_read_b64 v[22:23], v36 offset:16384
	ds_read_b64 v[24:25], v46 offset:16384
	s_waitcnt lgkmcnt(2)
	v_mfma_f32_16x16x16_bf16 a[0:3], v[20:21], v[12:13], a[0:3]
	s_add_u32 s6, s22, s2
	s_addc_u32 s7, s23, s3
	s_lshl_b64 s[2:3], s[38:39], 2
	s_mul_i32 s0, s17, s36
	s_add_u32 s12, s6, s2
	s_addc_u32 s13, s7, s3
	s_lshl_b64 s[0:1], s[0:1], 2
	s_waitcnt lgkmcnt(1)
	v_mfma_f32_16x16x16_bf16 a[0:3], v[22:23], v[14:15], a[0:3]
	s_add_u32 s0, s12, s0
	s_addc_u32 s1, s13, s1
	s_load_dword s16, s[0:1], 0x0
	s_waitcnt lgkmcnt(0)
	v_mfma_f32_16x16x16_bf16 a[0:3], v[24:25], v[16:17], a[0:3]
	s_and_b64 vcc, exec, s[30:31]
	s_cbranch_vccz .LBB649_42
; %bb.32:
	v_lshlrev_b32_e32 v27, 1, v44
	s_and_b64 vcc, exec, s[18:19]
	s_cbranch_vccz .LBB649_43
; %bb.33:
	v_cmp_gt_i32_e32 vcc, s48, v27
	v_mov_b32_e32 v14, 0
	v_mov_b32_e32 v10, 0
	v_mov_b32_e32 v11, 0
	v_mov_b32_e32 v12, 0
	v_mov_b32_e32 v13, 0
	s_and_saveexec_b64 s[0:1], vcc
	s_cbranch_execz .LBB649_35
; %bb.34:
	v_mad_i64_i32 v[10:11], s[2:3], s27, v27, 0
	v_lshl_add_u64 v[10:11], v[10:11], 1, s[4:5]
	v_lshlrev_b32_e32 v12, 1, v26
	v_mov_b32_e32 v13, 0
	v_lshl_add_u64 v[10:11], v[10:11], 0, v[12:13]
	global_load_dwordx4 v[10:13], v[10:11], off
.LBB649_35:
	s_or_b64 exec, exec, s[0:1]
	v_or_b32_e32 v28, 1, v27
	v_cmp_gt_i32_e64 s[0:1], s48, v28
	v_mov_b32_e32 v15, 0
	v_mov_b32_e32 v16, 0
	;; [unrolled: 1-line block ×3, first 2 shown]
	s_and_saveexec_b64 s[2:3], s[0:1]
	s_cbranch_execz .LBB649_37
; %bb.36:
	v_mad_i64_i32 v[14:15], s[6:7], s27, v28, 0
	v_lshl_add_u64 v[14:15], v[14:15], 1, s[4:5]
	v_lshlrev_b32_e32 v16, 1, v26
	v_mov_b32_e32 v17, 0
	v_lshl_add_u64 v[14:15], v[14:15], 0, v[16:17]
	global_load_dwordx4 v[14:17], v[14:15], off
.LBB649_37:
	s_or_b64 exec, exec, s[2:3]
	v_mov_b32_e32 v25, 0
	v_mov_b32_e32 v18, 0
	v_mov_b32_e32 v19, 0
	v_mov_b32_e32 v20, 0
	v_mov_b32_e32 v21, 0
	s_and_saveexec_b64 s[2:3], vcc
	s_cbranch_execz .LBB649_39
; %bb.38:
	v_mad_i64_i32 v[18:19], s[6:7], s27, v27, 0
	v_lshl_add_u64 v[18:19], v[18:19], 1, s[4:5]
	v_lshlrev_b32_e32 v20, 1, v26
	v_mov_b32_e32 v21, 0
	v_lshl_add_u64 v[18:19], v[18:19], 0, v[20:21]
	global_load_dwordx4 v[18:21], v[18:19], off offset:128
.LBB649_39:
	s_or_b64 exec, exec, s[2:3]
	v_mov_b32_e32 v24, 0
	v_mov_b32_e32 v23, 0
	v_mov_b32_e32 v22, 0
	s_and_saveexec_b64 s[2:3], s[0:1]
	s_cbranch_execz .LBB649_41
; %bb.40:
	v_mad_i64_i32 v[22:23], s[0:1], s27, v28, 0
	v_lshl_add_u64 v[22:23], v[22:23], 1, s[4:5]
	v_lshlrev_b32_e32 v24, 1, v26
	v_mov_b32_e32 v25, 0
	v_lshl_add_u64 v[22:23], v[22:23], 0, v[24:25]
	global_load_dwordx4 v[22:25], v[22:23], off offset:128
.LBB649_41:
	s_or_b64 exec, exec, s[2:3]
	s_branch .LBB649_45
.LBB649_42:
                                        ; implicit-def: $vgpr13
                                        ; implicit-def: $vgpr17
                                        ; implicit-def: $vgpr21
                                        ; implicit-def: $vgpr25
	v_lshrrev_b32_e32 v27, 2, v57
	s_branch .LBB649_46
.LBB649_43:
                                        ; implicit-def: $vgpr13
                                        ; implicit-def: $vgpr17
                                        ; implicit-def: $vgpr21
                                        ; implicit-def: $vgpr25
	s_cbranch_execz .LBB649_45
; %bb.44:
	s_waitcnt vmcnt(0)
	v_mad_u64_u32 v[10:11], s[0:1], v27, s27, v[26:27]
	v_lshlrev_b32_e32 v27, 1, v10
	s_lshl_b32 s2, s27, 7
	s_and_b32 s1, s5, 0xffff
	s_mov_b32 s3, 0x20000
	s_mov_b32 s0, s4
	v_add_lshl_u32 v28, v10, s27, 1
	s_movk_i32 s6, 0x80
	buffer_load_dwordx4 v[10:13], v27, s[0:3], 0 offen
	buffer_load_dwordx4 v[18:21], v27, s[0:3], s6 offen
	;; [unrolled: 1-line block ×4, first 2 shown]
.LBB649_45:
	v_lshrrev_b32_e32 v27, 2, v57
	s_cbranch_execnz .LBB649_58
.LBB649_46:
	s_and_b64 vcc, exec, s[18:19]
	s_cbranch_vccz .LBB649_56
; %bb.47:
	s_waitcnt vmcnt(0)
	v_lshlrev_b32_e32 v15, 1, v44
	v_cmp_gt_i32_e32 vcc, s48, v15
	v_mov_b32_e32 v14, 0
	v_lshlrev_b32_e32 v22, 9, v44
	v_mov_b32_e32 v10, 0
	v_mov_b32_e32 v11, 0
	;; [unrolled: 1-line block ×4, first 2 shown]
	s_and_saveexec_b64 s[0:1], vcc
	s_cbranch_execz .LBB649_49
; %bb.48:
	v_mov_b32_e32 v23, 0
	v_lshl_add_u64 v[10:11], s[4:5], 0, v[22:23]
	v_lshlrev_b32_e32 v12, 1, v26
	v_mov_b32_e32 v13, v23
	v_lshl_add_u64 v[10:11], v[10:11], 0, v[12:13]
	global_load_dwordx4 v[10:13], v[10:11], off
.LBB649_49:
	s_or_b64 exec, exec, s[0:1]
	v_or_b32_e32 v15, 1, v15
	v_cmp_gt_i32_e64 s[0:1], s48, v15
	v_lshlrev_b32_e32 v28, 8, v15
	v_mov_b32_e32 v15, 0
	v_mov_b32_e32 v16, 0
	v_mov_b32_e32 v17, 0
	s_and_saveexec_b64 s[2:3], s[0:1]
	s_cbranch_execz .LBB649_51
; %bb.50:
	v_mov_b32_e32 v29, 0
	v_lshl_add_u64 v[14:15], s[4:5], 0, v[28:29]
	v_lshlrev_b32_e32 v16, 1, v26
	v_mov_b32_e32 v17, v29
	v_lshl_add_u64 v[14:15], v[14:15], 0, v[16:17]
	global_load_dwordx4 v[14:17], v[14:15], off
.LBB649_51:
	s_or_b64 exec, exec, s[2:3]
	v_mov_b32_e32 v25, 0
	v_mov_b32_e32 v18, 0
	;; [unrolled: 1-line block ×5, first 2 shown]
	s_and_saveexec_b64 s[2:3], vcc
	s_cbranch_execz .LBB649_53
; %bb.52:
	v_mov_b32_e32 v23, 0
	v_lshl_add_u64 v[18:19], s[4:5], 0, v[22:23]
	v_lshlrev_b32_e32 v22, 1, v26
	v_lshl_add_u64 v[18:19], v[18:19], 0, v[22:23]
	global_load_dwordx4 v[18:21], v[18:19], off offset:128
.LBB649_53:
	s_or_b64 exec, exec, s[2:3]
	v_mov_b32_e32 v24, 0
	v_mov_b32_e32 v23, 0
	;; [unrolled: 1-line block ×3, first 2 shown]
	s_and_saveexec_b64 s[2:3], s[0:1]
	s_cbranch_execz .LBB649_55
; %bb.54:
	v_mov_b32_e32 v29, 0
	v_lshl_add_u64 v[22:23], s[4:5], 0, v[28:29]
	v_lshlrev_b32_e32 v28, 1, v26
	v_lshl_add_u64 v[22:23], v[22:23], 0, v[28:29]
	global_load_dwordx4 v[22:25], v[22:23], off offset:128
.LBB649_55:
	s_or_b64 exec, exec, s[2:3]
	s_branch .LBB649_58
.LBB649_56:
                                        ; implicit-def: $vgpr13
                                        ; implicit-def: $vgpr17
                                        ; implicit-def: $vgpr21
                                        ; implicit-def: $vgpr25
	s_cbranch_execz .LBB649_58
; %bb.57:
	s_waitcnt vmcnt(0)
	v_lshlrev_b32_e32 v10, 1, v26
	v_lshl_or_b32 v26, v44, 9, v10
	s_and_b32 s5, s5, 0xffff
	s_mov_b32 s7, 0x20000
	s_movk_i32 s6, 0x4000
	s_movk_i32 s0, 0x80
	buffer_load_dwordx4 v[10:13], v26, s[4:7], 0 offen
	buffer_load_dwordx4 v[14:17], v26, s[4:7], 0 offen offset:256
	buffer_load_dwordx4 v[18:21], v26, s[4:7], s0 offen
	buffer_load_dwordx4 v[22:25], v26, s[4:7], s0 offen offset:256
.LBB649_58:
	v_and_b32_e32 v47, 12, v27
	ds_read2st64_b64 v[30:33], v45 offset0:76 offset1:77
	ds_read2st64_b64 v[26:29], v45 offset0:78 offset1:79
	ds_read_b64 v[40:41], v34 offset:24576
	ds_read_b64 v[38:39], v35 offset:24576
	;; [unrolled: 1-line block ×4, first 2 shown]
	v_and_b32_e32 v46, 6, v0
	v_xor_b32_e32 v44, v44, v46
	v_lshlrev_b32_e32 v44, 2, v44
	v_and_b32_e32 v48, 1, v0
	v_xor_b32_e32 v49, 0x440, v44
	v_cmp_eq_u32_e32 vcc, 0, v48
	s_mov_b32 s0, 0x1000504
	s_waitcnt vmcnt(0)
	v_perm_b32 v48, v18, v22, s0
	v_cndmask_b32_e32 v44, v49, v44, vcc
	v_lshl_or_b32 v44, v46, 10, v44
	v_perm_b32 v46, v10, v14, s0
	ds_write2st64_b32 v44, v46, v48 offset1:32
	v_xor_b32_e32 v46, 8, v44
	s_mov_b32 s1, 0x3020706
	v_perm_b32 v10, v10, v14, s1
	v_perm_b32 v14, v18, v22, s1
	v_add_u32_e32 v18, 0x80, v46
	ds_write2st64_b32 v18, v10, v14 offset1:32
	v_xor_b32_e32 v10, 16, v44
	v_perm_b32 v14, v11, v15, s0
	v_perm_b32 v18, v19, v23, s0
	ds_write2st64_b32 v10, v14, v18 offset0:1 offset1:33
	v_xor_b32_e32 v10, 24, v44
	v_perm_b32 v11, v11, v15, s1
	v_perm_b32 v14, v19, v23, s1
	v_add_u32_e32 v10, 0x80, v10
	ds_write2st64_b32 v10, v11, v14 offset0:1 offset1:33
	v_xor_b32_e32 v10, 32, v44
	v_perm_b32 v11, v12, v16, s0
	v_perm_b32 v14, v20, v24, s0
	ds_write2st64_b32 v10, v11, v14 offset0:2 offset1:34
	v_xor_b32_e32 v10, 40, v44
	v_perm_b32 v11, v12, v16, s1
	v_perm_b32 v12, v20, v24, s1
	v_add_u32_e32 v10, 0x80, v10
	ds_write2st64_b32 v10, v11, v12 offset0:2 offset1:34
	v_xor_b32_e32 v10, 48, v44
	v_perm_b32 v11, v13, v17, s0
	v_perm_b32 v12, v21, v25, s0
	ds_write2st64_b32 v10, v11, v12 offset0:3 offset1:35
	v_xor_b32_e32 v10, 56, v44
	v_or_b32_e32 v18, v47, v53
	v_perm_b32 v11, v13, v17, s1
	v_perm_b32 v12, v21, v25, s1
	v_add_u32_e32 v10, 0x80, v10
	v_cmp_gt_i32_e64 s[2:3], s48, v18
	v_mov_b32_e32 v20, 0
	v_mov_b32_e32 v25, 0
	ds_write2st64_b32 v10, v11, v12 offset0:3 offset1:35
	s_and_saveexec_b64 s[0:1], s[2:3]
	s_cbranch_execz .LBB649_60
; %bb.59:
	v_add_u32_e32 v10, s45, v18
	v_ashrrev_i32_e32 v11, 31, v10
	v_mul_lo_u32 v12, v11, s36
	v_mul_lo_u32 v13, v10, s37
	v_mad_u64_u32 v[10:11], s[4:5], v10, s36, 0
	v_add3_u32 v11, v11, v13, v12
	v_lshl_add_u64 v[10:11], v[10:11], 2, s[12:13]
	global_load_dword v10, v[10:11], off
	s_waitcnt vmcnt(0)
	v_sub_f32_e32 v10, s16, v10
	v_exp_f32_e32 v25, v10
.LBB649_60:
	s_or_b64 exec, exec, s[0:1]
	v_or_b32_e32 v23, 1, v18
	v_cmp_gt_i32_e64 s[4:5], s48, v23
	s_and_saveexec_b64 s[0:1], s[4:5]
	s_cbranch_execz .LBB649_62
; %bb.61:
	v_add_u32_e32 v10, s45, v23
	v_ashrrev_i32_e32 v11, 31, v10
	v_mul_lo_u32 v12, v11, s36
	v_mul_lo_u32 v13, v10, s37
	v_mad_u64_u32 v[10:11], s[6:7], v10, s36, 0
	v_add3_u32 v11, v11, v13, v12
	v_lshl_add_u64 v[10:11], v[10:11], 2, s[12:13]
	global_load_dword v10, v[10:11], off
	s_waitcnt vmcnt(0)
	v_sub_f32_e32 v10, s16, v10
	v_exp_f32_e32 v20, v10
.LBB649_62:
	s_or_b64 exec, exec, s[0:1]
	v_or_b32_e32 v22, 2, v18
	v_cmp_gt_i32_e64 s[0:1], s48, v22
	v_mov_b32_e32 v19, 0
	v_mov_b32_e32 v24, 0
	s_and_saveexec_b64 s[6:7], s[0:1]
	s_cbranch_execz .LBB649_64
; %bb.63:
	v_add_u32_e32 v10, s45, v22
	v_ashrrev_i32_e32 v11, 31, v10
	v_mul_lo_u32 v12, v11, s36
	v_mul_lo_u32 v13, v10, s37
	v_mad_u64_u32 v[10:11], s[18:19], v10, s36, 0
	v_add3_u32 v11, v11, v13, v12
	v_lshl_add_u64 v[10:11], v[10:11], 2, s[12:13]
	global_load_dword v10, v[10:11], off
	s_waitcnt vmcnt(0)
	v_sub_f32_e32 v10, s16, v10
	v_exp_f32_e32 v24, v10
.LBB649_64:
	s_or_b64 exec, exec, s[6:7]
	v_or_b32_e32 v21, 3, v18
	v_cmp_gt_i32_e32 vcc, s48, v21
	s_and_saveexec_b64 s[6:7], vcc
	s_cbranch_execz .LBB649_66
; %bb.65:
	v_add_u32_e32 v10, s45, v21
	v_ashrrev_i32_e32 v11, 31, v10
	v_mul_lo_u32 v12, v11, s36
	v_mul_lo_u32 v13, v10, s37
	v_mad_u64_u32 v[10:11], s[18:19], v10, s36, 0
	v_add3_u32 v11, v11, v13, v12
	v_lshl_add_u64 v[10:11], v[10:11], 2, s[12:13]
	global_load_dword v10, v[10:11], off
	s_waitcnt vmcnt(0)
	v_sub_f32_e32 v10, s16, v10
	v_exp_f32_e32 v19, v10
.LBB649_66:
	s_or_b64 exec, exec, s[6:7]
	s_waitcnt lgkmcnt(11)
	v_mfma_f32_16x16x16_bf16 a[0:3], v[40:41], v[30:31], a[0:3]
	s_add_u32 s6, s20, s28
	v_ashrrev_i32_e32 v59, 31, v58
	s_addc_u32 s7, s21, s29
	s_waitcnt lgkmcnt(10)
	v_mfma_f32_16x16x16_bf16 a[0:3], v[38:39], v[32:33], a[0:3]
	v_lshlrev_b64 v[10:11], 1, v[58:59]
	v_lshl_add_u64 v[14:15], s[6:7], 0, v[10:11]
	s_add_u32 s6, s14, s28
	s_waitcnt lgkmcnt(9)
	v_mfma_f32_16x16x16_bf16 a[0:3], v[36:37], v[26:27], a[0:3]
	s_addc_u32 s7, s15, s29
	v_lshl_add_u64 v[16:17], s[6:7], 0, v[10:11]
	v_mov_b32_e32 v26, 0
	s_waitcnt lgkmcnt(8)
	v_mfma_f32_16x16x16_bf16 a[0:3], v[34:35], v[28:29], a[0:3]
	v_mov_b32_e32 v27, 0
	s_nop 5
	v_accvgpr_read_b32 v13, a3
	v_accvgpr_read_b32 v12, a2
	v_accvgpr_read_b32 v11, a1
	v_accvgpr_read_b32 v10, a0
	s_and_saveexec_b64 s[6:7], s[2:3]
	s_cbranch_execz .LBB649_68
; %bb.67:
	v_lshlrev_b32_e32 v28, 8, v18
	v_mov_b32_e32 v29, 0
	v_lshl_add_u64 v[30:31], v[14:15], 0, v[28:29]
	global_load_ushort v27, v[30:31], off
	v_lshl_add_u64 v[28:29], v[16:17], 0, v[28:29]
	s_waitcnt vmcnt(0)
	v_lshlrev_b32_e32 v27, 16, v27
	v_sub_f32_e32 v10, v27, v10
	global_store_short_d16_hi v[28:29], v10, off
	v_mul_f32_e32 v10, v25, v10
	v_lshrrev_b32_e32 v27, 16, v10
.LBB649_68:
	s_or_b64 exec, exec, s[6:7]
	s_and_saveexec_b64 s[2:3], s[4:5]
	s_cbranch_execz .LBB649_70
; %bb.69:
	v_lshlrev_b32_e32 v28, 8, v23
	v_mov_b32_e32 v29, 0
	v_lshl_add_u64 v[30:31], v[14:15], 0, v[28:29]
	global_load_ushort v10, v[30:31], off
	v_lshl_add_u64 v[28:29], v[16:17], 0, v[28:29]
	s_waitcnt vmcnt(0)
	v_lshlrev_b32_e32 v10, 16, v10
	v_sub_f32_e32 v10, v10, v11
	global_store_short_d16_hi v[28:29], v10, off
	v_mul_f32_e32 v10, v20, v10
	v_lshrrev_b32_e32 v26, 16, v10
.LBB649_70:
	s_or_b64 exec, exec, s[2:3]
	v_mov_b32_e32 v11, 0
	v_mov_b32_e32 v20, 0
	s_and_saveexec_b64 s[2:3], s[0:1]
	s_cbranch_execz .LBB649_72
; %bb.71:
	v_lshlrev_b32_e32 v22, 8, v22
	v_mov_b32_e32 v23, 0
	v_lshl_add_u64 v[28:29], v[14:15], 0, v[22:23]
	global_load_ushort v10, v[28:29], off
	v_lshl_add_u64 v[22:23], v[16:17], 0, v[22:23]
	s_waitcnt vmcnt(0)
	v_lshlrev_b32_e32 v10, 16, v10
	v_sub_f32_e32 v10, v10, v12
	global_store_short_d16_hi v[22:23], v10, off
	v_mul_f32_e32 v10, v24, v10
	v_lshrrev_b32_e32 v20, 16, v10
.LBB649_72:
	s_or_b64 exec, exec, s[2:3]
	v_or_b32_e32 v10, 0x9800, v45
	s_and_saveexec_b64 s[0:1], vcc
	s_cbranch_execz .LBB649_74
; %bb.73:
	v_lshlrev_b32_e32 v22, 8, v21
	v_mov_b32_e32 v23, 0
	v_lshl_add_u64 v[14:15], v[14:15], 0, v[22:23]
	global_load_ushort v11, v[14:15], off
	v_lshl_add_u64 v[14:15], v[16:17], 0, v[22:23]
	s_waitcnt vmcnt(0)
	v_lshlrev_b32_e32 v11, 16, v11
	v_sub_f32_e32 v11, v11, v13
	global_store_short_d16_hi v[14:15], v11, off
	v_mul_f32_e32 v11, v19, v11
	v_lshrrev_b32_e32 v11, 16, v11
.LBB649_74:
	s_or_b64 exec, exec, s[0:1]
	s_mov_b32 s0, 0x5040100
	v_perm_b32 v13, v11, v20, s0
	v_lshlrev_b32_e32 v11, 1, v42
	v_perm_b32 v12, v26, v27, s0
	v_lshl_or_b32 v11, v18, 5, v11
	s_movk_i32 s2, 0xff
	ds_write_b64 v11, v[12:13] offset:38912
	v_and_b32_e32 v11, 7, v0
	v_cmp_lt_u32_e32 vcc, s2, v0
	v_and_b32_e32 v12, 8, v0
	v_lshlrev_b32_e32 v19, 3, v11
	v_lshlrev_b32_e32 v28, 7, v11
	v_cndmask_b32_e64 v11, 0, 1, vcc
	v_lshrrev_b32_e32 v0, 1, v0
	v_lshlrev_b32_e32 v24, 13, v11
	v_lshlrev_b32_e32 v11, 3, v1
	v_and_b32_e32 v0, 24, v0
	v_xor_b32_e32 v13, v11, v0
	v_or_b32_e32 v14, 0x440, v13
	v_cmp_eq_u32_e32 vcc, 0, v12
	s_waitcnt lgkmcnt(0)
	s_barrier
	v_cndmask_b32_e32 v12, v14, v13, vcc
	v_or_b32_e32 v12, v12, v43
	v_xor_b32_e32 v29, v12, v19
	v_or_b32_e32 v12, 32, v0
	v_xor_b32_e32 v12, v11, v12
	v_or_b32_e32 v13, 0x440, v12
	v_cndmask_b32_e32 v12, v13, v12, vcc
	v_or_b32_e32 v12, v12, v43
	v_xor_b32_e32 v30, v12, v19
	v_or_b32_e32 v12, 64, v0
	v_xor_b32_e32 v12, v11, v12
	v_xor_b32_e32 v13, 0x440, v12
	v_cndmask_b32_e32 v12, v13, v12, vcc
	v_add3_u32 v16, v24, v29, v28
	v_or_b32_e32 v12, v12, v43
	v_or_b32_e32 v0, 0x60, v0
	v_xor_b32_e32 v31, v12, v19
	ds_read2st64_b64 v[12:15], v10 offset1:1
	ds_read2st64_b64 v[20:23], v10 offset0:2 offset1:3
	v_xor_b32_e32 v0, v11, v0
	ds_read_b64 v[10:11], v16
	v_add3_u32 v17, v24, v30, v28
	v_xor_b32_e32 v16, 0x440, v0
	v_cndmask_b32_e32 v0, v16, v0, vcc
	ds_read_b64 v[16:17], v17
	s_add_i32 s0, s17, s51
	s_mul_hi_i32 s1, s0, s25
	s_mul_i32 s0, s0, s25
	s_add_u32 s0, s0, s33
	v_or_b32_e32 v0, v0, v43
	s_waitcnt lgkmcnt(1)
	v_mfma_f32_16x16x16_bf16 a[0:3], v[10:11], v[12:13], 0
	s_addc_u32 s1, s1, s50
	v_xor_b32_e32 v32, v0, v19
	s_lshl_b64 s[0:1], s[0:1], 9
	v_add3_u32 v25, v24, v31, v28
	v_add3_u32 v0, v24, v32, v28
	s_add_u32 s0, s8, s0
	ds_read_b64 v[24:25], v25
	ds_read_b64 v[26:27], v0
	s_addc_u32 s1, s9, s1
	v_lshlrev_b32_e32 v0, 2, v18
	s_waitcnt lgkmcnt(2)
	v_mfma_f32_16x16x16_bf16 a[0:3], v[16:17], v[14:15], a[0:3]
	global_load_dwordx4 v[16:19], v0, s[0:1]
	v_add_u32_e32 v0, v29, v28
	v_lshlrev_b32_e32 v10, 6, v1
	ds_read_b64 v[0:1], v0 offset:8192
	v_lshlrev_b32_e32 v11, 2, v47
	s_movk_i32 s2, 0x100
	v_or3_b32 v10, v10, v11, s2
	v_add_u32_e32 v11, v30, v28
	v_add_u32_e32 v29, v31, v28
	;; [unrolled: 1-line block ×3, first 2 shown]
	s_waitcnt lgkmcnt(2)
	v_mfma_f32_16x16x16_bf16 a[0:3], v[24:25], v[20:21], a[0:3]
	ds_read_b64 v[24:25], v11 offset:8192
	ds_read_b64 v[28:29], v29 offset:8192
	;; [unrolled: 1-line block ×3, first 2 shown]
	s_waitcnt vmcnt(0)
	v_exp_f32_e32 v16, v16
	s_waitcnt lgkmcnt(3)
	v_mfma_f32_16x16x16_bf16 a[4:7], v[0:1], v[12:13], 0
	global_load_dwordx4 v[10:13], v10, s[0:1]
	v_exp_f32_e32 v0, s16
	v_exp_f32_e32 v17, v17
	v_mfma_f32_16x16x16_bf16 a[0:3], v[26:27], v[22:23], a[0:3]
	v_exp_f32_e32 v18, v18
	v_exp_f32_e32 v19, v19
	v_pk_mul_f32 v[16:17], v[0:1], v[16:17] op_sel_hi:[0,1]
	v_pk_mul_f32 v[18:19], v[0:1], v[18:19] op_sel_hi:[0,1]
	s_waitcnt vmcnt(0)
	v_exp_f32_e32 v10, v10
	s_nop 0
	v_accvgpr_read_b32 v33, a1
	v_accvgpr_read_b32 v27, a3
	;; [unrolled: 1-line block ×4, first 2 shown]
	s_waitcnt lgkmcnt(2)
	v_mfma_f32_16x16x16_bf16 a[0:3], v[24:25], v[14:15], a[4:7]
	v_mov_b32_e32 v14, v13
	v_mov_b32_e32 v13, v12
	;; [unrolled: 1-line block ×3, first 2 shown]
	s_waitcnt lgkmcnt(1)
	v_mfma_f32_16x16x16_bf16 a[0:3], v[28:29], v[20:21], a[0:3]
	v_exp_f32_e32 v11, v12
	v_exp_f32_e32 v12, v13
	;; [unrolled: 1-line block ×3, first 2 shown]
	s_waitcnt lgkmcnt(0)
	v_mfma_f32_16x16x16_bf16 a[0:3], v[30:31], v[22:23], a[0:3]
	v_pk_fma_f32 v[6:7], v[6:7], v[16:17], v[32:33]
	v_pk_mul_f32 v[10:11], v[0:1], v[10:11] op_sel_hi:[0,1]
	v_pk_mul_f32 v[0:1], v[0:1], v[12:13] op_sel_hi:[0,1]
	v_pk_fma_f32 v[8:9], v[8:9], v[18:19], v[26:27]
	s_nop 2
	v_accvgpr_read_b32 v17, a1
	v_accvgpr_read_b32 v15, a3
	;; [unrolled: 1-line block ×4, first 2 shown]
	v_pk_fma_f32 v[2:3], v[2:3], v[10:11], v[16:17]
	v_pk_fma_f32 v[4:5], v[4:5], v[0:1], v[14:15]
.LBB649_75:
	s_add_u32 s0, s10, s34
	s_addc_u32 s1, s11, s35
	v_lshl_add_u64 v[0:1], v[54:55], 2, s[0:1]
	v_mov_b32_e32 v57, 0
	v_lshl_add_u64 v[0:1], v[0:1], 0, v[56:57]
	s_waitcnt vmcnt(1)
	global_store_dwordx4 v[0:1], v[6:9], off
	s_waitcnt vmcnt(1)
	global_store_dwordx4 v[0:1], v[2:5], off offset:256
	s_endpgm
	.section	.rodata,"a",@progbits
	.p2align	6, 0x0
	.amdhsa_kernel _ZN12_GLOBAL__N_139chunk_gated_delta_rule_fwd_h_hip_kernelILi16ELb1ELb1ELb1ELb0ELb1ELb1ELb1ELb0EEEvPK12hip_bfloat16S3_S3_PKfS5_PKvPS1_S8_PvPKiSB_iiiiilll
		.amdhsa_group_segment_fixed_size 40960
		.amdhsa_private_segment_fixed_size 0
		.amdhsa_kernarg_size 136
		.amdhsa_user_sgpr_count 2
		.amdhsa_user_sgpr_dispatch_ptr 0
		.amdhsa_user_sgpr_queue_ptr 0
		.amdhsa_user_sgpr_kernarg_segment_ptr 1
		.amdhsa_user_sgpr_dispatch_id 0
		.amdhsa_user_sgpr_kernarg_preload_length 0
		.amdhsa_user_sgpr_kernarg_preload_offset 0
		.amdhsa_user_sgpr_private_segment_size 0
		.amdhsa_uses_dynamic_stack 0
		.amdhsa_enable_private_segment 0
		.amdhsa_system_sgpr_workgroup_id_x 1
		.amdhsa_system_sgpr_workgroup_id_y 1
		.amdhsa_system_sgpr_workgroup_id_z 0
		.amdhsa_system_sgpr_workgroup_info 0
		.amdhsa_system_vgpr_workitem_id 0
		.amdhsa_next_free_vgpr 132
		.amdhsa_next_free_sgpr 76
		.amdhsa_accum_offset 120
		.amdhsa_reserve_vcc 1
		.amdhsa_float_round_mode_32 0
		.amdhsa_float_round_mode_16_64 0
		.amdhsa_float_denorm_mode_32 3
		.amdhsa_float_denorm_mode_16_64 3
		.amdhsa_dx10_clamp 1
		.amdhsa_ieee_mode 1
		.amdhsa_fp16_overflow 0
		.amdhsa_tg_split 0
		.amdhsa_exception_fp_ieee_invalid_op 0
		.amdhsa_exception_fp_denorm_src 0
		.amdhsa_exception_fp_ieee_div_zero 0
		.amdhsa_exception_fp_ieee_overflow 0
		.amdhsa_exception_fp_ieee_underflow 0
		.amdhsa_exception_fp_ieee_inexact 0
		.amdhsa_exception_int_div_zero 0
	.end_amdhsa_kernel
	.section	.text._ZN12_GLOBAL__N_139chunk_gated_delta_rule_fwd_h_hip_kernelILi16ELb1ELb1ELb1ELb0ELb1ELb1ELb1ELb0EEEvPK12hip_bfloat16S3_S3_PKfS5_PKvPS1_S8_PvPKiSB_iiiiilll,"axG",@progbits,_ZN12_GLOBAL__N_139chunk_gated_delta_rule_fwd_h_hip_kernelILi16ELb1ELb1ELb1ELb0ELb1ELb1ELb1ELb0EEEvPK12hip_bfloat16S3_S3_PKfS5_PKvPS1_S8_PvPKiSB_iiiiilll,comdat
.Lfunc_end649:
	.size	_ZN12_GLOBAL__N_139chunk_gated_delta_rule_fwd_h_hip_kernelILi16ELb1ELb1ELb1ELb0ELb1ELb1ELb1ELb0EEEvPK12hip_bfloat16S3_S3_PKfS5_PKvPS1_S8_PvPKiSB_iiiiilll, .Lfunc_end649-_ZN12_GLOBAL__N_139chunk_gated_delta_rule_fwd_h_hip_kernelILi16ELb1ELb1ELb1ELb0ELb1ELb1ELb1ELb0EEEvPK12hip_bfloat16S3_S3_PKfS5_PKvPS1_S8_PvPKiSB_iiiiilll
                                        ; -- End function
	.section	.AMDGPU.csdata,"",@progbits
; Kernel info:
; codeLenInByte = 8132
; NumSgprs: 82
; NumVgprs: 118
; NumAgprs: 12
; TotalNumVgprs: 132
; ScratchSize: 0
; MemoryBound: 0
; FloatMode: 240
; IeeeMode: 1
; LDSByteSize: 40960 bytes/workgroup (compile time only)
; SGPRBlocks: 10
; VGPRBlocks: 16
; NumSGPRsForWavesPerEU: 82
; NumVGPRsForWavesPerEU: 132
; AccumOffset: 120
; Occupancy: 1
; WaveLimiterHint : 1
; COMPUTE_PGM_RSRC2:SCRATCH_EN: 0
; COMPUTE_PGM_RSRC2:USER_SGPR: 2
; COMPUTE_PGM_RSRC2:TRAP_HANDLER: 0
; COMPUTE_PGM_RSRC2:TGID_X_EN: 1
; COMPUTE_PGM_RSRC2:TGID_Y_EN: 1
; COMPUTE_PGM_RSRC2:TGID_Z_EN: 0
; COMPUTE_PGM_RSRC2:TIDIG_COMP_CNT: 0
; COMPUTE_PGM_RSRC3_GFX90A:ACCUM_OFFSET: 29
; COMPUTE_PGM_RSRC3_GFX90A:TG_SPLIT: 0
	.section	.text._ZN12_GLOBAL__N_139chunk_gated_delta_rule_fwd_h_hip_kernelILi16ELb1ELb1ELb0ELb0ELb1ELb1ELb1ELb0EEEvPK12hip_bfloat16S3_S3_PKfS5_PKvPS1_S8_PvPKiSB_iiiiilll,"axG",@progbits,_ZN12_GLOBAL__N_139chunk_gated_delta_rule_fwd_h_hip_kernelILi16ELb1ELb1ELb0ELb0ELb1ELb1ELb1ELb0EEEvPK12hip_bfloat16S3_S3_PKfS5_PKvPS1_S8_PvPKiSB_iiiiilll,comdat
	.globl	_ZN12_GLOBAL__N_139chunk_gated_delta_rule_fwd_h_hip_kernelILi16ELb1ELb1ELb0ELb0ELb1ELb1ELb1ELb0EEEvPK12hip_bfloat16S3_S3_PKfS5_PKvPS1_S8_PvPKiSB_iiiiilll ; -- Begin function _ZN12_GLOBAL__N_139chunk_gated_delta_rule_fwd_h_hip_kernelILi16ELb1ELb1ELb0ELb0ELb1ELb1ELb1ELb0EEEvPK12hip_bfloat16S3_S3_PKfS5_PKvPS1_S8_PvPKiSB_iiiiilll
	.p2align	8
	.type	_ZN12_GLOBAL__N_139chunk_gated_delta_rule_fwd_h_hip_kernelILi16ELb1ELb1ELb0ELb0ELb1ELb1ELb1ELb0EEEvPK12hip_bfloat16S3_S3_PKfS5_PKvPS1_S8_PvPKiSB_iiiiilll,@function
_ZN12_GLOBAL__N_139chunk_gated_delta_rule_fwd_h_hip_kernelILi16ELb1ELb1ELb0ELb0ELb1ELb1ELb1ELb0EEEvPK12hip_bfloat16S3_S3_PKfS5_PKvPS1_S8_PvPKiSB_iiiiilll: ; @_ZN12_GLOBAL__N_139chunk_gated_delta_rule_fwd_h_hip_kernelILi16ELb1ELb1ELb0ELb0ELb1ELb1ELb1ELb0EEEvPK12hip_bfloat16S3_S3_PKfS5_PKvPS1_S8_PvPKiSB_iiiiilll
; %bb.0:
	s_load_dwordx4 s[12:15], s[0:1], 0x5c
	s_abs_i32 s6, s3
	s_ashr_i32 s5, s3, 31
	s_load_dwordx4 s[16:19], s[0:1], 0x20
	s_load_dwordx2 s[38:39], s[0:1], 0x30
	v_and_b32_e32 v65, 15, v0
	s_waitcnt lgkmcnt(0)
	s_abs_i32 s4, s13
	v_cvt_f32_u32_e32 v1, s4
	s_sub_i32 s8, 0, s4
	s_ashr_i32 s7, s13, 31
	s_xor_b32 s5, s5, s7
	v_rcp_iflag_f32_e32 v1, v1
	v_bfe_u32 v64, v0, 4, 2
	v_mov_b32_e32 v57, 0
	v_lshlrev_b32_e32 v66, 3, v0
	v_mul_f32_e32 v1, 0x4f7ffffe, v1
	v_cvt_u32_f32_e32 v1, v1
	s_nop 0
	v_readfirstlane_b32 s9, v1
	s_mul_i32 s8, s8, s9
	s_mul_hi_u32 s8, s9, s8
	s_add_i32 s9, s9, s8
	s_mul_hi_u32 s8, s6, s9
	s_mul_i32 s9, s8, s4
	s_sub_i32 s6, s6, s9
	s_add_i32 s10, s8, 1
	s_sub_i32 s9, s6, s4
	s_cmp_ge_u32 s6, s4
	s_cselect_b32 s8, s10, s8
	s_cselect_b32 s6, s9, s6
	s_add_i32 s9, s8, 1
	s_cmp_ge_u32 s6, s4
	s_cselect_b32 s6, s9, s8
	s_xor_b32 s6, s6, s5
	s_sub_i32 s56, s6, s5
	s_mul_i32 s6, s56, s13
	s_sub_i32 s33, s3, s6
	s_abs_i32 s3, s14
	v_cvt_f32_u32_e32 v1, s3
	s_add_i32 s8, s12, 63
	s_ashr_i32 s9, s8, 31
	s_lshr_b32 s5, s9, 26
	v_rcp_iflag_f32_e32 v1, v1
	s_ashr_i32 s55, s12, 31
	s_add_i32 s8, s8, s5
	s_lshr_b32 s5, s55, 26
	v_mul_f32_e32 v1, 0x4f7ffffe, v1
	v_cvt_u32_f32_e32 v1, v1
	s_add_i32 s5, s12, s5
	s_ashr_i32 s58, s14, 31
	s_ashr_i32 s24, s8, 6
	s_ashr_i32 s57, s5, 6
	s_xor_b32 s5, s7, s58
	s_sub_i32 s7, 0, s3
	v_readfirstlane_b32 s8, v1
	s_mul_i32 s7, s7, s8
	s_mul_hi_u32 s7, s8, s7
	s_add_i32 s8, s8, s7
	s_mul_hi_u32 s7, s4, s8
	s_mul_i32 s8, s7, s3
	s_sub_i32 s4, s4, s8
	s_lshl_b32 s2, s2, 4
	s_add_i32 s8, s7, 1
	s_sub_i32 s9, s4, s3
	s_cmp_ge_u32 s4, s3
	s_cselect_b32 s7, s8, s7
	s_cselect_b32 s4, s9, s4
	s_add_i32 s8, s7, 1
	s_cmp_ge_u32 s4, s3
	s_cselect_b32 s3, s8, s7
	s_xor_b32 s3, s3, s5
	s_sub_i32 s3, s3, s5
	s_abs_i32 s4, s3
	v_cvt_f32_u32_e32 v1, s4
	s_sub_i32 s7, 0, s4
	s_abs_i32 s5, s33
	s_xor_b32 s3, s33, s3
	v_rcp_iflag_f32_e32 v2, v1
	s_ashr_i32 s3, s3, 31
	v_lshrrev_b32_e32 v1, 6, v0
	v_or_b32_e32 v58, s2, v65
	v_mul_f32_e32 v2, 0x4f7ffffe, v2
	v_cvt_u32_f32_e32 v2, v2
	v_lshlrev_b32_e32 v53, 4, v1
	v_lshlrev_b32_e32 v54, 7, v58
	v_lshl_or_b32 v68, v64, 2, v53
	v_readfirstlane_b32 s8, v2
	s_mul_i32 s7, s7, s8
	s_mul_hi_u32 s7, s8, s7
	s_add_i32 s8, s8, s7
	s_mul_hi_u32 s7, s5, s8
	s_mul_i32 s8, s7, s4
	s_sub_i32 s5, s5, s8
	s_add_i32 s8, s7, 1
	s_sub_i32 s9, s5, s4
	s_cmp_ge_u32 s5, s4
	s_cselect_b32 s7, s8, s7
	s_cselect_b32 s5, s9, s5
	s_add_i32 s8, s7, 1
	s_cmp_ge_u32 s5, s4
	s_cselect_b32 s4, s8, s7
	s_xor_b32 s4, s4, s3
	s_sub_i32 s59, s4, s3
	s_ashr_i32 s3, s56, 31
	s_ashr_i32 s48, s33, 31
	s_mul_hi_i32 s4, s56, s13
	s_add_u32 s40, s6, s33
	s_addc_u32 s41, s4, s48
	s_lshl_b64 s[28:29], s[40:41], 16
	s_add_u32 s4, s18, s28
	s_addc_u32 s5, s19, s29
	v_ashrrev_i32_e32 v55, 31, v54
	v_lshl_add_u64 v[2:3], v[54:55], 2, s[4:5]
	v_lshlrev_b32_e32 v56, 2, v68
	v_lshl_add_u64 v[10:11], v[2:3], 0, v[56:57]
	global_load_dwordx4 v[6:9], v[10:11], off
	global_load_dwordx4 v[2:5], v[10:11], off offset:256
	s_load_dwordx2 s[18:19], s[0:1], 0x40
	s_load_dwordx8 s[4:11], s[0:1], 0x0
	s_load_dwordx2 s[30:31], s[0:1], 0x80
	s_load_dwordx4 s[20:23], s[0:1], 0x70
	v_and_b32_e32 v57, 63, v0
	s_mul_i32 s49, s56, s12
	s_mul_i32 s60, s56, s24
	v_or_b32_e32 v69, 64, v68
	s_cmp_lt_i32 s12, 64
	v_lshrrev_b32_e32 v67, 3, v57
	s_mul_i32 s61, s41, s12
	s_mul_hi_u32 s62, s40, s12
	s_mul_i32 s42, s40, s12
	s_waitcnt lgkmcnt(0)
	s_mul_i32 s41, s56, s21
	s_mul_hi_u32 s51, s56, s20
	s_mul_i32 s52, s3, s20
	s_mul_i32 s36, s56, s20
	;; [unrolled: 1-line block ×3, first 2 shown]
	s_mul_hi_u32 s53, s33, s22
	s_mul_i32 s54, s48, s22
	s_mul_i32 s34, s33, s22
	s_cbranch_scc1 .LBB650_18
; %bb.1:
	s_add_i32 s43, s62, s61
	s_lshl_b64 s[0:1], s[42:43], 8
	v_and_b32_e32 v71, 56, v66
	s_add_u32 s20, s6, s0
	v_lshl_or_b32 v70, v1, 3, v67
	v_lshlrev_b32_e32 v10, 1, v71
	s_addc_u32 s0, s7, s1
	v_lshl_or_b32 v72, v70, 8, v10
	s_and_b32 s21, s0, 0xffff
	s_mov_b32 s23, 0x20000
	s_movk_i32 s22, 0x4000
	s_movk_i32 s0, 0x80
	v_or_b32_e32 v73, 0x2000, v72
	buffer_load_dwordx4 v[12:15], v72, s[20:23], 0 offen
	buffer_load_dwordx4 v[16:19], v72, s[20:23], s0 offen
	;; [unrolled: 1-line block ×4, first 2 shown]
	v_lshlrev_b32_e32 v11, 3, v70
	v_and_or_b32 v29, v0, 7, v11
	v_and_b32_e32 v11, 0x78, v11
	v_lshlrev_b32_e32 v29, 4, v29
	v_xor_b32_e32 v74, v29, v11
	v_mul_lo_u32 v28, v70, s15
	v_or_b32_e32 v75, 0x1000, v74
	v_xor_b32_e32 v11, 8, v74
	s_cmpk_eq_i32 s15, 0x80
	s_mov_b32 s63, s14
	v_xor_b32_e32 v29, 8, v75
	s_cselect_b64 s[0:1], -1, 0
	s_cmpk_lg_i32 s15, 0x80
	s_waitcnt vmcnt(3)
	ds_write_b64 v74, v[12:13] offset:16384
	ds_write_b64 v11, v[14:15] offset:16384
	s_waitcnt vmcnt(2)
	ds_write_b64 v74, v[16:17] offset:24576
	ds_write_b64 v11, v[18:19] offset:24576
	;; [unrolled: 3-line block ×4, first 2 shown]
	v_lshl_add_u32 v11, v28, 1, v71
	s_cbranch_scc0 .LBB650_3
; %bb.2:
	v_lshlrev_b32_e32 v13, 1, v11
	v_add_lshl_u32 v12, v11, s15, 1
	s_lshl_b32 s22, s15, 7
	v_lshl_or_b32 v10, v70, 9, v10
	s_cbranch_execz .LBB650_4
	s_branch .LBB650_5
.LBB650_3:
                                        ; implicit-def: $vgpr12
                                        ; implicit-def: $vgpr13
                                        ; implicit-def: $sgpr22
	v_lshl_or_b32 v10, v70, 9, v10
.LBB650_4:
	v_or_b32_e32 v12, 0x100, v10
	s_movk_i32 s22, 0x4000
	v_mov_b32_e32 v13, v10
.LBB650_5:
	s_mul_hi_u32 s20, s14, s12
	s_mul_i32 s21, s58, s12
	s_add_i32 s20, s20, s21
	s_mul_i32 s21, s14, s12
	s_mul_i32 s23, s21, s3
	s_mul_hi_u32 s24, s21, s56
	s_add_i32 s23, s24, s23
	s_mul_i32 s20, s20, s56
	s_add_i32 s23, s23, s20
	s_mul_i32 s21, s21, s56
	s_ashr_i32 s64, s59, 31
	s_add_u32 s20, s21, s59
	s_addc_u32 s21, s23, s64
	s_lshl_b64 s[20:21], s[20:21], 8
	s_add_u32 s20, s4, s20
	s_addc_u32 s21, s5, s21
	s_and_b32 s21, s21, 0xffff
	s_mov_b32 s23, 0x20000
	s_movk_i32 s65, 0x80
	buffer_load_dwordx4 v[14:17], v13, s[20:23], 0 offen
	buffer_load_dwordx4 v[18:21], v13, s[20:23], s65 offen
	;; [unrolled: 1-line block ×4, first 2 shown]
	v_and_b32_e32 v12, 6, v0
	v_lshlrev_b32_e32 v30, 2, v65
	v_lshlrev_b32_e32 v31, 3, v65
	v_xor_b32_e32 v33, v70, v12
	v_and_b32_e32 v13, 1, v0
	s_mul_i32 s3, s3, s12
	s_mul_hi_u32 s20, s56, s12
	v_lshl_or_b32 v31, v68, 5, v31
	v_xor_b32_e32 v34, v68, v30
	v_lshlrev_b32_e32 v33, 2, v33
	v_or_b32_e32 v76, 0x9000, v31
	v_or_b32_e32 v77, 0x9800, v31
	v_lshlrev_b32_e32 v31, 1, v34
	v_xor_b32_e32 v34, 0x440, v33
	v_cmp_eq_u32_e32 vcc, 0, v13
	s_add_i32 s69, s20, s3
	s_add_i32 s3, s51, s41
	v_cndmask_b32_e32 v13, v34, v33, vcc
	s_add_i32 s20, s53, s50
	s_add_i32 s37, s3, s52
	s_mov_b32 s67, 0x1000504
	v_lshlrev_b32_e32 v32, 8, v65
	s_mov_b32 s22, 0x8000
	v_xor_b32_e32 v30, v69, v30
	v_lshl_or_b32 v12, v12, 10, v13
	s_add_i32 s35, s20, s54
	s_lshl_b64 s[20:21], s[36:37], 2
	s_mov_b32 s68, 0x3020706
	v_lshlrev_b32_e32 v30, 1, v30
	v_or3_b32 v78, v31, v32, s22
	v_xor_b32_e32 v13, 8, v12
	v_xor_b32_e32 v31, 24, v12
	;; [unrolled: 1-line block ×4, first 2 shown]
	s_add_u32 s3, s10, s20
	v_or3_b32 v79, v30, v32, s22
	v_xor_b32_e32 v30, 16, v12
	v_xor_b32_e32 v32, 32, v12
	;; [unrolled: 1-line block ×3, first 2 shown]
	v_add_u32_e32 v13, 0x80, v13
	v_add_u32_e32 v31, 0x80, v31
	;; [unrolled: 1-line block ×4, first 2 shown]
	s_addc_u32 s24, s11, s21
	s_lshl_b64 s[20:21], s[34:35], 2
	s_add_u32 s44, s3, s20
	s_movk_i32 s3, 0xf8
	s_addc_u32 s45, s24, s21
	v_ashrrev_i32_e32 v59, 31, v58
	s_lshl_b32 s26, s15, 7
	s_mov_b32 s66, 0
	s_mov_b32 s35, 0x7060302
	;; [unrolled: 1-line block ×3, first 2 shown]
	s_waitcnt vmcnt(1)
	v_perm_b32 v36, v14, v22, s67
	s_waitcnt vmcnt(0)
	v_perm_b32 v37, v18, v26, s67
	v_perm_b32 v14, v14, v22, s68
	;; [unrolled: 1-line block ×15, first 2 shown]
	ds_write2st64_b32 v12, v36, v37 offset1:32
	ds_write2st64_b32 v13, v14, v18 offset1:32
	ds_write2st64_b32 v30, v22, v26 offset0:1 offset1:33
	ds_write2st64_b32 v31, v15, v19 offset0:1 offset1:33
	ds_write2st64_b32 v32, v23, v27 offset0:2 offset1:34
	ds_write2st64_b32 v33, v16, v20 offset0:2 offset1:34
	ds_write2st64_b32 v34, v24, v28 offset0:3 offset1:35
	ds_write2st64_b32 v35, v17, v21 offset0:3 offset1:35
	v_or_b32_e32 v12, v53, v65
	v_lshlrev_b32_e32 v12, 3, v12
	v_lshrrev_b32_e32 v14, 5, v57
	v_and_or_b32 v14, v12, s3, v14
	v_lshlrev_b32_e32 v14, 4, v14
	v_lshrrev_b32_e32 v13, 2, v57
	v_lshlrev_b32_e32 v19, 11, v1
	v_and_b32_e32 v12, 0x78, v12
	v_or_b32_e32 v17, 32, v14
	v_and_b32_e32 v18, 12, v13
	v_and_b32_e32 v13, 0x1000, v19
	v_xor_b32_e32 v15, v14, v12
	v_lshrrev_b32_e32 v16, 1, v57
	v_xor_b32_e32 v17, v17, v12
	v_or_b32_e32 v15, v15, v13
	v_and_b32_e32 v16, 8, v16
	v_or_b32_e32 v17, v17, v13
	v_xor_b32_e32 v80, v15, v16
	v_and_b32_e32 v15, 0x78, v66
	v_xor_b32_e32 v82, v17, v16
	v_or_b32_e32 v17, 64, v14
	v_or_b32_e32 v14, 0x60, v14
	v_lshl_or_b32 v15, v64, 7, v15
	v_xor_b32_e32 v17, v17, v12
	v_xor_b32_e32 v12, v14, v12
	v_or_b32_e32 v81, 0x9000, v15
	v_or_b32_e32 v17, v17, v13
	;; [unrolled: 1-line block ×4, first 2 shown]
	v_lshrrev_b32_e32 v14, 4, v0
	v_lshlrev_b32_e32 v15, 1, v65
	v_xor_b32_e32 v83, v17, v16
	v_xor_b32_e32 v84, v12, v16
	s_ashr_i32 s3, s2, 31
	v_or_b32_e32 v16, 1, v15
	v_xor_b32_e32 v15, v14, v15
	s_lshl_b64 s[20:21], s[2:3], 8
	v_xor_b32_e32 v16, v16, v14
	v_lshlrev_b32_e32 v15, 3, v15
	v_lshlrev_b32_e32 v14, 8, v14
	v_lshl_add_u64 v[12:13], v[58:59], 1, s[8:9]
	s_add_u32 s20, s38, s20
	v_or3_b32 v59, v15, v14, s22
	v_lshlrev_b32_e32 v15, 3, v16
	s_addc_u32 s21, s39, s21
	v_or3_b32 v86, v15, v14, s22
	v_mov_b32_e32 v15, 0
	v_lshrrev_b32_e32 v25, 1, v0
	v_lshl_add_u64 v[16:17], s[20:21], 0, v[14:15]
	v_lshlrev_b32_e32 v14, 4, v65
	s_movk_i32 s3, 0xff
	v_lshlrev_b32_e32 v24, 3, v1
	v_and_b32_e32 v25, 24, v25
	v_lshl_add_u64 v[60:61], v[16:17], 0, v[14:15]
	v_and_b32_e32 v14, 7, v0
	v_and_b32_e32 v17, 8, v0
	v_cmp_lt_u32_e32 vcc, s3, v0
	v_xor_b32_e32 v26, v24, v25
	v_lshlrev_b32_e32 v22, 3, v14
	v_lshlrev_b32_e32 v23, 7, v14
	v_cndmask_b32_e64 v14, 0, 1, vcc
	v_or_b32_e32 v27, 0x440, v26
	v_cmp_eq_u32_e32 vcc, 0, v17
	v_or_b32_e32 v29, 64, v25
	v_xor_b32_e32 v29, v24, v29
	v_cndmask_b32_e32 v17, v27, v26, vcc
	v_or_b32_e32 v27, 32, v25
	v_or_b32_e32 v25, 0x60, v25
	v_xor_b32_e32 v27, v24, v27
	v_xor_b32_e32 v24, v24, v25
	v_or_b32_e32 v28, 0x440, v27
	v_xor_b32_e32 v30, 0x440, v29
	v_xor_b32_e32 v25, 0x440, v24
	v_cndmask_b32_e32 v27, v28, v27, vcc
	v_cndmask_b32_e32 v29, v30, v29, vcc
	;; [unrolled: 1-line block ×3, first 2 shown]
	v_or_b32_e32 v17, v17, v19
	v_or_b32_e32 v27, v27, v19
	;; [unrolled: 1-line block ×4, first 2 shown]
	v_lshlrev_b32_e32 v14, 13, v14
	v_xor_b32_e32 v17, v17, v22
	v_xor_b32_e32 v27, v27, v22
	;; [unrolled: 1-line block ×4, first 2 shown]
	v_lshlrev_b32_e32 v20, 1, v11
	v_add_lshl_u32 v11, v11, s15, 1
	v_or_b32_e32 v21, 0x100, v10
	v_or_b32_e32 v16, v18, v53
	v_add_u32_e32 v26, v14, v17
	v_add_u32_e32 v28, v14, v27
	;; [unrolled: 1-line block ×4, first 2 shown]
	v_or3_b32 v18, v53, v18, 64
	v_add_u32_e32 v17, 0x2000, v17
	v_add_u32_e32 v24, 0x2000, v27
	;; [unrolled: 1-line block ×4, first 2 shown]
	v_lshlrev_b32_e32 v14, 8, v68
	v_cndmask_b32_e64 v87, v20, v10, s[0:1]
	v_cndmask_b32_e64 v88, v11, v21, s[0:1]
	v_lshl_add_u64 v[62:63], v[12:13], 0, v[14:15]
	s_add_i32 s3, s49, 63
	s_movk_i32 s22, 0x4000
	v_lshlrev_b32_e32 v89, 2, v16
	v_add_u32_e32 v90, v26, v23
	v_add_u32_e32 v91, v28, v23
	;; [unrolled: 1-line block ×4, first 2 shown]
	v_lshlrev_b32_e32 v94, 2, v18
	v_add_u32_e32 v95, v17, v23
	v_add_u32_e32 v96, v24, v23
	;; [unrolled: 1-line block ×4, first 2 shown]
	s_waitcnt lgkmcnt(0)
	s_barrier
.LBB650_6:                              ; =>This Inner Loop Header: Depth=1
	s_add_i32 s37, s70, 1
	s_cmp_lt_i32 s37, s57
	s_mov_b64 s[24:25], 0
	s_cselect_b64 s[46:47], -1, 0
	s_cmp_ge_i32 s37, s57
	s_mov_b64 s[20:21], 0
	s_cbranch_scc1 .LBB650_8
; %bb.7:                                ;   in Loop: Header=BB650_6 Depth=1
	s_add_i32 s0, s66, 64
	s_add_u32 s0, s42, s0
	s_addc_u32 s1, s43, 0
	s_lshl_b64 s[0:1], s[0:1], 8
	s_add_u32 s20, s6, s0
	s_addc_u32 s21, s7, s1
.LBB650_8:                              ;   in Loop: Header=BB650_6 Depth=1
	v_cndmask_b32_e64 v10, 0, 1, s[46:47]
	v_cmp_ne_u32_e64 s[0:1], 1, v10
	s_andn2_b64 vcc, exec, s[46:47]
	s_cbranch_vccnz .LBB650_10
; %bb.9:                                ;   in Loop: Header=BB650_6 Depth=1
	s_add_i32 s24, s66, 64
	s_add_u32 s24, s49, s24
	s_addc_u32 s25, s69, 0
	s_mul_i32 s27, s24, s58
	s_mul_hi_u32 s46, s24, s63
	s_add_i32 s27, s46, s27
	s_mul_i32 s25, s25, s63
	s_add_i32 s27, s27, s25
	s_mul_i32 s24, s24, s63
	s_add_u32 s24, s24, s59
	s_addc_u32 s25, s27, s64
	s_lshl_b64 s[24:25], s[24:25], 8
	s_add_u32 s24, s4, s24
	s_addc_u32 s25, s5, s25
.LBB650_10:                             ;   in Loop: Header=BB650_6 Depth=1
	v_perm_b32 v11, v9, v8, s35
	v_perm_b32 v10, v7, v6, s35
	;; [unrolled: 1-line block ×4, first 2 shown]
	ds_write_b64 v76, v[10:11]
	ds_write_b64 v77, v[12:13]
	;; [unrolled: 1-line block ×4, first 2 shown]
	s_waitcnt lgkmcnt(0)
	s_barrier
	ds_read_b64 v[18:19], v80 offset:16384
	ds_read_b64 v[20:21], v82 offset:16384
	ds_read2st64_b64 v[10:13], v81 offset1:1
	ds_read2st64_b64 v[14:17], v81 offset0:2 offset1:3
	ds_read_b64 v[22:23], v83 offset:16384
	s_waitcnt lgkmcnt(2)
	v_mfma_f32_16x16x16_bf16 a[0:3], v[18:19], v[10:11], 0
	ds_read_b64 v[10:11], v84 offset:16384
	s_add_i32 s27, s66, 63
	s_mul_i32 s46, s27, s31
	v_mfma_f32_16x16x16_bf16 a[0:3], v[20:21], v[12:13], a[0:3]
	s_mul_hi_u32 s47, s27, s30
	s_add_i32 s47, s47, s46
	s_mul_i32 s46, s27, s30
	s_waitcnt lgkmcnt(1)
	v_mfma_f32_16x16x16_bf16 a[0:3], v[22:23], v[14:15], a[0:3]
	s_lshl_b64 s[46:47], s[46:47], 2
	s_add_u32 s46, s44, s46
	s_addc_u32 s47, s45, s47
	s_waitcnt lgkmcnt(0)
	v_mfma_f32_16x16x16_bf16 a[0:3], v[10:11], v[16:17], a[0:3]
	s_and_b64 vcc, exec, s[0:1]
	v_mov_b32_e32 v101, 0
	v_mov_b32_e32 v100, 0
	;; [unrolled: 1-line block ×19, first 2 shown]
	s_cbranch_vccnz .LBB650_12
; %bb.11:                               ;   in Loop: Header=BB650_6 Depth=1
	s_and_b32 s21, s21, 0xffff
	buffer_load_dwordx4 v[22:25], v72, s[20:23], 0 offen
	buffer_load_dwordx4 v[18:21], v72, s[20:23], s65 offen
	;; [unrolled: 1-line block ×4, first 2 shown]
	v_mov_b32_e32 v100, v74
	v_mov_b32_e32 v99, v75
.LBB650_12:                             ;   in Loop: Header=BB650_6 Depth=1
	v_add_u32_e32 v32, s66, v68
	v_ashrrev_i32_e32 v26, 31, v32
	v_mul_lo_u32 v28, v26, s30
	v_mul_lo_u32 v29, v32, s31
	v_mad_u64_u32 v[26:27], s[20:21], v32, s30, 0
	v_add3_u32 v27, v27, v29, v28
	v_add_u32_e32 v28, 1, v32
	v_ashrrev_i32_e32 v29, 31, v28
	v_mul_lo_u32 v30, v29, s30
	v_mul_lo_u32 v31, v28, s31
	v_mad_u64_u32 v[28:29], s[20:21], v28, s30, 0
	v_add3_u32 v29, v29, v31, v30
	v_add_u32_e32 v30, 2, v32
	v_ashrrev_i32_e32 v31, 31, v30
	v_mul_lo_u32 v33, v31, s30
	v_mul_lo_u32 v34, v30, s31
	v_mad_u64_u32 v[30:31], s[20:21], v30, s30, 0
	v_add_u32_e32 v32, 3, v32
	v_add3_u32 v31, v31, v34, v33
	v_ashrrev_i32_e32 v33, 31, v32
	v_mul_lo_u32 v36, v33, s30
	v_mul_lo_u32 v37, v32, s31
	v_mad_u64_u32 v[32:33], s[20:21], v32, s30, 0
	s_add_u32 s20, s42, s66
	s_addc_u32 s21, s43, 0
	s_lshl_b64 s[20:21], s[20:21], 8
	v_lshl_add_u64 v[26:27], v[26:27], 2, s[44:45]
	v_lshl_add_u64 v[34:35], v[62:63], 0, s[20:21]
	;; [unrolled: 1-line block ×3, first 2 shown]
	global_load_ushort v50, v[34:35], off
	global_load_ushort v51, v[34:35], off offset:256
	global_load_ushort v52, v[34:35], off offset:512
	;; [unrolled: 1-line block ×3, first 2 shown]
	v_add3_u32 v33, v33, v37, v36
	global_load_dword v104, v[26:27], off
	v_lshl_add_u64 v[30:31], v[30:31], 2, s[44:45]
	v_lshl_add_u64 v[26:27], v[32:33], 2, s[44:45]
	global_load_dword v105, v[28:29], off
	global_load_dword v106, v[30:31], off
	;; [unrolled: 1-line block ×3, first 2 shown]
	s_load_dword s20, s[46:47], 0x0
	ds_read2st64_b64 v[34:37], v85 offset1:1
	ds_read2st64_b64 v[40:43], v85 offset0:2 offset1:3
	ds_read_b64 v[38:39], v80 offset:24576
	ds_read_b64 v[44:45], v82 offset:24576
	;; [unrolled: 1-line block ×4, first 2 shown]
	s_waitcnt lgkmcnt(0)
	v_mfma_f32_16x16x16_bf16 a[0:3], v[38:39], v[34:35], a[0:3]
	v_mov_b32_e32 v102, 0
	v_mov_b32_e32 v26, 0
	v_mov_b32_e32 v27, 0
	v_mfma_f32_16x16x16_bf16 a[0:3], v[44:45], v[36:37], a[0:3]
	v_mov_b32_e32 v28, 0
	v_mov_b32_e32 v29, 0
	v_mov_b32_e32 v30, 0
	;; [unrolled: 4-line block ×4, first 2 shown]
	v_mov_b32_e32 v37, 0
	v_mov_b32_e32 v38, 0
	v_mov_b32_e32 v39, 0
	v_mov_b32_e32 v40, 0
	v_accvgpr_read_b32 v45, a1
	v_accvgpr_read_b32 v43, a3
	;; [unrolled: 1-line block ×4, first 2 shown]
	s_and_b64 vcc, exec, s[0:1]
	s_waitcnt vmcnt(7)
	v_lshlrev_b32_e32 v46, 16, v50
	s_waitcnt vmcnt(6)
	v_lshlrev_b32_e32 v47, 16, v51
	;; [unrolled: 2-line block ×4, first 2 shown]
	v_pk_add_f32 v[44:45], v[46:47], v[44:45] neg_lo:[0,1] neg_hi:[0,1]
	s_waitcnt vmcnt(3)
	v_sub_f32_e32 v41, s20, v104
	v_exp_f32_e32 v50, v41
	s_waitcnt vmcnt(2)
	v_sub_f32_e32 v41, s20, v105
	s_waitcnt vmcnt(1)
	v_sub_f32_e32 v52, s20, v106
	;; [unrolled: 2-line block ×3, first 2 shown]
	v_exp_f32_e32 v51, v41
	v_exp_f32_e32 v104, v52
	;; [unrolled: 1-line block ×3, first 2 shown]
	v_pk_add_f32 v[42:43], v[48:49], v[42:43] neg_lo:[0,1] neg_hi:[0,1]
	v_pk_mul_f32 v[44:45], v[50:51], v[44:45]
	v_mov_b32_e32 v41, 0
	v_pk_mul_f32 v[42:43], v[104:105], v[42:43]
	s_nop 0
	v_perm_b32 v43, v43, v42, s35
	v_perm_b32 v42, v45, v44, s35
	ds_write_b64 v77, v[42:43]
	s_cbranch_vccnz .LBB650_14
; %bb.13:                               ;   in Loop: Header=BB650_6 Depth=1
	s_and_b32 s25, s25, 0xffff
	s_mov_b32 s27, s23
	buffer_load_dwordx4 v[38:41], v87, s[24:27], 0 offen
	buffer_load_dwordx4 v[30:33], v87, s[24:27], s65 offen
	;; [unrolled: 1-line block ×4, first 2 shown]
	v_mov_b32_e32 v101, v71
	v_mov_b32_e32 v102, v70
.LBB650_14:                             ;   in Loop: Header=BB650_6 Depth=1
	s_waitcnt lgkmcnt(0)
	s_barrier
	ds_read_b64 v[42:43], v90
	ds_read_b64 v[48:49], v91
	ds_read2st64_b64 v[44:47], v85 offset1:1
	ds_read2st64_b64 v[104:107], v85 offset0:2 offset1:3
	ds_read_b64 v[50:51], v92
	ds_read_b64 v[112:113], v93
	s_add_i32 s21, s60, s70
	s_mul_hi_i32 s25, s21, s13
	s_mul_i32 s21, s21, s13
	s_waitcnt lgkmcnt(3)
	v_mfma_f32_16x16x16_bf16 a[0:3], v[42:43], v[44:45], 0
	ds_read_b64 v[42:43], v95
	s_add_u32 s24, s21, s33
	s_addc_u32 s25, s25, s48
	s_add_i32 s21, s3, s66
	v_mfma_f32_16x16x16_bf16 a[0:3], v[48:49], v[46:47], a[0:3]
	ds_read_b64 v[48:49], v96
	s_lshl_b64 s[24:25], s[24:25], 15
	s_mul_hi_i32 s27, s21, s13
	s_mul_i32 s21, s21, s13
	s_add_u32 s46, s21, s33
	s_addc_u32 s47, s27, s48
	s_lshl_b64 s[46:47], s[46:47], 9
	s_add_u32 s46, s16, s46
	s_waitcnt lgkmcnt(1)
	v_mfma_f32_16x16x16_bf16 a[4:7], v[42:43], v[44:45], 0
	s_addc_u32 s47, s17, s47
	s_and_b64 vcc, exec, s[0:1]
	v_mfma_f32_16x16x16_bf16 a[0:3], v[50:51], v[104:105], a[0:3]
	ds_read_b64 v[50:51], v97
	ds_read_b64 v[114:115], v98
	global_load_dwordx4 v[42:45], v94, s[46:47]
	s_waitcnt lgkmcnt(2)
	v_mfma_f32_16x16x16_bf16 a[4:7], v[48:49], v[46:47], a[4:7]
	global_load_dwordx4 v[46:49], v89, s[46:47]
	ds_read_b64 v[108:109], v59
	ds_read_b64 v[110:111], v86
	s_waitcnt lgkmcnt(3)
	v_mfma_f32_16x16x16_bf16 a[8:11], v[50:51], v[104:105], a[4:7]
	v_lshl_add_u64 v[50:51], v[60:61], 0, s[24:25]
	s_waitcnt lgkmcnt(0)
	global_store_dwordx4 v[50:51], v[108:111], off
	v_mfma_f32_16x16x16_bf16 a[4:7], v[112:113], v[106:107], a[0:3]
	s_waitcnt vmcnt(2)
	v_mov_b32_e32 v52, v45
	v_mfma_f32_16x16x16_bf16 a[0:3], v[114:115], v[106:107], a[8:11]
	v_mov_b32_e32 v51, v44
	v_mov_b32_e32 v50, v43
	s_cbranch_vccnz .LBB650_16
; %bb.15:                               ;   in Loop: Header=BB650_6 Depth=1
	v_lshrrev_b32_e32 v43, 3, v101
	v_and_b32_e32 v43, 6, v43
	v_xor_b32_e32 v44, v43, v102
	v_lshlrev_b32_e32 v44, 2, v44
	v_and_b32_e32 v45, 8, v101
	v_xor_b32_e32 v101, 0x440, v44
	v_cmp_eq_u32_e32 vcc, 0, v45
	v_perm_b32 v45, v30, v26, s67
	s_nop 0
	v_cndmask_b32_e32 v44, v101, v44, vcc
	v_lshl_or_b32 v43, v43, 10, v44
	v_perm_b32 v44, v38, v34, s67
	s_barrier
	ds_write2st64_b32 v43, v44, v45 offset1:32
	v_xor_b32_e32 v44, 8, v43
	v_perm_b32 v34, v38, v34, s68
	v_perm_b32 v26, v30, v26, s68
	v_add_u32_e32 v30, 0x80, v44
	ds_write2st64_b32 v30, v34, v26 offset1:32
	v_xor_b32_e32 v26, 16, v43
	v_perm_b32 v30, v39, v35, s67
	v_perm_b32 v34, v31, v27, s67
	ds_write2st64_b32 v26, v30, v34 offset0:1 offset1:33
	v_xor_b32_e32 v26, 24, v43
	v_perm_b32 v30, v39, v35, s68
	v_perm_b32 v27, v31, v27, s68
	v_add_u32_e32 v26, 0x80, v26
	ds_write2st64_b32 v26, v30, v27 offset0:1 offset1:33
	v_xor_b32_e32 v26, 32, v43
	v_perm_b32 v27, v40, v36, s67
	v_perm_b32 v30, v32, v28, s67
	ds_write2st64_b32 v26, v27, v30 offset0:2 offset1:34
	v_xor_b32_e32 v26, 40, v43
	v_perm_b32 v27, v40, v36, s68
	v_perm_b32 v28, v32, v28, s68
	v_add_u32_e32 v26, 0x80, v26
	ds_write2st64_b32 v26, v27, v28 offset0:2 offset1:34
	;; [unrolled: 9-line block ×3, first 2 shown]
	ds_write_b64 v100, v[22:23] offset:16384
	v_xor_b32_e32 v22, 8, v100
	ds_write_b64 v22, v[24:25] offset:16384
	ds_write_b64 v100, v[18:19] offset:24576
	ds_write_b64 v22, v[20:21] offset:24576
	ds_write_b64 v99, v[14:15] offset:16384
	v_xor_b32_e32 v14, 8, v99
	ds_write_b64 v14, v[16:17] offset:16384
	ds_write_b64 v99, v[10:11] offset:24576
	;; [unrolled: 1-line block ×3, first 2 shown]
.LBB650_16:                             ;   in Loop: Header=BB650_6 Depth=1
	v_exp_f32_e32 v18, s20
	s_waitcnt vmcnt(1)
	v_exp_f32_e32 v20, v46
	v_exp_f32_e32 v21, v47
	;; [unrolled: 1-line block ×4, first 2 shown]
	v_accvgpr_read_b32 v13, a7
	v_accvgpr_read_b32 v11, a5
	;; [unrolled: 1-line block ×3, first 2 shown]
	v_pk_mul_f32 v[20:21], v[18:19], v[20:21] op_sel_hi:[0,1]
	v_pk_fma_f32 v[6:7], v[6:7], v[20:21], v[10:11]
	v_exp_f32_e32 v20, v42
	v_exp_f32_e32 v21, v50
	v_pk_mul_f32 v[10:11], v[18:19], v[22:23] op_sel_hi:[0,1]
	v_exp_f32_e32 v22, v51
	v_exp_f32_e32 v23, v52
	v_accvgpr_read_b32 v12, a6
	v_accvgpr_read_b32 v17, a3
	;; [unrolled: 1-line block ×4, first 2 shown]
	v_pk_fma_f32 v[8:9], v[8:9], v[10:11], v[12:13]
	v_pk_mul_f32 v[10:11], v[18:19], v[20:21] op_sel_hi:[0,1]
	v_accvgpr_read_b32 v16, a2
	v_pk_fma_f32 v[2:3], v[2:3], v[10:11], v[14:15]
	v_pk_mul_f32 v[10:11], v[18:19], v[22:23] op_sel_hi:[0,1]
	s_add_i32 s66, s66, 64
	s_cmp_eq_u32 s57, s37
	v_pk_fma_f32 v[4:5], v[4:5], v[10:11], v[16:17]
	s_cbranch_scc1 .LBB650_18
; %bb.17:                               ;   in Loop: Header=BB650_6 Depth=1
	s_mov_b32 s70, s37
	s_branch .LBB650_6
.LBB650_18:
	s_lshl_b32 s43, s57, 6
	s_sub_i32 s46, s12, s43
	s_cmp_gt_i32 s46, 0
	s_cbranch_scc0 .LBB650_75
; %bb.19:
	s_ashr_i32 s3, s43, 31
	s_cmpk_lg_i32 s15, 0x80
	s_cselect_b64 s[26:27], -1, 0
	s_and_b64 vcc, exec, s[26:27]
	s_cbranch_vccz .LBB650_21
; %bb.20:
	s_mul_hi_i32 s0, s56, s12
	s_add_u32 s1, s49, s43
	s_addc_u32 s0, s0, s3
	s_mul_i32 s20, s1, s58
	s_mul_hi_u32 s21, s1, s14
	s_add_i32 s20, s21, s20
	s_mul_i32 s0, s0, s14
	s_add_i32 s20, s20, s0
	s_mul_i32 s1, s1, s14
	s_ashr_i32 s0, s59, 31
	s_add_u32 s44, s1, s59
	s_addc_u32 s45, s20, s0
	s_cbranch_execz .LBB650_22
	s_branch .LBB650_23
.LBB650_21:
                                        ; implicit-def: $sgpr44_sgpr45
.LBB650_22:
	s_mul_hi_i32 s0, s56, s14
	s_mul_i32 s56, s56, s14
	s_ashr_i32 s1, s59, 31
	s_add_u32 s14, s56, s59
	s_addc_u32 s0, s0, s1
	s_mul_i32 s1, s14, s55
	s_mul_hi_u32 s20, s14, s12
	s_add_i32 s1, s20, s1
	s_mul_i32 s0, s0, s12
	s_add_i32 s1, s1, s0
	s_mul_i32 s14, s14, s12
	s_add_u32 s44, s14, s43
	s_addc_u32 s45, s1, s3
.LBB650_23:
	s_mul_i32 s0, s40, s55
	s_add_i32 s0, s62, s0
	s_add_i32 s14, s60, s57
	;; [unrolled: 1-line block ×3, first 2 shown]
	s_add_u32 s0, s42, s43
	s_addc_u32 s1, s1, s3
	s_mov_b32 s3, 0x7060302
	v_lshlrev_b32_e32 v14, 3, v65
	s_lshl_b64 s[24:25], s[0:1], 8
	s_waitcnt vmcnt(1)
	v_perm_b32 v11, v9, v8, s3
	v_perm_b32 v10, v7, v6, s3
	s_waitcnt vmcnt(0)
	v_perm_b32 v13, v5, v4, s3
	v_perm_b32 v12, v3, v2, s3
	v_lshlrev_b32_e32 v42, 2, v65
	v_lshl_or_b32 v14, v68, 5, v14
	s_add_u32 s0, s6, s24
	ds_write2st64_b64 v14, v[10:11], v[12:13] offset0:72 offset1:76
	v_xor_b32_e32 v14, v68, v42
	v_lshlrev_b32_e32 v15, 8, v65
	s_addc_u32 s1, s7, s25
	v_lshl_or_b32 v14, v14, 1, v15
	s_mul_hi_i32 s3, s14, s13
	s_mul_i32 s14, s14, s13
	ds_write_b64 v14, v[10:11] offset:32768
	v_xor_b32_e32 v10, v69, v42
	s_add_u32 s6, s14, s33
	v_lshl_or_b32 v10, v10, 1, v15
	s_addc_u32 s7, s3, s48
	v_lshlrev_b32_e32 v11, 1, v65
	ds_write_b64 v10, v[12:13] offset:32768
	v_lshrrev_b32_e32 v10, 4, v0
	s_ashr_i32 s3, s2, 31
	s_lshl_b64 s[6:7], s[6:7], 15
	v_or_b32_e32 v12, 1, v11
	s_add_u32 s6, s38, s6
	v_xor_b32_e32 v11, v10, v11
	v_xor_b32_e32 v12, v12, v10
	v_lshlrev_b32_e32 v14, 8, v10
	s_addc_u32 s7, s39, s7
	s_lshl_b64 s[2:3], s[2:3], 8
	v_lshl_or_b32 v10, v11, 3, v14
	v_lshl_or_b32 v12, v12, 3, v14
	s_waitcnt lgkmcnt(0)
	s_barrier
	s_add_u32 s2, s6, s2
	ds_read_b64 v[10:11], v10 offset:32768
	ds_read_b64 v[12:13], v12 offset:32768
	s_addc_u32 s3, s7, s3
	v_mov_b32_e32 v15, 0
	s_cmp_lg_u32 s46, 64
	v_lshl_add_u64 v[16:17], s[2:3], 0, v[14:15]
	v_lshlrev_b32_e32 v14, 4, v65
	s_cselect_b64 s[6:7], -1, 0
	v_lshl_or_b32 v44, v1, 3, v67
	s_mov_b32 s20, 0
	v_lshl_add_u64 v[14:15], v[16:17], 0, v[14:15]
	v_or_b32_e32 v27, 32, v44
	v_and_b32_e32 v26, 56, v66
	s_and_b64 vcc, exec, s[6:7]
	s_waitcnt lgkmcnt(0)
	global_store_dwordx4 v[14:15], v[10:13], off
	s_cbranch_vccz .LBB650_29
; %bb.24:
	s_mov_b32 s21, s20
	s_mov_b32 s22, s20
	;; [unrolled: 1-line block ×3, first 2 shown]
	v_mov_b64_e32 v[14:15], s[20:21]
	v_mov_b64_e32 v[16:17], s[22:23]
	;; [unrolled: 1-line block ×3, first 2 shown]
	v_cmp_gt_i32_e32 vcc, s46, v44
	v_mov_b64_e32 v[12:13], v[16:17]
	s_and_saveexec_b64 s[2:3], vcc
	s_cbranch_execz .LBB650_26
; %bb.25:
	v_lshlrev_b32_e32 v10, 8, v44
	v_mov_b32_e32 v11, 0
	v_lshl_add_u64 v[12:13], s[0:1], 0, v[10:11]
	v_lshlrev_b32_e32 v10, 1, v26
	v_lshl_add_u64 v[18:19], v[12:13], 0, v[10:11]
	global_load_dwordx4 v[14:17], v[18:19], off
	global_load_dwordx4 v[10:13], v[18:19], off offset:128
.LBB650_26:
	s_or_b64 exec, exec, s[2:3]
	s_mov_b32 s22, s20
	s_mov_b32 s23, s20
	s_mov_b32 s21, s20
	v_mov_b64_e32 v[24:25], s[22:23]
	v_mov_b64_e32 v[22:23], s[20:21]
	;; [unrolled: 1-line block ×3, first 2 shown]
	v_cmp_gt_i32_e32 vcc, s46, v27
	v_lshlrev_b32_e32 v28, 7, v27
	v_mov_b64_e32 v[20:21], v[24:25]
	s_and_saveexec_b64 s[2:3], vcc
	s_cbranch_execz .LBB650_28
; %bb.27:
	v_lshlrev_b32_e32 v18, 1, v28
	v_mov_b32_e32 v19, 0
	v_lshl_add_u64 v[20:21], s[0:1], 0, v[18:19]
	v_lshlrev_b32_e32 v18, 1, v26
	v_lshl_add_u64 v[30:31], v[20:21], 0, v[18:19]
	global_load_dwordx4 v[22:25], v[30:31], off
	global_load_dwordx4 v[18:21], v[30:31], off offset:128
.LBB650_28:
	s_or_b64 exec, exec, s[2:3]
	v_lshrrev_b32_e32 v29, 3, v26
	v_lshlrev_b32_e32 v30, 3, v44
	v_or_b32_e32 v29, v30, v29
	v_lshlrev_b32_e32 v29, 4, v29
	v_and_b32_e32 v30, 0x78, v30
	v_xor_b32_e32 v29, v29, v30
	s_branch .LBB650_31
.LBB650_29:
                                        ; implicit-def: $vgpr29
                                        ; implicit-def: $vgpr28
                                        ; implicit-def: $vgpr14_vgpr15_vgpr16_vgpr17
                                        ; implicit-def: $vgpr10_vgpr11_vgpr12_vgpr13
                                        ; implicit-def: $vgpr22_vgpr23_vgpr24_vgpr25
                                        ; implicit-def: $vgpr18_vgpr19_vgpr20_vgpr21
	s_cbranch_execz .LBB650_31
; %bb.30:
	s_waitcnt vmcnt(0)
	v_lshlrev_b32_e32 v10, 1, v26
	v_lshl_or_b32 v28, v44, 8, v10
	s_and_b32 s1, s1, 0xffff
	s_mov_b32 s3, 0x20000
	s_movk_i32 s2, 0x4000
	v_lshl_or_b32 v29, v27, 8, v10
	s_movk_i32 s14, 0x80
	buffer_load_dwordx4 v[14:17], v28, s[0:3], 0 offen
	buffer_load_dwordx4 v[10:13], v28, s[0:3], s14 offen
	;; [unrolled: 1-line block ×4, first 2 shown]
	v_lshrrev_b32_e32 v28, 3, v26
	v_lshlrev_b32_e32 v29, 3, v44
	v_or_b32_e32 v28, v29, v28
	v_lshlrev_b32_e32 v28, 4, v28
	v_and_b32_e32 v29, 0x78, v29
	v_xor_b32_e32 v29, v28, v29
	v_lshlrev_b32_e32 v28, 7, v27
.LBB650_31:
	s_lshl_b64 s[0:1], s[44:45], 8
	s_add_u32 s4, s4, s0
	s_movk_i32 s0, 0x1000
	v_and_or_b32 v27, v28, s0, v29
	s_waitcnt vmcnt(1)
	ds_write_b64 v29, v[14:15] offset:16384
	v_xor_b32_e32 v14, 8, v29
	ds_write_b64 v14, v[16:17] offset:16384
	s_waitcnt vmcnt(0)
	ds_write_b64 v29, v[10:11] offset:24576
	ds_write_b64 v14, v[12:13] offset:24576
	;; [unrolled: 1-line block ×3, first 2 shown]
	v_xor_b32_e32 v10, 8, v27
	ds_write_b64 v10, v[24:25] offset:16384
	ds_write_b64 v27, v[18:19] offset:24576
	;; [unrolled: 1-line block ×3, first 2 shown]
	v_or_b32_e32 v10, v53, v65
	s_addc_u32 s5, s5, s1
	s_add_i32 s14, s12, -1
	v_lshlrev_b32_e32 v10, 3, v10
	v_lshrrev_b32_e32 v12, 5, v57
	s_movk_i32 s12, 0xf8
	v_and_or_b32 v12, v10, s12, v12
	v_lshlrev_b32_e32 v43, 11, v1
	v_lshlrev_b32_e32 v20, 4, v12
	v_and_b32_e32 v21, 0x78, v10
	v_and_b32_e32 v22, 0x1000, v43
	v_lshlrev_b32_e32 v11, 2, v0
	v_xor_b32_e32 v10, v20, v21
	v_lshrrev_b32_e32 v12, 1, v57
	v_and_b32_e32 v11, 60, v11
	v_or_b32_e32 v10, v10, v22
	v_and_b32_e32 v23, 8, v12
	v_xor_b32_e32 v34, v10, v23
	v_lshl_or_b32 v10, v64, 6, v11
	v_lshlrev_b32_e32 v45, 1, v10
	v_or_b32_e32 v10, 32, v20
	v_xor_b32_e32 v10, v10, v21
	s_waitcnt lgkmcnt(0)
	s_barrier
	ds_read_b64 v[18:19], v34 offset:16384
	v_or_b32_e32 v10, v10, v22
	v_xor_b32_e32 v35, v10, v23
	v_or_b32_e32 v10, 64, v20
	v_xor_b32_e32 v10, v10, v21
	v_or_b32_e32 v10, v10, v22
	v_or_b32_e32 v20, 0x60, v20
	v_xor_b32_e32 v36, v10, v23
	ds_read2st64_b64 v[10:13], v45 offset0:72 offset1:73
	ds_read2st64_b64 v[14:17], v45 offset0:74 offset1:75
	v_xor_b32_e32 v24, v20, v21
	ds_read_b64 v[20:21], v35 offset:16384
	s_add_i32 s0, s51, s41
	s_waitcnt lgkmcnt(2)
	v_mfma_f32_16x16x16_bf16 a[0:3], v[18:19], v[10:11], 0
	s_add_i32 s37, s0, s52
	s_add_i32 s0, s53, s50
	;; [unrolled: 1-line block ×3, first 2 shown]
	s_ashr_i32 s0, s14, 31
	s_mul_i32 s1, s14, s31
	s_mul_hi_u32 s2, s14, s30
	s_add_i32 s1, s2, s1
	s_mul_i32 s0, s0, s30
	v_or_b32_e32 v22, v24, v22
	s_add_i32 s1, s1, s0
	s_lshl_b64 s[2:3], s[36:37], 2
	v_xor_b32_e32 v46, v22, v23
	ds_read_b64 v[22:23], v36 offset:16384
	ds_read_b64 v[24:25], v46 offset:16384
	s_waitcnt lgkmcnt(2)
	v_mfma_f32_16x16x16_bf16 a[0:3], v[20:21], v[12:13], a[0:3]
	s_add_u32 s10, s10, s2
	s_addc_u32 s11, s11, s3
	s_lshl_b64 s[2:3], s[34:35], 2
	s_mul_i32 s0, s14, s30
	s_add_u32 s10, s10, s2
	s_addc_u32 s11, s11, s3
	s_lshl_b64 s[0:1], s[0:1], 2
	s_waitcnt lgkmcnt(1)
	v_mfma_f32_16x16x16_bf16 a[0:3], v[22:23], v[14:15], a[0:3]
	s_add_u32 s0, s10, s0
	s_addc_u32 s1, s11, s1
	s_load_dword s12, s[0:1], 0x0
	s_waitcnt lgkmcnt(0)
	v_mfma_f32_16x16x16_bf16 a[0:3], v[24:25], v[16:17], a[0:3]
	s_and_b64 vcc, exec, s[26:27]
	s_cbranch_vccz .LBB650_42
; %bb.32:
	v_lshlrev_b32_e32 v27, 1, v44
	s_and_b64 vcc, exec, s[6:7]
	s_cbranch_vccz .LBB650_43
; %bb.33:
	v_cmp_gt_i32_e32 vcc, s46, v27
	v_mov_b32_e32 v14, 0
	v_mov_b32_e32 v10, 0
	;; [unrolled: 1-line block ×5, first 2 shown]
	s_and_saveexec_b64 s[0:1], vcc
	s_cbranch_execz .LBB650_35
; %bb.34:
	v_mad_i64_i32 v[10:11], s[2:3], s15, v27, 0
	v_lshl_add_u64 v[10:11], v[10:11], 1, s[4:5]
	v_lshlrev_b32_e32 v12, 1, v26
	v_mov_b32_e32 v13, 0
	v_lshl_add_u64 v[10:11], v[10:11], 0, v[12:13]
	global_load_dwordx4 v[10:13], v[10:11], off
.LBB650_35:
	s_or_b64 exec, exec, s[0:1]
	v_or_b32_e32 v28, 1, v27
	v_cmp_gt_i32_e64 s[0:1], s46, v28
	v_mov_b32_e32 v15, 0
	v_mov_b32_e32 v16, 0
	;; [unrolled: 1-line block ×3, first 2 shown]
	s_and_saveexec_b64 s[2:3], s[0:1]
	s_cbranch_execz .LBB650_37
; %bb.36:
	v_mad_i64_i32 v[14:15], s[20:21], s15, v28, 0
	v_lshl_add_u64 v[14:15], v[14:15], 1, s[4:5]
	v_lshlrev_b32_e32 v16, 1, v26
	v_mov_b32_e32 v17, 0
	v_lshl_add_u64 v[14:15], v[14:15], 0, v[16:17]
	global_load_dwordx4 v[14:17], v[14:15], off
.LBB650_37:
	s_or_b64 exec, exec, s[2:3]
	v_mov_b32_e32 v25, 0
	v_mov_b32_e32 v18, 0
	;; [unrolled: 1-line block ×5, first 2 shown]
	s_and_saveexec_b64 s[2:3], vcc
	s_cbranch_execz .LBB650_39
; %bb.38:
	v_mad_i64_i32 v[18:19], s[20:21], s15, v27, 0
	v_lshl_add_u64 v[18:19], v[18:19], 1, s[4:5]
	v_lshlrev_b32_e32 v20, 1, v26
	v_mov_b32_e32 v21, 0
	v_lshl_add_u64 v[18:19], v[18:19], 0, v[20:21]
	global_load_dwordx4 v[18:21], v[18:19], off offset:128
.LBB650_39:
	s_or_b64 exec, exec, s[2:3]
	v_mov_b32_e32 v24, 0
	v_mov_b32_e32 v23, 0
	;; [unrolled: 1-line block ×3, first 2 shown]
	s_and_saveexec_b64 s[2:3], s[0:1]
	s_cbranch_execz .LBB650_41
; %bb.40:
	v_mad_i64_i32 v[22:23], s[0:1], s15, v28, 0
	v_lshl_add_u64 v[22:23], v[22:23], 1, s[4:5]
	v_lshlrev_b32_e32 v24, 1, v26
	v_mov_b32_e32 v25, 0
	v_lshl_add_u64 v[22:23], v[22:23], 0, v[24:25]
	global_load_dwordx4 v[22:25], v[22:23], off offset:128
.LBB650_41:
	s_or_b64 exec, exec, s[2:3]
	s_branch .LBB650_45
.LBB650_42:
                                        ; implicit-def: $vgpr13
                                        ; implicit-def: $vgpr17
                                        ; implicit-def: $vgpr21
                                        ; implicit-def: $vgpr25
	v_lshrrev_b32_e32 v27, 2, v57
	s_branch .LBB650_46
.LBB650_43:
                                        ; implicit-def: $vgpr13
                                        ; implicit-def: $vgpr17
                                        ; implicit-def: $vgpr21
                                        ; implicit-def: $vgpr25
	s_cbranch_execz .LBB650_45
; %bb.44:
	s_waitcnt vmcnt(0)
	v_mad_u64_u32 v[10:11], s[0:1], v27, s15, v[26:27]
	v_lshlrev_b32_e32 v27, 1, v10
	s_lshl_b32 s2, s15, 7
	s_and_b32 s1, s5, 0xffff
	s_mov_b32 s3, 0x20000
	s_mov_b32 s0, s4
	v_add_lshl_u32 v28, v10, s15, 1
	s_movk_i32 s15, 0x80
	buffer_load_dwordx4 v[10:13], v27, s[0:3], 0 offen
	buffer_load_dwordx4 v[18:21], v27, s[0:3], s15 offen
	;; [unrolled: 1-line block ×4, first 2 shown]
.LBB650_45:
	v_lshrrev_b32_e32 v27, 2, v57
	s_cbranch_execnz .LBB650_58
.LBB650_46:
	s_and_b64 vcc, exec, s[6:7]
	s_cbranch_vccz .LBB650_56
; %bb.47:
	s_waitcnt vmcnt(0)
	v_lshlrev_b32_e32 v15, 1, v44
	v_cmp_gt_i32_e32 vcc, s46, v15
	v_mov_b32_e32 v14, 0
	v_lshlrev_b32_e32 v22, 9, v44
	v_mov_b32_e32 v10, 0
	v_mov_b32_e32 v11, 0
	;; [unrolled: 1-line block ×4, first 2 shown]
	s_and_saveexec_b64 s[0:1], vcc
	s_cbranch_execz .LBB650_49
; %bb.48:
	v_mov_b32_e32 v23, 0
	v_lshl_add_u64 v[10:11], s[4:5], 0, v[22:23]
	v_lshlrev_b32_e32 v12, 1, v26
	v_mov_b32_e32 v13, v23
	v_lshl_add_u64 v[10:11], v[10:11], 0, v[12:13]
	global_load_dwordx4 v[10:13], v[10:11], off
.LBB650_49:
	s_or_b64 exec, exec, s[0:1]
	v_or_b32_e32 v15, 1, v15
	v_cmp_gt_i32_e64 s[0:1], s46, v15
	v_lshlrev_b32_e32 v28, 8, v15
	v_mov_b32_e32 v15, 0
	v_mov_b32_e32 v16, 0
	;; [unrolled: 1-line block ×3, first 2 shown]
	s_and_saveexec_b64 s[2:3], s[0:1]
	s_cbranch_execz .LBB650_51
; %bb.50:
	v_mov_b32_e32 v29, 0
	v_lshl_add_u64 v[14:15], s[4:5], 0, v[28:29]
	v_lshlrev_b32_e32 v16, 1, v26
	v_mov_b32_e32 v17, v29
	v_lshl_add_u64 v[14:15], v[14:15], 0, v[16:17]
	global_load_dwordx4 v[14:17], v[14:15], off
.LBB650_51:
	s_or_b64 exec, exec, s[2:3]
	v_mov_b32_e32 v25, 0
	v_mov_b32_e32 v18, 0
	;; [unrolled: 1-line block ×5, first 2 shown]
	s_and_saveexec_b64 s[2:3], vcc
	s_cbranch_execz .LBB650_53
; %bb.52:
	v_mov_b32_e32 v23, 0
	v_lshl_add_u64 v[18:19], s[4:5], 0, v[22:23]
	v_lshlrev_b32_e32 v22, 1, v26
	v_lshl_add_u64 v[18:19], v[18:19], 0, v[22:23]
	global_load_dwordx4 v[18:21], v[18:19], off offset:128
.LBB650_53:
	s_or_b64 exec, exec, s[2:3]
	v_mov_b32_e32 v24, 0
	v_mov_b32_e32 v23, 0
	;; [unrolled: 1-line block ×3, first 2 shown]
	s_and_saveexec_b64 s[2:3], s[0:1]
	s_cbranch_execz .LBB650_55
; %bb.54:
	v_mov_b32_e32 v29, 0
	v_lshl_add_u64 v[22:23], s[4:5], 0, v[28:29]
	v_lshlrev_b32_e32 v28, 1, v26
	v_lshl_add_u64 v[22:23], v[22:23], 0, v[28:29]
	global_load_dwordx4 v[22:25], v[22:23], off offset:128
.LBB650_55:
	s_or_b64 exec, exec, s[2:3]
	s_branch .LBB650_58
.LBB650_56:
                                        ; implicit-def: $vgpr13
                                        ; implicit-def: $vgpr17
                                        ; implicit-def: $vgpr21
                                        ; implicit-def: $vgpr25
	s_cbranch_execz .LBB650_58
; %bb.57:
	s_waitcnt vmcnt(0)
	v_lshlrev_b32_e32 v10, 1, v26
	v_lshl_or_b32 v26, v44, 9, v10
	s_and_b32 s5, s5, 0xffff
	s_mov_b32 s7, 0x20000
	s_movk_i32 s6, 0x4000
	s_movk_i32 s0, 0x80
	buffer_load_dwordx4 v[10:13], v26, s[4:7], 0 offen
	buffer_load_dwordx4 v[14:17], v26, s[4:7], 0 offen offset:256
	buffer_load_dwordx4 v[18:21], v26, s[4:7], s0 offen
	buffer_load_dwordx4 v[22:25], v26, s[4:7], s0 offen offset:256
.LBB650_58:
	v_and_b32_e32 v47, 12, v27
	ds_read2st64_b64 v[30:33], v45 offset0:76 offset1:77
	ds_read2st64_b64 v[26:29], v45 offset0:78 offset1:79
	ds_read_b64 v[38:39], v34 offset:24576
	ds_read_b64 v[40:41], v35 offset:24576
	;; [unrolled: 1-line block ×4, first 2 shown]
	v_and_b32_e32 v46, 6, v0
	v_xor_b32_e32 v44, v44, v46
	v_lshlrev_b32_e32 v44, 2, v44
	v_and_b32_e32 v48, 1, v0
	v_xor_b32_e32 v49, 0x440, v44
	v_cmp_eq_u32_e32 vcc, 0, v48
	s_mov_b32 s0, 0x1000504
	s_waitcnt vmcnt(0)
	v_perm_b32 v48, v18, v22, s0
	v_cndmask_b32_e32 v44, v49, v44, vcc
	v_lshl_or_b32 v44, v46, 10, v44
	v_perm_b32 v46, v10, v14, s0
	ds_write2st64_b32 v44, v46, v48 offset1:32
	v_xor_b32_e32 v46, 8, v44
	s_mov_b32 s1, 0x3020706
	v_perm_b32 v10, v10, v14, s1
	v_perm_b32 v14, v18, v22, s1
	v_add_u32_e32 v18, 0x80, v46
	ds_write2st64_b32 v18, v10, v14 offset1:32
	v_xor_b32_e32 v10, 16, v44
	v_perm_b32 v14, v11, v15, s0
	v_perm_b32 v18, v19, v23, s0
	ds_write2st64_b32 v10, v14, v18 offset0:1 offset1:33
	v_xor_b32_e32 v10, 24, v44
	v_perm_b32 v11, v11, v15, s1
	v_perm_b32 v14, v19, v23, s1
	v_add_u32_e32 v10, 0x80, v10
	ds_write2st64_b32 v10, v11, v14 offset0:1 offset1:33
	v_xor_b32_e32 v10, 32, v44
	v_perm_b32 v11, v12, v16, s0
	v_perm_b32 v14, v20, v24, s0
	ds_write2st64_b32 v10, v11, v14 offset0:2 offset1:34
	v_xor_b32_e32 v10, 40, v44
	v_perm_b32 v11, v12, v16, s1
	v_perm_b32 v12, v20, v24, s1
	v_add_u32_e32 v10, 0x80, v10
	ds_write2st64_b32 v10, v11, v12 offset0:2 offset1:34
	v_xor_b32_e32 v10, 48, v44
	v_perm_b32 v11, v13, v17, s0
	v_perm_b32 v12, v21, v25, s0
	ds_write2st64_b32 v10, v11, v12 offset0:3 offset1:35
	v_xor_b32_e32 v10, 56, v44
	v_or_b32_e32 v16, v47, v53
	v_perm_b32 v11, v13, v17, s1
	v_perm_b32 v12, v21, v25, s1
	v_add_u32_e32 v10, 0x80, v10
	v_cmp_gt_i32_e32 vcc, s46, v16
	v_mov_b32_e32 v17, 0
	v_mov_b32_e32 v21, 0
	ds_write2st64_b32 v10, v11, v12 offset0:3 offset1:35
	s_and_saveexec_b64 s[0:1], vcc
	s_cbranch_execz .LBB650_60
; %bb.59:
	v_add_u32_e32 v10, s43, v16
	v_ashrrev_i32_e32 v11, 31, v10
	v_mul_lo_u32 v12, v11, s30
	v_mul_lo_u32 v13, v10, s31
	v_mad_u64_u32 v[10:11], s[2:3], v10, s30, 0
	v_add3_u32 v11, v11, v13, v12
	v_lshl_add_u64 v[10:11], v[10:11], 2, s[10:11]
	global_load_dword v10, v[10:11], off
	s_waitcnt vmcnt(0)
	v_sub_f32_e32 v10, s12, v10
	v_exp_f32_e32 v21, v10
.LBB650_60:
	s_or_b64 exec, exec, s[0:1]
	v_or_b32_e32 v19, 1, v16
	v_cmp_gt_i32_e64 s[0:1], s46, v19
	s_and_saveexec_b64 s[2:3], s[0:1]
	s_cbranch_execz .LBB650_62
; %bb.61:
	v_add_u32_e32 v10, s43, v19
	v_ashrrev_i32_e32 v11, 31, v10
	v_mul_lo_u32 v12, v11, s30
	v_mul_lo_u32 v13, v10, s31
	v_mad_u64_u32 v[10:11], s[4:5], v10, s30, 0
	v_add3_u32 v11, v11, v13, v12
	v_lshl_add_u64 v[10:11], v[10:11], 2, s[10:11]
	global_load_dword v10, v[10:11], off
	s_waitcnt vmcnt(0)
	v_sub_f32_e32 v10, s12, v10
	v_exp_f32_e32 v17, v10
.LBB650_62:
	s_or_b64 exec, exec, s[2:3]
	v_or_b32_e32 v20, 2, v16
	v_cmp_gt_i32_e64 s[2:3], s46, v20
	v_mov_b32_e32 v18, 0
	v_mov_b32_e32 v23, 0
	s_and_saveexec_b64 s[4:5], s[2:3]
	s_cbranch_execz .LBB650_64
; %bb.63:
	v_add_u32_e32 v10, s43, v20
	v_ashrrev_i32_e32 v11, 31, v10
	v_mul_lo_u32 v12, v11, s30
	v_mul_lo_u32 v13, v10, s31
	v_mad_u64_u32 v[10:11], s[6:7], v10, s30, 0
	v_add3_u32 v11, v11, v13, v12
	v_lshl_add_u64 v[10:11], v[10:11], 2, s[10:11]
	global_load_dword v10, v[10:11], off
	s_waitcnt vmcnt(0)
	v_sub_f32_e32 v10, s12, v10
	v_exp_f32_e32 v23, v10
.LBB650_64:
	s_or_b64 exec, exec, s[4:5]
	v_or_b32_e32 v22, 3, v16
	v_cmp_gt_i32_e64 s[4:5], s46, v22
	s_and_saveexec_b64 s[6:7], s[4:5]
	s_cbranch_execz .LBB650_66
; %bb.65:
	v_add_u32_e32 v10, s43, v22
	v_ashrrev_i32_e32 v11, 31, v10
	v_mul_lo_u32 v12, v11, s30
	v_mul_lo_u32 v13, v10, s31
	v_mad_u64_u32 v[10:11], s[20:21], v10, s30, 0
	v_add3_u32 v11, v11, v13, v12
	v_lshl_add_u64 v[10:11], v[10:11], 2, s[10:11]
	global_load_dword v10, v[10:11], off
	s_waitcnt vmcnt(0)
	v_sub_f32_e32 v10, s12, v10
	v_exp_f32_e32 v18, v10
.LBB650_66:
	s_or_b64 exec, exec, s[6:7]
	s_waitcnt lgkmcnt(11)
	v_mfma_f32_16x16x16_bf16 a[0:3], v[38:39], v[30:31], a[0:3]
	s_add_u32 s6, s8, s24
	v_ashrrev_i32_e32 v59, 31, v58
	s_addc_u32 s7, s9, s25
	s_waitcnt lgkmcnt(10)
	v_mfma_f32_16x16x16_bf16 a[0:3], v[40:41], v[32:33], a[0:3]
	v_mov_b32_e32 v24, 0
	v_lshl_add_u64 v[14:15], v[58:59], 1, s[6:7]
	v_mov_b32_e32 v25, 0
	s_waitcnt lgkmcnt(9)
	v_mfma_f32_16x16x16_bf16 a[0:3], v[36:37], v[26:27], a[0:3]
	s_waitcnt lgkmcnt(8)
	v_mfma_f32_16x16x16_bf16 a[0:3], v[34:35], v[28:29], a[0:3]
	s_nop 6
	v_accvgpr_read_b32 v13, a3
	v_accvgpr_read_b32 v12, a2
	;; [unrolled: 1-line block ×4, first 2 shown]
	s_and_saveexec_b64 s[6:7], vcc
	s_cbranch_execz .LBB650_68
; %bb.67:
	v_lshlrev_b32_e32 v26, 8, v16
	v_mov_b32_e32 v27, 0
	v_lshl_add_u64 v[26:27], v[14:15], 0, v[26:27]
	global_load_ushort v25, v[26:27], off
	s_waitcnt vmcnt(0)
	v_lshlrev_b32_e32 v25, 16, v25
	v_sub_f32_e32 v10, v25, v10
	v_mul_f32_e32 v10, v21, v10
	v_lshrrev_b32_e32 v25, 16, v10
.LBB650_68:
	s_or_b64 exec, exec, s[6:7]
	s_and_saveexec_b64 s[6:7], s[0:1]
	s_cbranch_execz .LBB650_70
; %bb.69:
	v_lshlrev_b32_e32 v26, 8, v19
	v_mov_b32_e32 v27, 0
	v_lshl_add_u64 v[26:27], v[14:15], 0, v[26:27]
	global_load_ushort v10, v[26:27], off
	s_waitcnt vmcnt(0)
	v_lshlrev_b32_e32 v10, 16, v10
	v_sub_f32_e32 v10, v10, v11
	v_mul_f32_e32 v10, v17, v10
	v_lshrrev_b32_e32 v24, 16, v10
.LBB650_70:
	s_or_b64 exec, exec, s[6:7]
	v_mov_b32_e32 v11, 0
	v_mov_b32_e32 v17, 0
	s_and_saveexec_b64 s[0:1], s[2:3]
	s_cbranch_execz .LBB650_72
; %bb.71:
	v_lshlrev_b32_e32 v20, 8, v20
	v_mov_b32_e32 v21, 0
	v_lshl_add_u64 v[20:21], v[14:15], 0, v[20:21]
	global_load_ushort v10, v[20:21], off
	s_waitcnt vmcnt(0)
	v_lshlrev_b32_e32 v10, 16, v10
	v_sub_f32_e32 v10, v10, v12
	v_mul_f32_e32 v10, v23, v10
	v_lshrrev_b32_e32 v17, 16, v10
.LBB650_72:
	s_or_b64 exec, exec, s[0:1]
	v_or_b32_e32 v10, 0x9800, v45
	s_and_saveexec_b64 s[0:1], s[4:5]
	s_cbranch_execz .LBB650_74
; %bb.73:
	v_lshlrev_b32_e32 v20, 8, v22
	v_mov_b32_e32 v21, 0
	v_lshl_add_u64 v[14:15], v[14:15], 0, v[20:21]
	global_load_ushort v11, v[14:15], off
	s_waitcnt vmcnt(0)
	v_lshlrev_b32_e32 v11, 16, v11
	v_sub_f32_e32 v11, v11, v13
	v_mul_f32_e32 v11, v18, v11
	v_lshrrev_b32_e32 v11, 16, v11
.LBB650_74:
	s_or_b64 exec, exec, s[0:1]
	s_mov_b32 s0, 0x5040100
	v_perm_b32 v13, v11, v17, s0
	v_lshlrev_b32_e32 v11, 1, v42
	v_perm_b32 v12, v24, v25, s0
	v_lshl_or_b32 v11, v16, 5, v11
	s_movk_i32 s2, 0xff
	ds_write_b64 v11, v[12:13] offset:38912
	v_and_b32_e32 v11, 7, v0
	v_cmp_lt_u32_e32 vcc, s2, v0
	v_and_b32_e32 v12, 8, v0
	v_lshlrev_b32_e32 v17, 3, v11
	v_lshlrev_b32_e32 v30, 7, v11
	v_cndmask_b32_e64 v11, 0, 1, vcc
	v_lshrrev_b32_e32 v0, 1, v0
	v_lshlrev_b32_e32 v24, 13, v11
	v_lshlrev_b32_e32 v11, 3, v1
	v_and_b32_e32 v0, 24, v0
	v_xor_b32_e32 v13, v11, v0
	v_or_b32_e32 v14, 0x440, v13
	v_cmp_eq_u32_e32 vcc, 0, v12
	s_waitcnt lgkmcnt(0)
	s_barrier
	v_cndmask_b32_e32 v12, v14, v13, vcc
	v_or_b32_e32 v12, v12, v43
	v_xor_b32_e32 v31, v12, v17
	v_or_b32_e32 v12, 32, v0
	v_xor_b32_e32 v12, v11, v12
	v_or_b32_e32 v13, 0x440, v12
	v_cndmask_b32_e32 v12, v13, v12, vcc
	v_or_b32_e32 v12, v12, v43
	v_xor_b32_e32 v32, v12, v17
	v_or_b32_e32 v12, 64, v0
	v_xor_b32_e32 v12, v11, v12
	v_xor_b32_e32 v13, 0x440, v12
	v_cndmask_b32_e32 v12, v13, v12, vcc
	v_add3_u32 v22, v24, v31, v30
	v_or_b32_e32 v12, v12, v43
	v_or_b32_e32 v0, 0x60, v0
	v_xor_b32_e32 v33, v12, v17
	ds_read2st64_b64 v[12:15], v10 offset1:1
	ds_read2st64_b64 v[18:21], v10 offset0:2 offset1:3
	v_xor_b32_e32 v0, v11, v0
	ds_read_b64 v[10:11], v22
	v_add3_u32 v23, v24, v32, v30
	v_xor_b32_e32 v22, 0x440, v0
	v_cndmask_b32_e32 v0, v22, v0, vcc
	ds_read_b64 v[22:23], v23
	s_add_i32 s0, s14, s49
	s_mul_hi_i32 s1, s0, s13
	s_mul_i32 s0, s0, s13
	s_add_u32 s0, s0, s33
	v_or_b32_e32 v0, v0, v43
	s_waitcnt lgkmcnt(1)
	v_mfma_f32_16x16x16_bf16 a[0:3], v[10:11], v[12:13], 0
	s_addc_u32 s1, s1, s48
	v_xor_b32_e32 v17, v0, v17
	s_lshl_b64 s[0:1], s[0:1], 9
	v_add3_u32 v25, v24, v33, v30
	v_add3_u32 v0, v24, v17, v30
	s_add_u32 s0, s16, s0
	ds_read_b64 v[26:27], v25
	ds_read_b64 v[28:29], v0
	s_addc_u32 s1, s17, s1
	v_lshlrev_b32_e32 v0, 2, v16
	s_waitcnt lgkmcnt(2)
	v_mfma_f32_16x16x16_bf16 a[0:3], v[22:23], v[14:15], a[0:3]
	global_load_dwordx4 v[22:25], v0, s[0:1]
	v_add_u32_e32 v0, v31, v30
	v_lshlrev_b32_e32 v10, 6, v1
	ds_read_b64 v[0:1], v0 offset:8192
	v_lshlrev_b32_e32 v11, 2, v47
	s_movk_i32 s2, 0x100
	s_waitcnt lgkmcnt(2)
	v_mfma_f32_16x16x16_bf16 a[0:3], v[26:27], v[18:19], a[0:3]
	v_or3_b32 v10, v10, v11, s2
	v_add_u32_e32 v11, v32, v30
	v_add_u32_e32 v26, v33, v30
	;; [unrolled: 1-line block ×3, first 2 shown]
	ds_read_b64 v[16:17], v11 offset:8192
	ds_read_b64 v[26:27], v26 offset:8192
	;; [unrolled: 1-line block ×3, first 2 shown]
	s_waitcnt lgkmcnt(3)
	v_mfma_f32_16x16x16_bf16 a[4:7], v[0:1], v[12:13], 0
	global_load_dwordx4 v[10:13], v10, s[0:1]
	v_exp_f32_e32 v0, s12
	s_waitcnt vmcnt(1)
	v_exp_f32_e32 v22, v22
	v_mfma_f32_16x16x16_bf16 a[0:3], v[28:29], v[20:21], a[0:3]
	v_exp_f32_e32 v23, v23
	v_exp_f32_e32 v24, v24
	;; [unrolled: 1-line block ×3, first 2 shown]
	v_pk_mul_f32 v[22:23], v[0:1], v[22:23] op_sel_hi:[0,1]
	v_pk_mul_f32 v[24:25], v[0:1], v[24:25] op_sel_hi:[0,1]
	s_nop 1
	v_accvgpr_read_b32 v33, a1
	v_accvgpr_read_b32 v29, a3
	;; [unrolled: 1-line block ×4, first 2 shown]
	s_waitcnt lgkmcnt(2)
	v_mfma_f32_16x16x16_bf16 a[0:3], v[16:17], v[14:15], a[4:7]
	s_waitcnt vmcnt(0)
	v_mov_b32_e32 v14, v13
	v_mov_b32_e32 v13, v12
	;; [unrolled: 1-line block ×3, first 2 shown]
	s_waitcnt lgkmcnt(1)
	v_mfma_f32_16x16x16_bf16 a[0:3], v[26:27], v[18:19], a[0:3]
	v_exp_f32_e32 v10, v10
	v_exp_f32_e32 v11, v12
	;; [unrolled: 1-line block ×3, first 2 shown]
	s_waitcnt lgkmcnt(0)
	v_mfma_f32_16x16x16_bf16 a[0:3], v[30:31], v[20:21], a[0:3]
	v_exp_f32_e32 v13, v14
	v_pk_mul_f32 v[10:11], v[0:1], v[10:11] op_sel_hi:[0,1]
	v_pk_fma_f32 v[6:7], v[6:7], v[22:23], v[32:33]
	v_pk_fma_f32 v[8:9], v[8:9], v[24:25], v[28:29]
	v_pk_mul_f32 v[0:1], v[0:1], v[12:13] op_sel_hi:[0,1]
	s_nop 1
	v_accvgpr_read_b32 v17, a1
	v_accvgpr_read_b32 v15, a3
	;; [unrolled: 1-line block ×4, first 2 shown]
	v_pk_fma_f32 v[2:3], v[2:3], v[10:11], v[16:17]
	v_pk_fma_f32 v[4:5], v[4:5], v[0:1], v[14:15]
.LBB650_75:
	s_add_u32 s0, s18, s28
	s_addc_u32 s1, s19, s29
	v_lshl_add_u64 v[0:1], v[54:55], 2, s[0:1]
	v_mov_b32_e32 v57, 0
	v_lshl_add_u64 v[0:1], v[0:1], 0, v[56:57]
	s_waitcnt vmcnt(1)
	global_store_dwordx4 v[0:1], v[6:9], off
	s_waitcnt vmcnt(1)
	global_store_dwordx4 v[0:1], v[2:5], off offset:256
	s_endpgm
	.section	.rodata,"a",@progbits
	.p2align	6, 0x0
	.amdhsa_kernel _ZN12_GLOBAL__N_139chunk_gated_delta_rule_fwd_h_hip_kernelILi16ELb1ELb1ELb0ELb0ELb1ELb1ELb1ELb0EEEvPK12hip_bfloat16S3_S3_PKfS5_PKvPS1_S8_PvPKiSB_iiiiilll
		.amdhsa_group_segment_fixed_size 40960
		.amdhsa_private_segment_fixed_size 0
		.amdhsa_kernarg_size 136
		.amdhsa_user_sgpr_count 2
		.amdhsa_user_sgpr_dispatch_ptr 0
		.amdhsa_user_sgpr_queue_ptr 0
		.amdhsa_user_sgpr_kernarg_segment_ptr 1
		.amdhsa_user_sgpr_dispatch_id 0
		.amdhsa_user_sgpr_kernarg_preload_length 0
		.amdhsa_user_sgpr_kernarg_preload_offset 0
		.amdhsa_user_sgpr_private_segment_size 0
		.amdhsa_uses_dynamic_stack 0
		.amdhsa_enable_private_segment 0
		.amdhsa_system_sgpr_workgroup_id_x 1
		.amdhsa_system_sgpr_workgroup_id_y 1
		.amdhsa_system_sgpr_workgroup_id_z 0
		.amdhsa_system_sgpr_workgroup_info 0
		.amdhsa_system_vgpr_workitem_id 0
		.amdhsa_next_free_vgpr 128
		.amdhsa_next_free_sgpr 71
		.amdhsa_accum_offset 116
		.amdhsa_reserve_vcc 1
		.amdhsa_float_round_mode_32 0
		.amdhsa_float_round_mode_16_64 0
		.amdhsa_float_denorm_mode_32 3
		.amdhsa_float_denorm_mode_16_64 3
		.amdhsa_dx10_clamp 1
		.amdhsa_ieee_mode 1
		.amdhsa_fp16_overflow 0
		.amdhsa_tg_split 0
		.amdhsa_exception_fp_ieee_invalid_op 0
		.amdhsa_exception_fp_denorm_src 0
		.amdhsa_exception_fp_ieee_div_zero 0
		.amdhsa_exception_fp_ieee_overflow 0
		.amdhsa_exception_fp_ieee_underflow 0
		.amdhsa_exception_fp_ieee_inexact 0
		.amdhsa_exception_int_div_zero 0
	.end_amdhsa_kernel
	.section	.text._ZN12_GLOBAL__N_139chunk_gated_delta_rule_fwd_h_hip_kernelILi16ELb1ELb1ELb0ELb0ELb1ELb1ELb1ELb0EEEvPK12hip_bfloat16S3_S3_PKfS5_PKvPS1_S8_PvPKiSB_iiiiilll,"axG",@progbits,_ZN12_GLOBAL__N_139chunk_gated_delta_rule_fwd_h_hip_kernelILi16ELb1ELb1ELb0ELb0ELb1ELb1ELb1ELb0EEEvPK12hip_bfloat16S3_S3_PKfS5_PKvPS1_S8_PvPKiSB_iiiiilll,comdat
.Lfunc_end650:
	.size	_ZN12_GLOBAL__N_139chunk_gated_delta_rule_fwd_h_hip_kernelILi16ELb1ELb1ELb0ELb0ELb1ELb1ELb1ELb0EEEvPK12hip_bfloat16S3_S3_PKfS5_PKvPS1_S8_PvPKiSB_iiiiilll, .Lfunc_end650-_ZN12_GLOBAL__N_139chunk_gated_delta_rule_fwd_h_hip_kernelILi16ELb1ELb1ELb0ELb0ELb1ELb1ELb1ELb0EEEvPK12hip_bfloat16S3_S3_PKfS5_PKvPS1_S8_PvPKiSB_iiiiilll
                                        ; -- End function
	.section	.AMDGPU.csdata,"",@progbits
; Kernel info:
; codeLenInByte = 7988
; NumSgprs: 77
; NumVgprs: 116
; NumAgprs: 12
; TotalNumVgprs: 128
; ScratchSize: 0
; MemoryBound: 0
; FloatMode: 240
; IeeeMode: 1
; LDSByteSize: 40960 bytes/workgroup (compile time only)
; SGPRBlocks: 9
; VGPRBlocks: 15
; NumSGPRsForWavesPerEU: 77
; NumVGPRsForWavesPerEU: 128
; AccumOffset: 116
; Occupancy: 1
; WaveLimiterHint : 1
; COMPUTE_PGM_RSRC2:SCRATCH_EN: 0
; COMPUTE_PGM_RSRC2:USER_SGPR: 2
; COMPUTE_PGM_RSRC2:TRAP_HANDLER: 0
; COMPUTE_PGM_RSRC2:TGID_X_EN: 1
; COMPUTE_PGM_RSRC2:TGID_Y_EN: 1
; COMPUTE_PGM_RSRC2:TGID_Z_EN: 0
; COMPUTE_PGM_RSRC2:TIDIG_COMP_CNT: 0
; COMPUTE_PGM_RSRC3_GFX90A:ACCUM_OFFSET: 28
; COMPUTE_PGM_RSRC3_GFX90A:TG_SPLIT: 0
	.section	.text._ZN12_GLOBAL__N_139chunk_gated_delta_rule_fwd_h_hip_kernelILi16ELb1ELb0ELb1ELb0ELb1ELb1ELb1ELb0EEEvPK12hip_bfloat16S3_S3_PKfS5_PKvPS1_S8_PvPKiSB_iiiiilll,"axG",@progbits,_ZN12_GLOBAL__N_139chunk_gated_delta_rule_fwd_h_hip_kernelILi16ELb1ELb0ELb1ELb0ELb1ELb1ELb1ELb0EEEvPK12hip_bfloat16S3_S3_PKfS5_PKvPS1_S8_PvPKiSB_iiiiilll,comdat
	.globl	_ZN12_GLOBAL__N_139chunk_gated_delta_rule_fwd_h_hip_kernelILi16ELb1ELb0ELb1ELb0ELb1ELb1ELb1ELb0EEEvPK12hip_bfloat16S3_S3_PKfS5_PKvPS1_S8_PvPKiSB_iiiiilll ; -- Begin function _ZN12_GLOBAL__N_139chunk_gated_delta_rule_fwd_h_hip_kernelILi16ELb1ELb0ELb1ELb0ELb1ELb1ELb1ELb0EEEvPK12hip_bfloat16S3_S3_PKfS5_PKvPS1_S8_PvPKiSB_iiiiilll
	.p2align	8
	.type	_ZN12_GLOBAL__N_139chunk_gated_delta_rule_fwd_h_hip_kernelILi16ELb1ELb0ELb1ELb0ELb1ELb1ELb1ELb0EEEvPK12hip_bfloat16S3_S3_PKfS5_PKvPS1_S8_PvPKiSB_iiiiilll,@function
_ZN12_GLOBAL__N_139chunk_gated_delta_rule_fwd_h_hip_kernelILi16ELb1ELb0ELb1ELb0ELb1ELb1ELb1ELb0EEEvPK12hip_bfloat16S3_S3_PKfS5_PKvPS1_S8_PvPKiSB_iiiiilll: ; @_ZN12_GLOBAL__N_139chunk_gated_delta_rule_fwd_h_hip_kernelILi16ELb1ELb0ELb1ELb0ELb1ELb1ELb1ELb0EEEvPK12hip_bfloat16S3_S3_PKfS5_PKvPS1_S8_PvPKiSB_iiiiilll
; %bb.0:
	s_load_dwordx4 s[12:15], s[0:1], 0x5c
	s_load_dwordx4 s[20:23], s[0:1], 0x70
	s_abs_i32 s6, s3
	s_ashr_i32 s5, s3, 31
	s_load_dwordx4 s[16:19], s[0:1], 0x28
	s_load_dwordx2 s[28:29], s[0:1], 0x38
	s_waitcnt lgkmcnt(0)
	s_abs_i32 s4, s13
	v_cvt_f32_u32_e32 v1, s4
	s_sub_i32 s8, 0, s4
	s_ashr_i32 s7, s13, 31
	s_xor_b32 s5, s5, s7
	v_rcp_iflag_f32_e32 v1, v1
	v_and_b32_e32 v64, 15, v0
	v_lshrrev_b32_e32 v62, 6, v0
	v_bfe_u32 v63, v0, 4, 2
	v_mul_f32_e32 v1, 0x4f7ffffe, v1
	v_cvt_u32_f32_e32 v1, v1
	v_mov_b32_e32 v5, 0
	v_and_b32_e32 v53, 63, v0
	v_lshrrev_b32_e32 v66, 3, v53
	v_readfirstlane_b32 s9, v1
	s_mul_i32 s8, s8, s9
	s_mul_hi_u32 s8, s9, s8
	s_add_i32 s9, s9, s8
	s_mul_hi_u32 s8, s6, s9
	s_mul_i32 s9, s8, s4
	s_sub_i32 s6, s6, s9
	s_add_i32 s10, s8, 1
	s_sub_i32 s9, s6, s4
	s_cmp_ge_u32 s6, s4
	s_cselect_b32 s8, s10, s8
	s_cselect_b32 s6, s9, s6
	s_add_i32 s9, s8, 1
	s_cmp_ge_u32 s6, s4
	s_cselect_b32 s6, s9, s8
	s_xor_b32 s6, s6, s5
	s_add_i32 s8, s12, 63
	s_sub_i32 s52, s6, s5
	s_ashr_i32 s9, s8, 31
	s_mul_i32 s5, s52, s13
	s_sub_i32 s50, s3, s5
	s_lshr_b32 s3, s9, 26
	s_add_i32 s8, s8, s3
	s_abs_i32 s3, s14
	v_cvt_f32_u32_e32 v1, s3
	s_ashr_i32 s51, s12, 31
	s_lshr_b32 s6, s51, 26
	s_add_i32 s6, s12, s6
	v_rcp_iflag_f32_e32 v1, v1
	s_ashr_i32 s55, s14, 31
	s_ashr_i32 s53, s6, 6
	s_lshl_b32 s38, s2, 4
	v_mul_f32_e32 v1, 0x4f7ffffe, v1
	v_cvt_u32_f32_e32 v1, v1
	s_xor_b32 s2, s7, s55
	s_sub_i32 s6, 0, s3
	s_ashr_i32 s25, s8, 6
	v_readfirstlane_b32 s7, v1
	s_mul_i32 s6, s6, s7
	s_mul_hi_u32 s6, s7, s6
	s_add_i32 s7, s7, s6
	s_mul_hi_u32 s6, s4, s7
	s_mul_i32 s7, s6, s3
	s_sub_i32 s4, s4, s7
	s_add_i32 s7, s6, 1
	s_sub_i32 s8, s4, s3
	s_cmp_ge_u32 s4, s3
	s_cselect_b32 s6, s7, s6
	s_cselect_b32 s4, s8, s4
	s_add_i32 s7, s6, 1
	s_cmp_ge_u32 s4, s3
	s_cselect_b32 s3, s7, s6
	s_xor_b32 s3, s3, s2
	s_sub_i32 s2, s3, s2
	s_abs_i32 s3, s2
	v_cvt_f32_u32_e32 v1, s3
	s_sub_i32 s6, 0, s3
	s_abs_i32 s4, s50
	s_xor_b32 s2, s50, s2
	v_rcp_iflag_f32_e32 v1, v1
	s_ashr_i32 s2, s2, 31
	v_or_b32_e32 v54, s38, v64
	v_lshlrev_b32_e32 v2, 7, v54
	v_mul_f32_e32 v1, 0x4f7ffffe, v1
	v_cvt_u32_f32_e32 v1, v1
	v_ashrrev_i32_e32 v3, 31, v2
	s_mul_i32 s57, s52, s25
	v_lshlrev_b32_e32 v65, 3, v0
	v_readfirstlane_b32 s7, v1
	s_mul_i32 s6, s6, s7
	s_mul_hi_u32 s6, s7, s6
	s_add_i32 s7, s7, s6
	s_mul_hi_u32 s6, s4, s7
	s_mul_i32 s7, s6, s3
	s_sub_i32 s4, s4, s7
	s_add_i32 s7, s6, 1
	s_sub_i32 s8, s4, s3
	s_cmp_ge_u32 s4, s3
	s_cselect_b32 s6, s7, s6
	s_cselect_b32 s4, s8, s4
	s_add_i32 s7, s6, 1
	s_cmp_ge_u32 s4, s3
	s_cselect_b32 s3, s7, s6
	s_xor_b32 s3, s3, s2
	s_sub_i32 s56, s3, s2
	s_ashr_i32 s24, s52, 31
	s_ashr_i32 s54, s50, 31
	s_mul_hi_i32 s2, s52, s13
	s_add_u32 s40, s5, s50
	s_addc_u32 s41, s2, s54
	s_lshl_b64 s[2:3], s[40:41], 16
	v_lshlrev_b32_e32 v1, 4, v62
	s_add_u32 s2, s16, s2
	v_lshl_or_b32 v67, v63, 2, v1
	s_addc_u32 s3, s17, s3
	v_lshl_add_u64 v[2:3], v[2:3], 2, s[2:3]
	v_lshlrev_b32_e32 v4, 2, v67
	v_lshl_add_u64 v[10:11], v[2:3], 0, v[4:5]
	global_load_dwordx4 v[6:9], v[10:11], off
	global_load_dwordx4 v[2:5], v[10:11], off offset:256
	s_load_dwordx8 s[4:11], s[0:1], 0x0
	s_load_dwordx2 s[30:31], s[0:1], 0x80
	v_or_b32_e32 v68, 64, v67
	s_cmp_lt_i32 s12, 64
	s_mul_i32 s58, s41, s12
	s_mul_hi_u32 s59, s40, s12
	s_mul_i32 s16, s40, s12
	s_mul_i32 s33, s52, s21
	s_mul_hi_u32 s46, s52, s20
	s_mul_i32 s47, s24, s20
	s_mul_i32 s36, s52, s20
	s_mul_i32 s41, s50, s23
	s_mul_hi_u32 s48, s50, s22
	s_mul_i32 s49, s54, s22
	s_mul_i32 s34, s50, s22
	s_cbranch_scc1 .LBB651_18
; %bb.1:
	s_add_i32 s17, s59, s58
	s_lshl_b64 s[2:3], s[16:17], 8
	v_and_b32_e32 v70, 56, v65
	s_waitcnt lgkmcnt(0)
	s_add_u32 s20, s6, s2
	v_lshl_or_b32 v69, v62, 3, v66
	v_lshlrev_b32_e32 v10, 1, v70
	s_addc_u32 s2, s7, s3
	v_lshl_or_b32 v71, v69, 8, v10
	s_and_b32 s21, s2, 0xffff
	s_mov_b32 s23, 0x20000
	s_movk_i32 s22, 0x4000
	s_movk_i32 s2, 0x80
	v_or_b32_e32 v72, 0x2000, v71
	buffer_load_dwordx4 v[12:15], v71, s[20:23], 0 offen
	buffer_load_dwordx4 v[16:19], v71, s[20:23], s2 offen
	;; [unrolled: 1-line block ×4, first 2 shown]
	v_lshlrev_b32_e32 v11, 3, v69
	v_and_or_b32 v29, v0, 7, v11
	v_and_b32_e32 v11, 0x78, v11
	v_lshlrev_b32_e32 v29, 4, v29
	v_xor_b32_e32 v73, v29, v11
	v_mul_lo_u32 v28, v69, s15
	v_or_b32_e32 v74, 0x1000, v73
	v_xor_b32_e32 v11, 8, v73
	s_cmpk_eq_i32 s15, 0x80
	s_mov_b32 s60, s14
	v_xor_b32_e32 v29, 8, v74
	s_cselect_b64 s[2:3], -1, 0
	s_cmpk_lg_i32 s15, 0x80
	s_waitcnt vmcnt(3)
	ds_write_b64 v73, v[12:13] offset:16384
	ds_write_b64 v11, v[14:15] offset:16384
	s_waitcnt vmcnt(2)
	ds_write_b64 v73, v[16:17] offset:24576
	ds_write_b64 v11, v[18:19] offset:24576
	;; [unrolled: 3-line block ×4, first 2 shown]
	v_lshl_add_u32 v11, v28, 1, v70
	s_cbranch_scc0 .LBB651_3
; %bb.2:
	v_lshlrev_b32_e32 v13, 1, v11
	v_add_lshl_u32 v12, v11, s15, 1
	s_lshl_b32 s22, s15, 7
	s_load_dwordx2 s[42:43], s[0:1], 0x20
	v_lshl_or_b32 v10, v69, 9, v10
	s_cbranch_execz .LBB651_4
	s_branch .LBB651_5
.LBB651_3:
                                        ; implicit-def: $vgpr12
                                        ; implicit-def: $vgpr13
                                        ; implicit-def: $sgpr22
	s_load_dwordx2 s[42:43], s[0:1], 0x20
	v_lshl_or_b32 v10, v69, 9, v10
.LBB651_4:
	v_or_b32_e32 v12, 0x100, v10
	s_movk_i32 s22, 0x4000
	v_mov_b32_e32 v13, v10
.LBB651_5:
	s_mul_hi_u32 s0, s14, s12
	s_mul_i32 s1, s55, s12
	s_add_i32 s0, s0, s1
	s_mul_i32 s1, s14, s12
	s_mul_i32 s20, s1, s24
	s_mul_hi_u32 s21, s1, s52
	s_add_i32 s20, s21, s20
	s_mul_i32 s0, s0, s52
	s_add_i32 s20, s20, s0
	s_mul_i32 s1, s1, s52
	s_ashr_i32 s61, s56, 31
	s_add_u32 s0, s1, s56
	s_addc_u32 s1, s20, s61
	s_lshl_b64 s[0:1], s[0:1], 8
	s_add_u32 s20, s4, s0
	s_addc_u32 s0, s5, s1
	s_and_b32 s21, s0, 0xffff
	s_movk_i32 s62, 0x80
	buffer_load_dwordx4 v[14:17], v13, s[20:23], 0 offen
	buffer_load_dwordx4 v[18:21], v13, s[20:23], s62 offen
	;; [unrolled: 1-line block ×4, first 2 shown]
	v_and_b32_e32 v12, 6, v0
	v_lshlrev_b32_e32 v30, 2, v64
	v_lshlrev_b32_e32 v31, 3, v64
	v_xor_b32_e32 v33, v69, v12
	v_and_b32_e32 v13, 1, v0
	s_mul_i32 s24, s24, s12
	s_mul_hi_u32 s0, s52, s12
	v_lshl_or_b32 v31, v67, 5, v31
	v_xor_b32_e32 v34, v67, v30
	v_lshlrev_b32_e32 v33, 2, v33
	v_or_b32_e32 v75, 0x9000, v31
	v_or_b32_e32 v76, 0x9800, v31
	v_lshlrev_b32_e32 v31, 1, v34
	v_xor_b32_e32 v34, 0x440, v33
	v_cmp_eq_u32_e32 vcc, 0, v13
	s_add_i32 s67, s0, s24
	s_add_i32 s0, s46, s33
	v_cndmask_b32_e32 v13, v34, v33, vcc
	s_add_i32 s1, s48, s41
	s_add_i32 s37, s0, s47
	s_mov_b32 s65, 0x1000504
	v_lshlrev_b32_e32 v32, 8, v64
	s_mov_b32 s20, 0x8000
	v_xor_b32_e32 v30, v68, v30
	v_lshl_or_b32 v12, v12, 10, v13
	s_add_i32 s35, s1, s49
	s_lshl_b64 s[0:1], s[36:37], 2
	s_mov_b32 s66, 0x3020706
	v_lshlrev_b32_e32 v30, 1, v30
	v_or3_b32 v77, v31, v32, s20
	v_xor_b32_e32 v13, 8, v12
	v_xor_b32_e32 v31, 24, v12
	;; [unrolled: 1-line block ×4, first 2 shown]
	s_add_u32 s21, s10, s0
	v_or3_b32 v78, v30, v32, s20
	v_xor_b32_e32 v30, 16, v12
	v_xor_b32_e32 v32, 32, v12
	v_xor_b32_e32 v34, 48, v12
	v_add_u32_e32 v13, 0x80, v13
	v_add_u32_e32 v31, 0x80, v31
	;; [unrolled: 1-line block ×4, first 2 shown]
	s_addc_u32 s22, s11, s1
	s_lshl_b64 s[0:1], s[34:35], 2
	s_add_u32 s44, s21, s0
	s_movk_i32 s0, 0xf8
	s_addc_u32 s45, s22, s1
	s_ashr_i32 s39, s38, 31
	v_ashrrev_i32_e32 v55, 31, v54
	s_lshl_b32 s26, s15, 7
	s_mul_i32 s63, s52, s12
	s_mov_b32 s64, 0
	s_mov_b32 s37, 0x7060302
	s_movk_i32 s22, 0x4000
	s_mov_b32 s68, 0
	s_waitcnt vmcnt(1)
	v_perm_b32 v36, v14, v22, s65
	s_waitcnt vmcnt(0)
	v_perm_b32 v37, v18, v26, s65
	v_perm_b32 v14, v14, v22, s66
	;; [unrolled: 1-line block ×15, first 2 shown]
	ds_write2st64_b32 v12, v36, v37 offset1:32
	ds_write2st64_b32 v13, v14, v18 offset1:32
	ds_write2st64_b32 v30, v22, v26 offset0:1 offset1:33
	ds_write2st64_b32 v31, v15, v19 offset0:1 offset1:33
	;; [unrolled: 1-line block ×6, first 2 shown]
	v_or_b32_e32 v12, v1, v64
	v_lshlrev_b32_e32 v12, 3, v12
	v_lshrrev_b32_e32 v14, 5, v53
	v_and_or_b32 v14, v12, s0, v14
	v_lshlrev_b32_e32 v14, 4, v14
	v_lshrrev_b32_e32 v13, 2, v53
	v_lshlrev_b32_e32 v21, 11, v62
	v_and_b32_e32 v12, 0x78, v12
	v_or_b32_e32 v17, 32, v14
	v_and_b32_e32 v20, 12, v13
	v_and_b32_e32 v13, 0x1000, v21
	v_lshrrev_b32_e32 v16, 1, v53
	v_xor_b32_e32 v17, v17, v12
	v_and_b32_e32 v16, 8, v16
	v_or_b32_e32 v17, v17, v13
	v_xor_b32_e32 v15, v14, v12
	v_xor_b32_e32 v81, v17, v16
	v_or_b32_e32 v17, 64, v14
	v_or_b32_e32 v14, 0x60, v14
	v_xor_b32_e32 v17, v17, v12
	v_xor_b32_e32 v12, v14, v12
	v_or_b32_e32 v15, v15, v13
	v_or_b32_e32 v17, v17, v13
	;; [unrolled: 1-line block ×3, first 2 shown]
	v_xor_b32_e32 v79, v15, v16
	v_xor_b32_e32 v82, v17, v16
	;; [unrolled: 1-line block ×3, first 2 shown]
	v_lshrrev_b32_e32 v16, 4, v0
	v_lshlrev_b32_e32 v17, 1, v64
	v_or_b32_e32 v18, 1, v17
	v_xor_b32_e32 v17, v16, v17
	s_lshl_b64 s[0:1], s[38:39], 8
	v_xor_b32_e32 v18, v18, v16
	v_lshlrev_b32_e32 v17, 3, v17
	v_lshlrev_b32_e32 v16, 8, v16
	v_lshlrev_b64 v[12:13], 1, v[54:55]
	s_add_u32 s0, s18, s0
	v_or3_b32 v55, v17, v16, s20
	v_lshlrev_b32_e32 v17, 3, v18
	s_addc_u32 s1, s19, s1
	v_or3_b32 v85, v17, v16, s20
	v_mov_b32_e32 v17, 0
	v_lshrrev_b32_e32 v27, 1, v0
	v_lshl_add_u64 v[18:19], s[0:1], 0, v[16:17]
	v_lshlrev_b32_e32 v16, 4, v64
	s_movk_i32 s0, 0xff
	v_lshlrev_b32_e32 v26, 3, v62
	v_and_b32_e32 v27, 24, v27
	v_lshl_add_u64 v[56:57], v[18:19], 0, v[16:17]
	v_and_b32_e32 v16, 7, v0
	v_and_b32_e32 v19, 8, v0
	v_cmp_lt_u32_e32 vcc, s0, v0
	v_xor_b32_e32 v28, v26, v27
	v_lshlrev_b32_e32 v24, 3, v16
	v_lshlrev_b32_e32 v25, 7, v16
	v_cndmask_b32_e64 v16, 0, 1, vcc
	v_or_b32_e32 v29, 0x440, v28
	v_cmp_eq_u32_e32 vcc, 0, v19
	v_or_b32_e32 v31, 64, v27
	v_xor_b32_e32 v31, v26, v31
	v_cndmask_b32_e32 v19, v29, v28, vcc
	v_or_b32_e32 v29, 32, v27
	v_or_b32_e32 v27, 0x60, v27
	v_xor_b32_e32 v29, v26, v29
	v_xor_b32_e32 v26, v26, v27
	v_or_b32_e32 v30, 0x440, v29
	v_xor_b32_e32 v32, 0x440, v31
	v_xor_b32_e32 v27, 0x440, v26
	v_cndmask_b32_e32 v29, v30, v29, vcc
	v_cndmask_b32_e32 v31, v32, v31, vcc
	;; [unrolled: 1-line block ×3, first 2 shown]
	v_and_b32_e32 v15, 0x78, v65
	v_or_b32_e32 v19, v19, v21
	v_or_b32_e32 v29, v29, v21
	;; [unrolled: 1-line block ×4, first 2 shown]
	v_lshl_or_b32 v15, v63, 7, v15
	v_lshlrev_b32_e32 v16, 13, v16
	v_xor_b32_e32 v19, v19, v24
	v_xor_b32_e32 v29, v29, v24
	;; [unrolled: 1-line block ×4, first 2 shown]
	v_or_b32_e32 v80, 0x9000, v15
	v_or_b32_e32 v84, 0x9800, v15
	v_lshl_add_u64 v[14:15], s[8:9], 0, v[12:13]
	v_lshl_add_u64 v[12:13], s[28:29], 0, v[12:13]
	v_lshlrev_b32_e32 v22, 1, v11
	v_add_lshl_u32 v11, v11, s15, 1
	v_or_b32_e32 v23, 0x100, v10
	v_or_b32_e32 v18, v20, v1
	v_add_u32_e32 v28, v16, v19
	v_add_u32_e32 v30, v16, v29
	v_add_u32_e32 v32, v16, v31
	v_add_u32_e32 v24, v16, v21
	v_or3_b32 v20, v1, v20, 64
	v_add_u32_e32 v19, 0x2000, v19
	v_add_u32_e32 v26, 0x2000, v29
	;; [unrolled: 1-line block ×4, first 2 shown]
	v_lshlrev_b32_e32 v16, 8, v67
	v_cndmask_b32_e64 v86, v22, v10, s[2:3]
	v_cndmask_b32_e64 v87, v11, v23, s[2:3]
	v_lshl_add_u64 v[58:59], v[14:15], 0, v[16:17]
	v_lshl_add_u64 v[60:61], v[12:13], 0, v[16:17]
	s_add_i32 s35, s63, 63
	v_lshlrev_b32_e32 v88, 2, v18
	v_add_u32_e32 v89, v28, v25
	v_add_u32_e32 v90, v30, v25
	;; [unrolled: 1-line block ×4, first 2 shown]
	v_lshlrev_b32_e32 v93, 2, v20
	v_add_u32_e32 v94, v19, v25
	v_add_u32_e32 v95, v26, v25
	v_add_u32_e32 v96, v27, v25
	v_add_u32_e32 v97, v21, v25
	s_waitcnt lgkmcnt(0)
	s_barrier
.LBB651_6:                              ; =>This Inner Loop Header: Depth=1
	s_add_i32 s39, s68, 1
	s_cmp_lt_i32 s39, s53
	s_mov_b64 s[24:25], 0
	s_cselect_b64 s[2:3], -1, 0
	s_cmp_ge_i32 s39, s53
	s_mov_b64 s[20:21], 0
	s_cbranch_scc1 .LBB651_8
; %bb.7:                                ;   in Loop: Header=BB651_6 Depth=1
	s_add_i32 s0, s64, 64
	s_add_u32 s0, s16, s0
	s_addc_u32 s1, s17, 0
	s_lshl_b64 s[0:1], s[0:1], 8
	s_add_u32 s20, s6, s0
	s_addc_u32 s21, s7, s1
.LBB651_8:                              ;   in Loop: Header=BB651_6 Depth=1
	v_cndmask_b32_e64 v10, 0, 1, s[2:3]
	v_cmp_ne_u32_e64 s[0:1], 1, v10
	s_andn2_b64 vcc, exec, s[2:3]
	s_cbranch_vccnz .LBB651_10
; %bb.9:                                ;   in Loop: Header=BB651_6 Depth=1
	s_add_i32 s2, s64, 64
	s_add_u32 s2, s63, s2
	s_addc_u32 s3, s67, 0
	s_mul_i32 s24, s2, s55
	s_mul_hi_u32 s25, s2, s60
	s_add_i32 s24, s25, s24
	s_mul_i32 s3, s3, s60
	s_add_i32 s24, s24, s3
	s_mul_i32 s2, s2, s60
	s_add_u32 s2, s2, s56
	s_addc_u32 s3, s24, s61
	s_lshl_b64 s[2:3], s[2:3], 8
	s_add_u32 s24, s4, s2
	s_addc_u32 s25, s5, s3
.LBB651_10:                             ;   in Loop: Header=BB651_6 Depth=1
	v_perm_b32 v11, v9, v8, s37
	v_perm_b32 v10, v7, v6, s37
	;; [unrolled: 1-line block ×4, first 2 shown]
	ds_write_b64 v75, v[10:11]
	ds_write_b64 v76, v[12:13]
	;; [unrolled: 1-line block ×4, first 2 shown]
	s_waitcnt lgkmcnt(0)
	s_barrier
	ds_read_b64 v[18:19], v79 offset:16384
	ds_read_b64 v[20:21], v81 offset:16384
	ds_read2st64_b64 v[10:13], v80 offset1:1
	ds_read2st64_b64 v[14:17], v80 offset0:2 offset1:3
	ds_read_b64 v[22:23], v82 offset:16384
	s_waitcnt lgkmcnt(2)
	v_mfma_f32_16x16x16_bf16 a[0:3], v[18:19], v[10:11], 0
	ds_read_b64 v[10:11], v83 offset:16384
	s_add_i32 s2, s64, 63
	s_mul_i32 s3, s2, s31
	v_mfma_f32_16x16x16_bf16 a[0:3], v[20:21], v[12:13], a[0:3]
	s_mul_hi_u32 s27, s2, s30
	s_add_i32 s3, s27, s3
	s_mul_i32 s2, s2, s30
	s_waitcnt lgkmcnt(1)
	v_mfma_f32_16x16x16_bf16 a[0:3], v[22:23], v[14:15], a[0:3]
	s_lshl_b64 s[2:3], s[2:3], 2
	s_add_u32 s2, s44, s2
	s_addc_u32 s3, s45, s3
	s_waitcnt lgkmcnt(0)
	v_mfma_f32_16x16x16_bf16 a[0:3], v[10:11], v[16:17], a[0:3]
	s_and_b64 vcc, exec, s[0:1]
	v_mov_b32_e32 v100, 0
	v_mov_b32_e32 v99, 0
	;; [unrolled: 1-line block ×19, first 2 shown]
	s_cbranch_vccnz .LBB651_12
; %bb.11:                               ;   in Loop: Header=BB651_6 Depth=1
	s_and_b32 s21, s21, 0xffff
	buffer_load_dwordx4 v[22:25], v71, s[20:23], 0 offen
	buffer_load_dwordx4 v[18:21], v71, s[20:23], s62 offen
	;; [unrolled: 1-line block ×4, first 2 shown]
	v_mov_b32_e32 v99, v73
	v_mov_b32_e32 v98, v74
.LBB651_12:                             ;   in Loop: Header=BB651_6 Depth=1
	v_add_u32_e32 v32, s64, v67
	v_ashrrev_i32_e32 v26, 31, v32
	v_mul_lo_u32 v28, v26, s30
	v_mul_lo_u32 v29, v32, s31
	v_mad_u64_u32 v[26:27], s[20:21], v32, s30, 0
	v_add3_u32 v27, v27, v29, v28
	v_add_u32_e32 v28, 1, v32
	v_ashrrev_i32_e32 v29, 31, v28
	v_mul_lo_u32 v30, v29, s30
	v_mul_lo_u32 v31, v28, s31
	v_mad_u64_u32 v[28:29], s[20:21], v28, s30, 0
	v_add3_u32 v29, v29, v31, v30
	v_add_u32_e32 v30, 2, v32
	v_ashrrev_i32_e32 v31, 31, v30
	v_mul_lo_u32 v33, v31, s30
	v_mul_lo_u32 v34, v30, s31
	v_mad_u64_u32 v[30:31], s[20:21], v30, s30, 0
	s_add_u32 s20, s16, s64
	v_add3_u32 v31, v31, v34, v33
	v_add_u32_e32 v34, 3, v32
	s_addc_u32 s21, s17, 0
	v_ashrrev_i32_e32 v32, 31, v34
	s_lshl_b64 s[20:21], s[20:21], 8
	v_lshl_add_u64 v[26:27], v[26:27], 2, s[44:45]
	v_mul_lo_u32 v35, v32, s30
	v_lshl_add_u64 v[32:33], v[58:59], 0, s[20:21]
	v_mul_lo_u32 v36, v34, s31
	global_load_ushort v46, v[32:33], off
	global_load_ushort v47, v[32:33], off offset:256
	global_load_ushort v48, v[32:33], off offset:512
	;; [unrolled: 1-line block ×3, first 2 shown]
	global_load_dword v50, v[26:27], off
	v_mad_u64_u32 v[26:27], s[70:71], v34, s30, 0
	v_lshl_add_u64 v[28:29], v[28:29], 2, s[44:45]
	v_add3_u32 v27, v27, v36, v35
	v_lshl_add_u64 v[30:31], v[30:31], 2, s[44:45]
	v_lshl_add_u64 v[26:27], v[26:27], 2, s[44:45]
	global_load_dword v51, v[28:29], off
	global_load_dword v52, v[30:31], off
	;; [unrolled: 1-line block ×3, first 2 shown]
	s_load_dword s2, s[2:3], 0x0
	ds_read_b64 v[34:35], v79 offset:24576
	ds_read2st64_b64 v[30:33], v84 offset1:1
	ds_read2st64_b64 v[36:39], v84 offset0:2 offset1:3
	ds_read_b64 v[40:41], v81 offset:24576
	ds_read_b64 v[42:43], v82 offset:24576
	;; [unrolled: 1-line block ×3, first 2 shown]
	s_waitcnt lgkmcnt(0)
	v_mfma_f32_16x16x16_bf16 a[0:3], v[34:35], v[30:31], a[0:3]
	v_mov_b32_e32 v101, 0
	v_mov_b32_e32 v26, 0
	;; [unrolled: 1-line block ×3, first 2 shown]
	v_mfma_f32_16x16x16_bf16 a[0:3], v[40:41], v[32:33], a[0:3]
	v_mov_b32_e32 v28, 0
	v_mov_b32_e32 v29, 0
	;; [unrolled: 1-line block ×3, first 2 shown]
	v_mfma_f32_16x16x16_bf16 a[0:3], v[42:43], v[36:37], a[0:3]
	v_lshl_add_u64 v[36:37], v[60:61], 0, s[20:21]
	v_mov_b32_e32 v31, 0
	v_mov_b32_e32 v32, 0
	v_mfma_f32_16x16x16_bf16 a[0:3], v[44:45], v[38:39], a[0:3]
	v_mov_b32_e32 v33, 0
	v_mov_b32_e32 v34, 0
	;; [unrolled: 1-line block ×3, first 2 shown]
	s_and_b64 vcc, exec, s[0:1]
	s_waitcnt vmcnt(7)
	v_lshlrev_b32_e32 v42, 16, v46
	s_nop 0
	v_accvgpr_read_b32 v41, a1
	v_accvgpr_read_b32 v39, a3
	;; [unrolled: 1-line block ×4, first 2 shown]
	s_waitcnt vmcnt(6)
	v_lshlrev_b32_e32 v43, 16, v47
	s_waitcnt vmcnt(4)
	v_lshlrev_b32_e32 v45, 16, v49
	v_lshlrev_b32_e32 v44, 16, v48
	s_waitcnt vmcnt(3)
	v_sub_f32_e32 v46, s2, v50
	v_pk_add_f32 v[40:41], v[42:43], v[40:41] neg_lo:[0,1] neg_hi:[0,1]
	v_pk_add_f32 v[38:39], v[44:45], v[38:39] neg_lo:[0,1] neg_hi:[0,1]
	s_waitcnt vmcnt(2)
	v_sub_f32_e32 v43, s2, v51
	s_waitcnt vmcnt(1)
	v_sub_f32_e32 v44, s2, v52
	;; [unrolled: 2-line block ×3, first 2 shown]
	v_exp_f32_e32 v42, v46
	v_exp_f32_e32 v43, v43
	;; [unrolled: 1-line block ×4, first 2 shown]
	global_store_short_d16_hi v[36:37], v40, off
	global_store_short_d16_hi v[36:37], v41, off offset:256
	global_store_short_d16_hi v[36:37], v38, off offset:512
	global_store_short_d16_hi v[36:37], v39, off offset:768
	v_pk_mul_f32 v[36:37], v[42:43], v[40:41]
	v_pk_mul_f32 v[38:39], v[44:45], v[38:39]
	v_perm_b32 v36, v37, v36, s37
	v_perm_b32 v37, v39, v38, s37
	ds_write_b64 v76, v[36:37]
	v_mov_b32_e32 v36, 0
	v_mov_b32_e32 v37, 0
	;; [unrolled: 1-line block ×6, first 2 shown]
	s_cbranch_vccnz .LBB651_14
; %bb.13:                               ;   in Loop: Header=BB651_6 Depth=1
	s_and_b32 s25, s25, 0xffff
	s_mov_b32 s27, s23
	buffer_load_dwordx4 v[38:41], v86, s[24:27], 0 offen
	buffer_load_dwordx4 v[30:33], v86, s[24:27], s62 offen
	;; [unrolled: 1-line block ×4, first 2 shown]
	v_mov_b32_e32 v100, v70
	v_mov_b32_e32 v101, v69
.LBB651_14:                             ;   in Loop: Header=BB651_6 Depth=1
	s_waitcnt lgkmcnt(0)
	s_barrier
	ds_read_b64 v[42:43], v89
	ds_read_b64 v[48:49], v90
	ds_read2st64_b64 v[44:47], v84 offset1:1
	ds_read2st64_b64 v[102:105], v84 offset0:2 offset1:3
	ds_read_b64 v[50:51], v91
	ds_read_b64 v[110:111], v92
	s_add_i32 s3, s57, s68
	s_mul_hi_i32 s21, s3, s13
	s_mul_i32 s3, s3, s13
	s_waitcnt lgkmcnt(3)
	v_mfma_f32_16x16x16_bf16 a[0:3], v[42:43], v[44:45], 0
	ds_read_b64 v[42:43], v94
	s_add_u32 s20, s3, s50
	s_addc_u32 s21, s21, s54
	s_add_i32 s3, s35, s64
	v_mfma_f32_16x16x16_bf16 a[0:3], v[48:49], v[46:47], a[0:3]
	ds_read_b64 v[48:49], v95
	s_lshl_b64 s[20:21], s[20:21], 15
	s_mul_hi_i32 s25, s3, s13
	s_mul_i32 s3, s3, s13
	s_add_u32 s24, s3, s50
	s_addc_u32 s25, s25, s54
	s_lshl_b64 s[24:25], s[24:25], 9
	s_add_u32 s24, s42, s24
	s_waitcnt lgkmcnt(1)
	v_mfma_f32_16x16x16_bf16 a[4:7], v[42:43], v[44:45], 0
	s_addc_u32 s25, s43, s25
	s_and_b64 vcc, exec, s[0:1]
	v_mfma_f32_16x16x16_bf16 a[0:3], v[50:51], v[102:103], a[0:3]
	ds_read_b64 v[50:51], v96
	ds_read_b64 v[112:113], v97
	global_load_dwordx4 v[42:45], v93, s[24:25]
	s_waitcnt lgkmcnt(2)
	v_mfma_f32_16x16x16_bf16 a[4:7], v[48:49], v[46:47], a[4:7]
	global_load_dwordx4 v[46:49], v88, s[24:25]
	ds_read_b64 v[106:107], v55
	ds_read_b64 v[108:109], v85
	s_waitcnt lgkmcnt(3)
	v_mfma_f32_16x16x16_bf16 a[8:11], v[50:51], v[102:103], a[4:7]
	v_lshl_add_u64 v[50:51], v[56:57], 0, s[20:21]
	s_waitcnt lgkmcnt(0)
	global_store_dwordx4 v[50:51], v[106:109], off
	v_mfma_f32_16x16x16_bf16 a[4:7], v[110:111], v[104:105], a[0:3]
	s_waitcnt vmcnt(2)
	v_mov_b32_e32 v52, v45
	v_mfma_f32_16x16x16_bf16 a[0:3], v[112:113], v[104:105], a[8:11]
	v_mov_b32_e32 v51, v44
	v_mov_b32_e32 v50, v43
	s_cbranch_vccnz .LBB651_16
; %bb.15:                               ;   in Loop: Header=BB651_6 Depth=1
	v_lshrrev_b32_e32 v43, 3, v100
	v_and_b32_e32 v43, 6, v43
	v_xor_b32_e32 v44, v43, v101
	v_lshlrev_b32_e32 v44, 2, v44
	v_and_b32_e32 v45, 8, v100
	v_xor_b32_e32 v100, 0x440, v44
	v_cmp_eq_u32_e32 vcc, 0, v45
	v_perm_b32 v45, v30, v26, s65
	s_nop 0
	v_cndmask_b32_e32 v44, v100, v44, vcc
	v_lshl_or_b32 v43, v43, 10, v44
	v_perm_b32 v44, v38, v34, s65
	s_barrier
	ds_write2st64_b32 v43, v44, v45 offset1:32
	v_xor_b32_e32 v44, 8, v43
	v_perm_b32 v34, v38, v34, s66
	v_perm_b32 v26, v30, v26, s66
	v_add_u32_e32 v30, 0x80, v44
	ds_write2st64_b32 v30, v34, v26 offset1:32
	v_xor_b32_e32 v26, 16, v43
	v_perm_b32 v30, v39, v35, s65
	v_perm_b32 v34, v31, v27, s65
	ds_write2st64_b32 v26, v30, v34 offset0:1 offset1:33
	v_xor_b32_e32 v26, 24, v43
	v_perm_b32 v30, v39, v35, s66
	v_perm_b32 v27, v31, v27, s66
	v_add_u32_e32 v26, 0x80, v26
	ds_write2st64_b32 v26, v30, v27 offset0:1 offset1:33
	v_xor_b32_e32 v26, 32, v43
	v_perm_b32 v27, v40, v36, s65
	v_perm_b32 v30, v32, v28, s65
	ds_write2st64_b32 v26, v27, v30 offset0:2 offset1:34
	v_xor_b32_e32 v26, 40, v43
	v_perm_b32 v27, v40, v36, s66
	v_perm_b32 v28, v32, v28, s66
	v_add_u32_e32 v26, 0x80, v26
	ds_write2st64_b32 v26, v27, v28 offset0:2 offset1:34
	;; [unrolled: 9-line block ×3, first 2 shown]
	ds_write_b64 v99, v[22:23] offset:16384
	v_xor_b32_e32 v22, 8, v99
	ds_write_b64 v22, v[24:25] offset:16384
	ds_write_b64 v99, v[18:19] offset:24576
	;; [unrolled: 1-line block ×4, first 2 shown]
	v_xor_b32_e32 v14, 8, v98
	ds_write_b64 v14, v[16:17] offset:16384
	ds_write_b64 v98, v[10:11] offset:24576
	ds_write_b64 v14, v[12:13] offset:24576
.LBB651_16:                             ;   in Loop: Header=BB651_6 Depth=1
	v_exp_f32_e32 v18, s2
	s_waitcnt vmcnt(1)
	v_exp_f32_e32 v20, v46
	v_exp_f32_e32 v21, v47
	v_exp_f32_e32 v22, v48
	v_exp_f32_e32 v23, v49
	v_accvgpr_read_b32 v13, a7
	v_accvgpr_read_b32 v11, a5
	;; [unrolled: 1-line block ×3, first 2 shown]
	v_pk_mul_f32 v[20:21], v[18:19], v[20:21] op_sel_hi:[0,1]
	v_pk_fma_f32 v[6:7], v[6:7], v[20:21], v[10:11]
	v_exp_f32_e32 v20, v42
	v_exp_f32_e32 v21, v50
	v_pk_mul_f32 v[10:11], v[18:19], v[22:23] op_sel_hi:[0,1]
	v_exp_f32_e32 v22, v51
	v_exp_f32_e32 v23, v52
	v_accvgpr_read_b32 v12, a6
	v_accvgpr_read_b32 v17, a3
	;; [unrolled: 1-line block ×4, first 2 shown]
	v_pk_fma_f32 v[8:9], v[8:9], v[10:11], v[12:13]
	v_pk_mul_f32 v[10:11], v[18:19], v[20:21] op_sel_hi:[0,1]
	v_accvgpr_read_b32 v16, a2
	v_pk_fma_f32 v[2:3], v[2:3], v[10:11], v[14:15]
	v_pk_mul_f32 v[10:11], v[18:19], v[22:23] op_sel_hi:[0,1]
	s_add_i32 s64, s64, 64
	s_cmp_eq_u32 s53, s39
	v_pk_fma_f32 v[4:5], v[4:5], v[10:11], v[16:17]
	s_cbranch_scc1 .LBB651_18
; %bb.17:                               ;   in Loop: Header=BB651_6 Depth=1
	s_mov_b32 s68, s39
	s_branch .LBB651_6
.LBB651_18:
	s_lshl_b32 s26, s53, 6
	s_sub_i32 s27, s12, s26
	s_cmp_gt_i32 s27, 0
	s_cbranch_scc0 .LBB651_75
; %bb.19:
	s_ashr_i32 s2, s26, 31
	s_cmpk_lg_i32 s15, 0x80
	s_cselect_b64 s[22:23], -1, 0
	s_and_b64 vcc, exec, s[22:23]
	s_cbranch_vccz .LBB651_21
; %bb.20:
	s_mul_i32 s1, s52, s12
	s_mul_hi_i32 s0, s52, s12
	s_add_u32 s1, s1, s26
	s_addc_u32 s0, s0, s2
	s_mul_i32 s3, s1, s55
	s_mul_hi_u32 s17, s1, s14
	s_add_i32 s3, s17, s3
	s_mul_i32 s0, s0, s14
	s_add_i32 s3, s3, s0
	s_mul_i32 s1, s1, s14
	s_ashr_i32 s0, s56, 31
	s_add_u32 s24, s1, s56
	s_addc_u32 s25, s3, s0
	s_cbranch_execz .LBB651_22
	s_branch .LBB651_23
.LBB651_21:
                                        ; implicit-def: $sgpr24_sgpr25
.LBB651_22:
	s_mul_hi_i32 s0, s52, s14
	s_mul_i32 s52, s52, s14
	s_ashr_i32 s1, s56, 31
	s_add_u32 s3, s52, s56
	s_addc_u32 s0, s0, s1
	s_mul_i32 s1, s3, s51
	s_mul_hi_u32 s14, s3, s12
	s_add_i32 s1, s14, s1
	s_mul_i32 s0, s0, s12
	s_add_i32 s1, s1, s0
	s_mul_i32 s3, s3, s12
	s_add_u32 s24, s3, s26
	s_addc_u32 s25, s1, s2
.LBB651_23:
	s_mul_i32 s0, s40, s51
	s_add_i32 s0, s59, s0
	s_add_i32 s3, s57, s53
	;; [unrolled: 1-line block ×3, first 2 shown]
	s_add_u32 s0, s16, s26
	s_addc_u32 s1, s1, s2
	s_mov_b32 s2, 0x7060302
	s_waitcnt vmcnt(0)
	v_perm_b32 v5, v5, v4, s2
	v_perm_b32 v4, v3, v2, s2
	v_lshlrev_b32_e32 v2, 3, v64
	s_lshl_b64 s[20:21], s[0:1], 8
	v_perm_b32 v9, v9, v8, s2
	v_perm_b32 v8, v7, v6, s2
	v_lshlrev_b32_e32 v34, 2, v64
	v_lshl_or_b32 v2, v67, 5, v2
	s_waitcnt lgkmcnt(0)
	s_add_u32 s0, s6, s20
	ds_write2st64_b64 v2, v[8:9], v[4:5] offset0:72 offset1:76
	v_xor_b32_e32 v2, v67, v34
	v_lshlrev_b32_e32 v3, 8, v64
	s_addc_u32 s1, s7, s21
	v_lshl_or_b32 v2, v2, 1, v3
	s_mul_hi_i32 s6, s3, s13
	s_mul_i32 s3, s3, s13
	ds_write_b64 v2, v[8:9] offset:32768
	v_xor_b32_e32 v2, v68, v34
	s_add_u32 s2, s3, s50
	v_lshl_or_b32 v2, v2, 1, v3
	s_addc_u32 s3, s6, s54
	v_lshlrev_b32_e32 v3, 1, v64
	ds_write_b64 v2, v[4:5] offset:32768
	v_lshrrev_b32_e32 v2, 4, v0
	s_ashr_i32 s39, s38, 31
	s_lshl_b64 s[2:3], s[2:3], 15
	v_or_b32_e32 v4, 1, v3
	s_add_u32 s6, s18, s2
	v_xor_b32_e32 v3, v2, v3
	v_xor_b32_e32 v4, v4, v2
	v_lshlrev_b32_e32 v6, 8, v2
	s_addc_u32 s7, s19, s3
	s_lshl_b64 s[2:3], s[38:39], 8
	v_lshl_or_b32 v2, v3, 3, v6
	v_lshl_or_b32 v4, v4, 3, v6
	s_waitcnt lgkmcnt(0)
	s_barrier
	s_add_u32 s2, s6, s2
	ds_read_b64 v[2:3], v2 offset:32768
	ds_read_b64 v[4:5], v4 offset:32768
	s_addc_u32 s3, s7, s3
	v_mov_b32_e32 v7, 0
	s_cmp_lg_u32 s27, 64
	v_lshl_add_u64 v[8:9], s[2:3], 0, v[6:7]
	v_lshlrev_b32_e32 v6, 4, v64
	s_cselect_b64 s[6:7], -1, 0
	v_lshl_or_b32 v35, v62, 3, v66
	s_mov_b32 s16, 0
	v_lshl_add_u64 v[6:7], v[8:9], 0, v[6:7]
	v_or_b32_e32 v19, 32, v35
	v_and_b32_e32 v18, 56, v65
	s_and_b64 vcc, exec, s[6:7]
	s_waitcnt lgkmcnt(0)
	global_store_dwordx4 v[6:7], v[2:5], off
	s_cbranch_vccz .LBB651_29
; %bb.24:
	s_mov_b32 s17, s16
	s_mov_b32 s18, s16
	;; [unrolled: 1-line block ×3, first 2 shown]
	v_mov_b64_e32 v[6:7], s[16:17]
	v_mov_b64_e32 v[8:9], s[18:19]
	;; [unrolled: 1-line block ×3, first 2 shown]
	v_cmp_gt_i32_e32 vcc, s27, v35
	v_mov_b64_e32 v[4:5], v[8:9]
	s_and_saveexec_b64 s[2:3], vcc
	s_cbranch_execz .LBB651_26
; %bb.25:
	v_lshlrev_b32_e32 v2, 8, v35
	v_mov_b32_e32 v3, 0
	v_lshl_add_u64 v[4:5], s[0:1], 0, v[2:3]
	v_lshlrev_b32_e32 v2, 1, v18
	v_lshl_add_u64 v[10:11], v[4:5], 0, v[2:3]
	global_load_dwordx4 v[6:9], v[10:11], off
	global_load_dwordx4 v[2:5], v[10:11], off offset:128
.LBB651_26:
	s_or_b64 exec, exec, s[2:3]
	s_mov_b32 s17, s16
	s_mov_b32 s18, s16
	;; [unrolled: 1-line block ×3, first 2 shown]
	v_mov_b64_e32 v[14:15], s[16:17]
	v_mov_b64_e32 v[16:17], s[18:19]
	;; [unrolled: 1-line block ×3, first 2 shown]
	v_cmp_gt_i32_e32 vcc, s27, v19
	v_lshlrev_b32_e32 v20, 7, v19
	v_mov_b64_e32 v[12:13], v[16:17]
	s_and_saveexec_b64 s[2:3], vcc
	s_cbranch_execz .LBB651_28
; %bb.27:
	v_lshlrev_b32_e32 v10, 1, v20
	v_mov_b32_e32 v11, 0
	v_lshl_add_u64 v[12:13], s[0:1], 0, v[10:11]
	v_lshlrev_b32_e32 v10, 1, v18
	v_lshl_add_u64 v[22:23], v[12:13], 0, v[10:11]
	global_load_dwordx4 v[14:17], v[22:23], off
	global_load_dwordx4 v[10:13], v[22:23], off offset:128
.LBB651_28:
	s_or_b64 exec, exec, s[2:3]
	v_lshrrev_b32_e32 v21, 3, v18
	v_lshlrev_b32_e32 v22, 3, v35
	v_or_b32_e32 v21, v22, v21
	v_lshlrev_b32_e32 v21, 4, v21
	v_and_b32_e32 v22, 0x78, v22
	v_xor_b32_e32 v21, v21, v22
	s_branch .LBB651_31
.LBB651_29:
                                        ; implicit-def: $vgpr21
                                        ; implicit-def: $vgpr20
                                        ; implicit-def: $vgpr6_vgpr7_vgpr8_vgpr9
                                        ; implicit-def: $vgpr2_vgpr3_vgpr4_vgpr5
                                        ; implicit-def: $vgpr14_vgpr15_vgpr16_vgpr17
                                        ; implicit-def: $vgpr10_vgpr11_vgpr12_vgpr13
	s_cbranch_execz .LBB651_31
; %bb.30:
	s_waitcnt vmcnt(0)
	v_lshlrev_b32_e32 v2, 1, v18
	v_lshl_or_b32 v20, v35, 8, v2
	s_and_b32 s1, s1, 0xffff
	s_mov_b32 s3, 0x20000
	s_movk_i32 s2, 0x4000
	v_lshl_or_b32 v21, v19, 8, v2
	s_movk_i32 s13, 0x80
	buffer_load_dwordx4 v[6:9], v20, s[0:3], 0 offen
	buffer_load_dwordx4 v[2:5], v20, s[0:3], s13 offen
	;; [unrolled: 1-line block ×4, first 2 shown]
	v_lshrrev_b32_e32 v20, 3, v18
	v_lshlrev_b32_e32 v21, 3, v35
	v_or_b32_e32 v20, v21, v20
	v_lshlrev_b32_e32 v20, 4, v20
	v_and_b32_e32 v21, 0x78, v21
	v_xor_b32_e32 v21, v20, v21
	v_lshlrev_b32_e32 v20, 7, v19
.LBB651_31:
	s_lshl_b64 s[0:1], s[24:25], 8
	s_add_u32 s4, s4, s0
	s_movk_i32 s0, 0x1000
	v_and_or_b32 v19, v20, s0, v21
	s_waitcnt vmcnt(1)
	ds_write_b64 v21, v[6:7] offset:16384
	v_xor_b32_e32 v6, 8, v21
	ds_write_b64 v6, v[8:9] offset:16384
	s_waitcnt vmcnt(0)
	ds_write_b64 v21, v[2:3] offset:24576
	ds_write_b64 v6, v[4:5] offset:24576
	;; [unrolled: 1-line block ×3, first 2 shown]
	v_xor_b32_e32 v2, 8, v19
	ds_write_b64 v2, v[16:17] offset:16384
	ds_write_b64 v19, v[10:11] offset:24576
	;; [unrolled: 1-line block ×3, first 2 shown]
	v_or_b32_e32 v2, v1, v64
	s_addc_u32 s5, s5, s1
	s_add_i32 s0, s12, -1
	v_lshlrev_b32_e32 v2, 3, v2
	v_lshrrev_b32_e32 v4, 5, v53
	s_movk_i32 s12, 0xf8
	v_and_or_b32 v4, v2, s12, v4
	v_lshlrev_b32_e32 v3, 11, v62
	v_lshlrev_b32_e32 v12, 4, v4
	v_and_b32_e32 v13, 0x78, v2
	v_and_b32_e32 v14, 0x1000, v3
	v_lshlrev_b32_e32 v3, 2, v0
	v_xor_b32_e32 v2, v12, v13
	v_lshrrev_b32_e32 v4, 1, v53
	v_and_b32_e32 v3, 60, v3
	v_or_b32_e32 v2, v2, v14
	v_and_b32_e32 v15, 8, v4
	v_xor_b32_e32 v26, v2, v15
	v_lshl_or_b32 v2, v63, 6, v3
	v_lshlrev_b32_e32 v19, 1, v2
	v_or_b32_e32 v2, 32, v12
	v_xor_b32_e32 v2, v2, v13
	s_waitcnt lgkmcnt(0)
	s_barrier
	ds_read_b64 v[10:11], v26 offset:16384
	v_or_b32_e32 v2, v2, v14
	v_xor_b32_e32 v27, v2, v15
	v_or_b32_e32 v2, 64, v12
	v_xor_b32_e32 v2, v2, v13
	v_or_b32_e32 v2, v2, v14
	v_or_b32_e32 v12, 0x60, v12
	v_xor_b32_e32 v28, v2, v15
	ds_read2st64_b64 v[2:5], v19 offset0:72 offset1:73
	ds_read2st64_b64 v[6:9], v19 offset0:74 offset1:75
	v_xor_b32_e32 v16, v12, v13
	ds_read_b64 v[12:13], v27 offset:16384
	s_add_i32 s1, s46, s33
	s_waitcnt lgkmcnt(2)
	v_mfma_f32_16x16x16_bf16 a[0:3], v[10:11], v[2:3], 0
	s_add_i32 s37, s1, s47
	s_add_i32 s1, s48, s41
	;; [unrolled: 1-line block ×3, first 2 shown]
	s_ashr_i32 s1, s0, 31
	s_mul_i32 s2, s0, s31
	s_mul_hi_u32 s3, s0, s30
	s_add_i32 s2, s3, s2
	s_mul_i32 s1, s1, s30
	v_or_b32_e32 v14, v16, v14
	s_add_i32 s1, s2, s1
	s_lshl_b64 s[2:3], s[36:37], 2
	v_xor_b32_e32 v36, v14, v15
	ds_read_b64 v[14:15], v28 offset:16384
	ds_read_b64 v[16:17], v36 offset:16384
	s_waitcnt lgkmcnt(2)
	v_mfma_f32_16x16x16_bf16 a[0:3], v[12:13], v[4:5], a[0:3]
	s_add_u32 s10, s10, s2
	s_addc_u32 s11, s11, s3
	s_lshl_b64 s[2:3], s[34:35], 2
	s_mul_i32 s0, s0, s30
	s_add_u32 s10, s10, s2
	s_addc_u32 s11, s11, s3
	s_lshl_b64 s[0:1], s[0:1], 2
	s_waitcnt lgkmcnt(1)
	v_mfma_f32_16x16x16_bf16 a[0:3], v[14:15], v[6:7], a[0:3]
	s_add_u32 s0, s10, s0
	s_addc_u32 s1, s11, s1
	s_load_dword s12, s[0:1], 0x0
	s_waitcnt lgkmcnt(0)
	v_mfma_f32_16x16x16_bf16 a[0:3], v[16:17], v[8:9], a[0:3]
	s_and_b64 vcc, exec, s[22:23]
	s_cbranch_vccz .LBB651_42
; %bb.32:
	v_lshlrev_b32_e32 v20, 1, v35
	s_and_b64 vcc, exec, s[6:7]
	s_cbranch_vccz .LBB651_43
; %bb.33:
	v_cmp_gt_i32_e32 vcc, s27, v20
	v_mov_b32_e32 v6, 0
	v_mov_b32_e32 v2, 0
	;; [unrolled: 1-line block ×5, first 2 shown]
	s_and_saveexec_b64 s[0:1], vcc
	s_cbranch_execz .LBB651_35
; %bb.34:
	v_mad_i64_i32 v[2:3], s[2:3], s15, v20, 0
	v_lshl_add_u64 v[2:3], v[2:3], 1, s[4:5]
	v_lshlrev_b32_e32 v4, 1, v18
	v_mov_b32_e32 v5, 0
	v_lshl_add_u64 v[2:3], v[2:3], 0, v[4:5]
	global_load_dwordx4 v[2:5], v[2:3], off
.LBB651_35:
	s_or_b64 exec, exec, s[0:1]
	v_or_b32_e32 v21, 1, v20
	v_cmp_gt_i32_e64 s[0:1], s27, v21
	v_mov_b32_e32 v7, 0
	v_mov_b32_e32 v8, 0
	;; [unrolled: 1-line block ×3, first 2 shown]
	s_and_saveexec_b64 s[2:3], s[0:1]
	s_cbranch_execz .LBB651_37
; %bb.36:
	v_mad_i64_i32 v[6:7], s[16:17], s15, v21, 0
	v_lshl_add_u64 v[6:7], v[6:7], 1, s[4:5]
	v_lshlrev_b32_e32 v8, 1, v18
	v_mov_b32_e32 v9, 0
	v_lshl_add_u64 v[6:7], v[6:7], 0, v[8:9]
	global_load_dwordx4 v[6:9], v[6:7], off
.LBB651_37:
	s_or_b64 exec, exec, s[2:3]
	v_mov_b32_e32 v17, 0
	v_mov_b32_e32 v10, 0
	;; [unrolled: 1-line block ×5, first 2 shown]
	s_and_saveexec_b64 s[2:3], vcc
	s_cbranch_execz .LBB651_39
; %bb.38:
	v_mad_i64_i32 v[10:11], s[16:17], s15, v20, 0
	v_lshl_add_u64 v[10:11], v[10:11], 1, s[4:5]
	v_lshlrev_b32_e32 v12, 1, v18
	v_mov_b32_e32 v13, 0
	v_lshl_add_u64 v[10:11], v[10:11], 0, v[12:13]
	global_load_dwordx4 v[10:13], v[10:11], off offset:128
.LBB651_39:
	s_or_b64 exec, exec, s[2:3]
	v_mov_b32_e32 v16, 0
	v_mov_b32_e32 v15, 0
	;; [unrolled: 1-line block ×3, first 2 shown]
	s_and_saveexec_b64 s[2:3], s[0:1]
	s_cbranch_execz .LBB651_41
; %bb.40:
	v_mad_i64_i32 v[14:15], s[0:1], s15, v21, 0
	v_lshl_add_u64 v[14:15], v[14:15], 1, s[4:5]
	v_lshlrev_b32_e32 v16, 1, v18
	v_mov_b32_e32 v17, 0
	v_lshl_add_u64 v[14:15], v[14:15], 0, v[16:17]
	global_load_dwordx4 v[14:17], v[14:15], off offset:128
.LBB651_41:
	s_or_b64 exec, exec, s[2:3]
	s_branch .LBB651_45
.LBB651_42:
                                        ; implicit-def: $vgpr5
                                        ; implicit-def: $vgpr9
                                        ; implicit-def: $vgpr13
                                        ; implicit-def: $vgpr17
	v_lshrrev_b32_e32 v37, 2, v53
	s_branch .LBB651_46
.LBB651_43:
                                        ; implicit-def: $vgpr5
                                        ; implicit-def: $vgpr9
                                        ; implicit-def: $vgpr13
                                        ; implicit-def: $vgpr17
	s_cbranch_execz .LBB651_45
; %bb.44:
	s_waitcnt vmcnt(0)
	v_mad_u64_u32 v[2:3], s[0:1], v20, s15, v[18:19]
	v_lshlrev_b32_e32 v20, 1, v2
	s_lshl_b32 s2, s15, 7
	s_and_b32 s1, s5, 0xffff
	s_mov_b32 s3, 0x20000
	s_mov_b32 s0, s4
	v_add_lshl_u32 v21, v2, s15, 1
	s_movk_i32 s13, 0x80
	buffer_load_dwordx4 v[2:5], v20, s[0:3], 0 offen
	buffer_load_dwordx4 v[10:13], v20, s[0:3], s13 offen
	;; [unrolled: 1-line block ×4, first 2 shown]
.LBB651_45:
	v_lshrrev_b32_e32 v37, 2, v53
	s_cbranch_execnz .LBB651_58
.LBB651_46:
	s_and_b64 vcc, exec, s[6:7]
	s_cbranch_vccz .LBB651_56
; %bb.47:
	s_waitcnt vmcnt(0)
	v_lshlrev_b32_e32 v7, 1, v35
	v_cmp_gt_i32_e32 vcc, s27, v7
	v_mov_b32_e32 v6, 0
	v_lshlrev_b32_e32 v14, 9, v35
	v_mov_b32_e32 v2, 0
	v_mov_b32_e32 v3, 0
	;; [unrolled: 1-line block ×4, first 2 shown]
	s_and_saveexec_b64 s[0:1], vcc
	s_cbranch_execz .LBB651_49
; %bb.48:
	v_mov_b32_e32 v15, 0
	v_lshl_add_u64 v[2:3], s[4:5], 0, v[14:15]
	v_lshlrev_b32_e32 v4, 1, v18
	v_mov_b32_e32 v5, v15
	v_lshl_add_u64 v[2:3], v[2:3], 0, v[4:5]
	global_load_dwordx4 v[2:5], v[2:3], off
.LBB651_49:
	s_or_b64 exec, exec, s[0:1]
	v_or_b32_e32 v7, 1, v7
	v_cmp_gt_i32_e64 s[0:1], s27, v7
	v_lshlrev_b32_e32 v20, 8, v7
	v_mov_b32_e32 v7, 0
	v_mov_b32_e32 v8, 0
	v_mov_b32_e32 v9, 0
	s_and_saveexec_b64 s[2:3], s[0:1]
	s_cbranch_execz .LBB651_51
; %bb.50:
	v_mov_b32_e32 v21, 0
	v_lshl_add_u64 v[6:7], s[4:5], 0, v[20:21]
	v_lshlrev_b32_e32 v8, 1, v18
	v_mov_b32_e32 v9, v21
	v_lshl_add_u64 v[6:7], v[6:7], 0, v[8:9]
	global_load_dwordx4 v[6:9], v[6:7], off
.LBB651_51:
	s_or_b64 exec, exec, s[2:3]
	v_mov_b32_e32 v17, 0
	v_mov_b32_e32 v10, 0
	;; [unrolled: 1-line block ×5, first 2 shown]
	s_and_saveexec_b64 s[2:3], vcc
	s_cbranch_execz .LBB651_53
; %bb.52:
	v_mov_b32_e32 v15, 0
	v_lshl_add_u64 v[10:11], s[4:5], 0, v[14:15]
	v_lshlrev_b32_e32 v14, 1, v18
	v_lshl_add_u64 v[10:11], v[10:11], 0, v[14:15]
	global_load_dwordx4 v[10:13], v[10:11], off offset:128
.LBB651_53:
	s_or_b64 exec, exec, s[2:3]
	v_mov_b32_e32 v16, 0
	v_mov_b32_e32 v15, 0
	;; [unrolled: 1-line block ×3, first 2 shown]
	s_and_saveexec_b64 s[2:3], s[0:1]
	s_cbranch_execz .LBB651_55
; %bb.54:
	v_mov_b32_e32 v21, 0
	v_lshl_add_u64 v[14:15], s[4:5], 0, v[20:21]
	v_lshlrev_b32_e32 v20, 1, v18
	v_lshl_add_u64 v[14:15], v[14:15], 0, v[20:21]
	global_load_dwordx4 v[14:17], v[14:15], off offset:128
.LBB651_55:
	s_or_b64 exec, exec, s[2:3]
	s_branch .LBB651_58
.LBB651_56:
                                        ; implicit-def: $vgpr5
                                        ; implicit-def: $vgpr9
                                        ; implicit-def: $vgpr13
                                        ; implicit-def: $vgpr17
	s_cbranch_execz .LBB651_58
; %bb.57:
	s_waitcnt vmcnt(0)
	v_lshlrev_b32_e32 v2, 1, v18
	v_lshl_or_b32 v18, v35, 9, v2
	s_and_b32 s5, s5, 0xffff
	s_mov_b32 s7, 0x20000
	s_movk_i32 s6, 0x4000
	s_movk_i32 s0, 0x80
	buffer_load_dwordx4 v[2:5], v18, s[4:7], 0 offen
	buffer_load_dwordx4 v[6:9], v18, s[4:7], 0 offen offset:256
	buffer_load_dwordx4 v[10:13], v18, s[4:7], s0 offen
	buffer_load_dwordx4 v[14:17], v18, s[4:7], s0 offen offset:256
.LBB651_58:
	ds_read2st64_b64 v[22:25], v19 offset0:76 offset1:77
	ds_read2st64_b64 v[18:21], v19 offset0:78 offset1:79
	ds_read_b64 v[32:33], v26 offset:24576
	ds_read_b64 v[30:31], v27 offset:24576
	ds_read_b64 v[28:29], v28 offset:24576
	ds_read_b64 v[26:27], v36 offset:24576
	v_and_b32_e32 v36, 6, v0
	v_xor_b32_e32 v35, v35, v36
	v_lshlrev_b32_e32 v35, 2, v35
	v_and_b32_e32 v0, 1, v0
	v_xor_b32_e32 v38, 0x440, v35
	v_cmp_eq_u32_e32 vcc, 0, v0
	s_mov_b32 s0, 0x1000504
	s_mov_b32 s1, 0x3020706
	v_cndmask_b32_e32 v0, v38, v35, vcc
	v_lshl_or_b32 v0, v36, 10, v0
	s_waitcnt vmcnt(0)
	v_perm_b32 v35, v2, v6, s0
	v_perm_b32 v36, v10, v14, s0
	ds_write2st64_b32 v0, v35, v36 offset1:32
	v_xor_b32_e32 v35, 8, v0
	v_perm_b32 v2, v2, v6, s1
	v_perm_b32 v6, v10, v14, s1
	v_add_u32_e32 v10, 0x80, v35
	ds_write2st64_b32 v10, v2, v6 offset1:32
	v_xor_b32_e32 v2, 16, v0
	v_perm_b32 v6, v3, v7, s0
	v_perm_b32 v10, v11, v15, s0
	ds_write2st64_b32 v2, v6, v10 offset0:1 offset1:33
	v_xor_b32_e32 v2, 24, v0
	v_perm_b32 v3, v3, v7, s1
	v_perm_b32 v6, v11, v15, s1
	v_add_u32_e32 v2, 0x80, v2
	ds_write2st64_b32 v2, v3, v6 offset0:1 offset1:33
	v_xor_b32_e32 v2, 32, v0
	v_perm_b32 v3, v4, v8, s0
	v_perm_b32 v6, v12, v16, s0
	ds_write2st64_b32 v2, v3, v6 offset0:2 offset1:34
	v_xor_b32_e32 v2, 40, v0
	v_perm_b32 v3, v4, v8, s1
	v_perm_b32 v4, v12, v16, s1
	v_add_u32_e32 v2, 0x80, v2
	ds_write2st64_b32 v2, v3, v4 offset0:2 offset1:34
	v_xor_b32_e32 v2, 48, v0
	v_perm_b32 v3, v5, v9, s0
	v_perm_b32 v4, v13, v17, s0
	v_xor_b32_e32 v0, 56, v0
	v_and_or_b32 v8, v37, 12, v1
	ds_write2st64_b32 v2, v3, v4 offset0:3 offset1:35
	v_perm_b32 v2, v5, v9, s1
	v_perm_b32 v3, v13, v17, s1
	v_add_u32_e32 v0, 0x80, v0
	v_cmp_gt_i32_e64 s[2:3], s27, v8
	v_mov_b32_e32 v10, 0
	v_mov_b32_e32 v15, 0
	ds_write2st64_b32 v0, v2, v3 offset0:3 offset1:35
	s_and_saveexec_b64 s[0:1], s[2:3]
	s_cbranch_execz .LBB651_60
; %bb.59:
	v_add_u32_e32 v0, s26, v8
	v_ashrrev_i32_e32 v1, 31, v0
	v_mul_lo_u32 v2, v1, s30
	v_mul_lo_u32 v3, v0, s31
	v_mad_u64_u32 v[0:1], s[4:5], v0, s30, 0
	v_add3_u32 v1, v1, v3, v2
	v_lshl_add_u64 v[0:1], v[0:1], 2, s[10:11]
	global_load_dword v0, v[0:1], off
	s_waitcnt vmcnt(0)
	v_sub_f32_e32 v0, s12, v0
	v_exp_f32_e32 v15, v0
.LBB651_60:
	s_or_b64 exec, exec, s[0:1]
	v_or_b32_e32 v13, 1, v8
	v_cmp_gt_i32_e64 s[4:5], s27, v13
	s_and_saveexec_b64 s[0:1], s[4:5]
	s_cbranch_execz .LBB651_62
; %bb.61:
	v_add_u32_e32 v0, s26, v13
	v_ashrrev_i32_e32 v1, 31, v0
	v_mul_lo_u32 v2, v1, s30
	v_mul_lo_u32 v3, v0, s31
	v_mad_u64_u32 v[0:1], s[6:7], v0, s30, 0
	v_add3_u32 v1, v1, v3, v2
	v_lshl_add_u64 v[0:1], v[0:1], 2, s[10:11]
	global_load_dword v0, v[0:1], off
	s_waitcnt vmcnt(0)
	v_sub_f32_e32 v0, s12, v0
	v_exp_f32_e32 v10, v0
.LBB651_62:
	s_or_b64 exec, exec, s[0:1]
	v_or_b32_e32 v11, 2, v8
	v_cmp_gt_i32_e32 vcc, s27, v11
	v_mov_b32_e32 v9, 0
	v_mov_b32_e32 v14, 0
	s_and_saveexec_b64 s[0:1], vcc
	s_cbranch_execz .LBB651_64
; %bb.63:
	v_add_u32_e32 v0, s26, v11
	v_ashrrev_i32_e32 v1, 31, v0
	v_mul_lo_u32 v2, v1, s30
	v_mul_lo_u32 v3, v0, s31
	v_mad_u64_u32 v[0:1], s[6:7], v0, s30, 0
	v_add3_u32 v1, v1, v3, v2
	v_lshl_add_u64 v[0:1], v[0:1], 2, s[10:11]
	global_load_dword v0, v[0:1], off
	s_waitcnt vmcnt(0)
	v_sub_f32_e32 v0, s12, v0
	v_exp_f32_e32 v14, v0
.LBB651_64:
	s_or_b64 exec, exec, s[0:1]
	v_or_b32_e32 v12, 3, v8
	v_cmp_gt_i32_e64 s[0:1], s27, v12
	s_and_saveexec_b64 s[6:7], s[0:1]
	s_cbranch_execz .LBB651_66
; %bb.65:
	v_add_u32_e32 v0, s26, v12
	v_ashrrev_i32_e32 v1, 31, v0
	v_mul_lo_u32 v2, v1, s30
	v_mul_lo_u32 v3, v0, s31
	v_mad_u64_u32 v[0:1], s[14:15], v0, s30, 0
	v_add3_u32 v1, v1, v3, v2
	v_lshl_add_u64 v[0:1], v[0:1], 2, s[10:11]
	global_load_dword v0, v[0:1], off
	s_waitcnt vmcnt(0)
	v_sub_f32_e32 v0, s12, v0
	v_exp_f32_e32 v9, v0
.LBB651_66:
	s_or_b64 exec, exec, s[6:7]
	s_waitcnt lgkmcnt(11)
	v_mfma_f32_16x16x16_bf16 a[0:3], v[32:33], v[22:23], a[0:3]
	s_add_u32 s6, s8, s20
	v_ashrrev_i32_e32 v55, 31, v54
	s_addc_u32 s7, s9, s21
	s_waitcnt lgkmcnt(10)
	v_mfma_f32_16x16x16_bf16 a[0:3], v[30:31], v[24:25], a[0:3]
	v_lshlrev_b64 v[0:1], 1, v[54:55]
	v_lshl_add_u64 v[4:5], s[6:7], 0, v[0:1]
	s_add_u32 s6, s28, s20
	s_waitcnt lgkmcnt(9)
	v_mfma_f32_16x16x16_bf16 a[0:3], v[28:29], v[18:19], a[0:3]
	s_addc_u32 s7, s29, s21
	v_lshl_add_u64 v[6:7], s[6:7], 0, v[0:1]
	v_mov_b32_e32 v16, 0
	s_waitcnt lgkmcnt(8)
	v_mfma_f32_16x16x16_bf16 a[0:3], v[26:27], v[20:21], a[0:3]
	v_mov_b32_e32 v17, 0
	s_nop 5
	v_accvgpr_read_b32 v0, a0
	v_accvgpr_read_b32 v1, a1
	;; [unrolled: 1-line block ×4, first 2 shown]
	s_and_saveexec_b64 s[6:7], s[2:3]
	s_cbranch_execz .LBB651_68
; %bb.67:
	v_lshlrev_b32_e32 v18, 8, v8
	v_mov_b32_e32 v19, 0
	v_lshl_add_u64 v[20:21], v[4:5], 0, v[18:19]
	global_load_ushort v17, v[20:21], off
	v_lshl_add_u64 v[18:19], v[6:7], 0, v[18:19]
	s_waitcnt vmcnt(0)
	v_lshlrev_b32_e32 v17, 16, v17
	v_sub_f32_e32 v0, v17, v0
	global_store_short_d16_hi v[18:19], v0, off
	v_mul_f32_e32 v0, v15, v0
	v_lshrrev_b32_e32 v17, 16, v0
.LBB651_68:
	s_or_b64 exec, exec, s[6:7]
	s_and_saveexec_b64 s[2:3], s[4:5]
	s_cbranch_execz .LBB651_70
; %bb.69:
	v_lshlrev_b32_e32 v18, 8, v13
	v_mov_b32_e32 v19, 0
	v_lshl_add_u64 v[20:21], v[4:5], 0, v[18:19]
	global_load_ushort v0, v[20:21], off
	v_lshl_add_u64 v[18:19], v[6:7], 0, v[18:19]
	s_waitcnt vmcnt(0)
	v_lshlrev_b32_e32 v0, 16, v0
	v_sub_f32_e32 v0, v0, v1
	global_store_short_d16_hi v[18:19], v0, off
	v_mul_f32_e32 v0, v10, v0
	v_lshrrev_b32_e32 v16, 16, v0
.LBB651_70:
	s_or_b64 exec, exec, s[2:3]
	v_mov_b32_e32 v0, 0
	v_mov_b32_e32 v1, 0
	s_and_saveexec_b64 s[2:3], vcc
	s_cbranch_execz .LBB651_72
; %bb.71:
	v_lshlrev_b32_e32 v10, 8, v11
	v_mov_b32_e32 v11, 0
	v_lshl_add_u64 v[18:19], v[4:5], 0, v[10:11]
	global_load_ushort v1, v[18:19], off
	v_lshl_add_u64 v[10:11], v[6:7], 0, v[10:11]
	s_waitcnt vmcnt(0)
	v_lshlrev_b32_e32 v1, 16, v1
	v_sub_f32_e32 v1, v1, v2
	global_store_short_d16_hi v[10:11], v1, off
	v_mul_f32_e32 v1, v14, v1
	v_lshrrev_b32_e32 v1, 16, v1
.LBB651_72:
	s_or_b64 exec, exec, s[2:3]
	s_and_saveexec_b64 s[2:3], s[0:1]
	s_cbranch_execz .LBB651_74
; %bb.73:
	v_lshlrev_b32_e32 v10, 8, v12
	v_mov_b32_e32 v11, 0
	v_lshl_add_u64 v[4:5], v[4:5], 0, v[10:11]
	global_load_ushort v0, v[4:5], off
	v_lshl_add_u64 v[4:5], v[6:7], 0, v[10:11]
	s_waitcnt vmcnt(0)
	v_lshlrev_b32_e32 v0, 16, v0
	v_sub_f32_e32 v0, v0, v3
	global_store_short_d16_hi v[4:5], v0, off
	v_mul_f32_e32 v0, v9, v0
	v_lshrrev_b32_e32 v0, 16, v0
.LBB651_74:
	s_or_b64 exec, exec, s[2:3]
	s_mov_b32 s0, 0x5040100
	v_lshlrev_b32_e32 v2, 1, v34
	v_perm_b32 v1, v0, v1, s0
	v_perm_b32 v0, v16, v17, s0
	v_lshl_or_b32 v2, v8, 5, v2
	ds_write_b64 v2, v[0:1] offset:38912
	s_waitcnt lgkmcnt(0)
	s_barrier
.LBB651_75:
	s_endpgm
	.section	.rodata,"a",@progbits
	.p2align	6, 0x0
	.amdhsa_kernel _ZN12_GLOBAL__N_139chunk_gated_delta_rule_fwd_h_hip_kernelILi16ELb1ELb0ELb1ELb0ELb1ELb1ELb1ELb0EEEvPK12hip_bfloat16S3_S3_PKfS5_PKvPS1_S8_PvPKiSB_iiiiilll
		.amdhsa_group_segment_fixed_size 40960
		.amdhsa_private_segment_fixed_size 0
		.amdhsa_kernarg_size 136
		.amdhsa_user_sgpr_count 2
		.amdhsa_user_sgpr_dispatch_ptr 0
		.amdhsa_user_sgpr_queue_ptr 0
		.amdhsa_user_sgpr_kernarg_segment_ptr 1
		.amdhsa_user_sgpr_dispatch_id 0
		.amdhsa_user_sgpr_kernarg_preload_length 0
		.amdhsa_user_sgpr_kernarg_preload_offset 0
		.amdhsa_user_sgpr_private_segment_size 0
		.amdhsa_uses_dynamic_stack 0
		.amdhsa_enable_private_segment 0
		.amdhsa_system_sgpr_workgroup_id_x 1
		.amdhsa_system_sgpr_workgroup_id_y 1
		.amdhsa_system_sgpr_workgroup_id_z 0
		.amdhsa_system_sgpr_workgroup_info 0
		.amdhsa_system_vgpr_workitem_id 0
		.amdhsa_next_free_vgpr 128
		.amdhsa_next_free_sgpr 72
		.amdhsa_accum_offset 116
		.amdhsa_reserve_vcc 1
		.amdhsa_float_round_mode_32 0
		.amdhsa_float_round_mode_16_64 0
		.amdhsa_float_denorm_mode_32 3
		.amdhsa_float_denorm_mode_16_64 3
		.amdhsa_dx10_clamp 1
		.amdhsa_ieee_mode 1
		.amdhsa_fp16_overflow 0
		.amdhsa_tg_split 0
		.amdhsa_exception_fp_ieee_invalid_op 0
		.amdhsa_exception_fp_denorm_src 0
		.amdhsa_exception_fp_ieee_div_zero 0
		.amdhsa_exception_fp_ieee_overflow 0
		.amdhsa_exception_fp_ieee_underflow 0
		.amdhsa_exception_fp_ieee_inexact 0
		.amdhsa_exception_int_div_zero 0
	.end_amdhsa_kernel
	.section	.text._ZN12_GLOBAL__N_139chunk_gated_delta_rule_fwd_h_hip_kernelILi16ELb1ELb0ELb1ELb0ELb1ELb1ELb1ELb0EEEvPK12hip_bfloat16S3_S3_PKfS5_PKvPS1_S8_PvPKiSB_iiiiilll,"axG",@progbits,_ZN12_GLOBAL__N_139chunk_gated_delta_rule_fwd_h_hip_kernelILi16ELb1ELb0ELb1ELb0ELb1ELb1ELb1ELb0EEEvPK12hip_bfloat16S3_S3_PKfS5_PKvPS1_S8_PvPKiSB_iiiiilll,comdat
.Lfunc_end651:
	.size	_ZN12_GLOBAL__N_139chunk_gated_delta_rule_fwd_h_hip_kernelILi16ELb1ELb0ELb1ELb0ELb1ELb1ELb1ELb0EEEvPK12hip_bfloat16S3_S3_PKfS5_PKvPS1_S8_PvPKiSB_iiiiilll, .Lfunc_end651-_ZN12_GLOBAL__N_139chunk_gated_delta_rule_fwd_h_hip_kernelILi16ELb1ELb0ELb1ELb0ELb1ELb1ELb1ELb0EEEvPK12hip_bfloat16S3_S3_PKfS5_PKvPS1_S8_PvPKiSB_iiiiilll
                                        ; -- End function
	.section	.AMDGPU.csdata,"",@progbits
; Kernel info:
; codeLenInByte = 7428
; NumSgprs: 78
; NumVgprs: 114
; NumAgprs: 12
; TotalNumVgprs: 128
; ScratchSize: 0
; MemoryBound: 0
; FloatMode: 240
; IeeeMode: 1
; LDSByteSize: 40960 bytes/workgroup (compile time only)
; SGPRBlocks: 9
; VGPRBlocks: 15
; NumSGPRsForWavesPerEU: 78
; NumVGPRsForWavesPerEU: 128
; AccumOffset: 116
; Occupancy: 1
; WaveLimiterHint : 1
; COMPUTE_PGM_RSRC2:SCRATCH_EN: 0
; COMPUTE_PGM_RSRC2:USER_SGPR: 2
; COMPUTE_PGM_RSRC2:TRAP_HANDLER: 0
; COMPUTE_PGM_RSRC2:TGID_X_EN: 1
; COMPUTE_PGM_RSRC2:TGID_Y_EN: 1
; COMPUTE_PGM_RSRC2:TGID_Z_EN: 0
; COMPUTE_PGM_RSRC2:TIDIG_COMP_CNT: 0
; COMPUTE_PGM_RSRC3_GFX90A:ACCUM_OFFSET: 28
; COMPUTE_PGM_RSRC3_GFX90A:TG_SPLIT: 0
	.section	.text._ZN12_GLOBAL__N_139chunk_gated_delta_rule_fwd_h_hip_kernelILi16ELb1ELb0ELb0ELb0ELb1ELb1ELb1ELb0EEEvPK12hip_bfloat16S3_S3_PKfS5_PKvPS1_S8_PvPKiSB_iiiiilll,"axG",@progbits,_ZN12_GLOBAL__N_139chunk_gated_delta_rule_fwd_h_hip_kernelILi16ELb1ELb0ELb0ELb0ELb1ELb1ELb1ELb0EEEvPK12hip_bfloat16S3_S3_PKfS5_PKvPS1_S8_PvPKiSB_iiiiilll,comdat
	.globl	_ZN12_GLOBAL__N_139chunk_gated_delta_rule_fwd_h_hip_kernelILi16ELb1ELb0ELb0ELb0ELb1ELb1ELb1ELb0EEEvPK12hip_bfloat16S3_S3_PKfS5_PKvPS1_S8_PvPKiSB_iiiiilll ; -- Begin function _ZN12_GLOBAL__N_139chunk_gated_delta_rule_fwd_h_hip_kernelILi16ELb1ELb0ELb0ELb0ELb1ELb1ELb1ELb0EEEvPK12hip_bfloat16S3_S3_PKfS5_PKvPS1_S8_PvPKiSB_iiiiilll
	.p2align	8
	.type	_ZN12_GLOBAL__N_139chunk_gated_delta_rule_fwd_h_hip_kernelILi16ELb1ELb0ELb0ELb0ELb1ELb1ELb1ELb0EEEvPK12hip_bfloat16S3_S3_PKfS5_PKvPS1_S8_PvPKiSB_iiiiilll,@function
_ZN12_GLOBAL__N_139chunk_gated_delta_rule_fwd_h_hip_kernelILi16ELb1ELb0ELb0ELb0ELb1ELb1ELb1ELb0EEEvPK12hip_bfloat16S3_S3_PKfS5_PKvPS1_S8_PvPKiSB_iiiiilll: ; @_ZN12_GLOBAL__N_139chunk_gated_delta_rule_fwd_h_hip_kernelILi16ELb1ELb0ELb0ELb0ELb1ELb1ELb1ELb0EEEvPK12hip_bfloat16S3_S3_PKfS5_PKvPS1_S8_PvPKiSB_iiiiilll
; %bb.0:
	s_load_dwordx4 s[12:15], s[0:1], 0x5c
	s_load_dwordx4 s[16:19], s[0:1], 0x28
	s_abs_i32 s6, s3
	s_ashr_i32 s5, s3, 31
	v_and_b32_e32 v62, 15, v0
	s_waitcnt lgkmcnt(0)
	s_abs_i32 s4, s13
	v_cvt_f32_u32_e32 v1, s4
	s_sub_i32 s8, 0, s4
	s_ashr_i32 s7, s13, 31
	s_xor_b32 s5, s5, s7
	v_rcp_iflag_f32_e32 v1, v1
	v_lshrrev_b32_e32 v60, 6, v0
	v_bfe_u32 v61, v0, 4, 2
	v_mov_b32_e32 v5, 0
	v_mul_f32_e32 v1, 0x4f7ffffe, v1
	v_cvt_u32_f32_e32 v1, v1
	v_and_b32_e32 v53, 63, v0
	v_lshrrev_b32_e32 v64, 3, v53
	v_lshlrev_b32_e32 v63, 3, v0
	v_readfirstlane_b32 s9, v1
	s_mul_i32 s8, s8, s9
	s_mul_hi_u32 s8, s9, s8
	s_add_i32 s9, s9, s8
	s_mul_hi_u32 s8, s6, s9
	s_mul_i32 s9, s8, s4
	s_sub_i32 s6, s6, s9
	s_add_i32 s10, s8, 1
	s_sub_i32 s9, s6, s4
	s_cmp_ge_u32 s6, s4
	s_cselect_b32 s8, s10, s8
	s_cselect_b32 s6, s9, s6
	s_add_i32 s9, s8, 1
	s_cmp_ge_u32 s6, s4
	s_cselect_b32 s6, s9, s8
	s_xor_b32 s6, s6, s5
	s_sub_i32 s50, s6, s5
	s_mul_i32 s6, s50, s13
	s_sub_i32 s48, s3, s6
	s_abs_i32 s3, s14
	v_cvt_f32_u32_e32 v1, s3
	s_add_i32 s8, s12, 63
	s_ashr_i32 s9, s8, 31
	s_lshr_b32 s5, s9, 26
	v_rcp_iflag_f32_e32 v1, v1
	s_ashr_i32 s49, s12, 31
	s_add_i32 s8, s8, s5
	s_lshr_b32 s5, s49, 26
	v_mul_f32_e32 v1, 0x4f7ffffe, v1
	v_cvt_u32_f32_e32 v1, v1
	s_add_i32 s5, s12, s5
	s_ashr_i32 s53, s14, 31
	s_ashr_i32 s51, s5, 6
	s_lshl_b32 s36, s2, 4
	s_xor_b32 s2, s7, s53
	s_sub_i32 s5, 0, s3
	v_readfirstlane_b32 s7, v1
	s_mul_i32 s5, s5, s7
	s_mul_hi_u32 s5, s7, s5
	s_add_i32 s7, s7, s5
	s_mul_hi_u32 s5, s4, s7
	s_mul_i32 s7, s5, s3
	s_sub_i32 s4, s4, s7
	s_ashr_i32 s25, s8, 6
	s_add_i32 s7, s5, 1
	s_sub_i32 s8, s4, s3
	s_cmp_ge_u32 s4, s3
	s_cselect_b32 s5, s7, s5
	s_cselect_b32 s4, s8, s4
	s_add_i32 s7, s5, 1
	s_cmp_ge_u32 s4, s3
	s_cselect_b32 s3, s7, s5
	s_xor_b32 s3, s3, s2
	s_sub_i32 s2, s3, s2
	s_abs_i32 s3, s2
	v_cvt_f32_u32_e32 v1, s3
	s_sub_i32 s5, 0, s3
	s_abs_i32 s4, s48
	s_xor_b32 s2, s48, s2
	v_rcp_iflag_f32_e32 v1, v1
	s_ashr_i32 s2, s2, 31
	v_or_b32_e32 v54, s36, v62
	v_lshlrev_b32_e32 v2, 7, v54
	v_mul_f32_e32 v1, 0x4f7ffffe, v1
	v_cvt_u32_f32_e32 v1, v1
	v_ashrrev_i32_e32 v3, 31, v2
	s_mul_i32 s55, s50, s25
	v_readfirstlane_b32 s7, v1
	s_mul_i32 s5, s5, s7
	s_mul_hi_u32 s5, s7, s5
	s_add_i32 s7, s7, s5
	s_mul_hi_u32 s5, s4, s7
	s_mul_i32 s7, s5, s3
	s_sub_i32 s4, s4, s7
	s_add_i32 s7, s5, 1
	s_sub_i32 s8, s4, s3
	s_cmp_ge_u32 s4, s3
	s_cselect_b32 s5, s7, s5
	s_cselect_b32 s4, s8, s4
	s_add_i32 s7, s5, 1
	s_cmp_ge_u32 s4, s3
	s_cselect_b32 s3, s7, s5
	s_xor_b32 s3, s3, s2
	s_sub_i32 s54, s3, s2
	s_ashr_i32 s24, s50, 31
	s_ashr_i32 s52, s48, 31
	s_mul_hi_i32 s2, s50, s13
	s_add_u32 s38, s6, s48
	s_addc_u32 s39, s2, s52
	s_lshl_b64 s[2:3], s[38:39], 16
	v_lshlrev_b32_e32 v1, 4, v60
	s_add_u32 s2, s16, s2
	v_lshl_or_b32 v65, v61, 2, v1
	s_addc_u32 s3, s17, s3
	v_lshl_add_u64 v[2:3], v[2:3], 2, s[2:3]
	v_lshlrev_b32_e32 v4, 2, v65
	v_lshl_add_u64 v[10:11], v[2:3], 0, v[4:5]
	global_load_dwordx4 v[6:9], v[10:11], off
	global_load_dwordx4 v[2:5], v[10:11], off offset:256
	s_load_dwordx8 s[4:11], s[0:1], 0x0
	s_load_dwordx2 s[28:29], s[0:1], 0x80
	s_load_dwordx4 s[20:23], s[0:1], 0x70
	v_or_b32_e32 v66, 64, v65
	s_cmp_lt_i32 s12, 64
	s_mul_i32 s56, s39, s12
	s_mul_hi_u32 s57, s38, s12
	s_mul_i32 s16, s38, s12
	s_waitcnt lgkmcnt(0)
	s_mul_i32 s33, s50, s21
	s_mul_hi_u32 s44, s50, s20
	s_mul_i32 s45, s24, s20
	s_mul_i32 s34, s50, s20
	;; [unrolled: 1-line block ×3, first 2 shown]
	s_mul_hi_u32 s46, s48, s22
	s_mul_i32 s47, s52, s22
	s_mul_i32 s30, s48, s22
	s_cbranch_scc1 .LBB652_18
; %bb.1:
	s_add_i32 s17, s57, s56
	s_lshl_b64 s[2:3], s[16:17], 8
	v_and_b32_e32 v68, 56, v63
	s_add_u32 s20, s6, s2
	v_lshl_or_b32 v67, v60, 3, v64
	v_lshlrev_b32_e32 v10, 1, v68
	s_addc_u32 s2, s7, s3
	v_lshl_or_b32 v69, v67, 8, v10
	s_and_b32 s21, s2, 0xffff
	s_mov_b32 s23, 0x20000
	s_movk_i32 s22, 0x4000
	s_movk_i32 s2, 0x80
	v_or_b32_e32 v70, 0x2000, v69
	buffer_load_dwordx4 v[12:15], v69, s[20:23], 0 offen
	buffer_load_dwordx4 v[16:19], v69, s[20:23], s2 offen
	;; [unrolled: 1-line block ×4, first 2 shown]
	v_lshlrev_b32_e32 v11, 3, v67
	v_and_or_b32 v29, v0, 7, v11
	v_and_b32_e32 v11, 0x78, v11
	v_lshlrev_b32_e32 v29, 4, v29
	v_xor_b32_e32 v71, v29, v11
	v_mul_lo_u32 v28, v67, s15
	v_or_b32_e32 v72, 0x1000, v71
	v_xor_b32_e32 v11, 8, v71
	s_cmpk_eq_i32 s15, 0x80
	s_mov_b32 s58, s14
	v_xor_b32_e32 v29, 8, v72
	s_cselect_b64 s[2:3], -1, 0
	s_cmpk_lg_i32 s15, 0x80
	s_waitcnt vmcnt(3)
	ds_write_b64 v71, v[12:13] offset:16384
	ds_write_b64 v11, v[14:15] offset:16384
	s_waitcnt vmcnt(2)
	ds_write_b64 v71, v[16:17] offset:24576
	ds_write_b64 v11, v[18:19] offset:24576
	s_waitcnt vmcnt(1)
	ds_write_b64 v71, v[20:21] offset:20480
	ds_write_b64 v29, v[22:23] offset:16384
	s_waitcnt vmcnt(0)
	ds_write_b64 v71, v[24:25] offset:28672
	ds_write_b64 v29, v[26:27] offset:24576
	v_lshl_add_u32 v11, v28, 1, v68
	s_cbranch_scc0 .LBB652_3
; %bb.2:
	v_lshlrev_b32_e32 v13, 1, v11
	v_add_lshl_u32 v12, v11, s15, 1
	s_lshl_b32 s22, s15, 7
	s_load_dwordx2 s[40:41], s[0:1], 0x20
	v_lshl_or_b32 v10, v67, 9, v10
	s_cbranch_execz .LBB652_4
	s_branch .LBB652_5
.LBB652_3:
                                        ; implicit-def: $vgpr12
                                        ; implicit-def: $vgpr13
                                        ; implicit-def: $sgpr22
	s_load_dwordx2 s[40:41], s[0:1], 0x20
	v_lshl_or_b32 v10, v67, 9, v10
.LBB652_4:
	v_or_b32_e32 v12, 0x100, v10
	s_movk_i32 s22, 0x4000
	v_mov_b32_e32 v13, v10
.LBB652_5:
	s_mul_hi_u32 s0, s14, s12
	s_mul_i32 s1, s53, s12
	s_add_i32 s0, s0, s1
	s_mul_i32 s1, s14, s12
	s_mul_i32 s20, s1, s24
	s_mul_hi_u32 s21, s1, s50
	s_add_i32 s20, s21, s20
	s_mul_i32 s0, s0, s50
	s_add_i32 s20, s20, s0
	s_mul_i32 s1, s1, s50
	s_ashr_i32 s59, s54, 31
	s_add_u32 s0, s1, s54
	s_addc_u32 s1, s20, s59
	s_lshl_b64 s[0:1], s[0:1], 8
	s_add_u32 s20, s4, s0
	s_addc_u32 s0, s5, s1
	s_and_b32 s21, s0, 0xffff
	s_movk_i32 s60, 0x80
	buffer_load_dwordx4 v[14:17], v13, s[20:23], 0 offen
	buffer_load_dwordx4 v[18:21], v13, s[20:23], s60 offen
	;; [unrolled: 1-line block ×4, first 2 shown]
	v_and_b32_e32 v12, 6, v0
	v_lshlrev_b32_e32 v30, 2, v62
	v_lshlrev_b32_e32 v31, 3, v62
	v_xor_b32_e32 v33, v67, v12
	v_and_b32_e32 v13, 1, v0
	s_mul_i32 s24, s24, s12
	s_mul_hi_u32 s0, s50, s12
	v_lshl_or_b32 v31, v65, 5, v31
	v_xor_b32_e32 v34, v65, v30
	v_lshlrev_b32_e32 v33, 2, v33
	v_or_b32_e32 v73, 0x9000, v31
	v_or_b32_e32 v74, 0x9800, v31
	v_lshlrev_b32_e32 v31, 1, v34
	v_xor_b32_e32 v34, 0x440, v33
	v_cmp_eq_u32_e32 vcc, 0, v13
	s_add_i32 s65, s0, s24
	s_add_i32 s0, s44, s33
	v_cndmask_b32_e32 v13, v34, v33, vcc
	s_add_i32 s1, s46, s39
	s_add_i32 s35, s0, s45
	s_mov_b32 s63, 0x1000504
	v_lshlrev_b32_e32 v32, 8, v62
	s_mov_b32 s20, 0x8000
	v_xor_b32_e32 v30, v66, v30
	v_lshl_or_b32 v12, v12, 10, v13
	s_add_i32 s31, s1, s47
	s_lshl_b64 s[0:1], s[34:35], 2
	s_mov_b32 s64, 0x3020706
	v_lshlrev_b32_e32 v30, 1, v30
	v_or3_b32 v75, v31, v32, s20
	v_xor_b32_e32 v13, 8, v12
	v_xor_b32_e32 v31, 24, v12
	;; [unrolled: 1-line block ×4, first 2 shown]
	s_add_u32 s21, s10, s0
	v_or3_b32 v76, v30, v32, s20
	v_xor_b32_e32 v30, 16, v12
	v_xor_b32_e32 v32, 32, v12
	;; [unrolled: 1-line block ×3, first 2 shown]
	v_add_u32_e32 v13, 0x80, v13
	v_add_u32_e32 v31, 0x80, v31
	;; [unrolled: 1-line block ×4, first 2 shown]
	s_addc_u32 s22, s11, s1
	s_lshl_b64 s[0:1], s[30:31], 2
	s_add_u32 s42, s21, s0
	s_movk_i32 s0, 0xf8
	s_addc_u32 s43, s22, s1
	s_ashr_i32 s37, s36, 31
	v_ashrrev_i32_e32 v55, 31, v54
	s_lshl_b32 s26, s15, 7
	s_mul_i32 s61, s50, s12
	s_mov_b32 s62, 0
	s_mov_b32 s35, 0x7060302
	s_movk_i32 s22, 0x4000
	s_mov_b32 s66, 0
	s_waitcnt vmcnt(1)
	v_perm_b32 v36, v14, v22, s63
	s_waitcnt vmcnt(0)
	v_perm_b32 v37, v18, v26, s63
	v_perm_b32 v14, v14, v22, s64
	;; [unrolled: 1-line block ×15, first 2 shown]
	ds_write2st64_b32 v12, v36, v37 offset1:32
	ds_write2st64_b32 v13, v14, v18 offset1:32
	ds_write2st64_b32 v30, v22, v26 offset0:1 offset1:33
	ds_write2st64_b32 v31, v15, v19 offset0:1 offset1:33
	;; [unrolled: 1-line block ×6, first 2 shown]
	v_or_b32_e32 v12, v1, v62
	v_lshlrev_b32_e32 v12, 3, v12
	v_lshrrev_b32_e32 v14, 5, v53
	v_and_or_b32 v14, v12, s0, v14
	v_lshlrev_b32_e32 v14, 4, v14
	v_lshrrev_b32_e32 v13, 2, v53
	v_lshlrev_b32_e32 v19, 11, v60
	v_and_b32_e32 v12, 0x78, v12
	v_or_b32_e32 v17, 32, v14
	v_and_b32_e32 v18, 12, v13
	v_and_b32_e32 v13, 0x1000, v19
	v_xor_b32_e32 v15, v14, v12
	v_lshrrev_b32_e32 v16, 1, v53
	v_xor_b32_e32 v17, v17, v12
	v_or_b32_e32 v15, v15, v13
	v_and_b32_e32 v16, 8, v16
	v_or_b32_e32 v17, v17, v13
	v_xor_b32_e32 v77, v15, v16
	v_and_b32_e32 v15, 0x78, v63
	v_xor_b32_e32 v79, v17, v16
	v_or_b32_e32 v17, 64, v14
	v_or_b32_e32 v14, 0x60, v14
	v_lshl_or_b32 v15, v61, 7, v15
	v_xor_b32_e32 v17, v17, v12
	v_xor_b32_e32 v12, v14, v12
	v_or_b32_e32 v78, 0x9000, v15
	v_or_b32_e32 v17, v17, v13
	;; [unrolled: 1-line block ×4, first 2 shown]
	v_lshrrev_b32_e32 v14, 4, v0
	v_lshlrev_b32_e32 v15, 1, v62
	v_xor_b32_e32 v80, v17, v16
	v_xor_b32_e32 v81, v12, v16
	v_or_b32_e32 v16, 1, v15
	v_xor_b32_e32 v15, v14, v15
	s_lshl_b64 s[0:1], s[36:37], 8
	v_xor_b32_e32 v16, v16, v14
	v_lshlrev_b32_e32 v15, 3, v15
	v_lshlrev_b32_e32 v14, 8, v14
	v_lshl_add_u64 v[12:13], v[54:55], 1, s[8:9]
	s_add_u32 s0, s18, s0
	v_or3_b32 v55, v15, v14, s20
	v_lshlrev_b32_e32 v15, 3, v16
	s_addc_u32 s1, s19, s1
	v_or3_b32 v83, v15, v14, s20
	v_mov_b32_e32 v15, 0
	v_lshrrev_b32_e32 v25, 1, v0
	v_lshl_add_u64 v[16:17], s[0:1], 0, v[14:15]
	v_lshlrev_b32_e32 v14, 4, v62
	s_movk_i32 s0, 0xff
	v_lshlrev_b32_e32 v24, 3, v60
	v_and_b32_e32 v25, 24, v25
	v_lshl_add_u64 v[56:57], v[16:17], 0, v[14:15]
	v_and_b32_e32 v14, 7, v0
	v_and_b32_e32 v17, 8, v0
	v_cmp_lt_u32_e32 vcc, s0, v0
	v_xor_b32_e32 v26, v24, v25
	v_lshlrev_b32_e32 v22, 3, v14
	v_lshlrev_b32_e32 v23, 7, v14
	v_cndmask_b32_e64 v14, 0, 1, vcc
	v_or_b32_e32 v27, 0x440, v26
	v_cmp_eq_u32_e32 vcc, 0, v17
	v_or_b32_e32 v29, 64, v25
	v_xor_b32_e32 v29, v24, v29
	v_cndmask_b32_e32 v17, v27, v26, vcc
	v_or_b32_e32 v27, 32, v25
	v_or_b32_e32 v25, 0x60, v25
	v_xor_b32_e32 v27, v24, v27
	v_xor_b32_e32 v24, v24, v25
	v_or_b32_e32 v28, 0x440, v27
	v_xor_b32_e32 v30, 0x440, v29
	v_xor_b32_e32 v25, 0x440, v24
	v_cndmask_b32_e32 v27, v28, v27, vcc
	v_cndmask_b32_e32 v29, v30, v29, vcc
	;; [unrolled: 1-line block ×3, first 2 shown]
	v_or_b32_e32 v17, v17, v19
	v_or_b32_e32 v27, v27, v19
	;; [unrolled: 1-line block ×4, first 2 shown]
	v_lshlrev_b32_e32 v14, 13, v14
	v_xor_b32_e32 v17, v17, v22
	v_xor_b32_e32 v27, v27, v22
	v_xor_b32_e32 v29, v29, v22
	v_xor_b32_e32 v19, v19, v22
	v_lshlrev_b32_e32 v20, 1, v11
	v_add_lshl_u32 v11, v11, s15, 1
	v_or_b32_e32 v21, 0x100, v10
	v_or_b32_e32 v16, v18, v1
	v_add_u32_e32 v26, v14, v17
	v_add_u32_e32 v28, v14, v27
	;; [unrolled: 1-line block ×4, first 2 shown]
	v_or3_b32 v18, v1, v18, 64
	v_add_u32_e32 v17, 0x2000, v17
	v_add_u32_e32 v24, 0x2000, v27
	v_add_u32_e32 v25, 0x2000, v29
	v_add_u32_e32 v19, 0x2000, v19
	v_lshlrev_b32_e32 v14, 8, v65
	v_cndmask_b32_e64 v84, v20, v10, s[2:3]
	v_cndmask_b32_e64 v85, v11, v21, s[2:3]
	v_lshl_add_u64 v[58:59], v[12:13], 0, v[14:15]
	s_add_i32 s31, s61, 63
	v_lshlrev_b32_e32 v86, 2, v16
	v_add_u32_e32 v87, v26, v23
	v_add_u32_e32 v88, v28, v23
	;; [unrolled: 1-line block ×4, first 2 shown]
	v_lshlrev_b32_e32 v91, 2, v18
	v_add_u32_e32 v92, v17, v23
	v_add_u32_e32 v93, v24, v23
	;; [unrolled: 1-line block ×4, first 2 shown]
	s_waitcnt lgkmcnt(0)
	s_barrier
.LBB652_6:                              ; =>This Inner Loop Header: Depth=1
	s_add_i32 s37, s66, 1
	s_cmp_lt_i32 s37, s51
	s_mov_b64 s[24:25], 0
	s_cselect_b64 s[2:3], -1, 0
	s_cmp_ge_i32 s37, s51
	s_mov_b64 s[20:21], 0
	s_cbranch_scc1 .LBB652_8
; %bb.7:                                ;   in Loop: Header=BB652_6 Depth=1
	s_add_i32 s0, s62, 64
	s_add_u32 s0, s16, s0
	s_addc_u32 s1, s17, 0
	s_lshl_b64 s[0:1], s[0:1], 8
	s_add_u32 s20, s6, s0
	s_addc_u32 s21, s7, s1
.LBB652_8:                              ;   in Loop: Header=BB652_6 Depth=1
	v_cndmask_b32_e64 v10, 0, 1, s[2:3]
	v_cmp_ne_u32_e64 s[0:1], 1, v10
	s_andn2_b64 vcc, exec, s[2:3]
	s_cbranch_vccnz .LBB652_10
; %bb.9:                                ;   in Loop: Header=BB652_6 Depth=1
	s_add_i32 s2, s62, 64
	s_add_u32 s2, s61, s2
	s_addc_u32 s3, s65, 0
	s_mul_i32 s24, s2, s53
	s_mul_hi_u32 s25, s2, s58
	s_add_i32 s24, s25, s24
	s_mul_i32 s3, s3, s58
	s_add_i32 s24, s24, s3
	s_mul_i32 s2, s2, s58
	s_add_u32 s2, s2, s54
	s_addc_u32 s3, s24, s59
	s_lshl_b64 s[2:3], s[2:3], 8
	s_add_u32 s24, s4, s2
	s_addc_u32 s25, s5, s3
.LBB652_10:                             ;   in Loop: Header=BB652_6 Depth=1
	v_perm_b32 v11, v9, v8, s35
	v_perm_b32 v10, v7, v6, s35
	v_perm_b32 v13, v5, v4, s35
	v_perm_b32 v12, v3, v2, s35
	ds_write_b64 v73, v[10:11]
	ds_write_b64 v74, v[12:13]
	;; [unrolled: 1-line block ×4, first 2 shown]
	s_waitcnt lgkmcnt(0)
	s_barrier
	ds_read_b64 v[18:19], v77 offset:16384
	ds_read_b64 v[20:21], v79 offset:16384
	ds_read2st64_b64 v[10:13], v78 offset1:1
	ds_read2st64_b64 v[14:17], v78 offset0:2 offset1:3
	ds_read_b64 v[22:23], v80 offset:16384
	s_waitcnt lgkmcnt(2)
	v_mfma_f32_16x16x16_bf16 a[0:3], v[18:19], v[10:11], 0
	ds_read_b64 v[10:11], v81 offset:16384
	s_add_i32 s2, s62, 63
	s_mul_i32 s3, s2, s29
	v_mfma_f32_16x16x16_bf16 a[0:3], v[20:21], v[12:13], a[0:3]
	s_mul_hi_u32 s27, s2, s28
	s_add_i32 s3, s27, s3
	s_mul_i32 s2, s2, s28
	s_waitcnt lgkmcnt(1)
	v_mfma_f32_16x16x16_bf16 a[0:3], v[22:23], v[14:15], a[0:3]
	s_lshl_b64 s[2:3], s[2:3], 2
	s_add_u32 s2, s42, s2
	s_addc_u32 s3, s43, s3
	s_waitcnt lgkmcnt(0)
	v_mfma_f32_16x16x16_bf16 a[0:3], v[10:11], v[16:17], a[0:3]
	s_and_b64 vcc, exec, s[0:1]
	v_mov_b32_e32 v98, 0
	v_mov_b32_e32 v97, 0
	;; [unrolled: 1-line block ×19, first 2 shown]
	s_cbranch_vccnz .LBB652_12
; %bb.11:                               ;   in Loop: Header=BB652_6 Depth=1
	s_and_b32 s21, s21, 0xffff
	buffer_load_dwordx4 v[22:25], v69, s[20:23], 0 offen
	buffer_load_dwordx4 v[18:21], v69, s[20:23], s60 offen
	;; [unrolled: 1-line block ×4, first 2 shown]
	v_mov_b32_e32 v97, v71
	v_mov_b32_e32 v96, v72
.LBB652_12:                             ;   in Loop: Header=BB652_6 Depth=1
	v_add_u32_e32 v32, s62, v65
	v_ashrrev_i32_e32 v26, 31, v32
	v_mul_lo_u32 v28, v26, s28
	v_mul_lo_u32 v29, v32, s29
	v_mad_u64_u32 v[26:27], s[20:21], v32, s28, 0
	v_add3_u32 v27, v27, v29, v28
	v_add_u32_e32 v28, 1, v32
	v_ashrrev_i32_e32 v29, 31, v28
	v_mul_lo_u32 v30, v29, s28
	v_mul_lo_u32 v31, v28, s29
	v_mad_u64_u32 v[28:29], s[20:21], v28, s28, 0
	v_add3_u32 v29, v29, v31, v30
	v_add_u32_e32 v30, 2, v32
	v_ashrrev_i32_e32 v31, 31, v30
	v_mul_lo_u32 v33, v31, s28
	v_mul_lo_u32 v34, v30, s29
	v_mad_u64_u32 v[30:31], s[20:21], v30, s28, 0
	v_add_u32_e32 v32, 3, v32
	v_add3_u32 v31, v31, v34, v33
	v_ashrrev_i32_e32 v33, 31, v32
	v_mul_lo_u32 v36, v33, s28
	v_mul_lo_u32 v37, v32, s29
	v_mad_u64_u32 v[32:33], s[20:21], v32, s28, 0
	s_add_u32 s20, s16, s62
	s_addc_u32 s21, s17, 0
	s_lshl_b64 s[20:21], s[20:21], 8
	v_lshl_add_u64 v[26:27], v[26:27], 2, s[42:43]
	v_lshl_add_u64 v[34:35], v[58:59], 0, s[20:21]
	;; [unrolled: 1-line block ×3, first 2 shown]
	global_load_ushort v50, v[34:35], off
	global_load_ushort v51, v[34:35], off offset:256
	global_load_ushort v52, v[34:35], off offset:512
	;; [unrolled: 1-line block ×3, first 2 shown]
	v_add3_u32 v33, v33, v37, v36
	global_load_dword v101, v[26:27], off
	v_lshl_add_u64 v[30:31], v[30:31], 2, s[42:43]
	v_lshl_add_u64 v[26:27], v[32:33], 2, s[42:43]
	global_load_dword v102, v[28:29], off
	global_load_dword v103, v[30:31], off
	;; [unrolled: 1-line block ×3, first 2 shown]
	s_load_dword s2, s[2:3], 0x0
	ds_read2st64_b64 v[34:37], v82 offset1:1
	ds_read2st64_b64 v[40:43], v82 offset0:2 offset1:3
	ds_read_b64 v[38:39], v77 offset:24576
	ds_read_b64 v[44:45], v79 offset:24576
	;; [unrolled: 1-line block ×4, first 2 shown]
	s_waitcnt lgkmcnt(0)
	v_mfma_f32_16x16x16_bf16 a[0:3], v[38:39], v[34:35], a[0:3]
	v_mov_b32_e32 v99, 0
	v_mov_b32_e32 v26, 0
	v_mov_b32_e32 v27, 0
	v_mfma_f32_16x16x16_bf16 a[0:3], v[44:45], v[36:37], a[0:3]
	v_mov_b32_e32 v28, 0
	v_mov_b32_e32 v29, 0
	v_mov_b32_e32 v30, 0
	;; [unrolled: 4-line block ×4, first 2 shown]
	v_mov_b32_e32 v37, 0
	v_mov_b32_e32 v38, 0
	;; [unrolled: 1-line block ×4, first 2 shown]
	v_accvgpr_read_b32 v45, a1
	v_accvgpr_read_b32 v43, a3
	v_accvgpr_read_b32 v42, a2
	v_accvgpr_read_b32 v44, a0
	s_and_b64 vcc, exec, s[0:1]
	s_waitcnt vmcnt(7)
	v_lshlrev_b32_e32 v46, 16, v50
	s_waitcnt vmcnt(6)
	v_lshlrev_b32_e32 v47, 16, v51
	s_waitcnt vmcnt(5)
	v_lshlrev_b32_e32 v48, 16, v52
	s_waitcnt vmcnt(4)
	v_lshlrev_b32_e32 v49, 16, v100
	v_pk_add_f32 v[44:45], v[46:47], v[44:45] neg_lo:[0,1] neg_hi:[0,1]
	s_waitcnt vmcnt(3)
	v_sub_f32_e32 v41, s2, v101
	v_exp_f32_e32 v50, v41
	s_waitcnt vmcnt(2)
	v_sub_f32_e32 v41, s2, v102
	s_waitcnt vmcnt(1)
	v_sub_f32_e32 v52, s2, v103
	s_waitcnt vmcnt(0)
	v_sub_f32_e32 v101, s2, v104
	v_exp_f32_e32 v51, v41
	v_exp_f32_e32 v100, v52
	;; [unrolled: 1-line block ×3, first 2 shown]
	v_pk_add_f32 v[42:43], v[48:49], v[42:43] neg_lo:[0,1] neg_hi:[0,1]
	v_pk_mul_f32 v[44:45], v[50:51], v[44:45]
	v_mov_b32_e32 v41, 0
	v_pk_mul_f32 v[42:43], v[100:101], v[42:43]
	s_nop 0
	v_perm_b32 v43, v43, v42, s35
	v_perm_b32 v42, v45, v44, s35
	ds_write_b64 v74, v[42:43]
	s_cbranch_vccnz .LBB652_14
; %bb.13:                               ;   in Loop: Header=BB652_6 Depth=1
	s_and_b32 s25, s25, 0xffff
	s_mov_b32 s27, s23
	buffer_load_dwordx4 v[38:41], v84, s[24:27], 0 offen
	buffer_load_dwordx4 v[30:33], v84, s[24:27], s60 offen
	;; [unrolled: 1-line block ×4, first 2 shown]
	v_mov_b32_e32 v98, v68
	v_mov_b32_e32 v99, v67
.LBB652_14:                             ;   in Loop: Header=BB652_6 Depth=1
	s_waitcnt lgkmcnt(0)
	s_barrier
	ds_read_b64 v[42:43], v87
	ds_read_b64 v[48:49], v88
	ds_read2st64_b64 v[44:47], v82 offset1:1
	ds_read2st64_b64 v[100:103], v82 offset0:2 offset1:3
	ds_read_b64 v[50:51], v89
	ds_read_b64 v[108:109], v90
	s_add_i32 s3, s55, s66
	s_mul_hi_i32 s21, s3, s13
	s_mul_i32 s3, s3, s13
	s_waitcnt lgkmcnt(3)
	v_mfma_f32_16x16x16_bf16 a[0:3], v[42:43], v[44:45], 0
	ds_read_b64 v[42:43], v92
	s_add_u32 s20, s3, s48
	s_addc_u32 s21, s21, s52
	s_add_i32 s3, s31, s62
	v_mfma_f32_16x16x16_bf16 a[0:3], v[48:49], v[46:47], a[0:3]
	ds_read_b64 v[48:49], v93
	s_lshl_b64 s[20:21], s[20:21], 15
	s_mul_hi_i32 s25, s3, s13
	s_mul_i32 s3, s3, s13
	s_add_u32 s24, s3, s48
	s_addc_u32 s25, s25, s52
	s_lshl_b64 s[24:25], s[24:25], 9
	s_add_u32 s24, s40, s24
	s_waitcnt lgkmcnt(1)
	v_mfma_f32_16x16x16_bf16 a[4:7], v[42:43], v[44:45], 0
	s_addc_u32 s25, s41, s25
	s_and_b64 vcc, exec, s[0:1]
	v_mfma_f32_16x16x16_bf16 a[0:3], v[50:51], v[100:101], a[0:3]
	ds_read_b64 v[50:51], v94
	ds_read_b64 v[110:111], v95
	global_load_dwordx4 v[42:45], v91, s[24:25]
	s_waitcnt lgkmcnt(2)
	v_mfma_f32_16x16x16_bf16 a[4:7], v[48:49], v[46:47], a[4:7]
	global_load_dwordx4 v[46:49], v86, s[24:25]
	ds_read_b64 v[104:105], v55
	ds_read_b64 v[106:107], v83
	s_waitcnt lgkmcnt(3)
	v_mfma_f32_16x16x16_bf16 a[8:11], v[50:51], v[100:101], a[4:7]
	v_lshl_add_u64 v[50:51], v[56:57], 0, s[20:21]
	s_waitcnt lgkmcnt(0)
	global_store_dwordx4 v[50:51], v[104:107], off
	v_mfma_f32_16x16x16_bf16 a[4:7], v[108:109], v[102:103], a[0:3]
	s_waitcnt vmcnt(2)
	v_mov_b32_e32 v52, v45
	v_mfma_f32_16x16x16_bf16 a[0:3], v[110:111], v[102:103], a[8:11]
	v_mov_b32_e32 v51, v44
	v_mov_b32_e32 v50, v43
	s_cbranch_vccnz .LBB652_16
; %bb.15:                               ;   in Loop: Header=BB652_6 Depth=1
	v_lshrrev_b32_e32 v43, 3, v98
	v_and_b32_e32 v43, 6, v43
	v_xor_b32_e32 v44, v43, v99
	v_lshlrev_b32_e32 v44, 2, v44
	v_and_b32_e32 v45, 8, v98
	v_xor_b32_e32 v98, 0x440, v44
	v_cmp_eq_u32_e32 vcc, 0, v45
	v_perm_b32 v45, v30, v26, s63
	s_nop 0
	v_cndmask_b32_e32 v44, v98, v44, vcc
	v_lshl_or_b32 v43, v43, 10, v44
	v_perm_b32 v44, v38, v34, s63
	s_barrier
	ds_write2st64_b32 v43, v44, v45 offset1:32
	v_xor_b32_e32 v44, 8, v43
	v_perm_b32 v34, v38, v34, s64
	v_perm_b32 v26, v30, v26, s64
	v_add_u32_e32 v30, 0x80, v44
	ds_write2st64_b32 v30, v34, v26 offset1:32
	v_xor_b32_e32 v26, 16, v43
	v_perm_b32 v30, v39, v35, s63
	v_perm_b32 v34, v31, v27, s63
	ds_write2st64_b32 v26, v30, v34 offset0:1 offset1:33
	v_xor_b32_e32 v26, 24, v43
	v_perm_b32 v30, v39, v35, s64
	v_perm_b32 v27, v31, v27, s64
	v_add_u32_e32 v26, 0x80, v26
	ds_write2st64_b32 v26, v30, v27 offset0:1 offset1:33
	v_xor_b32_e32 v26, 32, v43
	v_perm_b32 v27, v40, v36, s63
	v_perm_b32 v30, v32, v28, s63
	ds_write2st64_b32 v26, v27, v30 offset0:2 offset1:34
	v_xor_b32_e32 v26, 40, v43
	v_perm_b32 v27, v40, v36, s64
	v_perm_b32 v28, v32, v28, s64
	v_add_u32_e32 v26, 0x80, v26
	ds_write2st64_b32 v26, v27, v28 offset0:2 offset1:34
	;; [unrolled: 9-line block ×3, first 2 shown]
	ds_write_b64 v97, v[22:23] offset:16384
	v_xor_b32_e32 v22, 8, v97
	ds_write_b64 v22, v[24:25] offset:16384
	ds_write_b64 v97, v[18:19] offset:24576
	;; [unrolled: 1-line block ×4, first 2 shown]
	v_xor_b32_e32 v14, 8, v96
	ds_write_b64 v14, v[16:17] offset:16384
	ds_write_b64 v96, v[10:11] offset:24576
	;; [unrolled: 1-line block ×3, first 2 shown]
.LBB652_16:                             ;   in Loop: Header=BB652_6 Depth=1
	v_exp_f32_e32 v18, s2
	s_waitcnt vmcnt(1)
	v_exp_f32_e32 v20, v46
	v_exp_f32_e32 v21, v47
	;; [unrolled: 1-line block ×4, first 2 shown]
	v_accvgpr_read_b32 v13, a7
	v_accvgpr_read_b32 v11, a5
	;; [unrolled: 1-line block ×3, first 2 shown]
	v_pk_mul_f32 v[20:21], v[18:19], v[20:21] op_sel_hi:[0,1]
	v_pk_fma_f32 v[6:7], v[6:7], v[20:21], v[10:11]
	v_exp_f32_e32 v20, v42
	v_exp_f32_e32 v21, v50
	v_pk_mul_f32 v[10:11], v[18:19], v[22:23] op_sel_hi:[0,1]
	v_exp_f32_e32 v22, v51
	v_exp_f32_e32 v23, v52
	v_accvgpr_read_b32 v12, a6
	v_accvgpr_read_b32 v17, a3
	;; [unrolled: 1-line block ×4, first 2 shown]
	v_pk_fma_f32 v[8:9], v[8:9], v[10:11], v[12:13]
	v_pk_mul_f32 v[10:11], v[18:19], v[20:21] op_sel_hi:[0,1]
	v_accvgpr_read_b32 v16, a2
	v_pk_fma_f32 v[2:3], v[2:3], v[10:11], v[14:15]
	v_pk_mul_f32 v[10:11], v[18:19], v[22:23] op_sel_hi:[0,1]
	s_add_i32 s62, s62, 64
	s_cmp_eq_u32 s51, s37
	v_pk_fma_f32 v[4:5], v[4:5], v[10:11], v[16:17]
	s_cbranch_scc1 .LBB652_18
; %bb.17:                               ;   in Loop: Header=BB652_6 Depth=1
	s_mov_b32 s66, s37
	s_branch .LBB652_6
.LBB652_18:
	s_lshl_b32 s26, s51, 6
	s_sub_i32 s27, s12, s26
	s_cmp_gt_i32 s27, 0
	s_cbranch_scc0 .LBB652_75
; %bb.19:
	s_ashr_i32 s2, s26, 31
	s_cmpk_lg_i32 s15, 0x80
	s_cselect_b64 s[22:23], -1, 0
	s_and_b64 vcc, exec, s[22:23]
	s_cbranch_vccz .LBB652_21
; %bb.20:
	s_mul_i32 s1, s50, s12
	s_mul_hi_i32 s0, s50, s12
	s_add_u32 s1, s1, s26
	s_addc_u32 s0, s0, s2
	s_mul_i32 s3, s1, s53
	s_mul_hi_u32 s17, s1, s14
	s_add_i32 s3, s17, s3
	s_mul_i32 s0, s0, s14
	s_add_i32 s3, s3, s0
	s_mul_i32 s1, s1, s14
	s_ashr_i32 s0, s54, 31
	s_add_u32 s24, s1, s54
	s_addc_u32 s25, s3, s0
	s_cbranch_execz .LBB652_22
	s_branch .LBB652_23
.LBB652_21:
                                        ; implicit-def: $sgpr24_sgpr25
.LBB652_22:
	s_mul_hi_i32 s0, s50, s14
	s_mul_i32 s50, s50, s14
	s_ashr_i32 s1, s54, 31
	s_add_u32 s3, s50, s54
	s_addc_u32 s0, s0, s1
	s_mul_i32 s1, s3, s49
	s_mul_hi_u32 s14, s3, s12
	s_add_i32 s1, s14, s1
	s_mul_i32 s0, s0, s12
	s_add_i32 s1, s1, s0
	s_mul_i32 s3, s3, s12
	s_add_u32 s24, s3, s26
	s_addc_u32 s25, s1, s2
.LBB652_23:
	s_mul_i32 s0, s38, s49
	s_add_i32 s0, s57, s0
	s_add_i32 s3, s55, s51
	;; [unrolled: 1-line block ×3, first 2 shown]
	s_add_u32 s0, s16, s26
	s_addc_u32 s1, s1, s2
	s_mov_b32 s2, 0x7060302
	s_waitcnt vmcnt(0)
	v_perm_b32 v5, v5, v4, s2
	v_perm_b32 v4, v3, v2, s2
	v_lshlrev_b32_e32 v2, 3, v62
	s_lshl_b64 s[20:21], s[0:1], 8
	v_perm_b32 v9, v9, v8, s2
	v_perm_b32 v8, v7, v6, s2
	v_lshlrev_b32_e32 v34, 2, v62
	v_lshl_or_b32 v2, v65, 5, v2
	s_add_u32 s0, s6, s20
	ds_write2st64_b64 v2, v[8:9], v[4:5] offset0:72 offset1:76
	v_xor_b32_e32 v2, v65, v34
	v_lshlrev_b32_e32 v3, 8, v62
	s_addc_u32 s1, s7, s21
	v_lshl_or_b32 v2, v2, 1, v3
	s_mul_hi_i32 s6, s3, s13
	s_mul_i32 s3, s3, s13
	ds_write_b64 v2, v[8:9] offset:32768
	v_xor_b32_e32 v2, v66, v34
	s_add_u32 s2, s3, s48
	v_lshl_or_b32 v2, v2, 1, v3
	s_addc_u32 s3, s6, s52
	v_lshlrev_b32_e32 v3, 1, v62
	ds_write_b64 v2, v[4:5] offset:32768
	v_lshrrev_b32_e32 v2, 4, v0
	s_ashr_i32 s37, s36, 31
	s_lshl_b64 s[2:3], s[2:3], 15
	v_or_b32_e32 v4, 1, v3
	s_add_u32 s6, s18, s2
	v_xor_b32_e32 v3, v2, v3
	v_xor_b32_e32 v4, v4, v2
	v_lshlrev_b32_e32 v6, 8, v2
	s_addc_u32 s7, s19, s3
	s_lshl_b64 s[2:3], s[36:37], 8
	v_lshl_or_b32 v2, v3, 3, v6
	v_lshl_or_b32 v4, v4, 3, v6
	s_waitcnt lgkmcnt(0)
	s_barrier
	s_add_u32 s2, s6, s2
	ds_read_b64 v[2:3], v2 offset:32768
	ds_read_b64 v[4:5], v4 offset:32768
	s_addc_u32 s3, s7, s3
	v_mov_b32_e32 v7, 0
	s_cmp_lg_u32 s27, 64
	v_lshl_add_u64 v[8:9], s[2:3], 0, v[6:7]
	v_lshlrev_b32_e32 v6, 4, v62
	s_cselect_b64 s[6:7], -1, 0
	v_lshl_or_b32 v35, v60, 3, v64
	s_mov_b32 s16, 0
	v_lshl_add_u64 v[6:7], v[8:9], 0, v[6:7]
	v_or_b32_e32 v19, 32, v35
	v_and_b32_e32 v18, 56, v63
	s_and_b64 vcc, exec, s[6:7]
	s_waitcnt lgkmcnt(0)
	global_store_dwordx4 v[6:7], v[2:5], off
	s_cbranch_vccz .LBB652_29
; %bb.24:
	s_mov_b32 s17, s16
	s_mov_b32 s18, s16
	;; [unrolled: 1-line block ×3, first 2 shown]
	v_mov_b64_e32 v[6:7], s[16:17]
	v_mov_b64_e32 v[8:9], s[18:19]
	;; [unrolled: 1-line block ×3, first 2 shown]
	v_cmp_gt_i32_e32 vcc, s27, v35
	v_mov_b64_e32 v[4:5], v[8:9]
	s_and_saveexec_b64 s[2:3], vcc
	s_cbranch_execz .LBB652_26
; %bb.25:
	v_lshlrev_b32_e32 v2, 8, v35
	v_mov_b32_e32 v3, 0
	v_lshl_add_u64 v[4:5], s[0:1], 0, v[2:3]
	v_lshlrev_b32_e32 v2, 1, v18
	v_lshl_add_u64 v[10:11], v[4:5], 0, v[2:3]
	global_load_dwordx4 v[6:9], v[10:11], off
	global_load_dwordx4 v[2:5], v[10:11], off offset:128
.LBB652_26:
	s_or_b64 exec, exec, s[2:3]
	s_mov_b32 s17, s16
	s_mov_b32 s18, s16
	;; [unrolled: 1-line block ×3, first 2 shown]
	v_mov_b64_e32 v[14:15], s[16:17]
	v_mov_b64_e32 v[16:17], s[18:19]
	;; [unrolled: 1-line block ×3, first 2 shown]
	v_cmp_gt_i32_e32 vcc, s27, v19
	v_lshlrev_b32_e32 v20, 7, v19
	v_mov_b64_e32 v[12:13], v[16:17]
	s_and_saveexec_b64 s[2:3], vcc
	s_cbranch_execz .LBB652_28
; %bb.27:
	v_lshlrev_b32_e32 v10, 1, v20
	v_mov_b32_e32 v11, 0
	v_lshl_add_u64 v[12:13], s[0:1], 0, v[10:11]
	v_lshlrev_b32_e32 v10, 1, v18
	v_lshl_add_u64 v[22:23], v[12:13], 0, v[10:11]
	global_load_dwordx4 v[14:17], v[22:23], off
	global_load_dwordx4 v[10:13], v[22:23], off offset:128
.LBB652_28:
	s_or_b64 exec, exec, s[2:3]
	v_lshrrev_b32_e32 v21, 3, v18
	v_lshlrev_b32_e32 v22, 3, v35
	v_or_b32_e32 v21, v22, v21
	v_lshlrev_b32_e32 v21, 4, v21
	v_and_b32_e32 v22, 0x78, v22
	v_xor_b32_e32 v21, v21, v22
	s_branch .LBB652_31
.LBB652_29:
                                        ; implicit-def: $vgpr21
                                        ; implicit-def: $vgpr20
                                        ; implicit-def: $vgpr6_vgpr7_vgpr8_vgpr9
                                        ; implicit-def: $vgpr2_vgpr3_vgpr4_vgpr5
                                        ; implicit-def: $vgpr14_vgpr15_vgpr16_vgpr17
                                        ; implicit-def: $vgpr10_vgpr11_vgpr12_vgpr13
	s_cbranch_execz .LBB652_31
; %bb.30:
	s_waitcnt vmcnt(0)
	v_lshlrev_b32_e32 v2, 1, v18
	v_lshl_or_b32 v20, v35, 8, v2
	s_and_b32 s1, s1, 0xffff
	s_mov_b32 s3, 0x20000
	s_movk_i32 s2, 0x4000
	v_lshl_or_b32 v21, v19, 8, v2
	s_movk_i32 s13, 0x80
	buffer_load_dwordx4 v[6:9], v20, s[0:3], 0 offen
	buffer_load_dwordx4 v[2:5], v20, s[0:3], s13 offen
	buffer_load_dwordx4 v[14:17], v21, s[0:3], 0 offen
	buffer_load_dwordx4 v[10:13], v21, s[0:3], s13 offen
	v_lshrrev_b32_e32 v20, 3, v18
	v_lshlrev_b32_e32 v21, 3, v35
	v_or_b32_e32 v20, v21, v20
	v_lshlrev_b32_e32 v20, 4, v20
	v_and_b32_e32 v21, 0x78, v21
	v_xor_b32_e32 v21, v20, v21
	v_lshlrev_b32_e32 v20, 7, v19
.LBB652_31:
	s_lshl_b64 s[0:1], s[24:25], 8
	s_add_u32 s4, s4, s0
	s_movk_i32 s0, 0x1000
	v_and_or_b32 v19, v20, s0, v21
	s_waitcnt vmcnt(1)
	ds_write_b64 v21, v[6:7] offset:16384
	v_xor_b32_e32 v6, 8, v21
	ds_write_b64 v6, v[8:9] offset:16384
	s_waitcnt vmcnt(0)
	ds_write_b64 v21, v[2:3] offset:24576
	ds_write_b64 v6, v[4:5] offset:24576
	;; [unrolled: 1-line block ×3, first 2 shown]
	v_xor_b32_e32 v2, 8, v19
	ds_write_b64 v2, v[16:17] offset:16384
	ds_write_b64 v19, v[10:11] offset:24576
	;; [unrolled: 1-line block ×3, first 2 shown]
	v_or_b32_e32 v2, v1, v62
	s_addc_u32 s5, s5, s1
	s_add_i32 s0, s12, -1
	v_lshlrev_b32_e32 v2, 3, v2
	v_lshrrev_b32_e32 v4, 5, v53
	s_movk_i32 s12, 0xf8
	v_and_or_b32 v4, v2, s12, v4
	v_lshlrev_b32_e32 v3, 11, v60
	v_lshlrev_b32_e32 v12, 4, v4
	v_and_b32_e32 v13, 0x78, v2
	v_and_b32_e32 v14, 0x1000, v3
	v_lshlrev_b32_e32 v3, 2, v0
	v_xor_b32_e32 v2, v12, v13
	v_lshrrev_b32_e32 v4, 1, v53
	v_and_b32_e32 v3, 60, v3
	v_or_b32_e32 v2, v2, v14
	v_and_b32_e32 v15, 8, v4
	v_xor_b32_e32 v26, v2, v15
	v_lshl_or_b32 v2, v61, 6, v3
	v_lshlrev_b32_e32 v19, 1, v2
	v_or_b32_e32 v2, 32, v12
	v_xor_b32_e32 v2, v2, v13
	s_waitcnt lgkmcnt(0)
	s_barrier
	ds_read_b64 v[10:11], v26 offset:16384
	v_or_b32_e32 v2, v2, v14
	v_xor_b32_e32 v27, v2, v15
	v_or_b32_e32 v2, 64, v12
	v_xor_b32_e32 v2, v2, v13
	v_or_b32_e32 v2, v2, v14
	v_or_b32_e32 v12, 0x60, v12
	v_xor_b32_e32 v28, v2, v15
	ds_read2st64_b64 v[2:5], v19 offset0:72 offset1:73
	ds_read2st64_b64 v[6:9], v19 offset0:74 offset1:75
	v_xor_b32_e32 v16, v12, v13
	ds_read_b64 v[12:13], v27 offset:16384
	s_add_i32 s1, s44, s33
	s_waitcnt lgkmcnt(2)
	v_mfma_f32_16x16x16_bf16 a[0:3], v[10:11], v[2:3], 0
	s_add_i32 s35, s1, s45
	s_add_i32 s1, s46, s39
	;; [unrolled: 1-line block ×3, first 2 shown]
	s_ashr_i32 s1, s0, 31
	s_mul_i32 s2, s0, s29
	s_mul_hi_u32 s3, s0, s28
	s_add_i32 s2, s3, s2
	s_mul_i32 s1, s1, s28
	v_or_b32_e32 v14, v16, v14
	s_add_i32 s1, s2, s1
	s_lshl_b64 s[2:3], s[34:35], 2
	v_xor_b32_e32 v36, v14, v15
	ds_read_b64 v[14:15], v28 offset:16384
	ds_read_b64 v[16:17], v36 offset:16384
	s_waitcnt lgkmcnt(2)
	v_mfma_f32_16x16x16_bf16 a[0:3], v[12:13], v[4:5], a[0:3]
	s_add_u32 s10, s10, s2
	s_addc_u32 s11, s11, s3
	s_lshl_b64 s[2:3], s[30:31], 2
	s_mul_i32 s0, s0, s28
	s_add_u32 s10, s10, s2
	s_addc_u32 s11, s11, s3
	s_lshl_b64 s[0:1], s[0:1], 2
	s_waitcnt lgkmcnt(1)
	v_mfma_f32_16x16x16_bf16 a[0:3], v[14:15], v[6:7], a[0:3]
	s_add_u32 s0, s10, s0
	s_addc_u32 s1, s11, s1
	s_load_dword s12, s[0:1], 0x0
	s_waitcnt lgkmcnt(0)
	v_mfma_f32_16x16x16_bf16 a[0:3], v[16:17], v[8:9], a[0:3]
	s_and_b64 vcc, exec, s[22:23]
	s_cbranch_vccz .LBB652_42
; %bb.32:
	v_lshlrev_b32_e32 v20, 1, v35
	s_and_b64 vcc, exec, s[6:7]
	s_cbranch_vccz .LBB652_43
; %bb.33:
	v_cmp_gt_i32_e32 vcc, s27, v20
	v_mov_b32_e32 v6, 0
	v_mov_b32_e32 v2, 0
	;; [unrolled: 1-line block ×5, first 2 shown]
	s_and_saveexec_b64 s[0:1], vcc
	s_cbranch_execz .LBB652_35
; %bb.34:
	v_mad_i64_i32 v[2:3], s[2:3], s15, v20, 0
	v_lshl_add_u64 v[2:3], v[2:3], 1, s[4:5]
	v_lshlrev_b32_e32 v4, 1, v18
	v_mov_b32_e32 v5, 0
	v_lshl_add_u64 v[2:3], v[2:3], 0, v[4:5]
	global_load_dwordx4 v[2:5], v[2:3], off
.LBB652_35:
	s_or_b64 exec, exec, s[0:1]
	v_or_b32_e32 v21, 1, v20
	v_cmp_gt_i32_e64 s[0:1], s27, v21
	v_mov_b32_e32 v7, 0
	v_mov_b32_e32 v8, 0
	;; [unrolled: 1-line block ×3, first 2 shown]
	s_and_saveexec_b64 s[2:3], s[0:1]
	s_cbranch_execz .LBB652_37
; %bb.36:
	v_mad_i64_i32 v[6:7], s[16:17], s15, v21, 0
	v_lshl_add_u64 v[6:7], v[6:7], 1, s[4:5]
	v_lshlrev_b32_e32 v8, 1, v18
	v_mov_b32_e32 v9, 0
	v_lshl_add_u64 v[6:7], v[6:7], 0, v[8:9]
	global_load_dwordx4 v[6:9], v[6:7], off
.LBB652_37:
	s_or_b64 exec, exec, s[2:3]
	v_mov_b32_e32 v17, 0
	v_mov_b32_e32 v10, 0
	v_mov_b32_e32 v11, 0
	v_mov_b32_e32 v12, 0
	v_mov_b32_e32 v13, 0
	s_and_saveexec_b64 s[2:3], vcc
	s_cbranch_execz .LBB652_39
; %bb.38:
	v_mad_i64_i32 v[10:11], s[16:17], s15, v20, 0
	v_lshl_add_u64 v[10:11], v[10:11], 1, s[4:5]
	v_lshlrev_b32_e32 v12, 1, v18
	v_mov_b32_e32 v13, 0
	v_lshl_add_u64 v[10:11], v[10:11], 0, v[12:13]
	global_load_dwordx4 v[10:13], v[10:11], off offset:128
.LBB652_39:
	s_or_b64 exec, exec, s[2:3]
	v_mov_b32_e32 v16, 0
	v_mov_b32_e32 v15, 0
	;; [unrolled: 1-line block ×3, first 2 shown]
	s_and_saveexec_b64 s[2:3], s[0:1]
	s_cbranch_execz .LBB652_41
; %bb.40:
	v_mad_i64_i32 v[14:15], s[0:1], s15, v21, 0
	v_lshl_add_u64 v[14:15], v[14:15], 1, s[4:5]
	v_lshlrev_b32_e32 v16, 1, v18
	v_mov_b32_e32 v17, 0
	v_lshl_add_u64 v[14:15], v[14:15], 0, v[16:17]
	global_load_dwordx4 v[14:17], v[14:15], off offset:128
.LBB652_41:
	s_or_b64 exec, exec, s[2:3]
	s_branch .LBB652_45
.LBB652_42:
                                        ; implicit-def: $vgpr5
                                        ; implicit-def: $vgpr9
                                        ; implicit-def: $vgpr13
                                        ; implicit-def: $vgpr17
	v_lshrrev_b32_e32 v37, 2, v53
	s_branch .LBB652_46
.LBB652_43:
                                        ; implicit-def: $vgpr5
                                        ; implicit-def: $vgpr9
                                        ; implicit-def: $vgpr13
                                        ; implicit-def: $vgpr17
	s_cbranch_execz .LBB652_45
; %bb.44:
	s_waitcnt vmcnt(0)
	v_mad_u64_u32 v[2:3], s[0:1], v20, s15, v[18:19]
	v_lshlrev_b32_e32 v20, 1, v2
	s_lshl_b32 s2, s15, 7
	s_and_b32 s1, s5, 0xffff
	s_mov_b32 s3, 0x20000
	s_mov_b32 s0, s4
	v_add_lshl_u32 v21, v2, s15, 1
	s_movk_i32 s13, 0x80
	buffer_load_dwordx4 v[2:5], v20, s[0:3], 0 offen
	buffer_load_dwordx4 v[10:13], v20, s[0:3], s13 offen
	;; [unrolled: 1-line block ×4, first 2 shown]
.LBB652_45:
	v_lshrrev_b32_e32 v37, 2, v53
	s_cbranch_execnz .LBB652_58
.LBB652_46:
	s_and_b64 vcc, exec, s[6:7]
	s_cbranch_vccz .LBB652_56
; %bb.47:
	s_waitcnt vmcnt(0)
	v_lshlrev_b32_e32 v7, 1, v35
	v_cmp_gt_i32_e32 vcc, s27, v7
	v_mov_b32_e32 v6, 0
	v_lshlrev_b32_e32 v14, 9, v35
	v_mov_b32_e32 v2, 0
	v_mov_b32_e32 v3, 0
	v_mov_b32_e32 v4, 0
	v_mov_b32_e32 v5, 0
	s_and_saveexec_b64 s[0:1], vcc
	s_cbranch_execz .LBB652_49
; %bb.48:
	v_mov_b32_e32 v15, 0
	v_lshl_add_u64 v[2:3], s[4:5], 0, v[14:15]
	v_lshlrev_b32_e32 v4, 1, v18
	v_mov_b32_e32 v5, v15
	v_lshl_add_u64 v[2:3], v[2:3], 0, v[4:5]
	global_load_dwordx4 v[2:5], v[2:3], off
.LBB652_49:
	s_or_b64 exec, exec, s[0:1]
	v_or_b32_e32 v7, 1, v7
	v_cmp_gt_i32_e64 s[0:1], s27, v7
	v_lshlrev_b32_e32 v20, 8, v7
	v_mov_b32_e32 v7, 0
	v_mov_b32_e32 v8, 0
	v_mov_b32_e32 v9, 0
	s_and_saveexec_b64 s[2:3], s[0:1]
	s_cbranch_execz .LBB652_51
; %bb.50:
	v_mov_b32_e32 v21, 0
	v_lshl_add_u64 v[6:7], s[4:5], 0, v[20:21]
	v_lshlrev_b32_e32 v8, 1, v18
	v_mov_b32_e32 v9, v21
	v_lshl_add_u64 v[6:7], v[6:7], 0, v[8:9]
	global_load_dwordx4 v[6:9], v[6:7], off
.LBB652_51:
	s_or_b64 exec, exec, s[2:3]
	v_mov_b32_e32 v17, 0
	v_mov_b32_e32 v10, 0
	;; [unrolled: 1-line block ×5, first 2 shown]
	s_and_saveexec_b64 s[2:3], vcc
	s_cbranch_execz .LBB652_53
; %bb.52:
	v_mov_b32_e32 v15, 0
	v_lshl_add_u64 v[10:11], s[4:5], 0, v[14:15]
	v_lshlrev_b32_e32 v14, 1, v18
	v_lshl_add_u64 v[10:11], v[10:11], 0, v[14:15]
	global_load_dwordx4 v[10:13], v[10:11], off offset:128
.LBB652_53:
	s_or_b64 exec, exec, s[2:3]
	v_mov_b32_e32 v16, 0
	v_mov_b32_e32 v15, 0
	;; [unrolled: 1-line block ×3, first 2 shown]
	s_and_saveexec_b64 s[2:3], s[0:1]
	s_cbranch_execz .LBB652_55
; %bb.54:
	v_mov_b32_e32 v21, 0
	v_lshl_add_u64 v[14:15], s[4:5], 0, v[20:21]
	v_lshlrev_b32_e32 v20, 1, v18
	v_lshl_add_u64 v[14:15], v[14:15], 0, v[20:21]
	global_load_dwordx4 v[14:17], v[14:15], off offset:128
.LBB652_55:
	s_or_b64 exec, exec, s[2:3]
	s_branch .LBB652_58
.LBB652_56:
                                        ; implicit-def: $vgpr5
                                        ; implicit-def: $vgpr9
                                        ; implicit-def: $vgpr13
                                        ; implicit-def: $vgpr17
	s_cbranch_execz .LBB652_58
; %bb.57:
	s_waitcnt vmcnt(0)
	v_lshlrev_b32_e32 v2, 1, v18
	v_lshl_or_b32 v18, v35, 9, v2
	s_and_b32 s5, s5, 0xffff
	s_mov_b32 s7, 0x20000
	s_movk_i32 s6, 0x4000
	s_movk_i32 s0, 0x80
	buffer_load_dwordx4 v[2:5], v18, s[4:7], 0 offen
	buffer_load_dwordx4 v[6:9], v18, s[4:7], 0 offen offset:256
	buffer_load_dwordx4 v[10:13], v18, s[4:7], s0 offen
	buffer_load_dwordx4 v[14:17], v18, s[4:7], s0 offen offset:256
.LBB652_58:
	ds_read2st64_b64 v[22:25], v19 offset0:76 offset1:77
	ds_read2st64_b64 v[18:21], v19 offset0:78 offset1:79
	ds_read_b64 v[30:31], v26 offset:24576
	ds_read_b64 v[32:33], v27 offset:24576
	;; [unrolled: 1-line block ×4, first 2 shown]
	v_and_b32_e32 v36, 6, v0
	v_xor_b32_e32 v35, v35, v36
	v_lshlrev_b32_e32 v35, 2, v35
	v_and_b32_e32 v0, 1, v0
	v_xor_b32_e32 v38, 0x440, v35
	v_cmp_eq_u32_e32 vcc, 0, v0
	s_mov_b32 s0, 0x1000504
	s_mov_b32 s1, 0x3020706
	v_cndmask_b32_e32 v0, v38, v35, vcc
	v_lshl_or_b32 v0, v36, 10, v0
	s_waitcnt vmcnt(0)
	v_perm_b32 v35, v2, v6, s0
	v_perm_b32 v36, v10, v14, s0
	ds_write2st64_b32 v0, v35, v36 offset1:32
	v_xor_b32_e32 v35, 8, v0
	v_perm_b32 v2, v2, v6, s1
	v_perm_b32 v6, v10, v14, s1
	v_add_u32_e32 v10, 0x80, v35
	ds_write2st64_b32 v10, v2, v6 offset1:32
	v_xor_b32_e32 v2, 16, v0
	v_perm_b32 v6, v3, v7, s0
	v_perm_b32 v10, v11, v15, s0
	ds_write2st64_b32 v2, v6, v10 offset0:1 offset1:33
	v_xor_b32_e32 v2, 24, v0
	v_perm_b32 v3, v3, v7, s1
	v_perm_b32 v6, v11, v15, s1
	v_add_u32_e32 v2, 0x80, v2
	ds_write2st64_b32 v2, v3, v6 offset0:1 offset1:33
	v_xor_b32_e32 v2, 32, v0
	v_perm_b32 v3, v4, v8, s0
	v_perm_b32 v6, v12, v16, s0
	ds_write2st64_b32 v2, v3, v6 offset0:2 offset1:34
	v_xor_b32_e32 v2, 40, v0
	v_perm_b32 v3, v4, v8, s1
	v_perm_b32 v4, v12, v16, s1
	v_add_u32_e32 v2, 0x80, v2
	ds_write2st64_b32 v2, v3, v4 offset0:2 offset1:34
	v_xor_b32_e32 v2, 48, v0
	v_perm_b32 v3, v5, v9, s0
	v_perm_b32 v4, v13, v17, s0
	v_xor_b32_e32 v0, 56, v0
	v_and_or_b32 v6, v37, 12, v1
	ds_write2st64_b32 v2, v3, v4 offset0:3 offset1:35
	v_perm_b32 v2, v5, v9, s1
	v_perm_b32 v3, v13, v17, s1
	v_add_u32_e32 v0, 0x80, v0
	v_cmp_gt_i32_e32 vcc, s27, v6
	v_mov_b32_e32 v7, 0
	v_mov_b32_e32 v11, 0
	ds_write2st64_b32 v0, v2, v3 offset0:3 offset1:35
	s_and_saveexec_b64 s[0:1], vcc
	s_cbranch_execz .LBB652_60
; %bb.59:
	v_add_u32_e32 v0, s26, v6
	v_ashrrev_i32_e32 v1, 31, v0
	v_mul_lo_u32 v2, v1, s28
	v_mul_lo_u32 v3, v0, s29
	v_mad_u64_u32 v[0:1], s[2:3], v0, s28, 0
	v_add3_u32 v1, v1, v3, v2
	v_lshl_add_u64 v[0:1], v[0:1], 2, s[10:11]
	global_load_dword v0, v[0:1], off
	s_waitcnt vmcnt(0)
	v_sub_f32_e32 v0, s12, v0
	v_exp_f32_e32 v11, v0
.LBB652_60:
	s_or_b64 exec, exec, s[0:1]
	v_or_b32_e32 v9, 1, v6
	v_cmp_gt_i32_e64 s[0:1], s27, v9
	s_and_saveexec_b64 s[2:3], s[0:1]
	s_cbranch_execz .LBB652_62
; %bb.61:
	v_add_u32_e32 v0, s26, v9
	v_ashrrev_i32_e32 v1, 31, v0
	v_mul_lo_u32 v2, v1, s28
	v_mul_lo_u32 v3, v0, s29
	v_mad_u64_u32 v[0:1], s[4:5], v0, s28, 0
	v_add3_u32 v1, v1, v3, v2
	v_lshl_add_u64 v[0:1], v[0:1], 2, s[10:11]
	global_load_dword v0, v[0:1], off
	s_waitcnt vmcnt(0)
	v_sub_f32_e32 v0, s12, v0
	v_exp_f32_e32 v7, v0
.LBB652_62:
	s_or_b64 exec, exec, s[2:3]
	v_or_b32_e32 v10, 2, v6
	v_cmp_gt_i32_e64 s[2:3], s27, v10
	v_mov_b32_e32 v8, 0
	v_mov_b32_e32 v13, 0
	s_and_saveexec_b64 s[4:5], s[2:3]
	s_cbranch_execz .LBB652_64
; %bb.63:
	v_add_u32_e32 v0, s26, v10
	v_ashrrev_i32_e32 v1, 31, v0
	v_mul_lo_u32 v2, v1, s28
	v_mul_lo_u32 v3, v0, s29
	v_mad_u64_u32 v[0:1], s[6:7], v0, s28, 0
	v_add3_u32 v1, v1, v3, v2
	v_lshl_add_u64 v[0:1], v[0:1], 2, s[10:11]
	global_load_dword v0, v[0:1], off
	s_waitcnt vmcnt(0)
	v_sub_f32_e32 v0, s12, v0
	v_exp_f32_e32 v13, v0
.LBB652_64:
	s_or_b64 exec, exec, s[4:5]
	v_or_b32_e32 v12, 3, v6
	v_cmp_gt_i32_e64 s[4:5], s27, v12
	s_and_saveexec_b64 s[6:7], s[4:5]
	s_cbranch_execz .LBB652_66
; %bb.65:
	v_add_u32_e32 v0, s26, v12
	v_ashrrev_i32_e32 v1, 31, v0
	v_mul_lo_u32 v2, v1, s28
	v_mul_lo_u32 v3, v0, s29
	v_mad_u64_u32 v[0:1], s[14:15], v0, s28, 0
	v_add3_u32 v1, v1, v3, v2
	v_lshl_add_u64 v[0:1], v[0:1], 2, s[10:11]
	global_load_dword v0, v[0:1], off
	s_waitcnt vmcnt(0)
	v_sub_f32_e32 v0, s12, v0
	v_exp_f32_e32 v8, v0
.LBB652_66:
	s_or_b64 exec, exec, s[6:7]
	s_waitcnt lgkmcnt(11)
	v_mfma_f32_16x16x16_bf16 a[0:3], v[30:31], v[22:23], a[0:3]
	s_add_u32 s6, s8, s20
	v_ashrrev_i32_e32 v55, 31, v54
	s_addc_u32 s7, s9, s21
	s_waitcnt lgkmcnt(10)
	v_mfma_f32_16x16x16_bf16 a[0:3], v[32:33], v[24:25], a[0:3]
	v_mov_b32_e32 v14, 0
	v_lshl_add_u64 v[4:5], v[54:55], 1, s[6:7]
	v_mov_b32_e32 v15, 0
	s_waitcnt lgkmcnt(9)
	v_mfma_f32_16x16x16_bf16 a[0:3], v[28:29], v[18:19], a[0:3]
	s_waitcnt lgkmcnt(8)
	v_mfma_f32_16x16x16_bf16 a[0:3], v[26:27], v[20:21], a[0:3]
	s_nop 6
	v_accvgpr_read_b32 v0, a0
	v_accvgpr_read_b32 v1, a1
	;; [unrolled: 1-line block ×4, first 2 shown]
	s_and_saveexec_b64 s[6:7], vcc
	s_cbranch_execz .LBB652_68
; %bb.67:
	v_lshlrev_b32_e32 v16, 8, v6
	v_mov_b32_e32 v17, 0
	v_lshl_add_u64 v[16:17], v[4:5], 0, v[16:17]
	global_load_ushort v15, v[16:17], off
	s_waitcnt vmcnt(0)
	v_lshlrev_b32_e32 v15, 16, v15
	v_sub_f32_e32 v0, v15, v0
	v_mul_f32_e32 v0, v11, v0
	v_lshrrev_b32_e32 v15, 16, v0
.LBB652_68:
	s_or_b64 exec, exec, s[6:7]
	s_and_saveexec_b64 s[6:7], s[0:1]
	s_cbranch_execz .LBB652_70
; %bb.69:
	v_lshlrev_b32_e32 v16, 8, v9
	v_mov_b32_e32 v17, 0
	v_lshl_add_u64 v[16:17], v[4:5], 0, v[16:17]
	global_load_ushort v0, v[16:17], off
	s_waitcnt vmcnt(0)
	v_lshlrev_b32_e32 v0, 16, v0
	v_sub_f32_e32 v0, v0, v1
	v_mul_f32_e32 v0, v7, v0
	v_lshrrev_b32_e32 v14, 16, v0
.LBB652_70:
	s_or_b64 exec, exec, s[6:7]
	v_mov_b32_e32 v0, 0
	v_mov_b32_e32 v1, 0
	s_and_saveexec_b64 s[0:1], s[2:3]
	s_cbranch_execz .LBB652_72
; %bb.71:
	v_lshlrev_b32_e32 v10, 8, v10
	v_mov_b32_e32 v11, 0
	v_lshl_add_u64 v[10:11], v[4:5], 0, v[10:11]
	global_load_ushort v1, v[10:11], off
	s_waitcnt vmcnt(0)
	v_lshlrev_b32_e32 v1, 16, v1
	v_sub_f32_e32 v1, v1, v2
	v_mul_f32_e32 v1, v13, v1
	v_lshrrev_b32_e32 v1, 16, v1
.LBB652_72:
	s_or_b64 exec, exec, s[0:1]
	s_and_saveexec_b64 s[0:1], s[4:5]
	s_cbranch_execz .LBB652_74
; %bb.73:
	v_lshlrev_b32_e32 v10, 8, v12
	v_mov_b32_e32 v11, 0
	v_lshl_add_u64 v[4:5], v[4:5], 0, v[10:11]
	global_load_ushort v0, v[4:5], off
	s_waitcnt vmcnt(0)
	v_lshlrev_b32_e32 v0, 16, v0
	v_sub_f32_e32 v0, v0, v3
	v_mul_f32_e32 v0, v8, v0
	v_lshrrev_b32_e32 v0, 16, v0
.LBB652_74:
	s_or_b64 exec, exec, s[0:1]
	s_mov_b32 s0, 0x5040100
	v_lshlrev_b32_e32 v2, 1, v34
	v_perm_b32 v1, v0, v1, s0
	v_perm_b32 v0, v14, v15, s0
	v_lshl_or_b32 v2, v6, 5, v2
	ds_write_b64 v2, v[0:1] offset:38912
	s_waitcnt lgkmcnt(0)
	s_barrier
.LBB652_75:
	s_endpgm
	.section	.rodata,"a",@progbits
	.p2align	6, 0x0
	.amdhsa_kernel _ZN12_GLOBAL__N_139chunk_gated_delta_rule_fwd_h_hip_kernelILi16ELb1ELb0ELb0ELb0ELb1ELb1ELb1ELb0EEEvPK12hip_bfloat16S3_S3_PKfS5_PKvPS1_S8_PvPKiSB_iiiiilll
		.amdhsa_group_segment_fixed_size 40960
		.amdhsa_private_segment_fixed_size 0
		.amdhsa_kernarg_size 136
		.amdhsa_user_sgpr_count 2
		.amdhsa_user_sgpr_dispatch_ptr 0
		.amdhsa_user_sgpr_queue_ptr 0
		.amdhsa_user_sgpr_kernarg_segment_ptr 1
		.amdhsa_user_sgpr_dispatch_id 0
		.amdhsa_user_sgpr_kernarg_preload_length 0
		.amdhsa_user_sgpr_kernarg_preload_offset 0
		.amdhsa_user_sgpr_private_segment_size 0
		.amdhsa_uses_dynamic_stack 0
		.amdhsa_enable_private_segment 0
		.amdhsa_system_sgpr_workgroup_id_x 1
		.amdhsa_system_sgpr_workgroup_id_y 1
		.amdhsa_system_sgpr_workgroup_id_z 0
		.amdhsa_system_sgpr_workgroup_info 0
		.amdhsa_system_vgpr_workitem_id 0
		.amdhsa_next_free_vgpr 124
		.amdhsa_next_free_sgpr 67
		.amdhsa_accum_offset 112
		.amdhsa_reserve_vcc 1
		.amdhsa_float_round_mode_32 0
		.amdhsa_float_round_mode_16_64 0
		.amdhsa_float_denorm_mode_32 3
		.amdhsa_float_denorm_mode_16_64 3
		.amdhsa_dx10_clamp 1
		.amdhsa_ieee_mode 1
		.amdhsa_fp16_overflow 0
		.amdhsa_tg_split 0
		.amdhsa_exception_fp_ieee_invalid_op 0
		.amdhsa_exception_fp_denorm_src 0
		.amdhsa_exception_fp_ieee_div_zero 0
		.amdhsa_exception_fp_ieee_overflow 0
		.amdhsa_exception_fp_ieee_underflow 0
		.amdhsa_exception_fp_ieee_inexact 0
		.amdhsa_exception_int_div_zero 0
	.end_amdhsa_kernel
	.section	.text._ZN12_GLOBAL__N_139chunk_gated_delta_rule_fwd_h_hip_kernelILi16ELb1ELb0ELb0ELb0ELb1ELb1ELb1ELb0EEEvPK12hip_bfloat16S3_S3_PKfS5_PKvPS1_S8_PvPKiSB_iiiiilll,"axG",@progbits,_ZN12_GLOBAL__N_139chunk_gated_delta_rule_fwd_h_hip_kernelILi16ELb1ELb0ELb0ELb0ELb1ELb1ELb1ELb0EEEvPK12hip_bfloat16S3_S3_PKfS5_PKvPS1_S8_PvPKiSB_iiiiilll,comdat
.Lfunc_end652:
	.size	_ZN12_GLOBAL__N_139chunk_gated_delta_rule_fwd_h_hip_kernelILi16ELb1ELb0ELb0ELb0ELb1ELb1ELb1ELb0EEEvPK12hip_bfloat16S3_S3_PKfS5_PKvPS1_S8_PvPKiSB_iiiiilll, .Lfunc_end652-_ZN12_GLOBAL__N_139chunk_gated_delta_rule_fwd_h_hip_kernelILi16ELb1ELb0ELb0ELb0ELb1ELb1ELb1ELb0EEEvPK12hip_bfloat16S3_S3_PKfS5_PKvPS1_S8_PvPKiSB_iiiiilll
                                        ; -- End function
	.section	.AMDGPU.csdata,"",@progbits
; Kernel info:
; codeLenInByte = 7268
; NumSgprs: 73
; NumVgprs: 112
; NumAgprs: 12
; TotalNumVgprs: 124
; ScratchSize: 0
; MemoryBound: 0
; FloatMode: 240
; IeeeMode: 1
; LDSByteSize: 40960 bytes/workgroup (compile time only)
; SGPRBlocks: 9
; VGPRBlocks: 15
; NumSGPRsForWavesPerEU: 73
; NumVGPRsForWavesPerEU: 124
; AccumOffset: 112
; Occupancy: 1
; WaveLimiterHint : 1
; COMPUTE_PGM_RSRC2:SCRATCH_EN: 0
; COMPUTE_PGM_RSRC2:USER_SGPR: 2
; COMPUTE_PGM_RSRC2:TRAP_HANDLER: 0
; COMPUTE_PGM_RSRC2:TGID_X_EN: 1
; COMPUTE_PGM_RSRC2:TGID_Y_EN: 1
; COMPUTE_PGM_RSRC2:TGID_Z_EN: 0
; COMPUTE_PGM_RSRC2:TIDIG_COMP_CNT: 0
; COMPUTE_PGM_RSRC3_GFX90A:ACCUM_OFFSET: 27
; COMPUTE_PGM_RSRC3_GFX90A:TG_SPLIT: 0
	.section	.text._ZN12_GLOBAL__N_139chunk_gated_delta_rule_fwd_h_hip_kernelILi16ELb0ELb1ELb1ELb0ELb1ELb1ELb1ELb0EEEvPK12hip_bfloat16S3_S3_PKfS5_PKvPS1_S8_PvPKiSB_iiiiilll,"axG",@progbits,_ZN12_GLOBAL__N_139chunk_gated_delta_rule_fwd_h_hip_kernelILi16ELb0ELb1ELb1ELb0ELb1ELb1ELb1ELb0EEEvPK12hip_bfloat16S3_S3_PKfS5_PKvPS1_S8_PvPKiSB_iiiiilll,comdat
	.globl	_ZN12_GLOBAL__N_139chunk_gated_delta_rule_fwd_h_hip_kernelILi16ELb0ELb1ELb1ELb0ELb1ELb1ELb1ELb0EEEvPK12hip_bfloat16S3_S3_PKfS5_PKvPS1_S8_PvPKiSB_iiiiilll ; -- Begin function _ZN12_GLOBAL__N_139chunk_gated_delta_rule_fwd_h_hip_kernelILi16ELb0ELb1ELb1ELb0ELb1ELb1ELb1ELb0EEEvPK12hip_bfloat16S3_S3_PKfS5_PKvPS1_S8_PvPKiSB_iiiiilll
	.p2align	8
	.type	_ZN12_GLOBAL__N_139chunk_gated_delta_rule_fwd_h_hip_kernelILi16ELb0ELb1ELb1ELb0ELb1ELb1ELb1ELb0EEEvPK12hip_bfloat16S3_S3_PKfS5_PKvPS1_S8_PvPKiSB_iiiiilll,@function
_ZN12_GLOBAL__N_139chunk_gated_delta_rule_fwd_h_hip_kernelILi16ELb0ELb1ELb1ELb0ELb1ELb1ELb1ELb0EEEvPK12hip_bfloat16S3_S3_PKfS5_PKvPS1_S8_PvPKiSB_iiiiilll: ; @_ZN12_GLOBAL__N_139chunk_gated_delta_rule_fwd_h_hip_kernelILi16ELb0ELb1ELb1ELb0ELb1ELb1ELb1ELb0EEEvPK12hip_bfloat16S3_S3_PKfS5_PKvPS1_S8_PvPKiSB_iiiiilll
; %bb.0:
	s_load_dwordx4 s[12:15], s[0:1], 0x5c
	s_load_dwordx2 s[34:35], s[0:1], 0x40
	s_abs_i32 s22, s3
	s_ashr_i32 s21, s3, 31
	s_load_dwordx8 s[4:11], s[0:1], 0x0
	s_load_dwordx2 s[36:37], s[0:1], 0x20
	s_load_dwordx4 s[16:19], s[0:1], 0x30
	s_waitcnt lgkmcnt(0)
	s_abs_i32 s20, s13
	v_cvt_f32_u32_e32 v1, s20
	s_sub_i32 s24, 0, s20
	s_ashr_i32 s23, s13, 31
	s_xor_b32 s21, s21, s23
	v_rcp_iflag_f32_e32 v1, v1
	v_lshrrev_b32_e32 v53, 6, v0
	v_bfe_u32 v62, v0, 4, 2
	v_lshlrev_b32_e32 v60, 4, v53
	v_mul_f32_e32 v1, 0x4f7ffffe, v1
	v_cvt_u32_f32_e32 v1, v1
	v_lshlrev_b32_e32 v10, 2, v62
	v_and_b32_e32 v61, 63, v0
	v_mov_b32_e32 v9, 0
	v_readfirstlane_b32 s25, v1
	s_mul_i32 s24, s24, s25
	s_mul_hi_u32 s24, s25, s24
	s_add_i32 s25, s25, s24
	s_mul_hi_u32 s24, s22, s25
	s_mul_i32 s25, s24, s20
	s_sub_i32 s22, s22, s25
	s_add_i32 s25, s24, 1
	s_sub_i32 s26, s22, s20
	s_cmp_ge_u32 s22, s20
	s_cselect_b32 s24, s25, s24
	s_cselect_b32 s22, s26, s22
	s_add_i32 s25, s24, 1
	s_cmp_ge_u32 s22, s20
	s_cselect_b32 s22, s25, s24
	s_xor_b32 s22, s22, s21
	s_sub_i32 s52, s22, s21
	s_abs_i32 s21, s14
	v_cvt_f32_u32_e32 v1, s21
	s_ashr_i32 s51, s12, 31
	s_lshr_b32 s22, s51, 26
	s_add_i32 s22, s12, s22
	v_rcp_iflag_f32_e32 v1, v1
	s_ashr_i32 s54, s14, 31
	s_ashr_i32 s53, s22, 6
	s_xor_b32 s22, s23, s54
	v_mul_f32_e32 v1, 0x4f7ffffe, v1
	v_cvt_u32_f32_e32 v1, v1
	s_sub_i32 s23, 0, s21
	s_mul_i32 s50, s52, s13
	s_sub_i32 s33, s3, s50
	v_readfirstlane_b32 s24, v1
	s_mul_i32 s23, s23, s24
	s_mul_hi_u32 s23, s24, s23
	s_add_i32 s24, s24, s23
	s_mul_hi_u32 s23, s20, s24
	s_mul_i32 s24, s23, s21
	s_sub_i32 s20, s20, s24
	s_add_i32 s3, s12, 63
	s_add_i32 s24, s23, 1
	s_sub_i32 s25, s20, s21
	s_cmp_ge_u32 s20, s21
	s_cselect_b32 s23, s24, s23
	s_cselect_b32 s20, s25, s20
	s_add_i32 s24, s23, 1
	s_cmp_ge_u32 s20, s21
	s_cselect_b32 s20, s24, s23
	s_xor_b32 s20, s20, s22
	s_sub_i32 s24, s20, s22
	s_abs_i32 s25, s24
	v_cvt_f32_u32_e32 v1, s25
	s_load_dwordx2 s[38:39], s[0:1], 0x80
	s_load_dwordx4 s[20:23], s[0:1], 0x70
	s_xor_b32 s0, s33, s24
	s_sub_i32 s24, 0, s25
	v_rcp_iflag_f32_e32 v1, v1
	s_abs_i32 s1, s33
	s_ashr_i32 s0, s0, 31
	s_mul_i32 s48, s52, s12
	v_mul_f32_e32 v1, 0x4f7ffffe, v1
	v_cvt_u32_f32_e32 v1, v1
	v_and_b32_e32 v63, 15, v0
	s_mul_hi_i32 s56, s52, s13
	v_lshrrev_b32_e32 v65, 3, v61
	v_readfirstlane_b32 s26, v1
	s_mul_i32 s24, s24, s26
	s_mul_hi_u32 s24, s26, s24
	s_add_i32 s26, s26, s24
	s_mul_hi_u32 s24, s1, s26
	s_mul_i32 s26, s24, s25
	s_sub_i32 s1, s1, s26
	s_add_i32 s26, s24, 1
	s_sub_i32 s27, s1, s25
	s_cmp_ge_u32 s1, s25
	s_cselect_b32 s24, s26, s24
	s_cselect_b32 s1, s27, s1
	s_add_i32 s26, s24, 1
	s_cmp_ge_u32 s1, s25
	s_cselect_b32 s1, s26, s24
	s_xor_b32 s1, s1, s0
	s_sub_i32 s57, s1, s0
	s_ashr_i32 s0, s3, 31
	s_lshr_b32 s0, s0, 26
	s_add_i32 s3, s3, s0
	v_or_b32_e32 v1, v10, v60
	s_ashr_i32 s0, s3, 6
	s_lshl_b32 s2, s2, 4
	s_mul_i32 s55, s52, s0
	v_or_b32_e32 v66, 64, v1
	s_cmp_lt_i32 s12, 64
	v_lshlrev_b32_e32 v64, 3, v0
	s_waitcnt lgkmcnt(0)
	s_mul_i32 s21, s52, s21
	s_mul_hi_u32 s49, s52, s20
	s_mul_i32 s40, s52, s20
	v_mov_b32_e32 v8, v9
	v_mov_b32_e32 v7, v9
	v_mov_b32_e32 v6, v9
	v_mov_b32_e32 v5, v9
	v_mov_b32_e32 v4, v9
	v_mov_b32_e32 v3, v9
	v_mov_b32_e32 v2, v9
	s_cbranch_scc1 .LBB653_18
; %bb.1:
	s_ashr_i32 s3, s52, 31
	s_ashr_i32 s59, s33, 31
	s_add_u32 s0, s50, s33
	s_addc_u32 s1, s56, s59
	s_mul_i32 s1, s12, s1
	s_mul_hi_u32 s24, s12, s0
	s_add_i32 s43, s24, s1
	s_mul_i32 s42, s12, s0
	s_lshl_b64 s[0:1], s[42:43], 8
	v_and_b32_e32 v68, 56, v64
	s_add_u32 s24, s6, s0
	v_lshl_or_b32 v67, v53, 3, v65
	v_lshlrev_b32_e32 v3, 1, v68
	s_addc_u32 s0, s7, s1
	v_lshl_or_b32 v69, v67, 8, v3
	s_and_b32 s25, s0, 0xffff
	s_mov_b32 s27, 0x20000
	s_movk_i32 s26, 0x4000
	s_movk_i32 s0, 0x80
	v_or_b32_e32 v70, 0x2000, v69
	buffer_load_dwordx4 v[4:7], v69, s[24:27], 0 offen
	buffer_load_dwordx4 v[12:15], v69, s[24:27], s0 offen
	;; [unrolled: 1-line block ×4, first 2 shown]
	v_lshlrev_b32_e32 v2, 3, v67
	v_and_or_b32 v9, v0, 7, v2
	v_and_b32_e32 v2, 0x78, v2
	v_lshlrev_b32_e32 v9, 4, v9
	v_xor_b32_e32 v71, v9, v2
	v_mul_lo_u32 v8, v67, s15
	v_or_b32_e32 v72, 0x1000, v71
	v_xor_b32_e32 v2, 8, v71
	s_cmpk_eq_i32 s15, 0x80
	s_mov_b32 s58, s14
	v_xor_b32_e32 v9, 8, v72
	s_cselect_b64 s[0:1], -1, 0
	s_cmpk_lg_i32 s15, 0x80
	s_waitcnt vmcnt(3)
	ds_write_b64 v71, v[4:5] offset:16384
	ds_write_b64 v2, v[6:7] offset:16384
	s_waitcnt vmcnt(2)
	ds_write_b64 v71, v[12:13] offset:24576
	ds_write_b64 v2, v[14:15] offset:24576
	;; [unrolled: 3-line block ×4, first 2 shown]
	v_lshl_add_u32 v2, v8, 1, v68
	s_cbranch_scc0 .LBB653_3
; %bb.2:
	v_lshlrev_b32_e32 v6, 1, v2
	v_add_lshl_u32 v5, v2, s15, 1
	s_lshl_b32 s26, s15, 7
	v_lshl_or_b32 v4, v67, 9, v3
	s_cbranch_execz .LBB653_4
	s_branch .LBB653_5
.LBB653_3:
                                        ; implicit-def: $vgpr5
                                        ; implicit-def: $vgpr6
                                        ; implicit-def: $sgpr26
	v_lshl_or_b32 v4, v67, 9, v3
.LBB653_4:
	v_or_b32_e32 v5, 0x100, v4
	s_movk_i32 s26, 0x4000
	v_mov_b32_e32 v6, v4
.LBB653_5:
	s_mul_hi_u32 s24, s14, s12
	s_mul_i32 s25, s54, s12
	s_add_i32 s24, s24, s25
	s_mul_i32 s25, s14, s12
	s_mul_i32 s27, s25, s3
	s_mul_hi_u32 s28, s25, s52
	s_add_i32 s27, s28, s27
	s_mul_i32 s24, s24, s52
	s_add_i32 s27, s27, s24
	s_mul_i32 s25, s25, s52
	s_ashr_i32 s60, s57, 31
	s_add_u32 s24, s25, s57
	s_addc_u32 s25, s27, s60
	s_lshl_b64 s[24:25], s[24:25], 8
	s_add_u32 s24, s4, s24
	s_addc_u32 s25, s5, s25
	s_and_b32 s25, s25, 0xffff
	s_mov_b32 s27, 0x20000
	s_movk_i32 s61, 0x80
	buffer_load_dwordx4 v[12:15], v6, s[24:27], 0 offen
	s_nop 0
	buffer_load_dwordx4 v[6:9], v6, s[24:27], s61 offen
	s_nop 0
	buffer_load_dwordx4 v[16:19], v5, s[24:27], 0 offen
	buffer_load_dwordx4 v[20:23], v5, s[24:27], s61 offen
	v_and_b32_e32 v3, 6, v0
	s_mul_i32 s24, s3, s12
	s_mul_hi_u32 s25, s52, s12
	v_lshlrev_b32_e32 v11, 2, v63
	v_lshlrev_b32_e32 v24, 3, v63
	v_xor_b32_e32 v26, v67, v3
	v_and_b32_e32 v5, 1, v0
	s_mul_i32 s3, s3, s20
	v_lshl_or_b32 v24, v1, 5, v24
	v_xor_b32_e32 v27, v1, v11
	v_lshlrev_b32_e32 v26, 2, v26
	s_add_i32 s65, s25, s24
	s_add_i32 s24, s49, s21
	s_mul_i32 s28, s33, s23
	v_or_b32_e32 v73, 0x9000, v24
	v_or_b32_e32 v74, 0x9800, v24
	v_lshlrev_b32_e32 v24, 1, v27
	v_xor_b32_e32 v27, 0x440, v26
	v_cmp_eq_u32_e32 vcc, 0, v5
	s_add_i32 s41, s24, s3
	s_mul_hi_u32 s3, s33, s22
	v_cndmask_b32_e32 v5, v27, v26, vcc
	s_add_i32 s3, s3, s28
	s_mul_i32 s24, s59, s22
	s_mov_b32 s63, 0x1000504
	v_lshlrev_b32_e32 v25, 8, v63
	s_mov_b32 s26, 0x8000
	v_xor_b32_e32 v11, v66, v11
	v_lshl_or_b32 v3, v3, 10, v5
	s_add_i32 s25, s3, s24
	s_lshl_b64 s[28:29], s[40:41], 2
	s_mov_b32 s64, 0x3020706
	v_lshlrev_b32_e32 v11, 1, v11
	v_or3_b32 v75, v24, v25, s26
	v_xor_b32_e32 v5, 8, v3
	v_xor_b32_e32 v24, 24, v3
	;; [unrolled: 1-line block ×4, first 2 shown]
	s_mul_i32 s24, s33, s22
	s_add_u32 s3, s10, s28
	v_or3_b32 v76, v11, v25, s26
	v_xor_b32_e32 v11, 16, v3
	v_xor_b32_e32 v25, 32, v3
	;; [unrolled: 1-line block ×3, first 2 shown]
	v_add_u32_e32 v5, 0x80, v5
	v_add_u32_e32 v24, 0x80, v24
	;; [unrolled: 1-line block ×4, first 2 shown]
	s_addc_u32 s28, s11, s29
	s_lshl_b64 s[24:25], s[24:25], 2
	s_add_u32 s44, s3, s24
	s_movk_i32 s3, 0xf8
	s_addc_u32 s45, s28, s25
	s_lshl_b32 s30, s15, 7
	s_mov_b32 s62, 0
	v_add_u32_e32 v87, v60, v10
	s_mov_b32 s41, 0x7060302
	s_mov_b32 s67, 0
	s_waitcnt vmcnt(1)
	v_perm_b32 v29, v12, v16, s63
	s_waitcnt vmcnt(0)
	v_perm_b32 v30, v6, v20, s63
	v_perm_b32 v12, v12, v16, s64
	;; [unrolled: 1-line block ×15, first 2 shown]
	ds_write2st64_b32 v3, v29, v30 offset1:32
	ds_write2st64_b32 v5, v12, v6 offset1:32
	ds_write2st64_b32 v11, v16, v20 offset0:1 offset1:33
	ds_write2st64_b32 v24, v13, v7 offset0:1 offset1:33
	ds_write2st64_b32 v25, v17, v21 offset0:2 offset1:34
	ds_write2st64_b32 v26, v14, v8 offset0:2 offset1:34
	ds_write2st64_b32 v27, v18, v22 offset0:3 offset1:35
	ds_write2st64_b32 v28, v15, v9 offset0:3 offset1:35
	v_or_b32_e32 v3, v60, v63
	v_lshlrev_b32_e32 v3, 3, v3
	v_lshrrev_b32_e32 v7, 5, v61
	v_and_or_b32 v7, v3, s3, v7
	v_lshlrev_b32_e32 v7, 4, v7
	v_lshlrev_b32_e32 v11, 11, v53
	v_and_b32_e32 v3, 0x78, v3
	v_or_b32_e32 v12, 32, v7
	v_and_b32_e32 v6, 0x1000, v11
	v_lshrrev_b32_e32 v9, 1, v61
	v_xor_b32_e32 v12, v12, v3
	v_and_b32_e32 v9, 8, v9
	v_or_b32_e32 v12, v12, v6
	v_xor_b32_e32 v8, v7, v3
	v_xor_b32_e32 v79, v12, v9
	v_or_b32_e32 v12, 64, v7
	v_or_b32_e32 v7, 0x60, v7
	v_xor_b32_e32 v12, v12, v3
	v_xor_b32_e32 v3, v7, v3
	v_or_b32_e32 v3, v3, v6
	v_or_b32_e32 v12, v12, v6
	v_xor_b32_e32 v81, v3, v9
	v_lshlrev_b32_e32 v15, 1, v2
	v_add_lshl_u32 v16, v2, s15, 1
	v_lshrrev_b32_e32 v2, 4, v0
	v_lshlrev_b32_e32 v3, 1, v63
	v_xor_b32_e32 v80, v12, v9
	s_ashr_i32 s3, s2, 31
	v_or_b32_e32 v12, 1, v3
	v_xor_b32_e32 v3, v2, v3
	s_lshl_b64 s[24:25], s[2:3], 8
	v_xor_b32_e32 v12, v12, v2
	v_lshlrev_b32_e32 v3, 3, v3
	v_lshlrev_b32_e32 v2, 8, v2
	s_add_u32 s24, s16, s24
	v_or3_b32 v83, v3, v2, s26
	v_lshlrev_b32_e32 v3, 3, v12
	s_addc_u32 s25, s17, s25
	v_or3_b32 v84, v3, v2, s26
	v_mov_b32_e32 v3, 0
	v_lshrrev_b32_e32 v20, 1, v0
	v_lshl_add_u64 v[12:13], s[24:25], 0, v[2:3]
	v_lshlrev_b32_e32 v2, 4, v63
	s_movk_i32 s3, 0xff
	v_lshlrev_b32_e32 v19, 3, v53
	v_and_b32_e32 v20, 24, v20
	v_lshl_add_u64 v[54:55], v[12:13], 0, v[2:3]
	v_and_b32_e32 v2, 7, v0
	v_and_b32_e32 v13, 8, v0
	v_cmp_lt_u32_e32 vcc, s3, v0
	v_xor_b32_e32 v21, v19, v20
	v_lshlrev_b32_e32 v14, 3, v2
	v_lshlrev_b32_e32 v18, 7, v2
	v_cndmask_b32_e64 v2, 0, 1, vcc
	v_or_b32_e32 v22, 0x440, v21
	v_cmp_eq_u32_e32 vcc, 0, v13
	v_or_b32_e32 v24, 64, v20
	v_xor_b32_e32 v24, v19, v24
	v_cndmask_b32_e32 v13, v22, v21, vcc
	v_or_b32_e32 v22, 32, v20
	v_or_b32_e32 v20, 0x60, v20
	v_xor_b32_e32 v22, v19, v22
	v_xor_b32_e32 v19, v19, v20
	v_or_b32_e32 v23, 0x440, v22
	v_xor_b32_e32 v25, 0x440, v24
	v_xor_b32_e32 v20, 0x440, v19
	v_or_b32_e32 v8, v8, v6
	v_or_b32_e32 v6, s2, v63
	v_cndmask_b32_e32 v22, v23, v22, vcc
	v_cndmask_b32_e32 v24, v25, v24, vcc
	;; [unrolled: 1-line block ×3, first 2 shown]
	v_lshrrev_b32_e32 v5, 2, v61
	v_xor_b32_e32 v77, v8, v9
	v_and_b32_e32 v8, 0x78, v64
	v_ashrrev_i32_e32 v7, 31, v6
	v_or_b32_e32 v13, v13, v11
	v_or_b32_e32 v22, v22, v11
	;; [unrolled: 1-line block ×4, first 2 shown]
	v_and_b32_e32 v5, 12, v5
	v_lshl_or_b32 v8, v62, 7, v8
	v_lshlrev_b64 v[6:7], 1, v[6:7]
	v_lshlrev_b32_e32 v2, 13, v2
	v_xor_b32_e32 v13, v13, v14
	v_xor_b32_e32 v22, v22, v14
	;; [unrolled: 1-line block ×4, first 2 shown]
	v_or_b32_e32 v78, 0x9000, v8
	v_or_b32_e32 v82, 0x9800, v8
	v_lshl_add_u64 v[8:9], s[8:9], 0, v[6:7]
	v_lshl_add_u64 v[6:7], s[18:19], 0, v[6:7]
	v_or_b32_e32 v17, 0x100, v4
	v_or_b32_e32 v12, v5, v60
	v_add_u32_e32 v21, v2, v13
	v_add_u32_e32 v23, v2, v22
	;; [unrolled: 1-line block ×4, first 2 shown]
	v_or3_b32 v14, v60, v5, 64
	v_add_u32_e32 v5, 0x2000, v13
	v_add_u32_e32 v13, 0x2000, v22
	;; [unrolled: 1-line block ×4, first 2 shown]
	v_lshlrev_b32_e32 v2, 8, v1
	v_cndmask_b32_e64 v85, v15, v4, s[0:1]
	v_cndmask_b32_e64 v86, v16, v17, s[0:1]
	v_lshl_add_u64 v[56:57], v[8:9], 0, v[2:3]
	v_lshl_add_u64 v[58:59], v[6:7], 0, v[2:3]
	s_add_i32 s3, s48, 63
	s_movk_i32 s26, 0x4000
	v_lshlrev_b32_e32 v88, 2, v12
	v_add_u32_e32 v89, v21, v18
	v_add_u32_e32 v90, v23, v18
	v_add_u32_e32 v91, v25, v18
	v_add_u32_e32 v92, v19, v18
	v_lshlrev_b32_e32 v93, 2, v14
	v_add_u32_e32 v94, v5, v18
	v_add_u32_e32 v95, v13, v18
	;; [unrolled: 1-line block ×4, first 2 shown]
	v_mov_b32_e32 v2, v3
	v_mov_b32_e32 v4, v3
	v_mov_b32_e32 v5, v3
	v_mov_b32_e32 v6, v3
	v_mov_b32_e32 v7, v3
	v_mov_b32_e32 v8, v3
	v_mov_b32_e32 v9, v3
	s_waitcnt lgkmcnt(0)
	s_barrier
.LBB653_6:                              ; =>This Inner Loop Header: Depth=1
	s_add_i32 s66, s67, 1
	s_cmp_lt_i32 s66, s53
	s_mov_b64 s[28:29], 0
	s_cselect_b64 s[46:47], -1, 0
	s_cmp_ge_i32 s66, s53
	s_mov_b64 s[24:25], 0
	s_cbranch_scc1 .LBB653_8
; %bb.7:                                ;   in Loop: Header=BB653_6 Depth=1
	s_add_i32 s0, s62, 64
	s_add_u32 s0, s42, s0
	s_addc_u32 s1, s43, 0
	s_lshl_b64 s[0:1], s[0:1], 8
	s_add_u32 s24, s6, s0
	s_addc_u32 s25, s7, s1
.LBB653_8:                              ;   in Loop: Header=BB653_6 Depth=1
	v_cndmask_b32_e64 v10, 0, 1, s[46:47]
	v_cmp_ne_u32_e64 s[0:1], 1, v10
	s_andn2_b64 vcc, exec, s[46:47]
	s_cbranch_vccnz .LBB653_10
; %bb.9:                                ;   in Loop: Header=BB653_6 Depth=1
	s_add_i32 s28, s62, 64
	s_add_u32 s28, s48, s28
	s_addc_u32 s29, s65, 0
	s_mul_i32 s31, s28, s54
	s_mul_hi_u32 s46, s28, s58
	s_add_i32 s31, s46, s31
	s_mul_i32 s29, s29, s58
	s_add_i32 s31, s31, s29
	s_mul_i32 s28, s28, s58
	s_add_u32 s28, s28, s57
	s_addc_u32 s29, s31, s60
	s_lshl_b64 s[28:29], s[28:29], 8
	s_add_u32 s28, s4, s28
	s_addc_u32 s29, s5, s29
.LBB653_10:                             ;   in Loop: Header=BB653_6 Depth=1
	v_perm_b32 v11, v5, v4, s41
	v_perm_b32 v10, v3, v2, s41
	;; [unrolled: 1-line block ×4, first 2 shown]
	ds_write_b64 v73, v[10:11]
	ds_write_b64 v74, v[12:13]
	;; [unrolled: 1-line block ×4, first 2 shown]
	s_waitcnt lgkmcnt(0)
	s_barrier
	ds_read_b64 v[18:19], v77 offset:16384
	ds_read_b64 v[20:21], v79 offset:16384
	ds_read2st64_b64 v[10:13], v78 offset1:1
	ds_read2st64_b64 v[14:17], v78 offset0:2 offset1:3
	ds_read_b64 v[22:23], v80 offset:16384
	s_waitcnt lgkmcnt(2)
	v_mfma_f32_16x16x16_bf16 a[0:3], v[18:19], v[10:11], 0
	ds_read_b64 v[10:11], v81 offset:16384
	s_add_i32 s31, s62, 63
	s_mul_i32 s46, s31, s39
	v_mfma_f32_16x16x16_bf16 a[0:3], v[20:21], v[12:13], a[0:3]
	s_mul_hi_u32 s47, s31, s38
	s_add_i32 s47, s47, s46
	s_mul_i32 s46, s31, s38
	s_waitcnt lgkmcnt(1)
	v_mfma_f32_16x16x16_bf16 a[0:3], v[22:23], v[14:15], a[0:3]
	s_lshl_b64 s[46:47], s[46:47], 2
	s_add_u32 s46, s44, s46
	s_addc_u32 s47, s45, s47
	s_waitcnt lgkmcnt(0)
	v_mfma_f32_16x16x16_bf16 a[0:3], v[10:11], v[16:17], a[0:3]
	s_and_b64 vcc, exec, s[0:1]
	v_mov_b32_e32 v100, 0
	v_mov_b32_e32 v99, 0
	v_mov_b32_e32 v98, 0
	v_mov_b32_e32 v10, 0
	v_mov_b32_e32 v11, 0
	v_mov_b32_e32 v12, 0
	v_mov_b32_e32 v13, 0
	v_mov_b32_e32 v14, 0
	v_mov_b32_e32 v15, 0
	v_mov_b32_e32 v16, 0
	v_mov_b32_e32 v17, 0
	v_mov_b32_e32 v18, 0
	v_mov_b32_e32 v19, 0
	v_mov_b32_e32 v20, 0
	v_mov_b32_e32 v21, 0
	v_mov_b32_e32 v22, 0
	v_mov_b32_e32 v23, 0
	v_mov_b32_e32 v24, 0
	v_mov_b32_e32 v25, 0
	s_cbranch_vccnz .LBB653_12
; %bb.11:                               ;   in Loop: Header=BB653_6 Depth=1
	s_and_b32 s25, s25, 0xffff
	buffer_load_dwordx4 v[22:25], v69, s[24:27], 0 offen
	buffer_load_dwordx4 v[18:21], v69, s[24:27], s61 offen
	;; [unrolled: 1-line block ×4, first 2 shown]
	v_mov_b32_e32 v99, v71
	v_mov_b32_e32 v98, v72
.LBB653_12:                             ;   in Loop: Header=BB653_6 Depth=1
	v_add_u32_e32 v32, s62, v87
	v_ashrrev_i32_e32 v26, 31, v32
	v_mul_lo_u32 v28, v26, s38
	v_mul_lo_u32 v29, v32, s39
	v_mad_u64_u32 v[26:27], s[24:25], v32, s38, 0
	v_add3_u32 v27, v27, v29, v28
	v_add_u32_e32 v28, 1, v32
	v_ashrrev_i32_e32 v29, 31, v28
	v_mul_lo_u32 v30, v29, s38
	v_mul_lo_u32 v31, v28, s39
	v_mad_u64_u32 v[28:29], s[24:25], v28, s38, 0
	v_add3_u32 v29, v29, v31, v30
	v_add_u32_e32 v30, 2, v32
	v_ashrrev_i32_e32 v31, 31, v30
	v_mul_lo_u32 v33, v31, s38
	v_mul_lo_u32 v34, v30, s39
	v_mad_u64_u32 v[30:31], s[24:25], v30, s38, 0
	s_add_u32 s24, s42, s62
	v_add3_u32 v31, v31, v34, v33
	v_add_u32_e32 v34, 3, v32
	s_addc_u32 s25, s43, 0
	v_ashrrev_i32_e32 v32, 31, v34
	s_lshl_b64 s[68:69], s[24:25], 8
	v_lshl_add_u64 v[26:27], v[26:27], 2, s[44:45]
	v_mul_lo_u32 v35, v32, s38
	v_lshl_add_u64 v[32:33], v[56:57], 0, s[68:69]
	v_mul_lo_u32 v36, v34, s39
	global_load_ushort v46, v[32:33], off
	global_load_ushort v47, v[32:33], off offset:256
	global_load_ushort v48, v[32:33], off offset:512
	;; [unrolled: 1-line block ×3, first 2 shown]
	global_load_dword v50, v[26:27], off
	v_mad_u64_u32 v[26:27], s[24:25], v34, s38, 0
	v_lshl_add_u64 v[28:29], v[28:29], 2, s[44:45]
	v_add3_u32 v27, v27, v36, v35
	v_lshl_add_u64 v[30:31], v[30:31], 2, s[44:45]
	v_lshl_add_u64 v[26:27], v[26:27], 2, s[44:45]
	global_load_dword v51, v[28:29], off
	global_load_dword v52, v[30:31], off
	;; [unrolled: 1-line block ×3, first 2 shown]
	s_load_dword s24, s[46:47], 0x0
	ds_read_b64 v[34:35], v77 offset:24576
	ds_read2st64_b64 v[30:33], v82 offset1:1
	ds_read2st64_b64 v[36:39], v82 offset0:2 offset1:3
	ds_read_b64 v[40:41], v79 offset:24576
	ds_read_b64 v[42:43], v80 offset:24576
	;; [unrolled: 1-line block ×3, first 2 shown]
	s_waitcnt lgkmcnt(0)
	v_mfma_f32_16x16x16_bf16 a[0:3], v[34:35], v[30:31], a[0:3]
	v_mov_b32_e32 v101, 0
	v_mov_b32_e32 v26, 0
	;; [unrolled: 1-line block ×3, first 2 shown]
	v_mfma_f32_16x16x16_bf16 a[0:3], v[40:41], v[32:33], a[0:3]
	v_mov_b32_e32 v28, 0
	v_mov_b32_e32 v29, 0
	;; [unrolled: 1-line block ×3, first 2 shown]
	v_mfma_f32_16x16x16_bf16 a[0:3], v[42:43], v[36:37], a[0:3]
	v_lshl_add_u64 v[36:37], v[58:59], 0, s[68:69]
	v_mov_b32_e32 v31, 0
	v_mov_b32_e32 v32, 0
	v_mfma_f32_16x16x16_bf16 a[0:3], v[44:45], v[38:39], a[0:3]
	v_mov_b32_e32 v33, 0
	v_mov_b32_e32 v34, 0
	;; [unrolled: 1-line block ×3, first 2 shown]
	s_and_b64 vcc, exec, s[0:1]
	s_waitcnt vmcnt(7)
	v_lshlrev_b32_e32 v42, 16, v46
	s_nop 0
	v_accvgpr_read_b32 v41, a1
	v_accvgpr_read_b32 v39, a3
	;; [unrolled: 1-line block ×4, first 2 shown]
	s_waitcnt vmcnt(6)
	v_lshlrev_b32_e32 v43, 16, v47
	s_waitcnt vmcnt(4)
	v_lshlrev_b32_e32 v45, 16, v49
	v_lshlrev_b32_e32 v44, 16, v48
	s_waitcnt vmcnt(3)
	v_sub_f32_e32 v46, s24, v50
	v_pk_add_f32 v[40:41], v[42:43], v[40:41] neg_lo:[0,1] neg_hi:[0,1]
	v_pk_add_f32 v[38:39], v[44:45], v[38:39] neg_lo:[0,1] neg_hi:[0,1]
	s_waitcnt vmcnt(2)
	v_sub_f32_e32 v43, s24, v51
	s_waitcnt vmcnt(1)
	v_sub_f32_e32 v44, s24, v52
	;; [unrolled: 2-line block ×3, first 2 shown]
	v_exp_f32_e32 v42, v46
	v_exp_f32_e32 v43, v43
	;; [unrolled: 1-line block ×4, first 2 shown]
	global_store_short_d16_hi v[36:37], v40, off
	global_store_short_d16_hi v[36:37], v41, off offset:256
	global_store_short_d16_hi v[36:37], v38, off offset:512
	;; [unrolled: 1-line block ×3, first 2 shown]
	v_pk_mul_f32 v[36:37], v[42:43], v[40:41]
	v_pk_mul_f32 v[38:39], v[44:45], v[38:39]
	v_perm_b32 v36, v37, v36, s41
	v_perm_b32 v37, v39, v38, s41
	ds_write_b64 v74, v[36:37]
	v_mov_b32_e32 v36, 0
	v_mov_b32_e32 v37, 0
	;; [unrolled: 1-line block ×6, first 2 shown]
	s_cbranch_vccnz .LBB653_14
; %bb.13:                               ;   in Loop: Header=BB653_6 Depth=1
	s_and_b32 s29, s29, 0xffff
	s_mov_b32 s31, s27
	buffer_load_dwordx4 v[38:41], v85, s[28:31], 0 offen
	buffer_load_dwordx4 v[30:33], v85, s[28:31], s61 offen
	;; [unrolled: 1-line block ×4, first 2 shown]
	v_mov_b32_e32 v100, v68
	v_mov_b32_e32 v101, v67
.LBB653_14:                             ;   in Loop: Header=BB653_6 Depth=1
	s_waitcnt lgkmcnt(0)
	s_barrier
	ds_read_b64 v[42:43], v89
	ds_read_b64 v[48:49], v90
	ds_read2st64_b64 v[44:47], v82 offset1:1
	ds_read2st64_b64 v[102:105], v82 offset0:2 offset1:3
	ds_read_b64 v[50:51], v91
	ds_read_b64 v[110:111], v92
	s_add_i32 s25, s55, s67
	s_mul_hi_i32 s29, s25, s13
	s_mul_i32 s25, s25, s13
	s_waitcnt lgkmcnt(3)
	v_mfma_f32_16x16x16_bf16 a[0:3], v[42:43], v[44:45], 0
	ds_read_b64 v[42:43], v94
	s_add_u32 s28, s25, s33
	s_addc_u32 s29, s29, s59
	s_add_i32 s25, s3, s62
	v_mfma_f32_16x16x16_bf16 a[0:3], v[48:49], v[46:47], a[0:3]
	ds_read_b64 v[48:49], v95
	s_lshl_b64 s[28:29], s[28:29], 15
	s_mul_hi_i32 s31, s25, s13
	s_mul_i32 s25, s25, s13
	s_add_u32 s46, s25, s33
	s_addc_u32 s47, s31, s59
	s_lshl_b64 s[46:47], s[46:47], 9
	s_add_u32 s46, s36, s46
	s_waitcnt lgkmcnt(1)
	v_mfma_f32_16x16x16_bf16 a[4:7], v[42:43], v[44:45], 0
	s_addc_u32 s47, s37, s47
	s_and_b64 vcc, exec, s[0:1]
	v_mfma_f32_16x16x16_bf16 a[0:3], v[50:51], v[102:103], a[0:3]
	ds_read_b64 v[50:51], v96
	ds_read_b64 v[112:113], v97
	global_load_dwordx4 v[42:45], v93, s[46:47]
	s_waitcnt lgkmcnt(2)
	v_mfma_f32_16x16x16_bf16 a[4:7], v[48:49], v[46:47], a[4:7]
	global_load_dwordx4 v[46:49], v88, s[46:47]
	ds_read_b64 v[106:107], v83
	ds_read_b64 v[108:109], v84
	s_waitcnt lgkmcnt(3)
	v_mfma_f32_16x16x16_bf16 a[8:11], v[50:51], v[102:103], a[4:7]
	v_lshl_add_u64 v[50:51], v[54:55], 0, s[28:29]
	s_waitcnt lgkmcnt(0)
	global_store_dwordx4 v[50:51], v[106:109], off
	v_mfma_f32_16x16x16_bf16 a[4:7], v[110:111], v[104:105], a[0:3]
	s_waitcnt vmcnt(2)
	v_mov_b32_e32 v52, v45
	v_mfma_f32_16x16x16_bf16 a[0:3], v[112:113], v[104:105], a[8:11]
	v_mov_b32_e32 v51, v44
	v_mov_b32_e32 v50, v43
	s_cbranch_vccnz .LBB653_16
; %bb.15:                               ;   in Loop: Header=BB653_6 Depth=1
	v_lshrrev_b32_e32 v43, 3, v100
	v_and_b32_e32 v43, 6, v43
	v_xor_b32_e32 v44, v43, v101
	v_lshlrev_b32_e32 v44, 2, v44
	v_and_b32_e32 v45, 8, v100
	v_xor_b32_e32 v100, 0x440, v44
	v_cmp_eq_u32_e32 vcc, 0, v45
	v_perm_b32 v45, v30, v26, s63
	s_nop 0
	v_cndmask_b32_e32 v44, v100, v44, vcc
	v_lshl_or_b32 v43, v43, 10, v44
	v_perm_b32 v44, v38, v34, s63
	s_barrier
	ds_write2st64_b32 v43, v44, v45 offset1:32
	v_xor_b32_e32 v44, 8, v43
	v_perm_b32 v34, v38, v34, s64
	v_perm_b32 v26, v30, v26, s64
	v_add_u32_e32 v30, 0x80, v44
	ds_write2st64_b32 v30, v34, v26 offset1:32
	v_xor_b32_e32 v26, 16, v43
	v_perm_b32 v30, v39, v35, s63
	v_perm_b32 v34, v31, v27, s63
	ds_write2st64_b32 v26, v30, v34 offset0:1 offset1:33
	v_xor_b32_e32 v26, 24, v43
	v_perm_b32 v30, v39, v35, s64
	v_perm_b32 v27, v31, v27, s64
	v_add_u32_e32 v26, 0x80, v26
	ds_write2st64_b32 v26, v30, v27 offset0:1 offset1:33
	v_xor_b32_e32 v26, 32, v43
	v_perm_b32 v27, v40, v36, s63
	v_perm_b32 v30, v32, v28, s63
	ds_write2st64_b32 v26, v27, v30 offset0:2 offset1:34
	v_xor_b32_e32 v26, 40, v43
	v_perm_b32 v27, v40, v36, s64
	v_perm_b32 v28, v32, v28, s64
	v_add_u32_e32 v26, 0x80, v26
	ds_write2st64_b32 v26, v27, v28 offset0:2 offset1:34
	;; [unrolled: 9-line block ×3, first 2 shown]
	ds_write_b64 v99, v[22:23] offset:16384
	v_xor_b32_e32 v22, 8, v99
	ds_write_b64 v22, v[24:25] offset:16384
	ds_write_b64 v99, v[18:19] offset:24576
	;; [unrolled: 1-line block ×4, first 2 shown]
	v_xor_b32_e32 v14, 8, v98
	ds_write_b64 v14, v[16:17] offset:16384
	ds_write_b64 v98, v[10:11] offset:24576
	;; [unrolled: 1-line block ×3, first 2 shown]
.LBB653_16:                             ;   in Loop: Header=BB653_6 Depth=1
	v_exp_f32_e32 v18, s24
	s_waitcnt vmcnt(1)
	v_exp_f32_e32 v20, v46
	v_exp_f32_e32 v21, v47
	;; [unrolled: 1-line block ×4, first 2 shown]
	v_accvgpr_read_b32 v13, a7
	v_accvgpr_read_b32 v11, a5
	v_accvgpr_read_b32 v10, a4
	v_pk_mul_f32 v[20:21], v[18:19], v[20:21] op_sel_hi:[0,1]
	v_pk_fma_f32 v[2:3], v[2:3], v[20:21], v[10:11]
	v_exp_f32_e32 v20, v42
	v_exp_f32_e32 v21, v50
	v_pk_mul_f32 v[10:11], v[18:19], v[22:23] op_sel_hi:[0,1]
	v_exp_f32_e32 v22, v51
	v_exp_f32_e32 v23, v52
	v_accvgpr_read_b32 v12, a6
	v_accvgpr_read_b32 v17, a3
	;; [unrolled: 1-line block ×4, first 2 shown]
	v_pk_fma_f32 v[4:5], v[4:5], v[10:11], v[12:13]
	v_pk_mul_f32 v[10:11], v[18:19], v[20:21] op_sel_hi:[0,1]
	v_accvgpr_read_b32 v16, a2
	v_pk_fma_f32 v[6:7], v[6:7], v[10:11], v[14:15]
	v_pk_mul_f32 v[10:11], v[18:19], v[22:23] op_sel_hi:[0,1]
	s_add_i32 s62, s62, 64
	s_cmp_eq_u32 s53, s66
	v_pk_fma_f32 v[8:9], v[8:9], v[10:11], v[16:17]
	s_cbranch_scc1 .LBB653_18
; %bb.17:                               ;   in Loop: Header=BB653_6 Depth=1
	s_mov_b32 s67, s66
	s_branch .LBB653_6
.LBB653_18:
	s_lshl_b32 s46, s53, 6
	s_sub_i32 s47, s12, s46
	s_cmp_gt_i32 s47, 0
	v_or_b32_e32 v34, s2, v63
	s_cbranch_scc1 .LBB653_20
; %bb.19:
	s_ashr_i32 s0, s33, 31
	s_add_u32 s28, s50, s33
	s_addc_u32 s29, s56, s0
	v_or_b32_e32 v10, s2, v63
	s_cbranch_execz .LBB653_21
	s_branch .LBB653_77
.LBB653_20:
                                        ; implicit-def: $sgpr28_sgpr29
                                        ; implicit-def: $vgpr10
.LBB653_21:
	s_ashr_i32 s41, s52, 31
	s_ashr_i32 s3, s46, 31
	s_cmpk_lg_i32 s15, 0x80
	s_cselect_b64 s[42:43], -1, 0
	s_and_b64 vcc, exec, s[42:43]
	s_cbranch_vccz .LBB653_23
; %bb.22:
	s_mul_hi_i32 s0, s52, s12
	s_add_u32 s1, s48, s46
	s_addc_u32 s0, s0, s3
	s_mul_i32 s24, s1, s54
	s_mul_hi_u32 s25, s1, s14
	s_add_i32 s24, s25, s24
	s_mul_i32 s0, s0, s14
	s_add_i32 s24, s24, s0
	s_mul_i32 s1, s1, s14
	s_ashr_i32 s0, s57, 31
	s_add_u32 s44, s1, s57
	s_addc_u32 s45, s24, s0
	s_cbranch_execz .LBB653_24
	s_branch .LBB653_25
.LBB653_23:
                                        ; implicit-def: $sgpr44_sgpr45
.LBB653_24:
	s_mul_hi_i32 s0, s52, s14
	s_mul_i32 s52, s52, s14
	s_ashr_i32 s1, s57, 31
	s_add_u32 s14, s52, s57
	s_addc_u32 s0, s0, s1
	s_mul_i32 s1, s14, s51
	s_mul_hi_u32 s24, s14, s12
	s_add_i32 s1, s24, s1
	s_mul_i32 s0, s0, s12
	s_add_i32 s1, s1, s0
	s_mul_i32 s14, s14, s12
	s_add_u32 s44, s14, s46
	s_addc_u32 s45, s1, s3
.LBB653_25:
	s_add_i32 s24, s55, s53
	s_ashr_i32 s14, s33, 31
	s_add_u32 s28, s50, s33
	s_addc_u32 s29, s56, s14
	s_mul_i32 s0, s28, s51
	s_mul_hi_u32 s1, s28, s12
	s_add_i32 s0, s1, s0
	s_mul_i32 s1, s29, s12
	s_add_i32 s1, s0, s1
	s_mul_i32 s0, s28, s12
	s_add_u32 s0, s0, s46
	s_addc_u32 s1, s1, s3
	s_mov_b32 s3, 0x7060302
	v_lshlrev_b32_e32 v14, 3, v63
	s_lshl_b64 s[30:31], s[0:1], 8
	v_perm_b32 v11, v5, v4, s3
	v_perm_b32 v10, v3, v2, s3
	;; [unrolled: 1-line block ×4, first 2 shown]
	v_lshlrev_b32_e32 v44, 2, v63
	v_lshl_or_b32 v14, v1, 5, v14
	s_add_u32 s0, s6, s30
	ds_write2st64_b64 v14, v[10:11], v[12:13] offset0:72 offset1:76
	v_xor_b32_e32 v14, v1, v44
	v_lshlrev_b32_e32 v15, 8, v63
	s_addc_u32 s1, s7, s31
	v_lshl_or_b32 v14, v14, 1, v15
	s_mul_hi_i32 s3, s24, s13
	s_mul_i32 s24, s24, s13
	ds_write_b64 v14, v[10:11] offset:32768
	v_xor_b32_e32 v10, v66, v44
	s_add_u32 s6, s24, s33
	v_lshl_or_b32 v10, v10, 1, v15
	s_addc_u32 s7, s3, s14
	v_lshlrev_b32_e32 v11, 1, v63
	ds_write_b64 v10, v[12:13] offset:32768
	v_lshrrev_b32_e32 v10, 4, v0
	s_ashr_i32 s3, s2, 31
	s_lshl_b64 s[6:7], s[6:7], 15
	v_or_b32_e32 v12, 1, v11
	s_add_u32 s6, s16, s6
	v_xor_b32_e32 v11, v10, v11
	v_xor_b32_e32 v12, v12, v10
	v_lshlrev_b32_e32 v14, 8, v10
	s_addc_u32 s7, s17, s7
	s_lshl_b64 s[2:3], s[2:3], 8
	v_lshl_or_b32 v10, v11, 3, v14
	v_lshl_or_b32 v12, v12, 3, v14
	s_waitcnt lgkmcnt(0)
	s_barrier
	s_add_u32 s2, s6, s2
	ds_read_b64 v[10:11], v10 offset:32768
	ds_read_b64 v[12:13], v12 offset:32768
	s_addc_u32 s3, s7, s3
	v_mov_b32_e32 v15, 0
	s_cmp_lg_u32 s47, 64
	v_lshl_add_u64 v[16:17], s[2:3], 0, v[14:15]
	v_lshlrev_b32_e32 v14, 4, v63
	s_cselect_b64 s[6:7], -1, 0
	v_lshl_or_b32 v35, v53, 3, v65
	s_mov_b32 s24, 0
	v_lshl_add_u64 v[14:15], v[16:17], 0, v[14:15]
	v_or_b32_e32 v27, 32, v35
	v_and_b32_e32 v26, 56, v64
	s_and_b64 vcc, exec, s[6:7]
	s_waitcnt lgkmcnt(0)
	global_store_dwordx4 v[14:15], v[10:13], off
	s_cbranch_vccz .LBB653_31
; %bb.26:
	s_mov_b32 s25, s24
	s_mov_b32 s26, s24
	;; [unrolled: 1-line block ×3, first 2 shown]
	v_mov_b64_e32 v[14:15], s[24:25]
	v_mov_b64_e32 v[16:17], s[26:27]
	;; [unrolled: 1-line block ×3, first 2 shown]
	v_cmp_gt_i32_e32 vcc, s47, v35
	v_mov_b64_e32 v[12:13], v[16:17]
	s_and_saveexec_b64 s[2:3], vcc
	s_cbranch_execz .LBB653_28
; %bb.27:
	v_lshlrev_b32_e32 v10, 8, v35
	v_mov_b32_e32 v11, 0
	v_lshl_add_u64 v[12:13], s[0:1], 0, v[10:11]
	v_lshlrev_b32_e32 v10, 1, v26
	v_lshl_add_u64 v[18:19], v[12:13], 0, v[10:11]
	global_load_dwordx4 v[14:17], v[18:19], off
	global_load_dwordx4 v[10:13], v[18:19], off offset:128
.LBB653_28:
	s_or_b64 exec, exec, s[2:3]
	s_mov_b32 s25, s24
	s_mov_b32 s26, s24
	;; [unrolled: 1-line block ×3, first 2 shown]
	v_mov_b64_e32 v[22:23], s[24:25]
	v_mov_b64_e32 v[24:25], s[26:27]
	;; [unrolled: 1-line block ×3, first 2 shown]
	v_cmp_gt_i32_e32 vcc, s47, v27
	v_lshlrev_b32_e32 v28, 7, v27
	v_mov_b64_e32 v[20:21], v[24:25]
	s_and_saveexec_b64 s[2:3], vcc
	s_cbranch_execz .LBB653_30
; %bb.29:
	v_lshlrev_b32_e32 v18, 1, v28
	v_mov_b32_e32 v19, 0
	v_lshl_add_u64 v[20:21], s[0:1], 0, v[18:19]
	v_lshlrev_b32_e32 v18, 1, v26
	v_lshl_add_u64 v[30:31], v[20:21], 0, v[18:19]
	global_load_dwordx4 v[22:25], v[30:31], off
	global_load_dwordx4 v[18:21], v[30:31], off offset:128
.LBB653_30:
	s_or_b64 exec, exec, s[2:3]
	v_lshrrev_b32_e32 v29, 3, v26
	v_lshlrev_b32_e32 v30, 3, v35
	v_or_b32_e32 v29, v30, v29
	v_lshlrev_b32_e32 v29, 4, v29
	v_and_b32_e32 v30, 0x78, v30
	v_xor_b32_e32 v29, v29, v30
	s_branch .LBB653_33
.LBB653_31:
                                        ; implicit-def: $vgpr29
                                        ; implicit-def: $vgpr28
                                        ; implicit-def: $vgpr14_vgpr15_vgpr16_vgpr17
                                        ; implicit-def: $vgpr10_vgpr11_vgpr12_vgpr13
                                        ; implicit-def: $vgpr22_vgpr23_vgpr24_vgpr25
                                        ; implicit-def: $vgpr18_vgpr19_vgpr20_vgpr21
	s_cbranch_execz .LBB653_33
; %bb.32:
	s_waitcnt vmcnt(0)
	v_lshlrev_b32_e32 v10, 1, v26
	v_lshl_or_b32 v28, v35, 8, v10
	s_and_b32 s1, s1, 0xffff
	s_mov_b32 s3, 0x20000
	s_movk_i32 s2, 0x4000
	v_lshl_or_b32 v29, v27, 8, v10
	s_movk_i32 s16, 0x80
	buffer_load_dwordx4 v[14:17], v28, s[0:3], 0 offen
	buffer_load_dwordx4 v[10:13], v28, s[0:3], s16 offen
	;; [unrolled: 1-line block ×4, first 2 shown]
	v_lshrrev_b32_e32 v28, 3, v26
	v_lshlrev_b32_e32 v29, 3, v35
	v_or_b32_e32 v28, v29, v28
	v_lshlrev_b32_e32 v28, 4, v28
	v_and_b32_e32 v29, 0x78, v29
	v_xor_b32_e32 v29, v28, v29
	v_lshlrev_b32_e32 v28, 7, v27
.LBB653_33:
	s_lshl_b64 s[0:1], s[44:45], 8
	s_add_u32 s4, s4, s0
	s_movk_i32 s0, 0x1000
	v_and_or_b32 v27, v28, s0, v29
	s_waitcnt vmcnt(1)
	ds_write_b64 v29, v[14:15] offset:16384
	v_xor_b32_e32 v14, 8, v29
	s_addc_u32 s5, s5, s1
	ds_write_b64 v14, v[16:17] offset:16384
	s_waitcnt vmcnt(0)
	ds_write_b64 v29, v[10:11] offset:24576
	ds_write_b64 v14, v[12:13] offset:24576
	ds_write_b64 v27, v[22:23] offset:16384
	v_xor_b32_e32 v10, 8, v27
	s_add_i32 s16, s12, -1
	ds_write_b64 v10, v[24:25] offset:16384
	ds_write_b64 v27, v[18:19] offset:24576
	;; [unrolled: 1-line block ×3, first 2 shown]
	s_mul_i32 s3, s16, s39
	s_mul_hi_u32 s12, s16, s38
	v_or_b32_e32 v10, v60, v63
	s_add_i32 s3, s12, s3
	v_lshlrev_b32_e32 v10, 3, v10
	v_lshrrev_b32_e32 v12, 5, v61
	s_movk_i32 s12, 0xf8
	v_and_or_b32 v12, v10, s12, v12
	v_lshlrev_b32_e32 v45, 11, v53
	v_lshlrev_b32_e32 v20, 4, v12
	v_and_b32_e32 v21, 0x78, v10
	v_and_b32_e32 v22, 0x1000, v45
	v_lshlrev_b32_e32 v11, 2, v0
	v_xor_b32_e32 v10, v20, v21
	v_lshrrev_b32_e32 v12, 1, v61
	v_and_b32_e32 v11, 60, v11
	v_or_b32_e32 v10, v10, v22
	v_and_b32_e32 v23, 8, v12
	v_xor_b32_e32 v36, v10, v23
	v_lshl_or_b32 v10, v62, 6, v11
	v_lshlrev_b32_e32 v46, 1, v10
	v_or_b32_e32 v10, 32, v20
	v_xor_b32_e32 v10, v10, v21
	s_waitcnt lgkmcnt(0)
	s_barrier
	ds_read_b64 v[18:19], v36 offset:16384
	v_or_b32_e32 v10, v10, v22
	v_xor_b32_e32 v37, v10, v23
	v_or_b32_e32 v10, 64, v20
	v_xor_b32_e32 v10, v10, v21
	v_or_b32_e32 v10, v10, v22
	v_or_b32_e32 v20, 0x60, v20
	v_xor_b32_e32 v38, v10, v23
	ds_read2st64_b64 v[10:13], v46 offset0:72 offset1:73
	ds_read2st64_b64 v[14:17], v46 offset0:74 offset1:75
	v_xor_b32_e32 v24, v20, v21
	ds_read_b64 v[20:21], v37 offset:16384
	s_waitcnt lgkmcnt(2)
	v_mfma_f32_16x16x16_bf16 a[0:3], v[18:19], v[10:11], 0
	s_add_i32 s0, s49, s21
	s_mul_i32 s41, s41, s20
	s_add_i32 s41, s0, s41
	s_mul_i32 s0, s33, s23
	s_mul_hi_u32 s1, s33, s22
	s_ashr_i32 s2, s16, 31
	s_add_i32 s0, s1, s0
	s_mul_i32 s1, s14, s22
	s_mul_i32 s2, s2, s38
	v_or_b32_e32 v22, v24, v22
	s_add_i32 s1, s0, s1
	s_add_i32 s3, s3, s2
	s_lshl_b64 s[20:21], s[40:41], 2
	v_xor_b32_e32 v47, v22, v23
	ds_read_b64 v[22:23], v38 offset:16384
	ds_read_b64 v[24:25], v47 offset:16384
	s_waitcnt lgkmcnt(2)
	v_mfma_f32_16x16x16_bf16 a[0:3], v[20:21], v[12:13], a[0:3]
	s_mul_i32 s0, s33, s22
	s_add_u32 s10, s10, s20
	s_addc_u32 s11, s11, s21
	s_lshl_b64 s[0:1], s[0:1], 2
	s_mul_i32 s2, s16, s38
	s_add_u32 s10, s10, s0
	s_addc_u32 s11, s11, s1
	s_lshl_b64 s[0:1], s[2:3], 2
	s_waitcnt lgkmcnt(1)
	v_mfma_f32_16x16x16_bf16 a[0:3], v[22:23], v[14:15], a[0:3]
	s_add_u32 s0, s10, s0
	s_addc_u32 s1, s11, s1
	s_load_dword s12, s[0:1], 0x0
	s_waitcnt lgkmcnt(0)
	v_mfma_f32_16x16x16_bf16 a[0:3], v[24:25], v[16:17], a[0:3]
	s_and_b64 vcc, exec, s[42:43]
	s_cbranch_vccz .LBB653_44
; %bb.34:
	v_lshlrev_b32_e32 v27, 1, v35
	s_and_b64 vcc, exec, s[6:7]
	s_cbranch_vccz .LBB653_45
; %bb.35:
	v_cmp_gt_i32_e32 vcc, s47, v27
	v_mov_b32_e32 v14, 0
	v_mov_b32_e32 v10, 0
	;; [unrolled: 1-line block ×5, first 2 shown]
	s_and_saveexec_b64 s[0:1], vcc
	s_cbranch_execz .LBB653_37
; %bb.36:
	v_mad_i64_i32 v[10:11], s[2:3], s15, v27, 0
	v_lshl_add_u64 v[10:11], v[10:11], 1, s[4:5]
	v_lshlrev_b32_e32 v12, 1, v26
	v_mov_b32_e32 v13, 0
	v_lshl_add_u64 v[10:11], v[10:11], 0, v[12:13]
	global_load_dwordx4 v[10:13], v[10:11], off
.LBB653_37:
	s_or_b64 exec, exec, s[0:1]
	v_or_b32_e32 v28, 1, v27
	v_cmp_gt_i32_e64 s[0:1], s47, v28
	v_mov_b32_e32 v15, 0
	v_mov_b32_e32 v16, 0
	;; [unrolled: 1-line block ×3, first 2 shown]
	s_and_saveexec_b64 s[2:3], s[0:1]
	s_cbranch_execz .LBB653_39
; %bb.38:
	v_mad_i64_i32 v[14:15], s[20:21], s15, v28, 0
	v_lshl_add_u64 v[14:15], v[14:15], 1, s[4:5]
	v_lshlrev_b32_e32 v16, 1, v26
	v_mov_b32_e32 v17, 0
	v_lshl_add_u64 v[14:15], v[14:15], 0, v[16:17]
	global_load_dwordx4 v[14:17], v[14:15], off
.LBB653_39:
	s_or_b64 exec, exec, s[2:3]
	v_mov_b32_e32 v25, 0
	v_mov_b32_e32 v18, 0
	;; [unrolled: 1-line block ×5, first 2 shown]
	s_and_saveexec_b64 s[2:3], vcc
	s_cbranch_execz .LBB653_41
; %bb.40:
	v_mad_i64_i32 v[18:19], s[20:21], s15, v27, 0
	v_lshl_add_u64 v[18:19], v[18:19], 1, s[4:5]
	v_lshlrev_b32_e32 v20, 1, v26
	v_mov_b32_e32 v21, 0
	v_lshl_add_u64 v[18:19], v[18:19], 0, v[20:21]
	global_load_dwordx4 v[18:21], v[18:19], off offset:128
.LBB653_41:
	s_or_b64 exec, exec, s[2:3]
	v_mov_b32_e32 v24, 0
	v_mov_b32_e32 v23, 0
	;; [unrolled: 1-line block ×3, first 2 shown]
	s_and_saveexec_b64 s[2:3], s[0:1]
	s_cbranch_execz .LBB653_43
; %bb.42:
	v_mad_i64_i32 v[22:23], s[0:1], s15, v28, 0
	v_lshl_add_u64 v[22:23], v[22:23], 1, s[4:5]
	v_lshlrev_b32_e32 v24, 1, v26
	v_mov_b32_e32 v25, 0
	v_lshl_add_u64 v[22:23], v[22:23], 0, v[24:25]
	global_load_dwordx4 v[22:25], v[22:23], off offset:128
.LBB653_43:
	s_or_b64 exec, exec, s[2:3]
	s_branch .LBB653_47
.LBB653_44:
                                        ; implicit-def: $vgpr13
                                        ; implicit-def: $vgpr17
                                        ; implicit-def: $vgpr21
                                        ; implicit-def: $vgpr25
	v_lshrrev_b32_e32 v27, 2, v61
	s_branch .LBB653_48
.LBB653_45:
                                        ; implicit-def: $vgpr13
                                        ; implicit-def: $vgpr17
                                        ; implicit-def: $vgpr21
                                        ; implicit-def: $vgpr25
	s_cbranch_execz .LBB653_47
; %bb.46:
	s_waitcnt vmcnt(0)
	v_mad_u64_u32 v[10:11], s[0:1], v27, s15, v[26:27]
	v_lshlrev_b32_e32 v27, 1, v10
	s_lshl_b32 s2, s15, 7
	s_and_b32 s1, s5, 0xffff
	s_mov_b32 s3, 0x20000
	s_mov_b32 s0, s4
	v_add_lshl_u32 v28, v10, s15, 1
	s_movk_i32 s15, 0x80
	buffer_load_dwordx4 v[10:13], v27, s[0:3], 0 offen
	buffer_load_dwordx4 v[18:21], v27, s[0:3], s15 offen
	buffer_load_dwordx4 v[14:17], v28, s[0:3], 0 offen
	buffer_load_dwordx4 v[22:25], v28, s[0:3], s15 offen
.LBB653_47:
	v_lshrrev_b32_e32 v27, 2, v61
	s_cbranch_execnz .LBB653_60
.LBB653_48:
	s_and_b64 vcc, exec, s[6:7]
	s_cbranch_vccz .LBB653_58
; %bb.49:
	s_waitcnt vmcnt(0)
	v_lshlrev_b32_e32 v15, 1, v35
	v_cmp_gt_i32_e32 vcc, s47, v15
	v_mov_b32_e32 v14, 0
	v_lshlrev_b32_e32 v22, 9, v35
	v_mov_b32_e32 v10, 0
	v_mov_b32_e32 v11, 0
	;; [unrolled: 1-line block ×4, first 2 shown]
	s_and_saveexec_b64 s[0:1], vcc
	s_cbranch_execz .LBB653_51
; %bb.50:
	v_mov_b32_e32 v23, 0
	v_lshl_add_u64 v[10:11], s[4:5], 0, v[22:23]
	v_lshlrev_b32_e32 v12, 1, v26
	v_mov_b32_e32 v13, v23
	v_lshl_add_u64 v[10:11], v[10:11], 0, v[12:13]
	global_load_dwordx4 v[10:13], v[10:11], off
.LBB653_51:
	s_or_b64 exec, exec, s[0:1]
	v_or_b32_e32 v15, 1, v15
	v_cmp_gt_i32_e64 s[0:1], s47, v15
	v_lshlrev_b32_e32 v28, 8, v15
	v_mov_b32_e32 v15, 0
	v_mov_b32_e32 v16, 0
	;; [unrolled: 1-line block ×3, first 2 shown]
	s_and_saveexec_b64 s[2:3], s[0:1]
	s_cbranch_execz .LBB653_53
; %bb.52:
	v_mov_b32_e32 v29, 0
	v_lshl_add_u64 v[14:15], s[4:5], 0, v[28:29]
	v_lshlrev_b32_e32 v16, 1, v26
	v_mov_b32_e32 v17, v29
	v_lshl_add_u64 v[14:15], v[14:15], 0, v[16:17]
	global_load_dwordx4 v[14:17], v[14:15], off
.LBB653_53:
	s_or_b64 exec, exec, s[2:3]
	v_mov_b32_e32 v25, 0
	v_mov_b32_e32 v18, 0
	v_mov_b32_e32 v19, 0
	v_mov_b32_e32 v20, 0
	v_mov_b32_e32 v21, 0
	s_and_saveexec_b64 s[2:3], vcc
	s_cbranch_execz .LBB653_55
; %bb.54:
	v_mov_b32_e32 v23, 0
	v_lshl_add_u64 v[18:19], s[4:5], 0, v[22:23]
	v_lshlrev_b32_e32 v22, 1, v26
	v_lshl_add_u64 v[18:19], v[18:19], 0, v[22:23]
	global_load_dwordx4 v[18:21], v[18:19], off offset:128
.LBB653_55:
	s_or_b64 exec, exec, s[2:3]
	v_mov_b32_e32 v24, 0
	v_mov_b32_e32 v23, 0
	;; [unrolled: 1-line block ×3, first 2 shown]
	s_and_saveexec_b64 s[2:3], s[0:1]
	s_cbranch_execz .LBB653_57
; %bb.56:
	v_mov_b32_e32 v29, 0
	v_lshl_add_u64 v[22:23], s[4:5], 0, v[28:29]
	v_lshlrev_b32_e32 v28, 1, v26
	v_lshl_add_u64 v[22:23], v[22:23], 0, v[28:29]
	global_load_dwordx4 v[22:25], v[22:23], off offset:128
.LBB653_57:
	s_or_b64 exec, exec, s[2:3]
	s_branch .LBB653_60
.LBB653_58:
                                        ; implicit-def: $vgpr13
                                        ; implicit-def: $vgpr17
                                        ; implicit-def: $vgpr21
                                        ; implicit-def: $vgpr25
	s_cbranch_execz .LBB653_60
; %bb.59:
	s_waitcnt vmcnt(0)
	v_lshlrev_b32_e32 v10, 1, v26
	v_lshl_or_b32 v26, v35, 9, v10
	s_and_b32 s5, s5, 0xffff
	s_mov_b32 s7, 0x20000
	s_movk_i32 s6, 0x4000
	s_movk_i32 s0, 0x80
	buffer_load_dwordx4 v[10:13], v26, s[4:7], 0 offen
	buffer_load_dwordx4 v[14:17], v26, s[4:7], 0 offen offset:256
	buffer_load_dwordx4 v[18:21], v26, s[4:7], s0 offen
	buffer_load_dwordx4 v[22:25], v26, s[4:7], s0 offen offset:256
.LBB653_60:
	v_and_b32_e32 v48, 12, v27
	ds_read2st64_b64 v[30:33], v46 offset0:76 offset1:77
	ds_read2st64_b64 v[26:29], v46 offset0:78 offset1:79
	ds_read_b64 v[42:43], v36 offset:24576
	ds_read_b64 v[40:41], v37 offset:24576
	;; [unrolled: 1-line block ×4, first 2 shown]
	v_and_b32_e32 v47, 6, v0
	v_xor_b32_e32 v35, v35, v47
	v_lshlrev_b32_e32 v35, 2, v35
	v_and_b32_e32 v49, 1, v0
	v_xor_b32_e32 v50, 0x440, v35
	v_cmp_eq_u32_e32 vcc, 0, v49
	s_mov_b32 s0, 0x1000504
	s_waitcnt vmcnt(0)
	v_perm_b32 v49, v18, v22, s0
	v_cndmask_b32_e32 v35, v50, v35, vcc
	v_lshl_or_b32 v35, v47, 10, v35
	v_perm_b32 v47, v10, v14, s0
	ds_write2st64_b32 v35, v47, v49 offset1:32
	v_xor_b32_e32 v47, 8, v35
	s_mov_b32 s1, 0x3020706
	v_perm_b32 v10, v10, v14, s1
	v_perm_b32 v14, v18, v22, s1
	v_add_u32_e32 v18, 0x80, v47
	ds_write2st64_b32 v18, v10, v14 offset1:32
	v_xor_b32_e32 v10, 16, v35
	v_perm_b32 v14, v11, v15, s0
	v_perm_b32 v18, v19, v23, s0
	ds_write2st64_b32 v10, v14, v18 offset0:1 offset1:33
	v_xor_b32_e32 v10, 24, v35
	v_perm_b32 v11, v11, v15, s1
	v_perm_b32 v14, v19, v23, s1
	v_add_u32_e32 v10, 0x80, v10
	ds_write2st64_b32 v10, v11, v14 offset0:1 offset1:33
	v_xor_b32_e32 v10, 32, v35
	v_perm_b32 v11, v12, v16, s0
	v_perm_b32 v14, v20, v24, s0
	ds_write2st64_b32 v10, v11, v14 offset0:2 offset1:34
	v_xor_b32_e32 v10, 40, v35
	v_perm_b32 v11, v12, v16, s1
	v_perm_b32 v12, v20, v24, s1
	v_add_u32_e32 v10, 0x80, v10
	ds_write2st64_b32 v10, v11, v12 offset0:2 offset1:34
	v_xor_b32_e32 v10, 48, v35
	v_perm_b32 v11, v13, v17, s0
	v_perm_b32 v12, v21, v25, s0
	ds_write2st64_b32 v10, v11, v12 offset0:3 offset1:35
	v_xor_b32_e32 v10, 56, v35
	v_or_b32_e32 v18, v48, v60
	v_perm_b32 v11, v13, v17, s1
	v_perm_b32 v12, v21, v25, s1
	v_add_u32_e32 v10, 0x80, v10
	v_cmp_gt_i32_e64 s[2:3], s47, v18
	v_mov_b32_e32 v20, 0
	v_mov_b32_e32 v25, 0
	ds_write2st64_b32 v10, v11, v12 offset0:3 offset1:35
	s_and_saveexec_b64 s[0:1], s[2:3]
	s_cbranch_execz .LBB653_62
; %bb.61:
	v_add_u32_e32 v10, s46, v18
	v_ashrrev_i32_e32 v11, 31, v10
	v_mul_lo_u32 v12, v11, s38
	v_mul_lo_u32 v13, v10, s39
	v_mad_u64_u32 v[10:11], s[4:5], v10, s38, 0
	v_add3_u32 v11, v11, v13, v12
	v_lshl_add_u64 v[10:11], v[10:11], 2, s[10:11]
	global_load_dword v10, v[10:11], off
	s_waitcnt vmcnt(0)
	v_sub_f32_e32 v10, s12, v10
	v_exp_f32_e32 v25, v10
.LBB653_62:
	s_or_b64 exec, exec, s[0:1]
	v_or_b32_e32 v23, 1, v18
	v_cmp_gt_i32_e64 s[4:5], s47, v23
	s_and_saveexec_b64 s[0:1], s[4:5]
	s_cbranch_execz .LBB653_64
; %bb.63:
	v_add_u32_e32 v10, s46, v23
	v_ashrrev_i32_e32 v11, 31, v10
	v_mul_lo_u32 v12, v11, s38
	v_mul_lo_u32 v13, v10, s39
	v_mad_u64_u32 v[10:11], s[6:7], v10, s38, 0
	v_add3_u32 v11, v11, v13, v12
	v_lshl_add_u64 v[10:11], v[10:11], 2, s[10:11]
	global_load_dword v10, v[10:11], off
	s_waitcnt vmcnt(0)
	v_sub_f32_e32 v10, s12, v10
	v_exp_f32_e32 v20, v10
.LBB653_64:
	s_or_b64 exec, exec, s[0:1]
	v_or_b32_e32 v22, 2, v18
	v_cmp_gt_i32_e64 s[0:1], s47, v22
	v_mov_b32_e32 v19, 0
	v_mov_b32_e32 v24, 0
	s_and_saveexec_b64 s[6:7], s[0:1]
	s_cbranch_execz .LBB653_66
; %bb.65:
	v_add_u32_e32 v10, s46, v22
	v_ashrrev_i32_e32 v11, 31, v10
	v_mul_lo_u32 v12, v11, s38
	v_mul_lo_u32 v13, v10, s39
	v_mad_u64_u32 v[10:11], s[20:21], v10, s38, 0
	v_add3_u32 v11, v11, v13, v12
	v_lshl_add_u64 v[10:11], v[10:11], 2, s[10:11]
	global_load_dword v10, v[10:11], off
	s_waitcnt vmcnt(0)
	v_sub_f32_e32 v10, s12, v10
	v_exp_f32_e32 v24, v10
.LBB653_66:
	s_or_b64 exec, exec, s[6:7]
	v_or_b32_e32 v21, 3, v18
	v_cmp_gt_i32_e32 vcc, s47, v21
	s_and_saveexec_b64 s[6:7], vcc
	s_cbranch_execz .LBB653_68
; %bb.67:
	v_add_u32_e32 v10, s46, v21
	v_ashrrev_i32_e32 v11, 31, v10
	v_mul_lo_u32 v12, v11, s38
	v_mul_lo_u32 v13, v10, s39
	v_mad_u64_u32 v[10:11], s[20:21], v10, s38, 0
	v_add3_u32 v11, v11, v13, v12
	v_lshl_add_u64 v[10:11], v[10:11], 2, s[10:11]
	global_load_dword v10, v[10:11], off
	s_waitcnt vmcnt(0)
	v_sub_f32_e32 v10, s12, v10
	v_exp_f32_e32 v19, v10
.LBB653_68:
	s_or_b64 exec, exec, s[6:7]
	s_waitcnt lgkmcnt(11)
	v_mfma_f32_16x16x16_bf16 a[0:3], v[42:43], v[30:31], a[0:3]
	s_add_u32 s6, s8, s30
	v_ashrrev_i32_e32 v35, 31, v34
	s_addc_u32 s7, s9, s31
	s_waitcnt lgkmcnt(10)
	v_mfma_f32_16x16x16_bf16 a[0:3], v[40:41], v[32:33], a[0:3]
	v_lshlrev_b64 v[10:11], 1, v[34:35]
	v_lshl_add_u64 v[14:15], s[6:7], 0, v[10:11]
	s_add_u32 s6, s18, s30
	s_waitcnt lgkmcnt(9)
	v_mfma_f32_16x16x16_bf16 a[0:3], v[38:39], v[26:27], a[0:3]
	s_addc_u32 s7, s19, s31
	v_lshl_add_u64 v[16:17], s[6:7], 0, v[10:11]
	v_mov_b32_e32 v26, 0
	s_waitcnt lgkmcnt(8)
	v_mfma_f32_16x16x16_bf16 a[0:3], v[36:37], v[28:29], a[0:3]
	v_mov_b32_e32 v27, 0
	s_nop 5
	v_accvgpr_read_b32 v13, a3
	v_accvgpr_read_b32 v12, a2
	;; [unrolled: 1-line block ×4, first 2 shown]
	s_and_saveexec_b64 s[6:7], s[2:3]
	s_cbranch_execz .LBB653_70
; %bb.69:
	v_lshlrev_b32_e32 v28, 8, v18
	v_mov_b32_e32 v29, 0
	v_lshl_add_u64 v[30:31], v[14:15], 0, v[28:29]
	global_load_ushort v27, v[30:31], off
	v_lshl_add_u64 v[28:29], v[16:17], 0, v[28:29]
	s_waitcnt vmcnt(0)
	v_lshlrev_b32_e32 v27, 16, v27
	v_sub_f32_e32 v10, v27, v10
	global_store_short_d16_hi v[28:29], v10, off
	v_mul_f32_e32 v10, v25, v10
	v_lshrrev_b32_e32 v27, 16, v10
.LBB653_70:
	s_or_b64 exec, exec, s[6:7]
	s_and_saveexec_b64 s[2:3], s[4:5]
	s_cbranch_execz .LBB653_72
; %bb.71:
	v_lshlrev_b32_e32 v28, 8, v23
	v_mov_b32_e32 v29, 0
	v_lshl_add_u64 v[30:31], v[14:15], 0, v[28:29]
	global_load_ushort v10, v[30:31], off
	v_lshl_add_u64 v[28:29], v[16:17], 0, v[28:29]
	s_waitcnt vmcnt(0)
	v_lshlrev_b32_e32 v10, 16, v10
	v_sub_f32_e32 v10, v10, v11
	global_store_short_d16_hi v[28:29], v10, off
	v_mul_f32_e32 v10, v20, v10
	v_lshrrev_b32_e32 v26, 16, v10
.LBB653_72:
	s_or_b64 exec, exec, s[2:3]
	v_mov_b32_e32 v11, 0
	v_mov_b32_e32 v20, 0
	s_and_saveexec_b64 s[2:3], s[0:1]
	s_cbranch_execz .LBB653_74
; %bb.73:
	v_lshlrev_b32_e32 v22, 8, v22
	v_mov_b32_e32 v23, 0
	v_lshl_add_u64 v[28:29], v[14:15], 0, v[22:23]
	global_load_ushort v10, v[28:29], off
	v_lshl_add_u64 v[22:23], v[16:17], 0, v[22:23]
	s_waitcnt vmcnt(0)
	v_lshlrev_b32_e32 v10, 16, v10
	v_sub_f32_e32 v10, v10, v12
	global_store_short_d16_hi v[22:23], v10, off
	v_mul_f32_e32 v10, v24, v10
	v_lshrrev_b32_e32 v20, 16, v10
.LBB653_74:
	s_or_b64 exec, exec, s[2:3]
	v_or_b32_e32 v10, 0x9800, v46
	s_and_saveexec_b64 s[0:1], vcc
	s_cbranch_execz .LBB653_76
; %bb.75:
	v_lshlrev_b32_e32 v22, 8, v21
	v_mov_b32_e32 v23, 0
	v_lshl_add_u64 v[14:15], v[14:15], 0, v[22:23]
	global_load_ushort v11, v[14:15], off
	v_lshl_add_u64 v[14:15], v[16:17], 0, v[22:23]
	s_waitcnt vmcnt(0)
	v_lshlrev_b32_e32 v11, 16, v11
	v_sub_f32_e32 v11, v11, v13
	global_store_short_d16_hi v[14:15], v11, off
	v_mul_f32_e32 v11, v19, v11
	v_lshrrev_b32_e32 v11, 16, v11
.LBB653_76:
	s_or_b64 exec, exec, s[0:1]
	s_mov_b32 s0, 0x5040100
	v_perm_b32 v13, v11, v20, s0
	v_lshlrev_b32_e32 v11, 1, v44
	v_perm_b32 v12, v26, v27, s0
	v_lshl_or_b32 v11, v18, 5, v11
	s_movk_i32 s2, 0xff
	ds_write_b64 v11, v[12:13] offset:38912
	v_and_b32_e32 v11, 7, v0
	v_cmp_lt_u32_e32 vcc, s2, v0
	v_and_b32_e32 v12, 8, v0
	v_lshlrev_b32_e32 v19, 3, v11
	v_lshlrev_b32_e32 v28, 7, v11
	v_cndmask_b32_e64 v11, 0, 1, vcc
	v_lshrrev_b32_e32 v0, 1, v0
	v_lshlrev_b32_e32 v24, 13, v11
	v_lshlrev_b32_e32 v11, 3, v53
	v_and_b32_e32 v0, 24, v0
	v_xor_b32_e32 v13, v11, v0
	v_or_b32_e32 v14, 0x440, v13
	v_cmp_eq_u32_e32 vcc, 0, v12
	s_waitcnt lgkmcnt(0)
	s_barrier
	v_cndmask_b32_e32 v12, v14, v13, vcc
	v_or_b32_e32 v12, v12, v45
	v_xor_b32_e32 v29, v12, v19
	v_or_b32_e32 v12, 32, v0
	v_xor_b32_e32 v12, v11, v12
	v_or_b32_e32 v13, 0x440, v12
	v_cndmask_b32_e32 v12, v13, v12, vcc
	v_or_b32_e32 v12, v12, v45
	v_xor_b32_e32 v30, v12, v19
	v_or_b32_e32 v12, 64, v0
	v_xor_b32_e32 v12, v11, v12
	v_xor_b32_e32 v13, 0x440, v12
	v_cndmask_b32_e32 v12, v13, v12, vcc
	v_add3_u32 v16, v24, v29, v28
	v_or_b32_e32 v12, v12, v45
	v_or_b32_e32 v0, 0x60, v0
	v_xor_b32_e32 v31, v12, v19
	ds_read2st64_b64 v[12:15], v10 offset1:1
	ds_read2st64_b64 v[20:23], v10 offset0:2 offset1:3
	v_xor_b32_e32 v0, v11, v0
	ds_read_b64 v[10:11], v16
	v_add3_u32 v17, v24, v30, v28
	v_xor_b32_e32 v16, 0x440, v0
	v_cndmask_b32_e32 v0, v16, v0, vcc
	ds_read_b64 v[16:17], v17
	s_add_i32 s0, s16, s48
	s_mul_hi_i32 s1, s0, s13
	s_mul_i32 s0, s0, s13
	s_add_u32 s0, s0, s33
	s_waitcnt lgkmcnt(1)
	v_mfma_f32_16x16x16_bf16 a[0:3], v[10:11], v[12:13], 0
	s_addc_u32 s1, s1, s14
	v_or_b32_e32 v0, v0, v45
	s_lshl_b64 s[0:1], s[0:1], 9
	v_xor_b32_e32 v0, v0, v19
	s_add_u32 s0, s36, s0
	v_add3_u32 v25, v24, v31, v28
	v_add3_u32 v19, v24, v0, v28
	s_addc_u32 s1, s37, s1
	v_lshlrev_b32_e32 v10, 2, v18
	ds_read_b64 v[24:25], v25
	ds_read_b64 v[26:27], v19
	s_waitcnt lgkmcnt(2)
	v_mfma_f32_16x16x16_bf16 a[0:3], v[16:17], v[14:15], a[0:3]
	global_load_dwordx4 v[16:19], v10, s[0:1]
	v_add_u32_e32 v10, v29, v28
	ds_read_b64 v[10:11], v10 offset:8192
	s_waitcnt lgkmcnt(2)
	v_mfma_f32_16x16x16_bf16 a[0:3], v[24:25], v[20:21], a[0:3]
	v_lshlrev_b32_e32 v24, 6, v53
	v_lshlrev_b32_e32 v25, 2, v48
	s_movk_i32 s2, 0x100
	v_or3_b32 v32, v24, v25, s2
	v_add_u32_e32 v24, v30, v28
	v_add_u32_e32 v29, v31, v28
	;; [unrolled: 1-line block ×3, first 2 shown]
	ds_read_b64 v[24:25], v24 offset:8192
	ds_read_b64 v[28:29], v29 offset:8192
	;; [unrolled: 1-line block ×3, first 2 shown]
	s_waitcnt lgkmcnt(3)
	v_mfma_f32_16x16x16_bf16 a[4:7], v[10:11], v[12:13], 0
	global_load_dwordx4 v[10:13], v32, s[0:1]
	v_exp_f32_e32 v0, s12
	s_waitcnt vmcnt(1)
	v_exp_f32_e32 v16, v16
	v_mfma_f32_16x16x16_bf16 a[0:3], v[26:27], v[22:23], a[0:3]
	v_exp_f32_e32 v17, v17
	v_exp_f32_e32 v18, v18
	v_exp_f32_e32 v19, v19
	v_pk_mul_f32 v[16:17], v[0:1], v[16:17] op_sel_hi:[0,1]
	v_pk_mul_f32 v[18:19], v[0:1], v[18:19] op_sel_hi:[0,1]
	s_nop 1
	v_accvgpr_read_b32 v33, a1
	v_accvgpr_read_b32 v27, a3
	;; [unrolled: 1-line block ×4, first 2 shown]
	s_waitcnt lgkmcnt(2)
	v_mfma_f32_16x16x16_bf16 a[0:3], v[24:25], v[14:15], a[4:7]
	s_waitcnt vmcnt(0)
	v_mov_b32_e32 v14, v13
	v_mov_b32_e32 v13, v12
	;; [unrolled: 1-line block ×3, first 2 shown]
	s_waitcnt lgkmcnt(1)
	v_mfma_f32_16x16x16_bf16 a[0:3], v[28:29], v[20:21], a[0:3]
	v_exp_f32_e32 v10, v10
	v_exp_f32_e32 v11, v12
	;; [unrolled: 1-line block ×3, first 2 shown]
	s_waitcnt lgkmcnt(0)
	v_mfma_f32_16x16x16_bf16 a[0:3], v[30:31], v[22:23], a[0:3]
	v_exp_f32_e32 v13, v14
	v_pk_fma_f32 v[2:3], v[2:3], v[16:17], v[32:33]
	v_pk_mul_f32 v[10:11], v[0:1], v[10:11] op_sel_hi:[0,1]
	v_pk_fma_f32 v[4:5], v[4:5], v[18:19], v[26:27]
	s_nop 2
	v_accvgpr_read_b32 v17, a1
	v_accvgpr_read_b32 v16, a0
	;; [unrolled: 1-line block ×4, first 2 shown]
	v_pk_fma_f32 v[6:7], v[6:7], v[10:11], v[16:17]
	v_pk_mul_f32 v[10:11], v[0:1], v[12:13] op_sel_hi:[0,1]
	v_pk_fma_f32 v[8:9], v[8:9], v[10:11], v[14:15]
	v_mov_b32_e32 v10, v34
.LBB653_77:
	s_lshl_b64 s[0:1], s[28:29], 16
	s_add_u32 s0, s34, s0
	v_lshlrev_b32_e32 v10, 7, v10
	s_addc_u32 s1, s35, s1
	v_ashrrev_i32_e32 v11, 31, v10
	v_lshl_add_u64 v[10:11], v[10:11], 2, s[0:1]
	v_lshlrev_b32_e32 v0, 2, v1
	v_mov_b32_e32 v1, 0
	v_lshl_add_u64 v[0:1], v[10:11], 0, v[0:1]
	global_store_dwordx4 v[0:1], v[2:5], off
	global_store_dwordx4 v[0:1], v[6:9], off offset:256
	s_endpgm
	.section	.rodata,"a",@progbits
	.p2align	6, 0x0
	.amdhsa_kernel _ZN12_GLOBAL__N_139chunk_gated_delta_rule_fwd_h_hip_kernelILi16ELb0ELb1ELb1ELb0ELb1ELb1ELb1ELb0EEEvPK12hip_bfloat16S3_S3_PKfS5_PKvPS1_S8_PvPKiSB_iiiiilll
		.amdhsa_group_segment_fixed_size 40960
		.amdhsa_private_segment_fixed_size 0
		.amdhsa_kernarg_size 136
		.amdhsa_user_sgpr_count 2
		.amdhsa_user_sgpr_dispatch_ptr 0
		.amdhsa_user_sgpr_queue_ptr 0
		.amdhsa_user_sgpr_kernarg_segment_ptr 1
		.amdhsa_user_sgpr_dispatch_id 0
		.amdhsa_user_sgpr_kernarg_preload_length 0
		.amdhsa_user_sgpr_kernarg_preload_offset 0
		.amdhsa_user_sgpr_private_segment_size 0
		.amdhsa_uses_dynamic_stack 0
		.amdhsa_enable_private_segment 0
		.amdhsa_system_sgpr_workgroup_id_x 1
		.amdhsa_system_sgpr_workgroup_id_y 1
		.amdhsa_system_sgpr_workgroup_id_z 0
		.amdhsa_system_sgpr_workgroup_info 0
		.amdhsa_system_vgpr_workitem_id 0
		.amdhsa_next_free_vgpr 128
		.amdhsa_next_free_sgpr 70
		.amdhsa_accum_offset 116
		.amdhsa_reserve_vcc 1
		.amdhsa_float_round_mode_32 0
		.amdhsa_float_round_mode_16_64 0
		.amdhsa_float_denorm_mode_32 3
		.amdhsa_float_denorm_mode_16_64 3
		.amdhsa_dx10_clamp 1
		.amdhsa_ieee_mode 1
		.amdhsa_fp16_overflow 0
		.amdhsa_tg_split 0
		.amdhsa_exception_fp_ieee_invalid_op 0
		.amdhsa_exception_fp_denorm_src 0
		.amdhsa_exception_fp_ieee_div_zero 0
		.amdhsa_exception_fp_ieee_overflow 0
		.amdhsa_exception_fp_ieee_underflow 0
		.amdhsa_exception_fp_ieee_inexact 0
		.amdhsa_exception_int_div_zero 0
	.end_amdhsa_kernel
	.section	.text._ZN12_GLOBAL__N_139chunk_gated_delta_rule_fwd_h_hip_kernelILi16ELb0ELb1ELb1ELb0ELb1ELb1ELb1ELb0EEEvPK12hip_bfloat16S3_S3_PKfS5_PKvPS1_S8_PvPKiSB_iiiiilll,"axG",@progbits,_ZN12_GLOBAL__N_139chunk_gated_delta_rule_fwd_h_hip_kernelILi16ELb0ELb1ELb1ELb0ELb1ELb1ELb1ELb0EEEvPK12hip_bfloat16S3_S3_PKfS5_PKvPS1_S8_PvPKiSB_iiiiilll,comdat
.Lfunc_end653:
	.size	_ZN12_GLOBAL__N_139chunk_gated_delta_rule_fwd_h_hip_kernelILi16ELb0ELb1ELb1ELb0ELb1ELb1ELb1ELb0EEEvPK12hip_bfloat16S3_S3_PKfS5_PKvPS1_S8_PvPKiSB_iiiiilll, .Lfunc_end653-_ZN12_GLOBAL__N_139chunk_gated_delta_rule_fwd_h_hip_kernelILi16ELb0ELb1ELb1ELb0ELb1ELb1ELb1ELb0EEEvPK12hip_bfloat16S3_S3_PKfS5_PKvPS1_S8_PvPKiSB_iiiiilll
                                        ; -- End function
	.section	.AMDGPU.csdata,"",@progbits
; Kernel info:
; codeLenInByte = 8224
; NumSgprs: 76
; NumVgprs: 114
; NumAgprs: 12
; TotalNumVgprs: 128
; ScratchSize: 0
; MemoryBound: 0
; FloatMode: 240
; IeeeMode: 1
; LDSByteSize: 40960 bytes/workgroup (compile time only)
; SGPRBlocks: 9
; VGPRBlocks: 15
; NumSGPRsForWavesPerEU: 76
; NumVGPRsForWavesPerEU: 128
; AccumOffset: 116
; Occupancy: 1
; WaveLimiterHint : 1
; COMPUTE_PGM_RSRC2:SCRATCH_EN: 0
; COMPUTE_PGM_RSRC2:USER_SGPR: 2
; COMPUTE_PGM_RSRC2:TRAP_HANDLER: 0
; COMPUTE_PGM_RSRC2:TGID_X_EN: 1
; COMPUTE_PGM_RSRC2:TGID_Y_EN: 1
; COMPUTE_PGM_RSRC2:TGID_Z_EN: 0
; COMPUTE_PGM_RSRC2:TIDIG_COMP_CNT: 0
; COMPUTE_PGM_RSRC3_GFX90A:ACCUM_OFFSET: 28
; COMPUTE_PGM_RSRC3_GFX90A:TG_SPLIT: 0
	.section	.text._ZN12_GLOBAL__N_139chunk_gated_delta_rule_fwd_h_hip_kernelILi16ELb0ELb1ELb0ELb0ELb1ELb1ELb1ELb0EEEvPK12hip_bfloat16S3_S3_PKfS5_PKvPS1_S8_PvPKiSB_iiiiilll,"axG",@progbits,_ZN12_GLOBAL__N_139chunk_gated_delta_rule_fwd_h_hip_kernelILi16ELb0ELb1ELb0ELb0ELb1ELb1ELb1ELb0EEEvPK12hip_bfloat16S3_S3_PKfS5_PKvPS1_S8_PvPKiSB_iiiiilll,comdat
	.globl	_ZN12_GLOBAL__N_139chunk_gated_delta_rule_fwd_h_hip_kernelILi16ELb0ELb1ELb0ELb0ELb1ELb1ELb1ELb0EEEvPK12hip_bfloat16S3_S3_PKfS5_PKvPS1_S8_PvPKiSB_iiiiilll ; -- Begin function _ZN12_GLOBAL__N_139chunk_gated_delta_rule_fwd_h_hip_kernelILi16ELb0ELb1ELb0ELb0ELb1ELb1ELb1ELb0EEEvPK12hip_bfloat16S3_S3_PKfS5_PKvPS1_S8_PvPKiSB_iiiiilll
	.p2align	8
	.type	_ZN12_GLOBAL__N_139chunk_gated_delta_rule_fwd_h_hip_kernelILi16ELb0ELb1ELb0ELb0ELb1ELb1ELb1ELb0EEEvPK12hip_bfloat16S3_S3_PKfS5_PKvPS1_S8_PvPKiSB_iiiiilll,@function
_ZN12_GLOBAL__N_139chunk_gated_delta_rule_fwd_h_hip_kernelILi16ELb0ELb1ELb0ELb0ELb1ELb1ELb1ELb0EEEvPK12hip_bfloat16S3_S3_PKfS5_PKvPS1_S8_PvPKiSB_iiiiilll: ; @_ZN12_GLOBAL__N_139chunk_gated_delta_rule_fwd_h_hip_kernelILi16ELb0ELb1ELb0ELb0ELb1ELb1ELb1ELb0EEEvPK12hip_bfloat16S3_S3_PKfS5_PKvPS1_S8_PvPKiSB_iiiiilll
; %bb.0:
	s_load_dwordx4 s[12:15], s[0:1], 0x5c
	s_load_dwordx4 s[16:19], s[0:1], 0x70
	s_abs_i32 s22, s3
	s_ashr_i32 s21, s3, 31
	s_load_dwordx8 s[4:11], s[0:1], 0x0
	s_load_dwordx2 s[30:31], s[0:1], 0x20
	s_waitcnt lgkmcnt(0)
	s_abs_i32 s20, s13
	v_cvt_f32_u32_e32 v1, s20
	s_sub_i32 s24, 0, s20
	s_ashr_i32 s23, s13, 31
	s_xor_b32 s21, s21, s23
	v_rcp_iflag_f32_e32 v1, v1
	s_load_dwordx2 s[28:29], s[0:1], 0x40
	s_load_dwordx2 s[38:39], s[0:1], 0x30
	s_load_dwordx2 s[34:35], s[0:1], 0x80
	v_lshrrev_b32_e32 v53, 6, v0
	v_mul_f32_e32 v1, 0x4f7ffffe, v1
	v_cvt_u32_f32_e32 v1, v1
	v_bfe_u32 v60, v0, 4, 2
	v_lshlrev_b32_e32 v58, 4, v53
	v_lshlrev_b32_e32 v10, 2, v60
	v_readfirstlane_b32 s25, v1
	s_mul_i32 s24, s24, s25
	s_mul_hi_u32 s24, s25, s24
	s_add_i32 s25, s25, s24
	s_mul_hi_u32 s24, s22, s25
	s_mul_i32 s25, s24, s20
	s_sub_i32 s22, s22, s25
	s_add_i32 s25, s24, 1
	s_sub_i32 s26, s22, s20
	s_cmp_ge_u32 s22, s20
	s_cselect_b32 s24, s25, s24
	s_cselect_b32 s22, s26, s22
	s_add_i32 s25, s24, 1
	s_cmp_ge_u32 s22, s20
	s_cselect_b32 s22, s25, s24
	s_xor_b32 s22, s22, s21
	s_sub_i32 s50, s22, s21
	s_abs_i32 s21, s14
	v_cvt_f32_u32_e32 v1, s21
	s_ashr_i32 s49, s12, 31
	s_lshr_b32 s22, s49, 26
	s_add_i32 s22, s12, s22
	v_rcp_iflag_f32_e32 v1, v1
	s_ashr_i32 s52, s14, 31
	s_ashr_i32 s51, s22, 6
	s_xor_b32 s22, s23, s52
	v_mul_f32_e32 v1, 0x4f7ffffe, v1
	v_cvt_u32_f32_e32 v1, v1
	s_sub_i32 s23, 0, s21
	s_mul_i32 s48, s50, s13
	s_sub_i32 s33, s3, s48
	v_readfirstlane_b32 s24, v1
	s_mul_i32 s23, s23, s24
	s_mul_hi_u32 s23, s24, s23
	s_add_i32 s24, s24, s23
	s_mul_hi_u32 s23, s20, s24
	s_mul_i32 s24, s23, s21
	s_sub_i32 s20, s20, s24
	s_add_i32 s3, s12, 63
	s_add_i32 s24, s23, 1
	s_sub_i32 s25, s20, s21
	s_cmp_ge_u32 s20, s21
	s_cselect_b32 s23, s24, s23
	s_cselect_b32 s20, s25, s20
	s_add_i32 s24, s23, 1
	s_cmp_ge_u32 s20, s21
	s_cselect_b32 s20, s24, s23
	s_xor_b32 s20, s20, s22
	s_sub_i32 s20, s20, s22
	s_abs_i32 s21, s20
	v_cvt_f32_u32_e32 v1, s21
	s_xor_b32 s0, s33, s20
	s_sub_i32 s20, 0, s21
	s_abs_i32 s1, s33
	v_rcp_iflag_f32_e32 v1, v1
	s_ashr_i32 s0, s0, 31
	v_and_b32_e32 v59, 63, v0
	v_mov_b32_e32 v9, 0
	v_mul_f32_e32 v1, 0x4f7ffffe, v1
	v_cvt_u32_f32_e32 v1, v1
	s_mul_i32 s46, s50, s12
	v_and_b32_e32 v61, 15, v0
	s_mul_hi_i32 s54, s50, s13
	v_readfirstlane_b32 s22, v1
	s_mul_i32 s20, s20, s22
	s_mul_hi_u32 s20, s22, s20
	s_add_i32 s22, s22, s20
	s_mul_hi_u32 s20, s1, s22
	s_mul_i32 s22, s20, s21
	s_sub_i32 s1, s1, s22
	s_add_i32 s22, s20, 1
	s_sub_i32 s23, s1, s21
	s_cmp_ge_u32 s1, s21
	s_cselect_b32 s20, s22, s20
	s_cselect_b32 s1, s23, s1
	s_add_i32 s22, s20, 1
	s_cmp_ge_u32 s1, s21
	s_cselect_b32 s1, s22, s20
	s_xor_b32 s1, s1, s0
	s_sub_i32 s55, s1, s0
	s_ashr_i32 s0, s3, 31
	s_lshr_b32 s0, s0, 26
	s_add_i32 s3, s3, s0
	v_or_b32_e32 v1, v10, v58
	s_ashr_i32 s0, s3, 6
	s_lshl_b32 s2, s2, 4
	s_mul_i32 s53, s50, s0
	v_or_b32_e32 v64, 64, v1
	s_cmp_lt_i32 s12, 64
	v_lshrrev_b32_e32 v63, 3, v59
	v_lshlrev_b32_e32 v62, 3, v0
	s_mul_i32 s17, s50, s17
	s_mul_hi_u32 s47, s50, s16
	s_mul_i32 s36, s50, s16
	v_mov_b32_e32 v8, v9
	v_mov_b32_e32 v7, v9
	;; [unrolled: 1-line block ×7, first 2 shown]
	s_cbranch_scc1 .LBB654_18
; %bb.1:
	s_ashr_i32 s3, s50, 31
	s_ashr_i32 s57, s33, 31
	s_add_u32 s0, s48, s33
	s_addc_u32 s1, s54, s57
	s_mul_i32 s1, s12, s1
	s_mul_hi_u32 s20, s12, s0
	s_add_i32 s41, s20, s1
	s_mul_i32 s40, s12, s0
	s_lshl_b64 s[0:1], s[40:41], 8
	v_and_b32_e32 v66, 56, v62
	s_add_u32 s20, s6, s0
	v_lshl_or_b32 v65, v53, 3, v63
	v_lshlrev_b32_e32 v3, 1, v66
	s_addc_u32 s0, s7, s1
	v_lshl_or_b32 v67, v65, 8, v3
	s_and_b32 s21, s0, 0xffff
	s_mov_b32 s23, 0x20000
	s_movk_i32 s22, 0x4000
	s_movk_i32 s0, 0x80
	v_or_b32_e32 v68, 0x2000, v67
	buffer_load_dwordx4 v[4:7], v67, s[20:23], 0 offen
	buffer_load_dwordx4 v[12:15], v67, s[20:23], s0 offen
	;; [unrolled: 1-line block ×4, first 2 shown]
	v_lshlrev_b32_e32 v2, 3, v65
	v_and_or_b32 v9, v0, 7, v2
	v_and_b32_e32 v2, 0x78, v2
	v_lshlrev_b32_e32 v9, 4, v9
	v_xor_b32_e32 v69, v9, v2
	v_mul_lo_u32 v8, v65, s15
	v_or_b32_e32 v70, 0x1000, v69
	v_xor_b32_e32 v2, 8, v69
	s_cmpk_eq_i32 s15, 0x80
	s_mov_b32 s56, s14
	v_xor_b32_e32 v9, 8, v70
	s_cselect_b64 s[0:1], -1, 0
	s_cmpk_lg_i32 s15, 0x80
	s_waitcnt vmcnt(3)
	ds_write_b64 v69, v[4:5] offset:16384
	ds_write_b64 v2, v[6:7] offset:16384
	s_waitcnt vmcnt(2)
	ds_write_b64 v69, v[12:13] offset:24576
	ds_write_b64 v2, v[14:15] offset:24576
	;; [unrolled: 3-line block ×4, first 2 shown]
	v_lshl_add_u32 v2, v8, 1, v66
	s_cbranch_scc0 .LBB654_3
; %bb.2:
	v_lshlrev_b32_e32 v6, 1, v2
	v_add_lshl_u32 v5, v2, s15, 1
	s_lshl_b32 s22, s15, 7
	v_lshl_or_b32 v4, v65, 9, v3
	s_cbranch_execz .LBB654_4
	s_branch .LBB654_5
.LBB654_3:
                                        ; implicit-def: $vgpr5
                                        ; implicit-def: $vgpr6
                                        ; implicit-def: $sgpr22
	v_lshl_or_b32 v4, v65, 9, v3
.LBB654_4:
	v_or_b32_e32 v5, 0x100, v4
	s_movk_i32 s22, 0x4000
	v_mov_b32_e32 v6, v4
.LBB654_5:
	s_mul_hi_u32 s20, s14, s12
	s_mul_i32 s21, s52, s12
	s_add_i32 s20, s20, s21
	s_mul_i32 s21, s14, s12
	s_mul_i32 s23, s21, s3
	s_mul_hi_u32 s24, s21, s50
	s_add_i32 s23, s24, s23
	s_mul_i32 s20, s20, s50
	s_add_i32 s23, s23, s20
	s_mul_i32 s21, s21, s50
	s_ashr_i32 s58, s55, 31
	s_add_u32 s20, s21, s55
	s_addc_u32 s21, s23, s58
	s_lshl_b64 s[20:21], s[20:21], 8
	s_add_u32 s20, s4, s20
	s_addc_u32 s21, s5, s21
	s_and_b32 s21, s21, 0xffff
	s_mov_b32 s23, 0x20000
	s_movk_i32 s59, 0x80
	buffer_load_dwordx4 v[12:15], v6, s[20:23], 0 offen
	s_nop 0
	buffer_load_dwordx4 v[6:9], v6, s[20:23], s59 offen
	s_nop 0
	buffer_load_dwordx4 v[16:19], v5, s[20:23], 0 offen
	buffer_load_dwordx4 v[20:23], v5, s[20:23], s59 offen
	v_and_b32_e32 v3, 6, v0
	s_mul_i32 s20, s3, s12
	s_mul_hi_u32 s21, s50, s12
	v_lshlrev_b32_e32 v11, 2, v61
	v_lshlrev_b32_e32 v24, 3, v61
	v_xor_b32_e32 v26, v65, v3
	v_and_b32_e32 v5, 1, v0
	s_mul_i32 s3, s3, s16
	v_lshl_or_b32 v24, v1, 5, v24
	v_xor_b32_e32 v27, v1, v11
	v_lshlrev_b32_e32 v26, 2, v26
	s_add_i32 s63, s21, s20
	s_add_i32 s20, s47, s17
	s_mul_i32 s24, s33, s19
	v_or_b32_e32 v71, 0x9000, v24
	v_or_b32_e32 v72, 0x9800, v24
	v_lshlrev_b32_e32 v24, 1, v27
	v_xor_b32_e32 v27, 0x440, v26
	v_cmp_eq_u32_e32 vcc, 0, v5
	s_add_i32 s37, s20, s3
	s_mul_hi_u32 s3, s33, s18
	v_cndmask_b32_e32 v5, v27, v26, vcc
	s_add_i32 s3, s3, s24
	s_mul_i32 s20, s57, s18
	s_mov_b32 s61, 0x1000504
	v_lshlrev_b32_e32 v25, 8, v61
	s_mov_b32 s22, 0x8000
	v_xor_b32_e32 v11, v64, v11
	v_lshl_or_b32 v3, v3, 10, v5
	s_add_i32 s21, s3, s20
	s_lshl_b64 s[24:25], s[36:37], 2
	s_mov_b32 s62, 0x3020706
	v_lshlrev_b32_e32 v11, 1, v11
	v_or3_b32 v73, v24, v25, s22
	v_xor_b32_e32 v5, 8, v3
	v_xor_b32_e32 v24, 24, v3
	;; [unrolled: 1-line block ×4, first 2 shown]
	s_mul_i32 s20, s33, s18
	s_add_u32 s3, s10, s24
	v_or3_b32 v74, v11, v25, s22
	v_xor_b32_e32 v11, 16, v3
	v_xor_b32_e32 v25, 32, v3
	;; [unrolled: 1-line block ×3, first 2 shown]
	v_add_u32_e32 v5, 0x80, v5
	v_add_u32_e32 v24, 0x80, v24
	;; [unrolled: 1-line block ×4, first 2 shown]
	s_addc_u32 s24, s11, s25
	s_lshl_b64 s[20:21], s[20:21], 2
	s_add_u32 s42, s3, s20
	s_movk_i32 s3, 0xf8
	s_addc_u32 s43, s24, s21
	s_lshl_b32 s26, s15, 7
	s_mov_b32 s60, 0
	v_add_u32_e32 v85, v58, v10
	s_mov_b32 s37, 0x7060302
	s_mov_b32 s65, 0
	s_waitcnt vmcnt(1)
	v_perm_b32 v29, v12, v16, s61
	s_waitcnt vmcnt(0)
	v_perm_b32 v30, v6, v20, s61
	v_perm_b32 v12, v12, v16, s62
	;; [unrolled: 1-line block ×15, first 2 shown]
	ds_write2st64_b32 v3, v29, v30 offset1:32
	ds_write2st64_b32 v5, v12, v6 offset1:32
	ds_write2st64_b32 v11, v16, v20 offset0:1 offset1:33
	ds_write2st64_b32 v24, v13, v7 offset0:1 offset1:33
	;; [unrolled: 1-line block ×6, first 2 shown]
	v_or_b32_e32 v3, v58, v61
	v_lshlrev_b32_e32 v3, 3, v3
	v_lshrrev_b32_e32 v7, 5, v59
	v_and_or_b32 v7, v3, s3, v7
	v_lshlrev_b32_e32 v7, 4, v7
	v_lshlrev_b32_e32 v11, 11, v53
	v_and_b32_e32 v3, 0x78, v3
	v_or_b32_e32 v12, 32, v7
	v_and_b32_e32 v6, 0x1000, v11
	v_lshrrev_b32_e32 v9, 1, v59
	v_xor_b32_e32 v12, v12, v3
	v_and_b32_e32 v9, 8, v9
	v_or_b32_e32 v12, v12, v6
	v_xor_b32_e32 v8, v7, v3
	v_xor_b32_e32 v77, v12, v9
	v_or_b32_e32 v12, 64, v7
	v_or_b32_e32 v7, 0x60, v7
	;; [unrolled: 1-line block ×3, first 2 shown]
	v_xor_b32_e32 v12, v12, v3
	v_xor_b32_e32 v3, v7, v3
	;; [unrolled: 1-line block ×3, first 2 shown]
	v_and_b32_e32 v8, 0x78, v62
	v_or_b32_e32 v3, v3, v6
	v_lshl_or_b32 v8, v60, 7, v8
	v_xor_b32_e32 v79, v3, v9
	v_lshlrev_b32_e32 v13, 1, v2
	v_add_lshl_u32 v14, v2, s15, 1
	v_lshrrev_b32_e32 v2, 4, v0
	v_lshlrev_b32_e32 v3, 1, v61
	v_or_b32_e32 v76, 0x9000, v8
	v_or_b32_e32 v80, 0x9800, v8
	s_ashr_i32 s3, s2, 31
	v_or_b32_e32 v8, 1, v3
	v_xor_b32_e32 v3, v2, v3
	s_lshl_b64 s[20:21], s[2:3], 8
	v_xor_b32_e32 v8, v8, v2
	v_lshlrev_b32_e32 v3, 3, v3
	v_lshlrev_b32_e32 v2, 8, v2
	s_waitcnt lgkmcnt(0)
	s_add_u32 s20, s38, s20
	v_or3_b32 v81, v3, v2, s22
	v_lshlrev_b32_e32 v3, 3, v8
	v_or_b32_e32 v12, v12, v6
	s_addc_u32 s21, s39, s21
	v_or3_b32 v82, v3, v2, s22
	v_mov_b32_e32 v3, 0
	v_lshrrev_b32_e32 v18, 1, v0
	v_xor_b32_e32 v78, v12, v9
	v_lshl_add_u64 v[8:9], s[20:21], 0, v[2:3]
	v_lshlrev_b32_e32 v2, 4, v61
	s_movk_i32 s3, 0xff
	v_lshlrev_b32_e32 v17, 3, v53
	v_and_b32_e32 v18, 24, v18
	v_lshl_add_u64 v[54:55], v[8:9], 0, v[2:3]
	v_and_b32_e32 v2, 7, v0
	v_and_b32_e32 v9, 8, v0
	v_cmp_lt_u32_e32 vcc, s3, v0
	v_xor_b32_e32 v19, v17, v18
	v_lshlrev_b32_e32 v12, 3, v2
	v_lshlrev_b32_e32 v16, 7, v2
	v_cndmask_b32_e64 v2, 0, 1, vcc
	v_or_b32_e32 v20, 0x440, v19
	v_cmp_eq_u32_e32 vcc, 0, v9
	v_or_b32_e32 v22, 64, v18
	v_xor_b32_e32 v22, v17, v22
	v_cndmask_b32_e32 v9, v20, v19, vcc
	v_or_b32_e32 v20, 32, v18
	v_or_b32_e32 v18, 0x60, v18
	v_xor_b32_e32 v20, v17, v20
	v_xor_b32_e32 v17, v17, v18
	v_or_b32_e32 v21, 0x440, v20
	v_xor_b32_e32 v23, 0x440, v22
	v_xor_b32_e32 v18, 0x440, v17
	v_cndmask_b32_e32 v20, v21, v20, vcc
	v_cndmask_b32_e32 v22, v23, v22, vcc
	;; [unrolled: 1-line block ×3, first 2 shown]
	v_lshrrev_b32_e32 v5, 2, v59
	v_or_b32_e32 v6, s2, v61
	v_or_b32_e32 v9, v9, v11
	v_or_b32_e32 v20, v20, v11
	v_or_b32_e32 v22, v22, v11
	v_or_b32_e32 v11, v17, v11
	v_and_b32_e32 v5, 12, v5
	v_ashrrev_i32_e32 v7, 31, v6
	v_lshlrev_b32_e32 v2, 13, v2
	v_xor_b32_e32 v9, v9, v12
	v_xor_b32_e32 v20, v20, v12
	;; [unrolled: 1-line block ×4, first 2 shown]
	v_lshl_add_u64 v[6:7], v[6:7], 1, s[8:9]
	v_or_b32_e32 v15, 0x100, v4
	v_or_b32_e32 v8, v5, v58
	v_add_u32_e32 v19, v2, v9
	v_add_u32_e32 v21, v2, v20
	;; [unrolled: 1-line block ×4, first 2 shown]
	v_or3_b32 v12, v58, v5, 64
	v_add_u32_e32 v5, 0x2000, v9
	v_add_u32_e32 v9, 0x2000, v20
	;; [unrolled: 1-line block ×4, first 2 shown]
	v_lshlrev_b32_e32 v2, 8, v1
	v_cndmask_b32_e64 v83, v13, v4, s[0:1]
	v_cndmask_b32_e64 v84, v14, v15, s[0:1]
	v_lshl_add_u64 v[56:57], v[6:7], 0, v[2:3]
	s_add_i32 s3, s46, 63
	s_movk_i32 s22, 0x4000
	v_lshlrev_b32_e32 v86, 2, v8
	v_add_u32_e32 v87, v19, v16
	v_add_u32_e32 v88, v21, v16
	;; [unrolled: 1-line block ×4, first 2 shown]
	v_lshlrev_b32_e32 v91, 2, v12
	v_add_u32_e32 v92, v5, v16
	v_add_u32_e32 v93, v9, v16
	;; [unrolled: 1-line block ×4, first 2 shown]
	v_mov_b32_e32 v2, v3
	v_mov_b32_e32 v4, v3
	;; [unrolled: 1-line block ×7, first 2 shown]
	s_barrier
.LBB654_6:                              ; =>This Inner Loop Header: Depth=1
	s_add_i32 s64, s65, 1
	s_cmp_lt_i32 s64, s51
	s_mov_b64 s[24:25], 0
	s_cselect_b64 s[44:45], -1, 0
	s_cmp_ge_i32 s64, s51
	s_mov_b64 s[20:21], 0
	s_cbranch_scc1 .LBB654_8
; %bb.7:                                ;   in Loop: Header=BB654_6 Depth=1
	s_add_i32 s0, s60, 64
	s_add_u32 s0, s40, s0
	s_addc_u32 s1, s41, 0
	s_lshl_b64 s[0:1], s[0:1], 8
	s_add_u32 s20, s6, s0
	s_addc_u32 s21, s7, s1
.LBB654_8:                              ;   in Loop: Header=BB654_6 Depth=1
	v_cndmask_b32_e64 v10, 0, 1, s[44:45]
	v_cmp_ne_u32_e64 s[0:1], 1, v10
	s_andn2_b64 vcc, exec, s[44:45]
	s_cbranch_vccnz .LBB654_10
; %bb.9:                                ;   in Loop: Header=BB654_6 Depth=1
	s_add_i32 s24, s60, 64
	s_add_u32 s24, s46, s24
	s_addc_u32 s25, s63, 0
	s_mul_i32 s27, s24, s52
	s_mul_hi_u32 s44, s24, s56
	s_add_i32 s27, s44, s27
	s_mul_i32 s25, s25, s56
	s_add_i32 s27, s27, s25
	s_mul_i32 s24, s24, s56
	s_add_u32 s24, s24, s55
	s_addc_u32 s25, s27, s58
	s_lshl_b64 s[24:25], s[24:25], 8
	s_add_u32 s24, s4, s24
	s_addc_u32 s25, s5, s25
.LBB654_10:                             ;   in Loop: Header=BB654_6 Depth=1
	v_perm_b32 v11, v5, v4, s37
	v_perm_b32 v10, v3, v2, s37
	;; [unrolled: 1-line block ×4, first 2 shown]
	ds_write_b64 v71, v[10:11]
	ds_write_b64 v72, v[12:13]
	ds_write_b64 v73, v[10:11]
	ds_write_b64 v74, v[12:13]
	s_waitcnt lgkmcnt(0)
	s_barrier
	ds_read_b64 v[18:19], v75 offset:16384
	ds_read_b64 v[20:21], v77 offset:16384
	ds_read2st64_b64 v[10:13], v76 offset1:1
	ds_read2st64_b64 v[14:17], v76 offset0:2 offset1:3
	ds_read_b64 v[22:23], v78 offset:16384
	s_waitcnt lgkmcnt(2)
	v_mfma_f32_16x16x16_bf16 a[0:3], v[18:19], v[10:11], 0
	ds_read_b64 v[10:11], v79 offset:16384
	s_add_i32 s27, s60, 63
	s_mul_i32 s44, s27, s35
	v_mfma_f32_16x16x16_bf16 a[0:3], v[20:21], v[12:13], a[0:3]
	s_mul_hi_u32 s45, s27, s34
	s_add_i32 s45, s45, s44
	s_mul_i32 s44, s27, s34
	s_waitcnt lgkmcnt(1)
	v_mfma_f32_16x16x16_bf16 a[0:3], v[22:23], v[14:15], a[0:3]
	s_lshl_b64 s[44:45], s[44:45], 2
	s_add_u32 s44, s42, s44
	s_addc_u32 s45, s43, s45
	s_waitcnt lgkmcnt(0)
	v_mfma_f32_16x16x16_bf16 a[0:3], v[10:11], v[16:17], a[0:3]
	s_and_b64 vcc, exec, s[0:1]
	v_mov_b32_e32 v98, 0
	v_mov_b32_e32 v97, 0
	;; [unrolled: 1-line block ×19, first 2 shown]
	s_cbranch_vccnz .LBB654_12
; %bb.11:                               ;   in Loop: Header=BB654_6 Depth=1
	s_and_b32 s21, s21, 0xffff
	buffer_load_dwordx4 v[22:25], v67, s[20:23], 0 offen
	buffer_load_dwordx4 v[18:21], v67, s[20:23], s59 offen
	buffer_load_dwordx4 v[14:17], v68, s[20:23], 0 offen
	buffer_load_dwordx4 v[10:13], v68, s[20:23], s59 offen
	v_mov_b32_e32 v97, v69
	v_mov_b32_e32 v96, v70
.LBB654_12:                             ;   in Loop: Header=BB654_6 Depth=1
	v_add_u32_e32 v32, s60, v85
	v_ashrrev_i32_e32 v26, 31, v32
	v_mul_lo_u32 v28, v26, s34
	v_mul_lo_u32 v29, v32, s35
	v_mad_u64_u32 v[26:27], s[20:21], v32, s34, 0
	v_add3_u32 v27, v27, v29, v28
	v_add_u32_e32 v28, 1, v32
	v_ashrrev_i32_e32 v29, 31, v28
	v_mul_lo_u32 v30, v29, s34
	v_mul_lo_u32 v31, v28, s35
	v_mad_u64_u32 v[28:29], s[20:21], v28, s34, 0
	v_add3_u32 v29, v29, v31, v30
	v_add_u32_e32 v30, 2, v32
	v_ashrrev_i32_e32 v31, 31, v30
	v_mul_lo_u32 v33, v31, s34
	v_mul_lo_u32 v34, v30, s35
	v_mad_u64_u32 v[30:31], s[20:21], v30, s34, 0
	v_add_u32_e32 v32, 3, v32
	v_add3_u32 v31, v31, v34, v33
	v_ashrrev_i32_e32 v33, 31, v32
	v_mul_lo_u32 v36, v33, s34
	v_mul_lo_u32 v37, v32, s35
	v_mad_u64_u32 v[32:33], s[20:21], v32, s34, 0
	s_add_u32 s20, s40, s60
	s_addc_u32 s21, s41, 0
	s_lshl_b64 s[20:21], s[20:21], 8
	v_lshl_add_u64 v[26:27], v[26:27], 2, s[42:43]
	v_lshl_add_u64 v[34:35], v[56:57], 0, s[20:21]
	;; [unrolled: 1-line block ×3, first 2 shown]
	global_load_ushort v50, v[34:35], off
	global_load_ushort v51, v[34:35], off offset:256
	global_load_ushort v52, v[34:35], off offset:512
	;; [unrolled: 1-line block ×3, first 2 shown]
	v_add3_u32 v33, v33, v37, v36
	global_load_dword v101, v[26:27], off
	v_lshl_add_u64 v[30:31], v[30:31], 2, s[42:43]
	v_lshl_add_u64 v[26:27], v[32:33], 2, s[42:43]
	global_load_dword v102, v[28:29], off
	global_load_dword v103, v[30:31], off
	;; [unrolled: 1-line block ×3, first 2 shown]
	s_load_dword s20, s[44:45], 0x0
	ds_read2st64_b64 v[34:37], v80 offset1:1
	ds_read2st64_b64 v[40:43], v80 offset0:2 offset1:3
	ds_read_b64 v[38:39], v75 offset:24576
	ds_read_b64 v[44:45], v77 offset:24576
	;; [unrolled: 1-line block ×4, first 2 shown]
	s_waitcnt lgkmcnt(0)
	v_mfma_f32_16x16x16_bf16 a[0:3], v[38:39], v[34:35], a[0:3]
	v_mov_b32_e32 v99, 0
	v_mov_b32_e32 v26, 0
	v_mov_b32_e32 v27, 0
	v_mfma_f32_16x16x16_bf16 a[0:3], v[44:45], v[36:37], a[0:3]
	v_mov_b32_e32 v28, 0
	v_mov_b32_e32 v29, 0
	v_mov_b32_e32 v30, 0
	;; [unrolled: 4-line block ×4, first 2 shown]
	v_mov_b32_e32 v37, 0
	v_mov_b32_e32 v38, 0
	v_mov_b32_e32 v39, 0
	v_mov_b32_e32 v40, 0
	v_accvgpr_read_b32 v45, a1
	v_accvgpr_read_b32 v43, a3
	;; [unrolled: 1-line block ×4, first 2 shown]
	s_and_b64 vcc, exec, s[0:1]
	s_waitcnt vmcnt(7)
	v_lshlrev_b32_e32 v46, 16, v50
	s_waitcnt vmcnt(6)
	v_lshlrev_b32_e32 v47, 16, v51
	;; [unrolled: 2-line block ×4, first 2 shown]
	v_pk_add_f32 v[44:45], v[46:47], v[44:45] neg_lo:[0,1] neg_hi:[0,1]
	s_waitcnt vmcnt(3)
	v_sub_f32_e32 v41, s20, v101
	v_exp_f32_e32 v50, v41
	s_waitcnt vmcnt(2)
	v_sub_f32_e32 v41, s20, v102
	s_waitcnt vmcnt(1)
	v_sub_f32_e32 v52, s20, v103
	;; [unrolled: 2-line block ×3, first 2 shown]
	v_exp_f32_e32 v51, v41
	v_exp_f32_e32 v100, v52
	;; [unrolled: 1-line block ×3, first 2 shown]
	v_pk_add_f32 v[42:43], v[48:49], v[42:43] neg_lo:[0,1] neg_hi:[0,1]
	v_pk_mul_f32 v[44:45], v[50:51], v[44:45]
	v_mov_b32_e32 v41, 0
	v_pk_mul_f32 v[42:43], v[100:101], v[42:43]
	s_nop 0
	v_perm_b32 v43, v43, v42, s37
	v_perm_b32 v42, v45, v44, s37
	ds_write_b64 v72, v[42:43]
	s_cbranch_vccnz .LBB654_14
; %bb.13:                               ;   in Loop: Header=BB654_6 Depth=1
	s_and_b32 s25, s25, 0xffff
	s_mov_b32 s27, s23
	buffer_load_dwordx4 v[38:41], v83, s[24:27], 0 offen
	buffer_load_dwordx4 v[30:33], v83, s[24:27], s59 offen
	;; [unrolled: 1-line block ×4, first 2 shown]
	v_mov_b32_e32 v98, v66
	v_mov_b32_e32 v99, v65
.LBB654_14:                             ;   in Loop: Header=BB654_6 Depth=1
	s_waitcnt lgkmcnt(0)
	s_barrier
	ds_read_b64 v[42:43], v87
	ds_read_b64 v[48:49], v88
	ds_read2st64_b64 v[44:47], v80 offset1:1
	ds_read2st64_b64 v[100:103], v80 offset0:2 offset1:3
	ds_read_b64 v[50:51], v89
	ds_read_b64 v[108:109], v90
	s_add_i32 s21, s53, s65
	s_mul_hi_i32 s25, s21, s13
	s_mul_i32 s21, s21, s13
	s_waitcnt lgkmcnt(3)
	v_mfma_f32_16x16x16_bf16 a[0:3], v[42:43], v[44:45], 0
	ds_read_b64 v[42:43], v92
	s_add_u32 s24, s21, s33
	s_addc_u32 s25, s25, s57
	s_add_i32 s21, s3, s60
	v_mfma_f32_16x16x16_bf16 a[0:3], v[48:49], v[46:47], a[0:3]
	ds_read_b64 v[48:49], v93
	s_lshl_b64 s[24:25], s[24:25], 15
	s_mul_hi_i32 s27, s21, s13
	s_mul_i32 s21, s21, s13
	s_add_u32 s44, s21, s33
	s_addc_u32 s45, s27, s57
	s_lshl_b64 s[44:45], s[44:45], 9
	s_add_u32 s44, s30, s44
	s_waitcnt lgkmcnt(1)
	v_mfma_f32_16x16x16_bf16 a[4:7], v[42:43], v[44:45], 0
	s_addc_u32 s45, s31, s45
	s_and_b64 vcc, exec, s[0:1]
	v_mfma_f32_16x16x16_bf16 a[0:3], v[50:51], v[100:101], a[0:3]
	ds_read_b64 v[50:51], v94
	ds_read_b64 v[110:111], v95
	global_load_dwordx4 v[42:45], v91, s[44:45]
	s_waitcnt lgkmcnt(2)
	v_mfma_f32_16x16x16_bf16 a[4:7], v[48:49], v[46:47], a[4:7]
	global_load_dwordx4 v[46:49], v86, s[44:45]
	ds_read_b64 v[104:105], v81
	ds_read_b64 v[106:107], v82
	s_waitcnt lgkmcnt(3)
	v_mfma_f32_16x16x16_bf16 a[8:11], v[50:51], v[100:101], a[4:7]
	v_lshl_add_u64 v[50:51], v[54:55], 0, s[24:25]
	s_waitcnt lgkmcnt(0)
	global_store_dwordx4 v[50:51], v[104:107], off
	v_mfma_f32_16x16x16_bf16 a[4:7], v[108:109], v[102:103], a[0:3]
	s_waitcnt vmcnt(2)
	v_mov_b32_e32 v52, v45
	v_mfma_f32_16x16x16_bf16 a[0:3], v[110:111], v[102:103], a[8:11]
	v_mov_b32_e32 v51, v44
	v_mov_b32_e32 v50, v43
	s_cbranch_vccnz .LBB654_16
; %bb.15:                               ;   in Loop: Header=BB654_6 Depth=1
	v_lshrrev_b32_e32 v43, 3, v98
	v_and_b32_e32 v43, 6, v43
	v_xor_b32_e32 v44, v43, v99
	v_lshlrev_b32_e32 v44, 2, v44
	v_and_b32_e32 v45, 8, v98
	v_xor_b32_e32 v98, 0x440, v44
	v_cmp_eq_u32_e32 vcc, 0, v45
	v_perm_b32 v45, v30, v26, s61
	s_nop 0
	v_cndmask_b32_e32 v44, v98, v44, vcc
	v_lshl_or_b32 v43, v43, 10, v44
	v_perm_b32 v44, v38, v34, s61
	s_barrier
	ds_write2st64_b32 v43, v44, v45 offset1:32
	v_xor_b32_e32 v44, 8, v43
	v_perm_b32 v34, v38, v34, s62
	v_perm_b32 v26, v30, v26, s62
	v_add_u32_e32 v30, 0x80, v44
	ds_write2st64_b32 v30, v34, v26 offset1:32
	v_xor_b32_e32 v26, 16, v43
	v_perm_b32 v30, v39, v35, s61
	v_perm_b32 v34, v31, v27, s61
	ds_write2st64_b32 v26, v30, v34 offset0:1 offset1:33
	v_xor_b32_e32 v26, 24, v43
	v_perm_b32 v30, v39, v35, s62
	v_perm_b32 v27, v31, v27, s62
	v_add_u32_e32 v26, 0x80, v26
	ds_write2st64_b32 v26, v30, v27 offset0:1 offset1:33
	v_xor_b32_e32 v26, 32, v43
	v_perm_b32 v27, v40, v36, s61
	v_perm_b32 v30, v32, v28, s61
	ds_write2st64_b32 v26, v27, v30 offset0:2 offset1:34
	v_xor_b32_e32 v26, 40, v43
	v_perm_b32 v27, v40, v36, s62
	v_perm_b32 v28, v32, v28, s62
	v_add_u32_e32 v26, 0x80, v26
	ds_write2st64_b32 v26, v27, v28 offset0:2 offset1:34
	v_xor_b32_e32 v26, 48, v43
	v_perm_b32 v27, v41, v37, s61
	v_perm_b32 v28, v33, v29, s61
	ds_write2st64_b32 v26, v27, v28 offset0:3 offset1:35
	v_xor_b32_e32 v26, 56, v43
	v_perm_b32 v27, v41, v37, s62
	v_perm_b32 v28, v33, v29, s62
	v_add_u32_e32 v26, 0x80, v26
	ds_write2st64_b32 v26, v27, v28 offset0:3 offset1:35
	ds_write_b64 v97, v[22:23] offset:16384
	v_xor_b32_e32 v22, 8, v97
	ds_write_b64 v22, v[24:25] offset:16384
	ds_write_b64 v97, v[18:19] offset:24576
	ds_write_b64 v22, v[20:21] offset:24576
	ds_write_b64 v96, v[14:15] offset:16384
	v_xor_b32_e32 v14, 8, v96
	ds_write_b64 v14, v[16:17] offset:16384
	ds_write_b64 v96, v[10:11] offset:24576
	;; [unrolled: 1-line block ×3, first 2 shown]
.LBB654_16:                             ;   in Loop: Header=BB654_6 Depth=1
	v_exp_f32_e32 v18, s20
	s_waitcnt vmcnt(1)
	v_exp_f32_e32 v20, v46
	v_exp_f32_e32 v21, v47
	v_exp_f32_e32 v22, v48
	v_exp_f32_e32 v23, v49
	v_accvgpr_read_b32 v13, a7
	v_accvgpr_read_b32 v11, a5
	;; [unrolled: 1-line block ×3, first 2 shown]
	v_pk_mul_f32 v[20:21], v[18:19], v[20:21] op_sel_hi:[0,1]
	v_pk_fma_f32 v[2:3], v[2:3], v[20:21], v[10:11]
	v_exp_f32_e32 v20, v42
	v_exp_f32_e32 v21, v50
	v_pk_mul_f32 v[10:11], v[18:19], v[22:23] op_sel_hi:[0,1]
	v_exp_f32_e32 v22, v51
	v_exp_f32_e32 v23, v52
	v_accvgpr_read_b32 v12, a6
	v_accvgpr_read_b32 v17, a3
	;; [unrolled: 1-line block ×4, first 2 shown]
	v_pk_fma_f32 v[4:5], v[4:5], v[10:11], v[12:13]
	v_pk_mul_f32 v[10:11], v[18:19], v[20:21] op_sel_hi:[0,1]
	v_accvgpr_read_b32 v16, a2
	v_pk_fma_f32 v[6:7], v[6:7], v[10:11], v[14:15]
	v_pk_mul_f32 v[10:11], v[18:19], v[22:23] op_sel_hi:[0,1]
	s_add_i32 s60, s60, 64
	s_cmp_eq_u32 s51, s64
	v_pk_fma_f32 v[8:9], v[8:9], v[10:11], v[16:17]
	s_cbranch_scc1 .LBB654_18
; %bb.17:                               ;   in Loop: Header=BB654_6 Depth=1
	s_mov_b32 s65, s64
	s_branch .LBB654_6
.LBB654_18:
	s_lshl_b32 s44, s51, 6
	s_sub_i32 s45, s12, s44
	s_cmp_gt_i32 s45, 0
	v_or_b32_e32 v34, s2, v61
	s_cbranch_scc1 .LBB654_20
; %bb.19:
	s_ashr_i32 s0, s33, 31
	s_add_u32 s24, s48, s33
	s_addc_u32 s25, s54, s0
	v_or_b32_e32 v10, s2, v61
	s_cbranch_execz .LBB654_21
	s_branch .LBB654_77
.LBB654_20:
                                        ; implicit-def: $sgpr24_sgpr25
                                        ; implicit-def: $vgpr10
.LBB654_21:
	s_ashr_i32 s37, s50, 31
	s_ashr_i32 s3, s44, 31
	s_cmpk_lg_i32 s15, 0x80
	s_cselect_b64 s[40:41], -1, 0
	s_and_b64 vcc, exec, s[40:41]
	s_cbranch_vccz .LBB654_23
; %bb.22:
	s_mul_hi_i32 s0, s50, s12
	s_add_u32 s1, s46, s44
	s_addc_u32 s0, s0, s3
	s_mul_i32 s20, s1, s52
	s_mul_hi_u32 s21, s1, s14
	s_add_i32 s20, s21, s20
	s_mul_i32 s0, s0, s14
	s_add_i32 s20, s20, s0
	s_mul_i32 s1, s1, s14
	s_ashr_i32 s0, s55, 31
	s_add_u32 s42, s1, s55
	s_addc_u32 s43, s20, s0
	s_cbranch_execz .LBB654_24
	s_branch .LBB654_25
.LBB654_23:
                                        ; implicit-def: $sgpr42_sgpr43
.LBB654_24:
	s_mul_hi_i32 s0, s50, s14
	s_mul_i32 s50, s50, s14
	s_ashr_i32 s1, s55, 31
	s_add_u32 s14, s50, s55
	s_addc_u32 s0, s0, s1
	s_mul_i32 s1, s14, s49
	s_mul_hi_u32 s20, s14, s12
	s_add_i32 s1, s20, s1
	s_mul_i32 s0, s0, s12
	s_add_i32 s1, s1, s0
	s_mul_i32 s14, s14, s12
	s_add_u32 s42, s14, s44
	s_addc_u32 s43, s1, s3
.LBB654_25:
	s_add_i32 s20, s53, s51
	s_ashr_i32 s14, s33, 31
	s_add_u32 s24, s48, s33
	s_addc_u32 s25, s54, s14
	s_mul_i32 s0, s24, s49
	s_mul_hi_u32 s1, s24, s12
	s_add_i32 s0, s1, s0
	s_mul_i32 s1, s25, s12
	s_add_i32 s1, s0, s1
	s_mul_i32 s0, s24, s12
	s_add_u32 s0, s0, s44
	s_addc_u32 s1, s1, s3
	s_mov_b32 s3, 0x7060302
	v_lshlrev_b32_e32 v14, 3, v61
	s_lshl_b64 s[26:27], s[0:1], 8
	v_perm_b32 v11, v5, v4, s3
	v_perm_b32 v10, v3, v2, s3
	v_perm_b32 v13, v9, v8, s3
	v_perm_b32 v12, v7, v6, s3
	v_lshlrev_b32_e32 v44, 2, v61
	v_lshl_or_b32 v14, v1, 5, v14
	s_add_u32 s0, s6, s26
	ds_write2st64_b64 v14, v[10:11], v[12:13] offset0:72 offset1:76
	v_xor_b32_e32 v14, v1, v44
	v_lshlrev_b32_e32 v15, 8, v61
	s_addc_u32 s1, s7, s27
	v_lshl_or_b32 v14, v14, 1, v15
	s_mul_hi_i32 s3, s20, s13
	s_mul_i32 s20, s20, s13
	ds_write_b64 v14, v[10:11] offset:32768
	v_xor_b32_e32 v10, v64, v44
	s_add_u32 s6, s20, s33
	v_lshl_or_b32 v10, v10, 1, v15
	s_addc_u32 s7, s3, s14
	v_lshlrev_b32_e32 v11, 1, v61
	ds_write_b64 v10, v[12:13] offset:32768
	v_lshrrev_b32_e32 v10, 4, v0
	s_ashr_i32 s3, s2, 31
	s_lshl_b64 s[6:7], s[6:7], 15
	v_or_b32_e32 v12, 1, v11
	s_waitcnt lgkmcnt(0)
	s_add_u32 s6, s38, s6
	v_xor_b32_e32 v11, v10, v11
	v_xor_b32_e32 v12, v12, v10
	v_lshlrev_b32_e32 v14, 8, v10
	s_addc_u32 s7, s39, s7
	s_lshl_b64 s[2:3], s[2:3], 8
	v_lshl_or_b32 v10, v11, 3, v14
	v_lshl_or_b32 v12, v12, 3, v14
	s_barrier
	s_add_u32 s2, s6, s2
	ds_read_b64 v[10:11], v10 offset:32768
	ds_read_b64 v[12:13], v12 offset:32768
	s_addc_u32 s3, s7, s3
	v_mov_b32_e32 v15, 0
	s_cmp_lg_u32 s45, 64
	v_lshl_add_u64 v[16:17], s[2:3], 0, v[14:15]
	v_lshlrev_b32_e32 v14, 4, v61
	s_cselect_b64 s[6:7], -1, 0
	v_lshl_or_b32 v35, v53, 3, v63
	s_mov_b32 s20, 0
	v_lshl_add_u64 v[14:15], v[16:17], 0, v[14:15]
	v_or_b32_e32 v27, 32, v35
	v_and_b32_e32 v26, 56, v62
	s_and_b64 vcc, exec, s[6:7]
	s_waitcnt lgkmcnt(0)
	global_store_dwordx4 v[14:15], v[10:13], off
	s_cbranch_vccz .LBB654_31
; %bb.26:
	s_mov_b32 s21, s20
	s_mov_b32 s22, s20
	;; [unrolled: 1-line block ×3, first 2 shown]
	v_mov_b64_e32 v[14:15], s[20:21]
	v_mov_b64_e32 v[16:17], s[22:23]
	;; [unrolled: 1-line block ×3, first 2 shown]
	v_cmp_gt_i32_e32 vcc, s45, v35
	v_mov_b64_e32 v[12:13], v[16:17]
	s_and_saveexec_b64 s[2:3], vcc
	s_cbranch_execz .LBB654_28
; %bb.27:
	v_lshlrev_b32_e32 v10, 8, v35
	v_mov_b32_e32 v11, 0
	v_lshl_add_u64 v[12:13], s[0:1], 0, v[10:11]
	v_lshlrev_b32_e32 v10, 1, v26
	v_lshl_add_u64 v[18:19], v[12:13], 0, v[10:11]
	global_load_dwordx4 v[14:17], v[18:19], off
	global_load_dwordx4 v[10:13], v[18:19], off offset:128
.LBB654_28:
	s_or_b64 exec, exec, s[2:3]
	s_mov_b32 s22, s20
	s_mov_b32 s23, s20
	;; [unrolled: 1-line block ×3, first 2 shown]
	v_mov_b64_e32 v[24:25], s[22:23]
	v_mov_b64_e32 v[22:23], s[20:21]
	v_mov_b64_e32 v[18:19], v[22:23]
	v_cmp_gt_i32_e32 vcc, s45, v27
	v_lshlrev_b32_e32 v28, 7, v27
	v_mov_b64_e32 v[20:21], v[24:25]
	s_and_saveexec_b64 s[2:3], vcc
	s_cbranch_execz .LBB654_30
; %bb.29:
	v_lshlrev_b32_e32 v18, 1, v28
	v_mov_b32_e32 v19, 0
	v_lshl_add_u64 v[20:21], s[0:1], 0, v[18:19]
	v_lshlrev_b32_e32 v18, 1, v26
	v_lshl_add_u64 v[30:31], v[20:21], 0, v[18:19]
	global_load_dwordx4 v[22:25], v[30:31], off
	global_load_dwordx4 v[18:21], v[30:31], off offset:128
.LBB654_30:
	s_or_b64 exec, exec, s[2:3]
	v_lshrrev_b32_e32 v29, 3, v26
	v_lshlrev_b32_e32 v30, 3, v35
	v_or_b32_e32 v29, v30, v29
	v_lshlrev_b32_e32 v29, 4, v29
	v_and_b32_e32 v30, 0x78, v30
	v_xor_b32_e32 v29, v29, v30
	s_branch .LBB654_33
.LBB654_31:
                                        ; implicit-def: $vgpr29
                                        ; implicit-def: $vgpr28
                                        ; implicit-def: $vgpr14_vgpr15_vgpr16_vgpr17
                                        ; implicit-def: $vgpr10_vgpr11_vgpr12_vgpr13
                                        ; implicit-def: $vgpr22_vgpr23_vgpr24_vgpr25
                                        ; implicit-def: $vgpr18_vgpr19_vgpr20_vgpr21
	s_cbranch_execz .LBB654_33
; %bb.32:
	s_waitcnt vmcnt(0)
	v_lshlrev_b32_e32 v10, 1, v26
	v_lshl_or_b32 v28, v35, 8, v10
	s_and_b32 s1, s1, 0xffff
	s_mov_b32 s3, 0x20000
	s_movk_i32 s2, 0x4000
	v_lshl_or_b32 v29, v27, 8, v10
	s_movk_i32 s20, 0x80
	buffer_load_dwordx4 v[14:17], v28, s[0:3], 0 offen
	buffer_load_dwordx4 v[10:13], v28, s[0:3], s20 offen
	;; [unrolled: 1-line block ×4, first 2 shown]
	v_lshrrev_b32_e32 v28, 3, v26
	v_lshlrev_b32_e32 v29, 3, v35
	v_or_b32_e32 v28, v29, v28
	v_lshlrev_b32_e32 v28, 4, v28
	v_and_b32_e32 v29, 0x78, v29
	v_xor_b32_e32 v29, v28, v29
	v_lshlrev_b32_e32 v28, 7, v27
.LBB654_33:
	s_lshl_b64 s[0:1], s[42:43], 8
	s_add_u32 s4, s4, s0
	s_movk_i32 s0, 0x1000
	v_and_or_b32 v27, v28, s0, v29
	s_waitcnt vmcnt(1)
	ds_write_b64 v29, v[14:15] offset:16384
	v_xor_b32_e32 v14, 8, v29
	s_addc_u32 s5, s5, s1
	ds_write_b64 v14, v[16:17] offset:16384
	s_waitcnt vmcnt(0)
	ds_write_b64 v29, v[10:11] offset:24576
	ds_write_b64 v14, v[12:13] offset:24576
	;; [unrolled: 1-line block ×3, first 2 shown]
	v_xor_b32_e32 v10, 8, v27
	s_add_i32 s20, s12, -1
	ds_write_b64 v10, v[24:25] offset:16384
	ds_write_b64 v27, v[18:19] offset:24576
	;; [unrolled: 1-line block ×3, first 2 shown]
	s_mul_i32 s3, s20, s35
	s_mul_hi_u32 s12, s20, s34
	v_or_b32_e32 v10, v58, v61
	s_add_i32 s3, s12, s3
	v_lshlrev_b32_e32 v10, 3, v10
	v_lshrrev_b32_e32 v12, 5, v59
	s_movk_i32 s12, 0xf8
	v_and_or_b32 v12, v10, s12, v12
	v_lshlrev_b32_e32 v45, 11, v53
	v_lshlrev_b32_e32 v20, 4, v12
	v_and_b32_e32 v21, 0x78, v10
	v_and_b32_e32 v22, 0x1000, v45
	v_lshlrev_b32_e32 v11, 2, v0
	v_xor_b32_e32 v10, v20, v21
	v_lshrrev_b32_e32 v12, 1, v59
	v_and_b32_e32 v11, 60, v11
	v_or_b32_e32 v10, v10, v22
	v_and_b32_e32 v23, 8, v12
	v_xor_b32_e32 v36, v10, v23
	v_lshl_or_b32 v10, v60, 6, v11
	v_lshlrev_b32_e32 v46, 1, v10
	v_or_b32_e32 v10, 32, v20
	v_xor_b32_e32 v10, v10, v21
	s_waitcnt lgkmcnt(0)
	s_barrier
	ds_read_b64 v[18:19], v36 offset:16384
	v_or_b32_e32 v10, v10, v22
	v_xor_b32_e32 v37, v10, v23
	v_or_b32_e32 v10, 64, v20
	v_xor_b32_e32 v10, v10, v21
	v_or_b32_e32 v10, v10, v22
	v_or_b32_e32 v20, 0x60, v20
	v_xor_b32_e32 v38, v10, v23
	ds_read2st64_b64 v[10:13], v46 offset0:72 offset1:73
	ds_read2st64_b64 v[14:17], v46 offset0:74 offset1:75
	v_xor_b32_e32 v24, v20, v21
	ds_read_b64 v[20:21], v37 offset:16384
	s_waitcnt lgkmcnt(2)
	v_mfma_f32_16x16x16_bf16 a[0:3], v[18:19], v[10:11], 0
	s_add_i32 s0, s47, s17
	s_mul_i32 s37, s37, s16
	s_add_i32 s37, s0, s37
	s_mul_i32 s0, s33, s19
	s_mul_hi_u32 s1, s33, s18
	s_ashr_i32 s2, s20, 31
	s_add_i32 s0, s1, s0
	s_mul_i32 s1, s14, s18
	s_mul_i32 s2, s2, s34
	v_or_b32_e32 v22, v24, v22
	s_add_i32 s1, s0, s1
	s_add_i32 s3, s3, s2
	s_lshl_b64 s[16:17], s[36:37], 2
	v_xor_b32_e32 v47, v22, v23
	ds_read_b64 v[22:23], v38 offset:16384
	ds_read_b64 v[24:25], v47 offset:16384
	s_waitcnt lgkmcnt(2)
	v_mfma_f32_16x16x16_bf16 a[0:3], v[20:21], v[12:13], a[0:3]
	s_mul_i32 s0, s33, s18
	s_add_u32 s10, s10, s16
	s_addc_u32 s11, s11, s17
	s_lshl_b64 s[0:1], s[0:1], 2
	s_mul_i32 s2, s20, s34
	s_add_u32 s10, s10, s0
	s_addc_u32 s11, s11, s1
	s_lshl_b64 s[0:1], s[2:3], 2
	s_waitcnt lgkmcnt(1)
	v_mfma_f32_16x16x16_bf16 a[0:3], v[22:23], v[14:15], a[0:3]
	s_add_u32 s0, s10, s0
	s_addc_u32 s1, s11, s1
	s_load_dword s12, s[0:1], 0x0
	s_waitcnt lgkmcnt(0)
	v_mfma_f32_16x16x16_bf16 a[0:3], v[24:25], v[16:17], a[0:3]
	s_and_b64 vcc, exec, s[40:41]
	s_cbranch_vccz .LBB654_44
; %bb.34:
	v_lshlrev_b32_e32 v27, 1, v35
	s_and_b64 vcc, exec, s[6:7]
	s_cbranch_vccz .LBB654_45
; %bb.35:
	v_cmp_gt_i32_e32 vcc, s45, v27
	v_mov_b32_e32 v14, 0
	v_mov_b32_e32 v10, 0
	;; [unrolled: 1-line block ×5, first 2 shown]
	s_and_saveexec_b64 s[0:1], vcc
	s_cbranch_execz .LBB654_37
; %bb.36:
	v_mad_i64_i32 v[10:11], s[2:3], s15, v27, 0
	v_lshl_add_u64 v[10:11], v[10:11], 1, s[4:5]
	v_lshlrev_b32_e32 v12, 1, v26
	v_mov_b32_e32 v13, 0
	v_lshl_add_u64 v[10:11], v[10:11], 0, v[12:13]
	global_load_dwordx4 v[10:13], v[10:11], off
.LBB654_37:
	s_or_b64 exec, exec, s[0:1]
	v_or_b32_e32 v28, 1, v27
	v_cmp_gt_i32_e64 s[0:1], s45, v28
	v_mov_b32_e32 v15, 0
	v_mov_b32_e32 v16, 0
	;; [unrolled: 1-line block ×3, first 2 shown]
	s_and_saveexec_b64 s[2:3], s[0:1]
	s_cbranch_execz .LBB654_39
; %bb.38:
	v_mad_i64_i32 v[14:15], s[16:17], s15, v28, 0
	v_lshl_add_u64 v[14:15], v[14:15], 1, s[4:5]
	v_lshlrev_b32_e32 v16, 1, v26
	v_mov_b32_e32 v17, 0
	v_lshl_add_u64 v[14:15], v[14:15], 0, v[16:17]
	global_load_dwordx4 v[14:17], v[14:15], off
.LBB654_39:
	s_or_b64 exec, exec, s[2:3]
	v_mov_b32_e32 v25, 0
	v_mov_b32_e32 v18, 0
	;; [unrolled: 1-line block ×5, first 2 shown]
	s_and_saveexec_b64 s[2:3], vcc
	s_cbranch_execz .LBB654_41
; %bb.40:
	v_mad_i64_i32 v[18:19], s[16:17], s15, v27, 0
	v_lshl_add_u64 v[18:19], v[18:19], 1, s[4:5]
	v_lshlrev_b32_e32 v20, 1, v26
	v_mov_b32_e32 v21, 0
	v_lshl_add_u64 v[18:19], v[18:19], 0, v[20:21]
	global_load_dwordx4 v[18:21], v[18:19], off offset:128
.LBB654_41:
	s_or_b64 exec, exec, s[2:3]
	v_mov_b32_e32 v24, 0
	v_mov_b32_e32 v23, 0
	;; [unrolled: 1-line block ×3, first 2 shown]
	s_and_saveexec_b64 s[2:3], s[0:1]
	s_cbranch_execz .LBB654_43
; %bb.42:
	v_mad_i64_i32 v[22:23], s[0:1], s15, v28, 0
	v_lshl_add_u64 v[22:23], v[22:23], 1, s[4:5]
	v_lshlrev_b32_e32 v24, 1, v26
	v_mov_b32_e32 v25, 0
	v_lshl_add_u64 v[22:23], v[22:23], 0, v[24:25]
	global_load_dwordx4 v[22:25], v[22:23], off offset:128
.LBB654_43:
	s_or_b64 exec, exec, s[2:3]
	s_branch .LBB654_47
.LBB654_44:
                                        ; implicit-def: $vgpr13
                                        ; implicit-def: $vgpr17
                                        ; implicit-def: $vgpr21
                                        ; implicit-def: $vgpr25
	v_lshrrev_b32_e32 v27, 2, v59
	s_branch .LBB654_48
.LBB654_45:
                                        ; implicit-def: $vgpr13
                                        ; implicit-def: $vgpr17
                                        ; implicit-def: $vgpr21
                                        ; implicit-def: $vgpr25
	s_cbranch_execz .LBB654_47
; %bb.46:
	s_waitcnt vmcnt(0)
	v_mad_u64_u32 v[10:11], s[0:1], v27, s15, v[26:27]
	v_lshlrev_b32_e32 v27, 1, v10
	s_lshl_b32 s2, s15, 7
	s_and_b32 s1, s5, 0xffff
	s_mov_b32 s3, 0x20000
	s_mov_b32 s0, s4
	v_add_lshl_u32 v28, v10, s15, 1
	s_movk_i32 s15, 0x80
	buffer_load_dwordx4 v[10:13], v27, s[0:3], 0 offen
	buffer_load_dwordx4 v[18:21], v27, s[0:3], s15 offen
	;; [unrolled: 1-line block ×4, first 2 shown]
.LBB654_47:
	v_lshrrev_b32_e32 v27, 2, v59
	s_cbranch_execnz .LBB654_60
.LBB654_48:
	s_and_b64 vcc, exec, s[6:7]
	s_cbranch_vccz .LBB654_58
; %bb.49:
	s_waitcnt vmcnt(0)
	v_lshlrev_b32_e32 v15, 1, v35
	v_cmp_gt_i32_e32 vcc, s45, v15
	v_mov_b32_e32 v14, 0
	v_lshlrev_b32_e32 v22, 9, v35
	v_mov_b32_e32 v10, 0
	v_mov_b32_e32 v11, 0
	;; [unrolled: 1-line block ×4, first 2 shown]
	s_and_saveexec_b64 s[0:1], vcc
	s_cbranch_execz .LBB654_51
; %bb.50:
	v_mov_b32_e32 v23, 0
	v_lshl_add_u64 v[10:11], s[4:5], 0, v[22:23]
	v_lshlrev_b32_e32 v12, 1, v26
	v_mov_b32_e32 v13, v23
	v_lshl_add_u64 v[10:11], v[10:11], 0, v[12:13]
	global_load_dwordx4 v[10:13], v[10:11], off
.LBB654_51:
	s_or_b64 exec, exec, s[0:1]
	v_or_b32_e32 v15, 1, v15
	v_cmp_gt_i32_e64 s[0:1], s45, v15
	v_lshlrev_b32_e32 v28, 8, v15
	v_mov_b32_e32 v15, 0
	v_mov_b32_e32 v16, 0
	;; [unrolled: 1-line block ×3, first 2 shown]
	s_and_saveexec_b64 s[2:3], s[0:1]
	s_cbranch_execz .LBB654_53
; %bb.52:
	v_mov_b32_e32 v29, 0
	v_lshl_add_u64 v[14:15], s[4:5], 0, v[28:29]
	v_lshlrev_b32_e32 v16, 1, v26
	v_mov_b32_e32 v17, v29
	v_lshl_add_u64 v[14:15], v[14:15], 0, v[16:17]
	global_load_dwordx4 v[14:17], v[14:15], off
.LBB654_53:
	s_or_b64 exec, exec, s[2:3]
	v_mov_b32_e32 v25, 0
	v_mov_b32_e32 v18, 0
	;; [unrolled: 1-line block ×5, first 2 shown]
	s_and_saveexec_b64 s[2:3], vcc
	s_cbranch_execz .LBB654_55
; %bb.54:
	v_mov_b32_e32 v23, 0
	v_lshl_add_u64 v[18:19], s[4:5], 0, v[22:23]
	v_lshlrev_b32_e32 v22, 1, v26
	v_lshl_add_u64 v[18:19], v[18:19], 0, v[22:23]
	global_load_dwordx4 v[18:21], v[18:19], off offset:128
.LBB654_55:
	s_or_b64 exec, exec, s[2:3]
	v_mov_b32_e32 v24, 0
	v_mov_b32_e32 v23, 0
	;; [unrolled: 1-line block ×3, first 2 shown]
	s_and_saveexec_b64 s[2:3], s[0:1]
	s_cbranch_execz .LBB654_57
; %bb.56:
	v_mov_b32_e32 v29, 0
	v_lshl_add_u64 v[22:23], s[4:5], 0, v[28:29]
	v_lshlrev_b32_e32 v28, 1, v26
	v_lshl_add_u64 v[22:23], v[22:23], 0, v[28:29]
	global_load_dwordx4 v[22:25], v[22:23], off offset:128
.LBB654_57:
	s_or_b64 exec, exec, s[2:3]
	s_branch .LBB654_60
.LBB654_58:
                                        ; implicit-def: $vgpr13
                                        ; implicit-def: $vgpr17
                                        ; implicit-def: $vgpr21
                                        ; implicit-def: $vgpr25
	s_cbranch_execz .LBB654_60
; %bb.59:
	s_waitcnt vmcnt(0)
	v_lshlrev_b32_e32 v10, 1, v26
	v_lshl_or_b32 v26, v35, 9, v10
	s_and_b32 s5, s5, 0xffff
	s_mov_b32 s7, 0x20000
	s_movk_i32 s6, 0x4000
	s_movk_i32 s0, 0x80
	buffer_load_dwordx4 v[10:13], v26, s[4:7], 0 offen
	buffer_load_dwordx4 v[14:17], v26, s[4:7], 0 offen offset:256
	buffer_load_dwordx4 v[18:21], v26, s[4:7], s0 offen
	buffer_load_dwordx4 v[22:25], v26, s[4:7], s0 offen offset:256
.LBB654_60:
	v_and_b32_e32 v48, 12, v27
	ds_read2st64_b64 v[30:33], v46 offset0:76 offset1:77
	ds_read2st64_b64 v[26:29], v46 offset0:78 offset1:79
	ds_read_b64 v[40:41], v36 offset:24576
	ds_read_b64 v[42:43], v37 offset:24576
	;; [unrolled: 1-line block ×4, first 2 shown]
	v_and_b32_e32 v47, 6, v0
	v_xor_b32_e32 v35, v35, v47
	v_lshlrev_b32_e32 v35, 2, v35
	v_and_b32_e32 v49, 1, v0
	v_xor_b32_e32 v50, 0x440, v35
	v_cmp_eq_u32_e32 vcc, 0, v49
	s_mov_b32 s0, 0x1000504
	s_waitcnt vmcnt(0)
	v_perm_b32 v49, v18, v22, s0
	v_cndmask_b32_e32 v35, v50, v35, vcc
	v_lshl_or_b32 v35, v47, 10, v35
	v_perm_b32 v47, v10, v14, s0
	ds_write2st64_b32 v35, v47, v49 offset1:32
	v_xor_b32_e32 v47, 8, v35
	s_mov_b32 s1, 0x3020706
	v_perm_b32 v10, v10, v14, s1
	v_perm_b32 v14, v18, v22, s1
	v_add_u32_e32 v18, 0x80, v47
	ds_write2st64_b32 v18, v10, v14 offset1:32
	v_xor_b32_e32 v10, 16, v35
	v_perm_b32 v14, v11, v15, s0
	v_perm_b32 v18, v19, v23, s0
	ds_write2st64_b32 v10, v14, v18 offset0:1 offset1:33
	v_xor_b32_e32 v10, 24, v35
	v_perm_b32 v11, v11, v15, s1
	v_perm_b32 v14, v19, v23, s1
	v_add_u32_e32 v10, 0x80, v10
	ds_write2st64_b32 v10, v11, v14 offset0:1 offset1:33
	v_xor_b32_e32 v10, 32, v35
	v_perm_b32 v11, v12, v16, s0
	v_perm_b32 v14, v20, v24, s0
	ds_write2st64_b32 v10, v11, v14 offset0:2 offset1:34
	v_xor_b32_e32 v10, 40, v35
	v_perm_b32 v11, v12, v16, s1
	v_perm_b32 v12, v20, v24, s1
	v_add_u32_e32 v10, 0x80, v10
	ds_write2st64_b32 v10, v11, v12 offset0:2 offset1:34
	v_xor_b32_e32 v10, 48, v35
	v_perm_b32 v11, v13, v17, s0
	v_perm_b32 v12, v21, v25, s0
	ds_write2st64_b32 v10, v11, v12 offset0:3 offset1:35
	v_xor_b32_e32 v10, 56, v35
	v_or_b32_e32 v16, v48, v58
	v_perm_b32 v11, v13, v17, s1
	v_perm_b32 v12, v21, v25, s1
	v_add_u32_e32 v10, 0x80, v10
	v_cmp_gt_i32_e32 vcc, s45, v16
	v_mov_b32_e32 v17, 0
	v_mov_b32_e32 v21, 0
	ds_write2st64_b32 v10, v11, v12 offset0:3 offset1:35
	s_and_saveexec_b64 s[0:1], vcc
	s_cbranch_execz .LBB654_62
; %bb.61:
	v_add_u32_e32 v10, s44, v16
	v_ashrrev_i32_e32 v11, 31, v10
	v_mul_lo_u32 v12, v11, s34
	v_mul_lo_u32 v13, v10, s35
	v_mad_u64_u32 v[10:11], s[2:3], v10, s34, 0
	v_add3_u32 v11, v11, v13, v12
	v_lshl_add_u64 v[10:11], v[10:11], 2, s[10:11]
	global_load_dword v10, v[10:11], off
	s_waitcnt vmcnt(0)
	v_sub_f32_e32 v10, s12, v10
	v_exp_f32_e32 v21, v10
.LBB654_62:
	s_or_b64 exec, exec, s[0:1]
	v_or_b32_e32 v19, 1, v16
	v_cmp_gt_i32_e64 s[0:1], s45, v19
	s_and_saveexec_b64 s[2:3], s[0:1]
	s_cbranch_execz .LBB654_64
; %bb.63:
	v_add_u32_e32 v10, s44, v19
	v_ashrrev_i32_e32 v11, 31, v10
	v_mul_lo_u32 v12, v11, s34
	v_mul_lo_u32 v13, v10, s35
	v_mad_u64_u32 v[10:11], s[4:5], v10, s34, 0
	v_add3_u32 v11, v11, v13, v12
	v_lshl_add_u64 v[10:11], v[10:11], 2, s[10:11]
	global_load_dword v10, v[10:11], off
	s_waitcnt vmcnt(0)
	v_sub_f32_e32 v10, s12, v10
	v_exp_f32_e32 v17, v10
.LBB654_64:
	s_or_b64 exec, exec, s[2:3]
	v_or_b32_e32 v20, 2, v16
	v_cmp_gt_i32_e64 s[2:3], s45, v20
	v_mov_b32_e32 v18, 0
	v_mov_b32_e32 v23, 0
	s_and_saveexec_b64 s[4:5], s[2:3]
	s_cbranch_execz .LBB654_66
; %bb.65:
	v_add_u32_e32 v10, s44, v20
	v_ashrrev_i32_e32 v11, 31, v10
	v_mul_lo_u32 v12, v11, s34
	v_mul_lo_u32 v13, v10, s35
	v_mad_u64_u32 v[10:11], s[6:7], v10, s34, 0
	v_add3_u32 v11, v11, v13, v12
	v_lshl_add_u64 v[10:11], v[10:11], 2, s[10:11]
	global_load_dword v10, v[10:11], off
	s_waitcnt vmcnt(0)
	v_sub_f32_e32 v10, s12, v10
	v_exp_f32_e32 v23, v10
.LBB654_66:
	s_or_b64 exec, exec, s[4:5]
	v_or_b32_e32 v22, 3, v16
	v_cmp_gt_i32_e64 s[4:5], s45, v22
	s_and_saveexec_b64 s[6:7], s[4:5]
	s_cbranch_execz .LBB654_68
; %bb.67:
	v_add_u32_e32 v10, s44, v22
	v_ashrrev_i32_e32 v11, 31, v10
	v_mul_lo_u32 v12, v11, s34
	v_mul_lo_u32 v13, v10, s35
	v_mad_u64_u32 v[10:11], s[16:17], v10, s34, 0
	v_add3_u32 v11, v11, v13, v12
	v_lshl_add_u64 v[10:11], v[10:11], 2, s[10:11]
	global_load_dword v10, v[10:11], off
	s_waitcnt vmcnt(0)
	v_sub_f32_e32 v10, s12, v10
	v_exp_f32_e32 v18, v10
.LBB654_68:
	s_or_b64 exec, exec, s[6:7]
	s_waitcnt lgkmcnt(11)
	v_mfma_f32_16x16x16_bf16 a[0:3], v[40:41], v[30:31], a[0:3]
	s_add_u32 s6, s8, s26
	v_ashrrev_i32_e32 v35, 31, v34
	s_addc_u32 s7, s9, s27
	s_waitcnt lgkmcnt(10)
	v_mfma_f32_16x16x16_bf16 a[0:3], v[42:43], v[32:33], a[0:3]
	v_mov_b32_e32 v24, 0
	v_lshl_add_u64 v[14:15], v[34:35], 1, s[6:7]
	v_mov_b32_e32 v25, 0
	s_waitcnt lgkmcnt(9)
	v_mfma_f32_16x16x16_bf16 a[0:3], v[38:39], v[26:27], a[0:3]
	s_waitcnt lgkmcnt(8)
	v_mfma_f32_16x16x16_bf16 a[0:3], v[36:37], v[28:29], a[0:3]
	s_nop 6
	v_accvgpr_read_b32 v13, a3
	v_accvgpr_read_b32 v12, a2
	;; [unrolled: 1-line block ×4, first 2 shown]
	s_and_saveexec_b64 s[6:7], vcc
	s_cbranch_execz .LBB654_70
; %bb.69:
	v_lshlrev_b32_e32 v26, 8, v16
	v_mov_b32_e32 v27, 0
	v_lshl_add_u64 v[26:27], v[14:15], 0, v[26:27]
	global_load_ushort v25, v[26:27], off
	s_waitcnt vmcnt(0)
	v_lshlrev_b32_e32 v25, 16, v25
	v_sub_f32_e32 v10, v25, v10
	v_mul_f32_e32 v10, v21, v10
	v_lshrrev_b32_e32 v25, 16, v10
.LBB654_70:
	s_or_b64 exec, exec, s[6:7]
	s_and_saveexec_b64 s[6:7], s[0:1]
	s_cbranch_execz .LBB654_72
; %bb.71:
	v_lshlrev_b32_e32 v26, 8, v19
	v_mov_b32_e32 v27, 0
	v_lshl_add_u64 v[26:27], v[14:15], 0, v[26:27]
	global_load_ushort v10, v[26:27], off
	s_waitcnt vmcnt(0)
	v_lshlrev_b32_e32 v10, 16, v10
	v_sub_f32_e32 v10, v10, v11
	v_mul_f32_e32 v10, v17, v10
	v_lshrrev_b32_e32 v24, 16, v10
.LBB654_72:
	s_or_b64 exec, exec, s[6:7]
	v_mov_b32_e32 v11, 0
	v_mov_b32_e32 v17, 0
	s_and_saveexec_b64 s[0:1], s[2:3]
	s_cbranch_execz .LBB654_74
; %bb.73:
	v_lshlrev_b32_e32 v20, 8, v20
	v_mov_b32_e32 v21, 0
	v_lshl_add_u64 v[20:21], v[14:15], 0, v[20:21]
	global_load_ushort v10, v[20:21], off
	s_waitcnt vmcnt(0)
	v_lshlrev_b32_e32 v10, 16, v10
	v_sub_f32_e32 v10, v10, v12
	v_mul_f32_e32 v10, v23, v10
	v_lshrrev_b32_e32 v17, 16, v10
.LBB654_74:
	s_or_b64 exec, exec, s[0:1]
	v_or_b32_e32 v10, 0x9800, v46
	s_and_saveexec_b64 s[0:1], s[4:5]
	s_cbranch_execz .LBB654_76
; %bb.75:
	v_lshlrev_b32_e32 v20, 8, v22
	v_mov_b32_e32 v21, 0
	v_lshl_add_u64 v[14:15], v[14:15], 0, v[20:21]
	global_load_ushort v11, v[14:15], off
	s_waitcnt vmcnt(0)
	v_lshlrev_b32_e32 v11, 16, v11
	v_sub_f32_e32 v11, v11, v13
	v_mul_f32_e32 v11, v18, v11
	v_lshrrev_b32_e32 v11, 16, v11
.LBB654_76:
	s_or_b64 exec, exec, s[0:1]
	s_mov_b32 s0, 0x5040100
	v_perm_b32 v13, v11, v17, s0
	v_lshlrev_b32_e32 v11, 1, v44
	v_perm_b32 v12, v24, v25, s0
	v_lshl_or_b32 v11, v16, 5, v11
	s_movk_i32 s2, 0xff
	ds_write_b64 v11, v[12:13] offset:38912
	v_and_b32_e32 v11, 7, v0
	v_cmp_lt_u32_e32 vcc, s2, v0
	v_and_b32_e32 v12, 8, v0
	v_lshlrev_b32_e32 v17, 3, v11
	v_lshlrev_b32_e32 v30, 7, v11
	v_cndmask_b32_e64 v11, 0, 1, vcc
	v_lshrrev_b32_e32 v0, 1, v0
	v_lshlrev_b32_e32 v24, 13, v11
	v_lshlrev_b32_e32 v11, 3, v53
	v_and_b32_e32 v0, 24, v0
	v_xor_b32_e32 v13, v11, v0
	v_or_b32_e32 v14, 0x440, v13
	v_cmp_eq_u32_e32 vcc, 0, v12
	s_waitcnt lgkmcnt(0)
	s_barrier
	v_cndmask_b32_e32 v12, v14, v13, vcc
	v_or_b32_e32 v12, v12, v45
	v_xor_b32_e32 v31, v12, v17
	v_or_b32_e32 v12, 32, v0
	v_xor_b32_e32 v12, v11, v12
	v_or_b32_e32 v13, 0x440, v12
	v_cndmask_b32_e32 v12, v13, v12, vcc
	v_or_b32_e32 v12, v12, v45
	v_xor_b32_e32 v32, v12, v17
	v_or_b32_e32 v12, 64, v0
	v_xor_b32_e32 v12, v11, v12
	v_xor_b32_e32 v13, 0x440, v12
	v_cndmask_b32_e32 v12, v13, v12, vcc
	v_add3_u32 v22, v24, v31, v30
	v_or_b32_e32 v12, v12, v45
	v_or_b32_e32 v0, 0x60, v0
	v_xor_b32_e32 v33, v12, v17
	ds_read2st64_b64 v[12:15], v10 offset1:1
	ds_read2st64_b64 v[18:21], v10 offset0:2 offset1:3
	v_xor_b32_e32 v0, v11, v0
	ds_read_b64 v[10:11], v22
	v_add3_u32 v23, v24, v32, v30
	v_xor_b32_e32 v22, 0x440, v0
	v_cndmask_b32_e32 v0, v22, v0, vcc
	ds_read_b64 v[22:23], v23
	s_add_i32 s0, s20, s46
	s_mul_hi_i32 s1, s0, s13
	s_mul_i32 s0, s0, s13
	s_add_u32 s0, s0, s33
	s_waitcnt lgkmcnt(1)
	v_mfma_f32_16x16x16_bf16 a[0:3], v[10:11], v[12:13], 0
	s_addc_u32 s1, s1, s14
	s_lshl_b64 s[0:1], s[0:1], 9
	v_or_b32_e32 v0, v0, v45
	s_add_u32 s0, s30, s0
	v_add3_u32 v25, v24, v33, v30
	v_xor_b32_e32 v0, v0, v17
	s_addc_u32 s1, s31, s1
	v_lshlrev_b32_e32 v10, 2, v16
	v_add3_u32 v17, v24, v0, v30
	ds_read_b64 v[26:27], v25
	ds_read_b64 v[28:29], v17
	s_waitcnt lgkmcnt(2)
	v_mfma_f32_16x16x16_bf16 a[0:3], v[22:23], v[14:15], a[0:3]
	global_load_dwordx4 v[22:25], v10, s[0:1]
	v_add_u32_e32 v10, v31, v30
	ds_read_b64 v[10:11], v10 offset:8192
	v_lshlrev_b32_e32 v16, 6, v53
	v_lshlrev_b32_e32 v17, 2, v48
	s_movk_i32 s2, 0x100
	s_waitcnt lgkmcnt(2)
	v_mfma_f32_16x16x16_bf16 a[0:3], v[26:27], v[18:19], a[0:3]
	v_or3_b32 v35, v16, v17, s2
	v_add_u32_e32 v16, v32, v30
	v_add_u32_e32 v26, v33, v30
	;; [unrolled: 1-line block ×3, first 2 shown]
	ds_read_b64 v[16:17], v16 offset:8192
	ds_read_b64 v[26:27], v26 offset:8192
	;; [unrolled: 1-line block ×3, first 2 shown]
	s_waitcnt lgkmcnt(3)
	v_mfma_f32_16x16x16_bf16 a[4:7], v[10:11], v[12:13], 0
	global_load_dwordx4 v[10:13], v35, s[0:1]
	v_exp_f32_e32 v0, s12
	s_waitcnt vmcnt(1)
	v_exp_f32_e32 v22, v22
	v_mfma_f32_16x16x16_bf16 a[0:3], v[28:29], v[20:21], a[0:3]
	v_exp_f32_e32 v23, v23
	v_exp_f32_e32 v24, v24
	;; [unrolled: 1-line block ×3, first 2 shown]
	v_pk_mul_f32 v[22:23], v[0:1], v[22:23] op_sel_hi:[0,1]
	v_pk_mul_f32 v[24:25], v[0:1], v[24:25] op_sel_hi:[0,1]
	s_nop 1
	v_accvgpr_read_b32 v33, a1
	v_accvgpr_read_b32 v29, a3
	;; [unrolled: 1-line block ×4, first 2 shown]
	s_waitcnt lgkmcnt(2)
	v_mfma_f32_16x16x16_bf16 a[0:3], v[16:17], v[14:15], a[4:7]
	s_waitcnt vmcnt(0)
	v_mov_b32_e32 v14, v13
	v_mov_b32_e32 v13, v12
	;; [unrolled: 1-line block ×3, first 2 shown]
	s_waitcnt lgkmcnt(1)
	v_mfma_f32_16x16x16_bf16 a[0:3], v[26:27], v[18:19], a[0:3]
	v_exp_f32_e32 v10, v10
	v_exp_f32_e32 v11, v12
	;; [unrolled: 1-line block ×3, first 2 shown]
	s_waitcnt lgkmcnt(0)
	v_mfma_f32_16x16x16_bf16 a[0:3], v[30:31], v[20:21], a[0:3]
	v_exp_f32_e32 v13, v14
	v_pk_mul_f32 v[10:11], v[0:1], v[10:11] op_sel_hi:[0,1]
	v_pk_fma_f32 v[2:3], v[2:3], v[22:23], v[32:33]
	v_pk_fma_f32 v[4:5], v[4:5], v[24:25], v[28:29]
	s_nop 2
	v_accvgpr_read_b32 v17, a1
	v_accvgpr_read_b32 v16, a0
	;; [unrolled: 1-line block ×4, first 2 shown]
	v_pk_fma_f32 v[6:7], v[6:7], v[10:11], v[16:17]
	v_pk_mul_f32 v[10:11], v[0:1], v[12:13] op_sel_hi:[0,1]
	v_pk_fma_f32 v[8:9], v[8:9], v[10:11], v[14:15]
	v_mov_b32_e32 v10, v34
.LBB654_77:
	s_lshl_b64 s[0:1], s[24:25], 16
	s_waitcnt lgkmcnt(0)
	s_add_u32 s0, s28, s0
	v_lshlrev_b32_e32 v10, 7, v10
	s_addc_u32 s1, s29, s1
	v_ashrrev_i32_e32 v11, 31, v10
	v_lshl_add_u64 v[10:11], v[10:11], 2, s[0:1]
	v_lshlrev_b32_e32 v0, 2, v1
	v_mov_b32_e32 v1, 0
	v_lshl_add_u64 v[0:1], v[10:11], 0, v[0:1]
	global_store_dwordx4 v[0:1], v[2:5], off
	global_store_dwordx4 v[0:1], v[6:9], off offset:256
	s_endpgm
	.section	.rodata,"a",@progbits
	.p2align	6, 0x0
	.amdhsa_kernel _ZN12_GLOBAL__N_139chunk_gated_delta_rule_fwd_h_hip_kernelILi16ELb0ELb1ELb0ELb0ELb1ELb1ELb1ELb0EEEvPK12hip_bfloat16S3_S3_PKfS5_PKvPS1_S8_PvPKiSB_iiiiilll
		.amdhsa_group_segment_fixed_size 40960
		.amdhsa_private_segment_fixed_size 0
		.amdhsa_kernarg_size 136
		.amdhsa_user_sgpr_count 2
		.amdhsa_user_sgpr_dispatch_ptr 0
		.amdhsa_user_sgpr_queue_ptr 0
		.amdhsa_user_sgpr_kernarg_segment_ptr 1
		.amdhsa_user_sgpr_dispatch_id 0
		.amdhsa_user_sgpr_kernarg_preload_length 0
		.amdhsa_user_sgpr_kernarg_preload_offset 0
		.amdhsa_user_sgpr_private_segment_size 0
		.amdhsa_uses_dynamic_stack 0
		.amdhsa_enable_private_segment 0
		.amdhsa_system_sgpr_workgroup_id_x 1
		.amdhsa_system_sgpr_workgroup_id_y 1
		.amdhsa_system_sgpr_workgroup_id_z 0
		.amdhsa_system_sgpr_workgroup_info 0
		.amdhsa_system_vgpr_workitem_id 0
		.amdhsa_next_free_vgpr 124
		.amdhsa_next_free_sgpr 66
		.amdhsa_accum_offset 112
		.amdhsa_reserve_vcc 1
		.amdhsa_float_round_mode_32 0
		.amdhsa_float_round_mode_16_64 0
		.amdhsa_float_denorm_mode_32 3
		.amdhsa_float_denorm_mode_16_64 3
		.amdhsa_dx10_clamp 1
		.amdhsa_ieee_mode 1
		.amdhsa_fp16_overflow 0
		.amdhsa_tg_split 0
		.amdhsa_exception_fp_ieee_invalid_op 0
		.amdhsa_exception_fp_denorm_src 0
		.amdhsa_exception_fp_ieee_div_zero 0
		.amdhsa_exception_fp_ieee_overflow 0
		.amdhsa_exception_fp_ieee_underflow 0
		.amdhsa_exception_fp_ieee_inexact 0
		.amdhsa_exception_int_div_zero 0
	.end_amdhsa_kernel
	.section	.text._ZN12_GLOBAL__N_139chunk_gated_delta_rule_fwd_h_hip_kernelILi16ELb0ELb1ELb0ELb0ELb1ELb1ELb1ELb0EEEvPK12hip_bfloat16S3_S3_PKfS5_PKvPS1_S8_PvPKiSB_iiiiilll,"axG",@progbits,_ZN12_GLOBAL__N_139chunk_gated_delta_rule_fwd_h_hip_kernelILi16ELb0ELb1ELb0ELb0ELb1ELb1ELb1ELb0EEEvPK12hip_bfloat16S3_S3_PKfS5_PKvPS1_S8_PvPKiSB_iiiiilll,comdat
.Lfunc_end654:
	.size	_ZN12_GLOBAL__N_139chunk_gated_delta_rule_fwd_h_hip_kernelILi16ELb0ELb1ELb0ELb0ELb1ELb1ELb1ELb0EEEvPK12hip_bfloat16S3_S3_PKfS5_PKvPS1_S8_PvPKiSB_iiiiilll, .Lfunc_end654-_ZN12_GLOBAL__N_139chunk_gated_delta_rule_fwd_h_hip_kernelILi16ELb0ELb1ELb0ELb0ELb1ELb1ELb1ELb0EEEvPK12hip_bfloat16S3_S3_PKfS5_PKvPS1_S8_PvPKiSB_iiiiilll
                                        ; -- End function
	.section	.AMDGPU.csdata,"",@progbits
; Kernel info:
; codeLenInByte = 8076
; NumSgprs: 72
; NumVgprs: 112
; NumAgprs: 12
; TotalNumVgprs: 124
; ScratchSize: 0
; MemoryBound: 0
; FloatMode: 240
; IeeeMode: 1
; LDSByteSize: 40960 bytes/workgroup (compile time only)
; SGPRBlocks: 8
; VGPRBlocks: 15
; NumSGPRsForWavesPerEU: 72
; NumVGPRsForWavesPerEU: 124
; AccumOffset: 112
; Occupancy: 1
; WaveLimiterHint : 1
; COMPUTE_PGM_RSRC2:SCRATCH_EN: 0
; COMPUTE_PGM_RSRC2:USER_SGPR: 2
; COMPUTE_PGM_RSRC2:TRAP_HANDLER: 0
; COMPUTE_PGM_RSRC2:TGID_X_EN: 1
; COMPUTE_PGM_RSRC2:TGID_Y_EN: 1
; COMPUTE_PGM_RSRC2:TGID_Z_EN: 0
; COMPUTE_PGM_RSRC2:TIDIG_COMP_CNT: 0
; COMPUTE_PGM_RSRC3_GFX90A:ACCUM_OFFSET: 27
; COMPUTE_PGM_RSRC3_GFX90A:TG_SPLIT: 0
	.section	.text._ZN12_GLOBAL__N_139chunk_gated_delta_rule_fwd_h_hip_kernelILi16ELb0ELb0ELb1ELb0ELb1ELb1ELb1ELb0EEEvPK12hip_bfloat16S3_S3_PKfS5_PKvPS1_S8_PvPKiSB_iiiiilll,"axG",@progbits,_ZN12_GLOBAL__N_139chunk_gated_delta_rule_fwd_h_hip_kernelILi16ELb0ELb0ELb1ELb0ELb1ELb1ELb1ELb0EEEvPK12hip_bfloat16S3_S3_PKfS5_PKvPS1_S8_PvPKiSB_iiiiilll,comdat
	.globl	_ZN12_GLOBAL__N_139chunk_gated_delta_rule_fwd_h_hip_kernelILi16ELb0ELb0ELb1ELb0ELb1ELb1ELb1ELb0EEEvPK12hip_bfloat16S3_S3_PKfS5_PKvPS1_S8_PvPKiSB_iiiiilll ; -- Begin function _ZN12_GLOBAL__N_139chunk_gated_delta_rule_fwd_h_hip_kernelILi16ELb0ELb0ELb1ELb0ELb1ELb1ELb1ELb0EEEvPK12hip_bfloat16S3_S3_PKfS5_PKvPS1_S8_PvPKiSB_iiiiilll
	.p2align	8
	.type	_ZN12_GLOBAL__N_139chunk_gated_delta_rule_fwd_h_hip_kernelILi16ELb0ELb0ELb1ELb0ELb1ELb1ELb1ELb0EEEvPK12hip_bfloat16S3_S3_PKfS5_PKvPS1_S8_PvPKiSB_iiiiilll,@function
_ZN12_GLOBAL__N_139chunk_gated_delta_rule_fwd_h_hip_kernelILi16ELb0ELb0ELb1ELb0ELb1ELb1ELb1ELb0EEEvPK12hip_bfloat16S3_S3_PKfS5_PKvPS1_S8_PvPKiSB_iiiiilll: ; @_ZN12_GLOBAL__N_139chunk_gated_delta_rule_fwd_h_hip_kernelILi16ELb0ELb0ELb1ELb0ELb1ELb1ELb1ELb0EEEvPK12hip_bfloat16S3_S3_PKfS5_PKvPS1_S8_PvPKiSB_iiiiilll
; %bb.0:
	s_load_dwordx4 s[16:19], s[0:1], 0x5c
	s_load_dwordx4 s[12:15], s[0:1], 0x30
	s_abs_i32 s22, s3
	s_ashr_i32 s21, s3, 31
	s_load_dwordx8 s[4:11], s[0:1], 0x0
	s_waitcnt lgkmcnt(0)
	s_abs_i32 s20, s17
	v_cvt_f32_u32_e32 v1, s20
	s_sub_i32 s24, 0, s20
	s_ashr_i32 s23, s17, 31
	s_xor_b32 s21, s21, s23
	v_rcp_iflag_f32_e32 v1, v1
	v_lshrrev_b32_e32 v61, 6, v0
	v_bfe_u32 v62, v0, 4, 2
	v_lshlrev_b32_e32 v45, 4, v61
	v_mul_f32_e32 v1, 0x4f7ffffe, v1
	v_cvt_u32_f32_e32 v1, v1
	v_lshlrev_b32_e32 v2, 2, v62
	v_and_b32_e32 v60, 63, v0
	v_or_b32_e32 v65, v2, v45
	v_readfirstlane_b32 s25, v1
	s_mul_i32 s24, s24, s25
	s_mul_hi_u32 s24, s25, s24
	s_add_i32 s25, s25, s24
	s_mul_hi_u32 s24, s22, s25
	s_mul_i32 s25, s24, s20
	s_sub_i32 s22, s22, s25
	s_add_i32 s26, s24, 1
	s_sub_i32 s25, s22, s20
	s_cmp_ge_u32 s22, s20
	s_cselect_b32 s24, s26, s24
	s_cselect_b32 s22, s25, s22
	s_add_i32 s25, s24, 1
	s_cmp_ge_u32 s22, s20
	s_cselect_b32 s22, s25, s24
	s_abs_i32 s24, s18
	v_cvt_f32_u32_e32 v1, s24
	s_xor_b32 s22, s22, s21
	s_ashr_i32 s48, s16, 31
	s_sub_i32 s50, s22, s21
	v_rcp_iflag_f32_e32 v1, v1
	s_lshr_b32 s21, s48, 26
	s_add_i32 s21, s16, s21
	s_ashr_i32 s51, s18, 31
	v_mul_f32_e32 v1, 0x4f7ffffe, v1
	v_cvt_u32_f32_e32 v1, v1
	s_ashr_i32 s49, s21, 6
	s_xor_b32 s21, s23, s51
	s_sub_i32 s22, 0, s24
	v_readfirstlane_b32 s23, v1
	s_mul_i32 s22, s22, s23
	s_mul_hi_u32 s22, s23, s22
	s_add_i32 s23, s23, s22
	s_mul_hi_u32 s22, s20, s23
	s_mul_i32 s23, s22, s24
	s_mul_i32 s47, s50, s17
	s_sub_i32 s20, s20, s23
	s_sub_i32 s33, s3, s47
	s_add_i32 s3, s16, 63
	s_add_i32 s23, s22, 1
	s_sub_i32 s25, s20, s24
	s_cmp_ge_u32 s20, s24
	s_cselect_b32 s22, s23, s22
	s_cselect_b32 s20, s25, s20
	s_add_i32 s23, s22, 1
	s_cmp_ge_u32 s20, s24
	s_cselect_b32 s20, s23, s22
	s_xor_b32 s20, s20, s21
	s_sub_i32 s24, s20, s21
	s_abs_i32 s25, s24
	v_cvt_f32_u32_e32 v1, s25
	s_sub_i32 s27, 0, s25
	s_abs_i32 s26, s33
	s_xor_b32 s24, s33, s24
	v_rcp_iflag_f32_e32 v1, v1
	s_ashr_i32 s24, s24, 31
	s_load_dwordx2 s[34:35], s[0:1], 0x80
	s_load_dwordx4 s[20:23], s[0:1], 0x70
	v_mov_b32_e32 v49, 0
	v_mul_f32_e32 v1, 0x4f7ffffe, v1
	v_cvt_u32_f32_e32 v1, v1
	v_or_b32_e32 v66, 64, v65
	s_mul_hi_i32 s53, s50, s17
	v_lshrrev_b32_e32 v64, 3, v60
	v_readfirstlane_b32 s28, v1
	s_mul_i32 s27, s27, s28
	s_mul_hi_u32 s27, s28, s27
	s_add_i32 s28, s28, s27
	s_mul_hi_u32 s27, s26, s28
	s_mul_i32 s28, s27, s25
	s_sub_i32 s26, s26, s28
	s_add_i32 s28, s27, 1
	s_sub_i32 s29, s26, s25
	s_cmp_ge_u32 s26, s25
	s_cselect_b32 s27, s28, s27
	s_cselect_b32 s26, s29, s26
	s_add_i32 s28, s27, 1
	s_cmp_ge_u32 s26, s25
	s_cselect_b32 s25, s28, s27
	s_xor_b32 s25, s25, s24
	s_sub_i32 s54, s25, s24
	s_ashr_i32 s24, s3, 31
	s_lshr_b32 s24, s24, 26
	s_add_i32 s3, s3, s24
	s_ashr_i32 s3, s3, 6
	s_lshl_b32 s36, s2, 4
	s_mul_i32 s52, s50, s3
	v_and_b32_e32 v1, 15, v0
	s_cmp_lt_i32 s16, 64
	v_lshlrev_b32_e32 v63, 3, v0
	s_waitcnt lgkmcnt(0)
	s_mul_i32 s21, s50, s21
	s_mul_hi_u32 s46, s50, s20
	s_mul_i32 s38, s50, s20
	v_mov_b32_e32 v48, v49
	v_mov_b32_e32 v51, v49
	;; [unrolled: 1-line block ×7, first 2 shown]
	s_cbranch_scc1 .LBB655_18
; %bb.1:
	s_ashr_i32 s28, s50, 31
	s_ashr_i32 s56, s33, 31
	s_add_u32 s2, s47, s33
	s_addc_u32 s3, s53, s56
	s_mul_i32 s3, s16, s3
	s_mul_hi_u32 s24, s16, s2
	s_add_i32 s41, s24, s3
	s_mul_i32 s40, s16, s2
	s_lshl_b64 s[2:3], s[40:41], 8
	v_and_b32_e32 v68, 56, v63
	s_add_u32 s24, s6, s2
	v_lshl_or_b32 v67, v61, 3, v64
	v_lshlrev_b32_e32 v3, 1, v68
	s_addc_u32 s2, s7, s3
	v_lshl_or_b32 v69, v67, 8, v3
	s_and_b32 s25, s2, 0xffff
	s_mov_b32 s27, 0x20000
	s_movk_i32 s26, 0x4000
	s_movk_i32 s2, 0x80
	v_or_b32_e32 v70, 0x2000, v69
	buffer_load_dwordx4 v[4:7], v69, s[24:27], 0 offen
	buffer_load_dwordx4 v[8:11], v69, s[24:27], s2 offen
	;; [unrolled: 1-line block ×4, first 2 shown]
	v_lshlrev_b32_e32 v20, 3, v67
	v_and_or_b32 v22, v0, 7, v20
	v_and_b32_e32 v20, 0x78, v20
	v_lshlrev_b32_e32 v22, 4, v22
	v_xor_b32_e32 v71, v22, v20
	v_mul_lo_u32 v21, v67, s19
	v_or_b32_e32 v72, 0x1000, v71
	s_cmpk_eq_i32 s19, 0x80
	s_mov_b32 s55, s18
	v_xor_b32_e32 v20, 8, v71
	v_xor_b32_e32 v22, 8, v72
	s_cselect_b64 s[2:3], -1, 0
	s_cmpk_lg_i32 s19, 0x80
	s_waitcnt vmcnt(3)
	ds_write_b64 v71, v[4:5] offset:16384
	ds_write_b64 v20, v[6:7] offset:16384
	s_waitcnt vmcnt(2)
	ds_write_b64 v71, v[8:9] offset:24576
	ds_write_b64 v20, v[10:11] offset:24576
	;; [unrolled: 3-line block ×4, first 2 shown]
	v_lshl_add_u32 v4, v21, 1, v68
	s_cbranch_scc0 .LBB655_3
; %bb.2:
	v_lshlrev_b32_e32 v6, 1, v4
	v_add_lshl_u32 v5, v4, s19, 1
	s_lshl_b32 s26, s19, 7
	s_load_dwordx2 s[42:43], s[0:1], 0x20
	v_lshl_or_b32 v3, v67, 9, v3
	s_cbranch_execz .LBB655_4
	s_branch .LBB655_5
.LBB655_3:
                                        ; implicit-def: $vgpr5
                                        ; implicit-def: $vgpr6
                                        ; implicit-def: $sgpr26
	s_load_dwordx2 s[42:43], s[0:1], 0x20
	v_lshl_or_b32 v3, v67, 9, v3
.LBB655_4:
	v_or_b32_e32 v5, 0x100, v3
	s_movk_i32 s26, 0x4000
	v_mov_b32_e32 v6, v3
.LBB655_5:
	s_mul_hi_u32 s0, s18, s16
	s_mul_i32 s1, s51, s16
	s_add_i32 s0, s0, s1
	s_mul_i32 s1, s18, s16
	s_mul_i32 s24, s1, s28
	s_mul_hi_u32 s25, s1, s50
	s_add_i32 s24, s25, s24
	s_mul_i32 s0, s0, s50
	s_add_i32 s24, s24, s0
	s_mul_i32 s1, s1, s50
	s_ashr_i32 s57, s54, 31
	s_add_u32 s0, s1, s54
	s_addc_u32 s1, s24, s57
	s_lshl_b64 s[0:1], s[0:1], 8
	s_add_u32 s24, s4, s0
	s_addc_u32 s0, s5, s1
	s_and_b32 s25, s0, 0xffff
	s_movk_i32 s58, 0x80
	buffer_load_dwordx4 v[8:11], v6, s[24:27], 0 offen
	buffer_load_dwordx4 v[12:15], v6, s[24:27], s58 offen
	;; [unrolled: 1-line block ×4, first 2 shown]
	v_and_b32_e32 v5, 6, v0
	s_mul_i32 s0, s28, s16
	s_mul_hi_u32 s1, s50, s16
	v_lshlrev_b32_e32 v7, 2, v1
	v_lshlrev_b32_e32 v24, 3, v1
	v_xor_b32_e32 v26, v67, v5
	v_and_b32_e32 v6, 1, v0
	s_mul_i32 s28, s28, s20
	v_lshl_or_b32 v24, v65, 5, v24
	v_xor_b32_e32 v27, v65, v7
	v_lshlrev_b32_e32 v26, 2, v26
	s_add_i32 s63, s1, s0
	s_add_i32 s0, s46, s21
	v_or_b32_e32 v73, 0x9000, v24
	v_or_b32_e32 v74, 0x9800, v24
	v_lshlrev_b32_e32 v24, 1, v27
	v_xor_b32_e32 v27, 0x440, v26
	v_cmp_eq_u32_e32 vcc, 0, v6
	s_add_i32 s39, s0, s28
	s_mul_i32 s0, s33, s23
	s_mul_hi_u32 s1, s33, s22
	v_cndmask_b32_e32 v6, v27, v26, vcc
	s_add_i32 s0, s1, s0
	s_mul_i32 s1, s56, s22
	s_mov_b32 s61, 0x1000504
	v_lshlrev_b32_e32 v25, 8, v1
	s_mov_b32 s26, 0x8000
	v_xor_b32_e32 v7, v66, v7
	v_lshl_or_b32 v5, v5, 10, v6
	s_add_i32 s1, s0, s1
	s_lshl_b64 s[24:25], s[38:39], 2
	s_mov_b32 s62, 0x3020706
	v_lshlrev_b32_e32 v7, 1, v7
	v_or3_b32 v75, v24, v25, s26
	v_xor_b32_e32 v6, 8, v5
	v_xor_b32_e32 v24, 24, v5
	v_xor_b32_e32 v26, 40, v5
	v_xor_b32_e32 v28, 56, v5
	s_mul_i32 s0, s33, s22
	s_add_u32 s24, s10, s24
	v_or3_b32 v76, v7, v25, s26
	v_xor_b32_e32 v7, 16, v5
	v_xor_b32_e32 v25, 32, v5
	;; [unrolled: 1-line block ×3, first 2 shown]
	v_add_u32_e32 v6, 0x80, v6
	v_add_u32_e32 v24, 0x80, v24
	;; [unrolled: 1-line block ×4, first 2 shown]
	s_addc_u32 s25, s11, s25
	s_lshl_b64 s[0:1], s[0:1], 2
	s_add_u32 s44, s24, s0
	s_movk_i32 s0, 0xf8
	s_addc_u32 s45, s25, s1
	s_ashr_i32 s37, s36, 31
	s_lshl_b32 s30, s19, 7
	v_mov_b32_e32 v47, 0
	s_mul_i32 s59, s50, s16
	s_mov_b32 s60, 0
	v_add_u32_e32 v87, v45, v2
	s_mov_b32 s39, 0x7060302
	s_mov_b32 s65, 0
	v_mov_b32_e32 v52, v47
	v_mov_b32_e32 v53, v47
	;; [unrolled: 1-line block ×6, first 2 shown]
	s_waitcnt vmcnt(1)
	v_perm_b32 v29, v8, v16, s61
	s_waitcnt vmcnt(0)
	v_perm_b32 v30, v12, v20, s61
	v_perm_b32 v8, v8, v16, s62
	;; [unrolled: 1-line block ×15, first 2 shown]
	ds_write2st64_b32 v5, v29, v30 offset1:32
	ds_write2st64_b32 v6, v8, v12 offset1:32
	ds_write2st64_b32 v7, v16, v20 offset0:1 offset1:33
	ds_write2st64_b32 v24, v9, v13 offset0:1 offset1:33
	;; [unrolled: 1-line block ×6, first 2 shown]
	v_or_b32_e32 v5, v45, v1
	v_lshlrev_b32_e32 v5, 3, v5
	v_lshrrev_b32_e32 v7, 5, v60
	v_and_or_b32 v7, v5, s0, v7
	v_lshlrev_b32_e32 v7, 4, v7
	v_lshrrev_b32_e32 v6, 2, v60
	v_lshlrev_b32_e32 v11, 11, v61
	v_and_b32_e32 v5, 0x78, v5
	v_or_b32_e32 v12, 32, v7
	v_and_b32_e32 v10, 12, v6
	v_and_b32_e32 v6, 0x1000, v11
	v_lshrrev_b32_e32 v9, 1, v60
	v_xor_b32_e32 v12, v12, v5
	v_and_b32_e32 v9, 8, v9
	v_or_b32_e32 v12, v12, v6
	v_xor_b32_e32 v8, v7, v5
	v_xor_b32_e32 v79, v12, v9
	v_or_b32_e32 v12, 64, v7
	v_or_b32_e32 v7, 0x60, v7
	v_xor_b32_e32 v12, v12, v5
	v_xor_b32_e32 v5, v7, v5
	v_or_b32_e32 v5, v5, v6
	v_or_b32_e32 v12, v12, v6
	v_xor_b32_e32 v81, v5, v9
	v_lshlrev_b32_e32 v5, 1, v1
	v_xor_b32_e32 v80, v12, v9
	v_lshlrev_b32_e32 v12, 1, v4
	v_add_lshl_u32 v13, v4, s19, 1
	v_lshrrev_b32_e32 v4, 4, v0
	s_lshl_b64 s[0:1], s[36:37], 8
	v_or_b32_e32 v15, 1, v5
	s_add_u32 s0, s12, s0
	v_xor_b32_e32 v5, v4, v5
	v_xor_b32_e32 v15, v15, v4
	s_addc_u32 s1, s13, s1
	v_lshlrev_b32_e32 v5, 3, v5
	v_lshlrev_b32_e32 v46, 8, v4
	;; [unrolled: 1-line block ×3, first 2 shown]
	v_lshrrev_b32_e32 v19, 1, v0
	v_or3_b32 v83, v5, v46, s26
	v_or3_b32 v84, v4, v46, s26
	v_lshl_add_u64 v[4:5], s[0:1], 0, v[46:47]
	v_lshlrev_b32_e32 v46, 4, v1
	s_movk_i32 s0, 0xff
	v_lshlrev_b32_e32 v18, 3, v61
	v_and_b32_e32 v19, 24, v19
	v_lshl_add_u64 v[54:55], v[4:5], 0, v[46:47]
	v_and_b32_e32 v5, 8, v0
	v_cmp_lt_u32_e32 vcc, s0, v0
	v_xor_b32_e32 v20, v18, v19
	v_or_b32_e32 v21, 0x440, v20
	v_cndmask_b32_e64 v17, 0, 1, vcc
	v_cmp_eq_u32_e32 vcc, 0, v5
	v_or_b32_e32 v23, 64, v19
	v_xor_b32_e32 v23, v18, v23
	v_cndmask_b32_e32 v5, v21, v20, vcc
	v_or_b32_e32 v21, 32, v19
	v_or_b32_e32 v19, 0x60, v19
	v_xor_b32_e32 v21, v18, v21
	v_xor_b32_e32 v18, v18, v19
	v_or_b32_e32 v22, 0x440, v21
	v_xor_b32_e32 v24, 0x440, v23
	v_xor_b32_e32 v19, 0x440, v18
	v_or_b32_e32 v8, v8, v6
	v_or_b32_e32 v6, s36, v1
	v_and_b32_e32 v4, 7, v0
	v_cndmask_b32_e32 v21, v22, v21, vcc
	v_cndmask_b32_e32 v23, v24, v23, vcc
	;; [unrolled: 1-line block ×3, first 2 shown]
	v_xor_b32_e32 v77, v8, v9
	v_and_b32_e32 v8, 0x78, v63
	v_ashrrev_i32_e32 v7, 31, v6
	v_lshlrev_b32_e32 v15, 3, v4
	v_or_b32_e32 v5, v5, v11
	v_or_b32_e32 v21, v21, v11
	;; [unrolled: 1-line block ×4, first 2 shown]
	v_lshl_or_b32 v8, v62, 7, v8
	v_lshlrev_b64 v[6:7], 1, v[6:7]
	v_lshlrev_b32_e32 v17, 13, v17
	v_xor_b32_e32 v5, v5, v15
	v_xor_b32_e32 v21, v21, v15
	;; [unrolled: 1-line block ×4, first 2 shown]
	v_or_b32_e32 v78, 0x9000, v8
	v_or_b32_e32 v82, 0x9800, v8
	v_lshl_add_u64 v[8:9], s[8:9], 0, v[6:7]
	v_lshl_add_u64 v[6:7], s[14:15], 0, v[6:7]
	v_or_b32_e32 v14, 0x100, v3
	v_lshlrev_b32_e32 v16, 7, v4
	v_or_b32_e32 v4, v10, v45
	v_add_u32_e32 v20, v17, v5
	v_add_u32_e32 v22, v17, v21
	;; [unrolled: 1-line block ×4, first 2 shown]
	v_or3_b32 v10, v45, v10, 64
	v_add_u32_e32 v5, 0x2000, v5
	v_add_u32_e32 v17, 0x2000, v21
	v_add_u32_e32 v18, 0x2000, v23
	v_add_u32_e32 v11, 0x2000, v11
	v_lshlrev_b32_e32 v46, 8, v65
	v_cndmask_b32_e64 v85, v12, v3, s[2:3]
	v_cndmask_b32_e64 v86, v13, v14, s[2:3]
	v_lshl_add_u64 v[56:57], v[8:9], 0, v[46:47]
	v_lshl_add_u64 v[58:59], v[6:7], 0, v[46:47]
	s_add_i32 s37, s59, 63
	s_movk_i32 s26, 0x4000
	v_lshlrev_b32_e32 v88, 2, v4
	v_add_u32_e32 v89, v20, v16
	v_add_u32_e32 v90, v22, v16
	;; [unrolled: 1-line block ×4, first 2 shown]
	v_lshlrev_b32_e32 v93, 2, v10
	v_add_u32_e32 v94, v5, v16
	v_add_u32_e32 v95, v17, v16
	;; [unrolled: 1-line block ×4, first 2 shown]
	v_mov_b32_e32 v46, v47
	s_waitcnt lgkmcnt(0)
	s_barrier
.LBB655_6:                              ; =>This Inner Loop Header: Depth=1
	s_add_i32 s64, s65, 1
	s_cmp_lt_i32 s64, s49
	s_mov_b64 s[28:29], 0
	s_cselect_b64 s[2:3], -1, 0
	s_cmp_ge_i32 s64, s49
	s_mov_b64 s[24:25], 0
	s_cbranch_scc1 .LBB655_8
; %bb.7:                                ;   in Loop: Header=BB655_6 Depth=1
	s_add_i32 s0, s60, 64
	s_add_u32 s0, s40, s0
	s_addc_u32 s1, s41, 0
	s_lshl_b64 s[0:1], s[0:1], 8
	s_add_u32 s24, s6, s0
	s_addc_u32 s25, s7, s1
.LBB655_8:                              ;   in Loop: Header=BB655_6 Depth=1
	v_cndmask_b32_e64 v2, 0, 1, s[2:3]
	v_cmp_ne_u32_e64 s[0:1], 1, v2
	s_andn2_b64 vcc, exec, s[2:3]
	s_cbranch_vccnz .LBB655_10
; %bb.9:                                ;   in Loop: Header=BB655_6 Depth=1
	s_add_i32 s2, s60, 64
	s_add_u32 s2, s59, s2
	s_addc_u32 s3, s63, 0
	s_mul_i32 s28, s2, s51
	s_mul_hi_u32 s29, s2, s55
	s_add_i32 s28, s29, s28
	s_mul_i32 s3, s3, s55
	s_add_i32 s28, s28, s3
	s_mul_i32 s2, s2, s55
	s_add_u32 s2, s2, s54
	s_addc_u32 s3, s28, s57
	s_lshl_b64 s[2:3], s[2:3], 8
	s_add_u32 s28, s4, s2
	s_addc_u32 s29, s5, s3
.LBB655_10:                             ;   in Loop: Header=BB655_6 Depth=1
	v_perm_b32 v3, v53, v52, s39
	v_perm_b32 v2, v47, v46, s39
	;; [unrolled: 1-line block ×4, first 2 shown]
	ds_write_b64 v73, v[2:3]
	ds_write_b64 v74, v[4:5]
	;; [unrolled: 1-line block ×4, first 2 shown]
	s_waitcnt lgkmcnt(0)
	s_barrier
	ds_read_b64 v[10:11], v77 offset:16384
	ds_read_b64 v[12:13], v79 offset:16384
	ds_read2st64_b64 v[2:5], v78 offset1:1
	ds_read2st64_b64 v[6:9], v78 offset0:2 offset1:3
	ds_read_b64 v[14:15], v80 offset:16384
	s_waitcnt lgkmcnt(2)
	v_mfma_f32_16x16x16_bf16 a[0:3], v[10:11], v[2:3], 0
	ds_read_b64 v[2:3], v81 offset:16384
	s_add_i32 s2, s60, 63
	s_mul_i32 s3, s2, s35
	v_mfma_f32_16x16x16_bf16 a[0:3], v[12:13], v[4:5], a[0:3]
	s_mul_hi_u32 s31, s2, s34
	s_add_i32 s3, s31, s3
	s_mul_i32 s2, s2, s34
	s_waitcnt lgkmcnt(1)
	v_mfma_f32_16x16x16_bf16 a[0:3], v[14:15], v[6:7], a[0:3]
	s_lshl_b64 s[2:3], s[2:3], 2
	s_add_u32 s2, s44, s2
	s_addc_u32 s3, s45, s3
	s_waitcnt lgkmcnt(0)
	v_mfma_f32_16x16x16_bf16 a[0:3], v[2:3], v[8:9], a[0:3]
	s_and_b64 vcc, exec, s[0:1]
	v_mov_b32_e32 v100, 0
	v_mov_b32_e32 v99, 0
	;; [unrolled: 1-line block ×19, first 2 shown]
	s_cbranch_vccnz .LBB655_12
; %bb.11:                               ;   in Loop: Header=BB655_6 Depth=1
	s_and_b32 s25, s25, 0xffff
	buffer_load_dwordx4 v[14:17], v69, s[24:27], 0 offen
	buffer_load_dwordx4 v[10:13], v69, s[24:27], s58 offen
	buffer_load_dwordx4 v[6:9], v70, s[24:27], 0 offen
	buffer_load_dwordx4 v[2:5], v70, s[24:27], s58 offen
	v_mov_b32_e32 v99, v71
	v_mov_b32_e32 v98, v72
.LBB655_12:                             ;   in Loop: Header=BB655_6 Depth=1
	v_add_u32_e32 v24, s60, v87
	v_ashrrev_i32_e32 v18, 31, v24
	v_mul_lo_u32 v20, v18, s34
	v_mul_lo_u32 v21, v24, s35
	v_mad_u64_u32 v[18:19], s[24:25], v24, s34, 0
	v_add3_u32 v19, v19, v21, v20
	v_add_u32_e32 v20, 1, v24
	v_ashrrev_i32_e32 v21, 31, v20
	v_mul_lo_u32 v22, v21, s34
	v_mul_lo_u32 v23, v20, s35
	v_mad_u64_u32 v[20:21], s[24:25], v20, s34, 0
	v_add3_u32 v21, v21, v23, v22
	v_add_u32_e32 v22, 2, v24
	v_ashrrev_i32_e32 v23, 31, v22
	v_mul_lo_u32 v25, v23, s34
	v_mul_lo_u32 v26, v22, s35
	v_mad_u64_u32 v[22:23], s[24:25], v22, s34, 0
	s_add_u32 s24, s40, s60
	v_add3_u32 v23, v23, v26, v25
	v_add_u32_e32 v26, 3, v24
	s_addc_u32 s25, s41, 0
	v_ashrrev_i32_e32 v24, 31, v26
	s_lshl_b64 s[24:25], s[24:25], 8
	v_lshl_add_u64 v[18:19], v[18:19], 2, s[44:45]
	v_mul_lo_u32 v27, v24, s34
	v_lshl_add_u64 v[24:25], v[56:57], 0, s[24:25]
	v_mul_lo_u32 v28, v26, s35
	global_load_ushort v38, v[24:25], off
	global_load_ushort v39, v[24:25], off offset:256
	global_load_ushort v40, v[24:25], off offset:512
	;; [unrolled: 1-line block ×3, first 2 shown]
	global_load_dword v42, v[18:19], off
	v_mad_u64_u32 v[18:19], s[66:67], v26, s34, 0
	v_lshl_add_u64 v[20:21], v[20:21], 2, s[44:45]
	v_add3_u32 v19, v19, v28, v27
	v_lshl_add_u64 v[22:23], v[22:23], 2, s[44:45]
	v_lshl_add_u64 v[18:19], v[18:19], 2, s[44:45]
	global_load_dword v43, v[20:21], off
	global_load_dword v44, v[22:23], off
	;; [unrolled: 1-line block ×3, first 2 shown]
	s_load_dword s2, s[2:3], 0x0
	ds_read_b64 v[26:27], v77 offset:24576
	ds_read2st64_b64 v[22:25], v82 offset1:1
	ds_read2st64_b64 v[28:31], v82 offset0:2 offset1:3
	ds_read_b64 v[32:33], v79 offset:24576
	ds_read_b64 v[34:35], v80 offset:24576
	;; [unrolled: 1-line block ×3, first 2 shown]
	s_waitcnt lgkmcnt(0)
	v_mfma_f32_16x16x16_bf16 a[0:3], v[26:27], v[22:23], a[0:3]
	v_mov_b32_e32 v101, 0
	v_mov_b32_e32 v18, 0
	;; [unrolled: 1-line block ×3, first 2 shown]
	v_mfma_f32_16x16x16_bf16 a[0:3], v[32:33], v[24:25], a[0:3]
	v_mov_b32_e32 v20, 0
	v_mov_b32_e32 v21, 0
	;; [unrolled: 1-line block ×3, first 2 shown]
	v_mfma_f32_16x16x16_bf16 a[0:3], v[34:35], v[28:29], a[0:3]
	v_lshl_add_u64 v[28:29], v[58:59], 0, s[24:25]
	v_mov_b32_e32 v23, 0
	v_mov_b32_e32 v24, 0
	v_mfma_f32_16x16x16_bf16 a[0:3], v[36:37], v[30:31], a[0:3]
	v_mov_b32_e32 v25, 0
	v_mov_b32_e32 v26, 0
	;; [unrolled: 1-line block ×3, first 2 shown]
	s_and_b64 vcc, exec, s[0:1]
	s_waitcnt vmcnt(7)
	v_lshlrev_b32_e32 v34, 16, v38
	s_nop 0
	v_accvgpr_read_b32 v33, a1
	v_accvgpr_read_b32 v31, a3
	;; [unrolled: 1-line block ×4, first 2 shown]
	s_waitcnt vmcnt(6)
	v_lshlrev_b32_e32 v35, 16, v39
	s_waitcnt vmcnt(4)
	v_lshlrev_b32_e32 v37, 16, v41
	v_lshlrev_b32_e32 v36, 16, v40
	s_waitcnt vmcnt(3)
	v_sub_f32_e32 v38, s2, v42
	v_pk_add_f32 v[32:33], v[34:35], v[32:33] neg_lo:[0,1] neg_hi:[0,1]
	v_pk_add_f32 v[30:31], v[36:37], v[30:31] neg_lo:[0,1] neg_hi:[0,1]
	s_waitcnt vmcnt(2)
	v_sub_f32_e32 v35, s2, v43
	s_waitcnt vmcnt(1)
	v_sub_f32_e32 v36, s2, v44
	;; [unrolled: 2-line block ×3, first 2 shown]
	v_exp_f32_e32 v34, v38
	v_exp_f32_e32 v35, v35
	;; [unrolled: 1-line block ×4, first 2 shown]
	global_store_short_d16_hi v[28:29], v32, off
	global_store_short_d16_hi v[28:29], v33, off offset:256
	global_store_short_d16_hi v[28:29], v30, off offset:512
	;; [unrolled: 1-line block ×3, first 2 shown]
	v_pk_mul_f32 v[28:29], v[34:35], v[32:33]
	v_pk_mul_f32 v[30:31], v[36:37], v[30:31]
	v_perm_b32 v28, v29, v28, s39
	v_perm_b32 v29, v31, v30, s39
	ds_write_b64 v74, v[28:29]
	v_mov_b32_e32 v28, 0
	v_mov_b32_e32 v29, 0
	;; [unrolled: 1-line block ×6, first 2 shown]
	s_cbranch_vccnz .LBB655_14
; %bb.13:                               ;   in Loop: Header=BB655_6 Depth=1
	s_and_b32 s29, s29, 0xffff
	s_mov_b32 s31, s27
	buffer_load_dwordx4 v[30:33], v85, s[28:31], 0 offen
	buffer_load_dwordx4 v[22:25], v85, s[28:31], s58 offen
	;; [unrolled: 1-line block ×4, first 2 shown]
	v_mov_b32_e32 v100, v68
	v_mov_b32_e32 v101, v67
.LBB655_14:                             ;   in Loop: Header=BB655_6 Depth=1
	s_waitcnt lgkmcnt(0)
	s_barrier
	ds_read_b64 v[34:35], v89
	ds_read_b64 v[40:41], v90
	ds_read2st64_b64 v[36:39], v82 offset1:1
	ds_read2st64_b64 v[102:105], v82 offset0:2 offset1:3
	ds_read_b64 v[42:43], v91
	ds_read_b64 v[110:111], v92
	s_add_i32 s3, s52, s65
	s_mul_hi_i32 s25, s3, s17
	s_mul_i32 s3, s3, s17
	s_waitcnt lgkmcnt(3)
	v_mfma_f32_16x16x16_bf16 a[0:3], v[34:35], v[36:37], 0
	ds_read_b64 v[34:35], v94
	s_add_u32 s24, s3, s33
	s_addc_u32 s25, s25, s56
	s_add_i32 s3, s37, s60
	v_mfma_f32_16x16x16_bf16 a[0:3], v[40:41], v[38:39], a[0:3]
	ds_read_b64 v[40:41], v95
	s_lshl_b64 s[24:25], s[24:25], 15
	s_mul_hi_i32 s29, s3, s17
	s_mul_i32 s3, s3, s17
	s_add_u32 s28, s3, s33
	s_addc_u32 s29, s29, s56
	s_lshl_b64 s[28:29], s[28:29], 9
	s_add_u32 s28, s42, s28
	s_waitcnt lgkmcnt(1)
	v_mfma_f32_16x16x16_bf16 a[4:7], v[34:35], v[36:37], 0
	s_addc_u32 s29, s43, s29
	s_and_b64 vcc, exec, s[0:1]
	v_mfma_f32_16x16x16_bf16 a[0:3], v[42:43], v[102:103], a[0:3]
	ds_read_b64 v[42:43], v96
	ds_read_b64 v[112:113], v97
	global_load_dwordx4 v[34:37], v93, s[28:29]
	s_waitcnt lgkmcnt(2)
	v_mfma_f32_16x16x16_bf16 a[4:7], v[40:41], v[38:39], a[4:7]
	global_load_dwordx4 v[38:41], v88, s[28:29]
	ds_read_b64 v[106:107], v83
	ds_read_b64 v[108:109], v84
	s_waitcnt lgkmcnt(3)
	v_mfma_f32_16x16x16_bf16 a[8:11], v[42:43], v[102:103], a[4:7]
	v_lshl_add_u64 v[42:43], v[54:55], 0, s[24:25]
	s_waitcnt lgkmcnt(0)
	global_store_dwordx4 v[42:43], v[106:109], off
	v_mfma_f32_16x16x16_bf16 a[4:7], v[110:111], v[104:105], a[0:3]
	s_waitcnt vmcnt(2)
	v_mov_b32_e32 v44, v37
	v_mfma_f32_16x16x16_bf16 a[0:3], v[112:113], v[104:105], a[8:11]
	v_mov_b32_e32 v43, v36
	v_mov_b32_e32 v42, v35
	s_cbranch_vccnz .LBB655_16
; %bb.15:                               ;   in Loop: Header=BB655_6 Depth=1
	v_lshrrev_b32_e32 v35, 3, v100
	v_and_b32_e32 v35, 6, v35
	v_xor_b32_e32 v36, v35, v101
	v_lshlrev_b32_e32 v36, 2, v36
	v_and_b32_e32 v37, 8, v100
	v_xor_b32_e32 v100, 0x440, v36
	v_cmp_eq_u32_e32 vcc, 0, v37
	v_perm_b32 v37, v22, v18, s61
	s_nop 0
	v_cndmask_b32_e32 v36, v100, v36, vcc
	v_lshl_or_b32 v35, v35, 10, v36
	v_perm_b32 v36, v30, v26, s61
	s_barrier
	ds_write2st64_b32 v35, v36, v37 offset1:32
	v_xor_b32_e32 v36, 8, v35
	v_perm_b32 v26, v30, v26, s62
	v_perm_b32 v18, v22, v18, s62
	v_add_u32_e32 v22, 0x80, v36
	ds_write2st64_b32 v22, v26, v18 offset1:32
	v_xor_b32_e32 v18, 16, v35
	v_perm_b32 v22, v31, v27, s61
	v_perm_b32 v26, v23, v19, s61
	ds_write2st64_b32 v18, v22, v26 offset0:1 offset1:33
	v_xor_b32_e32 v18, 24, v35
	v_perm_b32 v22, v31, v27, s62
	v_perm_b32 v19, v23, v19, s62
	v_add_u32_e32 v18, 0x80, v18
	ds_write2st64_b32 v18, v22, v19 offset0:1 offset1:33
	v_xor_b32_e32 v18, 32, v35
	v_perm_b32 v19, v32, v28, s61
	v_perm_b32 v22, v24, v20, s61
	ds_write2st64_b32 v18, v19, v22 offset0:2 offset1:34
	v_xor_b32_e32 v18, 40, v35
	v_perm_b32 v19, v32, v28, s62
	v_perm_b32 v20, v24, v20, s62
	v_add_u32_e32 v18, 0x80, v18
	ds_write2st64_b32 v18, v19, v20 offset0:2 offset1:34
	;; [unrolled: 9-line block ×3, first 2 shown]
	ds_write_b64 v99, v[14:15] offset:16384
	v_xor_b32_e32 v14, 8, v99
	ds_write_b64 v14, v[16:17] offset:16384
	ds_write_b64 v99, v[10:11] offset:24576
	;; [unrolled: 1-line block ×4, first 2 shown]
	v_xor_b32_e32 v6, 8, v98
	ds_write_b64 v6, v[8:9] offset:16384
	ds_write_b64 v98, v[2:3] offset:24576
	;; [unrolled: 1-line block ×3, first 2 shown]
.LBB655_16:                             ;   in Loop: Header=BB655_6 Depth=1
	v_exp_f32_e32 v10, s2
	s_waitcnt vmcnt(1)
	v_exp_f32_e32 v12, v38
	v_exp_f32_e32 v13, v39
	;; [unrolled: 1-line block ×4, first 2 shown]
	v_accvgpr_read_b32 v2, a4
	v_accvgpr_read_b32 v3, a5
	v_pk_mul_f32 v[12:13], v[10:11], v[12:13] op_sel_hi:[0,1]
	v_pk_fma_f32 v[46:47], v[46:47], v[12:13], v[2:3]
	v_exp_f32_e32 v12, v34
	v_exp_f32_e32 v13, v42
	v_pk_mul_f32 v[2:3], v[10:11], v[14:15] op_sel_hi:[0,1]
	v_exp_f32_e32 v14, v43
	v_exp_f32_e32 v15, v44
	v_accvgpr_read_b32 v4, a6
	v_accvgpr_read_b32 v5, a7
	;; [unrolled: 1-line block ×5, first 2 shown]
	v_pk_fma_f32 v[52:53], v[52:53], v[2:3], v[4:5]
	v_pk_mul_f32 v[2:3], v[10:11], v[12:13] op_sel_hi:[0,1]
	v_accvgpr_read_b32 v8, a2
	v_pk_fma_f32 v[50:51], v[50:51], v[2:3], v[6:7]
	v_pk_mul_f32 v[2:3], v[10:11], v[14:15] op_sel_hi:[0,1]
	s_add_i32 s60, s60, 64
	s_cmp_eq_u32 s49, s64
	v_pk_fma_f32 v[48:49], v[48:49], v[2:3], v[8:9]
	s_cbranch_scc1 .LBB655_18
; %bb.17:                               ;   in Loop: Header=BB655_6 Depth=1
	s_mov_b32 s65, s64
	s_branch .LBB655_6
.LBB655_18:
	s_lshl_b32 s42, s49, 6
	s_sub_i32 s43, s16, s42
	s_cmp_gt_i32 s43, 0
	s_cbranch_scc0 .LBB655_75
; %bb.19:
	s_ashr_i32 s39, s50, 31
	s_ashr_i32 s2, s42, 31
	s_cmpk_lg_i32 s19, 0x80
	s_cselect_b64 s[30:31], -1, 0
	s_and_b64 vcc, exec, s[30:31]
	s_cbranch_vccz .LBB655_21
; %bb.20:
	s_mul_i32 s1, s50, s16
	s_mul_hi_i32 s0, s50, s16
	s_add_u32 s1, s1, s42
	s_addc_u32 s0, s0, s2
	s_mul_i32 s3, s1, s51
	s_mul_hi_u32 s24, s1, s18
	s_add_i32 s3, s24, s3
	s_mul_i32 s0, s0, s18
	s_add_i32 s3, s3, s0
	s_mul_i32 s1, s1, s18
	s_ashr_i32 s0, s54, 31
	s_add_u32 s40, s1, s54
	s_addc_u32 s41, s3, s0
	s_cbranch_execz .LBB655_22
	s_branch .LBB655_23
.LBB655_21:
                                        ; implicit-def: $sgpr40_sgpr41
.LBB655_22:
	s_mul_hi_i32 s0, s50, s18
	s_mul_i32 s50, s50, s18
	s_ashr_i32 s1, s54, 31
	s_add_u32 s3, s50, s54
	s_addc_u32 s0, s0, s1
	s_mul_i32 s1, s3, s48
	s_mul_hi_u32 s18, s3, s16
	s_add_i32 s1, s18, s1
	s_mul_i32 s0, s0, s16
	s_add_i32 s1, s1, s0
	s_mul_i32 s3, s3, s16
	s_add_u32 s40, s3, s42
	s_addc_u32 s41, s1, s2
.LBB655_23:
	s_add_i32 s3, s52, s49
	s_ashr_i32 s18, s33, 31
	s_add_u32 s0, s47, s33
	s_addc_u32 s1, s53, s18
	s_mul_i32 s24, s0, s48
	s_mul_hi_u32 s25, s0, s16
	s_add_i32 s24, s25, s24
	s_mul_i32 s1, s1, s16
	s_add_i32 s24, s24, s1
	s_mul_i32 s0, s0, s16
	s_add_u32 s0, s0, s42
	s_addc_u32 s1, s24, s2
	s_mov_b32 s2, 0x7060302
	v_lshlrev_b32_e32 v6, 3, v1
	s_lshl_b64 s[28:29], s[0:1], 8
	v_perm_b32 v3, v53, v52, s2
	v_perm_b32 v2, v47, v46, s2
	v_perm_b32 v5, v49, v48, s2
	v_perm_b32 v4, v51, v50, s2
	v_lshlrev_b32_e32 v34, 2, v1
	v_lshl_or_b32 v6, v65, 5, v6
	s_add_u32 s0, s6, s28
	ds_write2st64_b64 v6, v[2:3], v[4:5] offset0:72 offset1:76
	v_xor_b32_e32 v6, v65, v34
	v_lshlrev_b32_e32 v7, 8, v1
	s_addc_u32 s1, s7, s29
	v_lshl_or_b32 v6, v6, 1, v7
	s_mul_hi_i32 s6, s3, s17
	s_mul_i32 s3, s3, s17
	ds_write_b64 v6, v[2:3] offset:32768
	v_xor_b32_e32 v2, v66, v34
	s_add_u32 s2, s3, s33
	v_lshl_or_b32 v2, v2, 1, v7
	s_addc_u32 s3, s6, s18
	v_lshlrev_b32_e32 v3, 1, v1
	ds_write_b64 v2, v[4:5] offset:32768
	v_lshrrev_b32_e32 v2, 4, v0
	s_ashr_i32 s37, s36, 31
	s_lshl_b64 s[2:3], s[2:3], 15
	v_or_b32_e32 v4, 1, v3
	s_add_u32 s6, s12, s2
	v_xor_b32_e32 v3, v2, v3
	v_xor_b32_e32 v4, v4, v2
	v_lshlrev_b32_e32 v6, 8, v2
	s_addc_u32 s7, s13, s3
	s_lshl_b64 s[2:3], s[36:37], 8
	v_lshl_or_b32 v2, v3, 3, v6
	v_lshl_or_b32 v4, v4, 3, v6
	s_waitcnt lgkmcnt(0)
	s_barrier
	s_add_u32 s2, s6, s2
	ds_read_b64 v[2:3], v2 offset:32768
	ds_read_b64 v[4:5], v4 offset:32768
	s_addc_u32 s3, s7, s3
	v_mov_b32_e32 v7, 0
	s_cmp_lg_u32 s43, 64
	v_lshl_add_u64 v[8:9], s[2:3], 0, v[6:7]
	v_lshlrev_b32_e32 v6, 4, v1
	s_cselect_b64 s[6:7], -1, 0
	v_lshl_or_b32 v35, v61, 3, v64
	s_mov_b32 s24, 0
	v_lshl_add_u64 v[6:7], v[8:9], 0, v[6:7]
	v_or_b32_e32 v19, 32, v35
	v_and_b32_e32 v18, 56, v63
	s_and_b64 vcc, exec, s[6:7]
	s_waitcnt lgkmcnt(0)
	global_store_dwordx4 v[6:7], v[2:5], off
	s_cbranch_vccz .LBB655_29
; %bb.24:
	s_mov_b32 s25, s24
	s_mov_b32 s26, s24
	;; [unrolled: 1-line block ×3, first 2 shown]
	v_mov_b64_e32 v[6:7], s[24:25]
	v_mov_b64_e32 v[8:9], s[26:27]
	;; [unrolled: 1-line block ×3, first 2 shown]
	v_cmp_gt_i32_e32 vcc, s43, v35
	v_mov_b64_e32 v[4:5], v[8:9]
	s_and_saveexec_b64 s[2:3], vcc
	s_cbranch_execz .LBB655_26
; %bb.25:
	v_lshlrev_b32_e32 v2, 8, v35
	v_mov_b32_e32 v3, 0
	v_lshl_add_u64 v[4:5], s[0:1], 0, v[2:3]
	v_lshlrev_b32_e32 v2, 1, v18
	v_lshl_add_u64 v[10:11], v[4:5], 0, v[2:3]
	global_load_dwordx4 v[6:9], v[10:11], off
	global_load_dwordx4 v[2:5], v[10:11], off offset:128
.LBB655_26:
	s_or_b64 exec, exec, s[2:3]
	s_mov_b32 s25, s24
	s_mov_b32 s26, s24
	;; [unrolled: 1-line block ×3, first 2 shown]
	v_mov_b64_e32 v[14:15], s[24:25]
	v_mov_b64_e32 v[16:17], s[26:27]
	v_mov_b64_e32 v[10:11], v[14:15]
	v_cmp_gt_i32_e32 vcc, s43, v19
	v_lshlrev_b32_e32 v20, 7, v19
	v_mov_b64_e32 v[12:13], v[16:17]
	s_and_saveexec_b64 s[2:3], vcc
	s_cbranch_execz .LBB655_28
; %bb.27:
	v_lshlrev_b32_e32 v10, 1, v20
	v_mov_b32_e32 v11, 0
	v_lshl_add_u64 v[12:13], s[0:1], 0, v[10:11]
	v_lshlrev_b32_e32 v10, 1, v18
	v_lshl_add_u64 v[22:23], v[12:13], 0, v[10:11]
	global_load_dwordx4 v[14:17], v[22:23], off
	global_load_dwordx4 v[10:13], v[22:23], off offset:128
.LBB655_28:
	s_or_b64 exec, exec, s[2:3]
	v_lshrrev_b32_e32 v21, 3, v18
	v_lshlrev_b32_e32 v22, 3, v35
	v_or_b32_e32 v21, v22, v21
	v_lshlrev_b32_e32 v21, 4, v21
	v_and_b32_e32 v22, 0x78, v22
	v_xor_b32_e32 v21, v21, v22
	s_branch .LBB655_31
.LBB655_29:
                                        ; implicit-def: $vgpr21
                                        ; implicit-def: $vgpr20
                                        ; implicit-def: $vgpr6_vgpr7_vgpr8_vgpr9
                                        ; implicit-def: $vgpr2_vgpr3_vgpr4_vgpr5
                                        ; implicit-def: $vgpr14_vgpr15_vgpr16_vgpr17
                                        ; implicit-def: $vgpr10_vgpr11_vgpr12_vgpr13
	s_cbranch_execz .LBB655_31
; %bb.30:
	s_waitcnt vmcnt(0)
	v_lshlrev_b32_e32 v2, 1, v18
	v_lshl_or_b32 v20, v35, 8, v2
	s_and_b32 s1, s1, 0xffff
	s_mov_b32 s3, 0x20000
	s_movk_i32 s2, 0x4000
	v_lshl_or_b32 v21, v19, 8, v2
	s_movk_i32 s12, 0x80
	buffer_load_dwordx4 v[6:9], v20, s[0:3], 0 offen
	buffer_load_dwordx4 v[2:5], v20, s[0:3], s12 offen
	;; [unrolled: 1-line block ×4, first 2 shown]
	v_lshrrev_b32_e32 v20, 3, v18
	v_lshlrev_b32_e32 v21, 3, v35
	v_or_b32_e32 v20, v21, v20
	v_lshlrev_b32_e32 v20, 4, v20
	v_and_b32_e32 v21, 0x78, v21
	v_xor_b32_e32 v21, v20, v21
	v_lshlrev_b32_e32 v20, 7, v19
.LBB655_31:
	s_lshl_b64 s[0:1], s[40:41], 8
	s_add_u32 s4, s4, s0
	s_movk_i32 s0, 0x1000
	v_and_or_b32 v19, v20, s0, v21
	s_waitcnt vmcnt(1)
	ds_write_b64 v21, v[6:7] offset:16384
	v_xor_b32_e32 v6, 8, v21
	ds_write_b64 v6, v[8:9] offset:16384
	s_waitcnt vmcnt(0)
	ds_write_b64 v21, v[2:3] offset:24576
	ds_write_b64 v6, v[4:5] offset:24576
	;; [unrolled: 1-line block ×3, first 2 shown]
	v_xor_b32_e32 v2, 8, v19
	ds_write_b64 v2, v[16:17] offset:16384
	ds_write_b64 v19, v[10:11] offset:24576
	;; [unrolled: 1-line block ×3, first 2 shown]
	v_or_b32_e32 v2, v45, v1
	s_addc_u32 s5, s5, s1
	s_add_i32 s2, s16, -1
	v_lshlrev_b32_e32 v2, 3, v2
	v_lshrrev_b32_e32 v4, 5, v60
	s_movk_i32 s16, 0xf8
	v_and_or_b32 v4, v2, s16, v4
	v_lshlrev_b32_e32 v3, 11, v61
	v_lshlrev_b32_e32 v12, 4, v4
	v_and_b32_e32 v13, 0x78, v2
	v_and_b32_e32 v14, 0x1000, v3
	v_lshlrev_b32_e32 v3, 2, v0
	v_xor_b32_e32 v2, v12, v13
	v_lshrrev_b32_e32 v4, 1, v60
	v_and_b32_e32 v3, 60, v3
	v_or_b32_e32 v2, v2, v14
	v_and_b32_e32 v15, 8, v4
	v_xor_b32_e32 v26, v2, v15
	v_lshl_or_b32 v2, v62, 6, v3
	v_lshlrev_b32_e32 v19, 1, v2
	v_or_b32_e32 v2, 32, v12
	v_xor_b32_e32 v2, v2, v13
	s_waitcnt lgkmcnt(0)
	s_barrier
	ds_read_b64 v[10:11], v26 offset:16384
	v_or_b32_e32 v2, v2, v14
	v_xor_b32_e32 v27, v2, v15
	v_or_b32_e32 v2, 64, v12
	v_xor_b32_e32 v2, v2, v13
	v_or_b32_e32 v2, v2, v14
	v_or_b32_e32 v12, 0x60, v12
	v_xor_b32_e32 v28, v2, v15
	ds_read2st64_b64 v[2:5], v19 offset0:72 offset1:73
	ds_read2st64_b64 v[6:9], v19 offset0:74 offset1:75
	v_xor_b32_e32 v16, v12, v13
	ds_read_b64 v[12:13], v27 offset:16384
	s_waitcnt lgkmcnt(2)
	v_mfma_f32_16x16x16_bf16 a[0:3], v[10:11], v[2:3], 0
	s_add_i32 s0, s46, s21
	s_mul_i32 s39, s39, s20
	s_add_i32 s39, s0, s39
	s_mul_i32 s0, s33, s23
	s_mul_hi_u32 s1, s33, s22
	s_ashr_i32 s3, s2, 31
	s_mul_i32 s12, s2, s35
	s_mul_hi_u32 s13, s2, s34
	s_add_i32 s0, s1, s0
	s_mul_i32 s1, s18, s22
	s_add_i32 s12, s13, s12
	s_mul_i32 s3, s3, s34
	v_or_b32_e32 v14, v16, v14
	s_add_i32 s1, s0, s1
	s_add_i32 s3, s12, s3
	s_lshl_b64 s[12:13], s[38:39], 2
	v_xor_b32_e32 v36, v14, v15
	ds_read_b64 v[14:15], v28 offset:16384
	ds_read_b64 v[16:17], v36 offset:16384
	s_waitcnt lgkmcnt(2)
	v_mfma_f32_16x16x16_bf16 a[0:3], v[12:13], v[4:5], a[0:3]
	s_mul_i32 s0, s33, s22
	s_add_u32 s10, s10, s12
	s_addc_u32 s11, s11, s13
	s_lshl_b64 s[0:1], s[0:1], 2
	s_mul_i32 s2, s2, s34
	s_add_u32 s10, s10, s0
	s_addc_u32 s11, s11, s1
	s_lshl_b64 s[0:1], s[2:3], 2
	s_waitcnt lgkmcnt(1)
	v_mfma_f32_16x16x16_bf16 a[0:3], v[14:15], v[6:7], a[0:3]
	s_add_u32 s0, s10, s0
	s_addc_u32 s1, s11, s1
	s_load_dword s12, s[0:1], 0x0
	s_waitcnt lgkmcnt(0)
	v_mfma_f32_16x16x16_bf16 a[0:3], v[16:17], v[8:9], a[0:3]
	s_and_b64 vcc, exec, s[30:31]
	s_cbranch_vccz .LBB655_42
; %bb.32:
	v_lshlrev_b32_e32 v20, 1, v35
	s_and_b64 vcc, exec, s[6:7]
	s_cbranch_vccz .LBB655_43
; %bb.33:
	v_cmp_gt_i32_e32 vcc, s43, v20
	v_mov_b32_e32 v6, 0
	v_mov_b32_e32 v2, 0
	v_mov_b32_e32 v3, 0
	v_mov_b32_e32 v4, 0
	v_mov_b32_e32 v5, 0
	s_and_saveexec_b64 s[0:1], vcc
	s_cbranch_execz .LBB655_35
; %bb.34:
	v_mad_i64_i32 v[2:3], s[2:3], s19, v20, 0
	v_lshl_add_u64 v[2:3], v[2:3], 1, s[4:5]
	v_lshlrev_b32_e32 v4, 1, v18
	v_mov_b32_e32 v5, 0
	v_lshl_add_u64 v[2:3], v[2:3], 0, v[4:5]
	global_load_dwordx4 v[2:5], v[2:3], off
.LBB655_35:
	s_or_b64 exec, exec, s[0:1]
	v_or_b32_e32 v21, 1, v20
	v_cmp_gt_i32_e64 s[0:1], s43, v21
	v_mov_b32_e32 v7, 0
	v_mov_b32_e32 v8, 0
	;; [unrolled: 1-line block ×3, first 2 shown]
	s_and_saveexec_b64 s[2:3], s[0:1]
	s_cbranch_execz .LBB655_37
; %bb.36:
	v_mad_i64_i32 v[6:7], s[16:17], s19, v21, 0
	v_lshl_add_u64 v[6:7], v[6:7], 1, s[4:5]
	v_lshlrev_b32_e32 v8, 1, v18
	v_mov_b32_e32 v9, 0
	v_lshl_add_u64 v[6:7], v[6:7], 0, v[8:9]
	global_load_dwordx4 v[6:9], v[6:7], off
.LBB655_37:
	s_or_b64 exec, exec, s[2:3]
	v_mov_b32_e32 v17, 0
	v_mov_b32_e32 v10, 0
	;; [unrolled: 1-line block ×5, first 2 shown]
	s_and_saveexec_b64 s[2:3], vcc
	s_cbranch_execz .LBB655_39
; %bb.38:
	v_mad_i64_i32 v[10:11], s[16:17], s19, v20, 0
	v_lshl_add_u64 v[10:11], v[10:11], 1, s[4:5]
	v_lshlrev_b32_e32 v12, 1, v18
	v_mov_b32_e32 v13, 0
	v_lshl_add_u64 v[10:11], v[10:11], 0, v[12:13]
	global_load_dwordx4 v[10:13], v[10:11], off offset:128
.LBB655_39:
	s_or_b64 exec, exec, s[2:3]
	v_mov_b32_e32 v16, 0
	v_mov_b32_e32 v15, 0
	;; [unrolled: 1-line block ×3, first 2 shown]
	s_and_saveexec_b64 s[2:3], s[0:1]
	s_cbranch_execz .LBB655_41
; %bb.40:
	v_mad_i64_i32 v[14:15], s[0:1], s19, v21, 0
	v_lshl_add_u64 v[14:15], v[14:15], 1, s[4:5]
	v_lshlrev_b32_e32 v16, 1, v18
	v_mov_b32_e32 v17, 0
	v_lshl_add_u64 v[14:15], v[14:15], 0, v[16:17]
	global_load_dwordx4 v[14:17], v[14:15], off offset:128
.LBB655_41:
	s_or_b64 exec, exec, s[2:3]
	s_branch .LBB655_45
.LBB655_42:
                                        ; implicit-def: $vgpr5
                                        ; implicit-def: $vgpr9
                                        ; implicit-def: $vgpr13
                                        ; implicit-def: $vgpr17
	v_lshrrev_b32_e32 v37, 2, v60
	s_branch .LBB655_46
.LBB655_43:
                                        ; implicit-def: $vgpr5
                                        ; implicit-def: $vgpr9
                                        ; implicit-def: $vgpr13
                                        ; implicit-def: $vgpr17
	s_cbranch_execz .LBB655_45
; %bb.44:
	s_waitcnt vmcnt(0)
	v_mad_u64_u32 v[2:3], s[0:1], v20, s19, v[18:19]
	v_lshlrev_b32_e32 v20, 1, v2
	s_lshl_b32 s2, s19, 7
	s_and_b32 s1, s5, 0xffff
	s_mov_b32 s3, 0x20000
	s_mov_b32 s0, s4
	v_add_lshl_u32 v21, v2, s19, 1
	s_movk_i32 s13, 0x80
	buffer_load_dwordx4 v[2:5], v20, s[0:3], 0 offen
	buffer_load_dwordx4 v[10:13], v20, s[0:3], s13 offen
	;; [unrolled: 1-line block ×4, first 2 shown]
.LBB655_45:
	v_lshrrev_b32_e32 v37, 2, v60
	s_cbranch_execnz .LBB655_58
.LBB655_46:
	s_and_b64 vcc, exec, s[6:7]
	s_cbranch_vccz .LBB655_56
; %bb.47:
	s_waitcnt vmcnt(0)
	v_lshlrev_b32_e32 v7, 1, v35
	v_cmp_gt_i32_e32 vcc, s43, v7
	v_mov_b32_e32 v6, 0
	v_lshlrev_b32_e32 v14, 9, v35
	v_mov_b32_e32 v2, 0
	v_mov_b32_e32 v3, 0
	;; [unrolled: 1-line block ×4, first 2 shown]
	s_and_saveexec_b64 s[0:1], vcc
	s_cbranch_execz .LBB655_49
; %bb.48:
	v_mov_b32_e32 v15, 0
	v_lshl_add_u64 v[2:3], s[4:5], 0, v[14:15]
	v_lshlrev_b32_e32 v4, 1, v18
	v_mov_b32_e32 v5, v15
	v_lshl_add_u64 v[2:3], v[2:3], 0, v[4:5]
	global_load_dwordx4 v[2:5], v[2:3], off
.LBB655_49:
	s_or_b64 exec, exec, s[0:1]
	v_or_b32_e32 v7, 1, v7
	v_cmp_gt_i32_e64 s[0:1], s43, v7
	v_lshlrev_b32_e32 v20, 8, v7
	v_mov_b32_e32 v7, 0
	v_mov_b32_e32 v8, 0
	;; [unrolled: 1-line block ×3, first 2 shown]
	s_and_saveexec_b64 s[2:3], s[0:1]
	s_cbranch_execz .LBB655_51
; %bb.50:
	v_mov_b32_e32 v21, 0
	v_lshl_add_u64 v[6:7], s[4:5], 0, v[20:21]
	v_lshlrev_b32_e32 v8, 1, v18
	v_mov_b32_e32 v9, v21
	v_lshl_add_u64 v[6:7], v[6:7], 0, v[8:9]
	global_load_dwordx4 v[6:9], v[6:7], off
.LBB655_51:
	s_or_b64 exec, exec, s[2:3]
	v_mov_b32_e32 v17, 0
	v_mov_b32_e32 v10, 0
	v_mov_b32_e32 v11, 0
	v_mov_b32_e32 v12, 0
	v_mov_b32_e32 v13, 0
	s_and_saveexec_b64 s[2:3], vcc
	s_cbranch_execz .LBB655_53
; %bb.52:
	v_mov_b32_e32 v15, 0
	v_lshl_add_u64 v[10:11], s[4:5], 0, v[14:15]
	v_lshlrev_b32_e32 v14, 1, v18
	v_lshl_add_u64 v[10:11], v[10:11], 0, v[14:15]
	global_load_dwordx4 v[10:13], v[10:11], off offset:128
.LBB655_53:
	s_or_b64 exec, exec, s[2:3]
	v_mov_b32_e32 v16, 0
	v_mov_b32_e32 v15, 0
	v_mov_b32_e32 v14, 0
	s_and_saveexec_b64 s[2:3], s[0:1]
	s_cbranch_execz .LBB655_55
; %bb.54:
	v_mov_b32_e32 v21, 0
	v_lshl_add_u64 v[14:15], s[4:5], 0, v[20:21]
	v_lshlrev_b32_e32 v20, 1, v18
	v_lshl_add_u64 v[14:15], v[14:15], 0, v[20:21]
	global_load_dwordx4 v[14:17], v[14:15], off offset:128
.LBB655_55:
	s_or_b64 exec, exec, s[2:3]
	s_branch .LBB655_58
.LBB655_56:
                                        ; implicit-def: $vgpr5
                                        ; implicit-def: $vgpr9
                                        ; implicit-def: $vgpr13
                                        ; implicit-def: $vgpr17
	s_cbranch_execz .LBB655_58
; %bb.57:
	s_waitcnt vmcnt(0)
	v_lshlrev_b32_e32 v2, 1, v18
	v_lshl_or_b32 v18, v35, 9, v2
	s_and_b32 s5, s5, 0xffff
	s_mov_b32 s7, 0x20000
	s_movk_i32 s6, 0x4000
	s_movk_i32 s0, 0x80
	buffer_load_dwordx4 v[2:5], v18, s[4:7], 0 offen
	buffer_load_dwordx4 v[6:9], v18, s[4:7], 0 offen offset:256
	buffer_load_dwordx4 v[10:13], v18, s[4:7], s0 offen
	buffer_load_dwordx4 v[14:17], v18, s[4:7], s0 offen offset:256
.LBB655_58:
	ds_read2st64_b64 v[22:25], v19 offset0:76 offset1:77
	ds_read2st64_b64 v[18:21], v19 offset0:78 offset1:79
	ds_read_b64 v[32:33], v26 offset:24576
	ds_read_b64 v[30:31], v27 offset:24576
	;; [unrolled: 1-line block ×4, first 2 shown]
	v_and_b32_e32 v36, 6, v0
	v_xor_b32_e32 v35, v35, v36
	v_lshlrev_b32_e32 v35, 2, v35
	v_and_b32_e32 v0, 1, v0
	v_xor_b32_e32 v38, 0x440, v35
	v_cmp_eq_u32_e32 vcc, 0, v0
	s_mov_b32 s0, 0x1000504
	s_mov_b32 s1, 0x3020706
	v_cndmask_b32_e32 v0, v38, v35, vcc
	v_lshl_or_b32 v0, v36, 10, v0
	s_waitcnt vmcnt(0)
	v_perm_b32 v35, v2, v6, s0
	v_perm_b32 v36, v10, v14, s0
	ds_write2st64_b32 v0, v35, v36 offset1:32
	v_xor_b32_e32 v35, 8, v0
	v_perm_b32 v2, v2, v6, s1
	v_perm_b32 v6, v10, v14, s1
	v_add_u32_e32 v10, 0x80, v35
	ds_write2st64_b32 v10, v2, v6 offset1:32
	v_xor_b32_e32 v2, 16, v0
	v_perm_b32 v6, v3, v7, s0
	v_perm_b32 v10, v11, v15, s0
	ds_write2st64_b32 v2, v6, v10 offset0:1 offset1:33
	v_xor_b32_e32 v2, 24, v0
	v_perm_b32 v3, v3, v7, s1
	v_perm_b32 v6, v11, v15, s1
	v_add_u32_e32 v2, 0x80, v2
	ds_write2st64_b32 v2, v3, v6 offset0:1 offset1:33
	v_xor_b32_e32 v2, 32, v0
	v_perm_b32 v3, v4, v8, s0
	v_perm_b32 v6, v12, v16, s0
	ds_write2st64_b32 v2, v3, v6 offset0:2 offset1:34
	v_xor_b32_e32 v2, 40, v0
	v_perm_b32 v3, v4, v8, s1
	v_perm_b32 v4, v12, v16, s1
	v_add_u32_e32 v2, 0x80, v2
	ds_write2st64_b32 v2, v3, v4 offset0:2 offset1:34
	v_xor_b32_e32 v2, 48, v0
	v_perm_b32 v3, v5, v9, s0
	v_perm_b32 v4, v13, v17, s0
	v_xor_b32_e32 v0, 56, v0
	v_and_or_b32 v8, v37, 12, v45
	ds_write2st64_b32 v2, v3, v4 offset0:3 offset1:35
	v_perm_b32 v2, v5, v9, s1
	v_perm_b32 v3, v13, v17, s1
	v_add_u32_e32 v0, 0x80, v0
	v_cmp_gt_i32_e64 s[2:3], s43, v8
	v_mov_b32_e32 v10, 0
	v_mov_b32_e32 v15, 0
	ds_write2st64_b32 v0, v2, v3 offset0:3 offset1:35
	s_and_saveexec_b64 s[0:1], s[2:3]
	s_cbranch_execz .LBB655_60
; %bb.59:
	v_add_u32_e32 v0, s42, v8
	v_ashrrev_i32_e32 v2, 31, v0
	v_mul_lo_u32 v4, v2, s34
	v_mul_lo_u32 v5, v0, s35
	v_mad_u64_u32 v[2:3], s[4:5], v0, s34, 0
	v_add3_u32 v3, v3, v5, v4
	v_lshl_add_u64 v[2:3], v[2:3], 2, s[10:11]
	global_load_dword v0, v[2:3], off
	s_waitcnt vmcnt(0)
	v_sub_f32_e32 v0, s12, v0
	v_exp_f32_e32 v15, v0
.LBB655_60:
	s_or_b64 exec, exec, s[0:1]
	v_or_b32_e32 v13, 1, v8
	v_cmp_gt_i32_e64 s[4:5], s43, v13
	s_and_saveexec_b64 s[0:1], s[4:5]
	s_cbranch_execz .LBB655_62
; %bb.61:
	v_add_u32_e32 v0, s42, v13
	v_ashrrev_i32_e32 v2, 31, v0
	v_mul_lo_u32 v4, v2, s34
	v_mul_lo_u32 v5, v0, s35
	v_mad_u64_u32 v[2:3], s[6:7], v0, s34, 0
	v_add3_u32 v3, v3, v5, v4
	v_lshl_add_u64 v[2:3], v[2:3], 2, s[10:11]
	global_load_dword v0, v[2:3], off
	s_waitcnt vmcnt(0)
	v_sub_f32_e32 v0, s12, v0
	v_exp_f32_e32 v10, v0
.LBB655_62:
	s_or_b64 exec, exec, s[0:1]
	v_or_b32_e32 v11, 2, v8
	v_cmp_gt_i32_e32 vcc, s43, v11
	v_mov_b32_e32 v9, 0
	v_mov_b32_e32 v14, 0
	s_and_saveexec_b64 s[0:1], vcc
	s_cbranch_execz .LBB655_64
; %bb.63:
	v_add_u32_e32 v0, s42, v11
	v_ashrrev_i32_e32 v2, 31, v0
	v_mul_lo_u32 v4, v2, s34
	v_mul_lo_u32 v5, v0, s35
	v_mad_u64_u32 v[2:3], s[6:7], v0, s34, 0
	v_add3_u32 v3, v3, v5, v4
	v_lshl_add_u64 v[2:3], v[2:3], 2, s[10:11]
	global_load_dword v0, v[2:3], off
	s_waitcnt vmcnt(0)
	v_sub_f32_e32 v0, s12, v0
	v_exp_f32_e32 v14, v0
.LBB655_64:
	s_or_b64 exec, exec, s[0:1]
	v_or_b32_e32 v12, 3, v8
	v_cmp_gt_i32_e64 s[0:1], s43, v12
	s_and_saveexec_b64 s[6:7], s[0:1]
	s_cbranch_execz .LBB655_66
; %bb.65:
	v_add_u32_e32 v0, s42, v12
	v_ashrrev_i32_e32 v2, 31, v0
	v_mul_lo_u32 v4, v2, s34
	v_mul_lo_u32 v5, v0, s35
	v_mad_u64_u32 v[2:3], s[16:17], v0, s34, 0
	v_add3_u32 v3, v3, v5, v4
	v_lshl_add_u64 v[2:3], v[2:3], 2, s[10:11]
	global_load_dword v0, v[2:3], off
	s_waitcnt vmcnt(0)
	v_sub_f32_e32 v0, s12, v0
	v_exp_f32_e32 v9, v0
.LBB655_66:
	s_or_b64 exec, exec, s[6:7]
	s_waitcnt lgkmcnt(11)
	v_mfma_f32_16x16x16_bf16 a[0:3], v[32:33], v[22:23], a[0:3]
	v_or_b32_e32 v0, s36, v1
	s_add_u32 s6, s8, s28
	v_ashrrev_i32_e32 v1, 31, v0
	s_waitcnt lgkmcnt(10)
	v_mfma_f32_16x16x16_bf16 a[0:3], v[30:31], v[24:25], a[0:3]
	s_addc_u32 s7, s9, s29
	v_lshlrev_b64 v[0:1], 1, v[0:1]
	v_lshl_add_u64 v[4:5], s[6:7], 0, v[0:1]
	s_waitcnt lgkmcnt(9)
	v_mfma_f32_16x16x16_bf16 a[0:3], v[28:29], v[18:19], a[0:3]
	s_add_u32 s6, s14, s28
	s_addc_u32 s7, s15, s29
	v_lshl_add_u64 v[6:7], s[6:7], 0, v[0:1]
	s_waitcnt lgkmcnt(8)
	v_mfma_f32_16x16x16_bf16 a[0:3], v[26:27], v[20:21], a[0:3]
	v_mov_b32_e32 v16, 0
	v_mov_b32_e32 v17, 0
	s_nop 4
	v_accvgpr_read_b32 v0, a0
	v_accvgpr_read_b32 v1, a1
	;; [unrolled: 1-line block ×4, first 2 shown]
	s_and_saveexec_b64 s[6:7], s[2:3]
	s_cbranch_execz .LBB655_68
; %bb.67:
	v_lshlrev_b32_e32 v18, 8, v8
	v_mov_b32_e32 v19, 0
	v_lshl_add_u64 v[20:21], v[4:5], 0, v[18:19]
	global_load_ushort v17, v[20:21], off
	v_lshl_add_u64 v[18:19], v[6:7], 0, v[18:19]
	s_waitcnt vmcnt(0)
	v_lshlrev_b32_e32 v17, 16, v17
	v_sub_f32_e32 v0, v17, v0
	global_store_short_d16_hi v[18:19], v0, off
	v_mul_f32_e32 v0, v15, v0
	v_lshrrev_b32_e32 v17, 16, v0
.LBB655_68:
	s_or_b64 exec, exec, s[6:7]
	s_and_saveexec_b64 s[2:3], s[4:5]
	s_cbranch_execz .LBB655_70
; %bb.69:
	v_lshlrev_b32_e32 v18, 8, v13
	v_mov_b32_e32 v19, 0
	v_lshl_add_u64 v[20:21], v[4:5], 0, v[18:19]
	global_load_ushort v0, v[20:21], off
	v_lshl_add_u64 v[18:19], v[6:7], 0, v[18:19]
	s_waitcnt vmcnt(0)
	v_lshlrev_b32_e32 v0, 16, v0
	v_sub_f32_e32 v0, v0, v1
	global_store_short_d16_hi v[18:19], v0, off
	v_mul_f32_e32 v0, v10, v0
	v_lshrrev_b32_e32 v16, 16, v0
.LBB655_70:
	s_or_b64 exec, exec, s[2:3]
	v_mov_b32_e32 v0, 0
	v_mov_b32_e32 v1, 0
	s_and_saveexec_b64 s[2:3], vcc
	s_cbranch_execz .LBB655_72
; %bb.71:
	v_lshlrev_b32_e32 v10, 8, v11
	v_mov_b32_e32 v11, 0
	v_lshl_add_u64 v[18:19], v[4:5], 0, v[10:11]
	global_load_ushort v1, v[18:19], off
	v_lshl_add_u64 v[10:11], v[6:7], 0, v[10:11]
	s_waitcnt vmcnt(0)
	v_lshlrev_b32_e32 v1, 16, v1
	v_sub_f32_e32 v1, v1, v2
	global_store_short_d16_hi v[10:11], v1, off
	v_mul_f32_e32 v1, v14, v1
	v_lshrrev_b32_e32 v1, 16, v1
.LBB655_72:
	s_or_b64 exec, exec, s[2:3]
	s_and_saveexec_b64 s[2:3], s[0:1]
	s_cbranch_execz .LBB655_74
; %bb.73:
	v_lshlrev_b32_e32 v10, 8, v12
	v_mov_b32_e32 v11, 0
	v_lshl_add_u64 v[4:5], v[4:5], 0, v[10:11]
	global_load_ushort v0, v[4:5], off
	v_lshl_add_u64 v[4:5], v[6:7], 0, v[10:11]
	s_waitcnt vmcnt(0)
	v_lshlrev_b32_e32 v0, 16, v0
	v_sub_f32_e32 v0, v0, v3
	global_store_short_d16_hi v[4:5], v0, off
	v_mul_f32_e32 v0, v9, v0
	v_lshrrev_b32_e32 v0, 16, v0
.LBB655_74:
	s_or_b64 exec, exec, s[2:3]
	s_mov_b32 s0, 0x5040100
	v_lshlrev_b32_e32 v2, 1, v34
	v_perm_b32 v1, v0, v1, s0
	v_perm_b32 v0, v16, v17, s0
	v_lshl_or_b32 v2, v8, 5, v2
	ds_write_b64 v2, v[0:1] offset:38912
	s_waitcnt lgkmcnt(0)
	s_barrier
.LBB655_75:
	s_endpgm
	.section	.rodata,"a",@progbits
	.p2align	6, 0x0
	.amdhsa_kernel _ZN12_GLOBAL__N_139chunk_gated_delta_rule_fwd_h_hip_kernelILi16ELb0ELb0ELb1ELb0ELb1ELb1ELb1ELb0EEEvPK12hip_bfloat16S3_S3_PKfS5_PKvPS1_S8_PvPKiSB_iiiiilll
		.amdhsa_group_segment_fixed_size 40960
		.amdhsa_private_segment_fixed_size 0
		.amdhsa_kernarg_size 136
		.amdhsa_user_sgpr_count 2
		.amdhsa_user_sgpr_dispatch_ptr 0
		.amdhsa_user_sgpr_queue_ptr 0
		.amdhsa_user_sgpr_kernarg_segment_ptr 1
		.amdhsa_user_sgpr_dispatch_id 0
		.amdhsa_user_sgpr_kernarg_preload_length 0
		.amdhsa_user_sgpr_kernarg_preload_offset 0
		.amdhsa_user_sgpr_private_segment_size 0
		.amdhsa_uses_dynamic_stack 0
		.amdhsa_enable_private_segment 0
		.amdhsa_system_sgpr_workgroup_id_x 1
		.amdhsa_system_sgpr_workgroup_id_y 1
		.amdhsa_system_sgpr_workgroup_id_z 0
		.amdhsa_system_sgpr_workgroup_info 0
		.amdhsa_system_vgpr_workitem_id 0
		.amdhsa_next_free_vgpr 128
		.amdhsa_next_free_sgpr 68
		.amdhsa_accum_offset 116
		.amdhsa_reserve_vcc 1
		.amdhsa_float_round_mode_32 0
		.amdhsa_float_round_mode_16_64 0
		.amdhsa_float_denorm_mode_32 3
		.amdhsa_float_denorm_mode_16_64 3
		.amdhsa_dx10_clamp 1
		.amdhsa_ieee_mode 1
		.amdhsa_fp16_overflow 0
		.amdhsa_tg_split 0
		.amdhsa_exception_fp_ieee_invalid_op 0
		.amdhsa_exception_fp_denorm_src 0
		.amdhsa_exception_fp_ieee_div_zero 0
		.amdhsa_exception_fp_ieee_overflow 0
		.amdhsa_exception_fp_ieee_underflow 0
		.amdhsa_exception_fp_ieee_inexact 0
		.amdhsa_exception_int_div_zero 0
	.end_amdhsa_kernel
	.section	.text._ZN12_GLOBAL__N_139chunk_gated_delta_rule_fwd_h_hip_kernelILi16ELb0ELb0ELb1ELb0ELb1ELb1ELb1ELb0EEEvPK12hip_bfloat16S3_S3_PKfS5_PKvPS1_S8_PvPKiSB_iiiiilll,"axG",@progbits,_ZN12_GLOBAL__N_139chunk_gated_delta_rule_fwd_h_hip_kernelILi16ELb0ELb0ELb1ELb0ELb1ELb1ELb1ELb0EEEvPK12hip_bfloat16S3_S3_PKfS5_PKvPS1_S8_PvPKiSB_iiiiilll,comdat
.Lfunc_end655:
	.size	_ZN12_GLOBAL__N_139chunk_gated_delta_rule_fwd_h_hip_kernelILi16ELb0ELb0ELb1ELb0ELb1ELb1ELb1ELb0EEEvPK12hip_bfloat16S3_S3_PKfS5_PKvPS1_S8_PvPKiSB_iiiiilll, .Lfunc_end655-_ZN12_GLOBAL__N_139chunk_gated_delta_rule_fwd_h_hip_kernelILi16ELb0ELb0ELb1ELb0ELb1ELb1ELb1ELb0EEEvPK12hip_bfloat16S3_S3_PKfS5_PKvPS1_S8_PvPKiSB_iiiiilll
                                        ; -- End function
	.section	.AMDGPU.csdata,"",@progbits
; Kernel info:
; codeLenInByte = 7468
; NumSgprs: 74
; NumVgprs: 114
; NumAgprs: 12
; TotalNumVgprs: 128
; ScratchSize: 0
; MemoryBound: 0
; FloatMode: 240
; IeeeMode: 1
; LDSByteSize: 40960 bytes/workgroup (compile time only)
; SGPRBlocks: 9
; VGPRBlocks: 15
; NumSGPRsForWavesPerEU: 74
; NumVGPRsForWavesPerEU: 128
; AccumOffset: 116
; Occupancy: 1
; WaveLimiterHint : 1
; COMPUTE_PGM_RSRC2:SCRATCH_EN: 0
; COMPUTE_PGM_RSRC2:USER_SGPR: 2
; COMPUTE_PGM_RSRC2:TRAP_HANDLER: 0
; COMPUTE_PGM_RSRC2:TGID_X_EN: 1
; COMPUTE_PGM_RSRC2:TGID_Y_EN: 1
; COMPUTE_PGM_RSRC2:TGID_Z_EN: 0
; COMPUTE_PGM_RSRC2:TIDIG_COMP_CNT: 0
; COMPUTE_PGM_RSRC3_GFX90A:ACCUM_OFFSET: 28
; COMPUTE_PGM_RSRC3_GFX90A:TG_SPLIT: 0
	.section	.text._ZN12_GLOBAL__N_139chunk_gated_delta_rule_fwd_h_hip_kernelILi16ELb0ELb0ELb0ELb0ELb1ELb1ELb1ELb0EEEvPK12hip_bfloat16S3_S3_PKfS5_PKvPS1_S8_PvPKiSB_iiiiilll,"axG",@progbits,_ZN12_GLOBAL__N_139chunk_gated_delta_rule_fwd_h_hip_kernelILi16ELb0ELb0ELb0ELb0ELb1ELb1ELb1ELb0EEEvPK12hip_bfloat16S3_S3_PKfS5_PKvPS1_S8_PvPKiSB_iiiiilll,comdat
	.globl	_ZN12_GLOBAL__N_139chunk_gated_delta_rule_fwd_h_hip_kernelILi16ELb0ELb0ELb0ELb0ELb1ELb1ELb1ELb0EEEvPK12hip_bfloat16S3_S3_PKfS5_PKvPS1_S8_PvPKiSB_iiiiilll ; -- Begin function _ZN12_GLOBAL__N_139chunk_gated_delta_rule_fwd_h_hip_kernelILi16ELb0ELb0ELb0ELb0ELb1ELb1ELb1ELb0EEEvPK12hip_bfloat16S3_S3_PKfS5_PKvPS1_S8_PvPKiSB_iiiiilll
	.p2align	8
	.type	_ZN12_GLOBAL__N_139chunk_gated_delta_rule_fwd_h_hip_kernelILi16ELb0ELb0ELb0ELb0ELb1ELb1ELb1ELb0EEEvPK12hip_bfloat16S3_S3_PKfS5_PKvPS1_S8_PvPKiSB_iiiiilll,@function
_ZN12_GLOBAL__N_139chunk_gated_delta_rule_fwd_h_hip_kernelILi16ELb0ELb0ELb0ELb0ELb1ELb1ELb1ELb0EEEvPK12hip_bfloat16S3_S3_PKfS5_PKvPS1_S8_PvPKiSB_iiiiilll: ; @_ZN12_GLOBAL__N_139chunk_gated_delta_rule_fwd_h_hip_kernelILi16ELb0ELb0ELb0ELb0ELb1ELb1ELb1ELb0EEEvPK12hip_bfloat16S3_S3_PKfS5_PKvPS1_S8_PvPKiSB_iiiiilll
; %bb.0:
	s_load_dwordx4 s[12:15], s[0:1], 0x5c
	s_load_dwordx2 s[36:37], s[0:1], 0x30
	s_abs_i32 s18, s3
	s_ashr_i32 s17, s3, 31
	s_load_dwordx8 s[4:11], s[0:1], 0x0
	s_waitcnt lgkmcnt(0)
	s_abs_i32 s16, s13
	v_cvt_f32_u32_e32 v1, s16
	s_sub_i32 s20, 0, s16
	s_ashr_i32 s19, s13, 31
	s_xor_b32 s17, s17, s19
	v_rcp_iflag_f32_e32 v1, v1
	v_lshrrev_b32_e32 v59, 6, v0
	v_bfe_u32 v60, v0, 4, 2
	v_lshlrev_b32_e32 v45, 4, v59
	v_mul_f32_e32 v1, 0x4f7ffffe, v1
	v_cvt_u32_f32_e32 v1, v1
	v_lshlrev_b32_e32 v2, 2, v60
	v_and_b32_e32 v58, 63, v0
	v_or_b32_e32 v63, v2, v45
	v_readfirstlane_b32 s21, v1
	s_mul_i32 s20, s20, s21
	s_mul_hi_u32 s20, s21, s20
	s_add_i32 s21, s21, s20
	s_mul_hi_u32 s20, s18, s21
	s_mul_i32 s21, s20, s16
	s_sub_i32 s18, s18, s21
	s_add_i32 s22, s20, 1
	s_sub_i32 s21, s18, s16
	s_cmp_ge_u32 s18, s16
	s_cselect_b32 s20, s22, s20
	s_cselect_b32 s18, s21, s18
	s_add_i32 s21, s20, 1
	s_cmp_ge_u32 s18, s16
	s_cselect_b32 s18, s21, s20
	s_abs_i32 s20, s14
	v_cvt_f32_u32_e32 v1, s20
	s_xor_b32 s18, s18, s17
	s_ashr_i32 s46, s12, 31
	s_sub_i32 s48, s18, s17
	v_rcp_iflag_f32_e32 v1, v1
	s_lshr_b32 s17, s46, 26
	s_add_i32 s17, s12, s17
	s_ashr_i32 s49, s14, 31
	v_mul_f32_e32 v1, 0x4f7ffffe, v1
	v_cvt_u32_f32_e32 v1, v1
	s_ashr_i32 s47, s17, 6
	s_xor_b32 s17, s19, s49
	s_sub_i32 s18, 0, s20
	v_readfirstlane_b32 s19, v1
	s_mul_i32 s18, s18, s19
	s_mul_hi_u32 s18, s19, s18
	s_add_i32 s19, s19, s18
	s_mul_hi_u32 s18, s16, s19
	s_mul_i32 s19, s18, s20
	s_mul_i32 s45, s48, s13
	s_sub_i32 s16, s16, s19
	s_sub_i32 s33, s3, s45
	s_add_i32 s3, s12, 63
	s_add_i32 s19, s18, 1
	s_sub_i32 s21, s16, s20
	s_cmp_ge_u32 s16, s20
	s_cselect_b32 s18, s19, s18
	s_cselect_b32 s16, s21, s16
	s_add_i32 s19, s18, 1
	s_cmp_ge_u32 s16, s20
	s_cselect_b32 s16, s19, s18
	s_xor_b32 s16, s16, s17
	s_sub_i32 s20, s16, s17
	s_abs_i32 s21, s20
	v_cvt_f32_u32_e32 v1, s21
	s_sub_i32 s23, 0, s21
	s_abs_i32 s22, s33
	s_xor_b32 s20, s33, s20
	v_rcp_iflag_f32_e32 v1, v1
	s_ashr_i32 s20, s20, 31
	s_load_dwordx2 s[28:29], s[0:1], 0x80
	s_load_dwordx4 s[16:19], s[0:1], 0x70
	v_mov_b32_e32 v49, 0
	v_mul_f32_e32 v1, 0x4f7ffffe, v1
	v_cvt_u32_f32_e32 v1, v1
	v_or_b32_e32 v64, 64, v63
	s_mul_hi_i32 s51, s48, s13
	v_lshrrev_b32_e32 v62, 3, v58
	v_readfirstlane_b32 s24, v1
	s_mul_i32 s23, s23, s24
	s_mul_hi_u32 s23, s24, s23
	s_add_i32 s24, s24, s23
	s_mul_hi_u32 s23, s22, s24
	s_mul_i32 s24, s23, s21
	s_sub_i32 s22, s22, s24
	s_add_i32 s24, s23, 1
	s_sub_i32 s25, s22, s21
	s_cmp_ge_u32 s22, s21
	s_cselect_b32 s23, s24, s23
	s_cselect_b32 s22, s25, s22
	s_add_i32 s24, s23, 1
	s_cmp_ge_u32 s22, s21
	s_cselect_b32 s21, s24, s23
	s_xor_b32 s21, s21, s20
	s_sub_i32 s52, s21, s20
	s_ashr_i32 s20, s3, 31
	s_lshr_b32 s20, s20, 26
	s_add_i32 s3, s3, s20
	s_ashr_i32 s3, s3, 6
	s_lshl_b32 s30, s2, 4
	s_mul_i32 s50, s48, s3
	v_and_b32_e32 v1, 15, v0
	s_cmp_lt_i32 s12, 64
	v_lshlrev_b32_e32 v61, 3, v0
	s_waitcnt lgkmcnt(0)
	s_mul_i32 s17, s48, s17
	s_mul_hi_u32 s44, s48, s16
	s_mul_i32 s34, s48, s16
	v_mov_b32_e32 v48, v49
	v_mov_b32_e32 v51, v49
	;; [unrolled: 1-line block ×7, first 2 shown]
	s_cbranch_scc1 .LBB656_18
; %bb.1:
	s_ashr_i32 s24, s48, 31
	s_ashr_i32 s54, s33, 31
	s_add_u32 s2, s45, s33
	s_addc_u32 s3, s51, s54
	s_mul_i32 s3, s12, s3
	s_mul_hi_u32 s20, s12, s2
	s_add_i32 s39, s20, s3
	s_mul_i32 s38, s12, s2
	s_lshl_b64 s[2:3], s[38:39], 8
	v_and_b32_e32 v66, 56, v61
	s_add_u32 s20, s6, s2
	v_lshl_or_b32 v65, v59, 3, v62
	v_lshlrev_b32_e32 v3, 1, v66
	s_addc_u32 s2, s7, s3
	v_lshl_or_b32 v67, v65, 8, v3
	s_and_b32 s21, s2, 0xffff
	s_mov_b32 s23, 0x20000
	s_movk_i32 s22, 0x4000
	s_movk_i32 s2, 0x80
	v_or_b32_e32 v68, 0x2000, v67
	buffer_load_dwordx4 v[4:7], v67, s[20:23], 0 offen
	buffer_load_dwordx4 v[8:11], v67, s[20:23], s2 offen
	;; [unrolled: 1-line block ×4, first 2 shown]
	v_lshlrev_b32_e32 v20, 3, v65
	v_and_or_b32 v22, v0, 7, v20
	v_and_b32_e32 v20, 0x78, v20
	v_lshlrev_b32_e32 v22, 4, v22
	v_xor_b32_e32 v69, v22, v20
	v_mul_lo_u32 v21, v65, s15
	v_or_b32_e32 v70, 0x1000, v69
	s_cmpk_eq_i32 s15, 0x80
	s_mov_b32 s53, s14
	v_xor_b32_e32 v20, 8, v69
	v_xor_b32_e32 v22, 8, v70
	s_cselect_b64 s[2:3], -1, 0
	s_cmpk_lg_i32 s15, 0x80
	s_waitcnt vmcnt(3)
	ds_write_b64 v69, v[4:5] offset:16384
	ds_write_b64 v20, v[6:7] offset:16384
	s_waitcnt vmcnt(2)
	ds_write_b64 v69, v[8:9] offset:24576
	ds_write_b64 v20, v[10:11] offset:24576
	;; [unrolled: 3-line block ×4, first 2 shown]
	v_lshl_add_u32 v4, v21, 1, v66
	s_cbranch_scc0 .LBB656_3
; %bb.2:
	v_lshlrev_b32_e32 v6, 1, v4
	v_add_lshl_u32 v5, v4, s15, 1
	s_lshl_b32 s22, s15, 7
	s_load_dwordx2 s[40:41], s[0:1], 0x20
	v_lshl_or_b32 v3, v65, 9, v3
	s_cbranch_execz .LBB656_4
	s_branch .LBB656_5
.LBB656_3:
                                        ; implicit-def: $vgpr5
                                        ; implicit-def: $vgpr6
                                        ; implicit-def: $sgpr22
	s_load_dwordx2 s[40:41], s[0:1], 0x20
	v_lshl_or_b32 v3, v65, 9, v3
.LBB656_4:
	v_or_b32_e32 v5, 0x100, v3
	s_movk_i32 s22, 0x4000
	v_mov_b32_e32 v6, v3
.LBB656_5:
	s_mul_hi_u32 s0, s14, s12
	s_mul_i32 s1, s49, s12
	s_add_i32 s0, s0, s1
	s_mul_i32 s1, s14, s12
	s_mul_i32 s20, s1, s24
	s_mul_hi_u32 s21, s1, s48
	s_add_i32 s20, s21, s20
	s_mul_i32 s0, s0, s48
	s_add_i32 s20, s20, s0
	s_mul_i32 s1, s1, s48
	s_ashr_i32 s55, s52, 31
	s_add_u32 s0, s1, s52
	s_addc_u32 s1, s20, s55
	s_lshl_b64 s[0:1], s[0:1], 8
	s_add_u32 s20, s4, s0
	s_addc_u32 s0, s5, s1
	s_and_b32 s21, s0, 0xffff
	s_movk_i32 s56, 0x80
	buffer_load_dwordx4 v[8:11], v6, s[20:23], 0 offen
	buffer_load_dwordx4 v[12:15], v6, s[20:23], s56 offen
	;; [unrolled: 1-line block ×4, first 2 shown]
	v_and_b32_e32 v5, 6, v0
	s_mul_i32 s0, s24, s12
	s_mul_hi_u32 s1, s48, s12
	v_lshlrev_b32_e32 v7, 2, v1
	v_lshlrev_b32_e32 v24, 3, v1
	v_xor_b32_e32 v26, v65, v5
	v_and_b32_e32 v6, 1, v0
	s_mul_i32 s24, s24, s16
	v_lshl_or_b32 v24, v63, 5, v24
	v_xor_b32_e32 v27, v63, v7
	v_lshlrev_b32_e32 v26, 2, v26
	s_add_i32 s61, s1, s0
	s_add_i32 s0, s44, s17
	v_or_b32_e32 v71, 0x9000, v24
	v_or_b32_e32 v72, 0x9800, v24
	v_lshlrev_b32_e32 v24, 1, v27
	v_xor_b32_e32 v27, 0x440, v26
	v_cmp_eq_u32_e32 vcc, 0, v6
	s_add_i32 s35, s0, s24
	s_mul_i32 s0, s33, s19
	s_mul_hi_u32 s1, s33, s18
	v_cndmask_b32_e32 v6, v27, v26, vcc
	s_add_i32 s0, s1, s0
	s_mul_i32 s1, s54, s18
	s_mov_b32 s59, 0x1000504
	v_lshlrev_b32_e32 v25, 8, v1
	s_mov_b32 s22, 0x8000
	v_xor_b32_e32 v7, v64, v7
	v_lshl_or_b32 v5, v5, 10, v6
	s_add_i32 s1, s0, s1
	s_lshl_b64 s[20:21], s[34:35], 2
	s_mov_b32 s60, 0x3020706
	v_lshlrev_b32_e32 v7, 1, v7
	v_or3_b32 v73, v24, v25, s22
	v_xor_b32_e32 v6, 8, v5
	v_xor_b32_e32 v24, 24, v5
	v_xor_b32_e32 v26, 40, v5
	v_xor_b32_e32 v28, 56, v5
	s_mul_i32 s0, s33, s18
	s_add_u32 s20, s10, s20
	v_or3_b32 v74, v7, v25, s22
	v_xor_b32_e32 v7, 16, v5
	v_xor_b32_e32 v25, 32, v5
	;; [unrolled: 1-line block ×3, first 2 shown]
	v_add_u32_e32 v6, 0x80, v6
	v_add_u32_e32 v24, 0x80, v24
	;; [unrolled: 1-line block ×4, first 2 shown]
	s_addc_u32 s21, s11, s21
	s_lshl_b64 s[0:1], s[0:1], 2
	s_add_u32 s42, s20, s0
	s_movk_i32 s0, 0xf8
	s_addc_u32 s43, s21, s1
	s_ashr_i32 s31, s30, 31
	s_lshl_b32 s26, s15, 7
	v_mov_b32_e32 v47, 0
	s_mul_i32 s57, s48, s12
	s_mov_b32 s58, 0
	v_add_u32_e32 v85, v45, v2
	s_mov_b32 s35, 0x7060302
	s_mov_b32 s63, 0
	v_mov_b32_e32 v52, v47
	v_mov_b32_e32 v53, v47
	;; [unrolled: 1-line block ×6, first 2 shown]
	s_waitcnt vmcnt(1)
	v_perm_b32 v29, v8, v16, s59
	s_waitcnt vmcnt(0)
	v_perm_b32 v30, v12, v20, s59
	v_perm_b32 v8, v8, v16, s60
	;; [unrolled: 1-line block ×15, first 2 shown]
	ds_write2st64_b32 v5, v29, v30 offset1:32
	ds_write2st64_b32 v6, v8, v12 offset1:32
	ds_write2st64_b32 v7, v16, v20 offset0:1 offset1:33
	ds_write2st64_b32 v24, v9, v13 offset0:1 offset1:33
	;; [unrolled: 1-line block ×6, first 2 shown]
	v_or_b32_e32 v5, v45, v1
	v_lshlrev_b32_e32 v5, 3, v5
	v_lshrrev_b32_e32 v7, 5, v58
	v_and_or_b32 v7, v5, s0, v7
	v_lshlrev_b32_e32 v7, 4, v7
	v_lshrrev_b32_e32 v6, 2, v58
	v_lshlrev_b32_e32 v9, 11, v59
	v_and_b32_e32 v5, 0x78, v5
	v_or_b32_e32 v12, 32, v7
	v_and_b32_e32 v8, 12, v6
	v_and_b32_e32 v6, 0x1000, v9
	v_lshrrev_b32_e32 v11, 1, v58
	v_xor_b32_e32 v12, v12, v5
	v_and_b32_e32 v11, 8, v11
	v_or_b32_e32 v12, v12, v6
	v_xor_b32_e32 v10, v7, v5
	v_xor_b32_e32 v77, v12, v11
	v_or_b32_e32 v12, 64, v7
	v_or_b32_e32 v7, 0x60, v7
	v_or_b32_e32 v10, v10, v6
	v_xor_b32_e32 v12, v12, v5
	v_xor_b32_e32 v5, v7, v5
	v_xor_b32_e32 v75, v10, v11
	v_and_b32_e32 v10, 0x78, v61
	v_or_b32_e32 v5, v5, v6
	v_lshl_or_b32 v10, v60, 7, v10
	v_or_b32_e32 v12, v12, v6
	v_xor_b32_e32 v79, v5, v11
	v_lshlrev_b32_e32 v5, 1, v1
	v_or_b32_e32 v76, 0x9000, v10
	v_xor_b32_e32 v78, v12, v11
	v_or_b32_e32 v80, 0x9800, v10
	v_lshlrev_b32_e32 v10, 1, v4
	v_add_lshl_u32 v11, v4, s15, 1
	v_lshrrev_b32_e32 v4, 4, v0
	s_lshl_b64 s[0:1], s[30:31], 8
	v_or_b32_e32 v13, 1, v5
	s_add_u32 s0, s36, s0
	v_xor_b32_e32 v5, v4, v5
	v_xor_b32_e32 v13, v13, v4
	s_addc_u32 s1, s37, s1
	v_lshlrev_b32_e32 v5, 3, v5
	v_lshlrev_b32_e32 v46, 8, v4
	;; [unrolled: 1-line block ×3, first 2 shown]
	v_lshrrev_b32_e32 v17, 1, v0
	v_or3_b32 v81, v5, v46, s22
	v_or3_b32 v82, v4, v46, s22
	v_lshl_add_u64 v[4:5], s[0:1], 0, v[46:47]
	v_lshlrev_b32_e32 v46, 4, v1
	s_movk_i32 s0, 0xff
	v_lshlrev_b32_e32 v16, 3, v59
	v_and_b32_e32 v17, 24, v17
	v_lshl_add_u64 v[54:55], v[4:5], 0, v[46:47]
	v_and_b32_e32 v5, 8, v0
	v_cmp_lt_u32_e32 vcc, s0, v0
	v_xor_b32_e32 v18, v16, v17
	v_or_b32_e32 v19, 0x440, v18
	v_cndmask_b32_e64 v15, 0, 1, vcc
	v_cmp_eq_u32_e32 vcc, 0, v5
	v_or_b32_e32 v21, 64, v17
	v_xor_b32_e32 v21, v16, v21
	v_cndmask_b32_e32 v5, v19, v18, vcc
	v_or_b32_e32 v19, 32, v17
	v_or_b32_e32 v17, 0x60, v17
	v_xor_b32_e32 v19, v16, v19
	v_xor_b32_e32 v16, v16, v17
	v_or_b32_e32 v20, 0x440, v19
	v_xor_b32_e32 v22, 0x440, v21
	v_xor_b32_e32 v17, 0x440, v16
	v_and_b32_e32 v4, 7, v0
	v_cndmask_b32_e32 v19, v20, v19, vcc
	v_cndmask_b32_e32 v21, v22, v21, vcc
	;; [unrolled: 1-line block ×3, first 2 shown]
	v_or_b32_e32 v6, s30, v1
	v_lshlrev_b32_e32 v13, 3, v4
	v_or_b32_e32 v5, v5, v9
	v_or_b32_e32 v19, v19, v9
	;; [unrolled: 1-line block ×4, first 2 shown]
	v_ashrrev_i32_e32 v7, 31, v6
	v_lshlrev_b32_e32 v15, 13, v15
	v_xor_b32_e32 v5, v5, v13
	v_xor_b32_e32 v19, v19, v13
	;; [unrolled: 1-line block ×4, first 2 shown]
	v_lshl_add_u64 v[6:7], v[6:7], 1, s[8:9]
	v_or_b32_e32 v12, 0x100, v3
	v_lshlrev_b32_e32 v14, 7, v4
	v_or_b32_e32 v4, v8, v45
	v_add_u32_e32 v18, v15, v5
	v_add_u32_e32 v20, v15, v19
	v_add_u32_e32 v22, v15, v21
	v_add_u32_e32 v13, v15, v9
	v_or3_b32 v8, v45, v8, 64
	v_add_u32_e32 v5, 0x2000, v5
	v_add_u32_e32 v15, 0x2000, v19
	v_add_u32_e32 v16, 0x2000, v21
	v_add_u32_e32 v9, 0x2000, v9
	v_lshlrev_b32_e32 v46, 8, v63
	v_cndmask_b32_e64 v83, v10, v3, s[2:3]
	v_cndmask_b32_e64 v84, v11, v12, s[2:3]
	v_lshl_add_u64 v[56:57], v[6:7], 0, v[46:47]
	s_add_i32 s31, s57, 63
	s_movk_i32 s22, 0x4000
	v_lshlrev_b32_e32 v86, 2, v4
	v_add_u32_e32 v87, v18, v14
	v_add_u32_e32 v88, v20, v14
	;; [unrolled: 1-line block ×4, first 2 shown]
	v_lshlrev_b32_e32 v91, 2, v8
	v_add_u32_e32 v92, v5, v14
	v_add_u32_e32 v93, v15, v14
	v_add_u32_e32 v94, v16, v14
	v_add_u32_e32 v95, v9, v14
	v_mov_b32_e32 v46, v47
	s_waitcnt lgkmcnt(0)
	s_barrier
.LBB656_6:                              ; =>This Inner Loop Header: Depth=1
	s_add_i32 s62, s63, 1
	s_cmp_lt_i32 s62, s47
	s_mov_b64 s[24:25], 0
	s_cselect_b64 s[2:3], -1, 0
	s_cmp_ge_i32 s62, s47
	s_mov_b64 s[20:21], 0
	s_cbranch_scc1 .LBB656_8
; %bb.7:                                ;   in Loop: Header=BB656_6 Depth=1
	s_add_i32 s0, s58, 64
	s_add_u32 s0, s38, s0
	s_addc_u32 s1, s39, 0
	s_lshl_b64 s[0:1], s[0:1], 8
	s_add_u32 s20, s6, s0
	s_addc_u32 s21, s7, s1
.LBB656_8:                              ;   in Loop: Header=BB656_6 Depth=1
	v_cndmask_b32_e64 v2, 0, 1, s[2:3]
	v_cmp_ne_u32_e64 s[0:1], 1, v2
	s_andn2_b64 vcc, exec, s[2:3]
	s_cbranch_vccnz .LBB656_10
; %bb.9:                                ;   in Loop: Header=BB656_6 Depth=1
	s_add_i32 s2, s58, 64
	s_add_u32 s2, s57, s2
	s_addc_u32 s3, s61, 0
	s_mul_i32 s24, s2, s49
	s_mul_hi_u32 s25, s2, s53
	s_add_i32 s24, s25, s24
	s_mul_i32 s3, s3, s53
	s_add_i32 s24, s24, s3
	s_mul_i32 s2, s2, s53
	s_add_u32 s2, s2, s52
	s_addc_u32 s3, s24, s55
	s_lshl_b64 s[2:3], s[2:3], 8
	s_add_u32 s24, s4, s2
	s_addc_u32 s25, s5, s3
.LBB656_10:                             ;   in Loop: Header=BB656_6 Depth=1
	v_perm_b32 v3, v53, v52, s35
	v_perm_b32 v2, v47, v46, s35
	;; [unrolled: 1-line block ×4, first 2 shown]
	ds_write_b64 v71, v[2:3]
	ds_write_b64 v72, v[4:5]
	;; [unrolled: 1-line block ×4, first 2 shown]
	s_waitcnt lgkmcnt(0)
	s_barrier
	ds_read_b64 v[10:11], v75 offset:16384
	ds_read_b64 v[12:13], v77 offset:16384
	ds_read2st64_b64 v[2:5], v76 offset1:1
	ds_read2st64_b64 v[6:9], v76 offset0:2 offset1:3
	ds_read_b64 v[14:15], v78 offset:16384
	s_waitcnt lgkmcnt(2)
	v_mfma_f32_16x16x16_bf16 a[0:3], v[10:11], v[2:3], 0
	ds_read_b64 v[2:3], v79 offset:16384
	s_add_i32 s2, s58, 63
	s_mul_i32 s3, s2, s29
	v_mfma_f32_16x16x16_bf16 a[0:3], v[12:13], v[4:5], a[0:3]
	s_mul_hi_u32 s27, s2, s28
	s_add_i32 s3, s27, s3
	s_mul_i32 s2, s2, s28
	s_waitcnt lgkmcnt(1)
	v_mfma_f32_16x16x16_bf16 a[0:3], v[14:15], v[6:7], a[0:3]
	s_lshl_b64 s[2:3], s[2:3], 2
	s_add_u32 s2, s42, s2
	s_addc_u32 s3, s43, s3
	s_waitcnt lgkmcnt(0)
	v_mfma_f32_16x16x16_bf16 a[0:3], v[2:3], v[8:9], a[0:3]
	s_and_b64 vcc, exec, s[0:1]
	v_mov_b32_e32 v98, 0
	v_mov_b32_e32 v97, 0
	;; [unrolled: 1-line block ×19, first 2 shown]
	s_cbranch_vccnz .LBB656_12
; %bb.11:                               ;   in Loop: Header=BB656_6 Depth=1
	s_and_b32 s21, s21, 0xffff
	buffer_load_dwordx4 v[14:17], v67, s[20:23], 0 offen
	buffer_load_dwordx4 v[10:13], v67, s[20:23], s56 offen
	;; [unrolled: 1-line block ×4, first 2 shown]
	v_mov_b32_e32 v97, v69
	v_mov_b32_e32 v96, v70
.LBB656_12:                             ;   in Loop: Header=BB656_6 Depth=1
	v_add_u32_e32 v24, s58, v85
	v_ashrrev_i32_e32 v18, 31, v24
	v_mul_lo_u32 v20, v18, s28
	v_mul_lo_u32 v21, v24, s29
	v_mad_u64_u32 v[18:19], s[20:21], v24, s28, 0
	v_add3_u32 v19, v19, v21, v20
	v_add_u32_e32 v20, 1, v24
	v_ashrrev_i32_e32 v21, 31, v20
	v_mul_lo_u32 v22, v21, s28
	v_mul_lo_u32 v23, v20, s29
	v_mad_u64_u32 v[20:21], s[20:21], v20, s28, 0
	v_add3_u32 v21, v21, v23, v22
	v_add_u32_e32 v22, 2, v24
	v_ashrrev_i32_e32 v23, 31, v22
	v_mul_lo_u32 v25, v23, s28
	v_mul_lo_u32 v26, v22, s29
	v_mad_u64_u32 v[22:23], s[20:21], v22, s28, 0
	v_add_u32_e32 v24, 3, v24
	v_add3_u32 v23, v23, v26, v25
	v_ashrrev_i32_e32 v25, 31, v24
	v_mul_lo_u32 v28, v25, s28
	v_mul_lo_u32 v29, v24, s29
	v_mad_u64_u32 v[24:25], s[20:21], v24, s28, 0
	s_add_u32 s20, s38, s58
	s_addc_u32 s21, s39, 0
	s_lshl_b64 s[20:21], s[20:21], 8
	v_lshl_add_u64 v[18:19], v[18:19], 2, s[42:43]
	v_lshl_add_u64 v[26:27], v[56:57], 0, s[20:21]
	;; [unrolled: 1-line block ×3, first 2 shown]
	global_load_ushort v42, v[26:27], off
	global_load_ushort v43, v[26:27], off offset:256
	global_load_ushort v44, v[26:27], off offset:512
	;; [unrolled: 1-line block ×3, first 2 shown]
	v_add3_u32 v25, v25, v29, v28
	global_load_dword v101, v[18:19], off
	v_lshl_add_u64 v[22:23], v[22:23], 2, s[42:43]
	v_lshl_add_u64 v[18:19], v[24:25], 2, s[42:43]
	global_load_dword v102, v[20:21], off
	global_load_dword v103, v[22:23], off
	;; [unrolled: 1-line block ×3, first 2 shown]
	s_load_dword s2, s[2:3], 0x0
	ds_read2st64_b64 v[26:29], v80 offset1:1
	ds_read2st64_b64 v[32:35], v80 offset0:2 offset1:3
	ds_read_b64 v[30:31], v75 offset:24576
	ds_read_b64 v[36:37], v77 offset:24576
	;; [unrolled: 1-line block ×4, first 2 shown]
	s_waitcnt lgkmcnt(0)
	v_mfma_f32_16x16x16_bf16 a[0:3], v[30:31], v[26:27], a[0:3]
	v_mov_b32_e32 v99, 0
	v_mov_b32_e32 v18, 0
	v_mov_b32_e32 v19, 0
	v_mfma_f32_16x16x16_bf16 a[0:3], v[36:37], v[28:29], a[0:3]
	v_mov_b32_e32 v20, 0
	v_mov_b32_e32 v21, 0
	v_mov_b32_e32 v22, 0
	;; [unrolled: 4-line block ×4, first 2 shown]
	v_mov_b32_e32 v29, 0
	v_mov_b32_e32 v30, 0
	;; [unrolled: 1-line block ×4, first 2 shown]
	v_accvgpr_read_b32 v37, a1
	v_accvgpr_read_b32 v35, a3
	;; [unrolled: 1-line block ×4, first 2 shown]
	s_and_b64 vcc, exec, s[0:1]
	s_waitcnt vmcnt(7)
	v_lshlrev_b32_e32 v38, 16, v42
	s_waitcnt vmcnt(6)
	v_lshlrev_b32_e32 v39, 16, v43
	;; [unrolled: 2-line block ×4, first 2 shown]
	v_pk_add_f32 v[36:37], v[38:39], v[36:37] neg_lo:[0,1] neg_hi:[0,1]
	s_waitcnt vmcnt(3)
	v_sub_f32_e32 v33, s2, v101
	v_exp_f32_e32 v42, v33
	s_waitcnt vmcnt(2)
	v_sub_f32_e32 v33, s2, v102
	s_waitcnt vmcnt(1)
	v_sub_f32_e32 v44, s2, v103
	;; [unrolled: 2-line block ×3, first 2 shown]
	v_exp_f32_e32 v43, v33
	v_exp_f32_e32 v100, v44
	;; [unrolled: 1-line block ×3, first 2 shown]
	v_pk_add_f32 v[34:35], v[40:41], v[34:35] neg_lo:[0,1] neg_hi:[0,1]
	v_pk_mul_f32 v[36:37], v[42:43], v[36:37]
	v_mov_b32_e32 v33, 0
	v_pk_mul_f32 v[34:35], v[100:101], v[34:35]
	s_nop 0
	v_perm_b32 v35, v35, v34, s35
	v_perm_b32 v34, v37, v36, s35
	ds_write_b64 v72, v[34:35]
	s_cbranch_vccnz .LBB656_14
; %bb.13:                               ;   in Loop: Header=BB656_6 Depth=1
	s_and_b32 s25, s25, 0xffff
	s_mov_b32 s27, s23
	buffer_load_dwordx4 v[30:33], v83, s[24:27], 0 offen
	buffer_load_dwordx4 v[22:25], v83, s[24:27], s56 offen
	;; [unrolled: 1-line block ×4, first 2 shown]
	v_mov_b32_e32 v98, v66
	v_mov_b32_e32 v99, v65
.LBB656_14:                             ;   in Loop: Header=BB656_6 Depth=1
	s_waitcnt lgkmcnt(0)
	s_barrier
	ds_read_b64 v[34:35], v87
	ds_read_b64 v[40:41], v88
	ds_read2st64_b64 v[36:39], v80 offset1:1
	ds_read2st64_b64 v[100:103], v80 offset0:2 offset1:3
	ds_read_b64 v[42:43], v89
	ds_read_b64 v[108:109], v90
	s_add_i32 s3, s50, s63
	s_mul_hi_i32 s21, s3, s13
	s_mul_i32 s3, s3, s13
	s_waitcnt lgkmcnt(3)
	v_mfma_f32_16x16x16_bf16 a[0:3], v[34:35], v[36:37], 0
	ds_read_b64 v[34:35], v92
	s_add_u32 s20, s3, s33
	s_addc_u32 s21, s21, s54
	s_add_i32 s3, s31, s58
	v_mfma_f32_16x16x16_bf16 a[0:3], v[40:41], v[38:39], a[0:3]
	ds_read_b64 v[40:41], v93
	s_lshl_b64 s[20:21], s[20:21], 15
	s_mul_hi_i32 s25, s3, s13
	s_mul_i32 s3, s3, s13
	s_add_u32 s24, s3, s33
	s_addc_u32 s25, s25, s54
	s_lshl_b64 s[24:25], s[24:25], 9
	s_add_u32 s24, s40, s24
	s_waitcnt lgkmcnt(1)
	v_mfma_f32_16x16x16_bf16 a[4:7], v[34:35], v[36:37], 0
	s_addc_u32 s25, s41, s25
	s_and_b64 vcc, exec, s[0:1]
	v_mfma_f32_16x16x16_bf16 a[0:3], v[42:43], v[100:101], a[0:3]
	ds_read_b64 v[42:43], v94
	ds_read_b64 v[110:111], v95
	global_load_dwordx4 v[34:37], v91, s[24:25]
	s_waitcnt lgkmcnt(2)
	v_mfma_f32_16x16x16_bf16 a[4:7], v[40:41], v[38:39], a[4:7]
	global_load_dwordx4 v[38:41], v86, s[24:25]
	ds_read_b64 v[104:105], v81
	ds_read_b64 v[106:107], v82
	s_waitcnt lgkmcnt(3)
	v_mfma_f32_16x16x16_bf16 a[8:11], v[42:43], v[100:101], a[4:7]
	v_lshl_add_u64 v[42:43], v[54:55], 0, s[20:21]
	s_waitcnt lgkmcnt(0)
	global_store_dwordx4 v[42:43], v[104:107], off
	v_mfma_f32_16x16x16_bf16 a[4:7], v[108:109], v[102:103], a[0:3]
	s_waitcnt vmcnt(2)
	v_mov_b32_e32 v44, v37
	v_mfma_f32_16x16x16_bf16 a[0:3], v[110:111], v[102:103], a[8:11]
	v_mov_b32_e32 v43, v36
	v_mov_b32_e32 v42, v35
	s_cbranch_vccnz .LBB656_16
; %bb.15:                               ;   in Loop: Header=BB656_6 Depth=1
	v_lshrrev_b32_e32 v35, 3, v98
	v_and_b32_e32 v35, 6, v35
	v_xor_b32_e32 v36, v35, v99
	v_lshlrev_b32_e32 v36, 2, v36
	v_and_b32_e32 v37, 8, v98
	v_xor_b32_e32 v98, 0x440, v36
	v_cmp_eq_u32_e32 vcc, 0, v37
	v_perm_b32 v37, v22, v18, s59
	s_nop 0
	v_cndmask_b32_e32 v36, v98, v36, vcc
	v_lshl_or_b32 v35, v35, 10, v36
	v_perm_b32 v36, v30, v26, s59
	s_barrier
	ds_write2st64_b32 v35, v36, v37 offset1:32
	v_xor_b32_e32 v36, 8, v35
	v_perm_b32 v26, v30, v26, s60
	v_perm_b32 v18, v22, v18, s60
	v_add_u32_e32 v22, 0x80, v36
	ds_write2st64_b32 v22, v26, v18 offset1:32
	v_xor_b32_e32 v18, 16, v35
	v_perm_b32 v22, v31, v27, s59
	v_perm_b32 v26, v23, v19, s59
	ds_write2st64_b32 v18, v22, v26 offset0:1 offset1:33
	v_xor_b32_e32 v18, 24, v35
	v_perm_b32 v22, v31, v27, s60
	v_perm_b32 v19, v23, v19, s60
	v_add_u32_e32 v18, 0x80, v18
	ds_write2st64_b32 v18, v22, v19 offset0:1 offset1:33
	v_xor_b32_e32 v18, 32, v35
	v_perm_b32 v19, v32, v28, s59
	v_perm_b32 v22, v24, v20, s59
	ds_write2st64_b32 v18, v19, v22 offset0:2 offset1:34
	v_xor_b32_e32 v18, 40, v35
	v_perm_b32 v19, v32, v28, s60
	v_perm_b32 v20, v24, v20, s60
	v_add_u32_e32 v18, 0x80, v18
	ds_write2st64_b32 v18, v19, v20 offset0:2 offset1:34
	;; [unrolled: 9-line block ×3, first 2 shown]
	ds_write_b64 v97, v[14:15] offset:16384
	v_xor_b32_e32 v14, 8, v97
	ds_write_b64 v14, v[16:17] offset:16384
	ds_write_b64 v97, v[10:11] offset:24576
	;; [unrolled: 1-line block ×4, first 2 shown]
	v_xor_b32_e32 v6, 8, v96
	ds_write_b64 v6, v[8:9] offset:16384
	ds_write_b64 v96, v[2:3] offset:24576
	;; [unrolled: 1-line block ×3, first 2 shown]
.LBB656_16:                             ;   in Loop: Header=BB656_6 Depth=1
	v_exp_f32_e32 v10, s2
	s_waitcnt vmcnt(1)
	v_exp_f32_e32 v12, v38
	v_exp_f32_e32 v13, v39
	;; [unrolled: 1-line block ×4, first 2 shown]
	v_accvgpr_read_b32 v2, a4
	v_accvgpr_read_b32 v3, a5
	v_pk_mul_f32 v[12:13], v[10:11], v[12:13] op_sel_hi:[0,1]
	v_pk_fma_f32 v[46:47], v[46:47], v[12:13], v[2:3]
	v_exp_f32_e32 v12, v34
	v_exp_f32_e32 v13, v42
	v_pk_mul_f32 v[2:3], v[10:11], v[14:15] op_sel_hi:[0,1]
	v_exp_f32_e32 v14, v43
	v_exp_f32_e32 v15, v44
	v_accvgpr_read_b32 v4, a6
	v_accvgpr_read_b32 v5, a7
	;; [unrolled: 1-line block ×5, first 2 shown]
	v_pk_fma_f32 v[52:53], v[52:53], v[2:3], v[4:5]
	v_pk_mul_f32 v[2:3], v[10:11], v[12:13] op_sel_hi:[0,1]
	v_accvgpr_read_b32 v8, a2
	v_pk_fma_f32 v[50:51], v[50:51], v[2:3], v[6:7]
	v_pk_mul_f32 v[2:3], v[10:11], v[14:15] op_sel_hi:[0,1]
	s_add_i32 s58, s58, 64
	s_cmp_eq_u32 s47, s62
	v_pk_fma_f32 v[48:49], v[48:49], v[2:3], v[8:9]
	s_cbranch_scc1 .LBB656_18
; %bb.17:                               ;   in Loop: Header=BB656_6 Depth=1
	s_mov_b32 s63, s62
	s_branch .LBB656_6
.LBB656_18:
	s_lshl_b32 s40, s47, 6
	s_sub_i32 s41, s12, s40
	s_cmp_gt_i32 s41, 0
	s_cbranch_scc0 .LBB656_75
; %bb.19:
	s_ashr_i32 s35, s48, 31
	s_ashr_i32 s2, s40, 31
	s_cmpk_lg_i32 s15, 0x80
	s_cselect_b64 s[26:27], -1, 0
	s_and_b64 vcc, exec, s[26:27]
	s_cbranch_vccz .LBB656_21
; %bb.20:
	s_mul_i32 s1, s48, s12
	s_mul_hi_i32 s0, s48, s12
	s_add_u32 s1, s1, s40
	s_addc_u32 s0, s0, s2
	s_mul_i32 s3, s1, s49
	s_mul_hi_u32 s20, s1, s14
	s_add_i32 s3, s20, s3
	s_mul_i32 s0, s0, s14
	s_add_i32 s3, s3, s0
	s_mul_i32 s1, s1, s14
	s_ashr_i32 s0, s52, 31
	s_add_u32 s38, s1, s52
	s_addc_u32 s39, s3, s0
	s_cbranch_execz .LBB656_22
	s_branch .LBB656_23
.LBB656_21:
                                        ; implicit-def: $sgpr38_sgpr39
.LBB656_22:
	s_mul_hi_i32 s0, s48, s14
	s_mul_i32 s48, s48, s14
	s_ashr_i32 s1, s52, 31
	s_add_u32 s3, s48, s52
	s_addc_u32 s0, s0, s1
	s_mul_i32 s1, s3, s46
	s_mul_hi_u32 s14, s3, s12
	s_add_i32 s1, s14, s1
	s_mul_i32 s0, s0, s12
	s_add_i32 s1, s1, s0
	s_mul_i32 s3, s3, s12
	s_add_u32 s38, s3, s40
	s_addc_u32 s39, s1, s2
.LBB656_23:
	s_add_i32 s3, s50, s47
	s_ashr_i32 s14, s33, 31
	s_add_u32 s0, s45, s33
	s_addc_u32 s1, s51, s14
	s_mul_i32 s20, s0, s46
	s_mul_hi_u32 s21, s0, s12
	s_add_i32 s20, s21, s20
	s_mul_i32 s1, s1, s12
	s_add_i32 s20, s20, s1
	s_mul_i32 s0, s0, s12
	s_add_u32 s0, s0, s40
	s_addc_u32 s1, s20, s2
	s_mov_b32 s2, 0x7060302
	v_lshlrev_b32_e32 v6, 3, v1
	s_lshl_b64 s[24:25], s[0:1], 8
	v_perm_b32 v3, v53, v52, s2
	v_perm_b32 v2, v47, v46, s2
	;; [unrolled: 1-line block ×4, first 2 shown]
	v_lshlrev_b32_e32 v34, 2, v1
	v_lshl_or_b32 v6, v63, 5, v6
	s_add_u32 s0, s6, s24
	ds_write2st64_b64 v6, v[2:3], v[4:5] offset0:72 offset1:76
	v_xor_b32_e32 v6, v63, v34
	v_lshlrev_b32_e32 v7, 8, v1
	s_addc_u32 s1, s7, s25
	v_lshl_or_b32 v6, v6, 1, v7
	s_mul_hi_i32 s6, s3, s13
	s_mul_i32 s3, s3, s13
	ds_write_b64 v6, v[2:3] offset:32768
	v_xor_b32_e32 v2, v64, v34
	s_add_u32 s2, s3, s33
	v_lshl_or_b32 v2, v2, 1, v7
	s_addc_u32 s3, s6, s14
	v_lshlrev_b32_e32 v3, 1, v1
	ds_write_b64 v2, v[4:5] offset:32768
	v_lshrrev_b32_e32 v2, 4, v0
	s_ashr_i32 s31, s30, 31
	s_lshl_b64 s[2:3], s[2:3], 15
	v_or_b32_e32 v4, 1, v3
	s_add_u32 s6, s36, s2
	v_xor_b32_e32 v3, v2, v3
	v_xor_b32_e32 v4, v4, v2
	v_lshlrev_b32_e32 v6, 8, v2
	s_addc_u32 s7, s37, s3
	s_lshl_b64 s[2:3], s[30:31], 8
	v_lshl_or_b32 v2, v3, 3, v6
	v_lshl_or_b32 v4, v4, 3, v6
	s_waitcnt lgkmcnt(0)
	s_barrier
	s_add_u32 s2, s6, s2
	ds_read_b64 v[2:3], v2 offset:32768
	ds_read_b64 v[4:5], v4 offset:32768
	s_addc_u32 s3, s7, s3
	v_mov_b32_e32 v7, 0
	s_cmp_lg_u32 s41, 64
	v_lshl_add_u64 v[8:9], s[2:3], 0, v[6:7]
	v_lshlrev_b32_e32 v6, 4, v1
	s_cselect_b64 s[6:7], -1, 0
	v_lshl_or_b32 v35, v59, 3, v62
	s_mov_b32 s20, 0
	v_lshl_add_u64 v[6:7], v[8:9], 0, v[6:7]
	v_or_b32_e32 v19, 32, v35
	v_and_b32_e32 v18, 56, v61
	s_and_b64 vcc, exec, s[6:7]
	s_waitcnt lgkmcnt(0)
	global_store_dwordx4 v[6:7], v[2:5], off
	s_cbranch_vccz .LBB656_29
; %bb.24:
	s_mov_b32 s21, s20
	s_mov_b32 s22, s20
	;; [unrolled: 1-line block ×3, first 2 shown]
	v_mov_b64_e32 v[6:7], s[20:21]
	v_mov_b64_e32 v[8:9], s[22:23]
	;; [unrolled: 1-line block ×3, first 2 shown]
	v_cmp_gt_i32_e32 vcc, s41, v35
	v_mov_b64_e32 v[4:5], v[8:9]
	s_and_saveexec_b64 s[2:3], vcc
	s_cbranch_execz .LBB656_26
; %bb.25:
	v_lshlrev_b32_e32 v2, 8, v35
	v_mov_b32_e32 v3, 0
	v_lshl_add_u64 v[4:5], s[0:1], 0, v[2:3]
	v_lshlrev_b32_e32 v2, 1, v18
	v_lshl_add_u64 v[10:11], v[4:5], 0, v[2:3]
	global_load_dwordx4 v[6:9], v[10:11], off
	global_load_dwordx4 v[2:5], v[10:11], off offset:128
.LBB656_26:
	s_or_b64 exec, exec, s[2:3]
	s_mov_b32 s21, s20
	s_mov_b32 s22, s20
	;; [unrolled: 1-line block ×3, first 2 shown]
	v_mov_b64_e32 v[14:15], s[20:21]
	v_mov_b64_e32 v[16:17], s[22:23]
	;; [unrolled: 1-line block ×3, first 2 shown]
	v_cmp_gt_i32_e32 vcc, s41, v19
	v_lshlrev_b32_e32 v20, 7, v19
	v_mov_b64_e32 v[12:13], v[16:17]
	s_and_saveexec_b64 s[2:3], vcc
	s_cbranch_execz .LBB656_28
; %bb.27:
	v_lshlrev_b32_e32 v10, 1, v20
	v_mov_b32_e32 v11, 0
	v_lshl_add_u64 v[12:13], s[0:1], 0, v[10:11]
	v_lshlrev_b32_e32 v10, 1, v18
	v_lshl_add_u64 v[22:23], v[12:13], 0, v[10:11]
	global_load_dwordx4 v[14:17], v[22:23], off
	global_load_dwordx4 v[10:13], v[22:23], off offset:128
.LBB656_28:
	s_or_b64 exec, exec, s[2:3]
	v_lshrrev_b32_e32 v21, 3, v18
	v_lshlrev_b32_e32 v22, 3, v35
	v_or_b32_e32 v21, v22, v21
	v_lshlrev_b32_e32 v21, 4, v21
	v_and_b32_e32 v22, 0x78, v22
	v_xor_b32_e32 v21, v21, v22
	s_branch .LBB656_31
.LBB656_29:
                                        ; implicit-def: $vgpr21
                                        ; implicit-def: $vgpr20
                                        ; implicit-def: $vgpr6_vgpr7_vgpr8_vgpr9
                                        ; implicit-def: $vgpr2_vgpr3_vgpr4_vgpr5
                                        ; implicit-def: $vgpr14_vgpr15_vgpr16_vgpr17
                                        ; implicit-def: $vgpr10_vgpr11_vgpr12_vgpr13
	s_cbranch_execz .LBB656_31
; %bb.30:
	s_waitcnt vmcnt(0)
	v_lshlrev_b32_e32 v2, 1, v18
	v_lshl_or_b32 v20, v35, 8, v2
	s_and_b32 s1, s1, 0xffff
	s_mov_b32 s3, 0x20000
	s_movk_i32 s2, 0x4000
	v_lshl_or_b32 v21, v19, 8, v2
	s_movk_i32 s13, 0x80
	buffer_load_dwordx4 v[6:9], v20, s[0:3], 0 offen
	buffer_load_dwordx4 v[2:5], v20, s[0:3], s13 offen
	buffer_load_dwordx4 v[14:17], v21, s[0:3], 0 offen
	buffer_load_dwordx4 v[10:13], v21, s[0:3], s13 offen
	v_lshrrev_b32_e32 v20, 3, v18
	v_lshlrev_b32_e32 v21, 3, v35
	v_or_b32_e32 v20, v21, v20
	v_lshlrev_b32_e32 v20, 4, v20
	v_and_b32_e32 v21, 0x78, v21
	v_xor_b32_e32 v21, v20, v21
	v_lshlrev_b32_e32 v20, 7, v19
.LBB656_31:
	s_lshl_b64 s[0:1], s[38:39], 8
	s_add_u32 s4, s4, s0
	s_movk_i32 s0, 0x1000
	v_and_or_b32 v19, v20, s0, v21
	s_waitcnt vmcnt(1)
	ds_write_b64 v21, v[6:7] offset:16384
	v_xor_b32_e32 v6, 8, v21
	s_addc_u32 s5, s5, s1
	ds_write_b64 v6, v[8:9] offset:16384
	s_waitcnt vmcnt(0)
	ds_write_b64 v21, v[2:3] offset:24576
	ds_write_b64 v6, v[4:5] offset:24576
	;; [unrolled: 1-line block ×3, first 2 shown]
	v_xor_b32_e32 v2, 8, v19
	s_add_i32 s0, s44, s17
	s_mul_i32 s35, s35, s16
	ds_write_b64 v2, v[16:17] offset:16384
	ds_write_b64 v19, v[10:11] offset:24576
	;; [unrolled: 1-line block ×3, first 2 shown]
	s_add_i32 s35, s0, s35
	s_mul_i32 s0, s33, s19
	s_mul_hi_u32 s1, s33, s18
	v_or_b32_e32 v2, v45, v1
	s_add_i32 s0, s1, s0
	s_mul_i32 s1, s14, s18
	v_lshlrev_b32_e32 v2, 3, v2
	v_lshrrev_b32_e32 v4, 5, v58
	s_movk_i32 s14, 0xf8
	v_and_or_b32 v4, v2, s14, v4
	v_lshlrev_b32_e32 v3, 11, v59
	v_lshlrev_b32_e32 v12, 4, v4
	v_and_b32_e32 v13, 0x78, v2
	v_and_b32_e32 v14, 0x1000, v3
	v_lshlrev_b32_e32 v3, 2, v0
	v_xor_b32_e32 v2, v12, v13
	v_lshrrev_b32_e32 v4, 1, v58
	v_and_b32_e32 v3, 60, v3
	v_or_b32_e32 v2, v2, v14
	v_and_b32_e32 v15, 8, v4
	v_xor_b32_e32 v26, v2, v15
	v_lshl_or_b32 v2, v60, 6, v3
	v_lshlrev_b32_e32 v19, 1, v2
	v_or_b32_e32 v2, 32, v12
	v_xor_b32_e32 v2, v2, v13
	s_waitcnt lgkmcnt(0)
	s_barrier
	ds_read_b64 v[10:11], v26 offset:16384
	v_or_b32_e32 v2, v2, v14
	v_xor_b32_e32 v27, v2, v15
	v_or_b32_e32 v2, 64, v12
	v_xor_b32_e32 v2, v2, v13
	v_or_b32_e32 v2, v2, v14
	v_or_b32_e32 v12, 0x60, v12
	v_xor_b32_e32 v28, v2, v15
	ds_read2st64_b64 v[2:5], v19 offset0:72 offset1:73
	ds_read2st64_b64 v[6:9], v19 offset0:74 offset1:75
	v_xor_b32_e32 v16, v12, v13
	ds_read_b64 v[12:13], v27 offset:16384
	s_waitcnt lgkmcnt(2)
	v_mfma_f32_16x16x16_bf16 a[0:3], v[10:11], v[2:3], 0
	s_add_i32 s2, s12, -1
	s_ashr_i32 s3, s2, 31
	s_mul_i32 s12, s2, s29
	s_mul_hi_u32 s13, s2, s28
	s_add_i32 s12, s13, s12
	s_mul_i32 s3, s3, s28
	v_or_b32_e32 v14, v16, v14
	s_add_i32 s1, s0, s1
	s_add_i32 s3, s12, s3
	s_lshl_b64 s[12:13], s[34:35], 2
	v_xor_b32_e32 v36, v14, v15
	ds_read_b64 v[14:15], v28 offset:16384
	ds_read_b64 v[16:17], v36 offset:16384
	s_waitcnt lgkmcnt(2)
	v_mfma_f32_16x16x16_bf16 a[0:3], v[12:13], v[4:5], a[0:3]
	s_mul_i32 s0, s33, s18
	s_add_u32 s10, s10, s12
	s_addc_u32 s11, s11, s13
	s_lshl_b64 s[0:1], s[0:1], 2
	s_mul_i32 s2, s2, s28
	s_add_u32 s10, s10, s0
	s_addc_u32 s11, s11, s1
	s_lshl_b64 s[0:1], s[2:3], 2
	s_waitcnt lgkmcnt(1)
	v_mfma_f32_16x16x16_bf16 a[0:3], v[14:15], v[6:7], a[0:3]
	s_add_u32 s0, s10, s0
	s_addc_u32 s1, s11, s1
	s_load_dword s12, s[0:1], 0x0
	s_waitcnt lgkmcnt(0)
	v_mfma_f32_16x16x16_bf16 a[0:3], v[16:17], v[8:9], a[0:3]
	s_and_b64 vcc, exec, s[26:27]
	s_cbranch_vccz .LBB656_42
; %bb.32:
	v_lshlrev_b32_e32 v20, 1, v35
	s_and_b64 vcc, exec, s[6:7]
	s_cbranch_vccz .LBB656_43
; %bb.33:
	v_cmp_gt_i32_e32 vcc, s41, v20
	v_mov_b32_e32 v6, 0
	v_mov_b32_e32 v2, 0
	v_mov_b32_e32 v3, 0
	v_mov_b32_e32 v4, 0
	v_mov_b32_e32 v5, 0
	s_and_saveexec_b64 s[0:1], vcc
	s_cbranch_execz .LBB656_35
; %bb.34:
	v_mad_i64_i32 v[2:3], s[2:3], s15, v20, 0
	v_lshl_add_u64 v[2:3], v[2:3], 1, s[4:5]
	v_lshlrev_b32_e32 v4, 1, v18
	v_mov_b32_e32 v5, 0
	v_lshl_add_u64 v[2:3], v[2:3], 0, v[4:5]
	global_load_dwordx4 v[2:5], v[2:3], off
.LBB656_35:
	s_or_b64 exec, exec, s[0:1]
	v_or_b32_e32 v21, 1, v20
	v_cmp_gt_i32_e64 s[0:1], s41, v21
	v_mov_b32_e32 v7, 0
	v_mov_b32_e32 v8, 0
	;; [unrolled: 1-line block ×3, first 2 shown]
	s_and_saveexec_b64 s[2:3], s[0:1]
	s_cbranch_execz .LBB656_37
; %bb.36:
	v_mad_i64_i32 v[6:7], s[16:17], s15, v21, 0
	v_lshl_add_u64 v[6:7], v[6:7], 1, s[4:5]
	v_lshlrev_b32_e32 v8, 1, v18
	v_mov_b32_e32 v9, 0
	v_lshl_add_u64 v[6:7], v[6:7], 0, v[8:9]
	global_load_dwordx4 v[6:9], v[6:7], off
.LBB656_37:
	s_or_b64 exec, exec, s[2:3]
	v_mov_b32_e32 v17, 0
	v_mov_b32_e32 v10, 0
	;; [unrolled: 1-line block ×5, first 2 shown]
	s_and_saveexec_b64 s[2:3], vcc
	s_cbranch_execz .LBB656_39
; %bb.38:
	v_mad_i64_i32 v[10:11], s[16:17], s15, v20, 0
	v_lshl_add_u64 v[10:11], v[10:11], 1, s[4:5]
	v_lshlrev_b32_e32 v12, 1, v18
	v_mov_b32_e32 v13, 0
	v_lshl_add_u64 v[10:11], v[10:11], 0, v[12:13]
	global_load_dwordx4 v[10:13], v[10:11], off offset:128
.LBB656_39:
	s_or_b64 exec, exec, s[2:3]
	v_mov_b32_e32 v16, 0
	v_mov_b32_e32 v15, 0
	;; [unrolled: 1-line block ×3, first 2 shown]
	s_and_saveexec_b64 s[2:3], s[0:1]
	s_cbranch_execz .LBB656_41
; %bb.40:
	v_mad_i64_i32 v[14:15], s[0:1], s15, v21, 0
	v_lshl_add_u64 v[14:15], v[14:15], 1, s[4:5]
	v_lshlrev_b32_e32 v16, 1, v18
	v_mov_b32_e32 v17, 0
	v_lshl_add_u64 v[14:15], v[14:15], 0, v[16:17]
	global_load_dwordx4 v[14:17], v[14:15], off offset:128
.LBB656_41:
	s_or_b64 exec, exec, s[2:3]
	s_branch .LBB656_45
.LBB656_42:
                                        ; implicit-def: $vgpr5
                                        ; implicit-def: $vgpr9
                                        ; implicit-def: $vgpr13
                                        ; implicit-def: $vgpr17
	v_lshrrev_b32_e32 v37, 2, v58
	s_branch .LBB656_46
.LBB656_43:
                                        ; implicit-def: $vgpr5
                                        ; implicit-def: $vgpr9
                                        ; implicit-def: $vgpr13
                                        ; implicit-def: $vgpr17
	s_cbranch_execz .LBB656_45
; %bb.44:
	s_waitcnt vmcnt(0)
	v_mad_u64_u32 v[2:3], s[0:1], v20, s15, v[18:19]
	v_lshlrev_b32_e32 v20, 1, v2
	s_lshl_b32 s2, s15, 7
	s_and_b32 s1, s5, 0xffff
	s_mov_b32 s3, 0x20000
	s_mov_b32 s0, s4
	v_add_lshl_u32 v21, v2, s15, 1
	s_movk_i32 s13, 0x80
	buffer_load_dwordx4 v[2:5], v20, s[0:3], 0 offen
	buffer_load_dwordx4 v[10:13], v20, s[0:3], s13 offen
	;; [unrolled: 1-line block ×4, first 2 shown]
.LBB656_45:
	v_lshrrev_b32_e32 v37, 2, v58
	s_cbranch_execnz .LBB656_58
.LBB656_46:
	s_and_b64 vcc, exec, s[6:7]
	s_cbranch_vccz .LBB656_56
; %bb.47:
	s_waitcnt vmcnt(0)
	v_lshlrev_b32_e32 v7, 1, v35
	v_cmp_gt_i32_e32 vcc, s41, v7
	v_mov_b32_e32 v6, 0
	v_lshlrev_b32_e32 v14, 9, v35
	v_mov_b32_e32 v2, 0
	v_mov_b32_e32 v3, 0
	;; [unrolled: 1-line block ×4, first 2 shown]
	s_and_saveexec_b64 s[0:1], vcc
	s_cbranch_execz .LBB656_49
; %bb.48:
	v_mov_b32_e32 v15, 0
	v_lshl_add_u64 v[2:3], s[4:5], 0, v[14:15]
	v_lshlrev_b32_e32 v4, 1, v18
	v_mov_b32_e32 v5, v15
	v_lshl_add_u64 v[2:3], v[2:3], 0, v[4:5]
	global_load_dwordx4 v[2:5], v[2:3], off
.LBB656_49:
	s_or_b64 exec, exec, s[0:1]
	v_or_b32_e32 v7, 1, v7
	v_cmp_gt_i32_e64 s[0:1], s41, v7
	v_lshlrev_b32_e32 v20, 8, v7
	v_mov_b32_e32 v7, 0
	v_mov_b32_e32 v8, 0
	;; [unrolled: 1-line block ×3, first 2 shown]
	s_and_saveexec_b64 s[2:3], s[0:1]
	s_cbranch_execz .LBB656_51
; %bb.50:
	v_mov_b32_e32 v21, 0
	v_lshl_add_u64 v[6:7], s[4:5], 0, v[20:21]
	v_lshlrev_b32_e32 v8, 1, v18
	v_mov_b32_e32 v9, v21
	v_lshl_add_u64 v[6:7], v[6:7], 0, v[8:9]
	global_load_dwordx4 v[6:9], v[6:7], off
.LBB656_51:
	s_or_b64 exec, exec, s[2:3]
	v_mov_b32_e32 v17, 0
	v_mov_b32_e32 v10, 0
	;; [unrolled: 1-line block ×5, first 2 shown]
	s_and_saveexec_b64 s[2:3], vcc
	s_cbranch_execz .LBB656_53
; %bb.52:
	v_mov_b32_e32 v15, 0
	v_lshl_add_u64 v[10:11], s[4:5], 0, v[14:15]
	v_lshlrev_b32_e32 v14, 1, v18
	v_lshl_add_u64 v[10:11], v[10:11], 0, v[14:15]
	global_load_dwordx4 v[10:13], v[10:11], off offset:128
.LBB656_53:
	s_or_b64 exec, exec, s[2:3]
	v_mov_b32_e32 v16, 0
	v_mov_b32_e32 v15, 0
	;; [unrolled: 1-line block ×3, first 2 shown]
	s_and_saveexec_b64 s[2:3], s[0:1]
	s_cbranch_execz .LBB656_55
; %bb.54:
	v_mov_b32_e32 v21, 0
	v_lshl_add_u64 v[14:15], s[4:5], 0, v[20:21]
	v_lshlrev_b32_e32 v20, 1, v18
	v_lshl_add_u64 v[14:15], v[14:15], 0, v[20:21]
	global_load_dwordx4 v[14:17], v[14:15], off offset:128
.LBB656_55:
	s_or_b64 exec, exec, s[2:3]
	s_branch .LBB656_58
.LBB656_56:
                                        ; implicit-def: $vgpr5
                                        ; implicit-def: $vgpr9
                                        ; implicit-def: $vgpr13
                                        ; implicit-def: $vgpr17
	s_cbranch_execz .LBB656_58
; %bb.57:
	s_waitcnt vmcnt(0)
	v_lshlrev_b32_e32 v2, 1, v18
	v_lshl_or_b32 v18, v35, 9, v2
	s_and_b32 s5, s5, 0xffff
	s_mov_b32 s7, 0x20000
	s_movk_i32 s6, 0x4000
	s_movk_i32 s0, 0x80
	buffer_load_dwordx4 v[2:5], v18, s[4:7], 0 offen
	buffer_load_dwordx4 v[6:9], v18, s[4:7], 0 offen offset:256
	buffer_load_dwordx4 v[10:13], v18, s[4:7], s0 offen
	buffer_load_dwordx4 v[14:17], v18, s[4:7], s0 offen offset:256
.LBB656_58:
	ds_read2st64_b64 v[22:25], v19 offset0:76 offset1:77
	ds_read2st64_b64 v[18:21], v19 offset0:78 offset1:79
	ds_read_b64 v[30:31], v26 offset:24576
	ds_read_b64 v[32:33], v27 offset:24576
	;; [unrolled: 1-line block ×4, first 2 shown]
	v_and_b32_e32 v36, 6, v0
	v_xor_b32_e32 v35, v35, v36
	v_lshlrev_b32_e32 v35, 2, v35
	v_and_b32_e32 v0, 1, v0
	v_xor_b32_e32 v38, 0x440, v35
	v_cmp_eq_u32_e32 vcc, 0, v0
	s_mov_b32 s0, 0x1000504
	s_mov_b32 s1, 0x3020706
	v_cndmask_b32_e32 v0, v38, v35, vcc
	v_lshl_or_b32 v0, v36, 10, v0
	s_waitcnt vmcnt(0)
	v_perm_b32 v35, v2, v6, s0
	v_perm_b32 v36, v10, v14, s0
	ds_write2st64_b32 v0, v35, v36 offset1:32
	v_xor_b32_e32 v35, 8, v0
	v_perm_b32 v2, v2, v6, s1
	v_perm_b32 v6, v10, v14, s1
	v_add_u32_e32 v10, 0x80, v35
	ds_write2st64_b32 v10, v2, v6 offset1:32
	v_xor_b32_e32 v2, 16, v0
	v_perm_b32 v6, v3, v7, s0
	v_perm_b32 v10, v11, v15, s0
	ds_write2st64_b32 v2, v6, v10 offset0:1 offset1:33
	v_xor_b32_e32 v2, 24, v0
	v_perm_b32 v3, v3, v7, s1
	v_perm_b32 v6, v11, v15, s1
	v_add_u32_e32 v2, 0x80, v2
	ds_write2st64_b32 v2, v3, v6 offset0:1 offset1:33
	v_xor_b32_e32 v2, 32, v0
	v_perm_b32 v3, v4, v8, s0
	v_perm_b32 v6, v12, v16, s0
	ds_write2st64_b32 v2, v3, v6 offset0:2 offset1:34
	v_xor_b32_e32 v2, 40, v0
	v_perm_b32 v3, v4, v8, s1
	v_perm_b32 v4, v12, v16, s1
	v_add_u32_e32 v2, 0x80, v2
	ds_write2st64_b32 v2, v3, v4 offset0:2 offset1:34
	v_xor_b32_e32 v2, 48, v0
	v_perm_b32 v3, v5, v9, s0
	v_perm_b32 v4, v13, v17, s0
	v_xor_b32_e32 v0, 56, v0
	v_and_or_b32 v6, v37, 12, v45
	ds_write2st64_b32 v2, v3, v4 offset0:3 offset1:35
	v_perm_b32 v2, v5, v9, s1
	v_perm_b32 v3, v13, v17, s1
	v_add_u32_e32 v0, 0x80, v0
	v_cmp_gt_i32_e32 vcc, s41, v6
	v_mov_b32_e32 v7, 0
	v_mov_b32_e32 v11, 0
	ds_write2st64_b32 v0, v2, v3 offset0:3 offset1:35
	s_and_saveexec_b64 s[0:1], vcc
	s_cbranch_execz .LBB656_60
; %bb.59:
	v_add_u32_e32 v0, s40, v6
	v_ashrrev_i32_e32 v2, 31, v0
	v_mul_lo_u32 v4, v2, s28
	v_mul_lo_u32 v5, v0, s29
	v_mad_u64_u32 v[2:3], s[2:3], v0, s28, 0
	v_add3_u32 v3, v3, v5, v4
	v_lshl_add_u64 v[2:3], v[2:3], 2, s[10:11]
	global_load_dword v0, v[2:3], off
	s_waitcnt vmcnt(0)
	v_sub_f32_e32 v0, s12, v0
	v_exp_f32_e32 v11, v0
.LBB656_60:
	s_or_b64 exec, exec, s[0:1]
	v_or_b32_e32 v9, 1, v6
	v_cmp_gt_i32_e64 s[0:1], s41, v9
	s_and_saveexec_b64 s[2:3], s[0:1]
	s_cbranch_execz .LBB656_62
; %bb.61:
	v_add_u32_e32 v0, s40, v9
	v_ashrrev_i32_e32 v2, 31, v0
	v_mul_lo_u32 v4, v2, s28
	v_mul_lo_u32 v5, v0, s29
	v_mad_u64_u32 v[2:3], s[4:5], v0, s28, 0
	v_add3_u32 v3, v3, v5, v4
	v_lshl_add_u64 v[2:3], v[2:3], 2, s[10:11]
	global_load_dword v0, v[2:3], off
	s_waitcnt vmcnt(0)
	v_sub_f32_e32 v0, s12, v0
	v_exp_f32_e32 v7, v0
.LBB656_62:
	s_or_b64 exec, exec, s[2:3]
	v_or_b32_e32 v10, 2, v6
	v_cmp_gt_i32_e64 s[2:3], s41, v10
	v_mov_b32_e32 v8, 0
	v_mov_b32_e32 v13, 0
	s_and_saveexec_b64 s[4:5], s[2:3]
	s_cbranch_execz .LBB656_64
; %bb.63:
	v_add_u32_e32 v0, s40, v10
	v_ashrrev_i32_e32 v2, 31, v0
	v_mul_lo_u32 v4, v2, s28
	v_mul_lo_u32 v5, v0, s29
	v_mad_u64_u32 v[2:3], s[6:7], v0, s28, 0
	v_add3_u32 v3, v3, v5, v4
	v_lshl_add_u64 v[2:3], v[2:3], 2, s[10:11]
	global_load_dword v0, v[2:3], off
	s_waitcnt vmcnt(0)
	v_sub_f32_e32 v0, s12, v0
	v_exp_f32_e32 v13, v0
.LBB656_64:
	s_or_b64 exec, exec, s[4:5]
	v_or_b32_e32 v12, 3, v6
	v_cmp_gt_i32_e64 s[4:5], s41, v12
	s_and_saveexec_b64 s[6:7], s[4:5]
	s_cbranch_execz .LBB656_66
; %bb.65:
	v_add_u32_e32 v0, s40, v12
	v_ashrrev_i32_e32 v2, 31, v0
	v_mul_lo_u32 v4, v2, s28
	v_mul_lo_u32 v5, v0, s29
	v_mad_u64_u32 v[2:3], s[14:15], v0, s28, 0
	v_add3_u32 v3, v3, v5, v4
	v_lshl_add_u64 v[2:3], v[2:3], 2, s[10:11]
	global_load_dword v0, v[2:3], off
	s_waitcnt vmcnt(0)
	v_sub_f32_e32 v0, s12, v0
	v_exp_f32_e32 v8, v0
.LBB656_66:
	s_or_b64 exec, exec, s[6:7]
	s_waitcnt lgkmcnt(11)
	v_mfma_f32_16x16x16_bf16 a[0:3], v[30:31], v[22:23], a[0:3]
	v_or_b32_e32 v0, s30, v1
	s_add_u32 s6, s8, s24
	s_addc_u32 s7, s9, s25
	s_waitcnt lgkmcnt(10)
	v_mfma_f32_16x16x16_bf16 a[0:3], v[32:33], v[24:25], a[0:3]
	v_ashrrev_i32_e32 v1, 31, v0
	v_lshl_add_u64 v[4:5], v[0:1], 1, s[6:7]
	v_mov_b32_e32 v14, 0
	s_waitcnt lgkmcnt(9)
	v_mfma_f32_16x16x16_bf16 a[0:3], v[28:29], v[18:19], a[0:3]
	v_mov_b32_e32 v15, 0
	s_waitcnt lgkmcnt(8)
	v_mfma_f32_16x16x16_bf16 a[0:3], v[26:27], v[20:21], a[0:3]
	s_nop 6
	v_accvgpr_read_b32 v0, a0
	v_accvgpr_read_b32 v1, a1
	;; [unrolled: 1-line block ×4, first 2 shown]
	s_and_saveexec_b64 s[6:7], vcc
	s_cbranch_execz .LBB656_68
; %bb.67:
	v_lshlrev_b32_e32 v16, 8, v6
	v_mov_b32_e32 v17, 0
	v_lshl_add_u64 v[16:17], v[4:5], 0, v[16:17]
	global_load_ushort v15, v[16:17], off
	s_waitcnt vmcnt(0)
	v_lshlrev_b32_e32 v15, 16, v15
	v_sub_f32_e32 v0, v15, v0
	v_mul_f32_e32 v0, v11, v0
	v_lshrrev_b32_e32 v15, 16, v0
.LBB656_68:
	s_or_b64 exec, exec, s[6:7]
	s_and_saveexec_b64 s[6:7], s[0:1]
	s_cbranch_execz .LBB656_70
; %bb.69:
	v_lshlrev_b32_e32 v16, 8, v9
	v_mov_b32_e32 v17, 0
	v_lshl_add_u64 v[16:17], v[4:5], 0, v[16:17]
	global_load_ushort v0, v[16:17], off
	s_waitcnt vmcnt(0)
	v_lshlrev_b32_e32 v0, 16, v0
	v_sub_f32_e32 v0, v0, v1
	v_mul_f32_e32 v0, v7, v0
	v_lshrrev_b32_e32 v14, 16, v0
.LBB656_70:
	s_or_b64 exec, exec, s[6:7]
	v_mov_b32_e32 v0, 0
	v_mov_b32_e32 v1, 0
	s_and_saveexec_b64 s[0:1], s[2:3]
	s_cbranch_execz .LBB656_72
; %bb.71:
	v_lshlrev_b32_e32 v10, 8, v10
	v_mov_b32_e32 v11, 0
	v_lshl_add_u64 v[10:11], v[4:5], 0, v[10:11]
	global_load_ushort v1, v[10:11], off
	s_waitcnt vmcnt(0)
	v_lshlrev_b32_e32 v1, 16, v1
	v_sub_f32_e32 v1, v1, v2
	v_mul_f32_e32 v1, v13, v1
	v_lshrrev_b32_e32 v1, 16, v1
.LBB656_72:
	s_or_b64 exec, exec, s[0:1]
	s_and_saveexec_b64 s[0:1], s[4:5]
	s_cbranch_execz .LBB656_74
; %bb.73:
	v_lshlrev_b32_e32 v10, 8, v12
	v_mov_b32_e32 v11, 0
	v_lshl_add_u64 v[4:5], v[4:5], 0, v[10:11]
	global_load_ushort v0, v[4:5], off
	s_waitcnt vmcnt(0)
	v_lshlrev_b32_e32 v0, 16, v0
	v_sub_f32_e32 v0, v0, v3
	v_mul_f32_e32 v0, v8, v0
	v_lshrrev_b32_e32 v0, 16, v0
.LBB656_74:
	s_or_b64 exec, exec, s[0:1]
	s_mov_b32 s0, 0x5040100
	v_lshlrev_b32_e32 v2, 1, v34
	v_perm_b32 v1, v0, v1, s0
	v_perm_b32 v0, v14, v15, s0
	v_lshl_or_b32 v2, v6, 5, v2
	ds_write_b64 v2, v[0:1] offset:38912
	s_waitcnt lgkmcnt(0)
	s_barrier
.LBB656_75:
	s_endpgm
	.section	.rodata,"a",@progbits
	.p2align	6, 0x0
	.amdhsa_kernel _ZN12_GLOBAL__N_139chunk_gated_delta_rule_fwd_h_hip_kernelILi16ELb0ELb0ELb0ELb0ELb1ELb1ELb1ELb0EEEvPK12hip_bfloat16S3_S3_PKfS5_PKvPS1_S8_PvPKiSB_iiiiilll
		.amdhsa_group_segment_fixed_size 40960
		.amdhsa_private_segment_fixed_size 0
		.amdhsa_kernarg_size 136
		.amdhsa_user_sgpr_count 2
		.amdhsa_user_sgpr_dispatch_ptr 0
		.amdhsa_user_sgpr_queue_ptr 0
		.amdhsa_user_sgpr_kernarg_segment_ptr 1
		.amdhsa_user_sgpr_dispatch_id 0
		.amdhsa_user_sgpr_kernarg_preload_length 0
		.amdhsa_user_sgpr_kernarg_preload_offset 0
		.amdhsa_user_sgpr_private_segment_size 0
		.amdhsa_uses_dynamic_stack 0
		.amdhsa_enable_private_segment 0
		.amdhsa_system_sgpr_workgroup_id_x 1
		.amdhsa_system_sgpr_workgroup_id_y 1
		.amdhsa_system_sgpr_workgroup_id_z 0
		.amdhsa_system_sgpr_workgroup_info 0
		.amdhsa_system_vgpr_workitem_id 0
		.amdhsa_next_free_vgpr 124
		.amdhsa_next_free_sgpr 64
		.amdhsa_accum_offset 112
		.amdhsa_reserve_vcc 1
		.amdhsa_float_round_mode_32 0
		.amdhsa_float_round_mode_16_64 0
		.amdhsa_float_denorm_mode_32 3
		.amdhsa_float_denorm_mode_16_64 3
		.amdhsa_dx10_clamp 1
		.amdhsa_ieee_mode 1
		.amdhsa_fp16_overflow 0
		.amdhsa_tg_split 0
		.amdhsa_exception_fp_ieee_invalid_op 0
		.amdhsa_exception_fp_denorm_src 0
		.amdhsa_exception_fp_ieee_div_zero 0
		.amdhsa_exception_fp_ieee_overflow 0
		.amdhsa_exception_fp_ieee_underflow 0
		.amdhsa_exception_fp_ieee_inexact 0
		.amdhsa_exception_int_div_zero 0
	.end_amdhsa_kernel
	.section	.text._ZN12_GLOBAL__N_139chunk_gated_delta_rule_fwd_h_hip_kernelILi16ELb0ELb0ELb0ELb0ELb1ELb1ELb1ELb0EEEvPK12hip_bfloat16S3_S3_PKfS5_PKvPS1_S8_PvPKiSB_iiiiilll,"axG",@progbits,_ZN12_GLOBAL__N_139chunk_gated_delta_rule_fwd_h_hip_kernelILi16ELb0ELb0ELb0ELb0ELb1ELb1ELb1ELb0EEEvPK12hip_bfloat16S3_S3_PKfS5_PKvPS1_S8_PvPKiSB_iiiiilll,comdat
.Lfunc_end656:
	.size	_ZN12_GLOBAL__N_139chunk_gated_delta_rule_fwd_h_hip_kernelILi16ELb0ELb0ELb0ELb0ELb1ELb1ELb1ELb0EEEvPK12hip_bfloat16S3_S3_PKfS5_PKvPS1_S8_PvPKiSB_iiiiilll, .Lfunc_end656-_ZN12_GLOBAL__N_139chunk_gated_delta_rule_fwd_h_hip_kernelILi16ELb0ELb0ELb0ELb0ELb1ELb1ELb1ELb0EEEvPK12hip_bfloat16S3_S3_PKfS5_PKvPS1_S8_PvPKiSB_iiiiilll
                                        ; -- End function
	.section	.AMDGPU.csdata,"",@progbits
; Kernel info:
; codeLenInByte = 7320
; NumSgprs: 70
; NumVgprs: 112
; NumAgprs: 12
; TotalNumVgprs: 124
; ScratchSize: 0
; MemoryBound: 0
; FloatMode: 240
; IeeeMode: 1
; LDSByteSize: 40960 bytes/workgroup (compile time only)
; SGPRBlocks: 8
; VGPRBlocks: 15
; NumSGPRsForWavesPerEU: 70
; NumVGPRsForWavesPerEU: 124
; AccumOffset: 112
; Occupancy: 1
; WaveLimiterHint : 1
; COMPUTE_PGM_RSRC2:SCRATCH_EN: 0
; COMPUTE_PGM_RSRC2:USER_SGPR: 2
; COMPUTE_PGM_RSRC2:TRAP_HANDLER: 0
; COMPUTE_PGM_RSRC2:TGID_X_EN: 1
; COMPUTE_PGM_RSRC2:TGID_Y_EN: 1
; COMPUTE_PGM_RSRC2:TGID_Z_EN: 0
; COMPUTE_PGM_RSRC2:TIDIG_COMP_CNT: 0
; COMPUTE_PGM_RSRC3_GFX90A:ACCUM_OFFSET: 27
; COMPUTE_PGM_RSRC3_GFX90A:TG_SPLIT: 0
	.section	.text._ZN12_GLOBAL__N_139chunk_gated_delta_rule_fwd_h_hip_kernelILi16ELb1ELb1ELb1ELb1ELb1ELb1ELb0ELb0EEEvPK12hip_bfloat16S3_S3_PKfS5_PKvPS1_S8_PvPKiSB_iiiiilll,"axG",@progbits,_ZN12_GLOBAL__N_139chunk_gated_delta_rule_fwd_h_hip_kernelILi16ELb1ELb1ELb1ELb1ELb1ELb1ELb0ELb0EEEvPK12hip_bfloat16S3_S3_PKfS5_PKvPS1_S8_PvPKiSB_iiiiilll,comdat
	.globl	_ZN12_GLOBAL__N_139chunk_gated_delta_rule_fwd_h_hip_kernelILi16ELb1ELb1ELb1ELb1ELb1ELb1ELb0ELb0EEEvPK12hip_bfloat16S3_S3_PKfS5_PKvPS1_S8_PvPKiSB_iiiiilll ; -- Begin function _ZN12_GLOBAL__N_139chunk_gated_delta_rule_fwd_h_hip_kernelILi16ELb1ELb1ELb1ELb1ELb1ELb1ELb0ELb0EEEvPK12hip_bfloat16S3_S3_PKfS5_PKvPS1_S8_PvPKiSB_iiiiilll
	.p2align	8
	.type	_ZN12_GLOBAL__N_139chunk_gated_delta_rule_fwd_h_hip_kernelILi16ELb1ELb1ELb1ELb1ELb1ELb1ELb0ELb0EEEvPK12hip_bfloat16S3_S3_PKfS5_PKvPS1_S8_PvPKiSB_iiiiilll,@function
_ZN12_GLOBAL__N_139chunk_gated_delta_rule_fwd_h_hip_kernelILi16ELb1ELb1ELb1ELb1ELb1ELb1ELb0ELb0EEEvPK12hip_bfloat16S3_S3_PKfS5_PKvPS1_S8_PvPKiSB_iiiiilll: ; @_ZN12_GLOBAL__N_139chunk_gated_delta_rule_fwd_h_hip_kernelILi16ELb1ELb1ELb1ELb1ELb1ELb1ELb0ELb0EEEvPK12hip_bfloat16S3_S3_PKfS5_PKvPS1_S8_PvPKiSB_iiiiilll
; %bb.0:
	s_load_dwordx4 s[28:31], s[0:1], 0x5c
	s_load_dwordx4 s[4:7], s[0:1], 0x70
	s_abs_i32 s11, s3
	s_ashr_i32 s10, s3, 31
	s_load_dwordx4 s[24:27], s[0:1], 0x40
	s_load_dwordx2 s[8:9], s[0:1], 0x50
	s_waitcnt lgkmcnt(0)
	s_abs_i32 s14, s29
	v_cvt_f32_u32_e32 v1, s14
	s_sub_i32 s12, 0, s14
	s_ashr_i32 s15, s29, 31
	s_xor_b32 s10, s10, s15
	v_rcp_iflag_f32_e32 v1, v1
	v_and_b32_e32 v67, 15, v0
	v_bfe_u32 v66, v0, 4, 2
	v_mov_b32_e32 v57, 0
	v_mul_f32_e32 v1, 0x4f7ffffe, v1
	v_cvt_u32_f32_e32 v1, v1
	v_lshlrev_b32_e32 v68, 3, v0
	v_readfirstlane_b32 s13, v1
	s_mul_i32 s12, s12, s13
	s_mul_hi_u32 s12, s13, s12
	s_add_i32 s13, s13, s12
	s_mul_hi_u32 s12, s11, s13
	s_mul_i32 s13, s12, s14
	s_sub_i32 s11, s11, s13
	s_add_i32 s16, s12, 1
	s_sub_i32 s13, s11, s14
	s_cmp_ge_u32 s11, s14
	s_cselect_b32 s12, s16, s12
	s_cselect_b32 s11, s13, s11
	s_add_i32 s13, s12, 1
	s_cmp_ge_u32 s11, s14
	s_cselect_b32 s11, s13, s12
	s_xor_b32 s11, s11, s10
	s_sub_i32 s36, s11, s10
	s_mul_i32 s16, s36, s29
	s_ashr_i32 s37, s36, 31
	s_sub_i32 s33, s3, s16
	s_lshl_b64 s[10:11], s[36:37], 2
	s_add_u32 s12, s26, s10
	s_addc_u32 s13, s27, s11
	s_add_u32 s38, s8, s10
	s_addc_u32 s39, s9, s11
	s_abs_i32 s3, s30
	v_cvt_f32_u32_e32 v1, s3
	s_load_dwordx2 s[34:35], s[12:13], 0x0
	s_sub_i32 s9, 0, s3
	s_lshl_b32 s2, s2, 4
	v_rcp_iflag_f32_e32 v1, v1
	v_or_b32_e32 v58, s2, v67
	s_waitcnt lgkmcnt(0)
	s_sub_i32 s56, s35, s34
	s_ashr_i32 s8, s56, 31
	v_mul_f32_e32 v1, 0x4f7ffffe, v1
	v_cvt_u32_f32_e32 v1, v1
	s_lshr_b32 s8, s8, 26
	s_add_i32 s8, s56, s8
	s_ashr_i32 s55, s8, 6
	v_readfirstlane_b32 s10, v1
	s_mul_i32 s9, s9, s10
	s_mul_hi_u32 s9, s10, s9
	s_add_i32 s10, s10, s9
	s_mul_hi_u32 s9, s14, s10
	s_mul_i32 s10, s9, s3
	s_ashr_i32 s8, s30, 31
	s_sub_i32 s10, s14, s10
	s_xor_b32 s8, s15, s8
	s_add_i32 s11, s9, 1
	s_sub_i32 s12, s10, s3
	s_cmp_ge_u32 s10, s3
	s_cselect_b32 s9, s11, s9
	s_cselect_b32 s10, s12, s10
	s_add_i32 s11, s9, 1
	s_cmp_ge_u32 s10, s3
	s_cselect_b32 s3, s11, s9
	s_xor_b32 s3, s3, s8
	s_sub_i32 s3, s3, s8
	s_abs_i32 s17, s3
	v_cvt_f32_u32_e32 v1, s17
	s_sub_i32 s19, 0, s17
	s_abs_i32 s18, s33
	s_xor_b32 s3, s33, s3
	v_rcp_iflag_f32_e32 v2, v1
	s_ashr_i32 s3, s3, 31
	s_load_dwordx8 s[8:15], s[0:1], 0x20
	v_lshrrev_b32_e32 v1, 6, v0
	v_mul_f32_e32 v2, 0x4f7ffffe, v2
	v_cvt_u32_f32_e32 v2, v2
	v_lshlrev_b32_e32 v53, 4, v1
	v_lshlrev_b32_e32 v54, 7, v58
	v_lshl_or_b32 v70, v66, 2, v53
	v_readfirstlane_b32 s20, v2
	s_mul_i32 s19, s19, s20
	s_mul_hi_u32 s19, s20, s19
	s_add_i32 s20, s20, s19
	s_mul_hi_u32 s19, s18, s20
	s_mul_i32 s20, s19, s17
	s_sub_i32 s18, s18, s20
	s_add_i32 s20, s19, 1
	s_sub_i32 s21, s18, s17
	s_cmp_ge_u32 s18, s17
	s_cselect_b32 s19, s20, s19
	s_cselect_b32 s18, s21, s18
	s_add_i32 s20, s19, 1
	s_cmp_ge_u32 s18, s17
	s_cselect_b32 s17, s20, s19
	s_xor_b32 s17, s17, s3
	s_sub_i32 s57, s17, s3
	s_ashr_i32 s48, s33, 31
	s_mul_hi_i32 s3, s36, s29
	s_add_u32 s16, s16, s33
	s_addc_u32 s17, s3, s48
	s_lshl_b64 s[26:27], s[16:17], 16
	s_waitcnt lgkmcnt(0)
	s_add_u32 s10, s10, s26
	s_addc_u32 s11, s11, s27
	v_ashrrev_i32_e32 v55, 31, v54
	v_lshl_add_u64 v[2:3], v[54:55], 2, s[10:11]
	v_lshlrev_b32_e32 v56, 2, v70
	v_lshl_add_u64 v[10:11], v[2:3], 0, v[56:57]
	global_load_dwordx4 v[6:9], v[10:11], off
	global_load_dwordx4 v[2:5], v[10:11], off offset:256
	s_load_dwordx8 s[16:23], s[0:1], 0x0
	s_load_dwordx2 s[10:11], s[0:1], 0x80
	s_load_dword s58, s[38:39], 0x0
	v_and_b32_e32 v57, 63, v0
	v_or_b32_e32 v71, 64, v70
	s_cmp_lt_i32 s56, 64
	s_mul_hi_i32 s59, s33, s28
	s_mul_i32 s60, s33, s28
	v_lshrrev_b32_e32 v69, 3, v57
	s_mul_i32 s49, s36, s5
	s_mul_hi_u32 s51, s36, s4
	s_mul_i32 s52, s37, s4
	s_mul_i32 s42, s36, s4
	s_mul_i32 s50, s33, s7
	s_mul_hi_u32 s53, s33, s6
	s_mul_i32 s54, s48, s6
	s_mul_i32 s40, s33, s6
	s_cbranch_scc1 .LBB657_18
; %bb.1:
	s_ashr_i32 s1, s34, 31
	s_add_u32 s0, s60, s34
	s_addc_u32 s1, s59, s1
	s_lshl_b64 s[0:1], s[0:1], 8
	v_and_b32_e32 v73, 56, v68
	s_waitcnt lgkmcnt(0)
	s_add_u32 s4, s18, s0
	v_lshl_or_b32 v72, v1, 3, v69
	v_lshlrev_b32_e32 v10, 1, v73
	s_addc_u32 s0, s19, s1
	v_lshl_or_b32 v74, v72, 8, v10
	s_and_b32 s5, s0, 0xffff
	s_mov_b32 s7, 0x20000
	s_movk_i32 s6, 0x4000
	s_movk_i32 s0, 0x80
	v_or_b32_e32 v75, 0x2000, v74
	buffer_load_dwordx4 v[12:15], v74, s[4:7], 0 offen
	buffer_load_dwordx4 v[16:19], v74, s[4:7], s0 offen
	buffer_load_dwordx4 v[20:23], v75, s[4:7], 0 offen
	buffer_load_dwordx4 v[24:27], v75, s[4:7], s0 offen
	v_lshlrev_b32_e32 v11, 3, v72
	v_and_or_b32 v29, v0, 7, v11
	v_and_b32_e32 v11, 0x78, v11
	v_lshlrev_b32_e32 v29, 4, v29
	v_xor_b32_e32 v76, v29, v11
	v_mul_lo_u32 v28, v72, s31
	v_or_b32_e32 v77, 0x1000, v76
	v_xor_b32_e32 v11, 8, v76
	s_cmpk_eq_i32 s31, 0x80
	s_mov_b32 s61, s34
	v_xor_b32_e32 v29, 8, v77
	s_cselect_b64 s[0:1], -1, 0
	s_cmpk_lg_i32 s31, 0x80
	s_waitcnt vmcnt(3)
	ds_write_b64 v76, v[12:13] offset:16384
	ds_write_b64 v11, v[14:15] offset:16384
	s_waitcnt vmcnt(2)
	ds_write_b64 v76, v[16:17] offset:24576
	ds_write_b64 v11, v[18:19] offset:24576
	;; [unrolled: 3-line block ×4, first 2 shown]
	v_lshl_add_u32 v11, v28, 1, v73
	s_cbranch_scc0 .LBB657_3
; %bb.2:
	v_lshlrev_b32_e32 v13, 1, v11
	v_add_lshl_u32 v12, v11, s31, 1
	s_lshl_b32 s6, s31, 7
	v_lshl_or_b32 v10, v72, 9, v10
	s_cbranch_execz .LBB657_4
	s_branch .LBB657_5
.LBB657_3:
                                        ; implicit-def: $vgpr12
                                        ; implicit-def: $vgpr13
                                        ; implicit-def: $sgpr6
	v_lshl_or_b32 v10, v72, 9, v10
.LBB657_4:
	v_or_b32_e32 v12, 0x100, v10
	s_movk_i32 s6, 0x4000
	v_mov_b32_e32 v13, v10
.LBB657_5:
	s_mul_i32 s4, s34, s30
	s_ashr_i32 s62, s57, 31
	s_mul_hi_i32 s3, s34, s30
	s_add_u32 s4, s4, s57
	s_addc_u32 s5, s3, s62
	s_lshl_b64 s[4:5], s[4:5], 8
	s_add_u32 s4, s16, s4
	s_addc_u32 s3, s17, s5
	s_and_b32 s5, s3, 0xffff
	s_movk_i32 s63, 0x80
	buffer_load_dwordx4 v[14:17], v13, s[4:7], 0 offen
	buffer_load_dwordx4 v[18:21], v13, s[4:7], s63 offen
	;; [unrolled: 1-line block ×4, first 2 shown]
	v_and_b32_e32 v12, 6, v0
	v_lshlrev_b32_e32 v30, 2, v67
	v_lshlrev_b32_e32 v31, 3, v67
	v_xor_b32_e32 v35, v72, v12
	v_and_b32_e32 v13, 1, v0
	v_lshl_or_b32 v31, v70, 5, v31
	v_xor_b32_e32 v36, v70, v30
	v_lshlrev_b32_e32 v35, 2, v35
	s_add_i32 s3, s51, s49
	v_or_b32_e32 v78, 0x9000, v31
	v_or_b32_e32 v79, 0x9800, v31
	v_lshlrev_b32_e32 v31, 1, v36
	v_xor_b32_e32 v36, 0x440, v35
	v_cmp_eq_u32_e32 vcc, 0, v13
	s_add_i32 s4, s53, s50
	s_add_i32 s43, s3, s52
	v_cndmask_b32_e32 v13, v36, v35, vcc
	s_add_i32 s41, s4, s54
	s_lshl_b64 s[4:5], s[42:43], 2
	s_mov_b32 s64, 0x1000504
	s_mov_b32 s65, 0x3020706
	v_lshlrev_b32_e32 v32, 8, v67
	s_mov_b32 s6, 0x8000
	v_xor_b32_e32 v30, v71, v30
	v_lshl_or_b32 v12, v12, 10, v13
	s_add_u32 s3, s22, s4
	v_or_b32_e32 v33, v53, v67
	v_lshlrev_b32_e32 v30, 1, v30
	v_or3_b32 v80, v31, v32, s6
	v_xor_b32_e32 v13, 8, v12
	v_xor_b32_e32 v31, 24, v12
	;; [unrolled: 1-line block ×4, first 2 shown]
	s_addc_u32 s36, s23, s5
	s_lshl_b64 s[4:5], s[40:41], 2
	v_or3_b32 v81, v30, v32, s6
	v_xor_b32_e32 v30, 16, v12
	v_xor_b32_e32 v32, 32, v12
	v_xor_b32_e32 v36, 48, v12
	v_add_u32_e32 v13, 0x80, v13
	v_add_u32_e32 v31, 0x80, v31
	;; [unrolled: 1-line block ×4, first 2 shown]
	s_add_u32 s44, s3, s4
	s_movk_i32 s3, 0xf8
	s_addc_u32 s45, s36, s5
	v_ashrrev_i32_e32 v59, 31, v58
	s_lshl_b32 s38, s31, 7
	v_lshrrev_b32_e32 v34, 2, v57
	s_mov_b32 s66, 0
	s_waitcnt vmcnt(1)
	v_perm_b32 v38, v14, v22, s64
	s_waitcnt vmcnt(0)
	v_perm_b32 v39, v18, v26, s64
	v_perm_b32 v14, v14, v22, s65
	;; [unrolled: 1-line block ×15, first 2 shown]
	ds_write2st64_b32 v12, v38, v39 offset1:32
	ds_write2st64_b32 v13, v14, v18 offset1:32
	ds_write2st64_b32 v30, v22, v26 offset0:1 offset1:33
	ds_write2st64_b32 v31, v15, v19 offset0:1 offset1:33
	;; [unrolled: 1-line block ×6, first 2 shown]
	v_lshlrev_b32_e32 v12, 3, v33
	v_lshrrev_b32_e32 v14, 5, v57
	v_and_or_b32 v14, v12, s3, v14
	v_lshlrev_b32_e32 v14, 4, v14
	v_lshlrev_b32_e32 v21, 11, v1
	v_and_b32_e32 v12, 0x78, v12
	v_or_b32_e32 v17, 32, v14
	v_and_b32_e32 v13, 0x1000, v21
	v_lshrrev_b32_e32 v16, 1, v57
	v_xor_b32_e32 v17, v17, v12
	v_and_b32_e32 v16, 8, v16
	v_or_b32_e32 v17, v17, v13
	v_xor_b32_e32 v15, v14, v12
	v_xor_b32_e32 v84, v17, v16
	v_or_b32_e32 v17, 64, v14
	v_or_b32_e32 v14, 0x60, v14
	v_xor_b32_e32 v17, v17, v12
	v_xor_b32_e32 v12, v14, v12
	v_or_b32_e32 v15, v15, v13
	v_or_b32_e32 v17, v17, v13
	;; [unrolled: 1-line block ×3, first 2 shown]
	v_xor_b32_e32 v82, v15, v16
	v_xor_b32_e32 v85, v17, v16
	;; [unrolled: 1-line block ×3, first 2 shown]
	v_lshrrev_b32_e32 v16, 4, v0
	v_lshlrev_b32_e32 v17, 1, v67
	s_ashr_i32 s3, s2, 31
	v_or_b32_e32 v18, 1, v17
	v_xor_b32_e32 v17, v16, v17
	s_lshl_b64 s[4:5], s[2:3], 8
	v_xor_b32_e32 v18, v18, v16
	v_lshlrev_b32_e32 v17, 3, v17
	v_lshlrev_b32_e32 v16, 8, v16
	v_lshlrev_b64 v[12:13], 1, v[58:59]
	s_add_u32 s4, s12, s4
	v_or3_b32 v59, v17, v16, s6
	v_lshlrev_b32_e32 v17, 3, v18
	s_addc_u32 s5, s13, s5
	v_or3_b32 v88, v17, v16, s6
	v_mov_b32_e32 v17, 0
	v_lshrrev_b32_e32 v27, 1, v0
	v_lshl_add_u64 v[18:19], s[4:5], 0, v[16:17]
	v_lshlrev_b32_e32 v16, 4, v67
	s_movk_i32 s3, 0xff
	v_lshlrev_b32_e32 v26, 3, v1
	v_and_b32_e32 v27, 24, v27
	v_lshl_add_u64 v[60:61], v[18:19], 0, v[16:17]
	v_and_b32_e32 v16, 7, v0
	v_and_b32_e32 v19, 8, v0
	v_cmp_lt_u32_e32 vcc, s3, v0
	v_xor_b32_e32 v28, v26, v27
	v_lshlrev_b32_e32 v24, 3, v16
	v_lshlrev_b32_e32 v25, 7, v16
	v_cndmask_b32_e64 v16, 0, 1, vcc
	v_or_b32_e32 v29, 0x440, v28
	v_cmp_eq_u32_e32 vcc, 0, v19
	v_or_b32_e32 v31, 64, v27
	v_xor_b32_e32 v31, v26, v31
	v_cndmask_b32_e32 v19, v29, v28, vcc
	v_or_b32_e32 v29, 32, v27
	v_or_b32_e32 v27, 0x60, v27
	v_xor_b32_e32 v29, v26, v29
	v_xor_b32_e32 v26, v26, v27
	v_or_b32_e32 v30, 0x440, v29
	v_xor_b32_e32 v32, 0x440, v31
	v_xor_b32_e32 v27, 0x440, v26
	v_cndmask_b32_e32 v29, v30, v29, vcc
	v_cndmask_b32_e32 v31, v32, v31, vcc
	;; [unrolled: 1-line block ×3, first 2 shown]
	v_and_b32_e32 v15, 0x78, v68
	v_or_b32_e32 v19, v19, v21
	v_or_b32_e32 v29, v29, v21
	;; [unrolled: 1-line block ×4, first 2 shown]
	v_and_b32_e32 v20, 12, v34
	v_lshl_or_b32 v15, v66, 7, v15
	v_lshlrev_b32_e32 v16, 13, v16
	v_xor_b32_e32 v19, v19, v24
	v_xor_b32_e32 v29, v29, v24
	;; [unrolled: 1-line block ×4, first 2 shown]
	v_or_b32_e32 v83, 0x9000, v15
	v_or_b32_e32 v87, 0x9800, v15
	v_lshl_add_u64 v[14:15], s[20:21], 0, v[12:13]
	v_lshl_add_u64 v[12:13], s[14:15], 0, v[12:13]
	v_lshlrev_b32_e32 v22, 1, v11
	v_add_lshl_u32 v11, v11, s31, 1
	v_or_b32_e32 v23, 0x100, v10
	v_or_b32_e32 v18, v20, v53
	v_add_u32_e32 v28, v16, v19
	v_add_u32_e32 v30, v16, v29
	;; [unrolled: 1-line block ×4, first 2 shown]
	v_or3_b32 v20, v53, v20, 64
	v_add_u32_e32 v19, 0x2000, v19
	v_add_u32_e32 v26, 0x2000, v29
	;; [unrolled: 1-line block ×4, first 2 shown]
	v_lshlrev_b32_e32 v16, 8, v70
	v_cndmask_b32_e64 v89, v22, v10, s[0:1]
	v_cndmask_b32_e64 v90, v11, v23, s[0:1]
	v_lshl_add_u64 v[62:63], v[14:15], 0, v[16:17]
	v_lshl_add_u64 v[64:65], v[12:13], 0, v[16:17]
	s_mov_b32 s3, 0x7060302
	s_movk_i32 s6, 0x4000
	v_lshlrev_b32_e32 v91, 2, v18
	v_add_u32_e32 v92, v28, v25
	v_add_u32_e32 v93, v30, v25
	;; [unrolled: 1-line block ×4, first 2 shown]
	v_lshlrev_b32_e32 v96, 2, v20
	v_add_u32_e32 v97, v19, v25
	v_add_u32_e32 v98, v26, v25
	;; [unrolled: 1-line block ×4, first 2 shown]
	s_waitcnt lgkmcnt(0)
	s_barrier
.LBB657_6:                              ; =>This Inner Loop Header: Depth=1
	s_add_i32 s41, s66, 1
	s_cmp_lt_i32 s41, s55
	s_mov_b64 s[36:37], 0
	s_cselect_b64 s[46:47], -1, 0
	s_cmp_ge_i32 s41, s55
	s_mov_b64 s[4:5], 0
	s_cbranch_scc1 .LBB657_8
; %bb.7:                                ;   in Loop: Header=BB657_6 Depth=1
	s_add_i32 s0, s61, 64
	s_ashr_i32 s1, s0, 31
	s_add_u32 s0, s60, s0
	s_addc_u32 s1, s59, s1
	s_lshl_b64 s[0:1], s[0:1], 8
	s_add_u32 s4, s18, s0
	s_addc_u32 s5, s19, s1
.LBB657_8:                              ;   in Loop: Header=BB657_6 Depth=1
	v_cndmask_b32_e64 v10, 0, 1, s[46:47]
	v_cmp_ne_u32_e64 s[0:1], 1, v10
	s_andn2_b64 vcc, exec, s[46:47]
	s_cbranch_vccnz .LBB657_10
; %bb.9:                                ;   in Loop: Header=BB657_6 Depth=1
	s_add_i32 s36, s61, 64
	s_mul_hi_i32 s37, s36, s30
	s_mul_i32 s36, s36, s30
	s_add_u32 s36, s36, s57
	s_addc_u32 s37, s37, s62
	s_lshl_b64 s[36:37], s[36:37], 8
	s_add_u32 s36, s16, s36
	s_addc_u32 s37, s17, s37
.LBB657_10:                             ;   in Loop: Header=BB657_6 Depth=1
	v_perm_b32 v11, v9, v8, s3
	v_perm_b32 v10, v7, v6, s3
	;; [unrolled: 1-line block ×4, first 2 shown]
	ds_write_b64 v78, v[10:11]
	ds_write_b64 v79, v[12:13]
	;; [unrolled: 1-line block ×4, first 2 shown]
	s_waitcnt lgkmcnt(0)
	s_barrier
	ds_read_b64 v[18:19], v82 offset:16384
	ds_read_b64 v[20:21], v84 offset:16384
	ds_read2st64_b64 v[10:13], v83 offset1:1
	s_waitcnt lgkmcnt(0)
	v_mfma_f32_16x16x16_bf16 a[0:3], v[18:19], v[10:11], 0
	ds_read2st64_b64 v[14:17], v83 offset0:2 offset1:3
	ds_read_b64 v[22:23], v85 offset:16384
	ds_read_b64 v[10:11], v86 offset:16384
	s_add_i32 s43, s61, 63
	v_mfma_f32_16x16x16_bf16 a[0:3], v[20:21], v[12:13], a[0:3]
	s_ashr_i32 s39, s43, 31
	s_mul_i32 s46, s43, s11
	s_mul_hi_u32 s47, s43, s10
	s_waitcnt lgkmcnt(1)
	v_mfma_f32_16x16x16_bf16 a[0:3], v[22:23], v[14:15], a[0:3]
	s_add_i32 s46, s47, s46
	s_mul_i32 s39, s39, s10
	s_add_i32 s47, s46, s39
	s_mul_i32 s46, s43, s10
	s_waitcnt lgkmcnt(0)
	v_mfma_f32_16x16x16_bf16 a[0:3], v[10:11], v[16:17], a[0:3]
	s_lshl_b64 s[46:47], s[46:47], 2
	s_add_u32 s46, s44, s46
	s_addc_u32 s47, s45, s47
	s_and_b64 vcc, exec, s[0:1]
	v_mov_b32_e32 v103, 0
	v_mov_b32_e32 v102, 0
	;; [unrolled: 1-line block ×19, first 2 shown]
	s_cbranch_vccnz .LBB657_12
; %bb.11:                               ;   in Loop: Header=BB657_6 Depth=1
	s_and_b32 s5, s5, 0xffff
	buffer_load_dwordx4 v[22:25], v74, s[4:7], 0 offen
	buffer_load_dwordx4 v[18:21], v74, s[4:7], s63 offen
	;; [unrolled: 1-line block ×4, first 2 shown]
	v_mov_b32_e32 v102, v76
	v_mov_b32_e32 v101, v77
.LBB657_12:                             ;   in Loop: Header=BB657_6 Depth=1
	v_add_u32_e32 v30, s61, v70
	v_ashrrev_i32_e32 v26, 31, v30
	v_mul_lo_u32 v28, v26, s10
	v_mul_lo_u32 v29, v30, s11
	v_mad_u64_u32 v[26:27], s[4:5], v30, s10, 0
	v_add3_u32 v27, v27, v29, v28
	v_lshl_add_u64 v[26:27], v[26:27], 2, s[44:45]
	global_load_dword v44, v[26:27], off
	v_add_u32_e32 v26, 1, v30
	v_ashrrev_i32_e32 v27, 31, v26
	v_mul_lo_u32 v28, v27, s10
	v_mul_lo_u32 v29, v26, s11
	v_mad_u64_u32 v[26:27], s[4:5], v26, s10, 0
	v_add3_u32 v27, v27, v29, v28
	v_add_u32_e32 v28, 2, v30
	v_ashrrev_i32_e32 v29, 31, v28
	v_mul_lo_u32 v31, v29, s10
	v_mul_lo_u32 v32, v28, s11
	v_mad_u64_u32 v[28:29], s[4:5], v28, s10, 0
	v_add_u32_e32 v30, 3, v30
	v_add3_u32 v29, v29, v32, v31
	v_ashrrev_i32_e32 v31, 31, v30
	v_mul_lo_u32 v34, v31, s10
	v_mul_lo_u32 v35, v30, s11
	v_mad_u64_u32 v[30:31], s[4:5], v30, s10, 0
	s_ashr_i32 s5, s61, 31
	s_add_u32 s4, s60, s61
	s_addc_u32 s5, s59, s5
	s_lshl_b64 s[68:69], s[4:5], 8
	v_lshl_add_u64 v[26:27], v[26:27], 2, s[44:45]
	v_lshl_add_u64 v[32:33], v[62:63], 0, s[68:69]
	v_add3_u32 v31, v31, v35, v34
	v_lshl_add_u64 v[28:29], v[28:29], 2, s[44:45]
	global_load_ushort v45, v[32:33], off
	global_load_ushort v46, v[32:33], off offset:256
	global_load_ushort v47, v[32:33], off offset:512
	global_load_ushort v48, v[32:33], off offset:768
	v_lshl_add_u64 v[30:31], v[30:31], 2, s[44:45]
	global_load_dword v49, v[26:27], off
	global_load_dword v50, v[28:29], off
	;; [unrolled: 1-line block ×3, first 2 shown]
	s_load_dword s4, s[46:47], 0x0
	ds_read_b64 v[28:29], v82 offset:24576
	ds_read2st64_b64 v[30:33], v87 offset1:1
	ds_read2st64_b64 v[34:37], v87 offset0:2 offset1:3
	ds_read_b64 v[38:39], v84 offset:24576
	ds_read_b64 v[40:41], v85 offset:24576
	;; [unrolled: 1-line block ×3, first 2 shown]
	s_waitcnt lgkmcnt(0)
	v_mfma_f32_16x16x16_bf16 a[0:3], v[28:29], v[30:31], a[0:3]
	v_mov_b32_e32 v104, 0
	v_mov_b32_e32 v26, 0
	v_mov_b32_e32 v27, 0
	v_mfma_f32_16x16x16_bf16 a[0:3], v[38:39], v[32:33], a[0:3]
	v_lshl_add_u64 v[38:39], v[64:65], 0, s[68:69]
	v_mov_b32_e32 v28, 0
	v_mov_b32_e32 v29, 0
	v_mfma_f32_16x16x16_bf16 a[0:3], v[40:41], v[34:35], a[0:3]
	v_mov_b32_e32 v30, 0
	v_mov_b32_e32 v31, 0
	;; [unrolled: 1-line block ×3, first 2 shown]
	v_mfma_f32_16x16x16_bf16 a[0:3], v[42:43], v[36:37], a[0:3]
	v_mov_b32_e32 v33, 0
	v_mov_b32_e32 v34, 0
	s_and_b64 vcc, exec, s[0:1]
	s_waitcnt vmcnt(7)
	v_sub_f32_e32 v35, s4, v44
	s_nop 1
	v_accvgpr_read_b32 v41, a1
	v_accvgpr_read_b32 v40, a0
	;; [unrolled: 1-line block ×4, first 2 shown]
	s_waitcnt vmcnt(6)
	v_lshlrev_b32_e32 v42, 16, v45
	s_waitcnt vmcnt(5)
	v_lshlrev_b32_e32 v43, 16, v46
	v_exp_f32_e32 v46, v35
	s_waitcnt vmcnt(3)
	v_lshlrev_b32_e32 v45, 16, v48
	s_waitcnt vmcnt(2)
	v_sub_f32_e32 v35, s4, v49
	s_waitcnt vmcnt(1)
	v_sub_f32_e32 v48, s4, v50
	;; [unrolled: 2-line block ×3, first 2 shown]
	v_lshlrev_b32_e32 v44, 16, v47
	v_pk_add_f32 v[40:41], v[42:43], v[40:41] neg_lo:[0,1] neg_hi:[0,1]
	v_exp_f32_e32 v47, v35
	v_exp_f32_e32 v42, v48
	;; [unrolled: 1-line block ×3, first 2 shown]
	v_pk_add_f32 v[36:37], v[44:45], v[36:37] neg_lo:[0,1] neg_hi:[0,1]
	global_store_short_d16_hi v[38:39], v40, off
	global_store_short_d16_hi v[38:39], v41, off offset:256
	global_store_short_d16_hi v[38:39], v36, off offset:512
	;; [unrolled: 1-line block ×3, first 2 shown]
	v_pk_mul_f32 v[38:39], v[46:47], v[40:41]
	v_pk_mul_f32 v[36:37], v[42:43], v[36:37]
	v_perm_b32 v38, v39, v38, s3
	v_perm_b32 v39, v37, v36, s3
	ds_write_b64 v79, v[38:39]
	v_mov_b32_e32 v35, 0
	v_mov_b32_e32 v36, 0
	;; [unrolled: 1-line block ×7, first 2 shown]
	s_cbranch_vccnz .LBB657_14
; %bb.13:                               ;   in Loop: Header=BB657_6 Depth=1
	s_and_b32 s37, s37, 0xffff
	s_mov_b32 s39, s7
	buffer_load_dwordx4 v[38:41], v89, s[36:39], 0 offen
	buffer_load_dwordx4 v[30:33], v89, s[36:39], s63 offen
	;; [unrolled: 1-line block ×4, first 2 shown]
	v_mov_b32_e32 v103, v73
	v_mov_b32_e32 v104, v72
.LBB657_14:                             ;   in Loop: Header=BB657_6 Depth=1
	s_waitcnt lgkmcnt(0)
	s_barrier
	ds_read_b64 v[42:43], v92
	ds_read_b64 v[48:49], v93
	ds_read2st64_b64 v[44:47], v87 offset1:1
	ds_read2st64_b64 v[106:109], v87 offset0:2 offset1:3
	ds_read_b64 v[50:51], v94
	ds_read_b64 v[114:115], v95
	s_add_i32 s5, s58, s66
	s_mul_hi_i32 s37, s5, s29
	s_mul_i32 s5, s5, s29
	s_waitcnt lgkmcnt(3)
	v_mfma_f32_16x16x16_bf16 a[0:3], v[42:43], v[44:45], 0
	ds_read_b64 v[42:43], v97
	s_add_u32 s36, s5, s33
	s_addc_u32 s37, s37, s48
	v_mfma_f32_16x16x16_bf16 a[0:3], v[48:49], v[46:47], a[0:3]
	ds_read_b64 v[48:49], v98
	s_lshl_b64 s[36:37], s[36:37], 15
	s_mul_i32 s39, s43, s29
	s_mul_hi_i32 s5, s43, s29
	s_add_u32 s46, s39, s33
	s_addc_u32 s47, s5, s48
	s_lshl_b64 s[46:47], s[46:47], 9
	s_add_u32 s46, s8, s46
	s_waitcnt lgkmcnt(1)
	v_mfma_f32_16x16x16_bf16 a[4:7], v[42:43], v[44:45], 0
	s_addc_u32 s47, s9, s47
	s_and_b64 vcc, exec, s[0:1]
	v_mfma_f32_16x16x16_bf16 a[0:3], v[50:51], v[106:107], a[0:3]
	ds_read_b64 v[50:51], v99
	ds_read_b64 v[116:117], v100
	global_load_dwordx4 v[42:45], v96, s[46:47]
	s_waitcnt lgkmcnt(2)
	v_mfma_f32_16x16x16_bf16 a[4:7], v[48:49], v[46:47], a[4:7]
	global_load_dwordx4 v[46:49], v91, s[46:47]
	ds_read_b64 v[110:111], v59
	ds_read_b64 v[112:113], v88
	s_waitcnt lgkmcnt(3)
	v_mfma_f32_16x16x16_bf16 a[8:11], v[50:51], v[106:107], a[4:7]
	v_lshl_add_u64 v[50:51], v[60:61], 0, s[36:37]
	s_waitcnt lgkmcnt(0)
	global_store_dwordx4 v[50:51], v[110:113], off
	v_mfma_f32_16x16x16_bf16 a[4:7], v[114:115], v[108:109], a[0:3]
	s_waitcnt vmcnt(2)
	v_mov_b32_e32 v52, v45
	v_mfma_f32_16x16x16_bf16 a[0:3], v[116:117], v[108:109], a[8:11]
	v_mov_b32_e32 v51, v44
	v_mov_b32_e32 v50, v43
	s_cbranch_vccnz .LBB657_16
; %bb.15:                               ;   in Loop: Header=BB657_6 Depth=1
	v_lshrrev_b32_e32 v43, 3, v103
	v_and_b32_e32 v43, 6, v43
	v_xor_b32_e32 v44, v43, v104
	v_lshlrev_b32_e32 v44, 2, v44
	v_and_b32_e32 v45, 8, v103
	v_xor_b32_e32 v103, 0x440, v44
	v_cmp_eq_u32_e32 vcc, 0, v45
	v_perm_b32 v45, v30, v26, s64
	s_nop 0
	v_cndmask_b32_e32 v44, v103, v44, vcc
	v_lshl_or_b32 v43, v43, 10, v44
	v_perm_b32 v44, v38, v34, s64
	s_barrier
	ds_write2st64_b32 v43, v44, v45 offset1:32
	v_xor_b32_e32 v44, 8, v43
	v_perm_b32 v34, v38, v34, s65
	v_perm_b32 v26, v30, v26, s65
	v_add_u32_e32 v30, 0x80, v44
	ds_write2st64_b32 v30, v34, v26 offset1:32
	v_xor_b32_e32 v26, 16, v43
	v_perm_b32 v30, v39, v35, s64
	v_perm_b32 v34, v31, v27, s64
	ds_write2st64_b32 v26, v30, v34 offset0:1 offset1:33
	v_xor_b32_e32 v26, 24, v43
	v_perm_b32 v30, v39, v35, s65
	v_perm_b32 v27, v31, v27, s65
	v_add_u32_e32 v26, 0x80, v26
	ds_write2st64_b32 v26, v30, v27 offset0:1 offset1:33
	v_xor_b32_e32 v26, 32, v43
	v_perm_b32 v27, v40, v36, s64
	v_perm_b32 v30, v32, v28, s64
	ds_write2st64_b32 v26, v27, v30 offset0:2 offset1:34
	v_xor_b32_e32 v26, 40, v43
	v_perm_b32 v27, v40, v36, s65
	v_perm_b32 v28, v32, v28, s65
	v_add_u32_e32 v26, 0x80, v26
	ds_write2st64_b32 v26, v27, v28 offset0:2 offset1:34
	;; [unrolled: 9-line block ×3, first 2 shown]
	ds_write_b64 v102, v[22:23] offset:16384
	v_xor_b32_e32 v22, 8, v102
	ds_write_b64 v22, v[24:25] offset:16384
	ds_write_b64 v102, v[18:19] offset:24576
	;; [unrolled: 1-line block ×4, first 2 shown]
	v_xor_b32_e32 v14, 8, v101
	ds_write_b64 v14, v[16:17] offset:16384
	ds_write_b64 v101, v[10:11] offset:24576
	;; [unrolled: 1-line block ×3, first 2 shown]
.LBB657_16:                             ;   in Loop: Header=BB657_6 Depth=1
	v_exp_f32_e32 v18, s4
	s_waitcnt vmcnt(1)
	v_exp_f32_e32 v20, v46
	v_exp_f32_e32 v21, v47
	;; [unrolled: 1-line block ×4, first 2 shown]
	v_accvgpr_read_b32 v13, a7
	v_accvgpr_read_b32 v11, a5
	;; [unrolled: 1-line block ×3, first 2 shown]
	v_pk_mul_f32 v[20:21], v[18:19], v[20:21] op_sel_hi:[0,1]
	v_pk_fma_f32 v[6:7], v[6:7], v[20:21], v[10:11]
	v_exp_f32_e32 v20, v42
	v_exp_f32_e32 v21, v50
	v_pk_mul_f32 v[10:11], v[18:19], v[22:23] op_sel_hi:[0,1]
	v_exp_f32_e32 v22, v51
	v_exp_f32_e32 v23, v52
	v_accvgpr_read_b32 v12, a6
	v_accvgpr_read_b32 v17, a3
	;; [unrolled: 1-line block ×4, first 2 shown]
	v_pk_fma_f32 v[8:9], v[8:9], v[10:11], v[12:13]
	v_pk_mul_f32 v[10:11], v[18:19], v[20:21] op_sel_hi:[0,1]
	v_accvgpr_read_b32 v16, a2
	v_pk_fma_f32 v[2:3], v[2:3], v[10:11], v[14:15]
	v_pk_mul_f32 v[10:11], v[18:19], v[22:23] op_sel_hi:[0,1]
	s_add_i32 s61, s61, 64
	s_cmp_eq_u32 s55, s41
	v_pk_fma_f32 v[4:5], v[4:5], v[10:11], v[16:17]
	s_cbranch_scc1 .LBB657_18
; %bb.17:                               ;   in Loop: Header=BB657_6 Depth=1
	s_mov_b32 s66, s41
	s_branch .LBB657_6
.LBB657_18:
	s_lshl_b32 s0, s55, 6
	s_sub_i32 s46, s56, s0
	s_cmp_gt_i32 s46, 0
	s_cbranch_scc0 .LBB657_75
; %bb.19:
	s_add_i32 s34, s0, s34
	s_ashr_i32 s3, s34, 31
	s_cmpk_lg_i32 s31, 0x80
	s_cselect_b64 s[38:39], -1, 0
	s_and_b64 vcc, exec, s[38:39]
	s_cbranch_vccz .LBB657_21
; %bb.20:
	s_mul_i32 s1, s34, s30
	s_ashr_i32 s4, s57, 31
	s_mul_hi_i32 s0, s34, s30
	s_add_u32 s44, s1, s57
	s_addc_u32 s45, s0, s4
	s_cbranch_execz .LBB657_22
	s_branch .LBB657_23
.LBB657_21:
                                        ; implicit-def: $sgpr44_sgpr45
.LBB657_22:
	s_mul_i32 s1, s57, s28
	s_mul_hi_i32 s0, s57, s28
	s_add_u32 s44, s1, s34
	s_addc_u32 s45, s0, s3
.LBB657_23:
	s_waitcnt lgkmcnt(0)
	s_add_i32 s4, s55, s58
	s_add_u32 s0, s60, s34
	s_addc_u32 s1, s59, s3
	s_mov_b32 s3, 0x7060302
	v_lshlrev_b32_e32 v14, 3, v67
	s_lshl_b64 s[36:37], s[0:1], 8
	s_waitcnt vmcnt(1)
	v_perm_b32 v11, v9, v8, s3
	v_perm_b32 v10, v7, v6, s3
	s_waitcnt vmcnt(0)
	v_perm_b32 v13, v5, v4, s3
	v_perm_b32 v12, v3, v2, s3
	v_lshlrev_b32_e32 v42, 2, v67
	v_lshl_or_b32 v14, v70, 5, v14
	s_add_u32 s0, s18, s36
	ds_write2st64_b64 v14, v[10:11], v[12:13] offset0:72 offset1:76
	v_xor_b32_e32 v14, v70, v42
	v_lshlrev_b32_e32 v15, 8, v67
	s_addc_u32 s1, s19, s37
	v_lshl_or_b32 v14, v14, 1, v15
	s_mul_hi_i32 s3, s4, s29
	s_mul_i32 s4, s4, s29
	ds_write_b64 v14, v[10:11] offset:32768
	v_xor_b32_e32 v10, v71, v42
	s_add_u32 s4, s4, s33
	v_lshl_or_b32 v10, v10, 1, v15
	s_addc_u32 s5, s3, s48
	v_lshlrev_b32_e32 v11, 1, v67
	ds_write_b64 v10, v[12:13] offset:32768
	v_lshrrev_b32_e32 v10, 4, v0
	s_ashr_i32 s3, s2, 31
	s_lshl_b64 s[4:5], s[4:5], 15
	v_or_b32_e32 v12, 1, v11
	s_add_u32 s4, s12, s4
	v_xor_b32_e32 v11, v10, v11
	v_xor_b32_e32 v12, v12, v10
	v_lshlrev_b32_e32 v14, 8, v10
	s_addc_u32 s5, s13, s5
	s_lshl_b64 s[2:3], s[2:3], 8
	v_lshl_or_b32 v10, v11, 3, v14
	v_lshl_or_b32 v12, v12, 3, v14
	s_waitcnt lgkmcnt(0)
	s_barrier
	s_add_u32 s2, s4, s2
	ds_read_b64 v[10:11], v10 offset:32768
	ds_read_b64 v[12:13], v12 offset:32768
	s_addc_u32 s3, s5, s3
	v_mov_b32_e32 v15, 0
	s_cmp_lg_u32 s46, 64
	v_lshl_add_u64 v[16:17], s[2:3], 0, v[14:15]
	v_lshlrev_b32_e32 v14, 4, v67
	s_cselect_b64 s[18:19], -1, 0
	v_lshl_or_b32 v44, v1, 3, v69
	s_mov_b32 s4, 0
	v_lshl_add_u64 v[14:15], v[16:17], 0, v[14:15]
	v_or_b32_e32 v27, 32, v44
	v_and_b32_e32 v26, 56, v68
	s_and_b64 vcc, exec, s[18:19]
	s_waitcnt lgkmcnt(0)
	global_store_dwordx4 v[14:15], v[10:13], off
	s_cbranch_vccz .LBB657_29
; %bb.24:
	s_mov_b32 s6, s4
	s_mov_b32 s7, s4
	;; [unrolled: 1-line block ×3, first 2 shown]
	v_mov_b64_e32 v[16:17], s[6:7]
	v_mov_b64_e32 v[14:15], s[4:5]
	;; [unrolled: 1-line block ×3, first 2 shown]
	v_cmp_gt_i32_e32 vcc, s46, v44
	v_mov_b64_e32 v[12:13], v[16:17]
	s_and_saveexec_b64 s[2:3], vcc
	s_cbranch_execz .LBB657_26
; %bb.25:
	v_lshlrev_b32_e32 v10, 8, v44
	v_mov_b32_e32 v11, 0
	v_lshl_add_u64 v[12:13], s[0:1], 0, v[10:11]
	v_lshlrev_b32_e32 v10, 1, v26
	v_lshl_add_u64 v[18:19], v[12:13], 0, v[10:11]
	global_load_dwordx4 v[14:17], v[18:19], off
	global_load_dwordx4 v[10:13], v[18:19], off offset:128
.LBB657_26:
	s_or_b64 exec, exec, s[2:3]
	s_mov_b32 s6, s4
	s_mov_b32 s7, s4
	;; [unrolled: 1-line block ×3, first 2 shown]
	v_mov_b64_e32 v[24:25], s[6:7]
	v_mov_b64_e32 v[22:23], s[4:5]
	;; [unrolled: 1-line block ×3, first 2 shown]
	v_cmp_gt_i32_e32 vcc, s46, v27
	v_lshlrev_b32_e32 v28, 7, v27
	v_mov_b64_e32 v[20:21], v[24:25]
	s_and_saveexec_b64 s[2:3], vcc
	s_cbranch_execz .LBB657_28
; %bb.27:
	v_lshlrev_b32_e32 v18, 1, v28
	v_mov_b32_e32 v19, 0
	v_lshl_add_u64 v[20:21], s[0:1], 0, v[18:19]
	v_lshlrev_b32_e32 v18, 1, v26
	v_lshl_add_u64 v[30:31], v[20:21], 0, v[18:19]
	global_load_dwordx4 v[22:25], v[30:31], off
	global_load_dwordx4 v[18:21], v[30:31], off offset:128
.LBB657_28:
	s_or_b64 exec, exec, s[2:3]
	v_lshrrev_b32_e32 v29, 3, v26
	v_lshlrev_b32_e32 v30, 3, v44
	v_or_b32_e32 v29, v30, v29
	v_lshlrev_b32_e32 v29, 4, v29
	v_and_b32_e32 v30, 0x78, v30
	v_xor_b32_e32 v29, v29, v30
	s_branch .LBB657_31
.LBB657_29:
                                        ; implicit-def: $vgpr29
                                        ; implicit-def: $vgpr28
                                        ; implicit-def: $vgpr14_vgpr15_vgpr16_vgpr17
                                        ; implicit-def: $vgpr10_vgpr11_vgpr12_vgpr13
                                        ; implicit-def: $vgpr22_vgpr23_vgpr24_vgpr25
                                        ; implicit-def: $vgpr18_vgpr19_vgpr20_vgpr21
	s_cbranch_execz .LBB657_31
; %bb.30:
	s_waitcnt vmcnt(0)
	v_lshlrev_b32_e32 v10, 1, v26
	v_lshl_or_b32 v28, v44, 8, v10
	s_and_b32 s1, s1, 0xffff
	s_mov_b32 s3, 0x20000
	s_movk_i32 s2, 0x4000
	v_lshl_or_b32 v29, v27, 8, v10
	s_movk_i32 s4, 0x80
	buffer_load_dwordx4 v[14:17], v28, s[0:3], 0 offen
	buffer_load_dwordx4 v[10:13], v28, s[0:3], s4 offen
	;; [unrolled: 1-line block ×4, first 2 shown]
	v_lshrrev_b32_e32 v28, 3, v26
	v_lshlrev_b32_e32 v29, 3, v44
	v_or_b32_e32 v28, v29, v28
	v_lshlrev_b32_e32 v28, 4, v28
	v_and_b32_e32 v29, 0x78, v29
	v_xor_b32_e32 v29, v28, v29
	v_lshlrev_b32_e32 v28, 7, v27
.LBB657_31:
	s_lshl_b64 s[0:1], s[44:45], 8
	s_add_u32 s4, s16, s0
	s_movk_i32 s0, 0x1000
	v_and_or_b32 v27, v28, s0, v29
	s_waitcnt vmcnt(1)
	ds_write_b64 v29, v[14:15] offset:16384
	v_xor_b32_e32 v14, 8, v29
	ds_write_b64 v14, v[16:17] offset:16384
	s_waitcnt vmcnt(0)
	ds_write_b64 v29, v[10:11] offset:24576
	ds_write_b64 v14, v[12:13] offset:24576
	;; [unrolled: 1-line block ×3, first 2 shown]
	v_xor_b32_e32 v10, 8, v27
	ds_write_b64 v10, v[24:25] offset:16384
	ds_write_b64 v27, v[18:19] offset:24576
	;; [unrolled: 1-line block ×3, first 2 shown]
	v_or_b32_e32 v10, v53, v67
	v_lshlrev_b32_e32 v10, 3, v10
	v_lshrrev_b32_e32 v12, 5, v57
	s_movk_i32 s6, 0xf8
	v_and_or_b32 v12, v10, s6, v12
	v_lshlrev_b32_e32 v43, 11, v1
	v_lshlrev_b32_e32 v20, 4, v12
	v_and_b32_e32 v21, 0x78, v10
	v_and_b32_e32 v22, 0x1000, v43
	v_lshlrev_b32_e32 v11, 2, v0
	v_xor_b32_e32 v10, v20, v21
	v_lshrrev_b32_e32 v12, 1, v57
	v_and_b32_e32 v11, 60, v11
	v_or_b32_e32 v10, v10, v22
	v_and_b32_e32 v23, 8, v12
	v_xor_b32_e32 v34, v10, v23
	v_lshl_or_b32 v10, v66, 6, v11
	v_lshlrev_b32_e32 v45, 1, v10
	v_or_b32_e32 v10, 32, v20
	v_xor_b32_e32 v10, v10, v21
	s_waitcnt lgkmcnt(0)
	s_barrier
	ds_read_b64 v[18:19], v34 offset:16384
	v_or_b32_e32 v10, v10, v22
	v_xor_b32_e32 v35, v10, v23
	v_or_b32_e32 v10, 64, v20
	v_xor_b32_e32 v10, v10, v21
	v_or_b32_e32 v10, v10, v22
	v_or_b32_e32 v20, 0x60, v20
	v_xor_b32_e32 v36, v10, v23
	ds_read2st64_b64 v[10:13], v45 offset0:72 offset1:73
	ds_read2st64_b64 v[14:17], v45 offset0:74 offset1:75
	v_xor_b32_e32 v24, v20, v21
	ds_read_b64 v[20:21], v35 offset:16384
	s_addc_u32 s5, s17, s1
	s_add_i32 s0, s51, s49
	s_waitcnt lgkmcnt(2)
	v_mfma_f32_16x16x16_bf16 a[0:3], v[18:19], v[10:11], 0
	s_add_i32 s17, s35, -1
	s_add_i32 s43, s0, s52
	s_add_i32 s0, s53, s50
	;; [unrolled: 1-line block ×3, first 2 shown]
	s_ashr_i32 s0, s17, 31
	s_mul_i32 s1, s17, s11
	s_mul_hi_u32 s2, s17, s10
	s_add_i32 s1, s2, s1
	s_mul_i32 s0, s0, s10
	v_or_b32_e32 v22, v24, v22
	s_add_i32 s1, s1, s0
	s_lshl_b64 s[2:3], s[42:43], 2
	v_xor_b32_e32 v46, v22, v23
	ds_read_b64 v[22:23], v36 offset:16384
	ds_read_b64 v[24:25], v46 offset:16384
	s_waitcnt lgkmcnt(2)
	v_mfma_f32_16x16x16_bf16 a[0:3], v[20:21], v[12:13], a[0:3]
	s_add_u32 s6, s22, s2
	s_addc_u32 s7, s23, s3
	s_lshl_b64 s[2:3], s[40:41], 2
	s_mul_i32 s0, s17, s10
	s_add_u32 s12, s6, s2
	s_addc_u32 s13, s7, s3
	s_lshl_b64 s[0:1], s[0:1], 2
	s_waitcnt lgkmcnt(1)
	v_mfma_f32_16x16x16_bf16 a[0:3], v[22:23], v[14:15], a[0:3]
	s_add_u32 s0, s12, s0
	s_addc_u32 s1, s13, s1
	s_load_dword s16, s[0:1], 0x0
	s_waitcnt lgkmcnt(0)
	v_mfma_f32_16x16x16_bf16 a[0:3], v[24:25], v[16:17], a[0:3]
	s_and_b64 vcc, exec, s[38:39]
	s_cbranch_vccz .LBB657_42
; %bb.32:
	v_lshlrev_b32_e32 v27, 1, v44
	s_and_b64 vcc, exec, s[18:19]
	s_cbranch_vccz .LBB657_43
; %bb.33:
	v_cmp_gt_i32_e32 vcc, s46, v27
	v_mov_b32_e32 v14, 0
	v_mov_b32_e32 v10, 0
	;; [unrolled: 1-line block ×5, first 2 shown]
	s_and_saveexec_b64 s[0:1], vcc
	s_cbranch_execz .LBB657_35
; %bb.34:
	v_mad_i64_i32 v[10:11], s[2:3], s31, v27, 0
	v_lshl_add_u64 v[10:11], v[10:11], 1, s[4:5]
	v_lshlrev_b32_e32 v12, 1, v26
	v_mov_b32_e32 v13, 0
	v_lshl_add_u64 v[10:11], v[10:11], 0, v[12:13]
	global_load_dwordx4 v[10:13], v[10:11], off
.LBB657_35:
	s_or_b64 exec, exec, s[0:1]
	v_or_b32_e32 v28, 1, v27
	v_cmp_gt_i32_e64 s[0:1], s46, v28
	v_mov_b32_e32 v15, 0
	v_mov_b32_e32 v16, 0
	;; [unrolled: 1-line block ×3, first 2 shown]
	s_and_saveexec_b64 s[2:3], s[0:1]
	s_cbranch_execz .LBB657_37
; %bb.36:
	v_mad_i64_i32 v[14:15], s[6:7], s31, v28, 0
	v_lshl_add_u64 v[14:15], v[14:15], 1, s[4:5]
	v_lshlrev_b32_e32 v16, 1, v26
	v_mov_b32_e32 v17, 0
	v_lshl_add_u64 v[14:15], v[14:15], 0, v[16:17]
	global_load_dwordx4 v[14:17], v[14:15], off
.LBB657_37:
	s_or_b64 exec, exec, s[2:3]
	v_mov_b32_e32 v25, 0
	v_mov_b32_e32 v18, 0
	;; [unrolled: 1-line block ×5, first 2 shown]
	s_and_saveexec_b64 s[2:3], vcc
	s_cbranch_execz .LBB657_39
; %bb.38:
	v_mad_i64_i32 v[18:19], s[6:7], s31, v27, 0
	v_lshl_add_u64 v[18:19], v[18:19], 1, s[4:5]
	v_lshlrev_b32_e32 v20, 1, v26
	v_mov_b32_e32 v21, 0
	v_lshl_add_u64 v[18:19], v[18:19], 0, v[20:21]
	global_load_dwordx4 v[18:21], v[18:19], off offset:128
.LBB657_39:
	s_or_b64 exec, exec, s[2:3]
	v_mov_b32_e32 v24, 0
	v_mov_b32_e32 v23, 0
	;; [unrolled: 1-line block ×3, first 2 shown]
	s_and_saveexec_b64 s[2:3], s[0:1]
	s_cbranch_execz .LBB657_41
; %bb.40:
	v_mad_i64_i32 v[22:23], s[0:1], s31, v28, 0
	v_lshl_add_u64 v[22:23], v[22:23], 1, s[4:5]
	v_lshlrev_b32_e32 v24, 1, v26
	v_mov_b32_e32 v25, 0
	v_lshl_add_u64 v[22:23], v[22:23], 0, v[24:25]
	global_load_dwordx4 v[22:25], v[22:23], off offset:128
.LBB657_41:
	s_or_b64 exec, exec, s[2:3]
	s_branch .LBB657_45
.LBB657_42:
                                        ; implicit-def: $vgpr13
                                        ; implicit-def: $vgpr17
                                        ; implicit-def: $vgpr21
                                        ; implicit-def: $vgpr25
	v_lshrrev_b32_e32 v27, 2, v57
	s_branch .LBB657_46
.LBB657_43:
                                        ; implicit-def: $vgpr13
                                        ; implicit-def: $vgpr17
                                        ; implicit-def: $vgpr21
                                        ; implicit-def: $vgpr25
	s_cbranch_execz .LBB657_45
; %bb.44:
	s_waitcnt vmcnt(0)
	v_mad_u64_u32 v[10:11], s[0:1], v27, s31, v[26:27]
	v_lshlrev_b32_e32 v27, 1, v10
	s_lshl_b32 s2, s31, 7
	s_and_b32 s1, s5, 0xffff
	s_mov_b32 s3, 0x20000
	s_mov_b32 s0, s4
	v_add_lshl_u32 v28, v10, s31, 1
	s_movk_i32 s6, 0x80
	buffer_load_dwordx4 v[10:13], v27, s[0:3], 0 offen
	buffer_load_dwordx4 v[18:21], v27, s[0:3], s6 offen
	;; [unrolled: 1-line block ×4, first 2 shown]
.LBB657_45:
	v_lshrrev_b32_e32 v27, 2, v57
	s_cbranch_execnz .LBB657_58
.LBB657_46:
	s_and_b64 vcc, exec, s[18:19]
	s_cbranch_vccz .LBB657_56
; %bb.47:
	s_waitcnt vmcnt(0)
	v_lshlrev_b32_e32 v15, 1, v44
	v_cmp_gt_i32_e32 vcc, s46, v15
	v_mov_b32_e32 v14, 0
	v_lshlrev_b32_e32 v22, 9, v44
	v_mov_b32_e32 v10, 0
	v_mov_b32_e32 v11, 0
	;; [unrolled: 1-line block ×4, first 2 shown]
	s_and_saveexec_b64 s[0:1], vcc
	s_cbranch_execz .LBB657_49
; %bb.48:
	v_mov_b32_e32 v23, 0
	v_lshl_add_u64 v[10:11], s[4:5], 0, v[22:23]
	v_lshlrev_b32_e32 v12, 1, v26
	v_mov_b32_e32 v13, v23
	v_lshl_add_u64 v[10:11], v[10:11], 0, v[12:13]
	global_load_dwordx4 v[10:13], v[10:11], off
.LBB657_49:
	s_or_b64 exec, exec, s[0:1]
	v_or_b32_e32 v15, 1, v15
	v_cmp_gt_i32_e64 s[0:1], s46, v15
	v_lshlrev_b32_e32 v28, 8, v15
	v_mov_b32_e32 v15, 0
	v_mov_b32_e32 v16, 0
	v_mov_b32_e32 v17, 0
	s_and_saveexec_b64 s[2:3], s[0:1]
	s_cbranch_execz .LBB657_51
; %bb.50:
	v_mov_b32_e32 v29, 0
	v_lshl_add_u64 v[14:15], s[4:5], 0, v[28:29]
	v_lshlrev_b32_e32 v16, 1, v26
	v_mov_b32_e32 v17, v29
	v_lshl_add_u64 v[14:15], v[14:15], 0, v[16:17]
	global_load_dwordx4 v[14:17], v[14:15], off
.LBB657_51:
	s_or_b64 exec, exec, s[2:3]
	v_mov_b32_e32 v25, 0
	v_mov_b32_e32 v18, 0
	;; [unrolled: 1-line block ×5, first 2 shown]
	s_and_saveexec_b64 s[2:3], vcc
	s_cbranch_execz .LBB657_53
; %bb.52:
	v_mov_b32_e32 v23, 0
	v_lshl_add_u64 v[18:19], s[4:5], 0, v[22:23]
	v_lshlrev_b32_e32 v22, 1, v26
	v_lshl_add_u64 v[18:19], v[18:19], 0, v[22:23]
	global_load_dwordx4 v[18:21], v[18:19], off offset:128
.LBB657_53:
	s_or_b64 exec, exec, s[2:3]
	v_mov_b32_e32 v24, 0
	v_mov_b32_e32 v23, 0
	;; [unrolled: 1-line block ×3, first 2 shown]
	s_and_saveexec_b64 s[2:3], s[0:1]
	s_cbranch_execz .LBB657_55
; %bb.54:
	v_mov_b32_e32 v29, 0
	v_lshl_add_u64 v[22:23], s[4:5], 0, v[28:29]
	v_lshlrev_b32_e32 v28, 1, v26
	v_lshl_add_u64 v[22:23], v[22:23], 0, v[28:29]
	global_load_dwordx4 v[22:25], v[22:23], off offset:128
.LBB657_55:
	s_or_b64 exec, exec, s[2:3]
	s_branch .LBB657_58
.LBB657_56:
                                        ; implicit-def: $vgpr13
                                        ; implicit-def: $vgpr17
                                        ; implicit-def: $vgpr21
                                        ; implicit-def: $vgpr25
	s_cbranch_execz .LBB657_58
; %bb.57:
	s_waitcnt vmcnt(0)
	v_lshlrev_b32_e32 v10, 1, v26
	v_lshl_or_b32 v26, v44, 9, v10
	s_and_b32 s5, s5, 0xffff
	s_mov_b32 s7, 0x20000
	s_movk_i32 s6, 0x4000
	s_movk_i32 s0, 0x80
	buffer_load_dwordx4 v[10:13], v26, s[4:7], 0 offen
	buffer_load_dwordx4 v[14:17], v26, s[4:7], 0 offen offset:256
	buffer_load_dwordx4 v[18:21], v26, s[4:7], s0 offen
	buffer_load_dwordx4 v[22:25], v26, s[4:7], s0 offen offset:256
.LBB657_58:
	v_and_b32_e32 v47, 12, v27
	ds_read2st64_b64 v[30:33], v45 offset0:76 offset1:77
	ds_read2st64_b64 v[26:29], v45 offset0:78 offset1:79
	ds_read_b64 v[40:41], v34 offset:24576
	ds_read_b64 v[38:39], v35 offset:24576
	ds_read_b64 v[36:37], v36 offset:24576
	ds_read_b64 v[34:35], v46 offset:24576
	v_and_b32_e32 v46, 6, v0
	v_xor_b32_e32 v44, v44, v46
	v_lshlrev_b32_e32 v44, 2, v44
	v_and_b32_e32 v48, 1, v0
	v_xor_b32_e32 v49, 0x440, v44
	v_cmp_eq_u32_e32 vcc, 0, v48
	s_mov_b32 s0, 0x1000504
	s_waitcnt vmcnt(0)
	v_perm_b32 v48, v18, v22, s0
	v_cndmask_b32_e32 v44, v49, v44, vcc
	v_lshl_or_b32 v44, v46, 10, v44
	v_perm_b32 v46, v10, v14, s0
	ds_write2st64_b32 v44, v46, v48 offset1:32
	v_xor_b32_e32 v46, 8, v44
	s_mov_b32 s1, 0x3020706
	v_perm_b32 v10, v10, v14, s1
	v_perm_b32 v14, v18, v22, s1
	v_add_u32_e32 v18, 0x80, v46
	ds_write2st64_b32 v18, v10, v14 offset1:32
	v_xor_b32_e32 v10, 16, v44
	v_perm_b32 v14, v11, v15, s0
	v_perm_b32 v18, v19, v23, s0
	ds_write2st64_b32 v10, v14, v18 offset0:1 offset1:33
	v_xor_b32_e32 v10, 24, v44
	v_perm_b32 v11, v11, v15, s1
	v_perm_b32 v14, v19, v23, s1
	v_add_u32_e32 v10, 0x80, v10
	ds_write2st64_b32 v10, v11, v14 offset0:1 offset1:33
	v_xor_b32_e32 v10, 32, v44
	v_perm_b32 v11, v12, v16, s0
	v_perm_b32 v14, v20, v24, s0
	ds_write2st64_b32 v10, v11, v14 offset0:2 offset1:34
	v_xor_b32_e32 v10, 40, v44
	v_perm_b32 v11, v12, v16, s1
	v_perm_b32 v12, v20, v24, s1
	v_add_u32_e32 v10, 0x80, v10
	ds_write2st64_b32 v10, v11, v12 offset0:2 offset1:34
	v_xor_b32_e32 v10, 48, v44
	v_perm_b32 v11, v13, v17, s0
	v_perm_b32 v12, v21, v25, s0
	ds_write2st64_b32 v10, v11, v12 offset0:3 offset1:35
	v_xor_b32_e32 v10, 56, v44
	v_or_b32_e32 v18, v47, v53
	v_perm_b32 v11, v13, v17, s1
	v_perm_b32 v12, v21, v25, s1
	v_add_u32_e32 v10, 0x80, v10
	v_cmp_gt_i32_e64 s[2:3], s46, v18
	v_mov_b32_e32 v20, 0
	v_mov_b32_e32 v25, 0
	ds_write2st64_b32 v10, v11, v12 offset0:3 offset1:35
	s_and_saveexec_b64 s[0:1], s[2:3]
	s_cbranch_execz .LBB657_60
; %bb.59:
	v_add_u32_e32 v10, s34, v18
	v_ashrrev_i32_e32 v11, 31, v10
	v_mul_lo_u32 v12, v11, s10
	v_mul_lo_u32 v13, v10, s11
	v_mad_u64_u32 v[10:11], s[4:5], v10, s10, 0
	v_add3_u32 v11, v11, v13, v12
	v_lshl_add_u64 v[10:11], v[10:11], 2, s[12:13]
	global_load_dword v10, v[10:11], off
	s_waitcnt vmcnt(0)
	v_sub_f32_e32 v10, s16, v10
	v_exp_f32_e32 v25, v10
.LBB657_60:
	s_or_b64 exec, exec, s[0:1]
	v_or_b32_e32 v23, 1, v18
	v_cmp_gt_i32_e64 s[4:5], s46, v23
	s_and_saveexec_b64 s[0:1], s[4:5]
	s_cbranch_execz .LBB657_62
; %bb.61:
	v_add_u32_e32 v10, s34, v23
	v_ashrrev_i32_e32 v11, 31, v10
	v_mul_lo_u32 v12, v11, s10
	v_mul_lo_u32 v13, v10, s11
	v_mad_u64_u32 v[10:11], s[6:7], v10, s10, 0
	v_add3_u32 v11, v11, v13, v12
	v_lshl_add_u64 v[10:11], v[10:11], 2, s[12:13]
	global_load_dword v10, v[10:11], off
	s_waitcnt vmcnt(0)
	v_sub_f32_e32 v10, s16, v10
	v_exp_f32_e32 v20, v10
.LBB657_62:
	s_or_b64 exec, exec, s[0:1]
	v_or_b32_e32 v22, 2, v18
	v_cmp_gt_i32_e64 s[0:1], s46, v22
	v_mov_b32_e32 v19, 0
	v_mov_b32_e32 v24, 0
	s_and_saveexec_b64 s[6:7], s[0:1]
	s_cbranch_execz .LBB657_64
; %bb.63:
	v_add_u32_e32 v10, s34, v22
	v_ashrrev_i32_e32 v11, 31, v10
	v_mul_lo_u32 v12, v11, s10
	v_mul_lo_u32 v13, v10, s11
	v_mad_u64_u32 v[10:11], s[18:19], v10, s10, 0
	v_add3_u32 v11, v11, v13, v12
	v_lshl_add_u64 v[10:11], v[10:11], 2, s[12:13]
	global_load_dword v10, v[10:11], off
	s_waitcnt vmcnt(0)
	v_sub_f32_e32 v10, s16, v10
	v_exp_f32_e32 v24, v10
.LBB657_64:
	s_or_b64 exec, exec, s[6:7]
	v_or_b32_e32 v21, 3, v18
	v_cmp_gt_i32_e32 vcc, s46, v21
	s_and_saveexec_b64 s[6:7], vcc
	s_cbranch_execz .LBB657_66
; %bb.65:
	v_add_u32_e32 v10, s34, v21
	v_ashrrev_i32_e32 v11, 31, v10
	v_mul_lo_u32 v12, v11, s10
	v_mul_lo_u32 v13, v10, s11
	v_mad_u64_u32 v[10:11], s[10:11], v10, s10, 0
	v_add3_u32 v11, v11, v13, v12
	v_lshl_add_u64 v[10:11], v[10:11], 2, s[12:13]
	global_load_dword v10, v[10:11], off
	s_waitcnt vmcnt(0)
	v_sub_f32_e32 v10, s16, v10
	v_exp_f32_e32 v19, v10
.LBB657_66:
	s_or_b64 exec, exec, s[6:7]
	s_waitcnt lgkmcnt(11)
	v_mfma_f32_16x16x16_bf16 a[0:3], v[40:41], v[30:31], a[0:3]
	s_add_u32 s6, s20, s36
	v_ashrrev_i32_e32 v59, 31, v58
	s_addc_u32 s7, s21, s37
	s_waitcnt lgkmcnt(10)
	v_mfma_f32_16x16x16_bf16 a[0:3], v[38:39], v[32:33], a[0:3]
	v_lshlrev_b64 v[10:11], 1, v[58:59]
	v_lshl_add_u64 v[14:15], s[6:7], 0, v[10:11]
	s_add_u32 s6, s14, s36
	s_waitcnt lgkmcnt(9)
	v_mfma_f32_16x16x16_bf16 a[0:3], v[36:37], v[26:27], a[0:3]
	s_addc_u32 s7, s15, s37
	v_lshl_add_u64 v[16:17], s[6:7], 0, v[10:11]
	v_mov_b32_e32 v26, 0
	s_waitcnt lgkmcnt(8)
	v_mfma_f32_16x16x16_bf16 a[0:3], v[34:35], v[28:29], a[0:3]
	v_mov_b32_e32 v27, 0
	s_nop 5
	v_accvgpr_read_b32 v13, a3
	v_accvgpr_read_b32 v12, a2
	;; [unrolled: 1-line block ×4, first 2 shown]
	s_and_saveexec_b64 s[6:7], s[2:3]
	s_cbranch_execz .LBB657_68
; %bb.67:
	v_lshlrev_b32_e32 v28, 8, v18
	v_mov_b32_e32 v29, 0
	v_lshl_add_u64 v[30:31], v[14:15], 0, v[28:29]
	global_load_ushort v27, v[30:31], off
	v_lshl_add_u64 v[28:29], v[16:17], 0, v[28:29]
	s_waitcnt vmcnt(0)
	v_lshlrev_b32_e32 v27, 16, v27
	v_sub_f32_e32 v10, v27, v10
	global_store_short_d16_hi v[28:29], v10, off
	v_mul_f32_e32 v10, v25, v10
	v_lshrrev_b32_e32 v27, 16, v10
.LBB657_68:
	s_or_b64 exec, exec, s[6:7]
	s_and_saveexec_b64 s[2:3], s[4:5]
	s_cbranch_execz .LBB657_70
; %bb.69:
	v_lshlrev_b32_e32 v28, 8, v23
	v_mov_b32_e32 v29, 0
	v_lshl_add_u64 v[30:31], v[14:15], 0, v[28:29]
	global_load_ushort v10, v[30:31], off
	v_lshl_add_u64 v[28:29], v[16:17], 0, v[28:29]
	s_waitcnt vmcnt(0)
	v_lshlrev_b32_e32 v10, 16, v10
	v_sub_f32_e32 v10, v10, v11
	global_store_short_d16_hi v[28:29], v10, off
	v_mul_f32_e32 v10, v20, v10
	v_lshrrev_b32_e32 v26, 16, v10
.LBB657_70:
	s_or_b64 exec, exec, s[2:3]
	v_mov_b32_e32 v11, 0
	v_mov_b32_e32 v20, 0
	s_and_saveexec_b64 s[2:3], s[0:1]
	s_cbranch_execz .LBB657_72
; %bb.71:
	v_lshlrev_b32_e32 v22, 8, v22
	v_mov_b32_e32 v23, 0
	v_lshl_add_u64 v[28:29], v[14:15], 0, v[22:23]
	global_load_ushort v10, v[28:29], off
	v_lshl_add_u64 v[22:23], v[16:17], 0, v[22:23]
	s_waitcnt vmcnt(0)
	v_lshlrev_b32_e32 v10, 16, v10
	v_sub_f32_e32 v10, v10, v12
	global_store_short_d16_hi v[22:23], v10, off
	v_mul_f32_e32 v10, v24, v10
	v_lshrrev_b32_e32 v20, 16, v10
.LBB657_72:
	s_or_b64 exec, exec, s[2:3]
	v_or_b32_e32 v10, 0x9800, v45
	s_and_saveexec_b64 s[0:1], vcc
	s_cbranch_execz .LBB657_74
; %bb.73:
	v_lshlrev_b32_e32 v22, 8, v21
	v_mov_b32_e32 v23, 0
	v_lshl_add_u64 v[14:15], v[14:15], 0, v[22:23]
	global_load_ushort v11, v[14:15], off
	v_lshl_add_u64 v[14:15], v[16:17], 0, v[22:23]
	s_waitcnt vmcnt(0)
	v_lshlrev_b32_e32 v11, 16, v11
	v_sub_f32_e32 v11, v11, v13
	global_store_short_d16_hi v[14:15], v11, off
	v_mul_f32_e32 v11, v19, v11
	v_lshrrev_b32_e32 v11, 16, v11
.LBB657_74:
	s_or_b64 exec, exec, s[0:1]
	s_mov_b32 s0, 0x5040100
	v_perm_b32 v13, v11, v20, s0
	v_lshlrev_b32_e32 v11, 1, v42
	v_perm_b32 v12, v26, v27, s0
	v_lshl_or_b32 v11, v18, 5, v11
	s_movk_i32 s2, 0xff
	ds_write_b64 v11, v[12:13] offset:38912
	v_and_b32_e32 v11, 7, v0
	v_cmp_lt_u32_e32 vcc, s2, v0
	v_and_b32_e32 v12, 8, v0
	v_lshlrev_b32_e32 v19, 3, v11
	v_lshlrev_b32_e32 v28, 7, v11
	v_cndmask_b32_e64 v11, 0, 1, vcc
	v_lshrrev_b32_e32 v0, 1, v0
	v_lshlrev_b32_e32 v24, 13, v11
	v_lshlrev_b32_e32 v11, 3, v1
	v_and_b32_e32 v0, 24, v0
	v_xor_b32_e32 v13, v11, v0
	v_or_b32_e32 v14, 0x440, v13
	v_cmp_eq_u32_e32 vcc, 0, v12
	s_waitcnt lgkmcnt(0)
	s_barrier
	v_cndmask_b32_e32 v12, v14, v13, vcc
	v_or_b32_e32 v12, v12, v43
	v_xor_b32_e32 v29, v12, v19
	v_or_b32_e32 v12, 32, v0
	v_xor_b32_e32 v12, v11, v12
	v_or_b32_e32 v13, 0x440, v12
	v_cndmask_b32_e32 v12, v13, v12, vcc
	v_or_b32_e32 v12, v12, v43
	v_xor_b32_e32 v30, v12, v19
	v_or_b32_e32 v12, 64, v0
	v_xor_b32_e32 v12, v11, v12
	v_xor_b32_e32 v13, 0x440, v12
	v_cndmask_b32_e32 v12, v13, v12, vcc
	v_add3_u32 v16, v24, v29, v28
	v_or_b32_e32 v12, v12, v43
	v_or_b32_e32 v0, 0x60, v0
	v_xor_b32_e32 v31, v12, v19
	ds_read2st64_b64 v[12:15], v10 offset1:1
	ds_read2st64_b64 v[20:23], v10 offset0:2 offset1:3
	v_xor_b32_e32 v0, v11, v0
	ds_read_b64 v[10:11], v16
	v_add3_u32 v17, v24, v30, v28
	v_xor_b32_e32 v16, 0x440, v0
	v_cndmask_b32_e32 v0, v16, v0, vcc
	ds_read_b64 v[16:17], v17
	s_mul_i32 s0, s17, s29
	s_mul_hi_i32 s1, s17, s29
	s_add_u32 s0, s0, s33
	v_or_b32_e32 v0, v0, v43
	s_waitcnt lgkmcnt(1)
	v_mfma_f32_16x16x16_bf16 a[0:3], v[10:11], v[12:13], 0
	s_addc_u32 s1, s1, s48
	v_xor_b32_e32 v32, v0, v19
	s_lshl_b64 s[0:1], s[0:1], 9
	v_add3_u32 v25, v24, v31, v28
	v_add3_u32 v0, v24, v32, v28
	s_add_u32 s0, s8, s0
	ds_read_b64 v[24:25], v25
	ds_read_b64 v[26:27], v0
	s_addc_u32 s1, s9, s1
	v_lshlrev_b32_e32 v0, 2, v18
	s_waitcnt lgkmcnt(2)
	v_mfma_f32_16x16x16_bf16 a[0:3], v[16:17], v[14:15], a[0:3]
	global_load_dwordx4 v[16:19], v0, s[0:1]
	v_add_u32_e32 v0, v29, v28
	v_lshlrev_b32_e32 v10, 6, v1
	ds_read_b64 v[0:1], v0 offset:8192
	v_lshlrev_b32_e32 v11, 2, v47
	s_movk_i32 s2, 0x100
	v_or3_b32 v10, v10, v11, s2
	v_add_u32_e32 v11, v30, v28
	v_add_u32_e32 v29, v31, v28
	;; [unrolled: 1-line block ×3, first 2 shown]
	s_waitcnt lgkmcnt(2)
	v_mfma_f32_16x16x16_bf16 a[0:3], v[24:25], v[20:21], a[0:3]
	ds_read_b64 v[24:25], v11 offset:8192
	ds_read_b64 v[28:29], v29 offset:8192
	;; [unrolled: 1-line block ×3, first 2 shown]
	s_waitcnt vmcnt(0)
	v_exp_f32_e32 v16, v16
	s_waitcnt lgkmcnt(3)
	v_mfma_f32_16x16x16_bf16 a[4:7], v[0:1], v[12:13], 0
	global_load_dwordx4 v[10:13], v10, s[0:1]
	v_exp_f32_e32 v0, s16
	v_exp_f32_e32 v17, v17
	v_mfma_f32_16x16x16_bf16 a[0:3], v[26:27], v[22:23], a[0:3]
	v_exp_f32_e32 v18, v18
	v_exp_f32_e32 v19, v19
	v_pk_mul_f32 v[16:17], v[0:1], v[16:17] op_sel_hi:[0,1]
	v_pk_mul_f32 v[18:19], v[0:1], v[18:19] op_sel_hi:[0,1]
	s_waitcnt vmcnt(0)
	v_exp_f32_e32 v10, v10
	s_nop 0
	v_accvgpr_read_b32 v33, a1
	v_accvgpr_read_b32 v27, a3
	;; [unrolled: 1-line block ×4, first 2 shown]
	s_waitcnt lgkmcnt(2)
	v_mfma_f32_16x16x16_bf16 a[0:3], v[24:25], v[14:15], a[4:7]
	v_mov_b32_e32 v14, v13
	v_mov_b32_e32 v13, v12
	;; [unrolled: 1-line block ×3, first 2 shown]
	s_waitcnt lgkmcnt(1)
	v_mfma_f32_16x16x16_bf16 a[0:3], v[28:29], v[20:21], a[0:3]
	v_exp_f32_e32 v11, v12
	v_exp_f32_e32 v12, v13
	;; [unrolled: 1-line block ×3, first 2 shown]
	s_waitcnt lgkmcnt(0)
	v_mfma_f32_16x16x16_bf16 a[0:3], v[30:31], v[22:23], a[0:3]
	v_pk_fma_f32 v[6:7], v[6:7], v[16:17], v[32:33]
	v_pk_mul_f32 v[10:11], v[0:1], v[10:11] op_sel_hi:[0,1]
	v_pk_mul_f32 v[0:1], v[0:1], v[12:13] op_sel_hi:[0,1]
	v_pk_fma_f32 v[8:9], v[8:9], v[18:19], v[26:27]
	s_nop 2
	v_accvgpr_read_b32 v17, a1
	v_accvgpr_read_b32 v15, a3
	;; [unrolled: 1-line block ×4, first 2 shown]
	v_pk_fma_f32 v[2:3], v[2:3], v[10:11], v[16:17]
	v_pk_fma_f32 v[4:5], v[4:5], v[0:1], v[14:15]
.LBB657_75:
	s_add_u32 s0, s24, s26
	s_addc_u32 s1, s25, s27
	v_lshl_add_u64 v[0:1], v[54:55], 2, s[0:1]
	v_mov_b32_e32 v57, 0
	v_lshl_add_u64 v[0:1], v[0:1], 0, v[56:57]
	s_waitcnt vmcnt(1)
	global_store_dwordx4 v[0:1], v[6:9], off
	s_waitcnt vmcnt(1)
	global_store_dwordx4 v[0:1], v[2:5], off offset:256
	s_endpgm
	.section	.rodata,"a",@progbits
	.p2align	6, 0x0
	.amdhsa_kernel _ZN12_GLOBAL__N_139chunk_gated_delta_rule_fwd_h_hip_kernelILi16ELb1ELb1ELb1ELb1ELb1ELb1ELb0ELb0EEEvPK12hip_bfloat16S3_S3_PKfS5_PKvPS1_S8_PvPKiSB_iiiiilll
		.amdhsa_group_segment_fixed_size 40960
		.amdhsa_private_segment_fixed_size 0
		.amdhsa_kernarg_size 136
		.amdhsa_user_sgpr_count 2
		.amdhsa_user_sgpr_dispatch_ptr 0
		.amdhsa_user_sgpr_queue_ptr 0
		.amdhsa_user_sgpr_kernarg_segment_ptr 1
		.amdhsa_user_sgpr_dispatch_id 0
		.amdhsa_user_sgpr_kernarg_preload_length 0
		.amdhsa_user_sgpr_kernarg_preload_offset 0
		.amdhsa_user_sgpr_private_segment_size 0
		.amdhsa_uses_dynamic_stack 0
		.amdhsa_enable_private_segment 0
		.amdhsa_system_sgpr_workgroup_id_x 1
		.amdhsa_system_sgpr_workgroup_id_y 1
		.amdhsa_system_sgpr_workgroup_id_z 0
		.amdhsa_system_sgpr_workgroup_info 0
		.amdhsa_system_vgpr_workitem_id 0
		.amdhsa_next_free_vgpr 132
		.amdhsa_next_free_sgpr 70
		.amdhsa_accum_offset 120
		.amdhsa_reserve_vcc 1
		.amdhsa_float_round_mode_32 0
		.amdhsa_float_round_mode_16_64 0
		.amdhsa_float_denorm_mode_32 3
		.amdhsa_float_denorm_mode_16_64 3
		.amdhsa_dx10_clamp 1
		.amdhsa_ieee_mode 1
		.amdhsa_fp16_overflow 0
		.amdhsa_tg_split 0
		.amdhsa_exception_fp_ieee_invalid_op 0
		.amdhsa_exception_fp_denorm_src 0
		.amdhsa_exception_fp_ieee_div_zero 0
		.amdhsa_exception_fp_ieee_overflow 0
		.amdhsa_exception_fp_ieee_underflow 0
		.amdhsa_exception_fp_ieee_inexact 0
		.amdhsa_exception_int_div_zero 0
	.end_amdhsa_kernel
	.section	.text._ZN12_GLOBAL__N_139chunk_gated_delta_rule_fwd_h_hip_kernelILi16ELb1ELb1ELb1ELb1ELb1ELb1ELb0ELb0EEEvPK12hip_bfloat16S3_S3_PKfS5_PKvPS1_S8_PvPKiSB_iiiiilll,"axG",@progbits,_ZN12_GLOBAL__N_139chunk_gated_delta_rule_fwd_h_hip_kernelILi16ELb1ELb1ELb1ELb1ELb1ELb1ELb0ELb0EEEvPK12hip_bfloat16S3_S3_PKfS5_PKvPS1_S8_PvPKiSB_iiiiilll,comdat
.Lfunc_end657:
	.size	_ZN12_GLOBAL__N_139chunk_gated_delta_rule_fwd_h_hip_kernelILi16ELb1ELb1ELb1ELb1ELb1ELb1ELb0ELb0EEEvPK12hip_bfloat16S3_S3_PKfS5_PKvPS1_S8_PvPKiSB_iiiiilll, .Lfunc_end657-_ZN12_GLOBAL__N_139chunk_gated_delta_rule_fwd_h_hip_kernelILi16ELb1ELb1ELb1ELb1ELb1ELb1ELb0ELb0EEEvPK12hip_bfloat16S3_S3_PKfS5_PKvPS1_S8_PvPKiSB_iiiiilll
                                        ; -- End function
	.section	.AMDGPU.csdata,"",@progbits
; Kernel info:
; codeLenInByte = 8016
; NumSgprs: 76
; NumVgprs: 118
; NumAgprs: 12
; TotalNumVgprs: 132
; ScratchSize: 0
; MemoryBound: 0
; FloatMode: 240
; IeeeMode: 1
; LDSByteSize: 40960 bytes/workgroup (compile time only)
; SGPRBlocks: 9
; VGPRBlocks: 16
; NumSGPRsForWavesPerEU: 76
; NumVGPRsForWavesPerEU: 132
; AccumOffset: 120
; Occupancy: 1
; WaveLimiterHint : 1
; COMPUTE_PGM_RSRC2:SCRATCH_EN: 0
; COMPUTE_PGM_RSRC2:USER_SGPR: 2
; COMPUTE_PGM_RSRC2:TRAP_HANDLER: 0
; COMPUTE_PGM_RSRC2:TGID_X_EN: 1
; COMPUTE_PGM_RSRC2:TGID_Y_EN: 1
; COMPUTE_PGM_RSRC2:TGID_Z_EN: 0
; COMPUTE_PGM_RSRC2:TIDIG_COMP_CNT: 0
; COMPUTE_PGM_RSRC3_GFX90A:ACCUM_OFFSET: 29
; COMPUTE_PGM_RSRC3_GFX90A:TG_SPLIT: 0
	.section	.text._ZN12_GLOBAL__N_139chunk_gated_delta_rule_fwd_h_hip_kernelILi16ELb1ELb1ELb0ELb1ELb1ELb1ELb0ELb0EEEvPK12hip_bfloat16S3_S3_PKfS5_PKvPS1_S8_PvPKiSB_iiiiilll,"axG",@progbits,_ZN12_GLOBAL__N_139chunk_gated_delta_rule_fwd_h_hip_kernelILi16ELb1ELb1ELb0ELb1ELb1ELb1ELb0ELb0EEEvPK12hip_bfloat16S3_S3_PKfS5_PKvPS1_S8_PvPKiSB_iiiiilll,comdat
	.globl	_ZN12_GLOBAL__N_139chunk_gated_delta_rule_fwd_h_hip_kernelILi16ELb1ELb1ELb0ELb1ELb1ELb1ELb0ELb0EEEvPK12hip_bfloat16S3_S3_PKfS5_PKvPS1_S8_PvPKiSB_iiiiilll ; -- Begin function _ZN12_GLOBAL__N_139chunk_gated_delta_rule_fwd_h_hip_kernelILi16ELb1ELb1ELb0ELb1ELb1ELb1ELb0ELb0EEEvPK12hip_bfloat16S3_S3_PKfS5_PKvPS1_S8_PvPKiSB_iiiiilll
	.p2align	8
	.type	_ZN12_GLOBAL__N_139chunk_gated_delta_rule_fwd_h_hip_kernelILi16ELb1ELb1ELb0ELb1ELb1ELb1ELb0ELb0EEEvPK12hip_bfloat16S3_S3_PKfS5_PKvPS1_S8_PvPKiSB_iiiiilll,@function
_ZN12_GLOBAL__N_139chunk_gated_delta_rule_fwd_h_hip_kernelILi16ELb1ELb1ELb0ELb1ELb1ELb1ELb0ELb0EEEvPK12hip_bfloat16S3_S3_PKfS5_PKvPS1_S8_PvPKiSB_iiiiilll: ; @_ZN12_GLOBAL__N_139chunk_gated_delta_rule_fwd_h_hip_kernelILi16ELb1ELb1ELb0ELb1ELb1ELb1ELb0ELb0EEEvPK12hip_bfloat16S3_S3_PKfS5_PKvPS1_S8_PvPKiSB_iiiiilll
; %bb.0:
	s_load_dwordx4 s[16:19], s[0:1], 0x5c
	s_load_dwordx4 s[24:27], s[0:1], 0x70
	s_abs_i32 s7, s3
	s_ashr_i32 s6, s3, 31
	s_load_dwordx4 s[12:15], s[0:1], 0x40
	s_load_dwordx2 s[4:5], s[0:1], 0x50
	s_waitcnt lgkmcnt(0)
	s_abs_i32 s10, s17
	v_cvt_f32_u32_e32 v1, s10
	s_sub_i32 s8, 0, s10
	s_ashr_i32 s11, s17, 31
	s_xor_b32 s6, s6, s11
	v_rcp_iflag_f32_e32 v1, v1
	v_and_b32_e32 v65, 15, v0
	v_bfe_u32 v64, v0, 4, 2
	v_mov_b32_e32 v57, 0
	v_mul_f32_e32 v1, 0x4f7ffffe, v1
	v_cvt_u32_f32_e32 v1, v1
	v_lshlrev_b32_e32 v66, 3, v0
	v_readfirstlane_b32 s9, v1
	s_mul_i32 s8, s8, s9
	s_mul_hi_u32 s8, s9, s8
	s_add_i32 s9, s9, s8
	s_mul_hi_u32 s8, s7, s9
	s_mul_i32 s9, s8, s10
	s_sub_i32 s7, s7, s9
	s_add_i32 s20, s8, 1
	s_sub_i32 s9, s7, s10
	s_cmp_ge_u32 s7, s10
	s_cselect_b32 s8, s20, s8
	s_cselect_b32 s7, s9, s7
	s_add_i32 s9, s8, 1
	s_cmp_ge_u32 s7, s10
	s_cselect_b32 s7, s9, s8
	s_xor_b32 s7, s7, s6
	s_sub_i32 s28, s7, s6
	s_mul_i32 s36, s28, s17
	s_ashr_i32 s29, s28, 31
	s_sub_i32 s33, s3, s36
	s_lshl_b64 s[6:7], s[28:29], 2
	s_add_u32 s8, s14, s6
	s_addc_u32 s9, s15, s7
	s_add_u32 s30, s4, s6
	s_addc_u32 s31, s5, s7
	s_abs_i32 s3, s18
	v_cvt_f32_u32_e32 v1, s3
	s_load_dwordx2 s[34:35], s[8:9], 0x0
	s_sub_i32 s5, 0, s3
	s_lshl_b32 s2, s2, 4
	v_rcp_iflag_f32_e32 v1, v1
	s_load_dwordx4 s[20:23], s[0:1], 0x20
	s_load_dwordx2 s[40:41], s[0:1], 0x30
	s_waitcnt lgkmcnt(0)
	s_sub_i32 s54, s35, s34
	s_ashr_i32 s4, s54, 31
	v_mul_f32_e32 v1, 0x4f7ffffe, v1
	v_cvt_u32_f32_e32 v1, v1
	s_lshr_b32 s4, s4, 26
	s_add_i32 s4, s54, s4
	s_ashr_i32 s53, s4, 6
	v_readfirstlane_b32 s6, v1
	s_mul_i32 s5, s5, s6
	s_mul_hi_u32 s5, s6, s5
	s_add_i32 s6, s6, s5
	s_mul_hi_u32 s5, s10, s6
	s_mul_i32 s6, s5, s3
	s_ashr_i32 s4, s18, 31
	s_sub_i32 s6, s10, s6
	s_xor_b32 s4, s11, s4
	s_add_i32 s7, s5, 1
	s_sub_i32 s8, s6, s3
	s_cmp_ge_u32 s6, s3
	s_cselect_b32 s5, s7, s5
	s_cselect_b32 s6, s8, s6
	s_add_i32 s7, s5, 1
	s_cmp_ge_u32 s6, s3
	s_cselect_b32 s3, s7, s5
	s_xor_b32 s3, s3, s4
	s_sub_i32 s3, s3, s4
	s_abs_i32 s4, s3
	v_cvt_f32_u32_e32 v1, s4
	s_sub_i32 s6, 0, s4
	s_abs_i32 s5, s33
	s_xor_b32 s3, s33, s3
	v_rcp_iflag_f32_e32 v2, v1
	s_ashr_i32 s3, s3, 31
	v_lshrrev_b32_e32 v1, 6, v0
	v_or_b32_e32 v58, s2, v65
	v_mul_f32_e32 v2, 0x4f7ffffe, v2
	v_cvt_u32_f32_e32 v2, v2
	v_lshlrev_b32_e32 v53, 4, v1
	v_lshlrev_b32_e32 v54, 7, v58
	v_lshl_or_b32 v68, v64, 2, v53
	v_readfirstlane_b32 s7, v2
	s_mul_i32 s6, s6, s7
	s_mul_hi_u32 s6, s7, s6
	s_add_i32 s7, s7, s6
	s_mul_hi_u32 s6, s5, s7
	s_mul_i32 s7, s6, s4
	s_sub_i32 s5, s5, s7
	s_add_i32 s7, s6, 1
	s_sub_i32 s8, s5, s4
	s_cmp_ge_u32 s5, s4
	s_cselect_b32 s6, s7, s6
	s_cselect_b32 s5, s8, s5
	s_add_i32 s7, s6, 1
	s_cmp_ge_u32 s5, s4
	s_cselect_b32 s4, s7, s6
	s_xor_b32 s4, s4, s3
	s_sub_i32 s55, s4, s3
	s_ashr_i32 s46, s33, 31
	s_mul_hi_i32 s3, s28, s17
	s_add_u32 s4, s36, s33
	s_addc_u32 s5, s3, s46
	s_lshl_b64 s[14:15], s[4:5], 16
	s_add_u32 s4, s22, s14
	s_addc_u32 s5, s23, s15
	v_ashrrev_i32_e32 v55, 31, v54
	v_lshl_add_u64 v[2:3], v[54:55], 2, s[4:5]
	v_lshlrev_b32_e32 v56, 2, v68
	v_lshl_add_u64 v[10:11], v[2:3], 0, v[56:57]
	global_load_dwordx4 v[6:9], v[10:11], off
	global_load_dwordx4 v[2:5], v[10:11], off offset:256
	s_load_dwordx8 s[4:11], s[0:1], 0x0
	s_load_dwordx2 s[22:23], s[0:1], 0x80
	s_load_dword s56, s[30:31], 0x0
	v_and_b32_e32 v57, 63, v0
	v_or_b32_e32 v69, 64, v68
	s_cmp_lt_i32 s54, 64
	s_mul_hi_i32 s57, s33, s16
	s_mul_i32 s58, s33, s16
	v_lshrrev_b32_e32 v67, 3, v57
	s_mul_i32 s47, s28, s25
	s_mul_hi_u32 s49, s28, s24
	s_mul_i32 s50, s29, s24
	s_mul_i32 s38, s28, s24
	;; [unrolled: 1-line block ×3, first 2 shown]
	s_mul_hi_u32 s51, s33, s26
	s_mul_i32 s52, s46, s26
	s_mul_i32 s36, s33, s26
	s_cbranch_scc1 .LBB658_18
; %bb.1:
	s_ashr_i32 s1, s34, 31
	s_add_u32 s0, s58, s34
	s_addc_u32 s1, s57, s1
	s_lshl_b64 s[0:1], s[0:1], 8
	v_and_b32_e32 v71, 56, v66
	s_waitcnt lgkmcnt(0)
	s_add_u32 s24, s6, s0
	v_lshl_or_b32 v70, v1, 3, v67
	v_lshlrev_b32_e32 v10, 1, v71
	s_addc_u32 s0, s7, s1
	v_lshl_or_b32 v72, v70, 8, v10
	s_and_b32 s25, s0, 0xffff
	s_mov_b32 s27, 0x20000
	s_movk_i32 s26, 0x4000
	s_movk_i32 s0, 0x80
	v_or_b32_e32 v73, 0x2000, v72
	buffer_load_dwordx4 v[12:15], v72, s[24:27], 0 offen
	buffer_load_dwordx4 v[16:19], v72, s[24:27], s0 offen
	;; [unrolled: 1-line block ×4, first 2 shown]
	v_lshlrev_b32_e32 v11, 3, v70
	v_and_or_b32 v29, v0, 7, v11
	v_and_b32_e32 v11, 0x78, v11
	v_lshlrev_b32_e32 v29, 4, v29
	v_xor_b32_e32 v74, v29, v11
	v_mul_lo_u32 v28, v70, s19
	v_or_b32_e32 v75, 0x1000, v74
	v_xor_b32_e32 v11, 8, v74
	s_cmpk_eq_i32 s19, 0x80
	s_mov_b32 s59, s34
	v_xor_b32_e32 v29, 8, v75
	s_cselect_b64 s[0:1], -1, 0
	s_cmpk_lg_i32 s19, 0x80
	s_waitcnt vmcnt(3)
	ds_write_b64 v74, v[12:13] offset:16384
	ds_write_b64 v11, v[14:15] offset:16384
	s_waitcnt vmcnt(2)
	ds_write_b64 v74, v[16:17] offset:24576
	ds_write_b64 v11, v[18:19] offset:24576
	;; [unrolled: 3-line block ×4, first 2 shown]
	v_lshl_add_u32 v11, v28, 1, v71
	s_cbranch_scc0 .LBB658_3
; %bb.2:
	v_lshlrev_b32_e32 v13, 1, v11
	v_add_lshl_u32 v12, v11, s19, 1
	s_lshl_b32 s26, s19, 7
	v_lshl_or_b32 v10, v70, 9, v10
	s_cbranch_execz .LBB658_4
	s_branch .LBB658_5
.LBB658_3:
                                        ; implicit-def: $vgpr12
                                        ; implicit-def: $vgpr13
                                        ; implicit-def: $sgpr26
	v_lshl_or_b32 v10, v70, 9, v10
.LBB658_4:
	v_or_b32_e32 v12, 0x100, v10
	s_movk_i32 s26, 0x4000
	v_mov_b32_e32 v13, v10
.LBB658_5:
	s_mul_i32 s24, s34, s18
	s_ashr_i32 s60, s55, 31
	s_mul_hi_i32 s3, s34, s18
	s_add_u32 s24, s24, s55
	s_addc_u32 s25, s3, s60
	s_lshl_b64 s[24:25], s[24:25], 8
	s_add_u32 s24, s4, s24
	s_addc_u32 s3, s5, s25
	s_and_b32 s25, s3, 0xffff
	s_movk_i32 s61, 0x80
	buffer_load_dwordx4 v[14:17], v13, s[24:27], 0 offen
	buffer_load_dwordx4 v[18:21], v13, s[24:27], s61 offen
	;; [unrolled: 1-line block ×4, first 2 shown]
	v_and_b32_e32 v12, 6, v0
	v_lshlrev_b32_e32 v30, 2, v65
	v_lshlrev_b32_e32 v31, 3, v65
	v_xor_b32_e32 v35, v70, v12
	v_and_b32_e32 v13, 1, v0
	v_lshl_or_b32 v31, v68, 5, v31
	v_xor_b32_e32 v36, v68, v30
	v_lshlrev_b32_e32 v35, 2, v35
	s_add_i32 s3, s49, s47
	v_or_b32_e32 v76, 0x9000, v31
	v_or_b32_e32 v77, 0x9800, v31
	v_lshlrev_b32_e32 v31, 1, v36
	v_xor_b32_e32 v36, 0x440, v35
	v_cmp_eq_u32_e32 vcc, 0, v13
	s_add_i32 s24, s51, s48
	s_add_i32 s39, s3, s50
	v_cndmask_b32_e32 v13, v36, v35, vcc
	s_add_i32 s37, s24, s52
	s_lshl_b64 s[24:25], s[38:39], 2
	s_mov_b32 s62, 0x1000504
	s_mov_b32 s63, 0x3020706
	v_lshlrev_b32_e32 v32, 8, v65
	s_mov_b32 s26, 0x8000
	v_xor_b32_e32 v30, v69, v30
	v_lshl_or_b32 v12, v12, 10, v13
	s_add_u32 s3, s10, s24
	v_or_b32_e32 v33, v53, v65
	v_lshlrev_b32_e32 v30, 1, v30
	v_or3_b32 v78, v31, v32, s26
	v_xor_b32_e32 v13, 8, v12
	v_xor_b32_e32 v31, 24, v12
	;; [unrolled: 1-line block ×4, first 2 shown]
	s_addc_u32 s28, s11, s25
	s_lshl_b64 s[24:25], s[36:37], 2
	v_or3_b32 v79, v30, v32, s26
	v_xor_b32_e32 v30, 16, v12
	v_xor_b32_e32 v32, 32, v12
	;; [unrolled: 1-line block ×3, first 2 shown]
	v_add_u32_e32 v13, 0x80, v13
	v_add_u32_e32 v31, 0x80, v31
	;; [unrolled: 1-line block ×4, first 2 shown]
	s_add_u32 s42, s3, s24
	s_movk_i32 s3, 0xf8
	s_addc_u32 s43, s28, s25
	v_ashrrev_i32_e32 v59, 31, v58
	s_lshl_b32 s30, s19, 7
	v_lshrrev_b32_e32 v34, 2, v57
	s_mov_b32 s64, 0
	s_waitcnt vmcnt(1)
	v_perm_b32 v38, v14, v22, s62
	s_waitcnt vmcnt(0)
	v_perm_b32 v39, v18, v26, s62
	v_perm_b32 v14, v14, v22, s63
	v_perm_b32 v18, v18, v26, s63
	v_perm_b32 v22, v15, v23, s62
	v_perm_b32 v26, v19, v27, s62
	v_perm_b32 v15, v15, v23, s63
	v_perm_b32 v19, v19, v27, s63
	v_perm_b32 v23, v16, v24, s62
	v_perm_b32 v27, v20, v28, s62
	v_perm_b32 v16, v16, v24, s63
	v_perm_b32 v20, v20, v28, s63
	v_perm_b32 v24, v17, v25, s62
	v_perm_b32 v28, v21, v29, s62
	v_perm_b32 v17, v17, v25, s63
	v_perm_b32 v21, v21, v29, s63
	ds_write2st64_b32 v12, v38, v39 offset1:32
	ds_write2st64_b32 v13, v14, v18 offset1:32
	ds_write2st64_b32 v30, v22, v26 offset0:1 offset1:33
	ds_write2st64_b32 v31, v15, v19 offset0:1 offset1:33
	;; [unrolled: 1-line block ×6, first 2 shown]
	v_lshlrev_b32_e32 v12, 3, v33
	v_lshrrev_b32_e32 v14, 5, v57
	v_and_or_b32 v14, v12, s3, v14
	v_lshlrev_b32_e32 v14, 4, v14
	v_lshlrev_b32_e32 v19, 11, v1
	v_and_b32_e32 v12, 0x78, v12
	v_or_b32_e32 v17, 32, v14
	v_and_b32_e32 v13, 0x1000, v19
	v_xor_b32_e32 v15, v14, v12
	v_lshrrev_b32_e32 v16, 1, v57
	v_xor_b32_e32 v17, v17, v12
	v_or_b32_e32 v15, v15, v13
	v_and_b32_e32 v16, 8, v16
	v_or_b32_e32 v17, v17, v13
	v_xor_b32_e32 v80, v15, v16
	v_and_b32_e32 v15, 0x78, v66
	v_xor_b32_e32 v82, v17, v16
	v_or_b32_e32 v17, 64, v14
	v_or_b32_e32 v14, 0x60, v14
	v_lshl_or_b32 v15, v64, 7, v15
	v_xor_b32_e32 v17, v17, v12
	v_xor_b32_e32 v12, v14, v12
	v_or_b32_e32 v81, 0x9000, v15
	v_or_b32_e32 v17, v17, v13
	;; [unrolled: 1-line block ×4, first 2 shown]
	v_lshrrev_b32_e32 v14, 4, v0
	v_lshlrev_b32_e32 v15, 1, v65
	v_xor_b32_e32 v83, v17, v16
	v_xor_b32_e32 v84, v12, v16
	s_ashr_i32 s3, s2, 31
	v_or_b32_e32 v16, 1, v15
	v_xor_b32_e32 v15, v14, v15
	s_lshl_b64 s[24:25], s[2:3], 8
	v_xor_b32_e32 v16, v16, v14
	v_lshlrev_b32_e32 v15, 3, v15
	v_lshlrev_b32_e32 v14, 8, v14
	v_lshl_add_u64 v[12:13], v[58:59], 1, s[8:9]
	s_add_u32 s24, s40, s24
	v_or3_b32 v59, v15, v14, s26
	v_lshlrev_b32_e32 v15, 3, v16
	s_addc_u32 s25, s41, s25
	v_or3_b32 v86, v15, v14, s26
	v_mov_b32_e32 v15, 0
	v_lshrrev_b32_e32 v25, 1, v0
	v_lshl_add_u64 v[16:17], s[24:25], 0, v[14:15]
	v_lshlrev_b32_e32 v14, 4, v65
	s_movk_i32 s3, 0xff
	v_lshlrev_b32_e32 v24, 3, v1
	v_and_b32_e32 v25, 24, v25
	v_lshl_add_u64 v[60:61], v[16:17], 0, v[14:15]
	v_and_b32_e32 v14, 7, v0
	v_and_b32_e32 v17, 8, v0
	v_cmp_lt_u32_e32 vcc, s3, v0
	v_xor_b32_e32 v26, v24, v25
	v_lshlrev_b32_e32 v22, 3, v14
	v_lshlrev_b32_e32 v23, 7, v14
	v_cndmask_b32_e64 v14, 0, 1, vcc
	v_or_b32_e32 v27, 0x440, v26
	v_cmp_eq_u32_e32 vcc, 0, v17
	v_or_b32_e32 v29, 64, v25
	v_xor_b32_e32 v29, v24, v29
	v_cndmask_b32_e32 v17, v27, v26, vcc
	v_or_b32_e32 v27, 32, v25
	v_or_b32_e32 v25, 0x60, v25
	v_xor_b32_e32 v27, v24, v27
	v_xor_b32_e32 v24, v24, v25
	v_or_b32_e32 v28, 0x440, v27
	v_xor_b32_e32 v30, 0x440, v29
	v_xor_b32_e32 v25, 0x440, v24
	v_cndmask_b32_e32 v27, v28, v27, vcc
	v_cndmask_b32_e32 v29, v30, v29, vcc
	;; [unrolled: 1-line block ×3, first 2 shown]
	v_or_b32_e32 v17, v17, v19
	v_or_b32_e32 v27, v27, v19
	;; [unrolled: 1-line block ×4, first 2 shown]
	v_and_b32_e32 v18, 12, v34
	v_lshlrev_b32_e32 v14, 13, v14
	v_xor_b32_e32 v17, v17, v22
	v_xor_b32_e32 v27, v27, v22
	;; [unrolled: 1-line block ×4, first 2 shown]
	v_lshlrev_b32_e32 v20, 1, v11
	v_add_lshl_u32 v11, v11, s19, 1
	v_or_b32_e32 v21, 0x100, v10
	v_or_b32_e32 v16, v18, v53
	v_add_u32_e32 v26, v14, v17
	v_add_u32_e32 v28, v14, v27
	;; [unrolled: 1-line block ×4, first 2 shown]
	v_or3_b32 v18, v53, v18, 64
	v_add_u32_e32 v17, 0x2000, v17
	v_add_u32_e32 v24, 0x2000, v27
	;; [unrolled: 1-line block ×4, first 2 shown]
	v_lshlrev_b32_e32 v14, 8, v68
	v_cndmask_b32_e64 v87, v20, v10, s[0:1]
	v_cndmask_b32_e64 v88, v11, v21, s[0:1]
	v_lshl_add_u64 v[62:63], v[12:13], 0, v[14:15]
	s_mov_b32 s3, 0x7060302
	s_movk_i32 s26, 0x4000
	v_lshlrev_b32_e32 v89, 2, v16
	v_add_u32_e32 v90, v26, v23
	v_add_u32_e32 v91, v28, v23
	;; [unrolled: 1-line block ×4, first 2 shown]
	v_lshlrev_b32_e32 v94, 2, v18
	v_add_u32_e32 v95, v17, v23
	v_add_u32_e32 v96, v24, v23
	;; [unrolled: 1-line block ×4, first 2 shown]
	s_waitcnt lgkmcnt(0)
	s_barrier
.LBB658_6:                              ; =>This Inner Loop Header: Depth=1
	s_add_i32 s37, s64, 1
	s_cmp_lt_i32 s37, s53
	s_mov_b64 s[28:29], 0
	s_cselect_b64 s[44:45], -1, 0
	s_cmp_ge_i32 s37, s53
	s_mov_b64 s[24:25], 0
	s_cbranch_scc1 .LBB658_8
; %bb.7:                                ;   in Loop: Header=BB658_6 Depth=1
	s_add_i32 s0, s59, 64
	s_ashr_i32 s1, s0, 31
	s_add_u32 s0, s58, s0
	s_addc_u32 s1, s57, s1
	s_lshl_b64 s[0:1], s[0:1], 8
	s_add_u32 s24, s6, s0
	s_addc_u32 s25, s7, s1
.LBB658_8:                              ;   in Loop: Header=BB658_6 Depth=1
	v_cndmask_b32_e64 v10, 0, 1, s[44:45]
	v_cmp_ne_u32_e64 s[0:1], 1, v10
	s_andn2_b64 vcc, exec, s[44:45]
	s_cbranch_vccnz .LBB658_10
; %bb.9:                                ;   in Loop: Header=BB658_6 Depth=1
	s_add_i32 s28, s59, 64
	s_mul_hi_i32 s29, s28, s18
	s_mul_i32 s28, s28, s18
	s_add_u32 s28, s28, s55
	s_addc_u32 s29, s29, s60
	s_lshl_b64 s[28:29], s[28:29], 8
	s_add_u32 s28, s4, s28
	s_addc_u32 s29, s5, s29
.LBB658_10:                             ;   in Loop: Header=BB658_6 Depth=1
	v_perm_b32 v11, v9, v8, s3
	v_perm_b32 v10, v7, v6, s3
	;; [unrolled: 1-line block ×4, first 2 shown]
	ds_write_b64 v76, v[10:11]
	ds_write_b64 v77, v[12:13]
	;; [unrolled: 1-line block ×4, first 2 shown]
	s_waitcnt lgkmcnt(0)
	s_barrier
	ds_read_b64 v[18:19], v80 offset:16384
	ds_read_b64 v[20:21], v82 offset:16384
	ds_read2st64_b64 v[10:13], v81 offset1:1
	s_waitcnt lgkmcnt(0)
	v_mfma_f32_16x16x16_bf16 a[0:3], v[18:19], v[10:11], 0
	ds_read2st64_b64 v[14:17], v81 offset0:2 offset1:3
	ds_read_b64 v[22:23], v83 offset:16384
	ds_read_b64 v[10:11], v84 offset:16384
	s_add_i32 s39, s59, 63
	v_mfma_f32_16x16x16_bf16 a[0:3], v[20:21], v[12:13], a[0:3]
	s_ashr_i32 s31, s39, 31
	s_mul_i32 s44, s39, s23
	s_mul_hi_u32 s45, s39, s22
	s_waitcnt lgkmcnt(1)
	v_mfma_f32_16x16x16_bf16 a[0:3], v[22:23], v[14:15], a[0:3]
	s_add_i32 s44, s45, s44
	s_mul_i32 s31, s31, s22
	s_add_i32 s45, s44, s31
	s_mul_i32 s44, s39, s22
	s_waitcnt lgkmcnt(0)
	v_mfma_f32_16x16x16_bf16 a[0:3], v[10:11], v[16:17], a[0:3]
	s_lshl_b64 s[44:45], s[44:45], 2
	s_add_u32 s44, s42, s44
	s_addc_u32 s45, s43, s45
	s_and_b64 vcc, exec, s[0:1]
	v_mov_b32_e32 v101, 0
	v_mov_b32_e32 v100, 0
	;; [unrolled: 1-line block ×19, first 2 shown]
	s_cbranch_vccnz .LBB658_12
; %bb.11:                               ;   in Loop: Header=BB658_6 Depth=1
	s_and_b32 s25, s25, 0xffff
	buffer_load_dwordx4 v[22:25], v72, s[24:27], 0 offen
	buffer_load_dwordx4 v[18:21], v72, s[24:27], s61 offen
	;; [unrolled: 1-line block ×4, first 2 shown]
	v_mov_b32_e32 v100, v74
	v_mov_b32_e32 v99, v75
.LBB658_12:                             ;   in Loop: Header=BB658_6 Depth=1
	v_add_u32_e32 v30, s59, v68
	v_ashrrev_i32_e32 v26, 31, v30
	v_mul_lo_u32 v28, v26, s22
	v_mul_lo_u32 v29, v30, s23
	v_mad_u64_u32 v[26:27], s[24:25], v30, s22, 0
	v_add3_u32 v27, v27, v29, v28
	v_lshl_add_u64 v[26:27], v[26:27], 2, s[42:43]
	global_load_dword v48, v[26:27], off
	v_add_u32_e32 v26, 1, v30
	v_ashrrev_i32_e32 v27, 31, v26
	v_mul_lo_u32 v28, v27, s22
	v_mul_lo_u32 v29, v26, s23
	v_mad_u64_u32 v[26:27], s[24:25], v26, s22, 0
	v_add3_u32 v27, v27, v29, v28
	v_add_u32_e32 v28, 2, v30
	v_ashrrev_i32_e32 v29, 31, v28
	v_mul_lo_u32 v31, v29, s22
	v_mul_lo_u32 v32, v28, s23
	v_mad_u64_u32 v[28:29], s[24:25], v28, s22, 0
	v_add_u32_e32 v30, 3, v30
	v_add3_u32 v29, v29, v32, v31
	v_ashrrev_i32_e32 v31, 31, v30
	v_mul_lo_u32 v34, v31, s22
	v_mul_lo_u32 v35, v30, s23
	v_mad_u64_u32 v[30:31], s[24:25], v30, s22, 0
	s_ashr_i32 s25, s59, 31
	s_add_u32 s24, s58, s59
	s_addc_u32 s25, s57, s25
	s_lshl_b64 s[24:25], s[24:25], 8
	v_lshl_add_u64 v[26:27], v[26:27], 2, s[42:43]
	v_lshl_add_u64 v[32:33], v[62:63], 0, s[24:25]
	v_add3_u32 v31, v31, v35, v34
	v_lshl_add_u64 v[28:29], v[28:29], 2, s[42:43]
	global_load_ushort v49, v[32:33], off
	global_load_ushort v50, v[32:33], off offset:256
	global_load_ushort v51, v[32:33], off offset:512
	;; [unrolled: 1-line block ×3, first 2 shown]
	v_lshl_add_u64 v[30:31], v[30:31], 2, s[42:43]
	global_load_dword v103, v[26:27], off
	global_load_dword v104, v[28:29], off
	global_load_dword v105, v[30:31], off
	s_load_dword s24, s[44:45], 0x0
	ds_read2st64_b64 v[34:37], v85 offset1:1
	ds_read2st64_b64 v[38:41], v85 offset0:2 offset1:3
	ds_read_b64 v[32:33], v80 offset:24576
	ds_read_b64 v[42:43], v82 offset:24576
	;; [unrolled: 1-line block ×4, first 2 shown]
	s_waitcnt lgkmcnt(0)
	v_mfma_f32_16x16x16_bf16 a[0:3], v[32:33], v[34:35], a[0:3]
	v_mov_b32_e32 v102, 0
	v_mov_b32_e32 v26, 0
	v_mov_b32_e32 v27, 0
	v_mfma_f32_16x16x16_bf16 a[0:3], v[42:43], v[36:37], a[0:3]
	v_mov_b32_e32 v28, 0
	v_mov_b32_e32 v29, 0
	v_mov_b32_e32 v30, 0
	;; [unrolled: 4-line block ×4, first 2 shown]
	v_mov_b32_e32 v37, 0
	v_mov_b32_e32 v38, 0
	;; [unrolled: 1-line block ×3, first 2 shown]
	s_and_b64 vcc, exec, s[0:1]
	v_accvgpr_read_b32 v43, a1
	v_accvgpr_read_b32 v41, a3
	;; [unrolled: 1-line block ×4, first 2 shown]
	s_waitcnt vmcnt(7)
	v_sub_f32_e32 v48, s24, v48
	v_exp_f32_e32 v48, v48
	s_waitcnt vmcnt(6)
	v_lshlrev_b32_e32 v44, 16, v49
	s_waitcnt vmcnt(5)
	v_lshlrev_b32_e32 v45, 16, v50
	;; [unrolled: 2-line block ×3, first 2 shown]
	s_waitcnt vmcnt(2)
	v_sub_f32_e32 v49, s24, v103
	s_waitcnt vmcnt(1)
	v_sub_f32_e32 v50, s24, v104
	;; [unrolled: 2-line block ×3, first 2 shown]
	v_exp_f32_e32 v49, v49
	v_exp_f32_e32 v50, v50
	;; [unrolled: 1-line block ×3, first 2 shown]
	v_lshlrev_b32_e32 v47, 16, v52
	v_pk_add_f32 v[42:43], v[44:45], v[42:43] neg_lo:[0,1] neg_hi:[0,1]
	v_pk_add_f32 v[40:41], v[46:47], v[40:41] neg_lo:[0,1] neg_hi:[0,1]
	v_pk_mul_f32 v[42:43], v[48:49], v[42:43]
	v_pk_mul_f32 v[40:41], v[50:51], v[40:41]
	s_nop 0
	v_perm_b32 v41, v41, v40, s3
	v_perm_b32 v40, v43, v42, s3
	ds_write_b64 v77, v[40:41]
	v_mov_b32_e32 v40, 0
	v_mov_b32_e32 v41, 0
	s_cbranch_vccnz .LBB658_14
; %bb.13:                               ;   in Loop: Header=BB658_6 Depth=1
	s_and_b32 s29, s29, 0xffff
	s_mov_b32 s31, s27
	buffer_load_dwordx4 v[38:41], v87, s[28:31], 0 offen
	buffer_load_dwordx4 v[30:33], v87, s[28:31], s61 offen
	buffer_load_dwordx4 v[34:37], v88, s[28:31], 0 offen
	buffer_load_dwordx4 v[26:29], v88, s[28:31], s61 offen
	v_mov_b32_e32 v101, v71
	v_mov_b32_e32 v102, v70
.LBB658_14:                             ;   in Loop: Header=BB658_6 Depth=1
	s_waitcnt lgkmcnt(0)
	s_barrier
	ds_read_b64 v[42:43], v90
	ds_read_b64 v[48:49], v91
	ds_read2st64_b64 v[44:47], v85 offset1:1
	ds_read2st64_b64 v[104:107], v85 offset0:2 offset1:3
	ds_read_b64 v[50:51], v92
	ds_read_b64 v[112:113], v93
	s_add_i32 s25, s56, s64
	s_mul_hi_i32 s29, s25, s17
	s_mul_i32 s25, s25, s17
	s_waitcnt lgkmcnt(3)
	v_mfma_f32_16x16x16_bf16 a[0:3], v[42:43], v[44:45], 0
	ds_read_b64 v[42:43], v95
	s_add_u32 s28, s25, s33
	s_addc_u32 s29, s29, s46
	v_mfma_f32_16x16x16_bf16 a[0:3], v[48:49], v[46:47], a[0:3]
	ds_read_b64 v[48:49], v96
	s_lshl_b64 s[28:29], s[28:29], 15
	s_mul_i32 s31, s39, s17
	s_mul_hi_i32 s25, s39, s17
	s_add_u32 s44, s31, s33
	s_addc_u32 s45, s25, s46
	s_lshl_b64 s[44:45], s[44:45], 9
	s_add_u32 s44, s20, s44
	s_waitcnt lgkmcnt(1)
	v_mfma_f32_16x16x16_bf16 a[4:7], v[42:43], v[44:45], 0
	s_addc_u32 s45, s21, s45
	s_and_b64 vcc, exec, s[0:1]
	v_mfma_f32_16x16x16_bf16 a[0:3], v[50:51], v[104:105], a[0:3]
	ds_read_b64 v[50:51], v97
	ds_read_b64 v[114:115], v98
	global_load_dwordx4 v[42:45], v94, s[44:45]
	s_waitcnt lgkmcnt(2)
	v_mfma_f32_16x16x16_bf16 a[4:7], v[48:49], v[46:47], a[4:7]
	global_load_dwordx4 v[46:49], v89, s[44:45]
	ds_read_b64 v[108:109], v59
	ds_read_b64 v[110:111], v86
	s_waitcnt lgkmcnt(3)
	v_mfma_f32_16x16x16_bf16 a[8:11], v[50:51], v[104:105], a[4:7]
	v_lshl_add_u64 v[50:51], v[60:61], 0, s[28:29]
	s_waitcnt lgkmcnt(0)
	global_store_dwordx4 v[50:51], v[108:111], off
	v_mfma_f32_16x16x16_bf16 a[4:7], v[112:113], v[106:107], a[0:3]
	s_waitcnt vmcnt(2)
	v_mov_b32_e32 v52, v45
	v_mfma_f32_16x16x16_bf16 a[0:3], v[114:115], v[106:107], a[8:11]
	v_mov_b32_e32 v51, v44
	v_mov_b32_e32 v50, v43
	s_cbranch_vccnz .LBB658_16
; %bb.15:                               ;   in Loop: Header=BB658_6 Depth=1
	v_lshrrev_b32_e32 v43, 3, v101
	v_and_b32_e32 v43, 6, v43
	v_xor_b32_e32 v44, v43, v102
	v_lshlrev_b32_e32 v44, 2, v44
	v_and_b32_e32 v45, 8, v101
	v_xor_b32_e32 v101, 0x440, v44
	v_cmp_eq_u32_e32 vcc, 0, v45
	v_perm_b32 v45, v30, v26, s62
	s_nop 0
	v_cndmask_b32_e32 v44, v101, v44, vcc
	v_lshl_or_b32 v43, v43, 10, v44
	v_perm_b32 v44, v38, v34, s62
	s_barrier
	ds_write2st64_b32 v43, v44, v45 offset1:32
	v_xor_b32_e32 v44, 8, v43
	v_perm_b32 v34, v38, v34, s63
	v_perm_b32 v26, v30, v26, s63
	v_add_u32_e32 v30, 0x80, v44
	ds_write2st64_b32 v30, v34, v26 offset1:32
	v_xor_b32_e32 v26, 16, v43
	v_perm_b32 v30, v39, v35, s62
	v_perm_b32 v34, v31, v27, s62
	ds_write2st64_b32 v26, v30, v34 offset0:1 offset1:33
	v_xor_b32_e32 v26, 24, v43
	v_perm_b32 v30, v39, v35, s63
	v_perm_b32 v27, v31, v27, s63
	v_add_u32_e32 v26, 0x80, v26
	ds_write2st64_b32 v26, v30, v27 offset0:1 offset1:33
	v_xor_b32_e32 v26, 32, v43
	v_perm_b32 v27, v40, v36, s62
	v_perm_b32 v30, v32, v28, s62
	ds_write2st64_b32 v26, v27, v30 offset0:2 offset1:34
	v_xor_b32_e32 v26, 40, v43
	v_perm_b32 v27, v40, v36, s63
	v_perm_b32 v28, v32, v28, s63
	v_add_u32_e32 v26, 0x80, v26
	ds_write2st64_b32 v26, v27, v28 offset0:2 offset1:34
	v_xor_b32_e32 v26, 48, v43
	v_perm_b32 v27, v41, v37, s62
	v_perm_b32 v28, v33, v29, s62
	ds_write2st64_b32 v26, v27, v28 offset0:3 offset1:35
	v_xor_b32_e32 v26, 56, v43
	v_perm_b32 v27, v41, v37, s63
	v_perm_b32 v28, v33, v29, s63
	v_add_u32_e32 v26, 0x80, v26
	ds_write2st64_b32 v26, v27, v28 offset0:3 offset1:35
	ds_write_b64 v100, v[22:23] offset:16384
	v_xor_b32_e32 v22, 8, v100
	ds_write_b64 v22, v[24:25] offset:16384
	ds_write_b64 v100, v[18:19] offset:24576
	;; [unrolled: 1-line block ×4, first 2 shown]
	v_xor_b32_e32 v14, 8, v99
	ds_write_b64 v14, v[16:17] offset:16384
	ds_write_b64 v99, v[10:11] offset:24576
	;; [unrolled: 1-line block ×3, first 2 shown]
.LBB658_16:                             ;   in Loop: Header=BB658_6 Depth=1
	v_exp_f32_e32 v18, s24
	s_waitcnt vmcnt(1)
	v_exp_f32_e32 v20, v46
	v_exp_f32_e32 v21, v47
	;; [unrolled: 1-line block ×4, first 2 shown]
	v_accvgpr_read_b32 v13, a7
	v_accvgpr_read_b32 v11, a5
	;; [unrolled: 1-line block ×3, first 2 shown]
	v_pk_mul_f32 v[20:21], v[18:19], v[20:21] op_sel_hi:[0,1]
	v_pk_fma_f32 v[6:7], v[6:7], v[20:21], v[10:11]
	v_exp_f32_e32 v20, v42
	v_exp_f32_e32 v21, v50
	v_pk_mul_f32 v[10:11], v[18:19], v[22:23] op_sel_hi:[0,1]
	v_exp_f32_e32 v22, v51
	v_exp_f32_e32 v23, v52
	v_accvgpr_read_b32 v12, a6
	v_accvgpr_read_b32 v17, a3
	;; [unrolled: 1-line block ×4, first 2 shown]
	v_pk_fma_f32 v[8:9], v[8:9], v[10:11], v[12:13]
	v_pk_mul_f32 v[10:11], v[18:19], v[20:21] op_sel_hi:[0,1]
	v_accvgpr_read_b32 v16, a2
	v_pk_fma_f32 v[2:3], v[2:3], v[10:11], v[14:15]
	v_pk_mul_f32 v[10:11], v[18:19], v[22:23] op_sel_hi:[0,1]
	s_add_i32 s59, s59, 64
	s_cmp_eq_u32 s53, s37
	v_pk_fma_f32 v[4:5], v[4:5], v[10:11], v[16:17]
	s_cbranch_scc1 .LBB658_18
; %bb.17:                               ;   in Loop: Header=BB658_6 Depth=1
	s_mov_b32 s64, s37
	s_branch .LBB658_6
.LBB658_18:
	s_lshl_b32 s0, s53, 6
	s_sub_i32 s44, s54, s0
	s_cmp_gt_i32 s44, 0
	s_cbranch_scc0 .LBB658_75
; %bb.19:
	s_add_i32 s34, s0, s34
	s_ashr_i32 s3, s34, 31
	s_cmpk_lg_i32 s19, 0x80
	s_cselect_b64 s[30:31], -1, 0
	s_and_b64 vcc, exec, s[30:31]
	s_cbranch_vccz .LBB658_21
; %bb.20:
	s_mul_hi_i32 s0, s34, s18
	s_mul_i32 s1, s34, s18
	s_ashr_i32 s18, s55, 31
	s_add_u32 s42, s1, s55
	s_addc_u32 s43, s0, s18
	s_cbranch_execz .LBB658_22
	s_branch .LBB658_23
.LBB658_21:
                                        ; implicit-def: $sgpr42_sgpr43
.LBB658_22:
	s_mul_i32 s1, s55, s16
	s_mul_hi_i32 s0, s55, s16
	s_add_u32 s42, s1, s34
	s_addc_u32 s43, s0, s3
.LBB658_23:
	s_waitcnt lgkmcnt(0)
	s_add_i32 s16, s53, s56
	s_add_u32 s0, s58, s34
	s_addc_u32 s1, s57, s3
	s_mov_b32 s3, 0x7060302
	v_lshlrev_b32_e32 v14, 3, v65
	s_lshl_b64 s[28:29], s[0:1], 8
	s_waitcnt vmcnt(1)
	v_perm_b32 v11, v9, v8, s3
	v_perm_b32 v10, v7, v6, s3
	s_waitcnt vmcnt(0)
	v_perm_b32 v13, v5, v4, s3
	v_perm_b32 v12, v3, v2, s3
	v_lshlrev_b32_e32 v42, 2, v65
	v_lshl_or_b32 v14, v68, 5, v14
	s_add_u32 s0, s6, s28
	ds_write2st64_b64 v14, v[10:11], v[12:13] offset0:72 offset1:76
	v_xor_b32_e32 v14, v68, v42
	v_lshlrev_b32_e32 v15, 8, v65
	s_addc_u32 s1, s7, s29
	v_lshl_or_b32 v14, v14, 1, v15
	s_mul_hi_i32 s3, s16, s17
	s_mul_i32 s16, s16, s17
	ds_write_b64 v14, v[10:11] offset:32768
	v_xor_b32_e32 v10, v69, v42
	s_add_u32 s6, s16, s33
	v_lshl_or_b32 v10, v10, 1, v15
	s_addc_u32 s7, s3, s46
	v_lshlrev_b32_e32 v11, 1, v65
	ds_write_b64 v10, v[12:13] offset:32768
	v_lshrrev_b32_e32 v10, 4, v0
	s_ashr_i32 s3, s2, 31
	s_lshl_b64 s[6:7], s[6:7], 15
	v_or_b32_e32 v12, 1, v11
	s_add_u32 s6, s40, s6
	v_xor_b32_e32 v11, v10, v11
	v_xor_b32_e32 v12, v12, v10
	v_lshlrev_b32_e32 v14, 8, v10
	s_addc_u32 s7, s41, s7
	s_lshl_b64 s[2:3], s[2:3], 8
	v_lshl_or_b32 v10, v11, 3, v14
	v_lshl_or_b32 v12, v12, 3, v14
	s_waitcnt lgkmcnt(0)
	s_barrier
	s_add_u32 s2, s6, s2
	ds_read_b64 v[10:11], v10 offset:32768
	ds_read_b64 v[12:13], v12 offset:32768
	s_addc_u32 s3, s7, s3
	v_mov_b32_e32 v15, 0
	s_cmp_lg_u32 s44, 64
	v_lshl_add_u64 v[16:17], s[2:3], 0, v[14:15]
	v_lshlrev_b32_e32 v14, 4, v65
	s_cselect_b64 s[6:7], -1, 0
	v_lshl_or_b32 v44, v1, 3, v67
	s_mov_b32 s24, 0
	v_lshl_add_u64 v[14:15], v[16:17], 0, v[14:15]
	v_or_b32_e32 v27, 32, v44
	v_and_b32_e32 v26, 56, v66
	s_and_b64 vcc, exec, s[6:7]
	s_waitcnt lgkmcnt(0)
	global_store_dwordx4 v[14:15], v[10:13], off
	s_cbranch_vccz .LBB658_29
; %bb.24:
	s_mov_b32 s25, s24
	s_mov_b32 s26, s24
	;; [unrolled: 1-line block ×3, first 2 shown]
	v_mov_b64_e32 v[14:15], s[24:25]
	v_mov_b64_e32 v[16:17], s[26:27]
	;; [unrolled: 1-line block ×3, first 2 shown]
	v_cmp_gt_i32_e32 vcc, s44, v44
	v_mov_b64_e32 v[12:13], v[16:17]
	s_and_saveexec_b64 s[2:3], vcc
	s_cbranch_execz .LBB658_26
; %bb.25:
	v_lshlrev_b32_e32 v10, 8, v44
	v_mov_b32_e32 v11, 0
	v_lshl_add_u64 v[12:13], s[0:1], 0, v[10:11]
	v_lshlrev_b32_e32 v10, 1, v26
	v_lshl_add_u64 v[18:19], v[12:13], 0, v[10:11]
	global_load_dwordx4 v[14:17], v[18:19], off
	global_load_dwordx4 v[10:13], v[18:19], off offset:128
.LBB658_26:
	s_or_b64 exec, exec, s[2:3]
	s_mov_b32 s25, s24
	s_mov_b32 s26, s24
	;; [unrolled: 1-line block ×3, first 2 shown]
	v_mov_b64_e32 v[22:23], s[24:25]
	v_mov_b64_e32 v[24:25], s[26:27]
	;; [unrolled: 1-line block ×3, first 2 shown]
	v_cmp_gt_i32_e32 vcc, s44, v27
	v_lshlrev_b32_e32 v28, 7, v27
	v_mov_b64_e32 v[20:21], v[24:25]
	s_and_saveexec_b64 s[2:3], vcc
	s_cbranch_execz .LBB658_28
; %bb.27:
	v_lshlrev_b32_e32 v18, 1, v28
	v_mov_b32_e32 v19, 0
	v_lshl_add_u64 v[20:21], s[0:1], 0, v[18:19]
	v_lshlrev_b32_e32 v18, 1, v26
	v_lshl_add_u64 v[30:31], v[20:21], 0, v[18:19]
	global_load_dwordx4 v[22:25], v[30:31], off
	global_load_dwordx4 v[18:21], v[30:31], off offset:128
.LBB658_28:
	s_or_b64 exec, exec, s[2:3]
	v_lshrrev_b32_e32 v29, 3, v26
	v_lshlrev_b32_e32 v30, 3, v44
	v_or_b32_e32 v29, v30, v29
	v_lshlrev_b32_e32 v29, 4, v29
	v_and_b32_e32 v30, 0x78, v30
	v_xor_b32_e32 v29, v29, v30
	s_branch .LBB658_31
.LBB658_29:
                                        ; implicit-def: $vgpr29
                                        ; implicit-def: $vgpr28
                                        ; implicit-def: $vgpr14_vgpr15_vgpr16_vgpr17
                                        ; implicit-def: $vgpr10_vgpr11_vgpr12_vgpr13
                                        ; implicit-def: $vgpr22_vgpr23_vgpr24_vgpr25
                                        ; implicit-def: $vgpr18_vgpr19_vgpr20_vgpr21
	s_cbranch_execz .LBB658_31
; %bb.30:
	s_waitcnt vmcnt(0)
	v_lshlrev_b32_e32 v10, 1, v26
	v_lshl_or_b32 v28, v44, 8, v10
	s_and_b32 s1, s1, 0xffff
	s_mov_b32 s3, 0x20000
	s_movk_i32 s2, 0x4000
	v_lshl_or_b32 v29, v27, 8, v10
	s_movk_i32 s16, 0x80
	buffer_load_dwordx4 v[14:17], v28, s[0:3], 0 offen
	buffer_load_dwordx4 v[10:13], v28, s[0:3], s16 offen
	;; [unrolled: 1-line block ×4, first 2 shown]
	v_lshrrev_b32_e32 v28, 3, v26
	v_lshlrev_b32_e32 v29, 3, v44
	v_or_b32_e32 v28, v29, v28
	v_lshlrev_b32_e32 v28, 4, v28
	v_and_b32_e32 v29, 0x78, v29
	v_xor_b32_e32 v29, v28, v29
	v_lshlrev_b32_e32 v28, 7, v27
.LBB658_31:
	s_lshl_b64 s[0:1], s[42:43], 8
	s_add_u32 s4, s4, s0
	s_movk_i32 s0, 0x1000
	v_and_or_b32 v27, v28, s0, v29
	s_waitcnt vmcnt(1)
	ds_write_b64 v29, v[14:15] offset:16384
	v_xor_b32_e32 v14, 8, v29
	ds_write_b64 v14, v[16:17] offset:16384
	s_waitcnt vmcnt(0)
	ds_write_b64 v29, v[10:11] offset:24576
	ds_write_b64 v14, v[12:13] offset:24576
	;; [unrolled: 1-line block ×3, first 2 shown]
	v_xor_b32_e32 v10, 8, v27
	ds_write_b64 v10, v[24:25] offset:16384
	ds_write_b64 v27, v[18:19] offset:24576
	;; [unrolled: 1-line block ×3, first 2 shown]
	v_or_b32_e32 v10, v53, v65
	v_lshlrev_b32_e32 v10, 3, v10
	v_lshrrev_b32_e32 v12, 5, v57
	s_movk_i32 s16, 0xf8
	v_and_or_b32 v12, v10, s16, v12
	v_lshlrev_b32_e32 v43, 11, v1
	v_lshlrev_b32_e32 v20, 4, v12
	v_and_b32_e32 v21, 0x78, v10
	v_and_b32_e32 v22, 0x1000, v43
	v_lshlrev_b32_e32 v11, 2, v0
	v_xor_b32_e32 v10, v20, v21
	v_lshrrev_b32_e32 v12, 1, v57
	v_and_b32_e32 v11, 60, v11
	v_or_b32_e32 v10, v10, v22
	v_and_b32_e32 v23, 8, v12
	v_xor_b32_e32 v34, v10, v23
	v_lshl_or_b32 v10, v64, 6, v11
	v_lshlrev_b32_e32 v45, 1, v10
	v_or_b32_e32 v10, 32, v20
	v_xor_b32_e32 v10, v10, v21
	s_waitcnt lgkmcnt(0)
	s_barrier
	ds_read_b64 v[18:19], v34 offset:16384
	v_or_b32_e32 v10, v10, v22
	v_xor_b32_e32 v35, v10, v23
	v_or_b32_e32 v10, 64, v20
	v_xor_b32_e32 v10, v10, v21
	v_or_b32_e32 v10, v10, v22
	v_or_b32_e32 v20, 0x60, v20
	v_xor_b32_e32 v36, v10, v23
	ds_read2st64_b64 v[10:13], v45 offset0:72 offset1:73
	ds_read2st64_b64 v[14:17], v45 offset0:74 offset1:75
	v_xor_b32_e32 v24, v20, v21
	ds_read_b64 v[20:21], v35 offset:16384
	s_addc_u32 s5, s5, s1
	s_add_i32 s0, s49, s47
	s_waitcnt lgkmcnt(2)
	v_mfma_f32_16x16x16_bf16 a[0:3], v[18:19], v[10:11], 0
	s_add_i32 s18, s35, -1
	s_add_i32 s39, s0, s50
	s_add_i32 s0, s51, s48
	;; [unrolled: 1-line block ×3, first 2 shown]
	s_ashr_i32 s0, s18, 31
	s_mul_i32 s1, s18, s23
	s_mul_hi_u32 s2, s18, s22
	s_add_i32 s1, s2, s1
	s_mul_i32 s0, s0, s22
	v_or_b32_e32 v22, v24, v22
	s_add_i32 s1, s1, s0
	s_lshl_b64 s[2:3], s[38:39], 2
	v_xor_b32_e32 v46, v22, v23
	ds_read_b64 v[22:23], v36 offset:16384
	ds_read_b64 v[24:25], v46 offset:16384
	s_waitcnt lgkmcnt(2)
	v_mfma_f32_16x16x16_bf16 a[0:3], v[20:21], v[12:13], a[0:3]
	s_add_u32 s10, s10, s2
	s_addc_u32 s11, s11, s3
	s_lshl_b64 s[2:3], s[36:37], 2
	s_mul_i32 s0, s18, s22
	s_add_u32 s10, s10, s2
	s_addc_u32 s11, s11, s3
	s_lshl_b64 s[0:1], s[0:1], 2
	s_waitcnt lgkmcnt(1)
	v_mfma_f32_16x16x16_bf16 a[0:3], v[22:23], v[14:15], a[0:3]
	s_add_u32 s0, s10, s0
	s_addc_u32 s1, s11, s1
	s_load_dword s16, s[0:1], 0x0
	s_waitcnt lgkmcnt(0)
	v_mfma_f32_16x16x16_bf16 a[0:3], v[24:25], v[16:17], a[0:3]
	s_and_b64 vcc, exec, s[30:31]
	s_cbranch_vccz .LBB658_42
; %bb.32:
	v_lshlrev_b32_e32 v27, 1, v44
	s_and_b64 vcc, exec, s[6:7]
	s_cbranch_vccz .LBB658_43
; %bb.33:
	v_cmp_gt_i32_e32 vcc, s44, v27
	v_mov_b32_e32 v14, 0
	v_mov_b32_e32 v10, 0
	;; [unrolled: 1-line block ×5, first 2 shown]
	s_and_saveexec_b64 s[0:1], vcc
	s_cbranch_execz .LBB658_35
; %bb.34:
	v_mad_i64_i32 v[10:11], s[2:3], s19, v27, 0
	v_lshl_add_u64 v[10:11], v[10:11], 1, s[4:5]
	v_lshlrev_b32_e32 v12, 1, v26
	v_mov_b32_e32 v13, 0
	v_lshl_add_u64 v[10:11], v[10:11], 0, v[12:13]
	global_load_dwordx4 v[10:13], v[10:11], off
.LBB658_35:
	s_or_b64 exec, exec, s[0:1]
	v_or_b32_e32 v28, 1, v27
	v_cmp_gt_i32_e64 s[0:1], s44, v28
	v_mov_b32_e32 v15, 0
	v_mov_b32_e32 v16, 0
	;; [unrolled: 1-line block ×3, first 2 shown]
	s_and_saveexec_b64 s[2:3], s[0:1]
	s_cbranch_execz .LBB658_37
; %bb.36:
	v_mad_i64_i32 v[14:15], s[24:25], s19, v28, 0
	v_lshl_add_u64 v[14:15], v[14:15], 1, s[4:5]
	v_lshlrev_b32_e32 v16, 1, v26
	v_mov_b32_e32 v17, 0
	v_lshl_add_u64 v[14:15], v[14:15], 0, v[16:17]
	global_load_dwordx4 v[14:17], v[14:15], off
.LBB658_37:
	s_or_b64 exec, exec, s[2:3]
	v_mov_b32_e32 v25, 0
	v_mov_b32_e32 v18, 0
	;; [unrolled: 1-line block ×5, first 2 shown]
	s_and_saveexec_b64 s[2:3], vcc
	s_cbranch_execz .LBB658_39
; %bb.38:
	v_mad_i64_i32 v[18:19], s[24:25], s19, v27, 0
	v_lshl_add_u64 v[18:19], v[18:19], 1, s[4:5]
	v_lshlrev_b32_e32 v20, 1, v26
	v_mov_b32_e32 v21, 0
	v_lshl_add_u64 v[18:19], v[18:19], 0, v[20:21]
	global_load_dwordx4 v[18:21], v[18:19], off offset:128
.LBB658_39:
	s_or_b64 exec, exec, s[2:3]
	v_mov_b32_e32 v24, 0
	v_mov_b32_e32 v23, 0
	;; [unrolled: 1-line block ×3, first 2 shown]
	s_and_saveexec_b64 s[2:3], s[0:1]
	s_cbranch_execz .LBB658_41
; %bb.40:
	v_mad_i64_i32 v[22:23], s[0:1], s19, v28, 0
	v_lshl_add_u64 v[22:23], v[22:23], 1, s[4:5]
	v_lshlrev_b32_e32 v24, 1, v26
	v_mov_b32_e32 v25, 0
	v_lshl_add_u64 v[22:23], v[22:23], 0, v[24:25]
	global_load_dwordx4 v[22:25], v[22:23], off offset:128
.LBB658_41:
	s_or_b64 exec, exec, s[2:3]
	s_branch .LBB658_45
.LBB658_42:
                                        ; implicit-def: $vgpr13
                                        ; implicit-def: $vgpr17
                                        ; implicit-def: $vgpr21
                                        ; implicit-def: $vgpr25
	v_lshrrev_b32_e32 v27, 2, v57
	s_branch .LBB658_46
.LBB658_43:
                                        ; implicit-def: $vgpr13
                                        ; implicit-def: $vgpr17
                                        ; implicit-def: $vgpr21
                                        ; implicit-def: $vgpr25
	s_cbranch_execz .LBB658_45
; %bb.44:
	s_waitcnt vmcnt(0)
	v_mad_u64_u32 v[10:11], s[0:1], v27, s19, v[26:27]
	v_lshlrev_b32_e32 v27, 1, v10
	s_lshl_b32 s2, s19, 7
	s_and_b32 s1, s5, 0xffff
	s_mov_b32 s3, 0x20000
	s_mov_b32 s0, s4
	v_add_lshl_u32 v28, v10, s19, 1
	s_movk_i32 s19, 0x80
	buffer_load_dwordx4 v[10:13], v27, s[0:3], 0 offen
	buffer_load_dwordx4 v[18:21], v27, s[0:3], s19 offen
	buffer_load_dwordx4 v[14:17], v28, s[0:3], 0 offen
	buffer_load_dwordx4 v[22:25], v28, s[0:3], s19 offen
.LBB658_45:
	v_lshrrev_b32_e32 v27, 2, v57
	s_cbranch_execnz .LBB658_58
.LBB658_46:
	s_and_b64 vcc, exec, s[6:7]
	s_cbranch_vccz .LBB658_56
; %bb.47:
	s_waitcnt vmcnt(0)
	v_lshlrev_b32_e32 v15, 1, v44
	v_cmp_gt_i32_e32 vcc, s44, v15
	v_mov_b32_e32 v14, 0
	v_lshlrev_b32_e32 v22, 9, v44
	v_mov_b32_e32 v10, 0
	v_mov_b32_e32 v11, 0
	;; [unrolled: 1-line block ×4, first 2 shown]
	s_and_saveexec_b64 s[0:1], vcc
	s_cbranch_execz .LBB658_49
; %bb.48:
	v_mov_b32_e32 v23, 0
	v_lshl_add_u64 v[10:11], s[4:5], 0, v[22:23]
	v_lshlrev_b32_e32 v12, 1, v26
	v_mov_b32_e32 v13, v23
	v_lshl_add_u64 v[10:11], v[10:11], 0, v[12:13]
	global_load_dwordx4 v[10:13], v[10:11], off
.LBB658_49:
	s_or_b64 exec, exec, s[0:1]
	v_or_b32_e32 v15, 1, v15
	v_cmp_gt_i32_e64 s[0:1], s44, v15
	v_lshlrev_b32_e32 v28, 8, v15
	v_mov_b32_e32 v15, 0
	v_mov_b32_e32 v16, 0
	;; [unrolled: 1-line block ×3, first 2 shown]
	s_and_saveexec_b64 s[2:3], s[0:1]
	s_cbranch_execz .LBB658_51
; %bb.50:
	v_mov_b32_e32 v29, 0
	v_lshl_add_u64 v[14:15], s[4:5], 0, v[28:29]
	v_lshlrev_b32_e32 v16, 1, v26
	v_mov_b32_e32 v17, v29
	v_lshl_add_u64 v[14:15], v[14:15], 0, v[16:17]
	global_load_dwordx4 v[14:17], v[14:15], off
.LBB658_51:
	s_or_b64 exec, exec, s[2:3]
	v_mov_b32_e32 v25, 0
	v_mov_b32_e32 v18, 0
	;; [unrolled: 1-line block ×5, first 2 shown]
	s_and_saveexec_b64 s[2:3], vcc
	s_cbranch_execz .LBB658_53
; %bb.52:
	v_mov_b32_e32 v23, 0
	v_lshl_add_u64 v[18:19], s[4:5], 0, v[22:23]
	v_lshlrev_b32_e32 v22, 1, v26
	v_lshl_add_u64 v[18:19], v[18:19], 0, v[22:23]
	global_load_dwordx4 v[18:21], v[18:19], off offset:128
.LBB658_53:
	s_or_b64 exec, exec, s[2:3]
	v_mov_b32_e32 v24, 0
	v_mov_b32_e32 v23, 0
	v_mov_b32_e32 v22, 0
	s_and_saveexec_b64 s[2:3], s[0:1]
	s_cbranch_execz .LBB658_55
; %bb.54:
	v_mov_b32_e32 v29, 0
	v_lshl_add_u64 v[22:23], s[4:5], 0, v[28:29]
	v_lshlrev_b32_e32 v28, 1, v26
	v_lshl_add_u64 v[22:23], v[22:23], 0, v[28:29]
	global_load_dwordx4 v[22:25], v[22:23], off offset:128
.LBB658_55:
	s_or_b64 exec, exec, s[2:3]
	s_branch .LBB658_58
.LBB658_56:
                                        ; implicit-def: $vgpr13
                                        ; implicit-def: $vgpr17
                                        ; implicit-def: $vgpr21
                                        ; implicit-def: $vgpr25
	s_cbranch_execz .LBB658_58
; %bb.57:
	s_waitcnt vmcnt(0)
	v_lshlrev_b32_e32 v10, 1, v26
	v_lshl_or_b32 v26, v44, 9, v10
	s_and_b32 s5, s5, 0xffff
	s_mov_b32 s7, 0x20000
	s_movk_i32 s6, 0x4000
	s_movk_i32 s0, 0x80
	buffer_load_dwordx4 v[10:13], v26, s[4:7], 0 offen
	buffer_load_dwordx4 v[14:17], v26, s[4:7], 0 offen offset:256
	buffer_load_dwordx4 v[18:21], v26, s[4:7], s0 offen
	buffer_load_dwordx4 v[22:25], v26, s[4:7], s0 offen offset:256
.LBB658_58:
	v_and_b32_e32 v47, 12, v27
	ds_read2st64_b64 v[30:33], v45 offset0:76 offset1:77
	ds_read2st64_b64 v[26:29], v45 offset0:78 offset1:79
	ds_read_b64 v[38:39], v34 offset:24576
	ds_read_b64 v[40:41], v35 offset:24576
	;; [unrolled: 1-line block ×4, first 2 shown]
	v_and_b32_e32 v46, 6, v0
	v_xor_b32_e32 v44, v44, v46
	v_lshlrev_b32_e32 v44, 2, v44
	v_and_b32_e32 v48, 1, v0
	v_xor_b32_e32 v49, 0x440, v44
	v_cmp_eq_u32_e32 vcc, 0, v48
	s_mov_b32 s0, 0x1000504
	s_waitcnt vmcnt(0)
	v_perm_b32 v48, v18, v22, s0
	v_cndmask_b32_e32 v44, v49, v44, vcc
	v_lshl_or_b32 v44, v46, 10, v44
	v_perm_b32 v46, v10, v14, s0
	ds_write2st64_b32 v44, v46, v48 offset1:32
	v_xor_b32_e32 v46, 8, v44
	s_mov_b32 s1, 0x3020706
	v_perm_b32 v10, v10, v14, s1
	v_perm_b32 v14, v18, v22, s1
	v_add_u32_e32 v18, 0x80, v46
	ds_write2st64_b32 v18, v10, v14 offset1:32
	v_xor_b32_e32 v10, 16, v44
	v_perm_b32 v14, v11, v15, s0
	v_perm_b32 v18, v19, v23, s0
	ds_write2st64_b32 v10, v14, v18 offset0:1 offset1:33
	v_xor_b32_e32 v10, 24, v44
	v_perm_b32 v11, v11, v15, s1
	v_perm_b32 v14, v19, v23, s1
	v_add_u32_e32 v10, 0x80, v10
	ds_write2st64_b32 v10, v11, v14 offset0:1 offset1:33
	v_xor_b32_e32 v10, 32, v44
	v_perm_b32 v11, v12, v16, s0
	v_perm_b32 v14, v20, v24, s0
	ds_write2st64_b32 v10, v11, v14 offset0:2 offset1:34
	v_xor_b32_e32 v10, 40, v44
	v_perm_b32 v11, v12, v16, s1
	v_perm_b32 v12, v20, v24, s1
	v_add_u32_e32 v10, 0x80, v10
	ds_write2st64_b32 v10, v11, v12 offset0:2 offset1:34
	v_xor_b32_e32 v10, 48, v44
	v_perm_b32 v11, v13, v17, s0
	v_perm_b32 v12, v21, v25, s0
	ds_write2st64_b32 v10, v11, v12 offset0:3 offset1:35
	v_xor_b32_e32 v10, 56, v44
	v_or_b32_e32 v16, v47, v53
	v_perm_b32 v11, v13, v17, s1
	v_perm_b32 v12, v21, v25, s1
	v_add_u32_e32 v10, 0x80, v10
	v_cmp_gt_i32_e32 vcc, s44, v16
	v_mov_b32_e32 v17, 0
	v_mov_b32_e32 v21, 0
	ds_write2st64_b32 v10, v11, v12 offset0:3 offset1:35
	s_and_saveexec_b64 s[0:1], vcc
	s_cbranch_execz .LBB658_60
; %bb.59:
	v_add_u32_e32 v10, s34, v16
	v_ashrrev_i32_e32 v11, 31, v10
	v_mul_lo_u32 v12, v11, s22
	v_mul_lo_u32 v13, v10, s23
	v_mad_u64_u32 v[10:11], s[2:3], v10, s22, 0
	v_add3_u32 v11, v11, v13, v12
	v_lshl_add_u64 v[10:11], v[10:11], 2, s[10:11]
	global_load_dword v10, v[10:11], off
	s_waitcnt vmcnt(0)
	v_sub_f32_e32 v10, s16, v10
	v_exp_f32_e32 v21, v10
.LBB658_60:
	s_or_b64 exec, exec, s[0:1]
	v_or_b32_e32 v19, 1, v16
	v_cmp_gt_i32_e64 s[0:1], s44, v19
	s_and_saveexec_b64 s[2:3], s[0:1]
	s_cbranch_execz .LBB658_62
; %bb.61:
	v_add_u32_e32 v10, s34, v19
	v_ashrrev_i32_e32 v11, 31, v10
	v_mul_lo_u32 v12, v11, s22
	v_mul_lo_u32 v13, v10, s23
	v_mad_u64_u32 v[10:11], s[4:5], v10, s22, 0
	v_add3_u32 v11, v11, v13, v12
	v_lshl_add_u64 v[10:11], v[10:11], 2, s[10:11]
	global_load_dword v10, v[10:11], off
	s_waitcnt vmcnt(0)
	v_sub_f32_e32 v10, s16, v10
	v_exp_f32_e32 v17, v10
.LBB658_62:
	s_or_b64 exec, exec, s[2:3]
	v_or_b32_e32 v20, 2, v16
	v_cmp_gt_i32_e64 s[2:3], s44, v20
	v_mov_b32_e32 v18, 0
	v_mov_b32_e32 v23, 0
	s_and_saveexec_b64 s[4:5], s[2:3]
	s_cbranch_execz .LBB658_64
; %bb.63:
	v_add_u32_e32 v10, s34, v20
	v_ashrrev_i32_e32 v11, 31, v10
	v_mul_lo_u32 v12, v11, s22
	v_mul_lo_u32 v13, v10, s23
	v_mad_u64_u32 v[10:11], s[6:7], v10, s22, 0
	v_add3_u32 v11, v11, v13, v12
	v_lshl_add_u64 v[10:11], v[10:11], 2, s[10:11]
	global_load_dword v10, v[10:11], off
	s_waitcnt vmcnt(0)
	v_sub_f32_e32 v10, s16, v10
	v_exp_f32_e32 v23, v10
.LBB658_64:
	s_or_b64 exec, exec, s[4:5]
	v_or_b32_e32 v22, 3, v16
	v_cmp_gt_i32_e64 s[4:5], s44, v22
	s_and_saveexec_b64 s[6:7], s[4:5]
	s_cbranch_execz .LBB658_66
; %bb.65:
	v_add_u32_e32 v10, s34, v22
	v_ashrrev_i32_e32 v11, 31, v10
	v_mul_lo_u32 v12, v11, s22
	v_mul_lo_u32 v13, v10, s23
	v_mad_u64_u32 v[10:11], s[22:23], v10, s22, 0
	v_add3_u32 v11, v11, v13, v12
	v_lshl_add_u64 v[10:11], v[10:11], 2, s[10:11]
	global_load_dword v10, v[10:11], off
	s_waitcnt vmcnt(0)
	v_sub_f32_e32 v10, s16, v10
	v_exp_f32_e32 v18, v10
.LBB658_66:
	s_or_b64 exec, exec, s[6:7]
	s_waitcnt lgkmcnt(11)
	v_mfma_f32_16x16x16_bf16 a[0:3], v[38:39], v[30:31], a[0:3]
	s_add_u32 s6, s8, s28
	v_ashrrev_i32_e32 v59, 31, v58
	s_addc_u32 s7, s9, s29
	s_waitcnt lgkmcnt(10)
	v_mfma_f32_16x16x16_bf16 a[0:3], v[40:41], v[32:33], a[0:3]
	v_mov_b32_e32 v24, 0
	v_lshl_add_u64 v[14:15], v[58:59], 1, s[6:7]
	v_mov_b32_e32 v25, 0
	s_waitcnt lgkmcnt(9)
	v_mfma_f32_16x16x16_bf16 a[0:3], v[36:37], v[26:27], a[0:3]
	s_waitcnt lgkmcnt(8)
	v_mfma_f32_16x16x16_bf16 a[0:3], v[34:35], v[28:29], a[0:3]
	s_nop 6
	v_accvgpr_read_b32 v13, a3
	v_accvgpr_read_b32 v12, a2
	;; [unrolled: 1-line block ×4, first 2 shown]
	s_and_saveexec_b64 s[6:7], vcc
	s_cbranch_execz .LBB658_68
; %bb.67:
	v_lshlrev_b32_e32 v26, 8, v16
	v_mov_b32_e32 v27, 0
	v_lshl_add_u64 v[26:27], v[14:15], 0, v[26:27]
	global_load_ushort v25, v[26:27], off
	s_waitcnt vmcnt(0)
	v_lshlrev_b32_e32 v25, 16, v25
	v_sub_f32_e32 v10, v25, v10
	v_mul_f32_e32 v10, v21, v10
	v_lshrrev_b32_e32 v25, 16, v10
.LBB658_68:
	s_or_b64 exec, exec, s[6:7]
	s_and_saveexec_b64 s[6:7], s[0:1]
	s_cbranch_execz .LBB658_70
; %bb.69:
	v_lshlrev_b32_e32 v26, 8, v19
	v_mov_b32_e32 v27, 0
	v_lshl_add_u64 v[26:27], v[14:15], 0, v[26:27]
	global_load_ushort v10, v[26:27], off
	s_waitcnt vmcnt(0)
	v_lshlrev_b32_e32 v10, 16, v10
	v_sub_f32_e32 v10, v10, v11
	v_mul_f32_e32 v10, v17, v10
	v_lshrrev_b32_e32 v24, 16, v10
.LBB658_70:
	s_or_b64 exec, exec, s[6:7]
	v_mov_b32_e32 v11, 0
	v_mov_b32_e32 v17, 0
	s_and_saveexec_b64 s[0:1], s[2:3]
	s_cbranch_execz .LBB658_72
; %bb.71:
	v_lshlrev_b32_e32 v20, 8, v20
	v_mov_b32_e32 v21, 0
	v_lshl_add_u64 v[20:21], v[14:15], 0, v[20:21]
	global_load_ushort v10, v[20:21], off
	s_waitcnt vmcnt(0)
	v_lshlrev_b32_e32 v10, 16, v10
	v_sub_f32_e32 v10, v10, v12
	v_mul_f32_e32 v10, v23, v10
	v_lshrrev_b32_e32 v17, 16, v10
.LBB658_72:
	s_or_b64 exec, exec, s[0:1]
	v_or_b32_e32 v10, 0x9800, v45
	s_and_saveexec_b64 s[0:1], s[4:5]
	s_cbranch_execz .LBB658_74
; %bb.73:
	v_lshlrev_b32_e32 v20, 8, v22
	v_mov_b32_e32 v21, 0
	v_lshl_add_u64 v[14:15], v[14:15], 0, v[20:21]
	global_load_ushort v11, v[14:15], off
	s_waitcnt vmcnt(0)
	v_lshlrev_b32_e32 v11, 16, v11
	v_sub_f32_e32 v11, v11, v13
	v_mul_f32_e32 v11, v18, v11
	v_lshrrev_b32_e32 v11, 16, v11
.LBB658_74:
	s_or_b64 exec, exec, s[0:1]
	s_mov_b32 s0, 0x5040100
	v_perm_b32 v13, v11, v17, s0
	v_lshlrev_b32_e32 v11, 1, v42
	v_perm_b32 v12, v24, v25, s0
	v_lshl_or_b32 v11, v16, 5, v11
	s_movk_i32 s2, 0xff
	ds_write_b64 v11, v[12:13] offset:38912
	v_and_b32_e32 v11, 7, v0
	v_cmp_lt_u32_e32 vcc, s2, v0
	v_and_b32_e32 v12, 8, v0
	v_lshlrev_b32_e32 v17, 3, v11
	v_lshlrev_b32_e32 v30, 7, v11
	v_cndmask_b32_e64 v11, 0, 1, vcc
	v_lshrrev_b32_e32 v0, 1, v0
	v_lshlrev_b32_e32 v24, 13, v11
	v_lshlrev_b32_e32 v11, 3, v1
	v_and_b32_e32 v0, 24, v0
	v_xor_b32_e32 v13, v11, v0
	v_or_b32_e32 v14, 0x440, v13
	v_cmp_eq_u32_e32 vcc, 0, v12
	s_waitcnt lgkmcnt(0)
	s_barrier
	v_cndmask_b32_e32 v12, v14, v13, vcc
	v_or_b32_e32 v12, v12, v43
	v_xor_b32_e32 v31, v12, v17
	v_or_b32_e32 v12, 32, v0
	v_xor_b32_e32 v12, v11, v12
	v_or_b32_e32 v13, 0x440, v12
	v_cndmask_b32_e32 v12, v13, v12, vcc
	v_or_b32_e32 v12, v12, v43
	v_xor_b32_e32 v32, v12, v17
	v_or_b32_e32 v12, 64, v0
	v_xor_b32_e32 v12, v11, v12
	v_xor_b32_e32 v13, 0x440, v12
	v_cndmask_b32_e32 v12, v13, v12, vcc
	v_add3_u32 v22, v24, v31, v30
	v_or_b32_e32 v12, v12, v43
	v_or_b32_e32 v0, 0x60, v0
	v_xor_b32_e32 v33, v12, v17
	ds_read2st64_b64 v[12:15], v10 offset1:1
	ds_read2st64_b64 v[18:21], v10 offset0:2 offset1:3
	v_xor_b32_e32 v0, v11, v0
	ds_read_b64 v[10:11], v22
	v_add3_u32 v23, v24, v32, v30
	v_xor_b32_e32 v22, 0x440, v0
	v_cndmask_b32_e32 v0, v22, v0, vcc
	ds_read_b64 v[22:23], v23
	s_mul_i32 s0, s18, s17
	s_mul_hi_i32 s1, s18, s17
	s_add_u32 s0, s0, s33
	v_or_b32_e32 v0, v0, v43
	s_waitcnt lgkmcnt(1)
	v_mfma_f32_16x16x16_bf16 a[0:3], v[10:11], v[12:13], 0
	s_addc_u32 s1, s1, s46
	v_xor_b32_e32 v17, v0, v17
	s_lshl_b64 s[0:1], s[0:1], 9
	v_add3_u32 v25, v24, v33, v30
	v_add3_u32 v0, v24, v17, v30
	s_add_u32 s0, s20, s0
	ds_read_b64 v[26:27], v25
	ds_read_b64 v[28:29], v0
	s_addc_u32 s1, s21, s1
	v_lshlrev_b32_e32 v0, 2, v16
	s_waitcnt lgkmcnt(2)
	v_mfma_f32_16x16x16_bf16 a[0:3], v[22:23], v[14:15], a[0:3]
	global_load_dwordx4 v[22:25], v0, s[0:1]
	v_add_u32_e32 v0, v31, v30
	v_lshlrev_b32_e32 v10, 6, v1
	ds_read_b64 v[0:1], v0 offset:8192
	v_lshlrev_b32_e32 v11, 2, v47
	s_movk_i32 s2, 0x100
	s_waitcnt lgkmcnt(2)
	v_mfma_f32_16x16x16_bf16 a[0:3], v[26:27], v[18:19], a[0:3]
	v_or3_b32 v10, v10, v11, s2
	v_add_u32_e32 v11, v32, v30
	v_add_u32_e32 v26, v33, v30
	;; [unrolled: 1-line block ×3, first 2 shown]
	ds_read_b64 v[16:17], v11 offset:8192
	ds_read_b64 v[26:27], v26 offset:8192
	;; [unrolled: 1-line block ×3, first 2 shown]
	s_waitcnt lgkmcnt(3)
	v_mfma_f32_16x16x16_bf16 a[4:7], v[0:1], v[12:13], 0
	global_load_dwordx4 v[10:13], v10, s[0:1]
	v_exp_f32_e32 v0, s16
	s_waitcnt vmcnt(1)
	v_exp_f32_e32 v22, v22
	v_mfma_f32_16x16x16_bf16 a[0:3], v[28:29], v[20:21], a[0:3]
	v_exp_f32_e32 v23, v23
	v_exp_f32_e32 v24, v24
	;; [unrolled: 1-line block ×3, first 2 shown]
	v_pk_mul_f32 v[22:23], v[0:1], v[22:23] op_sel_hi:[0,1]
	v_pk_mul_f32 v[24:25], v[0:1], v[24:25] op_sel_hi:[0,1]
	s_nop 1
	v_accvgpr_read_b32 v33, a1
	v_accvgpr_read_b32 v29, a3
	;; [unrolled: 1-line block ×4, first 2 shown]
	s_waitcnt lgkmcnt(2)
	v_mfma_f32_16x16x16_bf16 a[0:3], v[16:17], v[14:15], a[4:7]
	s_waitcnt vmcnt(0)
	v_mov_b32_e32 v14, v13
	v_mov_b32_e32 v13, v12
	;; [unrolled: 1-line block ×3, first 2 shown]
	s_waitcnt lgkmcnt(1)
	v_mfma_f32_16x16x16_bf16 a[0:3], v[26:27], v[18:19], a[0:3]
	v_exp_f32_e32 v10, v10
	v_exp_f32_e32 v11, v12
	;; [unrolled: 1-line block ×3, first 2 shown]
	s_waitcnt lgkmcnt(0)
	v_mfma_f32_16x16x16_bf16 a[0:3], v[30:31], v[20:21], a[0:3]
	v_exp_f32_e32 v13, v14
	v_pk_mul_f32 v[10:11], v[0:1], v[10:11] op_sel_hi:[0,1]
	v_pk_fma_f32 v[6:7], v[6:7], v[22:23], v[32:33]
	v_pk_fma_f32 v[8:9], v[8:9], v[24:25], v[28:29]
	v_pk_mul_f32 v[0:1], v[0:1], v[12:13] op_sel_hi:[0,1]
	s_nop 1
	v_accvgpr_read_b32 v17, a1
	v_accvgpr_read_b32 v15, a3
	;; [unrolled: 1-line block ×4, first 2 shown]
	v_pk_fma_f32 v[2:3], v[2:3], v[10:11], v[16:17]
	v_pk_fma_f32 v[4:5], v[4:5], v[0:1], v[14:15]
.LBB658_75:
	s_add_u32 s0, s12, s14
	s_addc_u32 s1, s13, s15
	v_lshl_add_u64 v[0:1], v[54:55], 2, s[0:1]
	v_mov_b32_e32 v57, 0
	v_lshl_add_u64 v[0:1], v[0:1], 0, v[56:57]
	s_waitcnt vmcnt(1)
	global_store_dwordx4 v[0:1], v[6:9], off
	s_waitcnt vmcnt(1)
	global_store_dwordx4 v[0:1], v[2:5], off offset:256
	s_endpgm
	.section	.rodata,"a",@progbits
	.p2align	6, 0x0
	.amdhsa_kernel _ZN12_GLOBAL__N_139chunk_gated_delta_rule_fwd_h_hip_kernelILi16ELb1ELb1ELb0ELb1ELb1ELb1ELb0ELb0EEEvPK12hip_bfloat16S3_S3_PKfS5_PKvPS1_S8_PvPKiSB_iiiiilll
		.amdhsa_group_segment_fixed_size 40960
		.amdhsa_private_segment_fixed_size 0
		.amdhsa_kernarg_size 136
		.amdhsa_user_sgpr_count 2
		.amdhsa_user_sgpr_dispatch_ptr 0
		.amdhsa_user_sgpr_queue_ptr 0
		.amdhsa_user_sgpr_kernarg_segment_ptr 1
		.amdhsa_user_sgpr_dispatch_id 0
		.amdhsa_user_sgpr_kernarg_preload_length 0
		.amdhsa_user_sgpr_kernarg_preload_offset 0
		.amdhsa_user_sgpr_private_segment_size 0
		.amdhsa_uses_dynamic_stack 0
		.amdhsa_enable_private_segment 0
		.amdhsa_system_sgpr_workgroup_id_x 1
		.amdhsa_system_sgpr_workgroup_id_y 1
		.amdhsa_system_sgpr_workgroup_id_z 0
		.amdhsa_system_sgpr_workgroup_info 0
		.amdhsa_system_vgpr_workitem_id 0
		.amdhsa_next_free_vgpr 128
		.amdhsa_next_free_sgpr 65
		.amdhsa_accum_offset 116
		.amdhsa_reserve_vcc 1
		.amdhsa_float_round_mode_32 0
		.amdhsa_float_round_mode_16_64 0
		.amdhsa_float_denorm_mode_32 3
		.amdhsa_float_denorm_mode_16_64 3
		.amdhsa_dx10_clamp 1
		.amdhsa_ieee_mode 1
		.amdhsa_fp16_overflow 0
		.amdhsa_tg_split 0
		.amdhsa_exception_fp_ieee_invalid_op 0
		.amdhsa_exception_fp_denorm_src 0
		.amdhsa_exception_fp_ieee_div_zero 0
		.amdhsa_exception_fp_ieee_overflow 0
		.amdhsa_exception_fp_ieee_underflow 0
		.amdhsa_exception_fp_ieee_inexact 0
		.amdhsa_exception_int_div_zero 0
	.end_amdhsa_kernel
	.section	.text._ZN12_GLOBAL__N_139chunk_gated_delta_rule_fwd_h_hip_kernelILi16ELb1ELb1ELb0ELb1ELb1ELb1ELb0ELb0EEEvPK12hip_bfloat16S3_S3_PKfS5_PKvPS1_S8_PvPKiSB_iiiiilll,"axG",@progbits,_ZN12_GLOBAL__N_139chunk_gated_delta_rule_fwd_h_hip_kernelILi16ELb1ELb1ELb0ELb1ELb1ELb1ELb0ELb0EEEvPK12hip_bfloat16S3_S3_PKfS5_PKvPS1_S8_PvPKiSB_iiiiilll,comdat
.Lfunc_end658:
	.size	_ZN12_GLOBAL__N_139chunk_gated_delta_rule_fwd_h_hip_kernelILi16ELb1ELb1ELb0ELb1ELb1ELb1ELb0ELb0EEEvPK12hip_bfloat16S3_S3_PKfS5_PKvPS1_S8_PvPKiSB_iiiiilll, .Lfunc_end658-_ZN12_GLOBAL__N_139chunk_gated_delta_rule_fwd_h_hip_kernelILi16ELb1ELb1ELb0ELb1ELb1ELb1ELb0ELb0EEEvPK12hip_bfloat16S3_S3_PKfS5_PKvPS1_S8_PvPKiSB_iiiiilll
                                        ; -- End function
	.section	.AMDGPU.csdata,"",@progbits
; Kernel info:
; codeLenInByte = 7868
; NumSgprs: 71
; NumVgprs: 116
; NumAgprs: 12
; TotalNumVgprs: 128
; ScratchSize: 0
; MemoryBound: 0
; FloatMode: 240
; IeeeMode: 1
; LDSByteSize: 40960 bytes/workgroup (compile time only)
; SGPRBlocks: 8
; VGPRBlocks: 15
; NumSGPRsForWavesPerEU: 71
; NumVGPRsForWavesPerEU: 128
; AccumOffset: 116
; Occupancy: 1
; WaveLimiterHint : 1
; COMPUTE_PGM_RSRC2:SCRATCH_EN: 0
; COMPUTE_PGM_RSRC2:USER_SGPR: 2
; COMPUTE_PGM_RSRC2:TRAP_HANDLER: 0
; COMPUTE_PGM_RSRC2:TGID_X_EN: 1
; COMPUTE_PGM_RSRC2:TGID_Y_EN: 1
; COMPUTE_PGM_RSRC2:TGID_Z_EN: 0
; COMPUTE_PGM_RSRC2:TIDIG_COMP_CNT: 0
; COMPUTE_PGM_RSRC3_GFX90A:ACCUM_OFFSET: 28
; COMPUTE_PGM_RSRC3_GFX90A:TG_SPLIT: 0
	.section	.text._ZN12_GLOBAL__N_139chunk_gated_delta_rule_fwd_h_hip_kernelILi16ELb1ELb0ELb1ELb1ELb1ELb1ELb0ELb0EEEvPK12hip_bfloat16S3_S3_PKfS5_PKvPS1_S8_PvPKiSB_iiiiilll,"axG",@progbits,_ZN12_GLOBAL__N_139chunk_gated_delta_rule_fwd_h_hip_kernelILi16ELb1ELb0ELb1ELb1ELb1ELb1ELb0ELb0EEEvPK12hip_bfloat16S3_S3_PKfS5_PKvPS1_S8_PvPKiSB_iiiiilll,comdat
	.globl	_ZN12_GLOBAL__N_139chunk_gated_delta_rule_fwd_h_hip_kernelILi16ELb1ELb0ELb1ELb1ELb1ELb1ELb0ELb0EEEvPK12hip_bfloat16S3_S3_PKfS5_PKvPS1_S8_PvPKiSB_iiiiilll ; -- Begin function _ZN12_GLOBAL__N_139chunk_gated_delta_rule_fwd_h_hip_kernelILi16ELb1ELb0ELb1ELb1ELb1ELb1ELb0ELb0EEEvPK12hip_bfloat16S3_S3_PKfS5_PKvPS1_S8_PvPKiSB_iiiiilll
	.p2align	8
	.type	_ZN12_GLOBAL__N_139chunk_gated_delta_rule_fwd_h_hip_kernelILi16ELb1ELb0ELb1ELb1ELb1ELb1ELb0ELb0EEEvPK12hip_bfloat16S3_S3_PKfS5_PKvPS1_S8_PvPKiSB_iiiiilll,@function
_ZN12_GLOBAL__N_139chunk_gated_delta_rule_fwd_h_hip_kernelILi16ELb1ELb0ELb1ELb1ELb1ELb1ELb0ELb0EEEvPK12hip_bfloat16S3_S3_PKfS5_PKvPS1_S8_PvPKiSB_iiiiilll: ; @_ZN12_GLOBAL__N_139chunk_gated_delta_rule_fwd_h_hip_kernelILi16ELb1ELb0ELb1ELb1ELb1ELb1ELb0ELb0EEEvPK12hip_bfloat16S3_S3_PKfS5_PKvPS1_S8_PvPKiSB_iiiiilll
; %bb.0:
	s_load_dwordx4 s[12:15], s[0:1], 0x5c
	s_load_dwordx4 s[4:7], s[0:1], 0x48
	s_abs_i32 s9, s3
	s_ashr_i32 s8, s3, 31
	v_and_b32_e32 v64, 15, v0
	s_waitcnt lgkmcnt(0)
	s_abs_i32 s10, s13
	v_cvt_f32_u32_e32 v1, s10
	s_sub_i32 s16, 0, s10
	s_ashr_i32 s11, s13, 31
	s_xor_b32 s8, s8, s11
	v_rcp_iflag_f32_e32 v1, v1
	v_lshrrev_b32_e32 v62, 6, v0
	v_bfe_u32 v63, v0, 4, 2
	v_mov_b32_e32 v5, 0
	v_mul_f32_e32 v1, 0x4f7ffffe, v1
	v_cvt_u32_f32_e32 v1, v1
	v_and_b32_e32 v53, 63, v0
	v_lshrrev_b32_e32 v66, 3, v53
	v_lshlrev_b32_e32 v65, 3, v0
	v_readfirstlane_b32 s17, v1
	s_mul_i32 s16, s16, s17
	s_mul_hi_u32 s16, s17, s16
	s_add_i32 s17, s17, s16
	s_mul_hi_u32 s16, s9, s17
	s_mul_i32 s17, s16, s10
	s_sub_i32 s9, s9, s17
	s_add_i32 s18, s16, 1
	s_sub_i32 s17, s9, s10
	s_cmp_ge_u32 s9, s10
	s_cselect_b32 s16, s18, s16
	s_cselect_b32 s9, s17, s9
	s_add_i32 s17, s16, 1
	s_cmp_ge_u32 s9, s10
	s_cselect_b32 s9, s17, s16
	s_xor_b32 s9, s9, s8
	s_sub_i32 s20, s9, s8
	s_mul_i32 s24, s20, s13
	s_ashr_i32 s21, s20, 31
	s_sub_i32 s49, s3, s24
	s_lshl_b64 s[8:9], s[20:21], 2
	s_add_u32 s4, s4, s8
	s_addc_u32 s5, s5, s9
	s_add_u32 s22, s6, s8
	s_addc_u32 s23, s7, s9
	s_abs_i32 s3, s14
	v_cvt_f32_u32_e32 v1, s3
	s_load_dwordx2 s[34:35], s[4:5], 0x0
	s_lshl_b32 s40, s2, 4
	s_ashr_i32 s2, s14, 31
	v_rcp_iflag_f32_e32 v1, v1
	s_xor_b32 s2, s11, s2
	s_waitcnt lgkmcnt(0)
	s_sub_i32 s52, s35, s34
	s_ashr_i32 s4, s52, 31
	v_mul_f32_e32 v1, 0x4f7ffffe, v1
	v_cvt_u32_f32_e32 v1, v1
	s_lshr_b32 s4, s4, 26
	s_add_i32 s4, s52, s4
	s_ashr_i32 s50, s4, 6
	s_sub_i32 s4, 0, s3
	v_readfirstlane_b32 s5, v1
	s_mul_i32 s4, s4, s5
	s_mul_hi_u32 s4, s5, s4
	s_add_i32 s5, s5, s4
	s_mul_hi_u32 s4, s10, s5
	s_mul_i32 s5, s4, s3
	s_sub_i32 s5, s10, s5
	s_add_i32 s6, s4, 1
	s_sub_i32 s7, s5, s3
	s_cmp_ge_u32 s5, s3
	s_cselect_b32 s4, s6, s4
	s_cselect_b32 s5, s7, s5
	s_add_i32 s6, s4, 1
	s_cmp_ge_u32 s5, s3
	s_cselect_b32 s3, s6, s4
	s_xor_b32 s3, s3, s2
	s_sub_i32 s2, s3, s2
	s_abs_i32 s3, s2
	v_cvt_f32_u32_e32 v1, s3
	s_sub_i32 s5, 0, s3
	s_abs_i32 s4, s49
	s_xor_b32 s2, s49, s2
	v_rcp_iflag_f32_e32 v1, v1
	s_ashr_i32 s2, s2, 31
	s_load_dwordx4 s[16:19], s[0:1], 0x28
	s_load_dwordx2 s[28:29], s[0:1], 0x38
	v_or_b32_e32 v54, s40, v64
	v_mul_f32_e32 v1, 0x4f7ffffe, v1
	v_cvt_u32_f32_e32 v1, v1
	v_lshlrev_b32_e32 v2, 7, v54
	v_ashrrev_i32_e32 v3, 31, v2
	s_mul_hi_i32 s55, s49, s12
	v_readfirstlane_b32 s6, v1
	s_mul_i32 s5, s5, s6
	s_mul_hi_u32 s5, s6, s5
	s_add_i32 s6, s6, s5
	s_mul_hi_u32 s5, s4, s6
	s_mul_i32 s6, s5, s3
	s_sub_i32 s4, s4, s6
	s_add_i32 s6, s5, 1
	s_sub_i32 s7, s4, s3
	s_cmp_ge_u32 s4, s3
	s_cselect_b32 s5, s6, s5
	s_cselect_b32 s4, s7, s4
	s_add_i32 s6, s5, 1
	s_cmp_ge_u32 s4, s3
	s_cselect_b32 s3, s6, s5
	s_xor_b32 s3, s3, s2
	s_sub_i32 s53, s3, s2
	s_ashr_i32 s51, s49, 31
	s_mul_hi_i32 s3, s20, s13
	s_add_u32 s2, s24, s49
	s_addc_u32 s3, s3, s51
	s_lshl_b64 s[2:3], s[2:3], 16
	v_lshlrev_b32_e32 v1, 4, v62
	s_waitcnt lgkmcnt(0)
	s_add_u32 s2, s16, s2
	v_lshl_or_b32 v67, v63, 2, v1
	s_addc_u32 s3, s17, s3
	v_lshl_add_u64 v[2:3], v[2:3], 2, s[2:3]
	v_lshlrev_b32_e32 v4, 2, v67
	v_lshl_add_u64 v[10:11], v[2:3], 0, v[4:5]
	global_load_dwordx4 v[6:9], v[10:11], off
	global_load_dwordx4 v[2:5], v[10:11], off offset:256
	s_load_dwordx8 s[4:11], s[0:1], 0x0
	s_load_dwordx2 s[30:31], s[0:1], 0x80
	s_load_dwordx4 s[24:27], s[0:1], 0x70
	s_load_dword s54, s[22:23], 0x0
	v_or_b32_e32 v68, 64, v67
	s_cmp_lt_i32 s52, 64
	s_mul_i32 s56, s49, s12
	s_waitcnt lgkmcnt(0)
	s_mul_i32 s33, s20, s25
	s_mul_hi_u32 s45, s20, s24
	s_mul_i32 s46, s21, s24
	s_mul_i32 s38, s20, s24
	;; [unrolled: 1-line block ×3, first 2 shown]
	s_mul_hi_u32 s47, s49, s26
	s_mul_i32 s48, s51, s26
	s_mul_i32 s36, s49, s26
	s_cbranch_scc1 .LBB659_18
; %bb.1:
	s_ashr_i32 s3, s34, 31
	s_add_u32 s2, s56, s34
	s_addc_u32 s3, s55, s3
	s_lshl_b64 s[2:3], s[2:3], 8
	v_and_b32_e32 v70, 56, v65
	s_add_u32 s20, s6, s2
	v_lshl_or_b32 v69, v62, 3, v66
	v_lshlrev_b32_e32 v10, 1, v70
	s_addc_u32 s2, s7, s3
	v_lshl_or_b32 v71, v69, 8, v10
	s_and_b32 s21, s2, 0xffff
	s_mov_b32 s23, 0x20000
	s_movk_i32 s22, 0x4000
	s_movk_i32 s2, 0x80
	v_or_b32_e32 v72, 0x2000, v71
	buffer_load_dwordx4 v[12:15], v71, s[20:23], 0 offen
	buffer_load_dwordx4 v[16:19], v71, s[20:23], s2 offen
	buffer_load_dwordx4 v[20:23], v72, s[20:23], 0 offen
	buffer_load_dwordx4 v[24:27], v72, s[20:23], s2 offen
	v_lshlrev_b32_e32 v11, 3, v69
	v_and_or_b32 v29, v0, 7, v11
	v_and_b32_e32 v11, 0x78, v11
	v_lshlrev_b32_e32 v29, 4, v29
	v_xor_b32_e32 v73, v29, v11
	v_mul_lo_u32 v28, v69, s15
	v_or_b32_e32 v74, 0x1000, v73
	v_xor_b32_e32 v11, 8, v73
	s_cmpk_eq_i32 s15, 0x80
	s_mov_b32 s57, s34
	v_xor_b32_e32 v29, 8, v74
	s_cselect_b64 s[2:3], -1, 0
	s_cmpk_lg_i32 s15, 0x80
	s_waitcnt vmcnt(3)
	ds_write_b64 v73, v[12:13] offset:16384
	ds_write_b64 v11, v[14:15] offset:16384
	s_waitcnt vmcnt(2)
	ds_write_b64 v73, v[16:17] offset:24576
	ds_write_b64 v11, v[18:19] offset:24576
	;; [unrolled: 3-line block ×4, first 2 shown]
	v_lshl_add_u32 v11, v28, 1, v70
	s_cbranch_scc0 .LBB659_3
; %bb.2:
	v_lshlrev_b32_e32 v13, 1, v11
	v_add_lshl_u32 v12, v11, s15, 1
	s_lshl_b32 s22, s15, 7
	s_load_dwordx2 s[16:17], s[0:1], 0x20
	v_lshl_or_b32 v10, v69, 9, v10
	s_cbranch_execz .LBB659_4
	s_branch .LBB659_5
.LBB659_3:
                                        ; implicit-def: $vgpr12
                                        ; implicit-def: $vgpr13
                                        ; implicit-def: $sgpr22
	s_load_dwordx2 s[16:17], s[0:1], 0x20
	v_lshl_or_b32 v10, v69, 9, v10
.LBB659_4:
	v_or_b32_e32 v12, 0x100, v10
	s_movk_i32 s22, 0x4000
	v_mov_b32_e32 v13, v10
.LBB659_5:
	s_mul_i32 s0, s34, s14
	s_ashr_i32 s58, s53, 31
	s_mul_hi_i32 s1, s34, s14
	s_add_u32 s0, s0, s53
	s_addc_u32 s1, s1, s58
	s_lshl_b64 s[0:1], s[0:1], 8
	s_add_u32 s20, s4, s0
	s_addc_u32 s0, s5, s1
	s_and_b32 s21, s0, 0xffff
	s_movk_i32 s59, 0x80
	buffer_load_dwordx4 v[14:17], v13, s[20:23], 0 offen
	buffer_load_dwordx4 v[18:21], v13, s[20:23], s59 offen
	;; [unrolled: 1-line block ×4, first 2 shown]
	v_and_b32_e32 v12, 6, v0
	v_lshlrev_b32_e32 v30, 2, v64
	v_lshlrev_b32_e32 v31, 3, v64
	v_xor_b32_e32 v35, v69, v12
	v_and_b32_e32 v13, 1, v0
	v_lshl_or_b32 v31, v67, 5, v31
	v_xor_b32_e32 v36, v67, v30
	v_lshlrev_b32_e32 v35, 2, v35
	s_add_i32 s0, s45, s33
	v_or_b32_e32 v75, 0x9000, v31
	v_or_b32_e32 v76, 0x9800, v31
	v_lshlrev_b32_e32 v31, 1, v36
	v_xor_b32_e32 v36, 0x440, v35
	v_cmp_eq_u32_e32 vcc, 0, v13
	s_add_i32 s1, s47, s44
	s_add_i32 s39, s0, s46
	v_cndmask_b32_e32 v13, v36, v35, vcc
	s_add_i32 s37, s1, s48
	s_lshl_b64 s[0:1], s[38:39], 2
	s_mov_b32 s60, 0x1000504
	s_mov_b32 s61, 0x3020706
	v_lshlrev_b32_e32 v32, 8, v64
	s_mov_b32 s20, 0x8000
	v_xor_b32_e32 v30, v68, v30
	v_lshl_or_b32 v12, v12, 10, v13
	s_add_u32 s21, s10, s0
	v_or_b32_e32 v33, v1, v64
	v_lshlrev_b32_e32 v30, 1, v30
	v_or3_b32 v77, v31, v32, s20
	v_xor_b32_e32 v13, 8, v12
	v_xor_b32_e32 v31, 24, v12
	;; [unrolled: 1-line block ×4, first 2 shown]
	s_addc_u32 s22, s11, s1
	s_lshl_b64 s[0:1], s[36:37], 2
	v_or3_b32 v78, v30, v32, s20
	v_xor_b32_e32 v30, 16, v12
	v_xor_b32_e32 v32, 32, v12
	;; [unrolled: 1-line block ×3, first 2 shown]
	v_add_u32_e32 v13, 0x80, v13
	v_add_u32_e32 v31, 0x80, v31
	;; [unrolled: 1-line block ×4, first 2 shown]
	s_add_u32 s42, s21, s0
	s_movk_i32 s0, 0xf8
	s_addc_u32 s43, s22, s1
	s_ashr_i32 s41, s40, 31
	v_ashrrev_i32_e32 v55, 31, v54
	s_lshl_b32 s26, s15, 7
	v_lshrrev_b32_e32 v34, 2, v53
	s_mov_b32 s62, 0
	s_mov_b32 s37, 0x7060302
	s_movk_i32 s22, 0x4000
	s_waitcnt vmcnt(1)
	v_perm_b32 v38, v14, v22, s60
	s_waitcnt vmcnt(0)
	v_perm_b32 v39, v18, v26, s60
	v_perm_b32 v14, v14, v22, s61
	;; [unrolled: 1-line block ×15, first 2 shown]
	ds_write2st64_b32 v12, v38, v39 offset1:32
	ds_write2st64_b32 v13, v14, v18 offset1:32
	ds_write2st64_b32 v30, v22, v26 offset0:1 offset1:33
	ds_write2st64_b32 v31, v15, v19 offset0:1 offset1:33
	;; [unrolled: 1-line block ×6, first 2 shown]
	v_lshlrev_b32_e32 v12, 3, v33
	v_lshrrev_b32_e32 v14, 5, v53
	v_and_or_b32 v14, v12, s0, v14
	v_lshlrev_b32_e32 v14, 4, v14
	v_lshlrev_b32_e32 v21, 11, v62
	v_and_b32_e32 v12, 0x78, v12
	v_or_b32_e32 v17, 32, v14
	v_and_b32_e32 v13, 0x1000, v21
	v_lshrrev_b32_e32 v16, 1, v53
	v_xor_b32_e32 v17, v17, v12
	v_and_b32_e32 v16, 8, v16
	v_or_b32_e32 v17, v17, v13
	v_xor_b32_e32 v15, v14, v12
	v_xor_b32_e32 v81, v17, v16
	v_or_b32_e32 v17, 64, v14
	v_or_b32_e32 v14, 0x60, v14
	v_xor_b32_e32 v17, v17, v12
	v_xor_b32_e32 v12, v14, v12
	v_or_b32_e32 v15, v15, v13
	v_or_b32_e32 v17, v17, v13
	;; [unrolled: 1-line block ×3, first 2 shown]
	v_xor_b32_e32 v79, v15, v16
	v_xor_b32_e32 v82, v17, v16
	;; [unrolled: 1-line block ×3, first 2 shown]
	v_lshrrev_b32_e32 v16, 4, v0
	v_lshlrev_b32_e32 v17, 1, v64
	v_or_b32_e32 v18, 1, v17
	v_xor_b32_e32 v17, v16, v17
	s_lshl_b64 s[0:1], s[40:41], 8
	v_xor_b32_e32 v18, v18, v16
	v_lshlrev_b32_e32 v17, 3, v17
	v_lshlrev_b32_e32 v16, 8, v16
	v_lshlrev_b64 v[12:13], 1, v[54:55]
	s_add_u32 s0, s18, s0
	v_or3_b32 v55, v17, v16, s20
	v_lshlrev_b32_e32 v17, 3, v18
	s_addc_u32 s1, s19, s1
	v_or3_b32 v85, v17, v16, s20
	v_mov_b32_e32 v17, 0
	v_lshrrev_b32_e32 v27, 1, v0
	v_lshl_add_u64 v[18:19], s[0:1], 0, v[16:17]
	v_lshlrev_b32_e32 v16, 4, v64
	s_movk_i32 s0, 0xff
	v_lshlrev_b32_e32 v26, 3, v62
	v_and_b32_e32 v27, 24, v27
	v_lshl_add_u64 v[56:57], v[18:19], 0, v[16:17]
	v_and_b32_e32 v16, 7, v0
	v_and_b32_e32 v19, 8, v0
	v_cmp_lt_u32_e32 vcc, s0, v0
	v_xor_b32_e32 v28, v26, v27
	v_lshlrev_b32_e32 v24, 3, v16
	v_lshlrev_b32_e32 v25, 7, v16
	v_cndmask_b32_e64 v16, 0, 1, vcc
	v_or_b32_e32 v29, 0x440, v28
	v_cmp_eq_u32_e32 vcc, 0, v19
	v_or_b32_e32 v31, 64, v27
	v_xor_b32_e32 v31, v26, v31
	v_cndmask_b32_e32 v19, v29, v28, vcc
	v_or_b32_e32 v29, 32, v27
	v_or_b32_e32 v27, 0x60, v27
	v_xor_b32_e32 v29, v26, v29
	v_xor_b32_e32 v26, v26, v27
	v_or_b32_e32 v30, 0x440, v29
	v_xor_b32_e32 v32, 0x440, v31
	v_xor_b32_e32 v27, 0x440, v26
	v_cndmask_b32_e32 v29, v30, v29, vcc
	v_cndmask_b32_e32 v31, v32, v31, vcc
	;; [unrolled: 1-line block ×3, first 2 shown]
	v_and_b32_e32 v15, 0x78, v65
	v_or_b32_e32 v19, v19, v21
	v_or_b32_e32 v29, v29, v21
	;; [unrolled: 1-line block ×4, first 2 shown]
	v_and_b32_e32 v20, 12, v34
	v_lshl_or_b32 v15, v63, 7, v15
	v_lshlrev_b32_e32 v16, 13, v16
	v_xor_b32_e32 v19, v19, v24
	v_xor_b32_e32 v29, v29, v24
	;; [unrolled: 1-line block ×4, first 2 shown]
	v_or_b32_e32 v80, 0x9000, v15
	v_or_b32_e32 v84, 0x9800, v15
	v_lshl_add_u64 v[14:15], s[8:9], 0, v[12:13]
	v_lshl_add_u64 v[12:13], s[28:29], 0, v[12:13]
	v_lshlrev_b32_e32 v22, 1, v11
	v_add_lshl_u32 v11, v11, s15, 1
	v_or_b32_e32 v23, 0x100, v10
	v_or_b32_e32 v18, v20, v1
	v_add_u32_e32 v28, v16, v19
	v_add_u32_e32 v30, v16, v29
	;; [unrolled: 1-line block ×4, first 2 shown]
	v_or3_b32 v20, v1, v20, 64
	v_add_u32_e32 v19, 0x2000, v19
	v_add_u32_e32 v26, 0x2000, v29
	v_add_u32_e32 v27, 0x2000, v31
	v_add_u32_e32 v21, 0x2000, v21
	v_lshlrev_b32_e32 v16, 8, v67
	v_cndmask_b32_e64 v86, v22, v10, s[2:3]
	v_cndmask_b32_e64 v87, v11, v23, s[2:3]
	v_lshl_add_u64 v[58:59], v[14:15], 0, v[16:17]
	v_lshl_add_u64 v[60:61], v[12:13], 0, v[16:17]
	v_lshlrev_b32_e32 v88, 2, v18
	v_add_u32_e32 v89, v28, v25
	v_add_u32_e32 v90, v30, v25
	;; [unrolled: 1-line block ×4, first 2 shown]
	v_lshlrev_b32_e32 v93, 2, v20
	v_add_u32_e32 v94, v19, v25
	v_add_u32_e32 v95, v26, v25
	;; [unrolled: 1-line block ×4, first 2 shown]
	s_waitcnt lgkmcnt(0)
	s_barrier
.LBB659_6:                              ; =>This Inner Loop Header: Depth=1
	s_add_i32 s39, s62, 1
	s_cmp_lt_i32 s39, s50
	s_mov_b64 s[24:25], 0
	s_cselect_b64 s[2:3], -1, 0
	s_cmp_ge_i32 s39, s50
	s_mov_b64 s[20:21], 0
	s_cbranch_scc1 .LBB659_8
; %bb.7:                                ;   in Loop: Header=BB659_6 Depth=1
	s_add_i32 s0, s57, 64
	s_ashr_i32 s1, s0, 31
	s_add_u32 s0, s56, s0
	s_addc_u32 s1, s55, s1
	s_lshl_b64 s[0:1], s[0:1], 8
	s_add_u32 s20, s6, s0
	s_addc_u32 s21, s7, s1
.LBB659_8:                              ;   in Loop: Header=BB659_6 Depth=1
	v_cndmask_b32_e64 v10, 0, 1, s[2:3]
	v_cmp_ne_u32_e64 s[0:1], 1, v10
	s_andn2_b64 vcc, exec, s[2:3]
	s_cbranch_vccnz .LBB659_10
; %bb.9:                                ;   in Loop: Header=BB659_6 Depth=1
	s_add_i32 s2, s57, 64
	s_mul_hi_i32 s3, s2, s14
	s_mul_i32 s2, s2, s14
	s_add_u32 s2, s2, s53
	s_addc_u32 s3, s3, s58
	s_lshl_b64 s[2:3], s[2:3], 8
	s_add_u32 s24, s4, s2
	s_addc_u32 s25, s5, s3
.LBB659_10:                             ;   in Loop: Header=BB659_6 Depth=1
	v_perm_b32 v11, v9, v8, s37
	v_perm_b32 v10, v7, v6, s37
	;; [unrolled: 1-line block ×4, first 2 shown]
	ds_write_b64 v75, v[10:11]
	ds_write_b64 v76, v[12:13]
	ds_write_b64 v77, v[10:11]
	ds_write_b64 v78, v[12:13]
	s_waitcnt lgkmcnt(0)
	s_barrier
	ds_read_b64 v[18:19], v79 offset:16384
	ds_read_b64 v[20:21], v81 offset:16384
	ds_read2st64_b64 v[10:13], v80 offset1:1
	s_waitcnt lgkmcnt(0)
	v_mfma_f32_16x16x16_bf16 a[0:3], v[18:19], v[10:11], 0
	ds_read2st64_b64 v[14:17], v80 offset0:2 offset1:3
	ds_read_b64 v[22:23], v82 offset:16384
	ds_read_b64 v[10:11], v83 offset:16384
	s_add_i32 s41, s57, 63
	v_mfma_f32_16x16x16_bf16 a[0:3], v[20:21], v[12:13], a[0:3]
	s_ashr_i32 s2, s41, 31
	s_mul_i32 s3, s41, s31
	s_mul_hi_u32 s27, s41, s30
	s_waitcnt lgkmcnt(1)
	v_mfma_f32_16x16x16_bf16 a[0:3], v[22:23], v[14:15], a[0:3]
	s_add_i32 s3, s27, s3
	s_mul_i32 s2, s2, s30
	s_add_i32 s3, s3, s2
	s_mul_i32 s2, s41, s30
	s_waitcnt lgkmcnt(0)
	v_mfma_f32_16x16x16_bf16 a[0:3], v[10:11], v[16:17], a[0:3]
	s_lshl_b64 s[2:3], s[2:3], 2
	s_add_u32 s2, s42, s2
	s_addc_u32 s3, s43, s3
	s_and_b64 vcc, exec, s[0:1]
	v_mov_b32_e32 v100, 0
	v_mov_b32_e32 v99, 0
	;; [unrolled: 1-line block ×19, first 2 shown]
	s_cbranch_vccnz .LBB659_12
; %bb.11:                               ;   in Loop: Header=BB659_6 Depth=1
	s_and_b32 s21, s21, 0xffff
	buffer_load_dwordx4 v[22:25], v71, s[20:23], 0 offen
	buffer_load_dwordx4 v[18:21], v71, s[20:23], s59 offen
	;; [unrolled: 1-line block ×4, first 2 shown]
	v_mov_b32_e32 v99, v73
	v_mov_b32_e32 v98, v74
.LBB659_12:                             ;   in Loop: Header=BB659_6 Depth=1
	v_add_u32_e32 v30, s57, v67
	v_ashrrev_i32_e32 v26, 31, v30
	v_mul_lo_u32 v28, v26, s30
	v_mul_lo_u32 v29, v30, s31
	v_mad_u64_u32 v[26:27], s[20:21], v30, s30, 0
	v_add3_u32 v27, v27, v29, v28
	v_lshl_add_u64 v[26:27], v[26:27], 2, s[42:43]
	global_load_dword v44, v[26:27], off
	v_add_u32_e32 v26, 1, v30
	v_ashrrev_i32_e32 v27, 31, v26
	v_mul_lo_u32 v28, v27, s30
	v_mul_lo_u32 v29, v26, s31
	v_mad_u64_u32 v[26:27], s[20:21], v26, s30, 0
	v_add3_u32 v27, v27, v29, v28
	v_add_u32_e32 v28, 2, v30
	v_ashrrev_i32_e32 v29, 31, v28
	v_mul_lo_u32 v31, v29, s30
	v_mul_lo_u32 v32, v28, s31
	v_mad_u64_u32 v[28:29], s[20:21], v28, s30, 0
	v_add_u32_e32 v30, 3, v30
	v_add3_u32 v29, v29, v32, v31
	v_ashrrev_i32_e32 v31, 31, v30
	v_mul_lo_u32 v34, v31, s30
	v_mul_lo_u32 v35, v30, s31
	v_mad_u64_u32 v[30:31], s[20:21], v30, s30, 0
	s_ashr_i32 s21, s57, 31
	s_add_u32 s20, s56, s57
	s_addc_u32 s21, s55, s21
	s_lshl_b64 s[20:21], s[20:21], 8
	v_lshl_add_u64 v[26:27], v[26:27], 2, s[42:43]
	v_lshl_add_u64 v[32:33], v[58:59], 0, s[20:21]
	v_add3_u32 v31, v31, v35, v34
	v_lshl_add_u64 v[28:29], v[28:29], 2, s[42:43]
	global_load_ushort v45, v[32:33], off
	global_load_ushort v46, v[32:33], off offset:256
	global_load_ushort v47, v[32:33], off offset:512
	;; [unrolled: 1-line block ×3, first 2 shown]
	v_lshl_add_u64 v[30:31], v[30:31], 2, s[42:43]
	global_load_dword v49, v[26:27], off
	global_load_dword v50, v[28:29], off
	;; [unrolled: 1-line block ×3, first 2 shown]
	s_load_dword s2, s[2:3], 0x0
	ds_read_b64 v[28:29], v79 offset:24576
	ds_read2st64_b64 v[30:33], v84 offset1:1
	ds_read2st64_b64 v[34:37], v84 offset0:2 offset1:3
	ds_read_b64 v[38:39], v81 offset:24576
	ds_read_b64 v[40:41], v82 offset:24576
	;; [unrolled: 1-line block ×3, first 2 shown]
	s_waitcnt lgkmcnt(0)
	v_mfma_f32_16x16x16_bf16 a[0:3], v[28:29], v[30:31], a[0:3]
	v_mov_b32_e32 v101, 0
	v_mov_b32_e32 v26, 0
	;; [unrolled: 1-line block ×3, first 2 shown]
	v_mfma_f32_16x16x16_bf16 a[0:3], v[38:39], v[32:33], a[0:3]
	v_lshl_add_u64 v[38:39], v[60:61], 0, s[20:21]
	v_mov_b32_e32 v28, 0
	v_mov_b32_e32 v29, 0
	v_mfma_f32_16x16x16_bf16 a[0:3], v[40:41], v[34:35], a[0:3]
	v_mov_b32_e32 v30, 0
	v_mov_b32_e32 v31, 0
	;; [unrolled: 1-line block ×3, first 2 shown]
	v_mfma_f32_16x16x16_bf16 a[0:3], v[42:43], v[36:37], a[0:3]
	v_mov_b32_e32 v33, 0
	v_mov_b32_e32 v34, 0
	s_and_b64 vcc, exec, s[0:1]
	s_waitcnt vmcnt(7)
	v_sub_f32_e32 v35, s2, v44
	s_nop 1
	v_accvgpr_read_b32 v41, a1
	v_accvgpr_read_b32 v40, a0
	;; [unrolled: 1-line block ×4, first 2 shown]
	s_waitcnt vmcnt(6)
	v_lshlrev_b32_e32 v42, 16, v45
	s_waitcnt vmcnt(5)
	v_lshlrev_b32_e32 v43, 16, v46
	v_exp_f32_e32 v46, v35
	s_waitcnt vmcnt(3)
	v_lshlrev_b32_e32 v45, 16, v48
	s_waitcnt vmcnt(2)
	v_sub_f32_e32 v35, s2, v49
	s_waitcnt vmcnt(1)
	v_sub_f32_e32 v48, s2, v50
	;; [unrolled: 2-line block ×3, first 2 shown]
	v_lshlrev_b32_e32 v44, 16, v47
	v_pk_add_f32 v[40:41], v[42:43], v[40:41] neg_lo:[0,1] neg_hi:[0,1]
	v_exp_f32_e32 v47, v35
	v_exp_f32_e32 v42, v48
	;; [unrolled: 1-line block ×3, first 2 shown]
	v_pk_add_f32 v[36:37], v[44:45], v[36:37] neg_lo:[0,1] neg_hi:[0,1]
	global_store_short_d16_hi v[38:39], v40, off
	global_store_short_d16_hi v[38:39], v41, off offset:256
	global_store_short_d16_hi v[38:39], v36, off offset:512
	;; [unrolled: 1-line block ×3, first 2 shown]
	v_pk_mul_f32 v[38:39], v[46:47], v[40:41]
	v_pk_mul_f32 v[36:37], v[42:43], v[36:37]
	v_perm_b32 v38, v39, v38, s37
	v_perm_b32 v39, v37, v36, s37
	ds_write_b64 v76, v[38:39]
	v_mov_b32_e32 v35, 0
	v_mov_b32_e32 v36, 0
	;; [unrolled: 1-line block ×7, first 2 shown]
	s_cbranch_vccnz .LBB659_14
; %bb.13:                               ;   in Loop: Header=BB659_6 Depth=1
	s_and_b32 s25, s25, 0xffff
	s_mov_b32 s27, s23
	buffer_load_dwordx4 v[38:41], v86, s[24:27], 0 offen
	buffer_load_dwordx4 v[30:33], v86, s[24:27], s59 offen
	;; [unrolled: 1-line block ×4, first 2 shown]
	v_mov_b32_e32 v100, v70
	v_mov_b32_e32 v101, v69
.LBB659_14:                             ;   in Loop: Header=BB659_6 Depth=1
	s_waitcnt lgkmcnt(0)
	s_barrier
	ds_read_b64 v[42:43], v89
	ds_read_b64 v[48:49], v90
	ds_read2st64_b64 v[44:47], v84 offset1:1
	ds_read2st64_b64 v[102:105], v84 offset0:2 offset1:3
	ds_read_b64 v[50:51], v91
	ds_read_b64 v[110:111], v92
	s_add_i32 s3, s54, s62
	s_mul_hi_i32 s21, s3, s13
	s_mul_i32 s3, s3, s13
	s_waitcnt lgkmcnt(3)
	v_mfma_f32_16x16x16_bf16 a[0:3], v[42:43], v[44:45], 0
	ds_read_b64 v[42:43], v94
	s_add_u32 s20, s3, s49
	s_addc_u32 s21, s21, s51
	v_mfma_f32_16x16x16_bf16 a[0:3], v[48:49], v[46:47], a[0:3]
	ds_read_b64 v[48:49], v95
	s_lshl_b64 s[20:21], s[20:21], 15
	s_mul_i32 s24, s41, s13
	s_mul_hi_i32 s3, s41, s13
	s_add_u32 s24, s24, s49
	s_addc_u32 s25, s3, s51
	s_lshl_b64 s[24:25], s[24:25], 9
	s_add_u32 s24, s16, s24
	s_waitcnt lgkmcnt(1)
	v_mfma_f32_16x16x16_bf16 a[4:7], v[42:43], v[44:45], 0
	s_addc_u32 s25, s17, s25
	s_and_b64 vcc, exec, s[0:1]
	v_mfma_f32_16x16x16_bf16 a[0:3], v[50:51], v[102:103], a[0:3]
	ds_read_b64 v[50:51], v96
	ds_read_b64 v[112:113], v97
	global_load_dwordx4 v[42:45], v93, s[24:25]
	s_waitcnt lgkmcnt(2)
	v_mfma_f32_16x16x16_bf16 a[4:7], v[48:49], v[46:47], a[4:7]
	global_load_dwordx4 v[46:49], v88, s[24:25]
	ds_read_b64 v[106:107], v55
	ds_read_b64 v[108:109], v85
	s_waitcnt lgkmcnt(3)
	v_mfma_f32_16x16x16_bf16 a[8:11], v[50:51], v[102:103], a[4:7]
	v_lshl_add_u64 v[50:51], v[56:57], 0, s[20:21]
	s_waitcnt lgkmcnt(0)
	global_store_dwordx4 v[50:51], v[106:109], off
	v_mfma_f32_16x16x16_bf16 a[4:7], v[110:111], v[104:105], a[0:3]
	s_waitcnt vmcnt(2)
	v_mov_b32_e32 v52, v45
	v_mfma_f32_16x16x16_bf16 a[0:3], v[112:113], v[104:105], a[8:11]
	v_mov_b32_e32 v51, v44
	v_mov_b32_e32 v50, v43
	s_cbranch_vccnz .LBB659_16
; %bb.15:                               ;   in Loop: Header=BB659_6 Depth=1
	v_lshrrev_b32_e32 v43, 3, v100
	v_and_b32_e32 v43, 6, v43
	v_xor_b32_e32 v44, v43, v101
	v_lshlrev_b32_e32 v44, 2, v44
	v_and_b32_e32 v45, 8, v100
	v_xor_b32_e32 v100, 0x440, v44
	v_cmp_eq_u32_e32 vcc, 0, v45
	v_perm_b32 v45, v30, v26, s60
	s_nop 0
	v_cndmask_b32_e32 v44, v100, v44, vcc
	v_lshl_or_b32 v43, v43, 10, v44
	v_perm_b32 v44, v38, v34, s60
	s_barrier
	ds_write2st64_b32 v43, v44, v45 offset1:32
	v_xor_b32_e32 v44, 8, v43
	v_perm_b32 v34, v38, v34, s61
	v_perm_b32 v26, v30, v26, s61
	v_add_u32_e32 v30, 0x80, v44
	ds_write2st64_b32 v30, v34, v26 offset1:32
	v_xor_b32_e32 v26, 16, v43
	v_perm_b32 v30, v39, v35, s60
	v_perm_b32 v34, v31, v27, s60
	ds_write2st64_b32 v26, v30, v34 offset0:1 offset1:33
	v_xor_b32_e32 v26, 24, v43
	v_perm_b32 v30, v39, v35, s61
	v_perm_b32 v27, v31, v27, s61
	v_add_u32_e32 v26, 0x80, v26
	ds_write2st64_b32 v26, v30, v27 offset0:1 offset1:33
	v_xor_b32_e32 v26, 32, v43
	v_perm_b32 v27, v40, v36, s60
	v_perm_b32 v30, v32, v28, s60
	ds_write2st64_b32 v26, v27, v30 offset0:2 offset1:34
	v_xor_b32_e32 v26, 40, v43
	v_perm_b32 v27, v40, v36, s61
	v_perm_b32 v28, v32, v28, s61
	v_add_u32_e32 v26, 0x80, v26
	ds_write2st64_b32 v26, v27, v28 offset0:2 offset1:34
	v_xor_b32_e32 v26, 48, v43
	v_perm_b32 v27, v41, v37, s60
	v_perm_b32 v28, v33, v29, s60
	ds_write2st64_b32 v26, v27, v28 offset0:3 offset1:35
	v_xor_b32_e32 v26, 56, v43
	v_perm_b32 v27, v41, v37, s61
	v_perm_b32 v28, v33, v29, s61
	v_add_u32_e32 v26, 0x80, v26
	ds_write2st64_b32 v26, v27, v28 offset0:3 offset1:35
	ds_write_b64 v99, v[22:23] offset:16384
	v_xor_b32_e32 v22, 8, v99
	ds_write_b64 v22, v[24:25] offset:16384
	ds_write_b64 v99, v[18:19] offset:24576
	;; [unrolled: 1-line block ×4, first 2 shown]
	v_xor_b32_e32 v14, 8, v98
	ds_write_b64 v14, v[16:17] offset:16384
	ds_write_b64 v98, v[10:11] offset:24576
	;; [unrolled: 1-line block ×3, first 2 shown]
.LBB659_16:                             ;   in Loop: Header=BB659_6 Depth=1
	v_exp_f32_e32 v18, s2
	s_waitcnt vmcnt(1)
	v_exp_f32_e32 v20, v46
	v_exp_f32_e32 v21, v47
	;; [unrolled: 1-line block ×4, first 2 shown]
	v_accvgpr_read_b32 v13, a7
	v_accvgpr_read_b32 v11, a5
	;; [unrolled: 1-line block ×3, first 2 shown]
	v_pk_mul_f32 v[20:21], v[18:19], v[20:21] op_sel_hi:[0,1]
	v_pk_fma_f32 v[6:7], v[6:7], v[20:21], v[10:11]
	v_exp_f32_e32 v20, v42
	v_exp_f32_e32 v21, v50
	v_pk_mul_f32 v[10:11], v[18:19], v[22:23] op_sel_hi:[0,1]
	v_exp_f32_e32 v22, v51
	v_exp_f32_e32 v23, v52
	v_accvgpr_read_b32 v12, a6
	v_accvgpr_read_b32 v17, a3
	;; [unrolled: 1-line block ×4, first 2 shown]
	v_pk_fma_f32 v[8:9], v[8:9], v[10:11], v[12:13]
	v_pk_mul_f32 v[10:11], v[18:19], v[20:21] op_sel_hi:[0,1]
	v_accvgpr_read_b32 v16, a2
	v_pk_fma_f32 v[2:3], v[2:3], v[10:11], v[14:15]
	v_pk_mul_f32 v[10:11], v[18:19], v[22:23] op_sel_hi:[0,1]
	s_add_i32 s57, s57, 64
	s_cmp_eq_u32 s50, s39
	v_pk_fma_f32 v[4:5], v[4:5], v[10:11], v[16:17]
	s_cbranch_scc1 .LBB659_18
; %bb.17:                               ;   in Loop: Header=BB659_6 Depth=1
	s_mov_b32 s62, s39
	s_branch .LBB659_6
.LBB659_18:
	s_lshl_b32 s26, s50, 6
	s_sub_i32 s27, s52, s26
	s_cmp_gt_i32 s27, 0
	s_cbranch_scc0 .LBB659_75
; %bb.19:
	s_add_i32 s26, s26, s34
	s_ashr_i32 s2, s26, 31
	s_cmpk_lg_i32 s15, 0x80
	s_cselect_b64 s[22:23], -1, 0
	s_and_b64 vcc, exec, s[22:23]
	s_cbranch_vccz .LBB659_21
; %bb.20:
	s_mul_i32 s1, s26, s14
	s_ashr_i32 s3, s53, 31
	s_mul_hi_i32 s0, s26, s14
	s_add_u32 s24, s1, s53
	s_addc_u32 s25, s0, s3
	s_cbranch_execz .LBB659_22
	s_branch .LBB659_23
.LBB659_21:
                                        ; implicit-def: $sgpr24_sgpr25
.LBB659_22:
	s_mul_i32 s1, s53, s12
	s_mul_hi_i32 s0, s53, s12
	s_add_u32 s24, s1, s26
	s_addc_u32 s25, s0, s2
.LBB659_23:
	s_add_i32 s3, s50, s54
	s_add_u32 s0, s56, s26
	s_addc_u32 s1, s55, s2
	s_mov_b32 s2, 0x7060302
	s_waitcnt vmcnt(0)
	v_perm_b32 v5, v5, v4, s2
	v_perm_b32 v4, v3, v2, s2
	v_lshlrev_b32_e32 v2, 3, v64
	s_lshl_b64 s[20:21], s[0:1], 8
	v_perm_b32 v9, v9, v8, s2
	v_perm_b32 v8, v7, v6, s2
	v_lshlrev_b32_e32 v34, 2, v64
	v_lshl_or_b32 v2, v67, 5, v2
	s_add_u32 s0, s6, s20
	ds_write2st64_b64 v2, v[8:9], v[4:5] offset0:72 offset1:76
	v_xor_b32_e32 v2, v67, v34
	v_lshlrev_b32_e32 v3, 8, v64
	s_addc_u32 s1, s7, s21
	v_lshl_or_b32 v2, v2, 1, v3
	s_mul_hi_i32 s6, s3, s13
	s_mul_i32 s3, s3, s13
	ds_write_b64 v2, v[8:9] offset:32768
	v_xor_b32_e32 v2, v68, v34
	s_add_u32 s2, s3, s49
	v_lshl_or_b32 v2, v2, 1, v3
	s_addc_u32 s3, s6, s51
	v_lshlrev_b32_e32 v3, 1, v64
	ds_write_b64 v2, v[4:5] offset:32768
	v_lshrrev_b32_e32 v2, 4, v0
	s_ashr_i32 s41, s40, 31
	s_lshl_b64 s[2:3], s[2:3], 15
	v_or_b32_e32 v4, 1, v3
	s_add_u32 s6, s18, s2
	v_xor_b32_e32 v3, v2, v3
	v_xor_b32_e32 v4, v4, v2
	v_lshlrev_b32_e32 v6, 8, v2
	s_addc_u32 s7, s19, s3
	s_lshl_b64 s[2:3], s[40:41], 8
	v_lshl_or_b32 v2, v3, 3, v6
	v_lshl_or_b32 v4, v4, 3, v6
	s_waitcnt lgkmcnt(0)
	s_barrier
	s_add_u32 s2, s6, s2
	ds_read_b64 v[2:3], v2 offset:32768
	ds_read_b64 v[4:5], v4 offset:32768
	s_addc_u32 s3, s7, s3
	v_mov_b32_e32 v7, 0
	s_cmp_lg_u32 s27, 64
	v_lshl_add_u64 v[8:9], s[2:3], 0, v[6:7]
	v_lshlrev_b32_e32 v6, 4, v64
	s_cselect_b64 s[6:7], -1, 0
	v_lshl_or_b32 v35, v62, 3, v66
	s_mov_b32 s16, 0
	v_lshl_add_u64 v[6:7], v[8:9], 0, v[6:7]
	v_or_b32_e32 v19, 32, v35
	v_and_b32_e32 v18, 56, v65
	s_and_b64 vcc, exec, s[6:7]
	s_waitcnt lgkmcnt(0)
	global_store_dwordx4 v[6:7], v[2:5], off
	s_cbranch_vccz .LBB659_29
; %bb.24:
	s_mov_b32 s17, s16
	s_mov_b32 s18, s16
	;; [unrolled: 1-line block ×3, first 2 shown]
	v_mov_b64_e32 v[6:7], s[16:17]
	v_mov_b64_e32 v[8:9], s[18:19]
	;; [unrolled: 1-line block ×3, first 2 shown]
	v_cmp_gt_i32_e32 vcc, s27, v35
	v_mov_b64_e32 v[4:5], v[8:9]
	s_and_saveexec_b64 s[2:3], vcc
	s_cbranch_execz .LBB659_26
; %bb.25:
	v_lshlrev_b32_e32 v2, 8, v35
	v_mov_b32_e32 v3, 0
	v_lshl_add_u64 v[4:5], s[0:1], 0, v[2:3]
	v_lshlrev_b32_e32 v2, 1, v18
	v_lshl_add_u64 v[10:11], v[4:5], 0, v[2:3]
	global_load_dwordx4 v[6:9], v[10:11], off
	global_load_dwordx4 v[2:5], v[10:11], off offset:128
.LBB659_26:
	s_or_b64 exec, exec, s[2:3]
	s_mov_b32 s17, s16
	s_mov_b32 s18, s16
	;; [unrolled: 1-line block ×3, first 2 shown]
	v_mov_b64_e32 v[14:15], s[16:17]
	v_mov_b64_e32 v[16:17], s[18:19]
	;; [unrolled: 1-line block ×3, first 2 shown]
	v_cmp_gt_i32_e32 vcc, s27, v19
	v_lshlrev_b32_e32 v20, 7, v19
	v_mov_b64_e32 v[12:13], v[16:17]
	s_and_saveexec_b64 s[2:3], vcc
	s_cbranch_execz .LBB659_28
; %bb.27:
	v_lshlrev_b32_e32 v10, 1, v20
	v_mov_b32_e32 v11, 0
	v_lshl_add_u64 v[12:13], s[0:1], 0, v[10:11]
	v_lshlrev_b32_e32 v10, 1, v18
	v_lshl_add_u64 v[22:23], v[12:13], 0, v[10:11]
	global_load_dwordx4 v[14:17], v[22:23], off
	global_load_dwordx4 v[10:13], v[22:23], off offset:128
.LBB659_28:
	s_or_b64 exec, exec, s[2:3]
	v_lshrrev_b32_e32 v21, 3, v18
	v_lshlrev_b32_e32 v22, 3, v35
	v_or_b32_e32 v21, v22, v21
	v_lshlrev_b32_e32 v21, 4, v21
	v_and_b32_e32 v22, 0x78, v22
	v_xor_b32_e32 v21, v21, v22
	s_branch .LBB659_31
.LBB659_29:
                                        ; implicit-def: $vgpr21
                                        ; implicit-def: $vgpr20
                                        ; implicit-def: $vgpr6_vgpr7_vgpr8_vgpr9
                                        ; implicit-def: $vgpr2_vgpr3_vgpr4_vgpr5
                                        ; implicit-def: $vgpr14_vgpr15_vgpr16_vgpr17
                                        ; implicit-def: $vgpr10_vgpr11_vgpr12_vgpr13
	s_cbranch_execz .LBB659_31
; %bb.30:
	s_waitcnt vmcnt(0)
	v_lshlrev_b32_e32 v2, 1, v18
	v_lshl_or_b32 v20, v35, 8, v2
	s_and_b32 s1, s1, 0xffff
	s_mov_b32 s3, 0x20000
	s_movk_i32 s2, 0x4000
	v_lshl_or_b32 v21, v19, 8, v2
	s_movk_i32 s12, 0x80
	buffer_load_dwordx4 v[6:9], v20, s[0:3], 0 offen
	buffer_load_dwordx4 v[2:5], v20, s[0:3], s12 offen
	;; [unrolled: 1-line block ×4, first 2 shown]
	v_lshrrev_b32_e32 v20, 3, v18
	v_lshlrev_b32_e32 v21, 3, v35
	v_or_b32_e32 v20, v21, v20
	v_lshlrev_b32_e32 v20, 4, v20
	v_and_b32_e32 v21, 0x78, v21
	v_xor_b32_e32 v21, v20, v21
	v_lshlrev_b32_e32 v20, 7, v19
.LBB659_31:
	s_lshl_b64 s[0:1], s[24:25], 8
	s_add_u32 s4, s4, s0
	s_movk_i32 s0, 0x1000
	v_and_or_b32 v19, v20, s0, v21
	s_waitcnt vmcnt(1)
	ds_write_b64 v21, v[6:7] offset:16384
	v_xor_b32_e32 v6, 8, v21
	ds_write_b64 v6, v[8:9] offset:16384
	s_waitcnt vmcnt(0)
	ds_write_b64 v21, v[2:3] offset:24576
	ds_write_b64 v6, v[4:5] offset:24576
	;; [unrolled: 1-line block ×3, first 2 shown]
	v_xor_b32_e32 v2, 8, v19
	ds_write_b64 v2, v[16:17] offset:16384
	ds_write_b64 v19, v[10:11] offset:24576
	;; [unrolled: 1-line block ×3, first 2 shown]
	v_or_b32_e32 v2, v1, v64
	v_lshlrev_b32_e32 v2, 3, v2
	v_lshrrev_b32_e32 v4, 5, v53
	s_movk_i32 s12, 0xf8
	v_and_or_b32 v4, v2, s12, v4
	v_lshlrev_b32_e32 v3, 11, v62
	v_lshlrev_b32_e32 v12, 4, v4
	v_and_b32_e32 v13, 0x78, v2
	v_and_b32_e32 v14, 0x1000, v3
	v_lshlrev_b32_e32 v3, 2, v0
	v_xor_b32_e32 v2, v12, v13
	v_lshrrev_b32_e32 v4, 1, v53
	v_and_b32_e32 v3, 60, v3
	v_or_b32_e32 v2, v2, v14
	v_and_b32_e32 v15, 8, v4
	v_xor_b32_e32 v26, v2, v15
	v_lshl_or_b32 v2, v63, 6, v3
	v_lshlrev_b32_e32 v19, 1, v2
	v_or_b32_e32 v2, 32, v12
	v_xor_b32_e32 v2, v2, v13
	s_waitcnt lgkmcnt(0)
	s_barrier
	ds_read_b64 v[10:11], v26 offset:16384
	v_or_b32_e32 v2, v2, v14
	v_xor_b32_e32 v27, v2, v15
	v_or_b32_e32 v2, 64, v12
	v_xor_b32_e32 v2, v2, v13
	v_or_b32_e32 v2, v2, v14
	v_or_b32_e32 v12, 0x60, v12
	v_xor_b32_e32 v28, v2, v15
	ds_read2st64_b64 v[2:5], v19 offset0:72 offset1:73
	ds_read2st64_b64 v[6:9], v19 offset0:74 offset1:75
	v_xor_b32_e32 v16, v12, v13
	ds_read_b64 v[12:13], v27 offset:16384
	s_addc_u32 s5, s5, s1
	s_add_i32 s1, s45, s33
	s_waitcnt lgkmcnt(2)
	v_mfma_f32_16x16x16_bf16 a[0:3], v[10:11], v[2:3], 0
	s_add_i32 s0, s35, -1
	s_add_i32 s39, s1, s46
	s_add_i32 s1, s47, s44
	;; [unrolled: 1-line block ×3, first 2 shown]
	s_ashr_i32 s1, s0, 31
	s_mul_i32 s2, s0, s31
	s_mul_hi_u32 s3, s0, s30
	s_add_i32 s2, s3, s2
	s_mul_i32 s1, s1, s30
	v_or_b32_e32 v14, v16, v14
	s_add_i32 s1, s2, s1
	s_lshl_b64 s[2:3], s[38:39], 2
	v_xor_b32_e32 v36, v14, v15
	ds_read_b64 v[14:15], v28 offset:16384
	ds_read_b64 v[16:17], v36 offset:16384
	s_waitcnt lgkmcnt(2)
	v_mfma_f32_16x16x16_bf16 a[0:3], v[12:13], v[4:5], a[0:3]
	s_add_u32 s10, s10, s2
	s_addc_u32 s11, s11, s3
	s_lshl_b64 s[2:3], s[36:37], 2
	s_mul_i32 s0, s0, s30
	s_add_u32 s10, s10, s2
	s_addc_u32 s11, s11, s3
	s_lshl_b64 s[0:1], s[0:1], 2
	s_waitcnt lgkmcnt(1)
	v_mfma_f32_16x16x16_bf16 a[0:3], v[14:15], v[6:7], a[0:3]
	s_add_u32 s0, s10, s0
	s_addc_u32 s1, s11, s1
	s_load_dword s12, s[0:1], 0x0
	s_waitcnt lgkmcnt(0)
	v_mfma_f32_16x16x16_bf16 a[0:3], v[16:17], v[8:9], a[0:3]
	s_and_b64 vcc, exec, s[22:23]
	s_cbranch_vccz .LBB659_42
; %bb.32:
	v_lshlrev_b32_e32 v20, 1, v35
	s_and_b64 vcc, exec, s[6:7]
	s_cbranch_vccz .LBB659_43
; %bb.33:
	v_cmp_gt_i32_e32 vcc, s27, v20
	v_mov_b32_e32 v6, 0
	v_mov_b32_e32 v2, 0
	;; [unrolled: 1-line block ×5, first 2 shown]
	s_and_saveexec_b64 s[0:1], vcc
	s_cbranch_execz .LBB659_35
; %bb.34:
	v_mad_i64_i32 v[2:3], s[2:3], s15, v20, 0
	v_lshl_add_u64 v[2:3], v[2:3], 1, s[4:5]
	v_lshlrev_b32_e32 v4, 1, v18
	v_mov_b32_e32 v5, 0
	v_lshl_add_u64 v[2:3], v[2:3], 0, v[4:5]
	global_load_dwordx4 v[2:5], v[2:3], off
.LBB659_35:
	s_or_b64 exec, exec, s[0:1]
	v_or_b32_e32 v21, 1, v20
	v_cmp_gt_i32_e64 s[0:1], s27, v21
	v_mov_b32_e32 v7, 0
	v_mov_b32_e32 v8, 0
	;; [unrolled: 1-line block ×3, first 2 shown]
	s_and_saveexec_b64 s[2:3], s[0:1]
	s_cbranch_execz .LBB659_37
; %bb.36:
	v_mad_i64_i32 v[6:7], s[16:17], s15, v21, 0
	v_lshl_add_u64 v[6:7], v[6:7], 1, s[4:5]
	v_lshlrev_b32_e32 v8, 1, v18
	v_mov_b32_e32 v9, 0
	v_lshl_add_u64 v[6:7], v[6:7], 0, v[8:9]
	global_load_dwordx4 v[6:9], v[6:7], off
.LBB659_37:
	s_or_b64 exec, exec, s[2:3]
	v_mov_b32_e32 v17, 0
	v_mov_b32_e32 v10, 0
	;; [unrolled: 1-line block ×5, first 2 shown]
	s_and_saveexec_b64 s[2:3], vcc
	s_cbranch_execz .LBB659_39
; %bb.38:
	v_mad_i64_i32 v[10:11], s[16:17], s15, v20, 0
	v_lshl_add_u64 v[10:11], v[10:11], 1, s[4:5]
	v_lshlrev_b32_e32 v12, 1, v18
	v_mov_b32_e32 v13, 0
	v_lshl_add_u64 v[10:11], v[10:11], 0, v[12:13]
	global_load_dwordx4 v[10:13], v[10:11], off offset:128
.LBB659_39:
	s_or_b64 exec, exec, s[2:3]
	v_mov_b32_e32 v16, 0
	v_mov_b32_e32 v15, 0
	;; [unrolled: 1-line block ×3, first 2 shown]
	s_and_saveexec_b64 s[2:3], s[0:1]
	s_cbranch_execz .LBB659_41
; %bb.40:
	v_mad_i64_i32 v[14:15], s[0:1], s15, v21, 0
	v_lshl_add_u64 v[14:15], v[14:15], 1, s[4:5]
	v_lshlrev_b32_e32 v16, 1, v18
	v_mov_b32_e32 v17, 0
	v_lshl_add_u64 v[14:15], v[14:15], 0, v[16:17]
	global_load_dwordx4 v[14:17], v[14:15], off offset:128
.LBB659_41:
	s_or_b64 exec, exec, s[2:3]
	s_branch .LBB659_45
.LBB659_42:
                                        ; implicit-def: $vgpr5
                                        ; implicit-def: $vgpr9
                                        ; implicit-def: $vgpr13
                                        ; implicit-def: $vgpr17
	v_lshrrev_b32_e32 v37, 2, v53
	s_branch .LBB659_46
.LBB659_43:
                                        ; implicit-def: $vgpr5
                                        ; implicit-def: $vgpr9
                                        ; implicit-def: $vgpr13
                                        ; implicit-def: $vgpr17
	s_cbranch_execz .LBB659_45
; %bb.44:
	s_waitcnt vmcnt(0)
	v_mad_u64_u32 v[2:3], s[0:1], v20, s15, v[18:19]
	v_lshlrev_b32_e32 v20, 1, v2
	s_lshl_b32 s2, s15, 7
	s_and_b32 s1, s5, 0xffff
	s_mov_b32 s3, 0x20000
	s_mov_b32 s0, s4
	v_add_lshl_u32 v21, v2, s15, 1
	s_movk_i32 s13, 0x80
	buffer_load_dwordx4 v[2:5], v20, s[0:3], 0 offen
	buffer_load_dwordx4 v[10:13], v20, s[0:3], s13 offen
	;; [unrolled: 1-line block ×4, first 2 shown]
.LBB659_45:
	v_lshrrev_b32_e32 v37, 2, v53
	s_cbranch_execnz .LBB659_58
.LBB659_46:
	s_and_b64 vcc, exec, s[6:7]
	s_cbranch_vccz .LBB659_56
; %bb.47:
	s_waitcnt vmcnt(0)
	v_lshlrev_b32_e32 v7, 1, v35
	v_cmp_gt_i32_e32 vcc, s27, v7
	v_mov_b32_e32 v6, 0
	v_lshlrev_b32_e32 v14, 9, v35
	v_mov_b32_e32 v2, 0
	v_mov_b32_e32 v3, 0
	;; [unrolled: 1-line block ×4, first 2 shown]
	s_and_saveexec_b64 s[0:1], vcc
	s_cbranch_execz .LBB659_49
; %bb.48:
	v_mov_b32_e32 v15, 0
	v_lshl_add_u64 v[2:3], s[4:5], 0, v[14:15]
	v_lshlrev_b32_e32 v4, 1, v18
	v_mov_b32_e32 v5, v15
	v_lshl_add_u64 v[2:3], v[2:3], 0, v[4:5]
	global_load_dwordx4 v[2:5], v[2:3], off
.LBB659_49:
	s_or_b64 exec, exec, s[0:1]
	v_or_b32_e32 v7, 1, v7
	v_cmp_gt_i32_e64 s[0:1], s27, v7
	v_lshlrev_b32_e32 v20, 8, v7
	v_mov_b32_e32 v7, 0
	v_mov_b32_e32 v8, 0
	;; [unrolled: 1-line block ×3, first 2 shown]
	s_and_saveexec_b64 s[2:3], s[0:1]
	s_cbranch_execz .LBB659_51
; %bb.50:
	v_mov_b32_e32 v21, 0
	v_lshl_add_u64 v[6:7], s[4:5], 0, v[20:21]
	v_lshlrev_b32_e32 v8, 1, v18
	v_mov_b32_e32 v9, v21
	v_lshl_add_u64 v[6:7], v[6:7], 0, v[8:9]
	global_load_dwordx4 v[6:9], v[6:7], off
.LBB659_51:
	s_or_b64 exec, exec, s[2:3]
	v_mov_b32_e32 v17, 0
	v_mov_b32_e32 v10, 0
	;; [unrolled: 1-line block ×5, first 2 shown]
	s_and_saveexec_b64 s[2:3], vcc
	s_cbranch_execz .LBB659_53
; %bb.52:
	v_mov_b32_e32 v15, 0
	v_lshl_add_u64 v[10:11], s[4:5], 0, v[14:15]
	v_lshlrev_b32_e32 v14, 1, v18
	v_lshl_add_u64 v[10:11], v[10:11], 0, v[14:15]
	global_load_dwordx4 v[10:13], v[10:11], off offset:128
.LBB659_53:
	s_or_b64 exec, exec, s[2:3]
	v_mov_b32_e32 v16, 0
	v_mov_b32_e32 v15, 0
	;; [unrolled: 1-line block ×3, first 2 shown]
	s_and_saveexec_b64 s[2:3], s[0:1]
	s_cbranch_execz .LBB659_55
; %bb.54:
	v_mov_b32_e32 v21, 0
	v_lshl_add_u64 v[14:15], s[4:5], 0, v[20:21]
	v_lshlrev_b32_e32 v20, 1, v18
	v_lshl_add_u64 v[14:15], v[14:15], 0, v[20:21]
	global_load_dwordx4 v[14:17], v[14:15], off offset:128
.LBB659_55:
	s_or_b64 exec, exec, s[2:3]
	s_branch .LBB659_58
.LBB659_56:
                                        ; implicit-def: $vgpr5
                                        ; implicit-def: $vgpr9
                                        ; implicit-def: $vgpr13
                                        ; implicit-def: $vgpr17
	s_cbranch_execz .LBB659_58
; %bb.57:
	s_waitcnt vmcnt(0)
	v_lshlrev_b32_e32 v2, 1, v18
	v_lshl_or_b32 v18, v35, 9, v2
	s_and_b32 s5, s5, 0xffff
	s_mov_b32 s7, 0x20000
	s_movk_i32 s6, 0x4000
	s_movk_i32 s0, 0x80
	buffer_load_dwordx4 v[2:5], v18, s[4:7], 0 offen
	buffer_load_dwordx4 v[6:9], v18, s[4:7], 0 offen offset:256
	buffer_load_dwordx4 v[10:13], v18, s[4:7], s0 offen
	buffer_load_dwordx4 v[14:17], v18, s[4:7], s0 offen offset:256
.LBB659_58:
	ds_read2st64_b64 v[22:25], v19 offset0:76 offset1:77
	ds_read2st64_b64 v[18:21], v19 offset0:78 offset1:79
	ds_read_b64 v[32:33], v26 offset:24576
	ds_read_b64 v[30:31], v27 offset:24576
	;; [unrolled: 1-line block ×4, first 2 shown]
	v_and_b32_e32 v36, 6, v0
	v_xor_b32_e32 v35, v35, v36
	v_lshlrev_b32_e32 v35, 2, v35
	v_and_b32_e32 v0, 1, v0
	v_xor_b32_e32 v38, 0x440, v35
	v_cmp_eq_u32_e32 vcc, 0, v0
	s_mov_b32 s0, 0x1000504
	s_mov_b32 s1, 0x3020706
	v_cndmask_b32_e32 v0, v38, v35, vcc
	v_lshl_or_b32 v0, v36, 10, v0
	s_waitcnt vmcnt(0)
	v_perm_b32 v35, v2, v6, s0
	v_perm_b32 v36, v10, v14, s0
	ds_write2st64_b32 v0, v35, v36 offset1:32
	v_xor_b32_e32 v35, 8, v0
	v_perm_b32 v2, v2, v6, s1
	v_perm_b32 v6, v10, v14, s1
	v_add_u32_e32 v10, 0x80, v35
	ds_write2st64_b32 v10, v2, v6 offset1:32
	v_xor_b32_e32 v2, 16, v0
	v_perm_b32 v6, v3, v7, s0
	v_perm_b32 v10, v11, v15, s0
	ds_write2st64_b32 v2, v6, v10 offset0:1 offset1:33
	v_xor_b32_e32 v2, 24, v0
	v_perm_b32 v3, v3, v7, s1
	v_perm_b32 v6, v11, v15, s1
	v_add_u32_e32 v2, 0x80, v2
	ds_write2st64_b32 v2, v3, v6 offset0:1 offset1:33
	v_xor_b32_e32 v2, 32, v0
	v_perm_b32 v3, v4, v8, s0
	v_perm_b32 v6, v12, v16, s0
	ds_write2st64_b32 v2, v3, v6 offset0:2 offset1:34
	v_xor_b32_e32 v2, 40, v0
	v_perm_b32 v3, v4, v8, s1
	v_perm_b32 v4, v12, v16, s1
	v_add_u32_e32 v2, 0x80, v2
	ds_write2st64_b32 v2, v3, v4 offset0:2 offset1:34
	v_xor_b32_e32 v2, 48, v0
	v_perm_b32 v3, v5, v9, s0
	v_perm_b32 v4, v13, v17, s0
	v_xor_b32_e32 v0, 56, v0
	v_and_or_b32 v8, v37, 12, v1
	ds_write2st64_b32 v2, v3, v4 offset0:3 offset1:35
	v_perm_b32 v2, v5, v9, s1
	v_perm_b32 v3, v13, v17, s1
	v_add_u32_e32 v0, 0x80, v0
	v_cmp_gt_i32_e64 s[2:3], s27, v8
	v_mov_b32_e32 v10, 0
	v_mov_b32_e32 v15, 0
	ds_write2st64_b32 v0, v2, v3 offset0:3 offset1:35
	s_and_saveexec_b64 s[0:1], s[2:3]
	s_cbranch_execz .LBB659_60
; %bb.59:
	v_add_u32_e32 v0, s26, v8
	v_ashrrev_i32_e32 v1, 31, v0
	v_mul_lo_u32 v2, v1, s30
	v_mul_lo_u32 v3, v0, s31
	v_mad_u64_u32 v[0:1], s[4:5], v0, s30, 0
	v_add3_u32 v1, v1, v3, v2
	v_lshl_add_u64 v[0:1], v[0:1], 2, s[10:11]
	global_load_dword v0, v[0:1], off
	s_waitcnt vmcnt(0)
	v_sub_f32_e32 v0, s12, v0
	v_exp_f32_e32 v15, v0
.LBB659_60:
	s_or_b64 exec, exec, s[0:1]
	v_or_b32_e32 v13, 1, v8
	v_cmp_gt_i32_e64 s[4:5], s27, v13
	s_and_saveexec_b64 s[0:1], s[4:5]
	s_cbranch_execz .LBB659_62
; %bb.61:
	v_add_u32_e32 v0, s26, v13
	v_ashrrev_i32_e32 v1, 31, v0
	v_mul_lo_u32 v2, v1, s30
	v_mul_lo_u32 v3, v0, s31
	v_mad_u64_u32 v[0:1], s[6:7], v0, s30, 0
	v_add3_u32 v1, v1, v3, v2
	v_lshl_add_u64 v[0:1], v[0:1], 2, s[10:11]
	global_load_dword v0, v[0:1], off
	s_waitcnt vmcnt(0)
	v_sub_f32_e32 v0, s12, v0
	v_exp_f32_e32 v10, v0
.LBB659_62:
	s_or_b64 exec, exec, s[0:1]
	v_or_b32_e32 v11, 2, v8
	v_cmp_gt_i32_e32 vcc, s27, v11
	v_mov_b32_e32 v9, 0
	v_mov_b32_e32 v14, 0
	s_and_saveexec_b64 s[0:1], vcc
	s_cbranch_execz .LBB659_64
; %bb.63:
	v_add_u32_e32 v0, s26, v11
	v_ashrrev_i32_e32 v1, 31, v0
	v_mul_lo_u32 v2, v1, s30
	v_mul_lo_u32 v3, v0, s31
	v_mad_u64_u32 v[0:1], s[6:7], v0, s30, 0
	v_add3_u32 v1, v1, v3, v2
	v_lshl_add_u64 v[0:1], v[0:1], 2, s[10:11]
	global_load_dword v0, v[0:1], off
	s_waitcnt vmcnt(0)
	v_sub_f32_e32 v0, s12, v0
	v_exp_f32_e32 v14, v0
.LBB659_64:
	s_or_b64 exec, exec, s[0:1]
	v_or_b32_e32 v12, 3, v8
	v_cmp_gt_i32_e64 s[0:1], s27, v12
	s_and_saveexec_b64 s[6:7], s[0:1]
	s_cbranch_execz .LBB659_66
; %bb.65:
	v_add_u32_e32 v0, s26, v12
	v_ashrrev_i32_e32 v1, 31, v0
	v_mul_lo_u32 v2, v1, s30
	v_mul_lo_u32 v3, v0, s31
	v_mad_u64_u32 v[0:1], s[14:15], v0, s30, 0
	v_add3_u32 v1, v1, v3, v2
	v_lshl_add_u64 v[0:1], v[0:1], 2, s[10:11]
	global_load_dword v0, v[0:1], off
	s_waitcnt vmcnt(0)
	v_sub_f32_e32 v0, s12, v0
	v_exp_f32_e32 v9, v0
.LBB659_66:
	s_or_b64 exec, exec, s[6:7]
	s_waitcnt lgkmcnt(11)
	v_mfma_f32_16x16x16_bf16 a[0:3], v[32:33], v[22:23], a[0:3]
	s_add_u32 s6, s8, s20
	v_ashrrev_i32_e32 v55, 31, v54
	s_addc_u32 s7, s9, s21
	s_waitcnt lgkmcnt(10)
	v_mfma_f32_16x16x16_bf16 a[0:3], v[30:31], v[24:25], a[0:3]
	v_lshlrev_b64 v[0:1], 1, v[54:55]
	v_lshl_add_u64 v[4:5], s[6:7], 0, v[0:1]
	s_add_u32 s6, s28, s20
	s_waitcnt lgkmcnt(9)
	v_mfma_f32_16x16x16_bf16 a[0:3], v[28:29], v[18:19], a[0:3]
	s_addc_u32 s7, s29, s21
	v_lshl_add_u64 v[6:7], s[6:7], 0, v[0:1]
	v_mov_b32_e32 v16, 0
	s_waitcnt lgkmcnt(8)
	v_mfma_f32_16x16x16_bf16 a[0:3], v[26:27], v[20:21], a[0:3]
	v_mov_b32_e32 v17, 0
	s_nop 5
	v_accvgpr_read_b32 v0, a0
	v_accvgpr_read_b32 v1, a1
	;; [unrolled: 1-line block ×4, first 2 shown]
	s_and_saveexec_b64 s[6:7], s[2:3]
	s_cbranch_execz .LBB659_68
; %bb.67:
	v_lshlrev_b32_e32 v18, 8, v8
	v_mov_b32_e32 v19, 0
	v_lshl_add_u64 v[20:21], v[4:5], 0, v[18:19]
	global_load_ushort v17, v[20:21], off
	v_lshl_add_u64 v[18:19], v[6:7], 0, v[18:19]
	s_waitcnt vmcnt(0)
	v_lshlrev_b32_e32 v17, 16, v17
	v_sub_f32_e32 v0, v17, v0
	global_store_short_d16_hi v[18:19], v0, off
	v_mul_f32_e32 v0, v15, v0
	v_lshrrev_b32_e32 v17, 16, v0
.LBB659_68:
	s_or_b64 exec, exec, s[6:7]
	s_and_saveexec_b64 s[2:3], s[4:5]
	s_cbranch_execz .LBB659_70
; %bb.69:
	v_lshlrev_b32_e32 v18, 8, v13
	v_mov_b32_e32 v19, 0
	v_lshl_add_u64 v[20:21], v[4:5], 0, v[18:19]
	global_load_ushort v0, v[20:21], off
	v_lshl_add_u64 v[18:19], v[6:7], 0, v[18:19]
	s_waitcnt vmcnt(0)
	v_lshlrev_b32_e32 v0, 16, v0
	v_sub_f32_e32 v0, v0, v1
	global_store_short_d16_hi v[18:19], v0, off
	v_mul_f32_e32 v0, v10, v0
	v_lshrrev_b32_e32 v16, 16, v0
.LBB659_70:
	s_or_b64 exec, exec, s[2:3]
	v_mov_b32_e32 v0, 0
	v_mov_b32_e32 v1, 0
	s_and_saveexec_b64 s[2:3], vcc
	s_cbranch_execz .LBB659_72
; %bb.71:
	v_lshlrev_b32_e32 v10, 8, v11
	v_mov_b32_e32 v11, 0
	v_lshl_add_u64 v[18:19], v[4:5], 0, v[10:11]
	global_load_ushort v1, v[18:19], off
	v_lshl_add_u64 v[10:11], v[6:7], 0, v[10:11]
	s_waitcnt vmcnt(0)
	v_lshlrev_b32_e32 v1, 16, v1
	v_sub_f32_e32 v1, v1, v2
	global_store_short_d16_hi v[10:11], v1, off
	v_mul_f32_e32 v1, v14, v1
	v_lshrrev_b32_e32 v1, 16, v1
.LBB659_72:
	s_or_b64 exec, exec, s[2:3]
	s_and_saveexec_b64 s[2:3], s[0:1]
	s_cbranch_execz .LBB659_74
; %bb.73:
	v_lshlrev_b32_e32 v10, 8, v12
	v_mov_b32_e32 v11, 0
	v_lshl_add_u64 v[4:5], v[4:5], 0, v[10:11]
	global_load_ushort v0, v[4:5], off
	v_lshl_add_u64 v[4:5], v[6:7], 0, v[10:11]
	s_waitcnt vmcnt(0)
	v_lshlrev_b32_e32 v0, 16, v0
	v_sub_f32_e32 v0, v0, v3
	global_store_short_d16_hi v[4:5], v0, off
	v_mul_f32_e32 v0, v9, v0
	v_lshrrev_b32_e32 v0, 16, v0
.LBB659_74:
	s_or_b64 exec, exec, s[2:3]
	s_mov_b32 s0, 0x5040100
	v_lshlrev_b32_e32 v2, 1, v34
	v_perm_b32 v1, v0, v1, s0
	v_perm_b32 v0, v16, v17, s0
	v_lshl_or_b32 v2, v8, 5, v2
	ds_write_b64 v2, v[0:1] offset:38912
	s_waitcnt lgkmcnt(0)
	s_barrier
.LBB659_75:
	s_endpgm
	.section	.rodata,"a",@progbits
	.p2align	6, 0x0
	.amdhsa_kernel _ZN12_GLOBAL__N_139chunk_gated_delta_rule_fwd_h_hip_kernelILi16ELb1ELb0ELb1ELb1ELb1ELb1ELb0ELb0EEEvPK12hip_bfloat16S3_S3_PKfS5_PKvPS1_S8_PvPKiSB_iiiiilll
		.amdhsa_group_segment_fixed_size 40960
		.amdhsa_private_segment_fixed_size 0
		.amdhsa_kernarg_size 136
		.amdhsa_user_sgpr_count 2
		.amdhsa_user_sgpr_dispatch_ptr 0
		.amdhsa_user_sgpr_queue_ptr 0
		.amdhsa_user_sgpr_kernarg_segment_ptr 1
		.amdhsa_user_sgpr_dispatch_id 0
		.amdhsa_user_sgpr_kernarg_preload_length 0
		.amdhsa_user_sgpr_kernarg_preload_offset 0
		.amdhsa_user_sgpr_private_segment_size 0
		.amdhsa_uses_dynamic_stack 0
		.amdhsa_enable_private_segment 0
		.amdhsa_system_sgpr_workgroup_id_x 1
		.amdhsa_system_sgpr_workgroup_id_y 1
		.amdhsa_system_sgpr_workgroup_id_z 0
		.amdhsa_system_sgpr_workgroup_info 0
		.amdhsa_system_vgpr_workitem_id 0
		.amdhsa_next_free_vgpr 128
		.amdhsa_next_free_sgpr 63
		.amdhsa_accum_offset 116
		.amdhsa_reserve_vcc 1
		.amdhsa_float_round_mode_32 0
		.amdhsa_float_round_mode_16_64 0
		.amdhsa_float_denorm_mode_32 3
		.amdhsa_float_denorm_mode_16_64 3
		.amdhsa_dx10_clamp 1
		.amdhsa_ieee_mode 1
		.amdhsa_fp16_overflow 0
		.amdhsa_tg_split 0
		.amdhsa_exception_fp_ieee_invalid_op 0
		.amdhsa_exception_fp_denorm_src 0
		.amdhsa_exception_fp_ieee_div_zero 0
		.amdhsa_exception_fp_ieee_overflow 0
		.amdhsa_exception_fp_ieee_underflow 0
		.amdhsa_exception_fp_ieee_inexact 0
		.amdhsa_exception_int_div_zero 0
	.end_amdhsa_kernel
	.section	.text._ZN12_GLOBAL__N_139chunk_gated_delta_rule_fwd_h_hip_kernelILi16ELb1ELb0ELb1ELb1ELb1ELb1ELb0ELb0EEEvPK12hip_bfloat16S3_S3_PKfS5_PKvPS1_S8_PvPKiSB_iiiiilll,"axG",@progbits,_ZN12_GLOBAL__N_139chunk_gated_delta_rule_fwd_h_hip_kernelILi16ELb1ELb0ELb1ELb1ELb1ELb1ELb0ELb0EEEvPK12hip_bfloat16S3_S3_PKfS5_PKvPS1_S8_PvPKiSB_iiiiilll,comdat
.Lfunc_end659:
	.size	_ZN12_GLOBAL__N_139chunk_gated_delta_rule_fwd_h_hip_kernelILi16ELb1ELb0ELb1ELb1ELb1ELb1ELb0ELb0EEEvPK12hip_bfloat16S3_S3_PKfS5_PKvPS1_S8_PvPKiSB_iiiiilll, .Lfunc_end659-_ZN12_GLOBAL__N_139chunk_gated_delta_rule_fwd_h_hip_kernelILi16ELb1ELb0ELb1ELb1ELb1ELb1ELb0ELb0EEEvPK12hip_bfloat16S3_S3_PKfS5_PKvPS1_S8_PvPKiSB_iiiiilll
                                        ; -- End function
	.section	.AMDGPU.csdata,"",@progbits
; Kernel info:
; codeLenInByte = 7320
; NumSgprs: 69
; NumVgprs: 114
; NumAgprs: 12
; TotalNumVgprs: 128
; ScratchSize: 0
; MemoryBound: 0
; FloatMode: 240
; IeeeMode: 1
; LDSByteSize: 40960 bytes/workgroup (compile time only)
; SGPRBlocks: 8
; VGPRBlocks: 15
; NumSGPRsForWavesPerEU: 69
; NumVGPRsForWavesPerEU: 128
; AccumOffset: 116
; Occupancy: 1
; WaveLimiterHint : 1
; COMPUTE_PGM_RSRC2:SCRATCH_EN: 0
; COMPUTE_PGM_RSRC2:USER_SGPR: 2
; COMPUTE_PGM_RSRC2:TRAP_HANDLER: 0
; COMPUTE_PGM_RSRC2:TGID_X_EN: 1
; COMPUTE_PGM_RSRC2:TGID_Y_EN: 1
; COMPUTE_PGM_RSRC2:TGID_Z_EN: 0
; COMPUTE_PGM_RSRC2:TIDIG_COMP_CNT: 0
; COMPUTE_PGM_RSRC3_GFX90A:ACCUM_OFFSET: 28
; COMPUTE_PGM_RSRC3_GFX90A:TG_SPLIT: 0
	.section	.text._ZN12_GLOBAL__N_139chunk_gated_delta_rule_fwd_h_hip_kernelILi16ELb1ELb0ELb0ELb1ELb1ELb1ELb0ELb0EEEvPK12hip_bfloat16S3_S3_PKfS5_PKvPS1_S8_PvPKiSB_iiiiilll,"axG",@progbits,_ZN12_GLOBAL__N_139chunk_gated_delta_rule_fwd_h_hip_kernelILi16ELb1ELb0ELb0ELb1ELb1ELb1ELb0ELb0EEEvPK12hip_bfloat16S3_S3_PKfS5_PKvPS1_S8_PvPKiSB_iiiiilll,comdat
	.globl	_ZN12_GLOBAL__N_139chunk_gated_delta_rule_fwd_h_hip_kernelILi16ELb1ELb0ELb0ELb1ELb1ELb1ELb0ELb0EEEvPK12hip_bfloat16S3_S3_PKfS5_PKvPS1_S8_PvPKiSB_iiiiilll ; -- Begin function _ZN12_GLOBAL__N_139chunk_gated_delta_rule_fwd_h_hip_kernelILi16ELb1ELb0ELb0ELb1ELb1ELb1ELb0ELb0EEEvPK12hip_bfloat16S3_S3_PKfS5_PKvPS1_S8_PvPKiSB_iiiiilll
	.p2align	8
	.type	_ZN12_GLOBAL__N_139chunk_gated_delta_rule_fwd_h_hip_kernelILi16ELb1ELb0ELb0ELb1ELb1ELb1ELb0ELb0EEEvPK12hip_bfloat16S3_S3_PKfS5_PKvPS1_S8_PvPKiSB_iiiiilll,@function
_ZN12_GLOBAL__N_139chunk_gated_delta_rule_fwd_h_hip_kernelILi16ELb1ELb0ELb0ELb1ELb1ELb1ELb0ELb0EEEvPK12hip_bfloat16S3_S3_PKfS5_PKvPS1_S8_PvPKiSB_iiiiilll: ; @_ZN12_GLOBAL__N_139chunk_gated_delta_rule_fwd_h_hip_kernelILi16ELb1ELb0ELb0ELb1ELb1ELb1ELb0ELb0EEEvPK12hip_bfloat16S3_S3_PKfS5_PKvPS1_S8_PvPKiSB_iiiiilll
; %bb.0:
	s_load_dwordx4 s[12:15], s[0:1], 0x5c
	s_load_dwordx4 s[20:23], s[0:1], 0x70
	s_abs_i32 s9, s3
	s_ashr_i32 s8, s3, 31
	s_load_dwordx4 s[4:7], s[0:1], 0x48
	s_waitcnt lgkmcnt(0)
	s_abs_i32 s10, s13
	v_cvt_f32_u32_e32 v1, s10
	s_sub_i32 s16, 0, s10
	s_ashr_i32 s11, s13, 31
	s_xor_b32 s8, s8, s11
	v_rcp_iflag_f32_e32 v1, v1
	v_and_b32_e32 v62, 15, v0
	v_lshrrev_b32_e32 v60, 6, v0
	v_bfe_u32 v61, v0, 4, 2
	v_mul_f32_e32 v1, 0x4f7ffffe, v1
	v_cvt_u32_f32_e32 v1, v1
	v_mov_b32_e32 v5, 0
	v_and_b32_e32 v53, 63, v0
	v_lshrrev_b32_e32 v64, 3, v53
	v_readfirstlane_b32 s17, v1
	s_mul_i32 s16, s16, s17
	s_mul_hi_u32 s16, s17, s16
	s_add_i32 s17, s17, s16
	s_mul_hi_u32 s16, s9, s17
	s_mul_i32 s17, s16, s10
	s_sub_i32 s9, s9, s17
	s_add_i32 s18, s16, 1
	s_sub_i32 s17, s9, s10
	s_cmp_ge_u32 s9, s10
	s_cselect_b32 s16, s18, s16
	s_cselect_b32 s9, s17, s9
	s_add_i32 s17, s16, 1
	s_cmp_ge_u32 s9, s10
	s_cselect_b32 s9, s17, s16
	s_load_dwordx4 s[16:19], s[0:1], 0x28
	s_xor_b32 s9, s9, s8
	s_sub_i32 s24, s9, s8
	s_mul_i32 s28, s24, s13
	s_ashr_i32 s25, s24, 31
	s_sub_i32 s47, s3, s28
	s_lshl_b64 s[8:9], s[24:25], 2
	s_add_u32 s4, s4, s8
	s_addc_u32 s5, s5, s9
	s_add_u32 s26, s6, s8
	s_addc_u32 s27, s7, s9
	s_abs_i32 s3, s14
	v_cvt_f32_u32_e32 v1, s3
	s_load_dwordx2 s[30:31], s[4:5], 0x0
	s_lshl_b32 s38, s2, 4
	s_ashr_i32 s2, s14, 31
	v_rcp_iflag_f32_e32 v1, v1
	s_xor_b32 s2, s11, s2
	s_waitcnt lgkmcnt(0)
	s_sub_i32 s50, s31, s30
	s_ashr_i32 s4, s50, 31
	v_mul_f32_e32 v1, 0x4f7ffffe, v1
	v_cvt_u32_f32_e32 v1, v1
	s_lshr_b32 s4, s4, 26
	s_add_i32 s4, s50, s4
	s_ashr_i32 s48, s4, 6
	s_sub_i32 s4, 0, s3
	v_readfirstlane_b32 s5, v1
	s_mul_i32 s4, s4, s5
	s_mul_hi_u32 s4, s5, s4
	s_add_i32 s5, s5, s4
	s_mul_hi_u32 s4, s10, s5
	s_mul_i32 s5, s4, s3
	s_sub_i32 s5, s10, s5
	s_add_i32 s6, s4, 1
	s_sub_i32 s7, s5, s3
	s_cmp_ge_u32 s5, s3
	s_cselect_b32 s4, s6, s4
	s_cselect_b32 s5, s7, s5
	s_add_i32 s6, s4, 1
	s_cmp_ge_u32 s5, s3
	s_cselect_b32 s3, s6, s4
	s_xor_b32 s3, s3, s2
	s_sub_i32 s2, s3, s2
	s_abs_i32 s3, s2
	v_cvt_f32_u32_e32 v1, s3
	s_sub_i32 s5, 0, s3
	s_abs_i32 s4, s47
	s_xor_b32 s2, s47, s2
	v_rcp_iflag_f32_e32 v1, v1
	s_ashr_i32 s2, s2, 31
	v_or_b32_e32 v54, s38, v62
	v_lshlrev_b32_e32 v2, 7, v54
	v_mul_f32_e32 v1, 0x4f7ffffe, v1
	v_cvt_u32_f32_e32 v1, v1
	v_ashrrev_i32_e32 v3, 31, v2
	s_mul_hi_i32 s53, s47, s12
	s_mul_i32 s54, s47, s12
	v_readfirstlane_b32 s6, v1
	s_mul_i32 s5, s5, s6
	s_mul_hi_u32 s5, s6, s5
	s_add_i32 s6, s6, s5
	s_mul_hi_u32 s5, s4, s6
	s_mul_i32 s6, s5, s3
	s_sub_i32 s4, s4, s6
	s_add_i32 s6, s5, 1
	s_sub_i32 s7, s4, s3
	s_cmp_ge_u32 s4, s3
	s_cselect_b32 s5, s6, s5
	s_cselect_b32 s4, s7, s4
	s_add_i32 s6, s5, 1
	s_cmp_ge_u32 s4, s3
	s_cselect_b32 s3, s6, s5
	s_xor_b32 s3, s3, s2
	s_sub_i32 s51, s3, s2
	s_ashr_i32 s49, s47, 31
	s_mul_hi_i32 s3, s24, s13
	s_add_u32 s2, s28, s47
	s_addc_u32 s3, s3, s49
	s_lshl_b64 s[2:3], s[2:3], 16
	v_lshlrev_b32_e32 v1, 4, v60
	s_add_u32 s2, s16, s2
	v_lshl_or_b32 v65, v61, 2, v1
	s_addc_u32 s3, s17, s3
	v_lshl_add_u64 v[2:3], v[2:3], 2, s[2:3]
	v_lshlrev_b32_e32 v4, 2, v65
	v_lshl_add_u64 v[10:11], v[2:3], 0, v[4:5]
	global_load_dwordx4 v[6:9], v[10:11], off
	global_load_dwordx4 v[2:5], v[10:11], off offset:256
	s_load_dwordx8 s[4:11], s[0:1], 0x0
	s_load_dwordx2 s[28:29], s[0:1], 0x80
	s_load_dword s52, s[26:27], 0x0
	v_or_b32_e32 v66, 64, v65
	s_cmp_lt_i32 s50, 64
	v_lshlrev_b32_e32 v63, 3, v0
	s_mul_i32 s33, s24, s21
	s_mul_hi_u32 s43, s24, s20
	s_mul_i32 s44, s25, s20
	s_mul_i32 s36, s24, s20
	;; [unrolled: 1-line block ×3, first 2 shown]
	s_mul_hi_u32 s45, s47, s22
	s_mul_i32 s46, s49, s22
	s_mul_i32 s34, s47, s22
	s_cbranch_scc1 .LBB660_18
; %bb.1:
	s_ashr_i32 s3, s30, 31
	s_add_u32 s2, s54, s30
	s_addc_u32 s3, s53, s3
	s_lshl_b64 s[2:3], s[2:3], 8
	v_and_b32_e32 v68, 56, v63
	s_waitcnt lgkmcnt(0)
	s_add_u32 s20, s6, s2
	v_lshl_or_b32 v67, v60, 3, v64
	v_lshlrev_b32_e32 v10, 1, v68
	s_addc_u32 s2, s7, s3
	v_lshl_or_b32 v69, v67, 8, v10
	s_and_b32 s21, s2, 0xffff
	s_mov_b32 s23, 0x20000
	s_movk_i32 s22, 0x4000
	s_movk_i32 s2, 0x80
	v_or_b32_e32 v70, 0x2000, v69
	buffer_load_dwordx4 v[12:15], v69, s[20:23], 0 offen
	buffer_load_dwordx4 v[16:19], v69, s[20:23], s2 offen
	;; [unrolled: 1-line block ×4, first 2 shown]
	v_lshlrev_b32_e32 v11, 3, v67
	v_and_or_b32 v29, v0, 7, v11
	v_and_b32_e32 v11, 0x78, v11
	v_lshlrev_b32_e32 v29, 4, v29
	v_xor_b32_e32 v71, v29, v11
	v_mul_lo_u32 v28, v67, s15
	v_or_b32_e32 v72, 0x1000, v71
	v_xor_b32_e32 v11, 8, v71
	s_cmpk_eq_i32 s15, 0x80
	s_mov_b32 s55, s30
	v_xor_b32_e32 v29, 8, v72
	s_cselect_b64 s[2:3], -1, 0
	s_cmpk_lg_i32 s15, 0x80
	s_waitcnt vmcnt(3)
	ds_write_b64 v71, v[12:13] offset:16384
	ds_write_b64 v11, v[14:15] offset:16384
	s_waitcnt vmcnt(2)
	ds_write_b64 v71, v[16:17] offset:24576
	ds_write_b64 v11, v[18:19] offset:24576
	s_waitcnt vmcnt(1)
	ds_write_b64 v71, v[20:21] offset:20480
	ds_write_b64 v29, v[22:23] offset:16384
	s_waitcnt vmcnt(0)
	ds_write_b64 v71, v[24:25] offset:28672
	ds_write_b64 v29, v[26:27] offset:24576
	v_lshl_add_u32 v11, v28, 1, v68
	s_cbranch_scc0 .LBB660_3
; %bb.2:
	v_lshlrev_b32_e32 v13, 1, v11
	v_add_lshl_u32 v12, v11, s15, 1
	s_lshl_b32 s22, s15, 7
	s_load_dwordx2 s[16:17], s[0:1], 0x20
	v_lshl_or_b32 v10, v67, 9, v10
	s_cbranch_execz .LBB660_4
	s_branch .LBB660_5
.LBB660_3:
                                        ; implicit-def: $vgpr12
                                        ; implicit-def: $vgpr13
                                        ; implicit-def: $sgpr22
	s_load_dwordx2 s[16:17], s[0:1], 0x20
	v_lshl_or_b32 v10, v67, 9, v10
.LBB660_4:
	v_or_b32_e32 v12, 0x100, v10
	s_movk_i32 s22, 0x4000
	v_mov_b32_e32 v13, v10
.LBB660_5:
	s_mul_i32 s0, s30, s14
	s_ashr_i32 s56, s51, 31
	s_mul_hi_i32 s1, s30, s14
	s_add_u32 s0, s0, s51
	s_addc_u32 s1, s1, s56
	s_lshl_b64 s[0:1], s[0:1], 8
	s_add_u32 s20, s4, s0
	s_addc_u32 s0, s5, s1
	s_and_b32 s21, s0, 0xffff
	s_movk_i32 s57, 0x80
	buffer_load_dwordx4 v[14:17], v13, s[20:23], 0 offen
	buffer_load_dwordx4 v[18:21], v13, s[20:23], s57 offen
	buffer_load_dwordx4 v[22:25], v12, s[20:23], 0 offen
	buffer_load_dwordx4 v[26:29], v12, s[20:23], s57 offen
	v_and_b32_e32 v12, 6, v0
	v_lshlrev_b32_e32 v30, 2, v62
	v_lshlrev_b32_e32 v31, 3, v62
	v_xor_b32_e32 v35, v67, v12
	v_and_b32_e32 v13, 1, v0
	v_lshl_or_b32 v31, v65, 5, v31
	v_xor_b32_e32 v36, v65, v30
	v_lshlrev_b32_e32 v35, 2, v35
	s_add_i32 s0, s43, s33
	v_or_b32_e32 v73, 0x9000, v31
	v_or_b32_e32 v74, 0x9800, v31
	v_lshlrev_b32_e32 v31, 1, v36
	v_xor_b32_e32 v36, 0x440, v35
	v_cmp_eq_u32_e32 vcc, 0, v13
	s_add_i32 s1, s45, s42
	s_add_i32 s37, s0, s44
	v_cndmask_b32_e32 v13, v36, v35, vcc
	s_add_i32 s35, s1, s46
	s_lshl_b64 s[0:1], s[36:37], 2
	s_mov_b32 s58, 0x1000504
	s_mov_b32 s59, 0x3020706
	v_lshlrev_b32_e32 v32, 8, v62
	s_mov_b32 s20, 0x8000
	v_xor_b32_e32 v30, v66, v30
	v_lshl_or_b32 v12, v12, 10, v13
	s_add_u32 s21, s10, s0
	v_or_b32_e32 v33, v1, v62
	v_lshlrev_b32_e32 v30, 1, v30
	v_or3_b32 v75, v31, v32, s20
	v_xor_b32_e32 v13, 8, v12
	v_xor_b32_e32 v31, 24, v12
	;; [unrolled: 1-line block ×4, first 2 shown]
	s_addc_u32 s22, s11, s1
	s_lshl_b64 s[0:1], s[34:35], 2
	v_or3_b32 v76, v30, v32, s20
	v_xor_b32_e32 v30, 16, v12
	v_xor_b32_e32 v32, 32, v12
	;; [unrolled: 1-line block ×3, first 2 shown]
	v_add_u32_e32 v13, 0x80, v13
	v_add_u32_e32 v31, 0x80, v31
	;; [unrolled: 1-line block ×4, first 2 shown]
	s_add_u32 s40, s21, s0
	s_movk_i32 s0, 0xf8
	s_addc_u32 s41, s22, s1
	s_ashr_i32 s39, s38, 31
	v_ashrrev_i32_e32 v55, 31, v54
	s_lshl_b32 s26, s15, 7
	v_lshrrev_b32_e32 v34, 2, v53
	s_mov_b32 s60, 0
	s_mov_b32 s35, 0x7060302
	s_movk_i32 s22, 0x4000
	s_waitcnt vmcnt(1)
	v_perm_b32 v38, v14, v22, s58
	s_waitcnt vmcnt(0)
	v_perm_b32 v39, v18, v26, s58
	v_perm_b32 v14, v14, v22, s59
	;; [unrolled: 1-line block ×15, first 2 shown]
	ds_write2st64_b32 v12, v38, v39 offset1:32
	ds_write2st64_b32 v13, v14, v18 offset1:32
	ds_write2st64_b32 v30, v22, v26 offset0:1 offset1:33
	ds_write2st64_b32 v31, v15, v19 offset0:1 offset1:33
	;; [unrolled: 1-line block ×6, first 2 shown]
	v_lshlrev_b32_e32 v12, 3, v33
	v_lshrrev_b32_e32 v14, 5, v53
	v_and_or_b32 v14, v12, s0, v14
	v_lshlrev_b32_e32 v14, 4, v14
	v_lshlrev_b32_e32 v19, 11, v60
	v_and_b32_e32 v12, 0x78, v12
	v_or_b32_e32 v17, 32, v14
	v_and_b32_e32 v13, 0x1000, v19
	v_xor_b32_e32 v15, v14, v12
	v_lshrrev_b32_e32 v16, 1, v53
	v_xor_b32_e32 v17, v17, v12
	v_or_b32_e32 v15, v15, v13
	v_and_b32_e32 v16, 8, v16
	v_or_b32_e32 v17, v17, v13
	v_xor_b32_e32 v77, v15, v16
	v_and_b32_e32 v15, 0x78, v63
	v_xor_b32_e32 v79, v17, v16
	v_or_b32_e32 v17, 64, v14
	v_or_b32_e32 v14, 0x60, v14
	v_lshl_or_b32 v15, v61, 7, v15
	v_xor_b32_e32 v17, v17, v12
	v_xor_b32_e32 v12, v14, v12
	v_or_b32_e32 v78, 0x9000, v15
	v_or_b32_e32 v17, v17, v13
	;; [unrolled: 1-line block ×4, first 2 shown]
	v_lshrrev_b32_e32 v14, 4, v0
	v_lshlrev_b32_e32 v15, 1, v62
	v_xor_b32_e32 v80, v17, v16
	v_xor_b32_e32 v81, v12, v16
	v_or_b32_e32 v16, 1, v15
	v_xor_b32_e32 v15, v14, v15
	s_lshl_b64 s[0:1], s[38:39], 8
	v_xor_b32_e32 v16, v16, v14
	v_lshlrev_b32_e32 v15, 3, v15
	v_lshlrev_b32_e32 v14, 8, v14
	v_lshl_add_u64 v[12:13], v[54:55], 1, s[8:9]
	s_add_u32 s0, s18, s0
	v_or3_b32 v55, v15, v14, s20
	v_lshlrev_b32_e32 v15, 3, v16
	s_addc_u32 s1, s19, s1
	v_or3_b32 v83, v15, v14, s20
	v_mov_b32_e32 v15, 0
	v_lshrrev_b32_e32 v25, 1, v0
	v_lshl_add_u64 v[16:17], s[0:1], 0, v[14:15]
	v_lshlrev_b32_e32 v14, 4, v62
	s_movk_i32 s0, 0xff
	v_lshlrev_b32_e32 v24, 3, v60
	v_and_b32_e32 v25, 24, v25
	v_lshl_add_u64 v[56:57], v[16:17], 0, v[14:15]
	v_and_b32_e32 v14, 7, v0
	v_and_b32_e32 v17, 8, v0
	v_cmp_lt_u32_e32 vcc, s0, v0
	v_xor_b32_e32 v26, v24, v25
	v_lshlrev_b32_e32 v22, 3, v14
	v_lshlrev_b32_e32 v23, 7, v14
	v_cndmask_b32_e64 v14, 0, 1, vcc
	v_or_b32_e32 v27, 0x440, v26
	v_cmp_eq_u32_e32 vcc, 0, v17
	v_or_b32_e32 v29, 64, v25
	v_xor_b32_e32 v29, v24, v29
	v_cndmask_b32_e32 v17, v27, v26, vcc
	v_or_b32_e32 v27, 32, v25
	v_or_b32_e32 v25, 0x60, v25
	v_xor_b32_e32 v27, v24, v27
	v_xor_b32_e32 v24, v24, v25
	v_or_b32_e32 v28, 0x440, v27
	v_xor_b32_e32 v30, 0x440, v29
	v_xor_b32_e32 v25, 0x440, v24
	v_cndmask_b32_e32 v27, v28, v27, vcc
	v_cndmask_b32_e32 v29, v30, v29, vcc
	;; [unrolled: 1-line block ×3, first 2 shown]
	v_or_b32_e32 v17, v17, v19
	v_or_b32_e32 v27, v27, v19
	;; [unrolled: 1-line block ×4, first 2 shown]
	v_and_b32_e32 v18, 12, v34
	v_lshlrev_b32_e32 v14, 13, v14
	v_xor_b32_e32 v17, v17, v22
	v_xor_b32_e32 v27, v27, v22
	;; [unrolled: 1-line block ×4, first 2 shown]
	v_lshlrev_b32_e32 v20, 1, v11
	v_add_lshl_u32 v11, v11, s15, 1
	v_or_b32_e32 v21, 0x100, v10
	v_or_b32_e32 v16, v18, v1
	v_add_u32_e32 v26, v14, v17
	v_add_u32_e32 v28, v14, v27
	;; [unrolled: 1-line block ×4, first 2 shown]
	v_or3_b32 v18, v1, v18, 64
	v_add_u32_e32 v17, 0x2000, v17
	v_add_u32_e32 v24, 0x2000, v27
	;; [unrolled: 1-line block ×4, first 2 shown]
	v_lshlrev_b32_e32 v14, 8, v65
	v_cndmask_b32_e64 v84, v20, v10, s[2:3]
	v_cndmask_b32_e64 v85, v11, v21, s[2:3]
	v_lshl_add_u64 v[58:59], v[12:13], 0, v[14:15]
	v_lshlrev_b32_e32 v86, 2, v16
	v_add_u32_e32 v87, v26, v23
	v_add_u32_e32 v88, v28, v23
	;; [unrolled: 1-line block ×4, first 2 shown]
	v_lshlrev_b32_e32 v91, 2, v18
	v_add_u32_e32 v92, v17, v23
	v_add_u32_e32 v93, v24, v23
	;; [unrolled: 1-line block ×4, first 2 shown]
	s_waitcnt lgkmcnt(0)
	s_barrier
.LBB660_6:                              ; =>This Inner Loop Header: Depth=1
	s_add_i32 s37, s60, 1
	s_cmp_lt_i32 s37, s48
	s_mov_b64 s[24:25], 0
	s_cselect_b64 s[2:3], -1, 0
	s_cmp_ge_i32 s37, s48
	s_mov_b64 s[20:21], 0
	s_cbranch_scc1 .LBB660_8
; %bb.7:                                ;   in Loop: Header=BB660_6 Depth=1
	s_add_i32 s0, s55, 64
	s_ashr_i32 s1, s0, 31
	s_add_u32 s0, s54, s0
	s_addc_u32 s1, s53, s1
	s_lshl_b64 s[0:1], s[0:1], 8
	s_add_u32 s20, s6, s0
	s_addc_u32 s21, s7, s1
.LBB660_8:                              ;   in Loop: Header=BB660_6 Depth=1
	v_cndmask_b32_e64 v10, 0, 1, s[2:3]
	v_cmp_ne_u32_e64 s[0:1], 1, v10
	s_andn2_b64 vcc, exec, s[2:3]
	s_cbranch_vccnz .LBB660_10
; %bb.9:                                ;   in Loop: Header=BB660_6 Depth=1
	s_add_i32 s2, s55, 64
	s_mul_hi_i32 s3, s2, s14
	s_mul_i32 s2, s2, s14
	s_add_u32 s2, s2, s51
	s_addc_u32 s3, s3, s56
	s_lshl_b64 s[2:3], s[2:3], 8
	s_add_u32 s24, s4, s2
	s_addc_u32 s25, s5, s3
.LBB660_10:                             ;   in Loop: Header=BB660_6 Depth=1
	v_perm_b32 v11, v9, v8, s35
	v_perm_b32 v10, v7, v6, s35
	;; [unrolled: 1-line block ×4, first 2 shown]
	ds_write_b64 v73, v[10:11]
	ds_write_b64 v74, v[12:13]
	;; [unrolled: 1-line block ×4, first 2 shown]
	s_waitcnt lgkmcnt(0)
	s_barrier
	ds_read_b64 v[18:19], v77 offset:16384
	ds_read_b64 v[20:21], v79 offset:16384
	ds_read2st64_b64 v[10:13], v78 offset1:1
	s_waitcnt lgkmcnt(0)
	v_mfma_f32_16x16x16_bf16 a[0:3], v[18:19], v[10:11], 0
	ds_read2st64_b64 v[14:17], v78 offset0:2 offset1:3
	ds_read_b64 v[22:23], v80 offset:16384
	ds_read_b64 v[10:11], v81 offset:16384
	s_add_i32 s39, s55, 63
	v_mfma_f32_16x16x16_bf16 a[0:3], v[20:21], v[12:13], a[0:3]
	s_ashr_i32 s2, s39, 31
	s_mul_i32 s3, s39, s29
	s_mul_hi_u32 s27, s39, s28
	s_waitcnt lgkmcnt(1)
	v_mfma_f32_16x16x16_bf16 a[0:3], v[22:23], v[14:15], a[0:3]
	s_add_i32 s3, s27, s3
	s_mul_i32 s2, s2, s28
	s_add_i32 s3, s3, s2
	s_mul_i32 s2, s39, s28
	s_waitcnt lgkmcnt(0)
	v_mfma_f32_16x16x16_bf16 a[0:3], v[10:11], v[16:17], a[0:3]
	s_lshl_b64 s[2:3], s[2:3], 2
	s_add_u32 s2, s40, s2
	s_addc_u32 s3, s41, s3
	s_and_b64 vcc, exec, s[0:1]
	v_mov_b32_e32 v98, 0
	v_mov_b32_e32 v97, 0
	;; [unrolled: 1-line block ×19, first 2 shown]
	s_cbranch_vccnz .LBB660_12
; %bb.11:                               ;   in Loop: Header=BB660_6 Depth=1
	s_and_b32 s21, s21, 0xffff
	buffer_load_dwordx4 v[22:25], v69, s[20:23], 0 offen
	buffer_load_dwordx4 v[18:21], v69, s[20:23], s57 offen
	;; [unrolled: 1-line block ×4, first 2 shown]
	v_mov_b32_e32 v97, v71
	v_mov_b32_e32 v96, v72
.LBB660_12:                             ;   in Loop: Header=BB660_6 Depth=1
	v_add_u32_e32 v30, s55, v65
	v_ashrrev_i32_e32 v26, 31, v30
	v_mul_lo_u32 v28, v26, s28
	v_mul_lo_u32 v29, v30, s29
	v_mad_u64_u32 v[26:27], s[20:21], v30, s28, 0
	v_add3_u32 v27, v27, v29, v28
	v_lshl_add_u64 v[26:27], v[26:27], 2, s[40:41]
	global_load_dword v48, v[26:27], off
	v_add_u32_e32 v26, 1, v30
	v_ashrrev_i32_e32 v27, 31, v26
	v_mul_lo_u32 v28, v27, s28
	v_mul_lo_u32 v29, v26, s29
	v_mad_u64_u32 v[26:27], s[20:21], v26, s28, 0
	v_add3_u32 v27, v27, v29, v28
	v_add_u32_e32 v28, 2, v30
	v_ashrrev_i32_e32 v29, 31, v28
	v_mul_lo_u32 v31, v29, s28
	v_mul_lo_u32 v32, v28, s29
	v_mad_u64_u32 v[28:29], s[20:21], v28, s28, 0
	v_add_u32_e32 v30, 3, v30
	v_add3_u32 v29, v29, v32, v31
	v_ashrrev_i32_e32 v31, 31, v30
	v_mul_lo_u32 v34, v31, s28
	v_mul_lo_u32 v35, v30, s29
	v_mad_u64_u32 v[30:31], s[20:21], v30, s28, 0
	s_ashr_i32 s21, s55, 31
	s_add_u32 s20, s54, s55
	s_addc_u32 s21, s53, s21
	s_lshl_b64 s[20:21], s[20:21], 8
	v_lshl_add_u64 v[26:27], v[26:27], 2, s[40:41]
	v_lshl_add_u64 v[32:33], v[58:59], 0, s[20:21]
	v_add3_u32 v31, v31, v35, v34
	v_lshl_add_u64 v[28:29], v[28:29], 2, s[40:41]
	global_load_ushort v49, v[32:33], off
	global_load_ushort v50, v[32:33], off offset:256
	global_load_ushort v51, v[32:33], off offset:512
	;; [unrolled: 1-line block ×3, first 2 shown]
	v_lshl_add_u64 v[30:31], v[30:31], 2, s[40:41]
	global_load_dword v100, v[26:27], off
	global_load_dword v101, v[28:29], off
	;; [unrolled: 1-line block ×3, first 2 shown]
	s_load_dword s2, s[2:3], 0x0
	ds_read2st64_b64 v[34:37], v82 offset1:1
	ds_read2st64_b64 v[38:41], v82 offset0:2 offset1:3
	ds_read_b64 v[32:33], v77 offset:24576
	ds_read_b64 v[42:43], v79 offset:24576
	;; [unrolled: 1-line block ×4, first 2 shown]
	s_waitcnt lgkmcnt(0)
	v_mfma_f32_16x16x16_bf16 a[0:3], v[32:33], v[34:35], a[0:3]
	v_mov_b32_e32 v99, 0
	v_mov_b32_e32 v26, 0
	v_mov_b32_e32 v27, 0
	v_mfma_f32_16x16x16_bf16 a[0:3], v[42:43], v[36:37], a[0:3]
	v_mov_b32_e32 v28, 0
	v_mov_b32_e32 v29, 0
	v_mov_b32_e32 v30, 0
	v_mfma_f32_16x16x16_bf16 a[0:3], v[44:45], v[38:39], a[0:3]
	v_mov_b32_e32 v31, 0
	v_mov_b32_e32 v32, 0
	v_mov_b32_e32 v33, 0
	v_mfma_f32_16x16x16_bf16 a[0:3], v[46:47], v[40:41], a[0:3]
	v_mov_b32_e32 v34, 0
	v_mov_b32_e32 v35, 0
	v_mov_b32_e32 v36, 0
	v_mov_b32_e32 v37, 0
	v_mov_b32_e32 v38, 0
	;; [unrolled: 1-line block ×3, first 2 shown]
	s_and_b64 vcc, exec, s[0:1]
	v_accvgpr_read_b32 v43, a1
	v_accvgpr_read_b32 v41, a3
	;; [unrolled: 1-line block ×4, first 2 shown]
	s_waitcnt vmcnt(7)
	v_sub_f32_e32 v48, s2, v48
	v_exp_f32_e32 v48, v48
	s_waitcnt vmcnt(6)
	v_lshlrev_b32_e32 v44, 16, v49
	s_waitcnt vmcnt(5)
	v_lshlrev_b32_e32 v45, 16, v50
	;; [unrolled: 2-line block ×3, first 2 shown]
	s_waitcnt vmcnt(2)
	v_sub_f32_e32 v49, s2, v100
	s_waitcnt vmcnt(1)
	v_sub_f32_e32 v50, s2, v101
	;; [unrolled: 2-line block ×3, first 2 shown]
	v_exp_f32_e32 v49, v49
	v_exp_f32_e32 v50, v50
	;; [unrolled: 1-line block ×3, first 2 shown]
	v_lshlrev_b32_e32 v47, 16, v52
	v_pk_add_f32 v[42:43], v[44:45], v[42:43] neg_lo:[0,1] neg_hi:[0,1]
	v_pk_add_f32 v[40:41], v[46:47], v[40:41] neg_lo:[0,1] neg_hi:[0,1]
	v_pk_mul_f32 v[42:43], v[48:49], v[42:43]
	v_pk_mul_f32 v[40:41], v[50:51], v[40:41]
	s_nop 0
	v_perm_b32 v41, v41, v40, s35
	v_perm_b32 v40, v43, v42, s35
	ds_write_b64 v74, v[40:41]
	v_mov_b32_e32 v40, 0
	v_mov_b32_e32 v41, 0
	s_cbranch_vccnz .LBB660_14
; %bb.13:                               ;   in Loop: Header=BB660_6 Depth=1
	s_and_b32 s25, s25, 0xffff
	s_mov_b32 s27, s23
	buffer_load_dwordx4 v[38:41], v84, s[24:27], 0 offen
	buffer_load_dwordx4 v[30:33], v84, s[24:27], s57 offen
	;; [unrolled: 1-line block ×4, first 2 shown]
	v_mov_b32_e32 v98, v68
	v_mov_b32_e32 v99, v67
.LBB660_14:                             ;   in Loop: Header=BB660_6 Depth=1
	s_waitcnt lgkmcnt(0)
	s_barrier
	ds_read_b64 v[42:43], v87
	ds_read_b64 v[48:49], v88
	ds_read2st64_b64 v[44:47], v82 offset1:1
	ds_read2st64_b64 v[100:103], v82 offset0:2 offset1:3
	ds_read_b64 v[50:51], v89
	ds_read_b64 v[108:109], v90
	s_add_i32 s3, s52, s60
	s_mul_hi_i32 s21, s3, s13
	s_mul_i32 s3, s3, s13
	s_waitcnt lgkmcnt(3)
	v_mfma_f32_16x16x16_bf16 a[0:3], v[42:43], v[44:45], 0
	ds_read_b64 v[42:43], v92
	s_add_u32 s20, s3, s47
	s_addc_u32 s21, s21, s49
	v_mfma_f32_16x16x16_bf16 a[0:3], v[48:49], v[46:47], a[0:3]
	ds_read_b64 v[48:49], v93
	s_lshl_b64 s[20:21], s[20:21], 15
	s_mul_i32 s24, s39, s13
	s_mul_hi_i32 s3, s39, s13
	s_add_u32 s24, s24, s47
	s_addc_u32 s25, s3, s49
	s_lshl_b64 s[24:25], s[24:25], 9
	s_add_u32 s24, s16, s24
	s_waitcnt lgkmcnt(1)
	v_mfma_f32_16x16x16_bf16 a[4:7], v[42:43], v[44:45], 0
	s_addc_u32 s25, s17, s25
	s_and_b64 vcc, exec, s[0:1]
	v_mfma_f32_16x16x16_bf16 a[0:3], v[50:51], v[100:101], a[0:3]
	ds_read_b64 v[50:51], v94
	ds_read_b64 v[110:111], v95
	global_load_dwordx4 v[42:45], v91, s[24:25]
	s_waitcnt lgkmcnt(2)
	v_mfma_f32_16x16x16_bf16 a[4:7], v[48:49], v[46:47], a[4:7]
	global_load_dwordx4 v[46:49], v86, s[24:25]
	ds_read_b64 v[104:105], v55
	ds_read_b64 v[106:107], v83
	s_waitcnt lgkmcnt(3)
	v_mfma_f32_16x16x16_bf16 a[8:11], v[50:51], v[100:101], a[4:7]
	v_lshl_add_u64 v[50:51], v[56:57], 0, s[20:21]
	s_waitcnt lgkmcnt(0)
	global_store_dwordx4 v[50:51], v[104:107], off
	v_mfma_f32_16x16x16_bf16 a[4:7], v[108:109], v[102:103], a[0:3]
	s_waitcnt vmcnt(2)
	v_mov_b32_e32 v52, v45
	v_mfma_f32_16x16x16_bf16 a[0:3], v[110:111], v[102:103], a[8:11]
	v_mov_b32_e32 v51, v44
	v_mov_b32_e32 v50, v43
	s_cbranch_vccnz .LBB660_16
; %bb.15:                               ;   in Loop: Header=BB660_6 Depth=1
	v_lshrrev_b32_e32 v43, 3, v98
	v_and_b32_e32 v43, 6, v43
	v_xor_b32_e32 v44, v43, v99
	v_lshlrev_b32_e32 v44, 2, v44
	v_and_b32_e32 v45, 8, v98
	v_xor_b32_e32 v98, 0x440, v44
	v_cmp_eq_u32_e32 vcc, 0, v45
	v_perm_b32 v45, v30, v26, s58
	s_nop 0
	v_cndmask_b32_e32 v44, v98, v44, vcc
	v_lshl_or_b32 v43, v43, 10, v44
	v_perm_b32 v44, v38, v34, s58
	s_barrier
	ds_write2st64_b32 v43, v44, v45 offset1:32
	v_xor_b32_e32 v44, 8, v43
	v_perm_b32 v34, v38, v34, s59
	v_perm_b32 v26, v30, v26, s59
	v_add_u32_e32 v30, 0x80, v44
	ds_write2st64_b32 v30, v34, v26 offset1:32
	v_xor_b32_e32 v26, 16, v43
	v_perm_b32 v30, v39, v35, s58
	v_perm_b32 v34, v31, v27, s58
	ds_write2st64_b32 v26, v30, v34 offset0:1 offset1:33
	v_xor_b32_e32 v26, 24, v43
	v_perm_b32 v30, v39, v35, s59
	v_perm_b32 v27, v31, v27, s59
	v_add_u32_e32 v26, 0x80, v26
	ds_write2st64_b32 v26, v30, v27 offset0:1 offset1:33
	v_xor_b32_e32 v26, 32, v43
	v_perm_b32 v27, v40, v36, s58
	v_perm_b32 v30, v32, v28, s58
	ds_write2st64_b32 v26, v27, v30 offset0:2 offset1:34
	v_xor_b32_e32 v26, 40, v43
	v_perm_b32 v27, v40, v36, s59
	v_perm_b32 v28, v32, v28, s59
	v_add_u32_e32 v26, 0x80, v26
	ds_write2st64_b32 v26, v27, v28 offset0:2 offset1:34
	;; [unrolled: 9-line block ×3, first 2 shown]
	ds_write_b64 v97, v[22:23] offset:16384
	v_xor_b32_e32 v22, 8, v97
	ds_write_b64 v22, v[24:25] offset:16384
	ds_write_b64 v97, v[18:19] offset:24576
	;; [unrolled: 1-line block ×4, first 2 shown]
	v_xor_b32_e32 v14, 8, v96
	ds_write_b64 v14, v[16:17] offset:16384
	ds_write_b64 v96, v[10:11] offset:24576
	;; [unrolled: 1-line block ×3, first 2 shown]
.LBB660_16:                             ;   in Loop: Header=BB660_6 Depth=1
	v_exp_f32_e32 v18, s2
	s_waitcnt vmcnt(1)
	v_exp_f32_e32 v20, v46
	v_exp_f32_e32 v21, v47
	;; [unrolled: 1-line block ×4, first 2 shown]
	v_accvgpr_read_b32 v13, a7
	v_accvgpr_read_b32 v11, a5
	v_accvgpr_read_b32 v10, a4
	v_pk_mul_f32 v[20:21], v[18:19], v[20:21] op_sel_hi:[0,1]
	v_pk_fma_f32 v[6:7], v[6:7], v[20:21], v[10:11]
	v_exp_f32_e32 v20, v42
	v_exp_f32_e32 v21, v50
	v_pk_mul_f32 v[10:11], v[18:19], v[22:23] op_sel_hi:[0,1]
	v_exp_f32_e32 v22, v51
	v_exp_f32_e32 v23, v52
	v_accvgpr_read_b32 v12, a6
	v_accvgpr_read_b32 v17, a3
	;; [unrolled: 1-line block ×4, first 2 shown]
	v_pk_fma_f32 v[8:9], v[8:9], v[10:11], v[12:13]
	v_pk_mul_f32 v[10:11], v[18:19], v[20:21] op_sel_hi:[0,1]
	v_accvgpr_read_b32 v16, a2
	v_pk_fma_f32 v[2:3], v[2:3], v[10:11], v[14:15]
	v_pk_mul_f32 v[10:11], v[18:19], v[22:23] op_sel_hi:[0,1]
	s_add_i32 s55, s55, 64
	s_cmp_eq_u32 s48, s37
	v_pk_fma_f32 v[4:5], v[4:5], v[10:11], v[16:17]
	s_cbranch_scc1 .LBB660_18
; %bb.17:                               ;   in Loop: Header=BB660_6 Depth=1
	s_mov_b32 s60, s37
	s_branch .LBB660_6
.LBB660_18:
	s_lshl_b32 s26, s48, 6
	s_sub_i32 s27, s50, s26
	s_cmp_gt_i32 s27, 0
	s_cbranch_scc0 .LBB660_75
; %bb.19:
	s_add_i32 s26, s26, s30
	s_ashr_i32 s2, s26, 31
	s_cmpk_lg_i32 s15, 0x80
	s_cselect_b64 s[22:23], -1, 0
	s_and_b64 vcc, exec, s[22:23]
	s_cbranch_vccz .LBB660_21
; %bb.20:
	s_mul_i32 s1, s26, s14
	s_ashr_i32 s3, s51, 31
	s_mul_hi_i32 s0, s26, s14
	s_add_u32 s24, s1, s51
	s_addc_u32 s25, s0, s3
	s_cbranch_execz .LBB660_22
	s_branch .LBB660_23
.LBB660_21:
                                        ; implicit-def: $sgpr24_sgpr25
.LBB660_22:
	s_mul_i32 s1, s51, s12
	s_mul_hi_i32 s0, s51, s12
	s_add_u32 s24, s1, s26
	s_addc_u32 s25, s0, s2
.LBB660_23:
	s_waitcnt lgkmcnt(0)
	s_add_i32 s3, s48, s52
	s_add_u32 s0, s54, s26
	s_addc_u32 s1, s53, s2
	s_mov_b32 s2, 0x7060302
	s_waitcnt vmcnt(0)
	v_perm_b32 v5, v5, v4, s2
	v_perm_b32 v4, v3, v2, s2
	v_lshlrev_b32_e32 v2, 3, v62
	s_lshl_b64 s[20:21], s[0:1], 8
	v_perm_b32 v9, v9, v8, s2
	v_perm_b32 v8, v7, v6, s2
	v_lshlrev_b32_e32 v34, 2, v62
	v_lshl_or_b32 v2, v65, 5, v2
	s_add_u32 s0, s6, s20
	ds_write2st64_b64 v2, v[8:9], v[4:5] offset0:72 offset1:76
	v_xor_b32_e32 v2, v65, v34
	v_lshlrev_b32_e32 v3, 8, v62
	s_addc_u32 s1, s7, s21
	v_lshl_or_b32 v2, v2, 1, v3
	s_mul_hi_i32 s6, s3, s13
	s_mul_i32 s3, s3, s13
	ds_write_b64 v2, v[8:9] offset:32768
	v_xor_b32_e32 v2, v66, v34
	s_add_u32 s2, s3, s47
	v_lshl_or_b32 v2, v2, 1, v3
	s_addc_u32 s3, s6, s49
	v_lshlrev_b32_e32 v3, 1, v62
	ds_write_b64 v2, v[4:5] offset:32768
	v_lshrrev_b32_e32 v2, 4, v0
	s_ashr_i32 s39, s38, 31
	s_lshl_b64 s[2:3], s[2:3], 15
	v_or_b32_e32 v4, 1, v3
	s_add_u32 s6, s18, s2
	v_xor_b32_e32 v3, v2, v3
	v_xor_b32_e32 v4, v4, v2
	v_lshlrev_b32_e32 v6, 8, v2
	s_addc_u32 s7, s19, s3
	s_lshl_b64 s[2:3], s[38:39], 8
	v_lshl_or_b32 v2, v3, 3, v6
	v_lshl_or_b32 v4, v4, 3, v6
	s_waitcnt lgkmcnt(0)
	s_barrier
	s_add_u32 s2, s6, s2
	ds_read_b64 v[2:3], v2 offset:32768
	ds_read_b64 v[4:5], v4 offset:32768
	s_addc_u32 s3, s7, s3
	v_mov_b32_e32 v7, 0
	s_cmp_lg_u32 s27, 64
	v_lshl_add_u64 v[8:9], s[2:3], 0, v[6:7]
	v_lshlrev_b32_e32 v6, 4, v62
	s_cselect_b64 s[6:7], -1, 0
	v_lshl_or_b32 v35, v60, 3, v64
	s_mov_b32 s16, 0
	v_lshl_add_u64 v[6:7], v[8:9], 0, v[6:7]
	v_or_b32_e32 v19, 32, v35
	v_and_b32_e32 v18, 56, v63
	s_and_b64 vcc, exec, s[6:7]
	s_waitcnt lgkmcnt(0)
	global_store_dwordx4 v[6:7], v[2:5], off
	s_cbranch_vccz .LBB660_29
; %bb.24:
	s_mov_b32 s17, s16
	s_mov_b32 s18, s16
	;; [unrolled: 1-line block ×3, first 2 shown]
	v_mov_b64_e32 v[6:7], s[16:17]
	v_mov_b64_e32 v[8:9], s[18:19]
	;; [unrolled: 1-line block ×3, first 2 shown]
	v_cmp_gt_i32_e32 vcc, s27, v35
	v_mov_b64_e32 v[4:5], v[8:9]
	s_and_saveexec_b64 s[2:3], vcc
	s_cbranch_execz .LBB660_26
; %bb.25:
	v_lshlrev_b32_e32 v2, 8, v35
	v_mov_b32_e32 v3, 0
	v_lshl_add_u64 v[4:5], s[0:1], 0, v[2:3]
	v_lshlrev_b32_e32 v2, 1, v18
	v_lshl_add_u64 v[10:11], v[4:5], 0, v[2:3]
	global_load_dwordx4 v[6:9], v[10:11], off
	global_load_dwordx4 v[2:5], v[10:11], off offset:128
.LBB660_26:
	s_or_b64 exec, exec, s[2:3]
	s_mov_b32 s17, s16
	s_mov_b32 s18, s16
	;; [unrolled: 1-line block ×3, first 2 shown]
	v_mov_b64_e32 v[14:15], s[16:17]
	v_mov_b64_e32 v[16:17], s[18:19]
	;; [unrolled: 1-line block ×3, first 2 shown]
	v_cmp_gt_i32_e32 vcc, s27, v19
	v_lshlrev_b32_e32 v20, 7, v19
	v_mov_b64_e32 v[12:13], v[16:17]
	s_and_saveexec_b64 s[2:3], vcc
	s_cbranch_execz .LBB660_28
; %bb.27:
	v_lshlrev_b32_e32 v10, 1, v20
	v_mov_b32_e32 v11, 0
	v_lshl_add_u64 v[12:13], s[0:1], 0, v[10:11]
	v_lshlrev_b32_e32 v10, 1, v18
	v_lshl_add_u64 v[22:23], v[12:13], 0, v[10:11]
	global_load_dwordx4 v[14:17], v[22:23], off
	global_load_dwordx4 v[10:13], v[22:23], off offset:128
.LBB660_28:
	s_or_b64 exec, exec, s[2:3]
	v_lshrrev_b32_e32 v21, 3, v18
	v_lshlrev_b32_e32 v22, 3, v35
	v_or_b32_e32 v21, v22, v21
	v_lshlrev_b32_e32 v21, 4, v21
	v_and_b32_e32 v22, 0x78, v22
	v_xor_b32_e32 v21, v21, v22
	s_branch .LBB660_31
.LBB660_29:
                                        ; implicit-def: $vgpr21
                                        ; implicit-def: $vgpr20
                                        ; implicit-def: $vgpr6_vgpr7_vgpr8_vgpr9
                                        ; implicit-def: $vgpr2_vgpr3_vgpr4_vgpr5
                                        ; implicit-def: $vgpr14_vgpr15_vgpr16_vgpr17
                                        ; implicit-def: $vgpr10_vgpr11_vgpr12_vgpr13
	s_cbranch_execz .LBB660_31
; %bb.30:
	s_waitcnt vmcnt(0)
	v_lshlrev_b32_e32 v2, 1, v18
	v_lshl_or_b32 v20, v35, 8, v2
	s_and_b32 s1, s1, 0xffff
	s_mov_b32 s3, 0x20000
	s_movk_i32 s2, 0x4000
	v_lshl_or_b32 v21, v19, 8, v2
	s_movk_i32 s12, 0x80
	buffer_load_dwordx4 v[6:9], v20, s[0:3], 0 offen
	buffer_load_dwordx4 v[2:5], v20, s[0:3], s12 offen
	;; [unrolled: 1-line block ×4, first 2 shown]
	v_lshrrev_b32_e32 v20, 3, v18
	v_lshlrev_b32_e32 v21, 3, v35
	v_or_b32_e32 v20, v21, v20
	v_lshlrev_b32_e32 v20, 4, v20
	v_and_b32_e32 v21, 0x78, v21
	v_xor_b32_e32 v21, v20, v21
	v_lshlrev_b32_e32 v20, 7, v19
.LBB660_31:
	s_lshl_b64 s[0:1], s[24:25], 8
	s_add_u32 s4, s4, s0
	s_movk_i32 s0, 0x1000
	v_and_or_b32 v19, v20, s0, v21
	s_waitcnt vmcnt(1)
	ds_write_b64 v21, v[6:7] offset:16384
	v_xor_b32_e32 v6, 8, v21
	ds_write_b64 v6, v[8:9] offset:16384
	s_waitcnt vmcnt(0)
	ds_write_b64 v21, v[2:3] offset:24576
	ds_write_b64 v6, v[4:5] offset:24576
	;; [unrolled: 1-line block ×3, first 2 shown]
	v_xor_b32_e32 v2, 8, v19
	ds_write_b64 v2, v[16:17] offset:16384
	ds_write_b64 v19, v[10:11] offset:24576
	;; [unrolled: 1-line block ×3, first 2 shown]
	v_or_b32_e32 v2, v1, v62
	v_lshlrev_b32_e32 v2, 3, v2
	v_lshrrev_b32_e32 v4, 5, v53
	s_movk_i32 s12, 0xf8
	v_and_or_b32 v4, v2, s12, v4
	v_lshlrev_b32_e32 v3, 11, v60
	v_lshlrev_b32_e32 v12, 4, v4
	v_and_b32_e32 v13, 0x78, v2
	v_and_b32_e32 v14, 0x1000, v3
	v_lshlrev_b32_e32 v3, 2, v0
	v_xor_b32_e32 v2, v12, v13
	v_lshrrev_b32_e32 v4, 1, v53
	v_and_b32_e32 v3, 60, v3
	v_or_b32_e32 v2, v2, v14
	v_and_b32_e32 v15, 8, v4
	v_xor_b32_e32 v26, v2, v15
	v_lshl_or_b32 v2, v61, 6, v3
	v_lshlrev_b32_e32 v19, 1, v2
	v_or_b32_e32 v2, 32, v12
	v_xor_b32_e32 v2, v2, v13
	s_waitcnt lgkmcnt(0)
	s_barrier
	ds_read_b64 v[10:11], v26 offset:16384
	v_or_b32_e32 v2, v2, v14
	v_xor_b32_e32 v27, v2, v15
	v_or_b32_e32 v2, 64, v12
	v_xor_b32_e32 v2, v2, v13
	v_or_b32_e32 v2, v2, v14
	v_or_b32_e32 v12, 0x60, v12
	v_xor_b32_e32 v28, v2, v15
	ds_read2st64_b64 v[2:5], v19 offset0:72 offset1:73
	ds_read2st64_b64 v[6:9], v19 offset0:74 offset1:75
	v_xor_b32_e32 v16, v12, v13
	ds_read_b64 v[12:13], v27 offset:16384
	s_addc_u32 s5, s5, s1
	s_add_i32 s1, s43, s33
	s_waitcnt lgkmcnt(2)
	v_mfma_f32_16x16x16_bf16 a[0:3], v[10:11], v[2:3], 0
	s_add_i32 s0, s31, -1
	s_add_i32 s37, s1, s44
	s_add_i32 s1, s45, s42
	;; [unrolled: 1-line block ×3, first 2 shown]
	s_ashr_i32 s1, s0, 31
	s_mul_i32 s2, s0, s29
	s_mul_hi_u32 s3, s0, s28
	s_add_i32 s2, s3, s2
	s_mul_i32 s1, s1, s28
	v_or_b32_e32 v14, v16, v14
	s_add_i32 s1, s2, s1
	s_lshl_b64 s[2:3], s[36:37], 2
	v_xor_b32_e32 v36, v14, v15
	ds_read_b64 v[14:15], v28 offset:16384
	ds_read_b64 v[16:17], v36 offset:16384
	s_waitcnt lgkmcnt(2)
	v_mfma_f32_16x16x16_bf16 a[0:3], v[12:13], v[4:5], a[0:3]
	s_add_u32 s10, s10, s2
	s_addc_u32 s11, s11, s3
	s_lshl_b64 s[2:3], s[34:35], 2
	s_mul_i32 s0, s0, s28
	s_add_u32 s10, s10, s2
	s_addc_u32 s11, s11, s3
	s_lshl_b64 s[0:1], s[0:1], 2
	s_waitcnt lgkmcnt(1)
	v_mfma_f32_16x16x16_bf16 a[0:3], v[14:15], v[6:7], a[0:3]
	s_add_u32 s0, s10, s0
	s_addc_u32 s1, s11, s1
	s_load_dword s12, s[0:1], 0x0
	s_waitcnt lgkmcnt(0)
	v_mfma_f32_16x16x16_bf16 a[0:3], v[16:17], v[8:9], a[0:3]
	s_and_b64 vcc, exec, s[22:23]
	s_cbranch_vccz .LBB660_42
; %bb.32:
	v_lshlrev_b32_e32 v20, 1, v35
	s_and_b64 vcc, exec, s[6:7]
	s_cbranch_vccz .LBB660_43
; %bb.33:
	v_cmp_gt_i32_e32 vcc, s27, v20
	v_mov_b32_e32 v6, 0
	v_mov_b32_e32 v2, 0
	;; [unrolled: 1-line block ×5, first 2 shown]
	s_and_saveexec_b64 s[0:1], vcc
	s_cbranch_execz .LBB660_35
; %bb.34:
	v_mad_i64_i32 v[2:3], s[2:3], s15, v20, 0
	v_lshl_add_u64 v[2:3], v[2:3], 1, s[4:5]
	v_lshlrev_b32_e32 v4, 1, v18
	v_mov_b32_e32 v5, 0
	v_lshl_add_u64 v[2:3], v[2:3], 0, v[4:5]
	global_load_dwordx4 v[2:5], v[2:3], off
.LBB660_35:
	s_or_b64 exec, exec, s[0:1]
	v_or_b32_e32 v21, 1, v20
	v_cmp_gt_i32_e64 s[0:1], s27, v21
	v_mov_b32_e32 v7, 0
	v_mov_b32_e32 v8, 0
	;; [unrolled: 1-line block ×3, first 2 shown]
	s_and_saveexec_b64 s[2:3], s[0:1]
	s_cbranch_execz .LBB660_37
; %bb.36:
	v_mad_i64_i32 v[6:7], s[16:17], s15, v21, 0
	v_lshl_add_u64 v[6:7], v[6:7], 1, s[4:5]
	v_lshlrev_b32_e32 v8, 1, v18
	v_mov_b32_e32 v9, 0
	v_lshl_add_u64 v[6:7], v[6:7], 0, v[8:9]
	global_load_dwordx4 v[6:9], v[6:7], off
.LBB660_37:
	s_or_b64 exec, exec, s[2:3]
	v_mov_b32_e32 v17, 0
	v_mov_b32_e32 v10, 0
	;; [unrolled: 1-line block ×5, first 2 shown]
	s_and_saveexec_b64 s[2:3], vcc
	s_cbranch_execz .LBB660_39
; %bb.38:
	v_mad_i64_i32 v[10:11], s[16:17], s15, v20, 0
	v_lshl_add_u64 v[10:11], v[10:11], 1, s[4:5]
	v_lshlrev_b32_e32 v12, 1, v18
	v_mov_b32_e32 v13, 0
	v_lshl_add_u64 v[10:11], v[10:11], 0, v[12:13]
	global_load_dwordx4 v[10:13], v[10:11], off offset:128
.LBB660_39:
	s_or_b64 exec, exec, s[2:3]
	v_mov_b32_e32 v16, 0
	v_mov_b32_e32 v15, 0
	;; [unrolled: 1-line block ×3, first 2 shown]
	s_and_saveexec_b64 s[2:3], s[0:1]
	s_cbranch_execz .LBB660_41
; %bb.40:
	v_mad_i64_i32 v[14:15], s[0:1], s15, v21, 0
	v_lshl_add_u64 v[14:15], v[14:15], 1, s[4:5]
	v_lshlrev_b32_e32 v16, 1, v18
	v_mov_b32_e32 v17, 0
	v_lshl_add_u64 v[14:15], v[14:15], 0, v[16:17]
	global_load_dwordx4 v[14:17], v[14:15], off offset:128
.LBB660_41:
	s_or_b64 exec, exec, s[2:3]
	s_branch .LBB660_45
.LBB660_42:
                                        ; implicit-def: $vgpr5
                                        ; implicit-def: $vgpr9
                                        ; implicit-def: $vgpr13
                                        ; implicit-def: $vgpr17
	v_lshrrev_b32_e32 v37, 2, v53
	s_branch .LBB660_46
.LBB660_43:
                                        ; implicit-def: $vgpr5
                                        ; implicit-def: $vgpr9
                                        ; implicit-def: $vgpr13
                                        ; implicit-def: $vgpr17
	s_cbranch_execz .LBB660_45
; %bb.44:
	s_waitcnt vmcnt(0)
	v_mad_u64_u32 v[2:3], s[0:1], v20, s15, v[18:19]
	v_lshlrev_b32_e32 v20, 1, v2
	s_lshl_b32 s2, s15, 7
	s_and_b32 s1, s5, 0xffff
	s_mov_b32 s3, 0x20000
	s_mov_b32 s0, s4
	v_add_lshl_u32 v21, v2, s15, 1
	s_movk_i32 s13, 0x80
	buffer_load_dwordx4 v[2:5], v20, s[0:3], 0 offen
	buffer_load_dwordx4 v[10:13], v20, s[0:3], s13 offen
	;; [unrolled: 1-line block ×4, first 2 shown]
.LBB660_45:
	v_lshrrev_b32_e32 v37, 2, v53
	s_cbranch_execnz .LBB660_58
.LBB660_46:
	s_and_b64 vcc, exec, s[6:7]
	s_cbranch_vccz .LBB660_56
; %bb.47:
	s_waitcnt vmcnt(0)
	v_lshlrev_b32_e32 v7, 1, v35
	v_cmp_gt_i32_e32 vcc, s27, v7
	v_mov_b32_e32 v6, 0
	v_lshlrev_b32_e32 v14, 9, v35
	v_mov_b32_e32 v2, 0
	v_mov_b32_e32 v3, 0
	;; [unrolled: 1-line block ×4, first 2 shown]
	s_and_saveexec_b64 s[0:1], vcc
	s_cbranch_execz .LBB660_49
; %bb.48:
	v_mov_b32_e32 v15, 0
	v_lshl_add_u64 v[2:3], s[4:5], 0, v[14:15]
	v_lshlrev_b32_e32 v4, 1, v18
	v_mov_b32_e32 v5, v15
	v_lshl_add_u64 v[2:3], v[2:3], 0, v[4:5]
	global_load_dwordx4 v[2:5], v[2:3], off
.LBB660_49:
	s_or_b64 exec, exec, s[0:1]
	v_or_b32_e32 v7, 1, v7
	v_cmp_gt_i32_e64 s[0:1], s27, v7
	v_lshlrev_b32_e32 v20, 8, v7
	v_mov_b32_e32 v7, 0
	v_mov_b32_e32 v8, 0
	;; [unrolled: 1-line block ×3, first 2 shown]
	s_and_saveexec_b64 s[2:3], s[0:1]
	s_cbranch_execz .LBB660_51
; %bb.50:
	v_mov_b32_e32 v21, 0
	v_lshl_add_u64 v[6:7], s[4:5], 0, v[20:21]
	v_lshlrev_b32_e32 v8, 1, v18
	v_mov_b32_e32 v9, v21
	v_lshl_add_u64 v[6:7], v[6:7], 0, v[8:9]
	global_load_dwordx4 v[6:9], v[6:7], off
.LBB660_51:
	s_or_b64 exec, exec, s[2:3]
	v_mov_b32_e32 v17, 0
	v_mov_b32_e32 v10, 0
	;; [unrolled: 1-line block ×5, first 2 shown]
	s_and_saveexec_b64 s[2:3], vcc
	s_cbranch_execz .LBB660_53
; %bb.52:
	v_mov_b32_e32 v15, 0
	v_lshl_add_u64 v[10:11], s[4:5], 0, v[14:15]
	v_lshlrev_b32_e32 v14, 1, v18
	v_lshl_add_u64 v[10:11], v[10:11], 0, v[14:15]
	global_load_dwordx4 v[10:13], v[10:11], off offset:128
.LBB660_53:
	s_or_b64 exec, exec, s[2:3]
	v_mov_b32_e32 v16, 0
	v_mov_b32_e32 v15, 0
	;; [unrolled: 1-line block ×3, first 2 shown]
	s_and_saveexec_b64 s[2:3], s[0:1]
	s_cbranch_execz .LBB660_55
; %bb.54:
	v_mov_b32_e32 v21, 0
	v_lshl_add_u64 v[14:15], s[4:5], 0, v[20:21]
	v_lshlrev_b32_e32 v20, 1, v18
	v_lshl_add_u64 v[14:15], v[14:15], 0, v[20:21]
	global_load_dwordx4 v[14:17], v[14:15], off offset:128
.LBB660_55:
	s_or_b64 exec, exec, s[2:3]
	s_branch .LBB660_58
.LBB660_56:
                                        ; implicit-def: $vgpr5
                                        ; implicit-def: $vgpr9
                                        ; implicit-def: $vgpr13
                                        ; implicit-def: $vgpr17
	s_cbranch_execz .LBB660_58
; %bb.57:
	s_waitcnt vmcnt(0)
	v_lshlrev_b32_e32 v2, 1, v18
	v_lshl_or_b32 v18, v35, 9, v2
	s_and_b32 s5, s5, 0xffff
	s_mov_b32 s7, 0x20000
	s_movk_i32 s6, 0x4000
	s_movk_i32 s0, 0x80
	buffer_load_dwordx4 v[2:5], v18, s[4:7], 0 offen
	buffer_load_dwordx4 v[6:9], v18, s[4:7], 0 offen offset:256
	buffer_load_dwordx4 v[10:13], v18, s[4:7], s0 offen
	buffer_load_dwordx4 v[14:17], v18, s[4:7], s0 offen offset:256
.LBB660_58:
	ds_read2st64_b64 v[22:25], v19 offset0:76 offset1:77
	ds_read2st64_b64 v[18:21], v19 offset0:78 offset1:79
	ds_read_b64 v[30:31], v26 offset:24576
	ds_read_b64 v[32:33], v27 offset:24576
	;; [unrolled: 1-line block ×4, first 2 shown]
	v_and_b32_e32 v36, 6, v0
	v_xor_b32_e32 v35, v35, v36
	v_lshlrev_b32_e32 v35, 2, v35
	v_and_b32_e32 v0, 1, v0
	v_xor_b32_e32 v38, 0x440, v35
	v_cmp_eq_u32_e32 vcc, 0, v0
	s_mov_b32 s0, 0x1000504
	s_mov_b32 s1, 0x3020706
	v_cndmask_b32_e32 v0, v38, v35, vcc
	v_lshl_or_b32 v0, v36, 10, v0
	s_waitcnt vmcnt(0)
	v_perm_b32 v35, v2, v6, s0
	v_perm_b32 v36, v10, v14, s0
	ds_write2st64_b32 v0, v35, v36 offset1:32
	v_xor_b32_e32 v35, 8, v0
	v_perm_b32 v2, v2, v6, s1
	v_perm_b32 v6, v10, v14, s1
	v_add_u32_e32 v10, 0x80, v35
	ds_write2st64_b32 v10, v2, v6 offset1:32
	v_xor_b32_e32 v2, 16, v0
	v_perm_b32 v6, v3, v7, s0
	v_perm_b32 v10, v11, v15, s0
	ds_write2st64_b32 v2, v6, v10 offset0:1 offset1:33
	v_xor_b32_e32 v2, 24, v0
	v_perm_b32 v3, v3, v7, s1
	v_perm_b32 v6, v11, v15, s1
	v_add_u32_e32 v2, 0x80, v2
	ds_write2st64_b32 v2, v3, v6 offset0:1 offset1:33
	v_xor_b32_e32 v2, 32, v0
	v_perm_b32 v3, v4, v8, s0
	v_perm_b32 v6, v12, v16, s0
	ds_write2st64_b32 v2, v3, v6 offset0:2 offset1:34
	v_xor_b32_e32 v2, 40, v0
	v_perm_b32 v3, v4, v8, s1
	v_perm_b32 v4, v12, v16, s1
	v_add_u32_e32 v2, 0x80, v2
	ds_write2st64_b32 v2, v3, v4 offset0:2 offset1:34
	v_xor_b32_e32 v2, 48, v0
	v_perm_b32 v3, v5, v9, s0
	v_perm_b32 v4, v13, v17, s0
	v_xor_b32_e32 v0, 56, v0
	v_and_or_b32 v6, v37, 12, v1
	ds_write2st64_b32 v2, v3, v4 offset0:3 offset1:35
	v_perm_b32 v2, v5, v9, s1
	v_perm_b32 v3, v13, v17, s1
	v_add_u32_e32 v0, 0x80, v0
	v_cmp_gt_i32_e32 vcc, s27, v6
	v_mov_b32_e32 v7, 0
	v_mov_b32_e32 v11, 0
	ds_write2st64_b32 v0, v2, v3 offset0:3 offset1:35
	s_and_saveexec_b64 s[0:1], vcc
	s_cbranch_execz .LBB660_60
; %bb.59:
	v_add_u32_e32 v0, s26, v6
	v_ashrrev_i32_e32 v1, 31, v0
	v_mul_lo_u32 v2, v1, s28
	v_mul_lo_u32 v3, v0, s29
	v_mad_u64_u32 v[0:1], s[2:3], v0, s28, 0
	v_add3_u32 v1, v1, v3, v2
	v_lshl_add_u64 v[0:1], v[0:1], 2, s[10:11]
	global_load_dword v0, v[0:1], off
	s_waitcnt vmcnt(0)
	v_sub_f32_e32 v0, s12, v0
	v_exp_f32_e32 v11, v0
.LBB660_60:
	s_or_b64 exec, exec, s[0:1]
	v_or_b32_e32 v9, 1, v6
	v_cmp_gt_i32_e64 s[0:1], s27, v9
	s_and_saveexec_b64 s[2:3], s[0:1]
	s_cbranch_execz .LBB660_62
; %bb.61:
	v_add_u32_e32 v0, s26, v9
	v_ashrrev_i32_e32 v1, 31, v0
	v_mul_lo_u32 v2, v1, s28
	v_mul_lo_u32 v3, v0, s29
	v_mad_u64_u32 v[0:1], s[4:5], v0, s28, 0
	v_add3_u32 v1, v1, v3, v2
	v_lshl_add_u64 v[0:1], v[0:1], 2, s[10:11]
	global_load_dword v0, v[0:1], off
	s_waitcnt vmcnt(0)
	v_sub_f32_e32 v0, s12, v0
	v_exp_f32_e32 v7, v0
.LBB660_62:
	s_or_b64 exec, exec, s[2:3]
	v_or_b32_e32 v10, 2, v6
	v_cmp_gt_i32_e64 s[2:3], s27, v10
	v_mov_b32_e32 v8, 0
	v_mov_b32_e32 v13, 0
	s_and_saveexec_b64 s[4:5], s[2:3]
	s_cbranch_execz .LBB660_64
; %bb.63:
	v_add_u32_e32 v0, s26, v10
	v_ashrrev_i32_e32 v1, 31, v0
	v_mul_lo_u32 v2, v1, s28
	v_mul_lo_u32 v3, v0, s29
	v_mad_u64_u32 v[0:1], s[6:7], v0, s28, 0
	v_add3_u32 v1, v1, v3, v2
	v_lshl_add_u64 v[0:1], v[0:1], 2, s[10:11]
	global_load_dword v0, v[0:1], off
	s_waitcnt vmcnt(0)
	v_sub_f32_e32 v0, s12, v0
	v_exp_f32_e32 v13, v0
.LBB660_64:
	s_or_b64 exec, exec, s[4:5]
	v_or_b32_e32 v12, 3, v6
	v_cmp_gt_i32_e64 s[4:5], s27, v12
	s_and_saveexec_b64 s[6:7], s[4:5]
	s_cbranch_execz .LBB660_66
; %bb.65:
	v_add_u32_e32 v0, s26, v12
	v_ashrrev_i32_e32 v1, 31, v0
	v_mul_lo_u32 v2, v1, s28
	v_mul_lo_u32 v3, v0, s29
	v_mad_u64_u32 v[0:1], s[14:15], v0, s28, 0
	v_add3_u32 v1, v1, v3, v2
	v_lshl_add_u64 v[0:1], v[0:1], 2, s[10:11]
	global_load_dword v0, v[0:1], off
	s_waitcnt vmcnt(0)
	v_sub_f32_e32 v0, s12, v0
	v_exp_f32_e32 v8, v0
.LBB660_66:
	s_or_b64 exec, exec, s[6:7]
	s_waitcnt lgkmcnt(11)
	v_mfma_f32_16x16x16_bf16 a[0:3], v[30:31], v[22:23], a[0:3]
	s_add_u32 s6, s8, s20
	v_ashrrev_i32_e32 v55, 31, v54
	s_addc_u32 s7, s9, s21
	s_waitcnt lgkmcnt(10)
	v_mfma_f32_16x16x16_bf16 a[0:3], v[32:33], v[24:25], a[0:3]
	v_mov_b32_e32 v14, 0
	v_lshl_add_u64 v[4:5], v[54:55], 1, s[6:7]
	v_mov_b32_e32 v15, 0
	s_waitcnt lgkmcnt(9)
	v_mfma_f32_16x16x16_bf16 a[0:3], v[28:29], v[18:19], a[0:3]
	s_waitcnt lgkmcnt(8)
	v_mfma_f32_16x16x16_bf16 a[0:3], v[26:27], v[20:21], a[0:3]
	s_nop 6
	v_accvgpr_read_b32 v0, a0
	v_accvgpr_read_b32 v1, a1
	;; [unrolled: 1-line block ×4, first 2 shown]
	s_and_saveexec_b64 s[6:7], vcc
	s_cbranch_execz .LBB660_68
; %bb.67:
	v_lshlrev_b32_e32 v16, 8, v6
	v_mov_b32_e32 v17, 0
	v_lshl_add_u64 v[16:17], v[4:5], 0, v[16:17]
	global_load_ushort v15, v[16:17], off
	s_waitcnt vmcnt(0)
	v_lshlrev_b32_e32 v15, 16, v15
	v_sub_f32_e32 v0, v15, v0
	v_mul_f32_e32 v0, v11, v0
	v_lshrrev_b32_e32 v15, 16, v0
.LBB660_68:
	s_or_b64 exec, exec, s[6:7]
	s_and_saveexec_b64 s[6:7], s[0:1]
	s_cbranch_execz .LBB660_70
; %bb.69:
	v_lshlrev_b32_e32 v16, 8, v9
	v_mov_b32_e32 v17, 0
	v_lshl_add_u64 v[16:17], v[4:5], 0, v[16:17]
	global_load_ushort v0, v[16:17], off
	s_waitcnt vmcnt(0)
	v_lshlrev_b32_e32 v0, 16, v0
	v_sub_f32_e32 v0, v0, v1
	v_mul_f32_e32 v0, v7, v0
	v_lshrrev_b32_e32 v14, 16, v0
.LBB660_70:
	s_or_b64 exec, exec, s[6:7]
	v_mov_b32_e32 v0, 0
	v_mov_b32_e32 v1, 0
	s_and_saveexec_b64 s[0:1], s[2:3]
	s_cbranch_execz .LBB660_72
; %bb.71:
	v_lshlrev_b32_e32 v10, 8, v10
	v_mov_b32_e32 v11, 0
	v_lshl_add_u64 v[10:11], v[4:5], 0, v[10:11]
	global_load_ushort v1, v[10:11], off
	s_waitcnt vmcnt(0)
	v_lshlrev_b32_e32 v1, 16, v1
	v_sub_f32_e32 v1, v1, v2
	v_mul_f32_e32 v1, v13, v1
	v_lshrrev_b32_e32 v1, 16, v1
.LBB660_72:
	s_or_b64 exec, exec, s[0:1]
	s_and_saveexec_b64 s[0:1], s[4:5]
	s_cbranch_execz .LBB660_74
; %bb.73:
	v_lshlrev_b32_e32 v10, 8, v12
	v_mov_b32_e32 v11, 0
	v_lshl_add_u64 v[4:5], v[4:5], 0, v[10:11]
	global_load_ushort v0, v[4:5], off
	s_waitcnt vmcnt(0)
	v_lshlrev_b32_e32 v0, 16, v0
	v_sub_f32_e32 v0, v0, v3
	v_mul_f32_e32 v0, v8, v0
	v_lshrrev_b32_e32 v0, 16, v0
.LBB660_74:
	s_or_b64 exec, exec, s[0:1]
	s_mov_b32 s0, 0x5040100
	v_lshlrev_b32_e32 v2, 1, v34
	v_perm_b32 v1, v0, v1, s0
	v_perm_b32 v0, v14, v15, s0
	v_lshl_or_b32 v2, v6, 5, v2
	ds_write_b64 v2, v[0:1] offset:38912
	s_waitcnt lgkmcnt(0)
	s_barrier
.LBB660_75:
	s_endpgm
	.section	.rodata,"a",@progbits
	.p2align	6, 0x0
	.amdhsa_kernel _ZN12_GLOBAL__N_139chunk_gated_delta_rule_fwd_h_hip_kernelILi16ELb1ELb0ELb0ELb1ELb1ELb1ELb0ELb0EEEvPK12hip_bfloat16S3_S3_PKfS5_PKvPS1_S8_PvPKiSB_iiiiilll
		.amdhsa_group_segment_fixed_size 40960
		.amdhsa_private_segment_fixed_size 0
		.amdhsa_kernarg_size 136
		.amdhsa_user_sgpr_count 2
		.amdhsa_user_sgpr_dispatch_ptr 0
		.amdhsa_user_sgpr_queue_ptr 0
		.amdhsa_user_sgpr_kernarg_segment_ptr 1
		.amdhsa_user_sgpr_dispatch_id 0
		.amdhsa_user_sgpr_kernarg_preload_length 0
		.amdhsa_user_sgpr_kernarg_preload_offset 0
		.amdhsa_user_sgpr_private_segment_size 0
		.amdhsa_uses_dynamic_stack 0
		.amdhsa_enable_private_segment 0
		.amdhsa_system_sgpr_workgroup_id_x 1
		.amdhsa_system_sgpr_workgroup_id_y 1
		.amdhsa_system_sgpr_workgroup_id_z 0
		.amdhsa_system_sgpr_workgroup_info 0
		.amdhsa_system_vgpr_workitem_id 0
		.amdhsa_next_free_vgpr 124
		.amdhsa_next_free_sgpr 61
		.amdhsa_accum_offset 112
		.amdhsa_reserve_vcc 1
		.amdhsa_float_round_mode_32 0
		.amdhsa_float_round_mode_16_64 0
		.amdhsa_float_denorm_mode_32 3
		.amdhsa_float_denorm_mode_16_64 3
		.amdhsa_dx10_clamp 1
		.amdhsa_ieee_mode 1
		.amdhsa_fp16_overflow 0
		.amdhsa_tg_split 0
		.amdhsa_exception_fp_ieee_invalid_op 0
		.amdhsa_exception_fp_denorm_src 0
		.amdhsa_exception_fp_ieee_div_zero 0
		.amdhsa_exception_fp_ieee_overflow 0
		.amdhsa_exception_fp_ieee_underflow 0
		.amdhsa_exception_fp_ieee_inexact 0
		.amdhsa_exception_int_div_zero 0
	.end_amdhsa_kernel
	.section	.text._ZN12_GLOBAL__N_139chunk_gated_delta_rule_fwd_h_hip_kernelILi16ELb1ELb0ELb0ELb1ELb1ELb1ELb0ELb0EEEvPK12hip_bfloat16S3_S3_PKfS5_PKvPS1_S8_PvPKiSB_iiiiilll,"axG",@progbits,_ZN12_GLOBAL__N_139chunk_gated_delta_rule_fwd_h_hip_kernelILi16ELb1ELb0ELb0ELb1ELb1ELb1ELb0ELb0EEEvPK12hip_bfloat16S3_S3_PKfS5_PKvPS1_S8_PvPKiSB_iiiiilll,comdat
.Lfunc_end660:
	.size	_ZN12_GLOBAL__N_139chunk_gated_delta_rule_fwd_h_hip_kernelILi16ELb1ELb0ELb0ELb1ELb1ELb1ELb0ELb0EEEvPK12hip_bfloat16S3_S3_PKfS5_PKvPS1_S8_PvPKiSB_iiiiilll, .Lfunc_end660-_ZN12_GLOBAL__N_139chunk_gated_delta_rule_fwd_h_hip_kernelILi16ELb1ELb0ELb0ELb1ELb1ELb1ELb0ELb0EEEvPK12hip_bfloat16S3_S3_PKfS5_PKvPS1_S8_PvPKiSB_iiiiilll
                                        ; -- End function
	.section	.AMDGPU.csdata,"",@progbits
; Kernel info:
; codeLenInByte = 7160
; NumSgprs: 67
; NumVgprs: 112
; NumAgprs: 12
; TotalNumVgprs: 124
; ScratchSize: 0
; MemoryBound: 0
; FloatMode: 240
; IeeeMode: 1
; LDSByteSize: 40960 bytes/workgroup (compile time only)
; SGPRBlocks: 8
; VGPRBlocks: 15
; NumSGPRsForWavesPerEU: 67
; NumVGPRsForWavesPerEU: 124
; AccumOffset: 112
; Occupancy: 1
; WaveLimiterHint : 1
; COMPUTE_PGM_RSRC2:SCRATCH_EN: 0
; COMPUTE_PGM_RSRC2:USER_SGPR: 2
; COMPUTE_PGM_RSRC2:TRAP_HANDLER: 0
; COMPUTE_PGM_RSRC2:TGID_X_EN: 1
; COMPUTE_PGM_RSRC2:TGID_Y_EN: 1
; COMPUTE_PGM_RSRC2:TGID_Z_EN: 0
; COMPUTE_PGM_RSRC2:TIDIG_COMP_CNT: 0
; COMPUTE_PGM_RSRC3_GFX90A:ACCUM_OFFSET: 27
; COMPUTE_PGM_RSRC3_GFX90A:TG_SPLIT: 0
	.section	.text._ZN12_GLOBAL__N_139chunk_gated_delta_rule_fwd_h_hip_kernelILi16ELb0ELb1ELb1ELb1ELb1ELb1ELb0ELb0EEEvPK12hip_bfloat16S3_S3_PKfS5_PKvPS1_S8_PvPKiSB_iiiiilll,"axG",@progbits,_ZN12_GLOBAL__N_139chunk_gated_delta_rule_fwd_h_hip_kernelILi16ELb0ELb1ELb1ELb1ELb1ELb1ELb0ELb0EEEvPK12hip_bfloat16S3_S3_PKfS5_PKvPS1_S8_PvPKiSB_iiiiilll,comdat
	.globl	_ZN12_GLOBAL__N_139chunk_gated_delta_rule_fwd_h_hip_kernelILi16ELb0ELb1ELb1ELb1ELb1ELb1ELb0ELb0EEEvPK12hip_bfloat16S3_S3_PKfS5_PKvPS1_S8_PvPKiSB_iiiiilll ; -- Begin function _ZN12_GLOBAL__N_139chunk_gated_delta_rule_fwd_h_hip_kernelILi16ELb0ELb1ELb1ELb1ELb1ELb1ELb0ELb0EEEvPK12hip_bfloat16S3_S3_PKfS5_PKvPS1_S8_PvPKiSB_iiiiilll
	.p2align	8
	.type	_ZN12_GLOBAL__N_139chunk_gated_delta_rule_fwd_h_hip_kernelILi16ELb0ELb1ELb1ELb1ELb1ELb1ELb0ELb0EEEvPK12hip_bfloat16S3_S3_PKfS5_PKvPS1_S8_PvPKiSB_iiiiilll,@function
_ZN12_GLOBAL__N_139chunk_gated_delta_rule_fwd_h_hip_kernelILi16ELb0ELb1ELb1ELb1ELb1ELb1ELb0ELb0EEEvPK12hip_bfloat16S3_S3_PKfS5_PKvPS1_S8_PvPKiSB_iiiiilll: ; @_ZN12_GLOBAL__N_139chunk_gated_delta_rule_fwd_h_hip_kernelILi16ELb0ELb1ELb1ELb1ELb1ELb1ELb0ELb0EEEvPK12hip_bfloat16S3_S3_PKfS5_PKvPS1_S8_PvPKiSB_iiiiilll
; %bb.0:
	s_load_dwordx4 s[20:23], s[0:1], 0x5c
	s_load_dwordx2 s[40:41], s[0:1], 0x20
	s_abs_i32 s27, s3
	s_ashr_i32 s26, s3, 31
	s_load_dwordx2 s[24:25], s[0:1], 0x50
	s_load_dwordx8 s[4:11], s[0:1], 0x30
	s_load_dwordx8 s[12:19], s[0:1], 0x0
	s_waitcnt lgkmcnt(0)
	s_abs_i32 s30, s21
	v_cvt_f32_u32_e32 v1, s30
	s_sub_i32 s28, 0, s30
	s_ashr_i32 s33, s21, 31
	s_xor_b32 s26, s26, s33
	v_rcp_iflag_f32_e32 v1, v1
	v_lshrrev_b32_e32 v53, 6, v0
	v_bfe_u32 v62, v0, 4, 2
	v_lshlrev_b32_e32 v60, 4, v53
	v_mul_f32_e32 v1, 0x4f7ffffe, v1
	v_cvt_u32_f32_e32 v1, v1
	v_lshlrev_b32_e32 v10, 2, v62
	v_and_b32_e32 v61, 63, v0
	v_mov_b32_e32 v9, 0
	v_readfirstlane_b32 s29, v1
	s_mul_i32 s28, s28, s29
	s_mul_hi_u32 s28, s29, s28
	s_add_i32 s29, s29, s28
	s_mul_hi_u32 s28, s27, s29
	s_mul_i32 s29, s28, s30
	s_sub_i32 s27, s27, s29
	s_add_i32 s31, s28, 1
	s_sub_i32 s29, s27, s30
	s_cmp_ge_u32 s27, s30
	s_cselect_b32 s28, s31, s28
	s_cselect_b32 s27, s29, s27
	s_add_i32 s29, s28, 1
	s_cmp_ge_u32 s27, s30
	s_cselect_b32 s27, s29, s28
	s_xor_b32 s27, s27, s26
	s_sub_i32 s34, s27, s26
	s_mul_i32 s26, s34, s21
	s_ashr_i32 s35, s34, 31
	s_sub_i32 s48, s3, s26
	s_lshl_b64 s[26:27], s[34:35], 2
	s_add_u32 s10, s10, s26
	s_addc_u32 s11, s11, s27
	s_add_u32 s28, s24, s26
	s_addc_u32 s29, s25, s27
	s_abs_i32 s3, s22
	v_cvt_f32_u32_e32 v1, s3
	s_load_dwordx2 s[42:43], s[10:11], 0x0
	s_sub_i32 s11, 0, s3
	s_mov_b32 s49, s21
	v_rcp_iflag_f32_e32 v1, v1
	v_and_b32_e32 v63, 15, v0
	s_waitcnt lgkmcnt(0)
	s_sub_i32 s53, s43, s42
	s_ashr_i32 s10, s53, 31
	v_mul_f32_e32 v1, 0x4f7ffffe, v1
	v_cvt_u32_f32_e32 v1, v1
	s_lshr_b32 s10, s10, 26
	s_add_i32 s10, s53, s10
	s_ashr_i32 s54, s10, 6
	v_readfirstlane_b32 s24, v1
	s_mul_i32 s11, s11, s24
	s_mul_hi_u32 s11, s24, s11
	s_add_i32 s24, s24, s11
	s_mul_hi_u32 s11, s30, s24
	s_mul_i32 s24, s11, s3
	s_ashr_i32 s10, s22, 31
	s_sub_i32 s24, s30, s24
	s_xor_b32 s10, s33, s10
	s_add_i32 s25, s11, 1
	s_sub_i32 s26, s24, s3
	s_cmp_ge_u32 s24, s3
	s_cselect_b32 s11, s25, s11
	s_cselect_b32 s24, s26, s24
	s_add_i32 s25, s11, 1
	s_cmp_ge_u32 s24, s3
	s_cselect_b32 s3, s25, s11
	s_xor_b32 s3, s3, s10
	s_sub_i32 s3, s3, s10
	s_abs_i32 s30, s3
	v_cvt_f32_u32_e32 v1, s30
	s_load_dwordx2 s[10:11], s[0:1], 0x80
	s_load_dwordx4 s[24:27], s[0:1], 0x70
	s_load_dword s55, s[28:29], 0x0
	s_xor_b32 s0, s48, s3
	v_rcp_iflag_f32_e32 v1, v1
	s_sub_i32 s3, 0, s30
	s_abs_i32 s1, s48
	s_ashr_i32 s0, s0, 31
	v_mul_f32_e32 v1, 0x4f7ffffe, v1
	v_cvt_u32_f32_e32 v1, v1
	s_mul_hi_i32 s56, s48, s20
	s_mul_i32 s57, s48, s20
	v_lshrrev_b32_e32 v65, 3, v61
	v_readfirstlane_b32 s28, v1
	s_mul_i32 s3, s3, s28
	s_mul_hi_u32 s3, s28, s3
	s_add_i32 s28, s28, s3
	s_mul_hi_u32 s3, s1, s28
	s_mul_i32 s28, s3, s30
	s_sub_i32 s1, s1, s28
	s_add_i32 s28, s3, 1
	s_sub_i32 s29, s1, s30
	s_cmp_ge_u32 s1, s30
	s_cselect_b32 s3, s28, s3
	s_cselect_b32 s1, s29, s1
	s_add_i32 s28, s3, 1
	s_cmp_ge_u32 s1, s30
	s_cselect_b32 s1, s28, s3
	s_xor_b32 s1, s1, s0
	s_sub_i32 s58, s1, s0
	v_or_b32_e32 v1, v10, v60
	s_lshl_b32 s2, s2, 4
	v_or_b32_e32 v66, 64, v1
	s_cmp_lt_i32 s53, 64
	v_lshlrev_b32_e32 v64, 3, v0
	s_waitcnt lgkmcnt(0)
	s_mul_i32 s50, s34, s25
	s_mul_hi_u32 s51, s34, s24
	s_mul_i32 s52, s35, s24
	s_mul_i32 s44, s34, s24
	v_mov_b32_e32 v8, v9
	v_mov_b32_e32 v7, v9
	;; [unrolled: 1-line block ×7, first 2 shown]
	s_cbranch_scc1 .LBB661_18
; %bb.1:
	s_ashr_i32 s60, s48, 31
	s_ashr_i32 s1, s42, 31
	s_add_u32 s0, s57, s42
	s_addc_u32 s1, s56, s1
	s_lshl_b64 s[0:1], s[0:1], 8
	v_and_b32_e32 v68, 56, v64
	s_add_u32 s28, s14, s0
	v_lshl_or_b32 v67, v53, 3, v65
	v_lshlrev_b32_e32 v3, 1, v68
	s_addc_u32 s0, s15, s1
	v_lshl_or_b32 v69, v67, 8, v3
	s_and_b32 s29, s0, 0xffff
	s_mov_b32 s31, 0x20000
	s_movk_i32 s30, 0x4000
	s_movk_i32 s0, 0x80
	v_or_b32_e32 v70, 0x2000, v69
	buffer_load_dwordx4 v[4:7], v69, s[28:31], 0 offen
	buffer_load_dwordx4 v[12:15], v69, s[28:31], s0 offen
	buffer_load_dwordx4 v[16:19], v70, s[28:31], 0 offen
	buffer_load_dwordx4 v[20:23], v70, s[28:31], s0 offen
	v_lshlrev_b32_e32 v2, 3, v67
	v_and_or_b32 v9, v0, 7, v2
	v_and_b32_e32 v2, 0x78, v2
	v_lshlrev_b32_e32 v9, 4, v9
	v_xor_b32_e32 v71, v9, v2
	v_mul_lo_u32 v8, v67, s23
	v_or_b32_e32 v72, 0x1000, v71
	v_xor_b32_e32 v2, 8, v71
	s_cmpk_eq_i32 s23, 0x80
	s_mov_b32 s59, s42
	v_xor_b32_e32 v9, 8, v72
	s_cselect_b64 s[0:1], -1, 0
	s_cmpk_lg_i32 s23, 0x80
	s_waitcnt vmcnt(3)
	ds_write_b64 v71, v[4:5] offset:16384
	ds_write_b64 v2, v[6:7] offset:16384
	s_waitcnt vmcnt(2)
	ds_write_b64 v71, v[12:13] offset:24576
	ds_write_b64 v2, v[14:15] offset:24576
	;; [unrolled: 3-line block ×4, first 2 shown]
	v_lshl_add_u32 v2, v8, 1, v68
	s_cbranch_scc0 .LBB661_3
; %bb.2:
	v_lshlrev_b32_e32 v6, 1, v2
	v_add_lshl_u32 v5, v2, s23, 1
	s_lshl_b32 s30, s23, 7
	v_lshl_or_b32 v4, v67, 9, v3
	s_cbranch_execz .LBB661_4
	s_branch .LBB661_5
.LBB661_3:
                                        ; implicit-def: $vgpr5
                                        ; implicit-def: $vgpr6
                                        ; implicit-def: $sgpr30
	v_lshl_or_b32 v4, v67, 9, v3
.LBB661_4:
	v_or_b32_e32 v5, 0x100, v4
	s_movk_i32 s30, 0x4000
	v_mov_b32_e32 v6, v4
.LBB661_5:
	s_mul_i32 s24, s42, s22
	s_ashr_i32 s61, s58, 31
	s_mul_hi_i32 s3, s42, s22
	s_add_u32 s24, s24, s58
	s_addc_u32 s25, s3, s61
	s_lshl_b64 s[24:25], s[24:25], 8
	s_add_u32 s28, s12, s24
	s_addc_u32 s3, s13, s25
	s_and_b32 s29, s3, 0xffff
	s_movk_i32 s62, 0x80
	buffer_load_dwordx4 v[12:15], v6, s[28:31], 0 offen
	s_nop 0
	buffer_load_dwordx4 v[6:9], v6, s[28:31], s62 offen
	s_nop 0
	buffer_load_dwordx4 v[16:19], v5, s[28:31], 0 offen
	buffer_load_dwordx4 v[20:23], v5, s[28:31], s62 offen
	v_and_b32_e32 v3, 6, v0
	v_lshlrev_b32_e32 v11, 2, v63
	v_lshlrev_b32_e32 v24, 3, v63
	v_xor_b32_e32 v26, v67, v3
	v_and_b32_e32 v5, 1, v0
	v_lshl_or_b32 v24, v1, 5, v24
	v_xor_b32_e32 v27, v1, v11
	v_lshlrev_b32_e32 v26, 2, v26
	s_mul_i32 s3, s48, s27
	s_mul_hi_u32 s25, s48, s26
	v_or_b32_e32 v73, 0x9000, v24
	v_or_b32_e32 v74, 0x9800, v24
	v_lshlrev_b32_e32 v24, 1, v27
	v_xor_b32_e32 v27, 0x440, v26
	v_cmp_eq_u32_e32 vcc, 0, v5
	s_add_i32 s29, s51, s50
	s_mul_i32 s28, s60, s26
	v_cndmask_b32_e32 v5, v27, v26, vcc
	s_add_i32 s3, s25, s3
	s_add_i32 s45, s29, s52
	s_mov_b32 s63, 0x1000504
	v_lshlrev_b32_e32 v25, 8, v63
	s_mov_b32 s30, 0x8000
	v_xor_b32_e32 v11, v66, v11
	v_lshl_or_b32 v3, v3, 10, v5
	s_add_i32 s25, s3, s28
	s_lshl_b64 s[28:29], s[44:45], 2
	s_mov_b32 s64, 0x3020706
	s_mul_i32 s24, s48, s26
	v_lshlrev_b32_e32 v11, 1, v11
	v_or3_b32 v75, v24, v25, s30
	v_xor_b32_e32 v5, 8, v3
	v_xor_b32_e32 v24, 24, v3
	;; [unrolled: 1-line block ×4, first 2 shown]
	s_add_u32 s3, s18, s28
	v_or3_b32 v76, v11, v25, s30
	v_xor_b32_e32 v11, 16, v3
	v_xor_b32_e32 v25, 32, v3
	;; [unrolled: 1-line block ×3, first 2 shown]
	v_add_u32_e32 v5, 0x80, v5
	v_add_u32_e32 v24, 0x80, v24
	;; [unrolled: 1-line block ×4, first 2 shown]
	s_addc_u32 s28, s19, s29
	s_lshl_b64 s[24:25], s[24:25], 2
	s_add_u32 s24, s3, s24
	s_movk_i32 s3, 0xf8
	s_addc_u32 s25, s28, s25
	s_lshl_b32 s38, s23, 7
	s_mov_b32 s65, 0
	v_add_u32_e32 v87, v60, v10
	s_waitcnt vmcnt(1)
	v_perm_b32 v29, v12, v16, s63
	s_waitcnt vmcnt(0)
	v_perm_b32 v30, v6, v20, s63
	v_perm_b32 v12, v12, v16, s64
	;; [unrolled: 1-line block ×15, first 2 shown]
	ds_write2st64_b32 v3, v29, v30 offset1:32
	ds_write2st64_b32 v5, v12, v6 offset1:32
	ds_write2st64_b32 v11, v16, v20 offset0:1 offset1:33
	ds_write2st64_b32 v24, v13, v7 offset0:1 offset1:33
	;; [unrolled: 1-line block ×6, first 2 shown]
	v_or_b32_e32 v3, v60, v63
	v_lshlrev_b32_e32 v3, 3, v3
	v_lshrrev_b32_e32 v7, 5, v61
	v_and_or_b32 v7, v3, s3, v7
	v_lshlrev_b32_e32 v7, 4, v7
	v_lshlrev_b32_e32 v11, 11, v53
	v_and_b32_e32 v3, 0x78, v3
	v_or_b32_e32 v12, 32, v7
	v_and_b32_e32 v6, 0x1000, v11
	v_lshrrev_b32_e32 v9, 1, v61
	v_xor_b32_e32 v12, v12, v3
	v_and_b32_e32 v9, 8, v9
	v_or_b32_e32 v12, v12, v6
	v_xor_b32_e32 v8, v7, v3
	v_xor_b32_e32 v79, v12, v9
	v_or_b32_e32 v12, 64, v7
	v_or_b32_e32 v7, 0x60, v7
	v_xor_b32_e32 v12, v12, v3
	v_xor_b32_e32 v3, v7, v3
	v_or_b32_e32 v3, v3, v6
	v_or_b32_e32 v12, v12, v6
	v_xor_b32_e32 v81, v3, v9
	v_lshlrev_b32_e32 v15, 1, v2
	v_add_lshl_u32 v16, v2, s23, 1
	v_lshrrev_b32_e32 v2, 4, v0
	v_lshlrev_b32_e32 v3, 1, v63
	v_xor_b32_e32 v80, v12, v9
	s_ashr_i32 s3, s2, 31
	v_or_b32_e32 v12, 1, v3
	v_xor_b32_e32 v3, v2, v3
	s_lshl_b64 s[28:29], s[2:3], 8
	v_xor_b32_e32 v12, v12, v2
	v_lshlrev_b32_e32 v3, 3, v3
	v_lshlrev_b32_e32 v2, 8, v2
	s_add_u32 s28, s4, s28
	v_or3_b32 v83, v3, v2, s30
	v_lshlrev_b32_e32 v3, 3, v12
	s_addc_u32 s29, s5, s29
	v_or3_b32 v84, v3, v2, s30
	v_mov_b32_e32 v3, 0
	v_lshrrev_b32_e32 v20, 1, v0
	v_lshl_add_u64 v[12:13], s[28:29], 0, v[2:3]
	v_lshlrev_b32_e32 v2, 4, v63
	s_movk_i32 s3, 0xff
	v_lshlrev_b32_e32 v19, 3, v53
	v_and_b32_e32 v20, 24, v20
	v_lshl_add_u64 v[54:55], v[12:13], 0, v[2:3]
	v_and_b32_e32 v2, 7, v0
	v_and_b32_e32 v13, 8, v0
	v_cmp_lt_u32_e32 vcc, s3, v0
	v_xor_b32_e32 v21, v19, v20
	v_lshlrev_b32_e32 v14, 3, v2
	v_lshlrev_b32_e32 v18, 7, v2
	v_cndmask_b32_e64 v2, 0, 1, vcc
	v_or_b32_e32 v22, 0x440, v21
	v_cmp_eq_u32_e32 vcc, 0, v13
	v_or_b32_e32 v24, 64, v20
	v_xor_b32_e32 v24, v19, v24
	v_cndmask_b32_e32 v13, v22, v21, vcc
	v_or_b32_e32 v22, 32, v20
	v_or_b32_e32 v20, 0x60, v20
	v_xor_b32_e32 v22, v19, v22
	v_xor_b32_e32 v19, v19, v20
	v_or_b32_e32 v23, 0x440, v22
	v_xor_b32_e32 v25, 0x440, v24
	v_xor_b32_e32 v20, 0x440, v19
	v_or_b32_e32 v8, v8, v6
	v_or_b32_e32 v6, s2, v63
	v_cndmask_b32_e32 v22, v23, v22, vcc
	v_cndmask_b32_e32 v24, v25, v24, vcc
	;; [unrolled: 1-line block ×3, first 2 shown]
	v_lshrrev_b32_e32 v5, 2, v61
	v_xor_b32_e32 v77, v8, v9
	v_and_b32_e32 v8, 0x78, v64
	v_ashrrev_i32_e32 v7, 31, v6
	v_or_b32_e32 v13, v13, v11
	v_or_b32_e32 v22, v22, v11
	;; [unrolled: 1-line block ×4, first 2 shown]
	v_and_b32_e32 v5, 12, v5
	v_lshl_or_b32 v8, v62, 7, v8
	v_lshlrev_b64 v[6:7], 1, v[6:7]
	v_lshlrev_b32_e32 v2, 13, v2
	v_xor_b32_e32 v13, v13, v14
	v_xor_b32_e32 v22, v22, v14
	;; [unrolled: 1-line block ×4, first 2 shown]
	v_or_b32_e32 v78, 0x9000, v8
	v_or_b32_e32 v82, 0x9800, v8
	v_lshl_add_u64 v[8:9], s[16:17], 0, v[6:7]
	v_lshl_add_u64 v[6:7], s[6:7], 0, v[6:7]
	v_or_b32_e32 v17, 0x100, v4
	v_or_b32_e32 v12, v5, v60
	v_add_u32_e32 v21, v2, v13
	v_add_u32_e32 v23, v2, v22
	;; [unrolled: 1-line block ×4, first 2 shown]
	v_or3_b32 v14, v60, v5, 64
	v_add_u32_e32 v5, 0x2000, v13
	v_add_u32_e32 v13, 0x2000, v22
	;; [unrolled: 1-line block ×4, first 2 shown]
	v_lshlrev_b32_e32 v2, 8, v1
	v_cndmask_b32_e64 v85, v15, v4, s[0:1]
	v_cndmask_b32_e64 v86, v16, v17, s[0:1]
	v_lshl_add_u64 v[56:57], v[8:9], 0, v[2:3]
	v_lshl_add_u64 v[58:59], v[6:7], 0, v[2:3]
	s_mov_b32 s3, 0x7060302
	s_movk_i32 s30, 0x4000
	v_lshlrev_b32_e32 v88, 2, v12
	v_add_u32_e32 v89, v21, v18
	v_add_u32_e32 v90, v23, v18
	;; [unrolled: 1-line block ×4, first 2 shown]
	v_lshlrev_b32_e32 v93, 2, v14
	v_add_u32_e32 v94, v5, v18
	v_add_u32_e32 v95, v13, v18
	;; [unrolled: 1-line block ×4, first 2 shown]
	v_mov_b32_e32 v2, v3
	v_mov_b32_e32 v4, v3
	;; [unrolled: 1-line block ×7, first 2 shown]
	s_waitcnt lgkmcnt(0)
	s_barrier
.LBB661_6:                              ; =>This Inner Loop Header: Depth=1
	s_add_i32 s45, s65, 1
	s_cmp_lt_i32 s45, s54
	s_mov_b64 s[36:37], 0
	s_cselect_b64 s[46:47], -1, 0
	s_cmp_ge_i32 s45, s54
	s_mov_b64 s[28:29], 0
	s_cbranch_scc1 .LBB661_8
; %bb.7:                                ;   in Loop: Header=BB661_6 Depth=1
	s_add_i32 s0, s59, 64
	s_ashr_i32 s1, s0, 31
	s_add_u32 s0, s57, s0
	s_addc_u32 s1, s56, s1
	s_lshl_b64 s[0:1], s[0:1], 8
	s_add_u32 s28, s14, s0
	s_addc_u32 s29, s15, s1
.LBB661_8:                              ;   in Loop: Header=BB661_6 Depth=1
	v_cndmask_b32_e64 v10, 0, 1, s[46:47]
	v_cmp_ne_u32_e64 s[0:1], 1, v10
	s_andn2_b64 vcc, exec, s[46:47]
	s_cbranch_vccnz .LBB661_10
; %bb.9:                                ;   in Loop: Header=BB661_6 Depth=1
	s_add_i32 s36, s59, 64
	s_mul_hi_i32 s37, s36, s22
	s_mul_i32 s36, s36, s22
	s_add_u32 s36, s36, s58
	s_addc_u32 s37, s37, s61
	s_lshl_b64 s[36:37], s[36:37], 8
	s_add_u32 s36, s12, s36
	s_addc_u32 s37, s13, s37
.LBB661_10:                             ;   in Loop: Header=BB661_6 Depth=1
	v_perm_b32 v11, v5, v4, s3
	v_perm_b32 v10, v3, v2, s3
	;; [unrolled: 1-line block ×4, first 2 shown]
	ds_write_b64 v73, v[10:11]
	ds_write_b64 v74, v[12:13]
	;; [unrolled: 1-line block ×4, first 2 shown]
	s_waitcnt lgkmcnt(0)
	s_barrier
	ds_read_b64 v[18:19], v77 offset:16384
	ds_read_b64 v[20:21], v79 offset:16384
	ds_read2st64_b64 v[10:13], v78 offset1:1
	s_waitcnt lgkmcnt(0)
	v_mfma_f32_16x16x16_bf16 a[0:3], v[18:19], v[10:11], 0
	ds_read2st64_b64 v[14:17], v78 offset0:2 offset1:3
	ds_read_b64 v[22:23], v80 offset:16384
	ds_read_b64 v[10:11], v81 offset:16384
	s_add_i32 s66, s59, 63
	v_mfma_f32_16x16x16_bf16 a[0:3], v[20:21], v[12:13], a[0:3]
	s_ashr_i32 s39, s66, 31
	s_mul_i32 s46, s66, s11
	s_mul_hi_u32 s47, s66, s10
	s_waitcnt lgkmcnt(1)
	v_mfma_f32_16x16x16_bf16 a[0:3], v[22:23], v[14:15], a[0:3]
	s_add_i32 s46, s47, s46
	s_mul_i32 s39, s39, s10
	s_add_i32 s47, s46, s39
	s_mul_i32 s46, s66, s10
	s_waitcnt lgkmcnt(0)
	v_mfma_f32_16x16x16_bf16 a[0:3], v[10:11], v[16:17], a[0:3]
	s_lshl_b64 s[46:47], s[46:47], 2
	s_add_u32 s46, s24, s46
	s_addc_u32 s47, s25, s47
	s_and_b64 vcc, exec, s[0:1]
	v_mov_b32_e32 v100, 0
	v_mov_b32_e32 v99, 0
	;; [unrolled: 1-line block ×19, first 2 shown]
	s_cbranch_vccnz .LBB661_12
; %bb.11:                               ;   in Loop: Header=BB661_6 Depth=1
	s_and_b32 s29, s29, 0xffff
	buffer_load_dwordx4 v[22:25], v69, s[28:31], 0 offen
	buffer_load_dwordx4 v[18:21], v69, s[28:31], s62 offen
	;; [unrolled: 1-line block ×4, first 2 shown]
	v_mov_b32_e32 v99, v71
	v_mov_b32_e32 v98, v72
.LBB661_12:                             ;   in Loop: Header=BB661_6 Depth=1
	v_add_u32_e32 v30, s59, v87
	v_ashrrev_i32_e32 v26, 31, v30
	v_mul_lo_u32 v28, v26, s10
	v_mul_lo_u32 v29, v30, s11
	v_mad_u64_u32 v[26:27], s[28:29], v30, s10, 0
	v_add3_u32 v27, v27, v29, v28
	v_lshl_add_u64 v[26:27], v[26:27], 2, s[24:25]
	global_load_dword v44, v[26:27], off
	v_add_u32_e32 v26, 1, v30
	v_ashrrev_i32_e32 v27, 31, v26
	v_mul_lo_u32 v28, v27, s10
	v_mul_lo_u32 v29, v26, s11
	v_mad_u64_u32 v[26:27], s[28:29], v26, s10, 0
	v_add3_u32 v27, v27, v29, v28
	v_add_u32_e32 v28, 2, v30
	v_ashrrev_i32_e32 v29, 31, v28
	v_mul_lo_u32 v31, v29, s10
	v_mul_lo_u32 v32, v28, s11
	v_mad_u64_u32 v[28:29], s[28:29], v28, s10, 0
	v_add_u32_e32 v30, 3, v30
	v_add3_u32 v29, v29, v32, v31
	v_ashrrev_i32_e32 v31, 31, v30
	v_mul_lo_u32 v34, v31, s10
	v_mul_lo_u32 v35, v30, s11
	v_mad_u64_u32 v[30:31], s[28:29], v30, s10, 0
	s_ashr_i32 s29, s59, 31
	s_add_u32 s28, s57, s59
	s_addc_u32 s29, s56, s29
	s_lshl_b64 s[68:69], s[28:29], 8
	v_lshl_add_u64 v[26:27], v[26:27], 2, s[24:25]
	v_lshl_add_u64 v[32:33], v[56:57], 0, s[68:69]
	v_add3_u32 v31, v31, v35, v34
	v_lshl_add_u64 v[28:29], v[28:29], 2, s[24:25]
	global_load_ushort v45, v[32:33], off
	global_load_ushort v46, v[32:33], off offset:256
	global_load_ushort v47, v[32:33], off offset:512
	;; [unrolled: 1-line block ×3, first 2 shown]
	v_lshl_add_u64 v[30:31], v[30:31], 2, s[24:25]
	global_load_dword v49, v[26:27], off
	global_load_dword v50, v[28:29], off
	;; [unrolled: 1-line block ×3, first 2 shown]
	s_load_dword s28, s[46:47], 0x0
	ds_read_b64 v[28:29], v77 offset:24576
	ds_read2st64_b64 v[30:33], v82 offset1:1
	ds_read2st64_b64 v[34:37], v82 offset0:2 offset1:3
	ds_read_b64 v[38:39], v79 offset:24576
	ds_read_b64 v[40:41], v80 offset:24576
	;; [unrolled: 1-line block ×3, first 2 shown]
	s_waitcnt lgkmcnt(0)
	v_mfma_f32_16x16x16_bf16 a[0:3], v[28:29], v[30:31], a[0:3]
	v_mov_b32_e32 v101, 0
	v_mov_b32_e32 v26, 0
	;; [unrolled: 1-line block ×3, first 2 shown]
	v_mfma_f32_16x16x16_bf16 a[0:3], v[38:39], v[32:33], a[0:3]
	v_lshl_add_u64 v[38:39], v[58:59], 0, s[68:69]
	v_mov_b32_e32 v28, 0
	v_mov_b32_e32 v29, 0
	v_mfma_f32_16x16x16_bf16 a[0:3], v[40:41], v[34:35], a[0:3]
	v_mov_b32_e32 v30, 0
	v_mov_b32_e32 v31, 0
	;; [unrolled: 1-line block ×3, first 2 shown]
	v_mfma_f32_16x16x16_bf16 a[0:3], v[42:43], v[36:37], a[0:3]
	v_mov_b32_e32 v33, 0
	v_mov_b32_e32 v34, 0
	s_and_b64 vcc, exec, s[0:1]
	s_waitcnt vmcnt(7)
	v_sub_f32_e32 v35, s28, v44
	s_nop 1
	v_accvgpr_read_b32 v41, a1
	v_accvgpr_read_b32 v40, a0
	;; [unrolled: 1-line block ×4, first 2 shown]
	s_waitcnt vmcnt(6)
	v_lshlrev_b32_e32 v42, 16, v45
	s_waitcnt vmcnt(5)
	v_lshlrev_b32_e32 v43, 16, v46
	v_exp_f32_e32 v46, v35
	s_waitcnt vmcnt(3)
	v_lshlrev_b32_e32 v45, 16, v48
	s_waitcnt vmcnt(2)
	v_sub_f32_e32 v35, s28, v49
	s_waitcnt vmcnt(1)
	v_sub_f32_e32 v48, s28, v50
	;; [unrolled: 2-line block ×3, first 2 shown]
	v_lshlrev_b32_e32 v44, 16, v47
	v_pk_add_f32 v[40:41], v[42:43], v[40:41] neg_lo:[0,1] neg_hi:[0,1]
	v_exp_f32_e32 v47, v35
	v_exp_f32_e32 v42, v48
	;; [unrolled: 1-line block ×3, first 2 shown]
	v_pk_add_f32 v[36:37], v[44:45], v[36:37] neg_lo:[0,1] neg_hi:[0,1]
	global_store_short_d16_hi v[38:39], v40, off
	global_store_short_d16_hi v[38:39], v41, off offset:256
	global_store_short_d16_hi v[38:39], v36, off offset:512
	;; [unrolled: 1-line block ×3, first 2 shown]
	v_pk_mul_f32 v[38:39], v[46:47], v[40:41]
	v_pk_mul_f32 v[36:37], v[42:43], v[36:37]
	v_perm_b32 v38, v39, v38, s3
	v_perm_b32 v39, v37, v36, s3
	ds_write_b64 v74, v[38:39]
	v_mov_b32_e32 v35, 0
	v_mov_b32_e32 v36, 0
	;; [unrolled: 1-line block ×7, first 2 shown]
	s_cbranch_vccnz .LBB661_14
; %bb.13:                               ;   in Loop: Header=BB661_6 Depth=1
	s_and_b32 s37, s37, 0xffff
	s_mov_b32 s39, s31
	buffer_load_dwordx4 v[38:41], v85, s[36:39], 0 offen
	buffer_load_dwordx4 v[30:33], v85, s[36:39], s62 offen
	;; [unrolled: 1-line block ×4, first 2 shown]
	v_mov_b32_e32 v100, v68
	v_mov_b32_e32 v101, v67
.LBB661_14:                             ;   in Loop: Header=BB661_6 Depth=1
	s_waitcnt lgkmcnt(0)
	s_barrier
	ds_read_b64 v[42:43], v89
	ds_read_b64 v[48:49], v90
	ds_read2st64_b64 v[44:47], v82 offset1:1
	ds_read2st64_b64 v[102:105], v82 offset0:2 offset1:3
	ds_read_b64 v[50:51], v91
	ds_read_b64 v[110:111], v92
	s_add_i32 s29, s55, s65
	s_mul_hi_i32 s37, s29, s49
	s_mul_i32 s29, s29, s49
	s_waitcnt lgkmcnt(3)
	v_mfma_f32_16x16x16_bf16 a[0:3], v[42:43], v[44:45], 0
	ds_read_b64 v[42:43], v94
	s_add_u32 s36, s29, s48
	s_addc_u32 s37, s37, s60
	v_mfma_f32_16x16x16_bf16 a[0:3], v[48:49], v[46:47], a[0:3]
	ds_read_b64 v[48:49], v95
	s_lshl_b64 s[36:37], s[36:37], 15
	s_mul_i32 s39, s66, s49
	s_mul_hi_i32 s29, s66, s49
	s_add_u32 s46, s39, s48
	s_addc_u32 s47, s29, s60
	s_lshl_b64 s[46:47], s[46:47], 9
	s_add_u32 s46, s40, s46
	s_waitcnt lgkmcnt(1)
	v_mfma_f32_16x16x16_bf16 a[4:7], v[42:43], v[44:45], 0
	s_addc_u32 s47, s41, s47
	s_and_b64 vcc, exec, s[0:1]
	v_mfma_f32_16x16x16_bf16 a[0:3], v[50:51], v[102:103], a[0:3]
	ds_read_b64 v[50:51], v96
	ds_read_b64 v[112:113], v97
	global_load_dwordx4 v[42:45], v93, s[46:47]
	s_waitcnt lgkmcnt(2)
	v_mfma_f32_16x16x16_bf16 a[4:7], v[48:49], v[46:47], a[4:7]
	global_load_dwordx4 v[46:49], v88, s[46:47]
	ds_read_b64 v[106:107], v83
	ds_read_b64 v[108:109], v84
	s_waitcnt lgkmcnt(3)
	v_mfma_f32_16x16x16_bf16 a[8:11], v[50:51], v[102:103], a[4:7]
	v_lshl_add_u64 v[50:51], v[54:55], 0, s[36:37]
	s_waitcnt lgkmcnt(0)
	global_store_dwordx4 v[50:51], v[106:109], off
	v_mfma_f32_16x16x16_bf16 a[4:7], v[110:111], v[104:105], a[0:3]
	s_waitcnt vmcnt(2)
	v_mov_b32_e32 v52, v45
	v_mfma_f32_16x16x16_bf16 a[0:3], v[112:113], v[104:105], a[8:11]
	v_mov_b32_e32 v51, v44
	v_mov_b32_e32 v50, v43
	s_cbranch_vccnz .LBB661_16
; %bb.15:                               ;   in Loop: Header=BB661_6 Depth=1
	v_lshrrev_b32_e32 v43, 3, v100
	v_and_b32_e32 v43, 6, v43
	v_xor_b32_e32 v44, v43, v101
	v_lshlrev_b32_e32 v44, 2, v44
	v_and_b32_e32 v45, 8, v100
	v_xor_b32_e32 v100, 0x440, v44
	v_cmp_eq_u32_e32 vcc, 0, v45
	v_perm_b32 v45, v30, v26, s63
	s_nop 0
	v_cndmask_b32_e32 v44, v100, v44, vcc
	v_lshl_or_b32 v43, v43, 10, v44
	v_perm_b32 v44, v38, v34, s63
	s_barrier
	ds_write2st64_b32 v43, v44, v45 offset1:32
	v_xor_b32_e32 v44, 8, v43
	v_perm_b32 v34, v38, v34, s64
	v_perm_b32 v26, v30, v26, s64
	v_add_u32_e32 v30, 0x80, v44
	ds_write2st64_b32 v30, v34, v26 offset1:32
	v_xor_b32_e32 v26, 16, v43
	v_perm_b32 v30, v39, v35, s63
	v_perm_b32 v34, v31, v27, s63
	ds_write2st64_b32 v26, v30, v34 offset0:1 offset1:33
	v_xor_b32_e32 v26, 24, v43
	v_perm_b32 v30, v39, v35, s64
	v_perm_b32 v27, v31, v27, s64
	v_add_u32_e32 v26, 0x80, v26
	ds_write2st64_b32 v26, v30, v27 offset0:1 offset1:33
	v_xor_b32_e32 v26, 32, v43
	v_perm_b32 v27, v40, v36, s63
	v_perm_b32 v30, v32, v28, s63
	ds_write2st64_b32 v26, v27, v30 offset0:2 offset1:34
	v_xor_b32_e32 v26, 40, v43
	v_perm_b32 v27, v40, v36, s64
	v_perm_b32 v28, v32, v28, s64
	v_add_u32_e32 v26, 0x80, v26
	ds_write2st64_b32 v26, v27, v28 offset0:2 offset1:34
	v_xor_b32_e32 v26, 48, v43
	v_perm_b32 v27, v41, v37, s63
	v_perm_b32 v28, v33, v29, s63
	ds_write2st64_b32 v26, v27, v28 offset0:3 offset1:35
	v_xor_b32_e32 v26, 56, v43
	v_perm_b32 v27, v41, v37, s64
	v_perm_b32 v28, v33, v29, s64
	v_add_u32_e32 v26, 0x80, v26
	ds_write2st64_b32 v26, v27, v28 offset0:3 offset1:35
	ds_write_b64 v99, v[22:23] offset:16384
	v_xor_b32_e32 v22, 8, v99
	ds_write_b64 v22, v[24:25] offset:16384
	ds_write_b64 v99, v[18:19] offset:24576
	;; [unrolled: 1-line block ×4, first 2 shown]
	v_xor_b32_e32 v14, 8, v98
	ds_write_b64 v14, v[16:17] offset:16384
	ds_write_b64 v98, v[10:11] offset:24576
	;; [unrolled: 1-line block ×3, first 2 shown]
.LBB661_16:                             ;   in Loop: Header=BB661_6 Depth=1
	v_exp_f32_e32 v18, s28
	s_waitcnt vmcnt(1)
	v_exp_f32_e32 v20, v46
	v_exp_f32_e32 v21, v47
	;; [unrolled: 1-line block ×4, first 2 shown]
	v_accvgpr_read_b32 v13, a7
	v_accvgpr_read_b32 v11, a5
	v_accvgpr_read_b32 v10, a4
	v_pk_mul_f32 v[20:21], v[18:19], v[20:21] op_sel_hi:[0,1]
	v_pk_fma_f32 v[2:3], v[2:3], v[20:21], v[10:11]
	v_exp_f32_e32 v20, v42
	v_exp_f32_e32 v21, v50
	v_pk_mul_f32 v[10:11], v[18:19], v[22:23] op_sel_hi:[0,1]
	v_exp_f32_e32 v22, v51
	v_exp_f32_e32 v23, v52
	v_accvgpr_read_b32 v12, a6
	v_accvgpr_read_b32 v17, a3
	;; [unrolled: 1-line block ×4, first 2 shown]
	v_pk_fma_f32 v[4:5], v[4:5], v[10:11], v[12:13]
	v_pk_mul_f32 v[10:11], v[18:19], v[20:21] op_sel_hi:[0,1]
	v_accvgpr_read_b32 v16, a2
	v_pk_fma_f32 v[6:7], v[6:7], v[10:11], v[14:15]
	v_pk_mul_f32 v[10:11], v[18:19], v[22:23] op_sel_hi:[0,1]
	s_add_i32 s59, s59, 64
	s_cmp_eq_u32 s54, s45
	v_pk_fma_f32 v[8:9], v[8:9], v[10:11], v[16:17]
	s_cbranch_scc1 .LBB661_18
; %bb.17:                               ;   in Loop: Header=BB661_6 Depth=1
	s_mov_b32 s65, s45
	s_branch .LBB661_6
.LBB661_18:
	s_lshl_b32 s3, s54, 6
	s_sub_i32 s53, s53, s3
	s_cmp_gt_i32 s53, 0
	v_or_b32_e32 v34, s2, v63
	s_cbranch_scc1 .LBB661_20
; %bb.19:
	s_ashr_i32 s25, s48, 31
	v_or_b32_e32 v10, s2, v63
	s_cbranch_execz .LBB661_21
	s_branch .LBB661_77
.LBB661_20:
                                        ; implicit-def: $vgpr10
                                        ; implicit-def: $sgpr24_sgpr25
.LBB661_21:
	s_add_i32 s24, s3, s42
	s_ashr_i32 s3, s24, 31
	s_cmpk_lg_i32 s23, 0x80
	s_cselect_b64 s[38:39], -1, 0
	s_and_b64 vcc, exec, s[38:39]
	s_cbranch_vccz .LBB661_23
; %bb.22:
	s_mul_hi_i32 s0, s24, s22
	s_mul_i32 s1, s24, s22
	s_ashr_i32 s22, s58, 31
	s_add_u32 s46, s1, s58
	s_addc_u32 s47, s0, s22
	s_cbranch_execz .LBB661_24
	s_branch .LBB661_25
.LBB661_23:
                                        ; implicit-def: $sgpr46_sgpr47
.LBB661_24:
	s_mul_i32 s1, s58, s20
	s_mul_hi_i32 s0, s58, s20
	s_add_u32 s46, s1, s24
	s_addc_u32 s47, s0, s3
.LBB661_25:
	s_add_i32 s20, s54, s55
	s_ashr_i32 s25, s48, 31
	s_add_u32 s0, s57, s24
	s_addc_u32 s1, s56, s3
	s_mov_b32 s3, 0x7060302
	v_lshlrev_b32_e32 v14, 3, v63
	s_lshl_b64 s[36:37], s[0:1], 8
	v_perm_b32 v11, v5, v4, s3
	v_perm_b32 v10, v3, v2, s3
	;; [unrolled: 1-line block ×4, first 2 shown]
	v_lshlrev_b32_e32 v44, 2, v63
	v_lshl_or_b32 v14, v1, 5, v14
	s_add_u32 s0, s14, s36
	ds_write2st64_b64 v14, v[10:11], v[12:13] offset0:72 offset1:76
	v_xor_b32_e32 v14, v1, v44
	v_lshlrev_b32_e32 v15, 8, v63
	s_addc_u32 s1, s15, s37
	v_lshl_or_b32 v14, v14, 1, v15
	s_mul_hi_i32 s3, s20, s21
	s_mul_i32 s20, s20, s21
	ds_write_b64 v14, v[10:11] offset:32768
	v_xor_b32_e32 v10, v66, v44
	s_add_u32 s14, s20, s48
	v_lshl_or_b32 v10, v10, 1, v15
	s_addc_u32 s15, s3, s25
	v_lshlrev_b32_e32 v11, 1, v63
	ds_write_b64 v10, v[12:13] offset:32768
	v_lshrrev_b32_e32 v10, 4, v0
	s_ashr_i32 s3, s2, 31
	s_lshl_b64 s[14:15], s[14:15], 15
	v_or_b32_e32 v12, 1, v11
	s_add_u32 s4, s4, s14
	v_xor_b32_e32 v11, v10, v11
	v_xor_b32_e32 v12, v12, v10
	v_lshlrev_b32_e32 v14, 8, v10
	s_addc_u32 s5, s5, s15
	s_lshl_b64 s[2:3], s[2:3], 8
	v_lshl_or_b32 v10, v11, 3, v14
	v_lshl_or_b32 v12, v12, 3, v14
	s_waitcnt lgkmcnt(0)
	s_barrier
	s_add_u32 s2, s4, s2
	ds_read_b64 v[10:11], v10 offset:32768
	ds_read_b64 v[12:13], v12 offset:32768
	s_addc_u32 s3, s5, s3
	v_mov_b32_e32 v15, 0
	s_cmp_lg_u32 s53, 64
	v_lshl_add_u64 v[16:17], s[2:3], 0, v[14:15]
	v_lshlrev_b32_e32 v14, 4, v63
	s_cselect_b64 s[4:5], -1, 0
	v_lshl_or_b32 v35, v53, 3, v65
	s_mov_b32 s28, 0
	v_lshl_add_u64 v[14:15], v[16:17], 0, v[14:15]
	v_or_b32_e32 v27, 32, v35
	v_and_b32_e32 v26, 56, v64
	s_and_b64 vcc, exec, s[4:5]
	s_waitcnt lgkmcnt(0)
	global_store_dwordx4 v[14:15], v[10:13], off
	s_cbranch_vccz .LBB661_31
; %bb.26:
	s_mov_b32 s29, s28
	s_mov_b32 s30, s28
	;; [unrolled: 1-line block ×3, first 2 shown]
	v_mov_b64_e32 v[14:15], s[28:29]
	v_mov_b64_e32 v[16:17], s[30:31]
	;; [unrolled: 1-line block ×3, first 2 shown]
	v_cmp_gt_i32_e32 vcc, s53, v35
	v_mov_b64_e32 v[12:13], v[16:17]
	s_and_saveexec_b64 s[2:3], vcc
	s_cbranch_execz .LBB661_28
; %bb.27:
	v_lshlrev_b32_e32 v10, 8, v35
	v_mov_b32_e32 v11, 0
	v_lshl_add_u64 v[12:13], s[0:1], 0, v[10:11]
	v_lshlrev_b32_e32 v10, 1, v26
	v_lshl_add_u64 v[18:19], v[12:13], 0, v[10:11]
	global_load_dwordx4 v[14:17], v[18:19], off
	global_load_dwordx4 v[10:13], v[18:19], off offset:128
.LBB661_28:
	s_or_b64 exec, exec, s[2:3]
	s_mov_b32 s29, s28
	s_mov_b32 s30, s28
	;; [unrolled: 1-line block ×3, first 2 shown]
	v_mov_b64_e32 v[22:23], s[28:29]
	v_mov_b64_e32 v[24:25], s[30:31]
	;; [unrolled: 1-line block ×3, first 2 shown]
	v_cmp_gt_i32_e32 vcc, s53, v27
	v_lshlrev_b32_e32 v28, 7, v27
	v_mov_b64_e32 v[20:21], v[24:25]
	s_and_saveexec_b64 s[2:3], vcc
	s_cbranch_execz .LBB661_30
; %bb.29:
	v_lshlrev_b32_e32 v18, 1, v28
	v_mov_b32_e32 v19, 0
	v_lshl_add_u64 v[20:21], s[0:1], 0, v[18:19]
	v_lshlrev_b32_e32 v18, 1, v26
	v_lshl_add_u64 v[30:31], v[20:21], 0, v[18:19]
	global_load_dwordx4 v[22:25], v[30:31], off
	global_load_dwordx4 v[18:21], v[30:31], off offset:128
.LBB661_30:
	s_or_b64 exec, exec, s[2:3]
	v_lshrrev_b32_e32 v29, 3, v26
	v_lshlrev_b32_e32 v30, 3, v35
	v_or_b32_e32 v29, v30, v29
	v_lshlrev_b32_e32 v29, 4, v29
	v_and_b32_e32 v30, 0x78, v30
	v_xor_b32_e32 v29, v29, v30
	s_branch .LBB661_33
.LBB661_31:
                                        ; implicit-def: $vgpr29
                                        ; implicit-def: $vgpr28
                                        ; implicit-def: $vgpr14_vgpr15_vgpr16_vgpr17
                                        ; implicit-def: $vgpr10_vgpr11_vgpr12_vgpr13
                                        ; implicit-def: $vgpr22_vgpr23_vgpr24_vgpr25
                                        ; implicit-def: $vgpr18_vgpr19_vgpr20_vgpr21
	s_cbranch_execz .LBB661_33
; %bb.32:
	s_waitcnt vmcnt(0)
	v_lshlrev_b32_e32 v10, 1, v26
	v_lshl_or_b32 v28, v35, 8, v10
	s_and_b32 s1, s1, 0xffff
	s_mov_b32 s3, 0x20000
	s_movk_i32 s2, 0x4000
	v_lshl_or_b32 v29, v27, 8, v10
	s_movk_i32 s14, 0x80
	buffer_load_dwordx4 v[14:17], v28, s[0:3], 0 offen
	buffer_load_dwordx4 v[10:13], v28, s[0:3], s14 offen
	;; [unrolled: 1-line block ×4, first 2 shown]
	v_lshrrev_b32_e32 v28, 3, v26
	v_lshlrev_b32_e32 v29, 3, v35
	v_or_b32_e32 v28, v29, v28
	v_lshlrev_b32_e32 v28, 4, v28
	v_and_b32_e32 v29, 0x78, v29
	v_xor_b32_e32 v29, v28, v29
	v_lshlrev_b32_e32 v28, 7, v27
.LBB661_33:
	s_lshl_b64 s[0:1], s[46:47], 8
	s_add_u32 s12, s12, s0
	s_movk_i32 s0, 0x1000
	v_and_or_b32 v27, v28, s0, v29
	s_waitcnt vmcnt(1)
	ds_write_b64 v29, v[14:15] offset:16384
	v_xor_b32_e32 v14, 8, v29
	ds_write_b64 v14, v[16:17] offset:16384
	s_waitcnt vmcnt(0)
	ds_write_b64 v29, v[10:11] offset:24576
	ds_write_b64 v14, v[12:13] offset:24576
	;; [unrolled: 1-line block ×3, first 2 shown]
	v_xor_b32_e32 v10, 8, v27
	ds_write_b64 v10, v[24:25] offset:16384
	ds_write_b64 v27, v[18:19] offset:24576
	;; [unrolled: 1-line block ×3, first 2 shown]
	v_or_b32_e32 v10, v60, v63
	v_lshlrev_b32_e32 v10, 3, v10
	v_lshrrev_b32_e32 v12, 5, v61
	s_movk_i32 s20, 0xf8
	v_and_or_b32 v12, v10, s20, v12
	v_lshlrev_b32_e32 v45, 11, v53
	v_lshlrev_b32_e32 v20, 4, v12
	v_and_b32_e32 v21, 0x78, v10
	v_and_b32_e32 v22, 0x1000, v45
	v_lshlrev_b32_e32 v11, 2, v0
	v_xor_b32_e32 v10, v20, v21
	v_lshrrev_b32_e32 v12, 1, v61
	v_and_b32_e32 v11, 60, v11
	v_or_b32_e32 v10, v10, v22
	v_and_b32_e32 v23, 8, v12
	v_xor_b32_e32 v36, v10, v23
	v_lshl_or_b32 v10, v62, 6, v11
	v_lshlrev_b32_e32 v46, 1, v10
	v_or_b32_e32 v10, 32, v20
	v_xor_b32_e32 v10, v10, v21
	s_waitcnt lgkmcnt(0)
	s_barrier
	ds_read_b64 v[18:19], v36 offset:16384
	v_or_b32_e32 v10, v10, v22
	v_xor_b32_e32 v37, v10, v23
	v_or_b32_e32 v10, 64, v20
	v_xor_b32_e32 v10, v10, v21
	v_or_b32_e32 v10, v10, v22
	v_or_b32_e32 v20, 0x60, v20
	v_xor_b32_e32 v38, v10, v23
	ds_read2st64_b64 v[10:13], v46 offset0:72 offset1:73
	ds_read2st64_b64 v[14:17], v46 offset0:74 offset1:75
	v_xor_b32_e32 v24, v20, v21
	ds_read_b64 v[20:21], v37 offset:16384
	s_waitcnt lgkmcnt(2)
	v_mfma_f32_16x16x16_bf16 a[0:3], v[18:19], v[10:11], 0
	s_addc_u32 s13, s13, s1
	s_add_i32 s22, s43, -1
	s_add_i32 s0, s51, s50
	s_add_i32 s45, s0, s52
	s_mul_i32 s0, s48, s27
	s_mul_hi_u32 s1, s48, s26
	s_ashr_i32 s2, s22, 31
	s_mul_i32 s3, s22, s11
	s_mul_hi_u32 s14, s22, s10
	s_add_i32 s0, s1, s0
	s_mul_i32 s1, s25, s26
	s_add_i32 s3, s14, s3
	s_mul_i32 s2, s2, s10
	v_or_b32_e32 v22, v24, v22
	s_add_i32 s1, s0, s1
	s_add_i32 s3, s3, s2
	s_lshl_b64 s[14:15], s[44:45], 2
	v_xor_b32_e32 v47, v22, v23
	ds_read_b64 v[22:23], v38 offset:16384
	ds_read_b64 v[24:25], v47 offset:16384
	s_waitcnt lgkmcnt(2)
	v_mfma_f32_16x16x16_bf16 a[0:3], v[20:21], v[12:13], a[0:3]
	s_mul_i32 s0, s48, s26
	s_add_u32 s14, s18, s14
	s_addc_u32 s15, s19, s15
	s_lshl_b64 s[0:1], s[0:1], 2
	s_mul_i32 s2, s22, s10
	s_add_u32 s18, s14, s0
	s_addc_u32 s19, s15, s1
	s_lshl_b64 s[0:1], s[2:3], 2
	s_waitcnt lgkmcnt(1)
	v_mfma_f32_16x16x16_bf16 a[0:3], v[22:23], v[14:15], a[0:3]
	s_add_u32 s0, s18, s0
	s_addc_u32 s1, s19, s1
	s_load_dword s20, s[0:1], 0x0
	s_waitcnt lgkmcnt(0)
	v_mfma_f32_16x16x16_bf16 a[0:3], v[24:25], v[16:17], a[0:3]
	s_and_b64 vcc, exec, s[38:39]
	s_cbranch_vccz .LBB661_44
; %bb.34:
	v_lshlrev_b32_e32 v27, 1, v35
	s_and_b64 vcc, exec, s[4:5]
	s_cbranch_vccz .LBB661_45
; %bb.35:
	v_cmp_gt_i32_e32 vcc, s53, v27
	v_mov_b32_e32 v14, 0
	v_mov_b32_e32 v10, 0
	;; [unrolled: 1-line block ×5, first 2 shown]
	s_and_saveexec_b64 s[0:1], vcc
	s_cbranch_execz .LBB661_37
; %bb.36:
	v_mad_i64_i32 v[10:11], s[2:3], s23, v27, 0
	v_lshl_add_u64 v[10:11], v[10:11], 1, s[12:13]
	v_lshlrev_b32_e32 v12, 1, v26
	v_mov_b32_e32 v13, 0
	v_lshl_add_u64 v[10:11], v[10:11], 0, v[12:13]
	global_load_dwordx4 v[10:13], v[10:11], off
.LBB661_37:
	s_or_b64 exec, exec, s[0:1]
	v_or_b32_e32 v28, 1, v27
	v_cmp_gt_i32_e64 s[0:1], s53, v28
	v_mov_b32_e32 v15, 0
	v_mov_b32_e32 v16, 0
	;; [unrolled: 1-line block ×3, first 2 shown]
	s_and_saveexec_b64 s[2:3], s[0:1]
	s_cbranch_execz .LBB661_39
; %bb.38:
	v_mad_i64_i32 v[14:15], s[14:15], s23, v28, 0
	v_lshl_add_u64 v[14:15], v[14:15], 1, s[12:13]
	v_lshlrev_b32_e32 v16, 1, v26
	v_mov_b32_e32 v17, 0
	v_lshl_add_u64 v[14:15], v[14:15], 0, v[16:17]
	global_load_dwordx4 v[14:17], v[14:15], off
.LBB661_39:
	s_or_b64 exec, exec, s[2:3]
	v_mov_b32_e32 v25, 0
	v_mov_b32_e32 v18, 0
	;; [unrolled: 1-line block ×5, first 2 shown]
	s_and_saveexec_b64 s[2:3], vcc
	s_cbranch_execz .LBB661_41
; %bb.40:
	v_mad_i64_i32 v[18:19], s[14:15], s23, v27, 0
	v_lshl_add_u64 v[18:19], v[18:19], 1, s[12:13]
	v_lshlrev_b32_e32 v20, 1, v26
	v_mov_b32_e32 v21, 0
	v_lshl_add_u64 v[18:19], v[18:19], 0, v[20:21]
	global_load_dwordx4 v[18:21], v[18:19], off offset:128
.LBB661_41:
	s_or_b64 exec, exec, s[2:3]
	v_mov_b32_e32 v24, 0
	v_mov_b32_e32 v23, 0
	;; [unrolled: 1-line block ×3, first 2 shown]
	s_and_saveexec_b64 s[2:3], s[0:1]
	s_cbranch_execz .LBB661_43
; %bb.42:
	v_mad_i64_i32 v[22:23], s[0:1], s23, v28, 0
	v_lshl_add_u64 v[22:23], v[22:23], 1, s[12:13]
	v_lshlrev_b32_e32 v24, 1, v26
	v_mov_b32_e32 v25, 0
	v_lshl_add_u64 v[22:23], v[22:23], 0, v[24:25]
	global_load_dwordx4 v[22:25], v[22:23], off offset:128
.LBB661_43:
	s_or_b64 exec, exec, s[2:3]
	s_branch .LBB661_47
.LBB661_44:
                                        ; implicit-def: $vgpr13
                                        ; implicit-def: $vgpr17
                                        ; implicit-def: $vgpr21
                                        ; implicit-def: $vgpr25
	v_lshrrev_b32_e32 v27, 2, v61
	s_branch .LBB661_48
.LBB661_45:
                                        ; implicit-def: $vgpr13
                                        ; implicit-def: $vgpr17
                                        ; implicit-def: $vgpr21
                                        ; implicit-def: $vgpr25
	s_cbranch_execz .LBB661_47
; %bb.46:
	s_waitcnt vmcnt(0)
	v_mad_u64_u32 v[10:11], s[0:1], v27, s23, v[26:27]
	v_lshlrev_b32_e32 v27, 1, v10
	s_lshl_b32 s2, s23, 7
	s_and_b32 s1, s13, 0xffff
	s_mov_b32 s3, 0x20000
	s_mov_b32 s0, s12
	v_add_lshl_u32 v28, v10, s23, 1
	s_movk_i32 s14, 0x80
	buffer_load_dwordx4 v[10:13], v27, s[0:3], 0 offen
	buffer_load_dwordx4 v[18:21], v27, s[0:3], s14 offen
	;; [unrolled: 1-line block ×4, first 2 shown]
.LBB661_47:
	v_lshrrev_b32_e32 v27, 2, v61
	s_cbranch_execnz .LBB661_60
.LBB661_48:
	s_and_b64 vcc, exec, s[4:5]
	s_cbranch_vccz .LBB661_58
; %bb.49:
	s_waitcnt vmcnt(0)
	v_lshlrev_b32_e32 v15, 1, v35
	v_cmp_gt_i32_e32 vcc, s53, v15
	v_mov_b32_e32 v14, 0
	v_lshlrev_b32_e32 v22, 9, v35
	v_mov_b32_e32 v10, 0
	v_mov_b32_e32 v11, 0
	;; [unrolled: 1-line block ×4, first 2 shown]
	s_and_saveexec_b64 s[0:1], vcc
	s_cbranch_execz .LBB661_51
; %bb.50:
	v_mov_b32_e32 v23, 0
	v_lshl_add_u64 v[10:11], s[12:13], 0, v[22:23]
	v_lshlrev_b32_e32 v12, 1, v26
	v_mov_b32_e32 v13, v23
	v_lshl_add_u64 v[10:11], v[10:11], 0, v[12:13]
	global_load_dwordx4 v[10:13], v[10:11], off
.LBB661_51:
	s_or_b64 exec, exec, s[0:1]
	v_or_b32_e32 v15, 1, v15
	v_cmp_gt_i32_e64 s[0:1], s53, v15
	v_lshlrev_b32_e32 v28, 8, v15
	v_mov_b32_e32 v15, 0
	v_mov_b32_e32 v16, 0
	;; [unrolled: 1-line block ×3, first 2 shown]
	s_and_saveexec_b64 s[2:3], s[0:1]
	s_cbranch_execz .LBB661_53
; %bb.52:
	v_mov_b32_e32 v29, 0
	v_lshl_add_u64 v[14:15], s[12:13], 0, v[28:29]
	v_lshlrev_b32_e32 v16, 1, v26
	v_mov_b32_e32 v17, v29
	v_lshl_add_u64 v[14:15], v[14:15], 0, v[16:17]
	global_load_dwordx4 v[14:17], v[14:15], off
.LBB661_53:
	s_or_b64 exec, exec, s[2:3]
	v_mov_b32_e32 v25, 0
	v_mov_b32_e32 v18, 0
	v_mov_b32_e32 v19, 0
	v_mov_b32_e32 v20, 0
	v_mov_b32_e32 v21, 0
	s_and_saveexec_b64 s[2:3], vcc
	s_cbranch_execz .LBB661_55
; %bb.54:
	v_mov_b32_e32 v23, 0
	v_lshl_add_u64 v[18:19], s[12:13], 0, v[22:23]
	v_lshlrev_b32_e32 v22, 1, v26
	v_lshl_add_u64 v[18:19], v[18:19], 0, v[22:23]
	global_load_dwordx4 v[18:21], v[18:19], off offset:128
.LBB661_55:
	s_or_b64 exec, exec, s[2:3]
	v_mov_b32_e32 v24, 0
	v_mov_b32_e32 v23, 0
	;; [unrolled: 1-line block ×3, first 2 shown]
	s_and_saveexec_b64 s[2:3], s[0:1]
	s_cbranch_execz .LBB661_57
; %bb.56:
	v_mov_b32_e32 v29, 0
	v_lshl_add_u64 v[22:23], s[12:13], 0, v[28:29]
	v_lshlrev_b32_e32 v28, 1, v26
	v_lshl_add_u64 v[22:23], v[22:23], 0, v[28:29]
	global_load_dwordx4 v[22:25], v[22:23], off offset:128
.LBB661_57:
	s_or_b64 exec, exec, s[2:3]
	s_branch .LBB661_60
.LBB661_58:
                                        ; implicit-def: $vgpr13
                                        ; implicit-def: $vgpr17
                                        ; implicit-def: $vgpr21
                                        ; implicit-def: $vgpr25
	s_cbranch_execz .LBB661_60
; %bb.59:
	s_waitcnt vmcnt(0)
	v_lshlrev_b32_e32 v10, 1, v26
	v_lshl_or_b32 v26, v35, 9, v10
	s_and_b32 s13, s13, 0xffff
	s_mov_b32 s15, 0x20000
	s_movk_i32 s14, 0x4000
	s_movk_i32 s0, 0x80
	buffer_load_dwordx4 v[10:13], v26, s[12:15], 0 offen
	buffer_load_dwordx4 v[14:17], v26, s[12:15], 0 offen offset:256
	buffer_load_dwordx4 v[18:21], v26, s[12:15], s0 offen
	buffer_load_dwordx4 v[22:25], v26, s[12:15], s0 offen offset:256
.LBB661_60:
	v_and_b32_e32 v48, 12, v27
	ds_read2st64_b64 v[30:33], v46 offset0:76 offset1:77
	ds_read2st64_b64 v[26:29], v46 offset0:78 offset1:79
	ds_read_b64 v[42:43], v36 offset:24576
	ds_read_b64 v[40:41], v37 offset:24576
	;; [unrolled: 1-line block ×4, first 2 shown]
	v_and_b32_e32 v47, 6, v0
	v_xor_b32_e32 v35, v35, v47
	v_lshlrev_b32_e32 v35, 2, v35
	v_and_b32_e32 v49, 1, v0
	v_xor_b32_e32 v50, 0x440, v35
	v_cmp_eq_u32_e32 vcc, 0, v49
	s_mov_b32 s0, 0x1000504
	s_waitcnt vmcnt(0)
	v_perm_b32 v49, v18, v22, s0
	v_cndmask_b32_e32 v35, v50, v35, vcc
	v_lshl_or_b32 v35, v47, 10, v35
	v_perm_b32 v47, v10, v14, s0
	ds_write2st64_b32 v35, v47, v49 offset1:32
	v_xor_b32_e32 v47, 8, v35
	s_mov_b32 s1, 0x3020706
	v_perm_b32 v10, v10, v14, s1
	v_perm_b32 v14, v18, v22, s1
	v_add_u32_e32 v18, 0x80, v47
	ds_write2st64_b32 v18, v10, v14 offset1:32
	v_xor_b32_e32 v10, 16, v35
	v_perm_b32 v14, v11, v15, s0
	v_perm_b32 v18, v19, v23, s0
	ds_write2st64_b32 v10, v14, v18 offset0:1 offset1:33
	v_xor_b32_e32 v10, 24, v35
	v_perm_b32 v11, v11, v15, s1
	v_perm_b32 v14, v19, v23, s1
	v_add_u32_e32 v10, 0x80, v10
	ds_write2st64_b32 v10, v11, v14 offset0:1 offset1:33
	v_xor_b32_e32 v10, 32, v35
	v_perm_b32 v11, v12, v16, s0
	v_perm_b32 v14, v20, v24, s0
	ds_write2st64_b32 v10, v11, v14 offset0:2 offset1:34
	v_xor_b32_e32 v10, 40, v35
	v_perm_b32 v11, v12, v16, s1
	v_perm_b32 v12, v20, v24, s1
	v_add_u32_e32 v10, 0x80, v10
	ds_write2st64_b32 v10, v11, v12 offset0:2 offset1:34
	v_xor_b32_e32 v10, 48, v35
	v_perm_b32 v11, v13, v17, s0
	v_perm_b32 v12, v21, v25, s0
	ds_write2st64_b32 v10, v11, v12 offset0:3 offset1:35
	v_xor_b32_e32 v10, 56, v35
	v_or_b32_e32 v18, v48, v60
	v_perm_b32 v11, v13, v17, s1
	v_perm_b32 v12, v21, v25, s1
	v_add_u32_e32 v10, 0x80, v10
	v_cmp_gt_i32_e64 s[2:3], s53, v18
	v_mov_b32_e32 v20, 0
	v_mov_b32_e32 v25, 0
	ds_write2st64_b32 v10, v11, v12 offset0:3 offset1:35
	s_and_saveexec_b64 s[0:1], s[2:3]
	s_cbranch_execz .LBB661_62
; %bb.61:
	v_add_u32_e32 v10, s24, v18
	v_ashrrev_i32_e32 v11, 31, v10
	v_mul_lo_u32 v12, v11, s10
	v_mul_lo_u32 v13, v10, s11
	v_mad_u64_u32 v[10:11], s[4:5], v10, s10, 0
	v_add3_u32 v11, v11, v13, v12
	v_lshl_add_u64 v[10:11], v[10:11], 2, s[18:19]
	global_load_dword v10, v[10:11], off
	s_waitcnt vmcnt(0)
	v_sub_f32_e32 v10, s20, v10
	v_exp_f32_e32 v25, v10
.LBB661_62:
	s_or_b64 exec, exec, s[0:1]
	v_or_b32_e32 v23, 1, v18
	v_cmp_gt_i32_e64 s[4:5], s53, v23
	s_and_saveexec_b64 s[0:1], s[4:5]
	s_cbranch_execz .LBB661_64
; %bb.63:
	v_add_u32_e32 v10, s24, v23
	v_ashrrev_i32_e32 v11, 31, v10
	v_mul_lo_u32 v12, v11, s10
	v_mul_lo_u32 v13, v10, s11
	v_mad_u64_u32 v[10:11], s[12:13], v10, s10, 0
	v_add3_u32 v11, v11, v13, v12
	v_lshl_add_u64 v[10:11], v[10:11], 2, s[18:19]
	global_load_dword v10, v[10:11], off
	s_waitcnt vmcnt(0)
	v_sub_f32_e32 v10, s20, v10
	v_exp_f32_e32 v20, v10
.LBB661_64:
	s_or_b64 exec, exec, s[0:1]
	v_or_b32_e32 v22, 2, v18
	v_cmp_gt_i32_e64 s[0:1], s53, v22
	v_mov_b32_e32 v19, 0
	v_mov_b32_e32 v24, 0
	s_and_saveexec_b64 s[12:13], s[0:1]
	s_cbranch_execz .LBB661_66
; %bb.65:
	v_add_u32_e32 v10, s24, v22
	v_ashrrev_i32_e32 v11, 31, v10
	v_mul_lo_u32 v12, v11, s10
	v_mul_lo_u32 v13, v10, s11
	v_mad_u64_u32 v[10:11], s[14:15], v10, s10, 0
	v_add3_u32 v11, v11, v13, v12
	v_lshl_add_u64 v[10:11], v[10:11], 2, s[18:19]
	global_load_dword v10, v[10:11], off
	s_waitcnt vmcnt(0)
	v_sub_f32_e32 v10, s20, v10
	v_exp_f32_e32 v24, v10
.LBB661_66:
	s_or_b64 exec, exec, s[12:13]
	v_or_b32_e32 v21, 3, v18
	v_cmp_gt_i32_e32 vcc, s53, v21
	s_and_saveexec_b64 s[12:13], vcc
	s_cbranch_execz .LBB661_68
; %bb.67:
	v_add_u32_e32 v10, s24, v21
	v_ashrrev_i32_e32 v11, 31, v10
	v_mul_lo_u32 v12, v11, s10
	v_mul_lo_u32 v13, v10, s11
	v_mad_u64_u32 v[10:11], s[10:11], v10, s10, 0
	v_add3_u32 v11, v11, v13, v12
	v_lshl_add_u64 v[10:11], v[10:11], 2, s[18:19]
	global_load_dword v10, v[10:11], off
	s_waitcnt vmcnt(0)
	v_sub_f32_e32 v10, s20, v10
	v_exp_f32_e32 v19, v10
.LBB661_68:
	s_or_b64 exec, exec, s[12:13]
	s_waitcnt lgkmcnt(11)
	v_mfma_f32_16x16x16_bf16 a[0:3], v[42:43], v[30:31], a[0:3]
	s_add_u32 s10, s16, s36
	s_addc_u32 s11, s17, s37
	v_ashrrev_i32_e32 v35, 31, v34
	s_waitcnt lgkmcnt(10)
	v_mfma_f32_16x16x16_bf16 a[0:3], v[40:41], v[32:33], a[0:3]
	s_add_u32 s6, s6, s36
	v_lshlrev_b64 v[10:11], 1, v[34:35]
	s_addc_u32 s7, s7, s37
	s_waitcnt lgkmcnt(9)
	v_mfma_f32_16x16x16_bf16 a[0:3], v[38:39], v[26:27], a[0:3]
	v_lshl_add_u64 v[14:15], s[10:11], 0, v[10:11]
	v_lshl_add_u64 v[16:17], s[6:7], 0, v[10:11]
	v_mov_b32_e32 v26, 0
	s_waitcnt lgkmcnt(8)
	v_mfma_f32_16x16x16_bf16 a[0:3], v[36:37], v[28:29], a[0:3]
	v_mov_b32_e32 v27, 0
	s_nop 5
	v_accvgpr_read_b32 v13, a3
	v_accvgpr_read_b32 v12, a2
	;; [unrolled: 1-line block ×4, first 2 shown]
	s_and_saveexec_b64 s[6:7], s[2:3]
	s_cbranch_execz .LBB661_70
; %bb.69:
	v_lshlrev_b32_e32 v28, 8, v18
	v_mov_b32_e32 v29, 0
	v_lshl_add_u64 v[30:31], v[14:15], 0, v[28:29]
	global_load_ushort v27, v[30:31], off
	v_lshl_add_u64 v[28:29], v[16:17], 0, v[28:29]
	s_waitcnt vmcnt(0)
	v_lshlrev_b32_e32 v27, 16, v27
	v_sub_f32_e32 v10, v27, v10
	global_store_short_d16_hi v[28:29], v10, off
	v_mul_f32_e32 v10, v25, v10
	v_lshrrev_b32_e32 v27, 16, v10
.LBB661_70:
	s_or_b64 exec, exec, s[6:7]
	s_and_saveexec_b64 s[2:3], s[4:5]
	s_cbranch_execz .LBB661_72
; %bb.71:
	v_lshlrev_b32_e32 v28, 8, v23
	v_mov_b32_e32 v29, 0
	v_lshl_add_u64 v[30:31], v[14:15], 0, v[28:29]
	global_load_ushort v10, v[30:31], off
	v_lshl_add_u64 v[28:29], v[16:17], 0, v[28:29]
	s_waitcnt vmcnt(0)
	v_lshlrev_b32_e32 v10, 16, v10
	v_sub_f32_e32 v10, v10, v11
	global_store_short_d16_hi v[28:29], v10, off
	v_mul_f32_e32 v10, v20, v10
	v_lshrrev_b32_e32 v26, 16, v10
.LBB661_72:
	s_or_b64 exec, exec, s[2:3]
	v_mov_b32_e32 v11, 0
	v_mov_b32_e32 v20, 0
	s_and_saveexec_b64 s[2:3], s[0:1]
	s_cbranch_execz .LBB661_74
; %bb.73:
	v_lshlrev_b32_e32 v22, 8, v22
	v_mov_b32_e32 v23, 0
	v_lshl_add_u64 v[28:29], v[14:15], 0, v[22:23]
	global_load_ushort v10, v[28:29], off
	v_lshl_add_u64 v[22:23], v[16:17], 0, v[22:23]
	s_waitcnt vmcnt(0)
	v_lshlrev_b32_e32 v10, 16, v10
	v_sub_f32_e32 v10, v10, v12
	global_store_short_d16_hi v[22:23], v10, off
	v_mul_f32_e32 v10, v24, v10
	v_lshrrev_b32_e32 v20, 16, v10
.LBB661_74:
	s_or_b64 exec, exec, s[2:3]
	v_or_b32_e32 v10, 0x9800, v46
	s_and_saveexec_b64 s[0:1], vcc
	s_cbranch_execz .LBB661_76
; %bb.75:
	v_lshlrev_b32_e32 v22, 8, v21
	v_mov_b32_e32 v23, 0
	v_lshl_add_u64 v[14:15], v[14:15], 0, v[22:23]
	global_load_ushort v11, v[14:15], off
	v_lshl_add_u64 v[14:15], v[16:17], 0, v[22:23]
	s_waitcnt vmcnt(0)
	v_lshlrev_b32_e32 v11, 16, v11
	v_sub_f32_e32 v11, v11, v13
	global_store_short_d16_hi v[14:15], v11, off
	v_mul_f32_e32 v11, v19, v11
	v_lshrrev_b32_e32 v11, 16, v11
.LBB661_76:
	s_or_b64 exec, exec, s[0:1]
	s_mov_b32 s0, 0x5040100
	v_perm_b32 v13, v11, v20, s0
	v_lshlrev_b32_e32 v11, 1, v44
	v_perm_b32 v12, v26, v27, s0
	v_lshl_or_b32 v11, v18, 5, v11
	s_movk_i32 s2, 0xff
	ds_write_b64 v11, v[12:13] offset:38912
	v_and_b32_e32 v11, 7, v0
	v_cmp_lt_u32_e32 vcc, s2, v0
	v_and_b32_e32 v12, 8, v0
	v_lshlrev_b32_e32 v19, 3, v11
	v_lshlrev_b32_e32 v28, 7, v11
	v_cndmask_b32_e64 v11, 0, 1, vcc
	v_lshrrev_b32_e32 v0, 1, v0
	v_lshlrev_b32_e32 v24, 13, v11
	v_lshlrev_b32_e32 v11, 3, v53
	v_and_b32_e32 v0, 24, v0
	v_xor_b32_e32 v13, v11, v0
	v_or_b32_e32 v14, 0x440, v13
	v_cmp_eq_u32_e32 vcc, 0, v12
	s_waitcnt lgkmcnt(0)
	s_barrier
	v_cndmask_b32_e32 v12, v14, v13, vcc
	v_or_b32_e32 v12, v12, v45
	v_xor_b32_e32 v29, v12, v19
	v_or_b32_e32 v12, 32, v0
	v_xor_b32_e32 v12, v11, v12
	v_or_b32_e32 v13, 0x440, v12
	v_cndmask_b32_e32 v12, v13, v12, vcc
	v_or_b32_e32 v12, v12, v45
	v_xor_b32_e32 v30, v12, v19
	v_or_b32_e32 v12, 64, v0
	v_xor_b32_e32 v12, v11, v12
	v_xor_b32_e32 v13, 0x440, v12
	v_cndmask_b32_e32 v12, v13, v12, vcc
	v_add3_u32 v16, v24, v29, v28
	v_or_b32_e32 v12, v12, v45
	v_or_b32_e32 v0, 0x60, v0
	v_xor_b32_e32 v31, v12, v19
	ds_read2st64_b64 v[12:15], v10 offset1:1
	ds_read2st64_b64 v[20:23], v10 offset0:2 offset1:3
	v_xor_b32_e32 v0, v11, v0
	ds_read_b64 v[10:11], v16
	v_add3_u32 v17, v24, v30, v28
	v_xor_b32_e32 v16, 0x440, v0
	v_cndmask_b32_e32 v0, v16, v0, vcc
	ds_read_b64 v[16:17], v17
	s_mul_i32 s0, s22, s21
	s_mul_hi_i32 s1, s22, s21
	s_add_u32 s0, s0, s48
	s_waitcnt lgkmcnt(1)
	v_mfma_f32_16x16x16_bf16 a[0:3], v[10:11], v[12:13], 0
	s_addc_u32 s1, s1, s25
	v_or_b32_e32 v0, v0, v45
	s_lshl_b64 s[0:1], s[0:1], 9
	v_xor_b32_e32 v0, v0, v19
	s_add_u32 s0, s40, s0
	v_add3_u32 v25, v24, v31, v28
	v_add3_u32 v19, v24, v0, v28
	s_addc_u32 s1, s41, s1
	v_lshlrev_b32_e32 v10, 2, v18
	ds_read_b64 v[24:25], v25
	ds_read_b64 v[26:27], v19
	s_waitcnt lgkmcnt(2)
	v_mfma_f32_16x16x16_bf16 a[0:3], v[16:17], v[14:15], a[0:3]
	global_load_dwordx4 v[16:19], v10, s[0:1]
	v_add_u32_e32 v10, v29, v28
	ds_read_b64 v[10:11], v10 offset:8192
	s_waitcnt lgkmcnt(2)
	v_mfma_f32_16x16x16_bf16 a[0:3], v[24:25], v[20:21], a[0:3]
	v_lshlrev_b32_e32 v24, 6, v53
	v_lshlrev_b32_e32 v25, 2, v48
	s_movk_i32 s2, 0x100
	v_or3_b32 v32, v24, v25, s2
	v_add_u32_e32 v24, v30, v28
	v_add_u32_e32 v29, v31, v28
	;; [unrolled: 1-line block ×3, first 2 shown]
	ds_read_b64 v[24:25], v24 offset:8192
	ds_read_b64 v[28:29], v29 offset:8192
	;; [unrolled: 1-line block ×3, first 2 shown]
	s_waitcnt lgkmcnt(3)
	v_mfma_f32_16x16x16_bf16 a[4:7], v[10:11], v[12:13], 0
	global_load_dwordx4 v[10:13], v32, s[0:1]
	v_exp_f32_e32 v0, s20
	s_waitcnt vmcnt(1)
	v_exp_f32_e32 v16, v16
	v_mfma_f32_16x16x16_bf16 a[0:3], v[26:27], v[22:23], a[0:3]
	v_exp_f32_e32 v17, v17
	v_exp_f32_e32 v18, v18
	;; [unrolled: 1-line block ×3, first 2 shown]
	v_pk_mul_f32 v[16:17], v[0:1], v[16:17] op_sel_hi:[0,1]
	v_pk_mul_f32 v[18:19], v[0:1], v[18:19] op_sel_hi:[0,1]
	s_nop 1
	v_accvgpr_read_b32 v33, a1
	v_accvgpr_read_b32 v27, a3
	;; [unrolled: 1-line block ×4, first 2 shown]
	s_waitcnt lgkmcnt(2)
	v_mfma_f32_16x16x16_bf16 a[0:3], v[24:25], v[14:15], a[4:7]
	s_waitcnt vmcnt(0)
	v_mov_b32_e32 v14, v13
	v_mov_b32_e32 v13, v12
	;; [unrolled: 1-line block ×3, first 2 shown]
	s_waitcnt lgkmcnt(1)
	v_mfma_f32_16x16x16_bf16 a[0:3], v[28:29], v[20:21], a[0:3]
	v_exp_f32_e32 v10, v10
	v_exp_f32_e32 v11, v12
	;; [unrolled: 1-line block ×3, first 2 shown]
	s_waitcnt lgkmcnt(0)
	v_mfma_f32_16x16x16_bf16 a[0:3], v[30:31], v[22:23], a[0:3]
	v_exp_f32_e32 v13, v14
	v_pk_fma_f32 v[2:3], v[2:3], v[16:17], v[32:33]
	v_pk_mul_f32 v[10:11], v[0:1], v[10:11] op_sel_hi:[0,1]
	v_pk_fma_f32 v[4:5], v[4:5], v[18:19], v[26:27]
	s_nop 2
	v_accvgpr_read_b32 v17, a1
	v_accvgpr_read_b32 v16, a0
	;; [unrolled: 1-line block ×4, first 2 shown]
	v_pk_fma_f32 v[6:7], v[6:7], v[10:11], v[16:17]
	v_pk_mul_f32 v[10:11], v[0:1], v[12:13] op_sel_hi:[0,1]
	v_pk_fma_f32 v[8:9], v[8:9], v[10:11], v[14:15]
	v_mov_b32_e32 v10, v34
.LBB661_77:
	s_mul_i32 s0, s49, s35
	s_mul_hi_u32 s1, s49, s34
	s_add_i32 s0, s1, s0
	s_mul_i32 s1, s33, s34
	s_add_i32 s1, s0, s1
	s_mul_i32 s0, s49, s34
	s_add_u32 s0, s0, s48
	s_addc_u32 s1, s1, s25
	s_lshl_b64 s[0:1], s[0:1], 16
	s_add_u32 s0, s8, s0
	v_lshlrev_b32_e32 v10, 7, v10
	s_addc_u32 s1, s9, s1
	v_ashrrev_i32_e32 v11, 31, v10
	v_lshl_add_u64 v[10:11], v[10:11], 2, s[0:1]
	v_lshlrev_b32_e32 v0, 2, v1
	v_mov_b32_e32 v1, 0
	v_lshl_add_u64 v[0:1], v[10:11], 0, v[0:1]
	global_store_dwordx4 v[0:1], v[2:5], off
	global_store_dwordx4 v[0:1], v[6:9], off offset:256
	s_endpgm
	.section	.rodata,"a",@progbits
	.p2align	6, 0x0
	.amdhsa_kernel _ZN12_GLOBAL__N_139chunk_gated_delta_rule_fwd_h_hip_kernelILi16ELb0ELb1ELb1ELb1ELb1ELb1ELb0ELb0EEEvPK12hip_bfloat16S3_S3_PKfS5_PKvPS1_S8_PvPKiSB_iiiiilll
		.amdhsa_group_segment_fixed_size 40960
		.amdhsa_private_segment_fixed_size 0
		.amdhsa_kernarg_size 136
		.amdhsa_user_sgpr_count 2
		.amdhsa_user_sgpr_dispatch_ptr 0
		.amdhsa_user_sgpr_queue_ptr 0
		.amdhsa_user_sgpr_kernarg_segment_ptr 1
		.amdhsa_user_sgpr_dispatch_id 0
		.amdhsa_user_sgpr_kernarg_preload_length 0
		.amdhsa_user_sgpr_kernarg_preload_offset 0
		.amdhsa_user_sgpr_private_segment_size 0
		.amdhsa_uses_dynamic_stack 0
		.amdhsa_enable_private_segment 0
		.amdhsa_system_sgpr_workgroup_id_x 1
		.amdhsa_system_sgpr_workgroup_id_y 1
		.amdhsa_system_sgpr_workgroup_id_z 0
		.amdhsa_system_sgpr_workgroup_info 0
		.amdhsa_system_vgpr_workitem_id 0
		.amdhsa_next_free_vgpr 128
		.amdhsa_next_free_sgpr 70
		.amdhsa_accum_offset 116
		.amdhsa_reserve_vcc 1
		.amdhsa_float_round_mode_32 0
		.amdhsa_float_round_mode_16_64 0
		.amdhsa_float_denorm_mode_32 3
		.amdhsa_float_denorm_mode_16_64 3
		.amdhsa_dx10_clamp 1
		.amdhsa_ieee_mode 1
		.amdhsa_fp16_overflow 0
		.amdhsa_tg_split 0
		.amdhsa_exception_fp_ieee_invalid_op 0
		.amdhsa_exception_fp_denorm_src 0
		.amdhsa_exception_fp_ieee_div_zero 0
		.amdhsa_exception_fp_ieee_overflow 0
		.amdhsa_exception_fp_ieee_underflow 0
		.amdhsa_exception_fp_ieee_inexact 0
		.amdhsa_exception_int_div_zero 0
	.end_amdhsa_kernel
	.section	.text._ZN12_GLOBAL__N_139chunk_gated_delta_rule_fwd_h_hip_kernelILi16ELb0ELb1ELb1ELb1ELb1ELb1ELb0ELb0EEEvPK12hip_bfloat16S3_S3_PKfS5_PKvPS1_S8_PvPKiSB_iiiiilll,"axG",@progbits,_ZN12_GLOBAL__N_139chunk_gated_delta_rule_fwd_h_hip_kernelILi16ELb0ELb1ELb1ELb1ELb1ELb1ELb0ELb0EEEvPK12hip_bfloat16S3_S3_PKfS5_PKvPS1_S8_PvPKiSB_iiiiilll,comdat
.Lfunc_end661:
	.size	_ZN12_GLOBAL__N_139chunk_gated_delta_rule_fwd_h_hip_kernelILi16ELb0ELb1ELb1ELb1ELb1ELb1ELb0ELb0EEEvPK12hip_bfloat16S3_S3_PKfS5_PKvPS1_S8_PvPKiSB_iiiiilll, .Lfunc_end661-_ZN12_GLOBAL__N_139chunk_gated_delta_rule_fwd_h_hip_kernelILi16ELb0ELb1ELb1ELb1ELb1ELb1ELb0ELb0EEEvPK12hip_bfloat16S3_S3_PKfS5_PKvPS1_S8_PvPKiSB_iiiiilll
                                        ; -- End function
	.section	.AMDGPU.csdata,"",@progbits
; Kernel info:
; codeLenInByte = 8088
; NumSgprs: 76
; NumVgprs: 114
; NumAgprs: 12
; TotalNumVgprs: 128
; ScratchSize: 0
; MemoryBound: 0
; FloatMode: 240
; IeeeMode: 1
; LDSByteSize: 40960 bytes/workgroup (compile time only)
; SGPRBlocks: 9
; VGPRBlocks: 15
; NumSGPRsForWavesPerEU: 76
; NumVGPRsForWavesPerEU: 128
; AccumOffset: 116
; Occupancy: 1
; WaveLimiterHint : 1
; COMPUTE_PGM_RSRC2:SCRATCH_EN: 0
; COMPUTE_PGM_RSRC2:USER_SGPR: 2
; COMPUTE_PGM_RSRC2:TRAP_HANDLER: 0
; COMPUTE_PGM_RSRC2:TGID_X_EN: 1
; COMPUTE_PGM_RSRC2:TGID_Y_EN: 1
; COMPUTE_PGM_RSRC2:TGID_Z_EN: 0
; COMPUTE_PGM_RSRC2:TIDIG_COMP_CNT: 0
; COMPUTE_PGM_RSRC3_GFX90A:ACCUM_OFFSET: 28
; COMPUTE_PGM_RSRC3_GFX90A:TG_SPLIT: 0
	.section	.text._ZN12_GLOBAL__N_139chunk_gated_delta_rule_fwd_h_hip_kernelILi16ELb0ELb1ELb0ELb1ELb1ELb1ELb0ELb0EEEvPK12hip_bfloat16S3_S3_PKfS5_PKvPS1_S8_PvPKiSB_iiiiilll,"axG",@progbits,_ZN12_GLOBAL__N_139chunk_gated_delta_rule_fwd_h_hip_kernelILi16ELb0ELb1ELb0ELb1ELb1ELb1ELb0ELb0EEEvPK12hip_bfloat16S3_S3_PKfS5_PKvPS1_S8_PvPKiSB_iiiiilll,comdat
	.globl	_ZN12_GLOBAL__N_139chunk_gated_delta_rule_fwd_h_hip_kernelILi16ELb0ELb1ELb0ELb1ELb1ELb1ELb0ELb0EEEvPK12hip_bfloat16S3_S3_PKfS5_PKvPS1_S8_PvPKiSB_iiiiilll ; -- Begin function _ZN12_GLOBAL__N_139chunk_gated_delta_rule_fwd_h_hip_kernelILi16ELb0ELb1ELb0ELb1ELb1ELb1ELb0ELb0EEEvPK12hip_bfloat16S3_S3_PKfS5_PKvPS1_S8_PvPKiSB_iiiiilll
	.p2align	8
	.type	_ZN12_GLOBAL__N_139chunk_gated_delta_rule_fwd_h_hip_kernelILi16ELb0ELb1ELb0ELb1ELb1ELb1ELb0ELb0EEEvPK12hip_bfloat16S3_S3_PKfS5_PKvPS1_S8_PvPKiSB_iiiiilll,@function
_ZN12_GLOBAL__N_139chunk_gated_delta_rule_fwd_h_hip_kernelILi16ELb0ELb1ELb0ELb1ELb1ELb1ELb0ELb0EEEvPK12hip_bfloat16S3_S3_PKfS5_PKvPS1_S8_PvPKiSB_iiiiilll: ; @_ZN12_GLOBAL__N_139chunk_gated_delta_rule_fwd_h_hip_kernelILi16ELb0ELb1ELb0ELb1ELb1ELb1ELb0ELb0EEEvPK12hip_bfloat16S3_S3_PKfS5_PKvPS1_S8_PvPKiSB_iiiiilll
; %bb.0:
	s_load_dwordx4 s[16:19], s[0:1], 0x5c
	s_load_dwordx4 s[20:23], s[0:1], 0x70
	s_abs_i32 s27, s3
	s_ashr_i32 s26, s3, 31
	s_load_dwordx8 s[4:11], s[0:1], 0x0
	s_load_dwordx2 s[36:37], s[0:1], 0x20
	s_load_dwordx2 s[42:43], s[0:1], 0x30
	s_waitcnt lgkmcnt(0)
	s_abs_i32 s28, s17
	v_cvt_f32_u32_e32 v1, s28
	s_sub_i32 s29, 0, s28
	s_ashr_i32 s33, s17, 31
	s_xor_b32 s26, s26, s33
	v_rcp_iflag_f32_e32 v1, v1
	s_load_dwordx4 s[12:15], s[0:1], 0x40
	s_load_dwordx2 s[24:25], s[0:1], 0x50
	v_lshrrev_b32_e32 v53, 6, v0
	v_bfe_u32 v60, v0, 4, 2
	v_mul_f32_e32 v1, 0x4f7ffffe, v1
	v_cvt_u32_f32_e32 v1, v1
	v_lshlrev_b32_e32 v58, 4, v53
	v_lshlrev_b32_e32 v10, 2, v60
	v_and_b32_e32 v59, 63, v0
	v_readfirstlane_b32 s30, v1
	s_mul_i32 s29, s29, s30
	s_mul_hi_u32 s29, s30, s29
	s_add_i32 s30, s30, s29
	s_mul_hi_u32 s29, s27, s30
	s_mul_i32 s30, s29, s28
	s_sub_i32 s27, s27, s30
	s_add_i32 s30, s29, 1
	s_sub_i32 s31, s27, s28
	s_cmp_ge_u32 s27, s28
	s_cselect_b32 s29, s30, s29
	s_cselect_b32 s27, s31, s27
	s_add_i32 s30, s29, 1
	s_cmp_ge_u32 s27, s28
	s_cselect_b32 s27, s30, s29
	s_xor_b32 s27, s27, s26
	s_sub_i32 s34, s27, s26
	s_mul_i32 s26, s34, s17
	s_ashr_i32 s35, s34, 31
	s_sub_i32 s46, s3, s26
	s_lshl_b64 s[26:27], s[34:35], 2
	s_waitcnt lgkmcnt(0)
	s_add_u32 s14, s14, s26
	s_addc_u32 s15, s15, s27
	s_add_u32 s24, s24, s26
	s_addc_u32 s25, s25, s27
	s_abs_i32 s3, s18
	v_cvt_f32_u32_e32 v1, s3
	s_load_dwordx2 s[38:39], s[14:15], 0x0
	s_sub_i32 s15, 0, s3
	s_load_dword s53, s[24:25], 0x0
	v_rcp_iflag_f32_e32 v1, v1
	v_mov_b32_e32 v9, 0
	s_waitcnt lgkmcnt(0)
	s_sub_i32 s51, s39, s38
	s_ashr_i32 s14, s51, 31
	v_mul_f32_e32 v1, 0x4f7ffffe, v1
	v_cvt_u32_f32_e32 v1, v1
	s_lshr_b32 s14, s14, 26
	s_add_i32 s14, s51, s14
	s_ashr_i32 s52, s14, 6
	v_readfirstlane_b32 s26, v1
	s_mul_i32 s15, s15, s26
	s_mul_hi_u32 s15, s26, s15
	s_add_i32 s26, s26, s15
	s_mul_hi_u32 s15, s28, s26
	s_mul_i32 s26, s15, s3
	s_ashr_i32 s14, s18, 31
	s_sub_i32 s26, s28, s26
	s_xor_b32 s14, s33, s14
	s_add_i32 s27, s15, 1
	s_sub_i32 s28, s26, s3
	s_cmp_ge_u32 s26, s3
	s_cselect_b32 s15, s27, s15
	s_cselect_b32 s26, s28, s26
	s_add_i32 s27, s15, 1
	s_cmp_ge_u32 s26, s3
	s_cselect_b32 s3, s27, s15
	s_xor_b32 s3, s3, s14
	s_sub_i32 s3, s3, s14
	s_abs_i32 s26, s3
	v_cvt_f32_u32_e32 v1, s26
	s_load_dwordx2 s[14:15], s[0:1], 0x80
	s_xor_b32 s0, s46, s3
	s_sub_i32 s3, 0, s26
	v_rcp_iflag_f32_e32 v1, v1
	s_abs_i32 s1, s46
	s_ashr_i32 s0, s0, 31
	s_mov_b32 s47, s17
	v_mul_f32_e32 v1, 0x4f7ffffe, v1
	v_cvt_u32_f32_e32 v1, v1
	v_and_b32_e32 v61, 15, v0
	s_mul_hi_i32 s54, s46, s16
	s_mul_i32 s55, s46, s16
	v_readfirstlane_b32 s24, v1
	s_mul_i32 s3, s3, s24
	s_mul_hi_u32 s3, s24, s3
	s_add_i32 s24, s24, s3
	s_mul_hi_u32 s3, s1, s24
	s_mul_i32 s24, s3, s26
	s_sub_i32 s1, s1, s24
	s_add_i32 s24, s3, 1
	s_sub_i32 s25, s1, s26
	s_cmp_ge_u32 s1, s26
	s_cselect_b32 s3, s24, s3
	s_cselect_b32 s1, s25, s1
	s_add_i32 s24, s3, 1
	s_cmp_ge_u32 s1, s26
	s_cselect_b32 s1, s24, s3
	s_xor_b32 s1, s1, s0
	s_sub_i32 s56, s1, s0
	v_or_b32_e32 v1, v10, v58
	s_lshl_b32 s2, s2, 4
	v_or_b32_e32 v64, 64, v1
	s_cmp_lt_i32 s51, 64
	v_lshrrev_b32_e32 v63, 3, v59
	v_lshlrev_b32_e32 v62, 3, v0
	s_mul_i32 s48, s34, s21
	s_mul_hi_u32 s49, s34, s20
	s_mul_i32 s50, s35, s20
	s_mul_i32 s40, s34, s20
	v_mov_b32_e32 v8, v9
	v_mov_b32_e32 v7, v9
	;; [unrolled: 1-line block ×7, first 2 shown]
	s_cbranch_scc1 .LBB662_18
; %bb.1:
	s_ashr_i32 s58, s46, 31
	s_ashr_i32 s1, s38, 31
	s_add_u32 s0, s55, s38
	s_addc_u32 s1, s54, s1
	s_lshl_b64 s[0:1], s[0:1], 8
	v_and_b32_e32 v66, 56, v62
	s_add_u32 s24, s6, s0
	v_lshl_or_b32 v65, v53, 3, v63
	v_lshlrev_b32_e32 v3, 1, v66
	s_addc_u32 s0, s7, s1
	v_lshl_or_b32 v67, v65, 8, v3
	s_and_b32 s25, s0, 0xffff
	s_mov_b32 s27, 0x20000
	s_movk_i32 s26, 0x4000
	s_movk_i32 s0, 0x80
	v_or_b32_e32 v68, 0x2000, v67
	buffer_load_dwordx4 v[4:7], v67, s[24:27], 0 offen
	buffer_load_dwordx4 v[12:15], v67, s[24:27], s0 offen
	;; [unrolled: 1-line block ×4, first 2 shown]
	v_lshlrev_b32_e32 v2, 3, v65
	v_and_or_b32 v9, v0, 7, v2
	v_and_b32_e32 v2, 0x78, v2
	v_lshlrev_b32_e32 v9, 4, v9
	v_xor_b32_e32 v69, v9, v2
	v_mul_lo_u32 v8, v65, s19
	v_or_b32_e32 v70, 0x1000, v69
	v_xor_b32_e32 v2, 8, v69
	s_cmpk_eq_i32 s19, 0x80
	s_mov_b32 s57, s38
	v_xor_b32_e32 v9, 8, v70
	s_cselect_b64 s[0:1], -1, 0
	s_cmpk_lg_i32 s19, 0x80
	s_waitcnt vmcnt(3)
	ds_write_b64 v69, v[4:5] offset:16384
	ds_write_b64 v2, v[6:7] offset:16384
	s_waitcnt vmcnt(2)
	ds_write_b64 v69, v[12:13] offset:24576
	ds_write_b64 v2, v[14:15] offset:24576
	;; [unrolled: 3-line block ×4, first 2 shown]
	v_lshl_add_u32 v2, v8, 1, v66
	s_cbranch_scc0 .LBB662_3
; %bb.2:
	v_lshlrev_b32_e32 v6, 1, v2
	v_add_lshl_u32 v5, v2, s19, 1
	s_lshl_b32 s26, s19, 7
	v_lshl_or_b32 v4, v65, 9, v3
	s_cbranch_execz .LBB662_4
	s_branch .LBB662_5
.LBB662_3:
                                        ; implicit-def: $vgpr5
                                        ; implicit-def: $vgpr6
                                        ; implicit-def: $sgpr26
	v_lshl_or_b32 v4, v65, 9, v3
.LBB662_4:
	v_or_b32_e32 v5, 0x100, v4
	s_movk_i32 s26, 0x4000
	v_mov_b32_e32 v6, v4
.LBB662_5:
	s_mul_i32 s20, s38, s18
	s_ashr_i32 s59, s56, 31
	s_mul_hi_i32 s3, s38, s18
	s_add_u32 s20, s20, s56
	s_addc_u32 s21, s3, s59
	s_lshl_b64 s[20:21], s[20:21], 8
	s_add_u32 s24, s4, s20
	s_addc_u32 s3, s5, s21
	s_and_b32 s25, s3, 0xffff
	s_movk_i32 s60, 0x80
	buffer_load_dwordx4 v[12:15], v6, s[24:27], 0 offen
	s_nop 0
	buffer_load_dwordx4 v[6:9], v6, s[24:27], s60 offen
	s_nop 0
	buffer_load_dwordx4 v[16:19], v5, s[24:27], 0 offen
	buffer_load_dwordx4 v[20:23], v5, s[24:27], s60 offen
	v_and_b32_e32 v3, 6, v0
	v_lshlrev_b32_e32 v11, 2, v61
	v_lshlrev_b32_e32 v24, 3, v61
	v_xor_b32_e32 v26, v65, v3
	v_and_b32_e32 v5, 1, v0
	v_lshl_or_b32 v24, v1, 5, v24
	v_xor_b32_e32 v27, v1, v11
	v_lshlrev_b32_e32 v26, 2, v26
	s_mul_i32 s3, s46, s23
	s_mul_hi_u32 s21, s46, s22
	v_or_b32_e32 v71, 0x9000, v24
	v_or_b32_e32 v72, 0x9800, v24
	v_lshlrev_b32_e32 v24, 1, v27
	v_xor_b32_e32 v27, 0x440, v26
	v_cmp_eq_u32_e32 vcc, 0, v5
	s_add_i32 s25, s49, s48
	s_mul_i32 s24, s58, s22
	v_cndmask_b32_e32 v5, v27, v26, vcc
	s_add_i32 s3, s21, s3
	s_add_i32 s41, s25, s50
	s_mov_b32 s61, 0x1000504
	v_lshlrev_b32_e32 v25, 8, v61
	s_mov_b32 s26, 0x8000
	v_xor_b32_e32 v11, v64, v11
	v_lshl_or_b32 v3, v3, 10, v5
	s_add_i32 s21, s3, s24
	s_lshl_b64 s[24:25], s[40:41], 2
	s_mov_b32 s62, 0x3020706
	s_mul_i32 s20, s46, s22
	v_lshlrev_b32_e32 v11, 1, v11
	v_or3_b32 v73, v24, v25, s26
	v_xor_b32_e32 v5, 8, v3
	v_xor_b32_e32 v24, 24, v3
	;; [unrolled: 1-line block ×4, first 2 shown]
	s_add_u32 s3, s10, s24
	v_or3_b32 v74, v11, v25, s26
	v_xor_b32_e32 v11, 16, v3
	v_xor_b32_e32 v25, 32, v3
	;; [unrolled: 1-line block ×3, first 2 shown]
	v_add_u32_e32 v5, 0x80, v5
	v_add_u32_e32 v24, 0x80, v24
	;; [unrolled: 1-line block ×4, first 2 shown]
	s_addc_u32 s24, s11, s25
	s_lshl_b64 s[20:21], s[20:21], 2
	s_add_u32 s20, s3, s20
	s_movk_i32 s3, 0xf8
	s_addc_u32 s21, s24, s21
	s_lshl_b32 s30, s19, 7
	s_mov_b32 s63, 0
	v_add_u32_e32 v85, v58, v10
	s_waitcnt vmcnt(1)
	v_perm_b32 v29, v12, v16, s61
	s_waitcnt vmcnt(0)
	v_perm_b32 v30, v6, v20, s61
	v_perm_b32 v12, v12, v16, s62
	;; [unrolled: 1-line block ×15, first 2 shown]
	ds_write2st64_b32 v3, v29, v30 offset1:32
	ds_write2st64_b32 v5, v12, v6 offset1:32
	ds_write2st64_b32 v11, v16, v20 offset0:1 offset1:33
	ds_write2st64_b32 v24, v13, v7 offset0:1 offset1:33
	;; [unrolled: 1-line block ×6, first 2 shown]
	v_or_b32_e32 v3, v58, v61
	v_lshlrev_b32_e32 v3, 3, v3
	v_lshrrev_b32_e32 v7, 5, v59
	v_and_or_b32 v7, v3, s3, v7
	v_lshlrev_b32_e32 v7, 4, v7
	v_lshlrev_b32_e32 v11, 11, v53
	v_and_b32_e32 v3, 0x78, v3
	v_or_b32_e32 v12, 32, v7
	v_and_b32_e32 v6, 0x1000, v11
	v_lshrrev_b32_e32 v9, 1, v59
	v_xor_b32_e32 v12, v12, v3
	v_and_b32_e32 v9, 8, v9
	v_or_b32_e32 v12, v12, v6
	v_xor_b32_e32 v8, v7, v3
	v_xor_b32_e32 v77, v12, v9
	v_or_b32_e32 v12, 64, v7
	v_or_b32_e32 v7, 0x60, v7
	;; [unrolled: 1-line block ×3, first 2 shown]
	v_xor_b32_e32 v12, v12, v3
	v_xor_b32_e32 v3, v7, v3
	;; [unrolled: 1-line block ×3, first 2 shown]
	v_and_b32_e32 v8, 0x78, v62
	v_or_b32_e32 v3, v3, v6
	v_lshl_or_b32 v8, v60, 7, v8
	v_xor_b32_e32 v79, v3, v9
	v_lshlrev_b32_e32 v13, 1, v2
	v_add_lshl_u32 v14, v2, s19, 1
	v_lshrrev_b32_e32 v2, 4, v0
	v_lshlrev_b32_e32 v3, 1, v61
	v_or_b32_e32 v76, 0x9000, v8
	v_or_b32_e32 v80, 0x9800, v8
	s_ashr_i32 s3, s2, 31
	v_or_b32_e32 v8, 1, v3
	v_xor_b32_e32 v3, v2, v3
	s_lshl_b64 s[24:25], s[2:3], 8
	v_xor_b32_e32 v8, v8, v2
	v_lshlrev_b32_e32 v3, 3, v3
	v_lshlrev_b32_e32 v2, 8, v2
	s_add_u32 s24, s42, s24
	v_or3_b32 v81, v3, v2, s26
	v_lshlrev_b32_e32 v3, 3, v8
	v_or_b32_e32 v12, v12, v6
	s_addc_u32 s25, s43, s25
	v_or3_b32 v82, v3, v2, s26
	v_mov_b32_e32 v3, 0
	v_lshrrev_b32_e32 v18, 1, v0
	v_xor_b32_e32 v78, v12, v9
	v_lshl_add_u64 v[8:9], s[24:25], 0, v[2:3]
	v_lshlrev_b32_e32 v2, 4, v61
	s_movk_i32 s3, 0xff
	v_lshlrev_b32_e32 v17, 3, v53
	v_and_b32_e32 v18, 24, v18
	v_lshl_add_u64 v[54:55], v[8:9], 0, v[2:3]
	v_and_b32_e32 v2, 7, v0
	v_and_b32_e32 v9, 8, v0
	v_cmp_lt_u32_e32 vcc, s3, v0
	v_xor_b32_e32 v19, v17, v18
	v_lshlrev_b32_e32 v12, 3, v2
	v_lshlrev_b32_e32 v16, 7, v2
	v_cndmask_b32_e64 v2, 0, 1, vcc
	v_or_b32_e32 v20, 0x440, v19
	v_cmp_eq_u32_e32 vcc, 0, v9
	v_or_b32_e32 v22, 64, v18
	v_xor_b32_e32 v22, v17, v22
	v_cndmask_b32_e32 v9, v20, v19, vcc
	v_or_b32_e32 v20, 32, v18
	v_or_b32_e32 v18, 0x60, v18
	v_xor_b32_e32 v20, v17, v20
	v_xor_b32_e32 v17, v17, v18
	v_or_b32_e32 v21, 0x440, v20
	v_xor_b32_e32 v23, 0x440, v22
	v_xor_b32_e32 v18, 0x440, v17
	v_cndmask_b32_e32 v20, v21, v20, vcc
	v_cndmask_b32_e32 v22, v23, v22, vcc
	;; [unrolled: 1-line block ×3, first 2 shown]
	v_lshrrev_b32_e32 v5, 2, v59
	v_or_b32_e32 v6, s2, v61
	v_or_b32_e32 v9, v9, v11
	;; [unrolled: 1-line block ×5, first 2 shown]
	v_and_b32_e32 v5, 12, v5
	v_ashrrev_i32_e32 v7, 31, v6
	v_lshlrev_b32_e32 v2, 13, v2
	v_xor_b32_e32 v9, v9, v12
	v_xor_b32_e32 v20, v20, v12
	;; [unrolled: 1-line block ×4, first 2 shown]
	v_lshl_add_u64 v[6:7], v[6:7], 1, s[8:9]
	v_or_b32_e32 v15, 0x100, v4
	v_or_b32_e32 v8, v5, v58
	v_add_u32_e32 v19, v2, v9
	v_add_u32_e32 v21, v2, v20
	;; [unrolled: 1-line block ×4, first 2 shown]
	v_or3_b32 v12, v58, v5, 64
	v_add_u32_e32 v5, 0x2000, v9
	v_add_u32_e32 v9, 0x2000, v20
	;; [unrolled: 1-line block ×4, first 2 shown]
	v_lshlrev_b32_e32 v2, 8, v1
	v_cndmask_b32_e64 v83, v13, v4, s[0:1]
	v_cndmask_b32_e64 v84, v14, v15, s[0:1]
	v_lshl_add_u64 v[56:57], v[6:7], 0, v[2:3]
	s_mov_b32 s3, 0x7060302
	s_movk_i32 s26, 0x4000
	v_lshlrev_b32_e32 v86, 2, v8
	v_add_u32_e32 v87, v19, v16
	v_add_u32_e32 v88, v21, v16
	;; [unrolled: 1-line block ×4, first 2 shown]
	v_lshlrev_b32_e32 v91, 2, v12
	v_add_u32_e32 v92, v5, v16
	v_add_u32_e32 v93, v9, v16
	;; [unrolled: 1-line block ×4, first 2 shown]
	v_mov_b32_e32 v2, v3
	v_mov_b32_e32 v4, v3
	;; [unrolled: 1-line block ×7, first 2 shown]
	s_waitcnt lgkmcnt(0)
	s_barrier
.LBB662_6:                              ; =>This Inner Loop Header: Depth=1
	s_add_i32 s41, s63, 1
	s_cmp_lt_i32 s41, s52
	s_mov_b64 s[28:29], 0
	s_cselect_b64 s[44:45], -1, 0
	s_cmp_ge_i32 s41, s52
	s_mov_b64 s[24:25], 0
	s_cbranch_scc1 .LBB662_8
; %bb.7:                                ;   in Loop: Header=BB662_6 Depth=1
	s_add_i32 s0, s57, 64
	s_ashr_i32 s1, s0, 31
	s_add_u32 s0, s55, s0
	s_addc_u32 s1, s54, s1
	s_lshl_b64 s[0:1], s[0:1], 8
	s_add_u32 s24, s6, s0
	s_addc_u32 s25, s7, s1
.LBB662_8:                              ;   in Loop: Header=BB662_6 Depth=1
	v_cndmask_b32_e64 v10, 0, 1, s[44:45]
	v_cmp_ne_u32_e64 s[0:1], 1, v10
	s_andn2_b64 vcc, exec, s[44:45]
	s_cbranch_vccnz .LBB662_10
; %bb.9:                                ;   in Loop: Header=BB662_6 Depth=1
	s_add_i32 s28, s57, 64
	s_mul_hi_i32 s29, s28, s18
	s_mul_i32 s28, s28, s18
	s_add_u32 s28, s28, s56
	s_addc_u32 s29, s29, s59
	s_lshl_b64 s[28:29], s[28:29], 8
	s_add_u32 s28, s4, s28
	s_addc_u32 s29, s5, s29
.LBB662_10:                             ;   in Loop: Header=BB662_6 Depth=1
	v_perm_b32 v11, v5, v4, s3
	v_perm_b32 v10, v3, v2, s3
	;; [unrolled: 1-line block ×4, first 2 shown]
	ds_write_b64 v71, v[10:11]
	ds_write_b64 v72, v[12:13]
	;; [unrolled: 1-line block ×4, first 2 shown]
	s_waitcnt lgkmcnt(0)
	s_barrier
	ds_read_b64 v[18:19], v75 offset:16384
	ds_read_b64 v[20:21], v77 offset:16384
	ds_read2st64_b64 v[10:13], v76 offset1:1
	s_waitcnt lgkmcnt(0)
	v_mfma_f32_16x16x16_bf16 a[0:3], v[18:19], v[10:11], 0
	ds_read2st64_b64 v[14:17], v76 offset0:2 offset1:3
	ds_read_b64 v[22:23], v78 offset:16384
	ds_read_b64 v[10:11], v79 offset:16384
	s_add_i32 s64, s57, 63
	v_mfma_f32_16x16x16_bf16 a[0:3], v[20:21], v[12:13], a[0:3]
	s_ashr_i32 s31, s64, 31
	s_mul_i32 s44, s64, s15
	s_mul_hi_u32 s45, s64, s14
	s_waitcnt lgkmcnt(1)
	v_mfma_f32_16x16x16_bf16 a[0:3], v[22:23], v[14:15], a[0:3]
	s_add_i32 s44, s45, s44
	s_mul_i32 s31, s31, s14
	s_add_i32 s45, s44, s31
	s_mul_i32 s44, s64, s14
	s_waitcnt lgkmcnt(0)
	v_mfma_f32_16x16x16_bf16 a[0:3], v[10:11], v[16:17], a[0:3]
	s_lshl_b64 s[44:45], s[44:45], 2
	s_add_u32 s44, s20, s44
	s_addc_u32 s45, s21, s45
	s_and_b64 vcc, exec, s[0:1]
	v_mov_b32_e32 v98, 0
	v_mov_b32_e32 v97, 0
	;; [unrolled: 1-line block ×19, first 2 shown]
	s_cbranch_vccnz .LBB662_12
; %bb.11:                               ;   in Loop: Header=BB662_6 Depth=1
	s_and_b32 s25, s25, 0xffff
	buffer_load_dwordx4 v[22:25], v67, s[24:27], 0 offen
	buffer_load_dwordx4 v[18:21], v67, s[24:27], s60 offen
	;; [unrolled: 1-line block ×4, first 2 shown]
	v_mov_b32_e32 v97, v69
	v_mov_b32_e32 v96, v70
.LBB662_12:                             ;   in Loop: Header=BB662_6 Depth=1
	v_add_u32_e32 v30, s57, v85
	v_ashrrev_i32_e32 v26, 31, v30
	v_mul_lo_u32 v28, v26, s14
	v_mul_lo_u32 v29, v30, s15
	v_mad_u64_u32 v[26:27], s[24:25], v30, s14, 0
	v_add3_u32 v27, v27, v29, v28
	v_lshl_add_u64 v[26:27], v[26:27], 2, s[20:21]
	global_load_dword v48, v[26:27], off
	v_add_u32_e32 v26, 1, v30
	v_ashrrev_i32_e32 v27, 31, v26
	v_mul_lo_u32 v28, v27, s14
	v_mul_lo_u32 v29, v26, s15
	v_mad_u64_u32 v[26:27], s[24:25], v26, s14, 0
	v_add3_u32 v27, v27, v29, v28
	v_add_u32_e32 v28, 2, v30
	v_ashrrev_i32_e32 v29, 31, v28
	v_mul_lo_u32 v31, v29, s14
	v_mul_lo_u32 v32, v28, s15
	v_mad_u64_u32 v[28:29], s[24:25], v28, s14, 0
	v_add_u32_e32 v30, 3, v30
	v_add3_u32 v29, v29, v32, v31
	v_ashrrev_i32_e32 v31, 31, v30
	v_mul_lo_u32 v34, v31, s14
	v_mul_lo_u32 v35, v30, s15
	v_mad_u64_u32 v[30:31], s[24:25], v30, s14, 0
	s_ashr_i32 s25, s57, 31
	s_add_u32 s24, s55, s57
	s_addc_u32 s25, s54, s25
	s_lshl_b64 s[24:25], s[24:25], 8
	v_lshl_add_u64 v[26:27], v[26:27], 2, s[20:21]
	v_lshl_add_u64 v[32:33], v[56:57], 0, s[24:25]
	v_add3_u32 v31, v31, v35, v34
	v_lshl_add_u64 v[28:29], v[28:29], 2, s[20:21]
	global_load_ushort v49, v[32:33], off
	global_load_ushort v50, v[32:33], off offset:256
	global_load_ushort v51, v[32:33], off offset:512
	;; [unrolled: 1-line block ×3, first 2 shown]
	v_lshl_add_u64 v[30:31], v[30:31], 2, s[20:21]
	global_load_dword v100, v[26:27], off
	global_load_dword v101, v[28:29], off
	;; [unrolled: 1-line block ×3, first 2 shown]
	s_load_dword s24, s[44:45], 0x0
	ds_read2st64_b64 v[34:37], v80 offset1:1
	ds_read2st64_b64 v[38:41], v80 offset0:2 offset1:3
	ds_read_b64 v[32:33], v75 offset:24576
	ds_read_b64 v[42:43], v77 offset:24576
	;; [unrolled: 1-line block ×4, first 2 shown]
	s_waitcnt lgkmcnt(0)
	v_mfma_f32_16x16x16_bf16 a[0:3], v[32:33], v[34:35], a[0:3]
	v_mov_b32_e32 v99, 0
	v_mov_b32_e32 v26, 0
	v_mov_b32_e32 v27, 0
	v_mfma_f32_16x16x16_bf16 a[0:3], v[42:43], v[36:37], a[0:3]
	v_mov_b32_e32 v28, 0
	v_mov_b32_e32 v29, 0
	v_mov_b32_e32 v30, 0
	;; [unrolled: 4-line block ×4, first 2 shown]
	v_mov_b32_e32 v37, 0
	v_mov_b32_e32 v38, 0
	;; [unrolled: 1-line block ×3, first 2 shown]
	s_and_b64 vcc, exec, s[0:1]
	v_accvgpr_read_b32 v43, a1
	v_accvgpr_read_b32 v41, a3
	;; [unrolled: 1-line block ×4, first 2 shown]
	s_waitcnt vmcnt(7)
	v_sub_f32_e32 v48, s24, v48
	v_exp_f32_e32 v48, v48
	s_waitcnt vmcnt(6)
	v_lshlrev_b32_e32 v44, 16, v49
	s_waitcnt vmcnt(5)
	v_lshlrev_b32_e32 v45, 16, v50
	;; [unrolled: 2-line block ×3, first 2 shown]
	s_waitcnt vmcnt(2)
	v_sub_f32_e32 v49, s24, v100
	s_waitcnt vmcnt(1)
	v_sub_f32_e32 v50, s24, v101
	;; [unrolled: 2-line block ×3, first 2 shown]
	v_exp_f32_e32 v49, v49
	v_exp_f32_e32 v50, v50
	;; [unrolled: 1-line block ×3, first 2 shown]
	v_lshlrev_b32_e32 v47, 16, v52
	v_pk_add_f32 v[42:43], v[44:45], v[42:43] neg_lo:[0,1] neg_hi:[0,1]
	v_pk_add_f32 v[40:41], v[46:47], v[40:41] neg_lo:[0,1] neg_hi:[0,1]
	v_pk_mul_f32 v[42:43], v[48:49], v[42:43]
	v_pk_mul_f32 v[40:41], v[50:51], v[40:41]
	s_nop 0
	v_perm_b32 v41, v41, v40, s3
	v_perm_b32 v40, v43, v42, s3
	ds_write_b64 v72, v[40:41]
	v_mov_b32_e32 v40, 0
	v_mov_b32_e32 v41, 0
	s_cbranch_vccnz .LBB662_14
; %bb.13:                               ;   in Loop: Header=BB662_6 Depth=1
	s_and_b32 s29, s29, 0xffff
	s_mov_b32 s31, s27
	buffer_load_dwordx4 v[38:41], v83, s[28:31], 0 offen
	buffer_load_dwordx4 v[30:33], v83, s[28:31], s60 offen
	;; [unrolled: 1-line block ×4, first 2 shown]
	v_mov_b32_e32 v98, v66
	v_mov_b32_e32 v99, v65
.LBB662_14:                             ;   in Loop: Header=BB662_6 Depth=1
	s_waitcnt lgkmcnt(0)
	s_barrier
	ds_read_b64 v[42:43], v87
	ds_read_b64 v[48:49], v88
	ds_read2st64_b64 v[44:47], v80 offset1:1
	ds_read2st64_b64 v[100:103], v80 offset0:2 offset1:3
	ds_read_b64 v[50:51], v89
	ds_read_b64 v[108:109], v90
	s_add_i32 s25, s53, s63
	s_mul_hi_i32 s29, s25, s47
	s_mul_i32 s25, s25, s47
	s_waitcnt lgkmcnt(3)
	v_mfma_f32_16x16x16_bf16 a[0:3], v[42:43], v[44:45], 0
	ds_read_b64 v[42:43], v92
	s_add_u32 s28, s25, s46
	s_addc_u32 s29, s29, s58
	v_mfma_f32_16x16x16_bf16 a[0:3], v[48:49], v[46:47], a[0:3]
	ds_read_b64 v[48:49], v93
	s_lshl_b64 s[28:29], s[28:29], 15
	s_mul_i32 s31, s64, s47
	s_mul_hi_i32 s25, s64, s47
	s_add_u32 s44, s31, s46
	s_addc_u32 s45, s25, s58
	s_lshl_b64 s[44:45], s[44:45], 9
	s_add_u32 s44, s36, s44
	s_waitcnt lgkmcnt(1)
	v_mfma_f32_16x16x16_bf16 a[4:7], v[42:43], v[44:45], 0
	s_addc_u32 s45, s37, s45
	s_and_b64 vcc, exec, s[0:1]
	v_mfma_f32_16x16x16_bf16 a[0:3], v[50:51], v[100:101], a[0:3]
	ds_read_b64 v[50:51], v94
	ds_read_b64 v[110:111], v95
	global_load_dwordx4 v[42:45], v91, s[44:45]
	s_waitcnt lgkmcnt(2)
	v_mfma_f32_16x16x16_bf16 a[4:7], v[48:49], v[46:47], a[4:7]
	global_load_dwordx4 v[46:49], v86, s[44:45]
	ds_read_b64 v[104:105], v81
	ds_read_b64 v[106:107], v82
	s_waitcnt lgkmcnt(3)
	v_mfma_f32_16x16x16_bf16 a[8:11], v[50:51], v[100:101], a[4:7]
	v_lshl_add_u64 v[50:51], v[54:55], 0, s[28:29]
	s_waitcnt lgkmcnt(0)
	global_store_dwordx4 v[50:51], v[104:107], off
	v_mfma_f32_16x16x16_bf16 a[4:7], v[108:109], v[102:103], a[0:3]
	s_waitcnt vmcnt(2)
	v_mov_b32_e32 v52, v45
	v_mfma_f32_16x16x16_bf16 a[0:3], v[110:111], v[102:103], a[8:11]
	v_mov_b32_e32 v51, v44
	v_mov_b32_e32 v50, v43
	s_cbranch_vccnz .LBB662_16
; %bb.15:                               ;   in Loop: Header=BB662_6 Depth=1
	v_lshrrev_b32_e32 v43, 3, v98
	v_and_b32_e32 v43, 6, v43
	v_xor_b32_e32 v44, v43, v99
	v_lshlrev_b32_e32 v44, 2, v44
	v_and_b32_e32 v45, 8, v98
	v_xor_b32_e32 v98, 0x440, v44
	v_cmp_eq_u32_e32 vcc, 0, v45
	v_perm_b32 v45, v30, v26, s61
	s_nop 0
	v_cndmask_b32_e32 v44, v98, v44, vcc
	v_lshl_or_b32 v43, v43, 10, v44
	v_perm_b32 v44, v38, v34, s61
	s_barrier
	ds_write2st64_b32 v43, v44, v45 offset1:32
	v_xor_b32_e32 v44, 8, v43
	v_perm_b32 v34, v38, v34, s62
	v_perm_b32 v26, v30, v26, s62
	v_add_u32_e32 v30, 0x80, v44
	ds_write2st64_b32 v30, v34, v26 offset1:32
	v_xor_b32_e32 v26, 16, v43
	v_perm_b32 v30, v39, v35, s61
	v_perm_b32 v34, v31, v27, s61
	ds_write2st64_b32 v26, v30, v34 offset0:1 offset1:33
	v_xor_b32_e32 v26, 24, v43
	v_perm_b32 v30, v39, v35, s62
	v_perm_b32 v27, v31, v27, s62
	v_add_u32_e32 v26, 0x80, v26
	ds_write2st64_b32 v26, v30, v27 offset0:1 offset1:33
	v_xor_b32_e32 v26, 32, v43
	v_perm_b32 v27, v40, v36, s61
	v_perm_b32 v30, v32, v28, s61
	ds_write2st64_b32 v26, v27, v30 offset0:2 offset1:34
	v_xor_b32_e32 v26, 40, v43
	v_perm_b32 v27, v40, v36, s62
	v_perm_b32 v28, v32, v28, s62
	v_add_u32_e32 v26, 0x80, v26
	ds_write2st64_b32 v26, v27, v28 offset0:2 offset1:34
	;; [unrolled: 9-line block ×3, first 2 shown]
	ds_write_b64 v97, v[22:23] offset:16384
	v_xor_b32_e32 v22, 8, v97
	ds_write_b64 v22, v[24:25] offset:16384
	ds_write_b64 v97, v[18:19] offset:24576
	;; [unrolled: 1-line block ×4, first 2 shown]
	v_xor_b32_e32 v14, 8, v96
	ds_write_b64 v14, v[16:17] offset:16384
	ds_write_b64 v96, v[10:11] offset:24576
	;; [unrolled: 1-line block ×3, first 2 shown]
.LBB662_16:                             ;   in Loop: Header=BB662_6 Depth=1
	v_exp_f32_e32 v18, s24
	s_waitcnt vmcnt(1)
	v_exp_f32_e32 v20, v46
	v_exp_f32_e32 v21, v47
	;; [unrolled: 1-line block ×4, first 2 shown]
	v_accvgpr_read_b32 v13, a7
	v_accvgpr_read_b32 v11, a5
	;; [unrolled: 1-line block ×3, first 2 shown]
	v_pk_mul_f32 v[20:21], v[18:19], v[20:21] op_sel_hi:[0,1]
	v_pk_fma_f32 v[2:3], v[2:3], v[20:21], v[10:11]
	v_exp_f32_e32 v20, v42
	v_exp_f32_e32 v21, v50
	v_pk_mul_f32 v[10:11], v[18:19], v[22:23] op_sel_hi:[0,1]
	v_exp_f32_e32 v22, v51
	v_exp_f32_e32 v23, v52
	v_accvgpr_read_b32 v12, a6
	v_accvgpr_read_b32 v17, a3
	;; [unrolled: 1-line block ×4, first 2 shown]
	v_pk_fma_f32 v[4:5], v[4:5], v[10:11], v[12:13]
	v_pk_mul_f32 v[10:11], v[18:19], v[20:21] op_sel_hi:[0,1]
	v_accvgpr_read_b32 v16, a2
	v_pk_fma_f32 v[6:7], v[6:7], v[10:11], v[14:15]
	v_pk_mul_f32 v[10:11], v[18:19], v[22:23] op_sel_hi:[0,1]
	s_add_i32 s57, s57, 64
	s_cmp_eq_u32 s52, s41
	v_pk_fma_f32 v[8:9], v[8:9], v[10:11], v[16:17]
	s_cbranch_scc1 .LBB662_18
; %bb.17:                               ;   in Loop: Header=BB662_6 Depth=1
	s_mov_b32 s63, s41
	s_branch .LBB662_6
.LBB662_18:
	s_lshl_b32 s3, s52, 6
	s_sub_i32 s51, s51, s3
	s_cmp_gt_i32 s51, 0
	v_or_b32_e32 v34, s2, v61
	s_cbranch_scc1 .LBB662_20
; %bb.19:
	s_ashr_i32 s21, s46, 31
	v_or_b32_e32 v10, s2, v61
	s_cbranch_execz .LBB662_21
	s_branch .LBB662_77
.LBB662_20:
                                        ; implicit-def: $vgpr10
                                        ; implicit-def: $sgpr20_sgpr21
.LBB662_21:
	s_add_i32 s20, s3, s38
	s_ashr_i32 s3, s20, 31
	s_cmpk_lg_i32 s19, 0x80
	s_cselect_b64 s[30:31], -1, 0
	s_and_b64 vcc, exec, s[30:31]
	s_cbranch_vccz .LBB662_23
; %bb.22:
	s_mul_hi_i32 s0, s20, s18
	s_mul_i32 s1, s20, s18
	s_ashr_i32 s18, s56, 31
	s_add_u32 s44, s1, s56
	s_addc_u32 s45, s0, s18
	s_cbranch_execz .LBB662_24
	s_branch .LBB662_25
.LBB662_23:
                                        ; implicit-def: $sgpr44_sgpr45
.LBB662_24:
	s_mul_i32 s1, s56, s16
	s_mul_hi_i32 s0, s56, s16
	s_add_u32 s44, s1, s20
	s_addc_u32 s45, s0, s3
.LBB662_25:
	s_add_i32 s16, s52, s53
	s_ashr_i32 s21, s46, 31
	s_add_u32 s0, s55, s20
	s_addc_u32 s1, s54, s3
	s_mov_b32 s3, 0x7060302
	v_lshlrev_b32_e32 v14, 3, v61
	s_lshl_b64 s[28:29], s[0:1], 8
	v_perm_b32 v11, v5, v4, s3
	v_perm_b32 v10, v3, v2, s3
	;; [unrolled: 1-line block ×4, first 2 shown]
	v_lshlrev_b32_e32 v44, 2, v61
	v_lshl_or_b32 v14, v1, 5, v14
	s_add_u32 s0, s6, s28
	ds_write2st64_b64 v14, v[10:11], v[12:13] offset0:72 offset1:76
	v_xor_b32_e32 v14, v1, v44
	v_lshlrev_b32_e32 v15, 8, v61
	s_addc_u32 s1, s7, s29
	v_lshl_or_b32 v14, v14, 1, v15
	s_mul_hi_i32 s3, s16, s17
	s_mul_i32 s16, s16, s17
	ds_write_b64 v14, v[10:11] offset:32768
	v_xor_b32_e32 v10, v64, v44
	s_add_u32 s6, s16, s46
	v_lshl_or_b32 v10, v10, 1, v15
	s_addc_u32 s7, s3, s21
	v_lshlrev_b32_e32 v11, 1, v61
	ds_write_b64 v10, v[12:13] offset:32768
	v_lshrrev_b32_e32 v10, 4, v0
	s_ashr_i32 s3, s2, 31
	s_lshl_b64 s[6:7], s[6:7], 15
	v_or_b32_e32 v12, 1, v11
	s_add_u32 s6, s42, s6
	v_xor_b32_e32 v11, v10, v11
	v_xor_b32_e32 v12, v12, v10
	v_lshlrev_b32_e32 v14, 8, v10
	s_addc_u32 s7, s43, s7
	s_lshl_b64 s[2:3], s[2:3], 8
	v_lshl_or_b32 v10, v11, 3, v14
	v_lshl_or_b32 v12, v12, 3, v14
	s_waitcnt lgkmcnt(0)
	s_barrier
	s_add_u32 s2, s6, s2
	ds_read_b64 v[10:11], v10 offset:32768
	ds_read_b64 v[12:13], v12 offset:32768
	s_addc_u32 s3, s7, s3
	v_mov_b32_e32 v15, 0
	s_cmp_lg_u32 s51, 64
	v_lshl_add_u64 v[16:17], s[2:3], 0, v[14:15]
	v_lshlrev_b32_e32 v14, 4, v61
	s_cselect_b64 s[6:7], -1, 0
	v_lshl_or_b32 v35, v53, 3, v63
	s_mov_b32 s24, 0
	v_lshl_add_u64 v[14:15], v[16:17], 0, v[14:15]
	v_or_b32_e32 v27, 32, v35
	v_and_b32_e32 v26, 56, v62
	s_and_b64 vcc, exec, s[6:7]
	s_waitcnt lgkmcnt(0)
	global_store_dwordx4 v[14:15], v[10:13], off
	s_cbranch_vccz .LBB662_31
; %bb.26:
	s_mov_b32 s25, s24
	s_mov_b32 s26, s24
	;; [unrolled: 1-line block ×3, first 2 shown]
	v_mov_b64_e32 v[14:15], s[24:25]
	v_mov_b64_e32 v[16:17], s[26:27]
	;; [unrolled: 1-line block ×3, first 2 shown]
	v_cmp_gt_i32_e32 vcc, s51, v35
	v_mov_b64_e32 v[12:13], v[16:17]
	s_and_saveexec_b64 s[2:3], vcc
	s_cbranch_execz .LBB662_28
; %bb.27:
	v_lshlrev_b32_e32 v10, 8, v35
	v_mov_b32_e32 v11, 0
	v_lshl_add_u64 v[12:13], s[0:1], 0, v[10:11]
	v_lshlrev_b32_e32 v10, 1, v26
	v_lshl_add_u64 v[18:19], v[12:13], 0, v[10:11]
	global_load_dwordx4 v[14:17], v[18:19], off
	global_load_dwordx4 v[10:13], v[18:19], off offset:128
.LBB662_28:
	s_or_b64 exec, exec, s[2:3]
	s_mov_b32 s25, s24
	s_mov_b32 s26, s24
	;; [unrolled: 1-line block ×3, first 2 shown]
	v_mov_b64_e32 v[22:23], s[24:25]
	v_mov_b64_e32 v[24:25], s[26:27]
	;; [unrolled: 1-line block ×3, first 2 shown]
	v_cmp_gt_i32_e32 vcc, s51, v27
	v_lshlrev_b32_e32 v28, 7, v27
	v_mov_b64_e32 v[20:21], v[24:25]
	s_and_saveexec_b64 s[2:3], vcc
	s_cbranch_execz .LBB662_30
; %bb.29:
	v_lshlrev_b32_e32 v18, 1, v28
	v_mov_b32_e32 v19, 0
	v_lshl_add_u64 v[20:21], s[0:1], 0, v[18:19]
	v_lshlrev_b32_e32 v18, 1, v26
	v_lshl_add_u64 v[30:31], v[20:21], 0, v[18:19]
	global_load_dwordx4 v[22:25], v[30:31], off
	global_load_dwordx4 v[18:21], v[30:31], off offset:128
.LBB662_30:
	s_or_b64 exec, exec, s[2:3]
	v_lshrrev_b32_e32 v29, 3, v26
	v_lshlrev_b32_e32 v30, 3, v35
	v_or_b32_e32 v29, v30, v29
	v_lshlrev_b32_e32 v29, 4, v29
	v_and_b32_e32 v30, 0x78, v30
	v_xor_b32_e32 v29, v29, v30
	s_branch .LBB662_33
.LBB662_31:
                                        ; implicit-def: $vgpr29
                                        ; implicit-def: $vgpr28
                                        ; implicit-def: $vgpr14_vgpr15_vgpr16_vgpr17
                                        ; implicit-def: $vgpr10_vgpr11_vgpr12_vgpr13
                                        ; implicit-def: $vgpr22_vgpr23_vgpr24_vgpr25
                                        ; implicit-def: $vgpr18_vgpr19_vgpr20_vgpr21
	s_cbranch_execz .LBB662_33
; %bb.32:
	s_waitcnt vmcnt(0)
	v_lshlrev_b32_e32 v10, 1, v26
	v_lshl_or_b32 v28, v35, 8, v10
	s_and_b32 s1, s1, 0xffff
	s_mov_b32 s3, 0x20000
	s_movk_i32 s2, 0x4000
	v_lshl_or_b32 v29, v27, 8, v10
	s_movk_i32 s16, 0x80
	buffer_load_dwordx4 v[14:17], v28, s[0:3], 0 offen
	buffer_load_dwordx4 v[10:13], v28, s[0:3], s16 offen
	;; [unrolled: 1-line block ×4, first 2 shown]
	v_lshrrev_b32_e32 v28, 3, v26
	v_lshlrev_b32_e32 v29, 3, v35
	v_or_b32_e32 v28, v29, v28
	v_lshlrev_b32_e32 v28, 4, v28
	v_and_b32_e32 v29, 0x78, v29
	v_xor_b32_e32 v29, v28, v29
	v_lshlrev_b32_e32 v28, 7, v27
.LBB662_33:
	s_lshl_b64 s[0:1], s[44:45], 8
	s_add_u32 s4, s4, s0
	s_movk_i32 s0, 0x1000
	v_and_or_b32 v27, v28, s0, v29
	s_waitcnt vmcnt(1)
	ds_write_b64 v29, v[14:15] offset:16384
	v_xor_b32_e32 v14, 8, v29
	s_addc_u32 s5, s5, s1
	ds_write_b64 v14, v[16:17] offset:16384
	s_waitcnt vmcnt(0)
	ds_write_b64 v29, v[10:11] offset:24576
	ds_write_b64 v14, v[12:13] offset:24576
	;; [unrolled: 1-line block ×3, first 2 shown]
	v_xor_b32_e32 v10, 8, v27
	s_add_i32 s18, s39, -1
	ds_write_b64 v10, v[24:25] offset:16384
	ds_write_b64 v27, v[18:19] offset:24576
	;; [unrolled: 1-line block ×3, first 2 shown]
	s_mul_i32 s3, s18, s15
	s_mul_hi_u32 s16, s18, s14
	v_or_b32_e32 v10, v58, v61
	s_add_i32 s3, s16, s3
	v_lshlrev_b32_e32 v10, 3, v10
	v_lshrrev_b32_e32 v12, 5, v59
	s_movk_i32 s16, 0xf8
	v_and_or_b32 v12, v10, s16, v12
	v_lshlrev_b32_e32 v45, 11, v53
	v_lshlrev_b32_e32 v20, 4, v12
	v_and_b32_e32 v21, 0x78, v10
	v_and_b32_e32 v22, 0x1000, v45
	v_lshlrev_b32_e32 v11, 2, v0
	v_xor_b32_e32 v10, v20, v21
	v_lshrrev_b32_e32 v12, 1, v59
	v_and_b32_e32 v11, 60, v11
	v_or_b32_e32 v10, v10, v22
	v_and_b32_e32 v23, 8, v12
	v_xor_b32_e32 v36, v10, v23
	v_lshl_or_b32 v10, v60, 6, v11
	v_lshlrev_b32_e32 v46, 1, v10
	v_or_b32_e32 v10, 32, v20
	v_xor_b32_e32 v10, v10, v21
	s_waitcnt lgkmcnt(0)
	s_barrier
	ds_read_b64 v[18:19], v36 offset:16384
	v_or_b32_e32 v10, v10, v22
	v_xor_b32_e32 v37, v10, v23
	v_or_b32_e32 v10, 64, v20
	v_xor_b32_e32 v10, v10, v21
	v_or_b32_e32 v10, v10, v22
	v_or_b32_e32 v20, 0x60, v20
	v_xor_b32_e32 v38, v10, v23
	ds_read2st64_b64 v[10:13], v46 offset0:72 offset1:73
	ds_read2st64_b64 v[14:17], v46 offset0:74 offset1:75
	v_xor_b32_e32 v24, v20, v21
	ds_read_b64 v[20:21], v37 offset:16384
	s_waitcnt lgkmcnt(2)
	v_mfma_f32_16x16x16_bf16 a[0:3], v[18:19], v[10:11], 0
	s_add_i32 s0, s49, s48
	s_add_i32 s41, s0, s50
	s_mul_i32 s0, s46, s23
	s_mul_hi_u32 s1, s46, s22
	s_ashr_i32 s2, s18, 31
	s_add_i32 s0, s1, s0
	s_mul_i32 s1, s21, s22
	s_mul_i32 s2, s2, s14
	v_or_b32_e32 v22, v24, v22
	s_add_i32 s1, s0, s1
	s_mul_i32 s0, s46, s22
	s_add_i32 s3, s3, s2
	s_lshl_b64 s[22:23], s[40:41], 2
	v_xor_b32_e32 v47, v22, v23
	ds_read_b64 v[22:23], v38 offset:16384
	ds_read_b64 v[24:25], v47 offset:16384
	s_waitcnt lgkmcnt(2)
	v_mfma_f32_16x16x16_bf16 a[0:3], v[20:21], v[12:13], a[0:3]
	s_add_u32 s10, s10, s22
	s_addc_u32 s11, s11, s23
	s_lshl_b64 s[0:1], s[0:1], 2
	s_mul_i32 s2, s18, s14
	s_add_u32 s10, s10, s0
	s_addc_u32 s11, s11, s1
	s_lshl_b64 s[0:1], s[2:3], 2
	s_waitcnt lgkmcnt(1)
	v_mfma_f32_16x16x16_bf16 a[0:3], v[22:23], v[14:15], a[0:3]
	s_add_u32 s0, s10, s0
	s_addc_u32 s1, s11, s1
	s_load_dword s16, s[0:1], 0x0
	s_waitcnt lgkmcnt(0)
	v_mfma_f32_16x16x16_bf16 a[0:3], v[24:25], v[16:17], a[0:3]
	s_and_b64 vcc, exec, s[30:31]
	s_cbranch_vccz .LBB662_44
; %bb.34:
	v_lshlrev_b32_e32 v27, 1, v35
	s_and_b64 vcc, exec, s[6:7]
	s_cbranch_vccz .LBB662_45
; %bb.35:
	v_cmp_gt_i32_e32 vcc, s51, v27
	v_mov_b32_e32 v14, 0
	v_mov_b32_e32 v10, 0
	;; [unrolled: 1-line block ×5, first 2 shown]
	s_and_saveexec_b64 s[0:1], vcc
	s_cbranch_execz .LBB662_37
; %bb.36:
	v_mad_i64_i32 v[10:11], s[2:3], s19, v27, 0
	v_lshl_add_u64 v[10:11], v[10:11], 1, s[4:5]
	v_lshlrev_b32_e32 v12, 1, v26
	v_mov_b32_e32 v13, 0
	v_lshl_add_u64 v[10:11], v[10:11], 0, v[12:13]
	global_load_dwordx4 v[10:13], v[10:11], off
.LBB662_37:
	s_or_b64 exec, exec, s[0:1]
	v_or_b32_e32 v28, 1, v27
	v_cmp_gt_i32_e64 s[0:1], s51, v28
	v_mov_b32_e32 v15, 0
	v_mov_b32_e32 v16, 0
	;; [unrolled: 1-line block ×3, first 2 shown]
	s_and_saveexec_b64 s[2:3], s[0:1]
	s_cbranch_execz .LBB662_39
; %bb.38:
	v_mad_i64_i32 v[14:15], s[22:23], s19, v28, 0
	v_lshl_add_u64 v[14:15], v[14:15], 1, s[4:5]
	v_lshlrev_b32_e32 v16, 1, v26
	v_mov_b32_e32 v17, 0
	v_lshl_add_u64 v[14:15], v[14:15], 0, v[16:17]
	global_load_dwordx4 v[14:17], v[14:15], off
.LBB662_39:
	s_or_b64 exec, exec, s[2:3]
	v_mov_b32_e32 v25, 0
	v_mov_b32_e32 v18, 0
	;; [unrolled: 1-line block ×5, first 2 shown]
	s_and_saveexec_b64 s[2:3], vcc
	s_cbranch_execz .LBB662_41
; %bb.40:
	v_mad_i64_i32 v[18:19], s[22:23], s19, v27, 0
	v_lshl_add_u64 v[18:19], v[18:19], 1, s[4:5]
	v_lshlrev_b32_e32 v20, 1, v26
	v_mov_b32_e32 v21, 0
	v_lshl_add_u64 v[18:19], v[18:19], 0, v[20:21]
	global_load_dwordx4 v[18:21], v[18:19], off offset:128
.LBB662_41:
	s_or_b64 exec, exec, s[2:3]
	v_mov_b32_e32 v24, 0
	v_mov_b32_e32 v23, 0
	v_mov_b32_e32 v22, 0
	s_and_saveexec_b64 s[2:3], s[0:1]
	s_cbranch_execz .LBB662_43
; %bb.42:
	v_mad_i64_i32 v[22:23], s[0:1], s19, v28, 0
	v_lshl_add_u64 v[22:23], v[22:23], 1, s[4:5]
	v_lshlrev_b32_e32 v24, 1, v26
	v_mov_b32_e32 v25, 0
	v_lshl_add_u64 v[22:23], v[22:23], 0, v[24:25]
	global_load_dwordx4 v[22:25], v[22:23], off offset:128
.LBB662_43:
	s_or_b64 exec, exec, s[2:3]
	s_branch .LBB662_47
.LBB662_44:
                                        ; implicit-def: $vgpr13
                                        ; implicit-def: $vgpr17
                                        ; implicit-def: $vgpr21
                                        ; implicit-def: $vgpr25
	v_lshrrev_b32_e32 v27, 2, v59
	s_branch .LBB662_48
.LBB662_45:
                                        ; implicit-def: $vgpr13
                                        ; implicit-def: $vgpr17
                                        ; implicit-def: $vgpr21
                                        ; implicit-def: $vgpr25
	s_cbranch_execz .LBB662_47
; %bb.46:
	s_waitcnt vmcnt(0)
	v_mad_u64_u32 v[10:11], s[0:1], v27, s19, v[26:27]
	v_lshlrev_b32_e32 v27, 1, v10
	s_lshl_b32 s2, s19, 7
	s_and_b32 s1, s5, 0xffff
	s_mov_b32 s3, 0x20000
	s_mov_b32 s0, s4
	v_add_lshl_u32 v28, v10, s19, 1
	s_movk_i32 s19, 0x80
	buffer_load_dwordx4 v[10:13], v27, s[0:3], 0 offen
	buffer_load_dwordx4 v[18:21], v27, s[0:3], s19 offen
	;; [unrolled: 1-line block ×4, first 2 shown]
.LBB662_47:
	v_lshrrev_b32_e32 v27, 2, v59
	s_cbranch_execnz .LBB662_60
.LBB662_48:
	s_and_b64 vcc, exec, s[6:7]
	s_cbranch_vccz .LBB662_58
; %bb.49:
	s_waitcnt vmcnt(0)
	v_lshlrev_b32_e32 v15, 1, v35
	v_cmp_gt_i32_e32 vcc, s51, v15
	v_mov_b32_e32 v14, 0
	v_lshlrev_b32_e32 v22, 9, v35
	v_mov_b32_e32 v10, 0
	v_mov_b32_e32 v11, 0
	;; [unrolled: 1-line block ×4, first 2 shown]
	s_and_saveexec_b64 s[0:1], vcc
	s_cbranch_execz .LBB662_51
; %bb.50:
	v_mov_b32_e32 v23, 0
	v_lshl_add_u64 v[10:11], s[4:5], 0, v[22:23]
	v_lshlrev_b32_e32 v12, 1, v26
	v_mov_b32_e32 v13, v23
	v_lshl_add_u64 v[10:11], v[10:11], 0, v[12:13]
	global_load_dwordx4 v[10:13], v[10:11], off
.LBB662_51:
	s_or_b64 exec, exec, s[0:1]
	v_or_b32_e32 v15, 1, v15
	v_cmp_gt_i32_e64 s[0:1], s51, v15
	v_lshlrev_b32_e32 v28, 8, v15
	v_mov_b32_e32 v15, 0
	v_mov_b32_e32 v16, 0
	;; [unrolled: 1-line block ×3, first 2 shown]
	s_and_saveexec_b64 s[2:3], s[0:1]
	s_cbranch_execz .LBB662_53
; %bb.52:
	v_mov_b32_e32 v29, 0
	v_lshl_add_u64 v[14:15], s[4:5], 0, v[28:29]
	v_lshlrev_b32_e32 v16, 1, v26
	v_mov_b32_e32 v17, v29
	v_lshl_add_u64 v[14:15], v[14:15], 0, v[16:17]
	global_load_dwordx4 v[14:17], v[14:15], off
.LBB662_53:
	s_or_b64 exec, exec, s[2:3]
	v_mov_b32_e32 v25, 0
	v_mov_b32_e32 v18, 0
	;; [unrolled: 1-line block ×5, first 2 shown]
	s_and_saveexec_b64 s[2:3], vcc
	s_cbranch_execz .LBB662_55
; %bb.54:
	v_mov_b32_e32 v23, 0
	v_lshl_add_u64 v[18:19], s[4:5], 0, v[22:23]
	v_lshlrev_b32_e32 v22, 1, v26
	v_lshl_add_u64 v[18:19], v[18:19], 0, v[22:23]
	global_load_dwordx4 v[18:21], v[18:19], off offset:128
.LBB662_55:
	s_or_b64 exec, exec, s[2:3]
	v_mov_b32_e32 v24, 0
	v_mov_b32_e32 v23, 0
	;; [unrolled: 1-line block ×3, first 2 shown]
	s_and_saveexec_b64 s[2:3], s[0:1]
	s_cbranch_execz .LBB662_57
; %bb.56:
	v_mov_b32_e32 v29, 0
	v_lshl_add_u64 v[22:23], s[4:5], 0, v[28:29]
	v_lshlrev_b32_e32 v28, 1, v26
	v_lshl_add_u64 v[22:23], v[22:23], 0, v[28:29]
	global_load_dwordx4 v[22:25], v[22:23], off offset:128
.LBB662_57:
	s_or_b64 exec, exec, s[2:3]
	s_branch .LBB662_60
.LBB662_58:
                                        ; implicit-def: $vgpr13
                                        ; implicit-def: $vgpr17
                                        ; implicit-def: $vgpr21
                                        ; implicit-def: $vgpr25
	s_cbranch_execz .LBB662_60
; %bb.59:
	s_waitcnt vmcnt(0)
	v_lshlrev_b32_e32 v10, 1, v26
	v_lshl_or_b32 v26, v35, 9, v10
	s_and_b32 s5, s5, 0xffff
	s_mov_b32 s7, 0x20000
	s_movk_i32 s6, 0x4000
	s_movk_i32 s0, 0x80
	buffer_load_dwordx4 v[10:13], v26, s[4:7], 0 offen
	buffer_load_dwordx4 v[14:17], v26, s[4:7], 0 offen offset:256
	buffer_load_dwordx4 v[18:21], v26, s[4:7], s0 offen
	buffer_load_dwordx4 v[22:25], v26, s[4:7], s0 offen offset:256
.LBB662_60:
	v_and_b32_e32 v48, 12, v27
	ds_read2st64_b64 v[30:33], v46 offset0:76 offset1:77
	ds_read2st64_b64 v[26:29], v46 offset0:78 offset1:79
	ds_read_b64 v[40:41], v36 offset:24576
	ds_read_b64 v[42:43], v37 offset:24576
	;; [unrolled: 1-line block ×4, first 2 shown]
	v_and_b32_e32 v47, 6, v0
	v_xor_b32_e32 v35, v35, v47
	v_lshlrev_b32_e32 v35, 2, v35
	v_and_b32_e32 v49, 1, v0
	v_xor_b32_e32 v50, 0x440, v35
	v_cmp_eq_u32_e32 vcc, 0, v49
	s_mov_b32 s0, 0x1000504
	s_waitcnt vmcnt(0)
	v_perm_b32 v49, v18, v22, s0
	v_cndmask_b32_e32 v35, v50, v35, vcc
	v_lshl_or_b32 v35, v47, 10, v35
	v_perm_b32 v47, v10, v14, s0
	ds_write2st64_b32 v35, v47, v49 offset1:32
	v_xor_b32_e32 v47, 8, v35
	s_mov_b32 s1, 0x3020706
	v_perm_b32 v10, v10, v14, s1
	v_perm_b32 v14, v18, v22, s1
	v_add_u32_e32 v18, 0x80, v47
	ds_write2st64_b32 v18, v10, v14 offset1:32
	v_xor_b32_e32 v10, 16, v35
	v_perm_b32 v14, v11, v15, s0
	v_perm_b32 v18, v19, v23, s0
	ds_write2st64_b32 v10, v14, v18 offset0:1 offset1:33
	v_xor_b32_e32 v10, 24, v35
	v_perm_b32 v11, v11, v15, s1
	v_perm_b32 v14, v19, v23, s1
	v_add_u32_e32 v10, 0x80, v10
	ds_write2st64_b32 v10, v11, v14 offset0:1 offset1:33
	v_xor_b32_e32 v10, 32, v35
	v_perm_b32 v11, v12, v16, s0
	v_perm_b32 v14, v20, v24, s0
	ds_write2st64_b32 v10, v11, v14 offset0:2 offset1:34
	v_xor_b32_e32 v10, 40, v35
	v_perm_b32 v11, v12, v16, s1
	v_perm_b32 v12, v20, v24, s1
	v_add_u32_e32 v10, 0x80, v10
	ds_write2st64_b32 v10, v11, v12 offset0:2 offset1:34
	v_xor_b32_e32 v10, 48, v35
	v_perm_b32 v11, v13, v17, s0
	v_perm_b32 v12, v21, v25, s0
	ds_write2st64_b32 v10, v11, v12 offset0:3 offset1:35
	v_xor_b32_e32 v10, 56, v35
	v_or_b32_e32 v16, v48, v58
	v_perm_b32 v11, v13, v17, s1
	v_perm_b32 v12, v21, v25, s1
	v_add_u32_e32 v10, 0x80, v10
	v_cmp_gt_i32_e32 vcc, s51, v16
	v_mov_b32_e32 v17, 0
	v_mov_b32_e32 v22, 0
	ds_write2st64_b32 v10, v11, v12 offset0:3 offset1:35
	s_and_saveexec_b64 s[0:1], vcc
	s_cbranch_execz .LBB662_62
; %bb.61:
	v_add_u32_e32 v10, s20, v16
	v_ashrrev_i32_e32 v11, 31, v10
	v_mul_lo_u32 v12, v11, s14
	v_mul_lo_u32 v13, v10, s15
	v_mad_u64_u32 v[10:11], s[2:3], v10, s14, 0
	v_add3_u32 v11, v11, v13, v12
	v_lshl_add_u64 v[10:11], v[10:11], 2, s[10:11]
	global_load_dword v10, v[10:11], off
	s_waitcnt vmcnt(0)
	v_sub_f32_e32 v10, s16, v10
	v_exp_f32_e32 v22, v10
.LBB662_62:
	s_or_b64 exec, exec, s[0:1]
	v_or_b32_e32 v19, 1, v16
	v_cmp_gt_i32_e64 s[0:1], s51, v19
	s_and_saveexec_b64 s[2:3], s[0:1]
	s_cbranch_execz .LBB662_64
; %bb.63:
	v_add_u32_e32 v10, s20, v19
	v_ashrrev_i32_e32 v11, 31, v10
	v_mul_lo_u32 v12, v11, s14
	v_mul_lo_u32 v13, v10, s15
	v_mad_u64_u32 v[10:11], s[4:5], v10, s14, 0
	v_add3_u32 v11, v11, v13, v12
	v_lshl_add_u64 v[10:11], v[10:11], 2, s[10:11]
	global_load_dword v10, v[10:11], off
	s_waitcnt vmcnt(0)
	v_sub_f32_e32 v10, s16, v10
	v_exp_f32_e32 v17, v10
.LBB662_64:
	s_or_b64 exec, exec, s[2:3]
	v_or_b32_e32 v20, 2, v16
	v_cmp_gt_i32_e64 s[2:3], s51, v20
	v_mov_b32_e32 v18, 0
	v_mov_b32_e32 v23, 0
	s_and_saveexec_b64 s[4:5], s[2:3]
	s_cbranch_execz .LBB662_66
; %bb.65:
	v_add_u32_e32 v10, s20, v20
	v_ashrrev_i32_e32 v11, 31, v10
	v_mul_lo_u32 v12, v11, s14
	v_mul_lo_u32 v13, v10, s15
	v_mad_u64_u32 v[10:11], s[6:7], v10, s14, 0
	v_add3_u32 v11, v11, v13, v12
	v_lshl_add_u64 v[10:11], v[10:11], 2, s[10:11]
	global_load_dword v10, v[10:11], off
	s_waitcnt vmcnt(0)
	v_sub_f32_e32 v10, s16, v10
	v_exp_f32_e32 v23, v10
.LBB662_66:
	s_or_b64 exec, exec, s[4:5]
	v_or_b32_e32 v21, 3, v16
	v_cmp_gt_i32_e64 s[4:5], s51, v21
	s_and_saveexec_b64 s[6:7], s[4:5]
	s_cbranch_execz .LBB662_68
; %bb.67:
	v_add_u32_e32 v10, s20, v21
	v_ashrrev_i32_e32 v11, 31, v10
	v_mul_lo_u32 v12, v11, s14
	v_mul_lo_u32 v13, v10, s15
	v_mad_u64_u32 v[10:11], s[14:15], v10, s14, 0
	v_add3_u32 v11, v11, v13, v12
	v_lshl_add_u64 v[10:11], v[10:11], 2, s[10:11]
	global_load_dword v10, v[10:11], off
	s_waitcnt vmcnt(0)
	v_sub_f32_e32 v10, s16, v10
	v_exp_f32_e32 v18, v10
.LBB662_68:
	s_or_b64 exec, exec, s[6:7]
	s_waitcnt lgkmcnt(11)
	v_mfma_f32_16x16x16_bf16 a[0:3], v[40:41], v[30:31], a[0:3]
	s_add_u32 s6, s8, s28
	v_ashrrev_i32_e32 v35, 31, v34
	s_addc_u32 s7, s9, s29
	s_waitcnt lgkmcnt(10)
	v_mfma_f32_16x16x16_bf16 a[0:3], v[42:43], v[32:33], a[0:3]
	v_mov_b32_e32 v24, 0
	v_lshl_add_u64 v[14:15], v[34:35], 1, s[6:7]
	v_mov_b32_e32 v25, 0
	s_waitcnt lgkmcnt(9)
	v_mfma_f32_16x16x16_bf16 a[0:3], v[38:39], v[26:27], a[0:3]
	s_waitcnt lgkmcnt(8)
	v_mfma_f32_16x16x16_bf16 a[0:3], v[36:37], v[28:29], a[0:3]
	s_nop 6
	v_accvgpr_read_b32 v13, a3
	v_accvgpr_read_b32 v12, a2
	;; [unrolled: 1-line block ×4, first 2 shown]
	s_and_saveexec_b64 s[6:7], vcc
	s_cbranch_execz .LBB662_70
; %bb.69:
	v_lshlrev_b32_e32 v26, 8, v16
	v_mov_b32_e32 v27, 0
	v_lshl_add_u64 v[26:27], v[14:15], 0, v[26:27]
	global_load_ushort v25, v[26:27], off
	s_waitcnt vmcnt(0)
	v_lshlrev_b32_e32 v25, 16, v25
	v_sub_f32_e32 v10, v25, v10
	v_mul_f32_e32 v10, v22, v10
	v_lshrrev_b32_e32 v25, 16, v10
.LBB662_70:
	s_or_b64 exec, exec, s[6:7]
	s_and_saveexec_b64 s[6:7], s[0:1]
	s_cbranch_execz .LBB662_72
; %bb.71:
	v_lshlrev_b32_e32 v26, 8, v19
	v_mov_b32_e32 v27, 0
	v_lshl_add_u64 v[26:27], v[14:15], 0, v[26:27]
	global_load_ushort v10, v[26:27], off
	s_waitcnt vmcnt(0)
	v_lshlrev_b32_e32 v10, 16, v10
	v_sub_f32_e32 v10, v10, v11
	v_mul_f32_e32 v10, v17, v10
	v_lshrrev_b32_e32 v24, 16, v10
.LBB662_72:
	s_or_b64 exec, exec, s[6:7]
	v_mov_b32_e32 v11, 0
	v_mov_b32_e32 v17, 0
	s_and_saveexec_b64 s[0:1], s[2:3]
	s_cbranch_execz .LBB662_74
; %bb.73:
	v_lshlrev_b32_e32 v26, 8, v20
	v_mov_b32_e32 v27, 0
	v_lshl_add_u64 v[26:27], v[14:15], 0, v[26:27]
	global_load_ushort v10, v[26:27], off
	s_waitcnt vmcnt(0)
	v_lshlrev_b32_e32 v10, 16, v10
	v_sub_f32_e32 v10, v10, v12
	v_mul_f32_e32 v10, v23, v10
	v_lshrrev_b32_e32 v17, 16, v10
.LBB662_74:
	s_or_b64 exec, exec, s[0:1]
	v_or_b32_e32 v10, 0x9800, v46
	s_and_saveexec_b64 s[0:1], s[4:5]
	s_cbranch_execz .LBB662_76
; %bb.75:
	v_lshlrev_b32_e32 v20, 8, v21
	v_mov_b32_e32 v21, 0
	v_lshl_add_u64 v[14:15], v[14:15], 0, v[20:21]
	global_load_ushort v11, v[14:15], off
	s_waitcnt vmcnt(0)
	v_lshlrev_b32_e32 v11, 16, v11
	v_sub_f32_e32 v11, v11, v13
	v_mul_f32_e32 v11, v18, v11
	v_lshrrev_b32_e32 v11, 16, v11
.LBB662_76:
	s_or_b64 exec, exec, s[0:1]
	s_mov_b32 s0, 0x5040100
	v_perm_b32 v13, v11, v17, s0
	v_lshlrev_b32_e32 v11, 1, v44
	v_perm_b32 v12, v24, v25, s0
	v_lshl_or_b32 v11, v16, 5, v11
	s_movk_i32 s2, 0xff
	ds_write_b64 v11, v[12:13] offset:38912
	v_and_b32_e32 v11, 7, v0
	v_cmp_lt_u32_e32 vcc, s2, v0
	v_and_b32_e32 v12, 8, v0
	v_lshlrev_b32_e32 v17, 3, v11
	v_lshlrev_b32_e32 v30, 7, v11
	v_cndmask_b32_e64 v11, 0, 1, vcc
	v_lshrrev_b32_e32 v0, 1, v0
	v_lshlrev_b32_e32 v24, 13, v11
	v_lshlrev_b32_e32 v11, 3, v53
	v_and_b32_e32 v0, 24, v0
	v_xor_b32_e32 v13, v11, v0
	v_or_b32_e32 v14, 0x440, v13
	v_cmp_eq_u32_e32 vcc, 0, v12
	s_waitcnt lgkmcnt(0)
	s_barrier
	v_cndmask_b32_e32 v12, v14, v13, vcc
	v_or_b32_e32 v12, v12, v45
	v_xor_b32_e32 v31, v12, v17
	v_or_b32_e32 v12, 32, v0
	v_xor_b32_e32 v12, v11, v12
	v_or_b32_e32 v13, 0x440, v12
	v_cndmask_b32_e32 v12, v13, v12, vcc
	v_or_b32_e32 v12, v12, v45
	v_xor_b32_e32 v32, v12, v17
	v_or_b32_e32 v12, 64, v0
	v_xor_b32_e32 v12, v11, v12
	v_xor_b32_e32 v13, 0x440, v12
	v_cndmask_b32_e32 v12, v13, v12, vcc
	v_add3_u32 v22, v24, v31, v30
	v_or_b32_e32 v12, v12, v45
	v_or_b32_e32 v0, 0x60, v0
	v_xor_b32_e32 v33, v12, v17
	ds_read2st64_b64 v[12:15], v10 offset1:1
	ds_read2st64_b64 v[18:21], v10 offset0:2 offset1:3
	v_xor_b32_e32 v0, v11, v0
	ds_read_b64 v[10:11], v22
	v_add3_u32 v23, v24, v32, v30
	v_xor_b32_e32 v22, 0x440, v0
	v_cndmask_b32_e32 v0, v22, v0, vcc
	ds_read_b64 v[22:23], v23
	s_mul_i32 s0, s18, s17
	s_mul_hi_i32 s1, s18, s17
	s_add_u32 s0, s0, s46
	s_waitcnt lgkmcnt(1)
	v_mfma_f32_16x16x16_bf16 a[0:3], v[10:11], v[12:13], 0
	s_addc_u32 s1, s1, s21
	s_lshl_b64 s[0:1], s[0:1], 9
	v_or_b32_e32 v0, v0, v45
	s_add_u32 s0, s36, s0
	v_add3_u32 v25, v24, v33, v30
	v_xor_b32_e32 v0, v0, v17
	s_addc_u32 s1, s37, s1
	v_lshlrev_b32_e32 v10, 2, v16
	v_add3_u32 v17, v24, v0, v30
	ds_read_b64 v[26:27], v25
	ds_read_b64 v[28:29], v17
	s_waitcnt lgkmcnt(2)
	v_mfma_f32_16x16x16_bf16 a[0:3], v[22:23], v[14:15], a[0:3]
	global_load_dwordx4 v[22:25], v10, s[0:1]
	v_add_u32_e32 v10, v31, v30
	ds_read_b64 v[10:11], v10 offset:8192
	v_lshlrev_b32_e32 v16, 6, v53
	v_lshlrev_b32_e32 v17, 2, v48
	s_movk_i32 s2, 0x100
	s_waitcnt lgkmcnt(2)
	v_mfma_f32_16x16x16_bf16 a[0:3], v[26:27], v[18:19], a[0:3]
	v_or3_b32 v35, v16, v17, s2
	v_add_u32_e32 v16, v32, v30
	v_add_u32_e32 v26, v33, v30
	;; [unrolled: 1-line block ×3, first 2 shown]
	ds_read_b64 v[16:17], v16 offset:8192
	ds_read_b64 v[26:27], v26 offset:8192
	;; [unrolled: 1-line block ×3, first 2 shown]
	s_waitcnt lgkmcnt(3)
	v_mfma_f32_16x16x16_bf16 a[4:7], v[10:11], v[12:13], 0
	global_load_dwordx4 v[10:13], v35, s[0:1]
	v_exp_f32_e32 v0, s16
	s_waitcnt vmcnt(1)
	v_exp_f32_e32 v22, v22
	v_mfma_f32_16x16x16_bf16 a[0:3], v[28:29], v[20:21], a[0:3]
	v_exp_f32_e32 v23, v23
	v_exp_f32_e32 v24, v24
	;; [unrolled: 1-line block ×3, first 2 shown]
	v_pk_mul_f32 v[22:23], v[0:1], v[22:23] op_sel_hi:[0,1]
	v_pk_mul_f32 v[24:25], v[0:1], v[24:25] op_sel_hi:[0,1]
	s_nop 1
	v_accvgpr_read_b32 v33, a1
	v_accvgpr_read_b32 v29, a3
	v_accvgpr_read_b32 v28, a2
	v_accvgpr_read_b32 v32, a0
	s_waitcnt lgkmcnt(2)
	v_mfma_f32_16x16x16_bf16 a[0:3], v[16:17], v[14:15], a[4:7]
	s_waitcnt vmcnt(0)
	v_mov_b32_e32 v14, v13
	v_mov_b32_e32 v13, v12
	v_mov_b32_e32 v12, v11
	s_waitcnt lgkmcnt(1)
	v_mfma_f32_16x16x16_bf16 a[0:3], v[26:27], v[18:19], a[0:3]
	v_exp_f32_e32 v10, v10
	v_exp_f32_e32 v11, v12
	;; [unrolled: 1-line block ×3, first 2 shown]
	s_waitcnt lgkmcnt(0)
	v_mfma_f32_16x16x16_bf16 a[0:3], v[30:31], v[20:21], a[0:3]
	v_exp_f32_e32 v13, v14
	v_pk_mul_f32 v[10:11], v[0:1], v[10:11] op_sel_hi:[0,1]
	v_pk_fma_f32 v[2:3], v[2:3], v[22:23], v[32:33]
	v_pk_fma_f32 v[4:5], v[4:5], v[24:25], v[28:29]
	s_nop 2
	v_accvgpr_read_b32 v17, a1
	v_accvgpr_read_b32 v16, a0
	;; [unrolled: 1-line block ×4, first 2 shown]
	v_pk_fma_f32 v[6:7], v[6:7], v[10:11], v[16:17]
	v_pk_mul_f32 v[10:11], v[0:1], v[12:13] op_sel_hi:[0,1]
	v_pk_fma_f32 v[8:9], v[8:9], v[10:11], v[14:15]
	v_mov_b32_e32 v10, v34
.LBB662_77:
	s_mul_i32 s0, s47, s35
	s_mul_hi_u32 s1, s47, s34
	s_add_i32 s0, s1, s0
	s_mul_i32 s1, s33, s34
	s_add_i32 s1, s0, s1
	s_mul_i32 s0, s47, s34
	s_add_u32 s0, s0, s46
	s_addc_u32 s1, s1, s21
	s_lshl_b64 s[0:1], s[0:1], 16
	s_add_u32 s0, s12, s0
	v_lshlrev_b32_e32 v10, 7, v10
	s_addc_u32 s1, s13, s1
	v_ashrrev_i32_e32 v11, 31, v10
	v_lshl_add_u64 v[10:11], v[10:11], 2, s[0:1]
	v_lshlrev_b32_e32 v0, 2, v1
	v_mov_b32_e32 v1, 0
	v_lshl_add_u64 v[0:1], v[10:11], 0, v[0:1]
	global_store_dwordx4 v[0:1], v[2:5], off
	global_store_dwordx4 v[0:1], v[6:9], off offset:256
	s_endpgm
	.section	.rodata,"a",@progbits
	.p2align	6, 0x0
	.amdhsa_kernel _ZN12_GLOBAL__N_139chunk_gated_delta_rule_fwd_h_hip_kernelILi16ELb0ELb1ELb0ELb1ELb1ELb1ELb0ELb0EEEvPK12hip_bfloat16S3_S3_PKfS5_PKvPS1_S8_PvPKiSB_iiiiilll
		.amdhsa_group_segment_fixed_size 40960
		.amdhsa_private_segment_fixed_size 0
		.amdhsa_kernarg_size 136
		.amdhsa_user_sgpr_count 2
		.amdhsa_user_sgpr_dispatch_ptr 0
		.amdhsa_user_sgpr_queue_ptr 0
		.amdhsa_user_sgpr_kernarg_segment_ptr 1
		.amdhsa_user_sgpr_dispatch_id 0
		.amdhsa_user_sgpr_kernarg_preload_length 0
		.amdhsa_user_sgpr_kernarg_preload_offset 0
		.amdhsa_user_sgpr_private_segment_size 0
		.amdhsa_uses_dynamic_stack 0
		.amdhsa_enable_private_segment 0
		.amdhsa_system_sgpr_workgroup_id_x 1
		.amdhsa_system_sgpr_workgroup_id_y 1
		.amdhsa_system_sgpr_workgroup_id_z 0
		.amdhsa_system_sgpr_workgroup_info 0
		.amdhsa_system_vgpr_workitem_id 0
		.amdhsa_next_free_vgpr 124
		.amdhsa_next_free_sgpr 65
		.amdhsa_accum_offset 112
		.amdhsa_reserve_vcc 1
		.amdhsa_float_round_mode_32 0
		.amdhsa_float_round_mode_16_64 0
		.amdhsa_float_denorm_mode_32 3
		.amdhsa_float_denorm_mode_16_64 3
		.amdhsa_dx10_clamp 1
		.amdhsa_ieee_mode 1
		.amdhsa_fp16_overflow 0
		.amdhsa_tg_split 0
		.amdhsa_exception_fp_ieee_invalid_op 0
		.amdhsa_exception_fp_denorm_src 0
		.amdhsa_exception_fp_ieee_div_zero 0
		.amdhsa_exception_fp_ieee_overflow 0
		.amdhsa_exception_fp_ieee_underflow 0
		.amdhsa_exception_fp_ieee_inexact 0
		.amdhsa_exception_int_div_zero 0
	.end_amdhsa_kernel
	.section	.text._ZN12_GLOBAL__N_139chunk_gated_delta_rule_fwd_h_hip_kernelILi16ELb0ELb1ELb0ELb1ELb1ELb1ELb0ELb0EEEvPK12hip_bfloat16S3_S3_PKfS5_PKvPS1_S8_PvPKiSB_iiiiilll,"axG",@progbits,_ZN12_GLOBAL__N_139chunk_gated_delta_rule_fwd_h_hip_kernelILi16ELb0ELb1ELb0ELb1ELb1ELb1ELb0ELb0EEEvPK12hip_bfloat16S3_S3_PKfS5_PKvPS1_S8_PvPKiSB_iiiiilll,comdat
.Lfunc_end662:
	.size	_ZN12_GLOBAL__N_139chunk_gated_delta_rule_fwd_h_hip_kernelILi16ELb0ELb1ELb0ELb1ELb1ELb1ELb0ELb0EEEvPK12hip_bfloat16S3_S3_PKfS5_PKvPS1_S8_PvPKiSB_iiiiilll, .Lfunc_end662-_ZN12_GLOBAL__N_139chunk_gated_delta_rule_fwd_h_hip_kernelILi16ELb0ELb1ELb0ELb1ELb1ELb1ELb0ELb0EEEvPK12hip_bfloat16S3_S3_PKfS5_PKvPS1_S8_PvPKiSB_iiiiilll
                                        ; -- End function
	.section	.AMDGPU.csdata,"",@progbits
; Kernel info:
; codeLenInByte = 7944
; NumSgprs: 71
; NumVgprs: 112
; NumAgprs: 12
; TotalNumVgprs: 124
; ScratchSize: 0
; MemoryBound: 0
; FloatMode: 240
; IeeeMode: 1
; LDSByteSize: 40960 bytes/workgroup (compile time only)
; SGPRBlocks: 8
; VGPRBlocks: 15
; NumSGPRsForWavesPerEU: 71
; NumVGPRsForWavesPerEU: 124
; AccumOffset: 112
; Occupancy: 1
; WaveLimiterHint : 1
; COMPUTE_PGM_RSRC2:SCRATCH_EN: 0
; COMPUTE_PGM_RSRC2:USER_SGPR: 2
; COMPUTE_PGM_RSRC2:TRAP_HANDLER: 0
; COMPUTE_PGM_RSRC2:TGID_X_EN: 1
; COMPUTE_PGM_RSRC2:TGID_Y_EN: 1
; COMPUTE_PGM_RSRC2:TGID_Z_EN: 0
; COMPUTE_PGM_RSRC2:TIDIG_COMP_CNT: 0
; COMPUTE_PGM_RSRC3_GFX90A:ACCUM_OFFSET: 27
; COMPUTE_PGM_RSRC3_GFX90A:TG_SPLIT: 0
	.section	.text._ZN12_GLOBAL__N_139chunk_gated_delta_rule_fwd_h_hip_kernelILi16ELb0ELb0ELb1ELb1ELb1ELb1ELb0ELb0EEEvPK12hip_bfloat16S3_S3_PKfS5_PKvPS1_S8_PvPKiSB_iiiiilll,"axG",@progbits,_ZN12_GLOBAL__N_139chunk_gated_delta_rule_fwd_h_hip_kernelILi16ELb0ELb0ELb1ELb1ELb1ELb1ELb0ELb0EEEvPK12hip_bfloat16S3_S3_PKfS5_PKvPS1_S8_PvPKiSB_iiiiilll,comdat
	.globl	_ZN12_GLOBAL__N_139chunk_gated_delta_rule_fwd_h_hip_kernelILi16ELb0ELb0ELb1ELb1ELb1ELb1ELb0ELb0EEEvPK12hip_bfloat16S3_S3_PKfS5_PKvPS1_S8_PvPKiSB_iiiiilll ; -- Begin function _ZN12_GLOBAL__N_139chunk_gated_delta_rule_fwd_h_hip_kernelILi16ELb0ELb0ELb1ELb1ELb1ELb1ELb0ELb0EEEvPK12hip_bfloat16S3_S3_PKfS5_PKvPS1_S8_PvPKiSB_iiiiilll
	.p2align	8
	.type	_ZN12_GLOBAL__N_139chunk_gated_delta_rule_fwd_h_hip_kernelILi16ELb0ELb0ELb1ELb1ELb1ELb1ELb0ELb0EEEvPK12hip_bfloat16S3_S3_PKfS5_PKvPS1_S8_PvPKiSB_iiiiilll,@function
_ZN12_GLOBAL__N_139chunk_gated_delta_rule_fwd_h_hip_kernelILi16ELb0ELb0ELb1ELb1ELb1ELb1ELb0ELb0EEEvPK12hip_bfloat16S3_S3_PKfS5_PKvPS1_S8_PvPKiSB_iiiiilll: ; @_ZN12_GLOBAL__N_139chunk_gated_delta_rule_fwd_h_hip_kernelILi16ELb0ELb0ELb1ELb1ELb1ELb1ELb0ELb0EEEvPK12hip_bfloat16S3_S3_PKfS5_PKvPS1_S8_PvPKiSB_iiiiilll
; %bb.0:
	s_load_dwordx4 s[16:19], s[0:1], 0x5c
	s_load_dwordx4 s[20:23], s[0:1], 0x70
	s_abs_i32 s25, s3
	s_ashr_i32 s24, s3, 31
	s_load_dwordx4 s[12:15], s[0:1], 0x30
	s_load_dwordx4 s[28:31], s[0:1], 0x48
	s_waitcnt lgkmcnt(0)
	s_abs_i32 s34, s17
	v_cvt_f32_u32_e32 v1, s34
	s_sub_i32 s26, 0, s34
	s_ashr_i32 s35, s17, 31
	s_xor_b32 s24, s24, s35
	v_rcp_iflag_f32_e32 v1, v1
	s_load_dwordx8 s[4:11], s[0:1], 0x0
	v_lshrrev_b32_e32 v61, 6, v0
	v_bfe_u32 v62, v0, 4, 2
	v_mul_f32_e32 v1, 0x4f7ffffe, v1
	v_cvt_u32_f32_e32 v1, v1
	v_lshlrev_b32_e32 v45, 4, v61
	v_lshlrev_b32_e32 v2, 2, v62
	v_and_b32_e32 v60, 63, v0
	v_readfirstlane_b32 s27, v1
	s_mul_i32 s26, s26, s27
	s_mul_hi_u32 s26, s27, s26
	s_add_i32 s27, s27, s26
	s_mul_hi_u32 s26, s25, s27
	s_mul_i32 s27, s26, s34
	s_sub_i32 s25, s25, s27
	s_add_i32 s33, s26, 1
	s_sub_i32 s27, s25, s34
	s_cmp_ge_u32 s25, s34
	s_cselect_b32 s26, s33, s26
	s_cselect_b32 s25, s27, s25
	s_add_i32 s27, s26, 1
	s_cmp_ge_u32 s25, s34
	s_cselect_b32 s25, s27, s26
	s_xor_b32 s25, s25, s24
	s_sub_i32 s24, s25, s24
	s_mul_i32 s25, s24, s17
	s_sub_i32 s33, s3, s25
	s_ashr_i32 s25, s24, 31
	s_lshl_b64 s[26:27], s[24:25], 2
	s_add_u32 s28, s28, s26
	s_addc_u32 s29, s29, s27
	s_add_u32 s26, s30, s26
	s_addc_u32 s27, s31, s27
	s_abs_i32 s3, s18
	v_cvt_f32_u32_e32 v1, s3
	s_load_dwordx2 s[38:39], s[28:29], 0x0
	s_sub_i32 s29, 0, s3
	s_load_dword s48, s[26:27], 0x0
	v_rcp_iflag_f32_e32 v1, v1
	v_or_b32_e32 v66, v2, v45
	s_waitcnt lgkmcnt(0)
	s_sub_i32 s49, s39, s38
	s_ashr_i32 s28, s49, 31
	v_mul_f32_e32 v1, 0x4f7ffffe, v1
	v_cvt_u32_f32_e32 v1, v1
	s_lshr_b32 s28, s28, 26
	s_add_i32 s28, s49, s28
	s_ashr_i32 s47, s28, 6
	v_readfirstlane_b32 s30, v1
	s_mul_i32 s29, s29, s30
	s_mul_hi_u32 s29, s30, s29
	s_add_i32 s30, s30, s29
	s_mul_hi_u32 s29, s34, s30
	s_mul_i32 s30, s29, s3
	s_ashr_i32 s28, s18, 31
	s_sub_i32 s30, s34, s30
	s_xor_b32 s28, s35, s28
	s_add_i32 s31, s29, 1
	s_sub_i32 s34, s30, s3
	s_cmp_ge_u32 s30, s3
	s_cselect_b32 s29, s31, s29
	s_cselect_b32 s30, s34, s30
	s_add_i32 s31, s29, 1
	s_cmp_ge_u32 s30, s3
	s_cselect_b32 s3, s31, s29
	s_xor_b32 s3, s3, s28
	s_sub_i32 s3, s3, s28
	s_abs_i32 s28, s3
	v_cvt_f32_u32_e32 v1, s28
	s_sub_i32 s27, 0, s28
	s_abs_i32 s26, s33
	s_xor_b32 s3, s33, s3
	v_rcp_iflag_f32_e32 v1, v1
	s_ashr_i32 s3, s3, 31
	s_load_dwordx2 s[34:35], s[0:1], 0x80
	v_mov_b32_e32 v49, 0
	v_mul_f32_e32 v1, 0x4f7ffffe, v1
	v_cvt_u32_f32_e32 v1, v1
	v_or_b32_e32 v65, 64, v66
	s_mul_hi_i32 s50, s33, s16
	s_mul_i32 s51, s33, s16
	v_readfirstlane_b32 s29, v1
	s_mul_i32 s27, s27, s29
	s_mul_hi_u32 s27, s29, s27
	s_add_i32 s29, s29, s27
	s_mul_hi_u32 s27, s26, s29
	s_mul_i32 s29, s27, s28
	s_sub_i32 s26, s26, s29
	s_add_i32 s29, s27, 1
	s_sub_i32 s30, s26, s28
	s_cmp_ge_u32 s26, s28
	s_cselect_b32 s27, s29, s27
	s_cselect_b32 s26, s30, s26
	s_add_i32 s29, s27, 1
	s_cmp_ge_u32 s26, s28
	s_cselect_b32 s26, s29, s27
	s_xor_b32 s26, s26, s3
	s_sub_i32 s53, s26, s3
	s_lshl_b32 s36, s2, 4
	v_and_b32_e32 v1, 15, v0
	s_cmp_lt_i32 s49, 64
	v_lshrrev_b32_e32 v64, 3, v60
	v_lshlrev_b32_e32 v63, 3, v0
	s_mul_i32 s44, s24, s21
	s_mul_hi_u32 s45, s24, s20
	s_mul_i32 s46, s25, s20
	s_mul_i32 s20, s24, s20
	v_mov_b32_e32 v48, v49
	v_mov_b32_e32 v51, v49
	v_mov_b32_e32 v50, v49
	v_mov_b32_e32 v53, v49
	v_mov_b32_e32 v52, v49
	v_mov_b32_e32 v47, v49
	v_mov_b32_e32 v46, v49
	s_cbranch_scc1 .LBB663_18
; %bb.1:
	s_ashr_i32 s55, s33, 31
	s_ashr_i32 s3, s38, 31
	s_add_u32 s2, s51, s38
	s_addc_u32 s3, s50, s3
	s_lshl_b64 s[2:3], s[2:3], 8
	v_and_b32_e32 v68, 56, v63
	s_add_u32 s24, s6, s2
	v_lshl_or_b32 v67, v61, 3, v64
	v_lshlrev_b32_e32 v3, 1, v68
	s_addc_u32 s2, s7, s3
	v_lshl_or_b32 v69, v67, 8, v3
	s_and_b32 s25, s2, 0xffff
	s_mov_b32 s27, 0x20000
	s_movk_i32 s26, 0x4000
	s_movk_i32 s2, 0x80
	v_or_b32_e32 v70, 0x2000, v69
	buffer_load_dwordx4 v[4:7], v69, s[24:27], 0 offen
	buffer_load_dwordx4 v[8:11], v69, s[24:27], s2 offen
	;; [unrolled: 1-line block ×4, first 2 shown]
	v_lshlrev_b32_e32 v20, 3, v67
	v_and_or_b32 v22, v0, 7, v20
	v_and_b32_e32 v20, 0x78, v20
	v_lshlrev_b32_e32 v22, 4, v22
	v_xor_b32_e32 v71, v22, v20
	v_mul_lo_u32 v21, v67, s19
	v_or_b32_e32 v72, 0x1000, v71
	s_cmpk_eq_i32 s19, 0x80
	s_mov_b32 s52, s17
	s_mov_b32 s54, s38
	v_xor_b32_e32 v20, 8, v71
	v_xor_b32_e32 v22, 8, v72
	s_cselect_b64 s[2:3], -1, 0
	s_cmpk_lg_i32 s19, 0x80
	s_waitcnt vmcnt(3)
	ds_write_b64 v71, v[4:5] offset:16384
	ds_write_b64 v20, v[6:7] offset:16384
	s_waitcnt vmcnt(2)
	ds_write_b64 v71, v[8:9] offset:24576
	ds_write_b64 v20, v[10:11] offset:24576
	;; [unrolled: 3-line block ×4, first 2 shown]
	v_lshl_add_u32 v4, v21, 1, v68
	s_cbranch_scc0 .LBB663_3
; %bb.2:
	v_lshlrev_b32_e32 v6, 1, v4
	v_add_lshl_u32 v5, v4, s19, 1
	s_lshl_b32 s26, s19, 7
	s_load_dwordx2 s[40:41], s[0:1], 0x20
	v_lshl_or_b32 v3, v67, 9, v3
	s_cbranch_execz .LBB663_4
	s_branch .LBB663_5
.LBB663_3:
                                        ; implicit-def: $vgpr5
                                        ; implicit-def: $vgpr6
                                        ; implicit-def: $sgpr26
	s_load_dwordx2 s[40:41], s[0:1], 0x20
	v_lshl_or_b32 v3, v67, 9, v3
.LBB663_4:
	v_or_b32_e32 v5, 0x100, v3
	s_movk_i32 s26, 0x4000
	v_mov_b32_e32 v6, v3
.LBB663_5:
	s_mul_i32 s0, s38, s18
	s_ashr_i32 s56, s53, 31
	s_mul_hi_i32 s1, s38, s18
	s_add_u32 s0, s0, s53
	s_addc_u32 s1, s1, s56
	s_lshl_b64 s[0:1], s[0:1], 8
	s_add_u32 s24, s4, s0
	s_addc_u32 s0, s5, s1
	s_and_b32 s25, s0, 0xffff
	s_movk_i32 s57, 0x80
	buffer_load_dwordx4 v[8:11], v6, s[24:27], 0 offen
	buffer_load_dwordx4 v[12:15], v6, s[24:27], s57 offen
	;; [unrolled: 1-line block ×4, first 2 shown]
	v_and_b32_e32 v5, 6, v0
	v_lshlrev_b32_e32 v7, 2, v1
	v_lshlrev_b32_e32 v24, 3, v1
	v_xor_b32_e32 v26, v67, v5
	v_and_b32_e32 v6, 1, v0
	v_lshl_or_b32 v24, v66, 5, v24
	v_xor_b32_e32 v27, v66, v7
	v_lshlrev_b32_e32 v26, 2, v26
	s_mul_i32 s1, s33, s23
	s_mul_hi_u32 s21, s33, s22
	v_or_b32_e32 v73, 0x9000, v24
	v_or_b32_e32 v74, 0x9800, v24
	v_lshlrev_b32_e32 v24, 1, v27
	v_xor_b32_e32 v27, 0x440, v26
	v_cmp_eq_u32_e32 vcc, 0, v6
	s_add_i32 s25, s45, s44
	s_mul_i32 s24, s55, s22
	v_cndmask_b32_e32 v6, v27, v26, vcc
	s_add_i32 s1, s21, s1
	s_add_i32 s21, s25, s46
	s_mov_b32 s58, 0x1000504
	v_lshlrev_b32_e32 v25, 8, v1
	s_mov_b32 s26, 0x8000
	v_xor_b32_e32 v7, v65, v7
	v_lshl_or_b32 v5, v5, 10, v6
	s_add_i32 s1, s1, s24
	s_lshl_b64 s[24:25], s[20:21], 2
	s_mov_b32 s59, 0x3020706
	s_mul_i32 s0, s33, s22
	v_lshlrev_b32_e32 v7, 1, v7
	v_or3_b32 v75, v24, v25, s26
	v_xor_b32_e32 v6, 8, v5
	v_xor_b32_e32 v24, 24, v5
	;; [unrolled: 1-line block ×4, first 2 shown]
	s_add_u32 s21, s10, s24
	v_or3_b32 v76, v7, v25, s26
	v_xor_b32_e32 v7, 16, v5
	v_xor_b32_e32 v25, 32, v5
	;; [unrolled: 1-line block ×3, first 2 shown]
	v_add_u32_e32 v6, 0x80, v6
	v_add_u32_e32 v24, 0x80, v24
	;; [unrolled: 1-line block ×4, first 2 shown]
	s_addc_u32 s24, s11, s25
	s_lshl_b64 s[0:1], s[0:1], 2
	s_add_u32 s42, s21, s0
	s_movk_i32 s0, 0xf8
	s_addc_u32 s43, s24, s1
	s_ashr_i32 s37, s36, 31
	s_lshl_b32 s30, s19, 7
	v_mov_b32_e32 v47, 0
	s_mov_b32 s60, 0
	v_add_u32_e32 v87, v45, v2
	s_mov_b32 s21, 0x7060302
	v_mov_b32_e32 v52, v47
	v_mov_b32_e32 v53, v47
	;; [unrolled: 1-line block ×6, first 2 shown]
	s_waitcnt vmcnt(1)
	v_perm_b32 v29, v8, v16, s58
	s_waitcnt vmcnt(0)
	v_perm_b32 v30, v12, v20, s58
	v_perm_b32 v8, v8, v16, s59
	;; [unrolled: 1-line block ×15, first 2 shown]
	ds_write2st64_b32 v5, v29, v30 offset1:32
	ds_write2st64_b32 v6, v8, v12 offset1:32
	ds_write2st64_b32 v7, v16, v20 offset0:1 offset1:33
	ds_write2st64_b32 v24, v9, v13 offset0:1 offset1:33
	;; [unrolled: 1-line block ×6, first 2 shown]
	v_or_b32_e32 v5, v45, v1
	v_lshlrev_b32_e32 v5, 3, v5
	v_lshrrev_b32_e32 v7, 5, v60
	v_and_or_b32 v7, v5, s0, v7
	v_lshlrev_b32_e32 v7, 4, v7
	v_lshrrev_b32_e32 v6, 2, v60
	v_lshlrev_b32_e32 v11, 11, v61
	v_and_b32_e32 v5, 0x78, v5
	v_or_b32_e32 v12, 32, v7
	v_and_b32_e32 v10, 12, v6
	v_and_b32_e32 v6, 0x1000, v11
	v_lshrrev_b32_e32 v9, 1, v60
	v_xor_b32_e32 v12, v12, v5
	v_and_b32_e32 v9, 8, v9
	v_or_b32_e32 v12, v12, v6
	v_xor_b32_e32 v8, v7, v5
	v_xor_b32_e32 v79, v12, v9
	v_or_b32_e32 v12, 64, v7
	v_or_b32_e32 v7, 0x60, v7
	v_xor_b32_e32 v12, v12, v5
	v_xor_b32_e32 v5, v7, v5
	v_or_b32_e32 v5, v5, v6
	v_or_b32_e32 v12, v12, v6
	v_xor_b32_e32 v81, v5, v9
	v_lshlrev_b32_e32 v5, 1, v1
	v_xor_b32_e32 v80, v12, v9
	v_lshlrev_b32_e32 v12, 1, v4
	v_add_lshl_u32 v13, v4, s19, 1
	v_lshrrev_b32_e32 v4, 4, v0
	s_lshl_b64 s[0:1], s[36:37], 8
	v_or_b32_e32 v15, 1, v5
	s_add_u32 s0, s12, s0
	v_xor_b32_e32 v5, v4, v5
	v_xor_b32_e32 v15, v15, v4
	s_addc_u32 s1, s13, s1
	v_lshlrev_b32_e32 v5, 3, v5
	v_lshlrev_b32_e32 v46, 8, v4
	;; [unrolled: 1-line block ×3, first 2 shown]
	v_lshrrev_b32_e32 v19, 1, v0
	v_or3_b32 v83, v5, v46, s26
	v_or3_b32 v84, v4, v46, s26
	v_lshl_add_u64 v[4:5], s[0:1], 0, v[46:47]
	v_lshlrev_b32_e32 v46, 4, v1
	s_movk_i32 s0, 0xff
	v_lshlrev_b32_e32 v18, 3, v61
	v_and_b32_e32 v19, 24, v19
	v_lshl_add_u64 v[54:55], v[4:5], 0, v[46:47]
	v_and_b32_e32 v5, 8, v0
	v_cmp_lt_u32_e32 vcc, s0, v0
	v_xor_b32_e32 v20, v18, v19
	v_or_b32_e32 v21, 0x440, v20
	v_cndmask_b32_e64 v17, 0, 1, vcc
	v_cmp_eq_u32_e32 vcc, 0, v5
	v_or_b32_e32 v23, 64, v19
	v_xor_b32_e32 v23, v18, v23
	v_cndmask_b32_e32 v5, v21, v20, vcc
	v_or_b32_e32 v21, 32, v19
	v_or_b32_e32 v19, 0x60, v19
	v_xor_b32_e32 v21, v18, v21
	v_xor_b32_e32 v18, v18, v19
	v_or_b32_e32 v22, 0x440, v21
	v_xor_b32_e32 v24, 0x440, v23
	v_xor_b32_e32 v19, 0x440, v18
	v_or_b32_e32 v8, v8, v6
	v_or_b32_e32 v6, s36, v1
	v_and_b32_e32 v4, 7, v0
	v_cndmask_b32_e32 v21, v22, v21, vcc
	v_cndmask_b32_e32 v23, v24, v23, vcc
	;; [unrolled: 1-line block ×3, first 2 shown]
	v_xor_b32_e32 v77, v8, v9
	v_and_b32_e32 v8, 0x78, v63
	v_ashrrev_i32_e32 v7, 31, v6
	v_lshlrev_b32_e32 v15, 3, v4
	v_or_b32_e32 v5, v5, v11
	v_or_b32_e32 v21, v21, v11
	v_or_b32_e32 v23, v23, v11
	v_or_b32_e32 v11, v18, v11
	v_lshl_or_b32 v8, v62, 7, v8
	v_lshlrev_b64 v[6:7], 1, v[6:7]
	v_lshlrev_b32_e32 v17, 13, v17
	v_xor_b32_e32 v5, v5, v15
	v_xor_b32_e32 v21, v21, v15
	;; [unrolled: 1-line block ×4, first 2 shown]
	v_or_b32_e32 v78, 0x9000, v8
	v_or_b32_e32 v82, 0x9800, v8
	v_lshl_add_u64 v[8:9], s[8:9], 0, v[6:7]
	v_lshl_add_u64 v[6:7], s[14:15], 0, v[6:7]
	v_or_b32_e32 v14, 0x100, v3
	v_lshlrev_b32_e32 v16, 7, v4
	v_or_b32_e32 v4, v10, v45
	v_add_u32_e32 v20, v17, v5
	v_add_u32_e32 v22, v17, v21
	;; [unrolled: 1-line block ×4, first 2 shown]
	v_or3_b32 v10, v45, v10, 64
	v_add_u32_e32 v5, 0x2000, v5
	v_add_u32_e32 v17, 0x2000, v21
	v_add_u32_e32 v18, 0x2000, v23
	v_add_u32_e32 v11, 0x2000, v11
	v_lshlrev_b32_e32 v46, 8, v66
	v_cndmask_b32_e64 v85, v12, v3, s[2:3]
	v_cndmask_b32_e64 v86, v13, v14, s[2:3]
	v_lshl_add_u64 v[56:57], v[8:9], 0, v[46:47]
	v_lshl_add_u64 v[58:59], v[6:7], 0, v[46:47]
	s_movk_i32 s26, 0x4000
	v_lshlrev_b32_e32 v88, 2, v4
	v_add_u32_e32 v89, v20, v16
	v_add_u32_e32 v90, v22, v16
	v_add_u32_e32 v91, v24, v16
	v_add_u32_e32 v92, v15, v16
	v_lshlrev_b32_e32 v93, 2, v10
	v_add_u32_e32 v94, v5, v16
	v_add_u32_e32 v95, v17, v16
	;; [unrolled: 1-line block ×4, first 2 shown]
	v_mov_b32_e32 v46, v47
	s_waitcnt lgkmcnt(0)
	s_barrier
.LBB663_6:                              ; =>This Inner Loop Header: Depth=1
	s_add_i32 s37, s60, 1
	s_cmp_lt_i32 s37, s47
	s_mov_b64 s[28:29], 0
	s_cselect_b64 s[2:3], -1, 0
	s_cmp_ge_i32 s37, s47
	s_mov_b64 s[24:25], 0
	s_cbranch_scc1 .LBB663_8
; %bb.7:                                ;   in Loop: Header=BB663_6 Depth=1
	s_add_i32 s0, s54, 64
	s_ashr_i32 s1, s0, 31
	s_add_u32 s0, s51, s0
	s_addc_u32 s1, s50, s1
	s_lshl_b64 s[0:1], s[0:1], 8
	s_add_u32 s24, s6, s0
	s_addc_u32 s25, s7, s1
.LBB663_8:                              ;   in Loop: Header=BB663_6 Depth=1
	v_cndmask_b32_e64 v2, 0, 1, s[2:3]
	v_cmp_ne_u32_e64 s[0:1], 1, v2
	s_andn2_b64 vcc, exec, s[2:3]
	s_cbranch_vccnz .LBB663_10
; %bb.9:                                ;   in Loop: Header=BB663_6 Depth=1
	s_add_i32 s2, s54, 64
	s_mul_hi_i32 s3, s2, s18
	s_mul_i32 s2, s2, s18
	s_add_u32 s2, s2, s53
	s_addc_u32 s3, s3, s56
	s_lshl_b64 s[2:3], s[2:3], 8
	s_add_u32 s28, s4, s2
	s_addc_u32 s29, s5, s3
.LBB663_10:                             ;   in Loop: Header=BB663_6 Depth=1
	v_perm_b32 v3, v53, v52, s21
	v_perm_b32 v2, v47, v46, s21
	;; [unrolled: 1-line block ×4, first 2 shown]
	ds_write_b64 v73, v[2:3]
	ds_write_b64 v74, v[4:5]
	;; [unrolled: 1-line block ×4, first 2 shown]
	s_waitcnt lgkmcnt(0)
	s_barrier
	ds_read_b64 v[10:11], v77 offset:16384
	ds_read_b64 v[12:13], v79 offset:16384
	ds_read2st64_b64 v[2:5], v78 offset1:1
	s_waitcnt lgkmcnt(0)
	v_mfma_f32_16x16x16_bf16 a[0:3], v[10:11], v[2:3], 0
	ds_read2st64_b64 v[6:9], v78 offset0:2 offset1:3
	ds_read_b64 v[14:15], v80 offset:16384
	ds_read_b64 v[2:3], v81 offset:16384
	s_add_i32 s61, s54, 63
	v_mfma_f32_16x16x16_bf16 a[0:3], v[12:13], v[4:5], a[0:3]
	s_ashr_i32 s2, s61, 31
	s_mul_i32 s3, s61, s35
	s_mul_hi_u32 s31, s61, s34
	s_waitcnt lgkmcnt(1)
	v_mfma_f32_16x16x16_bf16 a[0:3], v[14:15], v[6:7], a[0:3]
	s_add_i32 s3, s31, s3
	s_mul_i32 s2, s2, s34
	s_add_i32 s3, s3, s2
	s_mul_i32 s2, s61, s34
	s_waitcnt lgkmcnt(0)
	v_mfma_f32_16x16x16_bf16 a[0:3], v[2:3], v[8:9], a[0:3]
	s_lshl_b64 s[2:3], s[2:3], 2
	s_add_u32 s2, s42, s2
	s_addc_u32 s3, s43, s3
	s_and_b64 vcc, exec, s[0:1]
	v_mov_b32_e32 v100, 0
	v_mov_b32_e32 v99, 0
	;; [unrolled: 1-line block ×19, first 2 shown]
	s_cbranch_vccnz .LBB663_12
; %bb.11:                               ;   in Loop: Header=BB663_6 Depth=1
	s_and_b32 s25, s25, 0xffff
	buffer_load_dwordx4 v[14:17], v69, s[24:27], 0 offen
	buffer_load_dwordx4 v[10:13], v69, s[24:27], s57 offen
	;; [unrolled: 1-line block ×4, first 2 shown]
	v_mov_b32_e32 v99, v71
	v_mov_b32_e32 v98, v72
.LBB663_12:                             ;   in Loop: Header=BB663_6 Depth=1
	v_add_u32_e32 v22, s54, v87
	v_ashrrev_i32_e32 v18, 31, v22
	v_mul_lo_u32 v20, v18, s34
	v_mul_lo_u32 v21, v22, s35
	v_mad_u64_u32 v[18:19], s[24:25], v22, s34, 0
	v_add3_u32 v19, v19, v21, v20
	v_lshl_add_u64 v[18:19], v[18:19], 2, s[42:43]
	global_load_dword v36, v[18:19], off
	v_add_u32_e32 v18, 1, v22
	v_ashrrev_i32_e32 v19, 31, v18
	v_mul_lo_u32 v20, v19, s34
	v_mul_lo_u32 v21, v18, s35
	v_mad_u64_u32 v[18:19], s[24:25], v18, s34, 0
	v_add3_u32 v19, v19, v21, v20
	v_add_u32_e32 v20, 2, v22
	v_ashrrev_i32_e32 v21, 31, v20
	v_mul_lo_u32 v23, v21, s34
	v_mul_lo_u32 v24, v20, s35
	v_mad_u64_u32 v[20:21], s[24:25], v20, s34, 0
	v_add_u32_e32 v22, 3, v22
	v_add3_u32 v21, v21, v24, v23
	v_ashrrev_i32_e32 v23, 31, v22
	v_mul_lo_u32 v26, v23, s34
	v_mul_lo_u32 v27, v22, s35
	v_mad_u64_u32 v[22:23], s[24:25], v22, s34, 0
	s_ashr_i32 s25, s54, 31
	s_add_u32 s24, s51, s54
	s_addc_u32 s25, s50, s25
	s_lshl_b64 s[24:25], s[24:25], 8
	v_lshl_add_u64 v[18:19], v[18:19], 2, s[42:43]
	v_lshl_add_u64 v[24:25], v[56:57], 0, s[24:25]
	v_add3_u32 v23, v23, v27, v26
	v_lshl_add_u64 v[20:21], v[20:21], 2, s[42:43]
	global_load_ushort v37, v[24:25], off
	global_load_ushort v38, v[24:25], off offset:256
	global_load_ushort v39, v[24:25], off offset:512
	;; [unrolled: 1-line block ×3, first 2 shown]
	v_lshl_add_u64 v[22:23], v[22:23], 2, s[42:43]
	global_load_dword v41, v[18:19], off
	global_load_dword v42, v[20:21], off
	;; [unrolled: 1-line block ×3, first 2 shown]
	s_load_dword s2, s[2:3], 0x0
	ds_read_b64 v[20:21], v77 offset:24576
	ds_read2st64_b64 v[22:25], v82 offset1:1
	ds_read2st64_b64 v[26:29], v82 offset0:2 offset1:3
	ds_read_b64 v[30:31], v79 offset:24576
	ds_read_b64 v[32:33], v80 offset:24576
	ds_read_b64 v[34:35], v81 offset:24576
	s_waitcnt lgkmcnt(0)
	v_mfma_f32_16x16x16_bf16 a[0:3], v[20:21], v[22:23], a[0:3]
	v_mov_b32_e32 v101, 0
	v_mov_b32_e32 v18, 0
	;; [unrolled: 1-line block ×3, first 2 shown]
	v_mfma_f32_16x16x16_bf16 a[0:3], v[30:31], v[24:25], a[0:3]
	v_lshl_add_u64 v[30:31], v[58:59], 0, s[24:25]
	v_mov_b32_e32 v20, 0
	v_mov_b32_e32 v21, 0
	v_mfma_f32_16x16x16_bf16 a[0:3], v[32:33], v[26:27], a[0:3]
	v_mov_b32_e32 v22, 0
	v_mov_b32_e32 v23, 0
	;; [unrolled: 1-line block ×3, first 2 shown]
	v_mfma_f32_16x16x16_bf16 a[0:3], v[34:35], v[28:29], a[0:3]
	v_mov_b32_e32 v25, 0
	v_mov_b32_e32 v26, 0
	s_and_b64 vcc, exec, s[0:1]
	s_waitcnt vmcnt(7)
	v_sub_f32_e32 v27, s2, v36
	s_nop 1
	v_accvgpr_read_b32 v33, a1
	v_accvgpr_read_b32 v32, a0
	;; [unrolled: 1-line block ×4, first 2 shown]
	s_waitcnt vmcnt(6)
	v_lshlrev_b32_e32 v34, 16, v37
	s_waitcnt vmcnt(5)
	v_lshlrev_b32_e32 v35, 16, v38
	v_exp_f32_e32 v38, v27
	s_waitcnt vmcnt(3)
	v_lshlrev_b32_e32 v37, 16, v40
	s_waitcnt vmcnt(2)
	v_sub_f32_e32 v27, s2, v41
	s_waitcnt vmcnt(1)
	v_sub_f32_e32 v40, s2, v42
	;; [unrolled: 2-line block ×3, first 2 shown]
	v_lshlrev_b32_e32 v36, 16, v39
	v_pk_add_f32 v[32:33], v[34:35], v[32:33] neg_lo:[0,1] neg_hi:[0,1]
	v_exp_f32_e32 v39, v27
	v_exp_f32_e32 v34, v40
	;; [unrolled: 1-line block ×3, first 2 shown]
	v_pk_add_f32 v[28:29], v[36:37], v[28:29] neg_lo:[0,1] neg_hi:[0,1]
	global_store_short_d16_hi v[30:31], v32, off
	global_store_short_d16_hi v[30:31], v33, off offset:256
	global_store_short_d16_hi v[30:31], v28, off offset:512
	;; [unrolled: 1-line block ×3, first 2 shown]
	v_pk_mul_f32 v[30:31], v[38:39], v[32:33]
	v_pk_mul_f32 v[28:29], v[34:35], v[28:29]
	v_perm_b32 v30, v31, v30, s21
	v_perm_b32 v31, v29, v28, s21
	ds_write_b64 v74, v[30:31]
	v_mov_b32_e32 v27, 0
	v_mov_b32_e32 v28, 0
	;; [unrolled: 1-line block ×7, first 2 shown]
	s_cbranch_vccnz .LBB663_14
; %bb.13:                               ;   in Loop: Header=BB663_6 Depth=1
	s_and_b32 s29, s29, 0xffff
	s_mov_b32 s31, s27
	buffer_load_dwordx4 v[30:33], v85, s[28:31], 0 offen
	buffer_load_dwordx4 v[22:25], v85, s[28:31], s57 offen
	;; [unrolled: 1-line block ×4, first 2 shown]
	v_mov_b32_e32 v100, v68
	v_mov_b32_e32 v101, v67
.LBB663_14:                             ;   in Loop: Header=BB663_6 Depth=1
	s_waitcnt lgkmcnt(0)
	s_barrier
	ds_read_b64 v[34:35], v89
	ds_read_b64 v[40:41], v90
	ds_read2st64_b64 v[36:39], v82 offset1:1
	ds_read2st64_b64 v[102:105], v82 offset0:2 offset1:3
	ds_read_b64 v[42:43], v91
	ds_read_b64 v[110:111], v92
	s_add_i32 s3, s48, s60
	s_mul_hi_i32 s25, s3, s52
	s_mul_i32 s3, s3, s52
	s_waitcnt lgkmcnt(3)
	v_mfma_f32_16x16x16_bf16 a[0:3], v[34:35], v[36:37], 0
	ds_read_b64 v[34:35], v94
	s_add_u32 s24, s3, s33
	s_addc_u32 s25, s25, s55
	v_mfma_f32_16x16x16_bf16 a[0:3], v[40:41], v[38:39], a[0:3]
	ds_read_b64 v[40:41], v95
	s_lshl_b64 s[24:25], s[24:25], 15
	s_mul_i32 s28, s61, s52
	s_mul_hi_i32 s3, s61, s52
	s_add_u32 s28, s28, s33
	s_addc_u32 s29, s3, s55
	s_lshl_b64 s[28:29], s[28:29], 9
	s_add_u32 s28, s40, s28
	s_waitcnt lgkmcnt(1)
	v_mfma_f32_16x16x16_bf16 a[4:7], v[34:35], v[36:37], 0
	s_addc_u32 s29, s41, s29
	s_and_b64 vcc, exec, s[0:1]
	v_mfma_f32_16x16x16_bf16 a[0:3], v[42:43], v[102:103], a[0:3]
	ds_read_b64 v[42:43], v96
	ds_read_b64 v[112:113], v97
	global_load_dwordx4 v[34:37], v93, s[28:29]
	s_waitcnt lgkmcnt(2)
	v_mfma_f32_16x16x16_bf16 a[4:7], v[40:41], v[38:39], a[4:7]
	global_load_dwordx4 v[38:41], v88, s[28:29]
	ds_read_b64 v[106:107], v83
	ds_read_b64 v[108:109], v84
	s_waitcnt lgkmcnt(3)
	v_mfma_f32_16x16x16_bf16 a[8:11], v[42:43], v[102:103], a[4:7]
	v_lshl_add_u64 v[42:43], v[54:55], 0, s[24:25]
	s_waitcnt lgkmcnt(0)
	global_store_dwordx4 v[42:43], v[106:109], off
	v_mfma_f32_16x16x16_bf16 a[4:7], v[110:111], v[104:105], a[0:3]
	s_waitcnt vmcnt(2)
	v_mov_b32_e32 v44, v37
	v_mfma_f32_16x16x16_bf16 a[0:3], v[112:113], v[104:105], a[8:11]
	v_mov_b32_e32 v43, v36
	v_mov_b32_e32 v42, v35
	s_cbranch_vccnz .LBB663_16
; %bb.15:                               ;   in Loop: Header=BB663_6 Depth=1
	v_lshrrev_b32_e32 v35, 3, v100
	v_and_b32_e32 v35, 6, v35
	v_xor_b32_e32 v36, v35, v101
	v_lshlrev_b32_e32 v36, 2, v36
	v_and_b32_e32 v37, 8, v100
	v_xor_b32_e32 v100, 0x440, v36
	v_cmp_eq_u32_e32 vcc, 0, v37
	v_perm_b32 v37, v22, v18, s58
	s_nop 0
	v_cndmask_b32_e32 v36, v100, v36, vcc
	v_lshl_or_b32 v35, v35, 10, v36
	v_perm_b32 v36, v30, v26, s58
	s_barrier
	ds_write2st64_b32 v35, v36, v37 offset1:32
	v_xor_b32_e32 v36, 8, v35
	v_perm_b32 v26, v30, v26, s59
	v_perm_b32 v18, v22, v18, s59
	v_add_u32_e32 v22, 0x80, v36
	ds_write2st64_b32 v22, v26, v18 offset1:32
	v_xor_b32_e32 v18, 16, v35
	v_perm_b32 v22, v31, v27, s58
	v_perm_b32 v26, v23, v19, s58
	ds_write2st64_b32 v18, v22, v26 offset0:1 offset1:33
	v_xor_b32_e32 v18, 24, v35
	v_perm_b32 v22, v31, v27, s59
	v_perm_b32 v19, v23, v19, s59
	v_add_u32_e32 v18, 0x80, v18
	ds_write2st64_b32 v18, v22, v19 offset0:1 offset1:33
	v_xor_b32_e32 v18, 32, v35
	v_perm_b32 v19, v32, v28, s58
	v_perm_b32 v22, v24, v20, s58
	ds_write2st64_b32 v18, v19, v22 offset0:2 offset1:34
	v_xor_b32_e32 v18, 40, v35
	v_perm_b32 v19, v32, v28, s59
	v_perm_b32 v20, v24, v20, s59
	v_add_u32_e32 v18, 0x80, v18
	ds_write2st64_b32 v18, v19, v20 offset0:2 offset1:34
	;; [unrolled: 9-line block ×3, first 2 shown]
	ds_write_b64 v99, v[14:15] offset:16384
	v_xor_b32_e32 v14, 8, v99
	ds_write_b64 v14, v[16:17] offset:16384
	ds_write_b64 v99, v[10:11] offset:24576
	;; [unrolled: 1-line block ×4, first 2 shown]
	v_xor_b32_e32 v6, 8, v98
	ds_write_b64 v6, v[8:9] offset:16384
	ds_write_b64 v98, v[2:3] offset:24576
	;; [unrolled: 1-line block ×3, first 2 shown]
.LBB663_16:                             ;   in Loop: Header=BB663_6 Depth=1
	v_exp_f32_e32 v10, s2
	s_waitcnt vmcnt(1)
	v_exp_f32_e32 v12, v38
	v_exp_f32_e32 v13, v39
	;; [unrolled: 1-line block ×4, first 2 shown]
	v_accvgpr_read_b32 v2, a4
	v_accvgpr_read_b32 v3, a5
	v_pk_mul_f32 v[12:13], v[10:11], v[12:13] op_sel_hi:[0,1]
	v_pk_fma_f32 v[46:47], v[46:47], v[12:13], v[2:3]
	v_exp_f32_e32 v12, v34
	v_exp_f32_e32 v13, v42
	v_pk_mul_f32 v[2:3], v[10:11], v[14:15] op_sel_hi:[0,1]
	v_exp_f32_e32 v14, v43
	v_exp_f32_e32 v15, v44
	v_accvgpr_read_b32 v4, a6
	v_accvgpr_read_b32 v5, a7
	;; [unrolled: 1-line block ×5, first 2 shown]
	v_pk_fma_f32 v[52:53], v[52:53], v[2:3], v[4:5]
	v_pk_mul_f32 v[2:3], v[10:11], v[12:13] op_sel_hi:[0,1]
	v_accvgpr_read_b32 v8, a2
	v_pk_fma_f32 v[50:51], v[50:51], v[2:3], v[6:7]
	v_pk_mul_f32 v[2:3], v[10:11], v[14:15] op_sel_hi:[0,1]
	s_add_i32 s54, s54, 64
	s_cmp_eq_u32 s47, s37
	v_pk_fma_f32 v[48:49], v[48:49], v[2:3], v[8:9]
	s_cbranch_scc1 .LBB663_18
; %bb.17:                               ;   in Loop: Header=BB663_6 Depth=1
	s_mov_b32 s60, s37
	s_branch .LBB663_6
.LBB663_18:
	s_lshl_b32 s0, s47, 6
	s_sub_i32 s42, s49, s0
	s_cmp_gt_i32 s42, 0
	s_cbranch_scc0 .LBB663_75
; %bb.19:
	s_add_i32 s38, s0, s38
	s_ashr_i32 s2, s38, 31
	s_cmpk_lg_i32 s19, 0x80
	s_cselect_b64 s[30:31], -1, 0
	s_and_b64 vcc, exec, s[30:31]
	s_cbranch_vccz .LBB663_21
; %bb.20:
	s_mul_i32 s1, s38, s18
	s_ashr_i32 s3, s53, 31
	s_mul_hi_i32 s0, s38, s18
	s_add_u32 s40, s1, s53
	s_addc_u32 s41, s0, s3
	s_cbranch_execz .LBB663_22
	s_branch .LBB663_23
.LBB663_21:
                                        ; implicit-def: $sgpr40_sgpr41
.LBB663_22:
	s_mul_i32 s1, s53, s16
	s_mul_hi_i32 s0, s53, s16
	s_add_u32 s40, s1, s38
	s_addc_u32 s41, s0, s2
.LBB663_23:
	s_add_i32 s3, s47, s48
	s_ashr_i32 s16, s33, 31
	s_add_u32 s0, s51, s38
	s_addc_u32 s1, s50, s2
	s_mov_b32 s2, 0x7060302
	v_lshlrev_b32_e32 v6, 3, v1
	s_lshl_b64 s[28:29], s[0:1], 8
	v_perm_b32 v3, v53, v52, s2
	v_perm_b32 v2, v47, v46, s2
	v_perm_b32 v5, v49, v48, s2
	v_perm_b32 v4, v51, v50, s2
	v_lshlrev_b32_e32 v34, 2, v1
	v_lshl_or_b32 v6, v66, 5, v6
	s_add_u32 s0, s6, s28
	ds_write2st64_b64 v6, v[2:3], v[4:5] offset0:72 offset1:76
	v_xor_b32_e32 v6, v66, v34
	v_lshlrev_b32_e32 v7, 8, v1
	s_addc_u32 s1, s7, s29
	v_lshl_or_b32 v6, v6, 1, v7
	s_mul_hi_i32 s6, s3, s17
	s_mul_i32 s3, s3, s17
	ds_write_b64 v6, v[2:3] offset:32768
	v_xor_b32_e32 v2, v65, v34
	s_add_u32 s2, s3, s33
	v_lshl_or_b32 v2, v2, 1, v7
	s_addc_u32 s3, s6, s16
	v_lshlrev_b32_e32 v3, 1, v1
	ds_write_b64 v2, v[4:5] offset:32768
	v_lshrrev_b32_e32 v2, 4, v0
	s_ashr_i32 s37, s36, 31
	s_lshl_b64 s[2:3], s[2:3], 15
	v_or_b32_e32 v4, 1, v3
	s_add_u32 s6, s12, s2
	v_xor_b32_e32 v3, v2, v3
	v_xor_b32_e32 v4, v4, v2
	v_lshlrev_b32_e32 v6, 8, v2
	s_addc_u32 s7, s13, s3
	s_lshl_b64 s[2:3], s[36:37], 8
	v_lshl_or_b32 v2, v3, 3, v6
	v_lshl_or_b32 v4, v4, 3, v6
	s_waitcnt lgkmcnt(0)
	s_barrier
	s_add_u32 s2, s6, s2
	ds_read_b64 v[2:3], v2 offset:32768
	ds_read_b64 v[4:5], v4 offset:32768
	s_addc_u32 s3, s7, s3
	v_mov_b32_e32 v7, 0
	s_cmp_lg_u32 s42, 64
	v_lshl_add_u64 v[8:9], s[2:3], 0, v[6:7]
	v_lshlrev_b32_e32 v6, 4, v1
	s_cselect_b64 s[6:7], -1, 0
	v_lshl_or_b32 v35, v61, 3, v64
	s_mov_b32 s24, 0
	v_lshl_add_u64 v[6:7], v[8:9], 0, v[6:7]
	v_or_b32_e32 v19, 32, v35
	v_and_b32_e32 v18, 56, v63
	s_and_b64 vcc, exec, s[6:7]
	s_waitcnt lgkmcnt(0)
	global_store_dwordx4 v[6:7], v[2:5], off
	s_cbranch_vccz .LBB663_29
; %bb.24:
	s_mov_b32 s25, s24
	s_mov_b32 s26, s24
	;; [unrolled: 1-line block ×3, first 2 shown]
	v_mov_b64_e32 v[6:7], s[24:25]
	v_mov_b64_e32 v[8:9], s[26:27]
	;; [unrolled: 1-line block ×3, first 2 shown]
	v_cmp_gt_i32_e32 vcc, s42, v35
	v_mov_b64_e32 v[4:5], v[8:9]
	s_and_saveexec_b64 s[2:3], vcc
	s_cbranch_execz .LBB663_26
; %bb.25:
	v_lshlrev_b32_e32 v2, 8, v35
	v_mov_b32_e32 v3, 0
	v_lshl_add_u64 v[4:5], s[0:1], 0, v[2:3]
	v_lshlrev_b32_e32 v2, 1, v18
	v_lshl_add_u64 v[10:11], v[4:5], 0, v[2:3]
	global_load_dwordx4 v[6:9], v[10:11], off
	global_load_dwordx4 v[2:5], v[10:11], off offset:128
.LBB663_26:
	s_or_b64 exec, exec, s[2:3]
	s_mov_b32 s25, s24
	s_mov_b32 s26, s24
	;; [unrolled: 1-line block ×3, first 2 shown]
	v_mov_b64_e32 v[14:15], s[24:25]
	v_mov_b64_e32 v[16:17], s[26:27]
	;; [unrolled: 1-line block ×3, first 2 shown]
	v_cmp_gt_i32_e32 vcc, s42, v19
	v_lshlrev_b32_e32 v20, 7, v19
	v_mov_b64_e32 v[12:13], v[16:17]
	s_and_saveexec_b64 s[2:3], vcc
	s_cbranch_execz .LBB663_28
; %bb.27:
	v_lshlrev_b32_e32 v10, 1, v20
	v_mov_b32_e32 v11, 0
	v_lshl_add_u64 v[12:13], s[0:1], 0, v[10:11]
	v_lshlrev_b32_e32 v10, 1, v18
	v_lshl_add_u64 v[22:23], v[12:13], 0, v[10:11]
	global_load_dwordx4 v[14:17], v[22:23], off
	global_load_dwordx4 v[10:13], v[22:23], off offset:128
.LBB663_28:
	s_or_b64 exec, exec, s[2:3]
	v_lshrrev_b32_e32 v21, 3, v18
	v_lshlrev_b32_e32 v22, 3, v35
	v_or_b32_e32 v21, v22, v21
	v_lshlrev_b32_e32 v21, 4, v21
	v_and_b32_e32 v22, 0x78, v22
	v_xor_b32_e32 v21, v21, v22
	s_branch .LBB663_31
.LBB663_29:
                                        ; implicit-def: $vgpr21
                                        ; implicit-def: $vgpr20
                                        ; implicit-def: $vgpr6_vgpr7_vgpr8_vgpr9
                                        ; implicit-def: $vgpr2_vgpr3_vgpr4_vgpr5
                                        ; implicit-def: $vgpr14_vgpr15_vgpr16_vgpr17
                                        ; implicit-def: $vgpr10_vgpr11_vgpr12_vgpr13
	s_cbranch_execz .LBB663_31
; %bb.30:
	s_waitcnt vmcnt(0)
	v_lshlrev_b32_e32 v2, 1, v18
	v_lshl_or_b32 v20, v35, 8, v2
	s_and_b32 s1, s1, 0xffff
	s_mov_b32 s3, 0x20000
	s_movk_i32 s2, 0x4000
	v_lshl_or_b32 v21, v19, 8, v2
	s_movk_i32 s12, 0x80
	buffer_load_dwordx4 v[6:9], v20, s[0:3], 0 offen
	buffer_load_dwordx4 v[2:5], v20, s[0:3], s12 offen
	;; [unrolled: 1-line block ×4, first 2 shown]
	v_lshrrev_b32_e32 v20, 3, v18
	v_lshlrev_b32_e32 v21, 3, v35
	v_or_b32_e32 v20, v21, v20
	v_lshlrev_b32_e32 v20, 4, v20
	v_and_b32_e32 v21, 0x78, v21
	v_xor_b32_e32 v21, v20, v21
	v_lshlrev_b32_e32 v20, 7, v19
.LBB663_31:
	s_lshl_b64 s[0:1], s[40:41], 8
	s_add_u32 s4, s4, s0
	s_movk_i32 s0, 0x1000
	v_and_or_b32 v19, v20, s0, v21
	s_waitcnt vmcnt(1)
	ds_write_b64 v21, v[6:7] offset:16384
	v_xor_b32_e32 v6, 8, v21
	s_addc_u32 s5, s5, s1
	ds_write_b64 v6, v[8:9] offset:16384
	s_waitcnt vmcnt(0)
	ds_write_b64 v21, v[2:3] offset:24576
	ds_write_b64 v6, v[4:5] offset:24576
	;; [unrolled: 1-line block ×3, first 2 shown]
	v_xor_b32_e32 v2, 8, v19
	s_add_i32 s0, s45, s44
	ds_write_b64 v2, v[16:17] offset:16384
	ds_write_b64 v19, v[10:11] offset:24576
	;; [unrolled: 1-line block ×3, first 2 shown]
	s_add_i32 s21, s0, s46
	s_mul_i32 s0, s33, s23
	s_mul_hi_u32 s1, s33, s22
	v_or_b32_e32 v2, v45, v1
	s_add_i32 s0, s1, s0
	s_mul_i32 s1, s16, s22
	v_lshlrev_b32_e32 v2, 3, v2
	v_lshrrev_b32_e32 v4, 5, v60
	s_movk_i32 s16, 0xf8
	v_and_or_b32 v4, v2, s16, v4
	v_lshlrev_b32_e32 v3, 11, v61
	v_lshlrev_b32_e32 v12, 4, v4
	v_and_b32_e32 v13, 0x78, v2
	v_and_b32_e32 v14, 0x1000, v3
	v_lshlrev_b32_e32 v3, 2, v0
	v_xor_b32_e32 v2, v12, v13
	v_lshrrev_b32_e32 v4, 1, v60
	v_and_b32_e32 v3, 60, v3
	v_or_b32_e32 v2, v2, v14
	v_and_b32_e32 v15, 8, v4
	v_xor_b32_e32 v26, v2, v15
	v_lshl_or_b32 v2, v62, 6, v3
	v_lshlrev_b32_e32 v19, 1, v2
	v_or_b32_e32 v2, 32, v12
	v_xor_b32_e32 v2, v2, v13
	s_waitcnt lgkmcnt(0)
	s_barrier
	ds_read_b64 v[10:11], v26 offset:16384
	v_or_b32_e32 v2, v2, v14
	v_xor_b32_e32 v27, v2, v15
	v_or_b32_e32 v2, 64, v12
	v_xor_b32_e32 v2, v2, v13
	v_or_b32_e32 v2, v2, v14
	v_or_b32_e32 v12, 0x60, v12
	v_xor_b32_e32 v28, v2, v15
	ds_read2st64_b64 v[2:5], v19 offset0:72 offset1:73
	ds_read2st64_b64 v[6:9], v19 offset0:74 offset1:75
	v_xor_b32_e32 v16, v12, v13
	ds_read_b64 v[12:13], v27 offset:16384
	s_waitcnt lgkmcnt(2)
	v_mfma_f32_16x16x16_bf16 a[0:3], v[10:11], v[2:3], 0
	s_add_i32 s2, s39, -1
	s_ashr_i32 s3, s2, 31
	s_mul_i32 s12, s2, s35
	s_mul_hi_u32 s13, s2, s34
	s_add_i32 s12, s13, s12
	s_mul_i32 s3, s3, s34
	v_or_b32_e32 v14, v16, v14
	s_add_i32 s1, s0, s1
	s_add_i32 s3, s12, s3
	s_lshl_b64 s[12:13], s[20:21], 2
	v_xor_b32_e32 v36, v14, v15
	ds_read_b64 v[14:15], v28 offset:16384
	ds_read_b64 v[16:17], v36 offset:16384
	s_waitcnt lgkmcnt(2)
	v_mfma_f32_16x16x16_bf16 a[0:3], v[12:13], v[4:5], a[0:3]
	s_mul_i32 s0, s33, s22
	s_add_u32 s10, s10, s12
	s_addc_u32 s11, s11, s13
	s_lshl_b64 s[0:1], s[0:1], 2
	s_mul_i32 s2, s2, s34
	s_add_u32 s10, s10, s0
	s_addc_u32 s11, s11, s1
	s_lshl_b64 s[0:1], s[2:3], 2
	s_waitcnt lgkmcnt(1)
	v_mfma_f32_16x16x16_bf16 a[0:3], v[14:15], v[6:7], a[0:3]
	s_add_u32 s0, s10, s0
	s_addc_u32 s1, s11, s1
	s_load_dword s12, s[0:1], 0x0
	s_waitcnt lgkmcnt(0)
	v_mfma_f32_16x16x16_bf16 a[0:3], v[16:17], v[8:9], a[0:3]
	s_and_b64 vcc, exec, s[30:31]
	s_cbranch_vccz .LBB663_42
; %bb.32:
	v_lshlrev_b32_e32 v20, 1, v35
	s_and_b64 vcc, exec, s[6:7]
	s_cbranch_vccz .LBB663_43
; %bb.33:
	v_cmp_gt_i32_e32 vcc, s42, v20
	v_mov_b32_e32 v6, 0
	v_mov_b32_e32 v2, 0
	;; [unrolled: 1-line block ×5, first 2 shown]
	s_and_saveexec_b64 s[0:1], vcc
	s_cbranch_execz .LBB663_35
; %bb.34:
	v_mad_i64_i32 v[2:3], s[2:3], s19, v20, 0
	v_lshl_add_u64 v[2:3], v[2:3], 1, s[4:5]
	v_lshlrev_b32_e32 v4, 1, v18
	v_mov_b32_e32 v5, 0
	v_lshl_add_u64 v[2:3], v[2:3], 0, v[4:5]
	global_load_dwordx4 v[2:5], v[2:3], off
.LBB663_35:
	s_or_b64 exec, exec, s[0:1]
	v_or_b32_e32 v21, 1, v20
	v_cmp_gt_i32_e64 s[0:1], s42, v21
	v_mov_b32_e32 v7, 0
	v_mov_b32_e32 v8, 0
	;; [unrolled: 1-line block ×3, first 2 shown]
	s_and_saveexec_b64 s[2:3], s[0:1]
	s_cbranch_execz .LBB663_37
; %bb.36:
	v_mad_i64_i32 v[6:7], s[16:17], s19, v21, 0
	v_lshl_add_u64 v[6:7], v[6:7], 1, s[4:5]
	v_lshlrev_b32_e32 v8, 1, v18
	v_mov_b32_e32 v9, 0
	v_lshl_add_u64 v[6:7], v[6:7], 0, v[8:9]
	global_load_dwordx4 v[6:9], v[6:7], off
.LBB663_37:
	s_or_b64 exec, exec, s[2:3]
	v_mov_b32_e32 v17, 0
	v_mov_b32_e32 v10, 0
	;; [unrolled: 1-line block ×5, first 2 shown]
	s_and_saveexec_b64 s[2:3], vcc
	s_cbranch_execz .LBB663_39
; %bb.38:
	v_mad_i64_i32 v[10:11], s[16:17], s19, v20, 0
	v_lshl_add_u64 v[10:11], v[10:11], 1, s[4:5]
	v_lshlrev_b32_e32 v12, 1, v18
	v_mov_b32_e32 v13, 0
	v_lshl_add_u64 v[10:11], v[10:11], 0, v[12:13]
	global_load_dwordx4 v[10:13], v[10:11], off offset:128
.LBB663_39:
	s_or_b64 exec, exec, s[2:3]
	v_mov_b32_e32 v16, 0
	v_mov_b32_e32 v15, 0
	;; [unrolled: 1-line block ×3, first 2 shown]
	s_and_saveexec_b64 s[2:3], s[0:1]
	s_cbranch_execz .LBB663_41
; %bb.40:
	v_mad_i64_i32 v[14:15], s[0:1], s19, v21, 0
	v_lshl_add_u64 v[14:15], v[14:15], 1, s[4:5]
	v_lshlrev_b32_e32 v16, 1, v18
	v_mov_b32_e32 v17, 0
	v_lshl_add_u64 v[14:15], v[14:15], 0, v[16:17]
	global_load_dwordx4 v[14:17], v[14:15], off offset:128
.LBB663_41:
	s_or_b64 exec, exec, s[2:3]
	s_branch .LBB663_45
.LBB663_42:
                                        ; implicit-def: $vgpr5
                                        ; implicit-def: $vgpr9
                                        ; implicit-def: $vgpr13
                                        ; implicit-def: $vgpr17
	v_lshrrev_b32_e32 v37, 2, v60
	s_branch .LBB663_46
.LBB663_43:
                                        ; implicit-def: $vgpr5
                                        ; implicit-def: $vgpr9
                                        ; implicit-def: $vgpr13
                                        ; implicit-def: $vgpr17
	s_cbranch_execz .LBB663_45
; %bb.44:
	s_waitcnt vmcnt(0)
	v_mad_u64_u32 v[2:3], s[0:1], v20, s19, v[18:19]
	v_lshlrev_b32_e32 v20, 1, v2
	s_lshl_b32 s2, s19, 7
	s_and_b32 s1, s5, 0xffff
	s_mov_b32 s3, 0x20000
	s_mov_b32 s0, s4
	v_add_lshl_u32 v21, v2, s19, 1
	s_movk_i32 s13, 0x80
	buffer_load_dwordx4 v[2:5], v20, s[0:3], 0 offen
	buffer_load_dwordx4 v[10:13], v20, s[0:3], s13 offen
	buffer_load_dwordx4 v[6:9], v21, s[0:3], 0 offen
	buffer_load_dwordx4 v[14:17], v21, s[0:3], s13 offen
.LBB663_45:
	v_lshrrev_b32_e32 v37, 2, v60
	s_cbranch_execnz .LBB663_58
.LBB663_46:
	s_and_b64 vcc, exec, s[6:7]
	s_cbranch_vccz .LBB663_56
; %bb.47:
	s_waitcnt vmcnt(0)
	v_lshlrev_b32_e32 v7, 1, v35
	v_cmp_gt_i32_e32 vcc, s42, v7
	v_mov_b32_e32 v6, 0
	v_lshlrev_b32_e32 v14, 9, v35
	v_mov_b32_e32 v2, 0
	v_mov_b32_e32 v3, 0
	;; [unrolled: 1-line block ×4, first 2 shown]
	s_and_saveexec_b64 s[0:1], vcc
	s_cbranch_execz .LBB663_49
; %bb.48:
	v_mov_b32_e32 v15, 0
	v_lshl_add_u64 v[2:3], s[4:5], 0, v[14:15]
	v_lshlrev_b32_e32 v4, 1, v18
	v_mov_b32_e32 v5, v15
	v_lshl_add_u64 v[2:3], v[2:3], 0, v[4:5]
	global_load_dwordx4 v[2:5], v[2:3], off
.LBB663_49:
	s_or_b64 exec, exec, s[0:1]
	v_or_b32_e32 v7, 1, v7
	v_cmp_gt_i32_e64 s[0:1], s42, v7
	v_lshlrev_b32_e32 v20, 8, v7
	v_mov_b32_e32 v7, 0
	v_mov_b32_e32 v8, 0
	;; [unrolled: 1-line block ×3, first 2 shown]
	s_and_saveexec_b64 s[2:3], s[0:1]
	s_cbranch_execz .LBB663_51
; %bb.50:
	v_mov_b32_e32 v21, 0
	v_lshl_add_u64 v[6:7], s[4:5], 0, v[20:21]
	v_lshlrev_b32_e32 v8, 1, v18
	v_mov_b32_e32 v9, v21
	v_lshl_add_u64 v[6:7], v[6:7], 0, v[8:9]
	global_load_dwordx4 v[6:9], v[6:7], off
.LBB663_51:
	s_or_b64 exec, exec, s[2:3]
	v_mov_b32_e32 v17, 0
	v_mov_b32_e32 v10, 0
	;; [unrolled: 1-line block ×5, first 2 shown]
	s_and_saveexec_b64 s[2:3], vcc
	s_cbranch_execz .LBB663_53
; %bb.52:
	v_mov_b32_e32 v15, 0
	v_lshl_add_u64 v[10:11], s[4:5], 0, v[14:15]
	v_lshlrev_b32_e32 v14, 1, v18
	v_lshl_add_u64 v[10:11], v[10:11], 0, v[14:15]
	global_load_dwordx4 v[10:13], v[10:11], off offset:128
.LBB663_53:
	s_or_b64 exec, exec, s[2:3]
	v_mov_b32_e32 v16, 0
	v_mov_b32_e32 v15, 0
	;; [unrolled: 1-line block ×3, first 2 shown]
	s_and_saveexec_b64 s[2:3], s[0:1]
	s_cbranch_execz .LBB663_55
; %bb.54:
	v_mov_b32_e32 v21, 0
	v_lshl_add_u64 v[14:15], s[4:5], 0, v[20:21]
	v_lshlrev_b32_e32 v20, 1, v18
	v_lshl_add_u64 v[14:15], v[14:15], 0, v[20:21]
	global_load_dwordx4 v[14:17], v[14:15], off offset:128
.LBB663_55:
	s_or_b64 exec, exec, s[2:3]
	s_branch .LBB663_58
.LBB663_56:
                                        ; implicit-def: $vgpr5
                                        ; implicit-def: $vgpr9
                                        ; implicit-def: $vgpr13
                                        ; implicit-def: $vgpr17
	s_cbranch_execz .LBB663_58
; %bb.57:
	s_waitcnt vmcnt(0)
	v_lshlrev_b32_e32 v2, 1, v18
	v_lshl_or_b32 v18, v35, 9, v2
	s_and_b32 s5, s5, 0xffff
	s_mov_b32 s7, 0x20000
	s_movk_i32 s6, 0x4000
	s_movk_i32 s0, 0x80
	buffer_load_dwordx4 v[2:5], v18, s[4:7], 0 offen
	buffer_load_dwordx4 v[6:9], v18, s[4:7], 0 offen offset:256
	buffer_load_dwordx4 v[10:13], v18, s[4:7], s0 offen
	buffer_load_dwordx4 v[14:17], v18, s[4:7], s0 offen offset:256
.LBB663_58:
	ds_read2st64_b64 v[22:25], v19 offset0:76 offset1:77
	ds_read2st64_b64 v[18:21], v19 offset0:78 offset1:79
	ds_read_b64 v[32:33], v26 offset:24576
	ds_read_b64 v[30:31], v27 offset:24576
	ds_read_b64 v[28:29], v28 offset:24576
	ds_read_b64 v[26:27], v36 offset:24576
	v_and_b32_e32 v36, 6, v0
	v_xor_b32_e32 v35, v35, v36
	v_lshlrev_b32_e32 v35, 2, v35
	v_and_b32_e32 v0, 1, v0
	v_xor_b32_e32 v38, 0x440, v35
	v_cmp_eq_u32_e32 vcc, 0, v0
	s_mov_b32 s0, 0x1000504
	s_mov_b32 s1, 0x3020706
	v_cndmask_b32_e32 v0, v38, v35, vcc
	v_lshl_or_b32 v0, v36, 10, v0
	s_waitcnt vmcnt(0)
	v_perm_b32 v35, v2, v6, s0
	v_perm_b32 v36, v10, v14, s0
	ds_write2st64_b32 v0, v35, v36 offset1:32
	v_xor_b32_e32 v35, 8, v0
	v_perm_b32 v2, v2, v6, s1
	v_perm_b32 v6, v10, v14, s1
	v_add_u32_e32 v10, 0x80, v35
	ds_write2st64_b32 v10, v2, v6 offset1:32
	v_xor_b32_e32 v2, 16, v0
	v_perm_b32 v6, v3, v7, s0
	v_perm_b32 v10, v11, v15, s0
	ds_write2st64_b32 v2, v6, v10 offset0:1 offset1:33
	v_xor_b32_e32 v2, 24, v0
	v_perm_b32 v3, v3, v7, s1
	v_perm_b32 v6, v11, v15, s1
	v_add_u32_e32 v2, 0x80, v2
	ds_write2st64_b32 v2, v3, v6 offset0:1 offset1:33
	v_xor_b32_e32 v2, 32, v0
	v_perm_b32 v3, v4, v8, s0
	v_perm_b32 v6, v12, v16, s0
	ds_write2st64_b32 v2, v3, v6 offset0:2 offset1:34
	v_xor_b32_e32 v2, 40, v0
	v_perm_b32 v3, v4, v8, s1
	v_perm_b32 v4, v12, v16, s1
	v_add_u32_e32 v2, 0x80, v2
	ds_write2st64_b32 v2, v3, v4 offset0:2 offset1:34
	v_xor_b32_e32 v2, 48, v0
	v_perm_b32 v3, v5, v9, s0
	v_perm_b32 v4, v13, v17, s0
	v_xor_b32_e32 v0, 56, v0
	v_and_or_b32 v8, v37, 12, v45
	ds_write2st64_b32 v2, v3, v4 offset0:3 offset1:35
	v_perm_b32 v2, v5, v9, s1
	v_perm_b32 v3, v13, v17, s1
	v_add_u32_e32 v0, 0x80, v0
	v_cmp_gt_i32_e64 s[2:3], s42, v8
	v_mov_b32_e32 v10, 0
	v_mov_b32_e32 v15, 0
	ds_write2st64_b32 v0, v2, v3 offset0:3 offset1:35
	s_and_saveexec_b64 s[0:1], s[2:3]
	s_cbranch_execz .LBB663_60
; %bb.59:
	v_add_u32_e32 v0, s38, v8
	v_ashrrev_i32_e32 v2, 31, v0
	v_mul_lo_u32 v4, v2, s34
	v_mul_lo_u32 v5, v0, s35
	v_mad_u64_u32 v[2:3], s[4:5], v0, s34, 0
	v_add3_u32 v3, v3, v5, v4
	v_lshl_add_u64 v[2:3], v[2:3], 2, s[10:11]
	global_load_dword v0, v[2:3], off
	s_waitcnt vmcnt(0)
	v_sub_f32_e32 v0, s12, v0
	v_exp_f32_e32 v15, v0
.LBB663_60:
	s_or_b64 exec, exec, s[0:1]
	v_or_b32_e32 v13, 1, v8
	v_cmp_gt_i32_e64 s[4:5], s42, v13
	s_and_saveexec_b64 s[0:1], s[4:5]
	s_cbranch_execz .LBB663_62
; %bb.61:
	v_add_u32_e32 v0, s38, v13
	v_ashrrev_i32_e32 v2, 31, v0
	v_mul_lo_u32 v4, v2, s34
	v_mul_lo_u32 v5, v0, s35
	v_mad_u64_u32 v[2:3], s[6:7], v0, s34, 0
	v_add3_u32 v3, v3, v5, v4
	v_lshl_add_u64 v[2:3], v[2:3], 2, s[10:11]
	global_load_dword v0, v[2:3], off
	s_waitcnt vmcnt(0)
	v_sub_f32_e32 v0, s12, v0
	v_exp_f32_e32 v10, v0
.LBB663_62:
	s_or_b64 exec, exec, s[0:1]
	v_or_b32_e32 v11, 2, v8
	v_cmp_gt_i32_e32 vcc, s42, v11
	v_mov_b32_e32 v9, 0
	v_mov_b32_e32 v14, 0
	s_and_saveexec_b64 s[0:1], vcc
	s_cbranch_execz .LBB663_64
; %bb.63:
	v_add_u32_e32 v0, s38, v11
	v_ashrrev_i32_e32 v2, 31, v0
	v_mul_lo_u32 v4, v2, s34
	v_mul_lo_u32 v5, v0, s35
	v_mad_u64_u32 v[2:3], s[6:7], v0, s34, 0
	v_add3_u32 v3, v3, v5, v4
	v_lshl_add_u64 v[2:3], v[2:3], 2, s[10:11]
	global_load_dword v0, v[2:3], off
	s_waitcnt vmcnt(0)
	v_sub_f32_e32 v0, s12, v0
	v_exp_f32_e32 v14, v0
.LBB663_64:
	s_or_b64 exec, exec, s[0:1]
	v_or_b32_e32 v12, 3, v8
	v_cmp_gt_i32_e64 s[0:1], s42, v12
	s_and_saveexec_b64 s[6:7], s[0:1]
	s_cbranch_execz .LBB663_66
; %bb.65:
	v_add_u32_e32 v0, s38, v12
	v_ashrrev_i32_e32 v2, 31, v0
	v_mul_lo_u32 v4, v2, s34
	v_mul_lo_u32 v5, v0, s35
	v_mad_u64_u32 v[2:3], s[16:17], v0, s34, 0
	v_add3_u32 v3, v3, v5, v4
	v_lshl_add_u64 v[2:3], v[2:3], 2, s[10:11]
	global_load_dword v0, v[2:3], off
	s_waitcnt vmcnt(0)
	v_sub_f32_e32 v0, s12, v0
	v_exp_f32_e32 v9, v0
.LBB663_66:
	s_or_b64 exec, exec, s[6:7]
	s_waitcnt lgkmcnt(11)
	v_mfma_f32_16x16x16_bf16 a[0:3], v[32:33], v[22:23], a[0:3]
	v_or_b32_e32 v0, s36, v1
	s_add_u32 s6, s8, s28
	v_ashrrev_i32_e32 v1, 31, v0
	s_waitcnt lgkmcnt(10)
	v_mfma_f32_16x16x16_bf16 a[0:3], v[30:31], v[24:25], a[0:3]
	s_addc_u32 s7, s9, s29
	v_lshlrev_b64 v[0:1], 1, v[0:1]
	v_lshl_add_u64 v[4:5], s[6:7], 0, v[0:1]
	s_waitcnt lgkmcnt(9)
	v_mfma_f32_16x16x16_bf16 a[0:3], v[28:29], v[18:19], a[0:3]
	s_add_u32 s6, s14, s28
	s_addc_u32 s7, s15, s29
	v_lshl_add_u64 v[6:7], s[6:7], 0, v[0:1]
	s_waitcnt lgkmcnt(8)
	v_mfma_f32_16x16x16_bf16 a[0:3], v[26:27], v[20:21], a[0:3]
	v_mov_b32_e32 v16, 0
	v_mov_b32_e32 v17, 0
	s_nop 4
	v_accvgpr_read_b32 v0, a0
	v_accvgpr_read_b32 v1, a1
	;; [unrolled: 1-line block ×4, first 2 shown]
	s_and_saveexec_b64 s[6:7], s[2:3]
	s_cbranch_execz .LBB663_68
; %bb.67:
	v_lshlrev_b32_e32 v18, 8, v8
	v_mov_b32_e32 v19, 0
	v_lshl_add_u64 v[20:21], v[4:5], 0, v[18:19]
	global_load_ushort v17, v[20:21], off
	v_lshl_add_u64 v[18:19], v[6:7], 0, v[18:19]
	s_waitcnt vmcnt(0)
	v_lshlrev_b32_e32 v17, 16, v17
	v_sub_f32_e32 v0, v17, v0
	global_store_short_d16_hi v[18:19], v0, off
	v_mul_f32_e32 v0, v15, v0
	v_lshrrev_b32_e32 v17, 16, v0
.LBB663_68:
	s_or_b64 exec, exec, s[6:7]
	s_and_saveexec_b64 s[2:3], s[4:5]
	s_cbranch_execz .LBB663_70
; %bb.69:
	v_lshlrev_b32_e32 v18, 8, v13
	v_mov_b32_e32 v19, 0
	v_lshl_add_u64 v[20:21], v[4:5], 0, v[18:19]
	global_load_ushort v0, v[20:21], off
	v_lshl_add_u64 v[18:19], v[6:7], 0, v[18:19]
	s_waitcnt vmcnt(0)
	v_lshlrev_b32_e32 v0, 16, v0
	v_sub_f32_e32 v0, v0, v1
	global_store_short_d16_hi v[18:19], v0, off
	v_mul_f32_e32 v0, v10, v0
	v_lshrrev_b32_e32 v16, 16, v0
.LBB663_70:
	s_or_b64 exec, exec, s[2:3]
	v_mov_b32_e32 v0, 0
	v_mov_b32_e32 v1, 0
	s_and_saveexec_b64 s[2:3], vcc
	s_cbranch_execz .LBB663_72
; %bb.71:
	v_lshlrev_b32_e32 v10, 8, v11
	v_mov_b32_e32 v11, 0
	v_lshl_add_u64 v[18:19], v[4:5], 0, v[10:11]
	global_load_ushort v1, v[18:19], off
	v_lshl_add_u64 v[10:11], v[6:7], 0, v[10:11]
	s_waitcnt vmcnt(0)
	v_lshlrev_b32_e32 v1, 16, v1
	v_sub_f32_e32 v1, v1, v2
	global_store_short_d16_hi v[10:11], v1, off
	v_mul_f32_e32 v1, v14, v1
	v_lshrrev_b32_e32 v1, 16, v1
.LBB663_72:
	s_or_b64 exec, exec, s[2:3]
	s_and_saveexec_b64 s[2:3], s[0:1]
	s_cbranch_execz .LBB663_74
; %bb.73:
	v_lshlrev_b32_e32 v10, 8, v12
	v_mov_b32_e32 v11, 0
	v_lshl_add_u64 v[4:5], v[4:5], 0, v[10:11]
	global_load_ushort v0, v[4:5], off
	v_lshl_add_u64 v[4:5], v[6:7], 0, v[10:11]
	s_waitcnt vmcnt(0)
	v_lshlrev_b32_e32 v0, 16, v0
	v_sub_f32_e32 v0, v0, v3
	global_store_short_d16_hi v[4:5], v0, off
	v_mul_f32_e32 v0, v9, v0
	v_lshrrev_b32_e32 v0, 16, v0
.LBB663_74:
	s_or_b64 exec, exec, s[2:3]
	s_mov_b32 s0, 0x5040100
	v_lshlrev_b32_e32 v2, 1, v34
	v_perm_b32 v1, v0, v1, s0
	v_perm_b32 v0, v16, v17, s0
	v_lshl_or_b32 v2, v8, 5, v2
	ds_write_b64 v2, v[0:1] offset:38912
	s_waitcnt lgkmcnt(0)
	s_barrier
.LBB663_75:
	s_endpgm
	.section	.rodata,"a",@progbits
	.p2align	6, 0x0
	.amdhsa_kernel _ZN12_GLOBAL__N_139chunk_gated_delta_rule_fwd_h_hip_kernelILi16ELb0ELb0ELb1ELb1ELb1ELb1ELb0ELb0EEEvPK12hip_bfloat16S3_S3_PKfS5_PKvPS1_S8_PvPKiSB_iiiiilll
		.amdhsa_group_segment_fixed_size 40960
		.amdhsa_private_segment_fixed_size 0
		.amdhsa_kernarg_size 136
		.amdhsa_user_sgpr_count 2
		.amdhsa_user_sgpr_dispatch_ptr 0
		.amdhsa_user_sgpr_queue_ptr 0
		.amdhsa_user_sgpr_kernarg_segment_ptr 1
		.amdhsa_user_sgpr_dispatch_id 0
		.amdhsa_user_sgpr_kernarg_preload_length 0
		.amdhsa_user_sgpr_kernarg_preload_offset 0
		.amdhsa_user_sgpr_private_segment_size 0
		.amdhsa_uses_dynamic_stack 0
		.amdhsa_enable_private_segment 0
		.amdhsa_system_sgpr_workgroup_id_x 1
		.amdhsa_system_sgpr_workgroup_id_y 1
		.amdhsa_system_sgpr_workgroup_id_z 0
		.amdhsa_system_sgpr_workgroup_info 0
		.amdhsa_system_vgpr_workitem_id 0
		.amdhsa_next_free_vgpr 128
		.amdhsa_next_free_sgpr 62
		.amdhsa_accum_offset 116
		.amdhsa_reserve_vcc 1
		.amdhsa_float_round_mode_32 0
		.amdhsa_float_round_mode_16_64 0
		.amdhsa_float_denorm_mode_32 3
		.amdhsa_float_denorm_mode_16_64 3
		.amdhsa_dx10_clamp 1
		.amdhsa_ieee_mode 1
		.amdhsa_fp16_overflow 0
		.amdhsa_tg_split 0
		.amdhsa_exception_fp_ieee_invalid_op 0
		.amdhsa_exception_fp_denorm_src 0
		.amdhsa_exception_fp_ieee_div_zero 0
		.amdhsa_exception_fp_ieee_overflow 0
		.amdhsa_exception_fp_ieee_underflow 0
		.amdhsa_exception_fp_ieee_inexact 0
		.amdhsa_exception_int_div_zero 0
	.end_amdhsa_kernel
	.section	.text._ZN12_GLOBAL__N_139chunk_gated_delta_rule_fwd_h_hip_kernelILi16ELb0ELb0ELb1ELb1ELb1ELb1ELb0ELb0EEEvPK12hip_bfloat16S3_S3_PKfS5_PKvPS1_S8_PvPKiSB_iiiiilll,"axG",@progbits,_ZN12_GLOBAL__N_139chunk_gated_delta_rule_fwd_h_hip_kernelILi16ELb0ELb0ELb1ELb1ELb1ELb1ELb0ELb0EEEvPK12hip_bfloat16S3_S3_PKfS5_PKvPS1_S8_PvPKiSB_iiiiilll,comdat
.Lfunc_end663:
	.size	_ZN12_GLOBAL__N_139chunk_gated_delta_rule_fwd_h_hip_kernelILi16ELb0ELb0ELb1ELb1ELb1ELb1ELb0ELb0EEEvPK12hip_bfloat16S3_S3_PKfS5_PKvPS1_S8_PvPKiSB_iiiiilll, .Lfunc_end663-_ZN12_GLOBAL__N_139chunk_gated_delta_rule_fwd_h_hip_kernelILi16ELb0ELb0ELb1ELb1ELb1ELb1ELb0ELb0EEEvPK12hip_bfloat16S3_S3_PKfS5_PKvPS1_S8_PvPKiSB_iiiiilll
                                        ; -- End function
	.section	.AMDGPU.csdata,"",@progbits
; Kernel info:
; codeLenInByte = 7320
; NumSgprs: 68
; NumVgprs: 114
; NumAgprs: 12
; TotalNumVgprs: 128
; ScratchSize: 0
; MemoryBound: 0
; FloatMode: 240
; IeeeMode: 1
; LDSByteSize: 40960 bytes/workgroup (compile time only)
; SGPRBlocks: 8
; VGPRBlocks: 15
; NumSGPRsForWavesPerEU: 68
; NumVGPRsForWavesPerEU: 128
; AccumOffset: 116
; Occupancy: 1
; WaveLimiterHint : 1
; COMPUTE_PGM_RSRC2:SCRATCH_EN: 0
; COMPUTE_PGM_RSRC2:USER_SGPR: 2
; COMPUTE_PGM_RSRC2:TRAP_HANDLER: 0
; COMPUTE_PGM_RSRC2:TGID_X_EN: 1
; COMPUTE_PGM_RSRC2:TGID_Y_EN: 1
; COMPUTE_PGM_RSRC2:TGID_Z_EN: 0
; COMPUTE_PGM_RSRC2:TIDIG_COMP_CNT: 0
; COMPUTE_PGM_RSRC3_GFX90A:ACCUM_OFFSET: 28
; COMPUTE_PGM_RSRC3_GFX90A:TG_SPLIT: 0
	.section	.text._ZN12_GLOBAL__N_139chunk_gated_delta_rule_fwd_h_hip_kernelILi16ELb0ELb0ELb0ELb1ELb1ELb1ELb0ELb0EEEvPK12hip_bfloat16S3_S3_PKfS5_PKvPS1_S8_PvPKiSB_iiiiilll,"axG",@progbits,_ZN12_GLOBAL__N_139chunk_gated_delta_rule_fwd_h_hip_kernelILi16ELb0ELb0ELb0ELb1ELb1ELb1ELb0ELb0EEEvPK12hip_bfloat16S3_S3_PKfS5_PKvPS1_S8_PvPKiSB_iiiiilll,comdat
	.globl	_ZN12_GLOBAL__N_139chunk_gated_delta_rule_fwd_h_hip_kernelILi16ELb0ELb0ELb0ELb1ELb1ELb1ELb0ELb0EEEvPK12hip_bfloat16S3_S3_PKfS5_PKvPS1_S8_PvPKiSB_iiiiilll ; -- Begin function _ZN12_GLOBAL__N_139chunk_gated_delta_rule_fwd_h_hip_kernelILi16ELb0ELb0ELb0ELb1ELb1ELb1ELb0ELb0EEEvPK12hip_bfloat16S3_S3_PKfS5_PKvPS1_S8_PvPKiSB_iiiiilll
	.p2align	8
	.type	_ZN12_GLOBAL__N_139chunk_gated_delta_rule_fwd_h_hip_kernelILi16ELb0ELb0ELb0ELb1ELb1ELb1ELb0ELb0EEEvPK12hip_bfloat16S3_S3_PKfS5_PKvPS1_S8_PvPKiSB_iiiiilll,@function
_ZN12_GLOBAL__N_139chunk_gated_delta_rule_fwd_h_hip_kernelILi16ELb0ELb0ELb0ELb1ELb1ELb1ELb0ELb0EEEvPK12hip_bfloat16S3_S3_PKfS5_PKvPS1_S8_PvPKiSB_iiiiilll: ; @_ZN12_GLOBAL__N_139chunk_gated_delta_rule_fwd_h_hip_kernelILi16ELb0ELb0ELb0ELb1ELb1ELb1ELb0ELb0EEEvPK12hip_bfloat16S3_S3_PKfS5_PKvPS1_S8_PvPKiSB_iiiiilll
; %bb.0:
	s_load_dwordx4 s[12:15], s[0:1], 0x5c
	s_load_dwordx4 s[16:19], s[0:1], 0x70
	s_abs_i32 s21, s3
	s_ashr_i32 s20, s3, 31
	s_load_dwordx2 s[36:37], s[0:1], 0x30
	s_load_dwordx4 s[24:27], s[0:1], 0x48
	s_waitcnt lgkmcnt(0)
	s_abs_i32 s28, s13
	v_cvt_f32_u32_e32 v1, s28
	s_sub_i32 s22, 0, s28
	s_ashr_i32 s29, s13, 31
	s_xor_b32 s20, s20, s29
	v_rcp_iflag_f32_e32 v1, v1
	s_load_dwordx8 s[4:11], s[0:1], 0x0
	v_lshrrev_b32_e32 v59, 6, v0
	v_bfe_u32 v60, v0, 4, 2
	v_mul_f32_e32 v1, 0x4f7ffffe, v1
	v_cvt_u32_f32_e32 v1, v1
	v_lshlrev_b32_e32 v45, 4, v59
	v_lshlrev_b32_e32 v2, 2, v60
	v_and_b32_e32 v58, 63, v0
	v_readfirstlane_b32 s23, v1
	s_mul_i32 s22, s22, s23
	s_mul_hi_u32 s22, s23, s22
	s_add_i32 s23, s23, s22
	s_mul_hi_u32 s22, s21, s23
	s_mul_i32 s23, s22, s28
	s_sub_i32 s21, s21, s23
	s_add_i32 s30, s22, 1
	s_sub_i32 s23, s21, s28
	s_cmp_ge_u32 s21, s28
	s_cselect_b32 s22, s30, s22
	s_cselect_b32 s21, s23, s21
	s_add_i32 s23, s22, 1
	s_cmp_ge_u32 s21, s28
	s_cselect_b32 s21, s23, s22
	s_xor_b32 s21, s21, s20
	s_sub_i32 s20, s21, s20
	s_mul_i32 s21, s20, s13
	s_sub_i32 s33, s3, s21
	s_ashr_i32 s21, s20, 31
	s_lshl_b64 s[22:23], s[20:21], 2
	s_add_u32 s24, s24, s22
	s_addc_u32 s25, s25, s23
	s_add_u32 s22, s26, s22
	s_addc_u32 s23, s27, s23
	s_abs_i32 s3, s14
	v_cvt_f32_u32_e32 v1, s3
	s_load_dwordx2 s[34:35], s[24:25], 0x0
	s_sub_i32 s25, 0, s3
	s_load_dword s46, s[22:23], 0x0
	v_rcp_iflag_f32_e32 v1, v1
	v_or_b32_e32 v64, v2, v45
	s_waitcnt lgkmcnt(0)
	s_sub_i32 s47, s35, s34
	s_ashr_i32 s24, s47, 31
	v_mul_f32_e32 v1, 0x4f7ffffe, v1
	v_cvt_u32_f32_e32 v1, v1
	s_lshr_b32 s24, s24, 26
	s_add_i32 s24, s47, s24
	s_ashr_i32 s45, s24, 6
	v_readfirstlane_b32 s26, v1
	s_mul_i32 s25, s25, s26
	s_mul_hi_u32 s25, s26, s25
	s_add_i32 s26, s26, s25
	s_mul_hi_u32 s25, s28, s26
	s_mul_i32 s26, s25, s3
	s_ashr_i32 s24, s14, 31
	s_sub_i32 s26, s28, s26
	s_xor_b32 s24, s29, s24
	s_add_i32 s27, s25, 1
	s_sub_i32 s28, s26, s3
	s_cmp_ge_u32 s26, s3
	s_cselect_b32 s25, s27, s25
	s_cselect_b32 s26, s28, s26
	s_add_i32 s27, s25, 1
	s_cmp_ge_u32 s26, s3
	s_cselect_b32 s3, s27, s25
	s_xor_b32 s3, s3, s24
	s_sub_i32 s3, s3, s24
	s_abs_i32 s24, s3
	v_cvt_f32_u32_e32 v1, s24
	s_sub_i32 s23, 0, s24
	s_abs_i32 s22, s33
	s_xor_b32 s3, s33, s3
	v_rcp_iflag_f32_e32 v1, v1
	s_ashr_i32 s3, s3, 31
	s_load_dwordx2 s[28:29], s[0:1], 0x80
	v_mov_b32_e32 v49, 0
	v_mul_f32_e32 v1, 0x4f7ffffe, v1
	v_cvt_u32_f32_e32 v1, v1
	v_or_b32_e32 v63, 64, v64
	s_mul_hi_i32 s48, s33, s12
	s_mul_i32 s49, s33, s12
	v_readfirstlane_b32 s25, v1
	s_mul_i32 s23, s23, s25
	s_mul_hi_u32 s23, s25, s23
	s_add_i32 s25, s25, s23
	s_mul_hi_u32 s23, s22, s25
	s_mul_i32 s25, s23, s24
	s_sub_i32 s22, s22, s25
	s_add_i32 s25, s23, 1
	s_sub_i32 s26, s22, s24
	s_cmp_ge_u32 s22, s24
	s_cselect_b32 s23, s25, s23
	s_cselect_b32 s22, s26, s22
	s_add_i32 s25, s23, 1
	s_cmp_ge_u32 s22, s24
	s_cselect_b32 s22, s25, s23
	s_xor_b32 s22, s22, s3
	s_sub_i32 s51, s22, s3
	s_lshl_b32 s30, s2, 4
	v_and_b32_e32 v1, 15, v0
	s_cmp_lt_i32 s47, 64
	v_lshrrev_b32_e32 v62, 3, v58
	v_lshlrev_b32_e32 v61, 3, v0
	s_mul_i32 s42, s20, s17
	s_mul_hi_u32 s43, s20, s16
	s_mul_i32 s44, s21, s16
	s_mul_i32 s16, s20, s16
	v_mov_b32_e32 v48, v49
	v_mov_b32_e32 v51, v49
	;; [unrolled: 1-line block ×7, first 2 shown]
	s_cbranch_scc1 .LBB664_18
; %bb.1:
	s_ashr_i32 s53, s33, 31
	s_ashr_i32 s3, s34, 31
	s_add_u32 s2, s49, s34
	s_addc_u32 s3, s48, s3
	s_lshl_b64 s[2:3], s[2:3], 8
	v_and_b32_e32 v66, 56, v61
	s_add_u32 s20, s6, s2
	v_lshl_or_b32 v65, v59, 3, v62
	v_lshlrev_b32_e32 v3, 1, v66
	s_addc_u32 s2, s7, s3
	v_lshl_or_b32 v67, v65, 8, v3
	s_and_b32 s21, s2, 0xffff
	s_mov_b32 s23, 0x20000
	s_movk_i32 s22, 0x4000
	s_movk_i32 s2, 0x80
	v_or_b32_e32 v68, 0x2000, v67
	buffer_load_dwordx4 v[4:7], v67, s[20:23], 0 offen
	buffer_load_dwordx4 v[8:11], v67, s[20:23], s2 offen
	;; [unrolled: 1-line block ×4, first 2 shown]
	v_lshlrev_b32_e32 v20, 3, v65
	v_and_or_b32 v22, v0, 7, v20
	v_and_b32_e32 v20, 0x78, v20
	v_lshlrev_b32_e32 v22, 4, v22
	v_xor_b32_e32 v69, v22, v20
	v_mul_lo_u32 v21, v65, s15
	v_or_b32_e32 v70, 0x1000, v69
	s_cmpk_eq_i32 s15, 0x80
	s_mov_b32 s50, s13
	s_mov_b32 s52, s34
	v_xor_b32_e32 v20, 8, v69
	v_xor_b32_e32 v22, 8, v70
	s_cselect_b64 s[2:3], -1, 0
	s_cmpk_lg_i32 s15, 0x80
	s_waitcnt vmcnt(3)
	ds_write_b64 v69, v[4:5] offset:16384
	ds_write_b64 v20, v[6:7] offset:16384
	s_waitcnt vmcnt(2)
	ds_write_b64 v69, v[8:9] offset:24576
	ds_write_b64 v20, v[10:11] offset:24576
	;; [unrolled: 3-line block ×4, first 2 shown]
	v_lshl_add_u32 v4, v21, 1, v66
	s_cbranch_scc0 .LBB664_3
; %bb.2:
	v_lshlrev_b32_e32 v6, 1, v4
	v_add_lshl_u32 v5, v4, s15, 1
	s_lshl_b32 s22, s15, 7
	s_load_dwordx2 s[38:39], s[0:1], 0x20
	v_lshl_or_b32 v3, v65, 9, v3
	s_cbranch_execz .LBB664_4
	s_branch .LBB664_5
.LBB664_3:
                                        ; implicit-def: $vgpr5
                                        ; implicit-def: $vgpr6
                                        ; implicit-def: $sgpr22
	s_load_dwordx2 s[38:39], s[0:1], 0x20
	v_lshl_or_b32 v3, v65, 9, v3
.LBB664_4:
	v_or_b32_e32 v5, 0x100, v3
	s_movk_i32 s22, 0x4000
	v_mov_b32_e32 v6, v3
.LBB664_5:
	s_mul_i32 s0, s34, s14
	s_ashr_i32 s54, s51, 31
	s_mul_hi_i32 s1, s34, s14
	s_add_u32 s0, s0, s51
	s_addc_u32 s1, s1, s54
	s_lshl_b64 s[0:1], s[0:1], 8
	s_add_u32 s20, s4, s0
	s_addc_u32 s0, s5, s1
	s_and_b32 s21, s0, 0xffff
	s_movk_i32 s55, 0x80
	buffer_load_dwordx4 v[8:11], v6, s[20:23], 0 offen
	buffer_load_dwordx4 v[12:15], v6, s[20:23], s55 offen
	;; [unrolled: 1-line block ×4, first 2 shown]
	v_and_b32_e32 v5, 6, v0
	v_lshlrev_b32_e32 v7, 2, v1
	v_lshlrev_b32_e32 v24, 3, v1
	v_xor_b32_e32 v26, v65, v5
	v_and_b32_e32 v6, 1, v0
	v_lshl_or_b32 v24, v64, 5, v24
	v_xor_b32_e32 v27, v64, v7
	v_lshlrev_b32_e32 v26, 2, v26
	s_mul_i32 s1, s33, s19
	s_mul_hi_u32 s17, s33, s18
	v_or_b32_e32 v71, 0x9000, v24
	v_or_b32_e32 v72, 0x9800, v24
	v_lshlrev_b32_e32 v24, 1, v27
	v_xor_b32_e32 v27, 0x440, v26
	v_cmp_eq_u32_e32 vcc, 0, v6
	s_add_i32 s21, s43, s42
	s_mul_i32 s20, s53, s18
	v_cndmask_b32_e32 v6, v27, v26, vcc
	s_add_i32 s1, s17, s1
	s_add_i32 s17, s21, s44
	s_mov_b32 s56, 0x1000504
	v_lshlrev_b32_e32 v25, 8, v1
	s_mov_b32 s22, 0x8000
	v_xor_b32_e32 v7, v63, v7
	v_lshl_or_b32 v5, v5, 10, v6
	s_add_i32 s1, s1, s20
	s_lshl_b64 s[20:21], s[16:17], 2
	s_mov_b32 s57, 0x3020706
	s_mul_i32 s0, s33, s18
	v_lshlrev_b32_e32 v7, 1, v7
	v_or3_b32 v73, v24, v25, s22
	v_xor_b32_e32 v6, 8, v5
	v_xor_b32_e32 v24, 24, v5
	;; [unrolled: 1-line block ×4, first 2 shown]
	s_add_u32 s17, s10, s20
	v_or3_b32 v74, v7, v25, s22
	v_xor_b32_e32 v7, 16, v5
	v_xor_b32_e32 v25, 32, v5
	;; [unrolled: 1-line block ×3, first 2 shown]
	v_add_u32_e32 v6, 0x80, v6
	v_add_u32_e32 v24, 0x80, v24
	;; [unrolled: 1-line block ×4, first 2 shown]
	s_addc_u32 s20, s11, s21
	s_lshl_b64 s[0:1], s[0:1], 2
	s_add_u32 s40, s17, s0
	s_movk_i32 s0, 0xf8
	s_addc_u32 s41, s20, s1
	s_ashr_i32 s31, s30, 31
	s_lshl_b32 s26, s15, 7
	v_mov_b32_e32 v47, 0
	s_mov_b32 s58, 0
	v_add_u32_e32 v85, v45, v2
	s_mov_b32 s17, 0x7060302
	v_mov_b32_e32 v52, v47
	v_mov_b32_e32 v53, v47
	;; [unrolled: 1-line block ×6, first 2 shown]
	s_waitcnt vmcnt(1)
	v_perm_b32 v29, v8, v16, s56
	s_waitcnt vmcnt(0)
	v_perm_b32 v30, v12, v20, s56
	v_perm_b32 v8, v8, v16, s57
	v_perm_b32 v12, v12, v20, s57
	v_perm_b32 v16, v9, v17, s56
	v_perm_b32 v20, v13, v21, s56
	v_perm_b32 v9, v9, v17, s57
	v_perm_b32 v13, v13, v21, s57
	v_perm_b32 v17, v10, v18, s56
	v_perm_b32 v21, v14, v22, s56
	v_perm_b32 v10, v10, v18, s57
	v_perm_b32 v14, v14, v22, s57
	v_perm_b32 v18, v11, v19, s56
	v_perm_b32 v22, v15, v23, s56
	v_perm_b32 v11, v11, v19, s57
	v_perm_b32 v15, v15, v23, s57
	ds_write2st64_b32 v5, v29, v30 offset1:32
	ds_write2st64_b32 v6, v8, v12 offset1:32
	ds_write2st64_b32 v7, v16, v20 offset0:1 offset1:33
	ds_write2st64_b32 v24, v9, v13 offset0:1 offset1:33
	;; [unrolled: 1-line block ×6, first 2 shown]
	v_or_b32_e32 v5, v45, v1
	v_lshlrev_b32_e32 v5, 3, v5
	v_lshrrev_b32_e32 v7, 5, v58
	v_and_or_b32 v7, v5, s0, v7
	v_lshlrev_b32_e32 v7, 4, v7
	v_lshrrev_b32_e32 v6, 2, v58
	v_lshlrev_b32_e32 v9, 11, v59
	v_and_b32_e32 v5, 0x78, v5
	v_or_b32_e32 v12, 32, v7
	v_and_b32_e32 v8, 12, v6
	v_and_b32_e32 v6, 0x1000, v9
	v_lshrrev_b32_e32 v11, 1, v58
	v_xor_b32_e32 v12, v12, v5
	v_and_b32_e32 v11, 8, v11
	v_or_b32_e32 v12, v12, v6
	v_xor_b32_e32 v10, v7, v5
	v_xor_b32_e32 v77, v12, v11
	v_or_b32_e32 v12, 64, v7
	v_or_b32_e32 v7, 0x60, v7
	;; [unrolled: 1-line block ×3, first 2 shown]
	v_xor_b32_e32 v12, v12, v5
	v_xor_b32_e32 v5, v7, v5
	;; [unrolled: 1-line block ×3, first 2 shown]
	v_and_b32_e32 v10, 0x78, v61
	v_or_b32_e32 v5, v5, v6
	v_lshl_or_b32 v10, v60, 7, v10
	v_or_b32_e32 v12, v12, v6
	v_xor_b32_e32 v79, v5, v11
	v_lshlrev_b32_e32 v5, 1, v1
	v_or_b32_e32 v76, 0x9000, v10
	v_xor_b32_e32 v78, v12, v11
	v_or_b32_e32 v80, 0x9800, v10
	v_lshlrev_b32_e32 v10, 1, v4
	v_add_lshl_u32 v11, v4, s15, 1
	v_lshrrev_b32_e32 v4, 4, v0
	s_lshl_b64 s[0:1], s[30:31], 8
	v_or_b32_e32 v13, 1, v5
	s_add_u32 s0, s36, s0
	v_xor_b32_e32 v5, v4, v5
	v_xor_b32_e32 v13, v13, v4
	s_addc_u32 s1, s37, s1
	v_lshlrev_b32_e32 v5, 3, v5
	v_lshlrev_b32_e32 v46, 8, v4
	;; [unrolled: 1-line block ×3, first 2 shown]
	v_lshrrev_b32_e32 v17, 1, v0
	v_or3_b32 v81, v5, v46, s22
	v_or3_b32 v82, v4, v46, s22
	v_lshl_add_u64 v[4:5], s[0:1], 0, v[46:47]
	v_lshlrev_b32_e32 v46, 4, v1
	s_movk_i32 s0, 0xff
	v_lshlrev_b32_e32 v16, 3, v59
	v_and_b32_e32 v17, 24, v17
	v_lshl_add_u64 v[54:55], v[4:5], 0, v[46:47]
	v_and_b32_e32 v5, 8, v0
	v_cmp_lt_u32_e32 vcc, s0, v0
	v_xor_b32_e32 v18, v16, v17
	v_or_b32_e32 v19, 0x440, v18
	v_cndmask_b32_e64 v15, 0, 1, vcc
	v_cmp_eq_u32_e32 vcc, 0, v5
	v_or_b32_e32 v21, 64, v17
	v_xor_b32_e32 v21, v16, v21
	v_cndmask_b32_e32 v5, v19, v18, vcc
	v_or_b32_e32 v19, 32, v17
	v_or_b32_e32 v17, 0x60, v17
	v_xor_b32_e32 v19, v16, v19
	v_xor_b32_e32 v16, v16, v17
	v_or_b32_e32 v20, 0x440, v19
	v_xor_b32_e32 v22, 0x440, v21
	v_xor_b32_e32 v17, 0x440, v16
	v_and_b32_e32 v4, 7, v0
	v_cndmask_b32_e32 v19, v20, v19, vcc
	v_cndmask_b32_e32 v21, v22, v21, vcc
	;; [unrolled: 1-line block ×3, first 2 shown]
	v_or_b32_e32 v6, s30, v1
	v_lshlrev_b32_e32 v13, 3, v4
	v_or_b32_e32 v5, v5, v9
	v_or_b32_e32 v19, v19, v9
	v_or_b32_e32 v21, v21, v9
	v_or_b32_e32 v9, v16, v9
	v_ashrrev_i32_e32 v7, 31, v6
	v_lshlrev_b32_e32 v15, 13, v15
	v_xor_b32_e32 v5, v5, v13
	v_xor_b32_e32 v19, v19, v13
	;; [unrolled: 1-line block ×4, first 2 shown]
	v_lshl_add_u64 v[6:7], v[6:7], 1, s[8:9]
	v_or_b32_e32 v12, 0x100, v3
	v_lshlrev_b32_e32 v14, 7, v4
	v_or_b32_e32 v4, v8, v45
	v_add_u32_e32 v18, v15, v5
	v_add_u32_e32 v20, v15, v19
	;; [unrolled: 1-line block ×4, first 2 shown]
	v_or3_b32 v8, v45, v8, 64
	v_add_u32_e32 v5, 0x2000, v5
	v_add_u32_e32 v15, 0x2000, v19
	;; [unrolled: 1-line block ×4, first 2 shown]
	v_lshlrev_b32_e32 v46, 8, v64
	v_cndmask_b32_e64 v83, v10, v3, s[2:3]
	v_cndmask_b32_e64 v84, v11, v12, s[2:3]
	v_lshl_add_u64 v[56:57], v[6:7], 0, v[46:47]
	s_movk_i32 s22, 0x4000
	v_lshlrev_b32_e32 v86, 2, v4
	v_add_u32_e32 v87, v18, v14
	v_add_u32_e32 v88, v20, v14
	;; [unrolled: 1-line block ×4, first 2 shown]
	v_lshlrev_b32_e32 v91, 2, v8
	v_add_u32_e32 v92, v5, v14
	v_add_u32_e32 v93, v15, v14
	;; [unrolled: 1-line block ×4, first 2 shown]
	v_mov_b32_e32 v46, v47
	s_waitcnt lgkmcnt(0)
	s_barrier
.LBB664_6:                              ; =>This Inner Loop Header: Depth=1
	s_add_i32 s31, s58, 1
	s_cmp_lt_i32 s31, s45
	s_mov_b64 s[24:25], 0
	s_cselect_b64 s[2:3], -1, 0
	s_cmp_ge_i32 s31, s45
	s_mov_b64 s[20:21], 0
	s_cbranch_scc1 .LBB664_8
; %bb.7:                                ;   in Loop: Header=BB664_6 Depth=1
	s_add_i32 s0, s52, 64
	s_ashr_i32 s1, s0, 31
	s_add_u32 s0, s49, s0
	s_addc_u32 s1, s48, s1
	s_lshl_b64 s[0:1], s[0:1], 8
	s_add_u32 s20, s6, s0
	s_addc_u32 s21, s7, s1
.LBB664_8:                              ;   in Loop: Header=BB664_6 Depth=1
	v_cndmask_b32_e64 v2, 0, 1, s[2:3]
	v_cmp_ne_u32_e64 s[0:1], 1, v2
	s_andn2_b64 vcc, exec, s[2:3]
	s_cbranch_vccnz .LBB664_10
; %bb.9:                                ;   in Loop: Header=BB664_6 Depth=1
	s_add_i32 s2, s52, 64
	s_mul_hi_i32 s3, s2, s14
	s_mul_i32 s2, s2, s14
	s_add_u32 s2, s2, s51
	s_addc_u32 s3, s3, s54
	s_lshl_b64 s[2:3], s[2:3], 8
	s_add_u32 s24, s4, s2
	s_addc_u32 s25, s5, s3
.LBB664_10:                             ;   in Loop: Header=BB664_6 Depth=1
	v_perm_b32 v3, v53, v52, s17
	v_perm_b32 v2, v47, v46, s17
	;; [unrolled: 1-line block ×4, first 2 shown]
	ds_write_b64 v71, v[2:3]
	ds_write_b64 v72, v[4:5]
	;; [unrolled: 1-line block ×4, first 2 shown]
	s_waitcnt lgkmcnt(0)
	s_barrier
	ds_read_b64 v[10:11], v75 offset:16384
	ds_read_b64 v[12:13], v77 offset:16384
	ds_read2st64_b64 v[2:5], v76 offset1:1
	s_waitcnt lgkmcnt(0)
	v_mfma_f32_16x16x16_bf16 a[0:3], v[10:11], v[2:3], 0
	ds_read2st64_b64 v[6:9], v76 offset0:2 offset1:3
	ds_read_b64 v[14:15], v78 offset:16384
	ds_read_b64 v[2:3], v79 offset:16384
	s_add_i32 s59, s52, 63
	v_mfma_f32_16x16x16_bf16 a[0:3], v[12:13], v[4:5], a[0:3]
	s_ashr_i32 s2, s59, 31
	s_mul_i32 s3, s59, s29
	s_mul_hi_u32 s27, s59, s28
	s_waitcnt lgkmcnt(1)
	v_mfma_f32_16x16x16_bf16 a[0:3], v[14:15], v[6:7], a[0:3]
	s_add_i32 s3, s27, s3
	s_mul_i32 s2, s2, s28
	s_add_i32 s3, s3, s2
	s_mul_i32 s2, s59, s28
	s_waitcnt lgkmcnt(0)
	v_mfma_f32_16x16x16_bf16 a[0:3], v[2:3], v[8:9], a[0:3]
	s_lshl_b64 s[2:3], s[2:3], 2
	s_add_u32 s2, s40, s2
	s_addc_u32 s3, s41, s3
	s_and_b64 vcc, exec, s[0:1]
	v_mov_b32_e32 v98, 0
	v_mov_b32_e32 v97, 0
	;; [unrolled: 1-line block ×19, first 2 shown]
	s_cbranch_vccnz .LBB664_12
; %bb.11:                               ;   in Loop: Header=BB664_6 Depth=1
	s_and_b32 s21, s21, 0xffff
	buffer_load_dwordx4 v[14:17], v67, s[20:23], 0 offen
	buffer_load_dwordx4 v[10:13], v67, s[20:23], s55 offen
	;; [unrolled: 1-line block ×4, first 2 shown]
	v_mov_b32_e32 v97, v69
	v_mov_b32_e32 v96, v70
.LBB664_12:                             ;   in Loop: Header=BB664_6 Depth=1
	v_add_u32_e32 v22, s52, v85
	v_ashrrev_i32_e32 v18, 31, v22
	v_mul_lo_u32 v20, v18, s28
	v_mul_lo_u32 v21, v22, s29
	v_mad_u64_u32 v[18:19], s[20:21], v22, s28, 0
	v_add3_u32 v19, v19, v21, v20
	v_lshl_add_u64 v[18:19], v[18:19], 2, s[40:41]
	global_load_dword v40, v[18:19], off
	v_add_u32_e32 v18, 1, v22
	v_ashrrev_i32_e32 v19, 31, v18
	v_mul_lo_u32 v20, v19, s28
	v_mul_lo_u32 v21, v18, s29
	v_mad_u64_u32 v[18:19], s[20:21], v18, s28, 0
	v_add3_u32 v19, v19, v21, v20
	v_add_u32_e32 v20, 2, v22
	v_ashrrev_i32_e32 v21, 31, v20
	v_mul_lo_u32 v23, v21, s28
	v_mul_lo_u32 v24, v20, s29
	v_mad_u64_u32 v[20:21], s[20:21], v20, s28, 0
	v_add_u32_e32 v22, 3, v22
	v_add3_u32 v21, v21, v24, v23
	v_ashrrev_i32_e32 v23, 31, v22
	v_mul_lo_u32 v26, v23, s28
	v_mul_lo_u32 v27, v22, s29
	v_mad_u64_u32 v[22:23], s[20:21], v22, s28, 0
	s_ashr_i32 s21, s52, 31
	s_add_u32 s20, s49, s52
	s_addc_u32 s21, s48, s21
	s_lshl_b64 s[20:21], s[20:21], 8
	v_lshl_add_u64 v[18:19], v[18:19], 2, s[40:41]
	v_lshl_add_u64 v[24:25], v[56:57], 0, s[20:21]
	v_add3_u32 v23, v23, v27, v26
	v_lshl_add_u64 v[20:21], v[20:21], 2, s[40:41]
	global_load_ushort v41, v[24:25], off
	global_load_ushort v42, v[24:25], off offset:256
	global_load_ushort v43, v[24:25], off offset:512
	;; [unrolled: 1-line block ×3, first 2 shown]
	v_lshl_add_u64 v[22:23], v[22:23], 2, s[40:41]
	global_load_dword v100, v[18:19], off
	global_load_dword v101, v[20:21], off
	;; [unrolled: 1-line block ×3, first 2 shown]
	s_load_dword s2, s[2:3], 0x0
	ds_read2st64_b64 v[26:29], v80 offset1:1
	ds_read2st64_b64 v[30:33], v80 offset0:2 offset1:3
	ds_read_b64 v[24:25], v75 offset:24576
	ds_read_b64 v[34:35], v77 offset:24576
	;; [unrolled: 1-line block ×4, first 2 shown]
	s_waitcnt lgkmcnt(0)
	v_mfma_f32_16x16x16_bf16 a[0:3], v[24:25], v[26:27], a[0:3]
	v_mov_b32_e32 v99, 0
	v_mov_b32_e32 v18, 0
	v_mov_b32_e32 v19, 0
	v_mfma_f32_16x16x16_bf16 a[0:3], v[34:35], v[28:29], a[0:3]
	v_mov_b32_e32 v20, 0
	v_mov_b32_e32 v21, 0
	v_mov_b32_e32 v22, 0
	;; [unrolled: 4-line block ×4, first 2 shown]
	v_mov_b32_e32 v29, 0
	v_mov_b32_e32 v30, 0
	;; [unrolled: 1-line block ×3, first 2 shown]
	s_and_b64 vcc, exec, s[0:1]
	v_accvgpr_read_b32 v35, a1
	v_accvgpr_read_b32 v33, a3
	;; [unrolled: 1-line block ×4, first 2 shown]
	s_waitcnt vmcnt(7)
	v_sub_f32_e32 v40, s2, v40
	v_exp_f32_e32 v40, v40
	s_waitcnt vmcnt(6)
	v_lshlrev_b32_e32 v36, 16, v41
	s_waitcnt vmcnt(5)
	v_lshlrev_b32_e32 v37, 16, v42
	;; [unrolled: 2-line block ×3, first 2 shown]
	s_waitcnt vmcnt(2)
	v_sub_f32_e32 v41, s2, v100
	s_waitcnt vmcnt(1)
	v_sub_f32_e32 v42, s2, v101
	;; [unrolled: 2-line block ×3, first 2 shown]
	v_exp_f32_e32 v41, v41
	v_exp_f32_e32 v42, v42
	;; [unrolled: 1-line block ×3, first 2 shown]
	v_lshlrev_b32_e32 v39, 16, v44
	v_pk_add_f32 v[34:35], v[36:37], v[34:35] neg_lo:[0,1] neg_hi:[0,1]
	v_pk_add_f32 v[32:33], v[38:39], v[32:33] neg_lo:[0,1] neg_hi:[0,1]
	v_pk_mul_f32 v[34:35], v[40:41], v[34:35]
	v_pk_mul_f32 v[32:33], v[42:43], v[32:33]
	s_nop 0
	v_perm_b32 v33, v33, v32, s17
	v_perm_b32 v32, v35, v34, s17
	ds_write_b64 v72, v[32:33]
	v_mov_b32_e32 v32, 0
	v_mov_b32_e32 v33, 0
	s_cbranch_vccnz .LBB664_14
; %bb.13:                               ;   in Loop: Header=BB664_6 Depth=1
	s_and_b32 s25, s25, 0xffff
	s_mov_b32 s27, s23
	buffer_load_dwordx4 v[30:33], v83, s[24:27], 0 offen
	buffer_load_dwordx4 v[22:25], v83, s[24:27], s55 offen
	buffer_load_dwordx4 v[26:29], v84, s[24:27], 0 offen
	buffer_load_dwordx4 v[18:21], v84, s[24:27], s55 offen
	v_mov_b32_e32 v98, v66
	v_mov_b32_e32 v99, v65
.LBB664_14:                             ;   in Loop: Header=BB664_6 Depth=1
	s_waitcnt lgkmcnt(0)
	s_barrier
	ds_read_b64 v[34:35], v87
	ds_read_b64 v[40:41], v88
	ds_read2st64_b64 v[36:39], v80 offset1:1
	ds_read2st64_b64 v[100:103], v80 offset0:2 offset1:3
	ds_read_b64 v[42:43], v89
	ds_read_b64 v[108:109], v90
	s_add_i32 s3, s46, s58
	s_mul_hi_i32 s21, s3, s50
	s_mul_i32 s3, s3, s50
	s_waitcnt lgkmcnt(3)
	v_mfma_f32_16x16x16_bf16 a[0:3], v[34:35], v[36:37], 0
	ds_read_b64 v[34:35], v92
	s_add_u32 s20, s3, s33
	s_addc_u32 s21, s21, s53
	v_mfma_f32_16x16x16_bf16 a[0:3], v[40:41], v[38:39], a[0:3]
	ds_read_b64 v[40:41], v93
	s_lshl_b64 s[20:21], s[20:21], 15
	s_mul_i32 s24, s59, s50
	s_mul_hi_i32 s3, s59, s50
	s_add_u32 s24, s24, s33
	s_addc_u32 s25, s3, s53
	s_lshl_b64 s[24:25], s[24:25], 9
	s_add_u32 s24, s38, s24
	s_waitcnt lgkmcnt(1)
	v_mfma_f32_16x16x16_bf16 a[4:7], v[34:35], v[36:37], 0
	s_addc_u32 s25, s39, s25
	s_and_b64 vcc, exec, s[0:1]
	v_mfma_f32_16x16x16_bf16 a[0:3], v[42:43], v[100:101], a[0:3]
	ds_read_b64 v[42:43], v94
	ds_read_b64 v[110:111], v95
	global_load_dwordx4 v[34:37], v91, s[24:25]
	s_waitcnt lgkmcnt(2)
	v_mfma_f32_16x16x16_bf16 a[4:7], v[40:41], v[38:39], a[4:7]
	global_load_dwordx4 v[38:41], v86, s[24:25]
	ds_read_b64 v[104:105], v81
	ds_read_b64 v[106:107], v82
	s_waitcnt lgkmcnt(3)
	v_mfma_f32_16x16x16_bf16 a[8:11], v[42:43], v[100:101], a[4:7]
	v_lshl_add_u64 v[42:43], v[54:55], 0, s[20:21]
	s_waitcnt lgkmcnt(0)
	global_store_dwordx4 v[42:43], v[104:107], off
	v_mfma_f32_16x16x16_bf16 a[4:7], v[108:109], v[102:103], a[0:3]
	s_waitcnt vmcnt(2)
	v_mov_b32_e32 v44, v37
	v_mfma_f32_16x16x16_bf16 a[0:3], v[110:111], v[102:103], a[8:11]
	v_mov_b32_e32 v43, v36
	v_mov_b32_e32 v42, v35
	s_cbranch_vccnz .LBB664_16
; %bb.15:                               ;   in Loop: Header=BB664_6 Depth=1
	v_lshrrev_b32_e32 v35, 3, v98
	v_and_b32_e32 v35, 6, v35
	v_xor_b32_e32 v36, v35, v99
	v_lshlrev_b32_e32 v36, 2, v36
	v_and_b32_e32 v37, 8, v98
	v_xor_b32_e32 v98, 0x440, v36
	v_cmp_eq_u32_e32 vcc, 0, v37
	v_perm_b32 v37, v22, v18, s56
	s_nop 0
	v_cndmask_b32_e32 v36, v98, v36, vcc
	v_lshl_or_b32 v35, v35, 10, v36
	v_perm_b32 v36, v30, v26, s56
	s_barrier
	ds_write2st64_b32 v35, v36, v37 offset1:32
	v_xor_b32_e32 v36, 8, v35
	v_perm_b32 v26, v30, v26, s57
	v_perm_b32 v18, v22, v18, s57
	v_add_u32_e32 v22, 0x80, v36
	ds_write2st64_b32 v22, v26, v18 offset1:32
	v_xor_b32_e32 v18, 16, v35
	v_perm_b32 v22, v31, v27, s56
	v_perm_b32 v26, v23, v19, s56
	ds_write2st64_b32 v18, v22, v26 offset0:1 offset1:33
	v_xor_b32_e32 v18, 24, v35
	v_perm_b32 v22, v31, v27, s57
	v_perm_b32 v19, v23, v19, s57
	v_add_u32_e32 v18, 0x80, v18
	ds_write2st64_b32 v18, v22, v19 offset0:1 offset1:33
	v_xor_b32_e32 v18, 32, v35
	v_perm_b32 v19, v32, v28, s56
	v_perm_b32 v22, v24, v20, s56
	ds_write2st64_b32 v18, v19, v22 offset0:2 offset1:34
	v_xor_b32_e32 v18, 40, v35
	v_perm_b32 v19, v32, v28, s57
	v_perm_b32 v20, v24, v20, s57
	v_add_u32_e32 v18, 0x80, v18
	ds_write2st64_b32 v18, v19, v20 offset0:2 offset1:34
	;; [unrolled: 9-line block ×3, first 2 shown]
	ds_write_b64 v97, v[14:15] offset:16384
	v_xor_b32_e32 v14, 8, v97
	ds_write_b64 v14, v[16:17] offset:16384
	ds_write_b64 v97, v[10:11] offset:24576
	;; [unrolled: 1-line block ×4, first 2 shown]
	v_xor_b32_e32 v6, 8, v96
	ds_write_b64 v6, v[8:9] offset:16384
	ds_write_b64 v96, v[2:3] offset:24576
	;; [unrolled: 1-line block ×3, first 2 shown]
.LBB664_16:                             ;   in Loop: Header=BB664_6 Depth=1
	v_exp_f32_e32 v10, s2
	s_waitcnt vmcnt(1)
	v_exp_f32_e32 v12, v38
	v_exp_f32_e32 v13, v39
	;; [unrolled: 1-line block ×4, first 2 shown]
	v_accvgpr_read_b32 v2, a4
	v_accvgpr_read_b32 v3, a5
	v_pk_mul_f32 v[12:13], v[10:11], v[12:13] op_sel_hi:[0,1]
	v_pk_fma_f32 v[46:47], v[46:47], v[12:13], v[2:3]
	v_exp_f32_e32 v12, v34
	v_exp_f32_e32 v13, v42
	v_pk_mul_f32 v[2:3], v[10:11], v[14:15] op_sel_hi:[0,1]
	v_exp_f32_e32 v14, v43
	v_exp_f32_e32 v15, v44
	v_accvgpr_read_b32 v4, a6
	v_accvgpr_read_b32 v5, a7
	;; [unrolled: 1-line block ×5, first 2 shown]
	v_pk_fma_f32 v[52:53], v[52:53], v[2:3], v[4:5]
	v_pk_mul_f32 v[2:3], v[10:11], v[12:13] op_sel_hi:[0,1]
	v_accvgpr_read_b32 v8, a2
	v_pk_fma_f32 v[50:51], v[50:51], v[2:3], v[6:7]
	v_pk_mul_f32 v[2:3], v[10:11], v[14:15] op_sel_hi:[0,1]
	s_add_i32 s52, s52, 64
	s_cmp_eq_u32 s45, s31
	v_pk_fma_f32 v[48:49], v[48:49], v[2:3], v[8:9]
	s_cbranch_scc1 .LBB664_18
; %bb.17:                               ;   in Loop: Header=BB664_6 Depth=1
	s_mov_b32 s58, s31
	s_branch .LBB664_6
.LBB664_18:
	s_lshl_b32 s0, s45, 6
	s_sub_i32 s40, s47, s0
	s_cmp_gt_i32 s40, 0
	s_cbranch_scc0 .LBB664_75
; %bb.19:
	s_add_i32 s34, s0, s34
	s_ashr_i32 s2, s34, 31
	s_cmpk_lg_i32 s15, 0x80
	s_cselect_b64 s[26:27], -1, 0
	s_and_b64 vcc, exec, s[26:27]
	s_cbranch_vccz .LBB664_21
; %bb.20:
	s_mul_i32 s1, s34, s14
	s_ashr_i32 s3, s51, 31
	s_mul_hi_i32 s0, s34, s14
	s_add_u32 s38, s1, s51
	s_addc_u32 s39, s0, s3
	s_cbranch_execz .LBB664_22
	s_branch .LBB664_23
.LBB664_21:
                                        ; implicit-def: $sgpr38_sgpr39
.LBB664_22:
	s_mul_i32 s1, s51, s12
	s_mul_hi_i32 s0, s51, s12
	s_add_u32 s38, s1, s34
	s_addc_u32 s39, s0, s2
.LBB664_23:
	s_add_i32 s3, s45, s46
	s_ashr_i32 s12, s33, 31
	s_add_u32 s0, s49, s34
	s_addc_u32 s1, s48, s2
	s_mov_b32 s2, 0x7060302
	v_lshlrev_b32_e32 v6, 3, v1
	s_lshl_b64 s[24:25], s[0:1], 8
	v_perm_b32 v3, v53, v52, s2
	v_perm_b32 v2, v47, v46, s2
	;; [unrolled: 1-line block ×4, first 2 shown]
	v_lshlrev_b32_e32 v34, 2, v1
	v_lshl_or_b32 v6, v64, 5, v6
	s_add_u32 s0, s6, s24
	ds_write2st64_b64 v6, v[2:3], v[4:5] offset0:72 offset1:76
	v_xor_b32_e32 v6, v64, v34
	v_lshlrev_b32_e32 v7, 8, v1
	s_addc_u32 s1, s7, s25
	v_lshl_or_b32 v6, v6, 1, v7
	s_mul_hi_i32 s6, s3, s13
	s_mul_i32 s3, s3, s13
	ds_write_b64 v6, v[2:3] offset:32768
	v_xor_b32_e32 v2, v63, v34
	s_add_u32 s2, s3, s33
	v_lshl_or_b32 v2, v2, 1, v7
	s_addc_u32 s3, s6, s12
	v_lshlrev_b32_e32 v3, 1, v1
	ds_write_b64 v2, v[4:5] offset:32768
	v_lshrrev_b32_e32 v2, 4, v0
	s_ashr_i32 s31, s30, 31
	s_lshl_b64 s[2:3], s[2:3], 15
	v_or_b32_e32 v4, 1, v3
	s_add_u32 s6, s36, s2
	v_xor_b32_e32 v3, v2, v3
	v_xor_b32_e32 v4, v4, v2
	v_lshlrev_b32_e32 v6, 8, v2
	s_addc_u32 s7, s37, s3
	s_lshl_b64 s[2:3], s[30:31], 8
	v_lshl_or_b32 v2, v3, 3, v6
	v_lshl_or_b32 v4, v4, 3, v6
	s_waitcnt lgkmcnt(0)
	s_barrier
	s_add_u32 s2, s6, s2
	ds_read_b64 v[2:3], v2 offset:32768
	ds_read_b64 v[4:5], v4 offset:32768
	s_addc_u32 s3, s7, s3
	v_mov_b32_e32 v7, 0
	s_cmp_lg_u32 s40, 64
	v_lshl_add_u64 v[8:9], s[2:3], 0, v[6:7]
	v_lshlrev_b32_e32 v6, 4, v1
	s_cselect_b64 s[6:7], -1, 0
	v_lshl_or_b32 v35, v59, 3, v62
	s_mov_b32 s20, 0
	v_lshl_add_u64 v[6:7], v[8:9], 0, v[6:7]
	v_or_b32_e32 v19, 32, v35
	v_and_b32_e32 v18, 56, v61
	s_and_b64 vcc, exec, s[6:7]
	s_waitcnt lgkmcnt(0)
	global_store_dwordx4 v[6:7], v[2:5], off
	s_cbranch_vccz .LBB664_29
; %bb.24:
	s_mov_b32 s21, s20
	s_mov_b32 s22, s20
	;; [unrolled: 1-line block ×3, first 2 shown]
	v_mov_b64_e32 v[6:7], s[20:21]
	v_mov_b64_e32 v[8:9], s[22:23]
	;; [unrolled: 1-line block ×3, first 2 shown]
	v_cmp_gt_i32_e32 vcc, s40, v35
	v_mov_b64_e32 v[4:5], v[8:9]
	s_and_saveexec_b64 s[2:3], vcc
	s_cbranch_execz .LBB664_26
; %bb.25:
	v_lshlrev_b32_e32 v2, 8, v35
	v_mov_b32_e32 v3, 0
	v_lshl_add_u64 v[4:5], s[0:1], 0, v[2:3]
	v_lshlrev_b32_e32 v2, 1, v18
	v_lshl_add_u64 v[10:11], v[4:5], 0, v[2:3]
	global_load_dwordx4 v[6:9], v[10:11], off
	global_load_dwordx4 v[2:5], v[10:11], off offset:128
.LBB664_26:
	s_or_b64 exec, exec, s[2:3]
	s_mov_b32 s21, s20
	s_mov_b32 s22, s20
	;; [unrolled: 1-line block ×3, first 2 shown]
	v_mov_b64_e32 v[14:15], s[20:21]
	v_mov_b64_e32 v[16:17], s[22:23]
	;; [unrolled: 1-line block ×3, first 2 shown]
	v_cmp_gt_i32_e32 vcc, s40, v19
	v_lshlrev_b32_e32 v20, 7, v19
	v_mov_b64_e32 v[12:13], v[16:17]
	s_and_saveexec_b64 s[2:3], vcc
	s_cbranch_execz .LBB664_28
; %bb.27:
	v_lshlrev_b32_e32 v10, 1, v20
	v_mov_b32_e32 v11, 0
	v_lshl_add_u64 v[12:13], s[0:1], 0, v[10:11]
	v_lshlrev_b32_e32 v10, 1, v18
	v_lshl_add_u64 v[22:23], v[12:13], 0, v[10:11]
	global_load_dwordx4 v[14:17], v[22:23], off
	global_load_dwordx4 v[10:13], v[22:23], off offset:128
.LBB664_28:
	s_or_b64 exec, exec, s[2:3]
	v_lshrrev_b32_e32 v21, 3, v18
	v_lshlrev_b32_e32 v22, 3, v35
	v_or_b32_e32 v21, v22, v21
	v_lshlrev_b32_e32 v21, 4, v21
	v_and_b32_e32 v22, 0x78, v22
	v_xor_b32_e32 v21, v21, v22
	s_branch .LBB664_31
.LBB664_29:
                                        ; implicit-def: $vgpr21
                                        ; implicit-def: $vgpr20
                                        ; implicit-def: $vgpr6_vgpr7_vgpr8_vgpr9
                                        ; implicit-def: $vgpr2_vgpr3_vgpr4_vgpr5
                                        ; implicit-def: $vgpr14_vgpr15_vgpr16_vgpr17
                                        ; implicit-def: $vgpr10_vgpr11_vgpr12_vgpr13
	s_cbranch_execz .LBB664_31
; %bb.30:
	s_waitcnt vmcnt(0)
	v_lshlrev_b32_e32 v2, 1, v18
	v_lshl_or_b32 v20, v35, 8, v2
	s_and_b32 s1, s1, 0xffff
	s_mov_b32 s3, 0x20000
	s_movk_i32 s2, 0x4000
	v_lshl_or_b32 v21, v19, 8, v2
	s_movk_i32 s13, 0x80
	buffer_load_dwordx4 v[6:9], v20, s[0:3], 0 offen
	buffer_load_dwordx4 v[2:5], v20, s[0:3], s13 offen
	;; [unrolled: 1-line block ×4, first 2 shown]
	v_lshrrev_b32_e32 v20, 3, v18
	v_lshlrev_b32_e32 v21, 3, v35
	v_or_b32_e32 v20, v21, v20
	v_lshlrev_b32_e32 v20, 4, v20
	v_and_b32_e32 v21, 0x78, v21
	v_xor_b32_e32 v21, v20, v21
	v_lshlrev_b32_e32 v20, 7, v19
.LBB664_31:
	s_lshl_b64 s[0:1], s[38:39], 8
	s_add_u32 s4, s4, s0
	s_movk_i32 s0, 0x1000
	v_and_or_b32 v19, v20, s0, v21
	s_waitcnt vmcnt(1)
	ds_write_b64 v21, v[6:7] offset:16384
	v_xor_b32_e32 v6, 8, v21
	ds_write_b64 v6, v[8:9] offset:16384
	s_waitcnt vmcnt(0)
	ds_write_b64 v21, v[2:3] offset:24576
	ds_write_b64 v6, v[4:5] offset:24576
	;; [unrolled: 1-line block ×3, first 2 shown]
	v_xor_b32_e32 v2, 8, v19
	ds_write_b64 v2, v[16:17] offset:16384
	ds_write_b64 v19, v[10:11] offset:24576
	;; [unrolled: 1-line block ×3, first 2 shown]
	v_or_b32_e32 v2, v45, v1
	v_lshlrev_b32_e32 v2, 3, v2
	v_lshrrev_b32_e32 v4, 5, v58
	s_movk_i32 s14, 0xf8
	v_and_or_b32 v4, v2, s14, v4
	v_lshlrev_b32_e32 v3, 11, v59
	v_lshlrev_b32_e32 v12, 4, v4
	v_and_b32_e32 v13, 0x78, v2
	v_and_b32_e32 v14, 0x1000, v3
	v_lshlrev_b32_e32 v3, 2, v0
	v_xor_b32_e32 v2, v12, v13
	v_lshrrev_b32_e32 v4, 1, v58
	v_and_b32_e32 v3, 60, v3
	v_or_b32_e32 v2, v2, v14
	v_and_b32_e32 v15, 8, v4
	v_xor_b32_e32 v26, v2, v15
	v_lshl_or_b32 v2, v60, 6, v3
	v_lshlrev_b32_e32 v19, 1, v2
	v_or_b32_e32 v2, 32, v12
	v_xor_b32_e32 v2, v2, v13
	s_waitcnt lgkmcnt(0)
	s_barrier
	ds_read_b64 v[10:11], v26 offset:16384
	v_or_b32_e32 v2, v2, v14
	v_xor_b32_e32 v27, v2, v15
	v_or_b32_e32 v2, 64, v12
	v_xor_b32_e32 v2, v2, v13
	v_or_b32_e32 v2, v2, v14
	v_or_b32_e32 v12, 0x60, v12
	v_xor_b32_e32 v28, v2, v15
	ds_read2st64_b64 v[2:5], v19 offset0:72 offset1:73
	ds_read2st64_b64 v[6:9], v19 offset0:74 offset1:75
	v_xor_b32_e32 v16, v12, v13
	ds_read_b64 v[12:13], v27 offset:16384
	s_addc_u32 s5, s5, s1
	s_add_i32 s0, s43, s42
	s_waitcnt lgkmcnt(2)
	v_mfma_f32_16x16x16_bf16 a[0:3], v[10:11], v[2:3], 0
	s_add_i32 s2, s35, -1
	s_add_i32 s17, s0, s44
	s_mul_i32 s0, s33, s19
	s_mul_hi_u32 s1, s33, s18
	s_add_i32 s0, s1, s0
	s_mul_i32 s1, s12, s18
	s_ashr_i32 s3, s2, 31
	s_mul_i32 s12, s2, s29
	s_mul_hi_u32 s13, s2, s28
	s_add_i32 s12, s13, s12
	s_mul_i32 s3, s3, s28
	v_or_b32_e32 v14, v16, v14
	s_add_i32 s1, s0, s1
	s_add_i32 s3, s12, s3
	s_lshl_b64 s[12:13], s[16:17], 2
	v_xor_b32_e32 v36, v14, v15
	ds_read_b64 v[14:15], v28 offset:16384
	ds_read_b64 v[16:17], v36 offset:16384
	s_waitcnt lgkmcnt(2)
	v_mfma_f32_16x16x16_bf16 a[0:3], v[12:13], v[4:5], a[0:3]
	s_mul_i32 s0, s33, s18
	s_add_u32 s10, s10, s12
	s_addc_u32 s11, s11, s13
	s_lshl_b64 s[0:1], s[0:1], 2
	s_mul_i32 s2, s2, s28
	s_add_u32 s10, s10, s0
	s_addc_u32 s11, s11, s1
	s_lshl_b64 s[0:1], s[2:3], 2
	s_waitcnt lgkmcnt(1)
	v_mfma_f32_16x16x16_bf16 a[0:3], v[14:15], v[6:7], a[0:3]
	s_add_u32 s0, s10, s0
	s_addc_u32 s1, s11, s1
	s_load_dword s12, s[0:1], 0x0
	s_waitcnt lgkmcnt(0)
	v_mfma_f32_16x16x16_bf16 a[0:3], v[16:17], v[8:9], a[0:3]
	s_and_b64 vcc, exec, s[26:27]
	s_cbranch_vccz .LBB664_42
; %bb.32:
	v_lshlrev_b32_e32 v20, 1, v35
	s_and_b64 vcc, exec, s[6:7]
	s_cbranch_vccz .LBB664_43
; %bb.33:
	v_cmp_gt_i32_e32 vcc, s40, v20
	v_mov_b32_e32 v6, 0
	v_mov_b32_e32 v2, 0
	;; [unrolled: 1-line block ×5, first 2 shown]
	s_and_saveexec_b64 s[0:1], vcc
	s_cbranch_execz .LBB664_35
; %bb.34:
	v_mad_i64_i32 v[2:3], s[2:3], s15, v20, 0
	v_lshl_add_u64 v[2:3], v[2:3], 1, s[4:5]
	v_lshlrev_b32_e32 v4, 1, v18
	v_mov_b32_e32 v5, 0
	v_lshl_add_u64 v[2:3], v[2:3], 0, v[4:5]
	global_load_dwordx4 v[2:5], v[2:3], off
.LBB664_35:
	s_or_b64 exec, exec, s[0:1]
	v_or_b32_e32 v21, 1, v20
	v_cmp_gt_i32_e64 s[0:1], s40, v21
	v_mov_b32_e32 v7, 0
	v_mov_b32_e32 v8, 0
	;; [unrolled: 1-line block ×3, first 2 shown]
	s_and_saveexec_b64 s[2:3], s[0:1]
	s_cbranch_execz .LBB664_37
; %bb.36:
	v_mad_i64_i32 v[6:7], s[16:17], s15, v21, 0
	v_lshl_add_u64 v[6:7], v[6:7], 1, s[4:5]
	v_lshlrev_b32_e32 v8, 1, v18
	v_mov_b32_e32 v9, 0
	v_lshl_add_u64 v[6:7], v[6:7], 0, v[8:9]
	global_load_dwordx4 v[6:9], v[6:7], off
.LBB664_37:
	s_or_b64 exec, exec, s[2:3]
	v_mov_b32_e32 v17, 0
	v_mov_b32_e32 v10, 0
	;; [unrolled: 1-line block ×5, first 2 shown]
	s_and_saveexec_b64 s[2:3], vcc
	s_cbranch_execz .LBB664_39
; %bb.38:
	v_mad_i64_i32 v[10:11], s[16:17], s15, v20, 0
	v_lshl_add_u64 v[10:11], v[10:11], 1, s[4:5]
	v_lshlrev_b32_e32 v12, 1, v18
	v_mov_b32_e32 v13, 0
	v_lshl_add_u64 v[10:11], v[10:11], 0, v[12:13]
	global_load_dwordx4 v[10:13], v[10:11], off offset:128
.LBB664_39:
	s_or_b64 exec, exec, s[2:3]
	v_mov_b32_e32 v16, 0
	v_mov_b32_e32 v15, 0
	;; [unrolled: 1-line block ×3, first 2 shown]
	s_and_saveexec_b64 s[2:3], s[0:1]
	s_cbranch_execz .LBB664_41
; %bb.40:
	v_mad_i64_i32 v[14:15], s[0:1], s15, v21, 0
	v_lshl_add_u64 v[14:15], v[14:15], 1, s[4:5]
	v_lshlrev_b32_e32 v16, 1, v18
	v_mov_b32_e32 v17, 0
	v_lshl_add_u64 v[14:15], v[14:15], 0, v[16:17]
	global_load_dwordx4 v[14:17], v[14:15], off offset:128
.LBB664_41:
	s_or_b64 exec, exec, s[2:3]
	s_branch .LBB664_45
.LBB664_42:
                                        ; implicit-def: $vgpr5
                                        ; implicit-def: $vgpr9
                                        ; implicit-def: $vgpr13
                                        ; implicit-def: $vgpr17
	v_lshrrev_b32_e32 v37, 2, v58
	s_branch .LBB664_46
.LBB664_43:
                                        ; implicit-def: $vgpr5
                                        ; implicit-def: $vgpr9
                                        ; implicit-def: $vgpr13
                                        ; implicit-def: $vgpr17
	s_cbranch_execz .LBB664_45
; %bb.44:
	s_waitcnt vmcnt(0)
	v_mad_u64_u32 v[2:3], s[0:1], v20, s15, v[18:19]
	v_lshlrev_b32_e32 v20, 1, v2
	s_lshl_b32 s2, s15, 7
	s_and_b32 s1, s5, 0xffff
	s_mov_b32 s3, 0x20000
	s_mov_b32 s0, s4
	v_add_lshl_u32 v21, v2, s15, 1
	s_movk_i32 s13, 0x80
	buffer_load_dwordx4 v[2:5], v20, s[0:3], 0 offen
	buffer_load_dwordx4 v[10:13], v20, s[0:3], s13 offen
	buffer_load_dwordx4 v[6:9], v21, s[0:3], 0 offen
	buffer_load_dwordx4 v[14:17], v21, s[0:3], s13 offen
.LBB664_45:
	v_lshrrev_b32_e32 v37, 2, v58
	s_cbranch_execnz .LBB664_58
.LBB664_46:
	s_and_b64 vcc, exec, s[6:7]
	s_cbranch_vccz .LBB664_56
; %bb.47:
	s_waitcnt vmcnt(0)
	v_lshlrev_b32_e32 v7, 1, v35
	v_cmp_gt_i32_e32 vcc, s40, v7
	v_mov_b32_e32 v6, 0
	v_lshlrev_b32_e32 v14, 9, v35
	v_mov_b32_e32 v2, 0
	v_mov_b32_e32 v3, 0
	;; [unrolled: 1-line block ×4, first 2 shown]
	s_and_saveexec_b64 s[0:1], vcc
	s_cbranch_execz .LBB664_49
; %bb.48:
	v_mov_b32_e32 v15, 0
	v_lshl_add_u64 v[2:3], s[4:5], 0, v[14:15]
	v_lshlrev_b32_e32 v4, 1, v18
	v_mov_b32_e32 v5, v15
	v_lshl_add_u64 v[2:3], v[2:3], 0, v[4:5]
	global_load_dwordx4 v[2:5], v[2:3], off
.LBB664_49:
	s_or_b64 exec, exec, s[0:1]
	v_or_b32_e32 v7, 1, v7
	v_cmp_gt_i32_e64 s[0:1], s40, v7
	v_lshlrev_b32_e32 v20, 8, v7
	v_mov_b32_e32 v7, 0
	v_mov_b32_e32 v8, 0
	;; [unrolled: 1-line block ×3, first 2 shown]
	s_and_saveexec_b64 s[2:3], s[0:1]
	s_cbranch_execz .LBB664_51
; %bb.50:
	v_mov_b32_e32 v21, 0
	v_lshl_add_u64 v[6:7], s[4:5], 0, v[20:21]
	v_lshlrev_b32_e32 v8, 1, v18
	v_mov_b32_e32 v9, v21
	v_lshl_add_u64 v[6:7], v[6:7], 0, v[8:9]
	global_load_dwordx4 v[6:9], v[6:7], off
.LBB664_51:
	s_or_b64 exec, exec, s[2:3]
	v_mov_b32_e32 v17, 0
	v_mov_b32_e32 v10, 0
	;; [unrolled: 1-line block ×5, first 2 shown]
	s_and_saveexec_b64 s[2:3], vcc
	s_cbranch_execz .LBB664_53
; %bb.52:
	v_mov_b32_e32 v15, 0
	v_lshl_add_u64 v[10:11], s[4:5], 0, v[14:15]
	v_lshlrev_b32_e32 v14, 1, v18
	v_lshl_add_u64 v[10:11], v[10:11], 0, v[14:15]
	global_load_dwordx4 v[10:13], v[10:11], off offset:128
.LBB664_53:
	s_or_b64 exec, exec, s[2:3]
	v_mov_b32_e32 v16, 0
	v_mov_b32_e32 v15, 0
	;; [unrolled: 1-line block ×3, first 2 shown]
	s_and_saveexec_b64 s[2:3], s[0:1]
	s_cbranch_execz .LBB664_55
; %bb.54:
	v_mov_b32_e32 v21, 0
	v_lshl_add_u64 v[14:15], s[4:5], 0, v[20:21]
	v_lshlrev_b32_e32 v20, 1, v18
	v_lshl_add_u64 v[14:15], v[14:15], 0, v[20:21]
	global_load_dwordx4 v[14:17], v[14:15], off offset:128
.LBB664_55:
	s_or_b64 exec, exec, s[2:3]
	s_branch .LBB664_58
.LBB664_56:
                                        ; implicit-def: $vgpr5
                                        ; implicit-def: $vgpr9
                                        ; implicit-def: $vgpr13
                                        ; implicit-def: $vgpr17
	s_cbranch_execz .LBB664_58
; %bb.57:
	s_waitcnt vmcnt(0)
	v_lshlrev_b32_e32 v2, 1, v18
	v_lshl_or_b32 v18, v35, 9, v2
	s_and_b32 s5, s5, 0xffff
	s_mov_b32 s7, 0x20000
	s_movk_i32 s6, 0x4000
	s_movk_i32 s0, 0x80
	buffer_load_dwordx4 v[2:5], v18, s[4:7], 0 offen
	buffer_load_dwordx4 v[6:9], v18, s[4:7], 0 offen offset:256
	buffer_load_dwordx4 v[10:13], v18, s[4:7], s0 offen
	buffer_load_dwordx4 v[14:17], v18, s[4:7], s0 offen offset:256
.LBB664_58:
	ds_read2st64_b64 v[22:25], v19 offset0:76 offset1:77
	ds_read2st64_b64 v[18:21], v19 offset0:78 offset1:79
	ds_read_b64 v[30:31], v26 offset:24576
	ds_read_b64 v[32:33], v27 offset:24576
	;; [unrolled: 1-line block ×4, first 2 shown]
	v_and_b32_e32 v36, 6, v0
	v_xor_b32_e32 v35, v35, v36
	v_lshlrev_b32_e32 v35, 2, v35
	v_and_b32_e32 v0, 1, v0
	v_xor_b32_e32 v38, 0x440, v35
	v_cmp_eq_u32_e32 vcc, 0, v0
	s_mov_b32 s0, 0x1000504
	s_mov_b32 s1, 0x3020706
	v_cndmask_b32_e32 v0, v38, v35, vcc
	v_lshl_or_b32 v0, v36, 10, v0
	s_waitcnt vmcnt(0)
	v_perm_b32 v35, v2, v6, s0
	v_perm_b32 v36, v10, v14, s0
	ds_write2st64_b32 v0, v35, v36 offset1:32
	v_xor_b32_e32 v35, 8, v0
	v_perm_b32 v2, v2, v6, s1
	v_perm_b32 v6, v10, v14, s1
	v_add_u32_e32 v10, 0x80, v35
	ds_write2st64_b32 v10, v2, v6 offset1:32
	v_xor_b32_e32 v2, 16, v0
	v_perm_b32 v6, v3, v7, s0
	v_perm_b32 v10, v11, v15, s0
	ds_write2st64_b32 v2, v6, v10 offset0:1 offset1:33
	v_xor_b32_e32 v2, 24, v0
	v_perm_b32 v3, v3, v7, s1
	v_perm_b32 v6, v11, v15, s1
	v_add_u32_e32 v2, 0x80, v2
	ds_write2st64_b32 v2, v3, v6 offset0:1 offset1:33
	v_xor_b32_e32 v2, 32, v0
	v_perm_b32 v3, v4, v8, s0
	v_perm_b32 v6, v12, v16, s0
	ds_write2st64_b32 v2, v3, v6 offset0:2 offset1:34
	v_xor_b32_e32 v2, 40, v0
	v_perm_b32 v3, v4, v8, s1
	v_perm_b32 v4, v12, v16, s1
	v_add_u32_e32 v2, 0x80, v2
	ds_write2st64_b32 v2, v3, v4 offset0:2 offset1:34
	v_xor_b32_e32 v2, 48, v0
	v_perm_b32 v3, v5, v9, s0
	v_perm_b32 v4, v13, v17, s0
	v_xor_b32_e32 v0, 56, v0
	v_and_or_b32 v6, v37, 12, v45
	ds_write2st64_b32 v2, v3, v4 offset0:3 offset1:35
	v_perm_b32 v2, v5, v9, s1
	v_perm_b32 v3, v13, v17, s1
	v_add_u32_e32 v0, 0x80, v0
	v_cmp_gt_i32_e32 vcc, s40, v6
	v_mov_b32_e32 v7, 0
	v_mov_b32_e32 v11, 0
	ds_write2st64_b32 v0, v2, v3 offset0:3 offset1:35
	s_and_saveexec_b64 s[0:1], vcc
	s_cbranch_execz .LBB664_60
; %bb.59:
	v_add_u32_e32 v0, s34, v6
	v_ashrrev_i32_e32 v2, 31, v0
	v_mul_lo_u32 v4, v2, s28
	v_mul_lo_u32 v5, v0, s29
	v_mad_u64_u32 v[2:3], s[2:3], v0, s28, 0
	v_add3_u32 v3, v3, v5, v4
	v_lshl_add_u64 v[2:3], v[2:3], 2, s[10:11]
	global_load_dword v0, v[2:3], off
	s_waitcnt vmcnt(0)
	v_sub_f32_e32 v0, s12, v0
	v_exp_f32_e32 v11, v0
.LBB664_60:
	s_or_b64 exec, exec, s[0:1]
	v_or_b32_e32 v9, 1, v6
	v_cmp_gt_i32_e64 s[0:1], s40, v9
	s_and_saveexec_b64 s[2:3], s[0:1]
	s_cbranch_execz .LBB664_62
; %bb.61:
	v_add_u32_e32 v0, s34, v9
	v_ashrrev_i32_e32 v2, 31, v0
	v_mul_lo_u32 v4, v2, s28
	v_mul_lo_u32 v5, v0, s29
	v_mad_u64_u32 v[2:3], s[4:5], v0, s28, 0
	v_add3_u32 v3, v3, v5, v4
	v_lshl_add_u64 v[2:3], v[2:3], 2, s[10:11]
	global_load_dword v0, v[2:3], off
	s_waitcnt vmcnt(0)
	v_sub_f32_e32 v0, s12, v0
	v_exp_f32_e32 v7, v0
.LBB664_62:
	s_or_b64 exec, exec, s[2:3]
	v_or_b32_e32 v10, 2, v6
	v_cmp_gt_i32_e64 s[2:3], s40, v10
	v_mov_b32_e32 v8, 0
	v_mov_b32_e32 v13, 0
	s_and_saveexec_b64 s[4:5], s[2:3]
	s_cbranch_execz .LBB664_64
; %bb.63:
	v_add_u32_e32 v0, s34, v10
	v_ashrrev_i32_e32 v2, 31, v0
	v_mul_lo_u32 v4, v2, s28
	v_mul_lo_u32 v5, v0, s29
	v_mad_u64_u32 v[2:3], s[6:7], v0, s28, 0
	v_add3_u32 v3, v3, v5, v4
	v_lshl_add_u64 v[2:3], v[2:3], 2, s[10:11]
	global_load_dword v0, v[2:3], off
	s_waitcnt vmcnt(0)
	v_sub_f32_e32 v0, s12, v0
	v_exp_f32_e32 v13, v0
.LBB664_64:
	s_or_b64 exec, exec, s[4:5]
	v_or_b32_e32 v12, 3, v6
	v_cmp_gt_i32_e64 s[4:5], s40, v12
	s_and_saveexec_b64 s[6:7], s[4:5]
	s_cbranch_execz .LBB664_66
; %bb.65:
	v_add_u32_e32 v0, s34, v12
	v_ashrrev_i32_e32 v2, 31, v0
	v_mul_lo_u32 v4, v2, s28
	v_mul_lo_u32 v5, v0, s29
	v_mad_u64_u32 v[2:3], s[14:15], v0, s28, 0
	v_add3_u32 v3, v3, v5, v4
	v_lshl_add_u64 v[2:3], v[2:3], 2, s[10:11]
	global_load_dword v0, v[2:3], off
	s_waitcnt vmcnt(0)
	v_sub_f32_e32 v0, s12, v0
	v_exp_f32_e32 v8, v0
.LBB664_66:
	s_or_b64 exec, exec, s[6:7]
	s_waitcnt lgkmcnt(11)
	v_mfma_f32_16x16x16_bf16 a[0:3], v[30:31], v[22:23], a[0:3]
	v_or_b32_e32 v0, s30, v1
	s_add_u32 s6, s8, s24
	s_addc_u32 s7, s9, s25
	s_waitcnt lgkmcnt(10)
	v_mfma_f32_16x16x16_bf16 a[0:3], v[32:33], v[24:25], a[0:3]
	v_ashrrev_i32_e32 v1, 31, v0
	v_lshl_add_u64 v[4:5], v[0:1], 1, s[6:7]
	v_mov_b32_e32 v14, 0
	s_waitcnt lgkmcnt(9)
	v_mfma_f32_16x16x16_bf16 a[0:3], v[28:29], v[18:19], a[0:3]
	v_mov_b32_e32 v15, 0
	s_waitcnt lgkmcnt(8)
	v_mfma_f32_16x16x16_bf16 a[0:3], v[26:27], v[20:21], a[0:3]
	s_nop 6
	v_accvgpr_read_b32 v0, a0
	v_accvgpr_read_b32 v1, a1
	;; [unrolled: 1-line block ×4, first 2 shown]
	s_and_saveexec_b64 s[6:7], vcc
	s_cbranch_execz .LBB664_68
; %bb.67:
	v_lshlrev_b32_e32 v16, 8, v6
	v_mov_b32_e32 v17, 0
	v_lshl_add_u64 v[16:17], v[4:5], 0, v[16:17]
	global_load_ushort v15, v[16:17], off
	s_waitcnt vmcnt(0)
	v_lshlrev_b32_e32 v15, 16, v15
	v_sub_f32_e32 v0, v15, v0
	v_mul_f32_e32 v0, v11, v0
	v_lshrrev_b32_e32 v15, 16, v0
.LBB664_68:
	s_or_b64 exec, exec, s[6:7]
	s_and_saveexec_b64 s[6:7], s[0:1]
	s_cbranch_execz .LBB664_70
; %bb.69:
	v_lshlrev_b32_e32 v16, 8, v9
	v_mov_b32_e32 v17, 0
	v_lshl_add_u64 v[16:17], v[4:5], 0, v[16:17]
	global_load_ushort v0, v[16:17], off
	s_waitcnt vmcnt(0)
	v_lshlrev_b32_e32 v0, 16, v0
	v_sub_f32_e32 v0, v0, v1
	v_mul_f32_e32 v0, v7, v0
	v_lshrrev_b32_e32 v14, 16, v0
.LBB664_70:
	s_or_b64 exec, exec, s[6:7]
	v_mov_b32_e32 v0, 0
	v_mov_b32_e32 v1, 0
	s_and_saveexec_b64 s[0:1], s[2:3]
	s_cbranch_execz .LBB664_72
; %bb.71:
	v_lshlrev_b32_e32 v10, 8, v10
	v_mov_b32_e32 v11, 0
	v_lshl_add_u64 v[10:11], v[4:5], 0, v[10:11]
	global_load_ushort v1, v[10:11], off
	s_waitcnt vmcnt(0)
	v_lshlrev_b32_e32 v1, 16, v1
	v_sub_f32_e32 v1, v1, v2
	v_mul_f32_e32 v1, v13, v1
	v_lshrrev_b32_e32 v1, 16, v1
.LBB664_72:
	s_or_b64 exec, exec, s[0:1]
	s_and_saveexec_b64 s[0:1], s[4:5]
	s_cbranch_execz .LBB664_74
; %bb.73:
	v_lshlrev_b32_e32 v10, 8, v12
	v_mov_b32_e32 v11, 0
	v_lshl_add_u64 v[4:5], v[4:5], 0, v[10:11]
	global_load_ushort v0, v[4:5], off
	s_waitcnt vmcnt(0)
	v_lshlrev_b32_e32 v0, 16, v0
	v_sub_f32_e32 v0, v0, v3
	v_mul_f32_e32 v0, v8, v0
	v_lshrrev_b32_e32 v0, 16, v0
.LBB664_74:
	s_or_b64 exec, exec, s[0:1]
	s_mov_b32 s0, 0x5040100
	v_lshlrev_b32_e32 v2, 1, v34
	v_perm_b32 v1, v0, v1, s0
	v_perm_b32 v0, v14, v15, s0
	v_lshl_or_b32 v2, v6, 5, v2
	ds_write_b64 v2, v[0:1] offset:38912
	s_waitcnt lgkmcnt(0)
	s_barrier
.LBB664_75:
	s_endpgm
	.section	.rodata,"a",@progbits
	.p2align	6, 0x0
	.amdhsa_kernel _ZN12_GLOBAL__N_139chunk_gated_delta_rule_fwd_h_hip_kernelILi16ELb0ELb0ELb0ELb1ELb1ELb1ELb0ELb0EEEvPK12hip_bfloat16S3_S3_PKfS5_PKvPS1_S8_PvPKiSB_iiiiilll
		.amdhsa_group_segment_fixed_size 40960
		.amdhsa_private_segment_fixed_size 0
		.amdhsa_kernarg_size 136
		.amdhsa_user_sgpr_count 2
		.amdhsa_user_sgpr_dispatch_ptr 0
		.amdhsa_user_sgpr_queue_ptr 0
		.amdhsa_user_sgpr_kernarg_segment_ptr 1
		.amdhsa_user_sgpr_dispatch_id 0
		.amdhsa_user_sgpr_kernarg_preload_length 0
		.amdhsa_user_sgpr_kernarg_preload_offset 0
		.amdhsa_user_sgpr_private_segment_size 0
		.amdhsa_uses_dynamic_stack 0
		.amdhsa_enable_private_segment 0
		.amdhsa_system_sgpr_workgroup_id_x 1
		.amdhsa_system_sgpr_workgroup_id_y 1
		.amdhsa_system_sgpr_workgroup_id_z 0
		.amdhsa_system_sgpr_workgroup_info 0
		.amdhsa_system_vgpr_workitem_id 0
		.amdhsa_next_free_vgpr 124
		.amdhsa_next_free_sgpr 60
		.amdhsa_accum_offset 112
		.amdhsa_reserve_vcc 1
		.amdhsa_float_round_mode_32 0
		.amdhsa_float_round_mode_16_64 0
		.amdhsa_float_denorm_mode_32 3
		.amdhsa_float_denorm_mode_16_64 3
		.amdhsa_dx10_clamp 1
		.amdhsa_ieee_mode 1
		.amdhsa_fp16_overflow 0
		.amdhsa_tg_split 0
		.amdhsa_exception_fp_ieee_invalid_op 0
		.amdhsa_exception_fp_denorm_src 0
		.amdhsa_exception_fp_ieee_div_zero 0
		.amdhsa_exception_fp_ieee_overflow 0
		.amdhsa_exception_fp_ieee_underflow 0
		.amdhsa_exception_fp_ieee_inexact 0
		.amdhsa_exception_int_div_zero 0
	.end_amdhsa_kernel
	.section	.text._ZN12_GLOBAL__N_139chunk_gated_delta_rule_fwd_h_hip_kernelILi16ELb0ELb0ELb0ELb1ELb1ELb1ELb0ELb0EEEvPK12hip_bfloat16S3_S3_PKfS5_PKvPS1_S8_PvPKiSB_iiiiilll,"axG",@progbits,_ZN12_GLOBAL__N_139chunk_gated_delta_rule_fwd_h_hip_kernelILi16ELb0ELb0ELb0ELb1ELb1ELb1ELb0ELb0EEEvPK12hip_bfloat16S3_S3_PKfS5_PKvPS1_S8_PvPKiSB_iiiiilll,comdat
.Lfunc_end664:
	.size	_ZN12_GLOBAL__N_139chunk_gated_delta_rule_fwd_h_hip_kernelILi16ELb0ELb0ELb0ELb1ELb1ELb1ELb0ELb0EEEvPK12hip_bfloat16S3_S3_PKfS5_PKvPS1_S8_PvPKiSB_iiiiilll, .Lfunc_end664-_ZN12_GLOBAL__N_139chunk_gated_delta_rule_fwd_h_hip_kernelILi16ELb0ELb0ELb0ELb1ELb1ELb1ELb0ELb0EEEvPK12hip_bfloat16S3_S3_PKfS5_PKvPS1_S8_PvPKiSB_iiiiilll
                                        ; -- End function
	.section	.AMDGPU.csdata,"",@progbits
; Kernel info:
; codeLenInByte = 7168
; NumSgprs: 66
; NumVgprs: 112
; NumAgprs: 12
; TotalNumVgprs: 124
; ScratchSize: 0
; MemoryBound: 0
; FloatMode: 240
; IeeeMode: 1
; LDSByteSize: 40960 bytes/workgroup (compile time only)
; SGPRBlocks: 8
; VGPRBlocks: 15
; NumSGPRsForWavesPerEU: 66
; NumVGPRsForWavesPerEU: 124
; AccumOffset: 112
; Occupancy: 1
; WaveLimiterHint : 1
; COMPUTE_PGM_RSRC2:SCRATCH_EN: 0
; COMPUTE_PGM_RSRC2:USER_SGPR: 2
; COMPUTE_PGM_RSRC2:TRAP_HANDLER: 0
; COMPUTE_PGM_RSRC2:TGID_X_EN: 1
; COMPUTE_PGM_RSRC2:TGID_Y_EN: 1
; COMPUTE_PGM_RSRC2:TGID_Z_EN: 0
; COMPUTE_PGM_RSRC2:TIDIG_COMP_CNT: 0
; COMPUTE_PGM_RSRC3_GFX90A:ACCUM_OFFSET: 27
; COMPUTE_PGM_RSRC3_GFX90A:TG_SPLIT: 0
	.section	.text._ZN12_GLOBAL__N_139chunk_gated_delta_rule_fwd_h_hip_kernelILi16ELb1ELb1ELb1ELb0ELb1ELb1ELb0ELb0EEEvPK12hip_bfloat16S3_S3_PKfS5_PKvPS1_S8_PvPKiSB_iiiiilll,"axG",@progbits,_ZN12_GLOBAL__N_139chunk_gated_delta_rule_fwd_h_hip_kernelILi16ELb1ELb1ELb1ELb0ELb1ELb1ELb0ELb0EEEvPK12hip_bfloat16S3_S3_PKfS5_PKvPS1_S8_PvPKiSB_iiiiilll,comdat
	.globl	_ZN12_GLOBAL__N_139chunk_gated_delta_rule_fwd_h_hip_kernelILi16ELb1ELb1ELb1ELb0ELb1ELb1ELb0ELb0EEEvPK12hip_bfloat16S3_S3_PKfS5_PKvPS1_S8_PvPKiSB_iiiiilll ; -- Begin function _ZN12_GLOBAL__N_139chunk_gated_delta_rule_fwd_h_hip_kernelILi16ELb1ELb1ELb1ELb0ELb1ELb1ELb0ELb0EEEvPK12hip_bfloat16S3_S3_PKfS5_PKvPS1_S8_PvPKiSB_iiiiilll
	.p2align	8
	.type	_ZN12_GLOBAL__N_139chunk_gated_delta_rule_fwd_h_hip_kernelILi16ELb1ELb1ELb1ELb0ELb1ELb1ELb0ELb0EEEvPK12hip_bfloat16S3_S3_PKfS5_PKvPS1_S8_PvPKiSB_iiiiilll,@function
_ZN12_GLOBAL__N_139chunk_gated_delta_rule_fwd_h_hip_kernelILi16ELb1ELb1ELb1ELb0ELb1ELb1ELb0ELb0EEEvPK12hip_bfloat16S3_S3_PKfS5_PKvPS1_S8_PvPKiSB_iiiiilll: ; @_ZN12_GLOBAL__N_139chunk_gated_delta_rule_fwd_h_hip_kernelILi16ELb1ELb1ELb1ELb0ELb1ELb1ELb0ELb0EEEvPK12hip_bfloat16S3_S3_PKfS5_PKvPS1_S8_PvPKiSB_iiiiilll
; %bb.0:
	s_load_dwordx4 s[24:27], s[0:1], 0x5c
	s_abs_i32 s6, s3
	s_ashr_i32 s5, s3, 31
	v_and_b32_e32 v67, 15, v0
	v_bfe_u32 v66, v0, 4, 2
	s_waitcnt lgkmcnt(0)
	s_abs_i32 s4, s25
	v_cvt_f32_u32_e32 v1, s4
	s_sub_i32 s8, 0, s4
	s_ashr_i32 s7, s25, 31
	s_xor_b32 s5, s5, s7
	v_rcp_iflag_f32_e32 v1, v1
	v_mov_b32_e32 v57, 0
	v_lshlrev_b32_e32 v68, 3, v0
	v_mul_f32_e32 v1, 0x4f7ffffe, v1
	v_cvt_u32_f32_e32 v1, v1
	s_nop 0
	v_readfirstlane_b32 s9, v1
	s_mul_i32 s8, s8, s9
	s_mul_hi_u32 s8, s9, s8
	s_add_i32 s9, s9, s8
	s_mul_hi_u32 s8, s6, s9
	s_mul_i32 s9, s8, s4
	s_sub_i32 s6, s6, s9
	s_add_i32 s10, s8, 1
	s_sub_i32 s9, s6, s4
	s_cmp_ge_u32 s6, s4
	s_cselect_b32 s8, s10, s8
	s_cselect_b32 s6, s9, s6
	s_add_i32 s9, s8, 1
	s_cmp_ge_u32 s6, s4
	s_cselect_b32 s6, s9, s8
	s_xor_b32 s6, s6, s5
	s_sub_i32 s58, s6, s5
	s_mul_i32 s6, s58, s25
	s_sub_i32 s33, s3, s6
	s_abs_i32 s3, s26
	v_cvt_f32_u32_e32 v1, s3
	s_add_i32 s8, s24, 63
	s_ashr_i32 s9, s8, 31
	s_lshr_b32 s5, s9, 26
	v_rcp_iflag_f32_e32 v1, v1
	s_ashr_i32 s57, s24, 31
	s_add_i32 s8, s8, s5
	s_lshr_b32 s5, s57, 26
	v_mul_f32_e32 v1, 0x4f7ffffe, v1
	v_cvt_u32_f32_e32 v1, v1
	s_add_i32 s5, s24, s5
	s_ashr_i32 s60, s26, 31
	s_ashr_i32 s28, s8, 6
	;; [unrolled: 1-line block ×3, first 2 shown]
	s_xor_b32 s5, s7, s60
	s_sub_i32 s7, 0, s3
	v_readfirstlane_b32 s8, v1
	s_mul_i32 s7, s7, s8
	s_mul_hi_u32 s7, s8, s7
	s_add_i32 s8, s8, s7
	s_mul_hi_u32 s7, s4, s8
	s_mul_i32 s8, s7, s3
	s_sub_i32 s4, s4, s8
	s_lshl_b32 s2, s2, 4
	s_add_i32 s8, s7, 1
	s_sub_i32 s9, s4, s3
	s_cmp_ge_u32 s4, s3
	s_cselect_b32 s7, s8, s7
	s_cselect_b32 s4, s9, s4
	s_add_i32 s8, s7, 1
	s_cmp_ge_u32 s4, s3
	s_cselect_b32 s3, s8, s7
	s_xor_b32 s3, s3, s5
	s_sub_i32 s3, s3, s5
	s_abs_i32 s4, s3
	v_cvt_f32_u32_e32 v1, s4
	s_sub_i32 s7, 0, s4
	s_abs_i32 s5, s33
	s_xor_b32 s3, s33, s3
	v_rcp_iflag_f32_e32 v2, v1
	s_ashr_i32 s3, s3, 31
	s_load_dwordx8 s[8:15], s[0:1], 0x20
	v_lshrrev_b32_e32 v1, 6, v0
	v_mul_f32_e32 v2, 0x4f7ffffe, v2
	v_cvt_u32_f32_e32 v2, v2
	v_or_b32_e32 v58, s2, v67
	v_lshlrev_b32_e32 v53, 4, v1
	v_lshlrev_b32_e32 v54, 7, v58
	v_readfirstlane_b32 s16, v2
	s_mul_i32 s7, s7, s16
	s_mul_hi_u32 s7, s16, s7
	s_add_i32 s16, s16, s7
	s_mul_hi_u32 s7, s5, s16
	s_mul_i32 s16, s7, s4
	s_sub_i32 s5, s5, s16
	s_add_i32 s16, s7, 1
	s_sub_i32 s17, s5, s4
	s_cmp_ge_u32 s5, s4
	s_cselect_b32 s7, s16, s7
	s_cselect_b32 s5, s17, s5
	s_add_i32 s16, s7, 1
	s_cmp_ge_u32 s5, s4
	s_cselect_b32 s4, s16, s7
	s_xor_b32 s4, s4, s3
	s_sub_i32 s61, s4, s3
	s_ashr_i32 s3, s58, 31
	s_ashr_i32 s50, s33, 31
	s_mul_hi_i32 s4, s58, s25
	s_add_u32 s42, s6, s33
	s_addc_u32 s43, s4, s50
	s_lshl_b64 s[34:35], s[42:43], 16
	s_waitcnt lgkmcnt(0)
	s_add_u32 s4, s10, s34
	v_lshl_or_b32 v70, v66, 2, v53
	s_addc_u32 s5, s11, s35
	v_ashrrev_i32_e32 v55, 31, v54
	v_lshl_add_u64 v[2:3], v[54:55], 2, s[4:5]
	v_lshlrev_b32_e32 v56, 2, v70
	v_lshl_add_u64 v[10:11], v[2:3], 0, v[56:57]
	global_load_dwordx4 v[6:9], v[10:11], off
	global_load_dwordx4 v[2:5], v[10:11], off offset:256
	s_load_dwordx2 s[10:11], s[0:1], 0x40
	s_load_dwordx8 s[16:23], s[0:1], 0x0
	s_load_dwordx2 s[36:37], s[0:1], 0x80
	s_load_dwordx4 s[4:7], s[0:1], 0x70
	v_and_b32_e32 v57, 63, v0
	s_mul_i32 s51, s58, s24
	s_mul_i32 s62, s58, s28
	v_or_b32_e32 v71, 64, v70
	s_cmp_lt_i32 s24, 64
	v_lshrrev_b32_e32 v69, 3, v57
	s_mul_i32 s63, s43, s24
	s_mul_hi_u32 s64, s42, s24
	s_mul_i32 s44, s42, s24
	s_waitcnt lgkmcnt(0)
	s_mul_i32 s43, s58, s5
	s_mul_hi_u32 s53, s58, s4
	s_mul_i32 s54, s3, s4
	s_mul_i32 s40, s58, s4
	s_mul_i32 s52, s33, s7
	s_mul_hi_u32 s55, s33, s6
	s_mul_i32 s56, s50, s6
	s_mul_i32 s38, s33, s6
	s_cbranch_scc1 .LBB665_18
; %bb.1:
	s_add_i32 s45, s64, s63
	s_lshl_b64 s[0:1], s[44:45], 8
	v_and_b32_e32 v73, 56, v68
	s_add_u32 s4, s18, s0
	v_lshl_or_b32 v72, v1, 3, v69
	v_lshlrev_b32_e32 v10, 1, v73
	s_addc_u32 s0, s19, s1
	v_lshl_or_b32 v74, v72, 8, v10
	s_and_b32 s5, s0, 0xffff
	s_mov_b32 s7, 0x20000
	s_movk_i32 s6, 0x4000
	s_movk_i32 s0, 0x80
	v_or_b32_e32 v75, 0x2000, v74
	buffer_load_dwordx4 v[12:15], v74, s[4:7], 0 offen
	buffer_load_dwordx4 v[16:19], v74, s[4:7], s0 offen
	;; [unrolled: 1-line block ×4, first 2 shown]
	v_lshlrev_b32_e32 v11, 3, v72
	v_and_or_b32 v29, v0, 7, v11
	v_and_b32_e32 v11, 0x78, v11
	v_lshlrev_b32_e32 v29, 4, v29
	v_xor_b32_e32 v76, v29, v11
	v_mul_lo_u32 v28, v72, s27
	v_or_b32_e32 v77, 0x1000, v76
	v_xor_b32_e32 v11, 8, v76
	s_cmpk_eq_i32 s27, 0x80
	s_mov_b32 s65, s26
	v_xor_b32_e32 v29, 8, v77
	s_cselect_b64 s[0:1], -1, 0
	s_cmpk_lg_i32 s27, 0x80
	s_waitcnt vmcnt(3)
	ds_write_b64 v76, v[12:13] offset:16384
	ds_write_b64 v11, v[14:15] offset:16384
	s_waitcnt vmcnt(2)
	ds_write_b64 v76, v[16:17] offset:24576
	ds_write_b64 v11, v[18:19] offset:24576
	s_waitcnt vmcnt(1)
	ds_write_b64 v76, v[20:21] offset:20480
	ds_write_b64 v29, v[22:23] offset:16384
	s_waitcnt vmcnt(0)
	ds_write_b64 v76, v[24:25] offset:28672
	ds_write_b64 v29, v[26:27] offset:24576
	v_lshl_add_u32 v11, v28, 1, v73
	s_cbranch_scc0 .LBB665_3
; %bb.2:
	v_lshlrev_b32_e32 v13, 1, v11
	v_add_lshl_u32 v12, v11, s27, 1
	s_lshl_b32 s6, s27, 7
	v_lshl_or_b32 v10, v72, 9, v10
	s_cbranch_execz .LBB665_4
	s_branch .LBB665_5
.LBB665_3:
                                        ; implicit-def: $vgpr12
                                        ; implicit-def: $vgpr13
                                        ; implicit-def: $sgpr6
	v_lshl_or_b32 v10, v72, 9, v10
.LBB665_4:
	v_or_b32_e32 v12, 0x100, v10
	s_movk_i32 s6, 0x4000
	v_mov_b32_e32 v13, v10
.LBB665_5:
	s_mul_hi_u32 s4, s26, s24
	s_mul_i32 s5, s60, s24
	s_add_i32 s4, s4, s5
	s_mul_i32 s5, s26, s24
	s_mul_i32 s7, s5, s3
	s_mul_hi_u32 s28, s5, s58
	s_add_i32 s7, s28, s7
	s_mul_i32 s4, s4, s58
	s_add_i32 s7, s7, s4
	s_mul_i32 s5, s5, s58
	s_ashr_i32 s66, s61, 31
	s_add_u32 s4, s5, s61
	s_addc_u32 s5, s7, s66
	s_lshl_b64 s[4:5], s[4:5], 8
	s_add_u32 s4, s16, s4
	s_addc_u32 s5, s17, s5
	s_and_b32 s5, s5, 0xffff
	s_mov_b32 s7, 0x20000
	s_movk_i32 s67, 0x80
	buffer_load_dwordx4 v[14:17], v13, s[4:7], 0 offen
	buffer_load_dwordx4 v[18:21], v13, s[4:7], s67 offen
	;; [unrolled: 1-line block ×4, first 2 shown]
	v_and_b32_e32 v12, 6, v0
	v_lshlrev_b32_e32 v30, 2, v67
	v_lshlrev_b32_e32 v31, 3, v67
	v_xor_b32_e32 v33, v72, v12
	v_and_b32_e32 v13, 1, v0
	s_mul_i32 s3, s3, s24
	s_mul_hi_u32 s4, s58, s24
	v_lshl_or_b32 v31, v70, 5, v31
	v_xor_b32_e32 v34, v70, v30
	v_lshlrev_b32_e32 v33, 2, v33
	v_or_b32_e32 v78, 0x9000, v31
	v_or_b32_e32 v79, 0x9800, v31
	v_lshlrev_b32_e32 v31, 1, v34
	v_xor_b32_e32 v34, 0x440, v33
	v_cmp_eq_u32_e32 vcc, 0, v13
	s_add_i32 s71, s4, s3
	s_add_i32 s3, s53, s43
	v_cndmask_b32_e32 v13, v34, v33, vcc
	s_add_i32 s4, s55, s52
	s_add_i32 s41, s3, s54
	s_mov_b32 s69, 0x1000504
	v_lshlrev_b32_e32 v32, 8, v67
	s_mov_b32 s6, 0x8000
	v_xor_b32_e32 v30, v71, v30
	v_lshl_or_b32 v12, v12, 10, v13
	s_add_i32 s39, s4, s56
	s_lshl_b64 s[4:5], s[40:41], 2
	s_mov_b32 s70, 0x3020706
	v_lshlrev_b32_e32 v30, 1, v30
	v_or3_b32 v80, v31, v32, s6
	v_xor_b32_e32 v13, 8, v12
	v_xor_b32_e32 v31, 24, v12
	;; [unrolled: 1-line block ×4, first 2 shown]
	s_add_u32 s3, s22, s4
	v_or3_b32 v81, v30, v32, s6
	v_xor_b32_e32 v30, 16, v12
	v_xor_b32_e32 v32, 32, v12
	;; [unrolled: 1-line block ×3, first 2 shown]
	v_add_u32_e32 v13, 0x80, v13
	v_add_u32_e32 v31, 0x80, v31
	v_add_u32_e32 v33, 0x80, v33
	v_add_u32_e32 v35, 0x80, v35
	s_addc_u32 s28, s23, s5
	s_lshl_b64 s[4:5], s[38:39], 2
	s_add_u32 s46, s3, s4
	s_movk_i32 s3, 0xf8
	s_addc_u32 s47, s28, s5
	v_ashrrev_i32_e32 v59, 31, v58
	s_lshl_b32 s30, s27, 7
	s_mov_b32 s68, 0
	s_mov_b32 s39, 0x7060302
	;; [unrolled: 1-line block ×3, first 2 shown]
	s_waitcnt vmcnt(1)
	v_perm_b32 v36, v14, v22, s69
	s_waitcnt vmcnt(0)
	v_perm_b32 v37, v18, v26, s69
	v_perm_b32 v14, v14, v22, s70
	;; [unrolled: 1-line block ×15, first 2 shown]
	ds_write2st64_b32 v12, v36, v37 offset1:32
	ds_write2st64_b32 v13, v14, v18 offset1:32
	ds_write2st64_b32 v30, v22, v26 offset0:1 offset1:33
	ds_write2st64_b32 v31, v15, v19 offset0:1 offset1:33
	;; [unrolled: 1-line block ×6, first 2 shown]
	v_or_b32_e32 v12, v53, v67
	v_lshlrev_b32_e32 v12, 3, v12
	v_lshrrev_b32_e32 v14, 5, v57
	v_and_or_b32 v14, v12, s3, v14
	v_lshlrev_b32_e32 v14, 4, v14
	v_lshrrev_b32_e32 v13, 2, v57
	v_lshlrev_b32_e32 v21, 11, v1
	v_and_b32_e32 v12, 0x78, v12
	v_or_b32_e32 v17, 32, v14
	v_and_b32_e32 v20, 12, v13
	v_and_b32_e32 v13, 0x1000, v21
	v_lshrrev_b32_e32 v16, 1, v57
	v_xor_b32_e32 v17, v17, v12
	v_and_b32_e32 v16, 8, v16
	v_or_b32_e32 v17, v17, v13
	v_xor_b32_e32 v15, v14, v12
	v_xor_b32_e32 v84, v17, v16
	v_or_b32_e32 v17, 64, v14
	v_or_b32_e32 v14, 0x60, v14
	v_xor_b32_e32 v17, v17, v12
	v_xor_b32_e32 v12, v14, v12
	v_or_b32_e32 v15, v15, v13
	v_or_b32_e32 v17, v17, v13
	;; [unrolled: 1-line block ×3, first 2 shown]
	v_xor_b32_e32 v82, v15, v16
	v_xor_b32_e32 v85, v17, v16
	;; [unrolled: 1-line block ×3, first 2 shown]
	v_lshrrev_b32_e32 v16, 4, v0
	v_lshlrev_b32_e32 v17, 1, v67
	s_ashr_i32 s3, s2, 31
	v_or_b32_e32 v18, 1, v17
	v_xor_b32_e32 v17, v16, v17
	s_lshl_b64 s[4:5], s[2:3], 8
	v_xor_b32_e32 v18, v18, v16
	v_lshlrev_b32_e32 v17, 3, v17
	v_lshlrev_b32_e32 v16, 8, v16
	v_lshlrev_b64 v[12:13], 1, v[58:59]
	s_add_u32 s4, s12, s4
	v_or3_b32 v59, v17, v16, s6
	v_lshlrev_b32_e32 v17, 3, v18
	s_addc_u32 s5, s13, s5
	v_or3_b32 v88, v17, v16, s6
	v_mov_b32_e32 v17, 0
	v_lshrrev_b32_e32 v27, 1, v0
	v_lshl_add_u64 v[18:19], s[4:5], 0, v[16:17]
	v_lshlrev_b32_e32 v16, 4, v67
	s_movk_i32 s3, 0xff
	v_lshlrev_b32_e32 v26, 3, v1
	v_and_b32_e32 v27, 24, v27
	v_lshl_add_u64 v[60:61], v[18:19], 0, v[16:17]
	v_and_b32_e32 v16, 7, v0
	v_and_b32_e32 v19, 8, v0
	v_cmp_lt_u32_e32 vcc, s3, v0
	v_xor_b32_e32 v28, v26, v27
	v_lshlrev_b32_e32 v24, 3, v16
	v_lshlrev_b32_e32 v25, 7, v16
	v_cndmask_b32_e64 v16, 0, 1, vcc
	v_or_b32_e32 v29, 0x440, v28
	v_cmp_eq_u32_e32 vcc, 0, v19
	v_or_b32_e32 v31, 64, v27
	v_xor_b32_e32 v31, v26, v31
	v_cndmask_b32_e32 v19, v29, v28, vcc
	v_or_b32_e32 v29, 32, v27
	v_or_b32_e32 v27, 0x60, v27
	v_xor_b32_e32 v29, v26, v29
	v_xor_b32_e32 v26, v26, v27
	v_or_b32_e32 v30, 0x440, v29
	v_xor_b32_e32 v32, 0x440, v31
	v_xor_b32_e32 v27, 0x440, v26
	v_cndmask_b32_e32 v29, v30, v29, vcc
	v_cndmask_b32_e32 v31, v32, v31, vcc
	;; [unrolled: 1-line block ×3, first 2 shown]
	v_and_b32_e32 v15, 0x78, v68
	v_or_b32_e32 v19, v19, v21
	v_or_b32_e32 v29, v29, v21
	;; [unrolled: 1-line block ×4, first 2 shown]
	v_lshl_or_b32 v15, v66, 7, v15
	v_lshlrev_b32_e32 v16, 13, v16
	v_xor_b32_e32 v19, v19, v24
	v_xor_b32_e32 v29, v29, v24
	;; [unrolled: 1-line block ×4, first 2 shown]
	v_or_b32_e32 v83, 0x9000, v15
	v_or_b32_e32 v87, 0x9800, v15
	v_lshl_add_u64 v[14:15], s[20:21], 0, v[12:13]
	v_lshl_add_u64 v[12:13], s[14:15], 0, v[12:13]
	v_lshlrev_b32_e32 v22, 1, v11
	v_add_lshl_u32 v11, v11, s27, 1
	v_or_b32_e32 v23, 0x100, v10
	v_or_b32_e32 v18, v20, v53
	v_add_u32_e32 v28, v16, v19
	v_add_u32_e32 v30, v16, v29
	;; [unrolled: 1-line block ×4, first 2 shown]
	v_or3_b32 v20, v53, v20, 64
	v_add_u32_e32 v19, 0x2000, v19
	v_add_u32_e32 v26, 0x2000, v29
	;; [unrolled: 1-line block ×4, first 2 shown]
	v_lshlrev_b32_e32 v16, 8, v70
	v_cndmask_b32_e64 v89, v22, v10, s[0:1]
	v_cndmask_b32_e64 v90, v11, v23, s[0:1]
	v_lshl_add_u64 v[62:63], v[14:15], 0, v[16:17]
	v_lshl_add_u64 v[64:65], v[12:13], 0, v[16:17]
	s_add_i32 s3, s51, 63
	s_movk_i32 s6, 0x4000
	v_lshlrev_b32_e32 v91, 2, v18
	v_add_u32_e32 v92, v28, v25
	v_add_u32_e32 v93, v30, v25
	;; [unrolled: 1-line block ×4, first 2 shown]
	v_lshlrev_b32_e32 v96, 2, v20
	v_add_u32_e32 v97, v19, v25
	v_add_u32_e32 v98, v26, v25
	;; [unrolled: 1-line block ×4, first 2 shown]
	s_waitcnt lgkmcnt(0)
	s_barrier
.LBB665_6:                              ; =>This Inner Loop Header: Depth=1
	s_add_i32 s41, s72, 1
	s_cmp_lt_i32 s41, s59
	s_mov_b64 s[28:29], 0
	s_cselect_b64 s[48:49], -1, 0
	s_cmp_ge_i32 s41, s59
	s_mov_b64 s[4:5], 0
	s_cbranch_scc1 .LBB665_8
; %bb.7:                                ;   in Loop: Header=BB665_6 Depth=1
	s_add_i32 s0, s68, 64
	s_add_u32 s0, s44, s0
	s_addc_u32 s1, s45, 0
	s_lshl_b64 s[0:1], s[0:1], 8
	s_add_u32 s4, s18, s0
	s_addc_u32 s5, s19, s1
.LBB665_8:                              ;   in Loop: Header=BB665_6 Depth=1
	v_cndmask_b32_e64 v10, 0, 1, s[48:49]
	v_cmp_ne_u32_e64 s[0:1], 1, v10
	s_andn2_b64 vcc, exec, s[48:49]
	s_cbranch_vccnz .LBB665_10
; %bb.9:                                ;   in Loop: Header=BB665_6 Depth=1
	s_add_i32 s28, s68, 64
	s_add_u32 s28, s51, s28
	s_addc_u32 s29, s71, 0
	s_mul_i32 s31, s28, s60
	s_mul_hi_u32 s48, s28, s65
	s_add_i32 s31, s48, s31
	s_mul_i32 s29, s29, s65
	s_add_i32 s31, s31, s29
	s_mul_i32 s28, s28, s65
	s_add_u32 s28, s28, s61
	s_addc_u32 s29, s31, s66
	s_lshl_b64 s[28:29], s[28:29], 8
	s_add_u32 s28, s16, s28
	s_addc_u32 s29, s17, s29
.LBB665_10:                             ;   in Loop: Header=BB665_6 Depth=1
	v_perm_b32 v11, v9, v8, s39
	v_perm_b32 v10, v7, v6, s39
	;; [unrolled: 1-line block ×4, first 2 shown]
	ds_write_b64 v78, v[10:11]
	ds_write_b64 v79, v[12:13]
	;; [unrolled: 1-line block ×4, first 2 shown]
	s_waitcnt lgkmcnt(0)
	s_barrier
	ds_read_b64 v[18:19], v82 offset:16384
	ds_read_b64 v[20:21], v84 offset:16384
	ds_read2st64_b64 v[10:13], v83 offset1:1
	ds_read2st64_b64 v[14:17], v83 offset0:2 offset1:3
	ds_read_b64 v[22:23], v85 offset:16384
	s_waitcnt lgkmcnt(2)
	v_mfma_f32_16x16x16_bf16 a[0:3], v[18:19], v[10:11], 0
	ds_read_b64 v[10:11], v86 offset:16384
	s_add_i32 s31, s68, 63
	s_mul_i32 s48, s31, s37
	v_mfma_f32_16x16x16_bf16 a[0:3], v[20:21], v[12:13], a[0:3]
	s_mul_hi_u32 s49, s31, s36
	s_add_i32 s49, s49, s48
	s_mul_i32 s48, s31, s36
	s_waitcnt lgkmcnt(1)
	v_mfma_f32_16x16x16_bf16 a[0:3], v[22:23], v[14:15], a[0:3]
	s_lshl_b64 s[48:49], s[48:49], 2
	s_add_u32 s48, s46, s48
	s_addc_u32 s49, s47, s49
	s_waitcnt lgkmcnt(0)
	v_mfma_f32_16x16x16_bf16 a[0:3], v[10:11], v[16:17], a[0:3]
	s_and_b64 vcc, exec, s[0:1]
	v_mov_b32_e32 v103, 0
	v_mov_b32_e32 v102, 0
	;; [unrolled: 1-line block ×19, first 2 shown]
	s_cbranch_vccnz .LBB665_12
; %bb.11:                               ;   in Loop: Header=BB665_6 Depth=1
	s_and_b32 s5, s5, 0xffff
	buffer_load_dwordx4 v[22:25], v74, s[4:7], 0 offen
	buffer_load_dwordx4 v[18:21], v74, s[4:7], s67 offen
	;; [unrolled: 1-line block ×4, first 2 shown]
	v_mov_b32_e32 v102, v76
	v_mov_b32_e32 v101, v77
.LBB665_12:                             ;   in Loop: Header=BB665_6 Depth=1
	v_add_u32_e32 v32, s68, v70
	v_ashrrev_i32_e32 v26, 31, v32
	v_mul_lo_u32 v28, v26, s36
	v_mul_lo_u32 v29, v32, s37
	v_mad_u64_u32 v[26:27], s[4:5], v32, s36, 0
	v_add3_u32 v27, v27, v29, v28
	v_add_u32_e32 v28, 1, v32
	v_ashrrev_i32_e32 v29, 31, v28
	v_mul_lo_u32 v30, v29, s36
	v_mul_lo_u32 v31, v28, s37
	v_mad_u64_u32 v[28:29], s[4:5], v28, s36, 0
	v_add3_u32 v29, v29, v31, v30
	v_add_u32_e32 v30, 2, v32
	v_ashrrev_i32_e32 v31, 31, v30
	v_mul_lo_u32 v33, v31, s36
	v_mul_lo_u32 v34, v30, s37
	v_mad_u64_u32 v[30:31], s[4:5], v30, s36, 0
	s_add_u32 s4, s44, s68
	v_add3_u32 v31, v31, v34, v33
	v_add_u32_e32 v34, 3, v32
	s_addc_u32 s5, s45, 0
	v_ashrrev_i32_e32 v32, 31, v34
	s_lshl_b64 s[74:75], s[4:5], 8
	v_lshl_add_u64 v[26:27], v[26:27], 2, s[46:47]
	v_mul_lo_u32 v35, v32, s36
	v_lshl_add_u64 v[32:33], v[62:63], 0, s[74:75]
	v_mul_lo_u32 v36, v34, s37
	global_load_ushort v46, v[32:33], off
	global_load_ushort v47, v[32:33], off offset:256
	global_load_ushort v48, v[32:33], off offset:512
	;; [unrolled: 1-line block ×3, first 2 shown]
	global_load_dword v50, v[26:27], off
	v_mad_u64_u32 v[26:27], s[4:5], v34, s36, 0
	v_lshl_add_u64 v[28:29], v[28:29], 2, s[46:47]
	v_add3_u32 v27, v27, v36, v35
	v_lshl_add_u64 v[30:31], v[30:31], 2, s[46:47]
	v_lshl_add_u64 v[26:27], v[26:27], 2, s[46:47]
	global_load_dword v51, v[28:29], off
	global_load_dword v52, v[30:31], off
	;; [unrolled: 1-line block ×3, first 2 shown]
	s_load_dword s4, s[48:49], 0x0
	ds_read_b64 v[34:35], v82 offset:24576
	ds_read2st64_b64 v[30:33], v87 offset1:1
	ds_read2st64_b64 v[36:39], v87 offset0:2 offset1:3
	ds_read_b64 v[40:41], v84 offset:24576
	ds_read_b64 v[42:43], v85 offset:24576
	;; [unrolled: 1-line block ×3, first 2 shown]
	s_waitcnt lgkmcnt(0)
	v_mfma_f32_16x16x16_bf16 a[0:3], v[34:35], v[30:31], a[0:3]
	v_mov_b32_e32 v104, 0
	v_mov_b32_e32 v26, 0
	;; [unrolled: 1-line block ×3, first 2 shown]
	v_mfma_f32_16x16x16_bf16 a[0:3], v[40:41], v[32:33], a[0:3]
	v_mov_b32_e32 v28, 0
	v_mov_b32_e32 v29, 0
	;; [unrolled: 1-line block ×3, first 2 shown]
	v_mfma_f32_16x16x16_bf16 a[0:3], v[42:43], v[36:37], a[0:3]
	v_lshl_add_u64 v[36:37], v[64:65], 0, s[74:75]
	v_mov_b32_e32 v31, 0
	v_mov_b32_e32 v32, 0
	v_mfma_f32_16x16x16_bf16 a[0:3], v[44:45], v[38:39], a[0:3]
	v_mov_b32_e32 v33, 0
	v_mov_b32_e32 v34, 0
	;; [unrolled: 1-line block ×3, first 2 shown]
	s_and_b64 vcc, exec, s[0:1]
	s_waitcnt vmcnt(7)
	v_lshlrev_b32_e32 v42, 16, v46
	s_nop 0
	v_accvgpr_read_b32 v41, a1
	v_accvgpr_read_b32 v39, a3
	;; [unrolled: 1-line block ×4, first 2 shown]
	s_waitcnt vmcnt(6)
	v_lshlrev_b32_e32 v43, 16, v47
	s_waitcnt vmcnt(4)
	v_lshlrev_b32_e32 v45, 16, v49
	v_lshlrev_b32_e32 v44, 16, v48
	s_waitcnt vmcnt(3)
	v_sub_f32_e32 v46, s4, v50
	v_pk_add_f32 v[40:41], v[42:43], v[40:41] neg_lo:[0,1] neg_hi:[0,1]
	v_pk_add_f32 v[38:39], v[44:45], v[38:39] neg_lo:[0,1] neg_hi:[0,1]
	s_waitcnt vmcnt(2)
	v_sub_f32_e32 v43, s4, v51
	s_waitcnt vmcnt(1)
	v_sub_f32_e32 v44, s4, v52
	;; [unrolled: 2-line block ×3, first 2 shown]
	v_exp_f32_e32 v42, v46
	v_exp_f32_e32 v43, v43
	;; [unrolled: 1-line block ×4, first 2 shown]
	global_store_short_d16_hi v[36:37], v40, off
	global_store_short_d16_hi v[36:37], v41, off offset:256
	global_store_short_d16_hi v[36:37], v38, off offset:512
	;; [unrolled: 1-line block ×3, first 2 shown]
	v_pk_mul_f32 v[36:37], v[42:43], v[40:41]
	v_pk_mul_f32 v[38:39], v[44:45], v[38:39]
	v_perm_b32 v36, v37, v36, s39
	v_perm_b32 v37, v39, v38, s39
	ds_write_b64 v79, v[36:37]
	v_mov_b32_e32 v36, 0
	v_mov_b32_e32 v37, 0
	v_mov_b32_e32 v38, 0
	v_mov_b32_e32 v39, 0
	v_mov_b32_e32 v40, 0
	v_mov_b32_e32 v41, 0
	s_cbranch_vccnz .LBB665_14
; %bb.13:                               ;   in Loop: Header=BB665_6 Depth=1
	s_and_b32 s29, s29, 0xffff
	s_mov_b32 s31, s7
	buffer_load_dwordx4 v[38:41], v89, s[28:31], 0 offen
	buffer_load_dwordx4 v[30:33], v89, s[28:31], s67 offen
	;; [unrolled: 1-line block ×4, first 2 shown]
	v_mov_b32_e32 v103, v73
	v_mov_b32_e32 v104, v72
.LBB665_14:                             ;   in Loop: Header=BB665_6 Depth=1
	s_waitcnt lgkmcnt(0)
	s_barrier
	ds_read_b64 v[42:43], v92
	ds_read_b64 v[48:49], v93
	ds_read2st64_b64 v[44:47], v87 offset1:1
	ds_read2st64_b64 v[106:109], v87 offset0:2 offset1:3
	ds_read_b64 v[50:51], v94
	ds_read_b64 v[114:115], v95
	s_add_i32 s5, s62, s72
	s_mul_hi_i32 s29, s5, s25
	s_mul_i32 s5, s5, s25
	s_waitcnt lgkmcnt(3)
	v_mfma_f32_16x16x16_bf16 a[0:3], v[42:43], v[44:45], 0
	ds_read_b64 v[42:43], v97
	s_add_u32 s28, s5, s33
	s_addc_u32 s29, s29, s50
	s_add_i32 s5, s3, s68
	v_mfma_f32_16x16x16_bf16 a[0:3], v[48:49], v[46:47], a[0:3]
	ds_read_b64 v[48:49], v98
	s_lshl_b64 s[28:29], s[28:29], 15
	s_mul_hi_i32 s31, s5, s25
	s_mul_i32 s5, s5, s25
	s_add_u32 s48, s5, s33
	s_addc_u32 s49, s31, s50
	s_lshl_b64 s[48:49], s[48:49], 9
	s_add_u32 s48, s8, s48
	s_waitcnt lgkmcnt(1)
	v_mfma_f32_16x16x16_bf16 a[4:7], v[42:43], v[44:45], 0
	s_addc_u32 s49, s9, s49
	s_and_b64 vcc, exec, s[0:1]
	v_mfma_f32_16x16x16_bf16 a[0:3], v[50:51], v[106:107], a[0:3]
	ds_read_b64 v[50:51], v99
	ds_read_b64 v[116:117], v100
	global_load_dwordx4 v[42:45], v96, s[48:49]
	s_waitcnt lgkmcnt(2)
	v_mfma_f32_16x16x16_bf16 a[4:7], v[48:49], v[46:47], a[4:7]
	global_load_dwordx4 v[46:49], v91, s[48:49]
	ds_read_b64 v[110:111], v59
	ds_read_b64 v[112:113], v88
	s_waitcnt lgkmcnt(3)
	v_mfma_f32_16x16x16_bf16 a[8:11], v[50:51], v[106:107], a[4:7]
	v_lshl_add_u64 v[50:51], v[60:61], 0, s[28:29]
	s_waitcnt lgkmcnt(0)
	global_store_dwordx4 v[50:51], v[110:113], off
	v_mfma_f32_16x16x16_bf16 a[4:7], v[114:115], v[108:109], a[0:3]
	s_waitcnt vmcnt(2)
	v_mov_b32_e32 v52, v45
	v_mfma_f32_16x16x16_bf16 a[0:3], v[116:117], v[108:109], a[8:11]
	v_mov_b32_e32 v51, v44
	v_mov_b32_e32 v50, v43
	s_cbranch_vccnz .LBB665_16
; %bb.15:                               ;   in Loop: Header=BB665_6 Depth=1
	v_lshrrev_b32_e32 v43, 3, v103
	v_and_b32_e32 v43, 6, v43
	v_xor_b32_e32 v44, v43, v104
	v_lshlrev_b32_e32 v44, 2, v44
	v_and_b32_e32 v45, 8, v103
	v_xor_b32_e32 v103, 0x440, v44
	v_cmp_eq_u32_e32 vcc, 0, v45
	v_perm_b32 v45, v30, v26, s69
	s_nop 0
	v_cndmask_b32_e32 v44, v103, v44, vcc
	v_lshl_or_b32 v43, v43, 10, v44
	v_perm_b32 v44, v38, v34, s69
	s_barrier
	ds_write2st64_b32 v43, v44, v45 offset1:32
	v_xor_b32_e32 v44, 8, v43
	v_perm_b32 v34, v38, v34, s70
	v_perm_b32 v26, v30, v26, s70
	v_add_u32_e32 v30, 0x80, v44
	ds_write2st64_b32 v30, v34, v26 offset1:32
	v_xor_b32_e32 v26, 16, v43
	v_perm_b32 v30, v39, v35, s69
	v_perm_b32 v34, v31, v27, s69
	ds_write2st64_b32 v26, v30, v34 offset0:1 offset1:33
	v_xor_b32_e32 v26, 24, v43
	v_perm_b32 v30, v39, v35, s70
	v_perm_b32 v27, v31, v27, s70
	v_add_u32_e32 v26, 0x80, v26
	ds_write2st64_b32 v26, v30, v27 offset0:1 offset1:33
	v_xor_b32_e32 v26, 32, v43
	v_perm_b32 v27, v40, v36, s69
	v_perm_b32 v30, v32, v28, s69
	ds_write2st64_b32 v26, v27, v30 offset0:2 offset1:34
	v_xor_b32_e32 v26, 40, v43
	v_perm_b32 v27, v40, v36, s70
	v_perm_b32 v28, v32, v28, s70
	v_add_u32_e32 v26, 0x80, v26
	ds_write2st64_b32 v26, v27, v28 offset0:2 offset1:34
	;; [unrolled: 9-line block ×3, first 2 shown]
	ds_write_b64 v102, v[22:23] offset:16384
	v_xor_b32_e32 v22, 8, v102
	ds_write_b64 v22, v[24:25] offset:16384
	ds_write_b64 v102, v[18:19] offset:24576
	;; [unrolled: 1-line block ×4, first 2 shown]
	v_xor_b32_e32 v14, 8, v101
	ds_write_b64 v14, v[16:17] offset:16384
	ds_write_b64 v101, v[10:11] offset:24576
	;; [unrolled: 1-line block ×3, first 2 shown]
.LBB665_16:                             ;   in Loop: Header=BB665_6 Depth=1
	v_exp_f32_e32 v18, s4
	s_waitcnt vmcnt(1)
	v_exp_f32_e32 v20, v46
	v_exp_f32_e32 v21, v47
	;; [unrolled: 1-line block ×4, first 2 shown]
	v_accvgpr_read_b32 v13, a7
	v_accvgpr_read_b32 v11, a5
	;; [unrolled: 1-line block ×3, first 2 shown]
	v_pk_mul_f32 v[20:21], v[18:19], v[20:21] op_sel_hi:[0,1]
	v_pk_fma_f32 v[6:7], v[6:7], v[20:21], v[10:11]
	v_exp_f32_e32 v20, v42
	v_exp_f32_e32 v21, v50
	v_pk_mul_f32 v[10:11], v[18:19], v[22:23] op_sel_hi:[0,1]
	v_exp_f32_e32 v22, v51
	v_exp_f32_e32 v23, v52
	v_accvgpr_read_b32 v12, a6
	v_accvgpr_read_b32 v17, a3
	;; [unrolled: 1-line block ×4, first 2 shown]
	v_pk_fma_f32 v[8:9], v[8:9], v[10:11], v[12:13]
	v_pk_mul_f32 v[10:11], v[18:19], v[20:21] op_sel_hi:[0,1]
	v_accvgpr_read_b32 v16, a2
	v_pk_fma_f32 v[2:3], v[2:3], v[10:11], v[14:15]
	v_pk_mul_f32 v[10:11], v[18:19], v[22:23] op_sel_hi:[0,1]
	s_add_i32 s68, s68, 64
	s_cmp_eq_u32 s59, s41
	v_pk_fma_f32 v[4:5], v[4:5], v[10:11], v[16:17]
	s_cbranch_scc1 .LBB665_18
; %bb.17:                               ;   in Loop: Header=BB665_6 Depth=1
	s_mov_b32 s72, s41
	s_branch .LBB665_6
.LBB665_18:
	s_lshl_b32 s45, s59, 6
	s_sub_i32 s48, s24, s45
	s_cmp_gt_i32 s48, 0
	s_cbranch_scc0 .LBB665_75
; %bb.19:
	s_ashr_i32 s3, s45, 31
	s_cmpk_lg_i32 s27, 0x80
	s_cselect_b64 s[30:31], -1, 0
	s_and_b64 vcc, exec, s[30:31]
	s_cbranch_vccz .LBB665_21
; %bb.20:
	s_mul_hi_i32 s0, s58, s24
	s_add_u32 s1, s51, s45
	s_addc_u32 s0, s0, s3
	s_mul_i32 s4, s1, s60
	s_mul_hi_u32 s5, s1, s26
	s_add_i32 s4, s5, s4
	s_mul_i32 s0, s0, s26
	s_add_i32 s4, s4, s0
	s_mul_i32 s1, s1, s26
	s_ashr_i32 s0, s61, 31
	s_add_u32 s46, s1, s61
	s_addc_u32 s47, s4, s0
	s_cbranch_execz .LBB665_22
	s_branch .LBB665_23
.LBB665_21:
                                        ; implicit-def: $sgpr46_sgpr47
.LBB665_22:
	s_mul_hi_i32 s0, s58, s26
	s_mul_i32 s58, s58, s26
	s_ashr_i32 s1, s61, 31
	s_add_u32 s4, s58, s61
	s_addc_u32 s0, s0, s1
	s_mul_i32 s1, s4, s57
	s_mul_hi_u32 s5, s4, s24
	s_add_i32 s1, s5, s1
	s_mul_i32 s0, s0, s24
	s_add_i32 s1, s1, s0
	s_mul_i32 s4, s4, s24
	s_add_u32 s46, s4, s45
	s_addc_u32 s47, s1, s3
.LBB665_23:
	s_mul_i32 s0, s42, s57
	s_add_i32 s0, s64, s0
	s_add_i32 s4, s62, s59
	;; [unrolled: 1-line block ×3, first 2 shown]
	s_add_u32 s0, s44, s45
	s_addc_u32 s1, s1, s3
	s_mov_b32 s3, 0x7060302
	v_lshlrev_b32_e32 v14, 3, v67
	s_lshl_b64 s[28:29], s[0:1], 8
	s_waitcnt vmcnt(1)
	v_perm_b32 v11, v9, v8, s3
	v_perm_b32 v10, v7, v6, s3
	s_waitcnt vmcnt(0)
	v_perm_b32 v13, v5, v4, s3
	v_perm_b32 v12, v3, v2, s3
	v_lshlrev_b32_e32 v42, 2, v67
	v_lshl_or_b32 v14, v70, 5, v14
	s_add_u32 s0, s18, s28
	ds_write2st64_b64 v14, v[10:11], v[12:13] offset0:72 offset1:76
	v_xor_b32_e32 v14, v70, v42
	v_lshlrev_b32_e32 v15, 8, v67
	s_addc_u32 s1, s19, s29
	v_lshl_or_b32 v14, v14, 1, v15
	s_mul_hi_i32 s3, s4, s25
	s_mul_i32 s4, s4, s25
	ds_write_b64 v14, v[10:11] offset:32768
	v_xor_b32_e32 v10, v71, v42
	s_add_u32 s4, s4, s33
	v_lshl_or_b32 v10, v10, 1, v15
	s_addc_u32 s5, s3, s50
	v_lshlrev_b32_e32 v11, 1, v67
	ds_write_b64 v10, v[12:13] offset:32768
	v_lshrrev_b32_e32 v10, 4, v0
	s_ashr_i32 s3, s2, 31
	s_lshl_b64 s[4:5], s[4:5], 15
	v_or_b32_e32 v12, 1, v11
	s_add_u32 s4, s12, s4
	v_xor_b32_e32 v11, v10, v11
	v_xor_b32_e32 v12, v12, v10
	v_lshlrev_b32_e32 v14, 8, v10
	s_addc_u32 s5, s13, s5
	s_lshl_b64 s[2:3], s[2:3], 8
	v_lshl_or_b32 v10, v11, 3, v14
	v_lshl_or_b32 v12, v12, 3, v14
	s_waitcnt lgkmcnt(0)
	s_barrier
	s_add_u32 s2, s4, s2
	ds_read_b64 v[10:11], v10 offset:32768
	ds_read_b64 v[12:13], v12 offset:32768
	s_addc_u32 s3, s5, s3
	v_mov_b32_e32 v15, 0
	s_cmp_lg_u32 s48, 64
	v_lshl_add_u64 v[16:17], s[2:3], 0, v[14:15]
	v_lshlrev_b32_e32 v14, 4, v67
	s_cselect_b64 s[18:19], -1, 0
	v_lshl_or_b32 v44, v1, 3, v69
	s_mov_b32 s4, 0
	v_lshl_add_u64 v[14:15], v[16:17], 0, v[14:15]
	v_or_b32_e32 v27, 32, v44
	v_and_b32_e32 v26, 56, v68
	s_and_b64 vcc, exec, s[18:19]
	s_waitcnt lgkmcnt(0)
	global_store_dwordx4 v[14:15], v[10:13], off
	s_cbranch_vccz .LBB665_29
; %bb.24:
	s_mov_b32 s6, s4
	s_mov_b32 s7, s4
	;; [unrolled: 1-line block ×3, first 2 shown]
	v_mov_b64_e32 v[16:17], s[6:7]
	v_mov_b64_e32 v[14:15], s[4:5]
	;; [unrolled: 1-line block ×3, first 2 shown]
	v_cmp_gt_i32_e32 vcc, s48, v44
	v_mov_b64_e32 v[12:13], v[16:17]
	s_and_saveexec_b64 s[2:3], vcc
	s_cbranch_execz .LBB665_26
; %bb.25:
	v_lshlrev_b32_e32 v10, 8, v44
	v_mov_b32_e32 v11, 0
	v_lshl_add_u64 v[12:13], s[0:1], 0, v[10:11]
	v_lshlrev_b32_e32 v10, 1, v26
	v_lshl_add_u64 v[18:19], v[12:13], 0, v[10:11]
	global_load_dwordx4 v[14:17], v[18:19], off
	global_load_dwordx4 v[10:13], v[18:19], off offset:128
.LBB665_26:
	s_or_b64 exec, exec, s[2:3]
	s_mov_b32 s6, s4
	s_mov_b32 s7, s4
	;; [unrolled: 1-line block ×3, first 2 shown]
	v_mov_b64_e32 v[24:25], s[6:7]
	v_mov_b64_e32 v[22:23], s[4:5]
	;; [unrolled: 1-line block ×3, first 2 shown]
	v_cmp_gt_i32_e32 vcc, s48, v27
	v_lshlrev_b32_e32 v28, 7, v27
	v_mov_b64_e32 v[20:21], v[24:25]
	s_and_saveexec_b64 s[2:3], vcc
	s_cbranch_execz .LBB665_28
; %bb.27:
	v_lshlrev_b32_e32 v18, 1, v28
	v_mov_b32_e32 v19, 0
	v_lshl_add_u64 v[20:21], s[0:1], 0, v[18:19]
	v_lshlrev_b32_e32 v18, 1, v26
	v_lshl_add_u64 v[30:31], v[20:21], 0, v[18:19]
	global_load_dwordx4 v[22:25], v[30:31], off
	global_load_dwordx4 v[18:21], v[30:31], off offset:128
.LBB665_28:
	s_or_b64 exec, exec, s[2:3]
	v_lshrrev_b32_e32 v29, 3, v26
	v_lshlrev_b32_e32 v30, 3, v44
	v_or_b32_e32 v29, v30, v29
	v_lshlrev_b32_e32 v29, 4, v29
	v_and_b32_e32 v30, 0x78, v30
	v_xor_b32_e32 v29, v29, v30
	s_branch .LBB665_31
.LBB665_29:
                                        ; implicit-def: $vgpr29
                                        ; implicit-def: $vgpr28
                                        ; implicit-def: $vgpr14_vgpr15_vgpr16_vgpr17
                                        ; implicit-def: $vgpr10_vgpr11_vgpr12_vgpr13
                                        ; implicit-def: $vgpr22_vgpr23_vgpr24_vgpr25
                                        ; implicit-def: $vgpr18_vgpr19_vgpr20_vgpr21
	s_cbranch_execz .LBB665_31
; %bb.30:
	s_waitcnt vmcnt(0)
	v_lshlrev_b32_e32 v10, 1, v26
	v_lshl_or_b32 v28, v44, 8, v10
	s_and_b32 s1, s1, 0xffff
	s_mov_b32 s3, 0x20000
	s_movk_i32 s2, 0x4000
	v_lshl_or_b32 v29, v27, 8, v10
	s_movk_i32 s4, 0x80
	buffer_load_dwordx4 v[14:17], v28, s[0:3], 0 offen
	buffer_load_dwordx4 v[10:13], v28, s[0:3], s4 offen
	;; [unrolled: 1-line block ×4, first 2 shown]
	v_lshrrev_b32_e32 v28, 3, v26
	v_lshlrev_b32_e32 v29, 3, v44
	v_or_b32_e32 v28, v29, v28
	v_lshlrev_b32_e32 v28, 4, v28
	v_and_b32_e32 v29, 0x78, v29
	v_xor_b32_e32 v29, v28, v29
	v_lshlrev_b32_e32 v28, 7, v27
.LBB665_31:
	s_lshl_b64 s[0:1], s[46:47], 8
	s_add_u32 s4, s16, s0
	s_movk_i32 s0, 0x1000
	v_and_or_b32 v27, v28, s0, v29
	s_waitcnt vmcnt(1)
	ds_write_b64 v29, v[14:15] offset:16384
	v_xor_b32_e32 v14, 8, v29
	ds_write_b64 v14, v[16:17] offset:16384
	s_waitcnt vmcnt(0)
	ds_write_b64 v29, v[10:11] offset:24576
	ds_write_b64 v14, v[12:13] offset:24576
	;; [unrolled: 1-line block ×3, first 2 shown]
	v_xor_b32_e32 v10, 8, v27
	ds_write_b64 v10, v[24:25] offset:16384
	ds_write_b64 v27, v[18:19] offset:24576
	ds_write_b64 v10, v[20:21] offset:24576
	v_or_b32_e32 v10, v53, v67
	v_lshlrev_b32_e32 v10, 3, v10
	v_lshrrev_b32_e32 v12, 5, v57
	s_movk_i32 s6, 0xf8
	v_and_or_b32 v12, v10, s6, v12
	v_lshlrev_b32_e32 v43, 11, v1
	v_lshlrev_b32_e32 v20, 4, v12
	v_and_b32_e32 v21, 0x78, v10
	v_and_b32_e32 v22, 0x1000, v43
	v_lshlrev_b32_e32 v11, 2, v0
	v_xor_b32_e32 v10, v20, v21
	v_lshrrev_b32_e32 v12, 1, v57
	v_and_b32_e32 v11, 60, v11
	v_or_b32_e32 v10, v10, v22
	v_and_b32_e32 v23, 8, v12
	v_xor_b32_e32 v34, v10, v23
	v_lshl_or_b32 v10, v66, 6, v11
	v_lshlrev_b32_e32 v45, 1, v10
	v_or_b32_e32 v10, 32, v20
	v_xor_b32_e32 v10, v10, v21
	s_waitcnt lgkmcnt(0)
	s_barrier
	ds_read_b64 v[18:19], v34 offset:16384
	v_or_b32_e32 v10, v10, v22
	v_xor_b32_e32 v35, v10, v23
	v_or_b32_e32 v10, 64, v20
	v_xor_b32_e32 v10, v10, v21
	v_or_b32_e32 v10, v10, v22
	v_or_b32_e32 v20, 0x60, v20
	v_xor_b32_e32 v36, v10, v23
	ds_read2st64_b64 v[10:13], v45 offset0:72 offset1:73
	ds_read2st64_b64 v[14:17], v45 offset0:74 offset1:75
	v_xor_b32_e32 v24, v20, v21
	ds_read_b64 v[20:21], v35 offset:16384
	s_addc_u32 s5, s17, s1
	s_add_i32 s0, s53, s43
	s_waitcnt lgkmcnt(2)
	v_mfma_f32_16x16x16_bf16 a[0:3], v[18:19], v[10:11], 0
	s_add_i32 s17, s24, -1
	s_add_i32 s41, s0, s54
	s_add_i32 s0, s55, s52
	s_add_i32 s39, s0, s56
	s_ashr_i32 s0, s17, 31
	s_mul_i32 s1, s17, s37
	s_mul_hi_u32 s2, s17, s36
	s_add_i32 s1, s2, s1
	s_mul_i32 s0, s0, s36
	v_or_b32_e32 v22, v24, v22
	s_add_i32 s1, s1, s0
	s_lshl_b64 s[2:3], s[40:41], 2
	v_xor_b32_e32 v46, v22, v23
	ds_read_b64 v[22:23], v36 offset:16384
	ds_read_b64 v[24:25], v46 offset:16384
	s_waitcnt lgkmcnt(2)
	v_mfma_f32_16x16x16_bf16 a[0:3], v[20:21], v[12:13], a[0:3]
	s_add_u32 s6, s22, s2
	s_addc_u32 s7, s23, s3
	s_lshl_b64 s[2:3], s[38:39], 2
	s_mul_i32 s0, s17, s36
	s_add_u32 s12, s6, s2
	s_addc_u32 s13, s7, s3
	s_lshl_b64 s[0:1], s[0:1], 2
	s_waitcnt lgkmcnt(1)
	v_mfma_f32_16x16x16_bf16 a[0:3], v[22:23], v[14:15], a[0:3]
	s_add_u32 s0, s12, s0
	s_addc_u32 s1, s13, s1
	s_load_dword s16, s[0:1], 0x0
	s_waitcnt lgkmcnt(0)
	v_mfma_f32_16x16x16_bf16 a[0:3], v[24:25], v[16:17], a[0:3]
	s_and_b64 vcc, exec, s[30:31]
	s_cbranch_vccz .LBB665_42
; %bb.32:
	v_lshlrev_b32_e32 v27, 1, v44
	s_and_b64 vcc, exec, s[18:19]
	s_cbranch_vccz .LBB665_43
; %bb.33:
	v_cmp_gt_i32_e32 vcc, s48, v27
	v_mov_b32_e32 v14, 0
	v_mov_b32_e32 v10, 0
	;; [unrolled: 1-line block ×5, first 2 shown]
	s_and_saveexec_b64 s[0:1], vcc
	s_cbranch_execz .LBB665_35
; %bb.34:
	v_mad_i64_i32 v[10:11], s[2:3], s27, v27, 0
	v_lshl_add_u64 v[10:11], v[10:11], 1, s[4:5]
	v_lshlrev_b32_e32 v12, 1, v26
	v_mov_b32_e32 v13, 0
	v_lshl_add_u64 v[10:11], v[10:11], 0, v[12:13]
	global_load_dwordx4 v[10:13], v[10:11], off
.LBB665_35:
	s_or_b64 exec, exec, s[0:1]
	v_or_b32_e32 v28, 1, v27
	v_cmp_gt_i32_e64 s[0:1], s48, v28
	v_mov_b32_e32 v15, 0
	v_mov_b32_e32 v16, 0
	;; [unrolled: 1-line block ×3, first 2 shown]
	s_and_saveexec_b64 s[2:3], s[0:1]
	s_cbranch_execz .LBB665_37
; %bb.36:
	v_mad_i64_i32 v[14:15], s[6:7], s27, v28, 0
	v_lshl_add_u64 v[14:15], v[14:15], 1, s[4:5]
	v_lshlrev_b32_e32 v16, 1, v26
	v_mov_b32_e32 v17, 0
	v_lshl_add_u64 v[14:15], v[14:15], 0, v[16:17]
	global_load_dwordx4 v[14:17], v[14:15], off
.LBB665_37:
	s_or_b64 exec, exec, s[2:3]
	v_mov_b32_e32 v25, 0
	v_mov_b32_e32 v18, 0
	;; [unrolled: 1-line block ×5, first 2 shown]
	s_and_saveexec_b64 s[2:3], vcc
	s_cbranch_execz .LBB665_39
; %bb.38:
	v_mad_i64_i32 v[18:19], s[6:7], s27, v27, 0
	v_lshl_add_u64 v[18:19], v[18:19], 1, s[4:5]
	v_lshlrev_b32_e32 v20, 1, v26
	v_mov_b32_e32 v21, 0
	v_lshl_add_u64 v[18:19], v[18:19], 0, v[20:21]
	global_load_dwordx4 v[18:21], v[18:19], off offset:128
.LBB665_39:
	s_or_b64 exec, exec, s[2:3]
	v_mov_b32_e32 v24, 0
	v_mov_b32_e32 v23, 0
	;; [unrolled: 1-line block ×3, first 2 shown]
	s_and_saveexec_b64 s[2:3], s[0:1]
	s_cbranch_execz .LBB665_41
; %bb.40:
	v_mad_i64_i32 v[22:23], s[0:1], s27, v28, 0
	v_lshl_add_u64 v[22:23], v[22:23], 1, s[4:5]
	v_lshlrev_b32_e32 v24, 1, v26
	v_mov_b32_e32 v25, 0
	v_lshl_add_u64 v[22:23], v[22:23], 0, v[24:25]
	global_load_dwordx4 v[22:25], v[22:23], off offset:128
.LBB665_41:
	s_or_b64 exec, exec, s[2:3]
	s_branch .LBB665_45
.LBB665_42:
                                        ; implicit-def: $vgpr13
                                        ; implicit-def: $vgpr17
                                        ; implicit-def: $vgpr21
                                        ; implicit-def: $vgpr25
	v_lshrrev_b32_e32 v27, 2, v57
	s_branch .LBB665_46
.LBB665_43:
                                        ; implicit-def: $vgpr13
                                        ; implicit-def: $vgpr17
                                        ; implicit-def: $vgpr21
                                        ; implicit-def: $vgpr25
	s_cbranch_execz .LBB665_45
; %bb.44:
	s_waitcnt vmcnt(0)
	v_mad_u64_u32 v[10:11], s[0:1], v27, s27, v[26:27]
	v_lshlrev_b32_e32 v27, 1, v10
	s_lshl_b32 s2, s27, 7
	s_and_b32 s1, s5, 0xffff
	s_mov_b32 s3, 0x20000
	s_mov_b32 s0, s4
	v_add_lshl_u32 v28, v10, s27, 1
	s_movk_i32 s6, 0x80
	buffer_load_dwordx4 v[10:13], v27, s[0:3], 0 offen
	buffer_load_dwordx4 v[18:21], v27, s[0:3], s6 offen
	;; [unrolled: 1-line block ×4, first 2 shown]
.LBB665_45:
	v_lshrrev_b32_e32 v27, 2, v57
	s_cbranch_execnz .LBB665_58
.LBB665_46:
	s_and_b64 vcc, exec, s[18:19]
	s_cbranch_vccz .LBB665_56
; %bb.47:
	s_waitcnt vmcnt(0)
	v_lshlrev_b32_e32 v15, 1, v44
	v_cmp_gt_i32_e32 vcc, s48, v15
	v_mov_b32_e32 v14, 0
	v_lshlrev_b32_e32 v22, 9, v44
	v_mov_b32_e32 v10, 0
	v_mov_b32_e32 v11, 0
	;; [unrolled: 1-line block ×4, first 2 shown]
	s_and_saveexec_b64 s[0:1], vcc
	s_cbranch_execz .LBB665_49
; %bb.48:
	v_mov_b32_e32 v23, 0
	v_lshl_add_u64 v[10:11], s[4:5], 0, v[22:23]
	v_lshlrev_b32_e32 v12, 1, v26
	v_mov_b32_e32 v13, v23
	v_lshl_add_u64 v[10:11], v[10:11], 0, v[12:13]
	global_load_dwordx4 v[10:13], v[10:11], off
.LBB665_49:
	s_or_b64 exec, exec, s[0:1]
	v_or_b32_e32 v15, 1, v15
	v_cmp_gt_i32_e64 s[0:1], s48, v15
	v_lshlrev_b32_e32 v28, 8, v15
	v_mov_b32_e32 v15, 0
	v_mov_b32_e32 v16, 0
	;; [unrolled: 1-line block ×3, first 2 shown]
	s_and_saveexec_b64 s[2:3], s[0:1]
	s_cbranch_execz .LBB665_51
; %bb.50:
	v_mov_b32_e32 v29, 0
	v_lshl_add_u64 v[14:15], s[4:5], 0, v[28:29]
	v_lshlrev_b32_e32 v16, 1, v26
	v_mov_b32_e32 v17, v29
	v_lshl_add_u64 v[14:15], v[14:15], 0, v[16:17]
	global_load_dwordx4 v[14:17], v[14:15], off
.LBB665_51:
	s_or_b64 exec, exec, s[2:3]
	v_mov_b32_e32 v25, 0
	v_mov_b32_e32 v18, 0
	;; [unrolled: 1-line block ×5, first 2 shown]
	s_and_saveexec_b64 s[2:3], vcc
	s_cbranch_execz .LBB665_53
; %bb.52:
	v_mov_b32_e32 v23, 0
	v_lshl_add_u64 v[18:19], s[4:5], 0, v[22:23]
	v_lshlrev_b32_e32 v22, 1, v26
	v_lshl_add_u64 v[18:19], v[18:19], 0, v[22:23]
	global_load_dwordx4 v[18:21], v[18:19], off offset:128
.LBB665_53:
	s_or_b64 exec, exec, s[2:3]
	v_mov_b32_e32 v24, 0
	v_mov_b32_e32 v23, 0
	;; [unrolled: 1-line block ×3, first 2 shown]
	s_and_saveexec_b64 s[2:3], s[0:1]
	s_cbranch_execz .LBB665_55
; %bb.54:
	v_mov_b32_e32 v29, 0
	v_lshl_add_u64 v[22:23], s[4:5], 0, v[28:29]
	v_lshlrev_b32_e32 v28, 1, v26
	v_lshl_add_u64 v[22:23], v[22:23], 0, v[28:29]
	global_load_dwordx4 v[22:25], v[22:23], off offset:128
.LBB665_55:
	s_or_b64 exec, exec, s[2:3]
	s_branch .LBB665_58
.LBB665_56:
                                        ; implicit-def: $vgpr13
                                        ; implicit-def: $vgpr17
                                        ; implicit-def: $vgpr21
                                        ; implicit-def: $vgpr25
	s_cbranch_execz .LBB665_58
; %bb.57:
	s_waitcnt vmcnt(0)
	v_lshlrev_b32_e32 v10, 1, v26
	v_lshl_or_b32 v26, v44, 9, v10
	s_and_b32 s5, s5, 0xffff
	s_mov_b32 s7, 0x20000
	s_movk_i32 s6, 0x4000
	s_movk_i32 s0, 0x80
	buffer_load_dwordx4 v[10:13], v26, s[4:7], 0 offen
	buffer_load_dwordx4 v[14:17], v26, s[4:7], 0 offen offset:256
	buffer_load_dwordx4 v[18:21], v26, s[4:7], s0 offen
	buffer_load_dwordx4 v[22:25], v26, s[4:7], s0 offen offset:256
.LBB665_58:
	v_and_b32_e32 v47, 12, v27
	ds_read2st64_b64 v[30:33], v45 offset0:76 offset1:77
	ds_read2st64_b64 v[26:29], v45 offset0:78 offset1:79
	ds_read_b64 v[40:41], v34 offset:24576
	ds_read_b64 v[38:39], v35 offset:24576
	;; [unrolled: 1-line block ×4, first 2 shown]
	v_and_b32_e32 v46, 6, v0
	v_xor_b32_e32 v44, v44, v46
	v_lshlrev_b32_e32 v44, 2, v44
	v_and_b32_e32 v48, 1, v0
	v_xor_b32_e32 v49, 0x440, v44
	v_cmp_eq_u32_e32 vcc, 0, v48
	s_mov_b32 s0, 0x1000504
	s_waitcnt vmcnt(0)
	v_perm_b32 v48, v18, v22, s0
	v_cndmask_b32_e32 v44, v49, v44, vcc
	v_lshl_or_b32 v44, v46, 10, v44
	v_perm_b32 v46, v10, v14, s0
	ds_write2st64_b32 v44, v46, v48 offset1:32
	v_xor_b32_e32 v46, 8, v44
	s_mov_b32 s1, 0x3020706
	v_perm_b32 v10, v10, v14, s1
	v_perm_b32 v14, v18, v22, s1
	v_add_u32_e32 v18, 0x80, v46
	ds_write2st64_b32 v18, v10, v14 offset1:32
	v_xor_b32_e32 v10, 16, v44
	v_perm_b32 v14, v11, v15, s0
	v_perm_b32 v18, v19, v23, s0
	ds_write2st64_b32 v10, v14, v18 offset0:1 offset1:33
	v_xor_b32_e32 v10, 24, v44
	v_perm_b32 v11, v11, v15, s1
	v_perm_b32 v14, v19, v23, s1
	v_add_u32_e32 v10, 0x80, v10
	ds_write2st64_b32 v10, v11, v14 offset0:1 offset1:33
	v_xor_b32_e32 v10, 32, v44
	v_perm_b32 v11, v12, v16, s0
	v_perm_b32 v14, v20, v24, s0
	ds_write2st64_b32 v10, v11, v14 offset0:2 offset1:34
	v_xor_b32_e32 v10, 40, v44
	v_perm_b32 v11, v12, v16, s1
	v_perm_b32 v12, v20, v24, s1
	v_add_u32_e32 v10, 0x80, v10
	ds_write2st64_b32 v10, v11, v12 offset0:2 offset1:34
	v_xor_b32_e32 v10, 48, v44
	v_perm_b32 v11, v13, v17, s0
	v_perm_b32 v12, v21, v25, s0
	ds_write2st64_b32 v10, v11, v12 offset0:3 offset1:35
	v_xor_b32_e32 v10, 56, v44
	v_or_b32_e32 v18, v47, v53
	v_perm_b32 v11, v13, v17, s1
	v_perm_b32 v12, v21, v25, s1
	v_add_u32_e32 v10, 0x80, v10
	v_cmp_gt_i32_e64 s[2:3], s48, v18
	v_mov_b32_e32 v20, 0
	v_mov_b32_e32 v25, 0
	ds_write2st64_b32 v10, v11, v12 offset0:3 offset1:35
	s_and_saveexec_b64 s[0:1], s[2:3]
	s_cbranch_execz .LBB665_60
; %bb.59:
	v_add_u32_e32 v10, s45, v18
	v_ashrrev_i32_e32 v11, 31, v10
	v_mul_lo_u32 v12, v11, s36
	v_mul_lo_u32 v13, v10, s37
	v_mad_u64_u32 v[10:11], s[4:5], v10, s36, 0
	v_add3_u32 v11, v11, v13, v12
	v_lshl_add_u64 v[10:11], v[10:11], 2, s[12:13]
	global_load_dword v10, v[10:11], off
	s_waitcnt vmcnt(0)
	v_sub_f32_e32 v10, s16, v10
	v_exp_f32_e32 v25, v10
.LBB665_60:
	s_or_b64 exec, exec, s[0:1]
	v_or_b32_e32 v23, 1, v18
	v_cmp_gt_i32_e64 s[4:5], s48, v23
	s_and_saveexec_b64 s[0:1], s[4:5]
	s_cbranch_execz .LBB665_62
; %bb.61:
	v_add_u32_e32 v10, s45, v23
	v_ashrrev_i32_e32 v11, 31, v10
	v_mul_lo_u32 v12, v11, s36
	v_mul_lo_u32 v13, v10, s37
	v_mad_u64_u32 v[10:11], s[6:7], v10, s36, 0
	v_add3_u32 v11, v11, v13, v12
	v_lshl_add_u64 v[10:11], v[10:11], 2, s[12:13]
	global_load_dword v10, v[10:11], off
	s_waitcnt vmcnt(0)
	v_sub_f32_e32 v10, s16, v10
	v_exp_f32_e32 v20, v10
.LBB665_62:
	s_or_b64 exec, exec, s[0:1]
	v_or_b32_e32 v22, 2, v18
	v_cmp_gt_i32_e64 s[0:1], s48, v22
	v_mov_b32_e32 v19, 0
	v_mov_b32_e32 v24, 0
	s_and_saveexec_b64 s[6:7], s[0:1]
	s_cbranch_execz .LBB665_64
; %bb.63:
	v_add_u32_e32 v10, s45, v22
	v_ashrrev_i32_e32 v11, 31, v10
	v_mul_lo_u32 v12, v11, s36
	v_mul_lo_u32 v13, v10, s37
	v_mad_u64_u32 v[10:11], s[18:19], v10, s36, 0
	v_add3_u32 v11, v11, v13, v12
	v_lshl_add_u64 v[10:11], v[10:11], 2, s[12:13]
	global_load_dword v10, v[10:11], off
	s_waitcnt vmcnt(0)
	v_sub_f32_e32 v10, s16, v10
	v_exp_f32_e32 v24, v10
.LBB665_64:
	s_or_b64 exec, exec, s[6:7]
	v_or_b32_e32 v21, 3, v18
	v_cmp_gt_i32_e32 vcc, s48, v21
	s_and_saveexec_b64 s[6:7], vcc
	s_cbranch_execz .LBB665_66
; %bb.65:
	v_add_u32_e32 v10, s45, v21
	v_ashrrev_i32_e32 v11, 31, v10
	v_mul_lo_u32 v12, v11, s36
	v_mul_lo_u32 v13, v10, s37
	v_mad_u64_u32 v[10:11], s[18:19], v10, s36, 0
	v_add3_u32 v11, v11, v13, v12
	v_lshl_add_u64 v[10:11], v[10:11], 2, s[12:13]
	global_load_dword v10, v[10:11], off
	s_waitcnt vmcnt(0)
	v_sub_f32_e32 v10, s16, v10
	v_exp_f32_e32 v19, v10
.LBB665_66:
	s_or_b64 exec, exec, s[6:7]
	s_waitcnt lgkmcnt(11)
	v_mfma_f32_16x16x16_bf16 a[0:3], v[40:41], v[30:31], a[0:3]
	s_add_u32 s6, s20, s28
	v_ashrrev_i32_e32 v59, 31, v58
	s_addc_u32 s7, s21, s29
	s_waitcnt lgkmcnt(10)
	v_mfma_f32_16x16x16_bf16 a[0:3], v[38:39], v[32:33], a[0:3]
	v_lshlrev_b64 v[10:11], 1, v[58:59]
	v_lshl_add_u64 v[14:15], s[6:7], 0, v[10:11]
	s_add_u32 s6, s14, s28
	s_waitcnt lgkmcnt(9)
	v_mfma_f32_16x16x16_bf16 a[0:3], v[36:37], v[26:27], a[0:3]
	s_addc_u32 s7, s15, s29
	v_lshl_add_u64 v[16:17], s[6:7], 0, v[10:11]
	v_mov_b32_e32 v26, 0
	s_waitcnt lgkmcnt(8)
	v_mfma_f32_16x16x16_bf16 a[0:3], v[34:35], v[28:29], a[0:3]
	v_mov_b32_e32 v27, 0
	s_nop 5
	v_accvgpr_read_b32 v13, a3
	v_accvgpr_read_b32 v12, a2
	;; [unrolled: 1-line block ×4, first 2 shown]
	s_and_saveexec_b64 s[6:7], s[2:3]
	s_cbranch_execz .LBB665_68
; %bb.67:
	v_lshlrev_b32_e32 v28, 8, v18
	v_mov_b32_e32 v29, 0
	v_lshl_add_u64 v[30:31], v[14:15], 0, v[28:29]
	global_load_ushort v27, v[30:31], off
	v_lshl_add_u64 v[28:29], v[16:17], 0, v[28:29]
	s_waitcnt vmcnt(0)
	v_lshlrev_b32_e32 v27, 16, v27
	v_sub_f32_e32 v10, v27, v10
	global_store_short_d16_hi v[28:29], v10, off
	v_mul_f32_e32 v10, v25, v10
	v_lshrrev_b32_e32 v27, 16, v10
.LBB665_68:
	s_or_b64 exec, exec, s[6:7]
	s_and_saveexec_b64 s[2:3], s[4:5]
	s_cbranch_execz .LBB665_70
; %bb.69:
	v_lshlrev_b32_e32 v28, 8, v23
	v_mov_b32_e32 v29, 0
	v_lshl_add_u64 v[30:31], v[14:15], 0, v[28:29]
	global_load_ushort v10, v[30:31], off
	v_lshl_add_u64 v[28:29], v[16:17], 0, v[28:29]
	s_waitcnt vmcnt(0)
	v_lshlrev_b32_e32 v10, 16, v10
	v_sub_f32_e32 v10, v10, v11
	global_store_short_d16_hi v[28:29], v10, off
	v_mul_f32_e32 v10, v20, v10
	v_lshrrev_b32_e32 v26, 16, v10
.LBB665_70:
	s_or_b64 exec, exec, s[2:3]
	v_mov_b32_e32 v11, 0
	v_mov_b32_e32 v20, 0
	s_and_saveexec_b64 s[2:3], s[0:1]
	s_cbranch_execz .LBB665_72
; %bb.71:
	v_lshlrev_b32_e32 v22, 8, v22
	v_mov_b32_e32 v23, 0
	v_lshl_add_u64 v[28:29], v[14:15], 0, v[22:23]
	global_load_ushort v10, v[28:29], off
	v_lshl_add_u64 v[22:23], v[16:17], 0, v[22:23]
	s_waitcnt vmcnt(0)
	v_lshlrev_b32_e32 v10, 16, v10
	v_sub_f32_e32 v10, v10, v12
	global_store_short_d16_hi v[22:23], v10, off
	v_mul_f32_e32 v10, v24, v10
	v_lshrrev_b32_e32 v20, 16, v10
.LBB665_72:
	s_or_b64 exec, exec, s[2:3]
	v_or_b32_e32 v10, 0x9800, v45
	s_and_saveexec_b64 s[0:1], vcc
	s_cbranch_execz .LBB665_74
; %bb.73:
	v_lshlrev_b32_e32 v22, 8, v21
	v_mov_b32_e32 v23, 0
	v_lshl_add_u64 v[14:15], v[14:15], 0, v[22:23]
	global_load_ushort v11, v[14:15], off
	v_lshl_add_u64 v[14:15], v[16:17], 0, v[22:23]
	s_waitcnt vmcnt(0)
	v_lshlrev_b32_e32 v11, 16, v11
	v_sub_f32_e32 v11, v11, v13
	global_store_short_d16_hi v[14:15], v11, off
	v_mul_f32_e32 v11, v19, v11
	v_lshrrev_b32_e32 v11, 16, v11
.LBB665_74:
	s_or_b64 exec, exec, s[0:1]
	s_mov_b32 s0, 0x5040100
	v_perm_b32 v13, v11, v20, s0
	v_lshlrev_b32_e32 v11, 1, v42
	v_perm_b32 v12, v26, v27, s0
	v_lshl_or_b32 v11, v18, 5, v11
	s_movk_i32 s2, 0xff
	ds_write_b64 v11, v[12:13] offset:38912
	v_and_b32_e32 v11, 7, v0
	v_cmp_lt_u32_e32 vcc, s2, v0
	v_and_b32_e32 v12, 8, v0
	v_lshlrev_b32_e32 v19, 3, v11
	v_lshlrev_b32_e32 v28, 7, v11
	v_cndmask_b32_e64 v11, 0, 1, vcc
	v_lshrrev_b32_e32 v0, 1, v0
	v_lshlrev_b32_e32 v24, 13, v11
	v_lshlrev_b32_e32 v11, 3, v1
	v_and_b32_e32 v0, 24, v0
	v_xor_b32_e32 v13, v11, v0
	v_or_b32_e32 v14, 0x440, v13
	v_cmp_eq_u32_e32 vcc, 0, v12
	s_waitcnt lgkmcnt(0)
	s_barrier
	v_cndmask_b32_e32 v12, v14, v13, vcc
	v_or_b32_e32 v12, v12, v43
	v_xor_b32_e32 v29, v12, v19
	v_or_b32_e32 v12, 32, v0
	v_xor_b32_e32 v12, v11, v12
	v_or_b32_e32 v13, 0x440, v12
	v_cndmask_b32_e32 v12, v13, v12, vcc
	v_or_b32_e32 v12, v12, v43
	v_xor_b32_e32 v30, v12, v19
	v_or_b32_e32 v12, 64, v0
	v_xor_b32_e32 v12, v11, v12
	v_xor_b32_e32 v13, 0x440, v12
	v_cndmask_b32_e32 v12, v13, v12, vcc
	v_add3_u32 v16, v24, v29, v28
	v_or_b32_e32 v12, v12, v43
	v_or_b32_e32 v0, 0x60, v0
	v_xor_b32_e32 v31, v12, v19
	ds_read2st64_b64 v[12:15], v10 offset1:1
	ds_read2st64_b64 v[20:23], v10 offset0:2 offset1:3
	v_xor_b32_e32 v0, v11, v0
	ds_read_b64 v[10:11], v16
	v_add3_u32 v17, v24, v30, v28
	v_xor_b32_e32 v16, 0x440, v0
	v_cndmask_b32_e32 v0, v16, v0, vcc
	ds_read_b64 v[16:17], v17
	s_add_i32 s0, s17, s51
	s_mul_hi_i32 s1, s0, s25
	s_mul_i32 s0, s0, s25
	s_add_u32 s0, s0, s33
	v_or_b32_e32 v0, v0, v43
	s_waitcnt lgkmcnt(1)
	v_mfma_f32_16x16x16_bf16 a[0:3], v[10:11], v[12:13], 0
	s_addc_u32 s1, s1, s50
	v_xor_b32_e32 v32, v0, v19
	s_lshl_b64 s[0:1], s[0:1], 9
	v_add3_u32 v25, v24, v31, v28
	v_add3_u32 v0, v24, v32, v28
	s_add_u32 s0, s8, s0
	ds_read_b64 v[24:25], v25
	ds_read_b64 v[26:27], v0
	s_addc_u32 s1, s9, s1
	v_lshlrev_b32_e32 v0, 2, v18
	s_waitcnt lgkmcnt(2)
	v_mfma_f32_16x16x16_bf16 a[0:3], v[16:17], v[14:15], a[0:3]
	global_load_dwordx4 v[16:19], v0, s[0:1]
	v_add_u32_e32 v0, v29, v28
	v_lshlrev_b32_e32 v10, 6, v1
	ds_read_b64 v[0:1], v0 offset:8192
	v_lshlrev_b32_e32 v11, 2, v47
	s_movk_i32 s2, 0x100
	v_or3_b32 v10, v10, v11, s2
	v_add_u32_e32 v11, v30, v28
	v_add_u32_e32 v29, v31, v28
	;; [unrolled: 1-line block ×3, first 2 shown]
	s_waitcnt lgkmcnt(2)
	v_mfma_f32_16x16x16_bf16 a[0:3], v[24:25], v[20:21], a[0:3]
	ds_read_b64 v[24:25], v11 offset:8192
	ds_read_b64 v[28:29], v29 offset:8192
	ds_read_b64 v[30:31], v30 offset:8192
	s_waitcnt vmcnt(0)
	v_exp_f32_e32 v16, v16
	s_waitcnt lgkmcnt(3)
	v_mfma_f32_16x16x16_bf16 a[4:7], v[0:1], v[12:13], 0
	global_load_dwordx4 v[10:13], v10, s[0:1]
	v_exp_f32_e32 v0, s16
	v_exp_f32_e32 v17, v17
	v_mfma_f32_16x16x16_bf16 a[0:3], v[26:27], v[22:23], a[0:3]
	v_exp_f32_e32 v18, v18
	v_exp_f32_e32 v19, v19
	v_pk_mul_f32 v[16:17], v[0:1], v[16:17] op_sel_hi:[0,1]
	v_pk_mul_f32 v[18:19], v[0:1], v[18:19] op_sel_hi:[0,1]
	s_waitcnt vmcnt(0)
	v_exp_f32_e32 v10, v10
	s_nop 0
	v_accvgpr_read_b32 v33, a1
	v_accvgpr_read_b32 v27, a3
	;; [unrolled: 1-line block ×4, first 2 shown]
	s_waitcnt lgkmcnt(2)
	v_mfma_f32_16x16x16_bf16 a[0:3], v[24:25], v[14:15], a[4:7]
	v_mov_b32_e32 v14, v13
	v_mov_b32_e32 v13, v12
	;; [unrolled: 1-line block ×3, first 2 shown]
	s_waitcnt lgkmcnt(1)
	v_mfma_f32_16x16x16_bf16 a[0:3], v[28:29], v[20:21], a[0:3]
	v_exp_f32_e32 v11, v12
	v_exp_f32_e32 v12, v13
	;; [unrolled: 1-line block ×3, first 2 shown]
	s_waitcnt lgkmcnt(0)
	v_mfma_f32_16x16x16_bf16 a[0:3], v[30:31], v[22:23], a[0:3]
	v_pk_fma_f32 v[6:7], v[6:7], v[16:17], v[32:33]
	v_pk_mul_f32 v[10:11], v[0:1], v[10:11] op_sel_hi:[0,1]
	v_pk_mul_f32 v[0:1], v[0:1], v[12:13] op_sel_hi:[0,1]
	v_pk_fma_f32 v[8:9], v[8:9], v[18:19], v[26:27]
	s_nop 2
	v_accvgpr_read_b32 v17, a1
	v_accvgpr_read_b32 v15, a3
	;; [unrolled: 1-line block ×4, first 2 shown]
	v_pk_fma_f32 v[2:3], v[2:3], v[10:11], v[16:17]
	v_pk_fma_f32 v[4:5], v[4:5], v[0:1], v[14:15]
.LBB665_75:
	s_add_u32 s0, s10, s34
	s_addc_u32 s1, s11, s35
	v_lshl_add_u64 v[0:1], v[54:55], 2, s[0:1]
	v_mov_b32_e32 v57, 0
	v_lshl_add_u64 v[0:1], v[0:1], 0, v[56:57]
	s_waitcnt vmcnt(1)
	global_store_dwordx4 v[0:1], v[6:9], off
	s_waitcnt vmcnt(1)
	global_store_dwordx4 v[0:1], v[2:5], off offset:256
	s_endpgm
	.section	.rodata,"a",@progbits
	.p2align	6, 0x0
	.amdhsa_kernel _ZN12_GLOBAL__N_139chunk_gated_delta_rule_fwd_h_hip_kernelILi16ELb1ELb1ELb1ELb0ELb1ELb1ELb0ELb0EEEvPK12hip_bfloat16S3_S3_PKfS5_PKvPS1_S8_PvPKiSB_iiiiilll
		.amdhsa_group_segment_fixed_size 40960
		.amdhsa_private_segment_fixed_size 0
		.amdhsa_kernarg_size 136
		.amdhsa_user_sgpr_count 2
		.amdhsa_user_sgpr_dispatch_ptr 0
		.amdhsa_user_sgpr_queue_ptr 0
		.amdhsa_user_sgpr_kernarg_segment_ptr 1
		.amdhsa_user_sgpr_dispatch_id 0
		.amdhsa_user_sgpr_kernarg_preload_length 0
		.amdhsa_user_sgpr_kernarg_preload_offset 0
		.amdhsa_user_sgpr_private_segment_size 0
		.amdhsa_uses_dynamic_stack 0
		.amdhsa_enable_private_segment 0
		.amdhsa_system_sgpr_workgroup_id_x 1
		.amdhsa_system_sgpr_workgroup_id_y 1
		.amdhsa_system_sgpr_workgroup_id_z 0
		.amdhsa_system_sgpr_workgroup_info 0
		.amdhsa_system_vgpr_workitem_id 0
		.amdhsa_next_free_vgpr 132
		.amdhsa_next_free_sgpr 76
		.amdhsa_accum_offset 120
		.amdhsa_reserve_vcc 1
		.amdhsa_float_round_mode_32 0
		.amdhsa_float_round_mode_16_64 0
		.amdhsa_float_denorm_mode_32 3
		.amdhsa_float_denorm_mode_16_64 3
		.amdhsa_dx10_clamp 1
		.amdhsa_ieee_mode 1
		.amdhsa_fp16_overflow 0
		.amdhsa_tg_split 0
		.amdhsa_exception_fp_ieee_invalid_op 0
		.amdhsa_exception_fp_denorm_src 0
		.amdhsa_exception_fp_ieee_div_zero 0
		.amdhsa_exception_fp_ieee_overflow 0
		.amdhsa_exception_fp_ieee_underflow 0
		.amdhsa_exception_fp_ieee_inexact 0
		.amdhsa_exception_int_div_zero 0
	.end_amdhsa_kernel
	.section	.text._ZN12_GLOBAL__N_139chunk_gated_delta_rule_fwd_h_hip_kernelILi16ELb1ELb1ELb1ELb0ELb1ELb1ELb0ELb0EEEvPK12hip_bfloat16S3_S3_PKfS5_PKvPS1_S8_PvPKiSB_iiiiilll,"axG",@progbits,_ZN12_GLOBAL__N_139chunk_gated_delta_rule_fwd_h_hip_kernelILi16ELb1ELb1ELb1ELb0ELb1ELb1ELb0ELb0EEEvPK12hip_bfloat16S3_S3_PKfS5_PKvPS1_S8_PvPKiSB_iiiiilll,comdat
.Lfunc_end665:
	.size	_ZN12_GLOBAL__N_139chunk_gated_delta_rule_fwd_h_hip_kernelILi16ELb1ELb1ELb1ELb0ELb1ELb1ELb0ELb0EEEvPK12hip_bfloat16S3_S3_PKfS5_PKvPS1_S8_PvPKiSB_iiiiilll, .Lfunc_end665-_ZN12_GLOBAL__N_139chunk_gated_delta_rule_fwd_h_hip_kernelILi16ELb1ELb1ELb1ELb0ELb1ELb1ELb0ELb0EEEvPK12hip_bfloat16S3_S3_PKfS5_PKvPS1_S8_PvPKiSB_iiiiilll
                                        ; -- End function
	.section	.AMDGPU.csdata,"",@progbits
; Kernel info:
; codeLenInByte = 8132
; NumSgprs: 82
; NumVgprs: 118
; NumAgprs: 12
; TotalNumVgprs: 132
; ScratchSize: 0
; MemoryBound: 0
; FloatMode: 240
; IeeeMode: 1
; LDSByteSize: 40960 bytes/workgroup (compile time only)
; SGPRBlocks: 10
; VGPRBlocks: 16
; NumSGPRsForWavesPerEU: 82
; NumVGPRsForWavesPerEU: 132
; AccumOffset: 120
; Occupancy: 1
; WaveLimiterHint : 1
; COMPUTE_PGM_RSRC2:SCRATCH_EN: 0
; COMPUTE_PGM_RSRC2:USER_SGPR: 2
; COMPUTE_PGM_RSRC2:TRAP_HANDLER: 0
; COMPUTE_PGM_RSRC2:TGID_X_EN: 1
; COMPUTE_PGM_RSRC2:TGID_Y_EN: 1
; COMPUTE_PGM_RSRC2:TGID_Z_EN: 0
; COMPUTE_PGM_RSRC2:TIDIG_COMP_CNT: 0
; COMPUTE_PGM_RSRC3_GFX90A:ACCUM_OFFSET: 29
; COMPUTE_PGM_RSRC3_GFX90A:TG_SPLIT: 0
	.section	.text._ZN12_GLOBAL__N_139chunk_gated_delta_rule_fwd_h_hip_kernelILi16ELb1ELb1ELb0ELb0ELb1ELb1ELb0ELb0EEEvPK12hip_bfloat16S3_S3_PKfS5_PKvPS1_S8_PvPKiSB_iiiiilll,"axG",@progbits,_ZN12_GLOBAL__N_139chunk_gated_delta_rule_fwd_h_hip_kernelILi16ELb1ELb1ELb0ELb0ELb1ELb1ELb0ELb0EEEvPK12hip_bfloat16S3_S3_PKfS5_PKvPS1_S8_PvPKiSB_iiiiilll,comdat
	.globl	_ZN12_GLOBAL__N_139chunk_gated_delta_rule_fwd_h_hip_kernelILi16ELb1ELb1ELb0ELb0ELb1ELb1ELb0ELb0EEEvPK12hip_bfloat16S3_S3_PKfS5_PKvPS1_S8_PvPKiSB_iiiiilll ; -- Begin function _ZN12_GLOBAL__N_139chunk_gated_delta_rule_fwd_h_hip_kernelILi16ELb1ELb1ELb0ELb0ELb1ELb1ELb0ELb0EEEvPK12hip_bfloat16S3_S3_PKfS5_PKvPS1_S8_PvPKiSB_iiiiilll
	.p2align	8
	.type	_ZN12_GLOBAL__N_139chunk_gated_delta_rule_fwd_h_hip_kernelILi16ELb1ELb1ELb0ELb0ELb1ELb1ELb0ELb0EEEvPK12hip_bfloat16S3_S3_PKfS5_PKvPS1_S8_PvPKiSB_iiiiilll,@function
_ZN12_GLOBAL__N_139chunk_gated_delta_rule_fwd_h_hip_kernelILi16ELb1ELb1ELb0ELb0ELb1ELb1ELb0ELb0EEEvPK12hip_bfloat16S3_S3_PKfS5_PKvPS1_S8_PvPKiSB_iiiiilll: ; @_ZN12_GLOBAL__N_139chunk_gated_delta_rule_fwd_h_hip_kernelILi16ELb1ELb1ELb0ELb0ELb1ELb1ELb0ELb0EEEvPK12hip_bfloat16S3_S3_PKfS5_PKvPS1_S8_PvPKiSB_iiiiilll
; %bb.0:
	s_load_dwordx4 s[12:15], s[0:1], 0x5c
	s_abs_i32 s6, s3
	s_ashr_i32 s5, s3, 31
	s_load_dwordx4 s[16:19], s[0:1], 0x20
	s_load_dwordx2 s[38:39], s[0:1], 0x30
	v_and_b32_e32 v65, 15, v0
	s_waitcnt lgkmcnt(0)
	s_abs_i32 s4, s13
	v_cvt_f32_u32_e32 v1, s4
	s_sub_i32 s8, 0, s4
	s_ashr_i32 s7, s13, 31
	s_xor_b32 s5, s5, s7
	v_rcp_iflag_f32_e32 v1, v1
	v_bfe_u32 v64, v0, 4, 2
	v_mov_b32_e32 v57, 0
	v_lshlrev_b32_e32 v66, 3, v0
	v_mul_f32_e32 v1, 0x4f7ffffe, v1
	v_cvt_u32_f32_e32 v1, v1
	s_nop 0
	v_readfirstlane_b32 s9, v1
	s_mul_i32 s8, s8, s9
	s_mul_hi_u32 s8, s9, s8
	s_add_i32 s9, s9, s8
	s_mul_hi_u32 s8, s6, s9
	s_mul_i32 s9, s8, s4
	s_sub_i32 s6, s6, s9
	s_add_i32 s10, s8, 1
	s_sub_i32 s9, s6, s4
	s_cmp_ge_u32 s6, s4
	s_cselect_b32 s8, s10, s8
	s_cselect_b32 s6, s9, s6
	s_add_i32 s9, s8, 1
	s_cmp_ge_u32 s6, s4
	s_cselect_b32 s6, s9, s8
	s_xor_b32 s6, s6, s5
	s_sub_i32 s56, s6, s5
	s_mul_i32 s6, s56, s13
	s_sub_i32 s33, s3, s6
	s_abs_i32 s3, s14
	v_cvt_f32_u32_e32 v1, s3
	s_add_i32 s8, s12, 63
	s_ashr_i32 s9, s8, 31
	s_lshr_b32 s5, s9, 26
	v_rcp_iflag_f32_e32 v1, v1
	s_ashr_i32 s55, s12, 31
	s_add_i32 s8, s8, s5
	s_lshr_b32 s5, s55, 26
	v_mul_f32_e32 v1, 0x4f7ffffe, v1
	v_cvt_u32_f32_e32 v1, v1
	s_add_i32 s5, s12, s5
	s_ashr_i32 s58, s14, 31
	s_ashr_i32 s24, s8, 6
	;; [unrolled: 1-line block ×3, first 2 shown]
	s_xor_b32 s5, s7, s58
	s_sub_i32 s7, 0, s3
	v_readfirstlane_b32 s8, v1
	s_mul_i32 s7, s7, s8
	s_mul_hi_u32 s7, s8, s7
	s_add_i32 s8, s8, s7
	s_mul_hi_u32 s7, s4, s8
	s_mul_i32 s8, s7, s3
	s_sub_i32 s4, s4, s8
	s_lshl_b32 s2, s2, 4
	s_add_i32 s8, s7, 1
	s_sub_i32 s9, s4, s3
	s_cmp_ge_u32 s4, s3
	s_cselect_b32 s7, s8, s7
	s_cselect_b32 s4, s9, s4
	s_add_i32 s8, s7, 1
	s_cmp_ge_u32 s4, s3
	s_cselect_b32 s3, s8, s7
	s_xor_b32 s3, s3, s5
	s_sub_i32 s3, s3, s5
	s_abs_i32 s4, s3
	v_cvt_f32_u32_e32 v1, s4
	s_sub_i32 s7, 0, s4
	s_abs_i32 s5, s33
	s_xor_b32 s3, s33, s3
	v_rcp_iflag_f32_e32 v2, v1
	s_ashr_i32 s3, s3, 31
	v_lshrrev_b32_e32 v1, 6, v0
	v_or_b32_e32 v58, s2, v65
	v_mul_f32_e32 v2, 0x4f7ffffe, v2
	v_cvt_u32_f32_e32 v2, v2
	v_lshlrev_b32_e32 v53, 4, v1
	v_lshlrev_b32_e32 v54, 7, v58
	v_lshl_or_b32 v68, v64, 2, v53
	v_readfirstlane_b32 s8, v2
	s_mul_i32 s7, s7, s8
	s_mul_hi_u32 s7, s8, s7
	s_add_i32 s8, s8, s7
	s_mul_hi_u32 s7, s5, s8
	s_mul_i32 s8, s7, s4
	s_sub_i32 s5, s5, s8
	s_add_i32 s8, s7, 1
	s_sub_i32 s9, s5, s4
	s_cmp_ge_u32 s5, s4
	s_cselect_b32 s7, s8, s7
	s_cselect_b32 s5, s9, s5
	s_add_i32 s8, s7, 1
	s_cmp_ge_u32 s5, s4
	s_cselect_b32 s4, s8, s7
	s_xor_b32 s4, s4, s3
	s_sub_i32 s59, s4, s3
	s_ashr_i32 s3, s56, 31
	s_ashr_i32 s48, s33, 31
	s_mul_hi_i32 s4, s56, s13
	s_add_u32 s40, s6, s33
	s_addc_u32 s41, s4, s48
	s_lshl_b64 s[28:29], s[40:41], 16
	s_add_u32 s4, s18, s28
	s_addc_u32 s5, s19, s29
	v_ashrrev_i32_e32 v55, 31, v54
	v_lshl_add_u64 v[2:3], v[54:55], 2, s[4:5]
	v_lshlrev_b32_e32 v56, 2, v68
	v_lshl_add_u64 v[10:11], v[2:3], 0, v[56:57]
	global_load_dwordx4 v[6:9], v[10:11], off
	global_load_dwordx4 v[2:5], v[10:11], off offset:256
	s_load_dwordx2 s[18:19], s[0:1], 0x40
	s_load_dwordx8 s[4:11], s[0:1], 0x0
	s_load_dwordx2 s[30:31], s[0:1], 0x80
	s_load_dwordx4 s[20:23], s[0:1], 0x70
	v_and_b32_e32 v57, 63, v0
	s_mul_i32 s49, s56, s12
	s_mul_i32 s60, s56, s24
	v_or_b32_e32 v69, 64, v68
	s_cmp_lt_i32 s12, 64
	v_lshrrev_b32_e32 v67, 3, v57
	s_mul_i32 s61, s41, s12
	s_mul_hi_u32 s62, s40, s12
	s_mul_i32 s42, s40, s12
	s_waitcnt lgkmcnt(0)
	s_mul_i32 s41, s56, s21
	s_mul_hi_u32 s51, s56, s20
	s_mul_i32 s52, s3, s20
	s_mul_i32 s36, s56, s20
	s_mul_i32 s50, s33, s23
	s_mul_hi_u32 s53, s33, s22
	s_mul_i32 s54, s48, s22
	s_mul_i32 s34, s33, s22
	s_cbranch_scc1 .LBB666_18
; %bb.1:
	s_add_i32 s43, s62, s61
	s_lshl_b64 s[0:1], s[42:43], 8
	v_and_b32_e32 v71, 56, v66
	s_add_u32 s20, s6, s0
	v_lshl_or_b32 v70, v1, 3, v67
	v_lshlrev_b32_e32 v10, 1, v71
	s_addc_u32 s0, s7, s1
	v_lshl_or_b32 v72, v70, 8, v10
	s_and_b32 s21, s0, 0xffff
	s_mov_b32 s23, 0x20000
	s_movk_i32 s22, 0x4000
	s_movk_i32 s0, 0x80
	v_or_b32_e32 v73, 0x2000, v72
	buffer_load_dwordx4 v[12:15], v72, s[20:23], 0 offen
	buffer_load_dwordx4 v[16:19], v72, s[20:23], s0 offen
	;; [unrolled: 1-line block ×4, first 2 shown]
	v_lshlrev_b32_e32 v11, 3, v70
	v_and_or_b32 v29, v0, 7, v11
	v_and_b32_e32 v11, 0x78, v11
	v_lshlrev_b32_e32 v29, 4, v29
	v_xor_b32_e32 v74, v29, v11
	v_mul_lo_u32 v28, v70, s15
	v_or_b32_e32 v75, 0x1000, v74
	v_xor_b32_e32 v11, 8, v74
	s_cmpk_eq_i32 s15, 0x80
	s_mov_b32 s63, s14
	v_xor_b32_e32 v29, 8, v75
	s_cselect_b64 s[0:1], -1, 0
	s_cmpk_lg_i32 s15, 0x80
	s_waitcnt vmcnt(3)
	ds_write_b64 v74, v[12:13] offset:16384
	ds_write_b64 v11, v[14:15] offset:16384
	s_waitcnt vmcnt(2)
	ds_write_b64 v74, v[16:17] offset:24576
	ds_write_b64 v11, v[18:19] offset:24576
	s_waitcnt vmcnt(1)
	ds_write_b64 v74, v[20:21] offset:20480
	ds_write_b64 v29, v[22:23] offset:16384
	s_waitcnt vmcnt(0)
	ds_write_b64 v74, v[24:25] offset:28672
	ds_write_b64 v29, v[26:27] offset:24576
	v_lshl_add_u32 v11, v28, 1, v71
	s_cbranch_scc0 .LBB666_3
; %bb.2:
	v_lshlrev_b32_e32 v13, 1, v11
	v_add_lshl_u32 v12, v11, s15, 1
	s_lshl_b32 s22, s15, 7
	v_lshl_or_b32 v10, v70, 9, v10
	s_cbranch_execz .LBB666_4
	s_branch .LBB666_5
.LBB666_3:
                                        ; implicit-def: $vgpr12
                                        ; implicit-def: $vgpr13
                                        ; implicit-def: $sgpr22
	v_lshl_or_b32 v10, v70, 9, v10
.LBB666_4:
	v_or_b32_e32 v12, 0x100, v10
	s_movk_i32 s22, 0x4000
	v_mov_b32_e32 v13, v10
.LBB666_5:
	s_mul_hi_u32 s20, s14, s12
	s_mul_i32 s21, s58, s12
	s_add_i32 s20, s20, s21
	s_mul_i32 s21, s14, s12
	s_mul_i32 s23, s21, s3
	s_mul_hi_u32 s24, s21, s56
	s_add_i32 s23, s24, s23
	s_mul_i32 s20, s20, s56
	s_add_i32 s23, s23, s20
	s_mul_i32 s21, s21, s56
	s_ashr_i32 s64, s59, 31
	s_add_u32 s20, s21, s59
	s_addc_u32 s21, s23, s64
	s_lshl_b64 s[20:21], s[20:21], 8
	s_add_u32 s20, s4, s20
	s_addc_u32 s21, s5, s21
	s_and_b32 s21, s21, 0xffff
	s_mov_b32 s23, 0x20000
	s_movk_i32 s65, 0x80
	buffer_load_dwordx4 v[14:17], v13, s[20:23], 0 offen
	buffer_load_dwordx4 v[18:21], v13, s[20:23], s65 offen
	;; [unrolled: 1-line block ×4, first 2 shown]
	v_and_b32_e32 v12, 6, v0
	v_lshlrev_b32_e32 v30, 2, v65
	v_lshlrev_b32_e32 v31, 3, v65
	v_xor_b32_e32 v33, v70, v12
	v_and_b32_e32 v13, 1, v0
	s_mul_i32 s3, s3, s12
	s_mul_hi_u32 s20, s56, s12
	v_lshl_or_b32 v31, v68, 5, v31
	v_xor_b32_e32 v34, v68, v30
	v_lshlrev_b32_e32 v33, 2, v33
	v_or_b32_e32 v76, 0x9000, v31
	v_or_b32_e32 v77, 0x9800, v31
	v_lshlrev_b32_e32 v31, 1, v34
	v_xor_b32_e32 v34, 0x440, v33
	v_cmp_eq_u32_e32 vcc, 0, v13
	s_add_i32 s69, s20, s3
	s_add_i32 s3, s51, s41
	v_cndmask_b32_e32 v13, v34, v33, vcc
	s_add_i32 s20, s53, s50
	s_add_i32 s37, s3, s52
	s_mov_b32 s67, 0x1000504
	v_lshlrev_b32_e32 v32, 8, v65
	s_mov_b32 s22, 0x8000
	v_xor_b32_e32 v30, v69, v30
	v_lshl_or_b32 v12, v12, 10, v13
	s_add_i32 s35, s20, s54
	s_lshl_b64 s[20:21], s[36:37], 2
	s_mov_b32 s68, 0x3020706
	v_lshlrev_b32_e32 v30, 1, v30
	v_or3_b32 v78, v31, v32, s22
	v_xor_b32_e32 v13, 8, v12
	v_xor_b32_e32 v31, 24, v12
	;; [unrolled: 1-line block ×4, first 2 shown]
	s_add_u32 s3, s10, s20
	v_or3_b32 v79, v30, v32, s22
	v_xor_b32_e32 v30, 16, v12
	v_xor_b32_e32 v32, 32, v12
	;; [unrolled: 1-line block ×3, first 2 shown]
	v_add_u32_e32 v13, 0x80, v13
	v_add_u32_e32 v31, 0x80, v31
	;; [unrolled: 1-line block ×4, first 2 shown]
	s_addc_u32 s24, s11, s21
	s_lshl_b64 s[20:21], s[34:35], 2
	s_add_u32 s44, s3, s20
	s_movk_i32 s3, 0xf8
	s_addc_u32 s45, s24, s21
	v_ashrrev_i32_e32 v59, 31, v58
	s_lshl_b32 s26, s15, 7
	s_mov_b32 s66, 0
	s_mov_b32 s35, 0x7060302
	;; [unrolled: 1-line block ×3, first 2 shown]
	s_waitcnt vmcnt(1)
	v_perm_b32 v36, v14, v22, s67
	s_waitcnt vmcnt(0)
	v_perm_b32 v37, v18, v26, s67
	v_perm_b32 v14, v14, v22, s68
	;; [unrolled: 1-line block ×15, first 2 shown]
	ds_write2st64_b32 v12, v36, v37 offset1:32
	ds_write2st64_b32 v13, v14, v18 offset1:32
	ds_write2st64_b32 v30, v22, v26 offset0:1 offset1:33
	ds_write2st64_b32 v31, v15, v19 offset0:1 offset1:33
	;; [unrolled: 1-line block ×6, first 2 shown]
	v_or_b32_e32 v12, v53, v65
	v_lshlrev_b32_e32 v12, 3, v12
	v_lshrrev_b32_e32 v14, 5, v57
	v_and_or_b32 v14, v12, s3, v14
	v_lshlrev_b32_e32 v14, 4, v14
	v_lshrrev_b32_e32 v13, 2, v57
	v_lshlrev_b32_e32 v19, 11, v1
	v_and_b32_e32 v12, 0x78, v12
	v_or_b32_e32 v17, 32, v14
	v_and_b32_e32 v18, 12, v13
	v_and_b32_e32 v13, 0x1000, v19
	v_xor_b32_e32 v15, v14, v12
	v_lshrrev_b32_e32 v16, 1, v57
	v_xor_b32_e32 v17, v17, v12
	v_or_b32_e32 v15, v15, v13
	v_and_b32_e32 v16, 8, v16
	v_or_b32_e32 v17, v17, v13
	v_xor_b32_e32 v80, v15, v16
	v_and_b32_e32 v15, 0x78, v66
	v_xor_b32_e32 v82, v17, v16
	v_or_b32_e32 v17, 64, v14
	v_or_b32_e32 v14, 0x60, v14
	v_lshl_or_b32 v15, v64, 7, v15
	v_xor_b32_e32 v17, v17, v12
	v_xor_b32_e32 v12, v14, v12
	v_or_b32_e32 v81, 0x9000, v15
	v_or_b32_e32 v17, v17, v13
	v_or_b32_e32 v12, v12, v13
	v_or_b32_e32 v85, 0x9800, v15
	v_lshrrev_b32_e32 v14, 4, v0
	v_lshlrev_b32_e32 v15, 1, v65
	v_xor_b32_e32 v83, v17, v16
	v_xor_b32_e32 v84, v12, v16
	s_ashr_i32 s3, s2, 31
	v_or_b32_e32 v16, 1, v15
	v_xor_b32_e32 v15, v14, v15
	s_lshl_b64 s[20:21], s[2:3], 8
	v_xor_b32_e32 v16, v16, v14
	v_lshlrev_b32_e32 v15, 3, v15
	v_lshlrev_b32_e32 v14, 8, v14
	v_lshl_add_u64 v[12:13], v[58:59], 1, s[8:9]
	s_add_u32 s20, s38, s20
	v_or3_b32 v59, v15, v14, s22
	v_lshlrev_b32_e32 v15, 3, v16
	s_addc_u32 s21, s39, s21
	v_or3_b32 v86, v15, v14, s22
	v_mov_b32_e32 v15, 0
	v_lshrrev_b32_e32 v25, 1, v0
	v_lshl_add_u64 v[16:17], s[20:21], 0, v[14:15]
	v_lshlrev_b32_e32 v14, 4, v65
	s_movk_i32 s3, 0xff
	v_lshlrev_b32_e32 v24, 3, v1
	v_and_b32_e32 v25, 24, v25
	v_lshl_add_u64 v[60:61], v[16:17], 0, v[14:15]
	v_and_b32_e32 v14, 7, v0
	v_and_b32_e32 v17, 8, v0
	v_cmp_lt_u32_e32 vcc, s3, v0
	v_xor_b32_e32 v26, v24, v25
	v_lshlrev_b32_e32 v22, 3, v14
	v_lshlrev_b32_e32 v23, 7, v14
	v_cndmask_b32_e64 v14, 0, 1, vcc
	v_or_b32_e32 v27, 0x440, v26
	v_cmp_eq_u32_e32 vcc, 0, v17
	v_or_b32_e32 v29, 64, v25
	v_xor_b32_e32 v29, v24, v29
	v_cndmask_b32_e32 v17, v27, v26, vcc
	v_or_b32_e32 v27, 32, v25
	v_or_b32_e32 v25, 0x60, v25
	v_xor_b32_e32 v27, v24, v27
	v_xor_b32_e32 v24, v24, v25
	v_or_b32_e32 v28, 0x440, v27
	v_xor_b32_e32 v30, 0x440, v29
	v_xor_b32_e32 v25, 0x440, v24
	v_cndmask_b32_e32 v27, v28, v27, vcc
	v_cndmask_b32_e32 v29, v30, v29, vcc
	;; [unrolled: 1-line block ×3, first 2 shown]
	v_or_b32_e32 v17, v17, v19
	v_or_b32_e32 v27, v27, v19
	;; [unrolled: 1-line block ×4, first 2 shown]
	v_lshlrev_b32_e32 v14, 13, v14
	v_xor_b32_e32 v17, v17, v22
	v_xor_b32_e32 v27, v27, v22
	;; [unrolled: 1-line block ×4, first 2 shown]
	v_lshlrev_b32_e32 v20, 1, v11
	v_add_lshl_u32 v11, v11, s15, 1
	v_or_b32_e32 v21, 0x100, v10
	v_or_b32_e32 v16, v18, v53
	v_add_u32_e32 v26, v14, v17
	v_add_u32_e32 v28, v14, v27
	;; [unrolled: 1-line block ×4, first 2 shown]
	v_or3_b32 v18, v53, v18, 64
	v_add_u32_e32 v17, 0x2000, v17
	v_add_u32_e32 v24, 0x2000, v27
	;; [unrolled: 1-line block ×4, first 2 shown]
	v_lshlrev_b32_e32 v14, 8, v68
	v_cndmask_b32_e64 v87, v20, v10, s[0:1]
	v_cndmask_b32_e64 v88, v11, v21, s[0:1]
	v_lshl_add_u64 v[62:63], v[12:13], 0, v[14:15]
	s_add_i32 s3, s49, 63
	s_movk_i32 s22, 0x4000
	v_lshlrev_b32_e32 v89, 2, v16
	v_add_u32_e32 v90, v26, v23
	v_add_u32_e32 v91, v28, v23
	;; [unrolled: 1-line block ×4, first 2 shown]
	v_lshlrev_b32_e32 v94, 2, v18
	v_add_u32_e32 v95, v17, v23
	v_add_u32_e32 v96, v24, v23
	;; [unrolled: 1-line block ×4, first 2 shown]
	s_waitcnt lgkmcnt(0)
	s_barrier
.LBB666_6:                              ; =>This Inner Loop Header: Depth=1
	s_add_i32 s37, s70, 1
	s_cmp_lt_i32 s37, s57
	s_mov_b64 s[24:25], 0
	s_cselect_b64 s[46:47], -1, 0
	s_cmp_ge_i32 s37, s57
	s_mov_b64 s[20:21], 0
	s_cbranch_scc1 .LBB666_8
; %bb.7:                                ;   in Loop: Header=BB666_6 Depth=1
	s_add_i32 s0, s66, 64
	s_add_u32 s0, s42, s0
	s_addc_u32 s1, s43, 0
	s_lshl_b64 s[0:1], s[0:1], 8
	s_add_u32 s20, s6, s0
	s_addc_u32 s21, s7, s1
.LBB666_8:                              ;   in Loop: Header=BB666_6 Depth=1
	v_cndmask_b32_e64 v10, 0, 1, s[46:47]
	v_cmp_ne_u32_e64 s[0:1], 1, v10
	s_andn2_b64 vcc, exec, s[46:47]
	s_cbranch_vccnz .LBB666_10
; %bb.9:                                ;   in Loop: Header=BB666_6 Depth=1
	s_add_i32 s24, s66, 64
	s_add_u32 s24, s49, s24
	s_addc_u32 s25, s69, 0
	s_mul_i32 s27, s24, s58
	s_mul_hi_u32 s46, s24, s63
	s_add_i32 s27, s46, s27
	s_mul_i32 s25, s25, s63
	s_add_i32 s27, s27, s25
	s_mul_i32 s24, s24, s63
	s_add_u32 s24, s24, s59
	s_addc_u32 s25, s27, s64
	s_lshl_b64 s[24:25], s[24:25], 8
	s_add_u32 s24, s4, s24
	s_addc_u32 s25, s5, s25
.LBB666_10:                             ;   in Loop: Header=BB666_6 Depth=1
	v_perm_b32 v11, v9, v8, s35
	v_perm_b32 v10, v7, v6, s35
	;; [unrolled: 1-line block ×4, first 2 shown]
	ds_write_b64 v76, v[10:11]
	ds_write_b64 v77, v[12:13]
	;; [unrolled: 1-line block ×4, first 2 shown]
	s_waitcnt lgkmcnt(0)
	s_barrier
	ds_read_b64 v[18:19], v80 offset:16384
	ds_read_b64 v[20:21], v82 offset:16384
	ds_read2st64_b64 v[10:13], v81 offset1:1
	ds_read2st64_b64 v[14:17], v81 offset0:2 offset1:3
	ds_read_b64 v[22:23], v83 offset:16384
	s_waitcnt lgkmcnt(2)
	v_mfma_f32_16x16x16_bf16 a[0:3], v[18:19], v[10:11], 0
	ds_read_b64 v[10:11], v84 offset:16384
	s_add_i32 s27, s66, 63
	s_mul_i32 s46, s27, s31
	v_mfma_f32_16x16x16_bf16 a[0:3], v[20:21], v[12:13], a[0:3]
	s_mul_hi_u32 s47, s27, s30
	s_add_i32 s47, s47, s46
	s_mul_i32 s46, s27, s30
	s_waitcnt lgkmcnt(1)
	v_mfma_f32_16x16x16_bf16 a[0:3], v[22:23], v[14:15], a[0:3]
	s_lshl_b64 s[46:47], s[46:47], 2
	s_add_u32 s46, s44, s46
	s_addc_u32 s47, s45, s47
	s_waitcnt lgkmcnt(0)
	v_mfma_f32_16x16x16_bf16 a[0:3], v[10:11], v[16:17], a[0:3]
	s_and_b64 vcc, exec, s[0:1]
	v_mov_b32_e32 v101, 0
	v_mov_b32_e32 v100, 0
	;; [unrolled: 1-line block ×19, first 2 shown]
	s_cbranch_vccnz .LBB666_12
; %bb.11:                               ;   in Loop: Header=BB666_6 Depth=1
	s_and_b32 s21, s21, 0xffff
	buffer_load_dwordx4 v[22:25], v72, s[20:23], 0 offen
	buffer_load_dwordx4 v[18:21], v72, s[20:23], s65 offen
	;; [unrolled: 1-line block ×4, first 2 shown]
	v_mov_b32_e32 v100, v74
	v_mov_b32_e32 v99, v75
.LBB666_12:                             ;   in Loop: Header=BB666_6 Depth=1
	v_add_u32_e32 v32, s66, v68
	v_ashrrev_i32_e32 v26, 31, v32
	v_mul_lo_u32 v28, v26, s30
	v_mul_lo_u32 v29, v32, s31
	v_mad_u64_u32 v[26:27], s[20:21], v32, s30, 0
	v_add3_u32 v27, v27, v29, v28
	v_add_u32_e32 v28, 1, v32
	v_ashrrev_i32_e32 v29, 31, v28
	v_mul_lo_u32 v30, v29, s30
	v_mul_lo_u32 v31, v28, s31
	v_mad_u64_u32 v[28:29], s[20:21], v28, s30, 0
	v_add3_u32 v29, v29, v31, v30
	v_add_u32_e32 v30, 2, v32
	v_ashrrev_i32_e32 v31, 31, v30
	v_mul_lo_u32 v33, v31, s30
	v_mul_lo_u32 v34, v30, s31
	v_mad_u64_u32 v[30:31], s[20:21], v30, s30, 0
	v_add_u32_e32 v32, 3, v32
	v_add3_u32 v31, v31, v34, v33
	v_ashrrev_i32_e32 v33, 31, v32
	v_mul_lo_u32 v36, v33, s30
	v_mul_lo_u32 v37, v32, s31
	v_mad_u64_u32 v[32:33], s[20:21], v32, s30, 0
	s_add_u32 s20, s42, s66
	s_addc_u32 s21, s43, 0
	s_lshl_b64 s[20:21], s[20:21], 8
	v_lshl_add_u64 v[26:27], v[26:27], 2, s[44:45]
	v_lshl_add_u64 v[34:35], v[62:63], 0, s[20:21]
	;; [unrolled: 1-line block ×3, first 2 shown]
	global_load_ushort v50, v[34:35], off
	global_load_ushort v51, v[34:35], off offset:256
	global_load_ushort v52, v[34:35], off offset:512
	;; [unrolled: 1-line block ×3, first 2 shown]
	v_add3_u32 v33, v33, v37, v36
	global_load_dword v104, v[26:27], off
	v_lshl_add_u64 v[30:31], v[30:31], 2, s[44:45]
	v_lshl_add_u64 v[26:27], v[32:33], 2, s[44:45]
	global_load_dword v105, v[28:29], off
	global_load_dword v106, v[30:31], off
	;; [unrolled: 1-line block ×3, first 2 shown]
	s_load_dword s20, s[46:47], 0x0
	ds_read2st64_b64 v[34:37], v85 offset1:1
	ds_read2st64_b64 v[40:43], v85 offset0:2 offset1:3
	ds_read_b64 v[38:39], v80 offset:24576
	ds_read_b64 v[44:45], v82 offset:24576
	;; [unrolled: 1-line block ×4, first 2 shown]
	s_waitcnt lgkmcnt(0)
	v_mfma_f32_16x16x16_bf16 a[0:3], v[38:39], v[34:35], a[0:3]
	v_mov_b32_e32 v102, 0
	v_mov_b32_e32 v26, 0
	v_mov_b32_e32 v27, 0
	v_mfma_f32_16x16x16_bf16 a[0:3], v[44:45], v[36:37], a[0:3]
	v_mov_b32_e32 v28, 0
	v_mov_b32_e32 v29, 0
	v_mov_b32_e32 v30, 0
	;; [unrolled: 4-line block ×4, first 2 shown]
	v_mov_b32_e32 v37, 0
	v_mov_b32_e32 v38, 0
	;; [unrolled: 1-line block ×4, first 2 shown]
	v_accvgpr_read_b32 v45, a1
	v_accvgpr_read_b32 v43, a3
	;; [unrolled: 1-line block ×4, first 2 shown]
	s_and_b64 vcc, exec, s[0:1]
	s_waitcnt vmcnt(7)
	v_lshlrev_b32_e32 v46, 16, v50
	s_waitcnt vmcnt(6)
	v_lshlrev_b32_e32 v47, 16, v51
	;; [unrolled: 2-line block ×4, first 2 shown]
	v_pk_add_f32 v[44:45], v[46:47], v[44:45] neg_lo:[0,1] neg_hi:[0,1]
	s_waitcnt vmcnt(3)
	v_sub_f32_e32 v41, s20, v104
	v_exp_f32_e32 v50, v41
	s_waitcnt vmcnt(2)
	v_sub_f32_e32 v41, s20, v105
	s_waitcnt vmcnt(1)
	v_sub_f32_e32 v52, s20, v106
	s_waitcnt vmcnt(0)
	v_sub_f32_e32 v103, s20, v107
	v_exp_f32_e32 v51, v41
	v_exp_f32_e32 v104, v52
	;; [unrolled: 1-line block ×3, first 2 shown]
	v_pk_add_f32 v[42:43], v[48:49], v[42:43] neg_lo:[0,1] neg_hi:[0,1]
	v_pk_mul_f32 v[44:45], v[50:51], v[44:45]
	v_mov_b32_e32 v41, 0
	v_pk_mul_f32 v[42:43], v[104:105], v[42:43]
	s_nop 0
	v_perm_b32 v43, v43, v42, s35
	v_perm_b32 v42, v45, v44, s35
	ds_write_b64 v77, v[42:43]
	s_cbranch_vccnz .LBB666_14
; %bb.13:                               ;   in Loop: Header=BB666_6 Depth=1
	s_and_b32 s25, s25, 0xffff
	s_mov_b32 s27, s23
	buffer_load_dwordx4 v[38:41], v87, s[24:27], 0 offen
	buffer_load_dwordx4 v[30:33], v87, s[24:27], s65 offen
	;; [unrolled: 1-line block ×4, first 2 shown]
	v_mov_b32_e32 v101, v71
	v_mov_b32_e32 v102, v70
.LBB666_14:                             ;   in Loop: Header=BB666_6 Depth=1
	s_waitcnt lgkmcnt(0)
	s_barrier
	ds_read_b64 v[42:43], v90
	ds_read_b64 v[48:49], v91
	ds_read2st64_b64 v[44:47], v85 offset1:1
	ds_read2st64_b64 v[104:107], v85 offset0:2 offset1:3
	ds_read_b64 v[50:51], v92
	ds_read_b64 v[112:113], v93
	s_add_i32 s21, s60, s70
	s_mul_hi_i32 s25, s21, s13
	s_mul_i32 s21, s21, s13
	s_waitcnt lgkmcnt(3)
	v_mfma_f32_16x16x16_bf16 a[0:3], v[42:43], v[44:45], 0
	ds_read_b64 v[42:43], v95
	s_add_u32 s24, s21, s33
	s_addc_u32 s25, s25, s48
	s_add_i32 s21, s3, s66
	v_mfma_f32_16x16x16_bf16 a[0:3], v[48:49], v[46:47], a[0:3]
	ds_read_b64 v[48:49], v96
	s_lshl_b64 s[24:25], s[24:25], 15
	s_mul_hi_i32 s27, s21, s13
	s_mul_i32 s21, s21, s13
	s_add_u32 s46, s21, s33
	s_addc_u32 s47, s27, s48
	s_lshl_b64 s[46:47], s[46:47], 9
	s_add_u32 s46, s16, s46
	s_waitcnt lgkmcnt(1)
	v_mfma_f32_16x16x16_bf16 a[4:7], v[42:43], v[44:45], 0
	s_addc_u32 s47, s17, s47
	s_and_b64 vcc, exec, s[0:1]
	v_mfma_f32_16x16x16_bf16 a[0:3], v[50:51], v[104:105], a[0:3]
	ds_read_b64 v[50:51], v97
	ds_read_b64 v[114:115], v98
	global_load_dwordx4 v[42:45], v94, s[46:47]
	s_waitcnt lgkmcnt(2)
	v_mfma_f32_16x16x16_bf16 a[4:7], v[48:49], v[46:47], a[4:7]
	global_load_dwordx4 v[46:49], v89, s[46:47]
	ds_read_b64 v[108:109], v59
	ds_read_b64 v[110:111], v86
	s_waitcnt lgkmcnt(3)
	v_mfma_f32_16x16x16_bf16 a[8:11], v[50:51], v[104:105], a[4:7]
	v_lshl_add_u64 v[50:51], v[60:61], 0, s[24:25]
	s_waitcnt lgkmcnt(0)
	global_store_dwordx4 v[50:51], v[108:111], off
	v_mfma_f32_16x16x16_bf16 a[4:7], v[112:113], v[106:107], a[0:3]
	s_waitcnt vmcnt(2)
	v_mov_b32_e32 v52, v45
	v_mfma_f32_16x16x16_bf16 a[0:3], v[114:115], v[106:107], a[8:11]
	v_mov_b32_e32 v51, v44
	v_mov_b32_e32 v50, v43
	s_cbranch_vccnz .LBB666_16
; %bb.15:                               ;   in Loop: Header=BB666_6 Depth=1
	v_lshrrev_b32_e32 v43, 3, v101
	v_and_b32_e32 v43, 6, v43
	v_xor_b32_e32 v44, v43, v102
	v_lshlrev_b32_e32 v44, 2, v44
	v_and_b32_e32 v45, 8, v101
	v_xor_b32_e32 v101, 0x440, v44
	v_cmp_eq_u32_e32 vcc, 0, v45
	v_perm_b32 v45, v30, v26, s67
	s_nop 0
	v_cndmask_b32_e32 v44, v101, v44, vcc
	v_lshl_or_b32 v43, v43, 10, v44
	v_perm_b32 v44, v38, v34, s67
	s_barrier
	ds_write2st64_b32 v43, v44, v45 offset1:32
	v_xor_b32_e32 v44, 8, v43
	v_perm_b32 v34, v38, v34, s68
	v_perm_b32 v26, v30, v26, s68
	v_add_u32_e32 v30, 0x80, v44
	ds_write2st64_b32 v30, v34, v26 offset1:32
	v_xor_b32_e32 v26, 16, v43
	v_perm_b32 v30, v39, v35, s67
	v_perm_b32 v34, v31, v27, s67
	ds_write2st64_b32 v26, v30, v34 offset0:1 offset1:33
	v_xor_b32_e32 v26, 24, v43
	v_perm_b32 v30, v39, v35, s68
	v_perm_b32 v27, v31, v27, s68
	v_add_u32_e32 v26, 0x80, v26
	ds_write2st64_b32 v26, v30, v27 offset0:1 offset1:33
	v_xor_b32_e32 v26, 32, v43
	v_perm_b32 v27, v40, v36, s67
	v_perm_b32 v30, v32, v28, s67
	ds_write2st64_b32 v26, v27, v30 offset0:2 offset1:34
	v_xor_b32_e32 v26, 40, v43
	v_perm_b32 v27, v40, v36, s68
	v_perm_b32 v28, v32, v28, s68
	v_add_u32_e32 v26, 0x80, v26
	ds_write2st64_b32 v26, v27, v28 offset0:2 offset1:34
	v_xor_b32_e32 v26, 48, v43
	v_perm_b32 v27, v41, v37, s67
	v_perm_b32 v28, v33, v29, s67
	ds_write2st64_b32 v26, v27, v28 offset0:3 offset1:35
	v_xor_b32_e32 v26, 56, v43
	v_perm_b32 v27, v41, v37, s68
	v_perm_b32 v28, v33, v29, s68
	v_add_u32_e32 v26, 0x80, v26
	ds_write2st64_b32 v26, v27, v28 offset0:3 offset1:35
	ds_write_b64 v100, v[22:23] offset:16384
	v_xor_b32_e32 v22, 8, v100
	ds_write_b64 v22, v[24:25] offset:16384
	ds_write_b64 v100, v[18:19] offset:24576
	;; [unrolled: 1-line block ×4, first 2 shown]
	v_xor_b32_e32 v14, 8, v99
	ds_write_b64 v14, v[16:17] offset:16384
	ds_write_b64 v99, v[10:11] offset:24576
	;; [unrolled: 1-line block ×3, first 2 shown]
.LBB666_16:                             ;   in Loop: Header=BB666_6 Depth=1
	v_exp_f32_e32 v18, s20
	s_waitcnt vmcnt(1)
	v_exp_f32_e32 v20, v46
	v_exp_f32_e32 v21, v47
	;; [unrolled: 1-line block ×4, first 2 shown]
	v_accvgpr_read_b32 v13, a7
	v_accvgpr_read_b32 v11, a5
	;; [unrolled: 1-line block ×3, first 2 shown]
	v_pk_mul_f32 v[20:21], v[18:19], v[20:21] op_sel_hi:[0,1]
	v_pk_fma_f32 v[6:7], v[6:7], v[20:21], v[10:11]
	v_exp_f32_e32 v20, v42
	v_exp_f32_e32 v21, v50
	v_pk_mul_f32 v[10:11], v[18:19], v[22:23] op_sel_hi:[0,1]
	v_exp_f32_e32 v22, v51
	v_exp_f32_e32 v23, v52
	v_accvgpr_read_b32 v12, a6
	v_accvgpr_read_b32 v17, a3
	;; [unrolled: 1-line block ×4, first 2 shown]
	v_pk_fma_f32 v[8:9], v[8:9], v[10:11], v[12:13]
	v_pk_mul_f32 v[10:11], v[18:19], v[20:21] op_sel_hi:[0,1]
	v_accvgpr_read_b32 v16, a2
	v_pk_fma_f32 v[2:3], v[2:3], v[10:11], v[14:15]
	v_pk_mul_f32 v[10:11], v[18:19], v[22:23] op_sel_hi:[0,1]
	s_add_i32 s66, s66, 64
	s_cmp_eq_u32 s57, s37
	v_pk_fma_f32 v[4:5], v[4:5], v[10:11], v[16:17]
	s_cbranch_scc1 .LBB666_18
; %bb.17:                               ;   in Loop: Header=BB666_6 Depth=1
	s_mov_b32 s70, s37
	s_branch .LBB666_6
.LBB666_18:
	s_lshl_b32 s43, s57, 6
	s_sub_i32 s46, s12, s43
	s_cmp_gt_i32 s46, 0
	s_cbranch_scc0 .LBB666_75
; %bb.19:
	s_ashr_i32 s3, s43, 31
	s_cmpk_lg_i32 s15, 0x80
	s_cselect_b64 s[26:27], -1, 0
	s_and_b64 vcc, exec, s[26:27]
	s_cbranch_vccz .LBB666_21
; %bb.20:
	s_mul_hi_i32 s0, s56, s12
	s_add_u32 s1, s49, s43
	s_addc_u32 s0, s0, s3
	s_mul_i32 s20, s1, s58
	s_mul_hi_u32 s21, s1, s14
	s_add_i32 s20, s21, s20
	s_mul_i32 s0, s0, s14
	s_add_i32 s20, s20, s0
	s_mul_i32 s1, s1, s14
	s_ashr_i32 s0, s59, 31
	s_add_u32 s44, s1, s59
	s_addc_u32 s45, s20, s0
	s_cbranch_execz .LBB666_22
	s_branch .LBB666_23
.LBB666_21:
                                        ; implicit-def: $sgpr44_sgpr45
.LBB666_22:
	s_mul_hi_i32 s0, s56, s14
	s_mul_i32 s56, s56, s14
	s_ashr_i32 s1, s59, 31
	s_add_u32 s14, s56, s59
	s_addc_u32 s0, s0, s1
	s_mul_i32 s1, s14, s55
	s_mul_hi_u32 s20, s14, s12
	s_add_i32 s1, s20, s1
	s_mul_i32 s0, s0, s12
	s_add_i32 s1, s1, s0
	s_mul_i32 s14, s14, s12
	s_add_u32 s44, s14, s43
	s_addc_u32 s45, s1, s3
.LBB666_23:
	s_mul_i32 s0, s40, s55
	s_add_i32 s0, s62, s0
	s_add_i32 s14, s60, s57
	;; [unrolled: 1-line block ×3, first 2 shown]
	s_add_u32 s0, s42, s43
	s_addc_u32 s1, s1, s3
	s_mov_b32 s3, 0x7060302
	v_lshlrev_b32_e32 v14, 3, v65
	s_lshl_b64 s[24:25], s[0:1], 8
	s_waitcnt vmcnt(1)
	v_perm_b32 v11, v9, v8, s3
	v_perm_b32 v10, v7, v6, s3
	s_waitcnt vmcnt(0)
	v_perm_b32 v13, v5, v4, s3
	v_perm_b32 v12, v3, v2, s3
	v_lshlrev_b32_e32 v42, 2, v65
	v_lshl_or_b32 v14, v68, 5, v14
	s_add_u32 s0, s6, s24
	ds_write2st64_b64 v14, v[10:11], v[12:13] offset0:72 offset1:76
	v_xor_b32_e32 v14, v68, v42
	v_lshlrev_b32_e32 v15, 8, v65
	s_addc_u32 s1, s7, s25
	v_lshl_or_b32 v14, v14, 1, v15
	s_mul_hi_i32 s3, s14, s13
	s_mul_i32 s14, s14, s13
	ds_write_b64 v14, v[10:11] offset:32768
	v_xor_b32_e32 v10, v69, v42
	s_add_u32 s6, s14, s33
	v_lshl_or_b32 v10, v10, 1, v15
	s_addc_u32 s7, s3, s48
	v_lshlrev_b32_e32 v11, 1, v65
	ds_write_b64 v10, v[12:13] offset:32768
	v_lshrrev_b32_e32 v10, 4, v0
	s_ashr_i32 s3, s2, 31
	s_lshl_b64 s[6:7], s[6:7], 15
	v_or_b32_e32 v12, 1, v11
	s_add_u32 s6, s38, s6
	v_xor_b32_e32 v11, v10, v11
	v_xor_b32_e32 v12, v12, v10
	v_lshlrev_b32_e32 v14, 8, v10
	s_addc_u32 s7, s39, s7
	s_lshl_b64 s[2:3], s[2:3], 8
	v_lshl_or_b32 v10, v11, 3, v14
	v_lshl_or_b32 v12, v12, 3, v14
	s_waitcnt lgkmcnt(0)
	s_barrier
	s_add_u32 s2, s6, s2
	ds_read_b64 v[10:11], v10 offset:32768
	ds_read_b64 v[12:13], v12 offset:32768
	s_addc_u32 s3, s7, s3
	v_mov_b32_e32 v15, 0
	s_cmp_lg_u32 s46, 64
	v_lshl_add_u64 v[16:17], s[2:3], 0, v[14:15]
	v_lshlrev_b32_e32 v14, 4, v65
	s_cselect_b64 s[6:7], -1, 0
	v_lshl_or_b32 v44, v1, 3, v67
	s_mov_b32 s20, 0
	v_lshl_add_u64 v[14:15], v[16:17], 0, v[14:15]
	v_or_b32_e32 v27, 32, v44
	v_and_b32_e32 v26, 56, v66
	s_and_b64 vcc, exec, s[6:7]
	s_waitcnt lgkmcnt(0)
	global_store_dwordx4 v[14:15], v[10:13], off
	s_cbranch_vccz .LBB666_29
; %bb.24:
	s_mov_b32 s21, s20
	s_mov_b32 s22, s20
	;; [unrolled: 1-line block ×3, first 2 shown]
	v_mov_b64_e32 v[14:15], s[20:21]
	v_mov_b64_e32 v[16:17], s[22:23]
	;; [unrolled: 1-line block ×3, first 2 shown]
	v_cmp_gt_i32_e32 vcc, s46, v44
	v_mov_b64_e32 v[12:13], v[16:17]
	s_and_saveexec_b64 s[2:3], vcc
	s_cbranch_execz .LBB666_26
; %bb.25:
	v_lshlrev_b32_e32 v10, 8, v44
	v_mov_b32_e32 v11, 0
	v_lshl_add_u64 v[12:13], s[0:1], 0, v[10:11]
	v_lshlrev_b32_e32 v10, 1, v26
	v_lshl_add_u64 v[18:19], v[12:13], 0, v[10:11]
	global_load_dwordx4 v[14:17], v[18:19], off
	global_load_dwordx4 v[10:13], v[18:19], off offset:128
.LBB666_26:
	s_or_b64 exec, exec, s[2:3]
	s_mov_b32 s22, s20
	s_mov_b32 s23, s20
	;; [unrolled: 1-line block ×3, first 2 shown]
	v_mov_b64_e32 v[24:25], s[22:23]
	v_mov_b64_e32 v[22:23], s[20:21]
	;; [unrolled: 1-line block ×3, first 2 shown]
	v_cmp_gt_i32_e32 vcc, s46, v27
	v_lshlrev_b32_e32 v28, 7, v27
	v_mov_b64_e32 v[20:21], v[24:25]
	s_and_saveexec_b64 s[2:3], vcc
	s_cbranch_execz .LBB666_28
; %bb.27:
	v_lshlrev_b32_e32 v18, 1, v28
	v_mov_b32_e32 v19, 0
	v_lshl_add_u64 v[20:21], s[0:1], 0, v[18:19]
	v_lshlrev_b32_e32 v18, 1, v26
	v_lshl_add_u64 v[30:31], v[20:21], 0, v[18:19]
	global_load_dwordx4 v[22:25], v[30:31], off
	global_load_dwordx4 v[18:21], v[30:31], off offset:128
.LBB666_28:
	s_or_b64 exec, exec, s[2:3]
	v_lshrrev_b32_e32 v29, 3, v26
	v_lshlrev_b32_e32 v30, 3, v44
	v_or_b32_e32 v29, v30, v29
	v_lshlrev_b32_e32 v29, 4, v29
	v_and_b32_e32 v30, 0x78, v30
	v_xor_b32_e32 v29, v29, v30
	s_branch .LBB666_31
.LBB666_29:
                                        ; implicit-def: $vgpr29
                                        ; implicit-def: $vgpr28
                                        ; implicit-def: $vgpr14_vgpr15_vgpr16_vgpr17
                                        ; implicit-def: $vgpr10_vgpr11_vgpr12_vgpr13
                                        ; implicit-def: $vgpr22_vgpr23_vgpr24_vgpr25
                                        ; implicit-def: $vgpr18_vgpr19_vgpr20_vgpr21
	s_cbranch_execz .LBB666_31
; %bb.30:
	s_waitcnt vmcnt(0)
	v_lshlrev_b32_e32 v10, 1, v26
	v_lshl_or_b32 v28, v44, 8, v10
	s_and_b32 s1, s1, 0xffff
	s_mov_b32 s3, 0x20000
	s_movk_i32 s2, 0x4000
	v_lshl_or_b32 v29, v27, 8, v10
	s_movk_i32 s14, 0x80
	buffer_load_dwordx4 v[14:17], v28, s[0:3], 0 offen
	buffer_load_dwordx4 v[10:13], v28, s[0:3], s14 offen
	;; [unrolled: 1-line block ×4, first 2 shown]
	v_lshrrev_b32_e32 v28, 3, v26
	v_lshlrev_b32_e32 v29, 3, v44
	v_or_b32_e32 v28, v29, v28
	v_lshlrev_b32_e32 v28, 4, v28
	v_and_b32_e32 v29, 0x78, v29
	v_xor_b32_e32 v29, v28, v29
	v_lshlrev_b32_e32 v28, 7, v27
.LBB666_31:
	s_lshl_b64 s[0:1], s[44:45], 8
	s_add_u32 s4, s4, s0
	s_movk_i32 s0, 0x1000
	v_and_or_b32 v27, v28, s0, v29
	s_waitcnt vmcnt(1)
	ds_write_b64 v29, v[14:15] offset:16384
	v_xor_b32_e32 v14, 8, v29
	ds_write_b64 v14, v[16:17] offset:16384
	s_waitcnt vmcnt(0)
	ds_write_b64 v29, v[10:11] offset:24576
	ds_write_b64 v14, v[12:13] offset:24576
	;; [unrolled: 1-line block ×3, first 2 shown]
	v_xor_b32_e32 v10, 8, v27
	ds_write_b64 v10, v[24:25] offset:16384
	ds_write_b64 v27, v[18:19] offset:24576
	;; [unrolled: 1-line block ×3, first 2 shown]
	v_or_b32_e32 v10, v53, v65
	s_addc_u32 s5, s5, s1
	s_add_i32 s14, s12, -1
	v_lshlrev_b32_e32 v10, 3, v10
	v_lshrrev_b32_e32 v12, 5, v57
	s_movk_i32 s12, 0xf8
	v_and_or_b32 v12, v10, s12, v12
	v_lshlrev_b32_e32 v43, 11, v1
	v_lshlrev_b32_e32 v20, 4, v12
	v_and_b32_e32 v21, 0x78, v10
	v_and_b32_e32 v22, 0x1000, v43
	v_lshlrev_b32_e32 v11, 2, v0
	v_xor_b32_e32 v10, v20, v21
	v_lshrrev_b32_e32 v12, 1, v57
	v_and_b32_e32 v11, 60, v11
	v_or_b32_e32 v10, v10, v22
	v_and_b32_e32 v23, 8, v12
	v_xor_b32_e32 v34, v10, v23
	v_lshl_or_b32 v10, v64, 6, v11
	v_lshlrev_b32_e32 v45, 1, v10
	v_or_b32_e32 v10, 32, v20
	v_xor_b32_e32 v10, v10, v21
	s_waitcnt lgkmcnt(0)
	s_barrier
	ds_read_b64 v[18:19], v34 offset:16384
	v_or_b32_e32 v10, v10, v22
	v_xor_b32_e32 v35, v10, v23
	v_or_b32_e32 v10, 64, v20
	v_xor_b32_e32 v10, v10, v21
	v_or_b32_e32 v10, v10, v22
	v_or_b32_e32 v20, 0x60, v20
	v_xor_b32_e32 v36, v10, v23
	ds_read2st64_b64 v[10:13], v45 offset0:72 offset1:73
	ds_read2st64_b64 v[14:17], v45 offset0:74 offset1:75
	v_xor_b32_e32 v24, v20, v21
	ds_read_b64 v[20:21], v35 offset:16384
	s_add_i32 s0, s51, s41
	s_waitcnt lgkmcnt(2)
	v_mfma_f32_16x16x16_bf16 a[0:3], v[18:19], v[10:11], 0
	s_add_i32 s37, s0, s52
	s_add_i32 s0, s53, s50
	;; [unrolled: 1-line block ×3, first 2 shown]
	s_ashr_i32 s0, s14, 31
	s_mul_i32 s1, s14, s31
	s_mul_hi_u32 s2, s14, s30
	s_add_i32 s1, s2, s1
	s_mul_i32 s0, s0, s30
	v_or_b32_e32 v22, v24, v22
	s_add_i32 s1, s1, s0
	s_lshl_b64 s[2:3], s[36:37], 2
	v_xor_b32_e32 v46, v22, v23
	ds_read_b64 v[22:23], v36 offset:16384
	ds_read_b64 v[24:25], v46 offset:16384
	s_waitcnt lgkmcnt(2)
	v_mfma_f32_16x16x16_bf16 a[0:3], v[20:21], v[12:13], a[0:3]
	s_add_u32 s10, s10, s2
	s_addc_u32 s11, s11, s3
	s_lshl_b64 s[2:3], s[34:35], 2
	s_mul_i32 s0, s14, s30
	s_add_u32 s10, s10, s2
	s_addc_u32 s11, s11, s3
	s_lshl_b64 s[0:1], s[0:1], 2
	s_waitcnt lgkmcnt(1)
	v_mfma_f32_16x16x16_bf16 a[0:3], v[22:23], v[14:15], a[0:3]
	s_add_u32 s0, s10, s0
	s_addc_u32 s1, s11, s1
	s_load_dword s12, s[0:1], 0x0
	s_waitcnt lgkmcnt(0)
	v_mfma_f32_16x16x16_bf16 a[0:3], v[24:25], v[16:17], a[0:3]
	s_and_b64 vcc, exec, s[26:27]
	s_cbranch_vccz .LBB666_42
; %bb.32:
	v_lshlrev_b32_e32 v27, 1, v44
	s_and_b64 vcc, exec, s[6:7]
	s_cbranch_vccz .LBB666_43
; %bb.33:
	v_cmp_gt_i32_e32 vcc, s46, v27
	v_mov_b32_e32 v14, 0
	v_mov_b32_e32 v10, 0
	;; [unrolled: 1-line block ×5, first 2 shown]
	s_and_saveexec_b64 s[0:1], vcc
	s_cbranch_execz .LBB666_35
; %bb.34:
	v_mad_i64_i32 v[10:11], s[2:3], s15, v27, 0
	v_lshl_add_u64 v[10:11], v[10:11], 1, s[4:5]
	v_lshlrev_b32_e32 v12, 1, v26
	v_mov_b32_e32 v13, 0
	v_lshl_add_u64 v[10:11], v[10:11], 0, v[12:13]
	global_load_dwordx4 v[10:13], v[10:11], off
.LBB666_35:
	s_or_b64 exec, exec, s[0:1]
	v_or_b32_e32 v28, 1, v27
	v_cmp_gt_i32_e64 s[0:1], s46, v28
	v_mov_b32_e32 v15, 0
	v_mov_b32_e32 v16, 0
	;; [unrolled: 1-line block ×3, first 2 shown]
	s_and_saveexec_b64 s[2:3], s[0:1]
	s_cbranch_execz .LBB666_37
; %bb.36:
	v_mad_i64_i32 v[14:15], s[20:21], s15, v28, 0
	v_lshl_add_u64 v[14:15], v[14:15], 1, s[4:5]
	v_lshlrev_b32_e32 v16, 1, v26
	v_mov_b32_e32 v17, 0
	v_lshl_add_u64 v[14:15], v[14:15], 0, v[16:17]
	global_load_dwordx4 v[14:17], v[14:15], off
.LBB666_37:
	s_or_b64 exec, exec, s[2:3]
	v_mov_b32_e32 v25, 0
	v_mov_b32_e32 v18, 0
	;; [unrolled: 1-line block ×5, first 2 shown]
	s_and_saveexec_b64 s[2:3], vcc
	s_cbranch_execz .LBB666_39
; %bb.38:
	v_mad_i64_i32 v[18:19], s[20:21], s15, v27, 0
	v_lshl_add_u64 v[18:19], v[18:19], 1, s[4:5]
	v_lshlrev_b32_e32 v20, 1, v26
	v_mov_b32_e32 v21, 0
	v_lshl_add_u64 v[18:19], v[18:19], 0, v[20:21]
	global_load_dwordx4 v[18:21], v[18:19], off offset:128
.LBB666_39:
	s_or_b64 exec, exec, s[2:3]
	v_mov_b32_e32 v24, 0
	v_mov_b32_e32 v23, 0
	;; [unrolled: 1-line block ×3, first 2 shown]
	s_and_saveexec_b64 s[2:3], s[0:1]
	s_cbranch_execz .LBB666_41
; %bb.40:
	v_mad_i64_i32 v[22:23], s[0:1], s15, v28, 0
	v_lshl_add_u64 v[22:23], v[22:23], 1, s[4:5]
	v_lshlrev_b32_e32 v24, 1, v26
	v_mov_b32_e32 v25, 0
	v_lshl_add_u64 v[22:23], v[22:23], 0, v[24:25]
	global_load_dwordx4 v[22:25], v[22:23], off offset:128
.LBB666_41:
	s_or_b64 exec, exec, s[2:3]
	s_branch .LBB666_45
.LBB666_42:
                                        ; implicit-def: $vgpr13
                                        ; implicit-def: $vgpr17
                                        ; implicit-def: $vgpr21
                                        ; implicit-def: $vgpr25
	v_lshrrev_b32_e32 v27, 2, v57
	s_branch .LBB666_46
.LBB666_43:
                                        ; implicit-def: $vgpr13
                                        ; implicit-def: $vgpr17
                                        ; implicit-def: $vgpr21
                                        ; implicit-def: $vgpr25
	s_cbranch_execz .LBB666_45
; %bb.44:
	s_waitcnt vmcnt(0)
	v_mad_u64_u32 v[10:11], s[0:1], v27, s15, v[26:27]
	v_lshlrev_b32_e32 v27, 1, v10
	s_lshl_b32 s2, s15, 7
	s_and_b32 s1, s5, 0xffff
	s_mov_b32 s3, 0x20000
	s_mov_b32 s0, s4
	v_add_lshl_u32 v28, v10, s15, 1
	s_movk_i32 s15, 0x80
	buffer_load_dwordx4 v[10:13], v27, s[0:3], 0 offen
	buffer_load_dwordx4 v[18:21], v27, s[0:3], s15 offen
	;; [unrolled: 1-line block ×4, first 2 shown]
.LBB666_45:
	v_lshrrev_b32_e32 v27, 2, v57
	s_cbranch_execnz .LBB666_58
.LBB666_46:
	s_and_b64 vcc, exec, s[6:7]
	s_cbranch_vccz .LBB666_56
; %bb.47:
	s_waitcnt vmcnt(0)
	v_lshlrev_b32_e32 v15, 1, v44
	v_cmp_gt_i32_e32 vcc, s46, v15
	v_mov_b32_e32 v14, 0
	v_lshlrev_b32_e32 v22, 9, v44
	v_mov_b32_e32 v10, 0
	v_mov_b32_e32 v11, 0
	;; [unrolled: 1-line block ×4, first 2 shown]
	s_and_saveexec_b64 s[0:1], vcc
	s_cbranch_execz .LBB666_49
; %bb.48:
	v_mov_b32_e32 v23, 0
	v_lshl_add_u64 v[10:11], s[4:5], 0, v[22:23]
	v_lshlrev_b32_e32 v12, 1, v26
	v_mov_b32_e32 v13, v23
	v_lshl_add_u64 v[10:11], v[10:11], 0, v[12:13]
	global_load_dwordx4 v[10:13], v[10:11], off
.LBB666_49:
	s_or_b64 exec, exec, s[0:1]
	v_or_b32_e32 v15, 1, v15
	v_cmp_gt_i32_e64 s[0:1], s46, v15
	v_lshlrev_b32_e32 v28, 8, v15
	v_mov_b32_e32 v15, 0
	v_mov_b32_e32 v16, 0
	;; [unrolled: 1-line block ×3, first 2 shown]
	s_and_saveexec_b64 s[2:3], s[0:1]
	s_cbranch_execz .LBB666_51
; %bb.50:
	v_mov_b32_e32 v29, 0
	v_lshl_add_u64 v[14:15], s[4:5], 0, v[28:29]
	v_lshlrev_b32_e32 v16, 1, v26
	v_mov_b32_e32 v17, v29
	v_lshl_add_u64 v[14:15], v[14:15], 0, v[16:17]
	global_load_dwordx4 v[14:17], v[14:15], off
.LBB666_51:
	s_or_b64 exec, exec, s[2:3]
	v_mov_b32_e32 v25, 0
	v_mov_b32_e32 v18, 0
	;; [unrolled: 1-line block ×5, first 2 shown]
	s_and_saveexec_b64 s[2:3], vcc
	s_cbranch_execz .LBB666_53
; %bb.52:
	v_mov_b32_e32 v23, 0
	v_lshl_add_u64 v[18:19], s[4:5], 0, v[22:23]
	v_lshlrev_b32_e32 v22, 1, v26
	v_lshl_add_u64 v[18:19], v[18:19], 0, v[22:23]
	global_load_dwordx4 v[18:21], v[18:19], off offset:128
.LBB666_53:
	s_or_b64 exec, exec, s[2:3]
	v_mov_b32_e32 v24, 0
	v_mov_b32_e32 v23, 0
	;; [unrolled: 1-line block ×3, first 2 shown]
	s_and_saveexec_b64 s[2:3], s[0:1]
	s_cbranch_execz .LBB666_55
; %bb.54:
	v_mov_b32_e32 v29, 0
	v_lshl_add_u64 v[22:23], s[4:5], 0, v[28:29]
	v_lshlrev_b32_e32 v28, 1, v26
	v_lshl_add_u64 v[22:23], v[22:23], 0, v[28:29]
	global_load_dwordx4 v[22:25], v[22:23], off offset:128
.LBB666_55:
	s_or_b64 exec, exec, s[2:3]
	s_branch .LBB666_58
.LBB666_56:
                                        ; implicit-def: $vgpr13
                                        ; implicit-def: $vgpr17
                                        ; implicit-def: $vgpr21
                                        ; implicit-def: $vgpr25
	s_cbranch_execz .LBB666_58
; %bb.57:
	s_waitcnt vmcnt(0)
	v_lshlrev_b32_e32 v10, 1, v26
	v_lshl_or_b32 v26, v44, 9, v10
	s_and_b32 s5, s5, 0xffff
	s_mov_b32 s7, 0x20000
	s_movk_i32 s6, 0x4000
	s_movk_i32 s0, 0x80
	buffer_load_dwordx4 v[10:13], v26, s[4:7], 0 offen
	buffer_load_dwordx4 v[14:17], v26, s[4:7], 0 offen offset:256
	buffer_load_dwordx4 v[18:21], v26, s[4:7], s0 offen
	buffer_load_dwordx4 v[22:25], v26, s[4:7], s0 offen offset:256
.LBB666_58:
	v_and_b32_e32 v47, 12, v27
	ds_read2st64_b64 v[30:33], v45 offset0:76 offset1:77
	ds_read2st64_b64 v[26:29], v45 offset0:78 offset1:79
	ds_read_b64 v[38:39], v34 offset:24576
	ds_read_b64 v[40:41], v35 offset:24576
	;; [unrolled: 1-line block ×4, first 2 shown]
	v_and_b32_e32 v46, 6, v0
	v_xor_b32_e32 v44, v44, v46
	v_lshlrev_b32_e32 v44, 2, v44
	v_and_b32_e32 v48, 1, v0
	v_xor_b32_e32 v49, 0x440, v44
	v_cmp_eq_u32_e32 vcc, 0, v48
	s_mov_b32 s0, 0x1000504
	s_waitcnt vmcnt(0)
	v_perm_b32 v48, v18, v22, s0
	v_cndmask_b32_e32 v44, v49, v44, vcc
	v_lshl_or_b32 v44, v46, 10, v44
	v_perm_b32 v46, v10, v14, s0
	ds_write2st64_b32 v44, v46, v48 offset1:32
	v_xor_b32_e32 v46, 8, v44
	s_mov_b32 s1, 0x3020706
	v_perm_b32 v10, v10, v14, s1
	v_perm_b32 v14, v18, v22, s1
	v_add_u32_e32 v18, 0x80, v46
	ds_write2st64_b32 v18, v10, v14 offset1:32
	v_xor_b32_e32 v10, 16, v44
	v_perm_b32 v14, v11, v15, s0
	v_perm_b32 v18, v19, v23, s0
	ds_write2st64_b32 v10, v14, v18 offset0:1 offset1:33
	v_xor_b32_e32 v10, 24, v44
	v_perm_b32 v11, v11, v15, s1
	v_perm_b32 v14, v19, v23, s1
	v_add_u32_e32 v10, 0x80, v10
	ds_write2st64_b32 v10, v11, v14 offset0:1 offset1:33
	v_xor_b32_e32 v10, 32, v44
	v_perm_b32 v11, v12, v16, s0
	v_perm_b32 v14, v20, v24, s0
	ds_write2st64_b32 v10, v11, v14 offset0:2 offset1:34
	v_xor_b32_e32 v10, 40, v44
	v_perm_b32 v11, v12, v16, s1
	v_perm_b32 v12, v20, v24, s1
	v_add_u32_e32 v10, 0x80, v10
	ds_write2st64_b32 v10, v11, v12 offset0:2 offset1:34
	v_xor_b32_e32 v10, 48, v44
	v_perm_b32 v11, v13, v17, s0
	v_perm_b32 v12, v21, v25, s0
	ds_write2st64_b32 v10, v11, v12 offset0:3 offset1:35
	v_xor_b32_e32 v10, 56, v44
	v_or_b32_e32 v16, v47, v53
	v_perm_b32 v11, v13, v17, s1
	v_perm_b32 v12, v21, v25, s1
	v_add_u32_e32 v10, 0x80, v10
	v_cmp_gt_i32_e32 vcc, s46, v16
	v_mov_b32_e32 v17, 0
	v_mov_b32_e32 v21, 0
	ds_write2st64_b32 v10, v11, v12 offset0:3 offset1:35
	s_and_saveexec_b64 s[0:1], vcc
	s_cbranch_execz .LBB666_60
; %bb.59:
	v_add_u32_e32 v10, s43, v16
	v_ashrrev_i32_e32 v11, 31, v10
	v_mul_lo_u32 v12, v11, s30
	v_mul_lo_u32 v13, v10, s31
	v_mad_u64_u32 v[10:11], s[2:3], v10, s30, 0
	v_add3_u32 v11, v11, v13, v12
	v_lshl_add_u64 v[10:11], v[10:11], 2, s[10:11]
	global_load_dword v10, v[10:11], off
	s_waitcnt vmcnt(0)
	v_sub_f32_e32 v10, s12, v10
	v_exp_f32_e32 v21, v10
.LBB666_60:
	s_or_b64 exec, exec, s[0:1]
	v_or_b32_e32 v19, 1, v16
	v_cmp_gt_i32_e64 s[0:1], s46, v19
	s_and_saveexec_b64 s[2:3], s[0:1]
	s_cbranch_execz .LBB666_62
; %bb.61:
	v_add_u32_e32 v10, s43, v19
	v_ashrrev_i32_e32 v11, 31, v10
	v_mul_lo_u32 v12, v11, s30
	v_mul_lo_u32 v13, v10, s31
	v_mad_u64_u32 v[10:11], s[4:5], v10, s30, 0
	v_add3_u32 v11, v11, v13, v12
	v_lshl_add_u64 v[10:11], v[10:11], 2, s[10:11]
	global_load_dword v10, v[10:11], off
	s_waitcnt vmcnt(0)
	v_sub_f32_e32 v10, s12, v10
	v_exp_f32_e32 v17, v10
.LBB666_62:
	s_or_b64 exec, exec, s[2:3]
	v_or_b32_e32 v20, 2, v16
	v_cmp_gt_i32_e64 s[2:3], s46, v20
	v_mov_b32_e32 v18, 0
	v_mov_b32_e32 v23, 0
	s_and_saveexec_b64 s[4:5], s[2:3]
	s_cbranch_execz .LBB666_64
; %bb.63:
	v_add_u32_e32 v10, s43, v20
	v_ashrrev_i32_e32 v11, 31, v10
	v_mul_lo_u32 v12, v11, s30
	v_mul_lo_u32 v13, v10, s31
	v_mad_u64_u32 v[10:11], s[6:7], v10, s30, 0
	v_add3_u32 v11, v11, v13, v12
	v_lshl_add_u64 v[10:11], v[10:11], 2, s[10:11]
	global_load_dword v10, v[10:11], off
	s_waitcnt vmcnt(0)
	v_sub_f32_e32 v10, s12, v10
	v_exp_f32_e32 v23, v10
.LBB666_64:
	s_or_b64 exec, exec, s[4:5]
	v_or_b32_e32 v22, 3, v16
	v_cmp_gt_i32_e64 s[4:5], s46, v22
	s_and_saveexec_b64 s[6:7], s[4:5]
	s_cbranch_execz .LBB666_66
; %bb.65:
	v_add_u32_e32 v10, s43, v22
	v_ashrrev_i32_e32 v11, 31, v10
	v_mul_lo_u32 v12, v11, s30
	v_mul_lo_u32 v13, v10, s31
	v_mad_u64_u32 v[10:11], s[20:21], v10, s30, 0
	v_add3_u32 v11, v11, v13, v12
	v_lshl_add_u64 v[10:11], v[10:11], 2, s[10:11]
	global_load_dword v10, v[10:11], off
	s_waitcnt vmcnt(0)
	v_sub_f32_e32 v10, s12, v10
	v_exp_f32_e32 v18, v10
.LBB666_66:
	s_or_b64 exec, exec, s[6:7]
	s_waitcnt lgkmcnt(11)
	v_mfma_f32_16x16x16_bf16 a[0:3], v[38:39], v[30:31], a[0:3]
	s_add_u32 s6, s8, s24
	v_ashrrev_i32_e32 v59, 31, v58
	s_addc_u32 s7, s9, s25
	s_waitcnt lgkmcnt(10)
	v_mfma_f32_16x16x16_bf16 a[0:3], v[40:41], v[32:33], a[0:3]
	v_mov_b32_e32 v24, 0
	v_lshl_add_u64 v[14:15], v[58:59], 1, s[6:7]
	v_mov_b32_e32 v25, 0
	s_waitcnt lgkmcnt(9)
	v_mfma_f32_16x16x16_bf16 a[0:3], v[36:37], v[26:27], a[0:3]
	s_waitcnt lgkmcnt(8)
	v_mfma_f32_16x16x16_bf16 a[0:3], v[34:35], v[28:29], a[0:3]
	s_nop 6
	v_accvgpr_read_b32 v13, a3
	v_accvgpr_read_b32 v12, a2
	;; [unrolled: 1-line block ×4, first 2 shown]
	s_and_saveexec_b64 s[6:7], vcc
	s_cbranch_execz .LBB666_68
; %bb.67:
	v_lshlrev_b32_e32 v26, 8, v16
	v_mov_b32_e32 v27, 0
	v_lshl_add_u64 v[26:27], v[14:15], 0, v[26:27]
	global_load_ushort v25, v[26:27], off
	s_waitcnt vmcnt(0)
	v_lshlrev_b32_e32 v25, 16, v25
	v_sub_f32_e32 v10, v25, v10
	v_mul_f32_e32 v10, v21, v10
	v_lshrrev_b32_e32 v25, 16, v10
.LBB666_68:
	s_or_b64 exec, exec, s[6:7]
	s_and_saveexec_b64 s[6:7], s[0:1]
	s_cbranch_execz .LBB666_70
; %bb.69:
	v_lshlrev_b32_e32 v26, 8, v19
	v_mov_b32_e32 v27, 0
	v_lshl_add_u64 v[26:27], v[14:15], 0, v[26:27]
	global_load_ushort v10, v[26:27], off
	s_waitcnt vmcnt(0)
	v_lshlrev_b32_e32 v10, 16, v10
	v_sub_f32_e32 v10, v10, v11
	v_mul_f32_e32 v10, v17, v10
	v_lshrrev_b32_e32 v24, 16, v10
.LBB666_70:
	s_or_b64 exec, exec, s[6:7]
	v_mov_b32_e32 v11, 0
	v_mov_b32_e32 v17, 0
	s_and_saveexec_b64 s[0:1], s[2:3]
	s_cbranch_execz .LBB666_72
; %bb.71:
	v_lshlrev_b32_e32 v20, 8, v20
	v_mov_b32_e32 v21, 0
	v_lshl_add_u64 v[20:21], v[14:15], 0, v[20:21]
	global_load_ushort v10, v[20:21], off
	s_waitcnt vmcnt(0)
	v_lshlrev_b32_e32 v10, 16, v10
	v_sub_f32_e32 v10, v10, v12
	v_mul_f32_e32 v10, v23, v10
	v_lshrrev_b32_e32 v17, 16, v10
.LBB666_72:
	s_or_b64 exec, exec, s[0:1]
	v_or_b32_e32 v10, 0x9800, v45
	s_and_saveexec_b64 s[0:1], s[4:5]
	s_cbranch_execz .LBB666_74
; %bb.73:
	v_lshlrev_b32_e32 v20, 8, v22
	v_mov_b32_e32 v21, 0
	v_lshl_add_u64 v[14:15], v[14:15], 0, v[20:21]
	global_load_ushort v11, v[14:15], off
	s_waitcnt vmcnt(0)
	v_lshlrev_b32_e32 v11, 16, v11
	v_sub_f32_e32 v11, v11, v13
	v_mul_f32_e32 v11, v18, v11
	v_lshrrev_b32_e32 v11, 16, v11
.LBB666_74:
	s_or_b64 exec, exec, s[0:1]
	s_mov_b32 s0, 0x5040100
	v_perm_b32 v13, v11, v17, s0
	v_lshlrev_b32_e32 v11, 1, v42
	v_perm_b32 v12, v24, v25, s0
	v_lshl_or_b32 v11, v16, 5, v11
	s_movk_i32 s2, 0xff
	ds_write_b64 v11, v[12:13] offset:38912
	v_and_b32_e32 v11, 7, v0
	v_cmp_lt_u32_e32 vcc, s2, v0
	v_and_b32_e32 v12, 8, v0
	v_lshlrev_b32_e32 v17, 3, v11
	v_lshlrev_b32_e32 v30, 7, v11
	v_cndmask_b32_e64 v11, 0, 1, vcc
	v_lshrrev_b32_e32 v0, 1, v0
	v_lshlrev_b32_e32 v24, 13, v11
	v_lshlrev_b32_e32 v11, 3, v1
	v_and_b32_e32 v0, 24, v0
	v_xor_b32_e32 v13, v11, v0
	v_or_b32_e32 v14, 0x440, v13
	v_cmp_eq_u32_e32 vcc, 0, v12
	s_waitcnt lgkmcnt(0)
	s_barrier
	v_cndmask_b32_e32 v12, v14, v13, vcc
	v_or_b32_e32 v12, v12, v43
	v_xor_b32_e32 v31, v12, v17
	v_or_b32_e32 v12, 32, v0
	v_xor_b32_e32 v12, v11, v12
	v_or_b32_e32 v13, 0x440, v12
	v_cndmask_b32_e32 v12, v13, v12, vcc
	v_or_b32_e32 v12, v12, v43
	v_xor_b32_e32 v32, v12, v17
	v_or_b32_e32 v12, 64, v0
	v_xor_b32_e32 v12, v11, v12
	v_xor_b32_e32 v13, 0x440, v12
	v_cndmask_b32_e32 v12, v13, v12, vcc
	v_add3_u32 v22, v24, v31, v30
	v_or_b32_e32 v12, v12, v43
	v_or_b32_e32 v0, 0x60, v0
	v_xor_b32_e32 v33, v12, v17
	ds_read2st64_b64 v[12:15], v10 offset1:1
	ds_read2st64_b64 v[18:21], v10 offset0:2 offset1:3
	v_xor_b32_e32 v0, v11, v0
	ds_read_b64 v[10:11], v22
	v_add3_u32 v23, v24, v32, v30
	v_xor_b32_e32 v22, 0x440, v0
	v_cndmask_b32_e32 v0, v22, v0, vcc
	ds_read_b64 v[22:23], v23
	s_add_i32 s0, s14, s49
	s_mul_hi_i32 s1, s0, s13
	s_mul_i32 s0, s0, s13
	s_add_u32 s0, s0, s33
	v_or_b32_e32 v0, v0, v43
	s_waitcnt lgkmcnt(1)
	v_mfma_f32_16x16x16_bf16 a[0:3], v[10:11], v[12:13], 0
	s_addc_u32 s1, s1, s48
	v_xor_b32_e32 v17, v0, v17
	s_lshl_b64 s[0:1], s[0:1], 9
	v_add3_u32 v25, v24, v33, v30
	v_add3_u32 v0, v24, v17, v30
	s_add_u32 s0, s16, s0
	ds_read_b64 v[26:27], v25
	ds_read_b64 v[28:29], v0
	s_addc_u32 s1, s17, s1
	v_lshlrev_b32_e32 v0, 2, v16
	s_waitcnt lgkmcnt(2)
	v_mfma_f32_16x16x16_bf16 a[0:3], v[22:23], v[14:15], a[0:3]
	global_load_dwordx4 v[22:25], v0, s[0:1]
	v_add_u32_e32 v0, v31, v30
	v_lshlrev_b32_e32 v10, 6, v1
	ds_read_b64 v[0:1], v0 offset:8192
	v_lshlrev_b32_e32 v11, 2, v47
	s_movk_i32 s2, 0x100
	s_waitcnt lgkmcnt(2)
	v_mfma_f32_16x16x16_bf16 a[0:3], v[26:27], v[18:19], a[0:3]
	v_or3_b32 v10, v10, v11, s2
	v_add_u32_e32 v11, v32, v30
	v_add_u32_e32 v26, v33, v30
	;; [unrolled: 1-line block ×3, first 2 shown]
	ds_read_b64 v[16:17], v11 offset:8192
	ds_read_b64 v[26:27], v26 offset:8192
	;; [unrolled: 1-line block ×3, first 2 shown]
	s_waitcnt lgkmcnt(3)
	v_mfma_f32_16x16x16_bf16 a[4:7], v[0:1], v[12:13], 0
	global_load_dwordx4 v[10:13], v10, s[0:1]
	v_exp_f32_e32 v0, s12
	s_waitcnt vmcnt(1)
	v_exp_f32_e32 v22, v22
	v_mfma_f32_16x16x16_bf16 a[0:3], v[28:29], v[20:21], a[0:3]
	v_exp_f32_e32 v23, v23
	v_exp_f32_e32 v24, v24
	;; [unrolled: 1-line block ×3, first 2 shown]
	v_pk_mul_f32 v[22:23], v[0:1], v[22:23] op_sel_hi:[0,1]
	v_pk_mul_f32 v[24:25], v[0:1], v[24:25] op_sel_hi:[0,1]
	s_nop 1
	v_accvgpr_read_b32 v33, a1
	v_accvgpr_read_b32 v29, a3
	;; [unrolled: 1-line block ×4, first 2 shown]
	s_waitcnt lgkmcnt(2)
	v_mfma_f32_16x16x16_bf16 a[0:3], v[16:17], v[14:15], a[4:7]
	s_waitcnt vmcnt(0)
	v_mov_b32_e32 v14, v13
	v_mov_b32_e32 v13, v12
	;; [unrolled: 1-line block ×3, first 2 shown]
	s_waitcnt lgkmcnt(1)
	v_mfma_f32_16x16x16_bf16 a[0:3], v[26:27], v[18:19], a[0:3]
	v_exp_f32_e32 v10, v10
	v_exp_f32_e32 v11, v12
	v_exp_f32_e32 v12, v13
	s_waitcnt lgkmcnt(0)
	v_mfma_f32_16x16x16_bf16 a[0:3], v[30:31], v[20:21], a[0:3]
	v_exp_f32_e32 v13, v14
	v_pk_mul_f32 v[10:11], v[0:1], v[10:11] op_sel_hi:[0,1]
	v_pk_fma_f32 v[6:7], v[6:7], v[22:23], v[32:33]
	v_pk_fma_f32 v[8:9], v[8:9], v[24:25], v[28:29]
	v_pk_mul_f32 v[0:1], v[0:1], v[12:13] op_sel_hi:[0,1]
	s_nop 1
	v_accvgpr_read_b32 v17, a1
	v_accvgpr_read_b32 v15, a3
	;; [unrolled: 1-line block ×4, first 2 shown]
	v_pk_fma_f32 v[2:3], v[2:3], v[10:11], v[16:17]
	v_pk_fma_f32 v[4:5], v[4:5], v[0:1], v[14:15]
.LBB666_75:
	s_add_u32 s0, s18, s28
	s_addc_u32 s1, s19, s29
	v_lshl_add_u64 v[0:1], v[54:55], 2, s[0:1]
	v_mov_b32_e32 v57, 0
	v_lshl_add_u64 v[0:1], v[0:1], 0, v[56:57]
	s_waitcnt vmcnt(1)
	global_store_dwordx4 v[0:1], v[6:9], off
	s_waitcnt vmcnt(1)
	global_store_dwordx4 v[0:1], v[2:5], off offset:256
	s_endpgm
	.section	.rodata,"a",@progbits
	.p2align	6, 0x0
	.amdhsa_kernel _ZN12_GLOBAL__N_139chunk_gated_delta_rule_fwd_h_hip_kernelILi16ELb1ELb1ELb0ELb0ELb1ELb1ELb0ELb0EEEvPK12hip_bfloat16S3_S3_PKfS5_PKvPS1_S8_PvPKiSB_iiiiilll
		.amdhsa_group_segment_fixed_size 40960
		.amdhsa_private_segment_fixed_size 0
		.amdhsa_kernarg_size 136
		.amdhsa_user_sgpr_count 2
		.amdhsa_user_sgpr_dispatch_ptr 0
		.amdhsa_user_sgpr_queue_ptr 0
		.amdhsa_user_sgpr_kernarg_segment_ptr 1
		.amdhsa_user_sgpr_dispatch_id 0
		.amdhsa_user_sgpr_kernarg_preload_length 0
		.amdhsa_user_sgpr_kernarg_preload_offset 0
		.amdhsa_user_sgpr_private_segment_size 0
		.amdhsa_uses_dynamic_stack 0
		.amdhsa_enable_private_segment 0
		.amdhsa_system_sgpr_workgroup_id_x 1
		.amdhsa_system_sgpr_workgroup_id_y 1
		.amdhsa_system_sgpr_workgroup_id_z 0
		.amdhsa_system_sgpr_workgroup_info 0
		.amdhsa_system_vgpr_workitem_id 0
		.amdhsa_next_free_vgpr 128
		.amdhsa_next_free_sgpr 71
		.amdhsa_accum_offset 116
		.amdhsa_reserve_vcc 1
		.amdhsa_float_round_mode_32 0
		.amdhsa_float_round_mode_16_64 0
		.amdhsa_float_denorm_mode_32 3
		.amdhsa_float_denorm_mode_16_64 3
		.amdhsa_dx10_clamp 1
		.amdhsa_ieee_mode 1
		.amdhsa_fp16_overflow 0
		.amdhsa_tg_split 0
		.amdhsa_exception_fp_ieee_invalid_op 0
		.amdhsa_exception_fp_denorm_src 0
		.amdhsa_exception_fp_ieee_div_zero 0
		.amdhsa_exception_fp_ieee_overflow 0
		.amdhsa_exception_fp_ieee_underflow 0
		.amdhsa_exception_fp_ieee_inexact 0
		.amdhsa_exception_int_div_zero 0
	.end_amdhsa_kernel
	.section	.text._ZN12_GLOBAL__N_139chunk_gated_delta_rule_fwd_h_hip_kernelILi16ELb1ELb1ELb0ELb0ELb1ELb1ELb0ELb0EEEvPK12hip_bfloat16S3_S3_PKfS5_PKvPS1_S8_PvPKiSB_iiiiilll,"axG",@progbits,_ZN12_GLOBAL__N_139chunk_gated_delta_rule_fwd_h_hip_kernelILi16ELb1ELb1ELb0ELb0ELb1ELb1ELb0ELb0EEEvPK12hip_bfloat16S3_S3_PKfS5_PKvPS1_S8_PvPKiSB_iiiiilll,comdat
.Lfunc_end666:
	.size	_ZN12_GLOBAL__N_139chunk_gated_delta_rule_fwd_h_hip_kernelILi16ELb1ELb1ELb0ELb0ELb1ELb1ELb0ELb0EEEvPK12hip_bfloat16S3_S3_PKfS5_PKvPS1_S8_PvPKiSB_iiiiilll, .Lfunc_end666-_ZN12_GLOBAL__N_139chunk_gated_delta_rule_fwd_h_hip_kernelILi16ELb1ELb1ELb0ELb0ELb1ELb1ELb0ELb0EEEvPK12hip_bfloat16S3_S3_PKfS5_PKvPS1_S8_PvPKiSB_iiiiilll
                                        ; -- End function
	.section	.AMDGPU.csdata,"",@progbits
; Kernel info:
; codeLenInByte = 7988
; NumSgprs: 77
; NumVgprs: 116
; NumAgprs: 12
; TotalNumVgprs: 128
; ScratchSize: 0
; MemoryBound: 0
; FloatMode: 240
; IeeeMode: 1
; LDSByteSize: 40960 bytes/workgroup (compile time only)
; SGPRBlocks: 9
; VGPRBlocks: 15
; NumSGPRsForWavesPerEU: 77
; NumVGPRsForWavesPerEU: 128
; AccumOffset: 116
; Occupancy: 1
; WaveLimiterHint : 1
; COMPUTE_PGM_RSRC2:SCRATCH_EN: 0
; COMPUTE_PGM_RSRC2:USER_SGPR: 2
; COMPUTE_PGM_RSRC2:TRAP_HANDLER: 0
; COMPUTE_PGM_RSRC2:TGID_X_EN: 1
; COMPUTE_PGM_RSRC2:TGID_Y_EN: 1
; COMPUTE_PGM_RSRC2:TGID_Z_EN: 0
; COMPUTE_PGM_RSRC2:TIDIG_COMP_CNT: 0
; COMPUTE_PGM_RSRC3_GFX90A:ACCUM_OFFSET: 28
; COMPUTE_PGM_RSRC3_GFX90A:TG_SPLIT: 0
	.section	.text._ZN12_GLOBAL__N_139chunk_gated_delta_rule_fwd_h_hip_kernelILi16ELb1ELb0ELb1ELb0ELb1ELb1ELb0ELb0EEEvPK12hip_bfloat16S3_S3_PKfS5_PKvPS1_S8_PvPKiSB_iiiiilll,"axG",@progbits,_ZN12_GLOBAL__N_139chunk_gated_delta_rule_fwd_h_hip_kernelILi16ELb1ELb0ELb1ELb0ELb1ELb1ELb0ELb0EEEvPK12hip_bfloat16S3_S3_PKfS5_PKvPS1_S8_PvPKiSB_iiiiilll,comdat
	.globl	_ZN12_GLOBAL__N_139chunk_gated_delta_rule_fwd_h_hip_kernelILi16ELb1ELb0ELb1ELb0ELb1ELb1ELb0ELb0EEEvPK12hip_bfloat16S3_S3_PKfS5_PKvPS1_S8_PvPKiSB_iiiiilll ; -- Begin function _ZN12_GLOBAL__N_139chunk_gated_delta_rule_fwd_h_hip_kernelILi16ELb1ELb0ELb1ELb0ELb1ELb1ELb0ELb0EEEvPK12hip_bfloat16S3_S3_PKfS5_PKvPS1_S8_PvPKiSB_iiiiilll
	.p2align	8
	.type	_ZN12_GLOBAL__N_139chunk_gated_delta_rule_fwd_h_hip_kernelILi16ELb1ELb0ELb1ELb0ELb1ELb1ELb0ELb0EEEvPK12hip_bfloat16S3_S3_PKfS5_PKvPS1_S8_PvPKiSB_iiiiilll,@function
_ZN12_GLOBAL__N_139chunk_gated_delta_rule_fwd_h_hip_kernelILi16ELb1ELb0ELb1ELb0ELb1ELb1ELb0ELb0EEEvPK12hip_bfloat16S3_S3_PKfS5_PKvPS1_S8_PvPKiSB_iiiiilll: ; @_ZN12_GLOBAL__N_139chunk_gated_delta_rule_fwd_h_hip_kernelILi16ELb1ELb0ELb1ELb0ELb1ELb1ELb0ELb0EEEvPK12hip_bfloat16S3_S3_PKfS5_PKvPS1_S8_PvPKiSB_iiiiilll
; %bb.0:
	s_load_dwordx4 s[12:15], s[0:1], 0x5c
	s_load_dwordx4 s[20:23], s[0:1], 0x70
	s_abs_i32 s6, s3
	s_ashr_i32 s5, s3, 31
	s_load_dwordx4 s[16:19], s[0:1], 0x28
	s_load_dwordx2 s[28:29], s[0:1], 0x38
	s_waitcnt lgkmcnt(0)
	s_abs_i32 s4, s13
	v_cvt_f32_u32_e32 v1, s4
	s_sub_i32 s8, 0, s4
	s_ashr_i32 s7, s13, 31
	s_xor_b32 s5, s5, s7
	v_rcp_iflag_f32_e32 v1, v1
	v_and_b32_e32 v64, 15, v0
	v_lshrrev_b32_e32 v62, 6, v0
	v_bfe_u32 v63, v0, 4, 2
	v_mul_f32_e32 v1, 0x4f7ffffe, v1
	v_cvt_u32_f32_e32 v1, v1
	v_mov_b32_e32 v5, 0
	v_and_b32_e32 v53, 63, v0
	v_lshrrev_b32_e32 v66, 3, v53
	v_readfirstlane_b32 s9, v1
	s_mul_i32 s8, s8, s9
	s_mul_hi_u32 s8, s9, s8
	s_add_i32 s9, s9, s8
	s_mul_hi_u32 s8, s6, s9
	s_mul_i32 s9, s8, s4
	s_sub_i32 s6, s6, s9
	s_add_i32 s10, s8, 1
	s_sub_i32 s9, s6, s4
	s_cmp_ge_u32 s6, s4
	s_cselect_b32 s8, s10, s8
	s_cselect_b32 s6, s9, s6
	s_add_i32 s9, s8, 1
	s_cmp_ge_u32 s6, s4
	s_cselect_b32 s6, s9, s8
	s_xor_b32 s6, s6, s5
	s_add_i32 s8, s12, 63
	s_sub_i32 s52, s6, s5
	s_ashr_i32 s9, s8, 31
	s_mul_i32 s5, s52, s13
	s_sub_i32 s50, s3, s5
	s_lshr_b32 s3, s9, 26
	s_add_i32 s8, s8, s3
	s_abs_i32 s3, s14
	v_cvt_f32_u32_e32 v1, s3
	s_ashr_i32 s51, s12, 31
	s_lshr_b32 s6, s51, 26
	s_add_i32 s6, s12, s6
	v_rcp_iflag_f32_e32 v1, v1
	s_ashr_i32 s55, s14, 31
	s_ashr_i32 s53, s6, 6
	s_lshl_b32 s38, s2, 4
	v_mul_f32_e32 v1, 0x4f7ffffe, v1
	v_cvt_u32_f32_e32 v1, v1
	s_xor_b32 s2, s7, s55
	s_sub_i32 s6, 0, s3
	s_ashr_i32 s25, s8, 6
	v_readfirstlane_b32 s7, v1
	s_mul_i32 s6, s6, s7
	s_mul_hi_u32 s6, s7, s6
	s_add_i32 s7, s7, s6
	s_mul_hi_u32 s6, s4, s7
	s_mul_i32 s7, s6, s3
	s_sub_i32 s4, s4, s7
	s_add_i32 s7, s6, 1
	s_sub_i32 s8, s4, s3
	s_cmp_ge_u32 s4, s3
	s_cselect_b32 s6, s7, s6
	s_cselect_b32 s4, s8, s4
	s_add_i32 s7, s6, 1
	s_cmp_ge_u32 s4, s3
	s_cselect_b32 s3, s7, s6
	s_xor_b32 s3, s3, s2
	s_sub_i32 s2, s3, s2
	s_abs_i32 s3, s2
	v_cvt_f32_u32_e32 v1, s3
	s_sub_i32 s6, 0, s3
	s_abs_i32 s4, s50
	s_xor_b32 s2, s50, s2
	v_rcp_iflag_f32_e32 v1, v1
	s_ashr_i32 s2, s2, 31
	v_or_b32_e32 v54, s38, v64
	v_lshlrev_b32_e32 v2, 7, v54
	v_mul_f32_e32 v1, 0x4f7ffffe, v1
	v_cvt_u32_f32_e32 v1, v1
	v_ashrrev_i32_e32 v3, 31, v2
	s_mul_i32 s57, s52, s25
	v_lshlrev_b32_e32 v65, 3, v0
	v_readfirstlane_b32 s7, v1
	s_mul_i32 s6, s6, s7
	s_mul_hi_u32 s6, s7, s6
	s_add_i32 s7, s7, s6
	s_mul_hi_u32 s6, s4, s7
	s_mul_i32 s7, s6, s3
	s_sub_i32 s4, s4, s7
	s_add_i32 s7, s6, 1
	s_sub_i32 s8, s4, s3
	s_cmp_ge_u32 s4, s3
	s_cselect_b32 s6, s7, s6
	s_cselect_b32 s4, s8, s4
	s_add_i32 s7, s6, 1
	s_cmp_ge_u32 s4, s3
	s_cselect_b32 s3, s7, s6
	s_xor_b32 s3, s3, s2
	s_sub_i32 s56, s3, s2
	s_ashr_i32 s24, s52, 31
	s_ashr_i32 s54, s50, 31
	s_mul_hi_i32 s2, s52, s13
	s_add_u32 s40, s5, s50
	s_addc_u32 s41, s2, s54
	s_lshl_b64 s[2:3], s[40:41], 16
	v_lshlrev_b32_e32 v1, 4, v62
	s_add_u32 s2, s16, s2
	v_lshl_or_b32 v67, v63, 2, v1
	s_addc_u32 s3, s17, s3
	v_lshl_add_u64 v[2:3], v[2:3], 2, s[2:3]
	v_lshlrev_b32_e32 v4, 2, v67
	v_lshl_add_u64 v[10:11], v[2:3], 0, v[4:5]
	global_load_dwordx4 v[6:9], v[10:11], off
	global_load_dwordx4 v[2:5], v[10:11], off offset:256
	s_load_dwordx8 s[4:11], s[0:1], 0x0
	s_load_dwordx2 s[30:31], s[0:1], 0x80
	v_or_b32_e32 v68, 64, v67
	s_cmp_lt_i32 s12, 64
	s_mul_i32 s58, s41, s12
	s_mul_hi_u32 s59, s40, s12
	s_mul_i32 s16, s40, s12
	s_mul_i32 s33, s52, s21
	s_mul_hi_u32 s46, s52, s20
	s_mul_i32 s47, s24, s20
	s_mul_i32 s36, s52, s20
	;; [unrolled: 1-line block ×3, first 2 shown]
	s_mul_hi_u32 s48, s50, s22
	s_mul_i32 s49, s54, s22
	s_mul_i32 s34, s50, s22
	s_cbranch_scc1 .LBB667_18
; %bb.1:
	s_add_i32 s17, s59, s58
	s_lshl_b64 s[2:3], s[16:17], 8
	v_and_b32_e32 v70, 56, v65
	s_waitcnt lgkmcnt(0)
	s_add_u32 s20, s6, s2
	v_lshl_or_b32 v69, v62, 3, v66
	v_lshlrev_b32_e32 v10, 1, v70
	s_addc_u32 s2, s7, s3
	v_lshl_or_b32 v71, v69, 8, v10
	s_and_b32 s21, s2, 0xffff
	s_mov_b32 s23, 0x20000
	s_movk_i32 s22, 0x4000
	s_movk_i32 s2, 0x80
	v_or_b32_e32 v72, 0x2000, v71
	buffer_load_dwordx4 v[12:15], v71, s[20:23], 0 offen
	buffer_load_dwordx4 v[16:19], v71, s[20:23], s2 offen
	;; [unrolled: 1-line block ×4, first 2 shown]
	v_lshlrev_b32_e32 v11, 3, v69
	v_and_or_b32 v29, v0, 7, v11
	v_and_b32_e32 v11, 0x78, v11
	v_lshlrev_b32_e32 v29, 4, v29
	v_xor_b32_e32 v73, v29, v11
	v_mul_lo_u32 v28, v69, s15
	v_or_b32_e32 v74, 0x1000, v73
	v_xor_b32_e32 v11, 8, v73
	s_cmpk_eq_i32 s15, 0x80
	s_mov_b32 s60, s14
	v_xor_b32_e32 v29, 8, v74
	s_cselect_b64 s[2:3], -1, 0
	s_cmpk_lg_i32 s15, 0x80
	s_waitcnt vmcnt(3)
	ds_write_b64 v73, v[12:13] offset:16384
	ds_write_b64 v11, v[14:15] offset:16384
	s_waitcnt vmcnt(2)
	ds_write_b64 v73, v[16:17] offset:24576
	ds_write_b64 v11, v[18:19] offset:24576
	;; [unrolled: 3-line block ×4, first 2 shown]
	v_lshl_add_u32 v11, v28, 1, v70
	s_cbranch_scc0 .LBB667_3
; %bb.2:
	v_lshlrev_b32_e32 v13, 1, v11
	v_add_lshl_u32 v12, v11, s15, 1
	s_lshl_b32 s22, s15, 7
	s_load_dwordx2 s[42:43], s[0:1], 0x20
	v_lshl_or_b32 v10, v69, 9, v10
	s_cbranch_execz .LBB667_4
	s_branch .LBB667_5
.LBB667_3:
                                        ; implicit-def: $vgpr12
                                        ; implicit-def: $vgpr13
                                        ; implicit-def: $sgpr22
	s_load_dwordx2 s[42:43], s[0:1], 0x20
	v_lshl_or_b32 v10, v69, 9, v10
.LBB667_4:
	v_or_b32_e32 v12, 0x100, v10
	s_movk_i32 s22, 0x4000
	v_mov_b32_e32 v13, v10
.LBB667_5:
	s_mul_hi_u32 s0, s14, s12
	s_mul_i32 s1, s55, s12
	s_add_i32 s0, s0, s1
	s_mul_i32 s1, s14, s12
	s_mul_i32 s20, s1, s24
	s_mul_hi_u32 s21, s1, s52
	s_add_i32 s20, s21, s20
	s_mul_i32 s0, s0, s52
	s_add_i32 s20, s20, s0
	s_mul_i32 s1, s1, s52
	s_ashr_i32 s61, s56, 31
	s_add_u32 s0, s1, s56
	s_addc_u32 s1, s20, s61
	s_lshl_b64 s[0:1], s[0:1], 8
	s_add_u32 s20, s4, s0
	s_addc_u32 s0, s5, s1
	s_and_b32 s21, s0, 0xffff
	s_movk_i32 s62, 0x80
	buffer_load_dwordx4 v[14:17], v13, s[20:23], 0 offen
	buffer_load_dwordx4 v[18:21], v13, s[20:23], s62 offen
	;; [unrolled: 1-line block ×4, first 2 shown]
	v_and_b32_e32 v12, 6, v0
	v_lshlrev_b32_e32 v30, 2, v64
	v_lshlrev_b32_e32 v31, 3, v64
	v_xor_b32_e32 v33, v69, v12
	v_and_b32_e32 v13, 1, v0
	s_mul_i32 s24, s24, s12
	s_mul_hi_u32 s0, s52, s12
	v_lshl_or_b32 v31, v67, 5, v31
	v_xor_b32_e32 v34, v67, v30
	v_lshlrev_b32_e32 v33, 2, v33
	v_or_b32_e32 v75, 0x9000, v31
	v_or_b32_e32 v76, 0x9800, v31
	v_lshlrev_b32_e32 v31, 1, v34
	v_xor_b32_e32 v34, 0x440, v33
	v_cmp_eq_u32_e32 vcc, 0, v13
	s_add_i32 s67, s0, s24
	s_add_i32 s0, s46, s33
	v_cndmask_b32_e32 v13, v34, v33, vcc
	s_add_i32 s1, s48, s41
	s_add_i32 s37, s0, s47
	s_mov_b32 s65, 0x1000504
	v_lshlrev_b32_e32 v32, 8, v64
	s_mov_b32 s20, 0x8000
	v_xor_b32_e32 v30, v68, v30
	v_lshl_or_b32 v12, v12, 10, v13
	s_add_i32 s35, s1, s49
	s_lshl_b64 s[0:1], s[36:37], 2
	s_mov_b32 s66, 0x3020706
	v_lshlrev_b32_e32 v30, 1, v30
	v_or3_b32 v77, v31, v32, s20
	v_xor_b32_e32 v13, 8, v12
	v_xor_b32_e32 v31, 24, v12
	;; [unrolled: 1-line block ×4, first 2 shown]
	s_add_u32 s21, s10, s0
	v_or3_b32 v78, v30, v32, s20
	v_xor_b32_e32 v30, 16, v12
	v_xor_b32_e32 v32, 32, v12
	v_xor_b32_e32 v34, 48, v12
	v_add_u32_e32 v13, 0x80, v13
	v_add_u32_e32 v31, 0x80, v31
	;; [unrolled: 1-line block ×4, first 2 shown]
	s_addc_u32 s22, s11, s1
	s_lshl_b64 s[0:1], s[34:35], 2
	s_add_u32 s44, s21, s0
	s_movk_i32 s0, 0xf8
	s_addc_u32 s45, s22, s1
	s_ashr_i32 s39, s38, 31
	v_ashrrev_i32_e32 v55, 31, v54
	s_lshl_b32 s26, s15, 7
	s_mul_i32 s63, s52, s12
	s_mov_b32 s64, 0
	s_mov_b32 s37, 0x7060302
	s_movk_i32 s22, 0x4000
	s_mov_b32 s68, 0
	s_waitcnt vmcnt(1)
	v_perm_b32 v36, v14, v22, s65
	s_waitcnt vmcnt(0)
	v_perm_b32 v37, v18, v26, s65
	v_perm_b32 v14, v14, v22, s66
	v_perm_b32 v18, v18, v26, s66
	v_perm_b32 v22, v15, v23, s65
	v_perm_b32 v26, v19, v27, s65
	v_perm_b32 v15, v15, v23, s66
	v_perm_b32 v19, v19, v27, s66
	v_perm_b32 v23, v16, v24, s65
	v_perm_b32 v27, v20, v28, s65
	v_perm_b32 v16, v16, v24, s66
	v_perm_b32 v20, v20, v28, s66
	v_perm_b32 v24, v17, v25, s65
	v_perm_b32 v28, v21, v29, s65
	v_perm_b32 v17, v17, v25, s66
	v_perm_b32 v21, v21, v29, s66
	ds_write2st64_b32 v12, v36, v37 offset1:32
	ds_write2st64_b32 v13, v14, v18 offset1:32
	ds_write2st64_b32 v30, v22, v26 offset0:1 offset1:33
	ds_write2st64_b32 v31, v15, v19 offset0:1 offset1:33
	;; [unrolled: 1-line block ×6, first 2 shown]
	v_or_b32_e32 v12, v1, v64
	v_lshlrev_b32_e32 v12, 3, v12
	v_lshrrev_b32_e32 v14, 5, v53
	v_and_or_b32 v14, v12, s0, v14
	v_lshlrev_b32_e32 v14, 4, v14
	v_lshrrev_b32_e32 v13, 2, v53
	v_lshlrev_b32_e32 v21, 11, v62
	v_and_b32_e32 v12, 0x78, v12
	v_or_b32_e32 v17, 32, v14
	v_and_b32_e32 v20, 12, v13
	v_and_b32_e32 v13, 0x1000, v21
	v_lshrrev_b32_e32 v16, 1, v53
	v_xor_b32_e32 v17, v17, v12
	v_and_b32_e32 v16, 8, v16
	v_or_b32_e32 v17, v17, v13
	v_xor_b32_e32 v15, v14, v12
	v_xor_b32_e32 v81, v17, v16
	v_or_b32_e32 v17, 64, v14
	v_or_b32_e32 v14, 0x60, v14
	v_xor_b32_e32 v17, v17, v12
	v_xor_b32_e32 v12, v14, v12
	v_or_b32_e32 v15, v15, v13
	v_or_b32_e32 v17, v17, v13
	;; [unrolled: 1-line block ×3, first 2 shown]
	v_xor_b32_e32 v79, v15, v16
	v_xor_b32_e32 v82, v17, v16
	;; [unrolled: 1-line block ×3, first 2 shown]
	v_lshrrev_b32_e32 v16, 4, v0
	v_lshlrev_b32_e32 v17, 1, v64
	v_or_b32_e32 v18, 1, v17
	v_xor_b32_e32 v17, v16, v17
	s_lshl_b64 s[0:1], s[38:39], 8
	v_xor_b32_e32 v18, v18, v16
	v_lshlrev_b32_e32 v17, 3, v17
	v_lshlrev_b32_e32 v16, 8, v16
	v_lshlrev_b64 v[12:13], 1, v[54:55]
	s_add_u32 s0, s18, s0
	v_or3_b32 v55, v17, v16, s20
	v_lshlrev_b32_e32 v17, 3, v18
	s_addc_u32 s1, s19, s1
	v_or3_b32 v85, v17, v16, s20
	v_mov_b32_e32 v17, 0
	v_lshrrev_b32_e32 v27, 1, v0
	v_lshl_add_u64 v[18:19], s[0:1], 0, v[16:17]
	v_lshlrev_b32_e32 v16, 4, v64
	s_movk_i32 s0, 0xff
	v_lshlrev_b32_e32 v26, 3, v62
	v_and_b32_e32 v27, 24, v27
	v_lshl_add_u64 v[56:57], v[18:19], 0, v[16:17]
	v_and_b32_e32 v16, 7, v0
	v_and_b32_e32 v19, 8, v0
	v_cmp_lt_u32_e32 vcc, s0, v0
	v_xor_b32_e32 v28, v26, v27
	v_lshlrev_b32_e32 v24, 3, v16
	v_lshlrev_b32_e32 v25, 7, v16
	v_cndmask_b32_e64 v16, 0, 1, vcc
	v_or_b32_e32 v29, 0x440, v28
	v_cmp_eq_u32_e32 vcc, 0, v19
	v_or_b32_e32 v31, 64, v27
	v_xor_b32_e32 v31, v26, v31
	v_cndmask_b32_e32 v19, v29, v28, vcc
	v_or_b32_e32 v29, 32, v27
	v_or_b32_e32 v27, 0x60, v27
	v_xor_b32_e32 v29, v26, v29
	v_xor_b32_e32 v26, v26, v27
	v_or_b32_e32 v30, 0x440, v29
	v_xor_b32_e32 v32, 0x440, v31
	v_xor_b32_e32 v27, 0x440, v26
	v_cndmask_b32_e32 v29, v30, v29, vcc
	v_cndmask_b32_e32 v31, v32, v31, vcc
	;; [unrolled: 1-line block ×3, first 2 shown]
	v_and_b32_e32 v15, 0x78, v65
	v_or_b32_e32 v19, v19, v21
	v_or_b32_e32 v29, v29, v21
	;; [unrolled: 1-line block ×4, first 2 shown]
	v_lshl_or_b32 v15, v63, 7, v15
	v_lshlrev_b32_e32 v16, 13, v16
	v_xor_b32_e32 v19, v19, v24
	v_xor_b32_e32 v29, v29, v24
	;; [unrolled: 1-line block ×4, first 2 shown]
	v_or_b32_e32 v80, 0x9000, v15
	v_or_b32_e32 v84, 0x9800, v15
	v_lshl_add_u64 v[14:15], s[8:9], 0, v[12:13]
	v_lshl_add_u64 v[12:13], s[28:29], 0, v[12:13]
	v_lshlrev_b32_e32 v22, 1, v11
	v_add_lshl_u32 v11, v11, s15, 1
	v_or_b32_e32 v23, 0x100, v10
	v_or_b32_e32 v18, v20, v1
	v_add_u32_e32 v28, v16, v19
	v_add_u32_e32 v30, v16, v29
	;; [unrolled: 1-line block ×4, first 2 shown]
	v_or3_b32 v20, v1, v20, 64
	v_add_u32_e32 v19, 0x2000, v19
	v_add_u32_e32 v26, 0x2000, v29
	;; [unrolled: 1-line block ×4, first 2 shown]
	v_lshlrev_b32_e32 v16, 8, v67
	v_cndmask_b32_e64 v86, v22, v10, s[2:3]
	v_cndmask_b32_e64 v87, v11, v23, s[2:3]
	v_lshl_add_u64 v[58:59], v[14:15], 0, v[16:17]
	v_lshl_add_u64 v[60:61], v[12:13], 0, v[16:17]
	s_add_i32 s35, s63, 63
	v_lshlrev_b32_e32 v88, 2, v18
	v_add_u32_e32 v89, v28, v25
	v_add_u32_e32 v90, v30, v25
	;; [unrolled: 1-line block ×4, first 2 shown]
	v_lshlrev_b32_e32 v93, 2, v20
	v_add_u32_e32 v94, v19, v25
	v_add_u32_e32 v95, v26, v25
	;; [unrolled: 1-line block ×4, first 2 shown]
	s_waitcnt lgkmcnt(0)
	s_barrier
.LBB667_6:                              ; =>This Inner Loop Header: Depth=1
	s_add_i32 s39, s68, 1
	s_cmp_lt_i32 s39, s53
	s_mov_b64 s[24:25], 0
	s_cselect_b64 s[2:3], -1, 0
	s_cmp_ge_i32 s39, s53
	s_mov_b64 s[20:21], 0
	s_cbranch_scc1 .LBB667_8
; %bb.7:                                ;   in Loop: Header=BB667_6 Depth=1
	s_add_i32 s0, s64, 64
	s_add_u32 s0, s16, s0
	s_addc_u32 s1, s17, 0
	s_lshl_b64 s[0:1], s[0:1], 8
	s_add_u32 s20, s6, s0
	s_addc_u32 s21, s7, s1
.LBB667_8:                              ;   in Loop: Header=BB667_6 Depth=1
	v_cndmask_b32_e64 v10, 0, 1, s[2:3]
	v_cmp_ne_u32_e64 s[0:1], 1, v10
	s_andn2_b64 vcc, exec, s[2:3]
	s_cbranch_vccnz .LBB667_10
; %bb.9:                                ;   in Loop: Header=BB667_6 Depth=1
	s_add_i32 s2, s64, 64
	s_add_u32 s2, s63, s2
	s_addc_u32 s3, s67, 0
	s_mul_i32 s24, s2, s55
	s_mul_hi_u32 s25, s2, s60
	s_add_i32 s24, s25, s24
	s_mul_i32 s3, s3, s60
	s_add_i32 s24, s24, s3
	s_mul_i32 s2, s2, s60
	s_add_u32 s2, s2, s56
	s_addc_u32 s3, s24, s61
	s_lshl_b64 s[2:3], s[2:3], 8
	s_add_u32 s24, s4, s2
	s_addc_u32 s25, s5, s3
.LBB667_10:                             ;   in Loop: Header=BB667_6 Depth=1
	v_perm_b32 v11, v9, v8, s37
	v_perm_b32 v10, v7, v6, s37
	;; [unrolled: 1-line block ×4, first 2 shown]
	ds_write_b64 v75, v[10:11]
	ds_write_b64 v76, v[12:13]
	;; [unrolled: 1-line block ×4, first 2 shown]
	s_waitcnt lgkmcnt(0)
	s_barrier
	ds_read_b64 v[18:19], v79 offset:16384
	ds_read_b64 v[20:21], v81 offset:16384
	ds_read2st64_b64 v[10:13], v80 offset1:1
	ds_read2st64_b64 v[14:17], v80 offset0:2 offset1:3
	ds_read_b64 v[22:23], v82 offset:16384
	s_waitcnt lgkmcnt(2)
	v_mfma_f32_16x16x16_bf16 a[0:3], v[18:19], v[10:11], 0
	ds_read_b64 v[10:11], v83 offset:16384
	s_add_i32 s2, s64, 63
	s_mul_i32 s3, s2, s31
	v_mfma_f32_16x16x16_bf16 a[0:3], v[20:21], v[12:13], a[0:3]
	s_mul_hi_u32 s27, s2, s30
	s_add_i32 s3, s27, s3
	s_mul_i32 s2, s2, s30
	s_waitcnt lgkmcnt(1)
	v_mfma_f32_16x16x16_bf16 a[0:3], v[22:23], v[14:15], a[0:3]
	s_lshl_b64 s[2:3], s[2:3], 2
	s_add_u32 s2, s44, s2
	s_addc_u32 s3, s45, s3
	s_waitcnt lgkmcnt(0)
	v_mfma_f32_16x16x16_bf16 a[0:3], v[10:11], v[16:17], a[0:3]
	s_and_b64 vcc, exec, s[0:1]
	v_mov_b32_e32 v100, 0
	v_mov_b32_e32 v99, 0
	;; [unrolled: 1-line block ×19, first 2 shown]
	s_cbranch_vccnz .LBB667_12
; %bb.11:                               ;   in Loop: Header=BB667_6 Depth=1
	s_and_b32 s21, s21, 0xffff
	buffer_load_dwordx4 v[22:25], v71, s[20:23], 0 offen
	buffer_load_dwordx4 v[18:21], v71, s[20:23], s62 offen
	;; [unrolled: 1-line block ×4, first 2 shown]
	v_mov_b32_e32 v99, v73
	v_mov_b32_e32 v98, v74
.LBB667_12:                             ;   in Loop: Header=BB667_6 Depth=1
	v_add_u32_e32 v32, s64, v67
	v_ashrrev_i32_e32 v26, 31, v32
	v_mul_lo_u32 v28, v26, s30
	v_mul_lo_u32 v29, v32, s31
	v_mad_u64_u32 v[26:27], s[20:21], v32, s30, 0
	v_add3_u32 v27, v27, v29, v28
	v_add_u32_e32 v28, 1, v32
	v_ashrrev_i32_e32 v29, 31, v28
	v_mul_lo_u32 v30, v29, s30
	v_mul_lo_u32 v31, v28, s31
	v_mad_u64_u32 v[28:29], s[20:21], v28, s30, 0
	v_add3_u32 v29, v29, v31, v30
	v_add_u32_e32 v30, 2, v32
	v_ashrrev_i32_e32 v31, 31, v30
	v_mul_lo_u32 v33, v31, s30
	v_mul_lo_u32 v34, v30, s31
	v_mad_u64_u32 v[30:31], s[20:21], v30, s30, 0
	s_add_u32 s20, s16, s64
	v_add3_u32 v31, v31, v34, v33
	v_add_u32_e32 v34, 3, v32
	s_addc_u32 s21, s17, 0
	v_ashrrev_i32_e32 v32, 31, v34
	s_lshl_b64 s[20:21], s[20:21], 8
	v_lshl_add_u64 v[26:27], v[26:27], 2, s[44:45]
	v_mul_lo_u32 v35, v32, s30
	v_lshl_add_u64 v[32:33], v[58:59], 0, s[20:21]
	v_mul_lo_u32 v36, v34, s31
	global_load_ushort v46, v[32:33], off
	global_load_ushort v47, v[32:33], off offset:256
	global_load_ushort v48, v[32:33], off offset:512
	;; [unrolled: 1-line block ×3, first 2 shown]
	global_load_dword v50, v[26:27], off
	v_mad_u64_u32 v[26:27], s[70:71], v34, s30, 0
	v_lshl_add_u64 v[28:29], v[28:29], 2, s[44:45]
	v_add3_u32 v27, v27, v36, v35
	v_lshl_add_u64 v[30:31], v[30:31], 2, s[44:45]
	v_lshl_add_u64 v[26:27], v[26:27], 2, s[44:45]
	global_load_dword v51, v[28:29], off
	global_load_dword v52, v[30:31], off
	;; [unrolled: 1-line block ×3, first 2 shown]
	s_load_dword s2, s[2:3], 0x0
	ds_read_b64 v[34:35], v79 offset:24576
	ds_read2st64_b64 v[30:33], v84 offset1:1
	ds_read2st64_b64 v[36:39], v84 offset0:2 offset1:3
	ds_read_b64 v[40:41], v81 offset:24576
	ds_read_b64 v[42:43], v82 offset:24576
	;; [unrolled: 1-line block ×3, first 2 shown]
	s_waitcnt lgkmcnt(0)
	v_mfma_f32_16x16x16_bf16 a[0:3], v[34:35], v[30:31], a[0:3]
	v_mov_b32_e32 v101, 0
	v_mov_b32_e32 v26, 0
	;; [unrolled: 1-line block ×3, first 2 shown]
	v_mfma_f32_16x16x16_bf16 a[0:3], v[40:41], v[32:33], a[0:3]
	v_mov_b32_e32 v28, 0
	v_mov_b32_e32 v29, 0
	;; [unrolled: 1-line block ×3, first 2 shown]
	v_mfma_f32_16x16x16_bf16 a[0:3], v[42:43], v[36:37], a[0:3]
	v_lshl_add_u64 v[36:37], v[60:61], 0, s[20:21]
	v_mov_b32_e32 v31, 0
	v_mov_b32_e32 v32, 0
	v_mfma_f32_16x16x16_bf16 a[0:3], v[44:45], v[38:39], a[0:3]
	v_mov_b32_e32 v33, 0
	v_mov_b32_e32 v34, 0
	;; [unrolled: 1-line block ×3, first 2 shown]
	s_and_b64 vcc, exec, s[0:1]
	s_waitcnt vmcnt(7)
	v_lshlrev_b32_e32 v42, 16, v46
	s_nop 0
	v_accvgpr_read_b32 v41, a1
	v_accvgpr_read_b32 v39, a3
	v_accvgpr_read_b32 v38, a2
	v_accvgpr_read_b32 v40, a0
	s_waitcnt vmcnt(6)
	v_lshlrev_b32_e32 v43, 16, v47
	s_waitcnt vmcnt(4)
	v_lshlrev_b32_e32 v45, 16, v49
	v_lshlrev_b32_e32 v44, 16, v48
	s_waitcnt vmcnt(3)
	v_sub_f32_e32 v46, s2, v50
	v_pk_add_f32 v[40:41], v[42:43], v[40:41] neg_lo:[0,1] neg_hi:[0,1]
	v_pk_add_f32 v[38:39], v[44:45], v[38:39] neg_lo:[0,1] neg_hi:[0,1]
	s_waitcnt vmcnt(2)
	v_sub_f32_e32 v43, s2, v51
	s_waitcnt vmcnt(1)
	v_sub_f32_e32 v44, s2, v52
	;; [unrolled: 2-line block ×3, first 2 shown]
	v_exp_f32_e32 v42, v46
	v_exp_f32_e32 v43, v43
	;; [unrolled: 1-line block ×4, first 2 shown]
	global_store_short_d16_hi v[36:37], v40, off
	global_store_short_d16_hi v[36:37], v41, off offset:256
	global_store_short_d16_hi v[36:37], v38, off offset:512
	;; [unrolled: 1-line block ×3, first 2 shown]
	v_pk_mul_f32 v[36:37], v[42:43], v[40:41]
	v_pk_mul_f32 v[38:39], v[44:45], v[38:39]
	v_perm_b32 v36, v37, v36, s37
	v_perm_b32 v37, v39, v38, s37
	ds_write_b64 v76, v[36:37]
	v_mov_b32_e32 v36, 0
	v_mov_b32_e32 v37, 0
	;; [unrolled: 1-line block ×6, first 2 shown]
	s_cbranch_vccnz .LBB667_14
; %bb.13:                               ;   in Loop: Header=BB667_6 Depth=1
	s_and_b32 s25, s25, 0xffff
	s_mov_b32 s27, s23
	buffer_load_dwordx4 v[38:41], v86, s[24:27], 0 offen
	buffer_load_dwordx4 v[30:33], v86, s[24:27], s62 offen
	;; [unrolled: 1-line block ×4, first 2 shown]
	v_mov_b32_e32 v100, v70
	v_mov_b32_e32 v101, v69
.LBB667_14:                             ;   in Loop: Header=BB667_6 Depth=1
	s_waitcnt lgkmcnt(0)
	s_barrier
	ds_read_b64 v[42:43], v89
	ds_read_b64 v[48:49], v90
	ds_read2st64_b64 v[44:47], v84 offset1:1
	ds_read2st64_b64 v[102:105], v84 offset0:2 offset1:3
	ds_read_b64 v[50:51], v91
	ds_read_b64 v[110:111], v92
	s_add_i32 s3, s57, s68
	s_mul_hi_i32 s21, s3, s13
	s_mul_i32 s3, s3, s13
	s_waitcnt lgkmcnt(3)
	v_mfma_f32_16x16x16_bf16 a[0:3], v[42:43], v[44:45], 0
	ds_read_b64 v[42:43], v94
	s_add_u32 s20, s3, s50
	s_addc_u32 s21, s21, s54
	s_add_i32 s3, s35, s64
	v_mfma_f32_16x16x16_bf16 a[0:3], v[48:49], v[46:47], a[0:3]
	ds_read_b64 v[48:49], v95
	s_lshl_b64 s[20:21], s[20:21], 15
	s_mul_hi_i32 s25, s3, s13
	s_mul_i32 s3, s3, s13
	s_add_u32 s24, s3, s50
	s_addc_u32 s25, s25, s54
	s_lshl_b64 s[24:25], s[24:25], 9
	s_add_u32 s24, s42, s24
	s_waitcnt lgkmcnt(1)
	v_mfma_f32_16x16x16_bf16 a[4:7], v[42:43], v[44:45], 0
	s_addc_u32 s25, s43, s25
	s_and_b64 vcc, exec, s[0:1]
	v_mfma_f32_16x16x16_bf16 a[0:3], v[50:51], v[102:103], a[0:3]
	ds_read_b64 v[50:51], v96
	ds_read_b64 v[112:113], v97
	global_load_dwordx4 v[42:45], v93, s[24:25]
	s_waitcnt lgkmcnt(2)
	v_mfma_f32_16x16x16_bf16 a[4:7], v[48:49], v[46:47], a[4:7]
	global_load_dwordx4 v[46:49], v88, s[24:25]
	ds_read_b64 v[106:107], v55
	ds_read_b64 v[108:109], v85
	s_waitcnt lgkmcnt(3)
	v_mfma_f32_16x16x16_bf16 a[8:11], v[50:51], v[102:103], a[4:7]
	v_lshl_add_u64 v[50:51], v[56:57], 0, s[20:21]
	s_waitcnt lgkmcnt(0)
	global_store_dwordx4 v[50:51], v[106:109], off
	v_mfma_f32_16x16x16_bf16 a[4:7], v[110:111], v[104:105], a[0:3]
	s_waitcnt vmcnt(2)
	v_mov_b32_e32 v52, v45
	v_mfma_f32_16x16x16_bf16 a[0:3], v[112:113], v[104:105], a[8:11]
	v_mov_b32_e32 v51, v44
	v_mov_b32_e32 v50, v43
	s_cbranch_vccnz .LBB667_16
; %bb.15:                               ;   in Loop: Header=BB667_6 Depth=1
	v_lshrrev_b32_e32 v43, 3, v100
	v_and_b32_e32 v43, 6, v43
	v_xor_b32_e32 v44, v43, v101
	v_lshlrev_b32_e32 v44, 2, v44
	v_and_b32_e32 v45, 8, v100
	v_xor_b32_e32 v100, 0x440, v44
	v_cmp_eq_u32_e32 vcc, 0, v45
	v_perm_b32 v45, v30, v26, s65
	s_nop 0
	v_cndmask_b32_e32 v44, v100, v44, vcc
	v_lshl_or_b32 v43, v43, 10, v44
	v_perm_b32 v44, v38, v34, s65
	s_barrier
	ds_write2st64_b32 v43, v44, v45 offset1:32
	v_xor_b32_e32 v44, 8, v43
	v_perm_b32 v34, v38, v34, s66
	v_perm_b32 v26, v30, v26, s66
	v_add_u32_e32 v30, 0x80, v44
	ds_write2st64_b32 v30, v34, v26 offset1:32
	v_xor_b32_e32 v26, 16, v43
	v_perm_b32 v30, v39, v35, s65
	v_perm_b32 v34, v31, v27, s65
	ds_write2st64_b32 v26, v30, v34 offset0:1 offset1:33
	v_xor_b32_e32 v26, 24, v43
	v_perm_b32 v30, v39, v35, s66
	v_perm_b32 v27, v31, v27, s66
	v_add_u32_e32 v26, 0x80, v26
	ds_write2st64_b32 v26, v30, v27 offset0:1 offset1:33
	v_xor_b32_e32 v26, 32, v43
	v_perm_b32 v27, v40, v36, s65
	v_perm_b32 v30, v32, v28, s65
	ds_write2st64_b32 v26, v27, v30 offset0:2 offset1:34
	v_xor_b32_e32 v26, 40, v43
	v_perm_b32 v27, v40, v36, s66
	v_perm_b32 v28, v32, v28, s66
	v_add_u32_e32 v26, 0x80, v26
	ds_write2st64_b32 v26, v27, v28 offset0:2 offset1:34
	;; [unrolled: 9-line block ×3, first 2 shown]
	ds_write_b64 v99, v[22:23] offset:16384
	v_xor_b32_e32 v22, 8, v99
	ds_write_b64 v22, v[24:25] offset:16384
	ds_write_b64 v99, v[18:19] offset:24576
	;; [unrolled: 1-line block ×4, first 2 shown]
	v_xor_b32_e32 v14, 8, v98
	ds_write_b64 v14, v[16:17] offset:16384
	ds_write_b64 v98, v[10:11] offset:24576
	;; [unrolled: 1-line block ×3, first 2 shown]
.LBB667_16:                             ;   in Loop: Header=BB667_6 Depth=1
	v_exp_f32_e32 v18, s2
	s_waitcnt vmcnt(1)
	v_exp_f32_e32 v20, v46
	v_exp_f32_e32 v21, v47
	;; [unrolled: 1-line block ×4, first 2 shown]
	v_accvgpr_read_b32 v13, a7
	v_accvgpr_read_b32 v11, a5
	;; [unrolled: 1-line block ×3, first 2 shown]
	v_pk_mul_f32 v[20:21], v[18:19], v[20:21] op_sel_hi:[0,1]
	v_pk_fma_f32 v[6:7], v[6:7], v[20:21], v[10:11]
	v_exp_f32_e32 v20, v42
	v_exp_f32_e32 v21, v50
	v_pk_mul_f32 v[10:11], v[18:19], v[22:23] op_sel_hi:[0,1]
	v_exp_f32_e32 v22, v51
	v_exp_f32_e32 v23, v52
	v_accvgpr_read_b32 v12, a6
	v_accvgpr_read_b32 v17, a3
	;; [unrolled: 1-line block ×4, first 2 shown]
	v_pk_fma_f32 v[8:9], v[8:9], v[10:11], v[12:13]
	v_pk_mul_f32 v[10:11], v[18:19], v[20:21] op_sel_hi:[0,1]
	v_accvgpr_read_b32 v16, a2
	v_pk_fma_f32 v[2:3], v[2:3], v[10:11], v[14:15]
	v_pk_mul_f32 v[10:11], v[18:19], v[22:23] op_sel_hi:[0,1]
	s_add_i32 s64, s64, 64
	s_cmp_eq_u32 s53, s39
	v_pk_fma_f32 v[4:5], v[4:5], v[10:11], v[16:17]
	s_cbranch_scc1 .LBB667_18
; %bb.17:                               ;   in Loop: Header=BB667_6 Depth=1
	s_mov_b32 s68, s39
	s_branch .LBB667_6
.LBB667_18:
	s_lshl_b32 s26, s53, 6
	s_sub_i32 s27, s12, s26
	s_cmp_gt_i32 s27, 0
	s_cbranch_scc0 .LBB667_75
; %bb.19:
	s_ashr_i32 s2, s26, 31
	s_cmpk_lg_i32 s15, 0x80
	s_cselect_b64 s[22:23], -1, 0
	s_and_b64 vcc, exec, s[22:23]
	s_cbranch_vccz .LBB667_21
; %bb.20:
	s_mul_i32 s1, s52, s12
	s_mul_hi_i32 s0, s52, s12
	s_add_u32 s1, s1, s26
	s_addc_u32 s0, s0, s2
	s_mul_i32 s3, s1, s55
	s_mul_hi_u32 s17, s1, s14
	s_add_i32 s3, s17, s3
	s_mul_i32 s0, s0, s14
	s_add_i32 s3, s3, s0
	s_mul_i32 s1, s1, s14
	s_ashr_i32 s0, s56, 31
	s_add_u32 s24, s1, s56
	s_addc_u32 s25, s3, s0
	s_cbranch_execz .LBB667_22
	s_branch .LBB667_23
.LBB667_21:
                                        ; implicit-def: $sgpr24_sgpr25
.LBB667_22:
	s_mul_hi_i32 s0, s52, s14
	s_mul_i32 s52, s52, s14
	s_ashr_i32 s1, s56, 31
	s_add_u32 s3, s52, s56
	s_addc_u32 s0, s0, s1
	s_mul_i32 s1, s3, s51
	s_mul_hi_u32 s14, s3, s12
	s_add_i32 s1, s14, s1
	s_mul_i32 s0, s0, s12
	s_add_i32 s1, s1, s0
	s_mul_i32 s3, s3, s12
	s_add_u32 s24, s3, s26
	s_addc_u32 s25, s1, s2
.LBB667_23:
	s_mul_i32 s0, s40, s51
	s_add_i32 s0, s59, s0
	s_add_i32 s3, s57, s53
	;; [unrolled: 1-line block ×3, first 2 shown]
	s_add_u32 s0, s16, s26
	s_addc_u32 s1, s1, s2
	s_mov_b32 s2, 0x7060302
	s_waitcnt vmcnt(0)
	v_perm_b32 v5, v5, v4, s2
	v_perm_b32 v4, v3, v2, s2
	v_lshlrev_b32_e32 v2, 3, v64
	s_lshl_b64 s[20:21], s[0:1], 8
	v_perm_b32 v9, v9, v8, s2
	v_perm_b32 v8, v7, v6, s2
	v_lshlrev_b32_e32 v34, 2, v64
	v_lshl_or_b32 v2, v67, 5, v2
	s_waitcnt lgkmcnt(0)
	s_add_u32 s0, s6, s20
	ds_write2st64_b64 v2, v[8:9], v[4:5] offset0:72 offset1:76
	v_xor_b32_e32 v2, v67, v34
	v_lshlrev_b32_e32 v3, 8, v64
	s_addc_u32 s1, s7, s21
	v_lshl_or_b32 v2, v2, 1, v3
	s_mul_hi_i32 s6, s3, s13
	s_mul_i32 s3, s3, s13
	ds_write_b64 v2, v[8:9] offset:32768
	v_xor_b32_e32 v2, v68, v34
	s_add_u32 s2, s3, s50
	v_lshl_or_b32 v2, v2, 1, v3
	s_addc_u32 s3, s6, s54
	v_lshlrev_b32_e32 v3, 1, v64
	ds_write_b64 v2, v[4:5] offset:32768
	v_lshrrev_b32_e32 v2, 4, v0
	s_ashr_i32 s39, s38, 31
	s_lshl_b64 s[2:3], s[2:3], 15
	v_or_b32_e32 v4, 1, v3
	s_add_u32 s6, s18, s2
	v_xor_b32_e32 v3, v2, v3
	v_xor_b32_e32 v4, v4, v2
	v_lshlrev_b32_e32 v6, 8, v2
	s_addc_u32 s7, s19, s3
	s_lshl_b64 s[2:3], s[38:39], 8
	v_lshl_or_b32 v2, v3, 3, v6
	v_lshl_or_b32 v4, v4, 3, v6
	s_waitcnt lgkmcnt(0)
	s_barrier
	s_add_u32 s2, s6, s2
	ds_read_b64 v[2:3], v2 offset:32768
	ds_read_b64 v[4:5], v4 offset:32768
	s_addc_u32 s3, s7, s3
	v_mov_b32_e32 v7, 0
	s_cmp_lg_u32 s27, 64
	v_lshl_add_u64 v[8:9], s[2:3], 0, v[6:7]
	v_lshlrev_b32_e32 v6, 4, v64
	s_cselect_b64 s[6:7], -1, 0
	v_lshl_or_b32 v35, v62, 3, v66
	s_mov_b32 s16, 0
	v_lshl_add_u64 v[6:7], v[8:9], 0, v[6:7]
	v_or_b32_e32 v19, 32, v35
	v_and_b32_e32 v18, 56, v65
	s_and_b64 vcc, exec, s[6:7]
	s_waitcnt lgkmcnt(0)
	global_store_dwordx4 v[6:7], v[2:5], off
	s_cbranch_vccz .LBB667_29
; %bb.24:
	s_mov_b32 s17, s16
	s_mov_b32 s18, s16
	;; [unrolled: 1-line block ×3, first 2 shown]
	v_mov_b64_e32 v[6:7], s[16:17]
	v_mov_b64_e32 v[8:9], s[18:19]
	;; [unrolled: 1-line block ×3, first 2 shown]
	v_cmp_gt_i32_e32 vcc, s27, v35
	v_mov_b64_e32 v[4:5], v[8:9]
	s_and_saveexec_b64 s[2:3], vcc
	s_cbranch_execz .LBB667_26
; %bb.25:
	v_lshlrev_b32_e32 v2, 8, v35
	v_mov_b32_e32 v3, 0
	v_lshl_add_u64 v[4:5], s[0:1], 0, v[2:3]
	v_lshlrev_b32_e32 v2, 1, v18
	v_lshl_add_u64 v[10:11], v[4:5], 0, v[2:3]
	global_load_dwordx4 v[6:9], v[10:11], off
	global_load_dwordx4 v[2:5], v[10:11], off offset:128
.LBB667_26:
	s_or_b64 exec, exec, s[2:3]
	s_mov_b32 s17, s16
	s_mov_b32 s18, s16
	;; [unrolled: 1-line block ×3, first 2 shown]
	v_mov_b64_e32 v[14:15], s[16:17]
	v_mov_b64_e32 v[16:17], s[18:19]
	;; [unrolled: 1-line block ×3, first 2 shown]
	v_cmp_gt_i32_e32 vcc, s27, v19
	v_lshlrev_b32_e32 v20, 7, v19
	v_mov_b64_e32 v[12:13], v[16:17]
	s_and_saveexec_b64 s[2:3], vcc
	s_cbranch_execz .LBB667_28
; %bb.27:
	v_lshlrev_b32_e32 v10, 1, v20
	v_mov_b32_e32 v11, 0
	v_lshl_add_u64 v[12:13], s[0:1], 0, v[10:11]
	v_lshlrev_b32_e32 v10, 1, v18
	v_lshl_add_u64 v[22:23], v[12:13], 0, v[10:11]
	global_load_dwordx4 v[14:17], v[22:23], off
	global_load_dwordx4 v[10:13], v[22:23], off offset:128
.LBB667_28:
	s_or_b64 exec, exec, s[2:3]
	v_lshrrev_b32_e32 v21, 3, v18
	v_lshlrev_b32_e32 v22, 3, v35
	v_or_b32_e32 v21, v22, v21
	v_lshlrev_b32_e32 v21, 4, v21
	v_and_b32_e32 v22, 0x78, v22
	v_xor_b32_e32 v21, v21, v22
	s_branch .LBB667_31
.LBB667_29:
                                        ; implicit-def: $vgpr21
                                        ; implicit-def: $vgpr20
                                        ; implicit-def: $vgpr6_vgpr7_vgpr8_vgpr9
                                        ; implicit-def: $vgpr2_vgpr3_vgpr4_vgpr5
                                        ; implicit-def: $vgpr14_vgpr15_vgpr16_vgpr17
                                        ; implicit-def: $vgpr10_vgpr11_vgpr12_vgpr13
	s_cbranch_execz .LBB667_31
; %bb.30:
	s_waitcnt vmcnt(0)
	v_lshlrev_b32_e32 v2, 1, v18
	v_lshl_or_b32 v20, v35, 8, v2
	s_and_b32 s1, s1, 0xffff
	s_mov_b32 s3, 0x20000
	s_movk_i32 s2, 0x4000
	v_lshl_or_b32 v21, v19, 8, v2
	s_movk_i32 s13, 0x80
	buffer_load_dwordx4 v[6:9], v20, s[0:3], 0 offen
	buffer_load_dwordx4 v[2:5], v20, s[0:3], s13 offen
	;; [unrolled: 1-line block ×4, first 2 shown]
	v_lshrrev_b32_e32 v20, 3, v18
	v_lshlrev_b32_e32 v21, 3, v35
	v_or_b32_e32 v20, v21, v20
	v_lshlrev_b32_e32 v20, 4, v20
	v_and_b32_e32 v21, 0x78, v21
	v_xor_b32_e32 v21, v20, v21
	v_lshlrev_b32_e32 v20, 7, v19
.LBB667_31:
	s_lshl_b64 s[0:1], s[24:25], 8
	s_add_u32 s4, s4, s0
	s_movk_i32 s0, 0x1000
	v_and_or_b32 v19, v20, s0, v21
	s_waitcnt vmcnt(1)
	ds_write_b64 v21, v[6:7] offset:16384
	v_xor_b32_e32 v6, 8, v21
	ds_write_b64 v6, v[8:9] offset:16384
	s_waitcnt vmcnt(0)
	ds_write_b64 v21, v[2:3] offset:24576
	ds_write_b64 v6, v[4:5] offset:24576
	ds_write_b64 v19, v[14:15] offset:16384
	v_xor_b32_e32 v2, 8, v19
	ds_write_b64 v2, v[16:17] offset:16384
	ds_write_b64 v19, v[10:11] offset:24576
	;; [unrolled: 1-line block ×3, first 2 shown]
	v_or_b32_e32 v2, v1, v64
	s_addc_u32 s5, s5, s1
	s_add_i32 s0, s12, -1
	v_lshlrev_b32_e32 v2, 3, v2
	v_lshrrev_b32_e32 v4, 5, v53
	s_movk_i32 s12, 0xf8
	v_and_or_b32 v4, v2, s12, v4
	v_lshlrev_b32_e32 v3, 11, v62
	v_lshlrev_b32_e32 v12, 4, v4
	v_and_b32_e32 v13, 0x78, v2
	v_and_b32_e32 v14, 0x1000, v3
	v_lshlrev_b32_e32 v3, 2, v0
	v_xor_b32_e32 v2, v12, v13
	v_lshrrev_b32_e32 v4, 1, v53
	v_and_b32_e32 v3, 60, v3
	v_or_b32_e32 v2, v2, v14
	v_and_b32_e32 v15, 8, v4
	v_xor_b32_e32 v26, v2, v15
	v_lshl_or_b32 v2, v63, 6, v3
	v_lshlrev_b32_e32 v19, 1, v2
	v_or_b32_e32 v2, 32, v12
	v_xor_b32_e32 v2, v2, v13
	s_waitcnt lgkmcnt(0)
	s_barrier
	ds_read_b64 v[10:11], v26 offset:16384
	v_or_b32_e32 v2, v2, v14
	v_xor_b32_e32 v27, v2, v15
	v_or_b32_e32 v2, 64, v12
	v_xor_b32_e32 v2, v2, v13
	v_or_b32_e32 v2, v2, v14
	v_or_b32_e32 v12, 0x60, v12
	v_xor_b32_e32 v28, v2, v15
	ds_read2st64_b64 v[2:5], v19 offset0:72 offset1:73
	ds_read2st64_b64 v[6:9], v19 offset0:74 offset1:75
	v_xor_b32_e32 v16, v12, v13
	ds_read_b64 v[12:13], v27 offset:16384
	s_add_i32 s1, s46, s33
	s_waitcnt lgkmcnt(2)
	v_mfma_f32_16x16x16_bf16 a[0:3], v[10:11], v[2:3], 0
	s_add_i32 s37, s1, s47
	s_add_i32 s1, s48, s41
	;; [unrolled: 1-line block ×3, first 2 shown]
	s_ashr_i32 s1, s0, 31
	s_mul_i32 s2, s0, s31
	s_mul_hi_u32 s3, s0, s30
	s_add_i32 s2, s3, s2
	s_mul_i32 s1, s1, s30
	v_or_b32_e32 v14, v16, v14
	s_add_i32 s1, s2, s1
	s_lshl_b64 s[2:3], s[36:37], 2
	v_xor_b32_e32 v36, v14, v15
	ds_read_b64 v[14:15], v28 offset:16384
	ds_read_b64 v[16:17], v36 offset:16384
	s_waitcnt lgkmcnt(2)
	v_mfma_f32_16x16x16_bf16 a[0:3], v[12:13], v[4:5], a[0:3]
	s_add_u32 s10, s10, s2
	s_addc_u32 s11, s11, s3
	s_lshl_b64 s[2:3], s[34:35], 2
	s_mul_i32 s0, s0, s30
	s_add_u32 s10, s10, s2
	s_addc_u32 s11, s11, s3
	s_lshl_b64 s[0:1], s[0:1], 2
	s_waitcnt lgkmcnt(1)
	v_mfma_f32_16x16x16_bf16 a[0:3], v[14:15], v[6:7], a[0:3]
	s_add_u32 s0, s10, s0
	s_addc_u32 s1, s11, s1
	s_load_dword s12, s[0:1], 0x0
	s_waitcnt lgkmcnt(0)
	v_mfma_f32_16x16x16_bf16 a[0:3], v[16:17], v[8:9], a[0:3]
	s_and_b64 vcc, exec, s[22:23]
	s_cbranch_vccz .LBB667_42
; %bb.32:
	v_lshlrev_b32_e32 v20, 1, v35
	s_and_b64 vcc, exec, s[6:7]
	s_cbranch_vccz .LBB667_43
; %bb.33:
	v_cmp_gt_i32_e32 vcc, s27, v20
	v_mov_b32_e32 v6, 0
	v_mov_b32_e32 v2, 0
	;; [unrolled: 1-line block ×5, first 2 shown]
	s_and_saveexec_b64 s[0:1], vcc
	s_cbranch_execz .LBB667_35
; %bb.34:
	v_mad_i64_i32 v[2:3], s[2:3], s15, v20, 0
	v_lshl_add_u64 v[2:3], v[2:3], 1, s[4:5]
	v_lshlrev_b32_e32 v4, 1, v18
	v_mov_b32_e32 v5, 0
	v_lshl_add_u64 v[2:3], v[2:3], 0, v[4:5]
	global_load_dwordx4 v[2:5], v[2:3], off
.LBB667_35:
	s_or_b64 exec, exec, s[0:1]
	v_or_b32_e32 v21, 1, v20
	v_cmp_gt_i32_e64 s[0:1], s27, v21
	v_mov_b32_e32 v7, 0
	v_mov_b32_e32 v8, 0
	;; [unrolled: 1-line block ×3, first 2 shown]
	s_and_saveexec_b64 s[2:3], s[0:1]
	s_cbranch_execz .LBB667_37
; %bb.36:
	v_mad_i64_i32 v[6:7], s[16:17], s15, v21, 0
	v_lshl_add_u64 v[6:7], v[6:7], 1, s[4:5]
	v_lshlrev_b32_e32 v8, 1, v18
	v_mov_b32_e32 v9, 0
	v_lshl_add_u64 v[6:7], v[6:7], 0, v[8:9]
	global_load_dwordx4 v[6:9], v[6:7], off
.LBB667_37:
	s_or_b64 exec, exec, s[2:3]
	v_mov_b32_e32 v17, 0
	v_mov_b32_e32 v10, 0
	;; [unrolled: 1-line block ×5, first 2 shown]
	s_and_saveexec_b64 s[2:3], vcc
	s_cbranch_execz .LBB667_39
; %bb.38:
	v_mad_i64_i32 v[10:11], s[16:17], s15, v20, 0
	v_lshl_add_u64 v[10:11], v[10:11], 1, s[4:5]
	v_lshlrev_b32_e32 v12, 1, v18
	v_mov_b32_e32 v13, 0
	v_lshl_add_u64 v[10:11], v[10:11], 0, v[12:13]
	global_load_dwordx4 v[10:13], v[10:11], off offset:128
.LBB667_39:
	s_or_b64 exec, exec, s[2:3]
	v_mov_b32_e32 v16, 0
	v_mov_b32_e32 v15, 0
	;; [unrolled: 1-line block ×3, first 2 shown]
	s_and_saveexec_b64 s[2:3], s[0:1]
	s_cbranch_execz .LBB667_41
; %bb.40:
	v_mad_i64_i32 v[14:15], s[0:1], s15, v21, 0
	v_lshl_add_u64 v[14:15], v[14:15], 1, s[4:5]
	v_lshlrev_b32_e32 v16, 1, v18
	v_mov_b32_e32 v17, 0
	v_lshl_add_u64 v[14:15], v[14:15], 0, v[16:17]
	global_load_dwordx4 v[14:17], v[14:15], off offset:128
.LBB667_41:
	s_or_b64 exec, exec, s[2:3]
	s_branch .LBB667_45
.LBB667_42:
                                        ; implicit-def: $vgpr5
                                        ; implicit-def: $vgpr9
                                        ; implicit-def: $vgpr13
                                        ; implicit-def: $vgpr17
	v_lshrrev_b32_e32 v37, 2, v53
	s_branch .LBB667_46
.LBB667_43:
                                        ; implicit-def: $vgpr5
                                        ; implicit-def: $vgpr9
                                        ; implicit-def: $vgpr13
                                        ; implicit-def: $vgpr17
	s_cbranch_execz .LBB667_45
; %bb.44:
	s_waitcnt vmcnt(0)
	v_mad_u64_u32 v[2:3], s[0:1], v20, s15, v[18:19]
	v_lshlrev_b32_e32 v20, 1, v2
	s_lshl_b32 s2, s15, 7
	s_and_b32 s1, s5, 0xffff
	s_mov_b32 s3, 0x20000
	s_mov_b32 s0, s4
	v_add_lshl_u32 v21, v2, s15, 1
	s_movk_i32 s13, 0x80
	buffer_load_dwordx4 v[2:5], v20, s[0:3], 0 offen
	buffer_load_dwordx4 v[10:13], v20, s[0:3], s13 offen
	;; [unrolled: 1-line block ×4, first 2 shown]
.LBB667_45:
	v_lshrrev_b32_e32 v37, 2, v53
	s_cbranch_execnz .LBB667_58
.LBB667_46:
	s_and_b64 vcc, exec, s[6:7]
	s_cbranch_vccz .LBB667_56
; %bb.47:
	s_waitcnt vmcnt(0)
	v_lshlrev_b32_e32 v7, 1, v35
	v_cmp_gt_i32_e32 vcc, s27, v7
	v_mov_b32_e32 v6, 0
	v_lshlrev_b32_e32 v14, 9, v35
	v_mov_b32_e32 v2, 0
	v_mov_b32_e32 v3, 0
	v_mov_b32_e32 v4, 0
	v_mov_b32_e32 v5, 0
	s_and_saveexec_b64 s[0:1], vcc
	s_cbranch_execz .LBB667_49
; %bb.48:
	v_mov_b32_e32 v15, 0
	v_lshl_add_u64 v[2:3], s[4:5], 0, v[14:15]
	v_lshlrev_b32_e32 v4, 1, v18
	v_mov_b32_e32 v5, v15
	v_lshl_add_u64 v[2:3], v[2:3], 0, v[4:5]
	global_load_dwordx4 v[2:5], v[2:3], off
.LBB667_49:
	s_or_b64 exec, exec, s[0:1]
	v_or_b32_e32 v7, 1, v7
	v_cmp_gt_i32_e64 s[0:1], s27, v7
	v_lshlrev_b32_e32 v20, 8, v7
	v_mov_b32_e32 v7, 0
	v_mov_b32_e32 v8, 0
	;; [unrolled: 1-line block ×3, first 2 shown]
	s_and_saveexec_b64 s[2:3], s[0:1]
	s_cbranch_execz .LBB667_51
; %bb.50:
	v_mov_b32_e32 v21, 0
	v_lshl_add_u64 v[6:7], s[4:5], 0, v[20:21]
	v_lshlrev_b32_e32 v8, 1, v18
	v_mov_b32_e32 v9, v21
	v_lshl_add_u64 v[6:7], v[6:7], 0, v[8:9]
	global_load_dwordx4 v[6:9], v[6:7], off
.LBB667_51:
	s_or_b64 exec, exec, s[2:3]
	v_mov_b32_e32 v17, 0
	v_mov_b32_e32 v10, 0
	;; [unrolled: 1-line block ×5, first 2 shown]
	s_and_saveexec_b64 s[2:3], vcc
	s_cbranch_execz .LBB667_53
; %bb.52:
	v_mov_b32_e32 v15, 0
	v_lshl_add_u64 v[10:11], s[4:5], 0, v[14:15]
	v_lshlrev_b32_e32 v14, 1, v18
	v_lshl_add_u64 v[10:11], v[10:11], 0, v[14:15]
	global_load_dwordx4 v[10:13], v[10:11], off offset:128
.LBB667_53:
	s_or_b64 exec, exec, s[2:3]
	v_mov_b32_e32 v16, 0
	v_mov_b32_e32 v15, 0
	;; [unrolled: 1-line block ×3, first 2 shown]
	s_and_saveexec_b64 s[2:3], s[0:1]
	s_cbranch_execz .LBB667_55
; %bb.54:
	v_mov_b32_e32 v21, 0
	v_lshl_add_u64 v[14:15], s[4:5], 0, v[20:21]
	v_lshlrev_b32_e32 v20, 1, v18
	v_lshl_add_u64 v[14:15], v[14:15], 0, v[20:21]
	global_load_dwordx4 v[14:17], v[14:15], off offset:128
.LBB667_55:
	s_or_b64 exec, exec, s[2:3]
	s_branch .LBB667_58
.LBB667_56:
                                        ; implicit-def: $vgpr5
                                        ; implicit-def: $vgpr9
                                        ; implicit-def: $vgpr13
                                        ; implicit-def: $vgpr17
	s_cbranch_execz .LBB667_58
; %bb.57:
	s_waitcnt vmcnt(0)
	v_lshlrev_b32_e32 v2, 1, v18
	v_lshl_or_b32 v18, v35, 9, v2
	s_and_b32 s5, s5, 0xffff
	s_mov_b32 s7, 0x20000
	s_movk_i32 s6, 0x4000
	s_movk_i32 s0, 0x80
	buffer_load_dwordx4 v[2:5], v18, s[4:7], 0 offen
	buffer_load_dwordx4 v[6:9], v18, s[4:7], 0 offen offset:256
	buffer_load_dwordx4 v[10:13], v18, s[4:7], s0 offen
	buffer_load_dwordx4 v[14:17], v18, s[4:7], s0 offen offset:256
.LBB667_58:
	ds_read2st64_b64 v[22:25], v19 offset0:76 offset1:77
	ds_read2st64_b64 v[18:21], v19 offset0:78 offset1:79
	ds_read_b64 v[32:33], v26 offset:24576
	ds_read_b64 v[30:31], v27 offset:24576
	;; [unrolled: 1-line block ×4, first 2 shown]
	v_and_b32_e32 v36, 6, v0
	v_xor_b32_e32 v35, v35, v36
	v_lshlrev_b32_e32 v35, 2, v35
	v_and_b32_e32 v0, 1, v0
	v_xor_b32_e32 v38, 0x440, v35
	v_cmp_eq_u32_e32 vcc, 0, v0
	s_mov_b32 s0, 0x1000504
	s_mov_b32 s1, 0x3020706
	v_cndmask_b32_e32 v0, v38, v35, vcc
	v_lshl_or_b32 v0, v36, 10, v0
	s_waitcnt vmcnt(0)
	v_perm_b32 v35, v2, v6, s0
	v_perm_b32 v36, v10, v14, s0
	ds_write2st64_b32 v0, v35, v36 offset1:32
	v_xor_b32_e32 v35, 8, v0
	v_perm_b32 v2, v2, v6, s1
	v_perm_b32 v6, v10, v14, s1
	v_add_u32_e32 v10, 0x80, v35
	ds_write2st64_b32 v10, v2, v6 offset1:32
	v_xor_b32_e32 v2, 16, v0
	v_perm_b32 v6, v3, v7, s0
	v_perm_b32 v10, v11, v15, s0
	ds_write2st64_b32 v2, v6, v10 offset0:1 offset1:33
	v_xor_b32_e32 v2, 24, v0
	v_perm_b32 v3, v3, v7, s1
	v_perm_b32 v6, v11, v15, s1
	v_add_u32_e32 v2, 0x80, v2
	ds_write2st64_b32 v2, v3, v6 offset0:1 offset1:33
	v_xor_b32_e32 v2, 32, v0
	v_perm_b32 v3, v4, v8, s0
	v_perm_b32 v6, v12, v16, s0
	ds_write2st64_b32 v2, v3, v6 offset0:2 offset1:34
	v_xor_b32_e32 v2, 40, v0
	v_perm_b32 v3, v4, v8, s1
	v_perm_b32 v4, v12, v16, s1
	v_add_u32_e32 v2, 0x80, v2
	ds_write2st64_b32 v2, v3, v4 offset0:2 offset1:34
	v_xor_b32_e32 v2, 48, v0
	v_perm_b32 v3, v5, v9, s0
	v_perm_b32 v4, v13, v17, s0
	v_xor_b32_e32 v0, 56, v0
	v_and_or_b32 v8, v37, 12, v1
	ds_write2st64_b32 v2, v3, v4 offset0:3 offset1:35
	v_perm_b32 v2, v5, v9, s1
	v_perm_b32 v3, v13, v17, s1
	v_add_u32_e32 v0, 0x80, v0
	v_cmp_gt_i32_e64 s[2:3], s27, v8
	v_mov_b32_e32 v10, 0
	v_mov_b32_e32 v15, 0
	ds_write2st64_b32 v0, v2, v3 offset0:3 offset1:35
	s_and_saveexec_b64 s[0:1], s[2:3]
	s_cbranch_execz .LBB667_60
; %bb.59:
	v_add_u32_e32 v0, s26, v8
	v_ashrrev_i32_e32 v1, 31, v0
	v_mul_lo_u32 v2, v1, s30
	v_mul_lo_u32 v3, v0, s31
	v_mad_u64_u32 v[0:1], s[4:5], v0, s30, 0
	v_add3_u32 v1, v1, v3, v2
	v_lshl_add_u64 v[0:1], v[0:1], 2, s[10:11]
	global_load_dword v0, v[0:1], off
	s_waitcnt vmcnt(0)
	v_sub_f32_e32 v0, s12, v0
	v_exp_f32_e32 v15, v0
.LBB667_60:
	s_or_b64 exec, exec, s[0:1]
	v_or_b32_e32 v13, 1, v8
	v_cmp_gt_i32_e64 s[4:5], s27, v13
	s_and_saveexec_b64 s[0:1], s[4:5]
	s_cbranch_execz .LBB667_62
; %bb.61:
	v_add_u32_e32 v0, s26, v13
	v_ashrrev_i32_e32 v1, 31, v0
	v_mul_lo_u32 v2, v1, s30
	v_mul_lo_u32 v3, v0, s31
	v_mad_u64_u32 v[0:1], s[6:7], v0, s30, 0
	v_add3_u32 v1, v1, v3, v2
	v_lshl_add_u64 v[0:1], v[0:1], 2, s[10:11]
	global_load_dword v0, v[0:1], off
	s_waitcnt vmcnt(0)
	v_sub_f32_e32 v0, s12, v0
	v_exp_f32_e32 v10, v0
.LBB667_62:
	s_or_b64 exec, exec, s[0:1]
	v_or_b32_e32 v11, 2, v8
	v_cmp_gt_i32_e32 vcc, s27, v11
	v_mov_b32_e32 v9, 0
	v_mov_b32_e32 v14, 0
	s_and_saveexec_b64 s[0:1], vcc
	s_cbranch_execz .LBB667_64
; %bb.63:
	v_add_u32_e32 v0, s26, v11
	v_ashrrev_i32_e32 v1, 31, v0
	v_mul_lo_u32 v2, v1, s30
	v_mul_lo_u32 v3, v0, s31
	v_mad_u64_u32 v[0:1], s[6:7], v0, s30, 0
	v_add3_u32 v1, v1, v3, v2
	v_lshl_add_u64 v[0:1], v[0:1], 2, s[10:11]
	global_load_dword v0, v[0:1], off
	s_waitcnt vmcnt(0)
	v_sub_f32_e32 v0, s12, v0
	v_exp_f32_e32 v14, v0
.LBB667_64:
	s_or_b64 exec, exec, s[0:1]
	v_or_b32_e32 v12, 3, v8
	v_cmp_gt_i32_e64 s[0:1], s27, v12
	s_and_saveexec_b64 s[6:7], s[0:1]
	s_cbranch_execz .LBB667_66
; %bb.65:
	v_add_u32_e32 v0, s26, v12
	v_ashrrev_i32_e32 v1, 31, v0
	v_mul_lo_u32 v2, v1, s30
	v_mul_lo_u32 v3, v0, s31
	v_mad_u64_u32 v[0:1], s[14:15], v0, s30, 0
	v_add3_u32 v1, v1, v3, v2
	v_lshl_add_u64 v[0:1], v[0:1], 2, s[10:11]
	global_load_dword v0, v[0:1], off
	s_waitcnt vmcnt(0)
	v_sub_f32_e32 v0, s12, v0
	v_exp_f32_e32 v9, v0
.LBB667_66:
	s_or_b64 exec, exec, s[6:7]
	s_waitcnt lgkmcnt(11)
	v_mfma_f32_16x16x16_bf16 a[0:3], v[32:33], v[22:23], a[0:3]
	s_add_u32 s6, s8, s20
	v_ashrrev_i32_e32 v55, 31, v54
	s_addc_u32 s7, s9, s21
	s_waitcnt lgkmcnt(10)
	v_mfma_f32_16x16x16_bf16 a[0:3], v[30:31], v[24:25], a[0:3]
	v_lshlrev_b64 v[0:1], 1, v[54:55]
	v_lshl_add_u64 v[4:5], s[6:7], 0, v[0:1]
	s_add_u32 s6, s28, s20
	s_waitcnt lgkmcnt(9)
	v_mfma_f32_16x16x16_bf16 a[0:3], v[28:29], v[18:19], a[0:3]
	s_addc_u32 s7, s29, s21
	v_lshl_add_u64 v[6:7], s[6:7], 0, v[0:1]
	v_mov_b32_e32 v16, 0
	s_waitcnt lgkmcnt(8)
	v_mfma_f32_16x16x16_bf16 a[0:3], v[26:27], v[20:21], a[0:3]
	v_mov_b32_e32 v17, 0
	s_nop 5
	v_accvgpr_read_b32 v0, a0
	v_accvgpr_read_b32 v1, a1
	;; [unrolled: 1-line block ×4, first 2 shown]
	s_and_saveexec_b64 s[6:7], s[2:3]
	s_cbranch_execz .LBB667_68
; %bb.67:
	v_lshlrev_b32_e32 v18, 8, v8
	v_mov_b32_e32 v19, 0
	v_lshl_add_u64 v[20:21], v[4:5], 0, v[18:19]
	global_load_ushort v17, v[20:21], off
	v_lshl_add_u64 v[18:19], v[6:7], 0, v[18:19]
	s_waitcnt vmcnt(0)
	v_lshlrev_b32_e32 v17, 16, v17
	v_sub_f32_e32 v0, v17, v0
	global_store_short_d16_hi v[18:19], v0, off
	v_mul_f32_e32 v0, v15, v0
	v_lshrrev_b32_e32 v17, 16, v0
.LBB667_68:
	s_or_b64 exec, exec, s[6:7]
	s_and_saveexec_b64 s[2:3], s[4:5]
	s_cbranch_execz .LBB667_70
; %bb.69:
	v_lshlrev_b32_e32 v18, 8, v13
	v_mov_b32_e32 v19, 0
	v_lshl_add_u64 v[20:21], v[4:5], 0, v[18:19]
	global_load_ushort v0, v[20:21], off
	v_lshl_add_u64 v[18:19], v[6:7], 0, v[18:19]
	s_waitcnt vmcnt(0)
	v_lshlrev_b32_e32 v0, 16, v0
	v_sub_f32_e32 v0, v0, v1
	global_store_short_d16_hi v[18:19], v0, off
	v_mul_f32_e32 v0, v10, v0
	v_lshrrev_b32_e32 v16, 16, v0
.LBB667_70:
	s_or_b64 exec, exec, s[2:3]
	v_mov_b32_e32 v0, 0
	v_mov_b32_e32 v1, 0
	s_and_saveexec_b64 s[2:3], vcc
	s_cbranch_execz .LBB667_72
; %bb.71:
	v_lshlrev_b32_e32 v10, 8, v11
	v_mov_b32_e32 v11, 0
	v_lshl_add_u64 v[18:19], v[4:5], 0, v[10:11]
	global_load_ushort v1, v[18:19], off
	v_lshl_add_u64 v[10:11], v[6:7], 0, v[10:11]
	s_waitcnt vmcnt(0)
	v_lshlrev_b32_e32 v1, 16, v1
	v_sub_f32_e32 v1, v1, v2
	global_store_short_d16_hi v[10:11], v1, off
	v_mul_f32_e32 v1, v14, v1
	v_lshrrev_b32_e32 v1, 16, v1
.LBB667_72:
	s_or_b64 exec, exec, s[2:3]
	s_and_saveexec_b64 s[2:3], s[0:1]
	s_cbranch_execz .LBB667_74
; %bb.73:
	v_lshlrev_b32_e32 v10, 8, v12
	v_mov_b32_e32 v11, 0
	v_lshl_add_u64 v[4:5], v[4:5], 0, v[10:11]
	global_load_ushort v0, v[4:5], off
	v_lshl_add_u64 v[4:5], v[6:7], 0, v[10:11]
	s_waitcnt vmcnt(0)
	v_lshlrev_b32_e32 v0, 16, v0
	v_sub_f32_e32 v0, v0, v3
	global_store_short_d16_hi v[4:5], v0, off
	v_mul_f32_e32 v0, v9, v0
	v_lshrrev_b32_e32 v0, 16, v0
.LBB667_74:
	s_or_b64 exec, exec, s[2:3]
	s_mov_b32 s0, 0x5040100
	v_lshlrev_b32_e32 v2, 1, v34
	v_perm_b32 v1, v0, v1, s0
	v_perm_b32 v0, v16, v17, s0
	v_lshl_or_b32 v2, v8, 5, v2
	ds_write_b64 v2, v[0:1] offset:38912
	s_waitcnt lgkmcnt(0)
	s_barrier
.LBB667_75:
	s_endpgm
	.section	.rodata,"a",@progbits
	.p2align	6, 0x0
	.amdhsa_kernel _ZN12_GLOBAL__N_139chunk_gated_delta_rule_fwd_h_hip_kernelILi16ELb1ELb0ELb1ELb0ELb1ELb1ELb0ELb0EEEvPK12hip_bfloat16S3_S3_PKfS5_PKvPS1_S8_PvPKiSB_iiiiilll
		.amdhsa_group_segment_fixed_size 40960
		.amdhsa_private_segment_fixed_size 0
		.amdhsa_kernarg_size 136
		.amdhsa_user_sgpr_count 2
		.amdhsa_user_sgpr_dispatch_ptr 0
		.amdhsa_user_sgpr_queue_ptr 0
		.amdhsa_user_sgpr_kernarg_segment_ptr 1
		.amdhsa_user_sgpr_dispatch_id 0
		.amdhsa_user_sgpr_kernarg_preload_length 0
		.amdhsa_user_sgpr_kernarg_preload_offset 0
		.amdhsa_user_sgpr_private_segment_size 0
		.amdhsa_uses_dynamic_stack 0
		.amdhsa_enable_private_segment 0
		.amdhsa_system_sgpr_workgroup_id_x 1
		.amdhsa_system_sgpr_workgroup_id_y 1
		.amdhsa_system_sgpr_workgroup_id_z 0
		.amdhsa_system_sgpr_workgroup_info 0
		.amdhsa_system_vgpr_workitem_id 0
		.amdhsa_next_free_vgpr 128
		.amdhsa_next_free_sgpr 72
		.amdhsa_accum_offset 116
		.amdhsa_reserve_vcc 1
		.amdhsa_float_round_mode_32 0
		.amdhsa_float_round_mode_16_64 0
		.amdhsa_float_denorm_mode_32 3
		.amdhsa_float_denorm_mode_16_64 3
		.amdhsa_dx10_clamp 1
		.amdhsa_ieee_mode 1
		.amdhsa_fp16_overflow 0
		.amdhsa_tg_split 0
		.amdhsa_exception_fp_ieee_invalid_op 0
		.amdhsa_exception_fp_denorm_src 0
		.amdhsa_exception_fp_ieee_div_zero 0
		.amdhsa_exception_fp_ieee_overflow 0
		.amdhsa_exception_fp_ieee_underflow 0
		.amdhsa_exception_fp_ieee_inexact 0
		.amdhsa_exception_int_div_zero 0
	.end_amdhsa_kernel
	.section	.text._ZN12_GLOBAL__N_139chunk_gated_delta_rule_fwd_h_hip_kernelILi16ELb1ELb0ELb1ELb0ELb1ELb1ELb0ELb0EEEvPK12hip_bfloat16S3_S3_PKfS5_PKvPS1_S8_PvPKiSB_iiiiilll,"axG",@progbits,_ZN12_GLOBAL__N_139chunk_gated_delta_rule_fwd_h_hip_kernelILi16ELb1ELb0ELb1ELb0ELb1ELb1ELb0ELb0EEEvPK12hip_bfloat16S3_S3_PKfS5_PKvPS1_S8_PvPKiSB_iiiiilll,comdat
.Lfunc_end667:
	.size	_ZN12_GLOBAL__N_139chunk_gated_delta_rule_fwd_h_hip_kernelILi16ELb1ELb0ELb1ELb0ELb1ELb1ELb0ELb0EEEvPK12hip_bfloat16S3_S3_PKfS5_PKvPS1_S8_PvPKiSB_iiiiilll, .Lfunc_end667-_ZN12_GLOBAL__N_139chunk_gated_delta_rule_fwd_h_hip_kernelILi16ELb1ELb0ELb1ELb0ELb1ELb1ELb0ELb0EEEvPK12hip_bfloat16S3_S3_PKfS5_PKvPS1_S8_PvPKiSB_iiiiilll
                                        ; -- End function
	.section	.AMDGPU.csdata,"",@progbits
; Kernel info:
; codeLenInByte = 7428
; NumSgprs: 78
; NumVgprs: 114
; NumAgprs: 12
; TotalNumVgprs: 128
; ScratchSize: 0
; MemoryBound: 0
; FloatMode: 240
; IeeeMode: 1
; LDSByteSize: 40960 bytes/workgroup (compile time only)
; SGPRBlocks: 9
; VGPRBlocks: 15
; NumSGPRsForWavesPerEU: 78
; NumVGPRsForWavesPerEU: 128
; AccumOffset: 116
; Occupancy: 1
; WaveLimiterHint : 1
; COMPUTE_PGM_RSRC2:SCRATCH_EN: 0
; COMPUTE_PGM_RSRC2:USER_SGPR: 2
; COMPUTE_PGM_RSRC2:TRAP_HANDLER: 0
; COMPUTE_PGM_RSRC2:TGID_X_EN: 1
; COMPUTE_PGM_RSRC2:TGID_Y_EN: 1
; COMPUTE_PGM_RSRC2:TGID_Z_EN: 0
; COMPUTE_PGM_RSRC2:TIDIG_COMP_CNT: 0
; COMPUTE_PGM_RSRC3_GFX90A:ACCUM_OFFSET: 28
; COMPUTE_PGM_RSRC3_GFX90A:TG_SPLIT: 0
	.section	.text._ZN12_GLOBAL__N_139chunk_gated_delta_rule_fwd_h_hip_kernelILi16ELb1ELb0ELb0ELb0ELb1ELb1ELb0ELb0EEEvPK12hip_bfloat16S3_S3_PKfS5_PKvPS1_S8_PvPKiSB_iiiiilll,"axG",@progbits,_ZN12_GLOBAL__N_139chunk_gated_delta_rule_fwd_h_hip_kernelILi16ELb1ELb0ELb0ELb0ELb1ELb1ELb0ELb0EEEvPK12hip_bfloat16S3_S3_PKfS5_PKvPS1_S8_PvPKiSB_iiiiilll,comdat
	.globl	_ZN12_GLOBAL__N_139chunk_gated_delta_rule_fwd_h_hip_kernelILi16ELb1ELb0ELb0ELb0ELb1ELb1ELb0ELb0EEEvPK12hip_bfloat16S3_S3_PKfS5_PKvPS1_S8_PvPKiSB_iiiiilll ; -- Begin function _ZN12_GLOBAL__N_139chunk_gated_delta_rule_fwd_h_hip_kernelILi16ELb1ELb0ELb0ELb0ELb1ELb1ELb0ELb0EEEvPK12hip_bfloat16S3_S3_PKfS5_PKvPS1_S8_PvPKiSB_iiiiilll
	.p2align	8
	.type	_ZN12_GLOBAL__N_139chunk_gated_delta_rule_fwd_h_hip_kernelILi16ELb1ELb0ELb0ELb0ELb1ELb1ELb0ELb0EEEvPK12hip_bfloat16S3_S3_PKfS5_PKvPS1_S8_PvPKiSB_iiiiilll,@function
_ZN12_GLOBAL__N_139chunk_gated_delta_rule_fwd_h_hip_kernelILi16ELb1ELb0ELb0ELb0ELb1ELb1ELb0ELb0EEEvPK12hip_bfloat16S3_S3_PKfS5_PKvPS1_S8_PvPKiSB_iiiiilll: ; @_ZN12_GLOBAL__N_139chunk_gated_delta_rule_fwd_h_hip_kernelILi16ELb1ELb0ELb0ELb0ELb1ELb1ELb0ELb0EEEvPK12hip_bfloat16S3_S3_PKfS5_PKvPS1_S8_PvPKiSB_iiiiilll
; %bb.0:
	s_load_dwordx4 s[12:15], s[0:1], 0x5c
	s_load_dwordx4 s[16:19], s[0:1], 0x28
	s_abs_i32 s6, s3
	s_ashr_i32 s5, s3, 31
	v_and_b32_e32 v62, 15, v0
	s_waitcnt lgkmcnt(0)
	s_abs_i32 s4, s13
	v_cvt_f32_u32_e32 v1, s4
	s_sub_i32 s8, 0, s4
	s_ashr_i32 s7, s13, 31
	s_xor_b32 s5, s5, s7
	v_rcp_iflag_f32_e32 v1, v1
	v_lshrrev_b32_e32 v60, 6, v0
	v_bfe_u32 v61, v0, 4, 2
	v_mov_b32_e32 v5, 0
	v_mul_f32_e32 v1, 0x4f7ffffe, v1
	v_cvt_u32_f32_e32 v1, v1
	v_and_b32_e32 v53, 63, v0
	v_lshrrev_b32_e32 v64, 3, v53
	v_lshlrev_b32_e32 v63, 3, v0
	v_readfirstlane_b32 s9, v1
	s_mul_i32 s8, s8, s9
	s_mul_hi_u32 s8, s9, s8
	s_add_i32 s9, s9, s8
	s_mul_hi_u32 s8, s6, s9
	s_mul_i32 s9, s8, s4
	s_sub_i32 s6, s6, s9
	s_add_i32 s10, s8, 1
	s_sub_i32 s9, s6, s4
	s_cmp_ge_u32 s6, s4
	s_cselect_b32 s8, s10, s8
	s_cselect_b32 s6, s9, s6
	s_add_i32 s9, s8, 1
	s_cmp_ge_u32 s6, s4
	s_cselect_b32 s6, s9, s8
	s_xor_b32 s6, s6, s5
	s_sub_i32 s50, s6, s5
	s_mul_i32 s6, s50, s13
	s_sub_i32 s48, s3, s6
	s_abs_i32 s3, s14
	v_cvt_f32_u32_e32 v1, s3
	s_add_i32 s8, s12, 63
	s_ashr_i32 s9, s8, 31
	s_lshr_b32 s5, s9, 26
	v_rcp_iflag_f32_e32 v1, v1
	s_ashr_i32 s49, s12, 31
	s_add_i32 s8, s8, s5
	s_lshr_b32 s5, s49, 26
	v_mul_f32_e32 v1, 0x4f7ffffe, v1
	v_cvt_u32_f32_e32 v1, v1
	s_add_i32 s5, s12, s5
	s_ashr_i32 s53, s14, 31
	s_ashr_i32 s51, s5, 6
	s_lshl_b32 s36, s2, 4
	s_xor_b32 s2, s7, s53
	s_sub_i32 s5, 0, s3
	v_readfirstlane_b32 s7, v1
	s_mul_i32 s5, s5, s7
	s_mul_hi_u32 s5, s7, s5
	s_add_i32 s7, s7, s5
	s_mul_hi_u32 s5, s4, s7
	s_mul_i32 s7, s5, s3
	s_sub_i32 s4, s4, s7
	s_ashr_i32 s25, s8, 6
	s_add_i32 s7, s5, 1
	s_sub_i32 s8, s4, s3
	s_cmp_ge_u32 s4, s3
	s_cselect_b32 s5, s7, s5
	s_cselect_b32 s4, s8, s4
	s_add_i32 s7, s5, 1
	s_cmp_ge_u32 s4, s3
	s_cselect_b32 s3, s7, s5
	s_xor_b32 s3, s3, s2
	s_sub_i32 s2, s3, s2
	s_abs_i32 s3, s2
	v_cvt_f32_u32_e32 v1, s3
	s_sub_i32 s5, 0, s3
	s_abs_i32 s4, s48
	s_xor_b32 s2, s48, s2
	v_rcp_iflag_f32_e32 v1, v1
	s_ashr_i32 s2, s2, 31
	v_or_b32_e32 v54, s36, v62
	v_lshlrev_b32_e32 v2, 7, v54
	v_mul_f32_e32 v1, 0x4f7ffffe, v1
	v_cvt_u32_f32_e32 v1, v1
	v_ashrrev_i32_e32 v3, 31, v2
	s_mul_i32 s55, s50, s25
	v_readfirstlane_b32 s7, v1
	s_mul_i32 s5, s5, s7
	s_mul_hi_u32 s5, s7, s5
	s_add_i32 s7, s7, s5
	s_mul_hi_u32 s5, s4, s7
	s_mul_i32 s7, s5, s3
	s_sub_i32 s4, s4, s7
	s_add_i32 s7, s5, 1
	s_sub_i32 s8, s4, s3
	s_cmp_ge_u32 s4, s3
	s_cselect_b32 s5, s7, s5
	s_cselect_b32 s4, s8, s4
	s_add_i32 s7, s5, 1
	s_cmp_ge_u32 s4, s3
	s_cselect_b32 s3, s7, s5
	s_xor_b32 s3, s3, s2
	s_sub_i32 s54, s3, s2
	s_ashr_i32 s24, s50, 31
	s_ashr_i32 s52, s48, 31
	s_mul_hi_i32 s2, s50, s13
	s_add_u32 s38, s6, s48
	s_addc_u32 s39, s2, s52
	s_lshl_b64 s[2:3], s[38:39], 16
	v_lshlrev_b32_e32 v1, 4, v60
	s_add_u32 s2, s16, s2
	v_lshl_or_b32 v65, v61, 2, v1
	s_addc_u32 s3, s17, s3
	v_lshl_add_u64 v[2:3], v[2:3], 2, s[2:3]
	v_lshlrev_b32_e32 v4, 2, v65
	v_lshl_add_u64 v[10:11], v[2:3], 0, v[4:5]
	global_load_dwordx4 v[6:9], v[10:11], off
	global_load_dwordx4 v[2:5], v[10:11], off offset:256
	s_load_dwordx8 s[4:11], s[0:1], 0x0
	s_load_dwordx2 s[28:29], s[0:1], 0x80
	s_load_dwordx4 s[20:23], s[0:1], 0x70
	v_or_b32_e32 v66, 64, v65
	s_cmp_lt_i32 s12, 64
	s_mul_i32 s56, s39, s12
	s_mul_hi_u32 s57, s38, s12
	s_mul_i32 s16, s38, s12
	s_waitcnt lgkmcnt(0)
	s_mul_i32 s33, s50, s21
	s_mul_hi_u32 s44, s50, s20
	s_mul_i32 s45, s24, s20
	s_mul_i32 s34, s50, s20
	;; [unrolled: 1-line block ×3, first 2 shown]
	s_mul_hi_u32 s46, s48, s22
	s_mul_i32 s47, s52, s22
	s_mul_i32 s30, s48, s22
	s_cbranch_scc1 .LBB668_18
; %bb.1:
	s_add_i32 s17, s57, s56
	s_lshl_b64 s[2:3], s[16:17], 8
	v_and_b32_e32 v68, 56, v63
	s_add_u32 s20, s6, s2
	v_lshl_or_b32 v67, v60, 3, v64
	v_lshlrev_b32_e32 v10, 1, v68
	s_addc_u32 s2, s7, s3
	v_lshl_or_b32 v69, v67, 8, v10
	s_and_b32 s21, s2, 0xffff
	s_mov_b32 s23, 0x20000
	s_movk_i32 s22, 0x4000
	s_movk_i32 s2, 0x80
	v_or_b32_e32 v70, 0x2000, v69
	buffer_load_dwordx4 v[12:15], v69, s[20:23], 0 offen
	buffer_load_dwordx4 v[16:19], v69, s[20:23], s2 offen
	;; [unrolled: 1-line block ×4, first 2 shown]
	v_lshlrev_b32_e32 v11, 3, v67
	v_and_or_b32 v29, v0, 7, v11
	v_and_b32_e32 v11, 0x78, v11
	v_lshlrev_b32_e32 v29, 4, v29
	v_xor_b32_e32 v71, v29, v11
	v_mul_lo_u32 v28, v67, s15
	v_or_b32_e32 v72, 0x1000, v71
	v_xor_b32_e32 v11, 8, v71
	s_cmpk_eq_i32 s15, 0x80
	s_mov_b32 s58, s14
	v_xor_b32_e32 v29, 8, v72
	s_cselect_b64 s[2:3], -1, 0
	s_cmpk_lg_i32 s15, 0x80
	s_waitcnt vmcnt(3)
	ds_write_b64 v71, v[12:13] offset:16384
	ds_write_b64 v11, v[14:15] offset:16384
	s_waitcnt vmcnt(2)
	ds_write_b64 v71, v[16:17] offset:24576
	ds_write_b64 v11, v[18:19] offset:24576
	s_waitcnt vmcnt(1)
	ds_write_b64 v71, v[20:21] offset:20480
	ds_write_b64 v29, v[22:23] offset:16384
	s_waitcnt vmcnt(0)
	ds_write_b64 v71, v[24:25] offset:28672
	ds_write_b64 v29, v[26:27] offset:24576
	v_lshl_add_u32 v11, v28, 1, v68
	s_cbranch_scc0 .LBB668_3
; %bb.2:
	v_lshlrev_b32_e32 v13, 1, v11
	v_add_lshl_u32 v12, v11, s15, 1
	s_lshl_b32 s22, s15, 7
	s_load_dwordx2 s[40:41], s[0:1], 0x20
	v_lshl_or_b32 v10, v67, 9, v10
	s_cbranch_execz .LBB668_4
	s_branch .LBB668_5
.LBB668_3:
                                        ; implicit-def: $vgpr12
                                        ; implicit-def: $vgpr13
                                        ; implicit-def: $sgpr22
	s_load_dwordx2 s[40:41], s[0:1], 0x20
	v_lshl_or_b32 v10, v67, 9, v10
.LBB668_4:
	v_or_b32_e32 v12, 0x100, v10
	s_movk_i32 s22, 0x4000
	v_mov_b32_e32 v13, v10
.LBB668_5:
	s_mul_hi_u32 s0, s14, s12
	s_mul_i32 s1, s53, s12
	s_add_i32 s0, s0, s1
	s_mul_i32 s1, s14, s12
	s_mul_i32 s20, s1, s24
	s_mul_hi_u32 s21, s1, s50
	s_add_i32 s20, s21, s20
	s_mul_i32 s0, s0, s50
	s_add_i32 s20, s20, s0
	s_mul_i32 s1, s1, s50
	s_ashr_i32 s59, s54, 31
	s_add_u32 s0, s1, s54
	s_addc_u32 s1, s20, s59
	s_lshl_b64 s[0:1], s[0:1], 8
	s_add_u32 s20, s4, s0
	s_addc_u32 s0, s5, s1
	s_and_b32 s21, s0, 0xffff
	s_movk_i32 s60, 0x80
	buffer_load_dwordx4 v[14:17], v13, s[20:23], 0 offen
	buffer_load_dwordx4 v[18:21], v13, s[20:23], s60 offen
	;; [unrolled: 1-line block ×4, first 2 shown]
	v_and_b32_e32 v12, 6, v0
	v_lshlrev_b32_e32 v30, 2, v62
	v_lshlrev_b32_e32 v31, 3, v62
	v_xor_b32_e32 v33, v67, v12
	v_and_b32_e32 v13, 1, v0
	s_mul_i32 s24, s24, s12
	s_mul_hi_u32 s0, s50, s12
	v_lshl_or_b32 v31, v65, 5, v31
	v_xor_b32_e32 v34, v65, v30
	v_lshlrev_b32_e32 v33, 2, v33
	v_or_b32_e32 v73, 0x9000, v31
	v_or_b32_e32 v74, 0x9800, v31
	v_lshlrev_b32_e32 v31, 1, v34
	v_xor_b32_e32 v34, 0x440, v33
	v_cmp_eq_u32_e32 vcc, 0, v13
	s_add_i32 s65, s0, s24
	s_add_i32 s0, s44, s33
	v_cndmask_b32_e32 v13, v34, v33, vcc
	s_add_i32 s1, s46, s39
	s_add_i32 s35, s0, s45
	s_mov_b32 s63, 0x1000504
	v_lshlrev_b32_e32 v32, 8, v62
	s_mov_b32 s20, 0x8000
	v_xor_b32_e32 v30, v66, v30
	v_lshl_or_b32 v12, v12, 10, v13
	s_add_i32 s31, s1, s47
	s_lshl_b64 s[0:1], s[34:35], 2
	s_mov_b32 s64, 0x3020706
	v_lshlrev_b32_e32 v30, 1, v30
	v_or3_b32 v75, v31, v32, s20
	v_xor_b32_e32 v13, 8, v12
	v_xor_b32_e32 v31, 24, v12
	;; [unrolled: 1-line block ×4, first 2 shown]
	s_add_u32 s21, s10, s0
	v_or3_b32 v76, v30, v32, s20
	v_xor_b32_e32 v30, 16, v12
	v_xor_b32_e32 v32, 32, v12
	;; [unrolled: 1-line block ×3, first 2 shown]
	v_add_u32_e32 v13, 0x80, v13
	v_add_u32_e32 v31, 0x80, v31
	;; [unrolled: 1-line block ×4, first 2 shown]
	s_addc_u32 s22, s11, s1
	s_lshl_b64 s[0:1], s[30:31], 2
	s_add_u32 s42, s21, s0
	s_movk_i32 s0, 0xf8
	s_addc_u32 s43, s22, s1
	s_ashr_i32 s37, s36, 31
	v_ashrrev_i32_e32 v55, 31, v54
	s_lshl_b32 s26, s15, 7
	s_mul_i32 s61, s50, s12
	s_mov_b32 s62, 0
	s_mov_b32 s35, 0x7060302
	s_movk_i32 s22, 0x4000
	s_mov_b32 s66, 0
	s_waitcnt vmcnt(1)
	v_perm_b32 v36, v14, v22, s63
	s_waitcnt vmcnt(0)
	v_perm_b32 v37, v18, v26, s63
	v_perm_b32 v14, v14, v22, s64
	;; [unrolled: 1-line block ×15, first 2 shown]
	ds_write2st64_b32 v12, v36, v37 offset1:32
	ds_write2st64_b32 v13, v14, v18 offset1:32
	ds_write2st64_b32 v30, v22, v26 offset0:1 offset1:33
	ds_write2st64_b32 v31, v15, v19 offset0:1 offset1:33
	;; [unrolled: 1-line block ×6, first 2 shown]
	v_or_b32_e32 v12, v1, v62
	v_lshlrev_b32_e32 v12, 3, v12
	v_lshrrev_b32_e32 v14, 5, v53
	v_and_or_b32 v14, v12, s0, v14
	v_lshlrev_b32_e32 v14, 4, v14
	v_lshrrev_b32_e32 v13, 2, v53
	v_lshlrev_b32_e32 v19, 11, v60
	v_and_b32_e32 v12, 0x78, v12
	v_or_b32_e32 v17, 32, v14
	v_and_b32_e32 v18, 12, v13
	v_and_b32_e32 v13, 0x1000, v19
	v_xor_b32_e32 v15, v14, v12
	v_lshrrev_b32_e32 v16, 1, v53
	v_xor_b32_e32 v17, v17, v12
	v_or_b32_e32 v15, v15, v13
	v_and_b32_e32 v16, 8, v16
	v_or_b32_e32 v17, v17, v13
	v_xor_b32_e32 v77, v15, v16
	v_and_b32_e32 v15, 0x78, v63
	v_xor_b32_e32 v79, v17, v16
	v_or_b32_e32 v17, 64, v14
	v_or_b32_e32 v14, 0x60, v14
	v_lshl_or_b32 v15, v61, 7, v15
	v_xor_b32_e32 v17, v17, v12
	v_xor_b32_e32 v12, v14, v12
	v_or_b32_e32 v78, 0x9000, v15
	v_or_b32_e32 v17, v17, v13
	;; [unrolled: 1-line block ×4, first 2 shown]
	v_lshrrev_b32_e32 v14, 4, v0
	v_lshlrev_b32_e32 v15, 1, v62
	v_xor_b32_e32 v80, v17, v16
	v_xor_b32_e32 v81, v12, v16
	v_or_b32_e32 v16, 1, v15
	v_xor_b32_e32 v15, v14, v15
	s_lshl_b64 s[0:1], s[36:37], 8
	v_xor_b32_e32 v16, v16, v14
	v_lshlrev_b32_e32 v15, 3, v15
	v_lshlrev_b32_e32 v14, 8, v14
	v_lshl_add_u64 v[12:13], v[54:55], 1, s[8:9]
	s_add_u32 s0, s18, s0
	v_or3_b32 v55, v15, v14, s20
	v_lshlrev_b32_e32 v15, 3, v16
	s_addc_u32 s1, s19, s1
	v_or3_b32 v83, v15, v14, s20
	v_mov_b32_e32 v15, 0
	v_lshrrev_b32_e32 v25, 1, v0
	v_lshl_add_u64 v[16:17], s[0:1], 0, v[14:15]
	v_lshlrev_b32_e32 v14, 4, v62
	s_movk_i32 s0, 0xff
	v_lshlrev_b32_e32 v24, 3, v60
	v_and_b32_e32 v25, 24, v25
	v_lshl_add_u64 v[56:57], v[16:17], 0, v[14:15]
	v_and_b32_e32 v14, 7, v0
	v_and_b32_e32 v17, 8, v0
	v_cmp_lt_u32_e32 vcc, s0, v0
	v_xor_b32_e32 v26, v24, v25
	v_lshlrev_b32_e32 v22, 3, v14
	v_lshlrev_b32_e32 v23, 7, v14
	v_cndmask_b32_e64 v14, 0, 1, vcc
	v_or_b32_e32 v27, 0x440, v26
	v_cmp_eq_u32_e32 vcc, 0, v17
	v_or_b32_e32 v29, 64, v25
	v_xor_b32_e32 v29, v24, v29
	v_cndmask_b32_e32 v17, v27, v26, vcc
	v_or_b32_e32 v27, 32, v25
	v_or_b32_e32 v25, 0x60, v25
	v_xor_b32_e32 v27, v24, v27
	v_xor_b32_e32 v24, v24, v25
	v_or_b32_e32 v28, 0x440, v27
	v_xor_b32_e32 v30, 0x440, v29
	v_xor_b32_e32 v25, 0x440, v24
	v_cndmask_b32_e32 v27, v28, v27, vcc
	v_cndmask_b32_e32 v29, v30, v29, vcc
	;; [unrolled: 1-line block ×3, first 2 shown]
	v_or_b32_e32 v17, v17, v19
	v_or_b32_e32 v27, v27, v19
	;; [unrolled: 1-line block ×4, first 2 shown]
	v_lshlrev_b32_e32 v14, 13, v14
	v_xor_b32_e32 v17, v17, v22
	v_xor_b32_e32 v27, v27, v22
	;; [unrolled: 1-line block ×4, first 2 shown]
	v_lshlrev_b32_e32 v20, 1, v11
	v_add_lshl_u32 v11, v11, s15, 1
	v_or_b32_e32 v21, 0x100, v10
	v_or_b32_e32 v16, v18, v1
	v_add_u32_e32 v26, v14, v17
	v_add_u32_e32 v28, v14, v27
	;; [unrolled: 1-line block ×4, first 2 shown]
	v_or3_b32 v18, v1, v18, 64
	v_add_u32_e32 v17, 0x2000, v17
	v_add_u32_e32 v24, 0x2000, v27
	;; [unrolled: 1-line block ×4, first 2 shown]
	v_lshlrev_b32_e32 v14, 8, v65
	v_cndmask_b32_e64 v84, v20, v10, s[2:3]
	v_cndmask_b32_e64 v85, v11, v21, s[2:3]
	v_lshl_add_u64 v[58:59], v[12:13], 0, v[14:15]
	s_add_i32 s31, s61, 63
	v_lshlrev_b32_e32 v86, 2, v16
	v_add_u32_e32 v87, v26, v23
	v_add_u32_e32 v88, v28, v23
	;; [unrolled: 1-line block ×4, first 2 shown]
	v_lshlrev_b32_e32 v91, 2, v18
	v_add_u32_e32 v92, v17, v23
	v_add_u32_e32 v93, v24, v23
	;; [unrolled: 1-line block ×4, first 2 shown]
	s_waitcnt lgkmcnt(0)
	s_barrier
.LBB668_6:                              ; =>This Inner Loop Header: Depth=1
	s_add_i32 s37, s66, 1
	s_cmp_lt_i32 s37, s51
	s_mov_b64 s[24:25], 0
	s_cselect_b64 s[2:3], -1, 0
	s_cmp_ge_i32 s37, s51
	s_mov_b64 s[20:21], 0
	s_cbranch_scc1 .LBB668_8
; %bb.7:                                ;   in Loop: Header=BB668_6 Depth=1
	s_add_i32 s0, s62, 64
	s_add_u32 s0, s16, s0
	s_addc_u32 s1, s17, 0
	s_lshl_b64 s[0:1], s[0:1], 8
	s_add_u32 s20, s6, s0
	s_addc_u32 s21, s7, s1
.LBB668_8:                              ;   in Loop: Header=BB668_6 Depth=1
	v_cndmask_b32_e64 v10, 0, 1, s[2:3]
	v_cmp_ne_u32_e64 s[0:1], 1, v10
	s_andn2_b64 vcc, exec, s[2:3]
	s_cbranch_vccnz .LBB668_10
; %bb.9:                                ;   in Loop: Header=BB668_6 Depth=1
	s_add_i32 s2, s62, 64
	s_add_u32 s2, s61, s2
	s_addc_u32 s3, s65, 0
	s_mul_i32 s24, s2, s53
	s_mul_hi_u32 s25, s2, s58
	s_add_i32 s24, s25, s24
	s_mul_i32 s3, s3, s58
	s_add_i32 s24, s24, s3
	s_mul_i32 s2, s2, s58
	s_add_u32 s2, s2, s54
	s_addc_u32 s3, s24, s59
	s_lshl_b64 s[2:3], s[2:3], 8
	s_add_u32 s24, s4, s2
	s_addc_u32 s25, s5, s3
.LBB668_10:                             ;   in Loop: Header=BB668_6 Depth=1
	v_perm_b32 v11, v9, v8, s35
	v_perm_b32 v10, v7, v6, s35
	;; [unrolled: 1-line block ×4, first 2 shown]
	ds_write_b64 v73, v[10:11]
	ds_write_b64 v74, v[12:13]
	;; [unrolled: 1-line block ×4, first 2 shown]
	s_waitcnt lgkmcnt(0)
	s_barrier
	ds_read_b64 v[18:19], v77 offset:16384
	ds_read_b64 v[20:21], v79 offset:16384
	ds_read2st64_b64 v[10:13], v78 offset1:1
	ds_read2st64_b64 v[14:17], v78 offset0:2 offset1:3
	ds_read_b64 v[22:23], v80 offset:16384
	s_waitcnt lgkmcnt(2)
	v_mfma_f32_16x16x16_bf16 a[0:3], v[18:19], v[10:11], 0
	ds_read_b64 v[10:11], v81 offset:16384
	s_add_i32 s2, s62, 63
	s_mul_i32 s3, s2, s29
	v_mfma_f32_16x16x16_bf16 a[0:3], v[20:21], v[12:13], a[0:3]
	s_mul_hi_u32 s27, s2, s28
	s_add_i32 s3, s27, s3
	s_mul_i32 s2, s2, s28
	s_waitcnt lgkmcnt(1)
	v_mfma_f32_16x16x16_bf16 a[0:3], v[22:23], v[14:15], a[0:3]
	s_lshl_b64 s[2:3], s[2:3], 2
	s_add_u32 s2, s42, s2
	s_addc_u32 s3, s43, s3
	s_waitcnt lgkmcnt(0)
	v_mfma_f32_16x16x16_bf16 a[0:3], v[10:11], v[16:17], a[0:3]
	s_and_b64 vcc, exec, s[0:1]
	v_mov_b32_e32 v98, 0
	v_mov_b32_e32 v97, 0
	;; [unrolled: 1-line block ×19, first 2 shown]
	s_cbranch_vccnz .LBB668_12
; %bb.11:                               ;   in Loop: Header=BB668_6 Depth=1
	s_and_b32 s21, s21, 0xffff
	buffer_load_dwordx4 v[22:25], v69, s[20:23], 0 offen
	buffer_load_dwordx4 v[18:21], v69, s[20:23], s60 offen
	;; [unrolled: 1-line block ×4, first 2 shown]
	v_mov_b32_e32 v97, v71
	v_mov_b32_e32 v96, v72
.LBB668_12:                             ;   in Loop: Header=BB668_6 Depth=1
	v_add_u32_e32 v32, s62, v65
	v_ashrrev_i32_e32 v26, 31, v32
	v_mul_lo_u32 v28, v26, s28
	v_mul_lo_u32 v29, v32, s29
	v_mad_u64_u32 v[26:27], s[20:21], v32, s28, 0
	v_add3_u32 v27, v27, v29, v28
	v_add_u32_e32 v28, 1, v32
	v_ashrrev_i32_e32 v29, 31, v28
	v_mul_lo_u32 v30, v29, s28
	v_mul_lo_u32 v31, v28, s29
	v_mad_u64_u32 v[28:29], s[20:21], v28, s28, 0
	v_add3_u32 v29, v29, v31, v30
	v_add_u32_e32 v30, 2, v32
	v_ashrrev_i32_e32 v31, 31, v30
	v_mul_lo_u32 v33, v31, s28
	v_mul_lo_u32 v34, v30, s29
	v_mad_u64_u32 v[30:31], s[20:21], v30, s28, 0
	v_add_u32_e32 v32, 3, v32
	v_add3_u32 v31, v31, v34, v33
	v_ashrrev_i32_e32 v33, 31, v32
	v_mul_lo_u32 v36, v33, s28
	v_mul_lo_u32 v37, v32, s29
	v_mad_u64_u32 v[32:33], s[20:21], v32, s28, 0
	s_add_u32 s20, s16, s62
	s_addc_u32 s21, s17, 0
	s_lshl_b64 s[20:21], s[20:21], 8
	v_lshl_add_u64 v[26:27], v[26:27], 2, s[42:43]
	v_lshl_add_u64 v[34:35], v[58:59], 0, s[20:21]
	;; [unrolled: 1-line block ×3, first 2 shown]
	global_load_ushort v50, v[34:35], off
	global_load_ushort v51, v[34:35], off offset:256
	global_load_ushort v52, v[34:35], off offset:512
	;; [unrolled: 1-line block ×3, first 2 shown]
	v_add3_u32 v33, v33, v37, v36
	global_load_dword v101, v[26:27], off
	v_lshl_add_u64 v[30:31], v[30:31], 2, s[42:43]
	v_lshl_add_u64 v[26:27], v[32:33], 2, s[42:43]
	global_load_dword v102, v[28:29], off
	global_load_dword v103, v[30:31], off
	global_load_dword v104, v[26:27], off
	s_load_dword s2, s[2:3], 0x0
	ds_read2st64_b64 v[34:37], v82 offset1:1
	ds_read2st64_b64 v[40:43], v82 offset0:2 offset1:3
	ds_read_b64 v[38:39], v77 offset:24576
	ds_read_b64 v[44:45], v79 offset:24576
	;; [unrolled: 1-line block ×4, first 2 shown]
	s_waitcnt lgkmcnt(0)
	v_mfma_f32_16x16x16_bf16 a[0:3], v[38:39], v[34:35], a[0:3]
	v_mov_b32_e32 v99, 0
	v_mov_b32_e32 v26, 0
	v_mov_b32_e32 v27, 0
	v_mfma_f32_16x16x16_bf16 a[0:3], v[44:45], v[36:37], a[0:3]
	v_mov_b32_e32 v28, 0
	v_mov_b32_e32 v29, 0
	v_mov_b32_e32 v30, 0
	;; [unrolled: 4-line block ×4, first 2 shown]
	v_mov_b32_e32 v37, 0
	v_mov_b32_e32 v38, 0
	;; [unrolled: 1-line block ×4, first 2 shown]
	v_accvgpr_read_b32 v45, a1
	v_accvgpr_read_b32 v43, a3
	v_accvgpr_read_b32 v42, a2
	v_accvgpr_read_b32 v44, a0
	s_and_b64 vcc, exec, s[0:1]
	s_waitcnt vmcnt(7)
	v_lshlrev_b32_e32 v46, 16, v50
	s_waitcnt vmcnt(6)
	v_lshlrev_b32_e32 v47, 16, v51
	;; [unrolled: 2-line block ×4, first 2 shown]
	v_pk_add_f32 v[44:45], v[46:47], v[44:45] neg_lo:[0,1] neg_hi:[0,1]
	s_waitcnt vmcnt(3)
	v_sub_f32_e32 v41, s2, v101
	v_exp_f32_e32 v50, v41
	s_waitcnt vmcnt(2)
	v_sub_f32_e32 v41, s2, v102
	s_waitcnt vmcnt(1)
	v_sub_f32_e32 v52, s2, v103
	;; [unrolled: 2-line block ×3, first 2 shown]
	v_exp_f32_e32 v51, v41
	v_exp_f32_e32 v100, v52
	;; [unrolled: 1-line block ×3, first 2 shown]
	v_pk_add_f32 v[42:43], v[48:49], v[42:43] neg_lo:[0,1] neg_hi:[0,1]
	v_pk_mul_f32 v[44:45], v[50:51], v[44:45]
	v_mov_b32_e32 v41, 0
	v_pk_mul_f32 v[42:43], v[100:101], v[42:43]
	s_nop 0
	v_perm_b32 v43, v43, v42, s35
	v_perm_b32 v42, v45, v44, s35
	ds_write_b64 v74, v[42:43]
	s_cbranch_vccnz .LBB668_14
; %bb.13:                               ;   in Loop: Header=BB668_6 Depth=1
	s_and_b32 s25, s25, 0xffff
	s_mov_b32 s27, s23
	buffer_load_dwordx4 v[38:41], v84, s[24:27], 0 offen
	buffer_load_dwordx4 v[30:33], v84, s[24:27], s60 offen
	;; [unrolled: 1-line block ×4, first 2 shown]
	v_mov_b32_e32 v98, v68
	v_mov_b32_e32 v99, v67
.LBB668_14:                             ;   in Loop: Header=BB668_6 Depth=1
	s_waitcnt lgkmcnt(0)
	s_barrier
	ds_read_b64 v[42:43], v87
	ds_read_b64 v[48:49], v88
	ds_read2st64_b64 v[44:47], v82 offset1:1
	ds_read2st64_b64 v[100:103], v82 offset0:2 offset1:3
	ds_read_b64 v[50:51], v89
	ds_read_b64 v[108:109], v90
	s_add_i32 s3, s55, s66
	s_mul_hi_i32 s21, s3, s13
	s_mul_i32 s3, s3, s13
	s_waitcnt lgkmcnt(3)
	v_mfma_f32_16x16x16_bf16 a[0:3], v[42:43], v[44:45], 0
	ds_read_b64 v[42:43], v92
	s_add_u32 s20, s3, s48
	s_addc_u32 s21, s21, s52
	s_add_i32 s3, s31, s62
	v_mfma_f32_16x16x16_bf16 a[0:3], v[48:49], v[46:47], a[0:3]
	ds_read_b64 v[48:49], v93
	s_lshl_b64 s[20:21], s[20:21], 15
	s_mul_hi_i32 s25, s3, s13
	s_mul_i32 s3, s3, s13
	s_add_u32 s24, s3, s48
	s_addc_u32 s25, s25, s52
	s_lshl_b64 s[24:25], s[24:25], 9
	s_add_u32 s24, s40, s24
	s_waitcnt lgkmcnt(1)
	v_mfma_f32_16x16x16_bf16 a[4:7], v[42:43], v[44:45], 0
	s_addc_u32 s25, s41, s25
	s_and_b64 vcc, exec, s[0:1]
	v_mfma_f32_16x16x16_bf16 a[0:3], v[50:51], v[100:101], a[0:3]
	ds_read_b64 v[50:51], v94
	ds_read_b64 v[110:111], v95
	global_load_dwordx4 v[42:45], v91, s[24:25]
	s_waitcnt lgkmcnt(2)
	v_mfma_f32_16x16x16_bf16 a[4:7], v[48:49], v[46:47], a[4:7]
	global_load_dwordx4 v[46:49], v86, s[24:25]
	ds_read_b64 v[104:105], v55
	ds_read_b64 v[106:107], v83
	s_waitcnt lgkmcnt(3)
	v_mfma_f32_16x16x16_bf16 a[8:11], v[50:51], v[100:101], a[4:7]
	v_lshl_add_u64 v[50:51], v[56:57], 0, s[20:21]
	s_waitcnt lgkmcnt(0)
	global_store_dwordx4 v[50:51], v[104:107], off
	v_mfma_f32_16x16x16_bf16 a[4:7], v[108:109], v[102:103], a[0:3]
	s_waitcnt vmcnt(2)
	v_mov_b32_e32 v52, v45
	v_mfma_f32_16x16x16_bf16 a[0:3], v[110:111], v[102:103], a[8:11]
	v_mov_b32_e32 v51, v44
	v_mov_b32_e32 v50, v43
	s_cbranch_vccnz .LBB668_16
; %bb.15:                               ;   in Loop: Header=BB668_6 Depth=1
	v_lshrrev_b32_e32 v43, 3, v98
	v_and_b32_e32 v43, 6, v43
	v_xor_b32_e32 v44, v43, v99
	v_lshlrev_b32_e32 v44, 2, v44
	v_and_b32_e32 v45, 8, v98
	v_xor_b32_e32 v98, 0x440, v44
	v_cmp_eq_u32_e32 vcc, 0, v45
	v_perm_b32 v45, v30, v26, s63
	s_nop 0
	v_cndmask_b32_e32 v44, v98, v44, vcc
	v_lshl_or_b32 v43, v43, 10, v44
	v_perm_b32 v44, v38, v34, s63
	s_barrier
	ds_write2st64_b32 v43, v44, v45 offset1:32
	v_xor_b32_e32 v44, 8, v43
	v_perm_b32 v34, v38, v34, s64
	v_perm_b32 v26, v30, v26, s64
	v_add_u32_e32 v30, 0x80, v44
	ds_write2st64_b32 v30, v34, v26 offset1:32
	v_xor_b32_e32 v26, 16, v43
	v_perm_b32 v30, v39, v35, s63
	v_perm_b32 v34, v31, v27, s63
	ds_write2st64_b32 v26, v30, v34 offset0:1 offset1:33
	v_xor_b32_e32 v26, 24, v43
	v_perm_b32 v30, v39, v35, s64
	v_perm_b32 v27, v31, v27, s64
	v_add_u32_e32 v26, 0x80, v26
	ds_write2st64_b32 v26, v30, v27 offset0:1 offset1:33
	v_xor_b32_e32 v26, 32, v43
	v_perm_b32 v27, v40, v36, s63
	v_perm_b32 v30, v32, v28, s63
	ds_write2st64_b32 v26, v27, v30 offset0:2 offset1:34
	v_xor_b32_e32 v26, 40, v43
	v_perm_b32 v27, v40, v36, s64
	v_perm_b32 v28, v32, v28, s64
	v_add_u32_e32 v26, 0x80, v26
	ds_write2st64_b32 v26, v27, v28 offset0:2 offset1:34
	;; [unrolled: 9-line block ×3, first 2 shown]
	ds_write_b64 v97, v[22:23] offset:16384
	v_xor_b32_e32 v22, 8, v97
	ds_write_b64 v22, v[24:25] offset:16384
	ds_write_b64 v97, v[18:19] offset:24576
	;; [unrolled: 1-line block ×4, first 2 shown]
	v_xor_b32_e32 v14, 8, v96
	ds_write_b64 v14, v[16:17] offset:16384
	ds_write_b64 v96, v[10:11] offset:24576
	;; [unrolled: 1-line block ×3, first 2 shown]
.LBB668_16:                             ;   in Loop: Header=BB668_6 Depth=1
	v_exp_f32_e32 v18, s2
	s_waitcnt vmcnt(1)
	v_exp_f32_e32 v20, v46
	v_exp_f32_e32 v21, v47
	;; [unrolled: 1-line block ×4, first 2 shown]
	v_accvgpr_read_b32 v13, a7
	v_accvgpr_read_b32 v11, a5
	;; [unrolled: 1-line block ×3, first 2 shown]
	v_pk_mul_f32 v[20:21], v[18:19], v[20:21] op_sel_hi:[0,1]
	v_pk_fma_f32 v[6:7], v[6:7], v[20:21], v[10:11]
	v_exp_f32_e32 v20, v42
	v_exp_f32_e32 v21, v50
	v_pk_mul_f32 v[10:11], v[18:19], v[22:23] op_sel_hi:[0,1]
	v_exp_f32_e32 v22, v51
	v_exp_f32_e32 v23, v52
	v_accvgpr_read_b32 v12, a6
	v_accvgpr_read_b32 v17, a3
	;; [unrolled: 1-line block ×4, first 2 shown]
	v_pk_fma_f32 v[8:9], v[8:9], v[10:11], v[12:13]
	v_pk_mul_f32 v[10:11], v[18:19], v[20:21] op_sel_hi:[0,1]
	v_accvgpr_read_b32 v16, a2
	v_pk_fma_f32 v[2:3], v[2:3], v[10:11], v[14:15]
	v_pk_mul_f32 v[10:11], v[18:19], v[22:23] op_sel_hi:[0,1]
	s_add_i32 s62, s62, 64
	s_cmp_eq_u32 s51, s37
	v_pk_fma_f32 v[4:5], v[4:5], v[10:11], v[16:17]
	s_cbranch_scc1 .LBB668_18
; %bb.17:                               ;   in Loop: Header=BB668_6 Depth=1
	s_mov_b32 s66, s37
	s_branch .LBB668_6
.LBB668_18:
	s_lshl_b32 s26, s51, 6
	s_sub_i32 s27, s12, s26
	s_cmp_gt_i32 s27, 0
	s_cbranch_scc0 .LBB668_75
; %bb.19:
	s_ashr_i32 s2, s26, 31
	s_cmpk_lg_i32 s15, 0x80
	s_cselect_b64 s[22:23], -1, 0
	s_and_b64 vcc, exec, s[22:23]
	s_cbranch_vccz .LBB668_21
; %bb.20:
	s_mul_i32 s1, s50, s12
	s_mul_hi_i32 s0, s50, s12
	s_add_u32 s1, s1, s26
	s_addc_u32 s0, s0, s2
	s_mul_i32 s3, s1, s53
	s_mul_hi_u32 s17, s1, s14
	s_add_i32 s3, s17, s3
	s_mul_i32 s0, s0, s14
	s_add_i32 s3, s3, s0
	s_mul_i32 s1, s1, s14
	s_ashr_i32 s0, s54, 31
	s_add_u32 s24, s1, s54
	s_addc_u32 s25, s3, s0
	s_cbranch_execz .LBB668_22
	s_branch .LBB668_23
.LBB668_21:
                                        ; implicit-def: $sgpr24_sgpr25
.LBB668_22:
	s_mul_hi_i32 s0, s50, s14
	s_mul_i32 s50, s50, s14
	s_ashr_i32 s1, s54, 31
	s_add_u32 s3, s50, s54
	s_addc_u32 s0, s0, s1
	s_mul_i32 s1, s3, s49
	s_mul_hi_u32 s14, s3, s12
	s_add_i32 s1, s14, s1
	s_mul_i32 s0, s0, s12
	s_add_i32 s1, s1, s0
	s_mul_i32 s3, s3, s12
	s_add_u32 s24, s3, s26
	s_addc_u32 s25, s1, s2
.LBB668_23:
	s_mul_i32 s0, s38, s49
	s_add_i32 s0, s57, s0
	s_add_i32 s3, s55, s51
	;; [unrolled: 1-line block ×3, first 2 shown]
	s_add_u32 s0, s16, s26
	s_addc_u32 s1, s1, s2
	s_mov_b32 s2, 0x7060302
	s_waitcnt vmcnt(0)
	v_perm_b32 v5, v5, v4, s2
	v_perm_b32 v4, v3, v2, s2
	v_lshlrev_b32_e32 v2, 3, v62
	s_lshl_b64 s[20:21], s[0:1], 8
	v_perm_b32 v9, v9, v8, s2
	v_perm_b32 v8, v7, v6, s2
	v_lshlrev_b32_e32 v34, 2, v62
	v_lshl_or_b32 v2, v65, 5, v2
	s_add_u32 s0, s6, s20
	ds_write2st64_b64 v2, v[8:9], v[4:5] offset0:72 offset1:76
	v_xor_b32_e32 v2, v65, v34
	v_lshlrev_b32_e32 v3, 8, v62
	s_addc_u32 s1, s7, s21
	v_lshl_or_b32 v2, v2, 1, v3
	s_mul_hi_i32 s6, s3, s13
	s_mul_i32 s3, s3, s13
	ds_write_b64 v2, v[8:9] offset:32768
	v_xor_b32_e32 v2, v66, v34
	s_add_u32 s2, s3, s48
	v_lshl_or_b32 v2, v2, 1, v3
	s_addc_u32 s3, s6, s52
	v_lshlrev_b32_e32 v3, 1, v62
	ds_write_b64 v2, v[4:5] offset:32768
	v_lshrrev_b32_e32 v2, 4, v0
	s_ashr_i32 s37, s36, 31
	s_lshl_b64 s[2:3], s[2:3], 15
	v_or_b32_e32 v4, 1, v3
	s_add_u32 s6, s18, s2
	v_xor_b32_e32 v3, v2, v3
	v_xor_b32_e32 v4, v4, v2
	v_lshlrev_b32_e32 v6, 8, v2
	s_addc_u32 s7, s19, s3
	s_lshl_b64 s[2:3], s[36:37], 8
	v_lshl_or_b32 v2, v3, 3, v6
	v_lshl_or_b32 v4, v4, 3, v6
	s_waitcnt lgkmcnt(0)
	s_barrier
	s_add_u32 s2, s6, s2
	ds_read_b64 v[2:3], v2 offset:32768
	ds_read_b64 v[4:5], v4 offset:32768
	s_addc_u32 s3, s7, s3
	v_mov_b32_e32 v7, 0
	s_cmp_lg_u32 s27, 64
	v_lshl_add_u64 v[8:9], s[2:3], 0, v[6:7]
	v_lshlrev_b32_e32 v6, 4, v62
	s_cselect_b64 s[6:7], -1, 0
	v_lshl_or_b32 v35, v60, 3, v64
	s_mov_b32 s16, 0
	v_lshl_add_u64 v[6:7], v[8:9], 0, v[6:7]
	v_or_b32_e32 v19, 32, v35
	v_and_b32_e32 v18, 56, v63
	s_and_b64 vcc, exec, s[6:7]
	s_waitcnt lgkmcnt(0)
	global_store_dwordx4 v[6:7], v[2:5], off
	s_cbranch_vccz .LBB668_29
; %bb.24:
	s_mov_b32 s17, s16
	s_mov_b32 s18, s16
	;; [unrolled: 1-line block ×3, first 2 shown]
	v_mov_b64_e32 v[6:7], s[16:17]
	v_mov_b64_e32 v[8:9], s[18:19]
	v_mov_b64_e32 v[2:3], v[6:7]
	v_cmp_gt_i32_e32 vcc, s27, v35
	v_mov_b64_e32 v[4:5], v[8:9]
	s_and_saveexec_b64 s[2:3], vcc
	s_cbranch_execz .LBB668_26
; %bb.25:
	v_lshlrev_b32_e32 v2, 8, v35
	v_mov_b32_e32 v3, 0
	v_lshl_add_u64 v[4:5], s[0:1], 0, v[2:3]
	v_lshlrev_b32_e32 v2, 1, v18
	v_lshl_add_u64 v[10:11], v[4:5], 0, v[2:3]
	global_load_dwordx4 v[6:9], v[10:11], off
	global_load_dwordx4 v[2:5], v[10:11], off offset:128
.LBB668_26:
	s_or_b64 exec, exec, s[2:3]
	s_mov_b32 s17, s16
	s_mov_b32 s18, s16
	;; [unrolled: 1-line block ×3, first 2 shown]
	v_mov_b64_e32 v[14:15], s[16:17]
	v_mov_b64_e32 v[16:17], s[18:19]
	;; [unrolled: 1-line block ×3, first 2 shown]
	v_cmp_gt_i32_e32 vcc, s27, v19
	v_lshlrev_b32_e32 v20, 7, v19
	v_mov_b64_e32 v[12:13], v[16:17]
	s_and_saveexec_b64 s[2:3], vcc
	s_cbranch_execz .LBB668_28
; %bb.27:
	v_lshlrev_b32_e32 v10, 1, v20
	v_mov_b32_e32 v11, 0
	v_lshl_add_u64 v[12:13], s[0:1], 0, v[10:11]
	v_lshlrev_b32_e32 v10, 1, v18
	v_lshl_add_u64 v[22:23], v[12:13], 0, v[10:11]
	global_load_dwordx4 v[14:17], v[22:23], off
	global_load_dwordx4 v[10:13], v[22:23], off offset:128
.LBB668_28:
	s_or_b64 exec, exec, s[2:3]
	v_lshrrev_b32_e32 v21, 3, v18
	v_lshlrev_b32_e32 v22, 3, v35
	v_or_b32_e32 v21, v22, v21
	v_lshlrev_b32_e32 v21, 4, v21
	v_and_b32_e32 v22, 0x78, v22
	v_xor_b32_e32 v21, v21, v22
	s_branch .LBB668_31
.LBB668_29:
                                        ; implicit-def: $vgpr21
                                        ; implicit-def: $vgpr20
                                        ; implicit-def: $vgpr6_vgpr7_vgpr8_vgpr9
                                        ; implicit-def: $vgpr2_vgpr3_vgpr4_vgpr5
                                        ; implicit-def: $vgpr14_vgpr15_vgpr16_vgpr17
                                        ; implicit-def: $vgpr10_vgpr11_vgpr12_vgpr13
	s_cbranch_execz .LBB668_31
; %bb.30:
	s_waitcnt vmcnt(0)
	v_lshlrev_b32_e32 v2, 1, v18
	v_lshl_or_b32 v20, v35, 8, v2
	s_and_b32 s1, s1, 0xffff
	s_mov_b32 s3, 0x20000
	s_movk_i32 s2, 0x4000
	v_lshl_or_b32 v21, v19, 8, v2
	s_movk_i32 s13, 0x80
	buffer_load_dwordx4 v[6:9], v20, s[0:3], 0 offen
	buffer_load_dwordx4 v[2:5], v20, s[0:3], s13 offen
	;; [unrolled: 1-line block ×4, first 2 shown]
	v_lshrrev_b32_e32 v20, 3, v18
	v_lshlrev_b32_e32 v21, 3, v35
	v_or_b32_e32 v20, v21, v20
	v_lshlrev_b32_e32 v20, 4, v20
	v_and_b32_e32 v21, 0x78, v21
	v_xor_b32_e32 v21, v20, v21
	v_lshlrev_b32_e32 v20, 7, v19
.LBB668_31:
	s_lshl_b64 s[0:1], s[24:25], 8
	s_add_u32 s4, s4, s0
	s_movk_i32 s0, 0x1000
	v_and_or_b32 v19, v20, s0, v21
	s_waitcnt vmcnt(1)
	ds_write_b64 v21, v[6:7] offset:16384
	v_xor_b32_e32 v6, 8, v21
	ds_write_b64 v6, v[8:9] offset:16384
	s_waitcnt vmcnt(0)
	ds_write_b64 v21, v[2:3] offset:24576
	ds_write_b64 v6, v[4:5] offset:24576
	;; [unrolled: 1-line block ×3, first 2 shown]
	v_xor_b32_e32 v2, 8, v19
	ds_write_b64 v2, v[16:17] offset:16384
	ds_write_b64 v19, v[10:11] offset:24576
	;; [unrolled: 1-line block ×3, first 2 shown]
	v_or_b32_e32 v2, v1, v62
	s_addc_u32 s5, s5, s1
	s_add_i32 s0, s12, -1
	v_lshlrev_b32_e32 v2, 3, v2
	v_lshrrev_b32_e32 v4, 5, v53
	s_movk_i32 s12, 0xf8
	v_and_or_b32 v4, v2, s12, v4
	v_lshlrev_b32_e32 v3, 11, v60
	v_lshlrev_b32_e32 v12, 4, v4
	v_and_b32_e32 v13, 0x78, v2
	v_and_b32_e32 v14, 0x1000, v3
	v_lshlrev_b32_e32 v3, 2, v0
	v_xor_b32_e32 v2, v12, v13
	v_lshrrev_b32_e32 v4, 1, v53
	v_and_b32_e32 v3, 60, v3
	v_or_b32_e32 v2, v2, v14
	v_and_b32_e32 v15, 8, v4
	v_xor_b32_e32 v26, v2, v15
	v_lshl_or_b32 v2, v61, 6, v3
	v_lshlrev_b32_e32 v19, 1, v2
	v_or_b32_e32 v2, 32, v12
	v_xor_b32_e32 v2, v2, v13
	s_waitcnt lgkmcnt(0)
	s_barrier
	ds_read_b64 v[10:11], v26 offset:16384
	v_or_b32_e32 v2, v2, v14
	v_xor_b32_e32 v27, v2, v15
	v_or_b32_e32 v2, 64, v12
	v_xor_b32_e32 v2, v2, v13
	v_or_b32_e32 v2, v2, v14
	v_or_b32_e32 v12, 0x60, v12
	v_xor_b32_e32 v28, v2, v15
	ds_read2st64_b64 v[2:5], v19 offset0:72 offset1:73
	ds_read2st64_b64 v[6:9], v19 offset0:74 offset1:75
	v_xor_b32_e32 v16, v12, v13
	ds_read_b64 v[12:13], v27 offset:16384
	s_add_i32 s1, s44, s33
	s_waitcnt lgkmcnt(2)
	v_mfma_f32_16x16x16_bf16 a[0:3], v[10:11], v[2:3], 0
	s_add_i32 s35, s1, s45
	s_add_i32 s1, s46, s39
	;; [unrolled: 1-line block ×3, first 2 shown]
	s_ashr_i32 s1, s0, 31
	s_mul_i32 s2, s0, s29
	s_mul_hi_u32 s3, s0, s28
	s_add_i32 s2, s3, s2
	s_mul_i32 s1, s1, s28
	v_or_b32_e32 v14, v16, v14
	s_add_i32 s1, s2, s1
	s_lshl_b64 s[2:3], s[34:35], 2
	v_xor_b32_e32 v36, v14, v15
	ds_read_b64 v[14:15], v28 offset:16384
	ds_read_b64 v[16:17], v36 offset:16384
	s_waitcnt lgkmcnt(2)
	v_mfma_f32_16x16x16_bf16 a[0:3], v[12:13], v[4:5], a[0:3]
	s_add_u32 s10, s10, s2
	s_addc_u32 s11, s11, s3
	s_lshl_b64 s[2:3], s[30:31], 2
	s_mul_i32 s0, s0, s28
	s_add_u32 s10, s10, s2
	s_addc_u32 s11, s11, s3
	s_lshl_b64 s[0:1], s[0:1], 2
	s_waitcnt lgkmcnt(1)
	v_mfma_f32_16x16x16_bf16 a[0:3], v[14:15], v[6:7], a[0:3]
	s_add_u32 s0, s10, s0
	s_addc_u32 s1, s11, s1
	s_load_dword s12, s[0:1], 0x0
	s_waitcnt lgkmcnt(0)
	v_mfma_f32_16x16x16_bf16 a[0:3], v[16:17], v[8:9], a[0:3]
	s_and_b64 vcc, exec, s[22:23]
	s_cbranch_vccz .LBB668_42
; %bb.32:
	v_lshlrev_b32_e32 v20, 1, v35
	s_and_b64 vcc, exec, s[6:7]
	s_cbranch_vccz .LBB668_43
; %bb.33:
	v_cmp_gt_i32_e32 vcc, s27, v20
	v_mov_b32_e32 v6, 0
	v_mov_b32_e32 v2, 0
	;; [unrolled: 1-line block ×5, first 2 shown]
	s_and_saveexec_b64 s[0:1], vcc
	s_cbranch_execz .LBB668_35
; %bb.34:
	v_mad_i64_i32 v[2:3], s[2:3], s15, v20, 0
	v_lshl_add_u64 v[2:3], v[2:3], 1, s[4:5]
	v_lshlrev_b32_e32 v4, 1, v18
	v_mov_b32_e32 v5, 0
	v_lshl_add_u64 v[2:3], v[2:3], 0, v[4:5]
	global_load_dwordx4 v[2:5], v[2:3], off
.LBB668_35:
	s_or_b64 exec, exec, s[0:1]
	v_or_b32_e32 v21, 1, v20
	v_cmp_gt_i32_e64 s[0:1], s27, v21
	v_mov_b32_e32 v7, 0
	v_mov_b32_e32 v8, 0
	v_mov_b32_e32 v9, 0
	s_and_saveexec_b64 s[2:3], s[0:1]
	s_cbranch_execz .LBB668_37
; %bb.36:
	v_mad_i64_i32 v[6:7], s[16:17], s15, v21, 0
	v_lshl_add_u64 v[6:7], v[6:7], 1, s[4:5]
	v_lshlrev_b32_e32 v8, 1, v18
	v_mov_b32_e32 v9, 0
	v_lshl_add_u64 v[6:7], v[6:7], 0, v[8:9]
	global_load_dwordx4 v[6:9], v[6:7], off
.LBB668_37:
	s_or_b64 exec, exec, s[2:3]
	v_mov_b32_e32 v17, 0
	v_mov_b32_e32 v10, 0
	;; [unrolled: 1-line block ×5, first 2 shown]
	s_and_saveexec_b64 s[2:3], vcc
	s_cbranch_execz .LBB668_39
; %bb.38:
	v_mad_i64_i32 v[10:11], s[16:17], s15, v20, 0
	v_lshl_add_u64 v[10:11], v[10:11], 1, s[4:5]
	v_lshlrev_b32_e32 v12, 1, v18
	v_mov_b32_e32 v13, 0
	v_lshl_add_u64 v[10:11], v[10:11], 0, v[12:13]
	global_load_dwordx4 v[10:13], v[10:11], off offset:128
.LBB668_39:
	s_or_b64 exec, exec, s[2:3]
	v_mov_b32_e32 v16, 0
	v_mov_b32_e32 v15, 0
	;; [unrolled: 1-line block ×3, first 2 shown]
	s_and_saveexec_b64 s[2:3], s[0:1]
	s_cbranch_execz .LBB668_41
; %bb.40:
	v_mad_i64_i32 v[14:15], s[0:1], s15, v21, 0
	v_lshl_add_u64 v[14:15], v[14:15], 1, s[4:5]
	v_lshlrev_b32_e32 v16, 1, v18
	v_mov_b32_e32 v17, 0
	v_lshl_add_u64 v[14:15], v[14:15], 0, v[16:17]
	global_load_dwordx4 v[14:17], v[14:15], off offset:128
.LBB668_41:
	s_or_b64 exec, exec, s[2:3]
	s_branch .LBB668_45
.LBB668_42:
                                        ; implicit-def: $vgpr5
                                        ; implicit-def: $vgpr9
                                        ; implicit-def: $vgpr13
                                        ; implicit-def: $vgpr17
	v_lshrrev_b32_e32 v37, 2, v53
	s_branch .LBB668_46
.LBB668_43:
                                        ; implicit-def: $vgpr5
                                        ; implicit-def: $vgpr9
                                        ; implicit-def: $vgpr13
                                        ; implicit-def: $vgpr17
	s_cbranch_execz .LBB668_45
; %bb.44:
	s_waitcnt vmcnt(0)
	v_mad_u64_u32 v[2:3], s[0:1], v20, s15, v[18:19]
	v_lshlrev_b32_e32 v20, 1, v2
	s_lshl_b32 s2, s15, 7
	s_and_b32 s1, s5, 0xffff
	s_mov_b32 s3, 0x20000
	s_mov_b32 s0, s4
	v_add_lshl_u32 v21, v2, s15, 1
	s_movk_i32 s13, 0x80
	buffer_load_dwordx4 v[2:5], v20, s[0:3], 0 offen
	buffer_load_dwordx4 v[10:13], v20, s[0:3], s13 offen
	;; [unrolled: 1-line block ×4, first 2 shown]
.LBB668_45:
	v_lshrrev_b32_e32 v37, 2, v53
	s_cbranch_execnz .LBB668_58
.LBB668_46:
	s_and_b64 vcc, exec, s[6:7]
	s_cbranch_vccz .LBB668_56
; %bb.47:
	s_waitcnt vmcnt(0)
	v_lshlrev_b32_e32 v7, 1, v35
	v_cmp_gt_i32_e32 vcc, s27, v7
	v_mov_b32_e32 v6, 0
	v_lshlrev_b32_e32 v14, 9, v35
	v_mov_b32_e32 v2, 0
	v_mov_b32_e32 v3, 0
	;; [unrolled: 1-line block ×4, first 2 shown]
	s_and_saveexec_b64 s[0:1], vcc
	s_cbranch_execz .LBB668_49
; %bb.48:
	v_mov_b32_e32 v15, 0
	v_lshl_add_u64 v[2:3], s[4:5], 0, v[14:15]
	v_lshlrev_b32_e32 v4, 1, v18
	v_mov_b32_e32 v5, v15
	v_lshl_add_u64 v[2:3], v[2:3], 0, v[4:5]
	global_load_dwordx4 v[2:5], v[2:3], off
.LBB668_49:
	s_or_b64 exec, exec, s[0:1]
	v_or_b32_e32 v7, 1, v7
	v_cmp_gt_i32_e64 s[0:1], s27, v7
	v_lshlrev_b32_e32 v20, 8, v7
	v_mov_b32_e32 v7, 0
	v_mov_b32_e32 v8, 0
	;; [unrolled: 1-line block ×3, first 2 shown]
	s_and_saveexec_b64 s[2:3], s[0:1]
	s_cbranch_execz .LBB668_51
; %bb.50:
	v_mov_b32_e32 v21, 0
	v_lshl_add_u64 v[6:7], s[4:5], 0, v[20:21]
	v_lshlrev_b32_e32 v8, 1, v18
	v_mov_b32_e32 v9, v21
	v_lshl_add_u64 v[6:7], v[6:7], 0, v[8:9]
	global_load_dwordx4 v[6:9], v[6:7], off
.LBB668_51:
	s_or_b64 exec, exec, s[2:3]
	v_mov_b32_e32 v17, 0
	v_mov_b32_e32 v10, 0
	;; [unrolled: 1-line block ×5, first 2 shown]
	s_and_saveexec_b64 s[2:3], vcc
	s_cbranch_execz .LBB668_53
; %bb.52:
	v_mov_b32_e32 v15, 0
	v_lshl_add_u64 v[10:11], s[4:5], 0, v[14:15]
	v_lshlrev_b32_e32 v14, 1, v18
	v_lshl_add_u64 v[10:11], v[10:11], 0, v[14:15]
	global_load_dwordx4 v[10:13], v[10:11], off offset:128
.LBB668_53:
	s_or_b64 exec, exec, s[2:3]
	v_mov_b32_e32 v16, 0
	v_mov_b32_e32 v15, 0
	;; [unrolled: 1-line block ×3, first 2 shown]
	s_and_saveexec_b64 s[2:3], s[0:1]
	s_cbranch_execz .LBB668_55
; %bb.54:
	v_mov_b32_e32 v21, 0
	v_lshl_add_u64 v[14:15], s[4:5], 0, v[20:21]
	v_lshlrev_b32_e32 v20, 1, v18
	v_lshl_add_u64 v[14:15], v[14:15], 0, v[20:21]
	global_load_dwordx4 v[14:17], v[14:15], off offset:128
.LBB668_55:
	s_or_b64 exec, exec, s[2:3]
	s_branch .LBB668_58
.LBB668_56:
                                        ; implicit-def: $vgpr5
                                        ; implicit-def: $vgpr9
                                        ; implicit-def: $vgpr13
                                        ; implicit-def: $vgpr17
	s_cbranch_execz .LBB668_58
; %bb.57:
	s_waitcnt vmcnt(0)
	v_lshlrev_b32_e32 v2, 1, v18
	v_lshl_or_b32 v18, v35, 9, v2
	s_and_b32 s5, s5, 0xffff
	s_mov_b32 s7, 0x20000
	s_movk_i32 s6, 0x4000
	s_movk_i32 s0, 0x80
	buffer_load_dwordx4 v[2:5], v18, s[4:7], 0 offen
	buffer_load_dwordx4 v[6:9], v18, s[4:7], 0 offen offset:256
	buffer_load_dwordx4 v[10:13], v18, s[4:7], s0 offen
	buffer_load_dwordx4 v[14:17], v18, s[4:7], s0 offen offset:256
.LBB668_58:
	ds_read2st64_b64 v[22:25], v19 offset0:76 offset1:77
	ds_read2st64_b64 v[18:21], v19 offset0:78 offset1:79
	ds_read_b64 v[30:31], v26 offset:24576
	ds_read_b64 v[32:33], v27 offset:24576
	;; [unrolled: 1-line block ×4, first 2 shown]
	v_and_b32_e32 v36, 6, v0
	v_xor_b32_e32 v35, v35, v36
	v_lshlrev_b32_e32 v35, 2, v35
	v_and_b32_e32 v0, 1, v0
	v_xor_b32_e32 v38, 0x440, v35
	v_cmp_eq_u32_e32 vcc, 0, v0
	s_mov_b32 s0, 0x1000504
	s_mov_b32 s1, 0x3020706
	v_cndmask_b32_e32 v0, v38, v35, vcc
	v_lshl_or_b32 v0, v36, 10, v0
	s_waitcnt vmcnt(0)
	v_perm_b32 v35, v2, v6, s0
	v_perm_b32 v36, v10, v14, s0
	ds_write2st64_b32 v0, v35, v36 offset1:32
	v_xor_b32_e32 v35, 8, v0
	v_perm_b32 v2, v2, v6, s1
	v_perm_b32 v6, v10, v14, s1
	v_add_u32_e32 v10, 0x80, v35
	ds_write2st64_b32 v10, v2, v6 offset1:32
	v_xor_b32_e32 v2, 16, v0
	v_perm_b32 v6, v3, v7, s0
	v_perm_b32 v10, v11, v15, s0
	ds_write2st64_b32 v2, v6, v10 offset0:1 offset1:33
	v_xor_b32_e32 v2, 24, v0
	v_perm_b32 v3, v3, v7, s1
	v_perm_b32 v6, v11, v15, s1
	v_add_u32_e32 v2, 0x80, v2
	ds_write2st64_b32 v2, v3, v6 offset0:1 offset1:33
	v_xor_b32_e32 v2, 32, v0
	v_perm_b32 v3, v4, v8, s0
	v_perm_b32 v6, v12, v16, s0
	ds_write2st64_b32 v2, v3, v6 offset0:2 offset1:34
	v_xor_b32_e32 v2, 40, v0
	v_perm_b32 v3, v4, v8, s1
	v_perm_b32 v4, v12, v16, s1
	v_add_u32_e32 v2, 0x80, v2
	ds_write2st64_b32 v2, v3, v4 offset0:2 offset1:34
	v_xor_b32_e32 v2, 48, v0
	v_perm_b32 v3, v5, v9, s0
	v_perm_b32 v4, v13, v17, s0
	v_xor_b32_e32 v0, 56, v0
	v_and_or_b32 v6, v37, 12, v1
	ds_write2st64_b32 v2, v3, v4 offset0:3 offset1:35
	v_perm_b32 v2, v5, v9, s1
	v_perm_b32 v3, v13, v17, s1
	v_add_u32_e32 v0, 0x80, v0
	v_cmp_gt_i32_e32 vcc, s27, v6
	v_mov_b32_e32 v7, 0
	v_mov_b32_e32 v11, 0
	ds_write2st64_b32 v0, v2, v3 offset0:3 offset1:35
	s_and_saveexec_b64 s[0:1], vcc
	s_cbranch_execz .LBB668_60
; %bb.59:
	v_add_u32_e32 v0, s26, v6
	v_ashrrev_i32_e32 v1, 31, v0
	v_mul_lo_u32 v2, v1, s28
	v_mul_lo_u32 v3, v0, s29
	v_mad_u64_u32 v[0:1], s[2:3], v0, s28, 0
	v_add3_u32 v1, v1, v3, v2
	v_lshl_add_u64 v[0:1], v[0:1], 2, s[10:11]
	global_load_dword v0, v[0:1], off
	s_waitcnt vmcnt(0)
	v_sub_f32_e32 v0, s12, v0
	v_exp_f32_e32 v11, v0
.LBB668_60:
	s_or_b64 exec, exec, s[0:1]
	v_or_b32_e32 v9, 1, v6
	v_cmp_gt_i32_e64 s[0:1], s27, v9
	s_and_saveexec_b64 s[2:3], s[0:1]
	s_cbranch_execz .LBB668_62
; %bb.61:
	v_add_u32_e32 v0, s26, v9
	v_ashrrev_i32_e32 v1, 31, v0
	v_mul_lo_u32 v2, v1, s28
	v_mul_lo_u32 v3, v0, s29
	v_mad_u64_u32 v[0:1], s[4:5], v0, s28, 0
	v_add3_u32 v1, v1, v3, v2
	v_lshl_add_u64 v[0:1], v[0:1], 2, s[10:11]
	global_load_dword v0, v[0:1], off
	s_waitcnt vmcnt(0)
	v_sub_f32_e32 v0, s12, v0
	v_exp_f32_e32 v7, v0
.LBB668_62:
	s_or_b64 exec, exec, s[2:3]
	v_or_b32_e32 v10, 2, v6
	v_cmp_gt_i32_e64 s[2:3], s27, v10
	v_mov_b32_e32 v8, 0
	v_mov_b32_e32 v13, 0
	s_and_saveexec_b64 s[4:5], s[2:3]
	s_cbranch_execz .LBB668_64
; %bb.63:
	v_add_u32_e32 v0, s26, v10
	v_ashrrev_i32_e32 v1, 31, v0
	v_mul_lo_u32 v2, v1, s28
	v_mul_lo_u32 v3, v0, s29
	v_mad_u64_u32 v[0:1], s[6:7], v0, s28, 0
	v_add3_u32 v1, v1, v3, v2
	v_lshl_add_u64 v[0:1], v[0:1], 2, s[10:11]
	global_load_dword v0, v[0:1], off
	s_waitcnt vmcnt(0)
	v_sub_f32_e32 v0, s12, v0
	v_exp_f32_e32 v13, v0
.LBB668_64:
	s_or_b64 exec, exec, s[4:5]
	v_or_b32_e32 v12, 3, v6
	v_cmp_gt_i32_e64 s[4:5], s27, v12
	s_and_saveexec_b64 s[6:7], s[4:5]
	s_cbranch_execz .LBB668_66
; %bb.65:
	v_add_u32_e32 v0, s26, v12
	v_ashrrev_i32_e32 v1, 31, v0
	v_mul_lo_u32 v2, v1, s28
	v_mul_lo_u32 v3, v0, s29
	v_mad_u64_u32 v[0:1], s[14:15], v0, s28, 0
	v_add3_u32 v1, v1, v3, v2
	v_lshl_add_u64 v[0:1], v[0:1], 2, s[10:11]
	global_load_dword v0, v[0:1], off
	s_waitcnt vmcnt(0)
	v_sub_f32_e32 v0, s12, v0
	v_exp_f32_e32 v8, v0
.LBB668_66:
	s_or_b64 exec, exec, s[6:7]
	s_waitcnt lgkmcnt(11)
	v_mfma_f32_16x16x16_bf16 a[0:3], v[30:31], v[22:23], a[0:3]
	s_add_u32 s6, s8, s20
	v_ashrrev_i32_e32 v55, 31, v54
	s_addc_u32 s7, s9, s21
	s_waitcnt lgkmcnt(10)
	v_mfma_f32_16x16x16_bf16 a[0:3], v[32:33], v[24:25], a[0:3]
	v_mov_b32_e32 v14, 0
	v_lshl_add_u64 v[4:5], v[54:55], 1, s[6:7]
	v_mov_b32_e32 v15, 0
	s_waitcnt lgkmcnt(9)
	v_mfma_f32_16x16x16_bf16 a[0:3], v[28:29], v[18:19], a[0:3]
	s_waitcnt lgkmcnt(8)
	v_mfma_f32_16x16x16_bf16 a[0:3], v[26:27], v[20:21], a[0:3]
	s_nop 6
	v_accvgpr_read_b32 v0, a0
	v_accvgpr_read_b32 v1, a1
	;; [unrolled: 1-line block ×4, first 2 shown]
	s_and_saveexec_b64 s[6:7], vcc
	s_cbranch_execz .LBB668_68
; %bb.67:
	v_lshlrev_b32_e32 v16, 8, v6
	v_mov_b32_e32 v17, 0
	v_lshl_add_u64 v[16:17], v[4:5], 0, v[16:17]
	global_load_ushort v15, v[16:17], off
	s_waitcnt vmcnt(0)
	v_lshlrev_b32_e32 v15, 16, v15
	v_sub_f32_e32 v0, v15, v0
	v_mul_f32_e32 v0, v11, v0
	v_lshrrev_b32_e32 v15, 16, v0
.LBB668_68:
	s_or_b64 exec, exec, s[6:7]
	s_and_saveexec_b64 s[6:7], s[0:1]
	s_cbranch_execz .LBB668_70
; %bb.69:
	v_lshlrev_b32_e32 v16, 8, v9
	v_mov_b32_e32 v17, 0
	v_lshl_add_u64 v[16:17], v[4:5], 0, v[16:17]
	global_load_ushort v0, v[16:17], off
	s_waitcnt vmcnt(0)
	v_lshlrev_b32_e32 v0, 16, v0
	v_sub_f32_e32 v0, v0, v1
	v_mul_f32_e32 v0, v7, v0
	v_lshrrev_b32_e32 v14, 16, v0
.LBB668_70:
	s_or_b64 exec, exec, s[6:7]
	v_mov_b32_e32 v0, 0
	v_mov_b32_e32 v1, 0
	s_and_saveexec_b64 s[0:1], s[2:3]
	s_cbranch_execz .LBB668_72
; %bb.71:
	v_lshlrev_b32_e32 v10, 8, v10
	v_mov_b32_e32 v11, 0
	v_lshl_add_u64 v[10:11], v[4:5], 0, v[10:11]
	global_load_ushort v1, v[10:11], off
	s_waitcnt vmcnt(0)
	v_lshlrev_b32_e32 v1, 16, v1
	v_sub_f32_e32 v1, v1, v2
	v_mul_f32_e32 v1, v13, v1
	v_lshrrev_b32_e32 v1, 16, v1
.LBB668_72:
	s_or_b64 exec, exec, s[0:1]
	s_and_saveexec_b64 s[0:1], s[4:5]
	s_cbranch_execz .LBB668_74
; %bb.73:
	v_lshlrev_b32_e32 v10, 8, v12
	v_mov_b32_e32 v11, 0
	v_lshl_add_u64 v[4:5], v[4:5], 0, v[10:11]
	global_load_ushort v0, v[4:5], off
	s_waitcnt vmcnt(0)
	v_lshlrev_b32_e32 v0, 16, v0
	v_sub_f32_e32 v0, v0, v3
	v_mul_f32_e32 v0, v8, v0
	v_lshrrev_b32_e32 v0, 16, v0
.LBB668_74:
	s_or_b64 exec, exec, s[0:1]
	s_mov_b32 s0, 0x5040100
	v_lshlrev_b32_e32 v2, 1, v34
	v_perm_b32 v1, v0, v1, s0
	v_perm_b32 v0, v14, v15, s0
	v_lshl_or_b32 v2, v6, 5, v2
	ds_write_b64 v2, v[0:1] offset:38912
	s_waitcnt lgkmcnt(0)
	s_barrier
.LBB668_75:
	s_endpgm
	.section	.rodata,"a",@progbits
	.p2align	6, 0x0
	.amdhsa_kernel _ZN12_GLOBAL__N_139chunk_gated_delta_rule_fwd_h_hip_kernelILi16ELb1ELb0ELb0ELb0ELb1ELb1ELb0ELb0EEEvPK12hip_bfloat16S3_S3_PKfS5_PKvPS1_S8_PvPKiSB_iiiiilll
		.amdhsa_group_segment_fixed_size 40960
		.amdhsa_private_segment_fixed_size 0
		.amdhsa_kernarg_size 136
		.amdhsa_user_sgpr_count 2
		.amdhsa_user_sgpr_dispatch_ptr 0
		.amdhsa_user_sgpr_queue_ptr 0
		.amdhsa_user_sgpr_kernarg_segment_ptr 1
		.amdhsa_user_sgpr_dispatch_id 0
		.amdhsa_user_sgpr_kernarg_preload_length 0
		.amdhsa_user_sgpr_kernarg_preload_offset 0
		.amdhsa_user_sgpr_private_segment_size 0
		.amdhsa_uses_dynamic_stack 0
		.amdhsa_enable_private_segment 0
		.amdhsa_system_sgpr_workgroup_id_x 1
		.amdhsa_system_sgpr_workgroup_id_y 1
		.amdhsa_system_sgpr_workgroup_id_z 0
		.amdhsa_system_sgpr_workgroup_info 0
		.amdhsa_system_vgpr_workitem_id 0
		.amdhsa_next_free_vgpr 124
		.amdhsa_next_free_sgpr 67
		.amdhsa_accum_offset 112
		.amdhsa_reserve_vcc 1
		.amdhsa_float_round_mode_32 0
		.amdhsa_float_round_mode_16_64 0
		.amdhsa_float_denorm_mode_32 3
		.amdhsa_float_denorm_mode_16_64 3
		.amdhsa_dx10_clamp 1
		.amdhsa_ieee_mode 1
		.amdhsa_fp16_overflow 0
		.amdhsa_tg_split 0
		.amdhsa_exception_fp_ieee_invalid_op 0
		.amdhsa_exception_fp_denorm_src 0
		.amdhsa_exception_fp_ieee_div_zero 0
		.amdhsa_exception_fp_ieee_overflow 0
		.amdhsa_exception_fp_ieee_underflow 0
		.amdhsa_exception_fp_ieee_inexact 0
		.amdhsa_exception_int_div_zero 0
	.end_amdhsa_kernel
	.section	.text._ZN12_GLOBAL__N_139chunk_gated_delta_rule_fwd_h_hip_kernelILi16ELb1ELb0ELb0ELb0ELb1ELb1ELb0ELb0EEEvPK12hip_bfloat16S3_S3_PKfS5_PKvPS1_S8_PvPKiSB_iiiiilll,"axG",@progbits,_ZN12_GLOBAL__N_139chunk_gated_delta_rule_fwd_h_hip_kernelILi16ELb1ELb0ELb0ELb0ELb1ELb1ELb0ELb0EEEvPK12hip_bfloat16S3_S3_PKfS5_PKvPS1_S8_PvPKiSB_iiiiilll,comdat
.Lfunc_end668:
	.size	_ZN12_GLOBAL__N_139chunk_gated_delta_rule_fwd_h_hip_kernelILi16ELb1ELb0ELb0ELb0ELb1ELb1ELb0ELb0EEEvPK12hip_bfloat16S3_S3_PKfS5_PKvPS1_S8_PvPKiSB_iiiiilll, .Lfunc_end668-_ZN12_GLOBAL__N_139chunk_gated_delta_rule_fwd_h_hip_kernelILi16ELb1ELb0ELb0ELb0ELb1ELb1ELb0ELb0EEEvPK12hip_bfloat16S3_S3_PKfS5_PKvPS1_S8_PvPKiSB_iiiiilll
                                        ; -- End function
	.section	.AMDGPU.csdata,"",@progbits
; Kernel info:
; codeLenInByte = 7268
; NumSgprs: 73
; NumVgprs: 112
; NumAgprs: 12
; TotalNumVgprs: 124
; ScratchSize: 0
; MemoryBound: 0
; FloatMode: 240
; IeeeMode: 1
; LDSByteSize: 40960 bytes/workgroup (compile time only)
; SGPRBlocks: 9
; VGPRBlocks: 15
; NumSGPRsForWavesPerEU: 73
; NumVGPRsForWavesPerEU: 124
; AccumOffset: 112
; Occupancy: 1
; WaveLimiterHint : 1
; COMPUTE_PGM_RSRC2:SCRATCH_EN: 0
; COMPUTE_PGM_RSRC2:USER_SGPR: 2
; COMPUTE_PGM_RSRC2:TRAP_HANDLER: 0
; COMPUTE_PGM_RSRC2:TGID_X_EN: 1
; COMPUTE_PGM_RSRC2:TGID_Y_EN: 1
; COMPUTE_PGM_RSRC2:TGID_Z_EN: 0
; COMPUTE_PGM_RSRC2:TIDIG_COMP_CNT: 0
; COMPUTE_PGM_RSRC3_GFX90A:ACCUM_OFFSET: 27
; COMPUTE_PGM_RSRC3_GFX90A:TG_SPLIT: 0
	.section	.text._ZN12_GLOBAL__N_139chunk_gated_delta_rule_fwd_h_hip_kernelILi16ELb0ELb1ELb1ELb0ELb1ELb1ELb0ELb0EEEvPK12hip_bfloat16S3_S3_PKfS5_PKvPS1_S8_PvPKiSB_iiiiilll,"axG",@progbits,_ZN12_GLOBAL__N_139chunk_gated_delta_rule_fwd_h_hip_kernelILi16ELb0ELb1ELb1ELb0ELb1ELb1ELb0ELb0EEEvPK12hip_bfloat16S3_S3_PKfS5_PKvPS1_S8_PvPKiSB_iiiiilll,comdat
	.globl	_ZN12_GLOBAL__N_139chunk_gated_delta_rule_fwd_h_hip_kernelILi16ELb0ELb1ELb1ELb0ELb1ELb1ELb0ELb0EEEvPK12hip_bfloat16S3_S3_PKfS5_PKvPS1_S8_PvPKiSB_iiiiilll ; -- Begin function _ZN12_GLOBAL__N_139chunk_gated_delta_rule_fwd_h_hip_kernelILi16ELb0ELb1ELb1ELb0ELb1ELb1ELb0ELb0EEEvPK12hip_bfloat16S3_S3_PKfS5_PKvPS1_S8_PvPKiSB_iiiiilll
	.p2align	8
	.type	_ZN12_GLOBAL__N_139chunk_gated_delta_rule_fwd_h_hip_kernelILi16ELb0ELb1ELb1ELb0ELb1ELb1ELb0ELb0EEEvPK12hip_bfloat16S3_S3_PKfS5_PKvPS1_S8_PvPKiSB_iiiiilll,@function
_ZN12_GLOBAL__N_139chunk_gated_delta_rule_fwd_h_hip_kernelILi16ELb0ELb1ELb1ELb0ELb1ELb1ELb0ELb0EEEvPK12hip_bfloat16S3_S3_PKfS5_PKvPS1_S8_PvPKiSB_iiiiilll: ; @_ZN12_GLOBAL__N_139chunk_gated_delta_rule_fwd_h_hip_kernelILi16ELb0ELb1ELb1ELb0ELb1ELb1ELb0ELb0EEEvPK12hip_bfloat16S3_S3_PKfS5_PKvPS1_S8_PvPKiSB_iiiiilll
; %bb.0:
	s_load_dwordx4 s[12:15], s[0:1], 0x5c
	s_load_dwordx2 s[34:35], s[0:1], 0x40
	s_abs_i32 s22, s3
	s_ashr_i32 s21, s3, 31
	s_load_dwordx8 s[4:11], s[0:1], 0x0
	s_load_dwordx2 s[36:37], s[0:1], 0x20
	s_load_dwordx4 s[16:19], s[0:1], 0x30
	s_waitcnt lgkmcnt(0)
	s_abs_i32 s20, s13
	v_cvt_f32_u32_e32 v1, s20
	s_sub_i32 s24, 0, s20
	s_ashr_i32 s23, s13, 31
	s_xor_b32 s21, s21, s23
	v_rcp_iflag_f32_e32 v1, v1
	v_lshrrev_b32_e32 v53, 6, v0
	v_bfe_u32 v62, v0, 4, 2
	v_lshlrev_b32_e32 v60, 4, v53
	v_mul_f32_e32 v1, 0x4f7ffffe, v1
	v_cvt_u32_f32_e32 v1, v1
	v_lshlrev_b32_e32 v10, 2, v62
	v_and_b32_e32 v61, 63, v0
	v_mov_b32_e32 v9, 0
	v_readfirstlane_b32 s25, v1
	s_mul_i32 s24, s24, s25
	s_mul_hi_u32 s24, s25, s24
	s_add_i32 s25, s25, s24
	s_mul_hi_u32 s24, s22, s25
	s_mul_i32 s25, s24, s20
	s_sub_i32 s22, s22, s25
	s_add_i32 s25, s24, 1
	s_sub_i32 s26, s22, s20
	s_cmp_ge_u32 s22, s20
	s_cselect_b32 s24, s25, s24
	s_cselect_b32 s22, s26, s22
	s_add_i32 s25, s24, 1
	s_cmp_ge_u32 s22, s20
	s_cselect_b32 s22, s25, s24
	s_xor_b32 s22, s22, s21
	s_sub_i32 s52, s22, s21
	s_abs_i32 s21, s14
	v_cvt_f32_u32_e32 v1, s21
	s_ashr_i32 s51, s12, 31
	s_lshr_b32 s22, s51, 26
	s_add_i32 s22, s12, s22
	v_rcp_iflag_f32_e32 v1, v1
	s_ashr_i32 s54, s14, 31
	s_ashr_i32 s53, s22, 6
	s_xor_b32 s22, s23, s54
	v_mul_f32_e32 v1, 0x4f7ffffe, v1
	v_cvt_u32_f32_e32 v1, v1
	s_sub_i32 s23, 0, s21
	s_mul_i32 s50, s52, s13
	s_sub_i32 s33, s3, s50
	v_readfirstlane_b32 s24, v1
	s_mul_i32 s23, s23, s24
	s_mul_hi_u32 s23, s24, s23
	s_add_i32 s24, s24, s23
	s_mul_hi_u32 s23, s20, s24
	s_mul_i32 s24, s23, s21
	s_sub_i32 s20, s20, s24
	s_add_i32 s3, s12, 63
	s_add_i32 s24, s23, 1
	s_sub_i32 s25, s20, s21
	s_cmp_ge_u32 s20, s21
	s_cselect_b32 s23, s24, s23
	s_cselect_b32 s20, s25, s20
	s_add_i32 s24, s23, 1
	s_cmp_ge_u32 s20, s21
	s_cselect_b32 s20, s24, s23
	s_xor_b32 s20, s20, s22
	s_sub_i32 s24, s20, s22
	s_abs_i32 s25, s24
	v_cvt_f32_u32_e32 v1, s25
	s_load_dwordx2 s[38:39], s[0:1], 0x80
	s_load_dwordx4 s[20:23], s[0:1], 0x70
	s_xor_b32 s0, s33, s24
	s_sub_i32 s24, 0, s25
	v_rcp_iflag_f32_e32 v1, v1
	s_abs_i32 s1, s33
	s_ashr_i32 s0, s0, 31
	s_mul_i32 s48, s52, s12
	v_mul_f32_e32 v1, 0x4f7ffffe, v1
	v_cvt_u32_f32_e32 v1, v1
	v_and_b32_e32 v63, 15, v0
	s_mul_hi_i32 s56, s52, s13
	v_lshrrev_b32_e32 v65, 3, v61
	v_readfirstlane_b32 s26, v1
	s_mul_i32 s24, s24, s26
	s_mul_hi_u32 s24, s26, s24
	s_add_i32 s26, s26, s24
	s_mul_hi_u32 s24, s1, s26
	s_mul_i32 s26, s24, s25
	s_sub_i32 s1, s1, s26
	s_add_i32 s26, s24, 1
	s_sub_i32 s27, s1, s25
	s_cmp_ge_u32 s1, s25
	s_cselect_b32 s24, s26, s24
	s_cselect_b32 s1, s27, s1
	s_add_i32 s26, s24, 1
	s_cmp_ge_u32 s1, s25
	s_cselect_b32 s1, s26, s24
	s_xor_b32 s1, s1, s0
	s_sub_i32 s57, s1, s0
	s_ashr_i32 s0, s3, 31
	s_lshr_b32 s0, s0, 26
	s_add_i32 s3, s3, s0
	v_or_b32_e32 v1, v10, v60
	s_ashr_i32 s0, s3, 6
	s_lshl_b32 s2, s2, 4
	s_mul_i32 s55, s52, s0
	v_or_b32_e32 v66, 64, v1
	s_cmp_lt_i32 s12, 64
	v_lshlrev_b32_e32 v64, 3, v0
	s_waitcnt lgkmcnt(0)
	s_mul_i32 s21, s52, s21
	s_mul_hi_u32 s49, s52, s20
	s_mul_i32 s40, s52, s20
	v_mov_b32_e32 v8, v9
	v_mov_b32_e32 v7, v9
	;; [unrolled: 1-line block ×7, first 2 shown]
	s_cbranch_scc1 .LBB669_18
; %bb.1:
	s_ashr_i32 s3, s52, 31
	s_ashr_i32 s59, s33, 31
	s_add_u32 s0, s50, s33
	s_addc_u32 s1, s56, s59
	s_mul_i32 s1, s12, s1
	s_mul_hi_u32 s24, s12, s0
	s_add_i32 s43, s24, s1
	s_mul_i32 s42, s12, s0
	s_lshl_b64 s[0:1], s[42:43], 8
	v_and_b32_e32 v68, 56, v64
	s_add_u32 s24, s6, s0
	v_lshl_or_b32 v67, v53, 3, v65
	v_lshlrev_b32_e32 v3, 1, v68
	s_addc_u32 s0, s7, s1
	v_lshl_or_b32 v69, v67, 8, v3
	s_and_b32 s25, s0, 0xffff
	s_mov_b32 s27, 0x20000
	s_movk_i32 s26, 0x4000
	s_movk_i32 s0, 0x80
	v_or_b32_e32 v70, 0x2000, v69
	buffer_load_dwordx4 v[4:7], v69, s[24:27], 0 offen
	buffer_load_dwordx4 v[12:15], v69, s[24:27], s0 offen
	;; [unrolled: 1-line block ×4, first 2 shown]
	v_lshlrev_b32_e32 v2, 3, v67
	v_and_or_b32 v9, v0, 7, v2
	v_and_b32_e32 v2, 0x78, v2
	v_lshlrev_b32_e32 v9, 4, v9
	v_xor_b32_e32 v71, v9, v2
	v_mul_lo_u32 v8, v67, s15
	v_or_b32_e32 v72, 0x1000, v71
	v_xor_b32_e32 v2, 8, v71
	s_cmpk_eq_i32 s15, 0x80
	s_mov_b32 s58, s14
	v_xor_b32_e32 v9, 8, v72
	s_cselect_b64 s[0:1], -1, 0
	s_cmpk_lg_i32 s15, 0x80
	s_waitcnt vmcnt(3)
	ds_write_b64 v71, v[4:5] offset:16384
	ds_write_b64 v2, v[6:7] offset:16384
	s_waitcnt vmcnt(2)
	ds_write_b64 v71, v[12:13] offset:24576
	ds_write_b64 v2, v[14:15] offset:24576
	;; [unrolled: 3-line block ×4, first 2 shown]
	v_lshl_add_u32 v2, v8, 1, v68
	s_cbranch_scc0 .LBB669_3
; %bb.2:
	v_lshlrev_b32_e32 v6, 1, v2
	v_add_lshl_u32 v5, v2, s15, 1
	s_lshl_b32 s26, s15, 7
	v_lshl_or_b32 v4, v67, 9, v3
	s_cbranch_execz .LBB669_4
	s_branch .LBB669_5
.LBB669_3:
                                        ; implicit-def: $vgpr5
                                        ; implicit-def: $vgpr6
                                        ; implicit-def: $sgpr26
	v_lshl_or_b32 v4, v67, 9, v3
.LBB669_4:
	v_or_b32_e32 v5, 0x100, v4
	s_movk_i32 s26, 0x4000
	v_mov_b32_e32 v6, v4
.LBB669_5:
	s_mul_hi_u32 s24, s14, s12
	s_mul_i32 s25, s54, s12
	s_add_i32 s24, s24, s25
	s_mul_i32 s25, s14, s12
	s_mul_i32 s27, s25, s3
	s_mul_hi_u32 s28, s25, s52
	s_add_i32 s27, s28, s27
	s_mul_i32 s24, s24, s52
	s_add_i32 s27, s27, s24
	s_mul_i32 s25, s25, s52
	s_ashr_i32 s60, s57, 31
	s_add_u32 s24, s25, s57
	s_addc_u32 s25, s27, s60
	s_lshl_b64 s[24:25], s[24:25], 8
	s_add_u32 s24, s4, s24
	s_addc_u32 s25, s5, s25
	s_and_b32 s25, s25, 0xffff
	s_mov_b32 s27, 0x20000
	s_movk_i32 s61, 0x80
	buffer_load_dwordx4 v[12:15], v6, s[24:27], 0 offen
	s_nop 0
	buffer_load_dwordx4 v[6:9], v6, s[24:27], s61 offen
	s_nop 0
	buffer_load_dwordx4 v[16:19], v5, s[24:27], 0 offen
	buffer_load_dwordx4 v[20:23], v5, s[24:27], s61 offen
	v_and_b32_e32 v3, 6, v0
	s_mul_i32 s24, s3, s12
	s_mul_hi_u32 s25, s52, s12
	v_lshlrev_b32_e32 v11, 2, v63
	v_lshlrev_b32_e32 v24, 3, v63
	v_xor_b32_e32 v26, v67, v3
	v_and_b32_e32 v5, 1, v0
	s_mul_i32 s3, s3, s20
	v_lshl_or_b32 v24, v1, 5, v24
	v_xor_b32_e32 v27, v1, v11
	v_lshlrev_b32_e32 v26, 2, v26
	s_add_i32 s65, s25, s24
	s_add_i32 s24, s49, s21
	s_mul_i32 s28, s33, s23
	v_or_b32_e32 v73, 0x9000, v24
	v_or_b32_e32 v74, 0x9800, v24
	v_lshlrev_b32_e32 v24, 1, v27
	v_xor_b32_e32 v27, 0x440, v26
	v_cmp_eq_u32_e32 vcc, 0, v5
	s_add_i32 s41, s24, s3
	s_mul_hi_u32 s3, s33, s22
	v_cndmask_b32_e32 v5, v27, v26, vcc
	s_add_i32 s3, s3, s28
	s_mul_i32 s24, s59, s22
	s_mov_b32 s63, 0x1000504
	v_lshlrev_b32_e32 v25, 8, v63
	s_mov_b32 s26, 0x8000
	v_xor_b32_e32 v11, v66, v11
	v_lshl_or_b32 v3, v3, 10, v5
	s_add_i32 s25, s3, s24
	s_lshl_b64 s[28:29], s[40:41], 2
	s_mov_b32 s64, 0x3020706
	v_lshlrev_b32_e32 v11, 1, v11
	v_or3_b32 v75, v24, v25, s26
	v_xor_b32_e32 v5, 8, v3
	v_xor_b32_e32 v24, 24, v3
	;; [unrolled: 1-line block ×4, first 2 shown]
	s_mul_i32 s24, s33, s22
	s_add_u32 s3, s10, s28
	v_or3_b32 v76, v11, v25, s26
	v_xor_b32_e32 v11, 16, v3
	v_xor_b32_e32 v25, 32, v3
	;; [unrolled: 1-line block ×3, first 2 shown]
	v_add_u32_e32 v5, 0x80, v5
	v_add_u32_e32 v24, 0x80, v24
	v_add_u32_e32 v26, 0x80, v26
	v_add_u32_e32 v28, 0x80, v28
	s_addc_u32 s28, s11, s29
	s_lshl_b64 s[24:25], s[24:25], 2
	s_add_u32 s44, s3, s24
	s_movk_i32 s3, 0xf8
	s_addc_u32 s45, s28, s25
	s_lshl_b32 s30, s15, 7
	s_mov_b32 s62, 0
	v_add_u32_e32 v87, v60, v10
	s_mov_b32 s41, 0x7060302
	s_mov_b32 s67, 0
	s_waitcnt vmcnt(1)
	v_perm_b32 v29, v12, v16, s63
	s_waitcnt vmcnt(0)
	v_perm_b32 v30, v6, v20, s63
	v_perm_b32 v12, v12, v16, s64
	;; [unrolled: 1-line block ×15, first 2 shown]
	ds_write2st64_b32 v3, v29, v30 offset1:32
	ds_write2st64_b32 v5, v12, v6 offset1:32
	ds_write2st64_b32 v11, v16, v20 offset0:1 offset1:33
	ds_write2st64_b32 v24, v13, v7 offset0:1 offset1:33
	;; [unrolled: 1-line block ×6, first 2 shown]
	v_or_b32_e32 v3, v60, v63
	v_lshlrev_b32_e32 v3, 3, v3
	v_lshrrev_b32_e32 v7, 5, v61
	v_and_or_b32 v7, v3, s3, v7
	v_lshlrev_b32_e32 v7, 4, v7
	v_lshlrev_b32_e32 v11, 11, v53
	v_and_b32_e32 v3, 0x78, v3
	v_or_b32_e32 v12, 32, v7
	v_and_b32_e32 v6, 0x1000, v11
	v_lshrrev_b32_e32 v9, 1, v61
	v_xor_b32_e32 v12, v12, v3
	v_and_b32_e32 v9, 8, v9
	v_or_b32_e32 v12, v12, v6
	v_xor_b32_e32 v8, v7, v3
	v_xor_b32_e32 v79, v12, v9
	v_or_b32_e32 v12, 64, v7
	v_or_b32_e32 v7, 0x60, v7
	v_xor_b32_e32 v12, v12, v3
	v_xor_b32_e32 v3, v7, v3
	v_or_b32_e32 v3, v3, v6
	v_or_b32_e32 v12, v12, v6
	v_xor_b32_e32 v81, v3, v9
	v_lshlrev_b32_e32 v15, 1, v2
	v_add_lshl_u32 v16, v2, s15, 1
	v_lshrrev_b32_e32 v2, 4, v0
	v_lshlrev_b32_e32 v3, 1, v63
	v_xor_b32_e32 v80, v12, v9
	s_ashr_i32 s3, s2, 31
	v_or_b32_e32 v12, 1, v3
	v_xor_b32_e32 v3, v2, v3
	s_lshl_b64 s[24:25], s[2:3], 8
	v_xor_b32_e32 v12, v12, v2
	v_lshlrev_b32_e32 v3, 3, v3
	v_lshlrev_b32_e32 v2, 8, v2
	s_add_u32 s24, s16, s24
	v_or3_b32 v83, v3, v2, s26
	v_lshlrev_b32_e32 v3, 3, v12
	s_addc_u32 s25, s17, s25
	v_or3_b32 v84, v3, v2, s26
	v_mov_b32_e32 v3, 0
	v_lshrrev_b32_e32 v20, 1, v0
	v_lshl_add_u64 v[12:13], s[24:25], 0, v[2:3]
	v_lshlrev_b32_e32 v2, 4, v63
	s_movk_i32 s3, 0xff
	v_lshlrev_b32_e32 v19, 3, v53
	v_and_b32_e32 v20, 24, v20
	v_lshl_add_u64 v[54:55], v[12:13], 0, v[2:3]
	v_and_b32_e32 v2, 7, v0
	v_and_b32_e32 v13, 8, v0
	v_cmp_lt_u32_e32 vcc, s3, v0
	v_xor_b32_e32 v21, v19, v20
	v_lshlrev_b32_e32 v14, 3, v2
	v_lshlrev_b32_e32 v18, 7, v2
	v_cndmask_b32_e64 v2, 0, 1, vcc
	v_or_b32_e32 v22, 0x440, v21
	v_cmp_eq_u32_e32 vcc, 0, v13
	v_or_b32_e32 v24, 64, v20
	v_xor_b32_e32 v24, v19, v24
	v_cndmask_b32_e32 v13, v22, v21, vcc
	v_or_b32_e32 v22, 32, v20
	v_or_b32_e32 v20, 0x60, v20
	v_xor_b32_e32 v22, v19, v22
	v_xor_b32_e32 v19, v19, v20
	v_or_b32_e32 v23, 0x440, v22
	v_xor_b32_e32 v25, 0x440, v24
	v_xor_b32_e32 v20, 0x440, v19
	v_or_b32_e32 v8, v8, v6
	v_or_b32_e32 v6, s2, v63
	v_cndmask_b32_e32 v22, v23, v22, vcc
	v_cndmask_b32_e32 v24, v25, v24, vcc
	;; [unrolled: 1-line block ×3, first 2 shown]
	v_lshrrev_b32_e32 v5, 2, v61
	v_xor_b32_e32 v77, v8, v9
	v_and_b32_e32 v8, 0x78, v64
	v_ashrrev_i32_e32 v7, 31, v6
	v_or_b32_e32 v13, v13, v11
	v_or_b32_e32 v22, v22, v11
	;; [unrolled: 1-line block ×4, first 2 shown]
	v_and_b32_e32 v5, 12, v5
	v_lshl_or_b32 v8, v62, 7, v8
	v_lshlrev_b64 v[6:7], 1, v[6:7]
	v_lshlrev_b32_e32 v2, 13, v2
	v_xor_b32_e32 v13, v13, v14
	v_xor_b32_e32 v22, v22, v14
	;; [unrolled: 1-line block ×4, first 2 shown]
	v_or_b32_e32 v78, 0x9000, v8
	v_or_b32_e32 v82, 0x9800, v8
	v_lshl_add_u64 v[8:9], s[8:9], 0, v[6:7]
	v_lshl_add_u64 v[6:7], s[18:19], 0, v[6:7]
	v_or_b32_e32 v17, 0x100, v4
	v_or_b32_e32 v12, v5, v60
	v_add_u32_e32 v21, v2, v13
	v_add_u32_e32 v23, v2, v22
	;; [unrolled: 1-line block ×4, first 2 shown]
	v_or3_b32 v14, v60, v5, 64
	v_add_u32_e32 v5, 0x2000, v13
	v_add_u32_e32 v13, 0x2000, v22
	v_add_u32_e32 v20, 0x2000, v24
	v_add_u32_e32 v11, 0x2000, v11
	v_lshlrev_b32_e32 v2, 8, v1
	v_cndmask_b32_e64 v85, v15, v4, s[0:1]
	v_cndmask_b32_e64 v86, v16, v17, s[0:1]
	v_lshl_add_u64 v[56:57], v[8:9], 0, v[2:3]
	v_lshl_add_u64 v[58:59], v[6:7], 0, v[2:3]
	s_add_i32 s3, s48, 63
	s_movk_i32 s26, 0x4000
	v_lshlrev_b32_e32 v88, 2, v12
	v_add_u32_e32 v89, v21, v18
	v_add_u32_e32 v90, v23, v18
	;; [unrolled: 1-line block ×4, first 2 shown]
	v_lshlrev_b32_e32 v93, 2, v14
	v_add_u32_e32 v94, v5, v18
	v_add_u32_e32 v95, v13, v18
	;; [unrolled: 1-line block ×4, first 2 shown]
	v_mov_b32_e32 v2, v3
	v_mov_b32_e32 v4, v3
	;; [unrolled: 1-line block ×7, first 2 shown]
	s_waitcnt lgkmcnt(0)
	s_barrier
.LBB669_6:                              ; =>This Inner Loop Header: Depth=1
	s_add_i32 s66, s67, 1
	s_cmp_lt_i32 s66, s53
	s_mov_b64 s[28:29], 0
	s_cselect_b64 s[46:47], -1, 0
	s_cmp_ge_i32 s66, s53
	s_mov_b64 s[24:25], 0
	s_cbranch_scc1 .LBB669_8
; %bb.7:                                ;   in Loop: Header=BB669_6 Depth=1
	s_add_i32 s0, s62, 64
	s_add_u32 s0, s42, s0
	s_addc_u32 s1, s43, 0
	s_lshl_b64 s[0:1], s[0:1], 8
	s_add_u32 s24, s6, s0
	s_addc_u32 s25, s7, s1
.LBB669_8:                              ;   in Loop: Header=BB669_6 Depth=1
	v_cndmask_b32_e64 v10, 0, 1, s[46:47]
	v_cmp_ne_u32_e64 s[0:1], 1, v10
	s_andn2_b64 vcc, exec, s[46:47]
	s_cbranch_vccnz .LBB669_10
; %bb.9:                                ;   in Loop: Header=BB669_6 Depth=1
	s_add_i32 s28, s62, 64
	s_add_u32 s28, s48, s28
	s_addc_u32 s29, s65, 0
	s_mul_i32 s31, s28, s54
	s_mul_hi_u32 s46, s28, s58
	s_add_i32 s31, s46, s31
	s_mul_i32 s29, s29, s58
	s_add_i32 s31, s31, s29
	s_mul_i32 s28, s28, s58
	s_add_u32 s28, s28, s57
	s_addc_u32 s29, s31, s60
	s_lshl_b64 s[28:29], s[28:29], 8
	s_add_u32 s28, s4, s28
	s_addc_u32 s29, s5, s29
.LBB669_10:                             ;   in Loop: Header=BB669_6 Depth=1
	v_perm_b32 v11, v5, v4, s41
	v_perm_b32 v10, v3, v2, s41
	;; [unrolled: 1-line block ×4, first 2 shown]
	ds_write_b64 v73, v[10:11]
	ds_write_b64 v74, v[12:13]
	;; [unrolled: 1-line block ×4, first 2 shown]
	s_waitcnt lgkmcnt(0)
	s_barrier
	ds_read_b64 v[18:19], v77 offset:16384
	ds_read_b64 v[20:21], v79 offset:16384
	ds_read2st64_b64 v[10:13], v78 offset1:1
	ds_read2st64_b64 v[14:17], v78 offset0:2 offset1:3
	ds_read_b64 v[22:23], v80 offset:16384
	s_waitcnt lgkmcnt(2)
	v_mfma_f32_16x16x16_bf16 a[0:3], v[18:19], v[10:11], 0
	ds_read_b64 v[10:11], v81 offset:16384
	s_add_i32 s31, s62, 63
	s_mul_i32 s46, s31, s39
	v_mfma_f32_16x16x16_bf16 a[0:3], v[20:21], v[12:13], a[0:3]
	s_mul_hi_u32 s47, s31, s38
	s_add_i32 s47, s47, s46
	s_mul_i32 s46, s31, s38
	s_waitcnt lgkmcnt(1)
	v_mfma_f32_16x16x16_bf16 a[0:3], v[22:23], v[14:15], a[0:3]
	s_lshl_b64 s[46:47], s[46:47], 2
	s_add_u32 s46, s44, s46
	s_addc_u32 s47, s45, s47
	s_waitcnt lgkmcnt(0)
	v_mfma_f32_16x16x16_bf16 a[0:3], v[10:11], v[16:17], a[0:3]
	s_and_b64 vcc, exec, s[0:1]
	v_mov_b32_e32 v100, 0
	v_mov_b32_e32 v99, 0
	;; [unrolled: 1-line block ×19, first 2 shown]
	s_cbranch_vccnz .LBB669_12
; %bb.11:                               ;   in Loop: Header=BB669_6 Depth=1
	s_and_b32 s25, s25, 0xffff
	buffer_load_dwordx4 v[22:25], v69, s[24:27], 0 offen
	buffer_load_dwordx4 v[18:21], v69, s[24:27], s61 offen
	buffer_load_dwordx4 v[14:17], v70, s[24:27], 0 offen
	buffer_load_dwordx4 v[10:13], v70, s[24:27], s61 offen
	v_mov_b32_e32 v99, v71
	v_mov_b32_e32 v98, v72
.LBB669_12:                             ;   in Loop: Header=BB669_6 Depth=1
	v_add_u32_e32 v32, s62, v87
	v_ashrrev_i32_e32 v26, 31, v32
	v_mul_lo_u32 v28, v26, s38
	v_mul_lo_u32 v29, v32, s39
	v_mad_u64_u32 v[26:27], s[24:25], v32, s38, 0
	v_add3_u32 v27, v27, v29, v28
	v_add_u32_e32 v28, 1, v32
	v_ashrrev_i32_e32 v29, 31, v28
	v_mul_lo_u32 v30, v29, s38
	v_mul_lo_u32 v31, v28, s39
	v_mad_u64_u32 v[28:29], s[24:25], v28, s38, 0
	v_add3_u32 v29, v29, v31, v30
	v_add_u32_e32 v30, 2, v32
	v_ashrrev_i32_e32 v31, 31, v30
	v_mul_lo_u32 v33, v31, s38
	v_mul_lo_u32 v34, v30, s39
	v_mad_u64_u32 v[30:31], s[24:25], v30, s38, 0
	s_add_u32 s24, s42, s62
	v_add3_u32 v31, v31, v34, v33
	v_add_u32_e32 v34, 3, v32
	s_addc_u32 s25, s43, 0
	v_ashrrev_i32_e32 v32, 31, v34
	s_lshl_b64 s[68:69], s[24:25], 8
	v_lshl_add_u64 v[26:27], v[26:27], 2, s[44:45]
	v_mul_lo_u32 v35, v32, s38
	v_lshl_add_u64 v[32:33], v[56:57], 0, s[68:69]
	v_mul_lo_u32 v36, v34, s39
	global_load_ushort v46, v[32:33], off
	global_load_ushort v47, v[32:33], off offset:256
	global_load_ushort v48, v[32:33], off offset:512
	;; [unrolled: 1-line block ×3, first 2 shown]
	global_load_dword v50, v[26:27], off
	v_mad_u64_u32 v[26:27], s[24:25], v34, s38, 0
	v_lshl_add_u64 v[28:29], v[28:29], 2, s[44:45]
	v_add3_u32 v27, v27, v36, v35
	v_lshl_add_u64 v[30:31], v[30:31], 2, s[44:45]
	v_lshl_add_u64 v[26:27], v[26:27], 2, s[44:45]
	global_load_dword v51, v[28:29], off
	global_load_dword v52, v[30:31], off
	;; [unrolled: 1-line block ×3, first 2 shown]
	s_load_dword s24, s[46:47], 0x0
	ds_read_b64 v[34:35], v77 offset:24576
	ds_read2st64_b64 v[30:33], v82 offset1:1
	ds_read2st64_b64 v[36:39], v82 offset0:2 offset1:3
	ds_read_b64 v[40:41], v79 offset:24576
	ds_read_b64 v[42:43], v80 offset:24576
	;; [unrolled: 1-line block ×3, first 2 shown]
	s_waitcnt lgkmcnt(0)
	v_mfma_f32_16x16x16_bf16 a[0:3], v[34:35], v[30:31], a[0:3]
	v_mov_b32_e32 v101, 0
	v_mov_b32_e32 v26, 0
	;; [unrolled: 1-line block ×3, first 2 shown]
	v_mfma_f32_16x16x16_bf16 a[0:3], v[40:41], v[32:33], a[0:3]
	v_mov_b32_e32 v28, 0
	v_mov_b32_e32 v29, 0
	;; [unrolled: 1-line block ×3, first 2 shown]
	v_mfma_f32_16x16x16_bf16 a[0:3], v[42:43], v[36:37], a[0:3]
	v_lshl_add_u64 v[36:37], v[58:59], 0, s[68:69]
	v_mov_b32_e32 v31, 0
	v_mov_b32_e32 v32, 0
	v_mfma_f32_16x16x16_bf16 a[0:3], v[44:45], v[38:39], a[0:3]
	v_mov_b32_e32 v33, 0
	v_mov_b32_e32 v34, 0
	;; [unrolled: 1-line block ×3, first 2 shown]
	s_and_b64 vcc, exec, s[0:1]
	s_waitcnt vmcnt(7)
	v_lshlrev_b32_e32 v42, 16, v46
	s_nop 0
	v_accvgpr_read_b32 v41, a1
	v_accvgpr_read_b32 v39, a3
	;; [unrolled: 1-line block ×4, first 2 shown]
	s_waitcnt vmcnt(6)
	v_lshlrev_b32_e32 v43, 16, v47
	s_waitcnt vmcnt(4)
	v_lshlrev_b32_e32 v45, 16, v49
	v_lshlrev_b32_e32 v44, 16, v48
	s_waitcnt vmcnt(3)
	v_sub_f32_e32 v46, s24, v50
	v_pk_add_f32 v[40:41], v[42:43], v[40:41] neg_lo:[0,1] neg_hi:[0,1]
	v_pk_add_f32 v[38:39], v[44:45], v[38:39] neg_lo:[0,1] neg_hi:[0,1]
	s_waitcnt vmcnt(2)
	v_sub_f32_e32 v43, s24, v51
	s_waitcnt vmcnt(1)
	v_sub_f32_e32 v44, s24, v52
	;; [unrolled: 2-line block ×3, first 2 shown]
	v_exp_f32_e32 v42, v46
	v_exp_f32_e32 v43, v43
	;; [unrolled: 1-line block ×4, first 2 shown]
	global_store_short_d16_hi v[36:37], v40, off
	global_store_short_d16_hi v[36:37], v41, off offset:256
	global_store_short_d16_hi v[36:37], v38, off offset:512
	;; [unrolled: 1-line block ×3, first 2 shown]
	v_pk_mul_f32 v[36:37], v[42:43], v[40:41]
	v_pk_mul_f32 v[38:39], v[44:45], v[38:39]
	v_perm_b32 v36, v37, v36, s41
	v_perm_b32 v37, v39, v38, s41
	ds_write_b64 v74, v[36:37]
	v_mov_b32_e32 v36, 0
	v_mov_b32_e32 v37, 0
	;; [unrolled: 1-line block ×6, first 2 shown]
	s_cbranch_vccnz .LBB669_14
; %bb.13:                               ;   in Loop: Header=BB669_6 Depth=1
	s_and_b32 s29, s29, 0xffff
	s_mov_b32 s31, s27
	buffer_load_dwordx4 v[38:41], v85, s[28:31], 0 offen
	buffer_load_dwordx4 v[30:33], v85, s[28:31], s61 offen
	;; [unrolled: 1-line block ×4, first 2 shown]
	v_mov_b32_e32 v100, v68
	v_mov_b32_e32 v101, v67
.LBB669_14:                             ;   in Loop: Header=BB669_6 Depth=1
	s_waitcnt lgkmcnt(0)
	s_barrier
	ds_read_b64 v[42:43], v89
	ds_read_b64 v[48:49], v90
	ds_read2st64_b64 v[44:47], v82 offset1:1
	ds_read2st64_b64 v[102:105], v82 offset0:2 offset1:3
	ds_read_b64 v[50:51], v91
	ds_read_b64 v[110:111], v92
	s_add_i32 s25, s55, s67
	s_mul_hi_i32 s29, s25, s13
	s_mul_i32 s25, s25, s13
	s_waitcnt lgkmcnt(3)
	v_mfma_f32_16x16x16_bf16 a[0:3], v[42:43], v[44:45], 0
	ds_read_b64 v[42:43], v94
	s_add_u32 s28, s25, s33
	s_addc_u32 s29, s29, s59
	s_add_i32 s25, s3, s62
	v_mfma_f32_16x16x16_bf16 a[0:3], v[48:49], v[46:47], a[0:3]
	ds_read_b64 v[48:49], v95
	s_lshl_b64 s[28:29], s[28:29], 15
	s_mul_hi_i32 s31, s25, s13
	s_mul_i32 s25, s25, s13
	s_add_u32 s46, s25, s33
	s_addc_u32 s47, s31, s59
	s_lshl_b64 s[46:47], s[46:47], 9
	s_add_u32 s46, s36, s46
	s_waitcnt lgkmcnt(1)
	v_mfma_f32_16x16x16_bf16 a[4:7], v[42:43], v[44:45], 0
	s_addc_u32 s47, s37, s47
	s_and_b64 vcc, exec, s[0:1]
	v_mfma_f32_16x16x16_bf16 a[0:3], v[50:51], v[102:103], a[0:3]
	ds_read_b64 v[50:51], v96
	ds_read_b64 v[112:113], v97
	global_load_dwordx4 v[42:45], v93, s[46:47]
	s_waitcnt lgkmcnt(2)
	v_mfma_f32_16x16x16_bf16 a[4:7], v[48:49], v[46:47], a[4:7]
	global_load_dwordx4 v[46:49], v88, s[46:47]
	ds_read_b64 v[106:107], v83
	ds_read_b64 v[108:109], v84
	s_waitcnt lgkmcnt(3)
	v_mfma_f32_16x16x16_bf16 a[8:11], v[50:51], v[102:103], a[4:7]
	v_lshl_add_u64 v[50:51], v[54:55], 0, s[28:29]
	s_waitcnt lgkmcnt(0)
	global_store_dwordx4 v[50:51], v[106:109], off
	v_mfma_f32_16x16x16_bf16 a[4:7], v[110:111], v[104:105], a[0:3]
	s_waitcnt vmcnt(2)
	v_mov_b32_e32 v52, v45
	v_mfma_f32_16x16x16_bf16 a[0:3], v[112:113], v[104:105], a[8:11]
	v_mov_b32_e32 v51, v44
	v_mov_b32_e32 v50, v43
	s_cbranch_vccnz .LBB669_16
; %bb.15:                               ;   in Loop: Header=BB669_6 Depth=1
	v_lshrrev_b32_e32 v43, 3, v100
	v_and_b32_e32 v43, 6, v43
	v_xor_b32_e32 v44, v43, v101
	v_lshlrev_b32_e32 v44, 2, v44
	v_and_b32_e32 v45, 8, v100
	v_xor_b32_e32 v100, 0x440, v44
	v_cmp_eq_u32_e32 vcc, 0, v45
	v_perm_b32 v45, v30, v26, s63
	s_nop 0
	v_cndmask_b32_e32 v44, v100, v44, vcc
	v_lshl_or_b32 v43, v43, 10, v44
	v_perm_b32 v44, v38, v34, s63
	s_barrier
	ds_write2st64_b32 v43, v44, v45 offset1:32
	v_xor_b32_e32 v44, 8, v43
	v_perm_b32 v34, v38, v34, s64
	v_perm_b32 v26, v30, v26, s64
	v_add_u32_e32 v30, 0x80, v44
	ds_write2st64_b32 v30, v34, v26 offset1:32
	v_xor_b32_e32 v26, 16, v43
	v_perm_b32 v30, v39, v35, s63
	v_perm_b32 v34, v31, v27, s63
	ds_write2st64_b32 v26, v30, v34 offset0:1 offset1:33
	v_xor_b32_e32 v26, 24, v43
	v_perm_b32 v30, v39, v35, s64
	v_perm_b32 v27, v31, v27, s64
	v_add_u32_e32 v26, 0x80, v26
	ds_write2st64_b32 v26, v30, v27 offset0:1 offset1:33
	v_xor_b32_e32 v26, 32, v43
	v_perm_b32 v27, v40, v36, s63
	v_perm_b32 v30, v32, v28, s63
	ds_write2st64_b32 v26, v27, v30 offset0:2 offset1:34
	v_xor_b32_e32 v26, 40, v43
	v_perm_b32 v27, v40, v36, s64
	v_perm_b32 v28, v32, v28, s64
	v_add_u32_e32 v26, 0x80, v26
	ds_write2st64_b32 v26, v27, v28 offset0:2 offset1:34
	;; [unrolled: 9-line block ×3, first 2 shown]
	ds_write_b64 v99, v[22:23] offset:16384
	v_xor_b32_e32 v22, 8, v99
	ds_write_b64 v22, v[24:25] offset:16384
	ds_write_b64 v99, v[18:19] offset:24576
	;; [unrolled: 1-line block ×4, first 2 shown]
	v_xor_b32_e32 v14, 8, v98
	ds_write_b64 v14, v[16:17] offset:16384
	ds_write_b64 v98, v[10:11] offset:24576
	;; [unrolled: 1-line block ×3, first 2 shown]
.LBB669_16:                             ;   in Loop: Header=BB669_6 Depth=1
	v_exp_f32_e32 v18, s24
	s_waitcnt vmcnt(1)
	v_exp_f32_e32 v20, v46
	v_exp_f32_e32 v21, v47
	;; [unrolled: 1-line block ×4, first 2 shown]
	v_accvgpr_read_b32 v13, a7
	v_accvgpr_read_b32 v11, a5
	;; [unrolled: 1-line block ×3, first 2 shown]
	v_pk_mul_f32 v[20:21], v[18:19], v[20:21] op_sel_hi:[0,1]
	v_pk_fma_f32 v[2:3], v[2:3], v[20:21], v[10:11]
	v_exp_f32_e32 v20, v42
	v_exp_f32_e32 v21, v50
	v_pk_mul_f32 v[10:11], v[18:19], v[22:23] op_sel_hi:[0,1]
	v_exp_f32_e32 v22, v51
	v_exp_f32_e32 v23, v52
	v_accvgpr_read_b32 v12, a6
	v_accvgpr_read_b32 v17, a3
	;; [unrolled: 1-line block ×4, first 2 shown]
	v_pk_fma_f32 v[4:5], v[4:5], v[10:11], v[12:13]
	v_pk_mul_f32 v[10:11], v[18:19], v[20:21] op_sel_hi:[0,1]
	v_accvgpr_read_b32 v16, a2
	v_pk_fma_f32 v[6:7], v[6:7], v[10:11], v[14:15]
	v_pk_mul_f32 v[10:11], v[18:19], v[22:23] op_sel_hi:[0,1]
	s_add_i32 s62, s62, 64
	s_cmp_eq_u32 s53, s66
	v_pk_fma_f32 v[8:9], v[8:9], v[10:11], v[16:17]
	s_cbranch_scc1 .LBB669_18
; %bb.17:                               ;   in Loop: Header=BB669_6 Depth=1
	s_mov_b32 s67, s66
	s_branch .LBB669_6
.LBB669_18:
	s_lshl_b32 s46, s53, 6
	s_sub_i32 s47, s12, s46
	s_cmp_gt_i32 s47, 0
	v_or_b32_e32 v34, s2, v63
	s_cbranch_scc1 .LBB669_20
; %bb.19:
	s_ashr_i32 s0, s33, 31
	s_add_u32 s28, s50, s33
	s_addc_u32 s29, s56, s0
	v_or_b32_e32 v10, s2, v63
	s_cbranch_execz .LBB669_21
	s_branch .LBB669_77
.LBB669_20:
                                        ; implicit-def: $sgpr28_sgpr29
                                        ; implicit-def: $vgpr10
.LBB669_21:
	s_ashr_i32 s41, s52, 31
	s_ashr_i32 s3, s46, 31
	s_cmpk_lg_i32 s15, 0x80
	s_cselect_b64 s[42:43], -1, 0
	s_and_b64 vcc, exec, s[42:43]
	s_cbranch_vccz .LBB669_23
; %bb.22:
	s_mul_hi_i32 s0, s52, s12
	s_add_u32 s1, s48, s46
	s_addc_u32 s0, s0, s3
	s_mul_i32 s24, s1, s54
	s_mul_hi_u32 s25, s1, s14
	s_add_i32 s24, s25, s24
	s_mul_i32 s0, s0, s14
	s_add_i32 s24, s24, s0
	s_mul_i32 s1, s1, s14
	s_ashr_i32 s0, s57, 31
	s_add_u32 s44, s1, s57
	s_addc_u32 s45, s24, s0
	s_cbranch_execz .LBB669_24
	s_branch .LBB669_25
.LBB669_23:
                                        ; implicit-def: $sgpr44_sgpr45
.LBB669_24:
	s_mul_hi_i32 s0, s52, s14
	s_mul_i32 s52, s52, s14
	s_ashr_i32 s1, s57, 31
	s_add_u32 s14, s52, s57
	s_addc_u32 s0, s0, s1
	s_mul_i32 s1, s14, s51
	s_mul_hi_u32 s24, s14, s12
	s_add_i32 s1, s24, s1
	s_mul_i32 s0, s0, s12
	s_add_i32 s1, s1, s0
	s_mul_i32 s14, s14, s12
	s_add_u32 s44, s14, s46
	s_addc_u32 s45, s1, s3
.LBB669_25:
	s_add_i32 s24, s55, s53
	s_ashr_i32 s14, s33, 31
	s_add_u32 s28, s50, s33
	s_addc_u32 s29, s56, s14
	s_mul_i32 s0, s28, s51
	s_mul_hi_u32 s1, s28, s12
	s_add_i32 s0, s1, s0
	s_mul_i32 s1, s29, s12
	s_add_i32 s1, s0, s1
	s_mul_i32 s0, s28, s12
	s_add_u32 s0, s0, s46
	s_addc_u32 s1, s1, s3
	s_mov_b32 s3, 0x7060302
	v_lshlrev_b32_e32 v14, 3, v63
	s_lshl_b64 s[30:31], s[0:1], 8
	v_perm_b32 v11, v5, v4, s3
	v_perm_b32 v10, v3, v2, s3
	;; [unrolled: 1-line block ×4, first 2 shown]
	v_lshlrev_b32_e32 v44, 2, v63
	v_lshl_or_b32 v14, v1, 5, v14
	s_add_u32 s0, s6, s30
	ds_write2st64_b64 v14, v[10:11], v[12:13] offset0:72 offset1:76
	v_xor_b32_e32 v14, v1, v44
	v_lshlrev_b32_e32 v15, 8, v63
	s_addc_u32 s1, s7, s31
	v_lshl_or_b32 v14, v14, 1, v15
	s_mul_hi_i32 s3, s24, s13
	s_mul_i32 s24, s24, s13
	ds_write_b64 v14, v[10:11] offset:32768
	v_xor_b32_e32 v10, v66, v44
	s_add_u32 s6, s24, s33
	v_lshl_or_b32 v10, v10, 1, v15
	s_addc_u32 s7, s3, s14
	v_lshlrev_b32_e32 v11, 1, v63
	ds_write_b64 v10, v[12:13] offset:32768
	v_lshrrev_b32_e32 v10, 4, v0
	s_ashr_i32 s3, s2, 31
	s_lshl_b64 s[6:7], s[6:7], 15
	v_or_b32_e32 v12, 1, v11
	s_add_u32 s6, s16, s6
	v_xor_b32_e32 v11, v10, v11
	v_xor_b32_e32 v12, v12, v10
	v_lshlrev_b32_e32 v14, 8, v10
	s_addc_u32 s7, s17, s7
	s_lshl_b64 s[2:3], s[2:3], 8
	v_lshl_or_b32 v10, v11, 3, v14
	v_lshl_or_b32 v12, v12, 3, v14
	s_waitcnt lgkmcnt(0)
	s_barrier
	s_add_u32 s2, s6, s2
	ds_read_b64 v[10:11], v10 offset:32768
	ds_read_b64 v[12:13], v12 offset:32768
	s_addc_u32 s3, s7, s3
	v_mov_b32_e32 v15, 0
	s_cmp_lg_u32 s47, 64
	v_lshl_add_u64 v[16:17], s[2:3], 0, v[14:15]
	v_lshlrev_b32_e32 v14, 4, v63
	s_cselect_b64 s[6:7], -1, 0
	v_lshl_or_b32 v35, v53, 3, v65
	s_mov_b32 s24, 0
	v_lshl_add_u64 v[14:15], v[16:17], 0, v[14:15]
	v_or_b32_e32 v27, 32, v35
	v_and_b32_e32 v26, 56, v64
	s_and_b64 vcc, exec, s[6:7]
	s_waitcnt lgkmcnt(0)
	global_store_dwordx4 v[14:15], v[10:13], off
	s_cbranch_vccz .LBB669_31
; %bb.26:
	s_mov_b32 s25, s24
	s_mov_b32 s26, s24
	;; [unrolled: 1-line block ×3, first 2 shown]
	v_mov_b64_e32 v[14:15], s[24:25]
	v_mov_b64_e32 v[16:17], s[26:27]
	;; [unrolled: 1-line block ×3, first 2 shown]
	v_cmp_gt_i32_e32 vcc, s47, v35
	v_mov_b64_e32 v[12:13], v[16:17]
	s_and_saveexec_b64 s[2:3], vcc
	s_cbranch_execz .LBB669_28
; %bb.27:
	v_lshlrev_b32_e32 v10, 8, v35
	v_mov_b32_e32 v11, 0
	v_lshl_add_u64 v[12:13], s[0:1], 0, v[10:11]
	v_lshlrev_b32_e32 v10, 1, v26
	v_lshl_add_u64 v[18:19], v[12:13], 0, v[10:11]
	global_load_dwordx4 v[14:17], v[18:19], off
	global_load_dwordx4 v[10:13], v[18:19], off offset:128
.LBB669_28:
	s_or_b64 exec, exec, s[2:3]
	s_mov_b32 s25, s24
	s_mov_b32 s26, s24
	;; [unrolled: 1-line block ×3, first 2 shown]
	v_mov_b64_e32 v[22:23], s[24:25]
	v_mov_b64_e32 v[24:25], s[26:27]
	;; [unrolled: 1-line block ×3, first 2 shown]
	v_cmp_gt_i32_e32 vcc, s47, v27
	v_lshlrev_b32_e32 v28, 7, v27
	v_mov_b64_e32 v[20:21], v[24:25]
	s_and_saveexec_b64 s[2:3], vcc
	s_cbranch_execz .LBB669_30
; %bb.29:
	v_lshlrev_b32_e32 v18, 1, v28
	v_mov_b32_e32 v19, 0
	v_lshl_add_u64 v[20:21], s[0:1], 0, v[18:19]
	v_lshlrev_b32_e32 v18, 1, v26
	v_lshl_add_u64 v[30:31], v[20:21], 0, v[18:19]
	global_load_dwordx4 v[22:25], v[30:31], off
	global_load_dwordx4 v[18:21], v[30:31], off offset:128
.LBB669_30:
	s_or_b64 exec, exec, s[2:3]
	v_lshrrev_b32_e32 v29, 3, v26
	v_lshlrev_b32_e32 v30, 3, v35
	v_or_b32_e32 v29, v30, v29
	v_lshlrev_b32_e32 v29, 4, v29
	v_and_b32_e32 v30, 0x78, v30
	v_xor_b32_e32 v29, v29, v30
	s_branch .LBB669_33
.LBB669_31:
                                        ; implicit-def: $vgpr29
                                        ; implicit-def: $vgpr28
                                        ; implicit-def: $vgpr14_vgpr15_vgpr16_vgpr17
                                        ; implicit-def: $vgpr10_vgpr11_vgpr12_vgpr13
                                        ; implicit-def: $vgpr22_vgpr23_vgpr24_vgpr25
                                        ; implicit-def: $vgpr18_vgpr19_vgpr20_vgpr21
	s_cbranch_execz .LBB669_33
; %bb.32:
	s_waitcnt vmcnt(0)
	v_lshlrev_b32_e32 v10, 1, v26
	v_lshl_or_b32 v28, v35, 8, v10
	s_and_b32 s1, s1, 0xffff
	s_mov_b32 s3, 0x20000
	s_movk_i32 s2, 0x4000
	v_lshl_or_b32 v29, v27, 8, v10
	s_movk_i32 s16, 0x80
	buffer_load_dwordx4 v[14:17], v28, s[0:3], 0 offen
	buffer_load_dwordx4 v[10:13], v28, s[0:3], s16 offen
	;; [unrolled: 1-line block ×4, first 2 shown]
	v_lshrrev_b32_e32 v28, 3, v26
	v_lshlrev_b32_e32 v29, 3, v35
	v_or_b32_e32 v28, v29, v28
	v_lshlrev_b32_e32 v28, 4, v28
	v_and_b32_e32 v29, 0x78, v29
	v_xor_b32_e32 v29, v28, v29
	v_lshlrev_b32_e32 v28, 7, v27
.LBB669_33:
	s_lshl_b64 s[0:1], s[44:45], 8
	s_add_u32 s4, s4, s0
	s_movk_i32 s0, 0x1000
	v_and_or_b32 v27, v28, s0, v29
	s_waitcnt vmcnt(1)
	ds_write_b64 v29, v[14:15] offset:16384
	v_xor_b32_e32 v14, 8, v29
	s_addc_u32 s5, s5, s1
	ds_write_b64 v14, v[16:17] offset:16384
	s_waitcnt vmcnt(0)
	ds_write_b64 v29, v[10:11] offset:24576
	ds_write_b64 v14, v[12:13] offset:24576
	;; [unrolled: 1-line block ×3, first 2 shown]
	v_xor_b32_e32 v10, 8, v27
	s_add_i32 s16, s12, -1
	ds_write_b64 v10, v[24:25] offset:16384
	ds_write_b64 v27, v[18:19] offset:24576
	;; [unrolled: 1-line block ×3, first 2 shown]
	s_mul_i32 s3, s16, s39
	s_mul_hi_u32 s12, s16, s38
	v_or_b32_e32 v10, v60, v63
	s_add_i32 s3, s12, s3
	v_lshlrev_b32_e32 v10, 3, v10
	v_lshrrev_b32_e32 v12, 5, v61
	s_movk_i32 s12, 0xf8
	v_and_or_b32 v12, v10, s12, v12
	v_lshlrev_b32_e32 v45, 11, v53
	v_lshlrev_b32_e32 v20, 4, v12
	v_and_b32_e32 v21, 0x78, v10
	v_and_b32_e32 v22, 0x1000, v45
	v_lshlrev_b32_e32 v11, 2, v0
	v_xor_b32_e32 v10, v20, v21
	v_lshrrev_b32_e32 v12, 1, v61
	v_and_b32_e32 v11, 60, v11
	v_or_b32_e32 v10, v10, v22
	v_and_b32_e32 v23, 8, v12
	v_xor_b32_e32 v36, v10, v23
	v_lshl_or_b32 v10, v62, 6, v11
	v_lshlrev_b32_e32 v46, 1, v10
	v_or_b32_e32 v10, 32, v20
	v_xor_b32_e32 v10, v10, v21
	s_waitcnt lgkmcnt(0)
	s_barrier
	ds_read_b64 v[18:19], v36 offset:16384
	v_or_b32_e32 v10, v10, v22
	v_xor_b32_e32 v37, v10, v23
	v_or_b32_e32 v10, 64, v20
	v_xor_b32_e32 v10, v10, v21
	v_or_b32_e32 v10, v10, v22
	v_or_b32_e32 v20, 0x60, v20
	v_xor_b32_e32 v38, v10, v23
	ds_read2st64_b64 v[10:13], v46 offset0:72 offset1:73
	ds_read2st64_b64 v[14:17], v46 offset0:74 offset1:75
	v_xor_b32_e32 v24, v20, v21
	ds_read_b64 v[20:21], v37 offset:16384
	s_waitcnt lgkmcnt(2)
	v_mfma_f32_16x16x16_bf16 a[0:3], v[18:19], v[10:11], 0
	s_add_i32 s0, s49, s21
	s_mul_i32 s41, s41, s20
	s_add_i32 s41, s0, s41
	s_mul_i32 s0, s33, s23
	s_mul_hi_u32 s1, s33, s22
	s_ashr_i32 s2, s16, 31
	s_add_i32 s0, s1, s0
	s_mul_i32 s1, s14, s22
	s_mul_i32 s2, s2, s38
	v_or_b32_e32 v22, v24, v22
	s_add_i32 s1, s0, s1
	s_add_i32 s3, s3, s2
	s_lshl_b64 s[20:21], s[40:41], 2
	v_xor_b32_e32 v47, v22, v23
	ds_read_b64 v[22:23], v38 offset:16384
	ds_read_b64 v[24:25], v47 offset:16384
	s_waitcnt lgkmcnt(2)
	v_mfma_f32_16x16x16_bf16 a[0:3], v[20:21], v[12:13], a[0:3]
	s_mul_i32 s0, s33, s22
	s_add_u32 s10, s10, s20
	s_addc_u32 s11, s11, s21
	s_lshl_b64 s[0:1], s[0:1], 2
	s_mul_i32 s2, s16, s38
	s_add_u32 s10, s10, s0
	s_addc_u32 s11, s11, s1
	s_lshl_b64 s[0:1], s[2:3], 2
	s_waitcnt lgkmcnt(1)
	v_mfma_f32_16x16x16_bf16 a[0:3], v[22:23], v[14:15], a[0:3]
	s_add_u32 s0, s10, s0
	s_addc_u32 s1, s11, s1
	s_load_dword s12, s[0:1], 0x0
	s_waitcnt lgkmcnt(0)
	v_mfma_f32_16x16x16_bf16 a[0:3], v[24:25], v[16:17], a[0:3]
	s_and_b64 vcc, exec, s[42:43]
	s_cbranch_vccz .LBB669_44
; %bb.34:
	v_lshlrev_b32_e32 v27, 1, v35
	s_and_b64 vcc, exec, s[6:7]
	s_cbranch_vccz .LBB669_45
; %bb.35:
	v_cmp_gt_i32_e32 vcc, s47, v27
	v_mov_b32_e32 v14, 0
	v_mov_b32_e32 v10, 0
	v_mov_b32_e32 v11, 0
	v_mov_b32_e32 v12, 0
	v_mov_b32_e32 v13, 0
	s_and_saveexec_b64 s[0:1], vcc
	s_cbranch_execz .LBB669_37
; %bb.36:
	v_mad_i64_i32 v[10:11], s[2:3], s15, v27, 0
	v_lshl_add_u64 v[10:11], v[10:11], 1, s[4:5]
	v_lshlrev_b32_e32 v12, 1, v26
	v_mov_b32_e32 v13, 0
	v_lshl_add_u64 v[10:11], v[10:11], 0, v[12:13]
	global_load_dwordx4 v[10:13], v[10:11], off
.LBB669_37:
	s_or_b64 exec, exec, s[0:1]
	v_or_b32_e32 v28, 1, v27
	v_cmp_gt_i32_e64 s[0:1], s47, v28
	v_mov_b32_e32 v15, 0
	v_mov_b32_e32 v16, 0
	;; [unrolled: 1-line block ×3, first 2 shown]
	s_and_saveexec_b64 s[2:3], s[0:1]
	s_cbranch_execz .LBB669_39
; %bb.38:
	v_mad_i64_i32 v[14:15], s[20:21], s15, v28, 0
	v_lshl_add_u64 v[14:15], v[14:15], 1, s[4:5]
	v_lshlrev_b32_e32 v16, 1, v26
	v_mov_b32_e32 v17, 0
	v_lshl_add_u64 v[14:15], v[14:15], 0, v[16:17]
	global_load_dwordx4 v[14:17], v[14:15], off
.LBB669_39:
	s_or_b64 exec, exec, s[2:3]
	v_mov_b32_e32 v25, 0
	v_mov_b32_e32 v18, 0
	;; [unrolled: 1-line block ×5, first 2 shown]
	s_and_saveexec_b64 s[2:3], vcc
	s_cbranch_execz .LBB669_41
; %bb.40:
	v_mad_i64_i32 v[18:19], s[20:21], s15, v27, 0
	v_lshl_add_u64 v[18:19], v[18:19], 1, s[4:5]
	v_lshlrev_b32_e32 v20, 1, v26
	v_mov_b32_e32 v21, 0
	v_lshl_add_u64 v[18:19], v[18:19], 0, v[20:21]
	global_load_dwordx4 v[18:21], v[18:19], off offset:128
.LBB669_41:
	s_or_b64 exec, exec, s[2:3]
	v_mov_b32_e32 v24, 0
	v_mov_b32_e32 v23, 0
	;; [unrolled: 1-line block ×3, first 2 shown]
	s_and_saveexec_b64 s[2:3], s[0:1]
	s_cbranch_execz .LBB669_43
; %bb.42:
	v_mad_i64_i32 v[22:23], s[0:1], s15, v28, 0
	v_lshl_add_u64 v[22:23], v[22:23], 1, s[4:5]
	v_lshlrev_b32_e32 v24, 1, v26
	v_mov_b32_e32 v25, 0
	v_lshl_add_u64 v[22:23], v[22:23], 0, v[24:25]
	global_load_dwordx4 v[22:25], v[22:23], off offset:128
.LBB669_43:
	s_or_b64 exec, exec, s[2:3]
	s_branch .LBB669_47
.LBB669_44:
                                        ; implicit-def: $vgpr13
                                        ; implicit-def: $vgpr17
                                        ; implicit-def: $vgpr21
                                        ; implicit-def: $vgpr25
	v_lshrrev_b32_e32 v27, 2, v61
	s_branch .LBB669_48
.LBB669_45:
                                        ; implicit-def: $vgpr13
                                        ; implicit-def: $vgpr17
                                        ; implicit-def: $vgpr21
                                        ; implicit-def: $vgpr25
	s_cbranch_execz .LBB669_47
; %bb.46:
	s_waitcnt vmcnt(0)
	v_mad_u64_u32 v[10:11], s[0:1], v27, s15, v[26:27]
	v_lshlrev_b32_e32 v27, 1, v10
	s_lshl_b32 s2, s15, 7
	s_and_b32 s1, s5, 0xffff
	s_mov_b32 s3, 0x20000
	s_mov_b32 s0, s4
	v_add_lshl_u32 v28, v10, s15, 1
	s_movk_i32 s15, 0x80
	buffer_load_dwordx4 v[10:13], v27, s[0:3], 0 offen
	buffer_load_dwordx4 v[18:21], v27, s[0:3], s15 offen
	;; [unrolled: 1-line block ×4, first 2 shown]
.LBB669_47:
	v_lshrrev_b32_e32 v27, 2, v61
	s_cbranch_execnz .LBB669_60
.LBB669_48:
	s_and_b64 vcc, exec, s[6:7]
	s_cbranch_vccz .LBB669_58
; %bb.49:
	s_waitcnt vmcnt(0)
	v_lshlrev_b32_e32 v15, 1, v35
	v_cmp_gt_i32_e32 vcc, s47, v15
	v_mov_b32_e32 v14, 0
	v_lshlrev_b32_e32 v22, 9, v35
	v_mov_b32_e32 v10, 0
	v_mov_b32_e32 v11, 0
	;; [unrolled: 1-line block ×4, first 2 shown]
	s_and_saveexec_b64 s[0:1], vcc
	s_cbranch_execz .LBB669_51
; %bb.50:
	v_mov_b32_e32 v23, 0
	v_lshl_add_u64 v[10:11], s[4:5], 0, v[22:23]
	v_lshlrev_b32_e32 v12, 1, v26
	v_mov_b32_e32 v13, v23
	v_lshl_add_u64 v[10:11], v[10:11], 0, v[12:13]
	global_load_dwordx4 v[10:13], v[10:11], off
.LBB669_51:
	s_or_b64 exec, exec, s[0:1]
	v_or_b32_e32 v15, 1, v15
	v_cmp_gt_i32_e64 s[0:1], s47, v15
	v_lshlrev_b32_e32 v28, 8, v15
	v_mov_b32_e32 v15, 0
	v_mov_b32_e32 v16, 0
	;; [unrolled: 1-line block ×3, first 2 shown]
	s_and_saveexec_b64 s[2:3], s[0:1]
	s_cbranch_execz .LBB669_53
; %bb.52:
	v_mov_b32_e32 v29, 0
	v_lshl_add_u64 v[14:15], s[4:5], 0, v[28:29]
	v_lshlrev_b32_e32 v16, 1, v26
	v_mov_b32_e32 v17, v29
	v_lshl_add_u64 v[14:15], v[14:15], 0, v[16:17]
	global_load_dwordx4 v[14:17], v[14:15], off
.LBB669_53:
	s_or_b64 exec, exec, s[2:3]
	v_mov_b32_e32 v25, 0
	v_mov_b32_e32 v18, 0
	;; [unrolled: 1-line block ×5, first 2 shown]
	s_and_saveexec_b64 s[2:3], vcc
	s_cbranch_execz .LBB669_55
; %bb.54:
	v_mov_b32_e32 v23, 0
	v_lshl_add_u64 v[18:19], s[4:5], 0, v[22:23]
	v_lshlrev_b32_e32 v22, 1, v26
	v_lshl_add_u64 v[18:19], v[18:19], 0, v[22:23]
	global_load_dwordx4 v[18:21], v[18:19], off offset:128
.LBB669_55:
	s_or_b64 exec, exec, s[2:3]
	v_mov_b32_e32 v24, 0
	v_mov_b32_e32 v23, 0
	;; [unrolled: 1-line block ×3, first 2 shown]
	s_and_saveexec_b64 s[2:3], s[0:1]
	s_cbranch_execz .LBB669_57
; %bb.56:
	v_mov_b32_e32 v29, 0
	v_lshl_add_u64 v[22:23], s[4:5], 0, v[28:29]
	v_lshlrev_b32_e32 v28, 1, v26
	v_lshl_add_u64 v[22:23], v[22:23], 0, v[28:29]
	global_load_dwordx4 v[22:25], v[22:23], off offset:128
.LBB669_57:
	s_or_b64 exec, exec, s[2:3]
	s_branch .LBB669_60
.LBB669_58:
                                        ; implicit-def: $vgpr13
                                        ; implicit-def: $vgpr17
                                        ; implicit-def: $vgpr21
                                        ; implicit-def: $vgpr25
	s_cbranch_execz .LBB669_60
; %bb.59:
	s_waitcnt vmcnt(0)
	v_lshlrev_b32_e32 v10, 1, v26
	v_lshl_or_b32 v26, v35, 9, v10
	s_and_b32 s5, s5, 0xffff
	s_mov_b32 s7, 0x20000
	s_movk_i32 s6, 0x4000
	s_movk_i32 s0, 0x80
	buffer_load_dwordx4 v[10:13], v26, s[4:7], 0 offen
	buffer_load_dwordx4 v[14:17], v26, s[4:7], 0 offen offset:256
	buffer_load_dwordx4 v[18:21], v26, s[4:7], s0 offen
	buffer_load_dwordx4 v[22:25], v26, s[4:7], s0 offen offset:256
.LBB669_60:
	v_and_b32_e32 v48, 12, v27
	ds_read2st64_b64 v[30:33], v46 offset0:76 offset1:77
	ds_read2st64_b64 v[26:29], v46 offset0:78 offset1:79
	ds_read_b64 v[42:43], v36 offset:24576
	ds_read_b64 v[40:41], v37 offset:24576
	;; [unrolled: 1-line block ×4, first 2 shown]
	v_and_b32_e32 v47, 6, v0
	v_xor_b32_e32 v35, v35, v47
	v_lshlrev_b32_e32 v35, 2, v35
	v_and_b32_e32 v49, 1, v0
	v_xor_b32_e32 v50, 0x440, v35
	v_cmp_eq_u32_e32 vcc, 0, v49
	s_mov_b32 s0, 0x1000504
	s_waitcnt vmcnt(0)
	v_perm_b32 v49, v18, v22, s0
	v_cndmask_b32_e32 v35, v50, v35, vcc
	v_lshl_or_b32 v35, v47, 10, v35
	v_perm_b32 v47, v10, v14, s0
	ds_write2st64_b32 v35, v47, v49 offset1:32
	v_xor_b32_e32 v47, 8, v35
	s_mov_b32 s1, 0x3020706
	v_perm_b32 v10, v10, v14, s1
	v_perm_b32 v14, v18, v22, s1
	v_add_u32_e32 v18, 0x80, v47
	ds_write2st64_b32 v18, v10, v14 offset1:32
	v_xor_b32_e32 v10, 16, v35
	v_perm_b32 v14, v11, v15, s0
	v_perm_b32 v18, v19, v23, s0
	ds_write2st64_b32 v10, v14, v18 offset0:1 offset1:33
	v_xor_b32_e32 v10, 24, v35
	v_perm_b32 v11, v11, v15, s1
	v_perm_b32 v14, v19, v23, s1
	v_add_u32_e32 v10, 0x80, v10
	ds_write2st64_b32 v10, v11, v14 offset0:1 offset1:33
	v_xor_b32_e32 v10, 32, v35
	v_perm_b32 v11, v12, v16, s0
	v_perm_b32 v14, v20, v24, s0
	ds_write2st64_b32 v10, v11, v14 offset0:2 offset1:34
	v_xor_b32_e32 v10, 40, v35
	v_perm_b32 v11, v12, v16, s1
	v_perm_b32 v12, v20, v24, s1
	v_add_u32_e32 v10, 0x80, v10
	ds_write2st64_b32 v10, v11, v12 offset0:2 offset1:34
	v_xor_b32_e32 v10, 48, v35
	v_perm_b32 v11, v13, v17, s0
	v_perm_b32 v12, v21, v25, s0
	ds_write2st64_b32 v10, v11, v12 offset0:3 offset1:35
	v_xor_b32_e32 v10, 56, v35
	v_or_b32_e32 v18, v48, v60
	v_perm_b32 v11, v13, v17, s1
	v_perm_b32 v12, v21, v25, s1
	v_add_u32_e32 v10, 0x80, v10
	v_cmp_gt_i32_e64 s[2:3], s47, v18
	v_mov_b32_e32 v20, 0
	v_mov_b32_e32 v25, 0
	ds_write2st64_b32 v10, v11, v12 offset0:3 offset1:35
	s_and_saveexec_b64 s[0:1], s[2:3]
	s_cbranch_execz .LBB669_62
; %bb.61:
	v_add_u32_e32 v10, s46, v18
	v_ashrrev_i32_e32 v11, 31, v10
	v_mul_lo_u32 v12, v11, s38
	v_mul_lo_u32 v13, v10, s39
	v_mad_u64_u32 v[10:11], s[4:5], v10, s38, 0
	v_add3_u32 v11, v11, v13, v12
	v_lshl_add_u64 v[10:11], v[10:11], 2, s[10:11]
	global_load_dword v10, v[10:11], off
	s_waitcnt vmcnt(0)
	v_sub_f32_e32 v10, s12, v10
	v_exp_f32_e32 v25, v10
.LBB669_62:
	s_or_b64 exec, exec, s[0:1]
	v_or_b32_e32 v23, 1, v18
	v_cmp_gt_i32_e64 s[4:5], s47, v23
	s_and_saveexec_b64 s[0:1], s[4:5]
	s_cbranch_execz .LBB669_64
; %bb.63:
	v_add_u32_e32 v10, s46, v23
	v_ashrrev_i32_e32 v11, 31, v10
	v_mul_lo_u32 v12, v11, s38
	v_mul_lo_u32 v13, v10, s39
	v_mad_u64_u32 v[10:11], s[6:7], v10, s38, 0
	v_add3_u32 v11, v11, v13, v12
	v_lshl_add_u64 v[10:11], v[10:11], 2, s[10:11]
	global_load_dword v10, v[10:11], off
	s_waitcnt vmcnt(0)
	v_sub_f32_e32 v10, s12, v10
	v_exp_f32_e32 v20, v10
.LBB669_64:
	s_or_b64 exec, exec, s[0:1]
	v_or_b32_e32 v22, 2, v18
	v_cmp_gt_i32_e64 s[0:1], s47, v22
	v_mov_b32_e32 v19, 0
	v_mov_b32_e32 v24, 0
	s_and_saveexec_b64 s[6:7], s[0:1]
	s_cbranch_execz .LBB669_66
; %bb.65:
	v_add_u32_e32 v10, s46, v22
	v_ashrrev_i32_e32 v11, 31, v10
	v_mul_lo_u32 v12, v11, s38
	v_mul_lo_u32 v13, v10, s39
	v_mad_u64_u32 v[10:11], s[20:21], v10, s38, 0
	v_add3_u32 v11, v11, v13, v12
	v_lshl_add_u64 v[10:11], v[10:11], 2, s[10:11]
	global_load_dword v10, v[10:11], off
	s_waitcnt vmcnt(0)
	v_sub_f32_e32 v10, s12, v10
	v_exp_f32_e32 v24, v10
.LBB669_66:
	s_or_b64 exec, exec, s[6:7]
	v_or_b32_e32 v21, 3, v18
	v_cmp_gt_i32_e32 vcc, s47, v21
	s_and_saveexec_b64 s[6:7], vcc
	s_cbranch_execz .LBB669_68
; %bb.67:
	v_add_u32_e32 v10, s46, v21
	v_ashrrev_i32_e32 v11, 31, v10
	v_mul_lo_u32 v12, v11, s38
	v_mul_lo_u32 v13, v10, s39
	v_mad_u64_u32 v[10:11], s[20:21], v10, s38, 0
	v_add3_u32 v11, v11, v13, v12
	v_lshl_add_u64 v[10:11], v[10:11], 2, s[10:11]
	global_load_dword v10, v[10:11], off
	s_waitcnt vmcnt(0)
	v_sub_f32_e32 v10, s12, v10
	v_exp_f32_e32 v19, v10
.LBB669_68:
	s_or_b64 exec, exec, s[6:7]
	s_waitcnt lgkmcnt(11)
	v_mfma_f32_16x16x16_bf16 a[0:3], v[42:43], v[30:31], a[0:3]
	s_add_u32 s6, s8, s30
	v_ashrrev_i32_e32 v35, 31, v34
	s_addc_u32 s7, s9, s31
	s_waitcnt lgkmcnt(10)
	v_mfma_f32_16x16x16_bf16 a[0:3], v[40:41], v[32:33], a[0:3]
	v_lshlrev_b64 v[10:11], 1, v[34:35]
	v_lshl_add_u64 v[14:15], s[6:7], 0, v[10:11]
	s_add_u32 s6, s18, s30
	s_waitcnt lgkmcnt(9)
	v_mfma_f32_16x16x16_bf16 a[0:3], v[38:39], v[26:27], a[0:3]
	s_addc_u32 s7, s19, s31
	v_lshl_add_u64 v[16:17], s[6:7], 0, v[10:11]
	v_mov_b32_e32 v26, 0
	s_waitcnt lgkmcnt(8)
	v_mfma_f32_16x16x16_bf16 a[0:3], v[36:37], v[28:29], a[0:3]
	v_mov_b32_e32 v27, 0
	s_nop 5
	v_accvgpr_read_b32 v13, a3
	v_accvgpr_read_b32 v12, a2
	v_accvgpr_read_b32 v11, a1
	v_accvgpr_read_b32 v10, a0
	s_and_saveexec_b64 s[6:7], s[2:3]
	s_cbranch_execz .LBB669_70
; %bb.69:
	v_lshlrev_b32_e32 v28, 8, v18
	v_mov_b32_e32 v29, 0
	v_lshl_add_u64 v[30:31], v[14:15], 0, v[28:29]
	global_load_ushort v27, v[30:31], off
	v_lshl_add_u64 v[28:29], v[16:17], 0, v[28:29]
	s_waitcnt vmcnt(0)
	v_lshlrev_b32_e32 v27, 16, v27
	v_sub_f32_e32 v10, v27, v10
	global_store_short_d16_hi v[28:29], v10, off
	v_mul_f32_e32 v10, v25, v10
	v_lshrrev_b32_e32 v27, 16, v10
.LBB669_70:
	s_or_b64 exec, exec, s[6:7]
	s_and_saveexec_b64 s[2:3], s[4:5]
	s_cbranch_execz .LBB669_72
; %bb.71:
	v_lshlrev_b32_e32 v28, 8, v23
	v_mov_b32_e32 v29, 0
	v_lshl_add_u64 v[30:31], v[14:15], 0, v[28:29]
	global_load_ushort v10, v[30:31], off
	v_lshl_add_u64 v[28:29], v[16:17], 0, v[28:29]
	s_waitcnt vmcnt(0)
	v_lshlrev_b32_e32 v10, 16, v10
	v_sub_f32_e32 v10, v10, v11
	global_store_short_d16_hi v[28:29], v10, off
	v_mul_f32_e32 v10, v20, v10
	v_lshrrev_b32_e32 v26, 16, v10
.LBB669_72:
	s_or_b64 exec, exec, s[2:3]
	v_mov_b32_e32 v11, 0
	v_mov_b32_e32 v20, 0
	s_and_saveexec_b64 s[2:3], s[0:1]
	s_cbranch_execz .LBB669_74
; %bb.73:
	v_lshlrev_b32_e32 v22, 8, v22
	v_mov_b32_e32 v23, 0
	v_lshl_add_u64 v[28:29], v[14:15], 0, v[22:23]
	global_load_ushort v10, v[28:29], off
	v_lshl_add_u64 v[22:23], v[16:17], 0, v[22:23]
	s_waitcnt vmcnt(0)
	v_lshlrev_b32_e32 v10, 16, v10
	v_sub_f32_e32 v10, v10, v12
	global_store_short_d16_hi v[22:23], v10, off
	v_mul_f32_e32 v10, v24, v10
	v_lshrrev_b32_e32 v20, 16, v10
.LBB669_74:
	s_or_b64 exec, exec, s[2:3]
	v_or_b32_e32 v10, 0x9800, v46
	s_and_saveexec_b64 s[0:1], vcc
	s_cbranch_execz .LBB669_76
; %bb.75:
	v_lshlrev_b32_e32 v22, 8, v21
	v_mov_b32_e32 v23, 0
	v_lshl_add_u64 v[14:15], v[14:15], 0, v[22:23]
	global_load_ushort v11, v[14:15], off
	v_lshl_add_u64 v[14:15], v[16:17], 0, v[22:23]
	s_waitcnt vmcnt(0)
	v_lshlrev_b32_e32 v11, 16, v11
	v_sub_f32_e32 v11, v11, v13
	global_store_short_d16_hi v[14:15], v11, off
	v_mul_f32_e32 v11, v19, v11
	v_lshrrev_b32_e32 v11, 16, v11
.LBB669_76:
	s_or_b64 exec, exec, s[0:1]
	s_mov_b32 s0, 0x5040100
	v_perm_b32 v13, v11, v20, s0
	v_lshlrev_b32_e32 v11, 1, v44
	v_perm_b32 v12, v26, v27, s0
	v_lshl_or_b32 v11, v18, 5, v11
	s_movk_i32 s2, 0xff
	ds_write_b64 v11, v[12:13] offset:38912
	v_and_b32_e32 v11, 7, v0
	v_cmp_lt_u32_e32 vcc, s2, v0
	v_and_b32_e32 v12, 8, v0
	v_lshlrev_b32_e32 v19, 3, v11
	v_lshlrev_b32_e32 v28, 7, v11
	v_cndmask_b32_e64 v11, 0, 1, vcc
	v_lshrrev_b32_e32 v0, 1, v0
	v_lshlrev_b32_e32 v24, 13, v11
	v_lshlrev_b32_e32 v11, 3, v53
	v_and_b32_e32 v0, 24, v0
	v_xor_b32_e32 v13, v11, v0
	v_or_b32_e32 v14, 0x440, v13
	v_cmp_eq_u32_e32 vcc, 0, v12
	s_waitcnt lgkmcnt(0)
	s_barrier
	v_cndmask_b32_e32 v12, v14, v13, vcc
	v_or_b32_e32 v12, v12, v45
	v_xor_b32_e32 v29, v12, v19
	v_or_b32_e32 v12, 32, v0
	v_xor_b32_e32 v12, v11, v12
	v_or_b32_e32 v13, 0x440, v12
	v_cndmask_b32_e32 v12, v13, v12, vcc
	v_or_b32_e32 v12, v12, v45
	v_xor_b32_e32 v30, v12, v19
	v_or_b32_e32 v12, 64, v0
	v_xor_b32_e32 v12, v11, v12
	v_xor_b32_e32 v13, 0x440, v12
	v_cndmask_b32_e32 v12, v13, v12, vcc
	v_add3_u32 v16, v24, v29, v28
	v_or_b32_e32 v12, v12, v45
	v_or_b32_e32 v0, 0x60, v0
	v_xor_b32_e32 v31, v12, v19
	ds_read2st64_b64 v[12:15], v10 offset1:1
	ds_read2st64_b64 v[20:23], v10 offset0:2 offset1:3
	v_xor_b32_e32 v0, v11, v0
	ds_read_b64 v[10:11], v16
	v_add3_u32 v17, v24, v30, v28
	v_xor_b32_e32 v16, 0x440, v0
	v_cndmask_b32_e32 v0, v16, v0, vcc
	ds_read_b64 v[16:17], v17
	s_add_i32 s0, s16, s48
	s_mul_hi_i32 s1, s0, s13
	s_mul_i32 s0, s0, s13
	s_add_u32 s0, s0, s33
	s_waitcnt lgkmcnt(1)
	v_mfma_f32_16x16x16_bf16 a[0:3], v[10:11], v[12:13], 0
	s_addc_u32 s1, s1, s14
	v_or_b32_e32 v0, v0, v45
	s_lshl_b64 s[0:1], s[0:1], 9
	v_xor_b32_e32 v0, v0, v19
	s_add_u32 s0, s36, s0
	v_add3_u32 v25, v24, v31, v28
	v_add3_u32 v19, v24, v0, v28
	s_addc_u32 s1, s37, s1
	v_lshlrev_b32_e32 v10, 2, v18
	ds_read_b64 v[24:25], v25
	ds_read_b64 v[26:27], v19
	s_waitcnt lgkmcnt(2)
	v_mfma_f32_16x16x16_bf16 a[0:3], v[16:17], v[14:15], a[0:3]
	global_load_dwordx4 v[16:19], v10, s[0:1]
	v_add_u32_e32 v10, v29, v28
	ds_read_b64 v[10:11], v10 offset:8192
	s_waitcnt lgkmcnt(2)
	v_mfma_f32_16x16x16_bf16 a[0:3], v[24:25], v[20:21], a[0:3]
	v_lshlrev_b32_e32 v24, 6, v53
	v_lshlrev_b32_e32 v25, 2, v48
	s_movk_i32 s2, 0x100
	v_or3_b32 v32, v24, v25, s2
	v_add_u32_e32 v24, v30, v28
	v_add_u32_e32 v29, v31, v28
	;; [unrolled: 1-line block ×3, first 2 shown]
	ds_read_b64 v[24:25], v24 offset:8192
	ds_read_b64 v[28:29], v29 offset:8192
	;; [unrolled: 1-line block ×3, first 2 shown]
	s_waitcnt lgkmcnt(3)
	v_mfma_f32_16x16x16_bf16 a[4:7], v[10:11], v[12:13], 0
	global_load_dwordx4 v[10:13], v32, s[0:1]
	v_exp_f32_e32 v0, s12
	s_waitcnt vmcnt(1)
	v_exp_f32_e32 v16, v16
	v_mfma_f32_16x16x16_bf16 a[0:3], v[26:27], v[22:23], a[0:3]
	v_exp_f32_e32 v17, v17
	v_exp_f32_e32 v18, v18
	;; [unrolled: 1-line block ×3, first 2 shown]
	v_pk_mul_f32 v[16:17], v[0:1], v[16:17] op_sel_hi:[0,1]
	v_pk_mul_f32 v[18:19], v[0:1], v[18:19] op_sel_hi:[0,1]
	s_nop 1
	v_accvgpr_read_b32 v33, a1
	v_accvgpr_read_b32 v27, a3
	;; [unrolled: 1-line block ×4, first 2 shown]
	s_waitcnt lgkmcnt(2)
	v_mfma_f32_16x16x16_bf16 a[0:3], v[24:25], v[14:15], a[4:7]
	s_waitcnt vmcnt(0)
	v_mov_b32_e32 v14, v13
	v_mov_b32_e32 v13, v12
	v_mov_b32_e32 v12, v11
	s_waitcnt lgkmcnt(1)
	v_mfma_f32_16x16x16_bf16 a[0:3], v[28:29], v[20:21], a[0:3]
	v_exp_f32_e32 v10, v10
	v_exp_f32_e32 v11, v12
	;; [unrolled: 1-line block ×3, first 2 shown]
	s_waitcnt lgkmcnt(0)
	v_mfma_f32_16x16x16_bf16 a[0:3], v[30:31], v[22:23], a[0:3]
	v_exp_f32_e32 v13, v14
	v_pk_fma_f32 v[2:3], v[2:3], v[16:17], v[32:33]
	v_pk_mul_f32 v[10:11], v[0:1], v[10:11] op_sel_hi:[0,1]
	v_pk_fma_f32 v[4:5], v[4:5], v[18:19], v[26:27]
	s_nop 2
	v_accvgpr_read_b32 v17, a1
	v_accvgpr_read_b32 v16, a0
	;; [unrolled: 1-line block ×4, first 2 shown]
	v_pk_fma_f32 v[6:7], v[6:7], v[10:11], v[16:17]
	v_pk_mul_f32 v[10:11], v[0:1], v[12:13] op_sel_hi:[0,1]
	v_pk_fma_f32 v[8:9], v[8:9], v[10:11], v[14:15]
	v_mov_b32_e32 v10, v34
.LBB669_77:
	s_lshl_b64 s[0:1], s[28:29], 16
	s_add_u32 s0, s34, s0
	v_lshlrev_b32_e32 v10, 7, v10
	s_addc_u32 s1, s35, s1
	v_ashrrev_i32_e32 v11, 31, v10
	v_lshl_add_u64 v[10:11], v[10:11], 2, s[0:1]
	v_lshlrev_b32_e32 v0, 2, v1
	v_mov_b32_e32 v1, 0
	v_lshl_add_u64 v[0:1], v[10:11], 0, v[0:1]
	global_store_dwordx4 v[0:1], v[2:5], off
	global_store_dwordx4 v[0:1], v[6:9], off offset:256
	s_endpgm
	.section	.rodata,"a",@progbits
	.p2align	6, 0x0
	.amdhsa_kernel _ZN12_GLOBAL__N_139chunk_gated_delta_rule_fwd_h_hip_kernelILi16ELb0ELb1ELb1ELb0ELb1ELb1ELb0ELb0EEEvPK12hip_bfloat16S3_S3_PKfS5_PKvPS1_S8_PvPKiSB_iiiiilll
		.amdhsa_group_segment_fixed_size 40960
		.amdhsa_private_segment_fixed_size 0
		.amdhsa_kernarg_size 136
		.amdhsa_user_sgpr_count 2
		.amdhsa_user_sgpr_dispatch_ptr 0
		.amdhsa_user_sgpr_queue_ptr 0
		.amdhsa_user_sgpr_kernarg_segment_ptr 1
		.amdhsa_user_sgpr_dispatch_id 0
		.amdhsa_user_sgpr_kernarg_preload_length 0
		.amdhsa_user_sgpr_kernarg_preload_offset 0
		.amdhsa_user_sgpr_private_segment_size 0
		.amdhsa_uses_dynamic_stack 0
		.amdhsa_enable_private_segment 0
		.amdhsa_system_sgpr_workgroup_id_x 1
		.amdhsa_system_sgpr_workgroup_id_y 1
		.amdhsa_system_sgpr_workgroup_id_z 0
		.amdhsa_system_sgpr_workgroup_info 0
		.amdhsa_system_vgpr_workitem_id 0
		.amdhsa_next_free_vgpr 128
		.amdhsa_next_free_sgpr 70
		.amdhsa_accum_offset 116
		.amdhsa_reserve_vcc 1
		.amdhsa_float_round_mode_32 0
		.amdhsa_float_round_mode_16_64 0
		.amdhsa_float_denorm_mode_32 3
		.amdhsa_float_denorm_mode_16_64 3
		.amdhsa_dx10_clamp 1
		.amdhsa_ieee_mode 1
		.amdhsa_fp16_overflow 0
		.amdhsa_tg_split 0
		.amdhsa_exception_fp_ieee_invalid_op 0
		.amdhsa_exception_fp_denorm_src 0
		.amdhsa_exception_fp_ieee_div_zero 0
		.amdhsa_exception_fp_ieee_overflow 0
		.amdhsa_exception_fp_ieee_underflow 0
		.amdhsa_exception_fp_ieee_inexact 0
		.amdhsa_exception_int_div_zero 0
	.end_amdhsa_kernel
	.section	.text._ZN12_GLOBAL__N_139chunk_gated_delta_rule_fwd_h_hip_kernelILi16ELb0ELb1ELb1ELb0ELb1ELb1ELb0ELb0EEEvPK12hip_bfloat16S3_S3_PKfS5_PKvPS1_S8_PvPKiSB_iiiiilll,"axG",@progbits,_ZN12_GLOBAL__N_139chunk_gated_delta_rule_fwd_h_hip_kernelILi16ELb0ELb1ELb1ELb0ELb1ELb1ELb0ELb0EEEvPK12hip_bfloat16S3_S3_PKfS5_PKvPS1_S8_PvPKiSB_iiiiilll,comdat
.Lfunc_end669:
	.size	_ZN12_GLOBAL__N_139chunk_gated_delta_rule_fwd_h_hip_kernelILi16ELb0ELb1ELb1ELb0ELb1ELb1ELb0ELb0EEEvPK12hip_bfloat16S3_S3_PKfS5_PKvPS1_S8_PvPKiSB_iiiiilll, .Lfunc_end669-_ZN12_GLOBAL__N_139chunk_gated_delta_rule_fwd_h_hip_kernelILi16ELb0ELb1ELb1ELb0ELb1ELb1ELb0ELb0EEEvPK12hip_bfloat16S3_S3_PKfS5_PKvPS1_S8_PvPKiSB_iiiiilll
                                        ; -- End function
	.section	.AMDGPU.csdata,"",@progbits
; Kernel info:
; codeLenInByte = 8224
; NumSgprs: 76
; NumVgprs: 114
; NumAgprs: 12
; TotalNumVgprs: 128
; ScratchSize: 0
; MemoryBound: 0
; FloatMode: 240
; IeeeMode: 1
; LDSByteSize: 40960 bytes/workgroup (compile time only)
; SGPRBlocks: 9
; VGPRBlocks: 15
; NumSGPRsForWavesPerEU: 76
; NumVGPRsForWavesPerEU: 128
; AccumOffset: 116
; Occupancy: 1
; WaveLimiterHint : 1
; COMPUTE_PGM_RSRC2:SCRATCH_EN: 0
; COMPUTE_PGM_RSRC2:USER_SGPR: 2
; COMPUTE_PGM_RSRC2:TRAP_HANDLER: 0
; COMPUTE_PGM_RSRC2:TGID_X_EN: 1
; COMPUTE_PGM_RSRC2:TGID_Y_EN: 1
; COMPUTE_PGM_RSRC2:TGID_Z_EN: 0
; COMPUTE_PGM_RSRC2:TIDIG_COMP_CNT: 0
; COMPUTE_PGM_RSRC3_GFX90A:ACCUM_OFFSET: 28
; COMPUTE_PGM_RSRC3_GFX90A:TG_SPLIT: 0
	.section	.text._ZN12_GLOBAL__N_139chunk_gated_delta_rule_fwd_h_hip_kernelILi16ELb0ELb1ELb0ELb0ELb1ELb1ELb0ELb0EEEvPK12hip_bfloat16S3_S3_PKfS5_PKvPS1_S8_PvPKiSB_iiiiilll,"axG",@progbits,_ZN12_GLOBAL__N_139chunk_gated_delta_rule_fwd_h_hip_kernelILi16ELb0ELb1ELb0ELb0ELb1ELb1ELb0ELb0EEEvPK12hip_bfloat16S3_S3_PKfS5_PKvPS1_S8_PvPKiSB_iiiiilll,comdat
	.globl	_ZN12_GLOBAL__N_139chunk_gated_delta_rule_fwd_h_hip_kernelILi16ELb0ELb1ELb0ELb0ELb1ELb1ELb0ELb0EEEvPK12hip_bfloat16S3_S3_PKfS5_PKvPS1_S8_PvPKiSB_iiiiilll ; -- Begin function _ZN12_GLOBAL__N_139chunk_gated_delta_rule_fwd_h_hip_kernelILi16ELb0ELb1ELb0ELb0ELb1ELb1ELb0ELb0EEEvPK12hip_bfloat16S3_S3_PKfS5_PKvPS1_S8_PvPKiSB_iiiiilll
	.p2align	8
	.type	_ZN12_GLOBAL__N_139chunk_gated_delta_rule_fwd_h_hip_kernelILi16ELb0ELb1ELb0ELb0ELb1ELb1ELb0ELb0EEEvPK12hip_bfloat16S3_S3_PKfS5_PKvPS1_S8_PvPKiSB_iiiiilll,@function
_ZN12_GLOBAL__N_139chunk_gated_delta_rule_fwd_h_hip_kernelILi16ELb0ELb1ELb0ELb0ELb1ELb1ELb0ELb0EEEvPK12hip_bfloat16S3_S3_PKfS5_PKvPS1_S8_PvPKiSB_iiiiilll: ; @_ZN12_GLOBAL__N_139chunk_gated_delta_rule_fwd_h_hip_kernelILi16ELb0ELb1ELb0ELb0ELb1ELb1ELb0ELb0EEEvPK12hip_bfloat16S3_S3_PKfS5_PKvPS1_S8_PvPKiSB_iiiiilll
; %bb.0:
	s_load_dwordx4 s[12:15], s[0:1], 0x5c
	s_load_dwordx4 s[16:19], s[0:1], 0x70
	s_abs_i32 s22, s3
	s_ashr_i32 s21, s3, 31
	s_load_dwordx8 s[4:11], s[0:1], 0x0
	s_load_dwordx2 s[30:31], s[0:1], 0x20
	s_waitcnt lgkmcnt(0)
	s_abs_i32 s20, s13
	v_cvt_f32_u32_e32 v1, s20
	s_sub_i32 s24, 0, s20
	s_ashr_i32 s23, s13, 31
	s_xor_b32 s21, s21, s23
	v_rcp_iflag_f32_e32 v1, v1
	s_load_dwordx2 s[28:29], s[0:1], 0x40
	s_load_dwordx2 s[38:39], s[0:1], 0x30
	;; [unrolled: 1-line block ×3, first 2 shown]
	v_lshrrev_b32_e32 v53, 6, v0
	v_mul_f32_e32 v1, 0x4f7ffffe, v1
	v_cvt_u32_f32_e32 v1, v1
	v_bfe_u32 v60, v0, 4, 2
	v_lshlrev_b32_e32 v58, 4, v53
	v_lshlrev_b32_e32 v10, 2, v60
	v_readfirstlane_b32 s25, v1
	s_mul_i32 s24, s24, s25
	s_mul_hi_u32 s24, s25, s24
	s_add_i32 s25, s25, s24
	s_mul_hi_u32 s24, s22, s25
	s_mul_i32 s25, s24, s20
	s_sub_i32 s22, s22, s25
	s_add_i32 s25, s24, 1
	s_sub_i32 s26, s22, s20
	s_cmp_ge_u32 s22, s20
	s_cselect_b32 s24, s25, s24
	s_cselect_b32 s22, s26, s22
	s_add_i32 s25, s24, 1
	s_cmp_ge_u32 s22, s20
	s_cselect_b32 s22, s25, s24
	s_xor_b32 s22, s22, s21
	s_sub_i32 s50, s22, s21
	s_abs_i32 s21, s14
	v_cvt_f32_u32_e32 v1, s21
	s_ashr_i32 s49, s12, 31
	s_lshr_b32 s22, s49, 26
	s_add_i32 s22, s12, s22
	v_rcp_iflag_f32_e32 v1, v1
	s_ashr_i32 s52, s14, 31
	s_ashr_i32 s51, s22, 6
	s_xor_b32 s22, s23, s52
	v_mul_f32_e32 v1, 0x4f7ffffe, v1
	v_cvt_u32_f32_e32 v1, v1
	s_sub_i32 s23, 0, s21
	s_mul_i32 s48, s50, s13
	s_sub_i32 s33, s3, s48
	v_readfirstlane_b32 s24, v1
	s_mul_i32 s23, s23, s24
	s_mul_hi_u32 s23, s24, s23
	s_add_i32 s24, s24, s23
	s_mul_hi_u32 s23, s20, s24
	s_mul_i32 s24, s23, s21
	s_sub_i32 s20, s20, s24
	s_add_i32 s3, s12, 63
	s_add_i32 s24, s23, 1
	s_sub_i32 s25, s20, s21
	s_cmp_ge_u32 s20, s21
	s_cselect_b32 s23, s24, s23
	s_cselect_b32 s20, s25, s20
	s_add_i32 s24, s23, 1
	s_cmp_ge_u32 s20, s21
	s_cselect_b32 s20, s24, s23
	s_xor_b32 s20, s20, s22
	s_sub_i32 s20, s20, s22
	s_abs_i32 s21, s20
	v_cvt_f32_u32_e32 v1, s21
	s_xor_b32 s0, s33, s20
	s_sub_i32 s20, 0, s21
	s_abs_i32 s1, s33
	v_rcp_iflag_f32_e32 v1, v1
	s_ashr_i32 s0, s0, 31
	v_and_b32_e32 v59, 63, v0
	v_mov_b32_e32 v9, 0
	v_mul_f32_e32 v1, 0x4f7ffffe, v1
	v_cvt_u32_f32_e32 v1, v1
	s_mul_i32 s46, s50, s12
	v_and_b32_e32 v61, 15, v0
	s_mul_hi_i32 s54, s50, s13
	v_readfirstlane_b32 s22, v1
	s_mul_i32 s20, s20, s22
	s_mul_hi_u32 s20, s22, s20
	s_add_i32 s22, s22, s20
	s_mul_hi_u32 s20, s1, s22
	s_mul_i32 s22, s20, s21
	s_sub_i32 s1, s1, s22
	s_add_i32 s22, s20, 1
	s_sub_i32 s23, s1, s21
	s_cmp_ge_u32 s1, s21
	s_cselect_b32 s20, s22, s20
	s_cselect_b32 s1, s23, s1
	s_add_i32 s22, s20, 1
	s_cmp_ge_u32 s1, s21
	s_cselect_b32 s1, s22, s20
	s_xor_b32 s1, s1, s0
	s_sub_i32 s55, s1, s0
	s_ashr_i32 s0, s3, 31
	s_lshr_b32 s0, s0, 26
	s_add_i32 s3, s3, s0
	v_or_b32_e32 v1, v10, v58
	s_ashr_i32 s0, s3, 6
	s_lshl_b32 s2, s2, 4
	s_mul_i32 s53, s50, s0
	v_or_b32_e32 v64, 64, v1
	s_cmp_lt_i32 s12, 64
	v_lshrrev_b32_e32 v63, 3, v59
	v_lshlrev_b32_e32 v62, 3, v0
	s_mul_i32 s17, s50, s17
	s_mul_hi_u32 s47, s50, s16
	s_mul_i32 s36, s50, s16
	v_mov_b32_e32 v8, v9
	v_mov_b32_e32 v7, v9
	v_mov_b32_e32 v6, v9
	v_mov_b32_e32 v5, v9
	v_mov_b32_e32 v4, v9
	v_mov_b32_e32 v3, v9
	v_mov_b32_e32 v2, v9
	s_cbranch_scc1 .LBB670_18
; %bb.1:
	s_ashr_i32 s3, s50, 31
	s_ashr_i32 s57, s33, 31
	s_add_u32 s0, s48, s33
	s_addc_u32 s1, s54, s57
	s_mul_i32 s1, s12, s1
	s_mul_hi_u32 s20, s12, s0
	s_add_i32 s41, s20, s1
	s_mul_i32 s40, s12, s0
	s_lshl_b64 s[0:1], s[40:41], 8
	v_and_b32_e32 v66, 56, v62
	s_add_u32 s20, s6, s0
	v_lshl_or_b32 v65, v53, 3, v63
	v_lshlrev_b32_e32 v3, 1, v66
	s_addc_u32 s0, s7, s1
	v_lshl_or_b32 v67, v65, 8, v3
	s_and_b32 s21, s0, 0xffff
	s_mov_b32 s23, 0x20000
	s_movk_i32 s22, 0x4000
	s_movk_i32 s0, 0x80
	v_or_b32_e32 v68, 0x2000, v67
	buffer_load_dwordx4 v[4:7], v67, s[20:23], 0 offen
	buffer_load_dwordx4 v[12:15], v67, s[20:23], s0 offen
	;; [unrolled: 1-line block ×4, first 2 shown]
	v_lshlrev_b32_e32 v2, 3, v65
	v_and_or_b32 v9, v0, 7, v2
	v_and_b32_e32 v2, 0x78, v2
	v_lshlrev_b32_e32 v9, 4, v9
	v_xor_b32_e32 v69, v9, v2
	v_mul_lo_u32 v8, v65, s15
	v_or_b32_e32 v70, 0x1000, v69
	v_xor_b32_e32 v2, 8, v69
	s_cmpk_eq_i32 s15, 0x80
	s_mov_b32 s56, s14
	v_xor_b32_e32 v9, 8, v70
	s_cselect_b64 s[0:1], -1, 0
	s_cmpk_lg_i32 s15, 0x80
	s_waitcnt vmcnt(3)
	ds_write_b64 v69, v[4:5] offset:16384
	ds_write_b64 v2, v[6:7] offset:16384
	s_waitcnt vmcnt(2)
	ds_write_b64 v69, v[12:13] offset:24576
	ds_write_b64 v2, v[14:15] offset:24576
	s_waitcnt vmcnt(1)
	ds_write_b64 v69, v[16:17] offset:20480
	ds_write_b64 v9, v[18:19] offset:16384
	s_waitcnt vmcnt(0)
	ds_write_b64 v69, v[20:21] offset:28672
	ds_write_b64 v9, v[22:23] offset:24576
	v_lshl_add_u32 v2, v8, 1, v66
	s_cbranch_scc0 .LBB670_3
; %bb.2:
	v_lshlrev_b32_e32 v6, 1, v2
	v_add_lshl_u32 v5, v2, s15, 1
	s_lshl_b32 s22, s15, 7
	v_lshl_or_b32 v4, v65, 9, v3
	s_cbranch_execz .LBB670_4
	s_branch .LBB670_5
.LBB670_3:
                                        ; implicit-def: $vgpr5
                                        ; implicit-def: $vgpr6
                                        ; implicit-def: $sgpr22
	v_lshl_or_b32 v4, v65, 9, v3
.LBB670_4:
	v_or_b32_e32 v5, 0x100, v4
	s_movk_i32 s22, 0x4000
	v_mov_b32_e32 v6, v4
.LBB670_5:
	s_mul_hi_u32 s20, s14, s12
	s_mul_i32 s21, s52, s12
	s_add_i32 s20, s20, s21
	s_mul_i32 s21, s14, s12
	s_mul_i32 s23, s21, s3
	s_mul_hi_u32 s24, s21, s50
	s_add_i32 s23, s24, s23
	s_mul_i32 s20, s20, s50
	s_add_i32 s23, s23, s20
	s_mul_i32 s21, s21, s50
	s_ashr_i32 s58, s55, 31
	s_add_u32 s20, s21, s55
	s_addc_u32 s21, s23, s58
	s_lshl_b64 s[20:21], s[20:21], 8
	s_add_u32 s20, s4, s20
	s_addc_u32 s21, s5, s21
	s_and_b32 s21, s21, 0xffff
	s_mov_b32 s23, 0x20000
	s_movk_i32 s59, 0x80
	buffer_load_dwordx4 v[12:15], v6, s[20:23], 0 offen
	s_nop 0
	buffer_load_dwordx4 v[6:9], v6, s[20:23], s59 offen
	s_nop 0
	buffer_load_dwordx4 v[16:19], v5, s[20:23], 0 offen
	buffer_load_dwordx4 v[20:23], v5, s[20:23], s59 offen
	v_and_b32_e32 v3, 6, v0
	s_mul_i32 s20, s3, s12
	s_mul_hi_u32 s21, s50, s12
	v_lshlrev_b32_e32 v11, 2, v61
	v_lshlrev_b32_e32 v24, 3, v61
	v_xor_b32_e32 v26, v65, v3
	v_and_b32_e32 v5, 1, v0
	s_mul_i32 s3, s3, s16
	v_lshl_or_b32 v24, v1, 5, v24
	v_xor_b32_e32 v27, v1, v11
	v_lshlrev_b32_e32 v26, 2, v26
	s_add_i32 s63, s21, s20
	s_add_i32 s20, s47, s17
	s_mul_i32 s24, s33, s19
	v_or_b32_e32 v71, 0x9000, v24
	v_or_b32_e32 v72, 0x9800, v24
	v_lshlrev_b32_e32 v24, 1, v27
	v_xor_b32_e32 v27, 0x440, v26
	v_cmp_eq_u32_e32 vcc, 0, v5
	s_add_i32 s37, s20, s3
	s_mul_hi_u32 s3, s33, s18
	v_cndmask_b32_e32 v5, v27, v26, vcc
	s_add_i32 s3, s3, s24
	s_mul_i32 s20, s57, s18
	s_mov_b32 s61, 0x1000504
	v_lshlrev_b32_e32 v25, 8, v61
	s_mov_b32 s22, 0x8000
	v_xor_b32_e32 v11, v64, v11
	v_lshl_or_b32 v3, v3, 10, v5
	s_add_i32 s21, s3, s20
	s_lshl_b64 s[24:25], s[36:37], 2
	s_mov_b32 s62, 0x3020706
	v_lshlrev_b32_e32 v11, 1, v11
	v_or3_b32 v73, v24, v25, s22
	v_xor_b32_e32 v5, 8, v3
	v_xor_b32_e32 v24, 24, v3
	;; [unrolled: 1-line block ×4, first 2 shown]
	s_mul_i32 s20, s33, s18
	s_add_u32 s3, s10, s24
	v_or3_b32 v74, v11, v25, s22
	v_xor_b32_e32 v11, 16, v3
	v_xor_b32_e32 v25, 32, v3
	;; [unrolled: 1-line block ×3, first 2 shown]
	v_add_u32_e32 v5, 0x80, v5
	v_add_u32_e32 v24, 0x80, v24
	;; [unrolled: 1-line block ×4, first 2 shown]
	s_addc_u32 s24, s11, s25
	s_lshl_b64 s[20:21], s[20:21], 2
	s_add_u32 s42, s3, s20
	s_movk_i32 s3, 0xf8
	s_addc_u32 s43, s24, s21
	s_lshl_b32 s26, s15, 7
	s_mov_b32 s60, 0
	v_add_u32_e32 v85, v58, v10
	s_mov_b32 s37, 0x7060302
	s_mov_b32 s65, 0
	s_waitcnt vmcnt(1)
	v_perm_b32 v29, v12, v16, s61
	s_waitcnt vmcnt(0)
	v_perm_b32 v30, v6, v20, s61
	v_perm_b32 v12, v12, v16, s62
	v_perm_b32 v6, v6, v20, s62
	v_perm_b32 v16, v13, v17, s61
	v_perm_b32 v20, v7, v21, s61
	v_perm_b32 v13, v13, v17, s62
	v_perm_b32 v7, v7, v21, s62
	v_perm_b32 v17, v14, v18, s61
	v_perm_b32 v21, v8, v22, s61
	v_perm_b32 v14, v14, v18, s62
	v_perm_b32 v8, v8, v22, s62
	v_perm_b32 v18, v15, v19, s61
	v_perm_b32 v22, v9, v23, s61
	v_perm_b32 v15, v15, v19, s62
	v_perm_b32 v9, v9, v23, s62
	ds_write2st64_b32 v3, v29, v30 offset1:32
	ds_write2st64_b32 v5, v12, v6 offset1:32
	ds_write2st64_b32 v11, v16, v20 offset0:1 offset1:33
	ds_write2st64_b32 v24, v13, v7 offset0:1 offset1:33
	;; [unrolled: 1-line block ×6, first 2 shown]
	v_or_b32_e32 v3, v58, v61
	v_lshlrev_b32_e32 v3, 3, v3
	v_lshrrev_b32_e32 v7, 5, v59
	v_and_or_b32 v7, v3, s3, v7
	v_lshlrev_b32_e32 v7, 4, v7
	v_lshlrev_b32_e32 v11, 11, v53
	v_and_b32_e32 v3, 0x78, v3
	v_or_b32_e32 v12, 32, v7
	v_and_b32_e32 v6, 0x1000, v11
	v_lshrrev_b32_e32 v9, 1, v59
	v_xor_b32_e32 v12, v12, v3
	v_and_b32_e32 v9, 8, v9
	v_or_b32_e32 v12, v12, v6
	v_xor_b32_e32 v8, v7, v3
	v_xor_b32_e32 v77, v12, v9
	v_or_b32_e32 v12, 64, v7
	v_or_b32_e32 v7, 0x60, v7
	;; [unrolled: 1-line block ×3, first 2 shown]
	v_xor_b32_e32 v12, v12, v3
	v_xor_b32_e32 v3, v7, v3
	;; [unrolled: 1-line block ×3, first 2 shown]
	v_and_b32_e32 v8, 0x78, v62
	v_or_b32_e32 v3, v3, v6
	v_lshl_or_b32 v8, v60, 7, v8
	v_xor_b32_e32 v79, v3, v9
	v_lshlrev_b32_e32 v13, 1, v2
	v_add_lshl_u32 v14, v2, s15, 1
	v_lshrrev_b32_e32 v2, 4, v0
	v_lshlrev_b32_e32 v3, 1, v61
	v_or_b32_e32 v76, 0x9000, v8
	v_or_b32_e32 v80, 0x9800, v8
	s_ashr_i32 s3, s2, 31
	v_or_b32_e32 v8, 1, v3
	v_xor_b32_e32 v3, v2, v3
	s_lshl_b64 s[20:21], s[2:3], 8
	v_xor_b32_e32 v8, v8, v2
	v_lshlrev_b32_e32 v3, 3, v3
	v_lshlrev_b32_e32 v2, 8, v2
	s_waitcnt lgkmcnt(0)
	s_add_u32 s20, s38, s20
	v_or3_b32 v81, v3, v2, s22
	v_lshlrev_b32_e32 v3, 3, v8
	v_or_b32_e32 v12, v12, v6
	s_addc_u32 s21, s39, s21
	v_or3_b32 v82, v3, v2, s22
	v_mov_b32_e32 v3, 0
	v_lshrrev_b32_e32 v18, 1, v0
	v_xor_b32_e32 v78, v12, v9
	v_lshl_add_u64 v[8:9], s[20:21], 0, v[2:3]
	v_lshlrev_b32_e32 v2, 4, v61
	s_movk_i32 s3, 0xff
	v_lshlrev_b32_e32 v17, 3, v53
	v_and_b32_e32 v18, 24, v18
	v_lshl_add_u64 v[54:55], v[8:9], 0, v[2:3]
	v_and_b32_e32 v2, 7, v0
	v_and_b32_e32 v9, 8, v0
	v_cmp_lt_u32_e32 vcc, s3, v0
	v_xor_b32_e32 v19, v17, v18
	v_lshlrev_b32_e32 v12, 3, v2
	v_lshlrev_b32_e32 v16, 7, v2
	v_cndmask_b32_e64 v2, 0, 1, vcc
	v_or_b32_e32 v20, 0x440, v19
	v_cmp_eq_u32_e32 vcc, 0, v9
	v_or_b32_e32 v22, 64, v18
	v_xor_b32_e32 v22, v17, v22
	v_cndmask_b32_e32 v9, v20, v19, vcc
	v_or_b32_e32 v20, 32, v18
	v_or_b32_e32 v18, 0x60, v18
	v_xor_b32_e32 v20, v17, v20
	v_xor_b32_e32 v17, v17, v18
	v_or_b32_e32 v21, 0x440, v20
	v_xor_b32_e32 v23, 0x440, v22
	v_xor_b32_e32 v18, 0x440, v17
	v_cndmask_b32_e32 v20, v21, v20, vcc
	v_cndmask_b32_e32 v22, v23, v22, vcc
	;; [unrolled: 1-line block ×3, first 2 shown]
	v_lshrrev_b32_e32 v5, 2, v59
	v_or_b32_e32 v6, s2, v61
	v_or_b32_e32 v9, v9, v11
	;; [unrolled: 1-line block ×5, first 2 shown]
	v_and_b32_e32 v5, 12, v5
	v_ashrrev_i32_e32 v7, 31, v6
	v_lshlrev_b32_e32 v2, 13, v2
	v_xor_b32_e32 v9, v9, v12
	v_xor_b32_e32 v20, v20, v12
	;; [unrolled: 1-line block ×4, first 2 shown]
	v_lshl_add_u64 v[6:7], v[6:7], 1, s[8:9]
	v_or_b32_e32 v15, 0x100, v4
	v_or_b32_e32 v8, v5, v58
	v_add_u32_e32 v19, v2, v9
	v_add_u32_e32 v21, v2, v20
	;; [unrolled: 1-line block ×4, first 2 shown]
	v_or3_b32 v12, v58, v5, 64
	v_add_u32_e32 v5, 0x2000, v9
	v_add_u32_e32 v9, 0x2000, v20
	;; [unrolled: 1-line block ×4, first 2 shown]
	v_lshlrev_b32_e32 v2, 8, v1
	v_cndmask_b32_e64 v83, v13, v4, s[0:1]
	v_cndmask_b32_e64 v84, v14, v15, s[0:1]
	v_lshl_add_u64 v[56:57], v[6:7], 0, v[2:3]
	s_add_i32 s3, s46, 63
	s_movk_i32 s22, 0x4000
	v_lshlrev_b32_e32 v86, 2, v8
	v_add_u32_e32 v87, v19, v16
	v_add_u32_e32 v88, v21, v16
	;; [unrolled: 1-line block ×4, first 2 shown]
	v_lshlrev_b32_e32 v91, 2, v12
	v_add_u32_e32 v92, v5, v16
	v_add_u32_e32 v93, v9, v16
	v_add_u32_e32 v94, v18, v16
	v_add_u32_e32 v95, v11, v16
	v_mov_b32_e32 v2, v3
	v_mov_b32_e32 v4, v3
	;; [unrolled: 1-line block ×7, first 2 shown]
	s_barrier
.LBB670_6:                              ; =>This Inner Loop Header: Depth=1
	s_add_i32 s64, s65, 1
	s_cmp_lt_i32 s64, s51
	s_mov_b64 s[24:25], 0
	s_cselect_b64 s[44:45], -1, 0
	s_cmp_ge_i32 s64, s51
	s_mov_b64 s[20:21], 0
	s_cbranch_scc1 .LBB670_8
; %bb.7:                                ;   in Loop: Header=BB670_6 Depth=1
	s_add_i32 s0, s60, 64
	s_add_u32 s0, s40, s0
	s_addc_u32 s1, s41, 0
	s_lshl_b64 s[0:1], s[0:1], 8
	s_add_u32 s20, s6, s0
	s_addc_u32 s21, s7, s1
.LBB670_8:                              ;   in Loop: Header=BB670_6 Depth=1
	v_cndmask_b32_e64 v10, 0, 1, s[44:45]
	v_cmp_ne_u32_e64 s[0:1], 1, v10
	s_andn2_b64 vcc, exec, s[44:45]
	s_cbranch_vccnz .LBB670_10
; %bb.9:                                ;   in Loop: Header=BB670_6 Depth=1
	s_add_i32 s24, s60, 64
	s_add_u32 s24, s46, s24
	s_addc_u32 s25, s63, 0
	s_mul_i32 s27, s24, s52
	s_mul_hi_u32 s44, s24, s56
	s_add_i32 s27, s44, s27
	s_mul_i32 s25, s25, s56
	s_add_i32 s27, s27, s25
	s_mul_i32 s24, s24, s56
	s_add_u32 s24, s24, s55
	s_addc_u32 s25, s27, s58
	s_lshl_b64 s[24:25], s[24:25], 8
	s_add_u32 s24, s4, s24
	s_addc_u32 s25, s5, s25
.LBB670_10:                             ;   in Loop: Header=BB670_6 Depth=1
	v_perm_b32 v11, v5, v4, s37
	v_perm_b32 v10, v3, v2, s37
	v_perm_b32 v13, v9, v8, s37
	v_perm_b32 v12, v7, v6, s37
	ds_write_b64 v71, v[10:11]
	ds_write_b64 v72, v[12:13]
	;; [unrolled: 1-line block ×4, first 2 shown]
	s_waitcnt lgkmcnt(0)
	s_barrier
	ds_read_b64 v[18:19], v75 offset:16384
	ds_read_b64 v[20:21], v77 offset:16384
	ds_read2st64_b64 v[10:13], v76 offset1:1
	ds_read2st64_b64 v[14:17], v76 offset0:2 offset1:3
	ds_read_b64 v[22:23], v78 offset:16384
	s_waitcnt lgkmcnt(2)
	v_mfma_f32_16x16x16_bf16 a[0:3], v[18:19], v[10:11], 0
	ds_read_b64 v[10:11], v79 offset:16384
	s_add_i32 s27, s60, 63
	s_mul_i32 s44, s27, s35
	v_mfma_f32_16x16x16_bf16 a[0:3], v[20:21], v[12:13], a[0:3]
	s_mul_hi_u32 s45, s27, s34
	s_add_i32 s45, s45, s44
	s_mul_i32 s44, s27, s34
	s_waitcnt lgkmcnt(1)
	v_mfma_f32_16x16x16_bf16 a[0:3], v[22:23], v[14:15], a[0:3]
	s_lshl_b64 s[44:45], s[44:45], 2
	s_add_u32 s44, s42, s44
	s_addc_u32 s45, s43, s45
	s_waitcnt lgkmcnt(0)
	v_mfma_f32_16x16x16_bf16 a[0:3], v[10:11], v[16:17], a[0:3]
	s_and_b64 vcc, exec, s[0:1]
	v_mov_b32_e32 v98, 0
	v_mov_b32_e32 v97, 0
	;; [unrolled: 1-line block ×19, first 2 shown]
	s_cbranch_vccnz .LBB670_12
; %bb.11:                               ;   in Loop: Header=BB670_6 Depth=1
	s_and_b32 s21, s21, 0xffff
	buffer_load_dwordx4 v[22:25], v67, s[20:23], 0 offen
	buffer_load_dwordx4 v[18:21], v67, s[20:23], s59 offen
	;; [unrolled: 1-line block ×4, first 2 shown]
	v_mov_b32_e32 v97, v69
	v_mov_b32_e32 v96, v70
.LBB670_12:                             ;   in Loop: Header=BB670_6 Depth=1
	v_add_u32_e32 v32, s60, v85
	v_ashrrev_i32_e32 v26, 31, v32
	v_mul_lo_u32 v28, v26, s34
	v_mul_lo_u32 v29, v32, s35
	v_mad_u64_u32 v[26:27], s[20:21], v32, s34, 0
	v_add3_u32 v27, v27, v29, v28
	v_add_u32_e32 v28, 1, v32
	v_ashrrev_i32_e32 v29, 31, v28
	v_mul_lo_u32 v30, v29, s34
	v_mul_lo_u32 v31, v28, s35
	v_mad_u64_u32 v[28:29], s[20:21], v28, s34, 0
	v_add3_u32 v29, v29, v31, v30
	v_add_u32_e32 v30, 2, v32
	v_ashrrev_i32_e32 v31, 31, v30
	v_mul_lo_u32 v33, v31, s34
	v_mul_lo_u32 v34, v30, s35
	v_mad_u64_u32 v[30:31], s[20:21], v30, s34, 0
	v_add_u32_e32 v32, 3, v32
	v_add3_u32 v31, v31, v34, v33
	v_ashrrev_i32_e32 v33, 31, v32
	v_mul_lo_u32 v36, v33, s34
	v_mul_lo_u32 v37, v32, s35
	v_mad_u64_u32 v[32:33], s[20:21], v32, s34, 0
	s_add_u32 s20, s40, s60
	s_addc_u32 s21, s41, 0
	s_lshl_b64 s[20:21], s[20:21], 8
	v_lshl_add_u64 v[26:27], v[26:27], 2, s[42:43]
	v_lshl_add_u64 v[34:35], v[56:57], 0, s[20:21]
	;; [unrolled: 1-line block ×3, first 2 shown]
	global_load_ushort v50, v[34:35], off
	global_load_ushort v51, v[34:35], off offset:256
	global_load_ushort v52, v[34:35], off offset:512
	;; [unrolled: 1-line block ×3, first 2 shown]
	v_add3_u32 v33, v33, v37, v36
	global_load_dword v101, v[26:27], off
	v_lshl_add_u64 v[30:31], v[30:31], 2, s[42:43]
	v_lshl_add_u64 v[26:27], v[32:33], 2, s[42:43]
	global_load_dword v102, v[28:29], off
	global_load_dword v103, v[30:31], off
	;; [unrolled: 1-line block ×3, first 2 shown]
	s_load_dword s20, s[44:45], 0x0
	ds_read2st64_b64 v[34:37], v80 offset1:1
	ds_read2st64_b64 v[40:43], v80 offset0:2 offset1:3
	ds_read_b64 v[38:39], v75 offset:24576
	ds_read_b64 v[44:45], v77 offset:24576
	;; [unrolled: 1-line block ×4, first 2 shown]
	s_waitcnt lgkmcnt(0)
	v_mfma_f32_16x16x16_bf16 a[0:3], v[38:39], v[34:35], a[0:3]
	v_mov_b32_e32 v99, 0
	v_mov_b32_e32 v26, 0
	v_mov_b32_e32 v27, 0
	v_mfma_f32_16x16x16_bf16 a[0:3], v[44:45], v[36:37], a[0:3]
	v_mov_b32_e32 v28, 0
	v_mov_b32_e32 v29, 0
	v_mov_b32_e32 v30, 0
	;; [unrolled: 4-line block ×4, first 2 shown]
	v_mov_b32_e32 v37, 0
	v_mov_b32_e32 v38, 0
	v_mov_b32_e32 v39, 0
	v_mov_b32_e32 v40, 0
	v_accvgpr_read_b32 v45, a1
	v_accvgpr_read_b32 v43, a3
	;; [unrolled: 1-line block ×4, first 2 shown]
	s_and_b64 vcc, exec, s[0:1]
	s_waitcnt vmcnt(7)
	v_lshlrev_b32_e32 v46, 16, v50
	s_waitcnt vmcnt(6)
	v_lshlrev_b32_e32 v47, 16, v51
	;; [unrolled: 2-line block ×4, first 2 shown]
	v_pk_add_f32 v[44:45], v[46:47], v[44:45] neg_lo:[0,1] neg_hi:[0,1]
	s_waitcnt vmcnt(3)
	v_sub_f32_e32 v41, s20, v101
	v_exp_f32_e32 v50, v41
	s_waitcnt vmcnt(2)
	v_sub_f32_e32 v41, s20, v102
	s_waitcnt vmcnt(1)
	v_sub_f32_e32 v52, s20, v103
	;; [unrolled: 2-line block ×3, first 2 shown]
	v_exp_f32_e32 v51, v41
	v_exp_f32_e32 v100, v52
	;; [unrolled: 1-line block ×3, first 2 shown]
	v_pk_add_f32 v[42:43], v[48:49], v[42:43] neg_lo:[0,1] neg_hi:[0,1]
	v_pk_mul_f32 v[44:45], v[50:51], v[44:45]
	v_mov_b32_e32 v41, 0
	v_pk_mul_f32 v[42:43], v[100:101], v[42:43]
	s_nop 0
	v_perm_b32 v43, v43, v42, s37
	v_perm_b32 v42, v45, v44, s37
	ds_write_b64 v72, v[42:43]
	s_cbranch_vccnz .LBB670_14
; %bb.13:                               ;   in Loop: Header=BB670_6 Depth=1
	s_and_b32 s25, s25, 0xffff
	s_mov_b32 s27, s23
	buffer_load_dwordx4 v[38:41], v83, s[24:27], 0 offen
	buffer_load_dwordx4 v[30:33], v83, s[24:27], s59 offen
	buffer_load_dwordx4 v[34:37], v84, s[24:27], 0 offen
	buffer_load_dwordx4 v[26:29], v84, s[24:27], s59 offen
	v_mov_b32_e32 v98, v66
	v_mov_b32_e32 v99, v65
.LBB670_14:                             ;   in Loop: Header=BB670_6 Depth=1
	s_waitcnt lgkmcnt(0)
	s_barrier
	ds_read_b64 v[42:43], v87
	ds_read_b64 v[48:49], v88
	ds_read2st64_b64 v[44:47], v80 offset1:1
	ds_read2st64_b64 v[100:103], v80 offset0:2 offset1:3
	ds_read_b64 v[50:51], v89
	ds_read_b64 v[108:109], v90
	s_add_i32 s21, s53, s65
	s_mul_hi_i32 s25, s21, s13
	s_mul_i32 s21, s21, s13
	s_waitcnt lgkmcnt(3)
	v_mfma_f32_16x16x16_bf16 a[0:3], v[42:43], v[44:45], 0
	ds_read_b64 v[42:43], v92
	s_add_u32 s24, s21, s33
	s_addc_u32 s25, s25, s57
	s_add_i32 s21, s3, s60
	v_mfma_f32_16x16x16_bf16 a[0:3], v[48:49], v[46:47], a[0:3]
	ds_read_b64 v[48:49], v93
	s_lshl_b64 s[24:25], s[24:25], 15
	s_mul_hi_i32 s27, s21, s13
	s_mul_i32 s21, s21, s13
	s_add_u32 s44, s21, s33
	s_addc_u32 s45, s27, s57
	s_lshl_b64 s[44:45], s[44:45], 9
	s_add_u32 s44, s30, s44
	s_waitcnt lgkmcnt(1)
	v_mfma_f32_16x16x16_bf16 a[4:7], v[42:43], v[44:45], 0
	s_addc_u32 s45, s31, s45
	s_and_b64 vcc, exec, s[0:1]
	v_mfma_f32_16x16x16_bf16 a[0:3], v[50:51], v[100:101], a[0:3]
	ds_read_b64 v[50:51], v94
	ds_read_b64 v[110:111], v95
	global_load_dwordx4 v[42:45], v91, s[44:45]
	s_waitcnt lgkmcnt(2)
	v_mfma_f32_16x16x16_bf16 a[4:7], v[48:49], v[46:47], a[4:7]
	global_load_dwordx4 v[46:49], v86, s[44:45]
	ds_read_b64 v[104:105], v81
	ds_read_b64 v[106:107], v82
	s_waitcnt lgkmcnt(3)
	v_mfma_f32_16x16x16_bf16 a[8:11], v[50:51], v[100:101], a[4:7]
	v_lshl_add_u64 v[50:51], v[54:55], 0, s[24:25]
	s_waitcnt lgkmcnt(0)
	global_store_dwordx4 v[50:51], v[104:107], off
	v_mfma_f32_16x16x16_bf16 a[4:7], v[108:109], v[102:103], a[0:3]
	s_waitcnt vmcnt(2)
	v_mov_b32_e32 v52, v45
	v_mfma_f32_16x16x16_bf16 a[0:3], v[110:111], v[102:103], a[8:11]
	v_mov_b32_e32 v51, v44
	v_mov_b32_e32 v50, v43
	s_cbranch_vccnz .LBB670_16
; %bb.15:                               ;   in Loop: Header=BB670_6 Depth=1
	v_lshrrev_b32_e32 v43, 3, v98
	v_and_b32_e32 v43, 6, v43
	v_xor_b32_e32 v44, v43, v99
	v_lshlrev_b32_e32 v44, 2, v44
	v_and_b32_e32 v45, 8, v98
	v_xor_b32_e32 v98, 0x440, v44
	v_cmp_eq_u32_e32 vcc, 0, v45
	v_perm_b32 v45, v30, v26, s61
	s_nop 0
	v_cndmask_b32_e32 v44, v98, v44, vcc
	v_lshl_or_b32 v43, v43, 10, v44
	v_perm_b32 v44, v38, v34, s61
	s_barrier
	ds_write2st64_b32 v43, v44, v45 offset1:32
	v_xor_b32_e32 v44, 8, v43
	v_perm_b32 v34, v38, v34, s62
	v_perm_b32 v26, v30, v26, s62
	v_add_u32_e32 v30, 0x80, v44
	ds_write2st64_b32 v30, v34, v26 offset1:32
	v_xor_b32_e32 v26, 16, v43
	v_perm_b32 v30, v39, v35, s61
	v_perm_b32 v34, v31, v27, s61
	ds_write2st64_b32 v26, v30, v34 offset0:1 offset1:33
	v_xor_b32_e32 v26, 24, v43
	v_perm_b32 v30, v39, v35, s62
	v_perm_b32 v27, v31, v27, s62
	v_add_u32_e32 v26, 0x80, v26
	ds_write2st64_b32 v26, v30, v27 offset0:1 offset1:33
	v_xor_b32_e32 v26, 32, v43
	v_perm_b32 v27, v40, v36, s61
	v_perm_b32 v30, v32, v28, s61
	ds_write2st64_b32 v26, v27, v30 offset0:2 offset1:34
	v_xor_b32_e32 v26, 40, v43
	v_perm_b32 v27, v40, v36, s62
	v_perm_b32 v28, v32, v28, s62
	v_add_u32_e32 v26, 0x80, v26
	ds_write2st64_b32 v26, v27, v28 offset0:2 offset1:34
	;; [unrolled: 9-line block ×3, first 2 shown]
	ds_write_b64 v97, v[22:23] offset:16384
	v_xor_b32_e32 v22, 8, v97
	ds_write_b64 v22, v[24:25] offset:16384
	ds_write_b64 v97, v[18:19] offset:24576
	;; [unrolled: 1-line block ×4, first 2 shown]
	v_xor_b32_e32 v14, 8, v96
	ds_write_b64 v14, v[16:17] offset:16384
	ds_write_b64 v96, v[10:11] offset:24576
	;; [unrolled: 1-line block ×3, first 2 shown]
.LBB670_16:                             ;   in Loop: Header=BB670_6 Depth=1
	v_exp_f32_e32 v18, s20
	s_waitcnt vmcnt(1)
	v_exp_f32_e32 v20, v46
	v_exp_f32_e32 v21, v47
	;; [unrolled: 1-line block ×4, first 2 shown]
	v_accvgpr_read_b32 v13, a7
	v_accvgpr_read_b32 v11, a5
	;; [unrolled: 1-line block ×3, first 2 shown]
	v_pk_mul_f32 v[20:21], v[18:19], v[20:21] op_sel_hi:[0,1]
	v_pk_fma_f32 v[2:3], v[2:3], v[20:21], v[10:11]
	v_exp_f32_e32 v20, v42
	v_exp_f32_e32 v21, v50
	v_pk_mul_f32 v[10:11], v[18:19], v[22:23] op_sel_hi:[0,1]
	v_exp_f32_e32 v22, v51
	v_exp_f32_e32 v23, v52
	v_accvgpr_read_b32 v12, a6
	v_accvgpr_read_b32 v17, a3
	;; [unrolled: 1-line block ×4, first 2 shown]
	v_pk_fma_f32 v[4:5], v[4:5], v[10:11], v[12:13]
	v_pk_mul_f32 v[10:11], v[18:19], v[20:21] op_sel_hi:[0,1]
	v_accvgpr_read_b32 v16, a2
	v_pk_fma_f32 v[6:7], v[6:7], v[10:11], v[14:15]
	v_pk_mul_f32 v[10:11], v[18:19], v[22:23] op_sel_hi:[0,1]
	s_add_i32 s60, s60, 64
	s_cmp_eq_u32 s51, s64
	v_pk_fma_f32 v[8:9], v[8:9], v[10:11], v[16:17]
	s_cbranch_scc1 .LBB670_18
; %bb.17:                               ;   in Loop: Header=BB670_6 Depth=1
	s_mov_b32 s65, s64
	s_branch .LBB670_6
.LBB670_18:
	s_lshl_b32 s44, s51, 6
	s_sub_i32 s45, s12, s44
	s_cmp_gt_i32 s45, 0
	v_or_b32_e32 v34, s2, v61
	s_cbranch_scc1 .LBB670_20
; %bb.19:
	s_ashr_i32 s0, s33, 31
	s_add_u32 s24, s48, s33
	s_addc_u32 s25, s54, s0
	v_or_b32_e32 v10, s2, v61
	s_cbranch_execz .LBB670_21
	s_branch .LBB670_77
.LBB670_20:
                                        ; implicit-def: $sgpr24_sgpr25
                                        ; implicit-def: $vgpr10
.LBB670_21:
	s_ashr_i32 s37, s50, 31
	s_ashr_i32 s3, s44, 31
	s_cmpk_lg_i32 s15, 0x80
	s_cselect_b64 s[40:41], -1, 0
	s_and_b64 vcc, exec, s[40:41]
	s_cbranch_vccz .LBB670_23
; %bb.22:
	s_mul_hi_i32 s0, s50, s12
	s_add_u32 s1, s46, s44
	s_addc_u32 s0, s0, s3
	s_mul_i32 s20, s1, s52
	s_mul_hi_u32 s21, s1, s14
	s_add_i32 s20, s21, s20
	s_mul_i32 s0, s0, s14
	s_add_i32 s20, s20, s0
	s_mul_i32 s1, s1, s14
	s_ashr_i32 s0, s55, 31
	s_add_u32 s42, s1, s55
	s_addc_u32 s43, s20, s0
	s_cbranch_execz .LBB670_24
	s_branch .LBB670_25
.LBB670_23:
                                        ; implicit-def: $sgpr42_sgpr43
.LBB670_24:
	s_mul_hi_i32 s0, s50, s14
	s_mul_i32 s50, s50, s14
	s_ashr_i32 s1, s55, 31
	s_add_u32 s14, s50, s55
	s_addc_u32 s0, s0, s1
	s_mul_i32 s1, s14, s49
	s_mul_hi_u32 s20, s14, s12
	s_add_i32 s1, s20, s1
	s_mul_i32 s0, s0, s12
	s_add_i32 s1, s1, s0
	s_mul_i32 s14, s14, s12
	s_add_u32 s42, s14, s44
	s_addc_u32 s43, s1, s3
.LBB670_25:
	s_add_i32 s20, s53, s51
	s_ashr_i32 s14, s33, 31
	s_add_u32 s24, s48, s33
	s_addc_u32 s25, s54, s14
	s_mul_i32 s0, s24, s49
	s_mul_hi_u32 s1, s24, s12
	s_add_i32 s0, s1, s0
	s_mul_i32 s1, s25, s12
	s_add_i32 s1, s0, s1
	s_mul_i32 s0, s24, s12
	s_add_u32 s0, s0, s44
	s_addc_u32 s1, s1, s3
	s_mov_b32 s3, 0x7060302
	v_lshlrev_b32_e32 v14, 3, v61
	s_lshl_b64 s[26:27], s[0:1], 8
	v_perm_b32 v11, v5, v4, s3
	v_perm_b32 v10, v3, v2, s3
	;; [unrolled: 1-line block ×4, first 2 shown]
	v_lshlrev_b32_e32 v44, 2, v61
	v_lshl_or_b32 v14, v1, 5, v14
	s_add_u32 s0, s6, s26
	ds_write2st64_b64 v14, v[10:11], v[12:13] offset0:72 offset1:76
	v_xor_b32_e32 v14, v1, v44
	v_lshlrev_b32_e32 v15, 8, v61
	s_addc_u32 s1, s7, s27
	v_lshl_or_b32 v14, v14, 1, v15
	s_mul_hi_i32 s3, s20, s13
	s_mul_i32 s20, s20, s13
	ds_write_b64 v14, v[10:11] offset:32768
	v_xor_b32_e32 v10, v64, v44
	s_add_u32 s6, s20, s33
	v_lshl_or_b32 v10, v10, 1, v15
	s_addc_u32 s7, s3, s14
	v_lshlrev_b32_e32 v11, 1, v61
	ds_write_b64 v10, v[12:13] offset:32768
	v_lshrrev_b32_e32 v10, 4, v0
	s_ashr_i32 s3, s2, 31
	s_lshl_b64 s[6:7], s[6:7], 15
	v_or_b32_e32 v12, 1, v11
	s_waitcnt lgkmcnt(0)
	s_add_u32 s6, s38, s6
	v_xor_b32_e32 v11, v10, v11
	v_xor_b32_e32 v12, v12, v10
	v_lshlrev_b32_e32 v14, 8, v10
	s_addc_u32 s7, s39, s7
	s_lshl_b64 s[2:3], s[2:3], 8
	v_lshl_or_b32 v10, v11, 3, v14
	v_lshl_or_b32 v12, v12, 3, v14
	s_barrier
	s_add_u32 s2, s6, s2
	ds_read_b64 v[10:11], v10 offset:32768
	ds_read_b64 v[12:13], v12 offset:32768
	s_addc_u32 s3, s7, s3
	v_mov_b32_e32 v15, 0
	s_cmp_lg_u32 s45, 64
	v_lshl_add_u64 v[16:17], s[2:3], 0, v[14:15]
	v_lshlrev_b32_e32 v14, 4, v61
	s_cselect_b64 s[6:7], -1, 0
	v_lshl_or_b32 v35, v53, 3, v63
	s_mov_b32 s20, 0
	v_lshl_add_u64 v[14:15], v[16:17], 0, v[14:15]
	v_or_b32_e32 v27, 32, v35
	v_and_b32_e32 v26, 56, v62
	s_and_b64 vcc, exec, s[6:7]
	s_waitcnt lgkmcnt(0)
	global_store_dwordx4 v[14:15], v[10:13], off
	s_cbranch_vccz .LBB670_31
; %bb.26:
	s_mov_b32 s21, s20
	s_mov_b32 s22, s20
	;; [unrolled: 1-line block ×3, first 2 shown]
	v_mov_b64_e32 v[14:15], s[20:21]
	v_mov_b64_e32 v[16:17], s[22:23]
	;; [unrolled: 1-line block ×3, first 2 shown]
	v_cmp_gt_i32_e32 vcc, s45, v35
	v_mov_b64_e32 v[12:13], v[16:17]
	s_and_saveexec_b64 s[2:3], vcc
	s_cbranch_execz .LBB670_28
; %bb.27:
	v_lshlrev_b32_e32 v10, 8, v35
	v_mov_b32_e32 v11, 0
	v_lshl_add_u64 v[12:13], s[0:1], 0, v[10:11]
	v_lshlrev_b32_e32 v10, 1, v26
	v_lshl_add_u64 v[18:19], v[12:13], 0, v[10:11]
	global_load_dwordx4 v[14:17], v[18:19], off
	global_load_dwordx4 v[10:13], v[18:19], off offset:128
.LBB670_28:
	s_or_b64 exec, exec, s[2:3]
	s_mov_b32 s22, s20
	s_mov_b32 s23, s20
	;; [unrolled: 1-line block ×3, first 2 shown]
	v_mov_b64_e32 v[24:25], s[22:23]
	v_mov_b64_e32 v[22:23], s[20:21]
	;; [unrolled: 1-line block ×3, first 2 shown]
	v_cmp_gt_i32_e32 vcc, s45, v27
	v_lshlrev_b32_e32 v28, 7, v27
	v_mov_b64_e32 v[20:21], v[24:25]
	s_and_saveexec_b64 s[2:3], vcc
	s_cbranch_execz .LBB670_30
; %bb.29:
	v_lshlrev_b32_e32 v18, 1, v28
	v_mov_b32_e32 v19, 0
	v_lshl_add_u64 v[20:21], s[0:1], 0, v[18:19]
	v_lshlrev_b32_e32 v18, 1, v26
	v_lshl_add_u64 v[30:31], v[20:21], 0, v[18:19]
	global_load_dwordx4 v[22:25], v[30:31], off
	global_load_dwordx4 v[18:21], v[30:31], off offset:128
.LBB670_30:
	s_or_b64 exec, exec, s[2:3]
	v_lshrrev_b32_e32 v29, 3, v26
	v_lshlrev_b32_e32 v30, 3, v35
	v_or_b32_e32 v29, v30, v29
	v_lshlrev_b32_e32 v29, 4, v29
	v_and_b32_e32 v30, 0x78, v30
	v_xor_b32_e32 v29, v29, v30
	s_branch .LBB670_33
.LBB670_31:
                                        ; implicit-def: $vgpr29
                                        ; implicit-def: $vgpr28
                                        ; implicit-def: $vgpr14_vgpr15_vgpr16_vgpr17
                                        ; implicit-def: $vgpr10_vgpr11_vgpr12_vgpr13
                                        ; implicit-def: $vgpr22_vgpr23_vgpr24_vgpr25
                                        ; implicit-def: $vgpr18_vgpr19_vgpr20_vgpr21
	s_cbranch_execz .LBB670_33
; %bb.32:
	s_waitcnt vmcnt(0)
	v_lshlrev_b32_e32 v10, 1, v26
	v_lshl_or_b32 v28, v35, 8, v10
	s_and_b32 s1, s1, 0xffff
	s_mov_b32 s3, 0x20000
	s_movk_i32 s2, 0x4000
	v_lshl_or_b32 v29, v27, 8, v10
	s_movk_i32 s20, 0x80
	buffer_load_dwordx4 v[14:17], v28, s[0:3], 0 offen
	buffer_load_dwordx4 v[10:13], v28, s[0:3], s20 offen
	;; [unrolled: 1-line block ×4, first 2 shown]
	v_lshrrev_b32_e32 v28, 3, v26
	v_lshlrev_b32_e32 v29, 3, v35
	v_or_b32_e32 v28, v29, v28
	v_lshlrev_b32_e32 v28, 4, v28
	v_and_b32_e32 v29, 0x78, v29
	v_xor_b32_e32 v29, v28, v29
	v_lshlrev_b32_e32 v28, 7, v27
.LBB670_33:
	s_lshl_b64 s[0:1], s[42:43], 8
	s_add_u32 s4, s4, s0
	s_movk_i32 s0, 0x1000
	v_and_or_b32 v27, v28, s0, v29
	s_waitcnt vmcnt(1)
	ds_write_b64 v29, v[14:15] offset:16384
	v_xor_b32_e32 v14, 8, v29
	s_addc_u32 s5, s5, s1
	ds_write_b64 v14, v[16:17] offset:16384
	s_waitcnt vmcnt(0)
	ds_write_b64 v29, v[10:11] offset:24576
	ds_write_b64 v14, v[12:13] offset:24576
	;; [unrolled: 1-line block ×3, first 2 shown]
	v_xor_b32_e32 v10, 8, v27
	s_add_i32 s20, s12, -1
	ds_write_b64 v10, v[24:25] offset:16384
	ds_write_b64 v27, v[18:19] offset:24576
	;; [unrolled: 1-line block ×3, first 2 shown]
	s_mul_i32 s3, s20, s35
	s_mul_hi_u32 s12, s20, s34
	v_or_b32_e32 v10, v58, v61
	s_add_i32 s3, s12, s3
	v_lshlrev_b32_e32 v10, 3, v10
	v_lshrrev_b32_e32 v12, 5, v59
	s_movk_i32 s12, 0xf8
	v_and_or_b32 v12, v10, s12, v12
	v_lshlrev_b32_e32 v45, 11, v53
	v_lshlrev_b32_e32 v20, 4, v12
	v_and_b32_e32 v21, 0x78, v10
	v_and_b32_e32 v22, 0x1000, v45
	v_lshlrev_b32_e32 v11, 2, v0
	v_xor_b32_e32 v10, v20, v21
	v_lshrrev_b32_e32 v12, 1, v59
	v_and_b32_e32 v11, 60, v11
	v_or_b32_e32 v10, v10, v22
	v_and_b32_e32 v23, 8, v12
	v_xor_b32_e32 v36, v10, v23
	v_lshl_or_b32 v10, v60, 6, v11
	v_lshlrev_b32_e32 v46, 1, v10
	v_or_b32_e32 v10, 32, v20
	v_xor_b32_e32 v10, v10, v21
	s_waitcnt lgkmcnt(0)
	s_barrier
	ds_read_b64 v[18:19], v36 offset:16384
	v_or_b32_e32 v10, v10, v22
	v_xor_b32_e32 v37, v10, v23
	v_or_b32_e32 v10, 64, v20
	v_xor_b32_e32 v10, v10, v21
	v_or_b32_e32 v10, v10, v22
	v_or_b32_e32 v20, 0x60, v20
	v_xor_b32_e32 v38, v10, v23
	ds_read2st64_b64 v[10:13], v46 offset0:72 offset1:73
	ds_read2st64_b64 v[14:17], v46 offset0:74 offset1:75
	v_xor_b32_e32 v24, v20, v21
	ds_read_b64 v[20:21], v37 offset:16384
	s_waitcnt lgkmcnt(2)
	v_mfma_f32_16x16x16_bf16 a[0:3], v[18:19], v[10:11], 0
	s_add_i32 s0, s47, s17
	s_mul_i32 s37, s37, s16
	s_add_i32 s37, s0, s37
	s_mul_i32 s0, s33, s19
	s_mul_hi_u32 s1, s33, s18
	s_ashr_i32 s2, s20, 31
	s_add_i32 s0, s1, s0
	s_mul_i32 s1, s14, s18
	s_mul_i32 s2, s2, s34
	v_or_b32_e32 v22, v24, v22
	s_add_i32 s1, s0, s1
	s_add_i32 s3, s3, s2
	s_lshl_b64 s[16:17], s[36:37], 2
	v_xor_b32_e32 v47, v22, v23
	ds_read_b64 v[22:23], v38 offset:16384
	ds_read_b64 v[24:25], v47 offset:16384
	s_waitcnt lgkmcnt(2)
	v_mfma_f32_16x16x16_bf16 a[0:3], v[20:21], v[12:13], a[0:3]
	s_mul_i32 s0, s33, s18
	s_add_u32 s10, s10, s16
	s_addc_u32 s11, s11, s17
	s_lshl_b64 s[0:1], s[0:1], 2
	s_mul_i32 s2, s20, s34
	s_add_u32 s10, s10, s0
	s_addc_u32 s11, s11, s1
	s_lshl_b64 s[0:1], s[2:3], 2
	s_waitcnt lgkmcnt(1)
	v_mfma_f32_16x16x16_bf16 a[0:3], v[22:23], v[14:15], a[0:3]
	s_add_u32 s0, s10, s0
	s_addc_u32 s1, s11, s1
	s_load_dword s12, s[0:1], 0x0
	s_waitcnt lgkmcnt(0)
	v_mfma_f32_16x16x16_bf16 a[0:3], v[24:25], v[16:17], a[0:3]
	s_and_b64 vcc, exec, s[40:41]
	s_cbranch_vccz .LBB670_44
; %bb.34:
	v_lshlrev_b32_e32 v27, 1, v35
	s_and_b64 vcc, exec, s[6:7]
	s_cbranch_vccz .LBB670_45
; %bb.35:
	v_cmp_gt_i32_e32 vcc, s45, v27
	v_mov_b32_e32 v14, 0
	v_mov_b32_e32 v10, 0
	;; [unrolled: 1-line block ×5, first 2 shown]
	s_and_saveexec_b64 s[0:1], vcc
	s_cbranch_execz .LBB670_37
; %bb.36:
	v_mad_i64_i32 v[10:11], s[2:3], s15, v27, 0
	v_lshl_add_u64 v[10:11], v[10:11], 1, s[4:5]
	v_lshlrev_b32_e32 v12, 1, v26
	v_mov_b32_e32 v13, 0
	v_lshl_add_u64 v[10:11], v[10:11], 0, v[12:13]
	global_load_dwordx4 v[10:13], v[10:11], off
.LBB670_37:
	s_or_b64 exec, exec, s[0:1]
	v_or_b32_e32 v28, 1, v27
	v_cmp_gt_i32_e64 s[0:1], s45, v28
	v_mov_b32_e32 v15, 0
	v_mov_b32_e32 v16, 0
	;; [unrolled: 1-line block ×3, first 2 shown]
	s_and_saveexec_b64 s[2:3], s[0:1]
	s_cbranch_execz .LBB670_39
; %bb.38:
	v_mad_i64_i32 v[14:15], s[16:17], s15, v28, 0
	v_lshl_add_u64 v[14:15], v[14:15], 1, s[4:5]
	v_lshlrev_b32_e32 v16, 1, v26
	v_mov_b32_e32 v17, 0
	v_lshl_add_u64 v[14:15], v[14:15], 0, v[16:17]
	global_load_dwordx4 v[14:17], v[14:15], off
.LBB670_39:
	s_or_b64 exec, exec, s[2:3]
	v_mov_b32_e32 v25, 0
	v_mov_b32_e32 v18, 0
	;; [unrolled: 1-line block ×5, first 2 shown]
	s_and_saveexec_b64 s[2:3], vcc
	s_cbranch_execz .LBB670_41
; %bb.40:
	v_mad_i64_i32 v[18:19], s[16:17], s15, v27, 0
	v_lshl_add_u64 v[18:19], v[18:19], 1, s[4:5]
	v_lshlrev_b32_e32 v20, 1, v26
	v_mov_b32_e32 v21, 0
	v_lshl_add_u64 v[18:19], v[18:19], 0, v[20:21]
	global_load_dwordx4 v[18:21], v[18:19], off offset:128
.LBB670_41:
	s_or_b64 exec, exec, s[2:3]
	v_mov_b32_e32 v24, 0
	v_mov_b32_e32 v23, 0
	;; [unrolled: 1-line block ×3, first 2 shown]
	s_and_saveexec_b64 s[2:3], s[0:1]
	s_cbranch_execz .LBB670_43
; %bb.42:
	v_mad_i64_i32 v[22:23], s[0:1], s15, v28, 0
	v_lshl_add_u64 v[22:23], v[22:23], 1, s[4:5]
	v_lshlrev_b32_e32 v24, 1, v26
	v_mov_b32_e32 v25, 0
	v_lshl_add_u64 v[22:23], v[22:23], 0, v[24:25]
	global_load_dwordx4 v[22:25], v[22:23], off offset:128
.LBB670_43:
	s_or_b64 exec, exec, s[2:3]
	s_branch .LBB670_47
.LBB670_44:
                                        ; implicit-def: $vgpr13
                                        ; implicit-def: $vgpr17
                                        ; implicit-def: $vgpr21
                                        ; implicit-def: $vgpr25
	v_lshrrev_b32_e32 v27, 2, v59
	s_branch .LBB670_48
.LBB670_45:
                                        ; implicit-def: $vgpr13
                                        ; implicit-def: $vgpr17
                                        ; implicit-def: $vgpr21
                                        ; implicit-def: $vgpr25
	s_cbranch_execz .LBB670_47
; %bb.46:
	s_waitcnt vmcnt(0)
	v_mad_u64_u32 v[10:11], s[0:1], v27, s15, v[26:27]
	v_lshlrev_b32_e32 v27, 1, v10
	s_lshl_b32 s2, s15, 7
	s_and_b32 s1, s5, 0xffff
	s_mov_b32 s3, 0x20000
	s_mov_b32 s0, s4
	v_add_lshl_u32 v28, v10, s15, 1
	s_movk_i32 s15, 0x80
	buffer_load_dwordx4 v[10:13], v27, s[0:3], 0 offen
	buffer_load_dwordx4 v[18:21], v27, s[0:3], s15 offen
	;; [unrolled: 1-line block ×4, first 2 shown]
.LBB670_47:
	v_lshrrev_b32_e32 v27, 2, v59
	s_cbranch_execnz .LBB670_60
.LBB670_48:
	s_and_b64 vcc, exec, s[6:7]
	s_cbranch_vccz .LBB670_58
; %bb.49:
	s_waitcnt vmcnt(0)
	v_lshlrev_b32_e32 v15, 1, v35
	v_cmp_gt_i32_e32 vcc, s45, v15
	v_mov_b32_e32 v14, 0
	v_lshlrev_b32_e32 v22, 9, v35
	v_mov_b32_e32 v10, 0
	v_mov_b32_e32 v11, 0
	;; [unrolled: 1-line block ×4, first 2 shown]
	s_and_saveexec_b64 s[0:1], vcc
	s_cbranch_execz .LBB670_51
; %bb.50:
	v_mov_b32_e32 v23, 0
	v_lshl_add_u64 v[10:11], s[4:5], 0, v[22:23]
	v_lshlrev_b32_e32 v12, 1, v26
	v_mov_b32_e32 v13, v23
	v_lshl_add_u64 v[10:11], v[10:11], 0, v[12:13]
	global_load_dwordx4 v[10:13], v[10:11], off
.LBB670_51:
	s_or_b64 exec, exec, s[0:1]
	v_or_b32_e32 v15, 1, v15
	v_cmp_gt_i32_e64 s[0:1], s45, v15
	v_lshlrev_b32_e32 v28, 8, v15
	v_mov_b32_e32 v15, 0
	v_mov_b32_e32 v16, 0
	;; [unrolled: 1-line block ×3, first 2 shown]
	s_and_saveexec_b64 s[2:3], s[0:1]
	s_cbranch_execz .LBB670_53
; %bb.52:
	v_mov_b32_e32 v29, 0
	v_lshl_add_u64 v[14:15], s[4:5], 0, v[28:29]
	v_lshlrev_b32_e32 v16, 1, v26
	v_mov_b32_e32 v17, v29
	v_lshl_add_u64 v[14:15], v[14:15], 0, v[16:17]
	global_load_dwordx4 v[14:17], v[14:15], off
.LBB670_53:
	s_or_b64 exec, exec, s[2:3]
	v_mov_b32_e32 v25, 0
	v_mov_b32_e32 v18, 0
	;; [unrolled: 1-line block ×5, first 2 shown]
	s_and_saveexec_b64 s[2:3], vcc
	s_cbranch_execz .LBB670_55
; %bb.54:
	v_mov_b32_e32 v23, 0
	v_lshl_add_u64 v[18:19], s[4:5], 0, v[22:23]
	v_lshlrev_b32_e32 v22, 1, v26
	v_lshl_add_u64 v[18:19], v[18:19], 0, v[22:23]
	global_load_dwordx4 v[18:21], v[18:19], off offset:128
.LBB670_55:
	s_or_b64 exec, exec, s[2:3]
	v_mov_b32_e32 v24, 0
	v_mov_b32_e32 v23, 0
	;; [unrolled: 1-line block ×3, first 2 shown]
	s_and_saveexec_b64 s[2:3], s[0:1]
	s_cbranch_execz .LBB670_57
; %bb.56:
	v_mov_b32_e32 v29, 0
	v_lshl_add_u64 v[22:23], s[4:5], 0, v[28:29]
	v_lshlrev_b32_e32 v28, 1, v26
	v_lshl_add_u64 v[22:23], v[22:23], 0, v[28:29]
	global_load_dwordx4 v[22:25], v[22:23], off offset:128
.LBB670_57:
	s_or_b64 exec, exec, s[2:3]
	s_branch .LBB670_60
.LBB670_58:
                                        ; implicit-def: $vgpr13
                                        ; implicit-def: $vgpr17
                                        ; implicit-def: $vgpr21
                                        ; implicit-def: $vgpr25
	s_cbranch_execz .LBB670_60
; %bb.59:
	s_waitcnt vmcnt(0)
	v_lshlrev_b32_e32 v10, 1, v26
	v_lshl_or_b32 v26, v35, 9, v10
	s_and_b32 s5, s5, 0xffff
	s_mov_b32 s7, 0x20000
	s_movk_i32 s6, 0x4000
	s_movk_i32 s0, 0x80
	buffer_load_dwordx4 v[10:13], v26, s[4:7], 0 offen
	buffer_load_dwordx4 v[14:17], v26, s[4:7], 0 offen offset:256
	buffer_load_dwordx4 v[18:21], v26, s[4:7], s0 offen
	buffer_load_dwordx4 v[22:25], v26, s[4:7], s0 offen offset:256
.LBB670_60:
	v_and_b32_e32 v48, 12, v27
	ds_read2st64_b64 v[30:33], v46 offset0:76 offset1:77
	ds_read2st64_b64 v[26:29], v46 offset0:78 offset1:79
	ds_read_b64 v[40:41], v36 offset:24576
	ds_read_b64 v[42:43], v37 offset:24576
	;; [unrolled: 1-line block ×4, first 2 shown]
	v_and_b32_e32 v47, 6, v0
	v_xor_b32_e32 v35, v35, v47
	v_lshlrev_b32_e32 v35, 2, v35
	v_and_b32_e32 v49, 1, v0
	v_xor_b32_e32 v50, 0x440, v35
	v_cmp_eq_u32_e32 vcc, 0, v49
	s_mov_b32 s0, 0x1000504
	s_waitcnt vmcnt(0)
	v_perm_b32 v49, v18, v22, s0
	v_cndmask_b32_e32 v35, v50, v35, vcc
	v_lshl_or_b32 v35, v47, 10, v35
	v_perm_b32 v47, v10, v14, s0
	ds_write2st64_b32 v35, v47, v49 offset1:32
	v_xor_b32_e32 v47, 8, v35
	s_mov_b32 s1, 0x3020706
	v_perm_b32 v10, v10, v14, s1
	v_perm_b32 v14, v18, v22, s1
	v_add_u32_e32 v18, 0x80, v47
	ds_write2st64_b32 v18, v10, v14 offset1:32
	v_xor_b32_e32 v10, 16, v35
	v_perm_b32 v14, v11, v15, s0
	v_perm_b32 v18, v19, v23, s0
	ds_write2st64_b32 v10, v14, v18 offset0:1 offset1:33
	v_xor_b32_e32 v10, 24, v35
	v_perm_b32 v11, v11, v15, s1
	v_perm_b32 v14, v19, v23, s1
	v_add_u32_e32 v10, 0x80, v10
	ds_write2st64_b32 v10, v11, v14 offset0:1 offset1:33
	v_xor_b32_e32 v10, 32, v35
	v_perm_b32 v11, v12, v16, s0
	v_perm_b32 v14, v20, v24, s0
	ds_write2st64_b32 v10, v11, v14 offset0:2 offset1:34
	v_xor_b32_e32 v10, 40, v35
	v_perm_b32 v11, v12, v16, s1
	v_perm_b32 v12, v20, v24, s1
	v_add_u32_e32 v10, 0x80, v10
	ds_write2st64_b32 v10, v11, v12 offset0:2 offset1:34
	v_xor_b32_e32 v10, 48, v35
	v_perm_b32 v11, v13, v17, s0
	v_perm_b32 v12, v21, v25, s0
	ds_write2st64_b32 v10, v11, v12 offset0:3 offset1:35
	v_xor_b32_e32 v10, 56, v35
	v_or_b32_e32 v16, v48, v58
	v_perm_b32 v11, v13, v17, s1
	v_perm_b32 v12, v21, v25, s1
	v_add_u32_e32 v10, 0x80, v10
	v_cmp_gt_i32_e32 vcc, s45, v16
	v_mov_b32_e32 v17, 0
	v_mov_b32_e32 v21, 0
	ds_write2st64_b32 v10, v11, v12 offset0:3 offset1:35
	s_and_saveexec_b64 s[0:1], vcc
	s_cbranch_execz .LBB670_62
; %bb.61:
	v_add_u32_e32 v10, s44, v16
	v_ashrrev_i32_e32 v11, 31, v10
	v_mul_lo_u32 v12, v11, s34
	v_mul_lo_u32 v13, v10, s35
	v_mad_u64_u32 v[10:11], s[2:3], v10, s34, 0
	v_add3_u32 v11, v11, v13, v12
	v_lshl_add_u64 v[10:11], v[10:11], 2, s[10:11]
	global_load_dword v10, v[10:11], off
	s_waitcnt vmcnt(0)
	v_sub_f32_e32 v10, s12, v10
	v_exp_f32_e32 v21, v10
.LBB670_62:
	s_or_b64 exec, exec, s[0:1]
	v_or_b32_e32 v19, 1, v16
	v_cmp_gt_i32_e64 s[0:1], s45, v19
	s_and_saveexec_b64 s[2:3], s[0:1]
	s_cbranch_execz .LBB670_64
; %bb.63:
	v_add_u32_e32 v10, s44, v19
	v_ashrrev_i32_e32 v11, 31, v10
	v_mul_lo_u32 v12, v11, s34
	v_mul_lo_u32 v13, v10, s35
	v_mad_u64_u32 v[10:11], s[4:5], v10, s34, 0
	v_add3_u32 v11, v11, v13, v12
	v_lshl_add_u64 v[10:11], v[10:11], 2, s[10:11]
	global_load_dword v10, v[10:11], off
	s_waitcnt vmcnt(0)
	v_sub_f32_e32 v10, s12, v10
	v_exp_f32_e32 v17, v10
.LBB670_64:
	s_or_b64 exec, exec, s[2:3]
	v_or_b32_e32 v20, 2, v16
	v_cmp_gt_i32_e64 s[2:3], s45, v20
	v_mov_b32_e32 v18, 0
	v_mov_b32_e32 v23, 0
	s_and_saveexec_b64 s[4:5], s[2:3]
	s_cbranch_execz .LBB670_66
; %bb.65:
	v_add_u32_e32 v10, s44, v20
	v_ashrrev_i32_e32 v11, 31, v10
	v_mul_lo_u32 v12, v11, s34
	v_mul_lo_u32 v13, v10, s35
	v_mad_u64_u32 v[10:11], s[6:7], v10, s34, 0
	v_add3_u32 v11, v11, v13, v12
	v_lshl_add_u64 v[10:11], v[10:11], 2, s[10:11]
	global_load_dword v10, v[10:11], off
	s_waitcnt vmcnt(0)
	v_sub_f32_e32 v10, s12, v10
	v_exp_f32_e32 v23, v10
.LBB670_66:
	s_or_b64 exec, exec, s[4:5]
	v_or_b32_e32 v22, 3, v16
	v_cmp_gt_i32_e64 s[4:5], s45, v22
	s_and_saveexec_b64 s[6:7], s[4:5]
	s_cbranch_execz .LBB670_68
; %bb.67:
	v_add_u32_e32 v10, s44, v22
	v_ashrrev_i32_e32 v11, 31, v10
	v_mul_lo_u32 v12, v11, s34
	v_mul_lo_u32 v13, v10, s35
	v_mad_u64_u32 v[10:11], s[16:17], v10, s34, 0
	v_add3_u32 v11, v11, v13, v12
	v_lshl_add_u64 v[10:11], v[10:11], 2, s[10:11]
	global_load_dword v10, v[10:11], off
	s_waitcnt vmcnt(0)
	v_sub_f32_e32 v10, s12, v10
	v_exp_f32_e32 v18, v10
.LBB670_68:
	s_or_b64 exec, exec, s[6:7]
	s_waitcnt lgkmcnt(11)
	v_mfma_f32_16x16x16_bf16 a[0:3], v[40:41], v[30:31], a[0:3]
	s_add_u32 s6, s8, s26
	v_ashrrev_i32_e32 v35, 31, v34
	s_addc_u32 s7, s9, s27
	s_waitcnt lgkmcnt(10)
	v_mfma_f32_16x16x16_bf16 a[0:3], v[42:43], v[32:33], a[0:3]
	v_mov_b32_e32 v24, 0
	v_lshl_add_u64 v[14:15], v[34:35], 1, s[6:7]
	v_mov_b32_e32 v25, 0
	s_waitcnt lgkmcnt(9)
	v_mfma_f32_16x16x16_bf16 a[0:3], v[38:39], v[26:27], a[0:3]
	s_waitcnt lgkmcnt(8)
	v_mfma_f32_16x16x16_bf16 a[0:3], v[36:37], v[28:29], a[0:3]
	s_nop 6
	v_accvgpr_read_b32 v13, a3
	v_accvgpr_read_b32 v12, a2
	;; [unrolled: 1-line block ×4, first 2 shown]
	s_and_saveexec_b64 s[6:7], vcc
	s_cbranch_execz .LBB670_70
; %bb.69:
	v_lshlrev_b32_e32 v26, 8, v16
	v_mov_b32_e32 v27, 0
	v_lshl_add_u64 v[26:27], v[14:15], 0, v[26:27]
	global_load_ushort v25, v[26:27], off
	s_waitcnt vmcnt(0)
	v_lshlrev_b32_e32 v25, 16, v25
	v_sub_f32_e32 v10, v25, v10
	v_mul_f32_e32 v10, v21, v10
	v_lshrrev_b32_e32 v25, 16, v10
.LBB670_70:
	s_or_b64 exec, exec, s[6:7]
	s_and_saveexec_b64 s[6:7], s[0:1]
	s_cbranch_execz .LBB670_72
; %bb.71:
	v_lshlrev_b32_e32 v26, 8, v19
	v_mov_b32_e32 v27, 0
	v_lshl_add_u64 v[26:27], v[14:15], 0, v[26:27]
	global_load_ushort v10, v[26:27], off
	s_waitcnt vmcnt(0)
	v_lshlrev_b32_e32 v10, 16, v10
	v_sub_f32_e32 v10, v10, v11
	v_mul_f32_e32 v10, v17, v10
	v_lshrrev_b32_e32 v24, 16, v10
.LBB670_72:
	s_or_b64 exec, exec, s[6:7]
	v_mov_b32_e32 v11, 0
	v_mov_b32_e32 v17, 0
	s_and_saveexec_b64 s[0:1], s[2:3]
	s_cbranch_execz .LBB670_74
; %bb.73:
	v_lshlrev_b32_e32 v20, 8, v20
	v_mov_b32_e32 v21, 0
	v_lshl_add_u64 v[20:21], v[14:15], 0, v[20:21]
	global_load_ushort v10, v[20:21], off
	s_waitcnt vmcnt(0)
	v_lshlrev_b32_e32 v10, 16, v10
	v_sub_f32_e32 v10, v10, v12
	v_mul_f32_e32 v10, v23, v10
	v_lshrrev_b32_e32 v17, 16, v10
.LBB670_74:
	s_or_b64 exec, exec, s[0:1]
	v_or_b32_e32 v10, 0x9800, v46
	s_and_saveexec_b64 s[0:1], s[4:5]
	s_cbranch_execz .LBB670_76
; %bb.75:
	v_lshlrev_b32_e32 v20, 8, v22
	v_mov_b32_e32 v21, 0
	v_lshl_add_u64 v[14:15], v[14:15], 0, v[20:21]
	global_load_ushort v11, v[14:15], off
	s_waitcnt vmcnt(0)
	v_lshlrev_b32_e32 v11, 16, v11
	v_sub_f32_e32 v11, v11, v13
	v_mul_f32_e32 v11, v18, v11
	v_lshrrev_b32_e32 v11, 16, v11
.LBB670_76:
	s_or_b64 exec, exec, s[0:1]
	s_mov_b32 s0, 0x5040100
	v_perm_b32 v13, v11, v17, s0
	v_lshlrev_b32_e32 v11, 1, v44
	v_perm_b32 v12, v24, v25, s0
	v_lshl_or_b32 v11, v16, 5, v11
	s_movk_i32 s2, 0xff
	ds_write_b64 v11, v[12:13] offset:38912
	v_and_b32_e32 v11, 7, v0
	v_cmp_lt_u32_e32 vcc, s2, v0
	v_and_b32_e32 v12, 8, v0
	v_lshlrev_b32_e32 v17, 3, v11
	v_lshlrev_b32_e32 v30, 7, v11
	v_cndmask_b32_e64 v11, 0, 1, vcc
	v_lshrrev_b32_e32 v0, 1, v0
	v_lshlrev_b32_e32 v24, 13, v11
	v_lshlrev_b32_e32 v11, 3, v53
	v_and_b32_e32 v0, 24, v0
	v_xor_b32_e32 v13, v11, v0
	v_or_b32_e32 v14, 0x440, v13
	v_cmp_eq_u32_e32 vcc, 0, v12
	s_waitcnt lgkmcnt(0)
	s_barrier
	v_cndmask_b32_e32 v12, v14, v13, vcc
	v_or_b32_e32 v12, v12, v45
	v_xor_b32_e32 v31, v12, v17
	v_or_b32_e32 v12, 32, v0
	v_xor_b32_e32 v12, v11, v12
	v_or_b32_e32 v13, 0x440, v12
	v_cndmask_b32_e32 v12, v13, v12, vcc
	v_or_b32_e32 v12, v12, v45
	v_xor_b32_e32 v32, v12, v17
	v_or_b32_e32 v12, 64, v0
	v_xor_b32_e32 v12, v11, v12
	v_xor_b32_e32 v13, 0x440, v12
	v_cndmask_b32_e32 v12, v13, v12, vcc
	v_add3_u32 v22, v24, v31, v30
	v_or_b32_e32 v12, v12, v45
	v_or_b32_e32 v0, 0x60, v0
	v_xor_b32_e32 v33, v12, v17
	ds_read2st64_b64 v[12:15], v10 offset1:1
	ds_read2st64_b64 v[18:21], v10 offset0:2 offset1:3
	v_xor_b32_e32 v0, v11, v0
	ds_read_b64 v[10:11], v22
	v_add3_u32 v23, v24, v32, v30
	v_xor_b32_e32 v22, 0x440, v0
	v_cndmask_b32_e32 v0, v22, v0, vcc
	ds_read_b64 v[22:23], v23
	s_add_i32 s0, s20, s46
	s_mul_hi_i32 s1, s0, s13
	s_mul_i32 s0, s0, s13
	s_add_u32 s0, s0, s33
	s_waitcnt lgkmcnt(1)
	v_mfma_f32_16x16x16_bf16 a[0:3], v[10:11], v[12:13], 0
	s_addc_u32 s1, s1, s14
	s_lshl_b64 s[0:1], s[0:1], 9
	v_or_b32_e32 v0, v0, v45
	s_add_u32 s0, s30, s0
	v_add3_u32 v25, v24, v33, v30
	v_xor_b32_e32 v0, v0, v17
	s_addc_u32 s1, s31, s1
	v_lshlrev_b32_e32 v10, 2, v16
	v_add3_u32 v17, v24, v0, v30
	ds_read_b64 v[26:27], v25
	ds_read_b64 v[28:29], v17
	s_waitcnt lgkmcnt(2)
	v_mfma_f32_16x16x16_bf16 a[0:3], v[22:23], v[14:15], a[0:3]
	global_load_dwordx4 v[22:25], v10, s[0:1]
	v_add_u32_e32 v10, v31, v30
	ds_read_b64 v[10:11], v10 offset:8192
	v_lshlrev_b32_e32 v16, 6, v53
	v_lshlrev_b32_e32 v17, 2, v48
	s_movk_i32 s2, 0x100
	s_waitcnt lgkmcnt(2)
	v_mfma_f32_16x16x16_bf16 a[0:3], v[26:27], v[18:19], a[0:3]
	v_or3_b32 v35, v16, v17, s2
	v_add_u32_e32 v16, v32, v30
	v_add_u32_e32 v26, v33, v30
	;; [unrolled: 1-line block ×3, first 2 shown]
	ds_read_b64 v[16:17], v16 offset:8192
	ds_read_b64 v[26:27], v26 offset:8192
	;; [unrolled: 1-line block ×3, first 2 shown]
	s_waitcnt lgkmcnt(3)
	v_mfma_f32_16x16x16_bf16 a[4:7], v[10:11], v[12:13], 0
	global_load_dwordx4 v[10:13], v35, s[0:1]
	v_exp_f32_e32 v0, s12
	s_waitcnt vmcnt(1)
	v_exp_f32_e32 v22, v22
	v_mfma_f32_16x16x16_bf16 a[0:3], v[28:29], v[20:21], a[0:3]
	v_exp_f32_e32 v23, v23
	v_exp_f32_e32 v24, v24
	;; [unrolled: 1-line block ×3, first 2 shown]
	v_pk_mul_f32 v[22:23], v[0:1], v[22:23] op_sel_hi:[0,1]
	v_pk_mul_f32 v[24:25], v[0:1], v[24:25] op_sel_hi:[0,1]
	s_nop 1
	v_accvgpr_read_b32 v33, a1
	v_accvgpr_read_b32 v29, a3
	;; [unrolled: 1-line block ×4, first 2 shown]
	s_waitcnt lgkmcnt(2)
	v_mfma_f32_16x16x16_bf16 a[0:3], v[16:17], v[14:15], a[4:7]
	s_waitcnt vmcnt(0)
	v_mov_b32_e32 v14, v13
	v_mov_b32_e32 v13, v12
	;; [unrolled: 1-line block ×3, first 2 shown]
	s_waitcnt lgkmcnt(1)
	v_mfma_f32_16x16x16_bf16 a[0:3], v[26:27], v[18:19], a[0:3]
	v_exp_f32_e32 v10, v10
	v_exp_f32_e32 v11, v12
	;; [unrolled: 1-line block ×3, first 2 shown]
	s_waitcnt lgkmcnt(0)
	v_mfma_f32_16x16x16_bf16 a[0:3], v[30:31], v[20:21], a[0:3]
	v_exp_f32_e32 v13, v14
	v_pk_mul_f32 v[10:11], v[0:1], v[10:11] op_sel_hi:[0,1]
	v_pk_fma_f32 v[2:3], v[2:3], v[22:23], v[32:33]
	v_pk_fma_f32 v[4:5], v[4:5], v[24:25], v[28:29]
	s_nop 2
	v_accvgpr_read_b32 v17, a1
	v_accvgpr_read_b32 v16, a0
	v_accvgpr_read_b32 v15, a3
	v_accvgpr_read_b32 v14, a2
	v_pk_fma_f32 v[6:7], v[6:7], v[10:11], v[16:17]
	v_pk_mul_f32 v[10:11], v[0:1], v[12:13] op_sel_hi:[0,1]
	v_pk_fma_f32 v[8:9], v[8:9], v[10:11], v[14:15]
	v_mov_b32_e32 v10, v34
.LBB670_77:
	s_lshl_b64 s[0:1], s[24:25], 16
	s_waitcnt lgkmcnt(0)
	s_add_u32 s0, s28, s0
	v_lshlrev_b32_e32 v10, 7, v10
	s_addc_u32 s1, s29, s1
	v_ashrrev_i32_e32 v11, 31, v10
	v_lshl_add_u64 v[10:11], v[10:11], 2, s[0:1]
	v_lshlrev_b32_e32 v0, 2, v1
	v_mov_b32_e32 v1, 0
	v_lshl_add_u64 v[0:1], v[10:11], 0, v[0:1]
	global_store_dwordx4 v[0:1], v[2:5], off
	global_store_dwordx4 v[0:1], v[6:9], off offset:256
	s_endpgm
	.section	.rodata,"a",@progbits
	.p2align	6, 0x0
	.amdhsa_kernel _ZN12_GLOBAL__N_139chunk_gated_delta_rule_fwd_h_hip_kernelILi16ELb0ELb1ELb0ELb0ELb1ELb1ELb0ELb0EEEvPK12hip_bfloat16S3_S3_PKfS5_PKvPS1_S8_PvPKiSB_iiiiilll
		.amdhsa_group_segment_fixed_size 40960
		.amdhsa_private_segment_fixed_size 0
		.amdhsa_kernarg_size 136
		.amdhsa_user_sgpr_count 2
		.amdhsa_user_sgpr_dispatch_ptr 0
		.amdhsa_user_sgpr_queue_ptr 0
		.amdhsa_user_sgpr_kernarg_segment_ptr 1
		.amdhsa_user_sgpr_dispatch_id 0
		.amdhsa_user_sgpr_kernarg_preload_length 0
		.amdhsa_user_sgpr_kernarg_preload_offset 0
		.amdhsa_user_sgpr_private_segment_size 0
		.amdhsa_uses_dynamic_stack 0
		.amdhsa_enable_private_segment 0
		.amdhsa_system_sgpr_workgroup_id_x 1
		.amdhsa_system_sgpr_workgroup_id_y 1
		.amdhsa_system_sgpr_workgroup_id_z 0
		.amdhsa_system_sgpr_workgroup_info 0
		.amdhsa_system_vgpr_workitem_id 0
		.amdhsa_next_free_vgpr 124
		.amdhsa_next_free_sgpr 66
		.amdhsa_accum_offset 112
		.amdhsa_reserve_vcc 1
		.amdhsa_float_round_mode_32 0
		.amdhsa_float_round_mode_16_64 0
		.amdhsa_float_denorm_mode_32 3
		.amdhsa_float_denorm_mode_16_64 3
		.amdhsa_dx10_clamp 1
		.amdhsa_ieee_mode 1
		.amdhsa_fp16_overflow 0
		.amdhsa_tg_split 0
		.amdhsa_exception_fp_ieee_invalid_op 0
		.amdhsa_exception_fp_denorm_src 0
		.amdhsa_exception_fp_ieee_div_zero 0
		.amdhsa_exception_fp_ieee_overflow 0
		.amdhsa_exception_fp_ieee_underflow 0
		.amdhsa_exception_fp_ieee_inexact 0
		.amdhsa_exception_int_div_zero 0
	.end_amdhsa_kernel
	.section	.text._ZN12_GLOBAL__N_139chunk_gated_delta_rule_fwd_h_hip_kernelILi16ELb0ELb1ELb0ELb0ELb1ELb1ELb0ELb0EEEvPK12hip_bfloat16S3_S3_PKfS5_PKvPS1_S8_PvPKiSB_iiiiilll,"axG",@progbits,_ZN12_GLOBAL__N_139chunk_gated_delta_rule_fwd_h_hip_kernelILi16ELb0ELb1ELb0ELb0ELb1ELb1ELb0ELb0EEEvPK12hip_bfloat16S3_S3_PKfS5_PKvPS1_S8_PvPKiSB_iiiiilll,comdat
.Lfunc_end670:
	.size	_ZN12_GLOBAL__N_139chunk_gated_delta_rule_fwd_h_hip_kernelILi16ELb0ELb1ELb0ELb0ELb1ELb1ELb0ELb0EEEvPK12hip_bfloat16S3_S3_PKfS5_PKvPS1_S8_PvPKiSB_iiiiilll, .Lfunc_end670-_ZN12_GLOBAL__N_139chunk_gated_delta_rule_fwd_h_hip_kernelILi16ELb0ELb1ELb0ELb0ELb1ELb1ELb0ELb0EEEvPK12hip_bfloat16S3_S3_PKfS5_PKvPS1_S8_PvPKiSB_iiiiilll
                                        ; -- End function
	.section	.AMDGPU.csdata,"",@progbits
; Kernel info:
; codeLenInByte = 8076
; NumSgprs: 72
; NumVgprs: 112
; NumAgprs: 12
; TotalNumVgprs: 124
; ScratchSize: 0
; MemoryBound: 0
; FloatMode: 240
; IeeeMode: 1
; LDSByteSize: 40960 bytes/workgroup (compile time only)
; SGPRBlocks: 8
; VGPRBlocks: 15
; NumSGPRsForWavesPerEU: 72
; NumVGPRsForWavesPerEU: 124
; AccumOffset: 112
; Occupancy: 1
; WaveLimiterHint : 1
; COMPUTE_PGM_RSRC2:SCRATCH_EN: 0
; COMPUTE_PGM_RSRC2:USER_SGPR: 2
; COMPUTE_PGM_RSRC2:TRAP_HANDLER: 0
; COMPUTE_PGM_RSRC2:TGID_X_EN: 1
; COMPUTE_PGM_RSRC2:TGID_Y_EN: 1
; COMPUTE_PGM_RSRC2:TGID_Z_EN: 0
; COMPUTE_PGM_RSRC2:TIDIG_COMP_CNT: 0
; COMPUTE_PGM_RSRC3_GFX90A:ACCUM_OFFSET: 27
; COMPUTE_PGM_RSRC3_GFX90A:TG_SPLIT: 0
	.section	.text._ZN12_GLOBAL__N_139chunk_gated_delta_rule_fwd_h_hip_kernelILi16ELb0ELb0ELb1ELb0ELb1ELb1ELb0ELb0EEEvPK12hip_bfloat16S3_S3_PKfS5_PKvPS1_S8_PvPKiSB_iiiiilll,"axG",@progbits,_ZN12_GLOBAL__N_139chunk_gated_delta_rule_fwd_h_hip_kernelILi16ELb0ELb0ELb1ELb0ELb1ELb1ELb0ELb0EEEvPK12hip_bfloat16S3_S3_PKfS5_PKvPS1_S8_PvPKiSB_iiiiilll,comdat
	.globl	_ZN12_GLOBAL__N_139chunk_gated_delta_rule_fwd_h_hip_kernelILi16ELb0ELb0ELb1ELb0ELb1ELb1ELb0ELb0EEEvPK12hip_bfloat16S3_S3_PKfS5_PKvPS1_S8_PvPKiSB_iiiiilll ; -- Begin function _ZN12_GLOBAL__N_139chunk_gated_delta_rule_fwd_h_hip_kernelILi16ELb0ELb0ELb1ELb0ELb1ELb1ELb0ELb0EEEvPK12hip_bfloat16S3_S3_PKfS5_PKvPS1_S8_PvPKiSB_iiiiilll
	.p2align	8
	.type	_ZN12_GLOBAL__N_139chunk_gated_delta_rule_fwd_h_hip_kernelILi16ELb0ELb0ELb1ELb0ELb1ELb1ELb0ELb0EEEvPK12hip_bfloat16S3_S3_PKfS5_PKvPS1_S8_PvPKiSB_iiiiilll,@function
_ZN12_GLOBAL__N_139chunk_gated_delta_rule_fwd_h_hip_kernelILi16ELb0ELb0ELb1ELb0ELb1ELb1ELb0ELb0EEEvPK12hip_bfloat16S3_S3_PKfS5_PKvPS1_S8_PvPKiSB_iiiiilll: ; @_ZN12_GLOBAL__N_139chunk_gated_delta_rule_fwd_h_hip_kernelILi16ELb0ELb0ELb1ELb0ELb1ELb1ELb0ELb0EEEvPK12hip_bfloat16S3_S3_PKfS5_PKvPS1_S8_PvPKiSB_iiiiilll
; %bb.0:
	s_load_dwordx4 s[16:19], s[0:1], 0x5c
	s_load_dwordx4 s[12:15], s[0:1], 0x30
	s_abs_i32 s22, s3
	s_ashr_i32 s21, s3, 31
	s_load_dwordx8 s[4:11], s[0:1], 0x0
	s_waitcnt lgkmcnt(0)
	s_abs_i32 s20, s17
	v_cvt_f32_u32_e32 v1, s20
	s_sub_i32 s24, 0, s20
	s_ashr_i32 s23, s17, 31
	s_xor_b32 s21, s21, s23
	v_rcp_iflag_f32_e32 v1, v1
	v_lshrrev_b32_e32 v61, 6, v0
	v_bfe_u32 v62, v0, 4, 2
	v_lshlrev_b32_e32 v45, 4, v61
	v_mul_f32_e32 v1, 0x4f7ffffe, v1
	v_cvt_u32_f32_e32 v1, v1
	v_lshlrev_b32_e32 v2, 2, v62
	v_and_b32_e32 v60, 63, v0
	v_or_b32_e32 v65, v2, v45
	v_readfirstlane_b32 s25, v1
	s_mul_i32 s24, s24, s25
	s_mul_hi_u32 s24, s25, s24
	s_add_i32 s25, s25, s24
	s_mul_hi_u32 s24, s22, s25
	s_mul_i32 s25, s24, s20
	s_sub_i32 s22, s22, s25
	s_add_i32 s26, s24, 1
	s_sub_i32 s25, s22, s20
	s_cmp_ge_u32 s22, s20
	s_cselect_b32 s24, s26, s24
	s_cselect_b32 s22, s25, s22
	s_add_i32 s25, s24, 1
	s_cmp_ge_u32 s22, s20
	s_cselect_b32 s22, s25, s24
	s_abs_i32 s24, s18
	v_cvt_f32_u32_e32 v1, s24
	s_xor_b32 s22, s22, s21
	s_ashr_i32 s48, s16, 31
	s_sub_i32 s50, s22, s21
	v_rcp_iflag_f32_e32 v1, v1
	s_lshr_b32 s21, s48, 26
	s_add_i32 s21, s16, s21
	s_ashr_i32 s51, s18, 31
	v_mul_f32_e32 v1, 0x4f7ffffe, v1
	v_cvt_u32_f32_e32 v1, v1
	s_ashr_i32 s49, s21, 6
	s_xor_b32 s21, s23, s51
	s_sub_i32 s22, 0, s24
	v_readfirstlane_b32 s23, v1
	s_mul_i32 s22, s22, s23
	s_mul_hi_u32 s22, s23, s22
	s_add_i32 s23, s23, s22
	s_mul_hi_u32 s22, s20, s23
	s_mul_i32 s23, s22, s24
	s_mul_i32 s47, s50, s17
	s_sub_i32 s20, s20, s23
	s_sub_i32 s33, s3, s47
	s_add_i32 s3, s16, 63
	s_add_i32 s23, s22, 1
	s_sub_i32 s25, s20, s24
	s_cmp_ge_u32 s20, s24
	s_cselect_b32 s22, s23, s22
	s_cselect_b32 s20, s25, s20
	s_add_i32 s23, s22, 1
	s_cmp_ge_u32 s20, s24
	s_cselect_b32 s20, s23, s22
	s_xor_b32 s20, s20, s21
	s_sub_i32 s24, s20, s21
	s_abs_i32 s25, s24
	v_cvt_f32_u32_e32 v1, s25
	s_sub_i32 s27, 0, s25
	s_abs_i32 s26, s33
	s_xor_b32 s24, s33, s24
	v_rcp_iflag_f32_e32 v1, v1
	s_ashr_i32 s24, s24, 31
	s_load_dwordx2 s[34:35], s[0:1], 0x80
	s_load_dwordx4 s[20:23], s[0:1], 0x70
	v_mov_b32_e32 v49, 0
	v_mul_f32_e32 v1, 0x4f7ffffe, v1
	v_cvt_u32_f32_e32 v1, v1
	v_or_b32_e32 v66, 64, v65
	s_mul_hi_i32 s53, s50, s17
	v_lshrrev_b32_e32 v64, 3, v60
	v_readfirstlane_b32 s28, v1
	s_mul_i32 s27, s27, s28
	s_mul_hi_u32 s27, s28, s27
	s_add_i32 s28, s28, s27
	s_mul_hi_u32 s27, s26, s28
	s_mul_i32 s28, s27, s25
	s_sub_i32 s26, s26, s28
	s_add_i32 s28, s27, 1
	s_sub_i32 s29, s26, s25
	s_cmp_ge_u32 s26, s25
	s_cselect_b32 s27, s28, s27
	s_cselect_b32 s26, s29, s26
	s_add_i32 s28, s27, 1
	s_cmp_ge_u32 s26, s25
	s_cselect_b32 s25, s28, s27
	s_xor_b32 s25, s25, s24
	s_sub_i32 s54, s25, s24
	s_ashr_i32 s24, s3, 31
	s_lshr_b32 s24, s24, 26
	s_add_i32 s3, s3, s24
	s_ashr_i32 s3, s3, 6
	s_lshl_b32 s36, s2, 4
	s_mul_i32 s52, s50, s3
	v_and_b32_e32 v1, 15, v0
	s_cmp_lt_i32 s16, 64
	v_lshlrev_b32_e32 v63, 3, v0
	s_waitcnt lgkmcnt(0)
	s_mul_i32 s21, s50, s21
	s_mul_hi_u32 s46, s50, s20
	s_mul_i32 s38, s50, s20
	v_mov_b32_e32 v48, v49
	v_mov_b32_e32 v51, v49
	v_mov_b32_e32 v50, v49
	v_mov_b32_e32 v53, v49
	v_mov_b32_e32 v52, v49
	v_mov_b32_e32 v47, v49
	v_mov_b32_e32 v46, v49
	s_cbranch_scc1 .LBB671_18
; %bb.1:
	s_ashr_i32 s28, s50, 31
	s_ashr_i32 s56, s33, 31
	s_add_u32 s2, s47, s33
	s_addc_u32 s3, s53, s56
	s_mul_i32 s3, s16, s3
	s_mul_hi_u32 s24, s16, s2
	s_add_i32 s41, s24, s3
	s_mul_i32 s40, s16, s2
	s_lshl_b64 s[2:3], s[40:41], 8
	v_and_b32_e32 v68, 56, v63
	s_add_u32 s24, s6, s2
	v_lshl_or_b32 v67, v61, 3, v64
	v_lshlrev_b32_e32 v3, 1, v68
	s_addc_u32 s2, s7, s3
	v_lshl_or_b32 v69, v67, 8, v3
	s_and_b32 s25, s2, 0xffff
	s_mov_b32 s27, 0x20000
	s_movk_i32 s26, 0x4000
	s_movk_i32 s2, 0x80
	v_or_b32_e32 v70, 0x2000, v69
	buffer_load_dwordx4 v[4:7], v69, s[24:27], 0 offen
	buffer_load_dwordx4 v[8:11], v69, s[24:27], s2 offen
	;; [unrolled: 1-line block ×4, first 2 shown]
	v_lshlrev_b32_e32 v20, 3, v67
	v_and_or_b32 v22, v0, 7, v20
	v_and_b32_e32 v20, 0x78, v20
	v_lshlrev_b32_e32 v22, 4, v22
	v_xor_b32_e32 v71, v22, v20
	v_mul_lo_u32 v21, v67, s19
	v_or_b32_e32 v72, 0x1000, v71
	s_cmpk_eq_i32 s19, 0x80
	s_mov_b32 s55, s18
	v_xor_b32_e32 v20, 8, v71
	v_xor_b32_e32 v22, 8, v72
	s_cselect_b64 s[2:3], -1, 0
	s_cmpk_lg_i32 s19, 0x80
	s_waitcnt vmcnt(3)
	ds_write_b64 v71, v[4:5] offset:16384
	ds_write_b64 v20, v[6:7] offset:16384
	s_waitcnt vmcnt(2)
	ds_write_b64 v71, v[8:9] offset:24576
	ds_write_b64 v20, v[10:11] offset:24576
	;; [unrolled: 3-line block ×4, first 2 shown]
	v_lshl_add_u32 v4, v21, 1, v68
	s_cbranch_scc0 .LBB671_3
; %bb.2:
	v_lshlrev_b32_e32 v6, 1, v4
	v_add_lshl_u32 v5, v4, s19, 1
	s_lshl_b32 s26, s19, 7
	s_load_dwordx2 s[42:43], s[0:1], 0x20
	v_lshl_or_b32 v3, v67, 9, v3
	s_cbranch_execz .LBB671_4
	s_branch .LBB671_5
.LBB671_3:
                                        ; implicit-def: $vgpr5
                                        ; implicit-def: $vgpr6
                                        ; implicit-def: $sgpr26
	s_load_dwordx2 s[42:43], s[0:1], 0x20
	v_lshl_or_b32 v3, v67, 9, v3
.LBB671_4:
	v_or_b32_e32 v5, 0x100, v3
	s_movk_i32 s26, 0x4000
	v_mov_b32_e32 v6, v3
.LBB671_5:
	s_mul_hi_u32 s0, s18, s16
	s_mul_i32 s1, s51, s16
	s_add_i32 s0, s0, s1
	s_mul_i32 s1, s18, s16
	s_mul_i32 s24, s1, s28
	s_mul_hi_u32 s25, s1, s50
	s_add_i32 s24, s25, s24
	s_mul_i32 s0, s0, s50
	s_add_i32 s24, s24, s0
	s_mul_i32 s1, s1, s50
	s_ashr_i32 s57, s54, 31
	s_add_u32 s0, s1, s54
	s_addc_u32 s1, s24, s57
	s_lshl_b64 s[0:1], s[0:1], 8
	s_add_u32 s24, s4, s0
	s_addc_u32 s0, s5, s1
	s_and_b32 s25, s0, 0xffff
	s_movk_i32 s58, 0x80
	buffer_load_dwordx4 v[8:11], v6, s[24:27], 0 offen
	buffer_load_dwordx4 v[12:15], v6, s[24:27], s58 offen
	;; [unrolled: 1-line block ×4, first 2 shown]
	v_and_b32_e32 v5, 6, v0
	s_mul_i32 s0, s28, s16
	s_mul_hi_u32 s1, s50, s16
	v_lshlrev_b32_e32 v7, 2, v1
	v_lshlrev_b32_e32 v24, 3, v1
	v_xor_b32_e32 v26, v67, v5
	v_and_b32_e32 v6, 1, v0
	s_mul_i32 s28, s28, s20
	v_lshl_or_b32 v24, v65, 5, v24
	v_xor_b32_e32 v27, v65, v7
	v_lshlrev_b32_e32 v26, 2, v26
	s_add_i32 s63, s1, s0
	s_add_i32 s0, s46, s21
	v_or_b32_e32 v73, 0x9000, v24
	v_or_b32_e32 v74, 0x9800, v24
	v_lshlrev_b32_e32 v24, 1, v27
	v_xor_b32_e32 v27, 0x440, v26
	v_cmp_eq_u32_e32 vcc, 0, v6
	s_add_i32 s39, s0, s28
	s_mul_i32 s0, s33, s23
	s_mul_hi_u32 s1, s33, s22
	v_cndmask_b32_e32 v6, v27, v26, vcc
	s_add_i32 s0, s1, s0
	s_mul_i32 s1, s56, s22
	s_mov_b32 s61, 0x1000504
	v_lshlrev_b32_e32 v25, 8, v1
	s_mov_b32 s26, 0x8000
	v_xor_b32_e32 v7, v66, v7
	v_lshl_or_b32 v5, v5, 10, v6
	s_add_i32 s1, s0, s1
	s_lshl_b64 s[24:25], s[38:39], 2
	s_mov_b32 s62, 0x3020706
	v_lshlrev_b32_e32 v7, 1, v7
	v_or3_b32 v75, v24, v25, s26
	v_xor_b32_e32 v6, 8, v5
	v_xor_b32_e32 v24, 24, v5
	;; [unrolled: 1-line block ×4, first 2 shown]
	s_mul_i32 s0, s33, s22
	s_add_u32 s24, s10, s24
	v_or3_b32 v76, v7, v25, s26
	v_xor_b32_e32 v7, 16, v5
	v_xor_b32_e32 v25, 32, v5
	;; [unrolled: 1-line block ×3, first 2 shown]
	v_add_u32_e32 v6, 0x80, v6
	v_add_u32_e32 v24, 0x80, v24
	;; [unrolled: 1-line block ×4, first 2 shown]
	s_addc_u32 s25, s11, s25
	s_lshl_b64 s[0:1], s[0:1], 2
	s_add_u32 s44, s24, s0
	s_movk_i32 s0, 0xf8
	s_addc_u32 s45, s25, s1
	s_ashr_i32 s37, s36, 31
	s_lshl_b32 s30, s19, 7
	v_mov_b32_e32 v47, 0
	s_mul_i32 s59, s50, s16
	s_mov_b32 s60, 0
	v_add_u32_e32 v87, v45, v2
	s_mov_b32 s39, 0x7060302
	s_mov_b32 s65, 0
	v_mov_b32_e32 v52, v47
	v_mov_b32_e32 v53, v47
	;; [unrolled: 1-line block ×6, first 2 shown]
	s_waitcnt vmcnt(1)
	v_perm_b32 v29, v8, v16, s61
	s_waitcnt vmcnt(0)
	v_perm_b32 v30, v12, v20, s61
	v_perm_b32 v8, v8, v16, s62
	;; [unrolled: 1-line block ×15, first 2 shown]
	ds_write2st64_b32 v5, v29, v30 offset1:32
	ds_write2st64_b32 v6, v8, v12 offset1:32
	ds_write2st64_b32 v7, v16, v20 offset0:1 offset1:33
	ds_write2st64_b32 v24, v9, v13 offset0:1 offset1:33
	;; [unrolled: 1-line block ×6, first 2 shown]
	v_or_b32_e32 v5, v45, v1
	v_lshlrev_b32_e32 v5, 3, v5
	v_lshrrev_b32_e32 v7, 5, v60
	v_and_or_b32 v7, v5, s0, v7
	v_lshlrev_b32_e32 v7, 4, v7
	v_lshrrev_b32_e32 v6, 2, v60
	v_lshlrev_b32_e32 v11, 11, v61
	v_and_b32_e32 v5, 0x78, v5
	v_or_b32_e32 v12, 32, v7
	v_and_b32_e32 v10, 12, v6
	v_and_b32_e32 v6, 0x1000, v11
	v_lshrrev_b32_e32 v9, 1, v60
	v_xor_b32_e32 v12, v12, v5
	v_and_b32_e32 v9, 8, v9
	v_or_b32_e32 v12, v12, v6
	v_xor_b32_e32 v8, v7, v5
	v_xor_b32_e32 v79, v12, v9
	v_or_b32_e32 v12, 64, v7
	v_or_b32_e32 v7, 0x60, v7
	v_xor_b32_e32 v12, v12, v5
	v_xor_b32_e32 v5, v7, v5
	v_or_b32_e32 v5, v5, v6
	v_or_b32_e32 v12, v12, v6
	v_xor_b32_e32 v81, v5, v9
	v_lshlrev_b32_e32 v5, 1, v1
	v_xor_b32_e32 v80, v12, v9
	v_lshlrev_b32_e32 v12, 1, v4
	v_add_lshl_u32 v13, v4, s19, 1
	v_lshrrev_b32_e32 v4, 4, v0
	s_lshl_b64 s[0:1], s[36:37], 8
	v_or_b32_e32 v15, 1, v5
	s_add_u32 s0, s12, s0
	v_xor_b32_e32 v5, v4, v5
	v_xor_b32_e32 v15, v15, v4
	s_addc_u32 s1, s13, s1
	v_lshlrev_b32_e32 v5, 3, v5
	v_lshlrev_b32_e32 v46, 8, v4
	;; [unrolled: 1-line block ×3, first 2 shown]
	v_lshrrev_b32_e32 v19, 1, v0
	v_or3_b32 v83, v5, v46, s26
	v_or3_b32 v84, v4, v46, s26
	v_lshl_add_u64 v[4:5], s[0:1], 0, v[46:47]
	v_lshlrev_b32_e32 v46, 4, v1
	s_movk_i32 s0, 0xff
	v_lshlrev_b32_e32 v18, 3, v61
	v_and_b32_e32 v19, 24, v19
	v_lshl_add_u64 v[54:55], v[4:5], 0, v[46:47]
	v_and_b32_e32 v5, 8, v0
	v_cmp_lt_u32_e32 vcc, s0, v0
	v_xor_b32_e32 v20, v18, v19
	v_or_b32_e32 v21, 0x440, v20
	v_cndmask_b32_e64 v17, 0, 1, vcc
	v_cmp_eq_u32_e32 vcc, 0, v5
	v_or_b32_e32 v23, 64, v19
	v_xor_b32_e32 v23, v18, v23
	v_cndmask_b32_e32 v5, v21, v20, vcc
	v_or_b32_e32 v21, 32, v19
	v_or_b32_e32 v19, 0x60, v19
	v_xor_b32_e32 v21, v18, v21
	v_xor_b32_e32 v18, v18, v19
	v_or_b32_e32 v22, 0x440, v21
	v_xor_b32_e32 v24, 0x440, v23
	v_xor_b32_e32 v19, 0x440, v18
	v_or_b32_e32 v8, v8, v6
	v_or_b32_e32 v6, s36, v1
	v_and_b32_e32 v4, 7, v0
	v_cndmask_b32_e32 v21, v22, v21, vcc
	v_cndmask_b32_e32 v23, v24, v23, vcc
	v_cndmask_b32_e32 v18, v19, v18, vcc
	v_xor_b32_e32 v77, v8, v9
	v_and_b32_e32 v8, 0x78, v63
	v_ashrrev_i32_e32 v7, 31, v6
	v_lshlrev_b32_e32 v15, 3, v4
	v_or_b32_e32 v5, v5, v11
	v_or_b32_e32 v21, v21, v11
	;; [unrolled: 1-line block ×4, first 2 shown]
	v_lshl_or_b32 v8, v62, 7, v8
	v_lshlrev_b64 v[6:7], 1, v[6:7]
	v_lshlrev_b32_e32 v17, 13, v17
	v_xor_b32_e32 v5, v5, v15
	v_xor_b32_e32 v21, v21, v15
	;; [unrolled: 1-line block ×4, first 2 shown]
	v_or_b32_e32 v78, 0x9000, v8
	v_or_b32_e32 v82, 0x9800, v8
	v_lshl_add_u64 v[8:9], s[8:9], 0, v[6:7]
	v_lshl_add_u64 v[6:7], s[14:15], 0, v[6:7]
	v_or_b32_e32 v14, 0x100, v3
	v_lshlrev_b32_e32 v16, 7, v4
	v_or_b32_e32 v4, v10, v45
	v_add_u32_e32 v20, v17, v5
	v_add_u32_e32 v22, v17, v21
	;; [unrolled: 1-line block ×4, first 2 shown]
	v_or3_b32 v10, v45, v10, 64
	v_add_u32_e32 v5, 0x2000, v5
	v_add_u32_e32 v17, 0x2000, v21
	;; [unrolled: 1-line block ×4, first 2 shown]
	v_lshlrev_b32_e32 v46, 8, v65
	v_cndmask_b32_e64 v85, v12, v3, s[2:3]
	v_cndmask_b32_e64 v86, v13, v14, s[2:3]
	v_lshl_add_u64 v[56:57], v[8:9], 0, v[46:47]
	v_lshl_add_u64 v[58:59], v[6:7], 0, v[46:47]
	s_add_i32 s37, s59, 63
	s_movk_i32 s26, 0x4000
	v_lshlrev_b32_e32 v88, 2, v4
	v_add_u32_e32 v89, v20, v16
	v_add_u32_e32 v90, v22, v16
	;; [unrolled: 1-line block ×4, first 2 shown]
	v_lshlrev_b32_e32 v93, 2, v10
	v_add_u32_e32 v94, v5, v16
	v_add_u32_e32 v95, v17, v16
	;; [unrolled: 1-line block ×4, first 2 shown]
	v_mov_b32_e32 v46, v47
	s_waitcnt lgkmcnt(0)
	s_barrier
.LBB671_6:                              ; =>This Inner Loop Header: Depth=1
	s_add_i32 s64, s65, 1
	s_cmp_lt_i32 s64, s49
	s_mov_b64 s[28:29], 0
	s_cselect_b64 s[2:3], -1, 0
	s_cmp_ge_i32 s64, s49
	s_mov_b64 s[24:25], 0
	s_cbranch_scc1 .LBB671_8
; %bb.7:                                ;   in Loop: Header=BB671_6 Depth=1
	s_add_i32 s0, s60, 64
	s_add_u32 s0, s40, s0
	s_addc_u32 s1, s41, 0
	s_lshl_b64 s[0:1], s[0:1], 8
	s_add_u32 s24, s6, s0
	s_addc_u32 s25, s7, s1
.LBB671_8:                              ;   in Loop: Header=BB671_6 Depth=1
	v_cndmask_b32_e64 v2, 0, 1, s[2:3]
	v_cmp_ne_u32_e64 s[0:1], 1, v2
	s_andn2_b64 vcc, exec, s[2:3]
	s_cbranch_vccnz .LBB671_10
; %bb.9:                                ;   in Loop: Header=BB671_6 Depth=1
	s_add_i32 s2, s60, 64
	s_add_u32 s2, s59, s2
	s_addc_u32 s3, s63, 0
	s_mul_i32 s28, s2, s51
	s_mul_hi_u32 s29, s2, s55
	s_add_i32 s28, s29, s28
	s_mul_i32 s3, s3, s55
	s_add_i32 s28, s28, s3
	s_mul_i32 s2, s2, s55
	s_add_u32 s2, s2, s54
	s_addc_u32 s3, s28, s57
	s_lshl_b64 s[2:3], s[2:3], 8
	s_add_u32 s28, s4, s2
	s_addc_u32 s29, s5, s3
.LBB671_10:                             ;   in Loop: Header=BB671_6 Depth=1
	v_perm_b32 v3, v53, v52, s39
	v_perm_b32 v2, v47, v46, s39
	;; [unrolled: 1-line block ×4, first 2 shown]
	ds_write_b64 v73, v[2:3]
	ds_write_b64 v74, v[4:5]
	;; [unrolled: 1-line block ×4, first 2 shown]
	s_waitcnt lgkmcnt(0)
	s_barrier
	ds_read_b64 v[10:11], v77 offset:16384
	ds_read_b64 v[12:13], v79 offset:16384
	ds_read2st64_b64 v[2:5], v78 offset1:1
	ds_read2st64_b64 v[6:9], v78 offset0:2 offset1:3
	ds_read_b64 v[14:15], v80 offset:16384
	s_waitcnt lgkmcnt(2)
	v_mfma_f32_16x16x16_bf16 a[0:3], v[10:11], v[2:3], 0
	ds_read_b64 v[2:3], v81 offset:16384
	s_add_i32 s2, s60, 63
	s_mul_i32 s3, s2, s35
	v_mfma_f32_16x16x16_bf16 a[0:3], v[12:13], v[4:5], a[0:3]
	s_mul_hi_u32 s31, s2, s34
	s_add_i32 s3, s31, s3
	s_mul_i32 s2, s2, s34
	s_waitcnt lgkmcnt(1)
	v_mfma_f32_16x16x16_bf16 a[0:3], v[14:15], v[6:7], a[0:3]
	s_lshl_b64 s[2:3], s[2:3], 2
	s_add_u32 s2, s44, s2
	s_addc_u32 s3, s45, s3
	s_waitcnt lgkmcnt(0)
	v_mfma_f32_16x16x16_bf16 a[0:3], v[2:3], v[8:9], a[0:3]
	s_and_b64 vcc, exec, s[0:1]
	v_mov_b32_e32 v100, 0
	v_mov_b32_e32 v99, 0
	;; [unrolled: 1-line block ×19, first 2 shown]
	s_cbranch_vccnz .LBB671_12
; %bb.11:                               ;   in Loop: Header=BB671_6 Depth=1
	s_and_b32 s25, s25, 0xffff
	buffer_load_dwordx4 v[14:17], v69, s[24:27], 0 offen
	buffer_load_dwordx4 v[10:13], v69, s[24:27], s58 offen
	;; [unrolled: 1-line block ×4, first 2 shown]
	v_mov_b32_e32 v99, v71
	v_mov_b32_e32 v98, v72
.LBB671_12:                             ;   in Loop: Header=BB671_6 Depth=1
	v_add_u32_e32 v24, s60, v87
	v_ashrrev_i32_e32 v18, 31, v24
	v_mul_lo_u32 v20, v18, s34
	v_mul_lo_u32 v21, v24, s35
	v_mad_u64_u32 v[18:19], s[24:25], v24, s34, 0
	v_add3_u32 v19, v19, v21, v20
	v_add_u32_e32 v20, 1, v24
	v_ashrrev_i32_e32 v21, 31, v20
	v_mul_lo_u32 v22, v21, s34
	v_mul_lo_u32 v23, v20, s35
	v_mad_u64_u32 v[20:21], s[24:25], v20, s34, 0
	v_add3_u32 v21, v21, v23, v22
	v_add_u32_e32 v22, 2, v24
	v_ashrrev_i32_e32 v23, 31, v22
	v_mul_lo_u32 v25, v23, s34
	v_mul_lo_u32 v26, v22, s35
	v_mad_u64_u32 v[22:23], s[24:25], v22, s34, 0
	s_add_u32 s24, s40, s60
	v_add3_u32 v23, v23, v26, v25
	v_add_u32_e32 v26, 3, v24
	s_addc_u32 s25, s41, 0
	v_ashrrev_i32_e32 v24, 31, v26
	s_lshl_b64 s[24:25], s[24:25], 8
	v_lshl_add_u64 v[18:19], v[18:19], 2, s[44:45]
	v_mul_lo_u32 v27, v24, s34
	v_lshl_add_u64 v[24:25], v[56:57], 0, s[24:25]
	v_mul_lo_u32 v28, v26, s35
	global_load_ushort v38, v[24:25], off
	global_load_ushort v39, v[24:25], off offset:256
	global_load_ushort v40, v[24:25], off offset:512
	;; [unrolled: 1-line block ×3, first 2 shown]
	global_load_dword v42, v[18:19], off
	v_mad_u64_u32 v[18:19], s[66:67], v26, s34, 0
	v_lshl_add_u64 v[20:21], v[20:21], 2, s[44:45]
	v_add3_u32 v19, v19, v28, v27
	v_lshl_add_u64 v[22:23], v[22:23], 2, s[44:45]
	v_lshl_add_u64 v[18:19], v[18:19], 2, s[44:45]
	global_load_dword v43, v[20:21], off
	global_load_dword v44, v[22:23], off
	;; [unrolled: 1-line block ×3, first 2 shown]
	s_load_dword s2, s[2:3], 0x0
	ds_read_b64 v[26:27], v77 offset:24576
	ds_read2st64_b64 v[22:25], v82 offset1:1
	ds_read2st64_b64 v[28:31], v82 offset0:2 offset1:3
	ds_read_b64 v[32:33], v79 offset:24576
	ds_read_b64 v[34:35], v80 offset:24576
	;; [unrolled: 1-line block ×3, first 2 shown]
	s_waitcnt lgkmcnt(0)
	v_mfma_f32_16x16x16_bf16 a[0:3], v[26:27], v[22:23], a[0:3]
	v_mov_b32_e32 v101, 0
	v_mov_b32_e32 v18, 0
	;; [unrolled: 1-line block ×3, first 2 shown]
	v_mfma_f32_16x16x16_bf16 a[0:3], v[32:33], v[24:25], a[0:3]
	v_mov_b32_e32 v20, 0
	v_mov_b32_e32 v21, 0
	;; [unrolled: 1-line block ×3, first 2 shown]
	v_mfma_f32_16x16x16_bf16 a[0:3], v[34:35], v[28:29], a[0:3]
	v_lshl_add_u64 v[28:29], v[58:59], 0, s[24:25]
	v_mov_b32_e32 v23, 0
	v_mov_b32_e32 v24, 0
	v_mfma_f32_16x16x16_bf16 a[0:3], v[36:37], v[30:31], a[0:3]
	v_mov_b32_e32 v25, 0
	v_mov_b32_e32 v26, 0
	;; [unrolled: 1-line block ×3, first 2 shown]
	s_and_b64 vcc, exec, s[0:1]
	s_waitcnt vmcnt(7)
	v_lshlrev_b32_e32 v34, 16, v38
	s_nop 0
	v_accvgpr_read_b32 v33, a1
	v_accvgpr_read_b32 v31, a3
	;; [unrolled: 1-line block ×4, first 2 shown]
	s_waitcnt vmcnt(6)
	v_lshlrev_b32_e32 v35, 16, v39
	s_waitcnt vmcnt(4)
	v_lshlrev_b32_e32 v37, 16, v41
	v_lshlrev_b32_e32 v36, 16, v40
	s_waitcnt vmcnt(3)
	v_sub_f32_e32 v38, s2, v42
	v_pk_add_f32 v[32:33], v[34:35], v[32:33] neg_lo:[0,1] neg_hi:[0,1]
	v_pk_add_f32 v[30:31], v[36:37], v[30:31] neg_lo:[0,1] neg_hi:[0,1]
	s_waitcnt vmcnt(2)
	v_sub_f32_e32 v35, s2, v43
	s_waitcnt vmcnt(1)
	v_sub_f32_e32 v36, s2, v44
	;; [unrolled: 2-line block ×3, first 2 shown]
	v_exp_f32_e32 v34, v38
	v_exp_f32_e32 v35, v35
	;; [unrolled: 1-line block ×4, first 2 shown]
	global_store_short_d16_hi v[28:29], v32, off
	global_store_short_d16_hi v[28:29], v33, off offset:256
	global_store_short_d16_hi v[28:29], v30, off offset:512
	;; [unrolled: 1-line block ×3, first 2 shown]
	v_pk_mul_f32 v[28:29], v[34:35], v[32:33]
	v_pk_mul_f32 v[30:31], v[36:37], v[30:31]
	v_perm_b32 v28, v29, v28, s39
	v_perm_b32 v29, v31, v30, s39
	ds_write_b64 v74, v[28:29]
	v_mov_b32_e32 v28, 0
	v_mov_b32_e32 v29, 0
	;; [unrolled: 1-line block ×6, first 2 shown]
	s_cbranch_vccnz .LBB671_14
; %bb.13:                               ;   in Loop: Header=BB671_6 Depth=1
	s_and_b32 s29, s29, 0xffff
	s_mov_b32 s31, s27
	buffer_load_dwordx4 v[30:33], v85, s[28:31], 0 offen
	buffer_load_dwordx4 v[22:25], v85, s[28:31], s58 offen
	;; [unrolled: 1-line block ×4, first 2 shown]
	v_mov_b32_e32 v100, v68
	v_mov_b32_e32 v101, v67
.LBB671_14:                             ;   in Loop: Header=BB671_6 Depth=1
	s_waitcnt lgkmcnt(0)
	s_barrier
	ds_read_b64 v[34:35], v89
	ds_read_b64 v[40:41], v90
	ds_read2st64_b64 v[36:39], v82 offset1:1
	ds_read2st64_b64 v[102:105], v82 offset0:2 offset1:3
	ds_read_b64 v[42:43], v91
	ds_read_b64 v[110:111], v92
	s_add_i32 s3, s52, s65
	s_mul_hi_i32 s25, s3, s17
	s_mul_i32 s3, s3, s17
	s_waitcnt lgkmcnt(3)
	v_mfma_f32_16x16x16_bf16 a[0:3], v[34:35], v[36:37], 0
	ds_read_b64 v[34:35], v94
	s_add_u32 s24, s3, s33
	s_addc_u32 s25, s25, s56
	s_add_i32 s3, s37, s60
	v_mfma_f32_16x16x16_bf16 a[0:3], v[40:41], v[38:39], a[0:3]
	ds_read_b64 v[40:41], v95
	s_lshl_b64 s[24:25], s[24:25], 15
	s_mul_hi_i32 s29, s3, s17
	s_mul_i32 s3, s3, s17
	s_add_u32 s28, s3, s33
	s_addc_u32 s29, s29, s56
	s_lshl_b64 s[28:29], s[28:29], 9
	s_add_u32 s28, s42, s28
	s_waitcnt lgkmcnt(1)
	v_mfma_f32_16x16x16_bf16 a[4:7], v[34:35], v[36:37], 0
	s_addc_u32 s29, s43, s29
	s_and_b64 vcc, exec, s[0:1]
	v_mfma_f32_16x16x16_bf16 a[0:3], v[42:43], v[102:103], a[0:3]
	ds_read_b64 v[42:43], v96
	ds_read_b64 v[112:113], v97
	global_load_dwordx4 v[34:37], v93, s[28:29]
	s_waitcnt lgkmcnt(2)
	v_mfma_f32_16x16x16_bf16 a[4:7], v[40:41], v[38:39], a[4:7]
	global_load_dwordx4 v[38:41], v88, s[28:29]
	ds_read_b64 v[106:107], v83
	ds_read_b64 v[108:109], v84
	s_waitcnt lgkmcnt(3)
	v_mfma_f32_16x16x16_bf16 a[8:11], v[42:43], v[102:103], a[4:7]
	v_lshl_add_u64 v[42:43], v[54:55], 0, s[24:25]
	s_waitcnt lgkmcnt(0)
	global_store_dwordx4 v[42:43], v[106:109], off
	v_mfma_f32_16x16x16_bf16 a[4:7], v[110:111], v[104:105], a[0:3]
	s_waitcnt vmcnt(2)
	v_mov_b32_e32 v44, v37
	v_mfma_f32_16x16x16_bf16 a[0:3], v[112:113], v[104:105], a[8:11]
	v_mov_b32_e32 v43, v36
	v_mov_b32_e32 v42, v35
	s_cbranch_vccnz .LBB671_16
; %bb.15:                               ;   in Loop: Header=BB671_6 Depth=1
	v_lshrrev_b32_e32 v35, 3, v100
	v_and_b32_e32 v35, 6, v35
	v_xor_b32_e32 v36, v35, v101
	v_lshlrev_b32_e32 v36, 2, v36
	v_and_b32_e32 v37, 8, v100
	v_xor_b32_e32 v100, 0x440, v36
	v_cmp_eq_u32_e32 vcc, 0, v37
	v_perm_b32 v37, v22, v18, s61
	s_nop 0
	v_cndmask_b32_e32 v36, v100, v36, vcc
	v_lshl_or_b32 v35, v35, 10, v36
	v_perm_b32 v36, v30, v26, s61
	s_barrier
	ds_write2st64_b32 v35, v36, v37 offset1:32
	v_xor_b32_e32 v36, 8, v35
	v_perm_b32 v26, v30, v26, s62
	v_perm_b32 v18, v22, v18, s62
	v_add_u32_e32 v22, 0x80, v36
	ds_write2st64_b32 v22, v26, v18 offset1:32
	v_xor_b32_e32 v18, 16, v35
	v_perm_b32 v22, v31, v27, s61
	v_perm_b32 v26, v23, v19, s61
	ds_write2st64_b32 v18, v22, v26 offset0:1 offset1:33
	v_xor_b32_e32 v18, 24, v35
	v_perm_b32 v22, v31, v27, s62
	v_perm_b32 v19, v23, v19, s62
	v_add_u32_e32 v18, 0x80, v18
	ds_write2st64_b32 v18, v22, v19 offset0:1 offset1:33
	v_xor_b32_e32 v18, 32, v35
	v_perm_b32 v19, v32, v28, s61
	v_perm_b32 v22, v24, v20, s61
	ds_write2st64_b32 v18, v19, v22 offset0:2 offset1:34
	v_xor_b32_e32 v18, 40, v35
	v_perm_b32 v19, v32, v28, s62
	v_perm_b32 v20, v24, v20, s62
	v_add_u32_e32 v18, 0x80, v18
	ds_write2st64_b32 v18, v19, v20 offset0:2 offset1:34
	;; [unrolled: 9-line block ×3, first 2 shown]
	ds_write_b64 v99, v[14:15] offset:16384
	v_xor_b32_e32 v14, 8, v99
	ds_write_b64 v14, v[16:17] offset:16384
	ds_write_b64 v99, v[10:11] offset:24576
	;; [unrolled: 1-line block ×4, first 2 shown]
	v_xor_b32_e32 v6, 8, v98
	ds_write_b64 v6, v[8:9] offset:16384
	ds_write_b64 v98, v[2:3] offset:24576
	;; [unrolled: 1-line block ×3, first 2 shown]
.LBB671_16:                             ;   in Loop: Header=BB671_6 Depth=1
	v_exp_f32_e32 v10, s2
	s_waitcnt vmcnt(1)
	v_exp_f32_e32 v12, v38
	v_exp_f32_e32 v13, v39
	;; [unrolled: 1-line block ×4, first 2 shown]
	v_accvgpr_read_b32 v2, a4
	v_accvgpr_read_b32 v3, a5
	v_pk_mul_f32 v[12:13], v[10:11], v[12:13] op_sel_hi:[0,1]
	v_pk_fma_f32 v[46:47], v[46:47], v[12:13], v[2:3]
	v_exp_f32_e32 v12, v34
	v_exp_f32_e32 v13, v42
	v_pk_mul_f32 v[2:3], v[10:11], v[14:15] op_sel_hi:[0,1]
	v_exp_f32_e32 v14, v43
	v_exp_f32_e32 v15, v44
	v_accvgpr_read_b32 v4, a6
	v_accvgpr_read_b32 v5, a7
	;; [unrolled: 1-line block ×5, first 2 shown]
	v_pk_fma_f32 v[52:53], v[52:53], v[2:3], v[4:5]
	v_pk_mul_f32 v[2:3], v[10:11], v[12:13] op_sel_hi:[0,1]
	v_accvgpr_read_b32 v8, a2
	v_pk_fma_f32 v[50:51], v[50:51], v[2:3], v[6:7]
	v_pk_mul_f32 v[2:3], v[10:11], v[14:15] op_sel_hi:[0,1]
	s_add_i32 s60, s60, 64
	s_cmp_eq_u32 s49, s64
	v_pk_fma_f32 v[48:49], v[48:49], v[2:3], v[8:9]
	s_cbranch_scc1 .LBB671_18
; %bb.17:                               ;   in Loop: Header=BB671_6 Depth=1
	s_mov_b32 s65, s64
	s_branch .LBB671_6
.LBB671_18:
	s_lshl_b32 s42, s49, 6
	s_sub_i32 s43, s16, s42
	s_cmp_gt_i32 s43, 0
	s_cbranch_scc0 .LBB671_75
; %bb.19:
	s_ashr_i32 s39, s50, 31
	s_ashr_i32 s2, s42, 31
	s_cmpk_lg_i32 s19, 0x80
	s_cselect_b64 s[30:31], -1, 0
	s_and_b64 vcc, exec, s[30:31]
	s_cbranch_vccz .LBB671_21
; %bb.20:
	s_mul_i32 s1, s50, s16
	s_mul_hi_i32 s0, s50, s16
	s_add_u32 s1, s1, s42
	s_addc_u32 s0, s0, s2
	s_mul_i32 s3, s1, s51
	s_mul_hi_u32 s24, s1, s18
	s_add_i32 s3, s24, s3
	s_mul_i32 s0, s0, s18
	s_add_i32 s3, s3, s0
	s_mul_i32 s1, s1, s18
	s_ashr_i32 s0, s54, 31
	s_add_u32 s40, s1, s54
	s_addc_u32 s41, s3, s0
	s_cbranch_execz .LBB671_22
	s_branch .LBB671_23
.LBB671_21:
                                        ; implicit-def: $sgpr40_sgpr41
.LBB671_22:
	s_mul_hi_i32 s0, s50, s18
	s_mul_i32 s50, s50, s18
	s_ashr_i32 s1, s54, 31
	s_add_u32 s3, s50, s54
	s_addc_u32 s0, s0, s1
	s_mul_i32 s1, s3, s48
	s_mul_hi_u32 s18, s3, s16
	s_add_i32 s1, s18, s1
	s_mul_i32 s0, s0, s16
	s_add_i32 s1, s1, s0
	s_mul_i32 s3, s3, s16
	s_add_u32 s40, s3, s42
	s_addc_u32 s41, s1, s2
.LBB671_23:
	s_add_i32 s3, s52, s49
	s_ashr_i32 s18, s33, 31
	s_add_u32 s0, s47, s33
	s_addc_u32 s1, s53, s18
	s_mul_i32 s24, s0, s48
	s_mul_hi_u32 s25, s0, s16
	s_add_i32 s24, s25, s24
	s_mul_i32 s1, s1, s16
	s_add_i32 s24, s24, s1
	s_mul_i32 s0, s0, s16
	s_add_u32 s0, s0, s42
	s_addc_u32 s1, s24, s2
	s_mov_b32 s2, 0x7060302
	v_lshlrev_b32_e32 v6, 3, v1
	s_lshl_b64 s[28:29], s[0:1], 8
	v_perm_b32 v3, v53, v52, s2
	v_perm_b32 v2, v47, v46, s2
	;; [unrolled: 1-line block ×4, first 2 shown]
	v_lshlrev_b32_e32 v34, 2, v1
	v_lshl_or_b32 v6, v65, 5, v6
	s_add_u32 s0, s6, s28
	ds_write2st64_b64 v6, v[2:3], v[4:5] offset0:72 offset1:76
	v_xor_b32_e32 v6, v65, v34
	v_lshlrev_b32_e32 v7, 8, v1
	s_addc_u32 s1, s7, s29
	v_lshl_or_b32 v6, v6, 1, v7
	s_mul_hi_i32 s6, s3, s17
	s_mul_i32 s3, s3, s17
	ds_write_b64 v6, v[2:3] offset:32768
	v_xor_b32_e32 v2, v66, v34
	s_add_u32 s2, s3, s33
	v_lshl_or_b32 v2, v2, 1, v7
	s_addc_u32 s3, s6, s18
	v_lshlrev_b32_e32 v3, 1, v1
	ds_write_b64 v2, v[4:5] offset:32768
	v_lshrrev_b32_e32 v2, 4, v0
	s_ashr_i32 s37, s36, 31
	s_lshl_b64 s[2:3], s[2:3], 15
	v_or_b32_e32 v4, 1, v3
	s_add_u32 s6, s12, s2
	v_xor_b32_e32 v3, v2, v3
	v_xor_b32_e32 v4, v4, v2
	v_lshlrev_b32_e32 v6, 8, v2
	s_addc_u32 s7, s13, s3
	s_lshl_b64 s[2:3], s[36:37], 8
	v_lshl_or_b32 v2, v3, 3, v6
	v_lshl_or_b32 v4, v4, 3, v6
	s_waitcnt lgkmcnt(0)
	s_barrier
	s_add_u32 s2, s6, s2
	ds_read_b64 v[2:3], v2 offset:32768
	ds_read_b64 v[4:5], v4 offset:32768
	s_addc_u32 s3, s7, s3
	v_mov_b32_e32 v7, 0
	s_cmp_lg_u32 s43, 64
	v_lshl_add_u64 v[8:9], s[2:3], 0, v[6:7]
	v_lshlrev_b32_e32 v6, 4, v1
	s_cselect_b64 s[6:7], -1, 0
	v_lshl_or_b32 v35, v61, 3, v64
	s_mov_b32 s24, 0
	v_lshl_add_u64 v[6:7], v[8:9], 0, v[6:7]
	v_or_b32_e32 v19, 32, v35
	v_and_b32_e32 v18, 56, v63
	s_and_b64 vcc, exec, s[6:7]
	s_waitcnt lgkmcnt(0)
	global_store_dwordx4 v[6:7], v[2:5], off
	s_cbranch_vccz .LBB671_29
; %bb.24:
	s_mov_b32 s25, s24
	s_mov_b32 s26, s24
	;; [unrolled: 1-line block ×3, first 2 shown]
	v_mov_b64_e32 v[6:7], s[24:25]
	v_mov_b64_e32 v[8:9], s[26:27]
	;; [unrolled: 1-line block ×3, first 2 shown]
	v_cmp_gt_i32_e32 vcc, s43, v35
	v_mov_b64_e32 v[4:5], v[8:9]
	s_and_saveexec_b64 s[2:3], vcc
	s_cbranch_execz .LBB671_26
; %bb.25:
	v_lshlrev_b32_e32 v2, 8, v35
	v_mov_b32_e32 v3, 0
	v_lshl_add_u64 v[4:5], s[0:1], 0, v[2:3]
	v_lshlrev_b32_e32 v2, 1, v18
	v_lshl_add_u64 v[10:11], v[4:5], 0, v[2:3]
	global_load_dwordx4 v[6:9], v[10:11], off
	global_load_dwordx4 v[2:5], v[10:11], off offset:128
.LBB671_26:
	s_or_b64 exec, exec, s[2:3]
	s_mov_b32 s25, s24
	s_mov_b32 s26, s24
	;; [unrolled: 1-line block ×3, first 2 shown]
	v_mov_b64_e32 v[14:15], s[24:25]
	v_mov_b64_e32 v[16:17], s[26:27]
	;; [unrolled: 1-line block ×3, first 2 shown]
	v_cmp_gt_i32_e32 vcc, s43, v19
	v_lshlrev_b32_e32 v20, 7, v19
	v_mov_b64_e32 v[12:13], v[16:17]
	s_and_saveexec_b64 s[2:3], vcc
	s_cbranch_execz .LBB671_28
; %bb.27:
	v_lshlrev_b32_e32 v10, 1, v20
	v_mov_b32_e32 v11, 0
	v_lshl_add_u64 v[12:13], s[0:1], 0, v[10:11]
	v_lshlrev_b32_e32 v10, 1, v18
	v_lshl_add_u64 v[22:23], v[12:13], 0, v[10:11]
	global_load_dwordx4 v[14:17], v[22:23], off
	global_load_dwordx4 v[10:13], v[22:23], off offset:128
.LBB671_28:
	s_or_b64 exec, exec, s[2:3]
	v_lshrrev_b32_e32 v21, 3, v18
	v_lshlrev_b32_e32 v22, 3, v35
	v_or_b32_e32 v21, v22, v21
	v_lshlrev_b32_e32 v21, 4, v21
	v_and_b32_e32 v22, 0x78, v22
	v_xor_b32_e32 v21, v21, v22
	s_branch .LBB671_31
.LBB671_29:
                                        ; implicit-def: $vgpr21
                                        ; implicit-def: $vgpr20
                                        ; implicit-def: $vgpr6_vgpr7_vgpr8_vgpr9
                                        ; implicit-def: $vgpr2_vgpr3_vgpr4_vgpr5
                                        ; implicit-def: $vgpr14_vgpr15_vgpr16_vgpr17
                                        ; implicit-def: $vgpr10_vgpr11_vgpr12_vgpr13
	s_cbranch_execz .LBB671_31
; %bb.30:
	s_waitcnt vmcnt(0)
	v_lshlrev_b32_e32 v2, 1, v18
	v_lshl_or_b32 v20, v35, 8, v2
	s_and_b32 s1, s1, 0xffff
	s_mov_b32 s3, 0x20000
	s_movk_i32 s2, 0x4000
	v_lshl_or_b32 v21, v19, 8, v2
	s_movk_i32 s12, 0x80
	buffer_load_dwordx4 v[6:9], v20, s[0:3], 0 offen
	buffer_load_dwordx4 v[2:5], v20, s[0:3], s12 offen
	;; [unrolled: 1-line block ×4, first 2 shown]
	v_lshrrev_b32_e32 v20, 3, v18
	v_lshlrev_b32_e32 v21, 3, v35
	v_or_b32_e32 v20, v21, v20
	v_lshlrev_b32_e32 v20, 4, v20
	v_and_b32_e32 v21, 0x78, v21
	v_xor_b32_e32 v21, v20, v21
	v_lshlrev_b32_e32 v20, 7, v19
.LBB671_31:
	s_lshl_b64 s[0:1], s[40:41], 8
	s_add_u32 s4, s4, s0
	s_movk_i32 s0, 0x1000
	v_and_or_b32 v19, v20, s0, v21
	s_waitcnt vmcnt(1)
	ds_write_b64 v21, v[6:7] offset:16384
	v_xor_b32_e32 v6, 8, v21
	ds_write_b64 v6, v[8:9] offset:16384
	s_waitcnt vmcnt(0)
	ds_write_b64 v21, v[2:3] offset:24576
	ds_write_b64 v6, v[4:5] offset:24576
	;; [unrolled: 1-line block ×3, first 2 shown]
	v_xor_b32_e32 v2, 8, v19
	ds_write_b64 v2, v[16:17] offset:16384
	ds_write_b64 v19, v[10:11] offset:24576
	;; [unrolled: 1-line block ×3, first 2 shown]
	v_or_b32_e32 v2, v45, v1
	s_addc_u32 s5, s5, s1
	s_add_i32 s2, s16, -1
	v_lshlrev_b32_e32 v2, 3, v2
	v_lshrrev_b32_e32 v4, 5, v60
	s_movk_i32 s16, 0xf8
	v_and_or_b32 v4, v2, s16, v4
	v_lshlrev_b32_e32 v3, 11, v61
	v_lshlrev_b32_e32 v12, 4, v4
	v_and_b32_e32 v13, 0x78, v2
	v_and_b32_e32 v14, 0x1000, v3
	v_lshlrev_b32_e32 v3, 2, v0
	v_xor_b32_e32 v2, v12, v13
	v_lshrrev_b32_e32 v4, 1, v60
	v_and_b32_e32 v3, 60, v3
	v_or_b32_e32 v2, v2, v14
	v_and_b32_e32 v15, 8, v4
	v_xor_b32_e32 v26, v2, v15
	v_lshl_or_b32 v2, v62, 6, v3
	v_lshlrev_b32_e32 v19, 1, v2
	v_or_b32_e32 v2, 32, v12
	v_xor_b32_e32 v2, v2, v13
	s_waitcnt lgkmcnt(0)
	s_barrier
	ds_read_b64 v[10:11], v26 offset:16384
	v_or_b32_e32 v2, v2, v14
	v_xor_b32_e32 v27, v2, v15
	v_or_b32_e32 v2, 64, v12
	v_xor_b32_e32 v2, v2, v13
	v_or_b32_e32 v2, v2, v14
	v_or_b32_e32 v12, 0x60, v12
	v_xor_b32_e32 v28, v2, v15
	ds_read2st64_b64 v[2:5], v19 offset0:72 offset1:73
	ds_read2st64_b64 v[6:9], v19 offset0:74 offset1:75
	v_xor_b32_e32 v16, v12, v13
	ds_read_b64 v[12:13], v27 offset:16384
	s_waitcnt lgkmcnt(2)
	v_mfma_f32_16x16x16_bf16 a[0:3], v[10:11], v[2:3], 0
	s_add_i32 s0, s46, s21
	s_mul_i32 s39, s39, s20
	s_add_i32 s39, s0, s39
	s_mul_i32 s0, s33, s23
	s_mul_hi_u32 s1, s33, s22
	s_ashr_i32 s3, s2, 31
	s_mul_i32 s12, s2, s35
	s_mul_hi_u32 s13, s2, s34
	s_add_i32 s0, s1, s0
	s_mul_i32 s1, s18, s22
	s_add_i32 s12, s13, s12
	s_mul_i32 s3, s3, s34
	v_or_b32_e32 v14, v16, v14
	s_add_i32 s1, s0, s1
	s_add_i32 s3, s12, s3
	s_lshl_b64 s[12:13], s[38:39], 2
	v_xor_b32_e32 v36, v14, v15
	ds_read_b64 v[14:15], v28 offset:16384
	ds_read_b64 v[16:17], v36 offset:16384
	s_waitcnt lgkmcnt(2)
	v_mfma_f32_16x16x16_bf16 a[0:3], v[12:13], v[4:5], a[0:3]
	s_mul_i32 s0, s33, s22
	s_add_u32 s10, s10, s12
	s_addc_u32 s11, s11, s13
	s_lshl_b64 s[0:1], s[0:1], 2
	s_mul_i32 s2, s2, s34
	s_add_u32 s10, s10, s0
	s_addc_u32 s11, s11, s1
	s_lshl_b64 s[0:1], s[2:3], 2
	s_waitcnt lgkmcnt(1)
	v_mfma_f32_16x16x16_bf16 a[0:3], v[14:15], v[6:7], a[0:3]
	s_add_u32 s0, s10, s0
	s_addc_u32 s1, s11, s1
	s_load_dword s12, s[0:1], 0x0
	s_waitcnt lgkmcnt(0)
	v_mfma_f32_16x16x16_bf16 a[0:3], v[16:17], v[8:9], a[0:3]
	s_and_b64 vcc, exec, s[30:31]
	s_cbranch_vccz .LBB671_42
; %bb.32:
	v_lshlrev_b32_e32 v20, 1, v35
	s_and_b64 vcc, exec, s[6:7]
	s_cbranch_vccz .LBB671_43
; %bb.33:
	v_cmp_gt_i32_e32 vcc, s43, v20
	v_mov_b32_e32 v6, 0
	v_mov_b32_e32 v2, 0
	;; [unrolled: 1-line block ×5, first 2 shown]
	s_and_saveexec_b64 s[0:1], vcc
	s_cbranch_execz .LBB671_35
; %bb.34:
	v_mad_i64_i32 v[2:3], s[2:3], s19, v20, 0
	v_lshl_add_u64 v[2:3], v[2:3], 1, s[4:5]
	v_lshlrev_b32_e32 v4, 1, v18
	v_mov_b32_e32 v5, 0
	v_lshl_add_u64 v[2:3], v[2:3], 0, v[4:5]
	global_load_dwordx4 v[2:5], v[2:3], off
.LBB671_35:
	s_or_b64 exec, exec, s[0:1]
	v_or_b32_e32 v21, 1, v20
	v_cmp_gt_i32_e64 s[0:1], s43, v21
	v_mov_b32_e32 v7, 0
	v_mov_b32_e32 v8, 0
	;; [unrolled: 1-line block ×3, first 2 shown]
	s_and_saveexec_b64 s[2:3], s[0:1]
	s_cbranch_execz .LBB671_37
; %bb.36:
	v_mad_i64_i32 v[6:7], s[16:17], s19, v21, 0
	v_lshl_add_u64 v[6:7], v[6:7], 1, s[4:5]
	v_lshlrev_b32_e32 v8, 1, v18
	v_mov_b32_e32 v9, 0
	v_lshl_add_u64 v[6:7], v[6:7], 0, v[8:9]
	global_load_dwordx4 v[6:9], v[6:7], off
.LBB671_37:
	s_or_b64 exec, exec, s[2:3]
	v_mov_b32_e32 v17, 0
	v_mov_b32_e32 v10, 0
	;; [unrolled: 1-line block ×5, first 2 shown]
	s_and_saveexec_b64 s[2:3], vcc
	s_cbranch_execz .LBB671_39
; %bb.38:
	v_mad_i64_i32 v[10:11], s[16:17], s19, v20, 0
	v_lshl_add_u64 v[10:11], v[10:11], 1, s[4:5]
	v_lshlrev_b32_e32 v12, 1, v18
	v_mov_b32_e32 v13, 0
	v_lshl_add_u64 v[10:11], v[10:11], 0, v[12:13]
	global_load_dwordx4 v[10:13], v[10:11], off offset:128
.LBB671_39:
	s_or_b64 exec, exec, s[2:3]
	v_mov_b32_e32 v16, 0
	v_mov_b32_e32 v15, 0
	;; [unrolled: 1-line block ×3, first 2 shown]
	s_and_saveexec_b64 s[2:3], s[0:1]
	s_cbranch_execz .LBB671_41
; %bb.40:
	v_mad_i64_i32 v[14:15], s[0:1], s19, v21, 0
	v_lshl_add_u64 v[14:15], v[14:15], 1, s[4:5]
	v_lshlrev_b32_e32 v16, 1, v18
	v_mov_b32_e32 v17, 0
	v_lshl_add_u64 v[14:15], v[14:15], 0, v[16:17]
	global_load_dwordx4 v[14:17], v[14:15], off offset:128
.LBB671_41:
	s_or_b64 exec, exec, s[2:3]
	s_branch .LBB671_45
.LBB671_42:
                                        ; implicit-def: $vgpr5
                                        ; implicit-def: $vgpr9
                                        ; implicit-def: $vgpr13
                                        ; implicit-def: $vgpr17
	v_lshrrev_b32_e32 v37, 2, v60
	s_branch .LBB671_46
.LBB671_43:
                                        ; implicit-def: $vgpr5
                                        ; implicit-def: $vgpr9
                                        ; implicit-def: $vgpr13
                                        ; implicit-def: $vgpr17
	s_cbranch_execz .LBB671_45
; %bb.44:
	s_waitcnt vmcnt(0)
	v_mad_u64_u32 v[2:3], s[0:1], v20, s19, v[18:19]
	v_lshlrev_b32_e32 v20, 1, v2
	s_lshl_b32 s2, s19, 7
	s_and_b32 s1, s5, 0xffff
	s_mov_b32 s3, 0x20000
	s_mov_b32 s0, s4
	v_add_lshl_u32 v21, v2, s19, 1
	s_movk_i32 s13, 0x80
	buffer_load_dwordx4 v[2:5], v20, s[0:3], 0 offen
	buffer_load_dwordx4 v[10:13], v20, s[0:3], s13 offen
	;; [unrolled: 1-line block ×4, first 2 shown]
.LBB671_45:
	v_lshrrev_b32_e32 v37, 2, v60
	s_cbranch_execnz .LBB671_58
.LBB671_46:
	s_and_b64 vcc, exec, s[6:7]
	s_cbranch_vccz .LBB671_56
; %bb.47:
	s_waitcnt vmcnt(0)
	v_lshlrev_b32_e32 v7, 1, v35
	v_cmp_gt_i32_e32 vcc, s43, v7
	v_mov_b32_e32 v6, 0
	v_lshlrev_b32_e32 v14, 9, v35
	v_mov_b32_e32 v2, 0
	v_mov_b32_e32 v3, 0
	v_mov_b32_e32 v4, 0
	v_mov_b32_e32 v5, 0
	s_and_saveexec_b64 s[0:1], vcc
	s_cbranch_execz .LBB671_49
; %bb.48:
	v_mov_b32_e32 v15, 0
	v_lshl_add_u64 v[2:3], s[4:5], 0, v[14:15]
	v_lshlrev_b32_e32 v4, 1, v18
	v_mov_b32_e32 v5, v15
	v_lshl_add_u64 v[2:3], v[2:3], 0, v[4:5]
	global_load_dwordx4 v[2:5], v[2:3], off
.LBB671_49:
	s_or_b64 exec, exec, s[0:1]
	v_or_b32_e32 v7, 1, v7
	v_cmp_gt_i32_e64 s[0:1], s43, v7
	v_lshlrev_b32_e32 v20, 8, v7
	v_mov_b32_e32 v7, 0
	v_mov_b32_e32 v8, 0
	;; [unrolled: 1-line block ×3, first 2 shown]
	s_and_saveexec_b64 s[2:3], s[0:1]
	s_cbranch_execz .LBB671_51
; %bb.50:
	v_mov_b32_e32 v21, 0
	v_lshl_add_u64 v[6:7], s[4:5], 0, v[20:21]
	v_lshlrev_b32_e32 v8, 1, v18
	v_mov_b32_e32 v9, v21
	v_lshl_add_u64 v[6:7], v[6:7], 0, v[8:9]
	global_load_dwordx4 v[6:9], v[6:7], off
.LBB671_51:
	s_or_b64 exec, exec, s[2:3]
	v_mov_b32_e32 v17, 0
	v_mov_b32_e32 v10, 0
	;; [unrolled: 1-line block ×5, first 2 shown]
	s_and_saveexec_b64 s[2:3], vcc
	s_cbranch_execz .LBB671_53
; %bb.52:
	v_mov_b32_e32 v15, 0
	v_lshl_add_u64 v[10:11], s[4:5], 0, v[14:15]
	v_lshlrev_b32_e32 v14, 1, v18
	v_lshl_add_u64 v[10:11], v[10:11], 0, v[14:15]
	global_load_dwordx4 v[10:13], v[10:11], off offset:128
.LBB671_53:
	s_or_b64 exec, exec, s[2:3]
	v_mov_b32_e32 v16, 0
	v_mov_b32_e32 v15, 0
	;; [unrolled: 1-line block ×3, first 2 shown]
	s_and_saveexec_b64 s[2:3], s[0:1]
	s_cbranch_execz .LBB671_55
; %bb.54:
	v_mov_b32_e32 v21, 0
	v_lshl_add_u64 v[14:15], s[4:5], 0, v[20:21]
	v_lshlrev_b32_e32 v20, 1, v18
	v_lshl_add_u64 v[14:15], v[14:15], 0, v[20:21]
	global_load_dwordx4 v[14:17], v[14:15], off offset:128
.LBB671_55:
	s_or_b64 exec, exec, s[2:3]
	s_branch .LBB671_58
.LBB671_56:
                                        ; implicit-def: $vgpr5
                                        ; implicit-def: $vgpr9
                                        ; implicit-def: $vgpr13
                                        ; implicit-def: $vgpr17
	s_cbranch_execz .LBB671_58
; %bb.57:
	s_waitcnt vmcnt(0)
	v_lshlrev_b32_e32 v2, 1, v18
	v_lshl_or_b32 v18, v35, 9, v2
	s_and_b32 s5, s5, 0xffff
	s_mov_b32 s7, 0x20000
	s_movk_i32 s6, 0x4000
	s_movk_i32 s0, 0x80
	buffer_load_dwordx4 v[2:5], v18, s[4:7], 0 offen
	buffer_load_dwordx4 v[6:9], v18, s[4:7], 0 offen offset:256
	buffer_load_dwordx4 v[10:13], v18, s[4:7], s0 offen
	buffer_load_dwordx4 v[14:17], v18, s[4:7], s0 offen offset:256
.LBB671_58:
	ds_read2st64_b64 v[22:25], v19 offset0:76 offset1:77
	ds_read2st64_b64 v[18:21], v19 offset0:78 offset1:79
	ds_read_b64 v[32:33], v26 offset:24576
	ds_read_b64 v[30:31], v27 offset:24576
	;; [unrolled: 1-line block ×4, first 2 shown]
	v_and_b32_e32 v36, 6, v0
	v_xor_b32_e32 v35, v35, v36
	v_lshlrev_b32_e32 v35, 2, v35
	v_and_b32_e32 v0, 1, v0
	v_xor_b32_e32 v38, 0x440, v35
	v_cmp_eq_u32_e32 vcc, 0, v0
	s_mov_b32 s0, 0x1000504
	s_mov_b32 s1, 0x3020706
	v_cndmask_b32_e32 v0, v38, v35, vcc
	v_lshl_or_b32 v0, v36, 10, v0
	s_waitcnt vmcnt(0)
	v_perm_b32 v35, v2, v6, s0
	v_perm_b32 v36, v10, v14, s0
	ds_write2st64_b32 v0, v35, v36 offset1:32
	v_xor_b32_e32 v35, 8, v0
	v_perm_b32 v2, v2, v6, s1
	v_perm_b32 v6, v10, v14, s1
	v_add_u32_e32 v10, 0x80, v35
	ds_write2st64_b32 v10, v2, v6 offset1:32
	v_xor_b32_e32 v2, 16, v0
	v_perm_b32 v6, v3, v7, s0
	v_perm_b32 v10, v11, v15, s0
	ds_write2st64_b32 v2, v6, v10 offset0:1 offset1:33
	v_xor_b32_e32 v2, 24, v0
	v_perm_b32 v3, v3, v7, s1
	v_perm_b32 v6, v11, v15, s1
	v_add_u32_e32 v2, 0x80, v2
	ds_write2st64_b32 v2, v3, v6 offset0:1 offset1:33
	v_xor_b32_e32 v2, 32, v0
	v_perm_b32 v3, v4, v8, s0
	v_perm_b32 v6, v12, v16, s0
	ds_write2st64_b32 v2, v3, v6 offset0:2 offset1:34
	v_xor_b32_e32 v2, 40, v0
	v_perm_b32 v3, v4, v8, s1
	v_perm_b32 v4, v12, v16, s1
	v_add_u32_e32 v2, 0x80, v2
	ds_write2st64_b32 v2, v3, v4 offset0:2 offset1:34
	v_xor_b32_e32 v2, 48, v0
	v_perm_b32 v3, v5, v9, s0
	v_perm_b32 v4, v13, v17, s0
	v_xor_b32_e32 v0, 56, v0
	v_and_or_b32 v8, v37, 12, v45
	ds_write2st64_b32 v2, v3, v4 offset0:3 offset1:35
	v_perm_b32 v2, v5, v9, s1
	v_perm_b32 v3, v13, v17, s1
	v_add_u32_e32 v0, 0x80, v0
	v_cmp_gt_i32_e64 s[2:3], s43, v8
	v_mov_b32_e32 v10, 0
	v_mov_b32_e32 v15, 0
	ds_write2st64_b32 v0, v2, v3 offset0:3 offset1:35
	s_and_saveexec_b64 s[0:1], s[2:3]
	s_cbranch_execz .LBB671_60
; %bb.59:
	v_add_u32_e32 v0, s42, v8
	v_ashrrev_i32_e32 v2, 31, v0
	v_mul_lo_u32 v4, v2, s34
	v_mul_lo_u32 v5, v0, s35
	v_mad_u64_u32 v[2:3], s[4:5], v0, s34, 0
	v_add3_u32 v3, v3, v5, v4
	v_lshl_add_u64 v[2:3], v[2:3], 2, s[10:11]
	global_load_dword v0, v[2:3], off
	s_waitcnt vmcnt(0)
	v_sub_f32_e32 v0, s12, v0
	v_exp_f32_e32 v15, v0
.LBB671_60:
	s_or_b64 exec, exec, s[0:1]
	v_or_b32_e32 v13, 1, v8
	v_cmp_gt_i32_e64 s[4:5], s43, v13
	s_and_saveexec_b64 s[0:1], s[4:5]
	s_cbranch_execz .LBB671_62
; %bb.61:
	v_add_u32_e32 v0, s42, v13
	v_ashrrev_i32_e32 v2, 31, v0
	v_mul_lo_u32 v4, v2, s34
	v_mul_lo_u32 v5, v0, s35
	v_mad_u64_u32 v[2:3], s[6:7], v0, s34, 0
	v_add3_u32 v3, v3, v5, v4
	v_lshl_add_u64 v[2:3], v[2:3], 2, s[10:11]
	global_load_dword v0, v[2:3], off
	s_waitcnt vmcnt(0)
	v_sub_f32_e32 v0, s12, v0
	v_exp_f32_e32 v10, v0
.LBB671_62:
	s_or_b64 exec, exec, s[0:1]
	v_or_b32_e32 v11, 2, v8
	v_cmp_gt_i32_e32 vcc, s43, v11
	v_mov_b32_e32 v9, 0
	v_mov_b32_e32 v14, 0
	s_and_saveexec_b64 s[0:1], vcc
	s_cbranch_execz .LBB671_64
; %bb.63:
	v_add_u32_e32 v0, s42, v11
	v_ashrrev_i32_e32 v2, 31, v0
	v_mul_lo_u32 v4, v2, s34
	v_mul_lo_u32 v5, v0, s35
	v_mad_u64_u32 v[2:3], s[6:7], v0, s34, 0
	v_add3_u32 v3, v3, v5, v4
	v_lshl_add_u64 v[2:3], v[2:3], 2, s[10:11]
	global_load_dword v0, v[2:3], off
	s_waitcnt vmcnt(0)
	v_sub_f32_e32 v0, s12, v0
	v_exp_f32_e32 v14, v0
.LBB671_64:
	s_or_b64 exec, exec, s[0:1]
	v_or_b32_e32 v12, 3, v8
	v_cmp_gt_i32_e64 s[0:1], s43, v12
	s_and_saveexec_b64 s[6:7], s[0:1]
	s_cbranch_execz .LBB671_66
; %bb.65:
	v_add_u32_e32 v0, s42, v12
	v_ashrrev_i32_e32 v2, 31, v0
	v_mul_lo_u32 v4, v2, s34
	v_mul_lo_u32 v5, v0, s35
	v_mad_u64_u32 v[2:3], s[16:17], v0, s34, 0
	v_add3_u32 v3, v3, v5, v4
	v_lshl_add_u64 v[2:3], v[2:3], 2, s[10:11]
	global_load_dword v0, v[2:3], off
	s_waitcnt vmcnt(0)
	v_sub_f32_e32 v0, s12, v0
	v_exp_f32_e32 v9, v0
.LBB671_66:
	s_or_b64 exec, exec, s[6:7]
	s_waitcnt lgkmcnt(11)
	v_mfma_f32_16x16x16_bf16 a[0:3], v[32:33], v[22:23], a[0:3]
	v_or_b32_e32 v0, s36, v1
	s_add_u32 s6, s8, s28
	v_ashrrev_i32_e32 v1, 31, v0
	s_waitcnt lgkmcnt(10)
	v_mfma_f32_16x16x16_bf16 a[0:3], v[30:31], v[24:25], a[0:3]
	s_addc_u32 s7, s9, s29
	v_lshlrev_b64 v[0:1], 1, v[0:1]
	v_lshl_add_u64 v[4:5], s[6:7], 0, v[0:1]
	s_waitcnt lgkmcnt(9)
	v_mfma_f32_16x16x16_bf16 a[0:3], v[28:29], v[18:19], a[0:3]
	s_add_u32 s6, s14, s28
	s_addc_u32 s7, s15, s29
	v_lshl_add_u64 v[6:7], s[6:7], 0, v[0:1]
	s_waitcnt lgkmcnt(8)
	v_mfma_f32_16x16x16_bf16 a[0:3], v[26:27], v[20:21], a[0:3]
	v_mov_b32_e32 v16, 0
	v_mov_b32_e32 v17, 0
	s_nop 4
	v_accvgpr_read_b32 v0, a0
	v_accvgpr_read_b32 v1, a1
	;; [unrolled: 1-line block ×4, first 2 shown]
	s_and_saveexec_b64 s[6:7], s[2:3]
	s_cbranch_execz .LBB671_68
; %bb.67:
	v_lshlrev_b32_e32 v18, 8, v8
	v_mov_b32_e32 v19, 0
	v_lshl_add_u64 v[20:21], v[4:5], 0, v[18:19]
	global_load_ushort v17, v[20:21], off
	v_lshl_add_u64 v[18:19], v[6:7], 0, v[18:19]
	s_waitcnt vmcnt(0)
	v_lshlrev_b32_e32 v17, 16, v17
	v_sub_f32_e32 v0, v17, v0
	global_store_short_d16_hi v[18:19], v0, off
	v_mul_f32_e32 v0, v15, v0
	v_lshrrev_b32_e32 v17, 16, v0
.LBB671_68:
	s_or_b64 exec, exec, s[6:7]
	s_and_saveexec_b64 s[2:3], s[4:5]
	s_cbranch_execz .LBB671_70
; %bb.69:
	v_lshlrev_b32_e32 v18, 8, v13
	v_mov_b32_e32 v19, 0
	v_lshl_add_u64 v[20:21], v[4:5], 0, v[18:19]
	global_load_ushort v0, v[20:21], off
	v_lshl_add_u64 v[18:19], v[6:7], 0, v[18:19]
	s_waitcnt vmcnt(0)
	v_lshlrev_b32_e32 v0, 16, v0
	v_sub_f32_e32 v0, v0, v1
	global_store_short_d16_hi v[18:19], v0, off
	v_mul_f32_e32 v0, v10, v0
	v_lshrrev_b32_e32 v16, 16, v0
.LBB671_70:
	s_or_b64 exec, exec, s[2:3]
	v_mov_b32_e32 v0, 0
	v_mov_b32_e32 v1, 0
	s_and_saveexec_b64 s[2:3], vcc
	s_cbranch_execz .LBB671_72
; %bb.71:
	v_lshlrev_b32_e32 v10, 8, v11
	v_mov_b32_e32 v11, 0
	v_lshl_add_u64 v[18:19], v[4:5], 0, v[10:11]
	global_load_ushort v1, v[18:19], off
	v_lshl_add_u64 v[10:11], v[6:7], 0, v[10:11]
	s_waitcnt vmcnt(0)
	v_lshlrev_b32_e32 v1, 16, v1
	v_sub_f32_e32 v1, v1, v2
	global_store_short_d16_hi v[10:11], v1, off
	v_mul_f32_e32 v1, v14, v1
	v_lshrrev_b32_e32 v1, 16, v1
.LBB671_72:
	s_or_b64 exec, exec, s[2:3]
	s_and_saveexec_b64 s[2:3], s[0:1]
	s_cbranch_execz .LBB671_74
; %bb.73:
	v_lshlrev_b32_e32 v10, 8, v12
	v_mov_b32_e32 v11, 0
	v_lshl_add_u64 v[4:5], v[4:5], 0, v[10:11]
	global_load_ushort v0, v[4:5], off
	v_lshl_add_u64 v[4:5], v[6:7], 0, v[10:11]
	s_waitcnt vmcnt(0)
	v_lshlrev_b32_e32 v0, 16, v0
	v_sub_f32_e32 v0, v0, v3
	global_store_short_d16_hi v[4:5], v0, off
	v_mul_f32_e32 v0, v9, v0
	v_lshrrev_b32_e32 v0, 16, v0
.LBB671_74:
	s_or_b64 exec, exec, s[2:3]
	s_mov_b32 s0, 0x5040100
	v_lshlrev_b32_e32 v2, 1, v34
	v_perm_b32 v1, v0, v1, s0
	v_perm_b32 v0, v16, v17, s0
	v_lshl_or_b32 v2, v8, 5, v2
	ds_write_b64 v2, v[0:1] offset:38912
	s_waitcnt lgkmcnt(0)
	s_barrier
.LBB671_75:
	s_endpgm
	.section	.rodata,"a",@progbits
	.p2align	6, 0x0
	.amdhsa_kernel _ZN12_GLOBAL__N_139chunk_gated_delta_rule_fwd_h_hip_kernelILi16ELb0ELb0ELb1ELb0ELb1ELb1ELb0ELb0EEEvPK12hip_bfloat16S3_S3_PKfS5_PKvPS1_S8_PvPKiSB_iiiiilll
		.amdhsa_group_segment_fixed_size 40960
		.amdhsa_private_segment_fixed_size 0
		.amdhsa_kernarg_size 136
		.amdhsa_user_sgpr_count 2
		.amdhsa_user_sgpr_dispatch_ptr 0
		.amdhsa_user_sgpr_queue_ptr 0
		.amdhsa_user_sgpr_kernarg_segment_ptr 1
		.amdhsa_user_sgpr_dispatch_id 0
		.amdhsa_user_sgpr_kernarg_preload_length 0
		.amdhsa_user_sgpr_kernarg_preload_offset 0
		.amdhsa_user_sgpr_private_segment_size 0
		.amdhsa_uses_dynamic_stack 0
		.amdhsa_enable_private_segment 0
		.amdhsa_system_sgpr_workgroup_id_x 1
		.amdhsa_system_sgpr_workgroup_id_y 1
		.amdhsa_system_sgpr_workgroup_id_z 0
		.amdhsa_system_sgpr_workgroup_info 0
		.amdhsa_system_vgpr_workitem_id 0
		.amdhsa_next_free_vgpr 128
		.amdhsa_next_free_sgpr 68
		.amdhsa_accum_offset 116
		.amdhsa_reserve_vcc 1
		.amdhsa_float_round_mode_32 0
		.amdhsa_float_round_mode_16_64 0
		.amdhsa_float_denorm_mode_32 3
		.amdhsa_float_denorm_mode_16_64 3
		.amdhsa_dx10_clamp 1
		.amdhsa_ieee_mode 1
		.amdhsa_fp16_overflow 0
		.amdhsa_tg_split 0
		.amdhsa_exception_fp_ieee_invalid_op 0
		.amdhsa_exception_fp_denorm_src 0
		.amdhsa_exception_fp_ieee_div_zero 0
		.amdhsa_exception_fp_ieee_overflow 0
		.amdhsa_exception_fp_ieee_underflow 0
		.amdhsa_exception_fp_ieee_inexact 0
		.amdhsa_exception_int_div_zero 0
	.end_amdhsa_kernel
	.section	.text._ZN12_GLOBAL__N_139chunk_gated_delta_rule_fwd_h_hip_kernelILi16ELb0ELb0ELb1ELb0ELb1ELb1ELb0ELb0EEEvPK12hip_bfloat16S3_S3_PKfS5_PKvPS1_S8_PvPKiSB_iiiiilll,"axG",@progbits,_ZN12_GLOBAL__N_139chunk_gated_delta_rule_fwd_h_hip_kernelILi16ELb0ELb0ELb1ELb0ELb1ELb1ELb0ELb0EEEvPK12hip_bfloat16S3_S3_PKfS5_PKvPS1_S8_PvPKiSB_iiiiilll,comdat
.Lfunc_end671:
	.size	_ZN12_GLOBAL__N_139chunk_gated_delta_rule_fwd_h_hip_kernelILi16ELb0ELb0ELb1ELb0ELb1ELb1ELb0ELb0EEEvPK12hip_bfloat16S3_S3_PKfS5_PKvPS1_S8_PvPKiSB_iiiiilll, .Lfunc_end671-_ZN12_GLOBAL__N_139chunk_gated_delta_rule_fwd_h_hip_kernelILi16ELb0ELb0ELb1ELb0ELb1ELb1ELb0ELb0EEEvPK12hip_bfloat16S3_S3_PKfS5_PKvPS1_S8_PvPKiSB_iiiiilll
                                        ; -- End function
	.section	.AMDGPU.csdata,"",@progbits
; Kernel info:
; codeLenInByte = 7468
; NumSgprs: 74
; NumVgprs: 114
; NumAgprs: 12
; TotalNumVgprs: 128
; ScratchSize: 0
; MemoryBound: 0
; FloatMode: 240
; IeeeMode: 1
; LDSByteSize: 40960 bytes/workgroup (compile time only)
; SGPRBlocks: 9
; VGPRBlocks: 15
; NumSGPRsForWavesPerEU: 74
; NumVGPRsForWavesPerEU: 128
; AccumOffset: 116
; Occupancy: 1
; WaveLimiterHint : 1
; COMPUTE_PGM_RSRC2:SCRATCH_EN: 0
; COMPUTE_PGM_RSRC2:USER_SGPR: 2
; COMPUTE_PGM_RSRC2:TRAP_HANDLER: 0
; COMPUTE_PGM_RSRC2:TGID_X_EN: 1
; COMPUTE_PGM_RSRC2:TGID_Y_EN: 1
; COMPUTE_PGM_RSRC2:TGID_Z_EN: 0
; COMPUTE_PGM_RSRC2:TIDIG_COMP_CNT: 0
; COMPUTE_PGM_RSRC3_GFX90A:ACCUM_OFFSET: 28
; COMPUTE_PGM_RSRC3_GFX90A:TG_SPLIT: 0
	.section	.text._ZN12_GLOBAL__N_139chunk_gated_delta_rule_fwd_h_hip_kernelILi16ELb0ELb0ELb0ELb0ELb1ELb1ELb0ELb0EEEvPK12hip_bfloat16S3_S3_PKfS5_PKvPS1_S8_PvPKiSB_iiiiilll,"axG",@progbits,_ZN12_GLOBAL__N_139chunk_gated_delta_rule_fwd_h_hip_kernelILi16ELb0ELb0ELb0ELb0ELb1ELb1ELb0ELb0EEEvPK12hip_bfloat16S3_S3_PKfS5_PKvPS1_S8_PvPKiSB_iiiiilll,comdat
	.globl	_ZN12_GLOBAL__N_139chunk_gated_delta_rule_fwd_h_hip_kernelILi16ELb0ELb0ELb0ELb0ELb1ELb1ELb0ELb0EEEvPK12hip_bfloat16S3_S3_PKfS5_PKvPS1_S8_PvPKiSB_iiiiilll ; -- Begin function _ZN12_GLOBAL__N_139chunk_gated_delta_rule_fwd_h_hip_kernelILi16ELb0ELb0ELb0ELb0ELb1ELb1ELb0ELb0EEEvPK12hip_bfloat16S3_S3_PKfS5_PKvPS1_S8_PvPKiSB_iiiiilll
	.p2align	8
	.type	_ZN12_GLOBAL__N_139chunk_gated_delta_rule_fwd_h_hip_kernelILi16ELb0ELb0ELb0ELb0ELb1ELb1ELb0ELb0EEEvPK12hip_bfloat16S3_S3_PKfS5_PKvPS1_S8_PvPKiSB_iiiiilll,@function
_ZN12_GLOBAL__N_139chunk_gated_delta_rule_fwd_h_hip_kernelILi16ELb0ELb0ELb0ELb0ELb1ELb1ELb0ELb0EEEvPK12hip_bfloat16S3_S3_PKfS5_PKvPS1_S8_PvPKiSB_iiiiilll: ; @_ZN12_GLOBAL__N_139chunk_gated_delta_rule_fwd_h_hip_kernelILi16ELb0ELb0ELb0ELb0ELb1ELb1ELb0ELb0EEEvPK12hip_bfloat16S3_S3_PKfS5_PKvPS1_S8_PvPKiSB_iiiiilll
; %bb.0:
	s_load_dwordx4 s[12:15], s[0:1], 0x5c
	s_load_dwordx2 s[36:37], s[0:1], 0x30
	s_abs_i32 s18, s3
	s_ashr_i32 s17, s3, 31
	s_load_dwordx8 s[4:11], s[0:1], 0x0
	s_waitcnt lgkmcnt(0)
	s_abs_i32 s16, s13
	v_cvt_f32_u32_e32 v1, s16
	s_sub_i32 s20, 0, s16
	s_ashr_i32 s19, s13, 31
	s_xor_b32 s17, s17, s19
	v_rcp_iflag_f32_e32 v1, v1
	v_lshrrev_b32_e32 v59, 6, v0
	v_bfe_u32 v60, v0, 4, 2
	v_lshlrev_b32_e32 v45, 4, v59
	v_mul_f32_e32 v1, 0x4f7ffffe, v1
	v_cvt_u32_f32_e32 v1, v1
	v_lshlrev_b32_e32 v2, 2, v60
	v_and_b32_e32 v58, 63, v0
	v_or_b32_e32 v63, v2, v45
	v_readfirstlane_b32 s21, v1
	s_mul_i32 s20, s20, s21
	s_mul_hi_u32 s20, s21, s20
	s_add_i32 s21, s21, s20
	s_mul_hi_u32 s20, s18, s21
	s_mul_i32 s21, s20, s16
	s_sub_i32 s18, s18, s21
	s_add_i32 s22, s20, 1
	s_sub_i32 s21, s18, s16
	s_cmp_ge_u32 s18, s16
	s_cselect_b32 s20, s22, s20
	s_cselect_b32 s18, s21, s18
	s_add_i32 s21, s20, 1
	s_cmp_ge_u32 s18, s16
	s_cselect_b32 s18, s21, s20
	s_abs_i32 s20, s14
	v_cvt_f32_u32_e32 v1, s20
	s_xor_b32 s18, s18, s17
	s_ashr_i32 s46, s12, 31
	s_sub_i32 s48, s18, s17
	v_rcp_iflag_f32_e32 v1, v1
	s_lshr_b32 s17, s46, 26
	s_add_i32 s17, s12, s17
	s_ashr_i32 s49, s14, 31
	v_mul_f32_e32 v1, 0x4f7ffffe, v1
	v_cvt_u32_f32_e32 v1, v1
	s_ashr_i32 s47, s17, 6
	s_xor_b32 s17, s19, s49
	s_sub_i32 s18, 0, s20
	v_readfirstlane_b32 s19, v1
	s_mul_i32 s18, s18, s19
	s_mul_hi_u32 s18, s19, s18
	s_add_i32 s19, s19, s18
	s_mul_hi_u32 s18, s16, s19
	s_mul_i32 s19, s18, s20
	s_mul_i32 s45, s48, s13
	s_sub_i32 s16, s16, s19
	s_sub_i32 s33, s3, s45
	s_add_i32 s3, s12, 63
	s_add_i32 s19, s18, 1
	s_sub_i32 s21, s16, s20
	s_cmp_ge_u32 s16, s20
	s_cselect_b32 s18, s19, s18
	s_cselect_b32 s16, s21, s16
	s_add_i32 s19, s18, 1
	s_cmp_ge_u32 s16, s20
	s_cselect_b32 s16, s19, s18
	s_xor_b32 s16, s16, s17
	s_sub_i32 s20, s16, s17
	s_abs_i32 s21, s20
	v_cvt_f32_u32_e32 v1, s21
	s_sub_i32 s23, 0, s21
	s_abs_i32 s22, s33
	s_xor_b32 s20, s33, s20
	v_rcp_iflag_f32_e32 v1, v1
	s_ashr_i32 s20, s20, 31
	s_load_dwordx2 s[28:29], s[0:1], 0x80
	s_load_dwordx4 s[16:19], s[0:1], 0x70
	v_mov_b32_e32 v49, 0
	v_mul_f32_e32 v1, 0x4f7ffffe, v1
	v_cvt_u32_f32_e32 v1, v1
	v_or_b32_e32 v64, 64, v63
	s_mul_hi_i32 s51, s48, s13
	v_lshrrev_b32_e32 v62, 3, v58
	v_readfirstlane_b32 s24, v1
	s_mul_i32 s23, s23, s24
	s_mul_hi_u32 s23, s24, s23
	s_add_i32 s24, s24, s23
	s_mul_hi_u32 s23, s22, s24
	s_mul_i32 s24, s23, s21
	s_sub_i32 s22, s22, s24
	s_add_i32 s24, s23, 1
	s_sub_i32 s25, s22, s21
	s_cmp_ge_u32 s22, s21
	s_cselect_b32 s23, s24, s23
	s_cselect_b32 s22, s25, s22
	s_add_i32 s24, s23, 1
	s_cmp_ge_u32 s22, s21
	s_cselect_b32 s21, s24, s23
	s_xor_b32 s21, s21, s20
	s_sub_i32 s52, s21, s20
	s_ashr_i32 s20, s3, 31
	s_lshr_b32 s20, s20, 26
	s_add_i32 s3, s3, s20
	s_ashr_i32 s3, s3, 6
	s_lshl_b32 s30, s2, 4
	s_mul_i32 s50, s48, s3
	v_and_b32_e32 v1, 15, v0
	s_cmp_lt_i32 s12, 64
	v_lshlrev_b32_e32 v61, 3, v0
	s_waitcnt lgkmcnt(0)
	s_mul_i32 s17, s48, s17
	s_mul_hi_u32 s44, s48, s16
	s_mul_i32 s34, s48, s16
	v_mov_b32_e32 v48, v49
	v_mov_b32_e32 v51, v49
	v_mov_b32_e32 v50, v49
	v_mov_b32_e32 v53, v49
	v_mov_b32_e32 v52, v49
	v_mov_b32_e32 v47, v49
	v_mov_b32_e32 v46, v49
	s_cbranch_scc1 .LBB672_18
; %bb.1:
	s_ashr_i32 s24, s48, 31
	s_ashr_i32 s54, s33, 31
	s_add_u32 s2, s45, s33
	s_addc_u32 s3, s51, s54
	s_mul_i32 s3, s12, s3
	s_mul_hi_u32 s20, s12, s2
	s_add_i32 s39, s20, s3
	s_mul_i32 s38, s12, s2
	s_lshl_b64 s[2:3], s[38:39], 8
	v_and_b32_e32 v66, 56, v61
	s_add_u32 s20, s6, s2
	v_lshl_or_b32 v65, v59, 3, v62
	v_lshlrev_b32_e32 v3, 1, v66
	s_addc_u32 s2, s7, s3
	v_lshl_or_b32 v67, v65, 8, v3
	s_and_b32 s21, s2, 0xffff
	s_mov_b32 s23, 0x20000
	s_movk_i32 s22, 0x4000
	s_movk_i32 s2, 0x80
	v_or_b32_e32 v68, 0x2000, v67
	buffer_load_dwordx4 v[4:7], v67, s[20:23], 0 offen
	buffer_load_dwordx4 v[8:11], v67, s[20:23], s2 offen
	;; [unrolled: 1-line block ×4, first 2 shown]
	v_lshlrev_b32_e32 v20, 3, v65
	v_and_or_b32 v22, v0, 7, v20
	v_and_b32_e32 v20, 0x78, v20
	v_lshlrev_b32_e32 v22, 4, v22
	v_xor_b32_e32 v69, v22, v20
	v_mul_lo_u32 v21, v65, s15
	v_or_b32_e32 v70, 0x1000, v69
	s_cmpk_eq_i32 s15, 0x80
	s_mov_b32 s53, s14
	v_xor_b32_e32 v20, 8, v69
	v_xor_b32_e32 v22, 8, v70
	s_cselect_b64 s[2:3], -1, 0
	s_cmpk_lg_i32 s15, 0x80
	s_waitcnt vmcnt(3)
	ds_write_b64 v69, v[4:5] offset:16384
	ds_write_b64 v20, v[6:7] offset:16384
	s_waitcnt vmcnt(2)
	ds_write_b64 v69, v[8:9] offset:24576
	ds_write_b64 v20, v[10:11] offset:24576
	;; [unrolled: 3-line block ×4, first 2 shown]
	v_lshl_add_u32 v4, v21, 1, v66
	s_cbranch_scc0 .LBB672_3
; %bb.2:
	v_lshlrev_b32_e32 v6, 1, v4
	v_add_lshl_u32 v5, v4, s15, 1
	s_lshl_b32 s22, s15, 7
	s_load_dwordx2 s[40:41], s[0:1], 0x20
	v_lshl_or_b32 v3, v65, 9, v3
	s_cbranch_execz .LBB672_4
	s_branch .LBB672_5
.LBB672_3:
                                        ; implicit-def: $vgpr5
                                        ; implicit-def: $vgpr6
                                        ; implicit-def: $sgpr22
	s_load_dwordx2 s[40:41], s[0:1], 0x20
	v_lshl_or_b32 v3, v65, 9, v3
.LBB672_4:
	v_or_b32_e32 v5, 0x100, v3
	s_movk_i32 s22, 0x4000
	v_mov_b32_e32 v6, v3
.LBB672_5:
	s_mul_hi_u32 s0, s14, s12
	s_mul_i32 s1, s49, s12
	s_add_i32 s0, s0, s1
	s_mul_i32 s1, s14, s12
	s_mul_i32 s20, s1, s24
	s_mul_hi_u32 s21, s1, s48
	s_add_i32 s20, s21, s20
	s_mul_i32 s0, s0, s48
	s_add_i32 s20, s20, s0
	s_mul_i32 s1, s1, s48
	s_ashr_i32 s55, s52, 31
	s_add_u32 s0, s1, s52
	s_addc_u32 s1, s20, s55
	s_lshl_b64 s[0:1], s[0:1], 8
	s_add_u32 s20, s4, s0
	s_addc_u32 s0, s5, s1
	s_and_b32 s21, s0, 0xffff
	s_movk_i32 s56, 0x80
	buffer_load_dwordx4 v[8:11], v6, s[20:23], 0 offen
	buffer_load_dwordx4 v[12:15], v6, s[20:23], s56 offen
	;; [unrolled: 1-line block ×4, first 2 shown]
	v_and_b32_e32 v5, 6, v0
	s_mul_i32 s0, s24, s12
	s_mul_hi_u32 s1, s48, s12
	v_lshlrev_b32_e32 v7, 2, v1
	v_lshlrev_b32_e32 v24, 3, v1
	v_xor_b32_e32 v26, v65, v5
	v_and_b32_e32 v6, 1, v0
	s_mul_i32 s24, s24, s16
	v_lshl_or_b32 v24, v63, 5, v24
	v_xor_b32_e32 v27, v63, v7
	v_lshlrev_b32_e32 v26, 2, v26
	s_add_i32 s61, s1, s0
	s_add_i32 s0, s44, s17
	v_or_b32_e32 v71, 0x9000, v24
	v_or_b32_e32 v72, 0x9800, v24
	v_lshlrev_b32_e32 v24, 1, v27
	v_xor_b32_e32 v27, 0x440, v26
	v_cmp_eq_u32_e32 vcc, 0, v6
	s_add_i32 s35, s0, s24
	s_mul_i32 s0, s33, s19
	s_mul_hi_u32 s1, s33, s18
	v_cndmask_b32_e32 v6, v27, v26, vcc
	s_add_i32 s0, s1, s0
	s_mul_i32 s1, s54, s18
	s_mov_b32 s59, 0x1000504
	v_lshlrev_b32_e32 v25, 8, v1
	s_mov_b32 s22, 0x8000
	v_xor_b32_e32 v7, v64, v7
	v_lshl_or_b32 v5, v5, 10, v6
	s_add_i32 s1, s0, s1
	s_lshl_b64 s[20:21], s[34:35], 2
	s_mov_b32 s60, 0x3020706
	v_lshlrev_b32_e32 v7, 1, v7
	v_or3_b32 v73, v24, v25, s22
	v_xor_b32_e32 v6, 8, v5
	v_xor_b32_e32 v24, 24, v5
	;; [unrolled: 1-line block ×4, first 2 shown]
	s_mul_i32 s0, s33, s18
	s_add_u32 s20, s10, s20
	v_or3_b32 v74, v7, v25, s22
	v_xor_b32_e32 v7, 16, v5
	v_xor_b32_e32 v25, 32, v5
	;; [unrolled: 1-line block ×3, first 2 shown]
	v_add_u32_e32 v6, 0x80, v6
	v_add_u32_e32 v24, 0x80, v24
	;; [unrolled: 1-line block ×4, first 2 shown]
	s_addc_u32 s21, s11, s21
	s_lshl_b64 s[0:1], s[0:1], 2
	s_add_u32 s42, s20, s0
	s_movk_i32 s0, 0xf8
	s_addc_u32 s43, s21, s1
	s_ashr_i32 s31, s30, 31
	s_lshl_b32 s26, s15, 7
	v_mov_b32_e32 v47, 0
	s_mul_i32 s57, s48, s12
	s_mov_b32 s58, 0
	v_add_u32_e32 v85, v45, v2
	s_mov_b32 s35, 0x7060302
	s_mov_b32 s63, 0
	v_mov_b32_e32 v52, v47
	v_mov_b32_e32 v53, v47
	;; [unrolled: 1-line block ×6, first 2 shown]
	s_waitcnt vmcnt(1)
	v_perm_b32 v29, v8, v16, s59
	s_waitcnt vmcnt(0)
	v_perm_b32 v30, v12, v20, s59
	v_perm_b32 v8, v8, v16, s60
	;; [unrolled: 1-line block ×15, first 2 shown]
	ds_write2st64_b32 v5, v29, v30 offset1:32
	ds_write2st64_b32 v6, v8, v12 offset1:32
	ds_write2st64_b32 v7, v16, v20 offset0:1 offset1:33
	ds_write2st64_b32 v24, v9, v13 offset0:1 offset1:33
	;; [unrolled: 1-line block ×6, first 2 shown]
	v_or_b32_e32 v5, v45, v1
	v_lshlrev_b32_e32 v5, 3, v5
	v_lshrrev_b32_e32 v7, 5, v58
	v_and_or_b32 v7, v5, s0, v7
	v_lshlrev_b32_e32 v7, 4, v7
	v_lshrrev_b32_e32 v6, 2, v58
	v_lshlrev_b32_e32 v9, 11, v59
	v_and_b32_e32 v5, 0x78, v5
	v_or_b32_e32 v12, 32, v7
	v_and_b32_e32 v8, 12, v6
	v_and_b32_e32 v6, 0x1000, v9
	v_lshrrev_b32_e32 v11, 1, v58
	v_xor_b32_e32 v12, v12, v5
	v_and_b32_e32 v11, 8, v11
	v_or_b32_e32 v12, v12, v6
	v_xor_b32_e32 v10, v7, v5
	v_xor_b32_e32 v77, v12, v11
	v_or_b32_e32 v12, 64, v7
	v_or_b32_e32 v7, 0x60, v7
	v_or_b32_e32 v10, v10, v6
	v_xor_b32_e32 v12, v12, v5
	v_xor_b32_e32 v5, v7, v5
	;; [unrolled: 1-line block ×3, first 2 shown]
	v_and_b32_e32 v10, 0x78, v61
	v_or_b32_e32 v5, v5, v6
	v_lshl_or_b32 v10, v60, 7, v10
	v_or_b32_e32 v12, v12, v6
	v_xor_b32_e32 v79, v5, v11
	v_lshlrev_b32_e32 v5, 1, v1
	v_or_b32_e32 v76, 0x9000, v10
	v_xor_b32_e32 v78, v12, v11
	v_or_b32_e32 v80, 0x9800, v10
	v_lshlrev_b32_e32 v10, 1, v4
	v_add_lshl_u32 v11, v4, s15, 1
	v_lshrrev_b32_e32 v4, 4, v0
	s_lshl_b64 s[0:1], s[30:31], 8
	v_or_b32_e32 v13, 1, v5
	s_add_u32 s0, s36, s0
	v_xor_b32_e32 v5, v4, v5
	v_xor_b32_e32 v13, v13, v4
	s_addc_u32 s1, s37, s1
	v_lshlrev_b32_e32 v5, 3, v5
	v_lshlrev_b32_e32 v46, 8, v4
	;; [unrolled: 1-line block ×3, first 2 shown]
	v_lshrrev_b32_e32 v17, 1, v0
	v_or3_b32 v81, v5, v46, s22
	v_or3_b32 v82, v4, v46, s22
	v_lshl_add_u64 v[4:5], s[0:1], 0, v[46:47]
	v_lshlrev_b32_e32 v46, 4, v1
	s_movk_i32 s0, 0xff
	v_lshlrev_b32_e32 v16, 3, v59
	v_and_b32_e32 v17, 24, v17
	v_lshl_add_u64 v[54:55], v[4:5], 0, v[46:47]
	v_and_b32_e32 v5, 8, v0
	v_cmp_lt_u32_e32 vcc, s0, v0
	v_xor_b32_e32 v18, v16, v17
	v_or_b32_e32 v19, 0x440, v18
	v_cndmask_b32_e64 v15, 0, 1, vcc
	v_cmp_eq_u32_e32 vcc, 0, v5
	v_or_b32_e32 v21, 64, v17
	v_xor_b32_e32 v21, v16, v21
	v_cndmask_b32_e32 v5, v19, v18, vcc
	v_or_b32_e32 v19, 32, v17
	v_or_b32_e32 v17, 0x60, v17
	v_xor_b32_e32 v19, v16, v19
	v_xor_b32_e32 v16, v16, v17
	v_or_b32_e32 v20, 0x440, v19
	v_xor_b32_e32 v22, 0x440, v21
	v_xor_b32_e32 v17, 0x440, v16
	v_and_b32_e32 v4, 7, v0
	v_cndmask_b32_e32 v19, v20, v19, vcc
	v_cndmask_b32_e32 v21, v22, v21, vcc
	;; [unrolled: 1-line block ×3, first 2 shown]
	v_or_b32_e32 v6, s30, v1
	v_lshlrev_b32_e32 v13, 3, v4
	v_or_b32_e32 v5, v5, v9
	v_or_b32_e32 v19, v19, v9
	;; [unrolled: 1-line block ×4, first 2 shown]
	v_ashrrev_i32_e32 v7, 31, v6
	v_lshlrev_b32_e32 v15, 13, v15
	v_xor_b32_e32 v5, v5, v13
	v_xor_b32_e32 v19, v19, v13
	;; [unrolled: 1-line block ×4, first 2 shown]
	v_lshl_add_u64 v[6:7], v[6:7], 1, s[8:9]
	v_or_b32_e32 v12, 0x100, v3
	v_lshlrev_b32_e32 v14, 7, v4
	v_or_b32_e32 v4, v8, v45
	v_add_u32_e32 v18, v15, v5
	v_add_u32_e32 v20, v15, v19
	;; [unrolled: 1-line block ×4, first 2 shown]
	v_or3_b32 v8, v45, v8, 64
	v_add_u32_e32 v5, 0x2000, v5
	v_add_u32_e32 v15, 0x2000, v19
	;; [unrolled: 1-line block ×4, first 2 shown]
	v_lshlrev_b32_e32 v46, 8, v63
	v_cndmask_b32_e64 v83, v10, v3, s[2:3]
	v_cndmask_b32_e64 v84, v11, v12, s[2:3]
	v_lshl_add_u64 v[56:57], v[6:7], 0, v[46:47]
	s_add_i32 s31, s57, 63
	s_movk_i32 s22, 0x4000
	v_lshlrev_b32_e32 v86, 2, v4
	v_add_u32_e32 v87, v18, v14
	v_add_u32_e32 v88, v20, v14
	;; [unrolled: 1-line block ×4, first 2 shown]
	v_lshlrev_b32_e32 v91, 2, v8
	v_add_u32_e32 v92, v5, v14
	v_add_u32_e32 v93, v15, v14
	;; [unrolled: 1-line block ×4, first 2 shown]
	v_mov_b32_e32 v46, v47
	s_waitcnt lgkmcnt(0)
	s_barrier
.LBB672_6:                              ; =>This Inner Loop Header: Depth=1
	s_add_i32 s62, s63, 1
	s_cmp_lt_i32 s62, s47
	s_mov_b64 s[24:25], 0
	s_cselect_b64 s[2:3], -1, 0
	s_cmp_ge_i32 s62, s47
	s_mov_b64 s[20:21], 0
	s_cbranch_scc1 .LBB672_8
; %bb.7:                                ;   in Loop: Header=BB672_6 Depth=1
	s_add_i32 s0, s58, 64
	s_add_u32 s0, s38, s0
	s_addc_u32 s1, s39, 0
	s_lshl_b64 s[0:1], s[0:1], 8
	s_add_u32 s20, s6, s0
	s_addc_u32 s21, s7, s1
.LBB672_8:                              ;   in Loop: Header=BB672_6 Depth=1
	v_cndmask_b32_e64 v2, 0, 1, s[2:3]
	v_cmp_ne_u32_e64 s[0:1], 1, v2
	s_andn2_b64 vcc, exec, s[2:3]
	s_cbranch_vccnz .LBB672_10
; %bb.9:                                ;   in Loop: Header=BB672_6 Depth=1
	s_add_i32 s2, s58, 64
	s_add_u32 s2, s57, s2
	s_addc_u32 s3, s61, 0
	s_mul_i32 s24, s2, s49
	s_mul_hi_u32 s25, s2, s53
	s_add_i32 s24, s25, s24
	s_mul_i32 s3, s3, s53
	s_add_i32 s24, s24, s3
	s_mul_i32 s2, s2, s53
	s_add_u32 s2, s2, s52
	s_addc_u32 s3, s24, s55
	s_lshl_b64 s[2:3], s[2:3], 8
	s_add_u32 s24, s4, s2
	s_addc_u32 s25, s5, s3
.LBB672_10:                             ;   in Loop: Header=BB672_6 Depth=1
	v_perm_b32 v3, v53, v52, s35
	v_perm_b32 v2, v47, v46, s35
	;; [unrolled: 1-line block ×4, first 2 shown]
	ds_write_b64 v71, v[2:3]
	ds_write_b64 v72, v[4:5]
	;; [unrolled: 1-line block ×4, first 2 shown]
	s_waitcnt lgkmcnt(0)
	s_barrier
	ds_read_b64 v[10:11], v75 offset:16384
	ds_read_b64 v[12:13], v77 offset:16384
	ds_read2st64_b64 v[2:5], v76 offset1:1
	ds_read2st64_b64 v[6:9], v76 offset0:2 offset1:3
	ds_read_b64 v[14:15], v78 offset:16384
	s_waitcnt lgkmcnt(2)
	v_mfma_f32_16x16x16_bf16 a[0:3], v[10:11], v[2:3], 0
	ds_read_b64 v[2:3], v79 offset:16384
	s_add_i32 s2, s58, 63
	s_mul_i32 s3, s2, s29
	v_mfma_f32_16x16x16_bf16 a[0:3], v[12:13], v[4:5], a[0:3]
	s_mul_hi_u32 s27, s2, s28
	s_add_i32 s3, s27, s3
	s_mul_i32 s2, s2, s28
	s_waitcnt lgkmcnt(1)
	v_mfma_f32_16x16x16_bf16 a[0:3], v[14:15], v[6:7], a[0:3]
	s_lshl_b64 s[2:3], s[2:3], 2
	s_add_u32 s2, s42, s2
	s_addc_u32 s3, s43, s3
	s_waitcnt lgkmcnt(0)
	v_mfma_f32_16x16x16_bf16 a[0:3], v[2:3], v[8:9], a[0:3]
	s_and_b64 vcc, exec, s[0:1]
	v_mov_b32_e32 v98, 0
	v_mov_b32_e32 v97, 0
	;; [unrolled: 1-line block ×19, first 2 shown]
	s_cbranch_vccnz .LBB672_12
; %bb.11:                               ;   in Loop: Header=BB672_6 Depth=1
	s_and_b32 s21, s21, 0xffff
	buffer_load_dwordx4 v[14:17], v67, s[20:23], 0 offen
	buffer_load_dwordx4 v[10:13], v67, s[20:23], s56 offen
	;; [unrolled: 1-line block ×4, first 2 shown]
	v_mov_b32_e32 v97, v69
	v_mov_b32_e32 v96, v70
.LBB672_12:                             ;   in Loop: Header=BB672_6 Depth=1
	v_add_u32_e32 v24, s58, v85
	v_ashrrev_i32_e32 v18, 31, v24
	v_mul_lo_u32 v20, v18, s28
	v_mul_lo_u32 v21, v24, s29
	v_mad_u64_u32 v[18:19], s[20:21], v24, s28, 0
	v_add3_u32 v19, v19, v21, v20
	v_add_u32_e32 v20, 1, v24
	v_ashrrev_i32_e32 v21, 31, v20
	v_mul_lo_u32 v22, v21, s28
	v_mul_lo_u32 v23, v20, s29
	v_mad_u64_u32 v[20:21], s[20:21], v20, s28, 0
	v_add3_u32 v21, v21, v23, v22
	v_add_u32_e32 v22, 2, v24
	v_ashrrev_i32_e32 v23, 31, v22
	v_mul_lo_u32 v25, v23, s28
	v_mul_lo_u32 v26, v22, s29
	v_mad_u64_u32 v[22:23], s[20:21], v22, s28, 0
	v_add_u32_e32 v24, 3, v24
	v_add3_u32 v23, v23, v26, v25
	v_ashrrev_i32_e32 v25, 31, v24
	v_mul_lo_u32 v28, v25, s28
	v_mul_lo_u32 v29, v24, s29
	v_mad_u64_u32 v[24:25], s[20:21], v24, s28, 0
	s_add_u32 s20, s38, s58
	s_addc_u32 s21, s39, 0
	s_lshl_b64 s[20:21], s[20:21], 8
	v_lshl_add_u64 v[18:19], v[18:19], 2, s[42:43]
	v_lshl_add_u64 v[26:27], v[56:57], 0, s[20:21]
	v_lshl_add_u64 v[20:21], v[20:21], 2, s[42:43]
	global_load_ushort v42, v[26:27], off
	global_load_ushort v43, v[26:27], off offset:256
	global_load_ushort v44, v[26:27], off offset:512
	;; [unrolled: 1-line block ×3, first 2 shown]
	v_add3_u32 v25, v25, v29, v28
	global_load_dword v101, v[18:19], off
	v_lshl_add_u64 v[22:23], v[22:23], 2, s[42:43]
	v_lshl_add_u64 v[18:19], v[24:25], 2, s[42:43]
	global_load_dword v102, v[20:21], off
	global_load_dword v103, v[22:23], off
	;; [unrolled: 1-line block ×3, first 2 shown]
	s_load_dword s2, s[2:3], 0x0
	ds_read2st64_b64 v[26:29], v80 offset1:1
	ds_read2st64_b64 v[32:35], v80 offset0:2 offset1:3
	ds_read_b64 v[30:31], v75 offset:24576
	ds_read_b64 v[36:37], v77 offset:24576
	;; [unrolled: 1-line block ×4, first 2 shown]
	s_waitcnt lgkmcnt(0)
	v_mfma_f32_16x16x16_bf16 a[0:3], v[30:31], v[26:27], a[0:3]
	v_mov_b32_e32 v99, 0
	v_mov_b32_e32 v18, 0
	v_mov_b32_e32 v19, 0
	v_mfma_f32_16x16x16_bf16 a[0:3], v[36:37], v[28:29], a[0:3]
	v_mov_b32_e32 v20, 0
	v_mov_b32_e32 v21, 0
	v_mov_b32_e32 v22, 0
	;; [unrolled: 4-line block ×4, first 2 shown]
	v_mov_b32_e32 v29, 0
	v_mov_b32_e32 v30, 0
	;; [unrolled: 1-line block ×4, first 2 shown]
	v_accvgpr_read_b32 v37, a1
	v_accvgpr_read_b32 v35, a3
	;; [unrolled: 1-line block ×4, first 2 shown]
	s_and_b64 vcc, exec, s[0:1]
	s_waitcnt vmcnt(7)
	v_lshlrev_b32_e32 v38, 16, v42
	s_waitcnt vmcnt(6)
	v_lshlrev_b32_e32 v39, 16, v43
	;; [unrolled: 2-line block ×4, first 2 shown]
	v_pk_add_f32 v[36:37], v[38:39], v[36:37] neg_lo:[0,1] neg_hi:[0,1]
	s_waitcnt vmcnt(3)
	v_sub_f32_e32 v33, s2, v101
	v_exp_f32_e32 v42, v33
	s_waitcnt vmcnt(2)
	v_sub_f32_e32 v33, s2, v102
	s_waitcnt vmcnt(1)
	v_sub_f32_e32 v44, s2, v103
	;; [unrolled: 2-line block ×3, first 2 shown]
	v_exp_f32_e32 v43, v33
	v_exp_f32_e32 v100, v44
	;; [unrolled: 1-line block ×3, first 2 shown]
	v_pk_add_f32 v[34:35], v[40:41], v[34:35] neg_lo:[0,1] neg_hi:[0,1]
	v_pk_mul_f32 v[36:37], v[42:43], v[36:37]
	v_mov_b32_e32 v33, 0
	v_pk_mul_f32 v[34:35], v[100:101], v[34:35]
	s_nop 0
	v_perm_b32 v35, v35, v34, s35
	v_perm_b32 v34, v37, v36, s35
	ds_write_b64 v72, v[34:35]
	s_cbranch_vccnz .LBB672_14
; %bb.13:                               ;   in Loop: Header=BB672_6 Depth=1
	s_and_b32 s25, s25, 0xffff
	s_mov_b32 s27, s23
	buffer_load_dwordx4 v[30:33], v83, s[24:27], 0 offen
	buffer_load_dwordx4 v[22:25], v83, s[24:27], s56 offen
	buffer_load_dwordx4 v[26:29], v84, s[24:27], 0 offen
	buffer_load_dwordx4 v[18:21], v84, s[24:27], s56 offen
	v_mov_b32_e32 v98, v66
	v_mov_b32_e32 v99, v65
.LBB672_14:                             ;   in Loop: Header=BB672_6 Depth=1
	s_waitcnt lgkmcnt(0)
	s_barrier
	ds_read_b64 v[34:35], v87
	ds_read_b64 v[40:41], v88
	ds_read2st64_b64 v[36:39], v80 offset1:1
	ds_read2st64_b64 v[100:103], v80 offset0:2 offset1:3
	ds_read_b64 v[42:43], v89
	ds_read_b64 v[108:109], v90
	s_add_i32 s3, s50, s63
	s_mul_hi_i32 s21, s3, s13
	s_mul_i32 s3, s3, s13
	s_waitcnt lgkmcnt(3)
	v_mfma_f32_16x16x16_bf16 a[0:3], v[34:35], v[36:37], 0
	ds_read_b64 v[34:35], v92
	s_add_u32 s20, s3, s33
	s_addc_u32 s21, s21, s54
	s_add_i32 s3, s31, s58
	v_mfma_f32_16x16x16_bf16 a[0:3], v[40:41], v[38:39], a[0:3]
	ds_read_b64 v[40:41], v93
	s_lshl_b64 s[20:21], s[20:21], 15
	s_mul_hi_i32 s25, s3, s13
	s_mul_i32 s3, s3, s13
	s_add_u32 s24, s3, s33
	s_addc_u32 s25, s25, s54
	s_lshl_b64 s[24:25], s[24:25], 9
	s_add_u32 s24, s40, s24
	s_waitcnt lgkmcnt(1)
	v_mfma_f32_16x16x16_bf16 a[4:7], v[34:35], v[36:37], 0
	s_addc_u32 s25, s41, s25
	s_and_b64 vcc, exec, s[0:1]
	v_mfma_f32_16x16x16_bf16 a[0:3], v[42:43], v[100:101], a[0:3]
	ds_read_b64 v[42:43], v94
	ds_read_b64 v[110:111], v95
	global_load_dwordx4 v[34:37], v91, s[24:25]
	s_waitcnt lgkmcnt(2)
	v_mfma_f32_16x16x16_bf16 a[4:7], v[40:41], v[38:39], a[4:7]
	global_load_dwordx4 v[38:41], v86, s[24:25]
	ds_read_b64 v[104:105], v81
	ds_read_b64 v[106:107], v82
	s_waitcnt lgkmcnt(3)
	v_mfma_f32_16x16x16_bf16 a[8:11], v[42:43], v[100:101], a[4:7]
	v_lshl_add_u64 v[42:43], v[54:55], 0, s[20:21]
	s_waitcnt lgkmcnt(0)
	global_store_dwordx4 v[42:43], v[104:107], off
	v_mfma_f32_16x16x16_bf16 a[4:7], v[108:109], v[102:103], a[0:3]
	s_waitcnt vmcnt(2)
	v_mov_b32_e32 v44, v37
	v_mfma_f32_16x16x16_bf16 a[0:3], v[110:111], v[102:103], a[8:11]
	v_mov_b32_e32 v43, v36
	v_mov_b32_e32 v42, v35
	s_cbranch_vccnz .LBB672_16
; %bb.15:                               ;   in Loop: Header=BB672_6 Depth=1
	v_lshrrev_b32_e32 v35, 3, v98
	v_and_b32_e32 v35, 6, v35
	v_xor_b32_e32 v36, v35, v99
	v_lshlrev_b32_e32 v36, 2, v36
	v_and_b32_e32 v37, 8, v98
	v_xor_b32_e32 v98, 0x440, v36
	v_cmp_eq_u32_e32 vcc, 0, v37
	v_perm_b32 v37, v22, v18, s59
	s_nop 0
	v_cndmask_b32_e32 v36, v98, v36, vcc
	v_lshl_or_b32 v35, v35, 10, v36
	v_perm_b32 v36, v30, v26, s59
	s_barrier
	ds_write2st64_b32 v35, v36, v37 offset1:32
	v_xor_b32_e32 v36, 8, v35
	v_perm_b32 v26, v30, v26, s60
	v_perm_b32 v18, v22, v18, s60
	v_add_u32_e32 v22, 0x80, v36
	ds_write2st64_b32 v22, v26, v18 offset1:32
	v_xor_b32_e32 v18, 16, v35
	v_perm_b32 v22, v31, v27, s59
	v_perm_b32 v26, v23, v19, s59
	ds_write2st64_b32 v18, v22, v26 offset0:1 offset1:33
	v_xor_b32_e32 v18, 24, v35
	v_perm_b32 v22, v31, v27, s60
	v_perm_b32 v19, v23, v19, s60
	v_add_u32_e32 v18, 0x80, v18
	ds_write2st64_b32 v18, v22, v19 offset0:1 offset1:33
	v_xor_b32_e32 v18, 32, v35
	v_perm_b32 v19, v32, v28, s59
	v_perm_b32 v22, v24, v20, s59
	ds_write2st64_b32 v18, v19, v22 offset0:2 offset1:34
	v_xor_b32_e32 v18, 40, v35
	v_perm_b32 v19, v32, v28, s60
	v_perm_b32 v20, v24, v20, s60
	v_add_u32_e32 v18, 0x80, v18
	ds_write2st64_b32 v18, v19, v20 offset0:2 offset1:34
	v_xor_b32_e32 v18, 48, v35
	v_perm_b32 v19, v33, v29, s59
	v_perm_b32 v20, v25, v21, s59
	ds_write2st64_b32 v18, v19, v20 offset0:3 offset1:35
	v_xor_b32_e32 v18, 56, v35
	v_perm_b32 v19, v33, v29, s60
	v_perm_b32 v20, v25, v21, s60
	v_add_u32_e32 v18, 0x80, v18
	ds_write2st64_b32 v18, v19, v20 offset0:3 offset1:35
	ds_write_b64 v97, v[14:15] offset:16384
	v_xor_b32_e32 v14, 8, v97
	ds_write_b64 v14, v[16:17] offset:16384
	ds_write_b64 v97, v[10:11] offset:24576
	;; [unrolled: 1-line block ×4, first 2 shown]
	v_xor_b32_e32 v6, 8, v96
	ds_write_b64 v6, v[8:9] offset:16384
	ds_write_b64 v96, v[2:3] offset:24576
	;; [unrolled: 1-line block ×3, first 2 shown]
.LBB672_16:                             ;   in Loop: Header=BB672_6 Depth=1
	v_exp_f32_e32 v10, s2
	s_waitcnt vmcnt(1)
	v_exp_f32_e32 v12, v38
	v_exp_f32_e32 v13, v39
	;; [unrolled: 1-line block ×4, first 2 shown]
	v_accvgpr_read_b32 v2, a4
	v_accvgpr_read_b32 v3, a5
	v_pk_mul_f32 v[12:13], v[10:11], v[12:13] op_sel_hi:[0,1]
	v_pk_fma_f32 v[46:47], v[46:47], v[12:13], v[2:3]
	v_exp_f32_e32 v12, v34
	v_exp_f32_e32 v13, v42
	v_pk_mul_f32 v[2:3], v[10:11], v[14:15] op_sel_hi:[0,1]
	v_exp_f32_e32 v14, v43
	v_exp_f32_e32 v15, v44
	v_accvgpr_read_b32 v4, a6
	v_accvgpr_read_b32 v5, a7
	;; [unrolled: 1-line block ×5, first 2 shown]
	v_pk_fma_f32 v[52:53], v[52:53], v[2:3], v[4:5]
	v_pk_mul_f32 v[2:3], v[10:11], v[12:13] op_sel_hi:[0,1]
	v_accvgpr_read_b32 v8, a2
	v_pk_fma_f32 v[50:51], v[50:51], v[2:3], v[6:7]
	v_pk_mul_f32 v[2:3], v[10:11], v[14:15] op_sel_hi:[0,1]
	s_add_i32 s58, s58, 64
	s_cmp_eq_u32 s47, s62
	v_pk_fma_f32 v[48:49], v[48:49], v[2:3], v[8:9]
	s_cbranch_scc1 .LBB672_18
; %bb.17:                               ;   in Loop: Header=BB672_6 Depth=1
	s_mov_b32 s63, s62
	s_branch .LBB672_6
.LBB672_18:
	s_lshl_b32 s40, s47, 6
	s_sub_i32 s41, s12, s40
	s_cmp_gt_i32 s41, 0
	s_cbranch_scc0 .LBB672_75
; %bb.19:
	s_ashr_i32 s35, s48, 31
	s_ashr_i32 s2, s40, 31
	s_cmpk_lg_i32 s15, 0x80
	s_cselect_b64 s[26:27], -1, 0
	s_and_b64 vcc, exec, s[26:27]
	s_cbranch_vccz .LBB672_21
; %bb.20:
	s_mul_i32 s1, s48, s12
	s_mul_hi_i32 s0, s48, s12
	s_add_u32 s1, s1, s40
	s_addc_u32 s0, s0, s2
	s_mul_i32 s3, s1, s49
	s_mul_hi_u32 s20, s1, s14
	s_add_i32 s3, s20, s3
	s_mul_i32 s0, s0, s14
	s_add_i32 s3, s3, s0
	s_mul_i32 s1, s1, s14
	s_ashr_i32 s0, s52, 31
	s_add_u32 s38, s1, s52
	s_addc_u32 s39, s3, s0
	s_cbranch_execz .LBB672_22
	s_branch .LBB672_23
.LBB672_21:
                                        ; implicit-def: $sgpr38_sgpr39
.LBB672_22:
	s_mul_hi_i32 s0, s48, s14
	s_mul_i32 s48, s48, s14
	s_ashr_i32 s1, s52, 31
	s_add_u32 s3, s48, s52
	s_addc_u32 s0, s0, s1
	s_mul_i32 s1, s3, s46
	s_mul_hi_u32 s14, s3, s12
	s_add_i32 s1, s14, s1
	s_mul_i32 s0, s0, s12
	s_add_i32 s1, s1, s0
	s_mul_i32 s3, s3, s12
	s_add_u32 s38, s3, s40
	s_addc_u32 s39, s1, s2
.LBB672_23:
	s_add_i32 s3, s50, s47
	s_ashr_i32 s14, s33, 31
	s_add_u32 s0, s45, s33
	s_addc_u32 s1, s51, s14
	s_mul_i32 s20, s0, s46
	s_mul_hi_u32 s21, s0, s12
	s_add_i32 s20, s21, s20
	s_mul_i32 s1, s1, s12
	s_add_i32 s20, s20, s1
	s_mul_i32 s0, s0, s12
	s_add_u32 s0, s0, s40
	s_addc_u32 s1, s20, s2
	s_mov_b32 s2, 0x7060302
	v_lshlrev_b32_e32 v6, 3, v1
	s_lshl_b64 s[24:25], s[0:1], 8
	v_perm_b32 v3, v53, v52, s2
	v_perm_b32 v2, v47, v46, s2
	;; [unrolled: 1-line block ×4, first 2 shown]
	v_lshlrev_b32_e32 v34, 2, v1
	v_lshl_or_b32 v6, v63, 5, v6
	s_add_u32 s0, s6, s24
	ds_write2st64_b64 v6, v[2:3], v[4:5] offset0:72 offset1:76
	v_xor_b32_e32 v6, v63, v34
	v_lshlrev_b32_e32 v7, 8, v1
	s_addc_u32 s1, s7, s25
	v_lshl_or_b32 v6, v6, 1, v7
	s_mul_hi_i32 s6, s3, s13
	s_mul_i32 s3, s3, s13
	ds_write_b64 v6, v[2:3] offset:32768
	v_xor_b32_e32 v2, v64, v34
	s_add_u32 s2, s3, s33
	v_lshl_or_b32 v2, v2, 1, v7
	s_addc_u32 s3, s6, s14
	v_lshlrev_b32_e32 v3, 1, v1
	ds_write_b64 v2, v[4:5] offset:32768
	v_lshrrev_b32_e32 v2, 4, v0
	s_ashr_i32 s31, s30, 31
	s_lshl_b64 s[2:3], s[2:3], 15
	v_or_b32_e32 v4, 1, v3
	s_add_u32 s6, s36, s2
	v_xor_b32_e32 v3, v2, v3
	v_xor_b32_e32 v4, v4, v2
	v_lshlrev_b32_e32 v6, 8, v2
	s_addc_u32 s7, s37, s3
	s_lshl_b64 s[2:3], s[30:31], 8
	v_lshl_or_b32 v2, v3, 3, v6
	v_lshl_or_b32 v4, v4, 3, v6
	s_waitcnt lgkmcnt(0)
	s_barrier
	s_add_u32 s2, s6, s2
	ds_read_b64 v[2:3], v2 offset:32768
	ds_read_b64 v[4:5], v4 offset:32768
	s_addc_u32 s3, s7, s3
	v_mov_b32_e32 v7, 0
	s_cmp_lg_u32 s41, 64
	v_lshl_add_u64 v[8:9], s[2:3], 0, v[6:7]
	v_lshlrev_b32_e32 v6, 4, v1
	s_cselect_b64 s[6:7], -1, 0
	v_lshl_or_b32 v35, v59, 3, v62
	s_mov_b32 s20, 0
	v_lshl_add_u64 v[6:7], v[8:9], 0, v[6:7]
	v_or_b32_e32 v19, 32, v35
	v_and_b32_e32 v18, 56, v61
	s_and_b64 vcc, exec, s[6:7]
	s_waitcnt lgkmcnt(0)
	global_store_dwordx4 v[6:7], v[2:5], off
	s_cbranch_vccz .LBB672_29
; %bb.24:
	s_mov_b32 s21, s20
	s_mov_b32 s22, s20
	;; [unrolled: 1-line block ×3, first 2 shown]
	v_mov_b64_e32 v[6:7], s[20:21]
	v_mov_b64_e32 v[8:9], s[22:23]
	v_mov_b64_e32 v[2:3], v[6:7]
	v_cmp_gt_i32_e32 vcc, s41, v35
	v_mov_b64_e32 v[4:5], v[8:9]
	s_and_saveexec_b64 s[2:3], vcc
	s_cbranch_execz .LBB672_26
; %bb.25:
	v_lshlrev_b32_e32 v2, 8, v35
	v_mov_b32_e32 v3, 0
	v_lshl_add_u64 v[4:5], s[0:1], 0, v[2:3]
	v_lshlrev_b32_e32 v2, 1, v18
	v_lshl_add_u64 v[10:11], v[4:5], 0, v[2:3]
	global_load_dwordx4 v[6:9], v[10:11], off
	global_load_dwordx4 v[2:5], v[10:11], off offset:128
.LBB672_26:
	s_or_b64 exec, exec, s[2:3]
	s_mov_b32 s21, s20
	s_mov_b32 s22, s20
	;; [unrolled: 1-line block ×3, first 2 shown]
	v_mov_b64_e32 v[14:15], s[20:21]
	v_mov_b64_e32 v[16:17], s[22:23]
	;; [unrolled: 1-line block ×3, first 2 shown]
	v_cmp_gt_i32_e32 vcc, s41, v19
	v_lshlrev_b32_e32 v20, 7, v19
	v_mov_b64_e32 v[12:13], v[16:17]
	s_and_saveexec_b64 s[2:3], vcc
	s_cbranch_execz .LBB672_28
; %bb.27:
	v_lshlrev_b32_e32 v10, 1, v20
	v_mov_b32_e32 v11, 0
	v_lshl_add_u64 v[12:13], s[0:1], 0, v[10:11]
	v_lshlrev_b32_e32 v10, 1, v18
	v_lshl_add_u64 v[22:23], v[12:13], 0, v[10:11]
	global_load_dwordx4 v[14:17], v[22:23], off
	global_load_dwordx4 v[10:13], v[22:23], off offset:128
.LBB672_28:
	s_or_b64 exec, exec, s[2:3]
	v_lshrrev_b32_e32 v21, 3, v18
	v_lshlrev_b32_e32 v22, 3, v35
	v_or_b32_e32 v21, v22, v21
	v_lshlrev_b32_e32 v21, 4, v21
	v_and_b32_e32 v22, 0x78, v22
	v_xor_b32_e32 v21, v21, v22
	s_branch .LBB672_31
.LBB672_29:
                                        ; implicit-def: $vgpr21
                                        ; implicit-def: $vgpr20
                                        ; implicit-def: $vgpr6_vgpr7_vgpr8_vgpr9
                                        ; implicit-def: $vgpr2_vgpr3_vgpr4_vgpr5
                                        ; implicit-def: $vgpr14_vgpr15_vgpr16_vgpr17
                                        ; implicit-def: $vgpr10_vgpr11_vgpr12_vgpr13
	s_cbranch_execz .LBB672_31
; %bb.30:
	s_waitcnt vmcnt(0)
	v_lshlrev_b32_e32 v2, 1, v18
	v_lshl_or_b32 v20, v35, 8, v2
	s_and_b32 s1, s1, 0xffff
	s_mov_b32 s3, 0x20000
	s_movk_i32 s2, 0x4000
	v_lshl_or_b32 v21, v19, 8, v2
	s_movk_i32 s13, 0x80
	buffer_load_dwordx4 v[6:9], v20, s[0:3], 0 offen
	buffer_load_dwordx4 v[2:5], v20, s[0:3], s13 offen
	;; [unrolled: 1-line block ×4, first 2 shown]
	v_lshrrev_b32_e32 v20, 3, v18
	v_lshlrev_b32_e32 v21, 3, v35
	v_or_b32_e32 v20, v21, v20
	v_lshlrev_b32_e32 v20, 4, v20
	v_and_b32_e32 v21, 0x78, v21
	v_xor_b32_e32 v21, v20, v21
	v_lshlrev_b32_e32 v20, 7, v19
.LBB672_31:
	s_lshl_b64 s[0:1], s[38:39], 8
	s_add_u32 s4, s4, s0
	s_movk_i32 s0, 0x1000
	v_and_or_b32 v19, v20, s0, v21
	s_waitcnt vmcnt(1)
	ds_write_b64 v21, v[6:7] offset:16384
	v_xor_b32_e32 v6, 8, v21
	s_addc_u32 s5, s5, s1
	ds_write_b64 v6, v[8:9] offset:16384
	s_waitcnt vmcnt(0)
	ds_write_b64 v21, v[2:3] offset:24576
	ds_write_b64 v6, v[4:5] offset:24576
	;; [unrolled: 1-line block ×3, first 2 shown]
	v_xor_b32_e32 v2, 8, v19
	s_add_i32 s0, s44, s17
	s_mul_i32 s35, s35, s16
	ds_write_b64 v2, v[16:17] offset:16384
	ds_write_b64 v19, v[10:11] offset:24576
	;; [unrolled: 1-line block ×3, first 2 shown]
	s_add_i32 s35, s0, s35
	s_mul_i32 s0, s33, s19
	s_mul_hi_u32 s1, s33, s18
	v_or_b32_e32 v2, v45, v1
	s_add_i32 s0, s1, s0
	s_mul_i32 s1, s14, s18
	v_lshlrev_b32_e32 v2, 3, v2
	v_lshrrev_b32_e32 v4, 5, v58
	s_movk_i32 s14, 0xf8
	v_and_or_b32 v4, v2, s14, v4
	v_lshlrev_b32_e32 v3, 11, v59
	v_lshlrev_b32_e32 v12, 4, v4
	v_and_b32_e32 v13, 0x78, v2
	v_and_b32_e32 v14, 0x1000, v3
	v_lshlrev_b32_e32 v3, 2, v0
	v_xor_b32_e32 v2, v12, v13
	v_lshrrev_b32_e32 v4, 1, v58
	v_and_b32_e32 v3, 60, v3
	v_or_b32_e32 v2, v2, v14
	v_and_b32_e32 v15, 8, v4
	v_xor_b32_e32 v26, v2, v15
	v_lshl_or_b32 v2, v60, 6, v3
	v_lshlrev_b32_e32 v19, 1, v2
	v_or_b32_e32 v2, 32, v12
	v_xor_b32_e32 v2, v2, v13
	s_waitcnt lgkmcnt(0)
	s_barrier
	ds_read_b64 v[10:11], v26 offset:16384
	v_or_b32_e32 v2, v2, v14
	v_xor_b32_e32 v27, v2, v15
	v_or_b32_e32 v2, 64, v12
	v_xor_b32_e32 v2, v2, v13
	v_or_b32_e32 v2, v2, v14
	v_or_b32_e32 v12, 0x60, v12
	v_xor_b32_e32 v28, v2, v15
	ds_read2st64_b64 v[2:5], v19 offset0:72 offset1:73
	ds_read2st64_b64 v[6:9], v19 offset0:74 offset1:75
	v_xor_b32_e32 v16, v12, v13
	ds_read_b64 v[12:13], v27 offset:16384
	s_waitcnt lgkmcnt(2)
	v_mfma_f32_16x16x16_bf16 a[0:3], v[10:11], v[2:3], 0
	s_add_i32 s2, s12, -1
	s_ashr_i32 s3, s2, 31
	s_mul_i32 s12, s2, s29
	s_mul_hi_u32 s13, s2, s28
	s_add_i32 s12, s13, s12
	s_mul_i32 s3, s3, s28
	v_or_b32_e32 v14, v16, v14
	s_add_i32 s1, s0, s1
	s_add_i32 s3, s12, s3
	s_lshl_b64 s[12:13], s[34:35], 2
	v_xor_b32_e32 v36, v14, v15
	ds_read_b64 v[14:15], v28 offset:16384
	ds_read_b64 v[16:17], v36 offset:16384
	s_waitcnt lgkmcnt(2)
	v_mfma_f32_16x16x16_bf16 a[0:3], v[12:13], v[4:5], a[0:3]
	s_mul_i32 s0, s33, s18
	s_add_u32 s10, s10, s12
	s_addc_u32 s11, s11, s13
	s_lshl_b64 s[0:1], s[0:1], 2
	s_mul_i32 s2, s2, s28
	s_add_u32 s10, s10, s0
	s_addc_u32 s11, s11, s1
	s_lshl_b64 s[0:1], s[2:3], 2
	s_waitcnt lgkmcnt(1)
	v_mfma_f32_16x16x16_bf16 a[0:3], v[14:15], v[6:7], a[0:3]
	s_add_u32 s0, s10, s0
	s_addc_u32 s1, s11, s1
	s_load_dword s12, s[0:1], 0x0
	s_waitcnt lgkmcnt(0)
	v_mfma_f32_16x16x16_bf16 a[0:3], v[16:17], v[8:9], a[0:3]
	s_and_b64 vcc, exec, s[26:27]
	s_cbranch_vccz .LBB672_42
; %bb.32:
	v_lshlrev_b32_e32 v20, 1, v35
	s_and_b64 vcc, exec, s[6:7]
	s_cbranch_vccz .LBB672_43
; %bb.33:
	v_cmp_gt_i32_e32 vcc, s41, v20
	v_mov_b32_e32 v6, 0
	v_mov_b32_e32 v2, 0
	;; [unrolled: 1-line block ×5, first 2 shown]
	s_and_saveexec_b64 s[0:1], vcc
	s_cbranch_execz .LBB672_35
; %bb.34:
	v_mad_i64_i32 v[2:3], s[2:3], s15, v20, 0
	v_lshl_add_u64 v[2:3], v[2:3], 1, s[4:5]
	v_lshlrev_b32_e32 v4, 1, v18
	v_mov_b32_e32 v5, 0
	v_lshl_add_u64 v[2:3], v[2:3], 0, v[4:5]
	global_load_dwordx4 v[2:5], v[2:3], off
.LBB672_35:
	s_or_b64 exec, exec, s[0:1]
	v_or_b32_e32 v21, 1, v20
	v_cmp_gt_i32_e64 s[0:1], s41, v21
	v_mov_b32_e32 v7, 0
	v_mov_b32_e32 v8, 0
	;; [unrolled: 1-line block ×3, first 2 shown]
	s_and_saveexec_b64 s[2:3], s[0:1]
	s_cbranch_execz .LBB672_37
; %bb.36:
	v_mad_i64_i32 v[6:7], s[16:17], s15, v21, 0
	v_lshl_add_u64 v[6:7], v[6:7], 1, s[4:5]
	v_lshlrev_b32_e32 v8, 1, v18
	v_mov_b32_e32 v9, 0
	v_lshl_add_u64 v[6:7], v[6:7], 0, v[8:9]
	global_load_dwordx4 v[6:9], v[6:7], off
.LBB672_37:
	s_or_b64 exec, exec, s[2:3]
	v_mov_b32_e32 v17, 0
	v_mov_b32_e32 v10, 0
	;; [unrolled: 1-line block ×5, first 2 shown]
	s_and_saveexec_b64 s[2:3], vcc
	s_cbranch_execz .LBB672_39
; %bb.38:
	v_mad_i64_i32 v[10:11], s[16:17], s15, v20, 0
	v_lshl_add_u64 v[10:11], v[10:11], 1, s[4:5]
	v_lshlrev_b32_e32 v12, 1, v18
	v_mov_b32_e32 v13, 0
	v_lshl_add_u64 v[10:11], v[10:11], 0, v[12:13]
	global_load_dwordx4 v[10:13], v[10:11], off offset:128
.LBB672_39:
	s_or_b64 exec, exec, s[2:3]
	v_mov_b32_e32 v16, 0
	v_mov_b32_e32 v15, 0
	;; [unrolled: 1-line block ×3, first 2 shown]
	s_and_saveexec_b64 s[2:3], s[0:1]
	s_cbranch_execz .LBB672_41
; %bb.40:
	v_mad_i64_i32 v[14:15], s[0:1], s15, v21, 0
	v_lshl_add_u64 v[14:15], v[14:15], 1, s[4:5]
	v_lshlrev_b32_e32 v16, 1, v18
	v_mov_b32_e32 v17, 0
	v_lshl_add_u64 v[14:15], v[14:15], 0, v[16:17]
	global_load_dwordx4 v[14:17], v[14:15], off offset:128
.LBB672_41:
	s_or_b64 exec, exec, s[2:3]
	s_branch .LBB672_45
.LBB672_42:
                                        ; implicit-def: $vgpr5
                                        ; implicit-def: $vgpr9
                                        ; implicit-def: $vgpr13
                                        ; implicit-def: $vgpr17
	v_lshrrev_b32_e32 v37, 2, v58
	s_branch .LBB672_46
.LBB672_43:
                                        ; implicit-def: $vgpr5
                                        ; implicit-def: $vgpr9
                                        ; implicit-def: $vgpr13
                                        ; implicit-def: $vgpr17
	s_cbranch_execz .LBB672_45
; %bb.44:
	s_waitcnt vmcnt(0)
	v_mad_u64_u32 v[2:3], s[0:1], v20, s15, v[18:19]
	v_lshlrev_b32_e32 v20, 1, v2
	s_lshl_b32 s2, s15, 7
	s_and_b32 s1, s5, 0xffff
	s_mov_b32 s3, 0x20000
	s_mov_b32 s0, s4
	v_add_lshl_u32 v21, v2, s15, 1
	s_movk_i32 s13, 0x80
	buffer_load_dwordx4 v[2:5], v20, s[0:3], 0 offen
	buffer_load_dwordx4 v[10:13], v20, s[0:3], s13 offen
	;; [unrolled: 1-line block ×4, first 2 shown]
.LBB672_45:
	v_lshrrev_b32_e32 v37, 2, v58
	s_cbranch_execnz .LBB672_58
.LBB672_46:
	s_and_b64 vcc, exec, s[6:7]
	s_cbranch_vccz .LBB672_56
; %bb.47:
	s_waitcnt vmcnt(0)
	v_lshlrev_b32_e32 v7, 1, v35
	v_cmp_gt_i32_e32 vcc, s41, v7
	v_mov_b32_e32 v6, 0
	v_lshlrev_b32_e32 v14, 9, v35
	v_mov_b32_e32 v2, 0
	v_mov_b32_e32 v3, 0
	;; [unrolled: 1-line block ×4, first 2 shown]
	s_and_saveexec_b64 s[0:1], vcc
	s_cbranch_execz .LBB672_49
; %bb.48:
	v_mov_b32_e32 v15, 0
	v_lshl_add_u64 v[2:3], s[4:5], 0, v[14:15]
	v_lshlrev_b32_e32 v4, 1, v18
	v_mov_b32_e32 v5, v15
	v_lshl_add_u64 v[2:3], v[2:3], 0, v[4:5]
	global_load_dwordx4 v[2:5], v[2:3], off
.LBB672_49:
	s_or_b64 exec, exec, s[0:1]
	v_or_b32_e32 v7, 1, v7
	v_cmp_gt_i32_e64 s[0:1], s41, v7
	v_lshlrev_b32_e32 v20, 8, v7
	v_mov_b32_e32 v7, 0
	v_mov_b32_e32 v8, 0
	;; [unrolled: 1-line block ×3, first 2 shown]
	s_and_saveexec_b64 s[2:3], s[0:1]
	s_cbranch_execz .LBB672_51
; %bb.50:
	v_mov_b32_e32 v21, 0
	v_lshl_add_u64 v[6:7], s[4:5], 0, v[20:21]
	v_lshlrev_b32_e32 v8, 1, v18
	v_mov_b32_e32 v9, v21
	v_lshl_add_u64 v[6:7], v[6:7], 0, v[8:9]
	global_load_dwordx4 v[6:9], v[6:7], off
.LBB672_51:
	s_or_b64 exec, exec, s[2:3]
	v_mov_b32_e32 v17, 0
	v_mov_b32_e32 v10, 0
	;; [unrolled: 1-line block ×5, first 2 shown]
	s_and_saveexec_b64 s[2:3], vcc
	s_cbranch_execz .LBB672_53
; %bb.52:
	v_mov_b32_e32 v15, 0
	v_lshl_add_u64 v[10:11], s[4:5], 0, v[14:15]
	v_lshlrev_b32_e32 v14, 1, v18
	v_lshl_add_u64 v[10:11], v[10:11], 0, v[14:15]
	global_load_dwordx4 v[10:13], v[10:11], off offset:128
.LBB672_53:
	s_or_b64 exec, exec, s[2:3]
	v_mov_b32_e32 v16, 0
	v_mov_b32_e32 v15, 0
	;; [unrolled: 1-line block ×3, first 2 shown]
	s_and_saveexec_b64 s[2:3], s[0:1]
	s_cbranch_execz .LBB672_55
; %bb.54:
	v_mov_b32_e32 v21, 0
	v_lshl_add_u64 v[14:15], s[4:5], 0, v[20:21]
	v_lshlrev_b32_e32 v20, 1, v18
	v_lshl_add_u64 v[14:15], v[14:15], 0, v[20:21]
	global_load_dwordx4 v[14:17], v[14:15], off offset:128
.LBB672_55:
	s_or_b64 exec, exec, s[2:3]
	s_branch .LBB672_58
.LBB672_56:
                                        ; implicit-def: $vgpr5
                                        ; implicit-def: $vgpr9
                                        ; implicit-def: $vgpr13
                                        ; implicit-def: $vgpr17
	s_cbranch_execz .LBB672_58
; %bb.57:
	s_waitcnt vmcnt(0)
	v_lshlrev_b32_e32 v2, 1, v18
	v_lshl_or_b32 v18, v35, 9, v2
	s_and_b32 s5, s5, 0xffff
	s_mov_b32 s7, 0x20000
	s_movk_i32 s6, 0x4000
	s_movk_i32 s0, 0x80
	buffer_load_dwordx4 v[2:5], v18, s[4:7], 0 offen
	buffer_load_dwordx4 v[6:9], v18, s[4:7], 0 offen offset:256
	buffer_load_dwordx4 v[10:13], v18, s[4:7], s0 offen
	buffer_load_dwordx4 v[14:17], v18, s[4:7], s0 offen offset:256
.LBB672_58:
	ds_read2st64_b64 v[22:25], v19 offset0:76 offset1:77
	ds_read2st64_b64 v[18:21], v19 offset0:78 offset1:79
	ds_read_b64 v[30:31], v26 offset:24576
	ds_read_b64 v[32:33], v27 offset:24576
	ds_read_b64 v[28:29], v28 offset:24576
	ds_read_b64 v[26:27], v36 offset:24576
	v_and_b32_e32 v36, 6, v0
	v_xor_b32_e32 v35, v35, v36
	v_lshlrev_b32_e32 v35, 2, v35
	v_and_b32_e32 v0, 1, v0
	v_xor_b32_e32 v38, 0x440, v35
	v_cmp_eq_u32_e32 vcc, 0, v0
	s_mov_b32 s0, 0x1000504
	s_mov_b32 s1, 0x3020706
	v_cndmask_b32_e32 v0, v38, v35, vcc
	v_lshl_or_b32 v0, v36, 10, v0
	s_waitcnt vmcnt(0)
	v_perm_b32 v35, v2, v6, s0
	v_perm_b32 v36, v10, v14, s0
	ds_write2st64_b32 v0, v35, v36 offset1:32
	v_xor_b32_e32 v35, 8, v0
	v_perm_b32 v2, v2, v6, s1
	v_perm_b32 v6, v10, v14, s1
	v_add_u32_e32 v10, 0x80, v35
	ds_write2st64_b32 v10, v2, v6 offset1:32
	v_xor_b32_e32 v2, 16, v0
	v_perm_b32 v6, v3, v7, s0
	v_perm_b32 v10, v11, v15, s0
	ds_write2st64_b32 v2, v6, v10 offset0:1 offset1:33
	v_xor_b32_e32 v2, 24, v0
	v_perm_b32 v3, v3, v7, s1
	v_perm_b32 v6, v11, v15, s1
	v_add_u32_e32 v2, 0x80, v2
	ds_write2st64_b32 v2, v3, v6 offset0:1 offset1:33
	v_xor_b32_e32 v2, 32, v0
	v_perm_b32 v3, v4, v8, s0
	v_perm_b32 v6, v12, v16, s0
	ds_write2st64_b32 v2, v3, v6 offset0:2 offset1:34
	v_xor_b32_e32 v2, 40, v0
	v_perm_b32 v3, v4, v8, s1
	v_perm_b32 v4, v12, v16, s1
	v_add_u32_e32 v2, 0x80, v2
	ds_write2st64_b32 v2, v3, v4 offset0:2 offset1:34
	v_xor_b32_e32 v2, 48, v0
	v_perm_b32 v3, v5, v9, s0
	v_perm_b32 v4, v13, v17, s0
	v_xor_b32_e32 v0, 56, v0
	v_and_or_b32 v6, v37, 12, v45
	ds_write2st64_b32 v2, v3, v4 offset0:3 offset1:35
	v_perm_b32 v2, v5, v9, s1
	v_perm_b32 v3, v13, v17, s1
	v_add_u32_e32 v0, 0x80, v0
	v_cmp_gt_i32_e32 vcc, s41, v6
	v_mov_b32_e32 v7, 0
	v_mov_b32_e32 v11, 0
	ds_write2st64_b32 v0, v2, v3 offset0:3 offset1:35
	s_and_saveexec_b64 s[0:1], vcc
	s_cbranch_execz .LBB672_60
; %bb.59:
	v_add_u32_e32 v0, s40, v6
	v_ashrrev_i32_e32 v2, 31, v0
	v_mul_lo_u32 v4, v2, s28
	v_mul_lo_u32 v5, v0, s29
	v_mad_u64_u32 v[2:3], s[2:3], v0, s28, 0
	v_add3_u32 v3, v3, v5, v4
	v_lshl_add_u64 v[2:3], v[2:3], 2, s[10:11]
	global_load_dword v0, v[2:3], off
	s_waitcnt vmcnt(0)
	v_sub_f32_e32 v0, s12, v0
	v_exp_f32_e32 v11, v0
.LBB672_60:
	s_or_b64 exec, exec, s[0:1]
	v_or_b32_e32 v9, 1, v6
	v_cmp_gt_i32_e64 s[0:1], s41, v9
	s_and_saveexec_b64 s[2:3], s[0:1]
	s_cbranch_execz .LBB672_62
; %bb.61:
	v_add_u32_e32 v0, s40, v9
	v_ashrrev_i32_e32 v2, 31, v0
	v_mul_lo_u32 v4, v2, s28
	v_mul_lo_u32 v5, v0, s29
	v_mad_u64_u32 v[2:3], s[4:5], v0, s28, 0
	v_add3_u32 v3, v3, v5, v4
	v_lshl_add_u64 v[2:3], v[2:3], 2, s[10:11]
	global_load_dword v0, v[2:3], off
	s_waitcnt vmcnt(0)
	v_sub_f32_e32 v0, s12, v0
	v_exp_f32_e32 v7, v0
.LBB672_62:
	s_or_b64 exec, exec, s[2:3]
	v_or_b32_e32 v10, 2, v6
	v_cmp_gt_i32_e64 s[2:3], s41, v10
	v_mov_b32_e32 v8, 0
	v_mov_b32_e32 v13, 0
	s_and_saveexec_b64 s[4:5], s[2:3]
	s_cbranch_execz .LBB672_64
; %bb.63:
	v_add_u32_e32 v0, s40, v10
	v_ashrrev_i32_e32 v2, 31, v0
	v_mul_lo_u32 v4, v2, s28
	v_mul_lo_u32 v5, v0, s29
	v_mad_u64_u32 v[2:3], s[6:7], v0, s28, 0
	v_add3_u32 v3, v3, v5, v4
	v_lshl_add_u64 v[2:3], v[2:3], 2, s[10:11]
	global_load_dword v0, v[2:3], off
	s_waitcnt vmcnt(0)
	v_sub_f32_e32 v0, s12, v0
	v_exp_f32_e32 v13, v0
.LBB672_64:
	s_or_b64 exec, exec, s[4:5]
	v_or_b32_e32 v12, 3, v6
	v_cmp_gt_i32_e64 s[4:5], s41, v12
	s_and_saveexec_b64 s[6:7], s[4:5]
	s_cbranch_execz .LBB672_66
; %bb.65:
	v_add_u32_e32 v0, s40, v12
	v_ashrrev_i32_e32 v2, 31, v0
	v_mul_lo_u32 v4, v2, s28
	v_mul_lo_u32 v5, v0, s29
	v_mad_u64_u32 v[2:3], s[14:15], v0, s28, 0
	v_add3_u32 v3, v3, v5, v4
	v_lshl_add_u64 v[2:3], v[2:3], 2, s[10:11]
	global_load_dword v0, v[2:3], off
	s_waitcnt vmcnt(0)
	v_sub_f32_e32 v0, s12, v0
	v_exp_f32_e32 v8, v0
.LBB672_66:
	s_or_b64 exec, exec, s[6:7]
	s_waitcnt lgkmcnt(11)
	v_mfma_f32_16x16x16_bf16 a[0:3], v[30:31], v[22:23], a[0:3]
	v_or_b32_e32 v0, s30, v1
	s_add_u32 s6, s8, s24
	s_addc_u32 s7, s9, s25
	s_waitcnt lgkmcnt(10)
	v_mfma_f32_16x16x16_bf16 a[0:3], v[32:33], v[24:25], a[0:3]
	v_ashrrev_i32_e32 v1, 31, v0
	v_lshl_add_u64 v[4:5], v[0:1], 1, s[6:7]
	v_mov_b32_e32 v14, 0
	s_waitcnt lgkmcnt(9)
	v_mfma_f32_16x16x16_bf16 a[0:3], v[28:29], v[18:19], a[0:3]
	v_mov_b32_e32 v15, 0
	s_waitcnt lgkmcnt(8)
	v_mfma_f32_16x16x16_bf16 a[0:3], v[26:27], v[20:21], a[0:3]
	s_nop 6
	v_accvgpr_read_b32 v0, a0
	v_accvgpr_read_b32 v1, a1
	;; [unrolled: 1-line block ×4, first 2 shown]
	s_and_saveexec_b64 s[6:7], vcc
	s_cbranch_execz .LBB672_68
; %bb.67:
	v_lshlrev_b32_e32 v16, 8, v6
	v_mov_b32_e32 v17, 0
	v_lshl_add_u64 v[16:17], v[4:5], 0, v[16:17]
	global_load_ushort v15, v[16:17], off
	s_waitcnt vmcnt(0)
	v_lshlrev_b32_e32 v15, 16, v15
	v_sub_f32_e32 v0, v15, v0
	v_mul_f32_e32 v0, v11, v0
	v_lshrrev_b32_e32 v15, 16, v0
.LBB672_68:
	s_or_b64 exec, exec, s[6:7]
	s_and_saveexec_b64 s[6:7], s[0:1]
	s_cbranch_execz .LBB672_70
; %bb.69:
	v_lshlrev_b32_e32 v16, 8, v9
	v_mov_b32_e32 v17, 0
	v_lshl_add_u64 v[16:17], v[4:5], 0, v[16:17]
	global_load_ushort v0, v[16:17], off
	s_waitcnt vmcnt(0)
	v_lshlrev_b32_e32 v0, 16, v0
	v_sub_f32_e32 v0, v0, v1
	v_mul_f32_e32 v0, v7, v0
	v_lshrrev_b32_e32 v14, 16, v0
.LBB672_70:
	s_or_b64 exec, exec, s[6:7]
	v_mov_b32_e32 v0, 0
	v_mov_b32_e32 v1, 0
	s_and_saveexec_b64 s[0:1], s[2:3]
	s_cbranch_execz .LBB672_72
; %bb.71:
	v_lshlrev_b32_e32 v10, 8, v10
	v_mov_b32_e32 v11, 0
	v_lshl_add_u64 v[10:11], v[4:5], 0, v[10:11]
	global_load_ushort v1, v[10:11], off
	s_waitcnt vmcnt(0)
	v_lshlrev_b32_e32 v1, 16, v1
	v_sub_f32_e32 v1, v1, v2
	v_mul_f32_e32 v1, v13, v1
	v_lshrrev_b32_e32 v1, 16, v1
.LBB672_72:
	s_or_b64 exec, exec, s[0:1]
	s_and_saveexec_b64 s[0:1], s[4:5]
	s_cbranch_execz .LBB672_74
; %bb.73:
	v_lshlrev_b32_e32 v10, 8, v12
	v_mov_b32_e32 v11, 0
	v_lshl_add_u64 v[4:5], v[4:5], 0, v[10:11]
	global_load_ushort v0, v[4:5], off
	s_waitcnt vmcnt(0)
	v_lshlrev_b32_e32 v0, 16, v0
	v_sub_f32_e32 v0, v0, v3
	v_mul_f32_e32 v0, v8, v0
	v_lshrrev_b32_e32 v0, 16, v0
.LBB672_74:
	s_or_b64 exec, exec, s[0:1]
	s_mov_b32 s0, 0x5040100
	v_lshlrev_b32_e32 v2, 1, v34
	v_perm_b32 v1, v0, v1, s0
	v_perm_b32 v0, v14, v15, s0
	v_lshl_or_b32 v2, v6, 5, v2
	ds_write_b64 v2, v[0:1] offset:38912
	s_waitcnt lgkmcnt(0)
	s_barrier
.LBB672_75:
	s_endpgm
	.section	.rodata,"a",@progbits
	.p2align	6, 0x0
	.amdhsa_kernel _ZN12_GLOBAL__N_139chunk_gated_delta_rule_fwd_h_hip_kernelILi16ELb0ELb0ELb0ELb0ELb1ELb1ELb0ELb0EEEvPK12hip_bfloat16S3_S3_PKfS5_PKvPS1_S8_PvPKiSB_iiiiilll
		.amdhsa_group_segment_fixed_size 40960
		.amdhsa_private_segment_fixed_size 0
		.amdhsa_kernarg_size 136
		.amdhsa_user_sgpr_count 2
		.amdhsa_user_sgpr_dispatch_ptr 0
		.amdhsa_user_sgpr_queue_ptr 0
		.amdhsa_user_sgpr_kernarg_segment_ptr 1
		.amdhsa_user_sgpr_dispatch_id 0
		.amdhsa_user_sgpr_kernarg_preload_length 0
		.amdhsa_user_sgpr_kernarg_preload_offset 0
		.amdhsa_user_sgpr_private_segment_size 0
		.amdhsa_uses_dynamic_stack 0
		.amdhsa_enable_private_segment 0
		.amdhsa_system_sgpr_workgroup_id_x 1
		.amdhsa_system_sgpr_workgroup_id_y 1
		.amdhsa_system_sgpr_workgroup_id_z 0
		.amdhsa_system_sgpr_workgroup_info 0
		.amdhsa_system_vgpr_workitem_id 0
		.amdhsa_next_free_vgpr 124
		.amdhsa_next_free_sgpr 64
		.amdhsa_accum_offset 112
		.amdhsa_reserve_vcc 1
		.amdhsa_float_round_mode_32 0
		.amdhsa_float_round_mode_16_64 0
		.amdhsa_float_denorm_mode_32 3
		.amdhsa_float_denorm_mode_16_64 3
		.amdhsa_dx10_clamp 1
		.amdhsa_ieee_mode 1
		.amdhsa_fp16_overflow 0
		.amdhsa_tg_split 0
		.amdhsa_exception_fp_ieee_invalid_op 0
		.amdhsa_exception_fp_denorm_src 0
		.amdhsa_exception_fp_ieee_div_zero 0
		.amdhsa_exception_fp_ieee_overflow 0
		.amdhsa_exception_fp_ieee_underflow 0
		.amdhsa_exception_fp_ieee_inexact 0
		.amdhsa_exception_int_div_zero 0
	.end_amdhsa_kernel
	.section	.text._ZN12_GLOBAL__N_139chunk_gated_delta_rule_fwd_h_hip_kernelILi16ELb0ELb0ELb0ELb0ELb1ELb1ELb0ELb0EEEvPK12hip_bfloat16S3_S3_PKfS5_PKvPS1_S8_PvPKiSB_iiiiilll,"axG",@progbits,_ZN12_GLOBAL__N_139chunk_gated_delta_rule_fwd_h_hip_kernelILi16ELb0ELb0ELb0ELb0ELb1ELb1ELb0ELb0EEEvPK12hip_bfloat16S3_S3_PKfS5_PKvPS1_S8_PvPKiSB_iiiiilll,comdat
.Lfunc_end672:
	.size	_ZN12_GLOBAL__N_139chunk_gated_delta_rule_fwd_h_hip_kernelILi16ELb0ELb0ELb0ELb0ELb1ELb1ELb0ELb0EEEvPK12hip_bfloat16S3_S3_PKfS5_PKvPS1_S8_PvPKiSB_iiiiilll, .Lfunc_end672-_ZN12_GLOBAL__N_139chunk_gated_delta_rule_fwd_h_hip_kernelILi16ELb0ELb0ELb0ELb0ELb1ELb1ELb0ELb0EEEvPK12hip_bfloat16S3_S3_PKfS5_PKvPS1_S8_PvPKiSB_iiiiilll
                                        ; -- End function
	.section	.AMDGPU.csdata,"",@progbits
; Kernel info:
; codeLenInByte = 7320
; NumSgprs: 70
; NumVgprs: 112
; NumAgprs: 12
; TotalNumVgprs: 124
; ScratchSize: 0
; MemoryBound: 0
; FloatMode: 240
; IeeeMode: 1
; LDSByteSize: 40960 bytes/workgroup (compile time only)
; SGPRBlocks: 8
; VGPRBlocks: 15
; NumSGPRsForWavesPerEU: 70
; NumVGPRsForWavesPerEU: 124
; AccumOffset: 112
; Occupancy: 1
; WaveLimiterHint : 1
; COMPUTE_PGM_RSRC2:SCRATCH_EN: 0
; COMPUTE_PGM_RSRC2:USER_SGPR: 2
; COMPUTE_PGM_RSRC2:TRAP_HANDLER: 0
; COMPUTE_PGM_RSRC2:TGID_X_EN: 1
; COMPUTE_PGM_RSRC2:TGID_Y_EN: 1
; COMPUTE_PGM_RSRC2:TGID_Z_EN: 0
; COMPUTE_PGM_RSRC2:TIDIG_COMP_CNT: 0
; COMPUTE_PGM_RSRC3_GFX90A:ACCUM_OFFSET: 27
; COMPUTE_PGM_RSRC3_GFX90A:TG_SPLIT: 0
	.section	.text._ZN12_GLOBAL__N_139chunk_gated_delta_rule_fwd_h_hip_kernelILi16ELb1ELb1ELb1ELb1ELb1ELb0ELb1ELb0EEEvPK12hip_bfloat16S3_S3_PKfS5_PKvPS1_S8_PvPKiSB_iiiiilll,"axG",@progbits,_ZN12_GLOBAL__N_139chunk_gated_delta_rule_fwd_h_hip_kernelILi16ELb1ELb1ELb1ELb1ELb1ELb0ELb1ELb0EEEvPK12hip_bfloat16S3_S3_PKfS5_PKvPS1_S8_PvPKiSB_iiiiilll,comdat
	.globl	_ZN12_GLOBAL__N_139chunk_gated_delta_rule_fwd_h_hip_kernelILi16ELb1ELb1ELb1ELb1ELb1ELb0ELb1ELb0EEEvPK12hip_bfloat16S3_S3_PKfS5_PKvPS1_S8_PvPKiSB_iiiiilll ; -- Begin function _ZN12_GLOBAL__N_139chunk_gated_delta_rule_fwd_h_hip_kernelILi16ELb1ELb1ELb1ELb1ELb1ELb0ELb1ELb0EEEvPK12hip_bfloat16S3_S3_PKfS5_PKvPS1_S8_PvPKiSB_iiiiilll
	.p2align	8
	.type	_ZN12_GLOBAL__N_139chunk_gated_delta_rule_fwd_h_hip_kernelILi16ELb1ELb1ELb1ELb1ELb1ELb0ELb1ELb0EEEvPK12hip_bfloat16S3_S3_PKfS5_PKvPS1_S8_PvPKiSB_iiiiilll,@function
_ZN12_GLOBAL__N_139chunk_gated_delta_rule_fwd_h_hip_kernelILi16ELb1ELb1ELb1ELb1ELb1ELb0ELb1ELb0EEEvPK12hip_bfloat16S3_S3_PKfS5_PKvPS1_S8_PvPKiSB_iiiiilll: ; @_ZN12_GLOBAL__N_139chunk_gated_delta_rule_fwd_h_hip_kernelILi16ELb1ELb1ELb1ELb1ELb1ELb0ELb1ELb0EEEvPK12hip_bfloat16S3_S3_PKfS5_PKvPS1_S8_PvPKiSB_iiiiilll
; %bb.0:
	s_load_dwordx4 s[20:23], s[0:1], 0x5c
	s_load_dwordx4 s[4:7], s[0:1], 0x48
	s_abs_i32 s9, s3
	s_ashr_i32 s8, s3, 31
	v_and_b32_e32 v56, 15, v0
	s_waitcnt lgkmcnt(0)
	s_abs_i32 s10, s21
	v_cvt_f32_u32_e32 v1, s10
	s_sub_i32 s12, 0, s10
	s_ashr_i32 s11, s21, 31
	s_xor_b32 s8, s8, s11
	v_rcp_iflag_f32_e32 v1, v1
	v_bfe_u32 v55, v0, 4, 2
	v_mov_b32_e32 v45, 0
	v_lshlrev_b32_e32 v57, 3, v0
	v_mul_f32_e32 v1, 0x4f7ffffe, v1
	v_cvt_u32_f32_e32 v1, v1
	s_nop 0
	v_readfirstlane_b32 s13, v1
	s_mul_i32 s12, s12, s13
	s_mul_hi_u32 s12, s13, s12
	s_add_i32 s13, s13, s12
	s_mul_hi_u32 s12, s9, s13
	s_mul_i32 s13, s12, s10
	s_sub_i32 s9, s9, s13
	s_add_i32 s14, s12, 1
	s_sub_i32 s13, s9, s10
	s_cmp_ge_u32 s9, s10
	s_cselect_b32 s12, s14, s12
	s_cselect_b32 s9, s13, s9
	s_add_i32 s13, s12, 1
	s_cmp_ge_u32 s9, s10
	s_cselect_b32 s9, s13, s12
	s_xor_b32 s9, s9, s8
	s_sub_i32 s24, s9, s8
	s_mul_i32 s12, s24, s21
	s_ashr_i32 s25, s24, 31
	s_sub_i32 s51, s3, s12
	s_lshl_b64 s[8:9], s[24:25], 2
	s_add_u32 s4, s4, s8
	s_addc_u32 s5, s5, s9
	s_add_u32 s26, s6, s8
	s_addc_u32 s27, s7, s9
	s_abs_i32 s3, s22
	v_cvt_f32_u32_e32 v1, s3
	s_load_dwordx2 s[38:39], s[4:5], 0x0
	s_sub_i32 s5, 0, s3
	s_lshl_b32 s2, s2, 4
	v_rcp_iflag_f32_e32 v1, v1
	v_or_b32_e32 v46, s2, v56
	s_waitcnt lgkmcnt(0)
	s_sub_i32 s54, s39, s38
	s_ashr_i32 s4, s54, 31
	v_mul_f32_e32 v1, 0x4f7ffffe, v1
	v_cvt_u32_f32_e32 v1, v1
	s_lshr_b32 s4, s4, 26
	s_add_i32 s4, s54, s4
	s_ashr_i32 s52, s4, 6
	v_readfirstlane_b32 s6, v1
	s_mul_i32 s5, s5, s6
	s_mul_hi_u32 s5, s6, s5
	s_add_i32 s6, s6, s5
	s_mul_hi_u32 s5, s10, s6
	s_mul_i32 s6, s5, s3
	s_ashr_i32 s4, s22, 31
	s_sub_i32 s6, s10, s6
	s_xor_b32 s4, s11, s4
	s_add_i32 s7, s5, 1
	s_sub_i32 s8, s6, s3
	s_cmp_ge_u32 s6, s3
	s_cselect_b32 s5, s7, s5
	s_cselect_b32 s6, s8, s6
	s_add_i32 s7, s5, 1
	s_cmp_ge_u32 s6, s3
	s_cselect_b32 s3, s7, s5
	s_xor_b32 s3, s3, s4
	s_sub_i32 s3, s3, s4
	s_abs_i32 s13, s3
	v_cvt_f32_u32_e32 v1, s13
	s_sub_i32 s15, 0, s13
	s_abs_i32 s14, s51
	s_xor_b32 s3, s51, s3
	v_rcp_iflag_f32_e32 v2, v1
	s_ashr_i32 s3, s3, 31
	s_load_dwordx8 s[4:11], s[0:1], 0x28
	v_lshrrev_b32_e32 v1, 6, v0
	v_mul_f32_e32 v2, 0x4f7ffffe, v2
	v_cvt_u32_f32_e32 v2, v2
	v_lshlrev_b32_e32 v54, 4, v1
	v_lshlrev_b32_e32 v42, 7, v46
	v_lshl_or_b32 v59, v55, 2, v54
	v_readfirstlane_b32 s16, v2
	s_mul_i32 s15, s15, s16
	s_mul_hi_u32 s15, s16, s15
	s_add_i32 s16, s16, s15
	s_mul_hi_u32 s15, s14, s16
	s_mul_i32 s16, s15, s13
	s_sub_i32 s14, s14, s16
	s_add_i32 s16, s15, 1
	s_sub_i32 s17, s14, s13
	s_cmp_ge_u32 s14, s13
	s_cselect_b32 s15, s16, s15
	s_cselect_b32 s14, s17, s14
	s_add_i32 s16, s15, 1
	s_cmp_ge_u32 s14, s13
	s_cselect_b32 s13, s16, s15
	s_xor_b32 s13, s13, s3
	s_sub_i32 s55, s13, s3
	s_ashr_i32 s53, s51, 31
	s_mul_hi_i32 s3, s24, s21
	s_add_u32 s12, s12, s51
	s_addc_u32 s13, s3, s53
	s_lshl_b64 s[34:35], s[12:13], 16
	s_waitcnt lgkmcnt(0)
	s_add_u32 s4, s4, s34
	s_addc_u32 s5, s5, s35
	v_ashrrev_i32_e32 v43, 31, v42
	v_lshl_add_u64 v[2:3], v[42:43], 2, s[4:5]
	v_lshlrev_b32_e32 v44, 2, v59
	v_lshl_add_u64 v[10:11], v[2:3], 0, v[44:45]
	global_load_dwordx4 v[2:5], v[10:11], off
	global_load_dwordx4 v[6:9], v[10:11], off offset:256
	s_load_dwordx8 s[12:19], s[0:1], 0x0
	s_load_dwordx2 s[36:37], s[0:1], 0x80
	s_load_dwordx4 s[28:31], s[0:1], 0x70
	s_load_dword s58, s[26:27], 0x0
	v_and_b32_e32 v45, 63, v0
	v_lshrrev_b32_e32 v58, 3, v45
	v_or_b32_e32 v60, 64, v59
	s_waitcnt lgkmcnt(0)
	s_mul_i32 s33, s24, s29
	s_mul_hi_u32 s46, s24, s28
	s_mul_i32 s42, s24, s28
	s_mul_i32 s47, s25, s28
	s_mul_hi_i32 s56, s51, s20
	s_mul_i32 s57, s51, s20
	s_mul_i32 s48, s51, s31
	s_mul_hi_u32 s49, s51, s30
	s_mul_i32 s50, s53, s30
	s_cmp_lt_i32 s54, 64
	s_mul_i32 s40, s51, s30
	s_waitcnt vmcnt(1)
	v_mov_b32_e32 v62, v5
	s_waitcnt vmcnt(0)
	v_mov_b32_e32 v61, v9
	s_cbranch_scc1 .LBB673_3
; %bb.1:
	s_ashr_i32 s1, s38, 31
	s_add_u32 s0, s57, s38
	s_addc_u32 s1, s56, s1
	s_lshl_b64 s[0:1], s[0:1], 8
	v_and_b32_e32 v64, 56, v57
	s_add_u32 s24, s14, s0
	v_lshl_or_b32 v63, v1, 3, v58
	v_lshlrev_b32_e32 v5, 1, v64
	s_addc_u32 s0, s15, s1
	v_lshl_or_b32 v65, v63, 8, v5
	s_and_b32 s25, s0, 0xffff
	s_mov_b32 s27, 0x20000
	s_movk_i32 s26, 0x4000
	s_movk_i32 s0, 0x80
	v_or_b32_e32 v66, 0x2000, v65
	buffer_load_dwordx4 v[10:13], v65, s[24:27], 0 offen
	buffer_load_dwordx4 v[14:17], v65, s[24:27], s0 offen
	;; [unrolled: 1-line block ×4, first 2 shown]
	v_lshlrev_b32_e32 v9, 3, v63
	v_and_or_b32 v27, v0, 7, v9
	v_and_b32_e32 v9, 0x78, v9
	v_lshlrev_b32_e32 v27, 4, v27
	v_xor_b32_e32 v67, v27, v9
	v_mul_lo_u32 v26, v63, s23
	v_or_b32_e32 v68, 0x1000, v67
	v_xor_b32_e32 v9, 8, v67
	s_cmpk_eq_i32 s23, 0x80
	s_mov_b32 s59, s38
	v_xor_b32_e32 v27, 8, v68
	s_cselect_b64 s[0:1], -1, 0
	s_cmpk_lg_i32 s23, 0x80
	s_waitcnt vmcnt(3)
	ds_write_b64 v67, v[10:11] offset:16384
	ds_write_b64 v9, v[12:13] offset:16384
	s_waitcnt vmcnt(2)
	ds_write_b64 v67, v[14:15] offset:24576
	ds_write_b64 v9, v[16:17] offset:24576
	;; [unrolled: 3-line block ×4, first 2 shown]
	v_lshl_add_u32 v9, v26, 1, v64
	s_cbranch_scc0 .LBB673_29
; %bb.2:
	v_lshlrev_b32_e32 v11, 1, v9
	v_add_lshl_u32 v10, v9, s23, 1
	s_lshl_b32 s26, s23, 7
	v_lshl_or_b32 v5, v63, 9, v5
	s_cbranch_execz .LBB673_30
	s_branch .LBB673_31
.LBB673_3:
	v_mov_b32_e32 v9, v61
	v_mov_b32_e32 v5, v62
.LBB673_4:
	s_lshl_b32 s31, s52, 6
	s_sub_i32 s30, s54, s31
	s_cmp_gt_i32 s30, 0
	s_cbranch_scc0 .LBB673_76
; %bb.5:
	s_add_i32 s31, s31, s38
	s_ashr_i32 s3, s31, 31
	s_cmpk_lg_i32 s23, 0x80
	s_cselect_b64 s[26:27], -1, 0
	s_and_b64 vcc, exec, s[26:27]
	s_cbranch_vccz .LBB673_7
; %bb.6:
	s_mul_i32 s1, s31, s22
	s_ashr_i32 s4, s55, 31
	s_mul_hi_i32 s0, s31, s22
	s_add_u32 s28, s1, s55
	s_addc_u32 s29, s0, s4
	s_cbranch_execz .LBB673_8
	s_branch .LBB673_9
.LBB673_7:
                                        ; implicit-def: $sgpr28_sgpr29
.LBB673_8:
	s_mul_i32 s1, s55, s20
	s_mul_hi_i32 s0, s55, s20
	s_add_u32 s28, s1, s31
	s_addc_u32 s29, s0, s3
.LBB673_9:
	s_add_i32 s4, s52, s58
	s_add_u32 s0, s57, s31
	s_addc_u32 s1, s56, s3
	s_mov_b32 s3, 0x7060302
	v_lshlrev_b32_e32 v14, 3, v56
	s_lshl_b64 s[24:25], s[0:1], 8
	v_perm_b32 v11, v5, v4, s3
	v_perm_b32 v10, v3, v2, s3
	;; [unrolled: 1-line block ×4, first 2 shown]
	v_lshlrev_b32_e32 v48, 2, v56
	v_lshl_or_b32 v14, v59, 5, v14
	s_add_u32 s0, s14, s24
	ds_write2st64_b64 v14, v[10:11], v[12:13] offset0:72 offset1:76
	v_xor_b32_e32 v14, v59, v48
	v_lshlrev_b32_e32 v15, 8, v56
	s_addc_u32 s1, s15, s25
	v_lshl_or_b32 v14, v14, 1, v15
	s_mul_hi_i32 s3, s4, s21
	s_mul_i32 s4, s4, s21
	ds_write_b64 v14, v[10:11] offset:32768
	v_xor_b32_e32 v10, v60, v48
	s_add_u32 s4, s4, s51
	v_lshl_or_b32 v10, v10, 1, v15
	s_addc_u32 s5, s3, s53
	v_lshlrev_b32_e32 v11, 1, v56
	ds_write_b64 v10, v[12:13] offset:32768
	v_lshrrev_b32_e32 v10, 4, v0
	s_ashr_i32 s3, s2, 31
	s_lshl_b64 s[4:5], s[4:5], 15
	v_or_b32_e32 v12, 1, v11
	s_add_u32 s4, s6, s4
	v_xor_b32_e32 v11, v10, v11
	v_xor_b32_e32 v12, v12, v10
	v_lshlrev_b32_e32 v14, 8, v10
	s_addc_u32 s5, s7, s5
	s_lshl_b64 s[2:3], s[2:3], 8
	v_lshl_or_b32 v10, v11, 3, v14
	v_lshl_or_b32 v12, v12, 3, v14
	s_waitcnt lgkmcnt(0)
	s_barrier
	s_add_u32 s2, s4, s2
	ds_read_b64 v[10:11], v10 offset:32768
	ds_read_b64 v[12:13], v12 offset:32768
	s_addc_u32 s3, s5, s3
	v_mov_b32_e32 v15, 0
	s_cmp_lg_u32 s30, 64
	v_lshl_add_u64 v[16:17], s[2:3], 0, v[14:15]
	v_lshlrev_b32_e32 v14, 4, v56
	s_cselect_b64 s[14:15], -1, 0
	v_lshl_or_b32 v47, v1, 3, v58
	s_mov_b32 s4, 0
	v_lshl_add_u64 v[14:15], v[16:17], 0, v[14:15]
	s_waitcnt vmcnt(1)
	v_or_b32_e32 v27, 32, v47
	v_and_b32_e32 v26, 56, v57
	s_and_b64 vcc, exec, s[14:15]
	s_waitcnt lgkmcnt(0)
	global_store_dwordx4 v[14:15], v[10:13], off
	s_cbranch_vccz .LBB673_15
; %bb.10:
	s_mov_b32 s6, s4
	s_mov_b32 s7, s4
	;; [unrolled: 1-line block ×3, first 2 shown]
	v_mov_b64_e32 v[16:17], s[6:7]
	v_mov_b64_e32 v[14:15], s[4:5]
	v_mov_b64_e32 v[10:11], v[14:15]
	v_cmp_gt_i32_e32 vcc, s30, v47
	v_mov_b64_e32 v[12:13], v[16:17]
	s_and_saveexec_b64 s[2:3], vcc
	s_cbranch_execz .LBB673_12
; %bb.11:
	v_lshlrev_b32_e32 v10, 8, v47
	v_mov_b32_e32 v11, 0
	v_lshl_add_u64 v[12:13], s[0:1], 0, v[10:11]
	v_lshlrev_b32_e32 v10, 1, v26
	v_lshl_add_u64 v[18:19], v[12:13], 0, v[10:11]
	global_load_dwordx4 v[14:17], v[18:19], off
	global_load_dwordx4 v[10:13], v[18:19], off offset:128
.LBB673_12:
	s_or_b64 exec, exec, s[2:3]
	s_mov_b32 s6, s4
	s_mov_b32 s7, s4
	s_mov_b32 s5, s4
	v_mov_b64_e32 v[24:25], s[6:7]
	v_mov_b64_e32 v[22:23], s[4:5]
	;; [unrolled: 1-line block ×3, first 2 shown]
	v_cmp_gt_i32_e32 vcc, s30, v27
	v_lshlrev_b32_e32 v28, 7, v27
	v_mov_b64_e32 v[20:21], v[24:25]
	s_and_saveexec_b64 s[2:3], vcc
	s_cbranch_execz .LBB673_14
; %bb.13:
	v_lshlrev_b32_e32 v18, 1, v28
	v_mov_b32_e32 v19, 0
	v_lshl_add_u64 v[20:21], s[0:1], 0, v[18:19]
	v_lshlrev_b32_e32 v18, 1, v26
	v_lshl_add_u64 v[30:31], v[20:21], 0, v[18:19]
	global_load_dwordx4 v[22:25], v[30:31], off
	global_load_dwordx4 v[18:21], v[30:31], off offset:128
.LBB673_14:
	s_or_b64 exec, exec, s[2:3]
	v_lshrrev_b32_e32 v29, 3, v26
	v_lshlrev_b32_e32 v30, 3, v47
	v_or_b32_e32 v29, v30, v29
	v_lshlrev_b32_e32 v29, 4, v29
	v_and_b32_e32 v30, 0x78, v30
	v_xor_b32_e32 v29, v29, v30
	s_branch .LBB673_17
.LBB673_15:
                                        ; implicit-def: $vgpr29
                                        ; implicit-def: $vgpr28
                                        ; implicit-def: $vgpr14_vgpr15_vgpr16_vgpr17
                                        ; implicit-def: $vgpr10_vgpr11_vgpr12_vgpr13
                                        ; implicit-def: $vgpr22_vgpr23_vgpr24_vgpr25
                                        ; implicit-def: $vgpr18_vgpr19_vgpr20_vgpr21
	s_cbranch_execz .LBB673_17
; %bb.16:
	s_waitcnt vmcnt(0)
	v_lshlrev_b32_e32 v10, 1, v26
	v_lshl_or_b32 v28, v47, 8, v10
	s_and_b32 s1, s1, 0xffff
	s_mov_b32 s3, 0x20000
	s_movk_i32 s2, 0x4000
	v_lshl_or_b32 v29, v27, 8, v10
	s_movk_i32 s4, 0x80
	buffer_load_dwordx4 v[14:17], v28, s[0:3], 0 offen
	buffer_load_dwordx4 v[10:13], v28, s[0:3], s4 offen
	;; [unrolled: 1-line block ×4, first 2 shown]
	v_lshrrev_b32_e32 v28, 3, v26
	v_lshlrev_b32_e32 v29, 3, v47
	v_or_b32_e32 v28, v29, v28
	v_lshlrev_b32_e32 v28, 4, v28
	v_and_b32_e32 v29, 0x78, v29
	v_xor_b32_e32 v29, v28, v29
	v_lshlrev_b32_e32 v28, 7, v27
.LBB673_17:
	s_lshl_b64 s[0:1], s[28:29], 8
	s_add_u32 s4, s12, s0
	s_movk_i32 s0, 0x1000
	v_and_or_b32 v27, v28, s0, v29
	s_waitcnt vmcnt(1)
	ds_write_b64 v29, v[14:15] offset:16384
	v_xor_b32_e32 v14, 8, v29
	ds_write_b64 v14, v[16:17] offset:16384
	s_waitcnt vmcnt(0)
	ds_write_b64 v29, v[10:11] offset:24576
	ds_write_b64 v14, v[12:13] offset:24576
	;; [unrolled: 1-line block ×3, first 2 shown]
	v_xor_b32_e32 v10, 8, v27
	ds_write_b64 v10, v[24:25] offset:16384
	ds_write_b64 v27, v[18:19] offset:24576
	ds_write_b64 v10, v[20:21] offset:24576
	v_or_b32_e32 v10, v54, v56
	v_lshlrev_b32_e32 v10, 3, v10
	v_lshrrev_b32_e32 v12, 5, v45
	s_movk_i32 s6, 0xf8
	v_and_or_b32 v12, v10, s6, v12
	v_lshlrev_b32_e32 v49, 11, v1
	v_lshlrev_b32_e32 v20, 4, v12
	v_and_b32_e32 v21, 0x78, v10
	v_and_b32_e32 v22, 0x1000, v49
	v_lshlrev_b32_e32 v11, 2, v0
	v_xor_b32_e32 v10, v20, v21
	v_lshrrev_b32_e32 v12, 1, v45
	v_and_b32_e32 v11, 60, v11
	v_or_b32_e32 v10, v10, v22
	v_and_b32_e32 v23, 8, v12
	v_xor_b32_e32 v34, v10, v23
	v_lshl_or_b32 v10, v55, 6, v11
	v_lshlrev_b32_e32 v50, 1, v10
	v_or_b32_e32 v10, 32, v20
	v_xor_b32_e32 v10, v10, v21
	s_waitcnt lgkmcnt(0)
	s_barrier
	ds_read_b64 v[18:19], v34 offset:16384
	v_or_b32_e32 v10, v10, v22
	v_xor_b32_e32 v35, v10, v23
	v_or_b32_e32 v10, 64, v20
	v_xor_b32_e32 v10, v10, v21
	v_or_b32_e32 v10, v10, v22
	v_or_b32_e32 v20, 0x60, v20
	v_xor_b32_e32 v36, v10, v23
	ds_read2st64_b64 v[10:13], v50 offset0:72 offset1:73
	ds_read2st64_b64 v[14:17], v50 offset0:74 offset1:75
	v_xor_b32_e32 v24, v20, v21
	ds_read_b64 v[20:21], v35 offset:16384
	s_addc_u32 s5, s13, s1
	s_add_i32 s1, s46, s33
	s_waitcnt lgkmcnt(2)
	v_mfma_f32_16x16x16_bf16 a[0:3], v[18:19], v[10:11], 0
	s_add_i32 s0, s39, -1
	s_add_i32 s43, s1, s47
	s_add_i32 s1, s49, s48
	;; [unrolled: 1-line block ×3, first 2 shown]
	s_ashr_i32 s1, s0, 31
	s_mul_i32 s2, s0, s37
	s_mul_hi_u32 s3, s0, s36
	s_add_i32 s2, s3, s2
	s_mul_i32 s1, s1, s36
	v_or_b32_e32 v22, v24, v22
	s_add_i32 s1, s2, s1
	s_lshl_b64 s[2:3], s[42:43], 2
	v_xor_b32_e32 v51, v22, v23
	ds_read_b64 v[22:23], v36 offset:16384
	ds_read_b64 v[24:25], v51 offset:16384
	s_waitcnt lgkmcnt(2)
	v_mfma_f32_16x16x16_bf16 a[0:3], v[20:21], v[12:13], a[0:3]
	s_add_u32 s6, s18, s2
	s_addc_u32 s7, s19, s3
	s_lshl_b64 s[2:3], s[40:41], 2
	s_mul_i32 s0, s0, s36
	s_add_u32 s12, s6, s2
	s_addc_u32 s13, s7, s3
	s_lshl_b64 s[0:1], s[0:1], 2
	s_waitcnt lgkmcnt(1)
	v_mfma_f32_16x16x16_bf16 a[0:3], v[22:23], v[14:15], a[0:3]
	s_add_u32 s0, s12, s0
	s_addc_u32 s1, s13, s1
	s_load_dword s18, s[0:1], 0x0
	s_waitcnt lgkmcnt(0)
	v_mfma_f32_16x16x16_bf16 a[0:3], v[24:25], v[16:17], a[0:3]
	s_and_b64 vcc, exec, s[26:27]
	s_cbranch_vccz .LBB673_28
; %bb.18:
	v_lshlrev_b32_e32 v27, 1, v47
	s_and_b64 vcc, exec, s[14:15]
	s_cbranch_vccz .LBB673_44
; %bb.19:
	v_cmp_gt_i32_e32 vcc, s30, v27
	v_mov_b32_e32 v14, 0
	v_mov_b32_e32 v10, 0
	;; [unrolled: 1-line block ×5, first 2 shown]
	s_and_saveexec_b64 s[0:1], vcc
	s_cbranch_execz .LBB673_21
; %bb.20:
	v_mad_i64_i32 v[10:11], s[2:3], s23, v27, 0
	v_lshl_add_u64 v[10:11], v[10:11], 1, s[4:5]
	v_lshlrev_b32_e32 v12, 1, v26
	v_mov_b32_e32 v13, 0
	v_lshl_add_u64 v[10:11], v[10:11], 0, v[12:13]
	global_load_dwordx4 v[10:13], v[10:11], off
.LBB673_21:
	s_or_b64 exec, exec, s[0:1]
	v_or_b32_e32 v28, 1, v27
	v_cmp_gt_i32_e64 s[0:1], s30, v28
	v_mov_b32_e32 v15, 0
	v_mov_b32_e32 v16, 0
	;; [unrolled: 1-line block ×3, first 2 shown]
	s_and_saveexec_b64 s[2:3], s[0:1]
	s_cbranch_execz .LBB673_23
; %bb.22:
	v_mad_i64_i32 v[14:15], s[6:7], s23, v28, 0
	v_lshl_add_u64 v[14:15], v[14:15], 1, s[4:5]
	v_lshlrev_b32_e32 v16, 1, v26
	v_mov_b32_e32 v17, 0
	v_lshl_add_u64 v[14:15], v[14:15], 0, v[16:17]
	global_load_dwordx4 v[14:17], v[14:15], off
.LBB673_23:
	s_or_b64 exec, exec, s[2:3]
	v_mov_b32_e32 v25, 0
	v_mov_b32_e32 v18, 0
	;; [unrolled: 1-line block ×5, first 2 shown]
	s_and_saveexec_b64 s[2:3], vcc
	s_cbranch_execz .LBB673_25
; %bb.24:
	v_mad_i64_i32 v[18:19], s[6:7], s23, v27, 0
	v_lshl_add_u64 v[18:19], v[18:19], 1, s[4:5]
	v_lshlrev_b32_e32 v20, 1, v26
	v_mov_b32_e32 v21, 0
	v_lshl_add_u64 v[18:19], v[18:19], 0, v[20:21]
	global_load_dwordx4 v[18:21], v[18:19], off offset:128
.LBB673_25:
	s_or_b64 exec, exec, s[2:3]
	v_mov_b32_e32 v24, 0
	v_mov_b32_e32 v23, 0
	;; [unrolled: 1-line block ×3, first 2 shown]
	s_and_saveexec_b64 s[2:3], s[0:1]
	s_cbranch_execz .LBB673_27
; %bb.26:
	v_mad_i64_i32 v[22:23], s[0:1], s23, v28, 0
	v_lshl_add_u64 v[22:23], v[22:23], 1, s[4:5]
	v_lshlrev_b32_e32 v24, 1, v26
	v_mov_b32_e32 v25, 0
	v_lshl_add_u64 v[22:23], v[22:23], 0, v[24:25]
	global_load_dwordx4 v[22:25], v[22:23], off offset:128
.LBB673_27:
	s_or_b64 exec, exec, s[2:3]
	s_branch .LBB673_46
.LBB673_28:
                                        ; implicit-def: $vgpr13
                                        ; implicit-def: $vgpr17
                                        ; implicit-def: $vgpr21
                                        ; implicit-def: $vgpr25
	v_lshrrev_b32_e32 v45, 2, v45
	s_branch .LBB673_47
.LBB673_29:
                                        ; implicit-def: $vgpr10
                                        ; implicit-def: $vgpr11
                                        ; implicit-def: $sgpr26
	v_lshl_or_b32 v5, v63, 9, v5
.LBB673_30:
	v_or_b32_e32 v10, 0x100, v5
	s_movk_i32 s26, 0x4000
	v_mov_b32_e32 v11, v5
.LBB673_31:
	s_mul_i32 s4, s38, s22
	s_ashr_i32 s60, s55, 31
	s_mul_hi_i32 s3, s38, s22
	s_add_u32 s4, s4, s55
	s_addc_u32 s5, s3, s60
	s_lshl_b64 s[4:5], s[4:5], 8
	s_add_u32 s24, s12, s4
	s_addc_u32 s3, s13, s5
	s_and_b32 s25, s3, 0xffff
	s_movk_i32 s61, 0x80
	buffer_load_dwordx4 v[12:15], v11, s[24:27], 0 offen
	buffer_load_dwordx4 v[16:19], v11, s[24:27], s61 offen
	;; [unrolled: 1-line block ×4, first 2 shown]
	v_and_b32_e32 v10, 6, v0
	v_lshlrev_b32_e32 v28, 2, v56
	v_lshlrev_b32_e32 v29, 3, v56
	v_xor_b32_e32 v32, v63, v10
	v_and_b32_e32 v11, 1, v0
	v_lshl_or_b32 v29, v59, 5, v29
	v_xor_b32_e32 v33, v59, v28
	v_lshlrev_b32_e32 v32, 2, v32
	v_or_b32_e32 v69, 0x9000, v29
	v_or_b32_e32 v70, 0x9800, v29
	v_lshlrev_b32_e32 v29, 1, v33
	v_xor_b32_e32 v33, 0x440, v32
	v_cmp_eq_u32_e32 vcc, 0, v11
	s_add_i32 s3, s46, s33
	s_add_i32 s4, s49, s48
	v_cndmask_b32_e32 v11, v33, v32, vcc
	s_add_i32 s43, s3, s47
	v_lshl_or_b32 v10, v10, 10, v11
	s_add_i32 s41, s4, s50
	s_lshl_b64 s[4:5], s[42:43], 2
	s_mov_b32 s62, 0x1000504
	v_lshlrev_b32_e32 v30, 8, v56
	s_mov_b32 s26, 0x8000
	v_xor_b32_e32 v28, v60, v28
	v_xor_b32_e32 v11, 8, v10
	s_add_u32 s3, s18, s4
	s_mov_b32 s63, 0x3020706
	v_or_b32_e32 v31, v54, v56
	v_lshlrev_b32_e32 v28, 1, v28
	v_or3_b32 v71, v29, v30, s26
	v_xor_b32_e32 v29, 24, v10
	v_xor_b32_e32 v32, 40, v10
	;; [unrolled: 1-line block ×3, first 2 shown]
	v_add_u32_e32 v11, 0x80, v11
	s_addc_u32 s24, s19, s5
	s_lshl_b64 s[4:5], s[40:41], 2
	v_lshlrev_b32_e32 v31, 3, v31
	v_or3_b32 v72, v28, v30, s26
	v_xor_b32_e32 v28, 16, v10
	v_xor_b32_e32 v30, 32, v10
	;; [unrolled: 1-line block ×3, first 2 shown]
	v_add_u32_e32 v29, 0x80, v29
	v_add_u32_e32 v32, 0x80, v32
	;; [unrolled: 1-line block ×3, first 2 shown]
	s_add_u32 s4, s3, s4
	s_movk_i32 s3, 0xf8
	s_addc_u32 s5, s24, s5
	v_ashrrev_i32_e32 v47, 31, v46
	s_lshl_b32 s30, s23, 7
	s_mov_b32 s64, 0
	s_waitcnt vmcnt(1)
	v_perm_b32 v35, v12, v20, s62
	s_waitcnt vmcnt(0)
	v_perm_b32 v36, v16, v24, s62
	v_perm_b32 v12, v12, v20, s63
	;; [unrolled: 1-line block ×15, first 2 shown]
	ds_write2st64_b32 v10, v35, v36 offset1:32
	ds_write2st64_b32 v11, v12, v16 offset1:32
	ds_write2st64_b32 v28, v20, v24 offset0:1 offset1:33
	ds_write2st64_b32 v29, v13, v17 offset0:1 offset1:33
	;; [unrolled: 1-line block ×6, first 2 shown]
	v_lshrrev_b32_e32 v11, 5, v45
	v_and_or_b32 v11, v31, s3, v11
	v_lshlrev_b32_e32 v11, 4, v11
	v_lshlrev_b32_e32 v18, 11, v1
	v_and_b32_e32 v12, 0x78, v31
	v_or_b32_e32 v15, 32, v11
	v_and_b32_e32 v10, 0x1000, v18
	v_lshrrev_b32_e32 v19, 1, v0
	v_xor_b32_e32 v15, v15, v12
	v_and_b32_e32 v14, 8, v19
	v_or_b32_e32 v15, v15, v10
	v_xor_b32_e32 v13, v11, v12
	v_xor_b32_e32 v75, v15, v14
	v_or_b32_e32 v15, 64, v11
	v_or_b32_e32 v11, 0x60, v11
	v_xor_b32_e32 v15, v15, v12
	v_xor_b32_e32 v11, v11, v12
	v_or_b32_e32 v13, v13, v10
	v_or_b32_e32 v15, v15, v10
	;; [unrolled: 1-line block ×3, first 2 shown]
	v_xor_b32_e32 v73, v13, v14
	v_xor_b32_e32 v76, v15, v14
	;; [unrolled: 1-line block ×3, first 2 shown]
	v_lshrrev_b32_e32 v14, 4, v0
	v_lshlrev_b32_e32 v15, 1, v56
	s_ashr_i32 s3, s2, 31
	v_or_b32_e32 v16, 1, v15
	v_xor_b32_e32 v15, v14, v15
	s_lshl_b64 s[24:25], s[2:3], 8
	v_xor_b32_e32 v16, v16, v14
	v_lshlrev_b32_e32 v15, 3, v15
	v_lshlrev_b32_e32 v14, 8, v14
	v_lshlrev_b64 v[10:11], 1, v[46:47]
	s_add_u32 s24, s6, s24
	v_or3_b32 v47, v15, v14, s26
	v_lshlrev_b32_e32 v15, 3, v16
	s_addc_u32 s25, s7, s25
	v_or3_b32 v79, v15, v14, s26
	v_mov_b32_e32 v15, 0
	v_lshl_add_u64 v[16:17], s[24:25], 0, v[14:15]
	v_lshlrev_b32_e32 v14, 4, v56
	s_movk_i32 s3, 0xff
	v_lshlrev_b32_e32 v23, 3, v1
	v_and_b32_e32 v19, 24, v19
	v_lshl_add_u64 v[48:49], v[16:17], 0, v[14:15]
	v_and_b32_e32 v16, 8, v0
	v_cmp_lt_u32_e32 vcc, s3, v0
	v_xor_b32_e32 v24, v23, v19
	v_or_b32_e32 v25, 0x440, v24
	v_cndmask_b32_e64 v22, 0, 1, vcc
	v_cmp_eq_u32_e32 vcc, 0, v16
	v_and_b32_e32 v14, 7, v0
	v_lshlrev_b32_e32 v17, 3, v14
	v_cndmask_b32_e32 v16, v25, v24, vcc
	v_lshlrev_b32_e32 v14, 7, v14
	v_or_b32_e32 v16, v16, v18
	v_xad_u32 v80, v16, v17, v14
	v_or_b32_e32 v16, 32, v19
	v_xor_b32_e32 v16, v23, v16
	v_or_b32_e32 v24, 0x440, v16
	v_cndmask_b32_e32 v16, v24, v16, vcc
	v_or_b32_e32 v16, v16, v18
	v_xad_u32 v81, v16, v17, v14
	v_or_b32_e32 v16, 64, v19
	v_xor_b32_e32 v16, v23, v16
	v_xor_b32_e32 v24, 0x440, v16
	v_cndmask_b32_e32 v16, v24, v16, vcc
	v_or_b32_e32 v16, v16, v18
	v_xad_u32 v82, v16, v17, v14
	v_or_b32_e32 v16, 0x60, v19
	v_xor_b32_e32 v16, v23, v16
	v_xor_b32_e32 v19, 0x440, v16
	v_and_b32_e32 v13, 0x78, v57
	v_cndmask_b32_e32 v16, v19, v16, vcc
	v_lshl_or_b32 v13, v55, 7, v13
	v_or_b32_e32 v16, v16, v18
	v_or_b32_e32 v74, 0x9000, v13
	;; [unrolled: 1-line block ×3, first 2 shown]
	v_lshl_add_u64 v[12:13], s[16:17], 0, v[10:11]
	v_lshl_add_u64 v[10:11], s[8:9], 0, v[10:11]
	v_lshlrev_b32_e32 v20, 1, v9
	v_add_lshl_u32 v9, v9, s23, 1
	v_or_b32_e32 v21, 0x100, v5
	v_lshlrev_b32_e32 v22, 13, v22
	v_xad_u32 v83, v16, v17, v14
	v_lshlrev_b32_e32 v14, 8, v59
	v_cndmask_b32_e64 v84, v20, v5, s[0:1]
	v_cndmask_b32_e64 v85, v9, v21, s[0:1]
	v_lshl_add_u64 v[50:51], v[12:13], 0, v[14:15]
	v_lshl_add_u64 v[52:53], v[10:11], 0, v[14:15]
	s_mov_b32 s3, 0x7060302
	s_movk_i32 s26, 0x4000
	v_add_u32_e32 v86, v22, v80
	v_add_u32_e32 v87, v22, v81
	;; [unrolled: 1-line block ×4, first 2 shown]
	s_waitcnt lgkmcnt(0)
	s_barrier
.LBB673_32:                             ; =>This Inner Loop Header: Depth=1
	s_add_i32 s41, s64, 1
	s_cmp_lt_i32 s41, s52
	s_mov_b64 s[28:29], 0
	s_cselect_b64 s[44:45], -1, 0
	s_cmp_ge_i32 s41, s52
	s_mov_b64 s[24:25], 0
	s_cbranch_scc1 .LBB673_34
; %bb.33:                               ;   in Loop: Header=BB673_32 Depth=1
	s_add_i32 s0, s59, 64
	s_ashr_i32 s1, s0, 31
	s_add_u32 s0, s57, s0
	s_addc_u32 s1, s56, s1
	s_lshl_b64 s[0:1], s[0:1], 8
	s_add_u32 s24, s14, s0
	s_addc_u32 s25, s15, s1
.LBB673_34:                             ;   in Loop: Header=BB673_32 Depth=1
	v_cndmask_b32_e64 v5, 0, 1, s[44:45]
	v_cmp_ne_u32_e64 s[0:1], 1, v5
	s_andn2_b64 vcc, exec, s[44:45]
	s_cbranch_vccnz .LBB673_36
; %bb.35:                               ;   in Loop: Header=BB673_32 Depth=1
	s_add_i32 s28, s59, 64
	s_mul_hi_i32 s29, s28, s22
	s_mul_i32 s28, s28, s22
	s_add_u32 s28, s28, s55
	s_addc_u32 s29, s29, s60
	s_lshl_b64 s[28:29], s[28:29], 8
	s_add_u32 s28, s12, s28
	s_addc_u32 s29, s13, s29
.LBB673_36:                             ;   in Loop: Header=BB673_32 Depth=1
	v_perm_b32 v11, v62, v4, s3
	v_perm_b32 v10, v3, v2, s3
	;; [unrolled: 1-line block ×4, first 2 shown]
	ds_write_b64 v69, v[10:11]
	ds_write_b64 v70, v[12:13]
	;; [unrolled: 1-line block ×4, first 2 shown]
	s_waitcnt lgkmcnt(0)
	s_barrier
	ds_read_b64 v[18:19], v73 offset:16384
	ds_read_b64 v[20:21], v75 offset:16384
	ds_read2st64_b64 v[10:13], v74 offset1:1
	s_waitcnt lgkmcnt(0)
	v_mfma_f32_16x16x16_bf16 a[0:3], v[18:19], v[10:11], 0
	ds_read2st64_b64 v[14:17], v74 offset0:2 offset1:3
	ds_read_b64 v[22:23], v76 offset:16384
	ds_read_b64 v[10:11], v77 offset:16384
	s_add_i32 s31, s59, 63
	v_mfma_f32_16x16x16_bf16 a[0:3], v[20:21], v[12:13], a[0:3]
	s_ashr_i32 s43, s31, 31
	s_mul_i32 s44, s31, s37
	s_mul_hi_u32 s45, s31, s36
	s_waitcnt lgkmcnt(1)
	v_mfma_f32_16x16x16_bf16 a[0:3], v[22:23], v[14:15], a[0:3]
	s_add_i32 s44, s45, s44
	s_mul_i32 s43, s43, s36
	s_add_i32 s45, s44, s43
	s_mul_i32 s44, s31, s36
	s_waitcnt lgkmcnt(0)
	v_mfma_f32_16x16x16_bf16 a[0:3], v[10:11], v[16:17], a[0:3]
	s_lshl_b64 s[44:45], s[44:45], 2
	s_add_u32 s44, s4, s44
	s_addc_u32 s45, s5, s45
	s_and_b64 vcc, exec, s[0:1]
	v_mov_b32_e32 v90, 0
	v_mov_b32_e32 v9, 0
	;; [unrolled: 1-line block ×19, first 2 shown]
	s_cbranch_vccnz .LBB673_38
; %bb.37:                               ;   in Loop: Header=BB673_32 Depth=1
	s_and_b32 s25, s25, 0xffff
	buffer_load_dwordx4 v[22:25], v65, s[24:27], 0 offen
	buffer_load_dwordx4 v[18:21], v65, s[24:27], s61 offen
	;; [unrolled: 1-line block ×4, first 2 shown]
	v_mov_b32_e32 v9, v67
	v_mov_b32_e32 v5, v68
.LBB673_38:                             ;   in Loop: Header=BB673_32 Depth=1
	s_waitcnt vmcnt(3)
	v_add_u32_e32 v30, s59, v59
	s_waitcnt vmcnt(1)
	v_ashrrev_i32_e32 v26, 31, v30
	v_mul_lo_u32 v28, v26, s36
	v_mul_lo_u32 v29, v30, s37
	v_mad_u64_u32 v[26:27], s[24:25], v30, s36, 0
	v_add3_u32 v27, v27, v29, v28
	v_lshl_add_u64 v[26:27], v[26:27], 2, s[4:5]
	global_load_dword v94, v[26:27], off
	v_add_u32_e32 v26, 1, v30
	v_ashrrev_i32_e32 v27, 31, v26
	v_mul_lo_u32 v28, v27, s36
	v_mul_lo_u32 v29, v26, s37
	v_mad_u64_u32 v[26:27], s[24:25], v26, s36, 0
	v_add3_u32 v27, v27, v29, v28
	v_add_u32_e32 v28, 2, v30
	v_ashrrev_i32_e32 v29, 31, v28
	v_mul_lo_u32 v31, v29, s36
	v_mul_lo_u32 v32, v28, s37
	v_mad_u64_u32 v[28:29], s[24:25], v28, s36, 0
	v_add_u32_e32 v30, 3, v30
	v_add3_u32 v29, v29, v32, v31
	v_ashrrev_i32_e32 v31, 31, v30
	v_mul_lo_u32 v34, v31, s36
	v_mul_lo_u32 v35, v30, s37
	v_mad_u64_u32 v[30:31], s[24:25], v30, s36, 0
	s_ashr_i32 s25, s59, 31
	s_add_u32 s24, s57, s59
	s_addc_u32 s25, s56, s25
	s_lshl_b64 s[66:67], s[24:25], 8
	v_lshl_add_u64 v[26:27], v[26:27], 2, s[4:5]
	v_lshl_add_u64 v[32:33], v[50:51], 0, s[66:67]
	v_add3_u32 v31, v31, v35, v34
	v_lshl_add_u64 v[28:29], v[28:29], 2, s[4:5]
	global_load_ushort v95, v[32:33], off
	global_load_ushort v96, v[32:33], off offset:256
	global_load_ushort v97, v[32:33], off offset:512
	;; [unrolled: 1-line block ×3, first 2 shown]
	v_lshl_add_u64 v[30:31], v[30:31], 2, s[4:5]
	global_load_dword v99, v[26:27], off
	global_load_dword v100, v[28:29], off
	;; [unrolled: 1-line block ×3, first 2 shown]
	s_load_dword s24, s[44:45], 0x0
	ds_read_b64 v[28:29], v73 offset:24576
	ds_read2st64_b64 v[30:33], v78 offset1:1
	ds_read2st64_b64 v[34:37], v78 offset0:2 offset1:3
	ds_read_b64 v[38:39], v75 offset:24576
	ds_read_b64 v[40:41], v76 offset:24576
	;; [unrolled: 1-line block ×3, first 2 shown]
	s_waitcnt lgkmcnt(0)
	v_mfma_f32_16x16x16_bf16 a[0:3], v[28:29], v[30:31], a[0:3]
	v_mov_b32_e32 v91, 0
	v_mov_b32_e32 v26, 0
	;; [unrolled: 1-line block ×3, first 2 shown]
	v_mfma_f32_16x16x16_bf16 a[0:3], v[38:39], v[32:33], a[0:3]
	v_lshl_add_u64 v[38:39], v[52:53], 0, s[66:67]
	v_mov_b32_e32 v28, 0
	v_mov_b32_e32 v29, 0
	v_mfma_f32_16x16x16_bf16 a[0:3], v[40:41], v[34:35], a[0:3]
	v_mov_b32_e32 v30, 0
	v_mov_b32_e32 v31, 0
	;; [unrolled: 1-line block ×3, first 2 shown]
	v_mfma_f32_16x16x16_bf16 a[0:3], v[92:93], v[36:37], a[0:3]
	v_mov_b32_e32 v33, 0
	v_mov_b32_e32 v34, 0
	s_and_b64 vcc, exec, s[0:1]
	s_waitcnt vmcnt(7)
	v_sub_f32_e32 v35, s24, v94
	s_nop 1
	v_accvgpr_read_b32 v41, a1
	v_accvgpr_read_b32 v40, a0
	;; [unrolled: 1-line block ×4, first 2 shown]
	s_waitcnt vmcnt(6)
	v_lshlrev_b32_e32 v92, 16, v95
	s_waitcnt vmcnt(5)
	v_lshlrev_b32_e32 v93, 16, v96
	v_exp_f32_e32 v96, v35
	s_waitcnt vmcnt(3)
	v_lshlrev_b32_e32 v95, 16, v98
	s_waitcnt vmcnt(2)
	v_sub_f32_e32 v35, s24, v99
	s_waitcnt vmcnt(1)
	v_sub_f32_e32 v98, s24, v100
	;; [unrolled: 2-line block ×3, first 2 shown]
	v_lshlrev_b32_e32 v94, 16, v97
	v_pk_add_f32 v[40:41], v[92:93], v[40:41] neg_lo:[0,1] neg_hi:[0,1]
	v_exp_f32_e32 v97, v35
	v_exp_f32_e32 v92, v98
	;; [unrolled: 1-line block ×3, first 2 shown]
	v_pk_add_f32 v[36:37], v[94:95], v[36:37] neg_lo:[0,1] neg_hi:[0,1]
	global_store_short_d16_hi v[38:39], v40, off
	global_store_short_d16_hi v[38:39], v41, off offset:256
	global_store_short_d16_hi v[38:39], v36, off offset:512
	;; [unrolled: 1-line block ×3, first 2 shown]
	v_pk_mul_f32 v[38:39], v[96:97], v[40:41]
	v_pk_mul_f32 v[36:37], v[92:93], v[36:37]
	v_perm_b32 v38, v39, v38, s3
	v_perm_b32 v39, v37, v36, s3
	ds_write_b64 v70, v[38:39]
	v_mov_b32_e32 v35, 0
	v_mov_b32_e32 v36, 0
	v_mov_b32_e32 v37, 0
	v_mov_b32_e32 v38, 0
	v_mov_b32_e32 v39, 0
	v_mov_b32_e32 v40, 0
	v_mov_b32_e32 v41, 0
	s_cbranch_vccnz .LBB673_40
; %bb.39:                               ;   in Loop: Header=BB673_32 Depth=1
	s_and_b32 s29, s29, 0xffff
	s_mov_b32 s31, s27
	buffer_load_dwordx4 v[38:41], v84, s[28:31], 0 offen
	buffer_load_dwordx4 v[30:33], v84, s[28:31], s61 offen
	buffer_load_dwordx4 v[34:37], v85, s[28:31], 0 offen
	buffer_load_dwordx4 v[26:29], v85, s[28:31], s61 offen
	v_mov_b32_e32 v90, v64
	v_mov_b32_e32 v91, v63
.LBB673_40:                             ;   in Loop: Header=BB673_32 Depth=1
	s_waitcnt lgkmcnt(0)
	s_barrier
	ds_read_b64 v[100:101], v86
	ds_read2st64_b64 v[92:95], v78 offset1:1
	ds_read2st64_b64 v[96:99], v78 offset0:2 offset1:3
	ds_read_b64 v[102:103], v87
	ds_read_b64 v[104:105], v88
	;; [unrolled: 1-line block ×3, first 2 shown]
	s_waitcnt lgkmcnt(4)
	v_mfma_f32_16x16x16_bf16 a[0:3], v[100:101], v[92:93], 0
	ds_read_b64 v[100:101], v80 offset:8192
	ds_read_b64 v[108:109], v81 offset:8192
	s_add_i32 s25, s58, s64
	s_mul_hi_i32 s29, s25, s21
	s_waitcnt lgkmcnt(1)
	v_mfma_f32_16x16x16_bf16 a[4:7], v[100:101], v[92:93], 0
	s_mul_i32 s25, s25, s21
	s_add_u32 s28, s25, s51
	s_addc_u32 s29, s29, s53
	v_mfma_f32_16x16x16_bf16 a[0:3], v[102:103], v[94:95], a[0:3]
	ds_read_b64 v[100:101], v47
	ds_read_b64 v[102:103], v79
	ds_read_b64 v[92:93], v82 offset:8192
	s_lshl_b64 s[28:29], s[28:29], 15
	v_mfma_f32_16x16x16_bf16 a[0:3], v[104:105], v[96:97], a[0:3]
	ds_read_b64 v[104:105], v83 offset:8192
	s_and_b64 vcc, exec, s[0:1]
	s_waitcnt lgkmcnt(4)
	v_mfma_f32_16x16x16_bf16 a[4:7], v[108:109], v[94:95], a[4:7]
	s_waitcnt lgkmcnt(1)
	v_mfma_f32_16x16x16_bf16 a[4:7], v[92:93], v[96:97], a[4:7]
	v_lshl_add_u64 v[92:93], v[48:49], 0, s[28:29]
	global_store_dwordx4 v[92:93], v[100:103], off
	v_mfma_f32_16x16x16_bf16 a[0:3], v[106:107], v[98:99], a[0:3]
	s_waitcnt lgkmcnt(0)
	v_mfma_f32_16x16x16_bf16 a[4:7], v[104:105], v[98:99], a[4:7]
	s_cbranch_vccnz .LBB673_42
; %bb.41:                               ;   in Loop: Header=BB673_32 Depth=1
	v_lshrrev_b32_e32 v92, 3, v90
	v_and_b32_e32 v92, 6, v92
	v_xor_b32_e32 v91, v92, v91
	v_lshlrev_b32_e32 v91, 2, v91
	v_and_b32_e32 v90, 8, v90
	v_xor_b32_e32 v93, 0x440, v91
	v_cmp_eq_u32_e32 vcc, 0, v90
	s_barrier
	s_nop 0
	v_cndmask_b32_e32 v90, v93, v91, vcc
	v_lshl_or_b32 v90, v92, 10, v90
	s_waitcnt vmcnt(2)
	v_perm_b32 v91, v38, v34, s62
	s_waitcnt vmcnt(1)
	v_perm_b32 v92, v30, v26, s62
	ds_write2st64_b32 v90, v91, v92 offset1:32
	v_xor_b32_e32 v91, 8, v90
	v_perm_b32 v34, v38, v34, s63
	v_perm_b32 v26, v30, v26, s63
	v_add_u32_e32 v30, 0x80, v91
	ds_write2st64_b32 v30, v34, v26 offset1:32
	v_xor_b32_e32 v26, 16, v90
	v_perm_b32 v30, v39, v35, s62
	v_perm_b32 v34, v31, v27, s62
	ds_write2st64_b32 v26, v30, v34 offset0:1 offset1:33
	v_xor_b32_e32 v26, 24, v90
	v_perm_b32 v30, v39, v35, s63
	v_perm_b32 v27, v31, v27, s63
	v_add_u32_e32 v26, 0x80, v26
	ds_write2st64_b32 v26, v30, v27 offset0:1 offset1:33
	v_xor_b32_e32 v26, 32, v90
	v_perm_b32 v27, v40, v36, s62
	v_perm_b32 v30, v32, v28, s62
	ds_write2st64_b32 v26, v27, v30 offset0:2 offset1:34
	v_xor_b32_e32 v26, 40, v90
	v_perm_b32 v27, v40, v36, s63
	v_perm_b32 v28, v32, v28, s63
	v_add_u32_e32 v26, 0x80, v26
	ds_write2st64_b32 v26, v27, v28 offset0:2 offset1:34
	;; [unrolled: 9-line block ×3, first 2 shown]
	ds_write_b64 v9, v[22:23] offset:16384
	v_xor_b32_e32 v22, 8, v9
	ds_write_b64 v22, v[24:25] offset:16384
	ds_write_b64 v9, v[18:19] offset:24576
	;; [unrolled: 1-line block ×4, first 2 shown]
	v_xor_b32_e32 v9, 8, v5
	ds_write_b64 v9, v[16:17] offset:16384
	ds_write_b64 v5, v[10:11] offset:24576
	;; [unrolled: 1-line block ×3, first 2 shown]
.LBB673_42:                             ;   in Loop: Header=BB673_32 Depth=1
	v_exp_f32_e32 v10, s24
	s_nop 2
	v_accvgpr_read_b32 v9, a1
	v_accvgpr_read_b32 v5, a0
	s_add_i32 s59, s59, 64
	v_fma_f32 v3, v3, v10, v9
	v_accvgpr_read_b32 v9, a4
	v_fma_f32 v6, v6, v10, v9
	v_accvgpr_read_b32 v9, a5
	;; [unrolled: 2-line block ×6, first 2 shown]
	v_fmac_f32_e32 v5, v62, v10
	s_cmp_eq_u32 s52, s41
	v_fmac_f32_e32 v9, v61, v10
	s_cbranch_scc1 .LBB673_4
; %bb.43:                               ;   in Loop: Header=BB673_32 Depth=1
	s_mov_b32 s64, s41
	v_mov_b32_e32 v62, v5
	v_mov_b32_e32 v61, v9
	s_branch .LBB673_32
.LBB673_44:
                                        ; implicit-def: $vgpr13
                                        ; implicit-def: $vgpr17
                                        ; implicit-def: $vgpr21
                                        ; implicit-def: $vgpr25
	s_cbranch_execz .LBB673_46
; %bb.45:
	s_waitcnt vmcnt(0)
	v_mad_u64_u32 v[10:11], s[0:1], v27, s23, v[26:27]
	v_lshlrev_b32_e32 v27, 1, v10
	s_lshl_b32 s2, s23, 7
	s_and_b32 s1, s5, 0xffff
	s_mov_b32 s3, 0x20000
	s_mov_b32 s0, s4
	v_add_lshl_u32 v28, v10, s23, 1
	s_movk_i32 s6, 0x80
	buffer_load_dwordx4 v[10:13], v27, s[0:3], 0 offen
	buffer_load_dwordx4 v[18:21], v27, s[0:3], s6 offen
	;; [unrolled: 1-line block ×4, first 2 shown]
.LBB673_46:
	v_lshrrev_b32_e32 v45, 2, v45
	s_cbranch_execnz .LBB673_59
.LBB673_47:
	s_and_b64 vcc, exec, s[14:15]
	s_cbranch_vccz .LBB673_57
; %bb.48:
	s_waitcnt vmcnt(0)
	v_lshlrev_b32_e32 v15, 1, v47
	v_cmp_gt_i32_e32 vcc, s30, v15
	v_mov_b32_e32 v14, 0
	v_lshlrev_b32_e32 v22, 9, v47
	v_mov_b32_e32 v10, 0
	v_mov_b32_e32 v11, 0
	v_mov_b32_e32 v12, 0
	v_mov_b32_e32 v13, 0
	s_and_saveexec_b64 s[0:1], vcc
	s_cbranch_execz .LBB673_50
; %bb.49:
	v_mov_b32_e32 v23, 0
	v_lshl_add_u64 v[10:11], s[4:5], 0, v[22:23]
	v_lshlrev_b32_e32 v12, 1, v26
	v_mov_b32_e32 v13, v23
	v_lshl_add_u64 v[10:11], v[10:11], 0, v[12:13]
	global_load_dwordx4 v[10:13], v[10:11], off
.LBB673_50:
	s_or_b64 exec, exec, s[0:1]
	v_or_b32_e32 v15, 1, v15
	v_cmp_gt_i32_e64 s[0:1], s30, v15
	v_lshlrev_b32_e32 v28, 8, v15
	v_mov_b32_e32 v15, 0
	v_mov_b32_e32 v16, 0
	v_mov_b32_e32 v17, 0
	s_and_saveexec_b64 s[2:3], s[0:1]
	s_cbranch_execz .LBB673_52
; %bb.51:
	v_mov_b32_e32 v29, 0
	v_lshl_add_u64 v[14:15], s[4:5], 0, v[28:29]
	v_lshlrev_b32_e32 v16, 1, v26
	v_mov_b32_e32 v17, v29
	v_lshl_add_u64 v[14:15], v[14:15], 0, v[16:17]
	global_load_dwordx4 v[14:17], v[14:15], off
.LBB673_52:
	s_or_b64 exec, exec, s[2:3]
	v_mov_b32_e32 v25, 0
	v_mov_b32_e32 v18, 0
	;; [unrolled: 1-line block ×5, first 2 shown]
	s_and_saveexec_b64 s[2:3], vcc
	s_cbranch_execz .LBB673_54
; %bb.53:
	v_mov_b32_e32 v23, 0
	v_lshl_add_u64 v[18:19], s[4:5], 0, v[22:23]
	v_lshlrev_b32_e32 v22, 1, v26
	v_lshl_add_u64 v[18:19], v[18:19], 0, v[22:23]
	global_load_dwordx4 v[18:21], v[18:19], off offset:128
.LBB673_54:
	s_or_b64 exec, exec, s[2:3]
	v_mov_b32_e32 v24, 0
	v_mov_b32_e32 v23, 0
	;; [unrolled: 1-line block ×3, first 2 shown]
	s_and_saveexec_b64 s[2:3], s[0:1]
	s_cbranch_execz .LBB673_56
; %bb.55:
	v_mov_b32_e32 v29, 0
	v_lshl_add_u64 v[22:23], s[4:5], 0, v[28:29]
	v_lshlrev_b32_e32 v28, 1, v26
	v_lshl_add_u64 v[22:23], v[22:23], 0, v[28:29]
	global_load_dwordx4 v[22:25], v[22:23], off offset:128
.LBB673_56:
	s_or_b64 exec, exec, s[2:3]
	s_branch .LBB673_59
.LBB673_57:
                                        ; implicit-def: $vgpr13
                                        ; implicit-def: $vgpr17
                                        ; implicit-def: $vgpr21
                                        ; implicit-def: $vgpr25
	s_cbranch_execz .LBB673_59
; %bb.58:
	s_waitcnt vmcnt(0)
	v_lshlrev_b32_e32 v10, 1, v26
	v_lshl_or_b32 v26, v47, 9, v10
	s_and_b32 s5, s5, 0xffff
	s_mov_b32 s7, 0x20000
	s_movk_i32 s6, 0x4000
	s_movk_i32 s0, 0x80
	buffer_load_dwordx4 v[10:13], v26, s[4:7], 0 offen
	buffer_load_dwordx4 v[14:17], v26, s[4:7], 0 offen offset:256
	buffer_load_dwordx4 v[18:21], v26, s[4:7], s0 offen
	buffer_load_dwordx4 v[22:25], v26, s[4:7], s0 offen offset:256
.LBB673_59:
	ds_read2st64_b64 v[30:33], v50 offset0:76 offset1:77
	ds_read2st64_b64 v[26:29], v50 offset0:78 offset1:79
	ds_read_b64 v[40:41], v34 offset:24576
	ds_read_b64 v[38:39], v35 offset:24576
	ds_read_b64 v[36:37], v36 offset:24576
	ds_read_b64 v[34:35], v51 offset:24576
	v_and_b32_e32 v51, 6, v0
	v_xor_b32_e32 v47, v47, v51
	v_lshlrev_b32_e32 v47, 2, v47
	v_and_b32_e32 v52, 1, v0
	v_xor_b32_e32 v53, 0x440, v47
	v_cmp_eq_u32_e32 vcc, 0, v52
	s_mov_b32 s0, 0x1000504
	s_waitcnt vmcnt(0)
	v_perm_b32 v52, v18, v22, s0
	v_cndmask_b32_e32 v47, v53, v47, vcc
	v_lshl_or_b32 v47, v51, 10, v47
	v_perm_b32 v51, v10, v14, s0
	ds_write2st64_b32 v47, v51, v52 offset1:32
	v_xor_b32_e32 v51, 8, v47
	s_mov_b32 s1, 0x3020706
	v_perm_b32 v10, v10, v14, s1
	v_perm_b32 v14, v18, v22, s1
	v_add_u32_e32 v18, 0x80, v51
	ds_write2st64_b32 v18, v10, v14 offset1:32
	v_xor_b32_e32 v10, 16, v47
	v_perm_b32 v14, v11, v15, s0
	v_perm_b32 v18, v19, v23, s0
	ds_write2st64_b32 v10, v14, v18 offset0:1 offset1:33
	v_xor_b32_e32 v10, 24, v47
	v_perm_b32 v11, v11, v15, s1
	v_perm_b32 v14, v19, v23, s1
	v_add_u32_e32 v10, 0x80, v10
	ds_write2st64_b32 v10, v11, v14 offset0:1 offset1:33
	v_xor_b32_e32 v10, 32, v47
	v_perm_b32 v11, v12, v16, s0
	v_perm_b32 v14, v20, v24, s0
	ds_write2st64_b32 v10, v11, v14 offset0:2 offset1:34
	v_xor_b32_e32 v10, 40, v47
	v_perm_b32 v11, v12, v16, s1
	v_perm_b32 v12, v20, v24, s1
	v_add_u32_e32 v10, 0x80, v10
	ds_write2st64_b32 v10, v11, v12 offset0:2 offset1:34
	v_xor_b32_e32 v10, 48, v47
	v_perm_b32 v11, v13, v17, s0
	v_perm_b32 v12, v21, v25, s0
	ds_write2st64_b32 v10, v11, v12 offset0:3 offset1:35
	v_xor_b32_e32 v10, 56, v47
	v_and_or_b32 v18, v45, 12, v54
	v_perm_b32 v11, v13, v17, s1
	v_perm_b32 v12, v21, v25, s1
	v_add_u32_e32 v10, 0x80, v10
	v_cmp_gt_i32_e64 s[2:3], s30, v18
	v_mov_b32_e32 v20, 0
	v_mov_b32_e32 v25, 0
	ds_write2st64_b32 v10, v11, v12 offset0:3 offset1:35
	s_and_saveexec_b64 s[0:1], s[2:3]
	s_cbranch_execz .LBB673_61
; %bb.60:
	v_add_u32_e32 v10, s31, v18
	v_ashrrev_i32_e32 v11, 31, v10
	v_mul_lo_u32 v12, v11, s36
	v_mul_lo_u32 v13, v10, s37
	v_mad_u64_u32 v[10:11], s[4:5], v10, s36, 0
	v_add3_u32 v11, v11, v13, v12
	v_lshl_add_u64 v[10:11], v[10:11], 2, s[12:13]
	global_load_dword v10, v[10:11], off
	s_waitcnt vmcnt(0)
	v_sub_f32_e32 v10, s18, v10
	v_exp_f32_e32 v25, v10
.LBB673_61:
	s_or_b64 exec, exec, s[0:1]
	v_or_b32_e32 v23, 1, v18
	v_cmp_gt_i32_e64 s[4:5], s30, v23
	s_and_saveexec_b64 s[0:1], s[4:5]
	s_cbranch_execz .LBB673_63
; %bb.62:
	v_add_u32_e32 v10, s31, v23
	v_ashrrev_i32_e32 v11, 31, v10
	v_mul_lo_u32 v12, v11, s36
	v_mul_lo_u32 v13, v10, s37
	v_mad_u64_u32 v[10:11], s[6:7], v10, s36, 0
	v_add3_u32 v11, v11, v13, v12
	v_lshl_add_u64 v[10:11], v[10:11], 2, s[12:13]
	global_load_dword v10, v[10:11], off
	s_waitcnt vmcnt(0)
	v_sub_f32_e32 v10, s18, v10
	v_exp_f32_e32 v20, v10
.LBB673_63:
	s_or_b64 exec, exec, s[0:1]
	v_or_b32_e32 v22, 2, v18
	v_cmp_gt_i32_e64 s[0:1], s30, v22
	v_mov_b32_e32 v19, 0
	v_mov_b32_e32 v24, 0
	s_and_saveexec_b64 s[6:7], s[0:1]
	s_cbranch_execz .LBB673_65
; %bb.64:
	v_add_u32_e32 v10, s31, v22
	v_ashrrev_i32_e32 v11, 31, v10
	v_mul_lo_u32 v12, v11, s36
	v_mul_lo_u32 v13, v10, s37
	v_mad_u64_u32 v[10:11], s[14:15], v10, s36, 0
	v_add3_u32 v11, v11, v13, v12
	v_lshl_add_u64 v[10:11], v[10:11], 2, s[12:13]
	global_load_dword v10, v[10:11], off
	s_waitcnt vmcnt(0)
	v_sub_f32_e32 v10, s18, v10
	v_exp_f32_e32 v24, v10
.LBB673_65:
	s_or_b64 exec, exec, s[6:7]
	v_or_b32_e32 v21, 3, v18
	v_cmp_gt_i32_e32 vcc, s30, v21
	s_and_saveexec_b64 s[6:7], vcc
	s_cbranch_execz .LBB673_67
; %bb.66:
	v_add_u32_e32 v10, s31, v21
	v_ashrrev_i32_e32 v11, 31, v10
	v_mul_lo_u32 v12, v11, s36
	v_mul_lo_u32 v13, v10, s37
	v_mad_u64_u32 v[10:11], s[14:15], v10, s36, 0
	v_add3_u32 v11, v11, v13, v12
	v_lshl_add_u64 v[10:11], v[10:11], 2, s[12:13]
	global_load_dword v10, v[10:11], off
	s_waitcnt vmcnt(0)
	v_sub_f32_e32 v10, s18, v10
	v_exp_f32_e32 v19, v10
.LBB673_67:
	s_or_b64 exec, exec, s[6:7]
	s_waitcnt lgkmcnt(11)
	v_mfma_f32_16x16x16_bf16 a[0:3], v[40:41], v[30:31], a[0:3]
	s_add_u32 s6, s16, s24
	v_ashrrev_i32_e32 v47, 31, v46
	s_addc_u32 s7, s17, s25
	s_waitcnt lgkmcnt(10)
	v_mfma_f32_16x16x16_bf16 a[0:3], v[38:39], v[32:33], a[0:3]
	v_lshlrev_b64 v[10:11], 1, v[46:47]
	v_lshl_add_u64 v[14:15], s[6:7], 0, v[10:11]
	s_add_u32 s6, s8, s24
	s_waitcnt lgkmcnt(9)
	v_mfma_f32_16x16x16_bf16 a[0:3], v[36:37], v[26:27], a[0:3]
	s_addc_u32 s7, s9, s25
	v_lshl_add_u64 v[16:17], s[6:7], 0, v[10:11]
	v_mov_b32_e32 v26, 0
	s_waitcnt lgkmcnt(8)
	v_mfma_f32_16x16x16_bf16 a[0:3], v[34:35], v[28:29], a[0:3]
	v_mov_b32_e32 v27, 0
	s_nop 5
	v_accvgpr_read_b32 v13, a3
	v_accvgpr_read_b32 v12, a2
	;; [unrolled: 1-line block ×4, first 2 shown]
	s_and_saveexec_b64 s[6:7], s[2:3]
	s_cbranch_execz .LBB673_69
; %bb.68:
	v_lshlrev_b32_e32 v28, 8, v18
	v_mov_b32_e32 v29, 0
	v_lshl_add_u64 v[30:31], v[14:15], 0, v[28:29]
	global_load_ushort v27, v[30:31], off
	v_lshl_add_u64 v[28:29], v[16:17], 0, v[28:29]
	s_waitcnt vmcnt(0)
	v_lshlrev_b32_e32 v27, 16, v27
	v_sub_f32_e32 v10, v27, v10
	global_store_short_d16_hi v[28:29], v10, off
	v_mul_f32_e32 v10, v25, v10
	v_lshrrev_b32_e32 v27, 16, v10
.LBB673_69:
	s_or_b64 exec, exec, s[6:7]
	s_and_saveexec_b64 s[2:3], s[4:5]
	s_cbranch_execz .LBB673_71
; %bb.70:
	v_lshlrev_b32_e32 v28, 8, v23
	v_mov_b32_e32 v29, 0
	v_lshl_add_u64 v[30:31], v[14:15], 0, v[28:29]
	global_load_ushort v10, v[30:31], off
	v_lshl_add_u64 v[28:29], v[16:17], 0, v[28:29]
	s_waitcnt vmcnt(0)
	v_lshlrev_b32_e32 v10, 16, v10
	v_sub_f32_e32 v10, v10, v11
	global_store_short_d16_hi v[28:29], v10, off
	v_mul_f32_e32 v10, v20, v10
	v_lshrrev_b32_e32 v26, 16, v10
.LBB673_71:
	s_or_b64 exec, exec, s[2:3]
	v_mov_b32_e32 v11, 0
	v_mov_b32_e32 v20, 0
	s_and_saveexec_b64 s[2:3], s[0:1]
	s_cbranch_execz .LBB673_73
; %bb.72:
	v_lshlrev_b32_e32 v22, 8, v22
	v_mov_b32_e32 v23, 0
	v_lshl_add_u64 v[28:29], v[14:15], 0, v[22:23]
	global_load_ushort v10, v[28:29], off
	v_lshl_add_u64 v[22:23], v[16:17], 0, v[22:23]
	s_waitcnt vmcnt(0)
	v_lshlrev_b32_e32 v10, 16, v10
	v_sub_f32_e32 v10, v10, v12
	global_store_short_d16_hi v[22:23], v10, off
	v_mul_f32_e32 v10, v24, v10
	v_lshrrev_b32_e32 v20, 16, v10
.LBB673_73:
	s_or_b64 exec, exec, s[2:3]
	v_or_b32_e32 v10, 0x9800, v50
	s_and_saveexec_b64 s[0:1], vcc
	s_cbranch_execz .LBB673_75
; %bb.74:
	v_lshlrev_b32_e32 v22, 8, v21
	v_mov_b32_e32 v23, 0
	v_lshl_add_u64 v[14:15], v[14:15], 0, v[22:23]
	global_load_ushort v11, v[14:15], off
	v_lshl_add_u64 v[14:15], v[16:17], 0, v[22:23]
	s_waitcnt vmcnt(0)
	v_lshlrev_b32_e32 v11, 16, v11
	v_sub_f32_e32 v11, v11, v13
	global_store_short_d16_hi v[14:15], v11, off
	v_mul_f32_e32 v11, v19, v11
	v_lshrrev_b32_e32 v11, 16, v11
.LBB673_75:
	s_or_b64 exec, exec, s[0:1]
	s_mov_b32 s0, 0x5040100
	v_perm_b32 v13, v11, v20, s0
	v_lshlrev_b32_e32 v11, 1, v48
	v_perm_b32 v12, v26, v27, s0
	v_lshl_or_b32 v11, v18, 5, v11
	s_movk_i32 s0, 0xff
	ds_write_b64 v11, v[12:13] offset:38912
	v_and_b32_e32 v11, 7, v0
	v_and_b32_e32 v12, 8, v0
	v_cmp_lt_u32_e32 vcc, s0, v0
	v_lshrrev_b32_e32 v0, 1, v0
	v_lshlrev_b32_e32 v22, 3, v1
	v_and_b32_e32 v23, 24, v0
	v_xor_b32_e32 v0, v22, v23
	v_cndmask_b32_e64 v13, 0, 1, vcc
	v_or_b32_e32 v1, 0x440, v0
	v_cmp_eq_u32_e32 vcc, 0, v12
	v_lshlrev_b32_e32 v20, 3, v11
	v_lshlrev_b32_e32 v11, 7, v11
	v_cndmask_b32_e32 v0, v1, v0, vcc
	v_or_b32_e32 v0, v0, v49
	v_lshlrev_b32_e32 v21, 13, v13
	v_xad_u32 v24, v0, v20, v11
	v_add_u32_e32 v0, v21, v24
	s_waitcnt lgkmcnt(0)
	s_barrier
	ds_read_b64 v[0:1], v0
	ds_read2st64_b64 v[12:15], v10 offset1:1
	ds_read2st64_b64 v[16:19], v10 offset0:2 offset1:3
	s_waitcnt lgkmcnt(1)
	v_mfma_f32_16x16x16_bf16 a[0:3], v[0:1], v[12:13], 0
	v_or_b32_e32 v0, 32, v23
	v_xor_b32_e32 v0, v22, v0
	v_or_b32_e32 v1, 0x440, v0
	v_cndmask_b32_e32 v0, v1, v0, vcc
	v_or_b32_e32 v0, v0, v49
	v_xad_u32 v25, v0, v20, v11
	v_add_u32_e32 v0, v21, v25
	ds_read_b64 v[0:1], v0
	v_or_b32_e32 v10, 0x60, v23
	s_waitcnt lgkmcnt(0)
	v_mfma_f32_16x16x16_bf16 a[0:3], v[0:1], v[14:15], a[0:3]
	v_or_b32_e32 v0, 64, v23
	v_xor_b32_e32 v0, v22, v0
	v_xor_b32_e32 v1, 0x440, v0
	v_cndmask_b32_e32 v0, v1, v0, vcc
	v_or_b32_e32 v0, v0, v49
	v_xad_u32 v26, v0, v20, v11
	v_xor_b32_e32 v10, v22, v10
	v_add_u32_e32 v0, v21, v26
	v_xor_b32_e32 v22, 0x440, v10
	ds_read_b64 v[0:1], v0
	v_cndmask_b32_e32 v10, v22, v10, vcc
	v_or_b32_e32 v10, v10, v49
	v_xad_u32 v22, v10, v20, v11
	v_add_u32_e32 v10, v21, v22
	ds_read_b64 v[10:11], v10
	s_waitcnt lgkmcnt(1)
	v_mfma_f32_16x16x16_bf16 a[0:3], v[0:1], v[16:17], a[0:3]
	ds_read_b64 v[0:1], v24 offset:8192
	ds_read_b64 v[20:21], v26 offset:8192
	v_exp_f32_e32 v23, s18
	s_waitcnt lgkmcnt(2)
	v_mfma_f32_16x16x16_bf16 a[0:3], v[10:11], v[18:19], a[0:3]
	ds_read_b64 v[10:11], v25 offset:8192
	s_waitcnt lgkmcnt(2)
	v_mfma_f32_16x16x16_bf16 a[4:7], v[0:1], v[12:13], 0
	ds_read_b64 v[12:13], v22 offset:8192
	s_nop 2
	v_accvgpr_read_b32 v0, a0
	v_accvgpr_read_b32 v1, a1
	s_waitcnt lgkmcnt(1)
	v_mfma_f32_16x16x16_bf16 a[4:7], v[10:11], v[14:15], a[4:7]
	v_fma_f32 v0, v2, v23, v0
	v_fma_f32 v1, v3, v23, v1
	v_accvgpr_read_b32 v2, a2
	v_mfma_f32_16x16x16_bf16 a[4:7], v[20:21], v[16:17], a[4:7]
	v_accvgpr_read_b32 v3, a3
	v_fma_f32 v2, v4, v23, v2
	v_fmac_f32_e32 v3, v5, v23
	s_waitcnt lgkmcnt(0)
	v_mfma_f32_16x16x16_bf16 a[0:3], v[12:13], v[18:19], a[4:7]
	s_nop 6
	v_accvgpr_read_b32 v4, a0
	v_accvgpr_read_b32 v5, a1
	v_fma_f32 v4, v6, v23, v4
	v_fma_f32 v5, v7, v23, v5
	v_accvgpr_read_b32 v6, a2
	v_accvgpr_read_b32 v7, a3
	v_fma_f32 v6, v8, v23, v6
	v_fmac_f32_e32 v7, v9, v23
	v_mov_b64_e32 v[8:9], v[6:7]
	v_mov_b64_e32 v[6:7], v[4:5]
	;; [unrolled: 1-line block ×4, first 2 shown]
.LBB673_76:
	s_add_u32 s0, s10, s34
	s_addc_u32 s1, s11, s35
	v_lshl_add_u64 v[0:1], v[42:43], 2, s[0:1]
	v_mov_b32_e32 v45, 0
	v_lshl_add_u64 v[0:1], v[0:1], 0, v[44:45]
	global_store_dwordx4 v[0:1], v[2:5], off
	global_store_dwordx4 v[0:1], v[6:9], off offset:256
	s_endpgm
	.section	.rodata,"a",@progbits
	.p2align	6, 0x0
	.amdhsa_kernel _ZN12_GLOBAL__N_139chunk_gated_delta_rule_fwd_h_hip_kernelILi16ELb1ELb1ELb1ELb1ELb1ELb0ELb1ELb0EEEvPK12hip_bfloat16S3_S3_PKfS5_PKvPS1_S8_PvPKiSB_iiiiilll
		.amdhsa_group_segment_fixed_size 40960
		.amdhsa_private_segment_fixed_size 0
		.amdhsa_kernarg_size 136
		.amdhsa_user_sgpr_count 2
		.amdhsa_user_sgpr_dispatch_ptr 0
		.amdhsa_user_sgpr_queue_ptr 0
		.amdhsa_user_sgpr_kernarg_segment_ptr 1
		.amdhsa_user_sgpr_dispatch_id 0
		.amdhsa_user_sgpr_kernarg_preload_length 0
		.amdhsa_user_sgpr_kernarg_preload_offset 0
		.amdhsa_user_sgpr_private_segment_size 0
		.amdhsa_uses_dynamic_stack 0
		.amdhsa_enable_private_segment 0
		.amdhsa_system_sgpr_workgroup_id_x 1
		.amdhsa_system_sgpr_workgroup_id_y 1
		.amdhsa_system_sgpr_workgroup_id_z 0
		.amdhsa_system_sgpr_workgroup_info 0
		.amdhsa_system_vgpr_workitem_id 0
		.amdhsa_next_free_vgpr 120
		.amdhsa_next_free_sgpr 68
		.amdhsa_accum_offset 112
		.amdhsa_reserve_vcc 1
		.amdhsa_float_round_mode_32 0
		.amdhsa_float_round_mode_16_64 0
		.amdhsa_float_denorm_mode_32 3
		.amdhsa_float_denorm_mode_16_64 3
		.amdhsa_dx10_clamp 1
		.amdhsa_ieee_mode 1
		.amdhsa_fp16_overflow 0
		.amdhsa_tg_split 0
		.amdhsa_exception_fp_ieee_invalid_op 0
		.amdhsa_exception_fp_denorm_src 0
		.amdhsa_exception_fp_ieee_div_zero 0
		.amdhsa_exception_fp_ieee_overflow 0
		.amdhsa_exception_fp_ieee_underflow 0
		.amdhsa_exception_fp_ieee_inexact 0
		.amdhsa_exception_int_div_zero 0
	.end_amdhsa_kernel
	.section	.text._ZN12_GLOBAL__N_139chunk_gated_delta_rule_fwd_h_hip_kernelILi16ELb1ELb1ELb1ELb1ELb1ELb0ELb1ELb0EEEvPK12hip_bfloat16S3_S3_PKfS5_PKvPS1_S8_PvPKiSB_iiiiilll,"axG",@progbits,_ZN12_GLOBAL__N_139chunk_gated_delta_rule_fwd_h_hip_kernelILi16ELb1ELb1ELb1ELb1ELb1ELb0ELb1ELb0EEEvPK12hip_bfloat16S3_S3_PKfS5_PKvPS1_S8_PvPKiSB_iiiiilll,comdat
.Lfunc_end673:
	.size	_ZN12_GLOBAL__N_139chunk_gated_delta_rule_fwd_h_hip_kernelILi16ELb1ELb1ELb1ELb1ELb1ELb0ELb1ELb0EEEvPK12hip_bfloat16S3_S3_PKfS5_PKvPS1_S8_PvPKiSB_iiiiilll, .Lfunc_end673-_ZN12_GLOBAL__N_139chunk_gated_delta_rule_fwd_h_hip_kernelILi16ELb1ELb1ELb1ELb1ELb1ELb0ELb1ELb0EEEvPK12hip_bfloat16S3_S3_PKfS5_PKvPS1_S8_PvPKiSB_iiiiilll
                                        ; -- End function
	.section	.AMDGPU.csdata,"",@progbits
; Kernel info:
; codeLenInByte = 7736
; NumSgprs: 74
; NumVgprs: 110
; NumAgprs: 8
; TotalNumVgprs: 120
; ScratchSize: 0
; MemoryBound: 0
; FloatMode: 240
; IeeeMode: 1
; LDSByteSize: 40960 bytes/workgroup (compile time only)
; SGPRBlocks: 9
; VGPRBlocks: 14
; NumSGPRsForWavesPerEU: 74
; NumVGPRsForWavesPerEU: 120
; AccumOffset: 112
; Occupancy: 1
; WaveLimiterHint : 1
; COMPUTE_PGM_RSRC2:SCRATCH_EN: 0
; COMPUTE_PGM_RSRC2:USER_SGPR: 2
; COMPUTE_PGM_RSRC2:TRAP_HANDLER: 0
; COMPUTE_PGM_RSRC2:TGID_X_EN: 1
; COMPUTE_PGM_RSRC2:TGID_Y_EN: 1
; COMPUTE_PGM_RSRC2:TGID_Z_EN: 0
; COMPUTE_PGM_RSRC2:TIDIG_COMP_CNT: 0
; COMPUTE_PGM_RSRC3_GFX90A:ACCUM_OFFSET: 27
; COMPUTE_PGM_RSRC3_GFX90A:TG_SPLIT: 0
	.section	.text._ZN12_GLOBAL__N_139chunk_gated_delta_rule_fwd_h_hip_kernelILi16ELb1ELb1ELb0ELb1ELb1ELb0ELb1ELb0EEEvPK12hip_bfloat16S3_S3_PKfS5_PKvPS1_S8_PvPKiSB_iiiiilll,"axG",@progbits,_ZN12_GLOBAL__N_139chunk_gated_delta_rule_fwd_h_hip_kernelILi16ELb1ELb1ELb0ELb1ELb1ELb0ELb1ELb0EEEvPK12hip_bfloat16S3_S3_PKfS5_PKvPS1_S8_PvPKiSB_iiiiilll,comdat
	.globl	_ZN12_GLOBAL__N_139chunk_gated_delta_rule_fwd_h_hip_kernelILi16ELb1ELb1ELb0ELb1ELb1ELb0ELb1ELb0EEEvPK12hip_bfloat16S3_S3_PKfS5_PKvPS1_S8_PvPKiSB_iiiiilll ; -- Begin function _ZN12_GLOBAL__N_139chunk_gated_delta_rule_fwd_h_hip_kernelILi16ELb1ELb1ELb0ELb1ELb1ELb0ELb1ELb0EEEvPK12hip_bfloat16S3_S3_PKfS5_PKvPS1_S8_PvPKiSB_iiiiilll
	.p2align	8
	.type	_ZN12_GLOBAL__N_139chunk_gated_delta_rule_fwd_h_hip_kernelILi16ELb1ELb1ELb0ELb1ELb1ELb0ELb1ELb0EEEvPK12hip_bfloat16S3_S3_PKfS5_PKvPS1_S8_PvPKiSB_iiiiilll,@function
_ZN12_GLOBAL__N_139chunk_gated_delta_rule_fwd_h_hip_kernelILi16ELb1ELb1ELb0ELb1ELb1ELb0ELb1ELb0EEEvPK12hip_bfloat16S3_S3_PKfS5_PKvPS1_S8_PvPKiSB_iiiiilll: ; @_ZN12_GLOBAL__N_139chunk_gated_delta_rule_fwd_h_hip_kernelILi16ELb1ELb1ELb0ELb1ELb1ELb0ELb1ELb0EEEvPK12hip_bfloat16S3_S3_PKfS5_PKvPS1_S8_PvPKiSB_iiiiilll
; %bb.0:
	s_load_dwordx4 s[16:19], s[0:1], 0x5c
	s_load_dwordx2 s[4:5], s[0:1], 0x50
	s_abs_i32 s7, s3
	s_ashr_i32 s6, s3, 31
	s_load_dwordx4 s[12:15], s[0:1], 0x40
	s_load_dwordx4 s[20:23], s[0:1], 0x28
	s_waitcnt lgkmcnt(0)
	s_abs_i32 s10, s17
	v_cvt_f32_u32_e32 v1, s10
	s_sub_i32 s8, 0, s10
	s_ashr_i32 s11, s17, 31
	s_xor_b32 s6, s6, s11
	v_rcp_iflag_f32_e32 v1, v1
	v_and_b32_e32 v54, 15, v0
	v_bfe_u32 v53, v0, 4, 2
	v_mov_b32_e32 v45, 0
	v_mul_f32_e32 v1, 0x4f7ffffe, v1
	v_cvt_u32_f32_e32 v1, v1
	v_lshlrev_b32_e32 v55, 3, v0
	v_readfirstlane_b32 s9, v1
	s_mul_i32 s8, s8, s9
	s_mul_hi_u32 s8, s9, s8
	s_add_i32 s9, s9, s8
	s_mul_hi_u32 s8, s7, s9
	s_mul_i32 s9, s8, s10
	s_sub_i32 s7, s7, s9
	s_add_i32 s24, s8, 1
	s_sub_i32 s9, s7, s10
	s_cmp_ge_u32 s7, s10
	s_cselect_b32 s8, s24, s8
	s_cselect_b32 s7, s9, s7
	s_add_i32 s9, s8, 1
	s_cmp_ge_u32 s7, s10
	s_cselect_b32 s7, s9, s8
	s_xor_b32 s7, s7, s6
	s_sub_i32 s24, s7, s6
	s_mul_i32 s28, s24, s17
	s_ashr_i32 s25, s24, 31
	s_sub_i32 s49, s3, s28
	s_lshl_b64 s[6:7], s[24:25], 2
	s_add_u32 s8, s14, s6
	s_addc_u32 s9, s15, s7
	s_add_u32 s26, s4, s6
	s_addc_u32 s27, s5, s7
	s_abs_i32 s3, s18
	v_cvt_f32_u32_e32 v1, s3
	s_load_dwordx2 s[36:37], s[8:9], 0x0
	s_sub_i32 s5, 0, s3
	s_lshl_b32 s2, s2, 4
	v_rcp_iflag_f32_e32 v1, v1
	v_or_b32_e32 v46, s2, v54
	s_waitcnt lgkmcnt(0)
	s_sub_i32 s52, s37, s36
	s_ashr_i32 s4, s52, 31
	v_mul_f32_e32 v1, 0x4f7ffffe, v1
	v_cvt_u32_f32_e32 v1, v1
	s_lshr_b32 s4, s4, 26
	s_add_i32 s4, s52, s4
	s_ashr_i32 s50, s4, 6
	v_readfirstlane_b32 s6, v1
	s_mul_i32 s5, s5, s6
	s_mul_hi_u32 s5, s6, s5
	s_add_i32 s6, s6, s5
	s_mul_hi_u32 s5, s10, s6
	s_mul_i32 s6, s5, s3
	s_ashr_i32 s4, s18, 31
	s_sub_i32 s6, s10, s6
	s_xor_b32 s4, s11, s4
	s_add_i32 s7, s5, 1
	s_sub_i32 s8, s6, s3
	s_cmp_ge_u32 s6, s3
	s_cselect_b32 s5, s7, s5
	s_cselect_b32 s6, s8, s6
	s_add_i32 s7, s5, 1
	s_cmp_ge_u32 s6, s3
	s_cselect_b32 s3, s7, s5
	s_xor_b32 s3, s3, s4
	s_sub_i32 s3, s3, s4
	s_abs_i32 s4, s3
	v_cvt_f32_u32_e32 v1, s4
	s_sub_i32 s6, 0, s4
	s_abs_i32 s5, s49
	s_xor_b32 s3, s49, s3
	v_rcp_iflag_f32_e32 v2, v1
	s_ashr_i32 s3, s3, 31
	v_lshrrev_b32_e32 v1, 6, v0
	v_lshlrev_b32_e32 v52, 4, v1
	v_mul_f32_e32 v2, 0x4f7ffffe, v2
	v_cvt_u32_f32_e32 v2, v2
	v_lshlrev_b32_e32 v42, 7, v46
	v_lshl_or_b32 v57, v53, 2, v52
	v_ashrrev_i32_e32 v43, 31, v42
	v_readfirstlane_b32 s7, v2
	s_mul_i32 s6, s6, s7
	s_mul_hi_u32 s6, s7, s6
	s_add_i32 s7, s7, s6
	s_mul_hi_u32 s6, s5, s7
	s_mul_i32 s7, s6, s4
	s_sub_i32 s5, s5, s7
	s_add_i32 s7, s6, 1
	s_sub_i32 s8, s5, s4
	s_cmp_ge_u32 s5, s4
	s_cselect_b32 s6, s7, s6
	s_cselect_b32 s5, s8, s5
	s_add_i32 s7, s6, 1
	s_cmp_ge_u32 s5, s4
	s_cselect_b32 s4, s7, s6
	s_xor_b32 s4, s4, s3
	s_sub_i32 s53, s4, s3
	s_ashr_i32 s51, s49, 31
	s_mul_hi_i32 s3, s24, s17
	s_add_u32 s4, s28, s49
	s_addc_u32 s5, s3, s51
	s_lshl_b64 s[14:15], s[4:5], 16
	s_add_u32 s4, s20, s14
	s_addc_u32 s5, s21, s15
	v_lshl_add_u64 v[2:3], v[42:43], 2, s[4:5]
	v_lshlrev_b32_e32 v44, 2, v57
	v_lshl_add_u64 v[10:11], v[2:3], 0, v[44:45]
	global_load_dwordx4 v[2:5], v[10:11], off
	global_load_dwordx4 v[6:9], v[10:11], off offset:256
	s_load_dwordx8 s[4:11], s[0:1], 0x0
	s_load_dwordx2 s[34:35], s[0:1], 0x80
	s_load_dwordx4 s[28:31], s[0:1], 0x70
	s_load_dword s56, s[26:27], 0x0
	v_and_b32_e32 v45, 63, v0
	v_lshrrev_b32_e32 v56, 3, v45
	v_or_b32_e32 v58, 64, v57
	s_waitcnt lgkmcnt(0)
	s_mul_i32 s33, s24, s29
	s_mul_hi_u32 s44, s24, s28
	s_mul_i32 s40, s24, s28
	s_mul_i32 s45, s25, s28
	s_mul_hi_i32 s54, s49, s16
	s_mul_i32 s55, s49, s16
	s_mul_i32 s46, s49, s31
	s_mul_hi_u32 s47, s49, s30
	s_mul_i32 s48, s51, s30
	s_cmp_lt_i32 s52, 64
	s_mul_i32 s38, s49, s30
	s_waitcnt vmcnt(1)
	v_mov_b32_e32 v60, v5
	s_waitcnt vmcnt(0)
	v_mov_b32_e32 v59, v9
	s_cbranch_scc1 .LBB674_3
; %bb.1:
	s_ashr_i32 s1, s36, 31
	s_add_u32 s0, s55, s36
	s_addc_u32 s1, s54, s1
	s_lshl_b64 s[0:1], s[0:1], 8
	v_and_b32_e32 v62, 56, v55
	s_add_u32 s24, s6, s0
	v_lshl_or_b32 v61, v1, 3, v56
	v_lshlrev_b32_e32 v5, 1, v62
	s_addc_u32 s0, s7, s1
	v_lshl_or_b32 v63, v61, 8, v5
	s_and_b32 s25, s0, 0xffff
	s_mov_b32 s27, 0x20000
	s_movk_i32 s26, 0x4000
	s_movk_i32 s0, 0x80
	v_or_b32_e32 v64, 0x2000, v63
	buffer_load_dwordx4 v[10:13], v63, s[24:27], 0 offen
	buffer_load_dwordx4 v[14:17], v63, s[24:27], s0 offen
	buffer_load_dwordx4 v[18:21], v64, s[24:27], 0 offen
	buffer_load_dwordx4 v[22:25], v64, s[24:27], s0 offen
	v_lshlrev_b32_e32 v9, 3, v61
	v_and_or_b32 v27, v0, 7, v9
	v_and_b32_e32 v9, 0x78, v9
	v_lshlrev_b32_e32 v27, 4, v27
	v_xor_b32_e32 v65, v27, v9
	v_mul_lo_u32 v26, v61, s19
	v_or_b32_e32 v66, 0x1000, v65
	v_xor_b32_e32 v9, 8, v65
	s_cmpk_eq_i32 s19, 0x80
	s_mov_b32 s57, s36
	v_xor_b32_e32 v27, 8, v66
	s_cselect_b64 s[0:1], -1, 0
	s_cmpk_lg_i32 s19, 0x80
	s_waitcnt vmcnt(3)
	ds_write_b64 v65, v[10:11] offset:16384
	ds_write_b64 v9, v[12:13] offset:16384
	s_waitcnt vmcnt(2)
	ds_write_b64 v65, v[14:15] offset:24576
	ds_write_b64 v9, v[16:17] offset:24576
	;; [unrolled: 3-line block ×4, first 2 shown]
	v_lshl_add_u32 v9, v26, 1, v62
	s_cbranch_scc0 .LBB674_29
; %bb.2:
	v_lshlrev_b32_e32 v11, 1, v9
	v_add_lshl_u32 v10, v9, s19, 1
	s_lshl_b32 s26, s19, 7
	v_lshl_or_b32 v5, v61, 9, v5
	s_cbranch_execz .LBB674_30
	s_branch .LBB674_31
.LBB674_3:
	v_mov_b32_e32 v9, v59
	v_mov_b32_e32 v5, v60
.LBB674_4:
	s_lshl_b32 s31, s50, 6
	s_sub_i32 s30, s52, s31
	s_cmp_gt_i32 s30, 0
	s_cbranch_scc0 .LBB674_76
; %bb.5:
	s_add_i32 s31, s31, s36
	s_ashr_i32 s3, s31, 31
	s_cmpk_lg_i32 s19, 0x80
	s_cselect_b64 s[26:27], -1, 0
	s_and_b64 vcc, exec, s[26:27]
	s_cbranch_vccz .LBB674_7
; %bb.6:
	s_mul_hi_i32 s0, s31, s18
	s_mul_i32 s1, s31, s18
	s_ashr_i32 s18, s53, 31
	s_add_u32 s28, s1, s53
	s_addc_u32 s29, s0, s18
	s_cbranch_execz .LBB674_8
	s_branch .LBB674_9
.LBB674_7:
                                        ; implicit-def: $sgpr28_sgpr29
.LBB674_8:
	s_mul_i32 s1, s53, s16
	s_mul_hi_i32 s0, s53, s16
	s_add_u32 s28, s1, s31
	s_addc_u32 s29, s0, s3
.LBB674_9:
	s_add_i32 s16, s50, s56
	s_add_u32 s0, s55, s31
	s_addc_u32 s1, s54, s3
	s_mov_b32 s3, 0x7060302
	v_lshlrev_b32_e32 v14, 3, v54
	s_lshl_b64 s[24:25], s[0:1], 8
	v_perm_b32 v11, v5, v4, s3
	v_perm_b32 v10, v3, v2, s3
	;; [unrolled: 1-line block ×4, first 2 shown]
	v_lshlrev_b32_e32 v48, 2, v54
	v_lshl_or_b32 v14, v57, 5, v14
	s_add_u32 s0, s6, s24
	ds_write2st64_b64 v14, v[10:11], v[12:13] offset0:72 offset1:76
	v_xor_b32_e32 v14, v57, v48
	v_lshlrev_b32_e32 v15, 8, v54
	s_addc_u32 s1, s7, s25
	v_lshl_or_b32 v14, v14, 1, v15
	s_mul_hi_i32 s3, s16, s17
	s_mul_i32 s16, s16, s17
	ds_write_b64 v14, v[10:11] offset:32768
	v_xor_b32_e32 v10, v58, v48
	s_add_u32 s6, s16, s49
	v_lshl_or_b32 v10, v10, 1, v15
	s_addc_u32 s7, s3, s51
	v_lshlrev_b32_e32 v11, 1, v54
	ds_write_b64 v10, v[12:13] offset:32768
	v_lshrrev_b32_e32 v10, 4, v0
	s_ashr_i32 s3, s2, 31
	s_lshl_b64 s[6:7], s[6:7], 15
	v_or_b32_e32 v12, 1, v11
	s_add_u32 s6, s22, s6
	v_xor_b32_e32 v11, v10, v11
	v_xor_b32_e32 v12, v12, v10
	v_lshlrev_b32_e32 v14, 8, v10
	s_addc_u32 s7, s23, s7
	s_lshl_b64 s[2:3], s[2:3], 8
	v_lshl_or_b32 v10, v11, 3, v14
	v_lshl_or_b32 v12, v12, 3, v14
	s_waitcnt lgkmcnt(0)
	s_barrier
	s_add_u32 s2, s6, s2
	ds_read_b64 v[10:11], v10 offset:32768
	ds_read_b64 v[12:13], v12 offset:32768
	s_addc_u32 s3, s7, s3
	v_mov_b32_e32 v15, 0
	s_cmp_lg_u32 s30, 64
	v_lshl_add_u64 v[16:17], s[2:3], 0, v[14:15]
	v_lshlrev_b32_e32 v14, 4, v54
	s_cselect_b64 s[6:7], -1, 0
	v_lshl_or_b32 v47, v1, 3, v56
	s_mov_b32 s20, 0
	v_lshl_add_u64 v[14:15], v[16:17], 0, v[14:15]
	s_waitcnt vmcnt(1)
	v_or_b32_e32 v27, 32, v47
	v_and_b32_e32 v26, 56, v55
	s_and_b64 vcc, exec, s[6:7]
	s_waitcnt lgkmcnt(0)
	global_store_dwordx4 v[14:15], v[10:13], off
	s_cbranch_vccz .LBB674_15
; %bb.10:
	s_mov_b32 s21, s20
	s_mov_b32 s22, s20
	;; [unrolled: 1-line block ×3, first 2 shown]
	v_mov_b64_e32 v[14:15], s[20:21]
	v_mov_b64_e32 v[16:17], s[22:23]
	;; [unrolled: 1-line block ×3, first 2 shown]
	v_cmp_gt_i32_e32 vcc, s30, v47
	v_mov_b64_e32 v[12:13], v[16:17]
	s_and_saveexec_b64 s[2:3], vcc
	s_cbranch_execz .LBB674_12
; %bb.11:
	v_lshlrev_b32_e32 v10, 8, v47
	v_mov_b32_e32 v11, 0
	v_lshl_add_u64 v[12:13], s[0:1], 0, v[10:11]
	v_lshlrev_b32_e32 v10, 1, v26
	v_lshl_add_u64 v[18:19], v[12:13], 0, v[10:11]
	global_load_dwordx4 v[14:17], v[18:19], off
	global_load_dwordx4 v[10:13], v[18:19], off offset:128
.LBB674_12:
	s_or_b64 exec, exec, s[2:3]
	s_mov_b32 s22, s20
	s_mov_b32 s23, s20
	;; [unrolled: 1-line block ×3, first 2 shown]
	v_mov_b64_e32 v[24:25], s[22:23]
	v_mov_b64_e32 v[22:23], s[20:21]
	;; [unrolled: 1-line block ×3, first 2 shown]
	v_cmp_gt_i32_e32 vcc, s30, v27
	v_lshlrev_b32_e32 v28, 7, v27
	v_mov_b64_e32 v[20:21], v[24:25]
	s_and_saveexec_b64 s[2:3], vcc
	s_cbranch_execz .LBB674_14
; %bb.13:
	v_lshlrev_b32_e32 v18, 1, v28
	v_mov_b32_e32 v19, 0
	v_lshl_add_u64 v[20:21], s[0:1], 0, v[18:19]
	v_lshlrev_b32_e32 v18, 1, v26
	v_lshl_add_u64 v[30:31], v[20:21], 0, v[18:19]
	global_load_dwordx4 v[22:25], v[30:31], off
	global_load_dwordx4 v[18:21], v[30:31], off offset:128
.LBB674_14:
	s_or_b64 exec, exec, s[2:3]
	v_lshrrev_b32_e32 v29, 3, v26
	v_lshlrev_b32_e32 v30, 3, v47
	v_or_b32_e32 v29, v30, v29
	v_lshlrev_b32_e32 v29, 4, v29
	v_and_b32_e32 v30, 0x78, v30
	v_xor_b32_e32 v29, v29, v30
	s_branch .LBB674_17
.LBB674_15:
                                        ; implicit-def: $vgpr29
                                        ; implicit-def: $vgpr28
                                        ; implicit-def: $vgpr14_vgpr15_vgpr16_vgpr17
                                        ; implicit-def: $vgpr10_vgpr11_vgpr12_vgpr13
                                        ; implicit-def: $vgpr22_vgpr23_vgpr24_vgpr25
                                        ; implicit-def: $vgpr18_vgpr19_vgpr20_vgpr21
	s_cbranch_execz .LBB674_17
; %bb.16:
	s_waitcnt vmcnt(0)
	v_lshlrev_b32_e32 v10, 1, v26
	v_lshl_or_b32 v28, v47, 8, v10
	s_and_b32 s1, s1, 0xffff
	s_mov_b32 s3, 0x20000
	s_movk_i32 s2, 0x4000
	v_lshl_or_b32 v29, v27, 8, v10
	s_movk_i32 s16, 0x80
	buffer_load_dwordx4 v[14:17], v28, s[0:3], 0 offen
	buffer_load_dwordx4 v[10:13], v28, s[0:3], s16 offen
	;; [unrolled: 1-line block ×4, first 2 shown]
	v_lshrrev_b32_e32 v28, 3, v26
	v_lshlrev_b32_e32 v29, 3, v47
	v_or_b32_e32 v28, v29, v28
	v_lshlrev_b32_e32 v28, 4, v28
	v_and_b32_e32 v29, 0x78, v29
	v_xor_b32_e32 v29, v28, v29
	v_lshlrev_b32_e32 v28, 7, v27
.LBB674_17:
	s_lshl_b64 s[0:1], s[28:29], 8
	s_add_u32 s4, s4, s0
	s_movk_i32 s0, 0x1000
	v_and_or_b32 v27, v28, s0, v29
	s_waitcnt vmcnt(1)
	ds_write_b64 v29, v[14:15] offset:16384
	v_xor_b32_e32 v14, 8, v29
	ds_write_b64 v14, v[16:17] offset:16384
	s_waitcnt vmcnt(0)
	ds_write_b64 v29, v[10:11] offset:24576
	ds_write_b64 v14, v[12:13] offset:24576
	;; [unrolled: 1-line block ×3, first 2 shown]
	v_xor_b32_e32 v10, 8, v27
	ds_write_b64 v10, v[24:25] offset:16384
	ds_write_b64 v27, v[18:19] offset:24576
	;; [unrolled: 1-line block ×3, first 2 shown]
	v_or_b32_e32 v10, v52, v54
	v_lshlrev_b32_e32 v10, 3, v10
	v_lshrrev_b32_e32 v12, 5, v45
	s_movk_i32 s16, 0xf8
	v_and_or_b32 v12, v10, s16, v12
	v_lshlrev_b32_e32 v49, 11, v1
	v_lshlrev_b32_e32 v20, 4, v12
	v_and_b32_e32 v21, 0x78, v10
	v_and_b32_e32 v22, 0x1000, v49
	v_lshlrev_b32_e32 v11, 2, v0
	v_xor_b32_e32 v10, v20, v21
	v_lshrrev_b32_e32 v12, 1, v45
	v_and_b32_e32 v11, 60, v11
	v_or_b32_e32 v10, v10, v22
	v_and_b32_e32 v23, 8, v12
	v_xor_b32_e32 v34, v10, v23
	v_lshl_or_b32 v10, v53, 6, v11
	v_lshlrev_b32_e32 v50, 1, v10
	v_or_b32_e32 v10, 32, v20
	v_xor_b32_e32 v10, v10, v21
	s_waitcnt lgkmcnt(0)
	s_barrier
	ds_read_b64 v[18:19], v34 offset:16384
	v_or_b32_e32 v10, v10, v22
	v_xor_b32_e32 v35, v10, v23
	v_or_b32_e32 v10, 64, v20
	v_xor_b32_e32 v10, v10, v21
	v_or_b32_e32 v10, v10, v22
	v_or_b32_e32 v20, 0x60, v20
	v_xor_b32_e32 v36, v10, v23
	ds_read2st64_b64 v[10:13], v50 offset0:72 offset1:73
	ds_read2st64_b64 v[14:17], v50 offset0:74 offset1:75
	v_xor_b32_e32 v24, v20, v21
	ds_read_b64 v[20:21], v35 offset:16384
	s_addc_u32 s5, s5, s1
	s_add_i32 s1, s44, s33
	s_waitcnt lgkmcnt(2)
	v_mfma_f32_16x16x16_bf16 a[0:3], v[18:19], v[10:11], 0
	s_add_i32 s0, s37, -1
	s_add_i32 s41, s1, s45
	s_add_i32 s1, s47, s46
	;; [unrolled: 1-line block ×3, first 2 shown]
	s_ashr_i32 s1, s0, 31
	s_mul_i32 s2, s0, s35
	s_mul_hi_u32 s3, s0, s34
	s_add_i32 s2, s3, s2
	s_mul_i32 s1, s1, s34
	v_or_b32_e32 v22, v24, v22
	s_add_i32 s1, s2, s1
	s_lshl_b64 s[2:3], s[40:41], 2
	v_xor_b32_e32 v51, v22, v23
	ds_read_b64 v[22:23], v36 offset:16384
	ds_read_b64 v[24:25], v51 offset:16384
	s_waitcnt lgkmcnt(2)
	v_mfma_f32_16x16x16_bf16 a[0:3], v[20:21], v[12:13], a[0:3]
	s_add_u32 s10, s10, s2
	s_addc_u32 s11, s11, s3
	s_lshl_b64 s[2:3], s[38:39], 2
	s_mul_i32 s0, s0, s34
	s_add_u32 s10, s10, s2
	s_addc_u32 s11, s11, s3
	s_lshl_b64 s[0:1], s[0:1], 2
	s_waitcnt lgkmcnt(1)
	v_mfma_f32_16x16x16_bf16 a[0:3], v[22:23], v[14:15], a[0:3]
	s_add_u32 s0, s10, s0
	s_addc_u32 s1, s11, s1
	s_load_dword s16, s[0:1], 0x0
	s_waitcnt lgkmcnt(0)
	v_mfma_f32_16x16x16_bf16 a[0:3], v[24:25], v[16:17], a[0:3]
	s_and_b64 vcc, exec, s[26:27]
	s_cbranch_vccz .LBB674_28
; %bb.18:
	v_lshlrev_b32_e32 v27, 1, v47
	s_and_b64 vcc, exec, s[6:7]
	s_cbranch_vccz .LBB674_44
; %bb.19:
	v_cmp_gt_i32_e32 vcc, s30, v27
	v_mov_b32_e32 v14, 0
	v_mov_b32_e32 v10, 0
	;; [unrolled: 1-line block ×5, first 2 shown]
	s_and_saveexec_b64 s[0:1], vcc
	s_cbranch_execz .LBB674_21
; %bb.20:
	v_mad_i64_i32 v[10:11], s[2:3], s19, v27, 0
	v_lshl_add_u64 v[10:11], v[10:11], 1, s[4:5]
	v_lshlrev_b32_e32 v12, 1, v26
	v_mov_b32_e32 v13, 0
	v_lshl_add_u64 v[10:11], v[10:11], 0, v[12:13]
	global_load_dwordx4 v[10:13], v[10:11], off
.LBB674_21:
	s_or_b64 exec, exec, s[0:1]
	v_or_b32_e32 v28, 1, v27
	v_cmp_gt_i32_e64 s[0:1], s30, v28
	v_mov_b32_e32 v15, 0
	v_mov_b32_e32 v16, 0
	;; [unrolled: 1-line block ×3, first 2 shown]
	s_and_saveexec_b64 s[2:3], s[0:1]
	s_cbranch_execz .LBB674_23
; %bb.22:
	v_mad_i64_i32 v[14:15], s[20:21], s19, v28, 0
	v_lshl_add_u64 v[14:15], v[14:15], 1, s[4:5]
	v_lshlrev_b32_e32 v16, 1, v26
	v_mov_b32_e32 v17, 0
	v_lshl_add_u64 v[14:15], v[14:15], 0, v[16:17]
	global_load_dwordx4 v[14:17], v[14:15], off
.LBB674_23:
	s_or_b64 exec, exec, s[2:3]
	v_mov_b32_e32 v25, 0
	v_mov_b32_e32 v18, 0
	;; [unrolled: 1-line block ×5, first 2 shown]
	s_and_saveexec_b64 s[2:3], vcc
	s_cbranch_execz .LBB674_25
; %bb.24:
	v_mad_i64_i32 v[18:19], s[20:21], s19, v27, 0
	v_lshl_add_u64 v[18:19], v[18:19], 1, s[4:5]
	v_lshlrev_b32_e32 v20, 1, v26
	v_mov_b32_e32 v21, 0
	v_lshl_add_u64 v[18:19], v[18:19], 0, v[20:21]
	global_load_dwordx4 v[18:21], v[18:19], off offset:128
.LBB674_25:
	s_or_b64 exec, exec, s[2:3]
	v_mov_b32_e32 v24, 0
	v_mov_b32_e32 v23, 0
	;; [unrolled: 1-line block ×3, first 2 shown]
	s_and_saveexec_b64 s[2:3], s[0:1]
	s_cbranch_execz .LBB674_27
; %bb.26:
	v_mad_i64_i32 v[22:23], s[0:1], s19, v28, 0
	v_lshl_add_u64 v[22:23], v[22:23], 1, s[4:5]
	v_lshlrev_b32_e32 v24, 1, v26
	v_mov_b32_e32 v25, 0
	v_lshl_add_u64 v[22:23], v[22:23], 0, v[24:25]
	global_load_dwordx4 v[22:25], v[22:23], off offset:128
.LBB674_27:
	s_or_b64 exec, exec, s[2:3]
	s_branch .LBB674_46
.LBB674_28:
                                        ; implicit-def: $vgpr13
                                        ; implicit-def: $vgpr17
                                        ; implicit-def: $vgpr21
                                        ; implicit-def: $vgpr25
	v_lshrrev_b32_e32 v45, 2, v45
	s_branch .LBB674_47
.LBB674_29:
                                        ; implicit-def: $vgpr10
                                        ; implicit-def: $vgpr11
                                        ; implicit-def: $sgpr26
	v_lshl_or_b32 v5, v61, 9, v5
.LBB674_30:
	v_or_b32_e32 v10, 0x100, v5
	s_movk_i32 s26, 0x4000
	v_mov_b32_e32 v11, v5
.LBB674_31:
	s_mul_i32 s20, s36, s18
	s_ashr_i32 s58, s53, 31
	s_mul_hi_i32 s3, s36, s18
	s_add_u32 s20, s20, s53
	s_addc_u32 s21, s3, s58
	s_lshl_b64 s[20:21], s[20:21], 8
	s_add_u32 s24, s4, s20
	s_addc_u32 s3, s5, s21
	s_and_b32 s25, s3, 0xffff
	s_movk_i32 s59, 0x80
	buffer_load_dwordx4 v[12:15], v11, s[24:27], 0 offen
	buffer_load_dwordx4 v[16:19], v11, s[24:27], s59 offen
	;; [unrolled: 1-line block ×4, first 2 shown]
	v_and_b32_e32 v10, 6, v0
	v_lshlrev_b32_e32 v28, 2, v54
	v_lshlrev_b32_e32 v29, 3, v54
	v_xor_b32_e32 v32, v61, v10
	v_and_b32_e32 v11, 1, v0
	v_lshl_or_b32 v29, v57, 5, v29
	v_xor_b32_e32 v33, v57, v28
	v_lshlrev_b32_e32 v32, 2, v32
	v_or_b32_e32 v67, 0x9000, v29
	v_or_b32_e32 v68, 0x9800, v29
	v_lshlrev_b32_e32 v29, 1, v33
	v_xor_b32_e32 v33, 0x440, v32
	v_cmp_eq_u32_e32 vcc, 0, v11
	s_add_i32 s3, s44, s33
	s_add_i32 s20, s47, s46
	v_cndmask_b32_e32 v11, v33, v32, vcc
	s_add_i32 s41, s3, s45
	v_lshl_or_b32 v10, v10, 10, v11
	s_add_i32 s39, s20, s48
	s_lshl_b64 s[20:21], s[40:41], 2
	s_mov_b32 s60, 0x1000504
	v_lshlrev_b32_e32 v30, 8, v54
	s_mov_b32 s26, 0x8000
	v_xor_b32_e32 v28, v58, v28
	v_xor_b32_e32 v11, 8, v10
	s_add_u32 s3, s10, s20
	s_mov_b32 s61, 0x3020706
	v_or_b32_e32 v31, v52, v54
	v_lshlrev_b32_e32 v28, 1, v28
	v_or3_b32 v69, v29, v30, s26
	v_xor_b32_e32 v29, 24, v10
	v_xor_b32_e32 v32, 40, v10
	;; [unrolled: 1-line block ×3, first 2 shown]
	v_add_u32_e32 v11, 0x80, v11
	s_addc_u32 s24, s11, s21
	s_lshl_b64 s[20:21], s[38:39], 2
	v_lshlrev_b32_e32 v31, 3, v31
	v_or3_b32 v70, v28, v30, s26
	v_xor_b32_e32 v28, 16, v10
	v_xor_b32_e32 v30, 32, v10
	;; [unrolled: 1-line block ×3, first 2 shown]
	v_add_u32_e32 v29, 0x80, v29
	v_add_u32_e32 v32, 0x80, v32
	;; [unrolled: 1-line block ×3, first 2 shown]
	s_add_u32 s20, s3, s20
	s_movk_i32 s3, 0xf8
	s_addc_u32 s21, s24, s21
	v_ashrrev_i32_e32 v47, 31, v46
	s_lshl_b32 s30, s19, 7
	s_mov_b32 s62, 0
	s_waitcnt vmcnt(1)
	v_perm_b32 v35, v12, v20, s60
	s_waitcnt vmcnt(0)
	v_perm_b32 v36, v16, v24, s60
	v_perm_b32 v12, v12, v20, s61
	;; [unrolled: 1-line block ×15, first 2 shown]
	ds_write2st64_b32 v10, v35, v36 offset1:32
	ds_write2st64_b32 v11, v12, v16 offset1:32
	ds_write2st64_b32 v28, v20, v24 offset0:1 offset1:33
	ds_write2st64_b32 v29, v13, v17 offset0:1 offset1:33
	;; [unrolled: 1-line block ×6, first 2 shown]
	v_lshrrev_b32_e32 v11, 5, v45
	v_and_or_b32 v11, v31, s3, v11
	v_lshlrev_b32_e32 v11, 4, v11
	v_lshlrev_b32_e32 v16, 11, v1
	v_and_b32_e32 v12, 0x78, v31
	v_or_b32_e32 v15, 32, v11
	v_and_b32_e32 v10, 0x1000, v16
	v_xor_b32_e32 v13, v11, v12
	v_lshrrev_b32_e32 v17, 1, v0
	v_xor_b32_e32 v15, v15, v12
	v_or_b32_e32 v13, v13, v10
	v_and_b32_e32 v14, 8, v17
	v_or_b32_e32 v15, v15, v10
	v_xor_b32_e32 v71, v13, v14
	v_and_b32_e32 v13, 0x78, v55
	v_xor_b32_e32 v73, v15, v14
	v_or_b32_e32 v15, 64, v11
	v_or_b32_e32 v11, 0x60, v11
	v_lshl_or_b32 v13, v53, 7, v13
	v_xor_b32_e32 v15, v15, v12
	v_xor_b32_e32 v11, v11, v12
	v_or_b32_e32 v72, 0x9000, v13
	v_or_b32_e32 v15, v15, v10
	;; [unrolled: 1-line block ×4, first 2 shown]
	v_lshrrev_b32_e32 v12, 4, v0
	v_lshlrev_b32_e32 v13, 1, v54
	v_xor_b32_e32 v74, v15, v14
	v_xor_b32_e32 v75, v10, v14
	s_ashr_i32 s3, s2, 31
	v_or_b32_e32 v14, 1, v13
	v_xor_b32_e32 v13, v12, v13
	s_lshl_b64 s[24:25], s[2:3], 8
	v_xor_b32_e32 v14, v14, v12
	v_lshlrev_b32_e32 v13, 3, v13
	v_lshlrev_b32_e32 v12, 8, v12
	v_lshl_add_u64 v[10:11], v[46:47], 1, s[8:9]
	s_add_u32 s24, s22, s24
	v_or3_b32 v47, v13, v12, s26
	v_lshlrev_b32_e32 v13, 3, v14
	s_addc_u32 s25, s23, s25
	v_or3_b32 v77, v13, v12, s26
	v_mov_b32_e32 v13, 0
	v_lshl_add_u64 v[14:15], s[24:25], 0, v[12:13]
	v_lshlrev_b32_e32 v12, 4, v54
	s_movk_i32 s3, 0xff
	v_lshlrev_b32_e32 v21, 3, v1
	v_and_b32_e32 v17, 24, v17
	v_lshl_add_u64 v[48:49], v[14:15], 0, v[12:13]
	v_and_b32_e32 v14, 8, v0
	v_cmp_lt_u32_e32 vcc, s3, v0
	v_xor_b32_e32 v22, v21, v17
	v_or_b32_e32 v23, 0x440, v22
	v_cndmask_b32_e64 v20, 0, 1, vcc
	v_cmp_eq_u32_e32 vcc, 0, v14
	v_and_b32_e32 v12, 7, v0
	v_lshlrev_b32_e32 v15, 3, v12
	v_cndmask_b32_e32 v14, v23, v22, vcc
	v_lshlrev_b32_e32 v12, 7, v12
	v_or_b32_e32 v14, v14, v16
	v_xad_u32 v78, v14, v15, v12
	v_or_b32_e32 v14, 32, v17
	v_xor_b32_e32 v14, v21, v14
	v_or_b32_e32 v22, 0x440, v14
	v_cndmask_b32_e32 v14, v22, v14, vcc
	v_or_b32_e32 v14, v14, v16
	v_xad_u32 v79, v14, v15, v12
	v_or_b32_e32 v14, 64, v17
	v_xor_b32_e32 v14, v21, v14
	v_xor_b32_e32 v22, 0x440, v14
	v_cndmask_b32_e32 v14, v22, v14, vcc
	v_or_b32_e32 v14, v14, v16
	v_xad_u32 v80, v14, v15, v12
	v_or_b32_e32 v14, 0x60, v17
	v_xor_b32_e32 v14, v21, v14
	v_xor_b32_e32 v17, 0x440, v14
	v_cndmask_b32_e32 v14, v17, v14, vcc
	v_or_b32_e32 v14, v14, v16
	v_lshlrev_b32_e32 v18, 1, v9
	v_add_lshl_u32 v9, v9, s19, 1
	v_or_b32_e32 v19, 0x100, v5
	v_lshlrev_b32_e32 v20, 13, v20
	v_xad_u32 v81, v14, v15, v12
	v_lshlrev_b32_e32 v12, 8, v57
	v_cndmask_b32_e64 v82, v18, v5, s[0:1]
	v_cndmask_b32_e64 v83, v9, v19, s[0:1]
	v_lshl_add_u64 v[50:51], v[10:11], 0, v[12:13]
	s_mov_b32 s3, 0x7060302
	s_movk_i32 s26, 0x4000
	v_add_u32_e32 v84, v20, v78
	v_add_u32_e32 v85, v20, v79
	;; [unrolled: 1-line block ×4, first 2 shown]
	s_waitcnt lgkmcnt(0)
	s_barrier
.LBB674_32:                             ; =>This Inner Loop Header: Depth=1
	s_add_i32 s39, s62, 1
	s_cmp_lt_i32 s39, s50
	s_mov_b64 s[28:29], 0
	s_cselect_b64 s[42:43], -1, 0
	s_cmp_ge_i32 s39, s50
	s_mov_b64 s[24:25], 0
	s_cbranch_scc1 .LBB674_34
; %bb.33:                               ;   in Loop: Header=BB674_32 Depth=1
	s_add_i32 s0, s57, 64
	s_ashr_i32 s1, s0, 31
	s_add_u32 s0, s55, s0
	s_addc_u32 s1, s54, s1
	s_lshl_b64 s[0:1], s[0:1], 8
	s_add_u32 s24, s6, s0
	s_addc_u32 s25, s7, s1
.LBB674_34:                             ;   in Loop: Header=BB674_32 Depth=1
	v_cndmask_b32_e64 v5, 0, 1, s[42:43]
	v_cmp_ne_u32_e64 s[0:1], 1, v5
	s_andn2_b64 vcc, exec, s[42:43]
	s_cbranch_vccnz .LBB674_36
; %bb.35:                               ;   in Loop: Header=BB674_32 Depth=1
	s_add_i32 s28, s57, 64
	s_mul_hi_i32 s29, s28, s18
	s_mul_i32 s28, s28, s18
	s_add_u32 s28, s28, s53
	s_addc_u32 s29, s29, s58
	s_lshl_b64 s[28:29], s[28:29], 8
	s_add_u32 s28, s4, s28
	s_addc_u32 s29, s5, s29
.LBB674_36:                             ;   in Loop: Header=BB674_32 Depth=1
	v_perm_b32 v11, v60, v4, s3
	v_perm_b32 v10, v3, v2, s3
	;; [unrolled: 1-line block ×4, first 2 shown]
	ds_write_b64 v67, v[10:11]
	ds_write_b64 v68, v[12:13]
	;; [unrolled: 1-line block ×4, first 2 shown]
	s_waitcnt lgkmcnt(0)
	s_barrier
	ds_read_b64 v[18:19], v71 offset:16384
	ds_read_b64 v[20:21], v73 offset:16384
	ds_read2st64_b64 v[10:13], v72 offset1:1
	s_waitcnt lgkmcnt(0)
	v_mfma_f32_16x16x16_bf16 a[0:3], v[18:19], v[10:11], 0
	ds_read2st64_b64 v[14:17], v72 offset0:2 offset1:3
	ds_read_b64 v[22:23], v74 offset:16384
	ds_read_b64 v[10:11], v75 offset:16384
	s_add_i32 s31, s57, 63
	v_mfma_f32_16x16x16_bf16 a[0:3], v[20:21], v[12:13], a[0:3]
	s_ashr_i32 s41, s31, 31
	s_mul_i32 s42, s31, s35
	s_mul_hi_u32 s43, s31, s34
	s_waitcnt lgkmcnt(1)
	v_mfma_f32_16x16x16_bf16 a[0:3], v[22:23], v[14:15], a[0:3]
	s_add_i32 s42, s43, s42
	s_mul_i32 s41, s41, s34
	s_add_i32 s43, s42, s41
	s_mul_i32 s42, s31, s34
	s_waitcnt lgkmcnt(0)
	v_mfma_f32_16x16x16_bf16 a[0:3], v[10:11], v[16:17], a[0:3]
	s_lshl_b64 s[42:43], s[42:43], 2
	s_add_u32 s42, s20, s42
	s_addc_u32 s43, s21, s43
	s_and_b64 vcc, exec, s[0:1]
	v_mov_b32_e32 v88, 0
	v_mov_b32_e32 v9, 0
	;; [unrolled: 1-line block ×19, first 2 shown]
	s_cbranch_vccnz .LBB674_38
; %bb.37:                               ;   in Loop: Header=BB674_32 Depth=1
	s_and_b32 s25, s25, 0xffff
	buffer_load_dwordx4 v[22:25], v63, s[24:27], 0 offen
	buffer_load_dwordx4 v[18:21], v63, s[24:27], s59 offen
	;; [unrolled: 1-line block ×4, first 2 shown]
	v_mov_b32_e32 v9, v65
	v_mov_b32_e32 v5, v66
.LBB674_38:                             ;   in Loop: Header=BB674_32 Depth=1
	s_waitcnt vmcnt(3)
	v_add_u32_e32 v30, s57, v57
	s_waitcnt vmcnt(1)
	v_ashrrev_i32_e32 v26, 31, v30
	v_mul_lo_u32 v28, v26, s34
	v_mul_lo_u32 v29, v30, s35
	v_mad_u64_u32 v[26:27], s[24:25], v30, s34, 0
	v_add3_u32 v27, v27, v29, v28
	v_lshl_add_u64 v[26:27], v[26:27], 2, s[20:21]
	global_load_dword v96, v[26:27], off
	v_add_u32_e32 v26, 1, v30
	v_ashrrev_i32_e32 v27, 31, v26
	v_mul_lo_u32 v28, v27, s34
	v_mul_lo_u32 v29, v26, s35
	v_mad_u64_u32 v[26:27], s[24:25], v26, s34, 0
	v_add3_u32 v27, v27, v29, v28
	v_add_u32_e32 v28, 2, v30
	v_ashrrev_i32_e32 v29, 31, v28
	v_mul_lo_u32 v31, v29, s34
	v_mul_lo_u32 v32, v28, s35
	v_mad_u64_u32 v[28:29], s[24:25], v28, s34, 0
	v_add_u32_e32 v30, 3, v30
	v_add3_u32 v29, v29, v32, v31
	v_ashrrev_i32_e32 v31, 31, v30
	v_mul_lo_u32 v34, v31, s34
	v_mul_lo_u32 v35, v30, s35
	v_mad_u64_u32 v[30:31], s[24:25], v30, s34, 0
	s_ashr_i32 s25, s57, 31
	s_add_u32 s24, s55, s57
	s_addc_u32 s25, s54, s25
	s_lshl_b64 s[24:25], s[24:25], 8
	v_lshl_add_u64 v[26:27], v[26:27], 2, s[20:21]
	v_lshl_add_u64 v[32:33], v[50:51], 0, s[24:25]
	v_add3_u32 v31, v31, v35, v34
	v_lshl_add_u64 v[28:29], v[28:29], 2, s[20:21]
	global_load_ushort v97, v[32:33], off
	global_load_ushort v98, v[32:33], off offset:256
	global_load_ushort v99, v[32:33], off offset:512
	;; [unrolled: 1-line block ×3, first 2 shown]
	v_lshl_add_u64 v[30:31], v[30:31], 2, s[20:21]
	global_load_dword v101, v[26:27], off
	global_load_dword v102, v[28:29], off
	;; [unrolled: 1-line block ×3, first 2 shown]
	s_load_dword s24, s[42:43], 0x0
	ds_read2st64_b64 v[34:37], v76 offset1:1
	ds_read2st64_b64 v[38:41], v76 offset0:2 offset1:3
	ds_read_b64 v[32:33], v71 offset:24576
	ds_read_b64 v[90:91], v73 offset:24576
	;; [unrolled: 1-line block ×4, first 2 shown]
	s_waitcnt lgkmcnt(0)
	v_mfma_f32_16x16x16_bf16 a[0:3], v[32:33], v[34:35], a[0:3]
	v_mov_b32_e32 v89, 0
	v_mov_b32_e32 v26, 0
	v_mov_b32_e32 v27, 0
	v_mfma_f32_16x16x16_bf16 a[0:3], v[90:91], v[36:37], a[0:3]
	v_mov_b32_e32 v28, 0
	v_mov_b32_e32 v29, 0
	v_mov_b32_e32 v30, 0
	;; [unrolled: 4-line block ×4, first 2 shown]
	v_mov_b32_e32 v37, 0
	v_mov_b32_e32 v38, 0
	;; [unrolled: 1-line block ×3, first 2 shown]
	s_and_b64 vcc, exec, s[0:1]
	v_accvgpr_read_b32 v91, a1
	v_accvgpr_read_b32 v41, a3
	;; [unrolled: 1-line block ×4, first 2 shown]
	s_waitcnt vmcnt(7)
	v_sub_f32_e32 v96, s24, v96
	v_exp_f32_e32 v96, v96
	s_waitcnt vmcnt(6)
	v_lshlrev_b32_e32 v92, 16, v97
	s_waitcnt vmcnt(5)
	v_lshlrev_b32_e32 v93, 16, v98
	;; [unrolled: 2-line block ×3, first 2 shown]
	s_waitcnt vmcnt(2)
	v_sub_f32_e32 v97, s24, v101
	s_waitcnt vmcnt(1)
	v_sub_f32_e32 v98, s24, v102
	s_waitcnt vmcnt(0)
	v_sub_f32_e32 v99, s24, v103
	v_exp_f32_e32 v97, v97
	v_exp_f32_e32 v98, v98
	;; [unrolled: 1-line block ×3, first 2 shown]
	v_lshlrev_b32_e32 v95, 16, v100
	v_pk_add_f32 v[90:91], v[92:93], v[90:91] neg_lo:[0,1] neg_hi:[0,1]
	v_pk_add_f32 v[40:41], v[94:95], v[40:41] neg_lo:[0,1] neg_hi:[0,1]
	v_pk_mul_f32 v[90:91], v[96:97], v[90:91]
	v_pk_mul_f32 v[40:41], v[98:99], v[40:41]
	s_nop 0
	v_perm_b32 v41, v41, v40, s3
	v_perm_b32 v40, v91, v90, s3
	ds_write_b64 v68, v[40:41]
	v_mov_b32_e32 v40, 0
	v_mov_b32_e32 v41, 0
	s_cbranch_vccnz .LBB674_40
; %bb.39:                               ;   in Loop: Header=BB674_32 Depth=1
	s_and_b32 s29, s29, 0xffff
	s_mov_b32 s31, s27
	buffer_load_dwordx4 v[38:41], v82, s[28:31], 0 offen
	buffer_load_dwordx4 v[30:33], v82, s[28:31], s59 offen
	;; [unrolled: 1-line block ×4, first 2 shown]
	v_mov_b32_e32 v88, v62
	v_mov_b32_e32 v89, v61
.LBB674_40:                             ;   in Loop: Header=BB674_32 Depth=1
	s_waitcnt lgkmcnt(0)
	s_barrier
	ds_read_b64 v[98:99], v84
	ds_read2st64_b64 v[90:93], v76 offset1:1
	ds_read2st64_b64 v[94:97], v76 offset0:2 offset1:3
	ds_read_b64 v[100:101], v85
	ds_read_b64 v[102:103], v86
	ds_read_b64 v[104:105], v87
	s_waitcnt lgkmcnt(4)
	v_mfma_f32_16x16x16_bf16 a[0:3], v[98:99], v[90:91], 0
	ds_read_b64 v[98:99], v78 offset:8192
	ds_read_b64 v[106:107], v79 offset:8192
	s_add_i32 s25, s56, s62
	s_mul_hi_i32 s29, s25, s17
	s_waitcnt lgkmcnt(1)
	v_mfma_f32_16x16x16_bf16 a[4:7], v[98:99], v[90:91], 0
	s_mul_i32 s25, s25, s17
	s_add_u32 s28, s25, s49
	s_addc_u32 s29, s29, s51
	v_mfma_f32_16x16x16_bf16 a[0:3], v[100:101], v[92:93], a[0:3]
	ds_read_b64 v[98:99], v47
	ds_read_b64 v[100:101], v77
	ds_read_b64 v[90:91], v80 offset:8192
	s_lshl_b64 s[28:29], s[28:29], 15
	v_mfma_f32_16x16x16_bf16 a[0:3], v[102:103], v[94:95], a[0:3]
	ds_read_b64 v[102:103], v81 offset:8192
	s_and_b64 vcc, exec, s[0:1]
	s_waitcnt lgkmcnt(4)
	v_mfma_f32_16x16x16_bf16 a[4:7], v[106:107], v[92:93], a[4:7]
	s_waitcnt lgkmcnt(1)
	v_mfma_f32_16x16x16_bf16 a[4:7], v[90:91], v[94:95], a[4:7]
	v_lshl_add_u64 v[90:91], v[48:49], 0, s[28:29]
	global_store_dwordx4 v[90:91], v[98:101], off
	v_mfma_f32_16x16x16_bf16 a[0:3], v[104:105], v[96:97], a[0:3]
	s_waitcnt lgkmcnt(0)
	v_mfma_f32_16x16x16_bf16 a[4:7], v[102:103], v[96:97], a[4:7]
	s_cbranch_vccnz .LBB674_42
; %bb.41:                               ;   in Loop: Header=BB674_32 Depth=1
	v_lshrrev_b32_e32 v90, 3, v88
	v_and_b32_e32 v90, 6, v90
	v_xor_b32_e32 v89, v90, v89
	v_lshlrev_b32_e32 v89, 2, v89
	v_and_b32_e32 v88, 8, v88
	v_xor_b32_e32 v91, 0x440, v89
	v_cmp_eq_u32_e32 vcc, 0, v88
	s_barrier
	s_nop 0
	v_cndmask_b32_e32 v88, v91, v89, vcc
	v_lshl_or_b32 v88, v90, 10, v88
	s_waitcnt vmcnt(2)
	v_perm_b32 v89, v38, v34, s60
	s_waitcnt vmcnt(1)
	v_perm_b32 v90, v30, v26, s60
	ds_write2st64_b32 v88, v89, v90 offset1:32
	v_xor_b32_e32 v89, 8, v88
	v_perm_b32 v34, v38, v34, s61
	v_perm_b32 v26, v30, v26, s61
	v_add_u32_e32 v30, 0x80, v89
	ds_write2st64_b32 v30, v34, v26 offset1:32
	v_xor_b32_e32 v26, 16, v88
	v_perm_b32 v30, v39, v35, s60
	v_perm_b32 v34, v31, v27, s60
	ds_write2st64_b32 v26, v30, v34 offset0:1 offset1:33
	v_xor_b32_e32 v26, 24, v88
	v_perm_b32 v30, v39, v35, s61
	v_perm_b32 v27, v31, v27, s61
	v_add_u32_e32 v26, 0x80, v26
	ds_write2st64_b32 v26, v30, v27 offset0:1 offset1:33
	v_xor_b32_e32 v26, 32, v88
	v_perm_b32 v27, v40, v36, s60
	v_perm_b32 v30, v32, v28, s60
	ds_write2st64_b32 v26, v27, v30 offset0:2 offset1:34
	v_xor_b32_e32 v26, 40, v88
	v_perm_b32 v27, v40, v36, s61
	v_perm_b32 v28, v32, v28, s61
	v_add_u32_e32 v26, 0x80, v26
	ds_write2st64_b32 v26, v27, v28 offset0:2 offset1:34
	;; [unrolled: 9-line block ×3, first 2 shown]
	ds_write_b64 v9, v[22:23] offset:16384
	v_xor_b32_e32 v22, 8, v9
	ds_write_b64 v22, v[24:25] offset:16384
	ds_write_b64 v9, v[18:19] offset:24576
	;; [unrolled: 1-line block ×4, first 2 shown]
	v_xor_b32_e32 v9, 8, v5
	ds_write_b64 v9, v[16:17] offset:16384
	ds_write_b64 v5, v[10:11] offset:24576
	;; [unrolled: 1-line block ×3, first 2 shown]
.LBB674_42:                             ;   in Loop: Header=BB674_32 Depth=1
	v_exp_f32_e32 v10, s24
	s_nop 2
	v_accvgpr_read_b32 v9, a1
	v_accvgpr_read_b32 v5, a0
	s_add_i32 s57, s57, 64
	v_fma_f32 v3, v3, v10, v9
	v_accvgpr_read_b32 v9, a4
	v_fma_f32 v6, v6, v10, v9
	v_accvgpr_read_b32 v9, a5
	;; [unrolled: 2-line block ×6, first 2 shown]
	v_fmac_f32_e32 v5, v60, v10
	s_cmp_eq_u32 s50, s39
	v_fmac_f32_e32 v9, v59, v10
	s_cbranch_scc1 .LBB674_4
; %bb.43:                               ;   in Loop: Header=BB674_32 Depth=1
	s_mov_b32 s62, s39
	v_mov_b32_e32 v60, v5
	v_mov_b32_e32 v59, v9
	s_branch .LBB674_32
.LBB674_44:
                                        ; implicit-def: $vgpr13
                                        ; implicit-def: $vgpr17
                                        ; implicit-def: $vgpr21
                                        ; implicit-def: $vgpr25
	s_cbranch_execz .LBB674_46
; %bb.45:
	s_waitcnt vmcnt(0)
	v_mad_u64_u32 v[10:11], s[0:1], v27, s19, v[26:27]
	v_lshlrev_b32_e32 v27, 1, v10
	s_lshl_b32 s2, s19, 7
	s_and_b32 s1, s5, 0xffff
	s_mov_b32 s3, 0x20000
	s_mov_b32 s0, s4
	v_add_lshl_u32 v28, v10, s19, 1
	s_movk_i32 s17, 0x80
	buffer_load_dwordx4 v[10:13], v27, s[0:3], 0 offen
	buffer_load_dwordx4 v[18:21], v27, s[0:3], s17 offen
	buffer_load_dwordx4 v[14:17], v28, s[0:3], 0 offen
	buffer_load_dwordx4 v[22:25], v28, s[0:3], s17 offen
.LBB674_46:
	v_lshrrev_b32_e32 v45, 2, v45
	s_cbranch_execnz .LBB674_59
.LBB674_47:
	s_and_b64 vcc, exec, s[6:7]
	s_cbranch_vccz .LBB674_57
; %bb.48:
	s_waitcnt vmcnt(0)
	v_lshlrev_b32_e32 v15, 1, v47
	v_cmp_gt_i32_e32 vcc, s30, v15
	v_mov_b32_e32 v14, 0
	v_lshlrev_b32_e32 v22, 9, v47
	v_mov_b32_e32 v10, 0
	v_mov_b32_e32 v11, 0
	;; [unrolled: 1-line block ×4, first 2 shown]
	s_and_saveexec_b64 s[0:1], vcc
	s_cbranch_execz .LBB674_50
; %bb.49:
	v_mov_b32_e32 v23, 0
	v_lshl_add_u64 v[10:11], s[4:5], 0, v[22:23]
	v_lshlrev_b32_e32 v12, 1, v26
	v_mov_b32_e32 v13, v23
	v_lshl_add_u64 v[10:11], v[10:11], 0, v[12:13]
	global_load_dwordx4 v[10:13], v[10:11], off
.LBB674_50:
	s_or_b64 exec, exec, s[0:1]
	v_or_b32_e32 v15, 1, v15
	v_cmp_gt_i32_e64 s[0:1], s30, v15
	v_lshlrev_b32_e32 v28, 8, v15
	v_mov_b32_e32 v15, 0
	v_mov_b32_e32 v16, 0
	;; [unrolled: 1-line block ×3, first 2 shown]
	s_and_saveexec_b64 s[2:3], s[0:1]
	s_cbranch_execz .LBB674_52
; %bb.51:
	v_mov_b32_e32 v29, 0
	v_lshl_add_u64 v[14:15], s[4:5], 0, v[28:29]
	v_lshlrev_b32_e32 v16, 1, v26
	v_mov_b32_e32 v17, v29
	v_lshl_add_u64 v[14:15], v[14:15], 0, v[16:17]
	global_load_dwordx4 v[14:17], v[14:15], off
.LBB674_52:
	s_or_b64 exec, exec, s[2:3]
	v_mov_b32_e32 v25, 0
	v_mov_b32_e32 v18, 0
	;; [unrolled: 1-line block ×5, first 2 shown]
	s_and_saveexec_b64 s[2:3], vcc
	s_cbranch_execz .LBB674_54
; %bb.53:
	v_mov_b32_e32 v23, 0
	v_lshl_add_u64 v[18:19], s[4:5], 0, v[22:23]
	v_lshlrev_b32_e32 v22, 1, v26
	v_lshl_add_u64 v[18:19], v[18:19], 0, v[22:23]
	global_load_dwordx4 v[18:21], v[18:19], off offset:128
.LBB674_54:
	s_or_b64 exec, exec, s[2:3]
	v_mov_b32_e32 v24, 0
	v_mov_b32_e32 v23, 0
	;; [unrolled: 1-line block ×3, first 2 shown]
	s_and_saveexec_b64 s[2:3], s[0:1]
	s_cbranch_execz .LBB674_56
; %bb.55:
	v_mov_b32_e32 v29, 0
	v_lshl_add_u64 v[22:23], s[4:5], 0, v[28:29]
	v_lshlrev_b32_e32 v28, 1, v26
	v_lshl_add_u64 v[22:23], v[22:23], 0, v[28:29]
	global_load_dwordx4 v[22:25], v[22:23], off offset:128
.LBB674_56:
	s_or_b64 exec, exec, s[2:3]
	s_branch .LBB674_59
.LBB674_57:
                                        ; implicit-def: $vgpr13
                                        ; implicit-def: $vgpr17
                                        ; implicit-def: $vgpr21
                                        ; implicit-def: $vgpr25
	s_cbranch_execz .LBB674_59
; %bb.58:
	s_waitcnt vmcnt(0)
	v_lshlrev_b32_e32 v10, 1, v26
	v_lshl_or_b32 v26, v47, 9, v10
	s_and_b32 s5, s5, 0xffff
	s_mov_b32 s7, 0x20000
	s_movk_i32 s6, 0x4000
	s_movk_i32 s0, 0x80
	buffer_load_dwordx4 v[10:13], v26, s[4:7], 0 offen
	buffer_load_dwordx4 v[14:17], v26, s[4:7], 0 offen offset:256
	buffer_load_dwordx4 v[18:21], v26, s[4:7], s0 offen
	buffer_load_dwordx4 v[22:25], v26, s[4:7], s0 offen offset:256
.LBB674_59:
	ds_read2st64_b64 v[30:33], v50 offset0:76 offset1:77
	ds_read2st64_b64 v[26:29], v50 offset0:78 offset1:79
	ds_read_b64 v[38:39], v34 offset:24576
	ds_read_b64 v[40:41], v35 offset:24576
	;; [unrolled: 1-line block ×4, first 2 shown]
	v_and_b32_e32 v51, 6, v0
	v_xor_b32_e32 v47, v47, v51
	v_lshlrev_b32_e32 v47, 2, v47
	v_and_b32_e32 v53, 1, v0
	v_xor_b32_e32 v54, 0x440, v47
	v_cmp_eq_u32_e32 vcc, 0, v53
	s_mov_b32 s0, 0x1000504
	s_waitcnt vmcnt(0)
	v_perm_b32 v53, v18, v22, s0
	v_cndmask_b32_e32 v47, v54, v47, vcc
	v_lshl_or_b32 v47, v51, 10, v47
	v_perm_b32 v51, v10, v14, s0
	ds_write2st64_b32 v47, v51, v53 offset1:32
	v_xor_b32_e32 v51, 8, v47
	s_mov_b32 s1, 0x3020706
	v_perm_b32 v10, v10, v14, s1
	v_perm_b32 v14, v18, v22, s1
	v_add_u32_e32 v18, 0x80, v51
	ds_write2st64_b32 v18, v10, v14 offset1:32
	v_xor_b32_e32 v10, 16, v47
	v_perm_b32 v14, v11, v15, s0
	v_perm_b32 v18, v19, v23, s0
	ds_write2st64_b32 v10, v14, v18 offset0:1 offset1:33
	v_xor_b32_e32 v10, 24, v47
	v_perm_b32 v11, v11, v15, s1
	v_perm_b32 v14, v19, v23, s1
	v_add_u32_e32 v10, 0x80, v10
	ds_write2st64_b32 v10, v11, v14 offset0:1 offset1:33
	v_xor_b32_e32 v10, 32, v47
	v_perm_b32 v11, v12, v16, s0
	v_perm_b32 v14, v20, v24, s0
	ds_write2st64_b32 v10, v11, v14 offset0:2 offset1:34
	v_xor_b32_e32 v10, 40, v47
	v_perm_b32 v11, v12, v16, s1
	v_perm_b32 v12, v20, v24, s1
	v_add_u32_e32 v10, 0x80, v10
	ds_write2st64_b32 v10, v11, v12 offset0:2 offset1:34
	v_xor_b32_e32 v10, 48, v47
	v_perm_b32 v11, v13, v17, s0
	v_perm_b32 v12, v21, v25, s0
	ds_write2st64_b32 v10, v11, v12 offset0:3 offset1:35
	v_xor_b32_e32 v10, 56, v47
	v_and_or_b32 v16, v45, 12, v52
	v_perm_b32 v11, v13, v17, s1
	v_perm_b32 v12, v21, v25, s1
	v_add_u32_e32 v10, 0x80, v10
	v_cmp_gt_i32_e32 vcc, s30, v16
	v_mov_b32_e32 v17, 0
	v_mov_b32_e32 v21, 0
	ds_write2st64_b32 v10, v11, v12 offset0:3 offset1:35
	s_and_saveexec_b64 s[0:1], vcc
	s_cbranch_execz .LBB674_61
; %bb.60:
	v_add_u32_e32 v10, s31, v16
	v_ashrrev_i32_e32 v11, 31, v10
	v_mul_lo_u32 v12, v11, s34
	v_mul_lo_u32 v13, v10, s35
	v_mad_u64_u32 v[10:11], s[2:3], v10, s34, 0
	v_add3_u32 v11, v11, v13, v12
	v_lshl_add_u64 v[10:11], v[10:11], 2, s[10:11]
	global_load_dword v10, v[10:11], off
	s_waitcnt vmcnt(0)
	v_sub_f32_e32 v10, s16, v10
	v_exp_f32_e32 v21, v10
.LBB674_61:
	s_or_b64 exec, exec, s[0:1]
	v_or_b32_e32 v19, 1, v16
	v_cmp_gt_i32_e64 s[0:1], s30, v19
	s_and_saveexec_b64 s[2:3], s[0:1]
	s_cbranch_execz .LBB674_63
; %bb.62:
	v_add_u32_e32 v10, s31, v19
	v_ashrrev_i32_e32 v11, 31, v10
	v_mul_lo_u32 v12, v11, s34
	v_mul_lo_u32 v13, v10, s35
	v_mad_u64_u32 v[10:11], s[4:5], v10, s34, 0
	v_add3_u32 v11, v11, v13, v12
	v_lshl_add_u64 v[10:11], v[10:11], 2, s[10:11]
	global_load_dword v10, v[10:11], off
	s_waitcnt vmcnt(0)
	v_sub_f32_e32 v10, s16, v10
	v_exp_f32_e32 v17, v10
.LBB674_63:
	s_or_b64 exec, exec, s[2:3]
	v_or_b32_e32 v20, 2, v16
	v_cmp_gt_i32_e64 s[2:3], s30, v20
	v_mov_b32_e32 v18, 0
	v_mov_b32_e32 v23, 0
	s_and_saveexec_b64 s[4:5], s[2:3]
	s_cbranch_execz .LBB674_65
; %bb.64:
	v_add_u32_e32 v10, s31, v20
	v_ashrrev_i32_e32 v11, 31, v10
	v_mul_lo_u32 v12, v11, s34
	v_mul_lo_u32 v13, v10, s35
	v_mad_u64_u32 v[10:11], s[6:7], v10, s34, 0
	v_add3_u32 v11, v11, v13, v12
	v_lshl_add_u64 v[10:11], v[10:11], 2, s[10:11]
	global_load_dword v10, v[10:11], off
	s_waitcnt vmcnt(0)
	v_sub_f32_e32 v10, s16, v10
	v_exp_f32_e32 v23, v10
.LBB674_65:
	s_or_b64 exec, exec, s[4:5]
	v_or_b32_e32 v22, 3, v16
	v_cmp_gt_i32_e64 s[4:5], s30, v22
	s_and_saveexec_b64 s[6:7], s[4:5]
	s_cbranch_execz .LBB674_67
; %bb.66:
	v_add_u32_e32 v10, s31, v22
	v_ashrrev_i32_e32 v11, 31, v10
	v_mul_lo_u32 v12, v11, s34
	v_mul_lo_u32 v13, v10, s35
	v_mad_u64_u32 v[10:11], s[18:19], v10, s34, 0
	v_add3_u32 v11, v11, v13, v12
	v_lshl_add_u64 v[10:11], v[10:11], 2, s[10:11]
	global_load_dword v10, v[10:11], off
	s_waitcnt vmcnt(0)
	v_sub_f32_e32 v10, s16, v10
	v_exp_f32_e32 v18, v10
.LBB674_67:
	s_or_b64 exec, exec, s[6:7]
	s_waitcnt lgkmcnt(11)
	v_mfma_f32_16x16x16_bf16 a[0:3], v[38:39], v[30:31], a[0:3]
	s_add_u32 s6, s8, s24
	v_ashrrev_i32_e32 v47, 31, v46
	s_addc_u32 s7, s9, s25
	s_waitcnt lgkmcnt(10)
	v_mfma_f32_16x16x16_bf16 a[0:3], v[40:41], v[32:33], a[0:3]
	v_mov_b32_e32 v24, 0
	v_lshl_add_u64 v[14:15], v[46:47], 1, s[6:7]
	v_mov_b32_e32 v25, 0
	s_waitcnt lgkmcnt(9)
	v_mfma_f32_16x16x16_bf16 a[0:3], v[36:37], v[26:27], a[0:3]
	s_waitcnt lgkmcnt(8)
	v_mfma_f32_16x16x16_bf16 a[0:3], v[34:35], v[28:29], a[0:3]
	s_nop 6
	v_accvgpr_read_b32 v13, a3
	v_accvgpr_read_b32 v12, a2
	;; [unrolled: 1-line block ×4, first 2 shown]
	s_and_saveexec_b64 s[6:7], vcc
	s_cbranch_execz .LBB674_69
; %bb.68:
	v_lshlrev_b32_e32 v26, 8, v16
	v_mov_b32_e32 v27, 0
	v_lshl_add_u64 v[26:27], v[14:15], 0, v[26:27]
	global_load_ushort v25, v[26:27], off
	s_waitcnt vmcnt(0)
	v_lshlrev_b32_e32 v25, 16, v25
	v_sub_f32_e32 v10, v25, v10
	v_mul_f32_e32 v10, v21, v10
	v_lshrrev_b32_e32 v25, 16, v10
.LBB674_69:
	s_or_b64 exec, exec, s[6:7]
	s_and_saveexec_b64 s[6:7], s[0:1]
	s_cbranch_execz .LBB674_71
; %bb.70:
	v_lshlrev_b32_e32 v26, 8, v19
	v_mov_b32_e32 v27, 0
	v_lshl_add_u64 v[26:27], v[14:15], 0, v[26:27]
	global_load_ushort v10, v[26:27], off
	s_waitcnt vmcnt(0)
	v_lshlrev_b32_e32 v10, 16, v10
	v_sub_f32_e32 v10, v10, v11
	v_mul_f32_e32 v10, v17, v10
	v_lshrrev_b32_e32 v24, 16, v10
.LBB674_71:
	s_or_b64 exec, exec, s[6:7]
	v_mov_b32_e32 v11, 0
	v_mov_b32_e32 v17, 0
	s_and_saveexec_b64 s[0:1], s[2:3]
	s_cbranch_execz .LBB674_73
; %bb.72:
	v_lshlrev_b32_e32 v20, 8, v20
	v_mov_b32_e32 v21, 0
	v_lshl_add_u64 v[20:21], v[14:15], 0, v[20:21]
	global_load_ushort v10, v[20:21], off
	s_waitcnt vmcnt(0)
	v_lshlrev_b32_e32 v10, 16, v10
	v_sub_f32_e32 v10, v10, v12
	v_mul_f32_e32 v10, v23, v10
	v_lshrrev_b32_e32 v17, 16, v10
.LBB674_73:
	s_or_b64 exec, exec, s[0:1]
	v_or_b32_e32 v10, 0x9800, v50
	s_and_saveexec_b64 s[0:1], s[4:5]
	s_cbranch_execz .LBB674_75
; %bb.74:
	v_lshlrev_b32_e32 v20, 8, v22
	v_mov_b32_e32 v21, 0
	v_lshl_add_u64 v[14:15], v[14:15], 0, v[20:21]
	global_load_ushort v11, v[14:15], off
	s_waitcnt vmcnt(0)
	v_lshlrev_b32_e32 v11, 16, v11
	v_sub_f32_e32 v11, v11, v13
	v_mul_f32_e32 v11, v18, v11
	v_lshrrev_b32_e32 v11, 16, v11
.LBB674_75:
	s_or_b64 exec, exec, s[0:1]
	s_mov_b32 s0, 0x5040100
	v_perm_b32 v13, v11, v17, s0
	v_lshlrev_b32_e32 v11, 1, v48
	v_perm_b32 v12, v24, v25, s0
	v_lshl_or_b32 v11, v16, 5, v11
	s_movk_i32 s0, 0xff
	ds_write_b64 v11, v[12:13] offset:38912
	v_and_b32_e32 v11, 7, v0
	v_and_b32_e32 v12, 8, v0
	v_cmp_lt_u32_e32 vcc, s0, v0
	v_lshrrev_b32_e32 v0, 1, v0
	v_lshlrev_b32_e32 v22, 3, v1
	v_and_b32_e32 v23, 24, v0
	v_xor_b32_e32 v0, v22, v23
	v_cndmask_b32_e64 v13, 0, 1, vcc
	v_or_b32_e32 v1, 0x440, v0
	v_cmp_eq_u32_e32 vcc, 0, v12
	v_lshlrev_b32_e32 v20, 3, v11
	v_lshlrev_b32_e32 v11, 7, v11
	v_cndmask_b32_e32 v0, v1, v0, vcc
	v_or_b32_e32 v0, v0, v49
	v_lshlrev_b32_e32 v21, 13, v13
	v_xad_u32 v24, v0, v20, v11
	v_add_u32_e32 v0, v21, v24
	s_waitcnt lgkmcnt(0)
	s_barrier
	ds_read_b64 v[0:1], v0
	ds_read2st64_b64 v[12:15], v10 offset1:1
	ds_read2st64_b64 v[16:19], v10 offset0:2 offset1:3
	s_waitcnt lgkmcnt(1)
	v_mfma_f32_16x16x16_bf16 a[0:3], v[0:1], v[12:13], 0
	v_or_b32_e32 v0, 32, v23
	v_xor_b32_e32 v0, v22, v0
	v_or_b32_e32 v1, 0x440, v0
	v_cndmask_b32_e32 v0, v1, v0, vcc
	v_or_b32_e32 v0, v0, v49
	v_xad_u32 v25, v0, v20, v11
	v_add_u32_e32 v0, v21, v25
	ds_read_b64 v[0:1], v0
	v_or_b32_e32 v10, 0x60, v23
	s_waitcnt lgkmcnt(0)
	v_mfma_f32_16x16x16_bf16 a[0:3], v[0:1], v[14:15], a[0:3]
	v_or_b32_e32 v0, 64, v23
	v_xor_b32_e32 v0, v22, v0
	v_xor_b32_e32 v1, 0x440, v0
	v_cndmask_b32_e32 v0, v1, v0, vcc
	v_or_b32_e32 v0, v0, v49
	v_xad_u32 v26, v0, v20, v11
	v_xor_b32_e32 v10, v22, v10
	v_add_u32_e32 v0, v21, v26
	v_xor_b32_e32 v22, 0x440, v10
	ds_read_b64 v[0:1], v0
	v_cndmask_b32_e32 v10, v22, v10, vcc
	v_or_b32_e32 v10, v10, v49
	v_xad_u32 v22, v10, v20, v11
	v_add_u32_e32 v10, v21, v22
	ds_read_b64 v[10:11], v10
	s_waitcnt lgkmcnt(1)
	v_mfma_f32_16x16x16_bf16 a[0:3], v[0:1], v[16:17], a[0:3]
	ds_read_b64 v[0:1], v24 offset:8192
	ds_read_b64 v[20:21], v26 offset:8192
	v_exp_f32_e32 v23, s16
	s_waitcnt lgkmcnt(2)
	v_mfma_f32_16x16x16_bf16 a[0:3], v[10:11], v[18:19], a[0:3]
	ds_read_b64 v[10:11], v25 offset:8192
	s_waitcnt lgkmcnt(2)
	v_mfma_f32_16x16x16_bf16 a[4:7], v[0:1], v[12:13], 0
	ds_read_b64 v[12:13], v22 offset:8192
	s_nop 2
	v_accvgpr_read_b32 v0, a0
	v_accvgpr_read_b32 v1, a1
	s_waitcnt lgkmcnt(1)
	v_mfma_f32_16x16x16_bf16 a[4:7], v[10:11], v[14:15], a[4:7]
	v_fma_f32 v0, v2, v23, v0
	v_fma_f32 v1, v3, v23, v1
	v_accvgpr_read_b32 v2, a2
	v_mfma_f32_16x16x16_bf16 a[4:7], v[20:21], v[16:17], a[4:7]
	v_accvgpr_read_b32 v3, a3
	v_fma_f32 v2, v4, v23, v2
	v_fmac_f32_e32 v3, v5, v23
	s_waitcnt lgkmcnt(0)
	v_mfma_f32_16x16x16_bf16 a[0:3], v[12:13], v[18:19], a[4:7]
	s_nop 6
	v_accvgpr_read_b32 v4, a0
	v_accvgpr_read_b32 v5, a1
	v_fma_f32 v4, v6, v23, v4
	v_fma_f32 v5, v7, v23, v5
	v_accvgpr_read_b32 v6, a2
	v_accvgpr_read_b32 v7, a3
	v_fma_f32 v6, v8, v23, v6
	v_fmac_f32_e32 v7, v9, v23
	v_mov_b64_e32 v[8:9], v[6:7]
	v_mov_b64_e32 v[6:7], v[4:5]
	;; [unrolled: 1-line block ×4, first 2 shown]
.LBB674_76:
	s_add_u32 s0, s12, s14
	s_addc_u32 s1, s13, s15
	v_lshl_add_u64 v[0:1], v[42:43], 2, s[0:1]
	v_mov_b32_e32 v45, 0
	v_lshl_add_u64 v[0:1], v[0:1], 0, v[44:45]
	global_store_dwordx4 v[0:1], v[2:5], off
	global_store_dwordx4 v[0:1], v[6:9], off offset:256
	s_endpgm
	.section	.rodata,"a",@progbits
	.p2align	6, 0x0
	.amdhsa_kernel _ZN12_GLOBAL__N_139chunk_gated_delta_rule_fwd_h_hip_kernelILi16ELb1ELb1ELb0ELb1ELb1ELb0ELb1ELb0EEEvPK12hip_bfloat16S3_S3_PKfS5_PKvPS1_S8_PvPKiSB_iiiiilll
		.amdhsa_group_segment_fixed_size 40960
		.amdhsa_private_segment_fixed_size 0
		.amdhsa_kernarg_size 136
		.amdhsa_user_sgpr_count 2
		.amdhsa_user_sgpr_dispatch_ptr 0
		.amdhsa_user_sgpr_queue_ptr 0
		.amdhsa_user_sgpr_kernarg_segment_ptr 1
		.amdhsa_user_sgpr_dispatch_id 0
		.amdhsa_user_sgpr_kernarg_preload_length 0
		.amdhsa_user_sgpr_kernarg_preload_offset 0
		.amdhsa_user_sgpr_private_segment_size 0
		.amdhsa_uses_dynamic_stack 0
		.amdhsa_enable_private_segment 0
		.amdhsa_system_sgpr_workgroup_id_x 1
		.amdhsa_system_sgpr_workgroup_id_y 1
		.amdhsa_system_sgpr_workgroup_id_z 0
		.amdhsa_system_sgpr_workgroup_info 0
		.amdhsa_system_vgpr_workitem_id 0
		.amdhsa_next_free_vgpr 116
		.amdhsa_next_free_sgpr 63
		.amdhsa_accum_offset 108
		.amdhsa_reserve_vcc 1
		.amdhsa_float_round_mode_32 0
		.amdhsa_float_round_mode_16_64 0
		.amdhsa_float_denorm_mode_32 3
		.amdhsa_float_denorm_mode_16_64 3
		.amdhsa_dx10_clamp 1
		.amdhsa_ieee_mode 1
		.amdhsa_fp16_overflow 0
		.amdhsa_tg_split 0
		.amdhsa_exception_fp_ieee_invalid_op 0
		.amdhsa_exception_fp_denorm_src 0
		.amdhsa_exception_fp_ieee_div_zero 0
		.amdhsa_exception_fp_ieee_overflow 0
		.amdhsa_exception_fp_ieee_underflow 0
		.amdhsa_exception_fp_ieee_inexact 0
		.amdhsa_exception_int_div_zero 0
	.end_amdhsa_kernel
	.section	.text._ZN12_GLOBAL__N_139chunk_gated_delta_rule_fwd_h_hip_kernelILi16ELb1ELb1ELb0ELb1ELb1ELb0ELb1ELb0EEEvPK12hip_bfloat16S3_S3_PKfS5_PKvPS1_S8_PvPKiSB_iiiiilll,"axG",@progbits,_ZN12_GLOBAL__N_139chunk_gated_delta_rule_fwd_h_hip_kernelILi16ELb1ELb1ELb0ELb1ELb1ELb0ELb1ELb0EEEvPK12hip_bfloat16S3_S3_PKfS5_PKvPS1_S8_PvPKiSB_iiiiilll,comdat
.Lfunc_end674:
	.size	_ZN12_GLOBAL__N_139chunk_gated_delta_rule_fwd_h_hip_kernelILi16ELb1ELb1ELb0ELb1ELb1ELb0ELb1ELb0EEEvPK12hip_bfloat16S3_S3_PKfS5_PKvPS1_S8_PvPKiSB_iiiiilll, .Lfunc_end674-_ZN12_GLOBAL__N_139chunk_gated_delta_rule_fwd_h_hip_kernelILi16ELb1ELb1ELb0ELb1ELb1ELb0ELb1ELb0EEEvPK12hip_bfloat16S3_S3_PKfS5_PKvPS1_S8_PvPKiSB_iiiiilll
                                        ; -- End function
	.section	.AMDGPU.csdata,"",@progbits
; Kernel info:
; codeLenInByte = 7584
; NumSgprs: 69
; NumVgprs: 108
; NumAgprs: 8
; TotalNumVgprs: 116
; ScratchSize: 0
; MemoryBound: 0
; FloatMode: 240
; IeeeMode: 1
; LDSByteSize: 40960 bytes/workgroup (compile time only)
; SGPRBlocks: 8
; VGPRBlocks: 14
; NumSGPRsForWavesPerEU: 69
; NumVGPRsForWavesPerEU: 116
; AccumOffset: 108
; Occupancy: 1
; WaveLimiterHint : 1
; COMPUTE_PGM_RSRC2:SCRATCH_EN: 0
; COMPUTE_PGM_RSRC2:USER_SGPR: 2
; COMPUTE_PGM_RSRC2:TRAP_HANDLER: 0
; COMPUTE_PGM_RSRC2:TGID_X_EN: 1
; COMPUTE_PGM_RSRC2:TGID_Y_EN: 1
; COMPUTE_PGM_RSRC2:TGID_Z_EN: 0
; COMPUTE_PGM_RSRC2:TIDIG_COMP_CNT: 0
; COMPUTE_PGM_RSRC3_GFX90A:ACCUM_OFFSET: 26
; COMPUTE_PGM_RSRC3_GFX90A:TG_SPLIT: 0
	.section	.text._ZN12_GLOBAL__N_139chunk_gated_delta_rule_fwd_h_hip_kernelILi16ELb1ELb0ELb1ELb1ELb1ELb0ELb1ELb0EEEvPK12hip_bfloat16S3_S3_PKfS5_PKvPS1_S8_PvPKiSB_iiiiilll,"axG",@progbits,_ZN12_GLOBAL__N_139chunk_gated_delta_rule_fwd_h_hip_kernelILi16ELb1ELb0ELb1ELb1ELb1ELb0ELb1ELb0EEEvPK12hip_bfloat16S3_S3_PKfS5_PKvPS1_S8_PvPKiSB_iiiiilll,comdat
	.globl	_ZN12_GLOBAL__N_139chunk_gated_delta_rule_fwd_h_hip_kernelILi16ELb1ELb0ELb1ELb1ELb1ELb0ELb1ELb0EEEvPK12hip_bfloat16S3_S3_PKfS5_PKvPS1_S8_PvPKiSB_iiiiilll ; -- Begin function _ZN12_GLOBAL__N_139chunk_gated_delta_rule_fwd_h_hip_kernelILi16ELb1ELb0ELb1ELb1ELb1ELb0ELb1ELb0EEEvPK12hip_bfloat16S3_S3_PKfS5_PKvPS1_S8_PvPKiSB_iiiiilll
	.p2align	8
	.type	_ZN12_GLOBAL__N_139chunk_gated_delta_rule_fwd_h_hip_kernelILi16ELb1ELb0ELb1ELb1ELb1ELb0ELb1ELb0EEEvPK12hip_bfloat16S3_S3_PKfS5_PKvPS1_S8_PvPKiSB_iiiiilll,@function
_ZN12_GLOBAL__N_139chunk_gated_delta_rule_fwd_h_hip_kernelILi16ELb1ELb0ELb1ELb1ELb1ELb0ELb1ELb0EEEvPK12hip_bfloat16S3_S3_PKfS5_PKvPS1_S8_PvPKiSB_iiiiilll: ; @_ZN12_GLOBAL__N_139chunk_gated_delta_rule_fwd_h_hip_kernelILi16ELb1ELb0ELb1ELb1ELb1ELb0ELb1ELb0EEEvPK12hip_bfloat16S3_S3_PKfS5_PKvPS1_S8_PvPKiSB_iiiiilll
; %bb.0:
	s_load_dwordx4 s[12:15], s[0:1], 0x5c
	s_load_dwordx4 s[4:7], s[0:1], 0x48
	s_abs_i32 s9, s3
	s_ashr_i32 s8, s3, 31
	v_and_b32_e32 v53, 15, v0
	s_waitcnt lgkmcnt(0)
	s_abs_i32 s10, s13
	v_cvt_f32_u32_e32 v1, s10
	s_sub_i32 s16, 0, s10
	s_ashr_i32 s11, s13, 31
	s_xor_b32 s8, s8, s11
	v_rcp_iflag_f32_e32 v1, v1
	v_lshrrev_b32_e32 v51, 6, v0
	v_bfe_u32 v52, v0, 4, 2
	v_mov_b32_e32 v5, 0
	v_mul_f32_e32 v1, 0x4f7ffffe, v1
	v_cvt_u32_f32_e32 v1, v1
	v_and_b32_e32 v50, 63, v0
	v_lshrrev_b32_e32 v55, 3, v50
	v_lshlrev_b32_e32 v54, 3, v0
	v_readfirstlane_b32 s17, v1
	s_mul_i32 s16, s16, s17
	s_mul_hi_u32 s16, s17, s16
	s_add_i32 s17, s17, s16
	s_mul_hi_u32 s16, s9, s17
	s_mul_i32 s17, s16, s10
	s_sub_i32 s9, s9, s17
	s_add_i32 s18, s16, 1
	s_sub_i32 s17, s9, s10
	s_cmp_ge_u32 s9, s10
	s_cselect_b32 s16, s18, s16
	s_cselect_b32 s9, s17, s9
	s_add_i32 s17, s16, 1
	s_cmp_ge_u32 s9, s10
	s_cselect_b32 s9, s17, s16
	s_xor_b32 s9, s9, s8
	s_sub_i32 s20, s9, s8
	s_mul_i32 s24, s20, s13
	s_ashr_i32 s21, s20, 31
	s_sub_i32 s47, s3, s24
	s_lshl_b64 s[8:9], s[20:21], 2
	s_add_u32 s4, s4, s8
	s_addc_u32 s5, s5, s9
	s_add_u32 s22, s6, s8
	s_addc_u32 s23, s7, s9
	s_abs_i32 s3, s14
	v_cvt_f32_u32_e32 v1, s3
	s_load_dwordx2 s[34:35], s[4:5], 0x0
	s_sub_i32 s5, 0, s3
	s_lshl_b32 s2, s2, 4
	v_rcp_iflag_f32_e32 v1, v1
	s_load_dwordx4 s[16:19], s[0:1], 0x28
	s_load_dwordx2 s[28:29], s[0:1], 0x38
	s_waitcnt lgkmcnt(0)
	s_sub_i32 s50, s35, s34
	s_ashr_i32 s4, s50, 31
	v_mul_f32_e32 v1, 0x4f7ffffe, v1
	v_cvt_u32_f32_e32 v1, v1
	s_lshr_b32 s4, s4, 26
	s_add_i32 s4, s50, s4
	s_ashr_i32 s48, s4, 6
	v_readfirstlane_b32 s6, v1
	s_mul_i32 s5, s5, s6
	s_mul_hi_u32 s5, s6, s5
	s_add_i32 s6, s6, s5
	s_mul_hi_u32 s5, s10, s6
	s_mul_i32 s6, s5, s3
	s_ashr_i32 s4, s14, 31
	s_sub_i32 s6, s10, s6
	s_xor_b32 s4, s11, s4
	s_add_i32 s7, s5, 1
	s_sub_i32 s8, s6, s3
	s_cmp_ge_u32 s6, s3
	s_cselect_b32 s5, s7, s5
	s_cselect_b32 s6, s8, s6
	s_add_i32 s7, s5, 1
	s_cmp_ge_u32 s6, s3
	s_cselect_b32 s3, s7, s5
	s_xor_b32 s3, s3, s4
	s_sub_i32 s3, s3, s4
	s_abs_i32 s4, s3
	v_cvt_f32_u32_e32 v1, s4
	s_sub_i32 s6, 0, s4
	s_abs_i32 s5, s47
	s_xor_b32 s3, s47, s3
	v_rcp_iflag_f32_e32 v1, v1
	s_ashr_i32 s3, s3, 31
	v_or_b32_e32 v42, s2, v53
	v_lshlrev_b32_e32 v2, 7, v42
	v_mul_f32_e32 v1, 0x4f7ffffe, v1
	v_cvt_u32_f32_e32 v1, v1
	v_ashrrev_i32_e32 v3, 31, v2
	s_mul_hi_i32 s53, s47, s12
	s_mul_i32 s54, s47, s12
	v_readfirstlane_b32 s7, v1
	s_mul_i32 s6, s6, s7
	s_mul_hi_u32 s6, s7, s6
	s_add_i32 s7, s7, s6
	s_mul_hi_u32 s6, s5, s7
	s_mul_i32 s7, s6, s4
	s_sub_i32 s5, s5, s7
	s_add_i32 s7, s6, 1
	s_sub_i32 s8, s5, s4
	s_cmp_ge_u32 s5, s4
	s_cselect_b32 s6, s7, s6
	s_cselect_b32 s5, s8, s5
	s_add_i32 s7, s6, 1
	s_cmp_ge_u32 s5, s4
	s_cselect_b32 s4, s7, s6
	s_xor_b32 s4, s4, s3
	s_sub_i32 s51, s4, s3
	s_ashr_i32 s49, s47, 31
	s_mul_hi_i32 s3, s20, s13
	s_add_u32 s4, s24, s47
	s_addc_u32 s5, s3, s49
	s_lshl_b64 s[4:5], s[4:5], 16
	v_lshlrev_b32_e32 v1, 4, v51
	s_add_u32 s4, s16, s4
	v_lshl_or_b32 v56, v52, 2, v1
	s_addc_u32 s5, s17, s5
	v_lshl_add_u64 v[2:3], v[2:3], 2, s[4:5]
	v_lshlrev_b32_e32 v4, 2, v56
	v_lshl_add_u64 v[10:11], v[2:3], 0, v[4:5]
	global_load_dwordx4 v[6:9], v[10:11], off
	global_load_dwordx4 v[2:5], v[10:11], off offset:256
	s_load_dwordx8 s[4:11], s[0:1], 0x0
	s_load_dwordx2 s[30:31], s[0:1], 0x80
	s_load_dwordx4 s[24:27], s[0:1], 0x70
	s_load_dword s52, s[22:23], 0x0
	v_or_b32_e32 v57, 64, v56
	s_cmp_lt_i32 s50, 64
	s_waitcnt lgkmcnt(0)
	s_mul_i32 s33, s20, s25
	s_mul_hi_u32 s43, s20, s24
	s_mul_i32 s44, s21, s24
	s_mul_i32 s38, s20, s24
	;; [unrolled: 1-line block ×3, first 2 shown]
	s_mul_hi_u32 s45, s47, s26
	s_mul_i32 s46, s49, s26
	s_mul_i32 s36, s47, s26
	s_cbranch_scc1 .LBB675_3
; %bb.1:
	s_ashr_i32 s1, s34, 31
	s_add_u32 s0, s54, s34
	s_addc_u32 s1, s53, s1
	s_lshl_b64 s[0:1], s[0:1], 8
	v_and_b32_e32 v59, 56, v54
	s_add_u32 s20, s6, s0
	v_lshl_or_b32 v58, v51, 3, v55
	v_lshlrev_b32_e32 v10, 1, v59
	s_addc_u32 s0, s7, s1
	v_lshl_or_b32 v60, v58, 8, v10
	s_and_b32 s21, s0, 0xffff
	s_mov_b32 s23, 0x20000
	s_movk_i32 s22, 0x4000
	s_movk_i32 s0, 0x80
	v_or_b32_e32 v61, 0x2000, v60
	buffer_load_dwordx4 v[12:15], v60, s[20:23], 0 offen
	buffer_load_dwordx4 v[16:19], v60, s[20:23], s0 offen
	;; [unrolled: 1-line block ×4, first 2 shown]
	v_lshlrev_b32_e32 v11, 3, v58
	v_and_or_b32 v29, v0, 7, v11
	v_and_b32_e32 v11, 0x78, v11
	v_lshlrev_b32_e32 v29, 4, v29
	v_xor_b32_e32 v62, v29, v11
	v_mul_lo_u32 v28, v58, s15
	v_or_b32_e32 v63, 0x1000, v62
	v_xor_b32_e32 v11, 8, v62
	s_cmpk_eq_i32 s15, 0x80
	s_mov_b32 s55, s34
	v_xor_b32_e32 v29, 8, v63
	s_cselect_b64 s[0:1], -1, 0
	s_cmpk_lg_i32 s15, 0x80
	s_waitcnt vmcnt(3)
	ds_write_b64 v62, v[12:13] offset:16384
	ds_write_b64 v11, v[14:15] offset:16384
	s_waitcnt vmcnt(2)
	ds_write_b64 v62, v[16:17] offset:24576
	ds_write_b64 v11, v[18:19] offset:24576
	;; [unrolled: 3-line block ×4, first 2 shown]
	v_lshl_add_u32 v11, v28, 1, v59
	s_cbranch_scc0 .LBB675_29
; %bb.2:
	v_lshlrev_b32_e32 v13, 1, v11
	v_add_lshl_u32 v12, v11, s15, 1
	s_lshl_b32 s22, s15, 7
	v_lshl_or_b32 v10, v58, 9, v10
	s_cbranch_execz .LBB675_30
	s_branch .LBB675_31
.LBB675_3:
	s_waitcnt vmcnt(0)
	v_mov_b32_e32 v10, v5
	v_mov_b32_e32 v11, v9
.LBB675_4:
	s_lshl_b32 s26, s48, 6
	s_sub_i32 s27, s50, s26
	s_cmp_gt_i32 s27, 0
	s_cbranch_scc0 .LBB675_76
; %bb.5:
	s_add_i32 s26, s26, s34
	s_ashr_i32 s3, s26, 31
	s_cmpk_lg_i32 s15, 0x80
	s_cselect_b64 s[22:23], -1, 0
	s_and_b64 vcc, exec, s[22:23]
	s_cbranch_vccz .LBB675_7
; %bb.6:
	s_mul_hi_i32 s0, s26, s14
	s_mul_i32 s1, s26, s14
	s_ashr_i32 s14, s51, 31
	s_add_u32 s24, s1, s51
	s_addc_u32 s25, s0, s14
	s_cbranch_execz .LBB675_8
	s_branch .LBB675_9
.LBB675_7:
                                        ; implicit-def: $sgpr24_sgpr25
.LBB675_8:
	s_mul_i32 s1, s51, s12
	s_mul_hi_i32 s0, s51, s12
	s_add_u32 s24, s1, s26
	s_addc_u32 s25, s0, s3
.LBB675_9:
	s_add_i32 s12, s48, s52
	s_add_u32 s0, s54, s26
	s_addc_u32 s1, s53, s3
	s_mov_b32 s3, 0x7060302
	v_perm_b32 v5, v10, v4, s3
	v_perm_b32 v4, v3, v2, s3
	v_lshlrev_b32_e32 v2, 3, v53
	s_lshl_b64 s[20:21], s[0:1], 8
	v_perm_b32 v9, v11, v8, s3
	v_perm_b32 v8, v7, v6, s3
	s_waitcnt vmcnt(2)
	v_lshlrev_b32_e32 v34, 2, v53
	v_lshl_or_b32 v2, v56, 5, v2
	s_add_u32 s0, s6, s20
	ds_write2st64_b64 v2, v[8:9], v[4:5] offset0:72 offset1:76
	v_xor_b32_e32 v2, v56, v34
	v_lshlrev_b32_e32 v3, 8, v53
	s_addc_u32 s1, s7, s21
	v_lshl_or_b32 v2, v2, 1, v3
	s_mul_hi_i32 s3, s12, s13
	s_mul_i32 s12, s12, s13
	ds_write_b64 v2, v[8:9] offset:32768
	v_xor_b32_e32 v2, v57, v34
	s_add_u32 s6, s12, s47
	v_lshl_or_b32 v2, v2, 1, v3
	s_addc_u32 s7, s3, s49
	v_lshlrev_b32_e32 v3, 1, v53
	ds_write_b64 v2, v[4:5] offset:32768
	v_lshrrev_b32_e32 v2, 4, v0
	s_ashr_i32 s3, s2, 31
	s_lshl_b64 s[6:7], s[6:7], 15
	v_or_b32_e32 v4, 1, v3
	s_add_u32 s6, s18, s6
	v_xor_b32_e32 v3, v2, v3
	v_xor_b32_e32 v4, v4, v2
	v_lshlrev_b32_e32 v6, 8, v2
	s_addc_u32 s7, s19, s7
	s_lshl_b64 s[2:3], s[2:3], 8
	v_lshl_or_b32 v2, v3, 3, v6
	v_lshl_or_b32 v4, v4, 3, v6
	s_waitcnt lgkmcnt(0)
	s_barrier
	s_add_u32 s2, s6, s2
	ds_read_b64 v[2:3], v2 offset:32768
	ds_read_b64 v[4:5], v4 offset:32768
	s_addc_u32 s3, s7, s3
	v_mov_b32_e32 v7, 0
	s_cmp_lg_u32 s27, 64
	v_lshl_add_u64 v[8:9], s[2:3], 0, v[6:7]
	v_lshlrev_b32_e32 v6, 4, v53
	s_cselect_b64 s[6:7], -1, 0
	v_lshl_or_b32 v35, v51, 3, v55
	s_mov_b32 s16, 0
	v_lshl_add_u64 v[6:7], v[8:9], 0, v[6:7]
	v_or_b32_e32 v19, 32, v35
	v_and_b32_e32 v18, 56, v54
	s_and_b64 vcc, exec, s[6:7]
	s_waitcnt lgkmcnt(0)
	global_store_dwordx4 v[6:7], v[2:5], off
	s_cbranch_vccz .LBB675_15
; %bb.10:
	s_mov_b32 s17, s16
	s_mov_b32 s18, s16
	;; [unrolled: 1-line block ×3, first 2 shown]
	v_mov_b64_e32 v[6:7], s[16:17]
	v_mov_b64_e32 v[8:9], s[18:19]
	v_mov_b64_e32 v[2:3], v[6:7]
	v_cmp_gt_i32_e32 vcc, s27, v35
	v_mov_b64_e32 v[4:5], v[8:9]
	s_and_saveexec_b64 s[2:3], vcc
	s_cbranch_execz .LBB675_12
; %bb.11:
	v_lshlrev_b32_e32 v2, 8, v35
	v_mov_b32_e32 v3, 0
	v_lshl_add_u64 v[4:5], s[0:1], 0, v[2:3]
	v_lshlrev_b32_e32 v2, 1, v18
	v_lshl_add_u64 v[10:11], v[4:5], 0, v[2:3]
	global_load_dwordx4 v[6:9], v[10:11], off
	global_load_dwordx4 v[2:5], v[10:11], off offset:128
.LBB675_12:
	s_or_b64 exec, exec, s[2:3]
	s_mov_b32 s17, s16
	s_mov_b32 s18, s16
	;; [unrolled: 1-line block ×3, first 2 shown]
	v_mov_b64_e32 v[14:15], s[16:17]
	v_mov_b64_e32 v[16:17], s[18:19]
	;; [unrolled: 1-line block ×3, first 2 shown]
	v_cmp_gt_i32_e32 vcc, s27, v19
	v_lshlrev_b32_e32 v20, 7, v19
	v_mov_b64_e32 v[12:13], v[16:17]
	s_and_saveexec_b64 s[2:3], vcc
	s_cbranch_execz .LBB675_14
; %bb.13:
	v_lshlrev_b32_e32 v10, 1, v20
	v_mov_b32_e32 v11, 0
	v_lshl_add_u64 v[12:13], s[0:1], 0, v[10:11]
	v_lshlrev_b32_e32 v10, 1, v18
	v_lshl_add_u64 v[22:23], v[12:13], 0, v[10:11]
	global_load_dwordx4 v[14:17], v[22:23], off
	global_load_dwordx4 v[10:13], v[22:23], off offset:128
.LBB675_14:
	s_or_b64 exec, exec, s[2:3]
	v_lshrrev_b32_e32 v21, 3, v18
	v_lshlrev_b32_e32 v22, 3, v35
	v_or_b32_e32 v21, v22, v21
	v_lshlrev_b32_e32 v21, 4, v21
	v_and_b32_e32 v22, 0x78, v22
	v_xor_b32_e32 v21, v21, v22
	s_branch .LBB675_17
.LBB675_15:
                                        ; implicit-def: $vgpr21
                                        ; implicit-def: $vgpr20
                                        ; implicit-def: $vgpr6_vgpr7_vgpr8_vgpr9
                                        ; implicit-def: $vgpr2_vgpr3_vgpr4_vgpr5
                                        ; implicit-def: $vgpr14_vgpr15_vgpr16_vgpr17
                                        ; implicit-def: $vgpr10_vgpr11_vgpr12_vgpr13
	s_cbranch_execz .LBB675_17
; %bb.16:
	s_waitcnt vmcnt(0)
	v_lshlrev_b32_e32 v2, 1, v18
	v_lshl_or_b32 v20, v35, 8, v2
	s_and_b32 s1, s1, 0xffff
	s_mov_b32 s3, 0x20000
	s_movk_i32 s2, 0x4000
	v_lshl_or_b32 v21, v19, 8, v2
	s_movk_i32 s12, 0x80
	buffer_load_dwordx4 v[6:9], v20, s[0:3], 0 offen
	buffer_load_dwordx4 v[2:5], v20, s[0:3], s12 offen
	;; [unrolled: 1-line block ×4, first 2 shown]
	v_lshrrev_b32_e32 v20, 3, v18
	v_lshlrev_b32_e32 v21, 3, v35
	v_or_b32_e32 v20, v21, v20
	v_lshlrev_b32_e32 v20, 4, v20
	v_and_b32_e32 v21, 0x78, v21
	v_xor_b32_e32 v21, v20, v21
	v_lshlrev_b32_e32 v20, 7, v19
.LBB675_17:
	s_lshl_b64 s[0:1], s[24:25], 8
	s_add_u32 s4, s4, s0
	s_movk_i32 s0, 0x1000
	v_and_or_b32 v19, v20, s0, v21
	s_waitcnt vmcnt(1)
	ds_write_b64 v21, v[6:7] offset:16384
	v_xor_b32_e32 v6, 8, v21
	ds_write_b64 v6, v[8:9] offset:16384
	s_waitcnt vmcnt(0)
	ds_write_b64 v21, v[2:3] offset:24576
	ds_write_b64 v6, v[4:5] offset:24576
	;; [unrolled: 1-line block ×3, first 2 shown]
	v_xor_b32_e32 v2, 8, v19
	ds_write_b64 v2, v[16:17] offset:16384
	ds_write_b64 v19, v[10:11] offset:24576
	;; [unrolled: 1-line block ×3, first 2 shown]
	v_or_b32_e32 v2, v1, v53
	v_lshlrev_b32_e32 v2, 3, v2
	v_lshrrev_b32_e32 v4, 5, v50
	s_movk_i32 s12, 0xf8
	v_and_or_b32 v4, v2, s12, v4
	v_lshlrev_b32_e32 v3, 11, v51
	v_lshlrev_b32_e32 v12, 4, v4
	v_and_b32_e32 v13, 0x78, v2
	v_and_b32_e32 v14, 0x1000, v3
	v_lshlrev_b32_e32 v3, 2, v0
	v_xor_b32_e32 v2, v12, v13
	v_lshrrev_b32_e32 v4, 1, v50
	v_and_b32_e32 v3, 60, v3
	v_or_b32_e32 v2, v2, v14
	v_and_b32_e32 v15, 8, v4
	v_xor_b32_e32 v26, v2, v15
	v_lshl_or_b32 v2, v52, 6, v3
	v_lshlrev_b32_e32 v19, 1, v2
	v_or_b32_e32 v2, 32, v12
	v_xor_b32_e32 v2, v2, v13
	s_waitcnt lgkmcnt(0)
	s_barrier
	ds_read_b64 v[10:11], v26 offset:16384
	v_or_b32_e32 v2, v2, v14
	v_xor_b32_e32 v27, v2, v15
	v_or_b32_e32 v2, 64, v12
	v_xor_b32_e32 v2, v2, v13
	v_or_b32_e32 v2, v2, v14
	v_or_b32_e32 v12, 0x60, v12
	v_xor_b32_e32 v28, v2, v15
	ds_read2st64_b64 v[2:5], v19 offset0:72 offset1:73
	ds_read2st64_b64 v[6:9], v19 offset0:74 offset1:75
	v_xor_b32_e32 v16, v12, v13
	ds_read_b64 v[12:13], v27 offset:16384
	s_addc_u32 s5, s5, s1
	s_add_i32 s1, s43, s33
	s_waitcnt lgkmcnt(2)
	v_mfma_f32_16x16x16_bf16 a[0:3], v[10:11], v[2:3], 0
	s_add_i32 s0, s35, -1
	s_add_i32 s39, s1, s44
	s_add_i32 s1, s45, s42
	;; [unrolled: 1-line block ×3, first 2 shown]
	s_ashr_i32 s1, s0, 31
	s_mul_i32 s2, s0, s31
	s_mul_hi_u32 s3, s0, s30
	s_add_i32 s2, s3, s2
	s_mul_i32 s1, s1, s30
	v_or_b32_e32 v14, v16, v14
	s_add_i32 s1, s2, s1
	s_lshl_b64 s[2:3], s[38:39], 2
	v_xor_b32_e32 v36, v14, v15
	ds_read_b64 v[14:15], v28 offset:16384
	ds_read_b64 v[16:17], v36 offset:16384
	s_waitcnt lgkmcnt(2)
	v_mfma_f32_16x16x16_bf16 a[0:3], v[12:13], v[4:5], a[0:3]
	s_add_u32 s10, s10, s2
	s_addc_u32 s11, s11, s3
	s_lshl_b64 s[2:3], s[36:37], 2
	s_mul_i32 s0, s0, s30
	s_add_u32 s10, s10, s2
	s_addc_u32 s11, s11, s3
	s_lshl_b64 s[0:1], s[0:1], 2
	s_waitcnt lgkmcnt(1)
	v_mfma_f32_16x16x16_bf16 a[0:3], v[14:15], v[6:7], a[0:3]
	s_add_u32 s0, s10, s0
	s_addc_u32 s1, s11, s1
	s_load_dword s12, s[0:1], 0x0
	s_waitcnt lgkmcnt(0)
	v_mfma_f32_16x16x16_bf16 a[0:3], v[16:17], v[8:9], a[0:3]
	s_and_b64 vcc, exec, s[22:23]
	s_cbranch_vccz .LBB675_28
; %bb.18:
	v_lshlrev_b32_e32 v20, 1, v35
	s_and_b64 vcc, exec, s[6:7]
	s_cbranch_vccz .LBB675_44
; %bb.19:
	v_cmp_gt_i32_e32 vcc, s27, v20
	v_mov_b32_e32 v6, 0
	v_mov_b32_e32 v2, 0
	;; [unrolled: 1-line block ×5, first 2 shown]
	s_and_saveexec_b64 s[0:1], vcc
	s_cbranch_execz .LBB675_21
; %bb.20:
	v_mad_i64_i32 v[2:3], s[2:3], s15, v20, 0
	v_lshl_add_u64 v[2:3], v[2:3], 1, s[4:5]
	v_lshlrev_b32_e32 v4, 1, v18
	v_mov_b32_e32 v5, 0
	v_lshl_add_u64 v[2:3], v[2:3], 0, v[4:5]
	global_load_dwordx4 v[2:5], v[2:3], off
.LBB675_21:
	s_or_b64 exec, exec, s[0:1]
	v_or_b32_e32 v21, 1, v20
	v_cmp_gt_i32_e64 s[0:1], s27, v21
	v_mov_b32_e32 v7, 0
	v_mov_b32_e32 v8, 0
	;; [unrolled: 1-line block ×3, first 2 shown]
	s_and_saveexec_b64 s[2:3], s[0:1]
	s_cbranch_execz .LBB675_23
; %bb.22:
	v_mad_i64_i32 v[6:7], s[16:17], s15, v21, 0
	v_lshl_add_u64 v[6:7], v[6:7], 1, s[4:5]
	v_lshlrev_b32_e32 v8, 1, v18
	v_mov_b32_e32 v9, 0
	v_lshl_add_u64 v[6:7], v[6:7], 0, v[8:9]
	global_load_dwordx4 v[6:9], v[6:7], off
.LBB675_23:
	s_or_b64 exec, exec, s[2:3]
	v_mov_b32_e32 v17, 0
	v_mov_b32_e32 v10, 0
	;; [unrolled: 1-line block ×5, first 2 shown]
	s_and_saveexec_b64 s[2:3], vcc
	s_cbranch_execz .LBB675_25
; %bb.24:
	v_mad_i64_i32 v[10:11], s[16:17], s15, v20, 0
	v_lshl_add_u64 v[10:11], v[10:11], 1, s[4:5]
	v_lshlrev_b32_e32 v12, 1, v18
	v_mov_b32_e32 v13, 0
	v_lshl_add_u64 v[10:11], v[10:11], 0, v[12:13]
	global_load_dwordx4 v[10:13], v[10:11], off offset:128
.LBB675_25:
	s_or_b64 exec, exec, s[2:3]
	v_mov_b32_e32 v16, 0
	v_mov_b32_e32 v15, 0
	;; [unrolled: 1-line block ×3, first 2 shown]
	s_and_saveexec_b64 s[2:3], s[0:1]
	s_cbranch_execz .LBB675_27
; %bb.26:
	v_mad_i64_i32 v[14:15], s[0:1], s15, v21, 0
	v_lshl_add_u64 v[14:15], v[14:15], 1, s[4:5]
	v_lshlrev_b32_e32 v16, 1, v18
	v_mov_b32_e32 v17, 0
	v_lshl_add_u64 v[14:15], v[14:15], 0, v[16:17]
	global_load_dwordx4 v[14:17], v[14:15], off offset:128
.LBB675_27:
	s_or_b64 exec, exec, s[2:3]
	s_branch .LBB675_46
.LBB675_28:
                                        ; implicit-def: $vgpr5
                                        ; implicit-def: $vgpr9
                                        ; implicit-def: $vgpr13
                                        ; implicit-def: $vgpr17
	v_lshrrev_b32_e32 v37, 2, v50
	s_branch .LBB675_47
.LBB675_29:
                                        ; implicit-def: $vgpr12
                                        ; implicit-def: $vgpr13
                                        ; implicit-def: $sgpr22
	v_lshl_or_b32 v10, v58, 9, v10
.LBB675_30:
	v_or_b32_e32 v12, 0x100, v10
	s_movk_i32 s22, 0x4000
	v_mov_b32_e32 v13, v10
.LBB675_31:
	s_mul_i32 s16, s34, s14
	s_ashr_i32 s56, s51, 31
	s_mul_hi_i32 s3, s34, s14
	s_add_u32 s16, s16, s51
	s_addc_u32 s17, s3, s56
	s_lshl_b64 s[16:17], s[16:17], 8
	s_add_u32 s20, s4, s16
	s_addc_u32 s3, s5, s17
	s_and_b32 s21, s3, 0xffff
	s_movk_i32 s57, 0x80
	buffer_load_dwordx4 v[14:17], v13, s[20:23], 0 offen
	buffer_load_dwordx4 v[18:21], v13, s[20:23], s57 offen
	;; [unrolled: 1-line block ×4, first 2 shown]
	v_and_b32_e32 v12, 6, v0
	v_lshlrev_b32_e32 v30, 2, v53
	v_lshlrev_b32_e32 v31, 3, v53
	v_xor_b32_e32 v34, v58, v12
	v_and_b32_e32 v13, 1, v0
	v_lshl_or_b32 v31, v56, 5, v31
	v_xor_b32_e32 v35, v56, v30
	v_lshlrev_b32_e32 v34, 2, v34
	v_or_b32_e32 v64, 0x9000, v31
	v_or_b32_e32 v65, 0x9800, v31
	v_lshlrev_b32_e32 v31, 1, v35
	v_xor_b32_e32 v35, 0x440, v34
	v_cmp_eq_u32_e32 vcc, 0, v13
	s_add_i32 s3, s43, s33
	s_add_i32 s16, s45, s42
	v_cndmask_b32_e32 v13, v35, v34, vcc
	s_add_i32 s39, s3, s44
	v_lshl_or_b32 v12, v12, 10, v13
	s_add_i32 s37, s16, s46
	s_lshl_b64 s[16:17], s[38:39], 2
	s_mov_b32 s58, 0x1000504
	v_lshlrev_b32_e32 v32, 8, v53
	s_mov_b32 s22, 0x8000
	v_xor_b32_e32 v30, v57, v30
	v_xor_b32_e32 v13, 8, v12
	s_add_u32 s3, s10, s16
	s_mov_b32 s59, 0x3020706
	v_or_b32_e32 v33, v1, v53
	v_lshlrev_b32_e32 v30, 1, v30
	v_or3_b32 v66, v31, v32, s22
	v_xor_b32_e32 v31, 24, v12
	v_xor_b32_e32 v34, 40, v12
	;; [unrolled: 1-line block ×3, first 2 shown]
	v_add_u32_e32 v13, 0x80, v13
	s_addc_u32 s20, s11, s17
	s_lshl_b64 s[16:17], s[36:37], 2
	v_lshlrev_b32_e32 v33, 3, v33
	v_or3_b32 v67, v30, v32, s22
	v_xor_b32_e32 v30, 16, v12
	v_xor_b32_e32 v32, 32, v12
	;; [unrolled: 1-line block ×3, first 2 shown]
	v_add_u32_e32 v31, 0x80, v31
	v_add_u32_e32 v34, 0x80, v34
	;; [unrolled: 1-line block ×3, first 2 shown]
	s_add_u32 s16, s3, s16
	s_movk_i32 s3, 0xf8
	s_addc_u32 s17, s20, s17
	v_ashrrev_i32_e32 v43, 31, v42
	s_lshl_b32 s26, s15, 7
	s_mov_b32 s60, 0
	s_waitcnt vmcnt(1)
	v_perm_b32 v37, v14, v22, s58
	s_waitcnt vmcnt(0)
	v_perm_b32 v38, v18, v26, s58
	v_perm_b32 v14, v14, v22, s59
	v_perm_b32 v18, v18, v26, s59
	v_perm_b32 v22, v15, v23, s58
	v_perm_b32 v26, v19, v27, s58
	v_perm_b32 v15, v15, v23, s59
	v_perm_b32 v19, v19, v27, s59
	v_perm_b32 v23, v16, v24, s58
	v_perm_b32 v27, v20, v28, s58
	v_perm_b32 v16, v16, v24, s59
	v_perm_b32 v20, v20, v28, s59
	v_perm_b32 v24, v17, v25, s58
	v_perm_b32 v28, v21, v29, s58
	v_perm_b32 v17, v17, v25, s59
	v_perm_b32 v21, v21, v29, s59
	ds_write2st64_b32 v12, v37, v38 offset1:32
	ds_write2st64_b32 v13, v14, v18 offset1:32
	ds_write2st64_b32 v30, v22, v26 offset0:1 offset1:33
	ds_write2st64_b32 v31, v15, v19 offset0:1 offset1:33
	;; [unrolled: 1-line block ×6, first 2 shown]
	v_lshrrev_b32_e32 v13, 5, v50
	v_and_or_b32 v13, v33, s3, v13
	v_lshlrev_b32_e32 v13, 4, v13
	v_lshlrev_b32_e32 v20, 11, v51
	v_and_b32_e32 v14, 0x78, v33
	v_or_b32_e32 v17, 32, v13
	v_and_b32_e32 v12, 0x1000, v20
	v_lshrrev_b32_e32 v21, 1, v0
	v_xor_b32_e32 v17, v17, v14
	v_and_b32_e32 v16, 8, v21
	v_or_b32_e32 v17, v17, v12
	v_xor_b32_e32 v15, v13, v14
	v_xor_b32_e32 v70, v17, v16
	v_or_b32_e32 v17, 64, v13
	v_or_b32_e32 v13, 0x60, v13
	v_xor_b32_e32 v17, v17, v14
	v_xor_b32_e32 v13, v13, v14
	v_or_b32_e32 v15, v15, v12
	v_or_b32_e32 v17, v17, v12
	;; [unrolled: 1-line block ×3, first 2 shown]
	v_xor_b32_e32 v68, v15, v16
	v_xor_b32_e32 v71, v17, v16
	;; [unrolled: 1-line block ×3, first 2 shown]
	v_lshrrev_b32_e32 v16, 4, v0
	v_lshlrev_b32_e32 v17, 1, v53
	s_ashr_i32 s3, s2, 31
	v_or_b32_e32 v18, 1, v17
	v_xor_b32_e32 v17, v16, v17
	s_lshl_b64 s[20:21], s[2:3], 8
	v_xor_b32_e32 v18, v18, v16
	v_lshlrev_b32_e32 v17, 3, v17
	v_lshlrev_b32_e32 v16, 8, v16
	v_lshlrev_b64 v[12:13], 1, v[42:43]
	s_add_u32 s20, s18, s20
	v_or3_b32 v43, v17, v16, s22
	v_lshlrev_b32_e32 v17, 3, v18
	s_addc_u32 s21, s19, s21
	v_or3_b32 v74, v17, v16, s22
	v_mov_b32_e32 v17, 0
	v_lshl_add_u64 v[18:19], s[20:21], 0, v[16:17]
	v_lshlrev_b32_e32 v16, 4, v53
	s_movk_i32 s3, 0xff
	v_lshlrev_b32_e32 v25, 3, v51
	v_and_b32_e32 v21, 24, v21
	v_lshl_add_u64 v[44:45], v[18:19], 0, v[16:17]
	v_and_b32_e32 v18, 8, v0
	v_cmp_lt_u32_e32 vcc, s3, v0
	v_xor_b32_e32 v26, v25, v21
	v_or_b32_e32 v27, 0x440, v26
	v_cndmask_b32_e64 v24, 0, 1, vcc
	v_cmp_eq_u32_e32 vcc, 0, v18
	v_and_b32_e32 v16, 7, v0
	v_lshlrev_b32_e32 v19, 3, v16
	v_cndmask_b32_e32 v18, v27, v26, vcc
	v_lshlrev_b32_e32 v16, 7, v16
	v_or_b32_e32 v18, v18, v20
	v_xad_u32 v75, v18, v19, v16
	v_or_b32_e32 v18, 32, v21
	v_xor_b32_e32 v18, v25, v18
	v_or_b32_e32 v26, 0x440, v18
	v_cndmask_b32_e32 v18, v26, v18, vcc
	v_or_b32_e32 v18, v18, v20
	v_xad_u32 v76, v18, v19, v16
	v_or_b32_e32 v18, 64, v21
	v_xor_b32_e32 v18, v25, v18
	v_xor_b32_e32 v26, 0x440, v18
	v_cndmask_b32_e32 v18, v26, v18, vcc
	v_or_b32_e32 v18, v18, v20
	v_xad_u32 v77, v18, v19, v16
	v_or_b32_e32 v18, 0x60, v21
	v_xor_b32_e32 v18, v25, v18
	v_xor_b32_e32 v21, 0x440, v18
	v_and_b32_e32 v15, 0x78, v54
	v_cndmask_b32_e32 v18, v21, v18, vcc
	v_lshl_or_b32 v15, v52, 7, v15
	v_or_b32_e32 v18, v18, v20
	v_or_b32_e32 v69, 0x9000, v15
	;; [unrolled: 1-line block ×3, first 2 shown]
	v_lshl_add_u64 v[14:15], s[8:9], 0, v[12:13]
	v_lshl_add_u64 v[12:13], s[28:29], 0, v[12:13]
	v_lshlrev_b32_e32 v22, 1, v11
	v_add_lshl_u32 v11, v11, s15, 1
	v_or_b32_e32 v23, 0x100, v10
	v_lshlrev_b32_e32 v24, 13, v24
	v_xad_u32 v78, v18, v19, v16
	v_lshlrev_b32_e32 v16, 8, v56
	v_cndmask_b32_e64 v79, v22, v10, s[0:1]
	v_cndmask_b32_e64 v80, v11, v23, s[0:1]
	v_lshl_add_u64 v[46:47], v[14:15], 0, v[16:17]
	v_lshl_add_u64 v[48:49], v[12:13], 0, v[16:17]
	s_mov_b32 s3, 0x7060302
	s_movk_i32 s22, 0x4000
	v_add_u32_e32 v81, v24, v75
	v_add_u32_e32 v82, v24, v76
	;; [unrolled: 1-line block ×4, first 2 shown]
	s_waitcnt lgkmcnt(0)
	s_barrier
.LBB675_32:                             ; =>This Inner Loop Header: Depth=1
	s_add_i32 s37, s60, 1
	s_cmp_lt_i32 s37, s48
	s_mov_b64 s[24:25], 0
	s_cselect_b64 s[40:41], -1, 0
	s_cmp_ge_i32 s37, s48
	s_mov_b64 s[20:21], 0
	s_cbranch_scc1 .LBB675_34
; %bb.33:                               ;   in Loop: Header=BB675_32 Depth=1
	s_add_i32 s0, s55, 64
	s_ashr_i32 s1, s0, 31
	s_add_u32 s0, s54, s0
	s_addc_u32 s1, s53, s1
	s_lshl_b64 s[0:1], s[0:1], 8
	s_add_u32 s20, s6, s0
	s_addc_u32 s21, s7, s1
.LBB675_34:                             ;   in Loop: Header=BB675_32 Depth=1
	v_cndmask_b32_e64 v10, 0, 1, s[40:41]
	v_cmp_ne_u32_e64 s[0:1], 1, v10
	s_andn2_b64 vcc, exec, s[40:41]
	s_cbranch_vccnz .LBB675_36
; %bb.35:                               ;   in Loop: Header=BB675_32 Depth=1
	s_add_i32 s24, s55, 64
	s_mul_hi_i32 s25, s24, s14
	s_mul_i32 s24, s24, s14
	s_add_u32 s24, s24, s51
	s_addc_u32 s25, s25, s56
	s_lshl_b64 s[24:25], s[24:25], 8
	s_add_u32 s24, s4, s24
	s_addc_u32 s25, s5, s25
.LBB675_36:                             ;   in Loop: Header=BB675_32 Depth=1
	v_perm_b32 v11, v9, v8, s3
	v_perm_b32 v10, v7, v6, s3
	;; [unrolled: 1-line block ×4, first 2 shown]
	ds_write_b64 v64, v[10:11]
	ds_write_b64 v65, v[12:13]
	;; [unrolled: 1-line block ×4, first 2 shown]
	s_waitcnt lgkmcnt(0)
	s_barrier
	ds_read_b64 v[18:19], v68 offset:16384
	ds_read_b64 v[20:21], v70 offset:16384
	ds_read2st64_b64 v[10:13], v69 offset1:1
	s_waitcnt lgkmcnt(0)
	v_mfma_f32_16x16x16_bf16 a[0:3], v[18:19], v[10:11], 0
	ds_read2st64_b64 v[14:17], v69 offset0:2 offset1:3
	ds_read_b64 v[22:23], v71 offset:16384
	ds_read_b64 v[10:11], v72 offset:16384
	s_add_i32 s27, s55, 63
	v_mfma_f32_16x16x16_bf16 a[0:3], v[20:21], v[12:13], a[0:3]
	s_ashr_i32 s39, s27, 31
	s_mul_i32 s40, s27, s31
	s_mul_hi_u32 s41, s27, s30
	s_waitcnt lgkmcnt(1)
	v_mfma_f32_16x16x16_bf16 a[0:3], v[22:23], v[14:15], a[0:3]
	s_add_i32 s40, s41, s40
	s_mul_i32 s39, s39, s30
	s_add_i32 s41, s40, s39
	s_mul_i32 s40, s27, s30
	s_waitcnt lgkmcnt(0)
	v_mfma_f32_16x16x16_bf16 a[0:3], v[10:11], v[16:17], a[0:3]
	s_lshl_b64 s[40:41], s[40:41], 2
	s_add_u32 s40, s16, s40
	s_addc_u32 s41, s17, s41
	s_and_b64 vcc, exec, s[0:1]
	v_mov_b32_e32 v87, 0
	v_mov_b32_e32 v86, 0
	;; [unrolled: 1-line block ×19, first 2 shown]
	s_cbranch_vccnz .LBB675_38
; %bb.37:                               ;   in Loop: Header=BB675_32 Depth=1
	s_and_b32 s21, s21, 0xffff
	buffer_load_dwordx4 v[22:25], v60, s[20:23], 0 offen
	buffer_load_dwordx4 v[18:21], v60, s[20:23], s57 offen
	;; [unrolled: 1-line block ×4, first 2 shown]
	v_mov_b32_e32 v86, v62
	v_mov_b32_e32 v85, v63
.LBB675_38:                             ;   in Loop: Header=BB675_32 Depth=1
	s_waitcnt vmcnt(3)
	v_add_u32_e32 v30, s55, v56
	s_waitcnt vmcnt(1)
	v_ashrrev_i32_e32 v26, 31, v30
	v_mul_lo_u32 v28, v26, s30
	v_mul_lo_u32 v29, v30, s31
	v_mad_u64_u32 v[26:27], s[20:21], v30, s30, 0
	v_add3_u32 v27, v27, v29, v28
	v_lshl_add_u64 v[26:27], v[26:27], 2, s[16:17]
	global_load_dword v89, v[26:27], off
	v_add_u32_e32 v26, 1, v30
	v_ashrrev_i32_e32 v27, 31, v26
	v_mul_lo_u32 v28, v27, s30
	v_mul_lo_u32 v29, v26, s31
	v_mad_u64_u32 v[26:27], s[20:21], v26, s30, 0
	v_add3_u32 v27, v27, v29, v28
	v_add_u32_e32 v28, 2, v30
	v_ashrrev_i32_e32 v29, 31, v28
	v_mul_lo_u32 v31, v29, s30
	v_mul_lo_u32 v32, v28, s31
	v_mad_u64_u32 v[28:29], s[20:21], v28, s30, 0
	v_add_u32_e32 v30, 3, v30
	v_add3_u32 v29, v29, v32, v31
	v_ashrrev_i32_e32 v31, 31, v30
	v_mul_lo_u32 v34, v31, s30
	v_mul_lo_u32 v35, v30, s31
	v_mad_u64_u32 v[30:31], s[20:21], v30, s30, 0
	s_ashr_i32 s21, s55, 31
	s_add_u32 s20, s54, s55
	s_addc_u32 s21, s53, s21
	s_lshl_b64 s[62:63], s[20:21], 8
	v_lshl_add_u64 v[26:27], v[26:27], 2, s[16:17]
	v_lshl_add_u64 v[32:33], v[46:47], 0, s[62:63]
	v_add3_u32 v31, v31, v35, v34
	v_lshl_add_u64 v[28:29], v[28:29], 2, s[16:17]
	global_load_ushort v92, v[32:33], off
	global_load_ushort v93, v[32:33], off offset:256
	global_load_ushort v94, v[32:33], off offset:512
	;; [unrolled: 1-line block ×3, first 2 shown]
	v_lshl_add_u64 v[30:31], v[30:31], 2, s[16:17]
	global_load_dword v96, v[26:27], off
	global_load_dword v97, v[28:29], off
	;; [unrolled: 1-line block ×3, first 2 shown]
	s_load_dword s20, s[40:41], 0x0
	ds_read_b64 v[28:29], v68 offset:24576
	ds_read2st64_b64 v[30:33], v73 offset1:1
	ds_read2st64_b64 v[34:37], v73 offset0:2 offset1:3
	ds_read_b64 v[38:39], v70 offset:24576
	ds_read_b64 v[40:41], v71 offset:24576
	;; [unrolled: 1-line block ×3, first 2 shown]
	s_waitcnt lgkmcnt(0)
	v_mfma_f32_16x16x16_bf16 a[0:3], v[28:29], v[30:31], a[0:3]
	v_mov_b32_e32 v88, 0
	v_mov_b32_e32 v26, 0
	;; [unrolled: 1-line block ×3, first 2 shown]
	v_mfma_f32_16x16x16_bf16 a[0:3], v[38:39], v[32:33], a[0:3]
	v_lshl_add_u64 v[38:39], v[48:49], 0, s[62:63]
	v_mov_b32_e32 v28, 0
	v_mov_b32_e32 v29, 0
	v_mfma_f32_16x16x16_bf16 a[0:3], v[40:41], v[34:35], a[0:3]
	v_mov_b32_e32 v30, 0
	v_mov_b32_e32 v31, 0
	;; [unrolled: 1-line block ×3, first 2 shown]
	v_mfma_f32_16x16x16_bf16 a[0:3], v[90:91], v[36:37], a[0:3]
	v_mov_b32_e32 v33, 0
	v_mov_b32_e32 v34, 0
	s_and_b64 vcc, exec, s[0:1]
	s_waitcnt vmcnt(7)
	v_sub_f32_e32 v35, s20, v89
	s_nop 1
	v_accvgpr_read_b32 v41, a1
	v_accvgpr_read_b32 v40, a0
	;; [unrolled: 1-line block ×4, first 2 shown]
	s_waitcnt vmcnt(6)
	v_lshlrev_b32_e32 v90, 16, v92
	s_waitcnt vmcnt(5)
	v_lshlrev_b32_e32 v91, 16, v93
	;; [unrolled: 2-line block ×3, first 2 shown]
	v_exp_f32_e32 v94, v35
	s_waitcnt vmcnt(2)
	v_sub_f32_e32 v35, s20, v96
	s_waitcnt vmcnt(1)
	v_sub_f32_e32 v89, s20, v97
	;; [unrolled: 2-line block ×3, first 2 shown]
	v_lshlrev_b32_e32 v93, 16, v95
	v_pk_add_f32 v[40:41], v[90:91], v[40:41] neg_lo:[0,1] neg_hi:[0,1]
	v_exp_f32_e32 v95, v35
	v_exp_f32_e32 v90, v89
	;; [unrolled: 1-line block ×3, first 2 shown]
	v_pk_add_f32 v[36:37], v[92:93], v[36:37] neg_lo:[0,1] neg_hi:[0,1]
	global_store_short_d16_hi v[38:39], v40, off
	global_store_short_d16_hi v[38:39], v41, off offset:256
	global_store_short_d16_hi v[38:39], v36, off offset:512
	;; [unrolled: 1-line block ×3, first 2 shown]
	v_pk_mul_f32 v[38:39], v[94:95], v[40:41]
	v_pk_mul_f32 v[36:37], v[90:91], v[36:37]
	v_perm_b32 v38, v39, v38, s3
	v_perm_b32 v39, v37, v36, s3
	ds_write_b64 v65, v[38:39]
	v_mov_b32_e32 v35, 0
	v_mov_b32_e32 v36, 0
	;; [unrolled: 1-line block ×7, first 2 shown]
	s_cbranch_vccnz .LBB675_40
; %bb.39:                               ;   in Loop: Header=BB675_32 Depth=1
	s_and_b32 s25, s25, 0xffff
	s_mov_b32 s27, s23
	buffer_load_dwordx4 v[38:41], v79, s[24:27], 0 offen
	buffer_load_dwordx4 v[30:33], v79, s[24:27], s57 offen
	;; [unrolled: 1-line block ×4, first 2 shown]
	v_mov_b32_e32 v87, v59
	v_mov_b32_e32 v88, v58
.LBB675_40:                             ;   in Loop: Header=BB675_32 Depth=1
	s_waitcnt lgkmcnt(0)
	s_barrier
	ds_read_b64 v[98:99], v81
	ds_read2st64_b64 v[90:93], v73 offset1:1
	ds_read2st64_b64 v[94:97], v73 offset0:2 offset1:3
	ds_read_b64 v[100:101], v82
	ds_read_b64 v[102:103], v83
	;; [unrolled: 1-line block ×3, first 2 shown]
	s_waitcnt lgkmcnt(4)
	v_mfma_f32_16x16x16_bf16 a[0:3], v[98:99], v[90:91], 0
	ds_read_b64 v[98:99], v75 offset:8192
	ds_read_b64 v[106:107], v76 offset:8192
	s_add_i32 s21, s52, s60
	s_mul_hi_i32 s25, s21, s13
	s_waitcnt lgkmcnt(1)
	v_mfma_f32_16x16x16_bf16 a[4:7], v[98:99], v[90:91], 0
	s_mul_i32 s21, s21, s13
	s_add_u32 s24, s21, s47
	s_addc_u32 s25, s25, s49
	v_mfma_f32_16x16x16_bf16 a[0:3], v[100:101], v[92:93], a[0:3]
	ds_read_b64 v[98:99], v43
	ds_read_b64 v[100:101], v74
	ds_read_b64 v[90:91], v77 offset:8192
	s_lshl_b64 s[24:25], s[24:25], 15
	v_mfma_f32_16x16x16_bf16 a[0:3], v[102:103], v[94:95], a[0:3]
	ds_read_b64 v[102:103], v78 offset:8192
	s_and_b64 vcc, exec, s[0:1]
	s_waitcnt lgkmcnt(4)
	v_mfma_f32_16x16x16_bf16 a[4:7], v[106:107], v[92:93], a[4:7]
	s_waitcnt lgkmcnt(1)
	v_mfma_f32_16x16x16_bf16 a[4:7], v[90:91], v[94:95], a[4:7]
	v_lshl_add_u64 v[90:91], v[44:45], 0, s[24:25]
	global_store_dwordx4 v[90:91], v[98:101], off
	v_mfma_f32_16x16x16_bf16 a[0:3], v[104:105], v[96:97], a[0:3]
	s_waitcnt lgkmcnt(0)
	v_mfma_f32_16x16x16_bf16 a[4:7], v[102:103], v[96:97], a[4:7]
	s_cbranch_vccnz .LBB675_42
; %bb.41:                               ;   in Loop: Header=BB675_32 Depth=1
	v_lshrrev_b32_e32 v89, 3, v87
	v_and_b32_e32 v89, 6, v89
	v_xor_b32_e32 v88, v89, v88
	v_lshlrev_b32_e32 v88, 2, v88
	v_and_b32_e32 v87, 8, v87
	v_xor_b32_e32 v90, 0x440, v88
	v_cmp_eq_u32_e32 vcc, 0, v87
	s_barrier
	s_nop 0
	v_cndmask_b32_e32 v87, v90, v88, vcc
	v_lshl_or_b32 v87, v89, 10, v87
	s_waitcnt vmcnt(2)
	v_perm_b32 v88, v38, v34, s58
	s_waitcnt vmcnt(1)
	v_perm_b32 v89, v30, v26, s58
	ds_write2st64_b32 v87, v88, v89 offset1:32
	v_xor_b32_e32 v88, 8, v87
	v_perm_b32 v34, v38, v34, s59
	v_perm_b32 v26, v30, v26, s59
	v_add_u32_e32 v30, 0x80, v88
	ds_write2st64_b32 v30, v34, v26 offset1:32
	v_xor_b32_e32 v26, 16, v87
	v_perm_b32 v30, v39, v35, s58
	v_perm_b32 v34, v31, v27, s58
	ds_write2st64_b32 v26, v30, v34 offset0:1 offset1:33
	v_xor_b32_e32 v26, 24, v87
	v_perm_b32 v30, v39, v35, s59
	v_perm_b32 v27, v31, v27, s59
	v_add_u32_e32 v26, 0x80, v26
	ds_write2st64_b32 v26, v30, v27 offset0:1 offset1:33
	v_xor_b32_e32 v26, 32, v87
	v_perm_b32 v27, v40, v36, s58
	v_perm_b32 v30, v32, v28, s58
	ds_write2st64_b32 v26, v27, v30 offset0:2 offset1:34
	v_xor_b32_e32 v26, 40, v87
	v_perm_b32 v27, v40, v36, s59
	v_perm_b32 v28, v32, v28, s59
	v_add_u32_e32 v26, 0x80, v26
	ds_write2st64_b32 v26, v27, v28 offset0:2 offset1:34
	;; [unrolled: 9-line block ×3, first 2 shown]
	ds_write_b64 v86, v[22:23] offset:16384
	v_xor_b32_e32 v22, 8, v86
	ds_write_b64 v22, v[24:25] offset:16384
	ds_write_b64 v86, v[18:19] offset:24576
	;; [unrolled: 1-line block ×4, first 2 shown]
	v_xor_b32_e32 v14, 8, v85
	ds_write_b64 v14, v[16:17] offset:16384
	ds_write_b64 v85, v[10:11] offset:24576
	;; [unrolled: 1-line block ×3, first 2 shown]
.LBB675_42:                             ;   in Loop: Header=BB675_32 Depth=1
	v_exp_f32_e32 v12, s20
	s_nop 2
	v_accvgpr_read_b32 v11, a1
	v_accvgpr_read_b32 v10, a0
	s_add_i32 s55, s55, 64
	v_fma_f32 v7, v7, v12, v11
	v_accvgpr_read_b32 v11, a3
	v_fmac_f32_e32 v11, v9, v12
	v_accvgpr_read_b32 v9, a4
	v_fma_f32 v6, v6, v12, v10
	v_accvgpr_read_b32 v10, a2
	v_fma_f32 v2, v2, v12, v9
	;; [unrolled: 2-line block ×3, first 2 shown]
	v_fma_f32 v3, v3, v12, v9
	v_accvgpr_read_b32 v9, a6
	v_accvgpr_read_b32 v10, a7
	v_fma_f32 v4, v4, v12, v9
	s_cmp_eq_u32 s48, s37
	v_fmac_f32_e32 v10, v5, v12
	s_cbranch_scc1 .LBB675_4
; %bb.43:                               ;   in Loop: Header=BB675_32 Depth=1
	s_mov_b32 s60, s37
	v_mov_b32_e32 v9, v11
	v_mov_b32_e32 v5, v10
	s_branch .LBB675_32
.LBB675_44:
                                        ; implicit-def: $vgpr5
                                        ; implicit-def: $vgpr9
                                        ; implicit-def: $vgpr13
                                        ; implicit-def: $vgpr17
	s_cbranch_execz .LBB675_46
; %bb.45:
	s_waitcnt vmcnt(0)
	v_mad_u64_u32 v[2:3], s[0:1], v20, s15, v[18:19]
	v_lshlrev_b32_e32 v20, 1, v2
	s_lshl_b32 s2, s15, 7
	s_and_b32 s1, s5, 0xffff
	s_mov_b32 s3, 0x20000
	s_mov_b32 s0, s4
	v_add_lshl_u32 v21, v2, s15, 1
	s_movk_i32 s13, 0x80
	buffer_load_dwordx4 v[2:5], v20, s[0:3], 0 offen
	buffer_load_dwordx4 v[10:13], v20, s[0:3], s13 offen
	;; [unrolled: 1-line block ×4, first 2 shown]
.LBB675_46:
	v_lshrrev_b32_e32 v37, 2, v50
	s_cbranch_execnz .LBB675_59
.LBB675_47:
	s_and_b64 vcc, exec, s[6:7]
	s_cbranch_vccz .LBB675_57
; %bb.48:
	s_waitcnt vmcnt(0)
	v_lshlrev_b32_e32 v7, 1, v35
	v_cmp_gt_i32_e32 vcc, s27, v7
	v_mov_b32_e32 v6, 0
	v_lshlrev_b32_e32 v14, 9, v35
	v_mov_b32_e32 v2, 0
	v_mov_b32_e32 v3, 0
	;; [unrolled: 1-line block ×4, first 2 shown]
	s_and_saveexec_b64 s[0:1], vcc
	s_cbranch_execz .LBB675_50
; %bb.49:
	v_mov_b32_e32 v15, 0
	v_lshl_add_u64 v[2:3], s[4:5], 0, v[14:15]
	v_lshlrev_b32_e32 v4, 1, v18
	v_mov_b32_e32 v5, v15
	v_lshl_add_u64 v[2:3], v[2:3], 0, v[4:5]
	global_load_dwordx4 v[2:5], v[2:3], off
.LBB675_50:
	s_or_b64 exec, exec, s[0:1]
	v_or_b32_e32 v7, 1, v7
	v_cmp_gt_i32_e64 s[0:1], s27, v7
	v_lshlrev_b32_e32 v20, 8, v7
	v_mov_b32_e32 v7, 0
	v_mov_b32_e32 v8, 0
	;; [unrolled: 1-line block ×3, first 2 shown]
	s_and_saveexec_b64 s[2:3], s[0:1]
	s_cbranch_execz .LBB675_52
; %bb.51:
	v_mov_b32_e32 v21, 0
	v_lshl_add_u64 v[6:7], s[4:5], 0, v[20:21]
	v_lshlrev_b32_e32 v8, 1, v18
	v_mov_b32_e32 v9, v21
	v_lshl_add_u64 v[6:7], v[6:7], 0, v[8:9]
	global_load_dwordx4 v[6:9], v[6:7], off
.LBB675_52:
	s_or_b64 exec, exec, s[2:3]
	v_mov_b32_e32 v17, 0
	v_mov_b32_e32 v10, 0
	;; [unrolled: 1-line block ×5, first 2 shown]
	s_and_saveexec_b64 s[2:3], vcc
	s_cbranch_execz .LBB675_54
; %bb.53:
	v_mov_b32_e32 v15, 0
	v_lshl_add_u64 v[10:11], s[4:5], 0, v[14:15]
	v_lshlrev_b32_e32 v14, 1, v18
	v_lshl_add_u64 v[10:11], v[10:11], 0, v[14:15]
	global_load_dwordx4 v[10:13], v[10:11], off offset:128
.LBB675_54:
	s_or_b64 exec, exec, s[2:3]
	v_mov_b32_e32 v16, 0
	v_mov_b32_e32 v15, 0
	;; [unrolled: 1-line block ×3, first 2 shown]
	s_and_saveexec_b64 s[2:3], s[0:1]
	s_cbranch_execz .LBB675_56
; %bb.55:
	v_mov_b32_e32 v21, 0
	v_lshl_add_u64 v[14:15], s[4:5], 0, v[20:21]
	v_lshlrev_b32_e32 v20, 1, v18
	v_lshl_add_u64 v[14:15], v[14:15], 0, v[20:21]
	global_load_dwordx4 v[14:17], v[14:15], off offset:128
.LBB675_56:
	s_or_b64 exec, exec, s[2:3]
	s_branch .LBB675_59
.LBB675_57:
                                        ; implicit-def: $vgpr5
                                        ; implicit-def: $vgpr9
                                        ; implicit-def: $vgpr13
                                        ; implicit-def: $vgpr17
	s_cbranch_execz .LBB675_59
; %bb.58:
	s_waitcnt vmcnt(0)
	v_lshlrev_b32_e32 v2, 1, v18
	v_lshl_or_b32 v18, v35, 9, v2
	s_and_b32 s5, s5, 0xffff
	s_mov_b32 s7, 0x20000
	s_movk_i32 s6, 0x4000
	s_movk_i32 s0, 0x80
	buffer_load_dwordx4 v[2:5], v18, s[4:7], 0 offen
	buffer_load_dwordx4 v[6:9], v18, s[4:7], 0 offen offset:256
	buffer_load_dwordx4 v[10:13], v18, s[4:7], s0 offen
	buffer_load_dwordx4 v[14:17], v18, s[4:7], s0 offen offset:256
.LBB675_59:
	ds_read2st64_b64 v[22:25], v19 offset0:76 offset1:77
	ds_read2st64_b64 v[18:21], v19 offset0:78 offset1:79
	ds_read_b64 v[32:33], v26 offset:24576
	ds_read_b64 v[30:31], v27 offset:24576
	;; [unrolled: 1-line block ×4, first 2 shown]
	v_and_b32_e32 v36, 6, v0
	v_xor_b32_e32 v35, v35, v36
	v_lshlrev_b32_e32 v35, 2, v35
	v_and_b32_e32 v0, 1, v0
	v_xor_b32_e32 v38, 0x440, v35
	v_cmp_eq_u32_e32 vcc, 0, v0
	s_mov_b32 s0, 0x1000504
	s_mov_b32 s1, 0x3020706
	v_cndmask_b32_e32 v0, v38, v35, vcc
	v_lshl_or_b32 v0, v36, 10, v0
	s_waitcnt vmcnt(0)
	v_perm_b32 v35, v2, v6, s0
	v_perm_b32 v36, v10, v14, s0
	ds_write2st64_b32 v0, v35, v36 offset1:32
	v_xor_b32_e32 v35, 8, v0
	v_perm_b32 v2, v2, v6, s1
	v_perm_b32 v6, v10, v14, s1
	v_add_u32_e32 v10, 0x80, v35
	ds_write2st64_b32 v10, v2, v6 offset1:32
	v_xor_b32_e32 v2, 16, v0
	v_perm_b32 v6, v3, v7, s0
	v_perm_b32 v10, v11, v15, s0
	ds_write2st64_b32 v2, v6, v10 offset0:1 offset1:33
	v_xor_b32_e32 v2, 24, v0
	v_perm_b32 v3, v3, v7, s1
	v_perm_b32 v6, v11, v15, s1
	v_add_u32_e32 v2, 0x80, v2
	ds_write2st64_b32 v2, v3, v6 offset0:1 offset1:33
	v_xor_b32_e32 v2, 32, v0
	v_perm_b32 v3, v4, v8, s0
	v_perm_b32 v6, v12, v16, s0
	ds_write2st64_b32 v2, v3, v6 offset0:2 offset1:34
	v_xor_b32_e32 v2, 40, v0
	v_perm_b32 v3, v4, v8, s1
	v_perm_b32 v4, v12, v16, s1
	v_add_u32_e32 v2, 0x80, v2
	ds_write2st64_b32 v2, v3, v4 offset0:2 offset1:34
	v_xor_b32_e32 v2, 48, v0
	v_perm_b32 v3, v5, v9, s0
	v_perm_b32 v4, v13, v17, s0
	v_xor_b32_e32 v0, 56, v0
	v_and_or_b32 v8, v37, 12, v1
	ds_write2st64_b32 v2, v3, v4 offset0:3 offset1:35
	v_perm_b32 v2, v5, v9, s1
	v_perm_b32 v3, v13, v17, s1
	v_add_u32_e32 v0, 0x80, v0
	v_cmp_gt_i32_e64 s[2:3], s27, v8
	v_mov_b32_e32 v10, 0
	v_mov_b32_e32 v15, 0
	ds_write2st64_b32 v0, v2, v3 offset0:3 offset1:35
	s_and_saveexec_b64 s[0:1], s[2:3]
	s_cbranch_execz .LBB675_61
; %bb.60:
	v_add_u32_e32 v0, s26, v8
	v_ashrrev_i32_e32 v1, 31, v0
	v_mul_lo_u32 v2, v1, s30
	v_mul_lo_u32 v3, v0, s31
	v_mad_u64_u32 v[0:1], s[4:5], v0, s30, 0
	v_add3_u32 v1, v1, v3, v2
	v_lshl_add_u64 v[0:1], v[0:1], 2, s[10:11]
	global_load_dword v0, v[0:1], off
	s_waitcnt vmcnt(0)
	v_sub_f32_e32 v0, s12, v0
	v_exp_f32_e32 v15, v0
.LBB675_61:
	s_or_b64 exec, exec, s[0:1]
	v_or_b32_e32 v13, 1, v8
	v_cmp_gt_i32_e64 s[4:5], s27, v13
	s_and_saveexec_b64 s[0:1], s[4:5]
	s_cbranch_execz .LBB675_63
; %bb.62:
	v_add_u32_e32 v0, s26, v13
	v_ashrrev_i32_e32 v1, 31, v0
	v_mul_lo_u32 v2, v1, s30
	v_mul_lo_u32 v3, v0, s31
	v_mad_u64_u32 v[0:1], s[6:7], v0, s30, 0
	v_add3_u32 v1, v1, v3, v2
	v_lshl_add_u64 v[0:1], v[0:1], 2, s[10:11]
	global_load_dword v0, v[0:1], off
	s_waitcnt vmcnt(0)
	v_sub_f32_e32 v0, s12, v0
	v_exp_f32_e32 v10, v0
.LBB675_63:
	s_or_b64 exec, exec, s[0:1]
	v_or_b32_e32 v11, 2, v8
	v_cmp_gt_i32_e32 vcc, s27, v11
	v_mov_b32_e32 v9, 0
	v_mov_b32_e32 v14, 0
	s_and_saveexec_b64 s[0:1], vcc
	s_cbranch_execz .LBB675_65
; %bb.64:
	v_add_u32_e32 v0, s26, v11
	v_ashrrev_i32_e32 v1, 31, v0
	v_mul_lo_u32 v2, v1, s30
	v_mul_lo_u32 v3, v0, s31
	v_mad_u64_u32 v[0:1], s[6:7], v0, s30, 0
	v_add3_u32 v1, v1, v3, v2
	v_lshl_add_u64 v[0:1], v[0:1], 2, s[10:11]
	global_load_dword v0, v[0:1], off
	s_waitcnt vmcnt(0)
	v_sub_f32_e32 v0, s12, v0
	v_exp_f32_e32 v14, v0
.LBB675_65:
	s_or_b64 exec, exec, s[0:1]
	v_or_b32_e32 v12, 3, v8
	v_cmp_gt_i32_e64 s[0:1], s27, v12
	s_and_saveexec_b64 s[6:7], s[0:1]
	s_cbranch_execz .LBB675_67
; %bb.66:
	v_add_u32_e32 v0, s26, v12
	v_ashrrev_i32_e32 v1, 31, v0
	v_mul_lo_u32 v2, v1, s30
	v_mul_lo_u32 v3, v0, s31
	v_mad_u64_u32 v[0:1], s[14:15], v0, s30, 0
	v_add3_u32 v1, v1, v3, v2
	v_lshl_add_u64 v[0:1], v[0:1], 2, s[10:11]
	global_load_dword v0, v[0:1], off
	s_waitcnt vmcnt(0)
	v_sub_f32_e32 v0, s12, v0
	v_exp_f32_e32 v9, v0
.LBB675_67:
	s_or_b64 exec, exec, s[6:7]
	s_waitcnt lgkmcnt(11)
	v_mfma_f32_16x16x16_bf16 a[0:3], v[32:33], v[22:23], a[0:3]
	s_add_u32 s6, s8, s20
	v_ashrrev_i32_e32 v43, 31, v42
	s_addc_u32 s7, s9, s21
	s_waitcnt lgkmcnt(10)
	v_mfma_f32_16x16x16_bf16 a[0:3], v[30:31], v[24:25], a[0:3]
	v_lshlrev_b64 v[0:1], 1, v[42:43]
	v_lshl_add_u64 v[4:5], s[6:7], 0, v[0:1]
	s_add_u32 s6, s28, s20
	s_waitcnt lgkmcnt(9)
	v_mfma_f32_16x16x16_bf16 a[0:3], v[28:29], v[18:19], a[0:3]
	s_addc_u32 s7, s29, s21
	v_lshl_add_u64 v[6:7], s[6:7], 0, v[0:1]
	v_mov_b32_e32 v16, 0
	s_waitcnt lgkmcnt(8)
	v_mfma_f32_16x16x16_bf16 a[0:3], v[26:27], v[20:21], a[0:3]
	v_mov_b32_e32 v17, 0
	s_nop 5
	v_accvgpr_read_b32 v0, a0
	v_accvgpr_read_b32 v1, a1
	v_accvgpr_read_b32 v2, a2
	v_accvgpr_read_b32 v3, a3
	s_and_saveexec_b64 s[6:7], s[2:3]
	s_cbranch_execz .LBB675_69
; %bb.68:
	v_lshlrev_b32_e32 v18, 8, v8
	v_mov_b32_e32 v19, 0
	v_lshl_add_u64 v[20:21], v[4:5], 0, v[18:19]
	global_load_ushort v17, v[20:21], off
	v_lshl_add_u64 v[18:19], v[6:7], 0, v[18:19]
	s_waitcnt vmcnt(0)
	v_lshlrev_b32_e32 v17, 16, v17
	v_sub_f32_e32 v0, v17, v0
	global_store_short_d16_hi v[18:19], v0, off
	v_mul_f32_e32 v0, v15, v0
	v_lshrrev_b32_e32 v17, 16, v0
.LBB675_69:
	s_or_b64 exec, exec, s[6:7]
	s_and_saveexec_b64 s[2:3], s[4:5]
	s_cbranch_execz .LBB675_71
; %bb.70:
	v_lshlrev_b32_e32 v18, 8, v13
	v_mov_b32_e32 v19, 0
	v_lshl_add_u64 v[20:21], v[4:5], 0, v[18:19]
	global_load_ushort v0, v[20:21], off
	v_lshl_add_u64 v[18:19], v[6:7], 0, v[18:19]
	s_waitcnt vmcnt(0)
	v_lshlrev_b32_e32 v0, 16, v0
	v_sub_f32_e32 v0, v0, v1
	global_store_short_d16_hi v[18:19], v0, off
	v_mul_f32_e32 v0, v10, v0
	v_lshrrev_b32_e32 v16, 16, v0
.LBB675_71:
	s_or_b64 exec, exec, s[2:3]
	v_mov_b32_e32 v0, 0
	v_mov_b32_e32 v1, 0
	s_and_saveexec_b64 s[2:3], vcc
	s_cbranch_execz .LBB675_73
; %bb.72:
	v_lshlrev_b32_e32 v10, 8, v11
	v_mov_b32_e32 v11, 0
	v_lshl_add_u64 v[18:19], v[4:5], 0, v[10:11]
	global_load_ushort v1, v[18:19], off
	v_lshl_add_u64 v[10:11], v[6:7], 0, v[10:11]
	s_waitcnt vmcnt(0)
	v_lshlrev_b32_e32 v1, 16, v1
	v_sub_f32_e32 v1, v1, v2
	global_store_short_d16_hi v[10:11], v1, off
	v_mul_f32_e32 v1, v14, v1
	v_lshrrev_b32_e32 v1, 16, v1
.LBB675_73:
	s_or_b64 exec, exec, s[2:3]
	s_and_saveexec_b64 s[2:3], s[0:1]
	s_cbranch_execz .LBB675_75
; %bb.74:
	v_lshlrev_b32_e32 v10, 8, v12
	v_mov_b32_e32 v11, 0
	v_lshl_add_u64 v[4:5], v[4:5], 0, v[10:11]
	global_load_ushort v0, v[4:5], off
	v_lshl_add_u64 v[4:5], v[6:7], 0, v[10:11]
	s_waitcnt vmcnt(0)
	v_lshlrev_b32_e32 v0, 16, v0
	v_sub_f32_e32 v0, v0, v3
	global_store_short_d16_hi v[4:5], v0, off
	v_mul_f32_e32 v0, v9, v0
	v_lshrrev_b32_e32 v0, 16, v0
.LBB675_75:
	s_or_b64 exec, exec, s[2:3]
	s_mov_b32 s0, 0x5040100
	v_lshlrev_b32_e32 v2, 1, v34
	v_perm_b32 v1, v0, v1, s0
	v_perm_b32 v0, v16, v17, s0
	v_lshl_or_b32 v2, v8, 5, v2
	ds_write_b64 v2, v[0:1] offset:38912
	s_waitcnt lgkmcnt(0)
	s_barrier
.LBB675_76:
	s_endpgm
	.section	.rodata,"a",@progbits
	.p2align	6, 0x0
	.amdhsa_kernel _ZN12_GLOBAL__N_139chunk_gated_delta_rule_fwd_h_hip_kernelILi16ELb1ELb0ELb1ELb1ELb1ELb0ELb1ELb0EEEvPK12hip_bfloat16S3_S3_PKfS5_PKvPS1_S8_PvPKiSB_iiiiilll
		.amdhsa_group_segment_fixed_size 40960
		.amdhsa_private_segment_fixed_size 0
		.amdhsa_kernarg_size 136
		.amdhsa_user_sgpr_count 2
		.amdhsa_user_sgpr_dispatch_ptr 0
		.amdhsa_user_sgpr_queue_ptr 0
		.amdhsa_user_sgpr_kernarg_segment_ptr 1
		.amdhsa_user_sgpr_dispatch_id 0
		.amdhsa_user_sgpr_kernarg_preload_length 0
		.amdhsa_user_sgpr_kernarg_preload_offset 0
		.amdhsa_user_sgpr_private_segment_size 0
		.amdhsa_uses_dynamic_stack 0
		.amdhsa_enable_private_segment 0
		.amdhsa_system_sgpr_workgroup_id_x 1
		.amdhsa_system_sgpr_workgroup_id_y 1
		.amdhsa_system_sgpr_workgroup_id_z 0
		.amdhsa_system_sgpr_workgroup_info 0
		.amdhsa_system_vgpr_workitem_id 0
		.amdhsa_next_free_vgpr 116
		.amdhsa_next_free_sgpr 64
		.amdhsa_accum_offset 108
		.amdhsa_reserve_vcc 1
		.amdhsa_float_round_mode_32 0
		.amdhsa_float_round_mode_16_64 0
		.amdhsa_float_denorm_mode_32 3
		.amdhsa_float_denorm_mode_16_64 3
		.amdhsa_dx10_clamp 1
		.amdhsa_ieee_mode 1
		.amdhsa_fp16_overflow 0
		.amdhsa_tg_split 0
		.amdhsa_exception_fp_ieee_invalid_op 0
		.amdhsa_exception_fp_denorm_src 0
		.amdhsa_exception_fp_ieee_div_zero 0
		.amdhsa_exception_fp_ieee_overflow 0
		.amdhsa_exception_fp_ieee_underflow 0
		.amdhsa_exception_fp_ieee_inexact 0
		.amdhsa_exception_int_div_zero 0
	.end_amdhsa_kernel
	.section	.text._ZN12_GLOBAL__N_139chunk_gated_delta_rule_fwd_h_hip_kernelILi16ELb1ELb0ELb1ELb1ELb1ELb0ELb1ELb0EEEvPK12hip_bfloat16S3_S3_PKfS5_PKvPS1_S8_PvPKiSB_iiiiilll,"axG",@progbits,_ZN12_GLOBAL__N_139chunk_gated_delta_rule_fwd_h_hip_kernelILi16ELb1ELb0ELb1ELb1ELb1ELb0ELb1ELb0EEEvPK12hip_bfloat16S3_S3_PKfS5_PKvPS1_S8_PvPKiSB_iiiiilll,comdat
.Lfunc_end675:
	.size	_ZN12_GLOBAL__N_139chunk_gated_delta_rule_fwd_h_hip_kernelILi16ELb1ELb0ELb1ELb1ELb1ELb0ELb1ELb0EEEvPK12hip_bfloat16S3_S3_PKfS5_PKvPS1_S8_PvPKiSB_iiiiilll, .Lfunc_end675-_ZN12_GLOBAL__N_139chunk_gated_delta_rule_fwd_h_hip_kernelILi16ELb1ELb0ELb1ELb1ELb1ELb0ELb1ELb0EEEvPK12hip_bfloat16S3_S3_PKfS5_PKvPS1_S8_PvPKiSB_iiiiilll
                                        ; -- End function
	.section	.AMDGPU.csdata,"",@progbits
; Kernel info:
; codeLenInByte = 7156
; NumSgprs: 70
; NumVgprs: 108
; NumAgprs: 8
; TotalNumVgprs: 116
; ScratchSize: 0
; MemoryBound: 0
; FloatMode: 240
; IeeeMode: 1
; LDSByteSize: 40960 bytes/workgroup (compile time only)
; SGPRBlocks: 8
; VGPRBlocks: 14
; NumSGPRsForWavesPerEU: 70
; NumVGPRsForWavesPerEU: 116
; AccumOffset: 108
; Occupancy: 1
; WaveLimiterHint : 1
; COMPUTE_PGM_RSRC2:SCRATCH_EN: 0
; COMPUTE_PGM_RSRC2:USER_SGPR: 2
; COMPUTE_PGM_RSRC2:TRAP_HANDLER: 0
; COMPUTE_PGM_RSRC2:TGID_X_EN: 1
; COMPUTE_PGM_RSRC2:TGID_Y_EN: 1
; COMPUTE_PGM_RSRC2:TGID_Z_EN: 0
; COMPUTE_PGM_RSRC2:TIDIG_COMP_CNT: 0
; COMPUTE_PGM_RSRC3_GFX90A:ACCUM_OFFSET: 26
; COMPUTE_PGM_RSRC3_GFX90A:TG_SPLIT: 0
	.section	.text._ZN12_GLOBAL__N_139chunk_gated_delta_rule_fwd_h_hip_kernelILi16ELb1ELb0ELb0ELb1ELb1ELb0ELb1ELb0EEEvPK12hip_bfloat16S3_S3_PKfS5_PKvPS1_S8_PvPKiSB_iiiiilll,"axG",@progbits,_ZN12_GLOBAL__N_139chunk_gated_delta_rule_fwd_h_hip_kernelILi16ELb1ELb0ELb0ELb1ELb1ELb0ELb1ELb0EEEvPK12hip_bfloat16S3_S3_PKfS5_PKvPS1_S8_PvPKiSB_iiiiilll,comdat
	.globl	_ZN12_GLOBAL__N_139chunk_gated_delta_rule_fwd_h_hip_kernelILi16ELb1ELb0ELb0ELb1ELb1ELb0ELb1ELb0EEEvPK12hip_bfloat16S3_S3_PKfS5_PKvPS1_S8_PvPKiSB_iiiiilll ; -- Begin function _ZN12_GLOBAL__N_139chunk_gated_delta_rule_fwd_h_hip_kernelILi16ELb1ELb0ELb0ELb1ELb1ELb0ELb1ELb0EEEvPK12hip_bfloat16S3_S3_PKfS5_PKvPS1_S8_PvPKiSB_iiiiilll
	.p2align	8
	.type	_ZN12_GLOBAL__N_139chunk_gated_delta_rule_fwd_h_hip_kernelILi16ELb1ELb0ELb0ELb1ELb1ELb0ELb1ELb0EEEvPK12hip_bfloat16S3_S3_PKfS5_PKvPS1_S8_PvPKiSB_iiiiilll,@function
_ZN12_GLOBAL__N_139chunk_gated_delta_rule_fwd_h_hip_kernelILi16ELb1ELb0ELb0ELb1ELb1ELb0ELb1ELb0EEEvPK12hip_bfloat16S3_S3_PKfS5_PKvPS1_S8_PvPKiSB_iiiiilll: ; @_ZN12_GLOBAL__N_139chunk_gated_delta_rule_fwd_h_hip_kernelILi16ELb1ELb0ELb0ELb1ELb1ELb0ELb1ELb0EEEvPK12hip_bfloat16S3_S3_PKfS5_PKvPS1_S8_PvPKiSB_iiiiilll
; %bb.0:
	s_load_dwordx4 s[12:15], s[0:1], 0x5c
	s_load_dwordx4 s[20:23], s[0:1], 0x70
	s_abs_i32 s9, s3
	s_ashr_i32 s8, s3, 31
	s_load_dwordx4 s[4:7], s[0:1], 0x48
	s_waitcnt lgkmcnt(0)
	s_abs_i32 s10, s13
	v_cvt_f32_u32_e32 v1, s10
	s_sub_i32 s16, 0, s10
	s_ashr_i32 s11, s13, 31
	s_xor_b32 s8, s8, s11
	v_rcp_iflag_f32_e32 v1, v1
	v_and_b32_e32 v51, 15, v0
	v_lshrrev_b32_e32 v49, 6, v0
	v_bfe_u32 v50, v0, 4, 2
	v_mul_f32_e32 v1, 0x4f7ffffe, v1
	v_cvt_u32_f32_e32 v1, v1
	v_mov_b32_e32 v5, 0
	v_and_b32_e32 v48, 63, v0
	v_lshrrev_b32_e32 v53, 3, v48
	v_readfirstlane_b32 s17, v1
	s_mul_i32 s16, s16, s17
	s_mul_hi_u32 s16, s17, s16
	s_add_i32 s17, s17, s16
	s_mul_hi_u32 s16, s9, s17
	s_mul_i32 s17, s16, s10
	s_sub_i32 s9, s9, s17
	s_add_i32 s18, s16, 1
	s_sub_i32 s17, s9, s10
	s_cmp_ge_u32 s9, s10
	s_cselect_b32 s16, s18, s16
	s_cselect_b32 s9, s17, s9
	s_add_i32 s17, s16, 1
	s_cmp_ge_u32 s9, s10
	s_cselect_b32 s9, s17, s16
	s_load_dwordx4 s[16:19], s[0:1], 0x28
	s_xor_b32 s9, s9, s8
	s_sub_i32 s24, s9, s8
	s_mul_i32 s28, s24, s13
	s_ashr_i32 s25, s24, 31
	s_sub_i32 s45, s3, s28
	s_lshl_b64 s[8:9], s[24:25], 2
	s_add_u32 s4, s4, s8
	s_addc_u32 s5, s5, s9
	s_add_u32 s26, s6, s8
	s_addc_u32 s27, s7, s9
	s_abs_i32 s3, s14
	v_cvt_f32_u32_e32 v1, s3
	s_load_dwordx2 s[30:31], s[4:5], 0x0
	s_sub_i32 s5, 0, s3
	s_lshl_b32 s2, s2, 4
	v_rcp_iflag_f32_e32 v1, v1
	v_or_b32_e32 v42, s2, v51
	s_waitcnt lgkmcnt(0)
	s_sub_i32 s48, s31, s30
	s_ashr_i32 s4, s48, 31
	v_mul_f32_e32 v1, 0x4f7ffffe, v1
	v_cvt_u32_f32_e32 v1, v1
	s_lshr_b32 s4, s4, 26
	s_add_i32 s4, s48, s4
	s_ashr_i32 s46, s4, 6
	v_readfirstlane_b32 s6, v1
	s_mul_i32 s5, s5, s6
	s_mul_hi_u32 s5, s6, s5
	s_add_i32 s6, s6, s5
	s_mul_hi_u32 s5, s10, s6
	s_mul_i32 s6, s5, s3
	s_ashr_i32 s4, s14, 31
	s_sub_i32 s6, s10, s6
	s_xor_b32 s4, s11, s4
	s_add_i32 s7, s5, 1
	s_sub_i32 s8, s6, s3
	s_cmp_ge_u32 s6, s3
	s_cselect_b32 s5, s7, s5
	s_cselect_b32 s6, s8, s6
	s_add_i32 s7, s5, 1
	s_cmp_ge_u32 s6, s3
	s_cselect_b32 s3, s7, s5
	s_xor_b32 s3, s3, s4
	s_sub_i32 s3, s3, s4
	s_abs_i32 s4, s3
	v_cvt_f32_u32_e32 v1, s4
	s_sub_i32 s6, 0, s4
	s_abs_i32 s5, s45
	s_xor_b32 s3, s45, s3
	v_rcp_iflag_f32_e32 v1, v1
	s_ashr_i32 s3, s3, 31
	v_lshlrev_b32_e32 v2, 7, v42
	v_ashrrev_i32_e32 v3, 31, v2
	v_mul_f32_e32 v1, 0x4f7ffffe, v1
	v_cvt_u32_f32_e32 v1, v1
	s_mul_hi_i32 s51, s45, s12
	s_mul_i32 s52, s45, s12
	v_lshlrev_b32_e32 v52, 3, v0
	v_readfirstlane_b32 s7, v1
	s_mul_i32 s6, s6, s7
	s_mul_hi_u32 s6, s7, s6
	s_add_i32 s7, s7, s6
	s_mul_hi_u32 s6, s5, s7
	s_mul_i32 s7, s6, s4
	s_sub_i32 s5, s5, s7
	s_add_i32 s7, s6, 1
	s_sub_i32 s8, s5, s4
	s_cmp_ge_u32 s5, s4
	s_cselect_b32 s6, s7, s6
	s_cselect_b32 s5, s8, s5
	s_add_i32 s7, s6, 1
	s_cmp_ge_u32 s5, s4
	s_cselect_b32 s4, s7, s6
	s_xor_b32 s4, s4, s3
	s_sub_i32 s49, s4, s3
	s_ashr_i32 s47, s45, 31
	s_mul_hi_i32 s3, s24, s13
	s_add_u32 s4, s28, s45
	s_addc_u32 s5, s3, s47
	s_lshl_b64 s[4:5], s[4:5], 16
	v_lshlrev_b32_e32 v1, 4, v49
	s_add_u32 s4, s16, s4
	v_lshl_or_b32 v54, v50, 2, v1
	s_addc_u32 s5, s17, s5
	v_lshl_add_u64 v[2:3], v[2:3], 2, s[4:5]
	v_lshlrev_b32_e32 v4, 2, v54
	v_lshl_add_u64 v[10:11], v[2:3], 0, v[4:5]
	global_load_dwordx4 v[6:9], v[10:11], off
	global_load_dwordx4 v[2:5], v[10:11], off offset:256
	s_load_dwordx8 s[4:11], s[0:1], 0x0
	s_load_dwordx2 s[28:29], s[0:1], 0x80
	s_load_dword s50, s[26:27], 0x0
	v_or_b32_e32 v55, 64, v54
	s_cmp_lt_i32 s48, 64
	s_mul_i32 s33, s24, s21
	s_mul_hi_u32 s41, s24, s20
	s_mul_i32 s42, s25, s20
	s_mul_i32 s36, s24, s20
	;; [unrolled: 1-line block ×3, first 2 shown]
	s_mul_hi_u32 s43, s45, s22
	s_mul_i32 s44, s47, s22
	s_mul_i32 s34, s45, s22
	s_cbranch_scc1 .LBB676_3
; %bb.1:
	s_ashr_i32 s1, s30, 31
	s_add_u32 s0, s52, s30
	s_addc_u32 s1, s51, s1
	s_lshl_b64 s[0:1], s[0:1], 8
	v_and_b32_e32 v57, 56, v52
	s_waitcnt lgkmcnt(0)
	s_add_u32 s20, s6, s0
	v_lshl_or_b32 v56, v49, 3, v53
	v_lshlrev_b32_e32 v10, 1, v57
	s_addc_u32 s0, s7, s1
	v_lshl_or_b32 v58, v56, 8, v10
	s_and_b32 s21, s0, 0xffff
	s_mov_b32 s23, 0x20000
	s_movk_i32 s22, 0x4000
	s_movk_i32 s0, 0x80
	v_or_b32_e32 v59, 0x2000, v58
	buffer_load_dwordx4 v[12:15], v58, s[20:23], 0 offen
	buffer_load_dwordx4 v[16:19], v58, s[20:23], s0 offen
	;; [unrolled: 1-line block ×4, first 2 shown]
	v_lshlrev_b32_e32 v11, 3, v56
	v_and_or_b32 v29, v0, 7, v11
	v_and_b32_e32 v11, 0x78, v11
	v_lshlrev_b32_e32 v29, 4, v29
	v_xor_b32_e32 v60, v29, v11
	v_mul_lo_u32 v28, v56, s15
	v_or_b32_e32 v61, 0x1000, v60
	v_xor_b32_e32 v11, 8, v60
	s_cmpk_eq_i32 s15, 0x80
	s_mov_b32 s53, s30
	v_xor_b32_e32 v29, 8, v61
	s_cselect_b64 s[0:1], -1, 0
	s_cmpk_lg_i32 s15, 0x80
	s_waitcnt vmcnt(3)
	ds_write_b64 v60, v[12:13] offset:16384
	ds_write_b64 v11, v[14:15] offset:16384
	s_waitcnt vmcnt(2)
	ds_write_b64 v60, v[16:17] offset:24576
	ds_write_b64 v11, v[18:19] offset:24576
	;; [unrolled: 3-line block ×4, first 2 shown]
	v_lshl_add_u32 v11, v28, 1, v57
	s_cbranch_scc0 .LBB676_29
; %bb.2:
	v_lshlrev_b32_e32 v13, 1, v11
	v_add_lshl_u32 v12, v11, s15, 1
	s_lshl_b32 s22, s15, 7
	v_lshl_or_b32 v10, v56, 9, v10
	s_cbranch_execz .LBB676_30
	s_branch .LBB676_31
.LBB676_3:
	s_waitcnt vmcnt(0)
	v_mov_b32_e32 v10, v5
	v_mov_b32_e32 v11, v9
.LBB676_4:
	s_lshl_b32 s26, s46, 6
	s_sub_i32 s27, s48, s26
	s_cmp_gt_i32 s27, 0
	s_cbranch_scc0 .LBB676_76
; %bb.5:
	s_add_i32 s26, s26, s30
	s_ashr_i32 s3, s26, 31
	s_cmpk_lg_i32 s15, 0x80
	s_cselect_b64 s[22:23], -1, 0
	s_and_b64 vcc, exec, s[22:23]
	s_cbranch_vccz .LBB676_7
; %bb.6:
	s_mul_hi_i32 s0, s26, s14
	s_mul_i32 s1, s26, s14
	s_ashr_i32 s14, s49, 31
	s_add_u32 s24, s1, s49
	s_addc_u32 s25, s0, s14
	s_cbranch_execz .LBB676_8
	s_branch .LBB676_9
.LBB676_7:
                                        ; implicit-def: $sgpr24_sgpr25
.LBB676_8:
	s_mul_i32 s1, s49, s12
	s_mul_hi_i32 s0, s49, s12
	s_add_u32 s24, s1, s26
	s_addc_u32 s25, s0, s3
.LBB676_9:
	s_waitcnt lgkmcnt(0)
	s_add_i32 s12, s46, s50
	s_add_u32 s0, s52, s26
	s_addc_u32 s1, s51, s3
	s_mov_b32 s3, 0x7060302
	v_perm_b32 v5, v10, v4, s3
	v_perm_b32 v4, v3, v2, s3
	v_lshlrev_b32_e32 v2, 3, v51
	s_lshl_b64 s[20:21], s[0:1], 8
	v_perm_b32 v9, v11, v8, s3
	v_perm_b32 v8, v7, v6, s3
	s_waitcnt vmcnt(2)
	v_lshlrev_b32_e32 v34, 2, v51
	v_lshl_or_b32 v2, v54, 5, v2
	s_add_u32 s0, s6, s20
	ds_write2st64_b64 v2, v[8:9], v[4:5] offset0:72 offset1:76
	v_xor_b32_e32 v2, v54, v34
	v_lshlrev_b32_e32 v3, 8, v51
	s_addc_u32 s1, s7, s21
	v_lshl_or_b32 v2, v2, 1, v3
	s_mul_hi_i32 s3, s12, s13
	s_mul_i32 s12, s12, s13
	ds_write_b64 v2, v[8:9] offset:32768
	v_xor_b32_e32 v2, v55, v34
	s_add_u32 s6, s12, s45
	v_lshl_or_b32 v2, v2, 1, v3
	s_addc_u32 s7, s3, s47
	v_lshlrev_b32_e32 v3, 1, v51
	ds_write_b64 v2, v[4:5] offset:32768
	v_lshrrev_b32_e32 v2, 4, v0
	s_ashr_i32 s3, s2, 31
	s_lshl_b64 s[6:7], s[6:7], 15
	v_or_b32_e32 v4, 1, v3
	s_add_u32 s6, s18, s6
	v_xor_b32_e32 v3, v2, v3
	v_xor_b32_e32 v4, v4, v2
	v_lshlrev_b32_e32 v6, 8, v2
	s_addc_u32 s7, s19, s7
	s_lshl_b64 s[2:3], s[2:3], 8
	v_lshl_or_b32 v2, v3, 3, v6
	v_lshl_or_b32 v4, v4, 3, v6
	s_waitcnt lgkmcnt(0)
	s_barrier
	s_add_u32 s2, s6, s2
	ds_read_b64 v[2:3], v2 offset:32768
	ds_read_b64 v[4:5], v4 offset:32768
	s_addc_u32 s3, s7, s3
	v_mov_b32_e32 v7, 0
	s_cmp_lg_u32 s27, 64
	v_lshl_add_u64 v[8:9], s[2:3], 0, v[6:7]
	v_lshlrev_b32_e32 v6, 4, v51
	s_cselect_b64 s[6:7], -1, 0
	v_lshl_or_b32 v35, v49, 3, v53
	s_mov_b32 s16, 0
	v_lshl_add_u64 v[6:7], v[8:9], 0, v[6:7]
	v_or_b32_e32 v19, 32, v35
	v_and_b32_e32 v18, 56, v52
	s_and_b64 vcc, exec, s[6:7]
	s_waitcnt lgkmcnt(0)
	global_store_dwordx4 v[6:7], v[2:5], off
	s_cbranch_vccz .LBB676_15
; %bb.10:
	s_mov_b32 s17, s16
	s_mov_b32 s18, s16
	;; [unrolled: 1-line block ×3, first 2 shown]
	v_mov_b64_e32 v[6:7], s[16:17]
	v_mov_b64_e32 v[8:9], s[18:19]
	;; [unrolled: 1-line block ×3, first 2 shown]
	v_cmp_gt_i32_e32 vcc, s27, v35
	v_mov_b64_e32 v[4:5], v[8:9]
	s_and_saveexec_b64 s[2:3], vcc
	s_cbranch_execz .LBB676_12
; %bb.11:
	v_lshlrev_b32_e32 v2, 8, v35
	v_mov_b32_e32 v3, 0
	v_lshl_add_u64 v[4:5], s[0:1], 0, v[2:3]
	v_lshlrev_b32_e32 v2, 1, v18
	v_lshl_add_u64 v[10:11], v[4:5], 0, v[2:3]
	global_load_dwordx4 v[6:9], v[10:11], off
	global_load_dwordx4 v[2:5], v[10:11], off offset:128
.LBB676_12:
	s_or_b64 exec, exec, s[2:3]
	s_mov_b32 s17, s16
	s_mov_b32 s18, s16
	s_mov_b32 s19, s16
	v_mov_b64_e32 v[14:15], s[16:17]
	v_mov_b64_e32 v[16:17], s[18:19]
	;; [unrolled: 1-line block ×3, first 2 shown]
	v_cmp_gt_i32_e32 vcc, s27, v19
	v_lshlrev_b32_e32 v20, 7, v19
	v_mov_b64_e32 v[12:13], v[16:17]
	s_and_saveexec_b64 s[2:3], vcc
	s_cbranch_execz .LBB676_14
; %bb.13:
	v_lshlrev_b32_e32 v10, 1, v20
	v_mov_b32_e32 v11, 0
	v_lshl_add_u64 v[12:13], s[0:1], 0, v[10:11]
	v_lshlrev_b32_e32 v10, 1, v18
	v_lshl_add_u64 v[22:23], v[12:13], 0, v[10:11]
	global_load_dwordx4 v[14:17], v[22:23], off
	global_load_dwordx4 v[10:13], v[22:23], off offset:128
.LBB676_14:
	s_or_b64 exec, exec, s[2:3]
	v_lshrrev_b32_e32 v21, 3, v18
	v_lshlrev_b32_e32 v22, 3, v35
	v_or_b32_e32 v21, v22, v21
	v_lshlrev_b32_e32 v21, 4, v21
	v_and_b32_e32 v22, 0x78, v22
	v_xor_b32_e32 v21, v21, v22
	s_branch .LBB676_17
.LBB676_15:
                                        ; implicit-def: $vgpr21
                                        ; implicit-def: $vgpr20
                                        ; implicit-def: $vgpr6_vgpr7_vgpr8_vgpr9
                                        ; implicit-def: $vgpr2_vgpr3_vgpr4_vgpr5
                                        ; implicit-def: $vgpr14_vgpr15_vgpr16_vgpr17
                                        ; implicit-def: $vgpr10_vgpr11_vgpr12_vgpr13
	s_cbranch_execz .LBB676_17
; %bb.16:
	s_waitcnt vmcnt(0)
	v_lshlrev_b32_e32 v2, 1, v18
	v_lshl_or_b32 v20, v35, 8, v2
	s_and_b32 s1, s1, 0xffff
	s_mov_b32 s3, 0x20000
	s_movk_i32 s2, 0x4000
	v_lshl_or_b32 v21, v19, 8, v2
	s_movk_i32 s12, 0x80
	buffer_load_dwordx4 v[6:9], v20, s[0:3], 0 offen
	buffer_load_dwordx4 v[2:5], v20, s[0:3], s12 offen
	;; [unrolled: 1-line block ×4, first 2 shown]
	v_lshrrev_b32_e32 v20, 3, v18
	v_lshlrev_b32_e32 v21, 3, v35
	v_or_b32_e32 v20, v21, v20
	v_lshlrev_b32_e32 v20, 4, v20
	v_and_b32_e32 v21, 0x78, v21
	v_xor_b32_e32 v21, v20, v21
	v_lshlrev_b32_e32 v20, 7, v19
.LBB676_17:
	s_lshl_b64 s[0:1], s[24:25], 8
	s_add_u32 s4, s4, s0
	s_movk_i32 s0, 0x1000
	v_and_or_b32 v19, v20, s0, v21
	s_waitcnt vmcnt(1)
	ds_write_b64 v21, v[6:7] offset:16384
	v_xor_b32_e32 v6, 8, v21
	ds_write_b64 v6, v[8:9] offset:16384
	s_waitcnt vmcnt(0)
	ds_write_b64 v21, v[2:3] offset:24576
	ds_write_b64 v6, v[4:5] offset:24576
	;; [unrolled: 1-line block ×3, first 2 shown]
	v_xor_b32_e32 v2, 8, v19
	ds_write_b64 v2, v[16:17] offset:16384
	ds_write_b64 v19, v[10:11] offset:24576
	;; [unrolled: 1-line block ×3, first 2 shown]
	v_or_b32_e32 v2, v1, v51
	v_lshlrev_b32_e32 v2, 3, v2
	v_lshrrev_b32_e32 v4, 5, v48
	s_movk_i32 s12, 0xf8
	v_and_or_b32 v4, v2, s12, v4
	v_lshlrev_b32_e32 v3, 11, v49
	v_lshlrev_b32_e32 v12, 4, v4
	v_and_b32_e32 v13, 0x78, v2
	v_and_b32_e32 v14, 0x1000, v3
	v_lshlrev_b32_e32 v3, 2, v0
	v_xor_b32_e32 v2, v12, v13
	v_lshrrev_b32_e32 v4, 1, v48
	v_and_b32_e32 v3, 60, v3
	v_or_b32_e32 v2, v2, v14
	v_and_b32_e32 v15, 8, v4
	v_xor_b32_e32 v26, v2, v15
	v_lshl_or_b32 v2, v50, 6, v3
	v_lshlrev_b32_e32 v19, 1, v2
	v_or_b32_e32 v2, 32, v12
	v_xor_b32_e32 v2, v2, v13
	s_waitcnt lgkmcnt(0)
	s_barrier
	ds_read_b64 v[10:11], v26 offset:16384
	v_or_b32_e32 v2, v2, v14
	v_xor_b32_e32 v27, v2, v15
	v_or_b32_e32 v2, 64, v12
	v_xor_b32_e32 v2, v2, v13
	v_or_b32_e32 v2, v2, v14
	v_or_b32_e32 v12, 0x60, v12
	v_xor_b32_e32 v28, v2, v15
	ds_read2st64_b64 v[2:5], v19 offset0:72 offset1:73
	ds_read2st64_b64 v[6:9], v19 offset0:74 offset1:75
	v_xor_b32_e32 v16, v12, v13
	ds_read_b64 v[12:13], v27 offset:16384
	s_addc_u32 s5, s5, s1
	s_add_i32 s1, s41, s33
	s_waitcnt lgkmcnt(2)
	v_mfma_f32_16x16x16_bf16 a[0:3], v[10:11], v[2:3], 0
	s_add_i32 s0, s31, -1
	s_add_i32 s37, s1, s42
	s_add_i32 s1, s43, s40
	;; [unrolled: 1-line block ×3, first 2 shown]
	s_ashr_i32 s1, s0, 31
	s_mul_i32 s2, s0, s29
	s_mul_hi_u32 s3, s0, s28
	s_add_i32 s2, s3, s2
	s_mul_i32 s1, s1, s28
	v_or_b32_e32 v14, v16, v14
	s_add_i32 s1, s2, s1
	s_lshl_b64 s[2:3], s[36:37], 2
	v_xor_b32_e32 v36, v14, v15
	ds_read_b64 v[14:15], v28 offset:16384
	ds_read_b64 v[16:17], v36 offset:16384
	s_waitcnt lgkmcnt(2)
	v_mfma_f32_16x16x16_bf16 a[0:3], v[12:13], v[4:5], a[0:3]
	s_add_u32 s10, s10, s2
	s_addc_u32 s11, s11, s3
	s_lshl_b64 s[2:3], s[34:35], 2
	s_mul_i32 s0, s0, s28
	s_add_u32 s10, s10, s2
	s_addc_u32 s11, s11, s3
	s_lshl_b64 s[0:1], s[0:1], 2
	s_waitcnt lgkmcnt(1)
	v_mfma_f32_16x16x16_bf16 a[0:3], v[14:15], v[6:7], a[0:3]
	s_add_u32 s0, s10, s0
	s_addc_u32 s1, s11, s1
	s_load_dword s12, s[0:1], 0x0
	s_waitcnt lgkmcnt(0)
	v_mfma_f32_16x16x16_bf16 a[0:3], v[16:17], v[8:9], a[0:3]
	s_and_b64 vcc, exec, s[22:23]
	s_cbranch_vccz .LBB676_28
; %bb.18:
	v_lshlrev_b32_e32 v20, 1, v35
	s_and_b64 vcc, exec, s[6:7]
	s_cbranch_vccz .LBB676_44
; %bb.19:
	v_cmp_gt_i32_e32 vcc, s27, v20
	v_mov_b32_e32 v6, 0
	v_mov_b32_e32 v2, 0
	;; [unrolled: 1-line block ×5, first 2 shown]
	s_and_saveexec_b64 s[0:1], vcc
	s_cbranch_execz .LBB676_21
; %bb.20:
	v_mad_i64_i32 v[2:3], s[2:3], s15, v20, 0
	v_lshl_add_u64 v[2:3], v[2:3], 1, s[4:5]
	v_lshlrev_b32_e32 v4, 1, v18
	v_mov_b32_e32 v5, 0
	v_lshl_add_u64 v[2:3], v[2:3], 0, v[4:5]
	global_load_dwordx4 v[2:5], v[2:3], off
.LBB676_21:
	s_or_b64 exec, exec, s[0:1]
	v_or_b32_e32 v21, 1, v20
	v_cmp_gt_i32_e64 s[0:1], s27, v21
	v_mov_b32_e32 v7, 0
	v_mov_b32_e32 v8, 0
	;; [unrolled: 1-line block ×3, first 2 shown]
	s_and_saveexec_b64 s[2:3], s[0:1]
	s_cbranch_execz .LBB676_23
; %bb.22:
	v_mad_i64_i32 v[6:7], s[16:17], s15, v21, 0
	v_lshl_add_u64 v[6:7], v[6:7], 1, s[4:5]
	v_lshlrev_b32_e32 v8, 1, v18
	v_mov_b32_e32 v9, 0
	v_lshl_add_u64 v[6:7], v[6:7], 0, v[8:9]
	global_load_dwordx4 v[6:9], v[6:7], off
.LBB676_23:
	s_or_b64 exec, exec, s[2:3]
	v_mov_b32_e32 v17, 0
	v_mov_b32_e32 v10, 0
	;; [unrolled: 1-line block ×5, first 2 shown]
	s_and_saveexec_b64 s[2:3], vcc
	s_cbranch_execz .LBB676_25
; %bb.24:
	v_mad_i64_i32 v[10:11], s[16:17], s15, v20, 0
	v_lshl_add_u64 v[10:11], v[10:11], 1, s[4:5]
	v_lshlrev_b32_e32 v12, 1, v18
	v_mov_b32_e32 v13, 0
	v_lshl_add_u64 v[10:11], v[10:11], 0, v[12:13]
	global_load_dwordx4 v[10:13], v[10:11], off offset:128
.LBB676_25:
	s_or_b64 exec, exec, s[2:3]
	v_mov_b32_e32 v16, 0
	v_mov_b32_e32 v15, 0
	;; [unrolled: 1-line block ×3, first 2 shown]
	s_and_saveexec_b64 s[2:3], s[0:1]
	s_cbranch_execz .LBB676_27
; %bb.26:
	v_mad_i64_i32 v[14:15], s[0:1], s15, v21, 0
	v_lshl_add_u64 v[14:15], v[14:15], 1, s[4:5]
	v_lshlrev_b32_e32 v16, 1, v18
	v_mov_b32_e32 v17, 0
	v_lshl_add_u64 v[14:15], v[14:15], 0, v[16:17]
	global_load_dwordx4 v[14:17], v[14:15], off offset:128
.LBB676_27:
	s_or_b64 exec, exec, s[2:3]
	s_branch .LBB676_46
.LBB676_28:
                                        ; implicit-def: $vgpr5
                                        ; implicit-def: $vgpr9
                                        ; implicit-def: $vgpr13
                                        ; implicit-def: $vgpr17
	v_lshrrev_b32_e32 v37, 2, v48
	s_branch .LBB676_47
.LBB676_29:
                                        ; implicit-def: $vgpr12
                                        ; implicit-def: $vgpr13
                                        ; implicit-def: $sgpr22
	v_lshl_or_b32 v10, v56, 9, v10
.LBB676_30:
	v_or_b32_e32 v12, 0x100, v10
	s_movk_i32 s22, 0x4000
	v_mov_b32_e32 v13, v10
.LBB676_31:
	s_mul_i32 s16, s30, s14
	s_ashr_i32 s54, s49, 31
	s_mul_hi_i32 s3, s30, s14
	s_add_u32 s16, s16, s49
	s_addc_u32 s17, s3, s54
	s_lshl_b64 s[16:17], s[16:17], 8
	s_add_u32 s20, s4, s16
	s_addc_u32 s3, s5, s17
	s_and_b32 s21, s3, 0xffff
	s_movk_i32 s55, 0x80
	buffer_load_dwordx4 v[14:17], v13, s[20:23], 0 offen
	buffer_load_dwordx4 v[18:21], v13, s[20:23], s55 offen
	;; [unrolled: 1-line block ×4, first 2 shown]
	v_and_b32_e32 v12, 6, v0
	v_lshlrev_b32_e32 v30, 2, v51
	v_lshlrev_b32_e32 v31, 3, v51
	v_xor_b32_e32 v34, v56, v12
	v_and_b32_e32 v13, 1, v0
	v_lshl_or_b32 v31, v54, 5, v31
	v_xor_b32_e32 v35, v54, v30
	v_lshlrev_b32_e32 v34, 2, v34
	v_or_b32_e32 v62, 0x9000, v31
	v_or_b32_e32 v63, 0x9800, v31
	v_lshlrev_b32_e32 v31, 1, v35
	v_xor_b32_e32 v35, 0x440, v34
	v_cmp_eq_u32_e32 vcc, 0, v13
	s_add_i32 s3, s41, s33
	s_add_i32 s16, s43, s40
	v_cndmask_b32_e32 v13, v35, v34, vcc
	s_add_i32 s37, s3, s42
	v_lshl_or_b32 v12, v12, 10, v13
	s_add_i32 s35, s16, s44
	s_lshl_b64 s[16:17], s[36:37], 2
	s_mov_b32 s56, 0x1000504
	v_lshlrev_b32_e32 v32, 8, v51
	s_mov_b32 s22, 0x8000
	v_xor_b32_e32 v30, v55, v30
	v_xor_b32_e32 v13, 8, v12
	s_add_u32 s3, s10, s16
	s_mov_b32 s57, 0x3020706
	v_or_b32_e32 v33, v1, v51
	v_lshlrev_b32_e32 v30, 1, v30
	v_or3_b32 v64, v31, v32, s22
	v_xor_b32_e32 v31, 24, v12
	v_xor_b32_e32 v34, 40, v12
	;; [unrolled: 1-line block ×3, first 2 shown]
	v_add_u32_e32 v13, 0x80, v13
	s_addc_u32 s20, s11, s17
	s_lshl_b64 s[16:17], s[34:35], 2
	v_lshlrev_b32_e32 v33, 3, v33
	v_or3_b32 v65, v30, v32, s22
	v_xor_b32_e32 v30, 16, v12
	v_xor_b32_e32 v32, 32, v12
	;; [unrolled: 1-line block ×3, first 2 shown]
	v_add_u32_e32 v31, 0x80, v31
	v_add_u32_e32 v34, 0x80, v34
	;; [unrolled: 1-line block ×3, first 2 shown]
	s_add_u32 s16, s3, s16
	s_movk_i32 s3, 0xf8
	s_addc_u32 s17, s20, s17
	v_ashrrev_i32_e32 v43, 31, v42
	s_lshl_b32 s26, s15, 7
	s_mov_b32 s58, 0
	s_waitcnt vmcnt(1)
	v_perm_b32 v37, v14, v22, s56
	s_waitcnt vmcnt(0)
	v_perm_b32 v38, v18, v26, s56
	v_perm_b32 v14, v14, v22, s57
	;; [unrolled: 1-line block ×15, first 2 shown]
	ds_write2st64_b32 v12, v37, v38 offset1:32
	ds_write2st64_b32 v13, v14, v18 offset1:32
	ds_write2st64_b32 v30, v22, v26 offset0:1 offset1:33
	ds_write2st64_b32 v31, v15, v19 offset0:1 offset1:33
	;; [unrolled: 1-line block ×6, first 2 shown]
	v_lshrrev_b32_e32 v13, 5, v48
	v_and_or_b32 v13, v33, s3, v13
	v_lshlrev_b32_e32 v13, 4, v13
	v_lshlrev_b32_e32 v18, 11, v49
	v_and_b32_e32 v14, 0x78, v33
	v_or_b32_e32 v17, 32, v13
	v_and_b32_e32 v12, 0x1000, v18
	v_xor_b32_e32 v15, v13, v14
	v_lshrrev_b32_e32 v19, 1, v0
	v_xor_b32_e32 v17, v17, v14
	v_or_b32_e32 v15, v15, v12
	v_and_b32_e32 v16, 8, v19
	v_or_b32_e32 v17, v17, v12
	v_xor_b32_e32 v66, v15, v16
	v_and_b32_e32 v15, 0x78, v52
	v_xor_b32_e32 v68, v17, v16
	v_or_b32_e32 v17, 64, v13
	v_or_b32_e32 v13, 0x60, v13
	v_lshl_or_b32 v15, v50, 7, v15
	v_xor_b32_e32 v17, v17, v14
	v_xor_b32_e32 v13, v13, v14
	v_or_b32_e32 v67, 0x9000, v15
	v_or_b32_e32 v17, v17, v12
	;; [unrolled: 1-line block ×4, first 2 shown]
	v_lshrrev_b32_e32 v14, 4, v0
	v_lshlrev_b32_e32 v15, 1, v51
	v_xor_b32_e32 v69, v17, v16
	v_xor_b32_e32 v70, v12, v16
	s_ashr_i32 s3, s2, 31
	v_or_b32_e32 v16, 1, v15
	v_xor_b32_e32 v15, v14, v15
	s_lshl_b64 s[20:21], s[2:3], 8
	v_xor_b32_e32 v16, v16, v14
	v_lshlrev_b32_e32 v15, 3, v15
	v_lshlrev_b32_e32 v14, 8, v14
	v_lshl_add_u64 v[12:13], v[42:43], 1, s[8:9]
	s_add_u32 s20, s18, s20
	v_or3_b32 v43, v15, v14, s22
	v_lshlrev_b32_e32 v15, 3, v16
	s_addc_u32 s21, s19, s21
	v_or3_b32 v72, v15, v14, s22
	v_mov_b32_e32 v15, 0
	v_lshl_add_u64 v[16:17], s[20:21], 0, v[14:15]
	v_lshlrev_b32_e32 v14, 4, v51
	s_movk_i32 s3, 0xff
	v_lshlrev_b32_e32 v23, 3, v49
	v_and_b32_e32 v19, 24, v19
	v_lshl_add_u64 v[44:45], v[16:17], 0, v[14:15]
	v_and_b32_e32 v16, 8, v0
	v_cmp_lt_u32_e32 vcc, s3, v0
	v_xor_b32_e32 v24, v23, v19
	v_or_b32_e32 v25, 0x440, v24
	v_cndmask_b32_e64 v22, 0, 1, vcc
	v_cmp_eq_u32_e32 vcc, 0, v16
	v_and_b32_e32 v14, 7, v0
	v_lshlrev_b32_e32 v17, 3, v14
	v_cndmask_b32_e32 v16, v25, v24, vcc
	v_lshlrev_b32_e32 v14, 7, v14
	v_or_b32_e32 v16, v16, v18
	v_xad_u32 v73, v16, v17, v14
	v_or_b32_e32 v16, 32, v19
	v_xor_b32_e32 v16, v23, v16
	v_or_b32_e32 v24, 0x440, v16
	v_cndmask_b32_e32 v16, v24, v16, vcc
	v_or_b32_e32 v16, v16, v18
	v_xad_u32 v74, v16, v17, v14
	v_or_b32_e32 v16, 64, v19
	v_xor_b32_e32 v16, v23, v16
	v_xor_b32_e32 v24, 0x440, v16
	v_cndmask_b32_e32 v16, v24, v16, vcc
	v_or_b32_e32 v16, v16, v18
	v_xad_u32 v75, v16, v17, v14
	v_or_b32_e32 v16, 0x60, v19
	v_xor_b32_e32 v16, v23, v16
	v_xor_b32_e32 v19, 0x440, v16
	v_cndmask_b32_e32 v16, v19, v16, vcc
	v_or_b32_e32 v16, v16, v18
	v_lshlrev_b32_e32 v20, 1, v11
	v_add_lshl_u32 v11, v11, s15, 1
	v_or_b32_e32 v21, 0x100, v10
	v_lshlrev_b32_e32 v22, 13, v22
	v_xad_u32 v76, v16, v17, v14
	v_lshlrev_b32_e32 v14, 8, v54
	v_cndmask_b32_e64 v77, v20, v10, s[0:1]
	v_cndmask_b32_e64 v78, v11, v21, s[0:1]
	v_lshl_add_u64 v[46:47], v[12:13], 0, v[14:15]
	s_mov_b32 s3, 0x7060302
	s_movk_i32 s22, 0x4000
	v_add_u32_e32 v79, v22, v73
	v_add_u32_e32 v80, v22, v74
	v_add_u32_e32 v81, v22, v75
	v_add_u32_e32 v82, v22, v76
	s_waitcnt lgkmcnt(0)
	s_barrier
.LBB676_32:                             ; =>This Inner Loop Header: Depth=1
	s_add_i32 s35, s58, 1
	s_cmp_lt_i32 s35, s46
	s_mov_b64 s[24:25], 0
	s_cselect_b64 s[38:39], -1, 0
	s_cmp_ge_i32 s35, s46
	s_mov_b64 s[20:21], 0
	s_cbranch_scc1 .LBB676_34
; %bb.33:                               ;   in Loop: Header=BB676_32 Depth=1
	s_add_i32 s0, s53, 64
	s_ashr_i32 s1, s0, 31
	s_add_u32 s0, s52, s0
	s_addc_u32 s1, s51, s1
	s_lshl_b64 s[0:1], s[0:1], 8
	s_add_u32 s20, s6, s0
	s_addc_u32 s21, s7, s1
.LBB676_34:                             ;   in Loop: Header=BB676_32 Depth=1
	v_cndmask_b32_e64 v10, 0, 1, s[38:39]
	v_cmp_ne_u32_e64 s[0:1], 1, v10
	s_andn2_b64 vcc, exec, s[38:39]
	s_cbranch_vccnz .LBB676_36
; %bb.35:                               ;   in Loop: Header=BB676_32 Depth=1
	s_add_i32 s24, s53, 64
	s_mul_hi_i32 s25, s24, s14
	s_mul_i32 s24, s24, s14
	s_add_u32 s24, s24, s49
	s_addc_u32 s25, s25, s54
	s_lshl_b64 s[24:25], s[24:25], 8
	s_add_u32 s24, s4, s24
	s_addc_u32 s25, s5, s25
.LBB676_36:                             ;   in Loop: Header=BB676_32 Depth=1
	v_perm_b32 v11, v9, v8, s3
	v_perm_b32 v10, v7, v6, s3
	;; [unrolled: 1-line block ×4, first 2 shown]
	ds_write_b64 v62, v[10:11]
	ds_write_b64 v63, v[12:13]
	;; [unrolled: 1-line block ×4, first 2 shown]
	s_waitcnt lgkmcnt(0)
	s_barrier
	ds_read_b64 v[18:19], v66 offset:16384
	ds_read_b64 v[20:21], v68 offset:16384
	ds_read2st64_b64 v[10:13], v67 offset1:1
	s_waitcnt lgkmcnt(0)
	v_mfma_f32_16x16x16_bf16 a[0:3], v[18:19], v[10:11], 0
	ds_read2st64_b64 v[14:17], v67 offset0:2 offset1:3
	ds_read_b64 v[22:23], v69 offset:16384
	ds_read_b64 v[10:11], v70 offset:16384
	s_add_i32 s27, s53, 63
	v_mfma_f32_16x16x16_bf16 a[0:3], v[20:21], v[12:13], a[0:3]
	s_ashr_i32 s37, s27, 31
	s_mul_i32 s38, s27, s29
	s_mul_hi_u32 s39, s27, s28
	s_waitcnt lgkmcnt(1)
	v_mfma_f32_16x16x16_bf16 a[0:3], v[22:23], v[14:15], a[0:3]
	s_add_i32 s38, s39, s38
	s_mul_i32 s37, s37, s28
	s_add_i32 s39, s38, s37
	s_mul_i32 s38, s27, s28
	s_waitcnt lgkmcnt(0)
	v_mfma_f32_16x16x16_bf16 a[0:3], v[10:11], v[16:17], a[0:3]
	s_lshl_b64 s[38:39], s[38:39], 2
	s_add_u32 s38, s16, s38
	s_addc_u32 s39, s17, s39
	s_and_b64 vcc, exec, s[0:1]
	v_mov_b32_e32 v85, 0
	v_mov_b32_e32 v84, 0
	;; [unrolled: 1-line block ×19, first 2 shown]
	s_cbranch_vccnz .LBB676_38
; %bb.37:                               ;   in Loop: Header=BB676_32 Depth=1
	s_and_b32 s21, s21, 0xffff
	buffer_load_dwordx4 v[22:25], v58, s[20:23], 0 offen
	buffer_load_dwordx4 v[18:21], v58, s[20:23], s55 offen
	;; [unrolled: 1-line block ×4, first 2 shown]
	v_mov_b32_e32 v84, v60
	v_mov_b32_e32 v83, v61
.LBB676_38:                             ;   in Loop: Header=BB676_32 Depth=1
	s_waitcnt vmcnt(3)
	v_add_u32_e32 v30, s53, v54
	s_waitcnt vmcnt(1)
	v_ashrrev_i32_e32 v26, 31, v30
	v_mul_lo_u32 v28, v26, s28
	v_mul_lo_u32 v29, v30, s29
	v_mad_u64_u32 v[26:27], s[20:21], v30, s28, 0
	v_add3_u32 v27, v27, v29, v28
	v_lshl_add_u64 v[26:27], v[26:27], 2, s[16:17]
	global_load_dword v87, v[26:27], off
	v_add_u32_e32 v26, 1, v30
	v_ashrrev_i32_e32 v27, 31, v26
	v_mul_lo_u32 v28, v27, s28
	v_mul_lo_u32 v29, v26, s29
	v_mad_u64_u32 v[26:27], s[20:21], v26, s28, 0
	v_add3_u32 v27, v27, v29, v28
	v_add_u32_e32 v28, 2, v30
	v_ashrrev_i32_e32 v29, 31, v28
	v_mul_lo_u32 v31, v29, s28
	v_mul_lo_u32 v32, v28, s29
	v_mad_u64_u32 v[28:29], s[20:21], v28, s28, 0
	v_add_u32_e32 v30, 3, v30
	v_add3_u32 v29, v29, v32, v31
	v_ashrrev_i32_e32 v31, 31, v30
	v_mul_lo_u32 v34, v31, s28
	v_mul_lo_u32 v35, v30, s29
	v_mad_u64_u32 v[30:31], s[20:21], v30, s28, 0
	s_ashr_i32 s21, s53, 31
	s_add_u32 s20, s52, s53
	s_addc_u32 s21, s51, s21
	s_lshl_b64 s[20:21], s[20:21], 8
	v_lshl_add_u64 v[26:27], v[26:27], 2, s[16:17]
	v_lshl_add_u64 v[32:33], v[46:47], 0, s[20:21]
	v_add3_u32 v31, v31, v35, v34
	v_lshl_add_u64 v[28:29], v[28:29], 2, s[16:17]
	global_load_ushort v94, v[32:33], off
	global_load_ushort v95, v[32:33], off offset:256
	global_load_ushort v96, v[32:33], off offset:512
	;; [unrolled: 1-line block ×3, first 2 shown]
	v_lshl_add_u64 v[30:31], v[30:31], 2, s[16:17]
	global_load_dword v98, v[26:27], off
	global_load_dword v99, v[28:29], off
	;; [unrolled: 1-line block ×3, first 2 shown]
	s_load_dword s20, s[38:39], 0x0
	ds_read2st64_b64 v[34:37], v71 offset1:1
	ds_read2st64_b64 v[38:41], v71 offset0:2 offset1:3
	ds_read_b64 v[32:33], v66 offset:24576
	ds_read_b64 v[88:89], v68 offset:24576
	;; [unrolled: 1-line block ×4, first 2 shown]
	s_waitcnt lgkmcnt(0)
	v_mfma_f32_16x16x16_bf16 a[0:3], v[32:33], v[34:35], a[0:3]
	v_mov_b32_e32 v86, 0
	v_mov_b32_e32 v26, 0
	v_mov_b32_e32 v27, 0
	v_mfma_f32_16x16x16_bf16 a[0:3], v[88:89], v[36:37], a[0:3]
	v_mov_b32_e32 v28, 0
	v_mov_b32_e32 v29, 0
	v_mov_b32_e32 v30, 0
	;; [unrolled: 4-line block ×4, first 2 shown]
	v_mov_b32_e32 v37, 0
	v_mov_b32_e32 v38, 0
	v_mov_b32_e32 v39, 0
	s_and_b64 vcc, exec, s[0:1]
	v_accvgpr_read_b32 v89, a1
	v_accvgpr_read_b32 v41, a3
	;; [unrolled: 1-line block ×4, first 2 shown]
	s_waitcnt vmcnt(7)
	v_sub_f32_e32 v87, s20, v87
	s_waitcnt vmcnt(6)
	v_lshlrev_b32_e32 v90, 16, v94
	v_exp_f32_e32 v94, v87
	s_waitcnt vmcnt(4)
	v_lshlrev_b32_e32 v92, 16, v96
	s_waitcnt vmcnt(3)
	v_lshlrev_b32_e32 v93, 16, v97
	s_waitcnt vmcnt(2)
	v_sub_f32_e32 v87, s20, v98
	s_waitcnt vmcnt(1)
	v_sub_f32_e32 v96, s20, v99
	s_waitcnt vmcnt(0)
	v_sub_f32_e32 v97, s20, v100
	v_lshlrev_b32_e32 v91, 16, v95
	v_exp_f32_e32 v95, v87
	v_exp_f32_e32 v96, v96
	;; [unrolled: 1-line block ×3, first 2 shown]
	v_pk_add_f32 v[88:89], v[90:91], v[88:89] neg_lo:[0,1] neg_hi:[0,1]
	v_pk_add_f32 v[40:41], v[92:93], v[40:41] neg_lo:[0,1] neg_hi:[0,1]
	v_pk_mul_f32 v[88:89], v[94:95], v[88:89]
	v_pk_mul_f32 v[40:41], v[96:97], v[40:41]
	s_nop 0
	v_perm_b32 v41, v41, v40, s3
	v_perm_b32 v40, v89, v88, s3
	ds_write_b64 v63, v[40:41]
	v_mov_b32_e32 v40, 0
	v_mov_b32_e32 v41, 0
	s_cbranch_vccnz .LBB676_40
; %bb.39:                               ;   in Loop: Header=BB676_32 Depth=1
	s_and_b32 s25, s25, 0xffff
	s_mov_b32 s27, s23
	buffer_load_dwordx4 v[38:41], v77, s[24:27], 0 offen
	buffer_load_dwordx4 v[30:33], v77, s[24:27], s55 offen
	;; [unrolled: 1-line block ×4, first 2 shown]
	v_mov_b32_e32 v85, v57
	v_mov_b32_e32 v86, v56
.LBB676_40:                             ;   in Loop: Header=BB676_32 Depth=1
	s_waitcnt lgkmcnt(0)
	s_barrier
	ds_read_b64 v[96:97], v79
	ds_read2st64_b64 v[88:91], v71 offset1:1
	ds_read2st64_b64 v[92:95], v71 offset0:2 offset1:3
	ds_read_b64 v[98:99], v80
	ds_read_b64 v[100:101], v81
	;; [unrolled: 1-line block ×3, first 2 shown]
	s_waitcnt lgkmcnt(4)
	v_mfma_f32_16x16x16_bf16 a[0:3], v[96:97], v[88:89], 0
	ds_read_b64 v[96:97], v73 offset:8192
	ds_read_b64 v[104:105], v74 offset:8192
	s_add_i32 s21, s50, s58
	s_mul_hi_i32 s25, s21, s13
	s_waitcnt lgkmcnt(1)
	v_mfma_f32_16x16x16_bf16 a[4:7], v[96:97], v[88:89], 0
	s_mul_i32 s21, s21, s13
	s_add_u32 s24, s21, s45
	s_addc_u32 s25, s25, s47
	v_mfma_f32_16x16x16_bf16 a[0:3], v[98:99], v[90:91], a[0:3]
	ds_read_b64 v[96:97], v43
	ds_read_b64 v[98:99], v72
	ds_read_b64 v[88:89], v75 offset:8192
	s_lshl_b64 s[24:25], s[24:25], 15
	v_mfma_f32_16x16x16_bf16 a[0:3], v[100:101], v[92:93], a[0:3]
	ds_read_b64 v[100:101], v76 offset:8192
	s_and_b64 vcc, exec, s[0:1]
	s_waitcnt lgkmcnt(4)
	v_mfma_f32_16x16x16_bf16 a[4:7], v[104:105], v[90:91], a[4:7]
	s_waitcnt lgkmcnt(1)
	v_mfma_f32_16x16x16_bf16 a[4:7], v[88:89], v[92:93], a[4:7]
	v_lshl_add_u64 v[88:89], v[44:45], 0, s[24:25]
	global_store_dwordx4 v[88:89], v[96:99], off
	v_mfma_f32_16x16x16_bf16 a[0:3], v[102:103], v[94:95], a[0:3]
	s_waitcnt lgkmcnt(0)
	v_mfma_f32_16x16x16_bf16 a[4:7], v[100:101], v[94:95], a[4:7]
	s_cbranch_vccnz .LBB676_42
; %bb.41:                               ;   in Loop: Header=BB676_32 Depth=1
	v_lshrrev_b32_e32 v87, 3, v85
	v_and_b32_e32 v87, 6, v87
	v_xor_b32_e32 v86, v87, v86
	v_lshlrev_b32_e32 v86, 2, v86
	v_and_b32_e32 v85, 8, v85
	v_xor_b32_e32 v88, 0x440, v86
	v_cmp_eq_u32_e32 vcc, 0, v85
	s_barrier
	s_nop 0
	v_cndmask_b32_e32 v85, v88, v86, vcc
	v_lshl_or_b32 v85, v87, 10, v85
	s_waitcnt vmcnt(2)
	v_perm_b32 v86, v38, v34, s56
	s_waitcnt vmcnt(1)
	v_perm_b32 v87, v30, v26, s56
	ds_write2st64_b32 v85, v86, v87 offset1:32
	v_xor_b32_e32 v86, 8, v85
	v_perm_b32 v34, v38, v34, s57
	v_perm_b32 v26, v30, v26, s57
	v_add_u32_e32 v30, 0x80, v86
	ds_write2st64_b32 v30, v34, v26 offset1:32
	v_xor_b32_e32 v26, 16, v85
	v_perm_b32 v30, v39, v35, s56
	v_perm_b32 v34, v31, v27, s56
	ds_write2st64_b32 v26, v30, v34 offset0:1 offset1:33
	v_xor_b32_e32 v26, 24, v85
	v_perm_b32 v30, v39, v35, s57
	v_perm_b32 v27, v31, v27, s57
	v_add_u32_e32 v26, 0x80, v26
	ds_write2st64_b32 v26, v30, v27 offset0:1 offset1:33
	v_xor_b32_e32 v26, 32, v85
	v_perm_b32 v27, v40, v36, s56
	v_perm_b32 v30, v32, v28, s56
	ds_write2st64_b32 v26, v27, v30 offset0:2 offset1:34
	v_xor_b32_e32 v26, 40, v85
	v_perm_b32 v27, v40, v36, s57
	v_perm_b32 v28, v32, v28, s57
	v_add_u32_e32 v26, 0x80, v26
	ds_write2st64_b32 v26, v27, v28 offset0:2 offset1:34
	;; [unrolled: 9-line block ×3, first 2 shown]
	ds_write_b64 v84, v[22:23] offset:16384
	v_xor_b32_e32 v22, 8, v84
	ds_write_b64 v22, v[24:25] offset:16384
	ds_write_b64 v84, v[18:19] offset:24576
	;; [unrolled: 1-line block ×4, first 2 shown]
	v_xor_b32_e32 v14, 8, v83
	ds_write_b64 v14, v[16:17] offset:16384
	ds_write_b64 v83, v[10:11] offset:24576
	ds_write_b64 v14, v[12:13] offset:24576
.LBB676_42:                             ;   in Loop: Header=BB676_32 Depth=1
	v_exp_f32_e32 v12, s20
	s_nop 2
	v_accvgpr_read_b32 v11, a1
	v_accvgpr_read_b32 v10, a0
	s_add_i32 s53, s53, 64
	v_fma_f32 v7, v7, v12, v11
	v_accvgpr_read_b32 v11, a3
	v_fmac_f32_e32 v11, v9, v12
	v_accvgpr_read_b32 v9, a4
	v_fma_f32 v6, v6, v12, v10
	v_accvgpr_read_b32 v10, a2
	v_fma_f32 v2, v2, v12, v9
	;; [unrolled: 2-line block ×3, first 2 shown]
	v_fma_f32 v3, v3, v12, v9
	v_accvgpr_read_b32 v9, a6
	v_accvgpr_read_b32 v10, a7
	v_fma_f32 v4, v4, v12, v9
	s_cmp_eq_u32 s46, s35
	v_fmac_f32_e32 v10, v5, v12
	s_cbranch_scc1 .LBB676_4
; %bb.43:                               ;   in Loop: Header=BB676_32 Depth=1
	s_mov_b32 s58, s35
	v_mov_b32_e32 v9, v11
	v_mov_b32_e32 v5, v10
	s_branch .LBB676_32
.LBB676_44:
                                        ; implicit-def: $vgpr5
                                        ; implicit-def: $vgpr9
                                        ; implicit-def: $vgpr13
                                        ; implicit-def: $vgpr17
	s_cbranch_execz .LBB676_46
; %bb.45:
	s_waitcnt vmcnt(0)
	v_mad_u64_u32 v[2:3], s[0:1], v20, s15, v[18:19]
	v_lshlrev_b32_e32 v20, 1, v2
	s_lshl_b32 s2, s15, 7
	s_and_b32 s1, s5, 0xffff
	s_mov_b32 s3, 0x20000
	s_mov_b32 s0, s4
	v_add_lshl_u32 v21, v2, s15, 1
	s_movk_i32 s13, 0x80
	buffer_load_dwordx4 v[2:5], v20, s[0:3], 0 offen
	buffer_load_dwordx4 v[10:13], v20, s[0:3], s13 offen
	;; [unrolled: 1-line block ×4, first 2 shown]
.LBB676_46:
	v_lshrrev_b32_e32 v37, 2, v48
	s_cbranch_execnz .LBB676_59
.LBB676_47:
	s_and_b64 vcc, exec, s[6:7]
	s_cbranch_vccz .LBB676_57
; %bb.48:
	s_waitcnt vmcnt(0)
	v_lshlrev_b32_e32 v7, 1, v35
	v_cmp_gt_i32_e32 vcc, s27, v7
	v_mov_b32_e32 v6, 0
	v_lshlrev_b32_e32 v14, 9, v35
	v_mov_b32_e32 v2, 0
	v_mov_b32_e32 v3, 0
	;; [unrolled: 1-line block ×4, first 2 shown]
	s_and_saveexec_b64 s[0:1], vcc
	s_cbranch_execz .LBB676_50
; %bb.49:
	v_mov_b32_e32 v15, 0
	v_lshl_add_u64 v[2:3], s[4:5], 0, v[14:15]
	v_lshlrev_b32_e32 v4, 1, v18
	v_mov_b32_e32 v5, v15
	v_lshl_add_u64 v[2:3], v[2:3], 0, v[4:5]
	global_load_dwordx4 v[2:5], v[2:3], off
.LBB676_50:
	s_or_b64 exec, exec, s[0:1]
	v_or_b32_e32 v7, 1, v7
	v_cmp_gt_i32_e64 s[0:1], s27, v7
	v_lshlrev_b32_e32 v20, 8, v7
	v_mov_b32_e32 v7, 0
	v_mov_b32_e32 v8, 0
	;; [unrolled: 1-line block ×3, first 2 shown]
	s_and_saveexec_b64 s[2:3], s[0:1]
	s_cbranch_execz .LBB676_52
; %bb.51:
	v_mov_b32_e32 v21, 0
	v_lshl_add_u64 v[6:7], s[4:5], 0, v[20:21]
	v_lshlrev_b32_e32 v8, 1, v18
	v_mov_b32_e32 v9, v21
	v_lshl_add_u64 v[6:7], v[6:7], 0, v[8:9]
	global_load_dwordx4 v[6:9], v[6:7], off
.LBB676_52:
	s_or_b64 exec, exec, s[2:3]
	v_mov_b32_e32 v17, 0
	v_mov_b32_e32 v10, 0
	;; [unrolled: 1-line block ×5, first 2 shown]
	s_and_saveexec_b64 s[2:3], vcc
	s_cbranch_execz .LBB676_54
; %bb.53:
	v_mov_b32_e32 v15, 0
	v_lshl_add_u64 v[10:11], s[4:5], 0, v[14:15]
	v_lshlrev_b32_e32 v14, 1, v18
	v_lshl_add_u64 v[10:11], v[10:11], 0, v[14:15]
	global_load_dwordx4 v[10:13], v[10:11], off offset:128
.LBB676_54:
	s_or_b64 exec, exec, s[2:3]
	v_mov_b32_e32 v16, 0
	v_mov_b32_e32 v15, 0
	;; [unrolled: 1-line block ×3, first 2 shown]
	s_and_saveexec_b64 s[2:3], s[0:1]
	s_cbranch_execz .LBB676_56
; %bb.55:
	v_mov_b32_e32 v21, 0
	v_lshl_add_u64 v[14:15], s[4:5], 0, v[20:21]
	v_lshlrev_b32_e32 v20, 1, v18
	v_lshl_add_u64 v[14:15], v[14:15], 0, v[20:21]
	global_load_dwordx4 v[14:17], v[14:15], off offset:128
.LBB676_56:
	s_or_b64 exec, exec, s[2:3]
	s_branch .LBB676_59
.LBB676_57:
                                        ; implicit-def: $vgpr5
                                        ; implicit-def: $vgpr9
                                        ; implicit-def: $vgpr13
                                        ; implicit-def: $vgpr17
	s_cbranch_execz .LBB676_59
; %bb.58:
	s_waitcnt vmcnt(0)
	v_lshlrev_b32_e32 v2, 1, v18
	v_lshl_or_b32 v18, v35, 9, v2
	s_and_b32 s5, s5, 0xffff
	s_mov_b32 s7, 0x20000
	s_movk_i32 s6, 0x4000
	s_movk_i32 s0, 0x80
	buffer_load_dwordx4 v[2:5], v18, s[4:7], 0 offen
	buffer_load_dwordx4 v[6:9], v18, s[4:7], 0 offen offset:256
	buffer_load_dwordx4 v[10:13], v18, s[4:7], s0 offen
	buffer_load_dwordx4 v[14:17], v18, s[4:7], s0 offen offset:256
.LBB676_59:
	ds_read2st64_b64 v[22:25], v19 offset0:76 offset1:77
	ds_read2st64_b64 v[18:21], v19 offset0:78 offset1:79
	ds_read_b64 v[30:31], v26 offset:24576
	ds_read_b64 v[32:33], v27 offset:24576
	;; [unrolled: 1-line block ×4, first 2 shown]
	v_and_b32_e32 v36, 6, v0
	v_xor_b32_e32 v35, v35, v36
	v_lshlrev_b32_e32 v35, 2, v35
	v_and_b32_e32 v0, 1, v0
	v_xor_b32_e32 v38, 0x440, v35
	v_cmp_eq_u32_e32 vcc, 0, v0
	s_mov_b32 s0, 0x1000504
	s_mov_b32 s1, 0x3020706
	v_cndmask_b32_e32 v0, v38, v35, vcc
	v_lshl_or_b32 v0, v36, 10, v0
	s_waitcnt vmcnt(0)
	v_perm_b32 v35, v2, v6, s0
	v_perm_b32 v36, v10, v14, s0
	ds_write2st64_b32 v0, v35, v36 offset1:32
	v_xor_b32_e32 v35, 8, v0
	v_perm_b32 v2, v2, v6, s1
	v_perm_b32 v6, v10, v14, s1
	v_add_u32_e32 v10, 0x80, v35
	ds_write2st64_b32 v10, v2, v6 offset1:32
	v_xor_b32_e32 v2, 16, v0
	v_perm_b32 v6, v3, v7, s0
	v_perm_b32 v10, v11, v15, s0
	ds_write2st64_b32 v2, v6, v10 offset0:1 offset1:33
	v_xor_b32_e32 v2, 24, v0
	v_perm_b32 v3, v3, v7, s1
	v_perm_b32 v6, v11, v15, s1
	v_add_u32_e32 v2, 0x80, v2
	ds_write2st64_b32 v2, v3, v6 offset0:1 offset1:33
	v_xor_b32_e32 v2, 32, v0
	v_perm_b32 v3, v4, v8, s0
	v_perm_b32 v6, v12, v16, s0
	ds_write2st64_b32 v2, v3, v6 offset0:2 offset1:34
	v_xor_b32_e32 v2, 40, v0
	v_perm_b32 v3, v4, v8, s1
	v_perm_b32 v4, v12, v16, s1
	v_add_u32_e32 v2, 0x80, v2
	ds_write2st64_b32 v2, v3, v4 offset0:2 offset1:34
	v_xor_b32_e32 v2, 48, v0
	v_perm_b32 v3, v5, v9, s0
	v_perm_b32 v4, v13, v17, s0
	v_xor_b32_e32 v0, 56, v0
	v_and_or_b32 v6, v37, 12, v1
	ds_write2st64_b32 v2, v3, v4 offset0:3 offset1:35
	v_perm_b32 v2, v5, v9, s1
	v_perm_b32 v3, v13, v17, s1
	v_add_u32_e32 v0, 0x80, v0
	v_cmp_gt_i32_e32 vcc, s27, v6
	v_mov_b32_e32 v7, 0
	v_mov_b32_e32 v11, 0
	ds_write2st64_b32 v0, v2, v3 offset0:3 offset1:35
	s_and_saveexec_b64 s[0:1], vcc
	s_cbranch_execz .LBB676_61
; %bb.60:
	v_add_u32_e32 v0, s26, v6
	v_ashrrev_i32_e32 v1, 31, v0
	v_mul_lo_u32 v2, v1, s28
	v_mul_lo_u32 v3, v0, s29
	v_mad_u64_u32 v[0:1], s[2:3], v0, s28, 0
	v_add3_u32 v1, v1, v3, v2
	v_lshl_add_u64 v[0:1], v[0:1], 2, s[10:11]
	global_load_dword v0, v[0:1], off
	s_waitcnt vmcnt(0)
	v_sub_f32_e32 v0, s12, v0
	v_exp_f32_e32 v11, v0
.LBB676_61:
	s_or_b64 exec, exec, s[0:1]
	v_or_b32_e32 v9, 1, v6
	v_cmp_gt_i32_e64 s[0:1], s27, v9
	s_and_saveexec_b64 s[2:3], s[0:1]
	s_cbranch_execz .LBB676_63
; %bb.62:
	v_add_u32_e32 v0, s26, v9
	v_ashrrev_i32_e32 v1, 31, v0
	v_mul_lo_u32 v2, v1, s28
	v_mul_lo_u32 v3, v0, s29
	v_mad_u64_u32 v[0:1], s[4:5], v0, s28, 0
	v_add3_u32 v1, v1, v3, v2
	v_lshl_add_u64 v[0:1], v[0:1], 2, s[10:11]
	global_load_dword v0, v[0:1], off
	s_waitcnt vmcnt(0)
	v_sub_f32_e32 v0, s12, v0
	v_exp_f32_e32 v7, v0
.LBB676_63:
	s_or_b64 exec, exec, s[2:3]
	v_or_b32_e32 v10, 2, v6
	v_cmp_gt_i32_e64 s[2:3], s27, v10
	v_mov_b32_e32 v8, 0
	v_mov_b32_e32 v13, 0
	s_and_saveexec_b64 s[4:5], s[2:3]
	s_cbranch_execz .LBB676_65
; %bb.64:
	v_add_u32_e32 v0, s26, v10
	v_ashrrev_i32_e32 v1, 31, v0
	v_mul_lo_u32 v2, v1, s28
	v_mul_lo_u32 v3, v0, s29
	v_mad_u64_u32 v[0:1], s[6:7], v0, s28, 0
	v_add3_u32 v1, v1, v3, v2
	v_lshl_add_u64 v[0:1], v[0:1], 2, s[10:11]
	global_load_dword v0, v[0:1], off
	s_waitcnt vmcnt(0)
	v_sub_f32_e32 v0, s12, v0
	v_exp_f32_e32 v13, v0
.LBB676_65:
	s_or_b64 exec, exec, s[4:5]
	v_or_b32_e32 v12, 3, v6
	v_cmp_gt_i32_e64 s[4:5], s27, v12
	s_and_saveexec_b64 s[6:7], s[4:5]
	s_cbranch_execz .LBB676_67
; %bb.66:
	v_add_u32_e32 v0, s26, v12
	v_ashrrev_i32_e32 v1, 31, v0
	v_mul_lo_u32 v2, v1, s28
	v_mul_lo_u32 v3, v0, s29
	v_mad_u64_u32 v[0:1], s[14:15], v0, s28, 0
	v_add3_u32 v1, v1, v3, v2
	v_lshl_add_u64 v[0:1], v[0:1], 2, s[10:11]
	global_load_dword v0, v[0:1], off
	s_waitcnt vmcnt(0)
	v_sub_f32_e32 v0, s12, v0
	v_exp_f32_e32 v8, v0
.LBB676_67:
	s_or_b64 exec, exec, s[6:7]
	s_waitcnt lgkmcnt(11)
	v_mfma_f32_16x16x16_bf16 a[0:3], v[30:31], v[22:23], a[0:3]
	s_add_u32 s6, s8, s20
	v_ashrrev_i32_e32 v43, 31, v42
	s_addc_u32 s7, s9, s21
	s_waitcnt lgkmcnt(10)
	v_mfma_f32_16x16x16_bf16 a[0:3], v[32:33], v[24:25], a[0:3]
	v_mov_b32_e32 v14, 0
	v_lshl_add_u64 v[4:5], v[42:43], 1, s[6:7]
	v_mov_b32_e32 v15, 0
	s_waitcnt lgkmcnt(9)
	v_mfma_f32_16x16x16_bf16 a[0:3], v[28:29], v[18:19], a[0:3]
	s_waitcnt lgkmcnt(8)
	v_mfma_f32_16x16x16_bf16 a[0:3], v[26:27], v[20:21], a[0:3]
	s_nop 6
	v_accvgpr_read_b32 v0, a0
	v_accvgpr_read_b32 v1, a1
	;; [unrolled: 1-line block ×4, first 2 shown]
	s_and_saveexec_b64 s[6:7], vcc
	s_cbranch_execz .LBB676_69
; %bb.68:
	v_lshlrev_b32_e32 v16, 8, v6
	v_mov_b32_e32 v17, 0
	v_lshl_add_u64 v[16:17], v[4:5], 0, v[16:17]
	global_load_ushort v15, v[16:17], off
	s_waitcnt vmcnt(0)
	v_lshlrev_b32_e32 v15, 16, v15
	v_sub_f32_e32 v0, v15, v0
	v_mul_f32_e32 v0, v11, v0
	v_lshrrev_b32_e32 v15, 16, v0
.LBB676_69:
	s_or_b64 exec, exec, s[6:7]
	s_and_saveexec_b64 s[6:7], s[0:1]
	s_cbranch_execz .LBB676_71
; %bb.70:
	v_lshlrev_b32_e32 v16, 8, v9
	v_mov_b32_e32 v17, 0
	v_lshl_add_u64 v[16:17], v[4:5], 0, v[16:17]
	global_load_ushort v0, v[16:17], off
	s_waitcnt vmcnt(0)
	v_lshlrev_b32_e32 v0, 16, v0
	v_sub_f32_e32 v0, v0, v1
	v_mul_f32_e32 v0, v7, v0
	v_lshrrev_b32_e32 v14, 16, v0
.LBB676_71:
	s_or_b64 exec, exec, s[6:7]
	v_mov_b32_e32 v0, 0
	v_mov_b32_e32 v1, 0
	s_and_saveexec_b64 s[0:1], s[2:3]
	s_cbranch_execz .LBB676_73
; %bb.72:
	v_lshlrev_b32_e32 v10, 8, v10
	v_mov_b32_e32 v11, 0
	v_lshl_add_u64 v[10:11], v[4:5], 0, v[10:11]
	global_load_ushort v1, v[10:11], off
	s_waitcnt vmcnt(0)
	v_lshlrev_b32_e32 v1, 16, v1
	v_sub_f32_e32 v1, v1, v2
	v_mul_f32_e32 v1, v13, v1
	v_lshrrev_b32_e32 v1, 16, v1
.LBB676_73:
	s_or_b64 exec, exec, s[0:1]
	s_and_saveexec_b64 s[0:1], s[4:5]
	s_cbranch_execz .LBB676_75
; %bb.74:
	v_lshlrev_b32_e32 v10, 8, v12
	v_mov_b32_e32 v11, 0
	v_lshl_add_u64 v[4:5], v[4:5], 0, v[10:11]
	global_load_ushort v0, v[4:5], off
	s_waitcnt vmcnt(0)
	v_lshlrev_b32_e32 v0, 16, v0
	v_sub_f32_e32 v0, v0, v3
	v_mul_f32_e32 v0, v8, v0
	v_lshrrev_b32_e32 v0, 16, v0
.LBB676_75:
	s_or_b64 exec, exec, s[0:1]
	s_mov_b32 s0, 0x5040100
	v_lshlrev_b32_e32 v2, 1, v34
	v_perm_b32 v1, v0, v1, s0
	v_perm_b32 v0, v14, v15, s0
	v_lshl_or_b32 v2, v6, 5, v2
	ds_write_b64 v2, v[0:1] offset:38912
	s_waitcnt lgkmcnt(0)
	s_barrier
.LBB676_76:
	s_endpgm
	.section	.rodata,"a",@progbits
	.p2align	6, 0x0
	.amdhsa_kernel _ZN12_GLOBAL__N_139chunk_gated_delta_rule_fwd_h_hip_kernelILi16ELb1ELb0ELb0ELb1ELb1ELb0ELb1ELb0EEEvPK12hip_bfloat16S3_S3_PKfS5_PKvPS1_S8_PvPKiSB_iiiiilll
		.amdhsa_group_segment_fixed_size 40960
		.amdhsa_private_segment_fixed_size 0
		.amdhsa_kernarg_size 136
		.amdhsa_user_sgpr_count 2
		.amdhsa_user_sgpr_dispatch_ptr 0
		.amdhsa_user_sgpr_queue_ptr 0
		.amdhsa_user_sgpr_kernarg_segment_ptr 1
		.amdhsa_user_sgpr_dispatch_id 0
		.amdhsa_user_sgpr_kernarg_preload_length 0
		.amdhsa_user_sgpr_kernarg_preload_offset 0
		.amdhsa_user_sgpr_private_segment_size 0
		.amdhsa_uses_dynamic_stack 0
		.amdhsa_enable_private_segment 0
		.amdhsa_system_sgpr_workgroup_id_x 1
		.amdhsa_system_sgpr_workgroup_id_y 1
		.amdhsa_system_sgpr_workgroup_id_z 0
		.amdhsa_system_sgpr_workgroup_info 0
		.amdhsa_system_vgpr_workitem_id 0
		.amdhsa_next_free_vgpr 116
		.amdhsa_next_free_sgpr 59
		.amdhsa_accum_offset 108
		.amdhsa_reserve_vcc 1
		.amdhsa_float_round_mode_32 0
		.amdhsa_float_round_mode_16_64 0
		.amdhsa_float_denorm_mode_32 3
		.amdhsa_float_denorm_mode_16_64 3
		.amdhsa_dx10_clamp 1
		.amdhsa_ieee_mode 1
		.amdhsa_fp16_overflow 0
		.amdhsa_tg_split 0
		.amdhsa_exception_fp_ieee_invalid_op 0
		.amdhsa_exception_fp_denorm_src 0
		.amdhsa_exception_fp_ieee_div_zero 0
		.amdhsa_exception_fp_ieee_overflow 0
		.amdhsa_exception_fp_ieee_underflow 0
		.amdhsa_exception_fp_ieee_inexact 0
		.amdhsa_exception_int_div_zero 0
	.end_amdhsa_kernel
	.section	.text._ZN12_GLOBAL__N_139chunk_gated_delta_rule_fwd_h_hip_kernelILi16ELb1ELb0ELb0ELb1ELb1ELb0ELb1ELb0EEEvPK12hip_bfloat16S3_S3_PKfS5_PKvPS1_S8_PvPKiSB_iiiiilll,"axG",@progbits,_ZN12_GLOBAL__N_139chunk_gated_delta_rule_fwd_h_hip_kernelILi16ELb1ELb0ELb0ELb1ELb1ELb0ELb1ELb0EEEvPK12hip_bfloat16S3_S3_PKfS5_PKvPS1_S8_PvPKiSB_iiiiilll,comdat
.Lfunc_end676:
	.size	_ZN12_GLOBAL__N_139chunk_gated_delta_rule_fwd_h_hip_kernelILi16ELb1ELb0ELb0ELb1ELb1ELb0ELb1ELb0EEEvPK12hip_bfloat16S3_S3_PKfS5_PKvPS1_S8_PvPKiSB_iiiiilll, .Lfunc_end676-_ZN12_GLOBAL__N_139chunk_gated_delta_rule_fwd_h_hip_kernelILi16ELb1ELb0ELb0ELb1ELb1ELb0ELb1ELb0EEEvPK12hip_bfloat16S3_S3_PKfS5_PKvPS1_S8_PvPKiSB_iiiiilll
                                        ; -- End function
	.section	.AMDGPU.csdata,"",@progbits
; Kernel info:
; codeLenInByte = 7000
; NumSgprs: 65
; NumVgprs: 106
; NumAgprs: 8
; TotalNumVgprs: 116
; ScratchSize: 0
; MemoryBound: 0
; FloatMode: 240
; IeeeMode: 1
; LDSByteSize: 40960 bytes/workgroup (compile time only)
; SGPRBlocks: 8
; VGPRBlocks: 14
; NumSGPRsForWavesPerEU: 65
; NumVGPRsForWavesPerEU: 116
; AccumOffset: 108
; Occupancy: 1
; WaveLimiterHint : 1
; COMPUTE_PGM_RSRC2:SCRATCH_EN: 0
; COMPUTE_PGM_RSRC2:USER_SGPR: 2
; COMPUTE_PGM_RSRC2:TRAP_HANDLER: 0
; COMPUTE_PGM_RSRC2:TGID_X_EN: 1
; COMPUTE_PGM_RSRC2:TGID_Y_EN: 1
; COMPUTE_PGM_RSRC2:TGID_Z_EN: 0
; COMPUTE_PGM_RSRC2:TIDIG_COMP_CNT: 0
; COMPUTE_PGM_RSRC3_GFX90A:ACCUM_OFFSET: 26
; COMPUTE_PGM_RSRC3_GFX90A:TG_SPLIT: 0
	.section	.text._ZN12_GLOBAL__N_139chunk_gated_delta_rule_fwd_h_hip_kernelILi16ELb0ELb1ELb1ELb1ELb1ELb0ELb1ELb0EEEvPK12hip_bfloat16S3_S3_PKfS5_PKvPS1_S8_PvPKiSB_iiiiilll,"axG",@progbits,_ZN12_GLOBAL__N_139chunk_gated_delta_rule_fwd_h_hip_kernelILi16ELb0ELb1ELb1ELb1ELb1ELb0ELb1ELb0EEEvPK12hip_bfloat16S3_S3_PKfS5_PKvPS1_S8_PvPKiSB_iiiiilll,comdat
	.globl	_ZN12_GLOBAL__N_139chunk_gated_delta_rule_fwd_h_hip_kernelILi16ELb0ELb1ELb1ELb1ELb1ELb0ELb1ELb0EEEvPK12hip_bfloat16S3_S3_PKfS5_PKvPS1_S8_PvPKiSB_iiiiilll ; -- Begin function _ZN12_GLOBAL__N_139chunk_gated_delta_rule_fwd_h_hip_kernelILi16ELb0ELb1ELb1ELb1ELb1ELb0ELb1ELb0EEEvPK12hip_bfloat16S3_S3_PKfS5_PKvPS1_S8_PvPKiSB_iiiiilll
	.p2align	8
	.type	_ZN12_GLOBAL__N_139chunk_gated_delta_rule_fwd_h_hip_kernelILi16ELb0ELb1ELb1ELb1ELb1ELb0ELb1ELb0EEEvPK12hip_bfloat16S3_S3_PKfS5_PKvPS1_S8_PvPKiSB_iiiiilll,@function
_ZN12_GLOBAL__N_139chunk_gated_delta_rule_fwd_h_hip_kernelILi16ELb0ELb1ELb1ELb1ELb1ELb0ELb1ELb0EEEvPK12hip_bfloat16S3_S3_PKfS5_PKvPS1_S8_PvPKiSB_iiiiilll: ; @_ZN12_GLOBAL__N_139chunk_gated_delta_rule_fwd_h_hip_kernelILi16ELb0ELb1ELb1ELb1ELb1ELb0ELb1ELb0EEEvPK12hip_bfloat16S3_S3_PKfS5_PKvPS1_S8_PvPKiSB_iiiiilll
; %bb.0:
	s_load_dwordx4 s[20:23], s[0:1], 0x5c
	s_abs_i32 s27, s3
	s_ashr_i32 s26, s3, 31
	s_load_dwordx2 s[24:25], s[0:1], 0x50
	s_load_dwordx8 s[4:11], s[0:1], 0x30
	s_load_dwordx8 s[12:19], s[0:1], 0x0
	s_waitcnt lgkmcnt(0)
	s_abs_i32 s30, s21
	v_cvt_f32_u32_e32 v1, s30
	s_sub_i32 s28, 0, s30
	s_ashr_i32 s33, s21, 31
	s_xor_b32 s26, s26, s33
	v_rcp_iflag_f32_e32 v1, v1
	v_lshrrev_b32_e32 v48, 6, v0
	v_bfe_u32 v51, v0, 4, 2
	v_lshlrev_b32_e32 v49, 4, v48
	v_mul_f32_e32 v1, 0x4f7ffffe, v1
	v_cvt_u32_f32_e32 v1, v1
	v_lshlrev_b32_e32 v10, 2, v51
	v_and_b32_e32 v50, 63, v0
	v_mov_b32_e32 v9, 0
	v_readfirstlane_b32 s29, v1
	s_mul_i32 s28, s28, s29
	s_mul_hi_u32 s28, s29, s28
	s_add_i32 s29, s29, s28
	s_mul_hi_u32 s28, s27, s29
	s_mul_i32 s29, s28, s30
	s_sub_i32 s27, s27, s29
	s_add_i32 s31, s28, 1
	s_sub_i32 s29, s27, s30
	s_cmp_ge_u32 s27, s30
	s_cselect_b32 s28, s31, s28
	s_cselect_b32 s27, s29, s27
	s_add_i32 s29, s28, 1
	s_cmp_ge_u32 s27, s30
	s_cselect_b32 s27, s29, s28
	s_xor_b32 s27, s27, s26
	s_sub_i32 s34, s27, s26
	s_mul_i32 s26, s34, s21
	s_ashr_i32 s35, s34, 31
	s_sub_i32 s46, s3, s26
	s_lshl_b64 s[26:27], s[34:35], 2
	s_add_u32 s10, s10, s26
	s_addc_u32 s11, s11, s27
	s_add_u32 s28, s24, s26
	s_addc_u32 s29, s25, s27
	s_abs_i32 s3, s22
	v_cvt_f32_u32_e32 v1, s3
	s_load_dwordx2 s[40:41], s[10:11], 0x0
	s_sub_i32 s11, 0, s3
	s_mov_b32 s47, s21
	v_rcp_iflag_f32_e32 v1, v1
	v_and_b32_e32 v52, 15, v0
	s_waitcnt lgkmcnt(0)
	s_sub_i32 s51, s41, s40
	s_ashr_i32 s10, s51, 31
	v_mul_f32_e32 v1, 0x4f7ffffe, v1
	v_cvt_u32_f32_e32 v1, v1
	s_lshr_b32 s10, s10, 26
	s_add_i32 s10, s51, s10
	s_ashr_i32 s52, s10, 6
	v_readfirstlane_b32 s24, v1
	s_mul_i32 s11, s11, s24
	s_mul_hi_u32 s11, s24, s11
	s_add_i32 s24, s24, s11
	s_mul_hi_u32 s11, s30, s24
	s_mul_i32 s24, s11, s3
	s_ashr_i32 s10, s22, 31
	s_sub_i32 s24, s30, s24
	s_xor_b32 s10, s33, s10
	s_add_i32 s25, s11, 1
	s_sub_i32 s26, s24, s3
	s_cmp_ge_u32 s24, s3
	s_cselect_b32 s11, s25, s11
	s_cselect_b32 s24, s26, s24
	s_add_i32 s25, s11, 1
	s_cmp_ge_u32 s24, s3
	s_cselect_b32 s3, s25, s11
	s_xor_b32 s3, s3, s10
	s_sub_i32 s3, s3, s10
	s_abs_i32 s30, s3
	v_cvt_f32_u32_e32 v1, s30
	s_load_dwordx2 s[10:11], s[0:1], 0x80
	s_load_dwordx4 s[24:27], s[0:1], 0x70
	s_load_dword s53, s[28:29], 0x0
	s_xor_b32 s0, s46, s3
	v_rcp_iflag_f32_e32 v1, v1
	s_sub_i32 s3, 0, s30
	s_abs_i32 s1, s46
	s_ashr_i32 s0, s0, 31
	v_mul_f32_e32 v1, 0x4f7ffffe, v1
	v_cvt_u32_f32_e32 v1, v1
	s_mul_hi_i32 s54, s46, s20
	s_mul_i32 s55, s46, s20
	v_lshrrev_b32_e32 v54, 3, v50
	v_readfirstlane_b32 s28, v1
	s_mul_i32 s3, s3, s28
	s_mul_hi_u32 s3, s28, s3
	s_add_i32 s28, s28, s3
	s_mul_hi_u32 s3, s1, s28
	s_mul_i32 s28, s3, s30
	s_sub_i32 s1, s1, s28
	s_add_i32 s28, s3, 1
	s_sub_i32 s29, s1, s30
	s_cmp_ge_u32 s1, s30
	s_cselect_b32 s3, s28, s3
	s_cselect_b32 s1, s29, s1
	s_add_i32 s28, s3, 1
	s_cmp_ge_u32 s1, s30
	s_cselect_b32 s1, s28, s3
	s_xor_b32 s1, s1, s0
	s_sub_i32 s56, s1, s0
	v_or_b32_e32 v1, v10, v49
	s_lshl_b32 s2, s2, 4
	v_or_b32_e32 v55, 64, v1
	s_cmp_lt_i32 s51, 64
	v_lshlrev_b32_e32 v53, 3, v0
	s_waitcnt lgkmcnt(0)
	s_mul_i32 s48, s34, s25
	s_mul_hi_u32 s49, s34, s24
	s_mul_i32 s50, s35, s24
	s_mul_i32 s42, s34, s24
	v_mov_b32_e32 v8, v9
	v_mov_b32_e32 v7, v9
	;; [unrolled: 1-line block ×7, first 2 shown]
	s_cbranch_scc1 .LBB677_18
; %bb.1:
	s_ashr_i32 s58, s46, 31
	s_ashr_i32 s1, s40, 31
	s_add_u32 s0, s55, s40
	s_addc_u32 s1, s54, s1
	s_lshl_b64 s[0:1], s[0:1], 8
	v_and_b32_e32 v57, 56, v53
	s_add_u32 s28, s14, s0
	v_lshl_or_b32 v56, v48, 3, v54
	v_lshlrev_b32_e32 v3, 1, v57
	s_addc_u32 s0, s15, s1
	v_lshl_or_b32 v58, v56, 8, v3
	s_and_b32 s29, s0, 0xffff
	s_mov_b32 s31, 0x20000
	s_movk_i32 s30, 0x4000
	s_movk_i32 s0, 0x80
	v_or_b32_e32 v59, 0x2000, v58
	buffer_load_dwordx4 v[4:7], v58, s[28:31], 0 offen
	buffer_load_dwordx4 v[12:15], v58, s[28:31], s0 offen
	;; [unrolled: 1-line block ×4, first 2 shown]
	v_lshlrev_b32_e32 v2, 3, v56
	v_and_or_b32 v9, v0, 7, v2
	v_and_b32_e32 v2, 0x78, v2
	v_lshlrev_b32_e32 v9, 4, v9
	v_xor_b32_e32 v60, v9, v2
	v_mul_lo_u32 v8, v56, s23
	v_or_b32_e32 v61, 0x1000, v60
	v_xor_b32_e32 v2, 8, v60
	s_cmpk_eq_i32 s23, 0x80
	s_mov_b32 s57, s40
	v_xor_b32_e32 v9, 8, v61
	s_cselect_b64 s[0:1], -1, 0
	s_cmpk_lg_i32 s23, 0x80
	s_waitcnt vmcnt(3)
	ds_write_b64 v60, v[4:5] offset:16384
	ds_write_b64 v2, v[6:7] offset:16384
	s_waitcnt vmcnt(2)
	ds_write_b64 v60, v[12:13] offset:24576
	ds_write_b64 v2, v[14:15] offset:24576
	;; [unrolled: 3-line block ×4, first 2 shown]
	v_lshl_add_u32 v2, v8, 1, v57
	s_cbranch_scc0 .LBB677_3
; %bb.2:
	v_lshlrev_b32_e32 v6, 1, v2
	v_add_lshl_u32 v5, v2, s23, 1
	s_lshl_b32 s30, s23, 7
	v_lshl_or_b32 v4, v56, 9, v3
	s_cbranch_execz .LBB677_4
	s_branch .LBB677_5
.LBB677_3:
                                        ; implicit-def: $vgpr5
                                        ; implicit-def: $vgpr6
                                        ; implicit-def: $sgpr30
	v_lshl_or_b32 v4, v56, 9, v3
.LBB677_4:
	v_or_b32_e32 v5, 0x100, v4
	s_movk_i32 s30, 0x4000
	v_mov_b32_e32 v6, v4
.LBB677_5:
	s_mul_i32 s24, s40, s22
	s_ashr_i32 s59, s56, 31
	s_mul_hi_i32 s3, s40, s22
	s_add_u32 s24, s24, s56
	s_addc_u32 s25, s3, s59
	s_lshl_b64 s[24:25], s[24:25], 8
	s_add_u32 s28, s12, s24
	s_addc_u32 s3, s13, s25
	s_and_b32 s29, s3, 0xffff
	s_movk_i32 s60, 0x80
	buffer_load_dwordx4 v[12:15], v6, s[28:31], 0 offen
	s_nop 0
	buffer_load_dwordx4 v[6:9], v6, s[28:31], s60 offen
	s_nop 0
	buffer_load_dwordx4 v[16:19], v5, s[28:31], 0 offen
	buffer_load_dwordx4 v[20:23], v5, s[28:31], s60 offen
	v_and_b32_e32 v3, 6, v0
	v_lshlrev_b32_e32 v11, 2, v52
	v_lshlrev_b32_e32 v24, 3, v52
	v_xor_b32_e32 v26, v56, v3
	v_and_b32_e32 v5, 1, v0
	v_lshl_or_b32 v24, v1, 5, v24
	v_xor_b32_e32 v27, v1, v11
	v_lshlrev_b32_e32 v26, 2, v26
	s_mul_i32 s3, s46, s27
	s_mul_hi_u32 s25, s46, s26
	v_or_b32_e32 v62, 0x9000, v24
	v_or_b32_e32 v63, 0x9800, v24
	v_lshlrev_b32_e32 v24, 1, v27
	v_xor_b32_e32 v27, 0x440, v26
	v_cmp_eq_u32_e32 vcc, 0, v5
	s_add_i32 s29, s49, s48
	s_mul_i32 s28, s58, s26
	v_cndmask_b32_e32 v5, v27, v26, vcc
	s_add_i32 s3, s25, s3
	s_add_i32 s43, s29, s50
	s_mov_b32 s61, 0x1000504
	v_lshlrev_b32_e32 v25, 8, v52
	s_mov_b32 s30, 0x8000
	v_xor_b32_e32 v11, v55, v11
	v_lshl_or_b32 v3, v3, 10, v5
	s_add_i32 s25, s3, s28
	s_lshl_b64 s[28:29], s[42:43], 2
	s_mov_b32 s62, 0x3020706
	s_mul_i32 s24, s46, s26
	v_lshlrev_b32_e32 v11, 1, v11
	v_or3_b32 v64, v24, v25, s30
	v_xor_b32_e32 v5, 8, v3
	v_xor_b32_e32 v24, 24, v3
	;; [unrolled: 1-line block ×4, first 2 shown]
	s_add_u32 s3, s18, s28
	v_or3_b32 v65, v11, v25, s30
	v_xor_b32_e32 v11, 16, v3
	v_xor_b32_e32 v25, 32, v3
	v_xor_b32_e32 v27, 48, v3
	v_add_u32_e32 v5, 0x80, v5
	v_add_u32_e32 v24, 0x80, v24
	;; [unrolled: 1-line block ×4, first 2 shown]
	s_addc_u32 s28, s19, s29
	s_lshl_b64 s[24:25], s[24:25], 2
	s_add_u32 s24, s3, s24
	s_movk_i32 s3, 0xf8
	s_addc_u32 s25, s28, s25
	s_lshl_b32 s38, s23, 7
	s_mov_b32 s63, 0
	v_add_u32_e32 v80, v49, v10
	s_waitcnt vmcnt(1)
	v_perm_b32 v29, v12, v16, s61
	s_waitcnt vmcnt(0)
	v_perm_b32 v30, v6, v20, s61
	v_perm_b32 v12, v12, v16, s62
	;; [unrolled: 1-line block ×15, first 2 shown]
	ds_write2st64_b32 v3, v29, v30 offset1:32
	ds_write2st64_b32 v5, v12, v6 offset1:32
	ds_write2st64_b32 v11, v16, v20 offset0:1 offset1:33
	ds_write2st64_b32 v24, v13, v7 offset0:1 offset1:33
	;; [unrolled: 1-line block ×6, first 2 shown]
	v_or_b32_e32 v3, v49, v52
	v_lshlrev_b32_e32 v3, 3, v3
	v_lshrrev_b32_e32 v7, 5, v50
	v_and_or_b32 v7, v3, s3, v7
	v_lshlrev_b32_e32 v7, 4, v7
	v_lshlrev_b32_e32 v5, 11, v48
	v_and_b32_e32 v3, 0x78, v3
	v_or_b32_e32 v12, 32, v7
	v_and_b32_e32 v6, 0x1000, v5
	v_lshrrev_b32_e32 v11, 1, v0
	v_xor_b32_e32 v12, v12, v3
	v_and_b32_e32 v9, 8, v11
	v_or_b32_e32 v12, v12, v6
	v_xor_b32_e32 v8, v7, v3
	v_xor_b32_e32 v68, v12, v9
	v_or_b32_e32 v12, 64, v7
	v_or_b32_e32 v7, 0x60, v7
	v_xor_b32_e32 v12, v12, v3
	v_xor_b32_e32 v3, v7, v3
	v_or_b32_e32 v3, v3, v6
	v_or_b32_e32 v12, v12, v6
	v_xor_b32_e32 v70, v3, v9
	v_lshlrev_b32_e32 v14, 1, v2
	v_add_lshl_u32 v15, v2, s23, 1
	v_lshrrev_b32_e32 v2, 4, v0
	v_lshlrev_b32_e32 v3, 1, v52
	v_xor_b32_e32 v69, v12, v9
	s_ashr_i32 s3, s2, 31
	v_or_b32_e32 v12, 1, v3
	v_xor_b32_e32 v3, v2, v3
	s_lshl_b64 s[28:29], s[2:3], 8
	v_xor_b32_e32 v12, v12, v2
	v_lshlrev_b32_e32 v3, 3, v3
	v_lshlrev_b32_e32 v2, 8, v2
	s_add_u32 s28, s4, s28
	v_or3_b32 v72, v3, v2, s30
	v_lshlrev_b32_e32 v3, 3, v12
	s_addc_u32 s29, s5, s29
	v_or3_b32 v73, v3, v2, s30
	v_mov_b32_e32 v3, 0
	v_lshl_add_u64 v[12:13], s[28:29], 0, v[2:3]
	v_lshlrev_b32_e32 v2, 4, v52
	s_movk_i32 s3, 0xff
	v_lshlrev_b32_e32 v18, 3, v48
	v_and_b32_e32 v11, 24, v11
	v_lshl_add_u64 v[42:43], v[12:13], 0, v[2:3]
	v_and_b32_e32 v12, 8, v0
	v_cmp_lt_u32_e32 vcc, s3, v0
	v_xor_b32_e32 v19, v18, v11
	v_or_b32_e32 v20, 0x440, v19
	v_cndmask_b32_e64 v17, 0, 1, vcc
	v_cmp_eq_u32_e32 vcc, 0, v12
	v_and_b32_e32 v2, 7, v0
	v_lshlrev_b32_e32 v13, 3, v2
	v_cndmask_b32_e32 v12, v20, v19, vcc
	v_lshlrev_b32_e32 v2, 7, v2
	v_or_b32_e32 v12, v12, v5
	v_xad_u32 v74, v12, v13, v2
	v_or_b32_e32 v12, 32, v11
	v_xor_b32_e32 v12, v18, v12
	v_or_b32_e32 v19, 0x440, v12
	v_cndmask_b32_e32 v12, v19, v12, vcc
	v_or_b32_e32 v12, v12, v5
	v_xad_u32 v75, v12, v13, v2
	v_or_b32_e32 v12, 64, v11
	v_xor_b32_e32 v12, v18, v12
	v_xor_b32_e32 v19, 0x440, v12
	v_cndmask_b32_e32 v12, v19, v12, vcc
	v_or_b32_e32 v11, 0x60, v11
	v_or_b32_e32 v12, v12, v5
	v_xor_b32_e32 v11, v18, v11
	v_or_b32_e32 v8, v8, v6
	v_or_b32_e32 v6, s2, v52
	v_xad_u32 v76, v12, v13, v2
	v_xor_b32_e32 v12, 0x440, v11
	v_xor_b32_e32 v66, v8, v9
	v_and_b32_e32 v8, 0x78, v53
	v_ashrrev_i32_e32 v7, 31, v6
	v_cndmask_b32_e32 v11, v12, v11, vcc
	v_lshl_or_b32 v8, v51, 7, v8
	v_lshlrev_b64 v[6:7], 1, v[6:7]
	v_or_b32_e32 v5, v11, v5
	v_or_b32_e32 v67, 0x9000, v8
	;; [unrolled: 1-line block ×3, first 2 shown]
	v_lshl_add_u64 v[8:9], s[16:17], 0, v[6:7]
	v_lshl_add_u64 v[6:7], s[6:7], 0, v[6:7]
	v_or_b32_e32 v16, 0x100, v4
	v_lshlrev_b32_e32 v17, 13, v17
	v_xad_u32 v77, v5, v13, v2
	v_lshlrev_b32_e32 v2, 8, v1
	v_cndmask_b32_e64 v78, v14, v4, s[0:1]
	v_cndmask_b32_e64 v79, v15, v16, s[0:1]
	v_lshl_add_u64 v[44:45], v[8:9], 0, v[2:3]
	v_lshl_add_u64 v[46:47], v[6:7], 0, v[2:3]
	s_mov_b32 s3, 0x7060302
	s_movk_i32 s30, 0x4000
	v_add_u32_e32 v81, v17, v74
	v_add_u32_e32 v82, v17, v75
	v_add_u32_e32 v83, v17, v76
	v_add_u32_e32 v84, v17, v77
	v_mov_b32_e32 v2, v3
	v_mov_b32_e32 v4, v3
	v_mov_b32_e32 v86, v3
	v_mov_b32_e32 v6, v3
	v_mov_b32_e32 v7, v3
	v_mov_b32_e32 v8, v3
	v_mov_b32_e32 v85, v3
	s_waitcnt lgkmcnt(0)
	s_barrier
.LBB677_6:                              ; =>This Inner Loop Header: Depth=1
	s_add_i32 s43, s63, 1
	s_cmp_lt_i32 s43, s52
	s_mov_b64 s[36:37], 0
	s_cselect_b64 s[44:45], -1, 0
	s_cmp_ge_i32 s43, s52
	s_mov_b64 s[28:29], 0
	s_cbranch_scc1 .LBB677_8
; %bb.7:                                ;   in Loop: Header=BB677_6 Depth=1
	s_add_i32 s0, s57, 64
	s_ashr_i32 s1, s0, 31
	s_add_u32 s0, s55, s0
	s_addc_u32 s1, s54, s1
	s_lshl_b64 s[0:1], s[0:1], 8
	s_add_u32 s28, s14, s0
	s_addc_u32 s29, s15, s1
.LBB677_8:                              ;   in Loop: Header=BB677_6 Depth=1
	v_cndmask_b32_e64 v5, 0, 1, s[44:45]
	v_cmp_ne_u32_e64 s[0:1], 1, v5
	s_andn2_b64 vcc, exec, s[44:45]
	s_cbranch_vccnz .LBB677_10
; %bb.9:                                ;   in Loop: Header=BB677_6 Depth=1
	s_add_i32 s36, s57, 64
	s_mul_hi_i32 s37, s36, s22
	s_mul_i32 s36, s36, s22
	s_add_u32 s36, s36, s56
	s_addc_u32 s37, s37, s59
	s_lshl_b64 s[36:37], s[36:37], 8
	s_add_u32 s36, s12, s36
	s_addc_u32 s37, s13, s37
.LBB677_10:                             ;   in Loop: Header=BB677_6 Depth=1
	v_perm_b32 v11, v86, v4, s3
	v_perm_b32 v10, v3, v2, s3
	v_perm_b32 v13, v85, v8, s3
	v_perm_b32 v12, v7, v6, s3
	ds_write_b64 v62, v[10:11]
	ds_write_b64 v63, v[12:13]
	;; [unrolled: 1-line block ×4, first 2 shown]
	s_waitcnt lgkmcnt(0)
	s_barrier
	ds_read_b64 v[18:19], v66 offset:16384
	ds_read_b64 v[20:21], v68 offset:16384
	ds_read2st64_b64 v[10:13], v67 offset1:1
	s_waitcnt lgkmcnt(0)
	v_mfma_f32_16x16x16_bf16 a[0:3], v[18:19], v[10:11], 0
	ds_read2st64_b64 v[14:17], v67 offset0:2 offset1:3
	ds_read_b64 v[22:23], v69 offset:16384
	ds_read_b64 v[10:11], v70 offset:16384
	s_add_i32 s39, s57, 63
	v_mfma_f32_16x16x16_bf16 a[0:3], v[20:21], v[12:13], a[0:3]
	s_ashr_i32 s44, s39, 31
	s_mul_i32 s45, s39, s11
	s_mul_hi_u32 s64, s39, s10
	s_waitcnt lgkmcnt(1)
	v_mfma_f32_16x16x16_bf16 a[0:3], v[22:23], v[14:15], a[0:3]
	s_add_i32 s45, s64, s45
	s_mul_i32 s44, s44, s10
	s_add_i32 s45, s45, s44
	s_mul_i32 s44, s39, s10
	s_waitcnt lgkmcnt(0)
	v_mfma_f32_16x16x16_bf16 a[0:3], v[10:11], v[16:17], a[0:3]
	s_lshl_b64 s[44:45], s[44:45], 2
	s_add_u32 s44, s24, s44
	s_addc_u32 s45, s25, s45
	s_and_b64 vcc, exec, s[0:1]
	v_mov_b32_e32 v87, 0
	v_mov_b32_e32 v9, 0
	;; [unrolled: 1-line block ×19, first 2 shown]
	s_cbranch_vccnz .LBB677_12
; %bb.11:                               ;   in Loop: Header=BB677_6 Depth=1
	s_and_b32 s29, s29, 0xffff
	buffer_load_dwordx4 v[22:25], v58, s[28:31], 0 offen
	buffer_load_dwordx4 v[18:21], v58, s[28:31], s60 offen
	;; [unrolled: 1-line block ×4, first 2 shown]
	v_mov_b32_e32 v9, v60
	v_mov_b32_e32 v5, v61
.LBB677_12:                             ;   in Loop: Header=BB677_6 Depth=1
	s_waitcnt vmcnt(3)
	v_add_u32_e32 v30, s57, v80
	s_waitcnt vmcnt(1)
	v_ashrrev_i32_e32 v26, 31, v30
	v_mul_lo_u32 v28, v26, s10
	v_mul_lo_u32 v29, v30, s11
	v_mad_u64_u32 v[26:27], s[28:29], v30, s10, 0
	v_add3_u32 v27, v27, v29, v28
	v_lshl_add_u64 v[26:27], v[26:27], 2, s[24:25]
	global_load_dword v89, v[26:27], off
	v_add_u32_e32 v26, 1, v30
	v_ashrrev_i32_e32 v27, 31, v26
	v_mul_lo_u32 v28, v27, s10
	v_mul_lo_u32 v29, v26, s11
	v_mad_u64_u32 v[26:27], s[28:29], v26, s10, 0
	v_add3_u32 v27, v27, v29, v28
	v_add_u32_e32 v28, 2, v30
	v_ashrrev_i32_e32 v29, 31, v28
	v_mul_lo_u32 v31, v29, s10
	v_mul_lo_u32 v32, v28, s11
	v_mad_u64_u32 v[28:29], s[28:29], v28, s10, 0
	v_add_u32_e32 v30, 3, v30
	v_add3_u32 v29, v29, v32, v31
	v_ashrrev_i32_e32 v31, 31, v30
	v_mul_lo_u32 v34, v31, s10
	v_mul_lo_u32 v35, v30, s11
	v_mad_u64_u32 v[30:31], s[28:29], v30, s10, 0
	s_ashr_i32 s29, s57, 31
	s_add_u32 s28, s55, s57
	s_addc_u32 s29, s54, s29
	s_lshl_b64 s[64:65], s[28:29], 8
	v_lshl_add_u64 v[26:27], v[26:27], 2, s[24:25]
	v_lshl_add_u64 v[32:33], v[44:45], 0, s[64:65]
	v_add3_u32 v31, v31, v35, v34
	v_lshl_add_u64 v[28:29], v[28:29], 2, s[24:25]
	global_load_ushort v92, v[32:33], off
	global_load_ushort v93, v[32:33], off offset:256
	global_load_ushort v94, v[32:33], off offset:512
	;; [unrolled: 1-line block ×3, first 2 shown]
	v_lshl_add_u64 v[30:31], v[30:31], 2, s[24:25]
	global_load_dword v96, v[26:27], off
	global_load_dword v97, v[28:29], off
	;; [unrolled: 1-line block ×3, first 2 shown]
	s_load_dword s28, s[44:45], 0x0
	ds_read_b64 v[28:29], v66 offset:24576
	ds_read2st64_b64 v[30:33], v71 offset1:1
	ds_read2st64_b64 v[34:37], v71 offset0:2 offset1:3
	ds_read_b64 v[38:39], v68 offset:24576
	ds_read_b64 v[40:41], v69 offset:24576
	;; [unrolled: 1-line block ×3, first 2 shown]
	s_waitcnt lgkmcnt(0)
	v_mfma_f32_16x16x16_bf16 a[0:3], v[28:29], v[30:31], a[0:3]
	v_mov_b32_e32 v88, 0
	v_mov_b32_e32 v26, 0
	;; [unrolled: 1-line block ×3, first 2 shown]
	v_mfma_f32_16x16x16_bf16 a[0:3], v[38:39], v[32:33], a[0:3]
	v_lshl_add_u64 v[38:39], v[46:47], 0, s[64:65]
	v_mov_b32_e32 v28, 0
	v_mov_b32_e32 v29, 0
	v_mfma_f32_16x16x16_bf16 a[0:3], v[40:41], v[34:35], a[0:3]
	v_mov_b32_e32 v30, 0
	v_mov_b32_e32 v31, 0
	;; [unrolled: 1-line block ×3, first 2 shown]
	v_mfma_f32_16x16x16_bf16 a[0:3], v[90:91], v[36:37], a[0:3]
	v_mov_b32_e32 v33, 0
	v_mov_b32_e32 v34, 0
	s_and_b64 vcc, exec, s[0:1]
	s_waitcnt vmcnt(7)
	v_sub_f32_e32 v35, s28, v89
	s_nop 1
	v_accvgpr_read_b32 v41, a1
	v_accvgpr_read_b32 v40, a0
	;; [unrolled: 1-line block ×4, first 2 shown]
	s_waitcnt vmcnt(6)
	v_lshlrev_b32_e32 v90, 16, v92
	s_waitcnt vmcnt(5)
	v_lshlrev_b32_e32 v91, 16, v93
	;; [unrolled: 2-line block ×3, first 2 shown]
	v_exp_f32_e32 v94, v35
	s_waitcnt vmcnt(2)
	v_sub_f32_e32 v35, s28, v96
	s_waitcnt vmcnt(1)
	v_sub_f32_e32 v89, s28, v97
	;; [unrolled: 2-line block ×3, first 2 shown]
	v_lshlrev_b32_e32 v93, 16, v95
	v_pk_add_f32 v[40:41], v[90:91], v[40:41] neg_lo:[0,1] neg_hi:[0,1]
	v_exp_f32_e32 v95, v35
	v_exp_f32_e32 v90, v89
	;; [unrolled: 1-line block ×3, first 2 shown]
	v_pk_add_f32 v[36:37], v[92:93], v[36:37] neg_lo:[0,1] neg_hi:[0,1]
	global_store_short_d16_hi v[38:39], v40, off
	global_store_short_d16_hi v[38:39], v41, off offset:256
	global_store_short_d16_hi v[38:39], v36, off offset:512
	;; [unrolled: 1-line block ×3, first 2 shown]
	v_pk_mul_f32 v[38:39], v[94:95], v[40:41]
	v_pk_mul_f32 v[36:37], v[90:91], v[36:37]
	v_perm_b32 v38, v39, v38, s3
	v_perm_b32 v39, v37, v36, s3
	ds_write_b64 v63, v[38:39]
	v_mov_b32_e32 v35, 0
	v_mov_b32_e32 v36, 0
	;; [unrolled: 1-line block ×7, first 2 shown]
	s_cbranch_vccnz .LBB677_14
; %bb.13:                               ;   in Loop: Header=BB677_6 Depth=1
	s_and_b32 s37, s37, 0xffff
	s_mov_b32 s39, s31
	buffer_load_dwordx4 v[38:41], v78, s[36:39], 0 offen
	buffer_load_dwordx4 v[30:33], v78, s[36:39], s60 offen
	;; [unrolled: 1-line block ×4, first 2 shown]
	v_mov_b32_e32 v87, v57
	v_mov_b32_e32 v88, v56
.LBB677_14:                             ;   in Loop: Header=BB677_6 Depth=1
	s_waitcnt lgkmcnt(0)
	s_barrier
	ds_read_b64 v[98:99], v81
	ds_read2st64_b64 v[90:93], v71 offset1:1
	ds_read2st64_b64 v[94:97], v71 offset0:2 offset1:3
	ds_read_b64 v[100:101], v82
	ds_read_b64 v[102:103], v83
	;; [unrolled: 1-line block ×3, first 2 shown]
	s_waitcnt lgkmcnt(4)
	v_mfma_f32_16x16x16_bf16 a[0:3], v[98:99], v[90:91], 0
	ds_read_b64 v[98:99], v74 offset:8192
	ds_read_b64 v[106:107], v75 offset:8192
	s_add_i32 s29, s53, s63
	s_mul_hi_i32 s37, s29, s47
	s_waitcnt lgkmcnt(1)
	v_mfma_f32_16x16x16_bf16 a[4:7], v[98:99], v[90:91], 0
	s_mul_i32 s29, s29, s47
	s_add_u32 s36, s29, s46
	s_addc_u32 s37, s37, s58
	v_mfma_f32_16x16x16_bf16 a[0:3], v[100:101], v[92:93], a[0:3]
	ds_read_b64 v[98:99], v72
	ds_read_b64 v[100:101], v73
	ds_read_b64 v[90:91], v76 offset:8192
	s_lshl_b64 s[36:37], s[36:37], 15
	v_mfma_f32_16x16x16_bf16 a[0:3], v[102:103], v[94:95], a[0:3]
	ds_read_b64 v[102:103], v77 offset:8192
	s_and_b64 vcc, exec, s[0:1]
	s_waitcnt lgkmcnt(4)
	v_mfma_f32_16x16x16_bf16 a[4:7], v[106:107], v[92:93], a[4:7]
	s_waitcnt lgkmcnt(1)
	v_mfma_f32_16x16x16_bf16 a[4:7], v[90:91], v[94:95], a[4:7]
	v_lshl_add_u64 v[90:91], v[42:43], 0, s[36:37]
	global_store_dwordx4 v[90:91], v[98:101], off
	v_mfma_f32_16x16x16_bf16 a[0:3], v[104:105], v[96:97], a[0:3]
	s_waitcnt lgkmcnt(0)
	v_mfma_f32_16x16x16_bf16 a[4:7], v[102:103], v[96:97], a[4:7]
	s_cbranch_vccnz .LBB677_16
; %bb.15:                               ;   in Loop: Header=BB677_6 Depth=1
	v_lshrrev_b32_e32 v89, 3, v87
	v_and_b32_e32 v89, 6, v89
	v_xor_b32_e32 v88, v89, v88
	v_lshlrev_b32_e32 v88, 2, v88
	v_and_b32_e32 v87, 8, v87
	v_xor_b32_e32 v90, 0x440, v88
	v_cmp_eq_u32_e32 vcc, 0, v87
	s_barrier
	s_nop 0
	v_cndmask_b32_e32 v87, v90, v88, vcc
	v_lshl_or_b32 v87, v89, 10, v87
	s_waitcnt vmcnt(2)
	v_perm_b32 v88, v38, v34, s61
	s_waitcnt vmcnt(1)
	v_perm_b32 v89, v30, v26, s61
	ds_write2st64_b32 v87, v88, v89 offset1:32
	v_xor_b32_e32 v88, 8, v87
	v_perm_b32 v34, v38, v34, s62
	v_perm_b32 v26, v30, v26, s62
	v_add_u32_e32 v30, 0x80, v88
	ds_write2st64_b32 v30, v34, v26 offset1:32
	v_xor_b32_e32 v26, 16, v87
	v_perm_b32 v30, v39, v35, s61
	v_perm_b32 v34, v31, v27, s61
	ds_write2st64_b32 v26, v30, v34 offset0:1 offset1:33
	v_xor_b32_e32 v26, 24, v87
	v_perm_b32 v30, v39, v35, s62
	v_perm_b32 v27, v31, v27, s62
	v_add_u32_e32 v26, 0x80, v26
	ds_write2st64_b32 v26, v30, v27 offset0:1 offset1:33
	v_xor_b32_e32 v26, 32, v87
	v_perm_b32 v27, v40, v36, s61
	v_perm_b32 v30, v32, v28, s61
	ds_write2st64_b32 v26, v27, v30 offset0:2 offset1:34
	v_xor_b32_e32 v26, 40, v87
	v_perm_b32 v27, v40, v36, s62
	v_perm_b32 v28, v32, v28, s62
	v_add_u32_e32 v26, 0x80, v26
	ds_write2st64_b32 v26, v27, v28 offset0:2 offset1:34
	;; [unrolled: 9-line block ×3, first 2 shown]
	ds_write_b64 v9, v[22:23] offset:16384
	v_xor_b32_e32 v22, 8, v9
	ds_write_b64 v22, v[24:25] offset:16384
	ds_write_b64 v9, v[18:19] offset:24576
	ds_write_b64 v22, v[20:21] offset:24576
	ds_write_b64 v5, v[14:15] offset:16384
	v_xor_b32_e32 v9, 8, v5
	ds_write_b64 v9, v[16:17] offset:16384
	ds_write_b64 v5, v[10:11] offset:24576
	;; [unrolled: 1-line block ×3, first 2 shown]
.LBB677_16:                             ;   in Loop: Header=BB677_6 Depth=1
	v_exp_f32_e32 v10, s28
	s_nop 2
	v_accvgpr_read_b32 v9, a1
	v_accvgpr_read_b32 v5, a0
	s_add_i32 s57, s57, 64
	v_fma_f32 v3, v3, v10, v9
	v_accvgpr_read_b32 v9, a4
	v_fma_f32 v6, v6, v10, v9
	v_accvgpr_read_b32 v9, a5
	;; [unrolled: 2-line block ×6, first 2 shown]
	v_fmac_f32_e32 v5, v86, v10
	s_cmp_eq_u32 s52, s43
	v_fmac_f32_e32 v9, v85, v10
	s_cbranch_scc1 .LBB677_18
; %bb.17:                               ;   in Loop: Header=BB677_6 Depth=1
	s_mov_b32 s63, s43
	v_mov_b32_e32 v86, v5
	v_mov_b32_e32 v85, v9
	s_branch .LBB677_6
.LBB677_18:
	s_lshl_b32 s3, s52, 6
	s_sub_i32 s51, s51, s3
	s_cmp_gt_i32 s51, 0
	s_waitcnt vmcnt(2)
	v_or_b32_e32 v34, s2, v52
	s_cbranch_scc1 .LBB677_20
; %bb.19:
	s_ashr_i32 s25, s46, 31
	v_or_b32_e32 v10, s2, v52
	s_cbranch_execz .LBB677_21
	s_branch .LBB677_77
.LBB677_20:
                                        ; implicit-def: $vgpr10
                                        ; implicit-def: $sgpr24_sgpr25
.LBB677_21:
	s_add_i32 s24, s3, s40
	s_ashr_i32 s3, s24, 31
	s_cmpk_lg_i32 s23, 0x80
	s_cselect_b64 s[38:39], -1, 0
	s_and_b64 vcc, exec, s[38:39]
	s_cbranch_vccz .LBB677_23
; %bb.22:
	s_mul_hi_i32 s0, s24, s22
	s_mul_i32 s1, s24, s22
	s_ashr_i32 s22, s56, 31
	s_add_u32 s44, s1, s56
	s_addc_u32 s45, s0, s22
	s_cbranch_execz .LBB677_24
	s_branch .LBB677_25
.LBB677_23:
                                        ; implicit-def: $sgpr44_sgpr45
.LBB677_24:
	s_mul_i32 s1, s56, s20
	s_mul_hi_i32 s0, s56, s20
	s_add_u32 s44, s1, s24
	s_addc_u32 s45, s0, s3
.LBB677_25:
	s_add_i32 s20, s52, s53
	s_ashr_i32 s25, s46, 31
	s_add_u32 s0, s55, s24
	s_addc_u32 s1, s54, s3
	s_mov_b32 s3, 0x7060302
	v_lshlrev_b32_e32 v14, 3, v52
	s_lshl_b64 s[36:37], s[0:1], 8
	v_perm_b32 v11, v5, v4, s3
	v_perm_b32 v10, v3, v2, s3
	;; [unrolled: 1-line block ×4, first 2 shown]
	v_lshlrev_b32_e32 v44, 2, v52
	v_lshl_or_b32 v14, v1, 5, v14
	s_add_u32 s0, s14, s36
	ds_write2st64_b64 v14, v[10:11], v[12:13] offset0:72 offset1:76
	v_xor_b32_e32 v14, v1, v44
	v_lshlrev_b32_e32 v15, 8, v52
	s_addc_u32 s1, s15, s37
	v_lshl_or_b32 v14, v14, 1, v15
	s_mul_hi_i32 s3, s20, s21
	s_mul_i32 s20, s20, s21
	ds_write_b64 v14, v[10:11] offset:32768
	v_xor_b32_e32 v10, v55, v44
	s_add_u32 s14, s20, s46
	v_lshl_or_b32 v10, v10, 1, v15
	s_addc_u32 s15, s3, s25
	v_lshlrev_b32_e32 v11, 1, v52
	ds_write_b64 v10, v[12:13] offset:32768
	v_lshrrev_b32_e32 v10, 4, v0
	s_ashr_i32 s3, s2, 31
	s_lshl_b64 s[14:15], s[14:15], 15
	v_or_b32_e32 v12, 1, v11
	s_add_u32 s4, s4, s14
	v_xor_b32_e32 v11, v10, v11
	v_xor_b32_e32 v12, v12, v10
	v_lshlrev_b32_e32 v14, 8, v10
	s_addc_u32 s5, s5, s15
	s_lshl_b64 s[2:3], s[2:3], 8
	v_lshl_or_b32 v10, v11, 3, v14
	v_lshl_or_b32 v12, v12, 3, v14
	s_waitcnt lgkmcnt(0)
	s_barrier
	s_add_u32 s2, s4, s2
	ds_read_b64 v[10:11], v10 offset:32768
	ds_read_b64 v[12:13], v12 offset:32768
	s_addc_u32 s3, s5, s3
	v_mov_b32_e32 v15, 0
	s_cmp_lg_u32 s51, 64
	v_lshl_add_u64 v[16:17], s[2:3], 0, v[14:15]
	v_lshlrev_b32_e32 v14, 4, v52
	s_cselect_b64 s[4:5], -1, 0
	v_lshl_or_b32 v35, v48, 3, v54
	s_mov_b32 s28, 0
	v_lshl_add_u64 v[14:15], v[16:17], 0, v[14:15]
	s_waitcnt vmcnt(1)
	v_or_b32_e32 v27, 32, v35
	v_and_b32_e32 v26, 56, v53
	s_and_b64 vcc, exec, s[4:5]
	s_waitcnt lgkmcnt(0)
	global_store_dwordx4 v[14:15], v[10:13], off
	s_cbranch_vccz .LBB677_31
; %bb.26:
	s_mov_b32 s29, s28
	s_mov_b32 s30, s28
	;; [unrolled: 1-line block ×3, first 2 shown]
	v_mov_b64_e32 v[14:15], s[28:29]
	v_mov_b64_e32 v[16:17], s[30:31]
	;; [unrolled: 1-line block ×3, first 2 shown]
	v_cmp_gt_i32_e32 vcc, s51, v35
	v_mov_b64_e32 v[12:13], v[16:17]
	s_and_saveexec_b64 s[2:3], vcc
	s_cbranch_execz .LBB677_28
; %bb.27:
	v_lshlrev_b32_e32 v10, 8, v35
	v_mov_b32_e32 v11, 0
	v_lshl_add_u64 v[12:13], s[0:1], 0, v[10:11]
	v_lshlrev_b32_e32 v10, 1, v26
	v_lshl_add_u64 v[18:19], v[12:13], 0, v[10:11]
	global_load_dwordx4 v[14:17], v[18:19], off
	global_load_dwordx4 v[10:13], v[18:19], off offset:128
.LBB677_28:
	s_or_b64 exec, exec, s[2:3]
	s_mov_b32 s29, s28
	s_mov_b32 s30, s28
	;; [unrolled: 1-line block ×3, first 2 shown]
	v_mov_b64_e32 v[22:23], s[28:29]
	v_mov_b64_e32 v[24:25], s[30:31]
	;; [unrolled: 1-line block ×3, first 2 shown]
	v_cmp_gt_i32_e32 vcc, s51, v27
	v_lshlrev_b32_e32 v28, 7, v27
	v_mov_b64_e32 v[20:21], v[24:25]
	s_and_saveexec_b64 s[2:3], vcc
	s_cbranch_execz .LBB677_30
; %bb.29:
	v_lshlrev_b32_e32 v18, 1, v28
	v_mov_b32_e32 v19, 0
	v_lshl_add_u64 v[20:21], s[0:1], 0, v[18:19]
	v_lshlrev_b32_e32 v18, 1, v26
	v_lshl_add_u64 v[30:31], v[20:21], 0, v[18:19]
	global_load_dwordx4 v[22:25], v[30:31], off
	global_load_dwordx4 v[18:21], v[30:31], off offset:128
.LBB677_30:
	s_or_b64 exec, exec, s[2:3]
	v_lshrrev_b32_e32 v29, 3, v26
	v_lshlrev_b32_e32 v30, 3, v35
	v_or_b32_e32 v29, v30, v29
	v_lshlrev_b32_e32 v29, 4, v29
	v_and_b32_e32 v30, 0x78, v30
	v_xor_b32_e32 v29, v29, v30
	s_branch .LBB677_33
.LBB677_31:
                                        ; implicit-def: $vgpr29
                                        ; implicit-def: $vgpr28
                                        ; implicit-def: $vgpr14_vgpr15_vgpr16_vgpr17
                                        ; implicit-def: $vgpr10_vgpr11_vgpr12_vgpr13
                                        ; implicit-def: $vgpr22_vgpr23_vgpr24_vgpr25
                                        ; implicit-def: $vgpr18_vgpr19_vgpr20_vgpr21
	s_cbranch_execz .LBB677_33
; %bb.32:
	s_waitcnt vmcnt(0)
	v_lshlrev_b32_e32 v10, 1, v26
	v_lshl_or_b32 v28, v35, 8, v10
	s_and_b32 s1, s1, 0xffff
	s_mov_b32 s3, 0x20000
	s_movk_i32 s2, 0x4000
	v_lshl_or_b32 v29, v27, 8, v10
	s_movk_i32 s14, 0x80
	buffer_load_dwordx4 v[14:17], v28, s[0:3], 0 offen
	buffer_load_dwordx4 v[10:13], v28, s[0:3], s14 offen
	;; [unrolled: 1-line block ×4, first 2 shown]
	v_lshrrev_b32_e32 v28, 3, v26
	v_lshlrev_b32_e32 v29, 3, v35
	v_or_b32_e32 v28, v29, v28
	v_lshlrev_b32_e32 v28, 4, v28
	v_and_b32_e32 v29, 0x78, v29
	v_xor_b32_e32 v29, v28, v29
	v_lshlrev_b32_e32 v28, 7, v27
.LBB677_33:
	s_lshl_b64 s[0:1], s[44:45], 8
	s_add_u32 s12, s12, s0
	s_movk_i32 s0, 0x1000
	v_and_or_b32 v27, v28, s0, v29
	s_waitcnt vmcnt(1)
	ds_write_b64 v29, v[14:15] offset:16384
	v_xor_b32_e32 v14, 8, v29
	ds_write_b64 v14, v[16:17] offset:16384
	s_waitcnt vmcnt(0)
	ds_write_b64 v29, v[10:11] offset:24576
	ds_write_b64 v14, v[12:13] offset:24576
	;; [unrolled: 1-line block ×3, first 2 shown]
	v_xor_b32_e32 v10, 8, v27
	ds_write_b64 v10, v[24:25] offset:16384
	ds_write_b64 v27, v[18:19] offset:24576
	;; [unrolled: 1-line block ×3, first 2 shown]
	v_or_b32_e32 v10, v49, v52
	v_lshlrev_b32_e32 v10, 3, v10
	v_lshrrev_b32_e32 v12, 5, v50
	s_movk_i32 s20, 0xf8
	v_and_or_b32 v12, v10, s20, v12
	v_lshlrev_b32_e32 v45, 11, v48
	v_lshlrev_b32_e32 v20, 4, v12
	v_and_b32_e32 v21, 0x78, v10
	v_and_b32_e32 v22, 0x1000, v45
	v_lshlrev_b32_e32 v11, 2, v0
	v_xor_b32_e32 v10, v20, v21
	v_lshrrev_b32_e32 v12, 1, v50
	v_and_b32_e32 v11, 60, v11
	v_or_b32_e32 v10, v10, v22
	v_and_b32_e32 v23, 8, v12
	v_xor_b32_e32 v36, v10, v23
	v_lshl_or_b32 v10, v51, 6, v11
	v_lshlrev_b32_e32 v46, 1, v10
	v_or_b32_e32 v10, 32, v20
	v_xor_b32_e32 v10, v10, v21
	s_waitcnt lgkmcnt(0)
	s_barrier
	ds_read_b64 v[18:19], v36 offset:16384
	v_or_b32_e32 v10, v10, v22
	v_xor_b32_e32 v37, v10, v23
	v_or_b32_e32 v10, 64, v20
	v_xor_b32_e32 v10, v10, v21
	v_or_b32_e32 v10, v10, v22
	v_or_b32_e32 v20, 0x60, v20
	v_xor_b32_e32 v38, v10, v23
	ds_read2st64_b64 v[10:13], v46 offset0:72 offset1:73
	ds_read2st64_b64 v[14:17], v46 offset0:74 offset1:75
	v_xor_b32_e32 v24, v20, v21
	ds_read_b64 v[20:21], v37 offset:16384
	s_waitcnt lgkmcnt(2)
	v_mfma_f32_16x16x16_bf16 a[0:3], v[18:19], v[10:11], 0
	s_addc_u32 s13, s13, s1
	s_add_i32 s2, s41, -1
	s_add_i32 s0, s49, s48
	s_add_i32 s43, s0, s50
	s_mul_i32 s0, s46, s27
	s_mul_hi_u32 s1, s46, s26
	s_ashr_i32 s3, s2, 31
	s_mul_i32 s14, s2, s11
	s_mul_hi_u32 s15, s2, s10
	s_add_i32 s0, s1, s0
	s_mul_i32 s1, s25, s26
	s_add_i32 s14, s15, s14
	s_mul_i32 s3, s3, s10
	v_or_b32_e32 v22, v24, v22
	s_add_i32 s1, s0, s1
	s_add_i32 s3, s14, s3
	s_lshl_b64 s[14:15], s[42:43], 2
	v_xor_b32_e32 v47, v22, v23
	ds_read_b64 v[22:23], v38 offset:16384
	ds_read_b64 v[24:25], v47 offset:16384
	s_waitcnt lgkmcnt(2)
	v_mfma_f32_16x16x16_bf16 a[0:3], v[20:21], v[12:13], a[0:3]
	s_mul_i32 s0, s46, s26
	s_add_u32 s14, s18, s14
	s_addc_u32 s15, s19, s15
	s_lshl_b64 s[0:1], s[0:1], 2
	s_mul_i32 s2, s2, s10
	s_add_u32 s18, s14, s0
	s_addc_u32 s19, s15, s1
	s_lshl_b64 s[0:1], s[2:3], 2
	s_waitcnt lgkmcnt(1)
	v_mfma_f32_16x16x16_bf16 a[0:3], v[22:23], v[14:15], a[0:3]
	s_add_u32 s0, s18, s0
	s_addc_u32 s1, s19, s1
	s_load_dword s20, s[0:1], 0x0
	s_waitcnt lgkmcnt(0)
	v_mfma_f32_16x16x16_bf16 a[0:3], v[24:25], v[16:17], a[0:3]
	s_and_b64 vcc, exec, s[38:39]
	s_cbranch_vccz .LBB677_44
; %bb.34:
	v_lshlrev_b32_e32 v27, 1, v35
	s_and_b64 vcc, exec, s[4:5]
	s_cbranch_vccz .LBB677_45
; %bb.35:
	v_cmp_gt_i32_e32 vcc, s51, v27
	v_mov_b32_e32 v14, 0
	v_mov_b32_e32 v10, 0
	;; [unrolled: 1-line block ×5, first 2 shown]
	s_and_saveexec_b64 s[0:1], vcc
	s_cbranch_execz .LBB677_37
; %bb.36:
	v_mad_i64_i32 v[10:11], s[2:3], s23, v27, 0
	v_lshl_add_u64 v[10:11], v[10:11], 1, s[12:13]
	v_lshlrev_b32_e32 v12, 1, v26
	v_mov_b32_e32 v13, 0
	v_lshl_add_u64 v[10:11], v[10:11], 0, v[12:13]
	global_load_dwordx4 v[10:13], v[10:11], off
.LBB677_37:
	s_or_b64 exec, exec, s[0:1]
	v_or_b32_e32 v28, 1, v27
	v_cmp_gt_i32_e64 s[0:1], s51, v28
	v_mov_b32_e32 v15, 0
	v_mov_b32_e32 v16, 0
	;; [unrolled: 1-line block ×3, first 2 shown]
	s_and_saveexec_b64 s[2:3], s[0:1]
	s_cbranch_execz .LBB677_39
; %bb.38:
	v_mad_i64_i32 v[14:15], s[14:15], s23, v28, 0
	v_lshl_add_u64 v[14:15], v[14:15], 1, s[12:13]
	v_lshlrev_b32_e32 v16, 1, v26
	v_mov_b32_e32 v17, 0
	v_lshl_add_u64 v[14:15], v[14:15], 0, v[16:17]
	global_load_dwordx4 v[14:17], v[14:15], off
.LBB677_39:
	s_or_b64 exec, exec, s[2:3]
	v_mov_b32_e32 v25, 0
	v_mov_b32_e32 v18, 0
	;; [unrolled: 1-line block ×5, first 2 shown]
	s_and_saveexec_b64 s[2:3], vcc
	s_cbranch_execz .LBB677_41
; %bb.40:
	v_mad_i64_i32 v[18:19], s[14:15], s23, v27, 0
	v_lshl_add_u64 v[18:19], v[18:19], 1, s[12:13]
	v_lshlrev_b32_e32 v20, 1, v26
	v_mov_b32_e32 v21, 0
	v_lshl_add_u64 v[18:19], v[18:19], 0, v[20:21]
	global_load_dwordx4 v[18:21], v[18:19], off offset:128
.LBB677_41:
	s_or_b64 exec, exec, s[2:3]
	v_mov_b32_e32 v24, 0
	v_mov_b32_e32 v23, 0
	;; [unrolled: 1-line block ×3, first 2 shown]
	s_and_saveexec_b64 s[2:3], s[0:1]
	s_cbranch_execz .LBB677_43
; %bb.42:
	v_mad_i64_i32 v[22:23], s[0:1], s23, v28, 0
	v_lshl_add_u64 v[22:23], v[22:23], 1, s[12:13]
	v_lshlrev_b32_e32 v24, 1, v26
	v_mov_b32_e32 v25, 0
	v_lshl_add_u64 v[22:23], v[22:23], 0, v[24:25]
	global_load_dwordx4 v[22:25], v[22:23], off offset:128
.LBB677_43:
	s_or_b64 exec, exec, s[2:3]
	s_branch .LBB677_47
.LBB677_44:
                                        ; implicit-def: $vgpr13
                                        ; implicit-def: $vgpr17
                                        ; implicit-def: $vgpr21
                                        ; implicit-def: $vgpr25
	v_lshrrev_b32_e32 v50, 2, v50
	s_branch .LBB677_48
.LBB677_45:
                                        ; implicit-def: $vgpr13
                                        ; implicit-def: $vgpr17
                                        ; implicit-def: $vgpr21
                                        ; implicit-def: $vgpr25
	s_cbranch_execz .LBB677_47
; %bb.46:
	s_waitcnt vmcnt(0)
	v_mad_u64_u32 v[10:11], s[0:1], v27, s23, v[26:27]
	v_lshlrev_b32_e32 v27, 1, v10
	s_lshl_b32 s2, s23, 7
	s_and_b32 s1, s13, 0xffff
	s_mov_b32 s3, 0x20000
	s_mov_b32 s0, s12
	v_add_lshl_u32 v28, v10, s23, 1
	s_movk_i32 s14, 0x80
	buffer_load_dwordx4 v[10:13], v27, s[0:3], 0 offen
	buffer_load_dwordx4 v[18:21], v27, s[0:3], s14 offen
	;; [unrolled: 1-line block ×4, first 2 shown]
.LBB677_47:
	v_lshrrev_b32_e32 v50, 2, v50
	s_cbranch_execnz .LBB677_60
.LBB677_48:
	s_and_b64 vcc, exec, s[4:5]
	s_cbranch_vccz .LBB677_58
; %bb.49:
	s_waitcnt vmcnt(0)
	v_lshlrev_b32_e32 v15, 1, v35
	v_cmp_gt_i32_e32 vcc, s51, v15
	v_mov_b32_e32 v14, 0
	v_lshlrev_b32_e32 v22, 9, v35
	v_mov_b32_e32 v10, 0
	v_mov_b32_e32 v11, 0
	;; [unrolled: 1-line block ×4, first 2 shown]
	s_and_saveexec_b64 s[0:1], vcc
	s_cbranch_execz .LBB677_51
; %bb.50:
	v_mov_b32_e32 v23, 0
	v_lshl_add_u64 v[10:11], s[12:13], 0, v[22:23]
	v_lshlrev_b32_e32 v12, 1, v26
	v_mov_b32_e32 v13, v23
	v_lshl_add_u64 v[10:11], v[10:11], 0, v[12:13]
	global_load_dwordx4 v[10:13], v[10:11], off
.LBB677_51:
	s_or_b64 exec, exec, s[0:1]
	v_or_b32_e32 v15, 1, v15
	v_cmp_gt_i32_e64 s[0:1], s51, v15
	v_lshlrev_b32_e32 v28, 8, v15
	v_mov_b32_e32 v15, 0
	v_mov_b32_e32 v16, 0
	;; [unrolled: 1-line block ×3, first 2 shown]
	s_and_saveexec_b64 s[2:3], s[0:1]
	s_cbranch_execz .LBB677_53
; %bb.52:
	v_mov_b32_e32 v29, 0
	v_lshl_add_u64 v[14:15], s[12:13], 0, v[28:29]
	v_lshlrev_b32_e32 v16, 1, v26
	v_mov_b32_e32 v17, v29
	v_lshl_add_u64 v[14:15], v[14:15], 0, v[16:17]
	global_load_dwordx4 v[14:17], v[14:15], off
.LBB677_53:
	s_or_b64 exec, exec, s[2:3]
	v_mov_b32_e32 v25, 0
	v_mov_b32_e32 v18, 0
	;; [unrolled: 1-line block ×5, first 2 shown]
	s_and_saveexec_b64 s[2:3], vcc
	s_cbranch_execz .LBB677_55
; %bb.54:
	v_mov_b32_e32 v23, 0
	v_lshl_add_u64 v[18:19], s[12:13], 0, v[22:23]
	v_lshlrev_b32_e32 v22, 1, v26
	v_lshl_add_u64 v[18:19], v[18:19], 0, v[22:23]
	global_load_dwordx4 v[18:21], v[18:19], off offset:128
.LBB677_55:
	s_or_b64 exec, exec, s[2:3]
	v_mov_b32_e32 v24, 0
	v_mov_b32_e32 v23, 0
	;; [unrolled: 1-line block ×3, first 2 shown]
	s_and_saveexec_b64 s[2:3], s[0:1]
	s_cbranch_execz .LBB677_57
; %bb.56:
	v_mov_b32_e32 v29, 0
	v_lshl_add_u64 v[22:23], s[12:13], 0, v[28:29]
	v_lshlrev_b32_e32 v28, 1, v26
	v_lshl_add_u64 v[22:23], v[22:23], 0, v[28:29]
	global_load_dwordx4 v[22:25], v[22:23], off offset:128
.LBB677_57:
	s_or_b64 exec, exec, s[2:3]
	s_branch .LBB677_60
.LBB677_58:
                                        ; implicit-def: $vgpr13
                                        ; implicit-def: $vgpr17
                                        ; implicit-def: $vgpr21
                                        ; implicit-def: $vgpr25
	s_cbranch_execz .LBB677_60
; %bb.59:
	s_waitcnt vmcnt(0)
	v_lshlrev_b32_e32 v10, 1, v26
	v_lshl_or_b32 v26, v35, 9, v10
	s_and_b32 s13, s13, 0xffff
	s_mov_b32 s15, 0x20000
	s_movk_i32 s14, 0x4000
	s_movk_i32 s0, 0x80
	buffer_load_dwordx4 v[10:13], v26, s[12:15], 0 offen
	buffer_load_dwordx4 v[14:17], v26, s[12:15], 0 offen offset:256
	buffer_load_dwordx4 v[18:21], v26, s[12:15], s0 offen
	buffer_load_dwordx4 v[22:25], v26, s[12:15], s0 offen offset:256
.LBB677_60:
	ds_read2st64_b64 v[30:33], v46 offset0:76 offset1:77
	ds_read2st64_b64 v[26:29], v46 offset0:78 offset1:79
	ds_read_b64 v[42:43], v36 offset:24576
	ds_read_b64 v[40:41], v37 offset:24576
	;; [unrolled: 1-line block ×4, first 2 shown]
	v_and_b32_e32 v47, 6, v0
	v_xor_b32_e32 v35, v35, v47
	v_lshlrev_b32_e32 v35, 2, v35
	v_and_b32_e32 v51, 1, v0
	v_xor_b32_e32 v52, 0x440, v35
	v_cmp_eq_u32_e32 vcc, 0, v51
	s_mov_b32 s0, 0x1000504
	s_waitcnt vmcnt(0)
	v_perm_b32 v51, v18, v22, s0
	v_cndmask_b32_e32 v35, v52, v35, vcc
	v_lshl_or_b32 v35, v47, 10, v35
	v_perm_b32 v47, v10, v14, s0
	ds_write2st64_b32 v35, v47, v51 offset1:32
	v_xor_b32_e32 v47, 8, v35
	s_mov_b32 s1, 0x3020706
	v_perm_b32 v10, v10, v14, s1
	v_perm_b32 v14, v18, v22, s1
	v_add_u32_e32 v18, 0x80, v47
	ds_write2st64_b32 v18, v10, v14 offset1:32
	v_xor_b32_e32 v10, 16, v35
	v_perm_b32 v14, v11, v15, s0
	v_perm_b32 v18, v19, v23, s0
	ds_write2st64_b32 v10, v14, v18 offset0:1 offset1:33
	v_xor_b32_e32 v10, 24, v35
	v_perm_b32 v11, v11, v15, s1
	v_perm_b32 v14, v19, v23, s1
	v_add_u32_e32 v10, 0x80, v10
	ds_write2st64_b32 v10, v11, v14 offset0:1 offset1:33
	v_xor_b32_e32 v10, 32, v35
	v_perm_b32 v11, v12, v16, s0
	v_perm_b32 v14, v20, v24, s0
	ds_write2st64_b32 v10, v11, v14 offset0:2 offset1:34
	v_xor_b32_e32 v10, 40, v35
	v_perm_b32 v11, v12, v16, s1
	v_perm_b32 v12, v20, v24, s1
	v_add_u32_e32 v10, 0x80, v10
	ds_write2st64_b32 v10, v11, v12 offset0:2 offset1:34
	v_xor_b32_e32 v10, 48, v35
	v_perm_b32 v11, v13, v17, s0
	v_perm_b32 v12, v21, v25, s0
	ds_write2st64_b32 v10, v11, v12 offset0:3 offset1:35
	v_xor_b32_e32 v10, 56, v35
	v_and_or_b32 v18, v50, 12, v49
	v_perm_b32 v11, v13, v17, s1
	v_perm_b32 v12, v21, v25, s1
	v_add_u32_e32 v10, 0x80, v10
	v_cmp_gt_i32_e64 s[2:3], s51, v18
	v_mov_b32_e32 v20, 0
	v_mov_b32_e32 v25, 0
	ds_write2st64_b32 v10, v11, v12 offset0:3 offset1:35
	s_and_saveexec_b64 s[0:1], s[2:3]
	s_cbranch_execz .LBB677_62
; %bb.61:
	v_add_u32_e32 v10, s24, v18
	v_ashrrev_i32_e32 v11, 31, v10
	v_mul_lo_u32 v12, v11, s10
	v_mul_lo_u32 v13, v10, s11
	v_mad_u64_u32 v[10:11], s[4:5], v10, s10, 0
	v_add3_u32 v11, v11, v13, v12
	v_lshl_add_u64 v[10:11], v[10:11], 2, s[18:19]
	global_load_dword v10, v[10:11], off
	s_waitcnt vmcnt(0)
	v_sub_f32_e32 v10, s20, v10
	v_exp_f32_e32 v25, v10
.LBB677_62:
	s_or_b64 exec, exec, s[0:1]
	v_or_b32_e32 v23, 1, v18
	v_cmp_gt_i32_e64 s[4:5], s51, v23
	s_and_saveexec_b64 s[0:1], s[4:5]
	s_cbranch_execz .LBB677_64
; %bb.63:
	v_add_u32_e32 v10, s24, v23
	v_ashrrev_i32_e32 v11, 31, v10
	v_mul_lo_u32 v12, v11, s10
	v_mul_lo_u32 v13, v10, s11
	v_mad_u64_u32 v[10:11], s[12:13], v10, s10, 0
	v_add3_u32 v11, v11, v13, v12
	v_lshl_add_u64 v[10:11], v[10:11], 2, s[18:19]
	global_load_dword v10, v[10:11], off
	s_waitcnt vmcnt(0)
	v_sub_f32_e32 v10, s20, v10
	v_exp_f32_e32 v20, v10
.LBB677_64:
	s_or_b64 exec, exec, s[0:1]
	v_or_b32_e32 v22, 2, v18
	v_cmp_gt_i32_e64 s[0:1], s51, v22
	v_mov_b32_e32 v19, 0
	v_mov_b32_e32 v24, 0
	s_and_saveexec_b64 s[12:13], s[0:1]
	s_cbranch_execz .LBB677_66
; %bb.65:
	v_add_u32_e32 v10, s24, v22
	v_ashrrev_i32_e32 v11, 31, v10
	v_mul_lo_u32 v12, v11, s10
	v_mul_lo_u32 v13, v10, s11
	v_mad_u64_u32 v[10:11], s[14:15], v10, s10, 0
	v_add3_u32 v11, v11, v13, v12
	v_lshl_add_u64 v[10:11], v[10:11], 2, s[18:19]
	global_load_dword v10, v[10:11], off
	s_waitcnt vmcnt(0)
	v_sub_f32_e32 v10, s20, v10
	v_exp_f32_e32 v24, v10
.LBB677_66:
	s_or_b64 exec, exec, s[12:13]
	v_or_b32_e32 v21, 3, v18
	v_cmp_gt_i32_e32 vcc, s51, v21
	s_and_saveexec_b64 s[12:13], vcc
	s_cbranch_execz .LBB677_68
; %bb.67:
	v_add_u32_e32 v10, s24, v21
	v_ashrrev_i32_e32 v11, 31, v10
	v_mul_lo_u32 v12, v11, s10
	v_mul_lo_u32 v13, v10, s11
	v_mad_u64_u32 v[10:11], s[10:11], v10, s10, 0
	v_add3_u32 v11, v11, v13, v12
	v_lshl_add_u64 v[10:11], v[10:11], 2, s[18:19]
	global_load_dword v10, v[10:11], off
	s_waitcnt vmcnt(0)
	v_sub_f32_e32 v10, s20, v10
	v_exp_f32_e32 v19, v10
.LBB677_68:
	s_or_b64 exec, exec, s[12:13]
	s_waitcnt lgkmcnt(11)
	v_mfma_f32_16x16x16_bf16 a[0:3], v[42:43], v[30:31], a[0:3]
	s_add_u32 s10, s16, s36
	s_addc_u32 s11, s17, s37
	v_ashrrev_i32_e32 v35, 31, v34
	s_waitcnt lgkmcnt(10)
	v_mfma_f32_16x16x16_bf16 a[0:3], v[40:41], v[32:33], a[0:3]
	s_add_u32 s6, s6, s36
	v_lshlrev_b64 v[10:11], 1, v[34:35]
	s_addc_u32 s7, s7, s37
	s_waitcnt lgkmcnt(9)
	v_mfma_f32_16x16x16_bf16 a[0:3], v[38:39], v[26:27], a[0:3]
	v_lshl_add_u64 v[14:15], s[10:11], 0, v[10:11]
	v_lshl_add_u64 v[16:17], s[6:7], 0, v[10:11]
	v_mov_b32_e32 v26, 0
	s_waitcnt lgkmcnt(8)
	v_mfma_f32_16x16x16_bf16 a[0:3], v[36:37], v[28:29], a[0:3]
	v_mov_b32_e32 v27, 0
	s_nop 5
	v_accvgpr_read_b32 v13, a3
	v_accvgpr_read_b32 v12, a2
	;; [unrolled: 1-line block ×4, first 2 shown]
	s_and_saveexec_b64 s[6:7], s[2:3]
	s_cbranch_execz .LBB677_70
; %bb.69:
	v_lshlrev_b32_e32 v28, 8, v18
	v_mov_b32_e32 v29, 0
	v_lshl_add_u64 v[30:31], v[14:15], 0, v[28:29]
	global_load_ushort v27, v[30:31], off
	v_lshl_add_u64 v[28:29], v[16:17], 0, v[28:29]
	s_waitcnt vmcnt(0)
	v_lshlrev_b32_e32 v27, 16, v27
	v_sub_f32_e32 v10, v27, v10
	global_store_short_d16_hi v[28:29], v10, off
	v_mul_f32_e32 v10, v25, v10
	v_lshrrev_b32_e32 v27, 16, v10
.LBB677_70:
	s_or_b64 exec, exec, s[6:7]
	s_and_saveexec_b64 s[2:3], s[4:5]
	s_cbranch_execz .LBB677_72
; %bb.71:
	v_lshlrev_b32_e32 v28, 8, v23
	v_mov_b32_e32 v29, 0
	v_lshl_add_u64 v[30:31], v[14:15], 0, v[28:29]
	global_load_ushort v10, v[30:31], off
	v_lshl_add_u64 v[28:29], v[16:17], 0, v[28:29]
	s_waitcnt vmcnt(0)
	v_lshlrev_b32_e32 v10, 16, v10
	v_sub_f32_e32 v10, v10, v11
	global_store_short_d16_hi v[28:29], v10, off
	v_mul_f32_e32 v10, v20, v10
	v_lshrrev_b32_e32 v26, 16, v10
.LBB677_72:
	s_or_b64 exec, exec, s[2:3]
	v_mov_b32_e32 v11, 0
	v_mov_b32_e32 v20, 0
	s_and_saveexec_b64 s[2:3], s[0:1]
	s_cbranch_execz .LBB677_74
; %bb.73:
	v_lshlrev_b32_e32 v22, 8, v22
	v_mov_b32_e32 v23, 0
	v_lshl_add_u64 v[28:29], v[14:15], 0, v[22:23]
	global_load_ushort v10, v[28:29], off
	v_lshl_add_u64 v[22:23], v[16:17], 0, v[22:23]
	s_waitcnt vmcnt(0)
	v_lshlrev_b32_e32 v10, 16, v10
	v_sub_f32_e32 v10, v10, v12
	global_store_short_d16_hi v[22:23], v10, off
	v_mul_f32_e32 v10, v24, v10
	v_lshrrev_b32_e32 v20, 16, v10
.LBB677_74:
	s_or_b64 exec, exec, s[2:3]
	v_or_b32_e32 v10, 0x9800, v46
	s_and_saveexec_b64 s[0:1], vcc
	s_cbranch_execz .LBB677_76
; %bb.75:
	v_lshlrev_b32_e32 v22, 8, v21
	v_mov_b32_e32 v23, 0
	v_lshl_add_u64 v[14:15], v[14:15], 0, v[22:23]
	global_load_ushort v11, v[14:15], off
	v_lshl_add_u64 v[14:15], v[16:17], 0, v[22:23]
	s_waitcnt vmcnt(0)
	v_lshlrev_b32_e32 v11, 16, v11
	v_sub_f32_e32 v11, v11, v13
	global_store_short_d16_hi v[14:15], v11, off
	v_mul_f32_e32 v11, v19, v11
	v_lshrrev_b32_e32 v11, 16, v11
.LBB677_76:
	s_or_b64 exec, exec, s[0:1]
	s_mov_b32 s0, 0x5040100
	v_perm_b32 v13, v11, v20, s0
	v_lshlrev_b32_e32 v11, 1, v44
	v_perm_b32 v12, v26, v27, s0
	v_lshl_or_b32 v11, v18, 5, v11
	s_movk_i32 s0, 0xff
	ds_write_b64 v11, v[12:13] offset:38912
	v_and_b32_e32 v11, 7, v0
	v_and_b32_e32 v12, 8, v0
	v_cmp_lt_u32_e32 vcc, s0, v0
	v_lshrrev_b32_e32 v0, 1, v0
	v_lshlrev_b32_e32 v22, 3, v11
	v_lshlrev_b32_e32 v23, 7, v11
	v_cndmask_b32_e64 v11, 0, 1, vcc
	v_lshlrev_b32_e32 v25, 3, v48
	v_and_b32_e32 v0, 24, v0
	v_lshlrev_b32_e32 v24, 13, v11
	v_xor_b32_e32 v11, v25, v0
	v_or_b32_e32 v13, 0x440, v11
	v_cmp_eq_u32_e32 vcc, 0, v12
	s_waitcnt lgkmcnt(0)
	s_barrier
	v_cndmask_b32_e32 v11, v13, v11, vcc
	v_or_b32_e32 v11, v11, v45
	v_xad_u32 v26, v11, v22, v23
	v_add_u32_e32 v11, v24, v26
	ds_read_b64 v[20:21], v11
	ds_read2st64_b64 v[12:15], v10 offset1:1
	ds_read2st64_b64 v[16:19], v10 offset0:2 offset1:3
	v_or_b32_e32 v10, 32, v0
	v_xor_b32_e32 v10, v25, v10
	v_or_b32_e32 v11, 0x440, v10
	v_cndmask_b32_e32 v10, v11, v10, vcc
	v_or_b32_e32 v10, v10, v45
	v_xad_u32 v27, v10, v22, v23
	v_add_u32_e32 v10, v24, v27
	ds_read_b64 v[10:11], v10
	s_waitcnt lgkmcnt(2)
	v_mfma_f32_16x16x16_bf16 a[0:3], v[20:21], v[12:13], 0
	s_waitcnt lgkmcnt(0)
	v_mfma_f32_16x16x16_bf16 a[0:3], v[10:11], v[14:15], a[0:3]
	v_or_b32_e32 v10, 64, v0
	v_xor_b32_e32 v10, v25, v10
	v_xor_b32_e32 v11, 0x440, v10
	v_cndmask_b32_e32 v10, v11, v10, vcc
	v_or_b32_e32 v10, v10, v45
	v_or_b32_e32 v0, 0x60, v0
	v_xad_u32 v28, v10, v22, v23
	v_xor_b32_e32 v0, v25, v0
	v_add_u32_e32 v10, v24, v28
	v_xor_b32_e32 v20, 0x440, v0
	ds_read_b64 v[10:11], v10
	v_cndmask_b32_e32 v0, v20, v0, vcc
	v_or_b32_e32 v0, v0, v45
	v_xad_u32 v0, v0, v22, v23
	v_add_u32_e32 v20, v24, v0
	ds_read_b64 v[20:21], v20
	s_waitcnt lgkmcnt(1)
	v_mfma_f32_16x16x16_bf16 a[0:3], v[10:11], v[16:17], a[0:3]
	ds_read_b64 v[10:11], v26 offset:8192
	ds_read_b64 v[22:23], v28 offset:8192
	v_exp_f32_e32 v24, s20
	s_waitcnt lgkmcnt(2)
	v_mfma_f32_16x16x16_bf16 a[0:3], v[20:21], v[18:19], a[0:3]
	ds_read_b64 v[20:21], v27 offset:8192
	s_waitcnt lgkmcnt(2)
	v_mfma_f32_16x16x16_bf16 a[4:7], v[10:11], v[12:13], 0
	s_nop 3
	v_accvgpr_read_b32 v10, a0
	v_fma_f32 v12, v2, v24, v10
	ds_read_b64 v[10:11], v0 offset:8192
	s_waitcnt lgkmcnt(1)
	v_mfma_f32_16x16x16_bf16 a[4:7], v[20:21], v[14:15], a[4:7]
	v_accvgpr_read_b32 v0, a1
	v_fma_f32 v13, v3, v24, v0
	v_accvgpr_read_b32 v0, a2
	v_mfma_f32_16x16x16_bf16 a[4:7], v[22:23], v[16:17], a[4:7]
	v_accvgpr_read_b32 v15, a3
	v_fma_f32 v14, v4, v24, v0
	v_fmac_f32_e32 v15, v5, v24
	s_waitcnt lgkmcnt(0)
	v_mfma_f32_16x16x16_bf16 a[0:3], v[10:11], v[18:19], a[4:7]
	v_mov_b32_e32 v10, v34
	s_nop 5
	v_accvgpr_read_b32 v0, a0
	v_fma_f32 v16, v6, v24, v0
	v_accvgpr_read_b32 v0, a1
	v_fma_f32 v17, v7, v24, v0
	v_accvgpr_read_b32 v0, a2
	v_accvgpr_read_b32 v19, a3
	v_fma_f32 v18, v8, v24, v0
	v_fmac_f32_e32 v19, v9, v24
	v_mov_b64_e32 v[2:3], v[12:13]
	v_mov_b64_e32 v[4:5], v[14:15]
	;; [unrolled: 1-line block ×4, first 2 shown]
.LBB677_77:
	s_mul_i32 s0, s47, s35
	s_mul_hi_u32 s1, s47, s34
	s_add_i32 s0, s1, s0
	s_mul_i32 s1, s33, s34
	s_add_i32 s1, s0, s1
	s_mul_i32 s0, s47, s34
	s_add_u32 s0, s0, s46
	s_addc_u32 s1, s1, s25
	s_lshl_b64 s[0:1], s[0:1], 16
	s_add_u32 s0, s8, s0
	v_lshlrev_b32_e32 v10, 7, v10
	s_addc_u32 s1, s9, s1
	v_ashrrev_i32_e32 v11, 31, v10
	v_lshl_add_u64 v[10:11], v[10:11], 2, s[0:1]
	v_lshlrev_b32_e32 v0, 2, v1
	v_mov_b32_e32 v1, 0
	v_lshl_add_u64 v[0:1], v[10:11], 0, v[0:1]
	global_store_dwordx4 v[0:1], v[2:5], off
	global_store_dwordx4 v[0:1], v[6:9], off offset:256
	s_endpgm
	.section	.rodata,"a",@progbits
	.p2align	6, 0x0
	.amdhsa_kernel _ZN12_GLOBAL__N_139chunk_gated_delta_rule_fwd_h_hip_kernelILi16ELb0ELb1ELb1ELb1ELb1ELb0ELb1ELb0EEEvPK12hip_bfloat16S3_S3_PKfS5_PKvPS1_S8_PvPKiSB_iiiiilll
		.amdhsa_group_segment_fixed_size 40960
		.amdhsa_private_segment_fixed_size 0
		.amdhsa_kernarg_size 136
		.amdhsa_user_sgpr_count 2
		.amdhsa_user_sgpr_dispatch_ptr 0
		.amdhsa_user_sgpr_queue_ptr 0
		.amdhsa_user_sgpr_kernarg_segment_ptr 1
		.amdhsa_user_sgpr_dispatch_id 0
		.amdhsa_user_sgpr_kernarg_preload_length 0
		.amdhsa_user_sgpr_kernarg_preload_offset 0
		.amdhsa_user_sgpr_private_segment_size 0
		.amdhsa_uses_dynamic_stack 0
		.amdhsa_enable_private_segment 0
		.amdhsa_system_sgpr_workgroup_id_x 1
		.amdhsa_system_sgpr_workgroup_id_y 1
		.amdhsa_system_sgpr_workgroup_id_z 0
		.amdhsa_system_sgpr_workgroup_info 0
		.amdhsa_system_vgpr_workitem_id 0
		.amdhsa_next_free_vgpr 116
		.amdhsa_next_free_sgpr 66
		.amdhsa_accum_offset 108
		.amdhsa_reserve_vcc 1
		.amdhsa_float_round_mode_32 0
		.amdhsa_float_round_mode_16_64 0
		.amdhsa_float_denorm_mode_32 3
		.amdhsa_float_denorm_mode_16_64 3
		.amdhsa_dx10_clamp 1
		.amdhsa_ieee_mode 1
		.amdhsa_fp16_overflow 0
		.amdhsa_tg_split 0
		.amdhsa_exception_fp_ieee_invalid_op 0
		.amdhsa_exception_fp_denorm_src 0
		.amdhsa_exception_fp_ieee_div_zero 0
		.amdhsa_exception_fp_ieee_overflow 0
		.amdhsa_exception_fp_ieee_underflow 0
		.amdhsa_exception_fp_ieee_inexact 0
		.amdhsa_exception_int_div_zero 0
	.end_amdhsa_kernel
	.section	.text._ZN12_GLOBAL__N_139chunk_gated_delta_rule_fwd_h_hip_kernelILi16ELb0ELb1ELb1ELb1ELb1ELb0ELb1ELb0EEEvPK12hip_bfloat16S3_S3_PKfS5_PKvPS1_S8_PvPKiSB_iiiiilll,"axG",@progbits,_ZN12_GLOBAL__N_139chunk_gated_delta_rule_fwd_h_hip_kernelILi16ELb0ELb1ELb1ELb1ELb1ELb0ELb1ELb0EEEvPK12hip_bfloat16S3_S3_PKfS5_PKvPS1_S8_PvPKiSB_iiiiilll,comdat
.Lfunc_end677:
	.size	_ZN12_GLOBAL__N_139chunk_gated_delta_rule_fwd_h_hip_kernelILi16ELb0ELb1ELb1ELb1ELb1ELb0ELb1ELb0EEEvPK12hip_bfloat16S3_S3_PKfS5_PKvPS1_S8_PvPKiSB_iiiiilll, .Lfunc_end677-_ZN12_GLOBAL__N_139chunk_gated_delta_rule_fwd_h_hip_kernelILi16ELb0ELb1ELb1ELb1ELb1ELb0ELb1ELb0EEEvPK12hip_bfloat16S3_S3_PKfS5_PKvPS1_S8_PvPKiSB_iiiiilll
                                        ; -- End function
	.section	.AMDGPU.csdata,"",@progbits
; Kernel info:
; codeLenInByte = 7804
; NumSgprs: 72
; NumVgprs: 108
; NumAgprs: 8
; TotalNumVgprs: 116
; ScratchSize: 0
; MemoryBound: 0
; FloatMode: 240
; IeeeMode: 1
; LDSByteSize: 40960 bytes/workgroup (compile time only)
; SGPRBlocks: 8
; VGPRBlocks: 14
; NumSGPRsForWavesPerEU: 72
; NumVGPRsForWavesPerEU: 116
; AccumOffset: 108
; Occupancy: 1
; WaveLimiterHint : 1
; COMPUTE_PGM_RSRC2:SCRATCH_EN: 0
; COMPUTE_PGM_RSRC2:USER_SGPR: 2
; COMPUTE_PGM_RSRC2:TRAP_HANDLER: 0
; COMPUTE_PGM_RSRC2:TGID_X_EN: 1
; COMPUTE_PGM_RSRC2:TGID_Y_EN: 1
; COMPUTE_PGM_RSRC2:TGID_Z_EN: 0
; COMPUTE_PGM_RSRC2:TIDIG_COMP_CNT: 0
; COMPUTE_PGM_RSRC3_GFX90A:ACCUM_OFFSET: 26
; COMPUTE_PGM_RSRC3_GFX90A:TG_SPLIT: 0
	.section	.text._ZN12_GLOBAL__N_139chunk_gated_delta_rule_fwd_h_hip_kernelILi16ELb0ELb1ELb0ELb1ELb1ELb0ELb1ELb0EEEvPK12hip_bfloat16S3_S3_PKfS5_PKvPS1_S8_PvPKiSB_iiiiilll,"axG",@progbits,_ZN12_GLOBAL__N_139chunk_gated_delta_rule_fwd_h_hip_kernelILi16ELb0ELb1ELb0ELb1ELb1ELb0ELb1ELb0EEEvPK12hip_bfloat16S3_S3_PKfS5_PKvPS1_S8_PvPKiSB_iiiiilll,comdat
	.globl	_ZN12_GLOBAL__N_139chunk_gated_delta_rule_fwd_h_hip_kernelILi16ELb0ELb1ELb0ELb1ELb1ELb0ELb1ELb0EEEvPK12hip_bfloat16S3_S3_PKfS5_PKvPS1_S8_PvPKiSB_iiiiilll ; -- Begin function _ZN12_GLOBAL__N_139chunk_gated_delta_rule_fwd_h_hip_kernelILi16ELb0ELb1ELb0ELb1ELb1ELb0ELb1ELb0EEEvPK12hip_bfloat16S3_S3_PKfS5_PKvPS1_S8_PvPKiSB_iiiiilll
	.p2align	8
	.type	_ZN12_GLOBAL__N_139chunk_gated_delta_rule_fwd_h_hip_kernelILi16ELb0ELb1ELb0ELb1ELb1ELb0ELb1ELb0EEEvPK12hip_bfloat16S3_S3_PKfS5_PKvPS1_S8_PvPKiSB_iiiiilll,@function
_ZN12_GLOBAL__N_139chunk_gated_delta_rule_fwd_h_hip_kernelILi16ELb0ELb1ELb0ELb1ELb1ELb0ELb1ELb0EEEvPK12hip_bfloat16S3_S3_PKfS5_PKvPS1_S8_PvPKiSB_iiiiilll: ; @_ZN12_GLOBAL__N_139chunk_gated_delta_rule_fwd_h_hip_kernelILi16ELb0ELb1ELb0ELb1ELb1ELb0ELb1ELb0EEEvPK12hip_bfloat16S3_S3_PKfS5_PKvPS1_S8_PvPKiSB_iiiiilll
; %bb.0:
	s_load_dwordx4 s[16:19], s[0:1], 0x5c
	s_abs_i32 s23, s3
	s_ashr_i32 s22, s3, 31
	s_load_dwordx2 s[20:21], s[0:1], 0x50
	s_load_dwordx8 s[4:11], s[0:1], 0x0
	s_load_dwordx4 s[12:15], s[0:1], 0x40
	s_load_dwordx2 s[40:41], s[0:1], 0x30
	s_waitcnt lgkmcnt(0)
	s_abs_i32 s26, s17
	v_cvt_f32_u32_e32 v1, s26
	s_sub_i32 s24, 0, s26
	s_ashr_i32 s33, s17, 31
	s_xor_b32 s22, s22, s33
	v_rcp_iflag_f32_e32 v1, v1
	v_lshrrev_b32_e32 v46, 6, v0
	v_bfe_u32 v49, v0, 4, 2
	v_lshlrev_b32_e32 v47, 4, v46
	v_mul_f32_e32 v1, 0x4f7ffffe, v1
	v_cvt_u32_f32_e32 v1, v1
	v_lshlrev_b32_e32 v10, 2, v49
	v_and_b32_e32 v48, 63, v0
	v_mov_b32_e32 v9, 0
	v_readfirstlane_b32 s25, v1
	s_mul_i32 s24, s24, s25
	s_mul_hi_u32 s24, s25, s24
	s_add_i32 s25, s25, s24
	s_mul_hi_u32 s24, s23, s25
	s_mul_i32 s25, s24, s26
	s_sub_i32 s23, s23, s25
	s_add_i32 s27, s24, 1
	s_sub_i32 s25, s23, s26
	s_cmp_ge_u32 s23, s26
	s_cselect_b32 s24, s27, s24
	s_cselect_b32 s23, s25, s23
	s_add_i32 s25, s24, 1
	s_cmp_ge_u32 s23, s26
	s_cselect_b32 s23, s25, s24
	s_xor_b32 s23, s23, s22
	s_sub_i32 s34, s23, s22
	s_mul_i32 s22, s34, s17
	s_ashr_i32 s35, s34, 31
	s_sub_i32 s44, s3, s22
	s_lshl_b64 s[22:23], s[34:35], 2
	s_add_u32 s14, s14, s22
	s_addc_u32 s15, s15, s23
	s_add_u32 s24, s20, s22
	s_addc_u32 s25, s21, s23
	s_abs_i32 s3, s18
	v_cvt_f32_u32_e32 v1, s3
	s_load_dwordx2 s[36:37], s[14:15], 0x0
	s_sub_i32 s15, 0, s3
	s_mov_b32 s45, s17
	v_rcp_iflag_f32_e32 v1, v1
	v_and_b32_e32 v50, 15, v0
	s_waitcnt lgkmcnt(0)
	s_sub_i32 s49, s37, s36
	s_ashr_i32 s14, s49, 31
	v_mul_f32_e32 v1, 0x4f7ffffe, v1
	v_cvt_u32_f32_e32 v1, v1
	s_lshr_b32 s14, s14, 26
	s_add_i32 s14, s49, s14
	s_ashr_i32 s50, s14, 6
	v_readfirstlane_b32 s20, v1
	s_mul_i32 s15, s15, s20
	s_mul_hi_u32 s15, s20, s15
	s_add_i32 s20, s20, s15
	s_mul_hi_u32 s15, s26, s20
	s_mul_i32 s20, s15, s3
	s_ashr_i32 s14, s18, 31
	s_sub_i32 s20, s26, s20
	s_xor_b32 s14, s33, s14
	s_add_i32 s21, s15, 1
	s_sub_i32 s22, s20, s3
	s_cmp_ge_u32 s20, s3
	s_cselect_b32 s15, s21, s15
	s_cselect_b32 s20, s22, s20
	s_add_i32 s21, s15, 1
	s_cmp_ge_u32 s20, s3
	s_cselect_b32 s3, s21, s15
	s_xor_b32 s3, s3, s14
	s_sub_i32 s3, s3, s14
	s_abs_i32 s26, s3
	v_cvt_f32_u32_e32 v1, s26
	s_load_dwordx2 s[14:15], s[0:1], 0x80
	s_load_dwordx4 s[20:23], s[0:1], 0x70
	s_load_dword s51, s[24:25], 0x0
	s_xor_b32 s0, s44, s3
	v_rcp_iflag_f32_e32 v1, v1
	s_sub_i32 s3, 0, s26
	s_abs_i32 s1, s44
	s_ashr_i32 s0, s0, 31
	v_mul_f32_e32 v1, 0x4f7ffffe, v1
	v_cvt_u32_f32_e32 v1, v1
	s_mul_hi_i32 s52, s44, s16
	s_mul_i32 s53, s44, s16
	v_lshrrev_b32_e32 v52, 3, v48
	v_readfirstlane_b32 s24, v1
	s_mul_i32 s3, s3, s24
	s_mul_hi_u32 s3, s24, s3
	s_add_i32 s24, s24, s3
	s_mul_hi_u32 s3, s1, s24
	s_mul_i32 s24, s3, s26
	s_sub_i32 s1, s1, s24
	s_add_i32 s24, s3, 1
	s_sub_i32 s25, s1, s26
	s_cmp_ge_u32 s1, s26
	s_cselect_b32 s3, s24, s3
	s_cselect_b32 s1, s25, s1
	s_add_i32 s24, s3, 1
	s_cmp_ge_u32 s1, s26
	s_cselect_b32 s1, s24, s3
	s_xor_b32 s1, s1, s0
	s_sub_i32 s54, s1, s0
	v_or_b32_e32 v1, v10, v47
	s_lshl_b32 s2, s2, 4
	v_or_b32_e32 v53, 64, v1
	s_cmp_lt_i32 s49, 64
	v_lshlrev_b32_e32 v51, 3, v0
	s_waitcnt lgkmcnt(0)
	s_mul_i32 s46, s34, s21
	s_mul_hi_u32 s47, s34, s20
	s_mul_i32 s48, s35, s20
	s_mul_i32 s38, s34, s20
	v_mov_b32_e32 v8, v9
	v_mov_b32_e32 v7, v9
	;; [unrolled: 1-line block ×7, first 2 shown]
	s_cbranch_scc1 .LBB678_18
; %bb.1:
	s_ashr_i32 s56, s44, 31
	s_ashr_i32 s1, s36, 31
	s_add_u32 s0, s53, s36
	s_addc_u32 s1, s52, s1
	s_lshl_b64 s[0:1], s[0:1], 8
	v_and_b32_e32 v55, 56, v51
	s_add_u32 s24, s6, s0
	v_lshl_or_b32 v54, v46, 3, v52
	v_lshlrev_b32_e32 v3, 1, v55
	s_addc_u32 s0, s7, s1
	v_lshl_or_b32 v56, v54, 8, v3
	s_and_b32 s25, s0, 0xffff
	s_mov_b32 s27, 0x20000
	s_movk_i32 s26, 0x4000
	s_movk_i32 s0, 0x80
	v_or_b32_e32 v57, 0x2000, v56
	buffer_load_dwordx4 v[4:7], v56, s[24:27], 0 offen
	buffer_load_dwordx4 v[12:15], v56, s[24:27], s0 offen
	;; [unrolled: 1-line block ×4, first 2 shown]
	v_lshlrev_b32_e32 v2, 3, v54
	v_and_or_b32 v9, v0, 7, v2
	v_and_b32_e32 v2, 0x78, v2
	v_lshlrev_b32_e32 v9, 4, v9
	v_xor_b32_e32 v58, v9, v2
	v_mul_lo_u32 v8, v54, s19
	v_or_b32_e32 v59, 0x1000, v58
	v_xor_b32_e32 v2, 8, v58
	s_cmpk_eq_i32 s19, 0x80
	s_mov_b32 s55, s36
	v_xor_b32_e32 v9, 8, v59
	s_cselect_b64 s[0:1], -1, 0
	s_cmpk_lg_i32 s19, 0x80
	s_waitcnt vmcnt(3)
	ds_write_b64 v58, v[4:5] offset:16384
	ds_write_b64 v2, v[6:7] offset:16384
	s_waitcnt vmcnt(2)
	ds_write_b64 v58, v[12:13] offset:24576
	ds_write_b64 v2, v[14:15] offset:24576
	;; [unrolled: 3-line block ×4, first 2 shown]
	v_lshl_add_u32 v2, v8, 1, v55
	s_cbranch_scc0 .LBB678_3
; %bb.2:
	v_lshlrev_b32_e32 v6, 1, v2
	v_add_lshl_u32 v5, v2, s19, 1
	s_lshl_b32 s26, s19, 7
	v_lshl_or_b32 v4, v54, 9, v3
	s_cbranch_execz .LBB678_4
	s_branch .LBB678_5
.LBB678_3:
                                        ; implicit-def: $vgpr5
                                        ; implicit-def: $vgpr6
                                        ; implicit-def: $sgpr26
	v_lshl_or_b32 v4, v54, 9, v3
.LBB678_4:
	v_or_b32_e32 v5, 0x100, v4
	s_movk_i32 s26, 0x4000
	v_mov_b32_e32 v6, v4
.LBB678_5:
	s_mul_i32 s20, s36, s18
	s_ashr_i32 s57, s54, 31
	s_mul_hi_i32 s3, s36, s18
	s_add_u32 s20, s20, s54
	s_addc_u32 s21, s3, s57
	s_lshl_b64 s[20:21], s[20:21], 8
	s_add_u32 s24, s4, s20
	s_addc_u32 s3, s5, s21
	s_and_b32 s25, s3, 0xffff
	s_movk_i32 s58, 0x80
	buffer_load_dwordx4 v[12:15], v6, s[24:27], 0 offen
	buffer_load_dwordx4 v[16:19], v6, s[24:27], s58 offen
	;; [unrolled: 1-line block ×4, first 2 shown]
	v_and_b32_e32 v3, 6, v0
	v_lshlrev_b32_e32 v6, 2, v50
	v_lshlrev_b32_e32 v7, 3, v50
	v_xor_b32_e32 v9, v54, v3
	v_and_b32_e32 v5, 1, v0
	v_lshl_or_b32 v7, v1, 5, v7
	v_xor_b32_e32 v11, v1, v6
	v_lshlrev_b32_e32 v9, 2, v9
	s_mul_i32 s3, s44, s23
	s_mul_hi_u32 s21, s44, s22
	v_or_b32_e32 v60, 0x9000, v7
	v_or_b32_e32 v61, 0x9800, v7
	v_lshlrev_b32_e32 v7, 1, v11
	v_xor_b32_e32 v11, 0x440, v9
	v_cmp_eq_u32_e32 vcc, 0, v5
	s_add_i32 s25, s47, s46
	s_mul_i32 s24, s56, s22
	v_cndmask_b32_e32 v5, v11, v9, vcc
	s_add_i32 s3, s21, s3
	s_add_i32 s39, s25, s48
	s_mov_b32 s59, 0x1000504
	v_lshlrev_b32_e32 v8, 8, v50
	s_mov_b32 s26, 0x8000
	v_xor_b32_e32 v6, v53, v6
	v_lshl_or_b32 v3, v3, 10, v5
	s_add_i32 s21, s3, s24
	s_lshl_b64 s[24:25], s[38:39], 2
	s_mov_b32 s60, 0x3020706
	s_mul_i32 s20, s44, s22
	v_lshlrev_b32_e32 v6, 1, v6
	v_or3_b32 v62, v7, v8, s26
	v_xor_b32_e32 v5, 8, v3
	v_xor_b32_e32 v7, 24, v3
	;; [unrolled: 1-line block ×4, first 2 shown]
	s_add_u32 s3, s10, s24
	v_or3_b32 v63, v6, v8, s26
	v_xor_b32_e32 v6, 16, v3
	v_xor_b32_e32 v8, 32, v3
	;; [unrolled: 1-line block ×3, first 2 shown]
	v_add_u32_e32 v5, 0x80, v5
	v_add_u32_e32 v7, 0x80, v7
	;; [unrolled: 1-line block ×4, first 2 shown]
	s_addc_u32 s24, s11, s25
	s_lshl_b64 s[20:21], s[20:21], 2
	s_add_u32 s20, s3, s20
	s_movk_i32 s3, 0xf8
	s_addc_u32 s21, s24, s21
	s_lshl_b32 s30, s19, 7
	s_mov_b32 s61, 0
	v_add_u32_e32 v78, v47, v10
	s_waitcnt vmcnt(1)
	v_perm_b32 v29, v12, v20, s59
	s_waitcnt vmcnt(0)
	v_perm_b32 v30, v16, v24, s59
	v_perm_b32 v12, v12, v20, s60
	;; [unrolled: 1-line block ×15, first 2 shown]
	ds_write2st64_b32 v3, v29, v30 offset1:32
	ds_write2st64_b32 v5, v12, v16 offset1:32
	ds_write2st64_b32 v6, v20, v24 offset0:1 offset1:33
	ds_write2st64_b32 v7, v13, v17 offset0:1 offset1:33
	;; [unrolled: 1-line block ×6, first 2 shown]
	v_or_b32_e32 v3, v47, v50
	v_lshlrev_b32_e32 v3, 3, v3
	v_lshrrev_b32_e32 v7, 5, v48
	v_and_or_b32 v7, v3, s3, v7
	v_lshlrev_b32_e32 v7, 4, v7
	v_lshlrev_b32_e32 v5, 11, v46
	v_and_b32_e32 v3, 0x78, v3
	v_or_b32_e32 v12, 32, v7
	v_and_b32_e32 v6, 0x1000, v5
	v_lshrrev_b32_e32 v11, 1, v0
	v_xor_b32_e32 v12, v12, v3
	v_and_b32_e32 v9, 8, v11
	v_or_b32_e32 v12, v12, v6
	v_xor_b32_e32 v8, v7, v3
	v_xor_b32_e32 v66, v12, v9
	v_or_b32_e32 v12, 64, v7
	v_or_b32_e32 v7, 0x60, v7
	;; [unrolled: 1-line block ×3, first 2 shown]
	v_xor_b32_e32 v12, v12, v3
	v_xor_b32_e32 v3, v7, v3
	;; [unrolled: 1-line block ×3, first 2 shown]
	v_and_b32_e32 v8, 0x78, v51
	v_or_b32_e32 v12, v12, v6
	v_or_b32_e32 v3, v3, v6
	v_lshl_or_b32 v8, v49, 7, v8
	v_xor_b32_e32 v67, v12, v9
	v_xor_b32_e32 v68, v3, v9
	v_lshlrev_b32_e32 v12, 1, v2
	v_add_lshl_u32 v13, v2, s19, 1
	v_lshrrev_b32_e32 v2, 4, v0
	v_lshlrev_b32_e32 v3, 1, v50
	v_or_b32_e32 v65, 0x9000, v8
	v_or_b32_e32 v69, 0x9800, v8
	s_ashr_i32 s3, s2, 31
	v_or_b32_e32 v8, 1, v3
	v_xor_b32_e32 v3, v2, v3
	s_lshl_b64 s[24:25], s[2:3], 8
	v_xor_b32_e32 v8, v8, v2
	v_lshlrev_b32_e32 v3, 3, v3
	v_lshlrev_b32_e32 v2, 8, v2
	s_add_u32 s24, s40, s24
	v_or3_b32 v70, v3, v2, s26
	v_lshlrev_b32_e32 v3, 3, v8
	s_addc_u32 s25, s41, s25
	v_or3_b32 v71, v3, v2, s26
	v_mov_b32_e32 v3, 0
	v_lshl_add_u64 v[8:9], s[24:25], 0, v[2:3]
	v_lshlrev_b32_e32 v2, 4, v50
	s_movk_i32 s3, 0xff
	v_lshlrev_b32_e32 v16, 3, v46
	v_and_b32_e32 v11, 24, v11
	v_lshl_add_u64 v[42:43], v[8:9], 0, v[2:3]
	v_and_b32_e32 v8, 8, v0
	v_cmp_lt_u32_e32 vcc, s3, v0
	v_xor_b32_e32 v17, v16, v11
	v_or_b32_e32 v18, 0x440, v17
	v_cndmask_b32_e64 v15, 0, 1, vcc
	v_cmp_eq_u32_e32 vcc, 0, v8
	v_and_b32_e32 v2, 7, v0
	v_lshlrev_b32_e32 v9, 3, v2
	v_cndmask_b32_e32 v8, v18, v17, vcc
	v_lshlrev_b32_e32 v2, 7, v2
	v_or_b32_e32 v8, v8, v5
	v_xad_u32 v72, v8, v9, v2
	v_or_b32_e32 v8, 32, v11
	v_xor_b32_e32 v8, v16, v8
	v_or_b32_e32 v17, 0x440, v8
	v_cndmask_b32_e32 v8, v17, v8, vcc
	v_or_b32_e32 v8, v8, v5
	v_xad_u32 v73, v8, v9, v2
	v_or_b32_e32 v8, 64, v11
	v_xor_b32_e32 v8, v16, v8
	v_xor_b32_e32 v17, 0x440, v8
	v_cndmask_b32_e32 v8, v17, v8, vcc
	v_or_b32_e32 v8, v8, v5
	v_xad_u32 v74, v8, v9, v2
	v_or_b32_e32 v8, 0x60, v11
	v_xor_b32_e32 v8, v16, v8
	v_xor_b32_e32 v11, 0x440, v8
	v_or_b32_e32 v6, s2, v50
	v_cndmask_b32_e32 v8, v11, v8, vcc
	v_ashrrev_i32_e32 v7, 31, v6
	v_or_b32_e32 v5, v8, v5
	v_lshl_add_u64 v[6:7], v[6:7], 1, s[8:9]
	v_or_b32_e32 v14, 0x100, v4
	v_lshlrev_b32_e32 v15, 13, v15
	v_xad_u32 v75, v5, v9, v2
	v_lshlrev_b32_e32 v2, 8, v1
	v_cndmask_b32_e64 v76, v12, v4, s[0:1]
	v_cndmask_b32_e64 v77, v13, v14, s[0:1]
	v_lshl_add_u64 v[44:45], v[6:7], 0, v[2:3]
	s_mov_b32 s3, 0x7060302
	s_movk_i32 s26, 0x4000
	v_add_u32_e32 v79, v15, v72
	v_add_u32_e32 v80, v15, v73
	;; [unrolled: 1-line block ×4, first 2 shown]
	v_mov_b32_e32 v2, v3
	v_mov_b32_e32 v4, v3
	;; [unrolled: 1-line block ×7, first 2 shown]
	s_waitcnt lgkmcnt(0)
	s_barrier
.LBB678_6:                              ; =>This Inner Loop Header: Depth=1
	s_add_i32 s39, s61, 1
	s_cmp_lt_i32 s39, s50
	s_mov_b64 s[28:29], 0
	s_cselect_b64 s[42:43], -1, 0
	s_cmp_ge_i32 s39, s50
	s_mov_b64 s[24:25], 0
	s_cbranch_scc1 .LBB678_8
; %bb.7:                                ;   in Loop: Header=BB678_6 Depth=1
	s_add_i32 s0, s55, 64
	s_ashr_i32 s1, s0, 31
	s_add_u32 s0, s53, s0
	s_addc_u32 s1, s52, s1
	s_lshl_b64 s[0:1], s[0:1], 8
	s_add_u32 s24, s6, s0
	s_addc_u32 s25, s7, s1
.LBB678_8:                              ;   in Loop: Header=BB678_6 Depth=1
	v_cndmask_b32_e64 v5, 0, 1, s[42:43]
	v_cmp_ne_u32_e64 s[0:1], 1, v5
	s_andn2_b64 vcc, exec, s[42:43]
	s_cbranch_vccnz .LBB678_10
; %bb.9:                                ;   in Loop: Header=BB678_6 Depth=1
	s_add_i32 s28, s55, 64
	s_mul_hi_i32 s29, s28, s18
	s_mul_i32 s28, s28, s18
	s_add_u32 s28, s28, s54
	s_addc_u32 s29, s29, s57
	s_lshl_b64 s[28:29], s[28:29], 8
	s_add_u32 s28, s4, s28
	s_addc_u32 s29, s5, s29
.LBB678_10:                             ;   in Loop: Header=BB678_6 Depth=1
	v_perm_b32 v11, v84, v4, s3
	v_perm_b32 v10, v3, v2, s3
	;; [unrolled: 1-line block ×4, first 2 shown]
	ds_write_b64 v60, v[10:11]
	ds_write_b64 v61, v[12:13]
	;; [unrolled: 1-line block ×4, first 2 shown]
	s_waitcnt lgkmcnt(0)
	s_barrier
	ds_read_b64 v[18:19], v64 offset:16384
	ds_read_b64 v[20:21], v66 offset:16384
	ds_read2st64_b64 v[10:13], v65 offset1:1
	s_waitcnt lgkmcnt(0)
	v_mfma_f32_16x16x16_bf16 a[0:3], v[18:19], v[10:11], 0
	ds_read2st64_b64 v[14:17], v65 offset0:2 offset1:3
	ds_read_b64 v[22:23], v67 offset:16384
	ds_read_b64 v[10:11], v68 offset:16384
	s_add_i32 s31, s55, 63
	v_mfma_f32_16x16x16_bf16 a[0:3], v[20:21], v[12:13], a[0:3]
	s_ashr_i32 s42, s31, 31
	s_mul_i32 s43, s31, s15
	s_mul_hi_u32 s62, s31, s14
	s_waitcnt lgkmcnt(1)
	v_mfma_f32_16x16x16_bf16 a[0:3], v[22:23], v[14:15], a[0:3]
	s_add_i32 s43, s62, s43
	s_mul_i32 s42, s42, s14
	s_add_i32 s43, s43, s42
	s_mul_i32 s42, s31, s14
	s_waitcnt lgkmcnt(0)
	v_mfma_f32_16x16x16_bf16 a[0:3], v[10:11], v[16:17], a[0:3]
	s_lshl_b64 s[42:43], s[42:43], 2
	s_add_u32 s42, s20, s42
	s_addc_u32 s43, s21, s43
	s_and_b64 vcc, exec, s[0:1]
	v_mov_b32_e32 v85, 0
	v_mov_b32_e32 v9, 0
	;; [unrolled: 1-line block ×19, first 2 shown]
	s_cbranch_vccnz .LBB678_12
; %bb.11:                               ;   in Loop: Header=BB678_6 Depth=1
	s_and_b32 s25, s25, 0xffff
	buffer_load_dwordx4 v[22:25], v56, s[24:27], 0 offen
	buffer_load_dwordx4 v[18:21], v56, s[24:27], s58 offen
	;; [unrolled: 1-line block ×4, first 2 shown]
	v_mov_b32_e32 v9, v58
	v_mov_b32_e32 v5, v59
.LBB678_12:                             ;   in Loop: Header=BB678_6 Depth=1
	s_waitcnt vmcnt(3)
	v_add_u32_e32 v30, s55, v78
	s_waitcnt vmcnt(1)
	v_ashrrev_i32_e32 v26, 31, v30
	v_mul_lo_u32 v28, v26, s14
	v_mul_lo_u32 v29, v30, s15
	v_mad_u64_u32 v[26:27], s[24:25], v30, s14, 0
	v_add3_u32 v27, v27, v29, v28
	v_lshl_add_u64 v[26:27], v[26:27], 2, s[20:21]
	global_load_dword v87, v[26:27], off
	v_add_u32_e32 v26, 1, v30
	v_ashrrev_i32_e32 v27, 31, v26
	v_mul_lo_u32 v28, v27, s14
	v_mul_lo_u32 v29, v26, s15
	v_mad_u64_u32 v[26:27], s[24:25], v26, s14, 0
	v_add3_u32 v27, v27, v29, v28
	v_add_u32_e32 v28, 2, v30
	v_ashrrev_i32_e32 v29, 31, v28
	v_mul_lo_u32 v31, v29, s14
	v_mul_lo_u32 v32, v28, s15
	v_mad_u64_u32 v[28:29], s[24:25], v28, s14, 0
	v_add_u32_e32 v30, 3, v30
	v_add3_u32 v29, v29, v32, v31
	v_ashrrev_i32_e32 v31, 31, v30
	v_mul_lo_u32 v34, v31, s14
	v_mul_lo_u32 v35, v30, s15
	v_mad_u64_u32 v[30:31], s[24:25], v30, s14, 0
	s_ashr_i32 s25, s55, 31
	s_add_u32 s24, s53, s55
	s_addc_u32 s25, s52, s25
	s_lshl_b64 s[24:25], s[24:25], 8
	v_lshl_add_u64 v[26:27], v[26:27], 2, s[20:21]
	v_lshl_add_u64 v[32:33], v[44:45], 0, s[24:25]
	v_add3_u32 v31, v31, v35, v34
	v_lshl_add_u64 v[28:29], v[28:29], 2, s[20:21]
	global_load_ushort v94, v[32:33], off
	global_load_ushort v95, v[32:33], off offset:256
	global_load_ushort v96, v[32:33], off offset:512
	;; [unrolled: 1-line block ×3, first 2 shown]
	v_lshl_add_u64 v[30:31], v[30:31], 2, s[20:21]
	global_load_dword v98, v[26:27], off
	global_load_dword v99, v[28:29], off
	;; [unrolled: 1-line block ×3, first 2 shown]
	s_load_dword s24, s[42:43], 0x0
	ds_read2st64_b64 v[34:37], v69 offset1:1
	ds_read2st64_b64 v[38:41], v69 offset0:2 offset1:3
	ds_read_b64 v[32:33], v64 offset:24576
	ds_read_b64 v[88:89], v66 offset:24576
	ds_read_b64 v[90:91], v67 offset:24576
	ds_read_b64 v[92:93], v68 offset:24576
	s_waitcnt lgkmcnt(0)
	v_mfma_f32_16x16x16_bf16 a[0:3], v[32:33], v[34:35], a[0:3]
	v_mov_b32_e32 v86, 0
	v_mov_b32_e32 v26, 0
	v_mov_b32_e32 v27, 0
	v_mfma_f32_16x16x16_bf16 a[0:3], v[88:89], v[36:37], a[0:3]
	v_mov_b32_e32 v28, 0
	v_mov_b32_e32 v29, 0
	v_mov_b32_e32 v30, 0
	;; [unrolled: 4-line block ×4, first 2 shown]
	v_mov_b32_e32 v37, 0
	v_mov_b32_e32 v38, 0
	;; [unrolled: 1-line block ×3, first 2 shown]
	s_and_b64 vcc, exec, s[0:1]
	v_accvgpr_read_b32 v89, a1
	v_accvgpr_read_b32 v41, a3
	;; [unrolled: 1-line block ×4, first 2 shown]
	s_waitcnt vmcnt(7)
	v_sub_f32_e32 v87, s24, v87
	s_waitcnt vmcnt(6)
	v_lshlrev_b32_e32 v90, 16, v94
	v_exp_f32_e32 v94, v87
	s_waitcnt vmcnt(4)
	v_lshlrev_b32_e32 v92, 16, v96
	s_waitcnt vmcnt(3)
	v_lshlrev_b32_e32 v93, 16, v97
	s_waitcnt vmcnt(2)
	v_sub_f32_e32 v87, s24, v98
	s_waitcnt vmcnt(1)
	v_sub_f32_e32 v96, s24, v99
	;; [unrolled: 2-line block ×3, first 2 shown]
	v_lshlrev_b32_e32 v91, 16, v95
	v_exp_f32_e32 v95, v87
	v_exp_f32_e32 v96, v96
	;; [unrolled: 1-line block ×3, first 2 shown]
	v_pk_add_f32 v[88:89], v[90:91], v[88:89] neg_lo:[0,1] neg_hi:[0,1]
	v_pk_add_f32 v[40:41], v[92:93], v[40:41] neg_lo:[0,1] neg_hi:[0,1]
	v_pk_mul_f32 v[88:89], v[94:95], v[88:89]
	v_pk_mul_f32 v[40:41], v[96:97], v[40:41]
	s_nop 0
	v_perm_b32 v41, v41, v40, s3
	v_perm_b32 v40, v89, v88, s3
	ds_write_b64 v61, v[40:41]
	v_mov_b32_e32 v40, 0
	v_mov_b32_e32 v41, 0
	s_cbranch_vccnz .LBB678_14
; %bb.13:                               ;   in Loop: Header=BB678_6 Depth=1
	s_and_b32 s29, s29, 0xffff
	s_mov_b32 s31, s27
	buffer_load_dwordx4 v[38:41], v76, s[28:31], 0 offen
	buffer_load_dwordx4 v[30:33], v76, s[28:31], s58 offen
	;; [unrolled: 1-line block ×4, first 2 shown]
	v_mov_b32_e32 v85, v55
	v_mov_b32_e32 v86, v54
.LBB678_14:                             ;   in Loop: Header=BB678_6 Depth=1
	s_waitcnt lgkmcnt(0)
	s_barrier
	ds_read_b64 v[96:97], v79
	ds_read2st64_b64 v[88:91], v69 offset1:1
	ds_read2st64_b64 v[92:95], v69 offset0:2 offset1:3
	ds_read_b64 v[98:99], v80
	ds_read_b64 v[100:101], v81
	;; [unrolled: 1-line block ×3, first 2 shown]
	s_waitcnt lgkmcnt(4)
	v_mfma_f32_16x16x16_bf16 a[0:3], v[96:97], v[88:89], 0
	ds_read_b64 v[96:97], v72 offset:8192
	ds_read_b64 v[104:105], v73 offset:8192
	s_add_i32 s25, s51, s61
	s_mul_hi_i32 s29, s25, s45
	s_waitcnt lgkmcnt(1)
	v_mfma_f32_16x16x16_bf16 a[4:7], v[96:97], v[88:89], 0
	s_mul_i32 s25, s25, s45
	s_add_u32 s28, s25, s44
	s_addc_u32 s29, s29, s56
	v_mfma_f32_16x16x16_bf16 a[0:3], v[98:99], v[90:91], a[0:3]
	ds_read_b64 v[96:97], v70
	ds_read_b64 v[98:99], v71
	ds_read_b64 v[88:89], v74 offset:8192
	s_lshl_b64 s[28:29], s[28:29], 15
	v_mfma_f32_16x16x16_bf16 a[0:3], v[100:101], v[92:93], a[0:3]
	ds_read_b64 v[100:101], v75 offset:8192
	s_and_b64 vcc, exec, s[0:1]
	s_waitcnt lgkmcnt(4)
	v_mfma_f32_16x16x16_bf16 a[4:7], v[104:105], v[90:91], a[4:7]
	s_waitcnt lgkmcnt(1)
	v_mfma_f32_16x16x16_bf16 a[4:7], v[88:89], v[92:93], a[4:7]
	v_lshl_add_u64 v[88:89], v[42:43], 0, s[28:29]
	global_store_dwordx4 v[88:89], v[96:99], off
	v_mfma_f32_16x16x16_bf16 a[0:3], v[102:103], v[94:95], a[0:3]
	s_waitcnt lgkmcnt(0)
	v_mfma_f32_16x16x16_bf16 a[4:7], v[100:101], v[94:95], a[4:7]
	s_cbranch_vccnz .LBB678_16
; %bb.15:                               ;   in Loop: Header=BB678_6 Depth=1
	v_lshrrev_b32_e32 v87, 3, v85
	v_and_b32_e32 v87, 6, v87
	v_xor_b32_e32 v86, v87, v86
	v_lshlrev_b32_e32 v86, 2, v86
	v_and_b32_e32 v85, 8, v85
	v_xor_b32_e32 v88, 0x440, v86
	v_cmp_eq_u32_e32 vcc, 0, v85
	s_barrier
	s_nop 0
	v_cndmask_b32_e32 v85, v88, v86, vcc
	v_lshl_or_b32 v85, v87, 10, v85
	s_waitcnt vmcnt(2)
	v_perm_b32 v86, v38, v34, s59
	s_waitcnt vmcnt(1)
	v_perm_b32 v87, v30, v26, s59
	ds_write2st64_b32 v85, v86, v87 offset1:32
	v_xor_b32_e32 v86, 8, v85
	v_perm_b32 v34, v38, v34, s60
	v_perm_b32 v26, v30, v26, s60
	v_add_u32_e32 v30, 0x80, v86
	ds_write2st64_b32 v30, v34, v26 offset1:32
	v_xor_b32_e32 v26, 16, v85
	v_perm_b32 v30, v39, v35, s59
	v_perm_b32 v34, v31, v27, s59
	ds_write2st64_b32 v26, v30, v34 offset0:1 offset1:33
	v_xor_b32_e32 v26, 24, v85
	v_perm_b32 v30, v39, v35, s60
	v_perm_b32 v27, v31, v27, s60
	v_add_u32_e32 v26, 0x80, v26
	ds_write2st64_b32 v26, v30, v27 offset0:1 offset1:33
	v_xor_b32_e32 v26, 32, v85
	v_perm_b32 v27, v40, v36, s59
	v_perm_b32 v30, v32, v28, s59
	ds_write2st64_b32 v26, v27, v30 offset0:2 offset1:34
	v_xor_b32_e32 v26, 40, v85
	v_perm_b32 v27, v40, v36, s60
	v_perm_b32 v28, v32, v28, s60
	v_add_u32_e32 v26, 0x80, v26
	ds_write2st64_b32 v26, v27, v28 offset0:2 offset1:34
	;; [unrolled: 9-line block ×3, first 2 shown]
	ds_write_b64 v9, v[22:23] offset:16384
	v_xor_b32_e32 v22, 8, v9
	ds_write_b64 v22, v[24:25] offset:16384
	ds_write_b64 v9, v[18:19] offset:24576
	;; [unrolled: 1-line block ×4, first 2 shown]
	v_xor_b32_e32 v9, 8, v5
	ds_write_b64 v9, v[16:17] offset:16384
	ds_write_b64 v5, v[10:11] offset:24576
	;; [unrolled: 1-line block ×3, first 2 shown]
.LBB678_16:                             ;   in Loop: Header=BB678_6 Depth=1
	v_exp_f32_e32 v10, s24
	s_nop 2
	v_accvgpr_read_b32 v9, a1
	v_accvgpr_read_b32 v5, a0
	s_add_i32 s55, s55, 64
	v_fma_f32 v3, v3, v10, v9
	v_accvgpr_read_b32 v9, a4
	v_fma_f32 v6, v6, v10, v9
	v_accvgpr_read_b32 v9, a5
	;; [unrolled: 2-line block ×6, first 2 shown]
	v_fmac_f32_e32 v5, v84, v10
	s_cmp_eq_u32 s50, s39
	v_fmac_f32_e32 v9, v83, v10
	s_cbranch_scc1 .LBB678_18
; %bb.17:                               ;   in Loop: Header=BB678_6 Depth=1
	s_mov_b32 s61, s39
	v_mov_b32_e32 v84, v5
	v_mov_b32_e32 v83, v9
	s_branch .LBB678_6
.LBB678_18:
	s_lshl_b32 s3, s50, 6
	s_sub_i32 s49, s49, s3
	s_cmp_gt_i32 s49, 0
	s_waitcnt vmcnt(2)
	v_or_b32_e32 v34, s2, v50
	s_cbranch_scc1 .LBB678_20
; %bb.19:
	s_ashr_i32 s21, s44, 31
	v_or_b32_e32 v10, s2, v50
	s_cbranch_execz .LBB678_21
	s_branch .LBB678_77
.LBB678_20:
                                        ; implicit-def: $vgpr10
                                        ; implicit-def: $sgpr20_sgpr21
.LBB678_21:
	s_add_i32 s20, s3, s36
	s_ashr_i32 s3, s20, 31
	s_cmpk_lg_i32 s19, 0x80
	s_cselect_b64 s[30:31], -1, 0
	s_and_b64 vcc, exec, s[30:31]
	s_cbranch_vccz .LBB678_23
; %bb.22:
	s_mul_hi_i32 s0, s20, s18
	s_mul_i32 s1, s20, s18
	s_ashr_i32 s18, s54, 31
	s_add_u32 s42, s1, s54
	s_addc_u32 s43, s0, s18
	s_cbranch_execz .LBB678_24
	s_branch .LBB678_25
.LBB678_23:
                                        ; implicit-def: $sgpr42_sgpr43
.LBB678_24:
	s_mul_i32 s1, s54, s16
	s_mul_hi_i32 s0, s54, s16
	s_add_u32 s42, s1, s20
	s_addc_u32 s43, s0, s3
.LBB678_25:
	s_add_i32 s16, s50, s51
	s_ashr_i32 s21, s44, 31
	s_add_u32 s0, s53, s20
	s_addc_u32 s1, s52, s3
	s_mov_b32 s3, 0x7060302
	v_lshlrev_b32_e32 v14, 3, v50
	s_lshl_b64 s[28:29], s[0:1], 8
	v_perm_b32 v11, v5, v4, s3
	v_perm_b32 v10, v3, v2, s3
	;; [unrolled: 1-line block ×4, first 2 shown]
	v_lshlrev_b32_e32 v44, 2, v50
	v_lshl_or_b32 v14, v1, 5, v14
	s_add_u32 s0, s6, s28
	ds_write2st64_b64 v14, v[10:11], v[12:13] offset0:72 offset1:76
	v_xor_b32_e32 v14, v1, v44
	v_lshlrev_b32_e32 v15, 8, v50
	s_addc_u32 s1, s7, s29
	v_lshl_or_b32 v14, v14, 1, v15
	s_mul_hi_i32 s3, s16, s17
	s_mul_i32 s16, s16, s17
	ds_write_b64 v14, v[10:11] offset:32768
	v_xor_b32_e32 v10, v53, v44
	s_add_u32 s6, s16, s44
	v_lshl_or_b32 v10, v10, 1, v15
	s_addc_u32 s7, s3, s21
	v_lshlrev_b32_e32 v11, 1, v50
	ds_write_b64 v10, v[12:13] offset:32768
	v_lshrrev_b32_e32 v10, 4, v0
	s_ashr_i32 s3, s2, 31
	s_lshl_b64 s[6:7], s[6:7], 15
	v_or_b32_e32 v12, 1, v11
	s_add_u32 s6, s40, s6
	v_xor_b32_e32 v11, v10, v11
	v_xor_b32_e32 v12, v12, v10
	v_lshlrev_b32_e32 v14, 8, v10
	s_addc_u32 s7, s41, s7
	s_lshl_b64 s[2:3], s[2:3], 8
	v_lshl_or_b32 v10, v11, 3, v14
	v_lshl_or_b32 v12, v12, 3, v14
	s_waitcnt lgkmcnt(0)
	s_barrier
	s_add_u32 s2, s6, s2
	ds_read_b64 v[10:11], v10 offset:32768
	ds_read_b64 v[12:13], v12 offset:32768
	s_addc_u32 s3, s7, s3
	v_mov_b32_e32 v15, 0
	s_cmp_lg_u32 s49, 64
	v_lshl_add_u64 v[16:17], s[2:3], 0, v[14:15]
	v_lshlrev_b32_e32 v14, 4, v50
	s_cselect_b64 s[6:7], -1, 0
	v_lshl_or_b32 v35, v46, 3, v52
	s_mov_b32 s24, 0
	v_lshl_add_u64 v[14:15], v[16:17], 0, v[14:15]
	s_waitcnt vmcnt(1)
	v_or_b32_e32 v27, 32, v35
	v_and_b32_e32 v26, 56, v51
	s_and_b64 vcc, exec, s[6:7]
	s_waitcnt lgkmcnt(0)
	global_store_dwordx4 v[14:15], v[10:13], off
	s_cbranch_vccz .LBB678_31
; %bb.26:
	s_mov_b32 s25, s24
	s_mov_b32 s26, s24
	;; [unrolled: 1-line block ×3, first 2 shown]
	v_mov_b64_e32 v[14:15], s[24:25]
	v_mov_b64_e32 v[16:17], s[26:27]
	;; [unrolled: 1-line block ×3, first 2 shown]
	v_cmp_gt_i32_e32 vcc, s49, v35
	v_mov_b64_e32 v[12:13], v[16:17]
	s_and_saveexec_b64 s[2:3], vcc
	s_cbranch_execz .LBB678_28
; %bb.27:
	v_lshlrev_b32_e32 v10, 8, v35
	v_mov_b32_e32 v11, 0
	v_lshl_add_u64 v[12:13], s[0:1], 0, v[10:11]
	v_lshlrev_b32_e32 v10, 1, v26
	v_lshl_add_u64 v[18:19], v[12:13], 0, v[10:11]
	global_load_dwordx4 v[14:17], v[18:19], off
	global_load_dwordx4 v[10:13], v[18:19], off offset:128
.LBB678_28:
	s_or_b64 exec, exec, s[2:3]
	s_mov_b32 s25, s24
	s_mov_b32 s26, s24
	;; [unrolled: 1-line block ×3, first 2 shown]
	v_mov_b64_e32 v[22:23], s[24:25]
	v_mov_b64_e32 v[24:25], s[26:27]
	;; [unrolled: 1-line block ×3, first 2 shown]
	v_cmp_gt_i32_e32 vcc, s49, v27
	v_lshlrev_b32_e32 v28, 7, v27
	v_mov_b64_e32 v[20:21], v[24:25]
	s_and_saveexec_b64 s[2:3], vcc
	s_cbranch_execz .LBB678_30
; %bb.29:
	v_lshlrev_b32_e32 v18, 1, v28
	v_mov_b32_e32 v19, 0
	v_lshl_add_u64 v[20:21], s[0:1], 0, v[18:19]
	v_lshlrev_b32_e32 v18, 1, v26
	v_lshl_add_u64 v[30:31], v[20:21], 0, v[18:19]
	global_load_dwordx4 v[22:25], v[30:31], off
	global_load_dwordx4 v[18:21], v[30:31], off offset:128
.LBB678_30:
	s_or_b64 exec, exec, s[2:3]
	v_lshrrev_b32_e32 v29, 3, v26
	v_lshlrev_b32_e32 v30, 3, v35
	v_or_b32_e32 v29, v30, v29
	v_lshlrev_b32_e32 v29, 4, v29
	v_and_b32_e32 v30, 0x78, v30
	v_xor_b32_e32 v29, v29, v30
	s_branch .LBB678_33
.LBB678_31:
                                        ; implicit-def: $vgpr29
                                        ; implicit-def: $vgpr28
                                        ; implicit-def: $vgpr14_vgpr15_vgpr16_vgpr17
                                        ; implicit-def: $vgpr10_vgpr11_vgpr12_vgpr13
                                        ; implicit-def: $vgpr22_vgpr23_vgpr24_vgpr25
                                        ; implicit-def: $vgpr18_vgpr19_vgpr20_vgpr21
	s_cbranch_execz .LBB678_33
; %bb.32:
	s_waitcnt vmcnt(0)
	v_lshlrev_b32_e32 v10, 1, v26
	v_lshl_or_b32 v28, v35, 8, v10
	s_and_b32 s1, s1, 0xffff
	s_mov_b32 s3, 0x20000
	s_movk_i32 s2, 0x4000
	v_lshl_or_b32 v29, v27, 8, v10
	s_movk_i32 s16, 0x80
	buffer_load_dwordx4 v[14:17], v28, s[0:3], 0 offen
	buffer_load_dwordx4 v[10:13], v28, s[0:3], s16 offen
	;; [unrolled: 1-line block ×4, first 2 shown]
	v_lshrrev_b32_e32 v28, 3, v26
	v_lshlrev_b32_e32 v29, 3, v35
	v_or_b32_e32 v28, v29, v28
	v_lshlrev_b32_e32 v28, 4, v28
	v_and_b32_e32 v29, 0x78, v29
	v_xor_b32_e32 v29, v28, v29
	v_lshlrev_b32_e32 v28, 7, v27
.LBB678_33:
	s_lshl_b64 s[0:1], s[42:43], 8
	s_add_u32 s4, s4, s0
	s_movk_i32 s0, 0x1000
	v_and_or_b32 v27, v28, s0, v29
	s_waitcnt vmcnt(1)
	ds_write_b64 v29, v[14:15] offset:16384
	v_xor_b32_e32 v14, 8, v29
	ds_write_b64 v14, v[16:17] offset:16384
	s_waitcnt vmcnt(0)
	ds_write_b64 v29, v[10:11] offset:24576
	ds_write_b64 v14, v[12:13] offset:24576
	;; [unrolled: 1-line block ×3, first 2 shown]
	v_xor_b32_e32 v10, 8, v27
	ds_write_b64 v10, v[24:25] offset:16384
	ds_write_b64 v27, v[18:19] offset:24576
	;; [unrolled: 1-line block ×3, first 2 shown]
	v_or_b32_e32 v10, v47, v50
	v_lshlrev_b32_e32 v10, 3, v10
	v_lshrrev_b32_e32 v12, 5, v48
	s_movk_i32 s18, 0xf8
	v_and_or_b32 v12, v10, s18, v12
	v_lshlrev_b32_e32 v45, 11, v46
	v_lshlrev_b32_e32 v20, 4, v12
	v_and_b32_e32 v21, 0x78, v10
	v_and_b32_e32 v22, 0x1000, v45
	v_lshlrev_b32_e32 v11, 2, v0
	v_xor_b32_e32 v10, v20, v21
	v_lshrrev_b32_e32 v12, 1, v48
	v_and_b32_e32 v11, 60, v11
	v_or_b32_e32 v10, v10, v22
	v_and_b32_e32 v23, 8, v12
	v_xor_b32_e32 v36, v10, v23
	v_lshl_or_b32 v10, v49, 6, v11
	v_lshlrev_b32_e32 v49, 1, v10
	v_or_b32_e32 v10, 32, v20
	v_xor_b32_e32 v10, v10, v21
	s_waitcnt lgkmcnt(0)
	s_barrier
	ds_read_b64 v[18:19], v36 offset:16384
	v_or_b32_e32 v10, v10, v22
	v_xor_b32_e32 v37, v10, v23
	v_or_b32_e32 v10, 64, v20
	v_xor_b32_e32 v10, v10, v21
	v_or_b32_e32 v10, v10, v22
	v_or_b32_e32 v20, 0x60, v20
	v_xor_b32_e32 v38, v10, v23
	ds_read2st64_b64 v[10:13], v49 offset0:72 offset1:73
	ds_read2st64_b64 v[14:17], v49 offset0:74 offset1:75
	v_xor_b32_e32 v24, v20, v21
	ds_read_b64 v[20:21], v37 offset:16384
	s_waitcnt lgkmcnt(2)
	v_mfma_f32_16x16x16_bf16 a[0:3], v[18:19], v[10:11], 0
	s_addc_u32 s5, s5, s1
	s_add_i32 s2, s37, -1
	s_add_i32 s0, s47, s46
	s_add_i32 s39, s0, s48
	s_mul_i32 s0, s44, s23
	s_mul_hi_u32 s1, s44, s22
	s_ashr_i32 s3, s2, 31
	s_mul_i32 s16, s2, s15
	s_mul_hi_u32 s17, s2, s14
	s_add_i32 s0, s1, s0
	s_mul_i32 s1, s21, s22
	s_add_i32 s16, s17, s16
	s_mul_i32 s3, s3, s14
	v_or_b32_e32 v22, v24, v22
	s_add_i32 s1, s0, s1
	s_add_i32 s3, s16, s3
	s_lshl_b64 s[16:17], s[38:39], 2
	v_xor_b32_e32 v50, v22, v23
	ds_read_b64 v[22:23], v38 offset:16384
	ds_read_b64 v[24:25], v50 offset:16384
	s_waitcnt lgkmcnt(2)
	v_mfma_f32_16x16x16_bf16 a[0:3], v[20:21], v[12:13], a[0:3]
	s_mul_i32 s0, s44, s22
	s_add_u32 s10, s10, s16
	s_addc_u32 s11, s11, s17
	s_lshl_b64 s[0:1], s[0:1], 2
	s_mul_i32 s2, s2, s14
	s_add_u32 s10, s10, s0
	s_addc_u32 s11, s11, s1
	s_lshl_b64 s[0:1], s[2:3], 2
	s_waitcnt lgkmcnt(1)
	v_mfma_f32_16x16x16_bf16 a[0:3], v[22:23], v[14:15], a[0:3]
	s_add_u32 s0, s10, s0
	s_addc_u32 s1, s11, s1
	s_load_dword s16, s[0:1], 0x0
	s_waitcnt lgkmcnt(0)
	v_mfma_f32_16x16x16_bf16 a[0:3], v[24:25], v[16:17], a[0:3]
	s_and_b64 vcc, exec, s[30:31]
	s_cbranch_vccz .LBB678_44
; %bb.34:
	v_lshlrev_b32_e32 v27, 1, v35
	s_and_b64 vcc, exec, s[6:7]
	s_cbranch_vccz .LBB678_45
; %bb.35:
	v_cmp_gt_i32_e32 vcc, s49, v27
	v_mov_b32_e32 v14, 0
	v_mov_b32_e32 v10, 0
	;; [unrolled: 1-line block ×5, first 2 shown]
	s_and_saveexec_b64 s[0:1], vcc
	s_cbranch_execz .LBB678_37
; %bb.36:
	v_mad_i64_i32 v[10:11], s[2:3], s19, v27, 0
	v_lshl_add_u64 v[10:11], v[10:11], 1, s[4:5]
	v_lshlrev_b32_e32 v12, 1, v26
	v_mov_b32_e32 v13, 0
	v_lshl_add_u64 v[10:11], v[10:11], 0, v[12:13]
	global_load_dwordx4 v[10:13], v[10:11], off
.LBB678_37:
	s_or_b64 exec, exec, s[0:1]
	v_or_b32_e32 v28, 1, v27
	v_cmp_gt_i32_e64 s[0:1], s49, v28
	v_mov_b32_e32 v15, 0
	v_mov_b32_e32 v16, 0
	;; [unrolled: 1-line block ×3, first 2 shown]
	s_and_saveexec_b64 s[2:3], s[0:1]
	s_cbranch_execz .LBB678_39
; %bb.38:
	v_mad_i64_i32 v[14:15], s[22:23], s19, v28, 0
	v_lshl_add_u64 v[14:15], v[14:15], 1, s[4:5]
	v_lshlrev_b32_e32 v16, 1, v26
	v_mov_b32_e32 v17, 0
	v_lshl_add_u64 v[14:15], v[14:15], 0, v[16:17]
	global_load_dwordx4 v[14:17], v[14:15], off
.LBB678_39:
	s_or_b64 exec, exec, s[2:3]
	v_mov_b32_e32 v25, 0
	v_mov_b32_e32 v18, 0
	;; [unrolled: 1-line block ×5, first 2 shown]
	s_and_saveexec_b64 s[2:3], vcc
	s_cbranch_execz .LBB678_41
; %bb.40:
	v_mad_i64_i32 v[18:19], s[22:23], s19, v27, 0
	v_lshl_add_u64 v[18:19], v[18:19], 1, s[4:5]
	v_lshlrev_b32_e32 v20, 1, v26
	v_mov_b32_e32 v21, 0
	v_lshl_add_u64 v[18:19], v[18:19], 0, v[20:21]
	global_load_dwordx4 v[18:21], v[18:19], off offset:128
.LBB678_41:
	s_or_b64 exec, exec, s[2:3]
	v_mov_b32_e32 v24, 0
	v_mov_b32_e32 v23, 0
	;; [unrolled: 1-line block ×3, first 2 shown]
	s_and_saveexec_b64 s[2:3], s[0:1]
	s_cbranch_execz .LBB678_43
; %bb.42:
	v_mad_i64_i32 v[22:23], s[0:1], s19, v28, 0
	v_lshl_add_u64 v[22:23], v[22:23], 1, s[4:5]
	v_lshlrev_b32_e32 v24, 1, v26
	v_mov_b32_e32 v25, 0
	v_lshl_add_u64 v[22:23], v[22:23], 0, v[24:25]
	global_load_dwordx4 v[22:25], v[22:23], off offset:128
.LBB678_43:
	s_or_b64 exec, exec, s[2:3]
	s_branch .LBB678_47
.LBB678_44:
                                        ; implicit-def: $vgpr13
                                        ; implicit-def: $vgpr17
                                        ; implicit-def: $vgpr21
                                        ; implicit-def: $vgpr25
	v_lshrrev_b32_e32 v48, 2, v48
	s_branch .LBB678_48
.LBB678_45:
                                        ; implicit-def: $vgpr13
                                        ; implicit-def: $vgpr17
                                        ; implicit-def: $vgpr21
                                        ; implicit-def: $vgpr25
	s_cbranch_execz .LBB678_47
; %bb.46:
	s_waitcnt vmcnt(0)
	v_mad_u64_u32 v[10:11], s[0:1], v27, s19, v[26:27]
	v_lshlrev_b32_e32 v27, 1, v10
	s_lshl_b32 s2, s19, 7
	s_and_b32 s1, s5, 0xffff
	s_mov_b32 s3, 0x20000
	s_mov_b32 s0, s4
	v_add_lshl_u32 v28, v10, s19, 1
	s_movk_i32 s17, 0x80
	buffer_load_dwordx4 v[10:13], v27, s[0:3], 0 offen
	buffer_load_dwordx4 v[18:21], v27, s[0:3], s17 offen
	;; [unrolled: 1-line block ×4, first 2 shown]
.LBB678_47:
	v_lshrrev_b32_e32 v48, 2, v48
	s_cbranch_execnz .LBB678_60
.LBB678_48:
	s_and_b64 vcc, exec, s[6:7]
	s_cbranch_vccz .LBB678_58
; %bb.49:
	s_waitcnt vmcnt(0)
	v_lshlrev_b32_e32 v15, 1, v35
	v_cmp_gt_i32_e32 vcc, s49, v15
	v_mov_b32_e32 v14, 0
	v_lshlrev_b32_e32 v22, 9, v35
	v_mov_b32_e32 v10, 0
	v_mov_b32_e32 v11, 0
	;; [unrolled: 1-line block ×4, first 2 shown]
	s_and_saveexec_b64 s[0:1], vcc
	s_cbranch_execz .LBB678_51
; %bb.50:
	v_mov_b32_e32 v23, 0
	v_lshl_add_u64 v[10:11], s[4:5], 0, v[22:23]
	v_lshlrev_b32_e32 v12, 1, v26
	v_mov_b32_e32 v13, v23
	v_lshl_add_u64 v[10:11], v[10:11], 0, v[12:13]
	global_load_dwordx4 v[10:13], v[10:11], off
.LBB678_51:
	s_or_b64 exec, exec, s[0:1]
	v_or_b32_e32 v15, 1, v15
	v_cmp_gt_i32_e64 s[0:1], s49, v15
	v_lshlrev_b32_e32 v28, 8, v15
	v_mov_b32_e32 v15, 0
	v_mov_b32_e32 v16, 0
	;; [unrolled: 1-line block ×3, first 2 shown]
	s_and_saveexec_b64 s[2:3], s[0:1]
	s_cbranch_execz .LBB678_53
; %bb.52:
	v_mov_b32_e32 v29, 0
	v_lshl_add_u64 v[14:15], s[4:5], 0, v[28:29]
	v_lshlrev_b32_e32 v16, 1, v26
	v_mov_b32_e32 v17, v29
	v_lshl_add_u64 v[14:15], v[14:15], 0, v[16:17]
	global_load_dwordx4 v[14:17], v[14:15], off
.LBB678_53:
	s_or_b64 exec, exec, s[2:3]
	v_mov_b32_e32 v25, 0
	v_mov_b32_e32 v18, 0
	;; [unrolled: 1-line block ×5, first 2 shown]
	s_and_saveexec_b64 s[2:3], vcc
	s_cbranch_execz .LBB678_55
; %bb.54:
	v_mov_b32_e32 v23, 0
	v_lshl_add_u64 v[18:19], s[4:5], 0, v[22:23]
	v_lshlrev_b32_e32 v22, 1, v26
	v_lshl_add_u64 v[18:19], v[18:19], 0, v[22:23]
	global_load_dwordx4 v[18:21], v[18:19], off offset:128
.LBB678_55:
	s_or_b64 exec, exec, s[2:3]
	v_mov_b32_e32 v24, 0
	v_mov_b32_e32 v23, 0
	;; [unrolled: 1-line block ×3, first 2 shown]
	s_and_saveexec_b64 s[2:3], s[0:1]
	s_cbranch_execz .LBB678_57
; %bb.56:
	v_mov_b32_e32 v29, 0
	v_lshl_add_u64 v[22:23], s[4:5], 0, v[28:29]
	v_lshlrev_b32_e32 v28, 1, v26
	v_lshl_add_u64 v[22:23], v[22:23], 0, v[28:29]
	global_load_dwordx4 v[22:25], v[22:23], off offset:128
.LBB678_57:
	s_or_b64 exec, exec, s[2:3]
	s_branch .LBB678_60
.LBB678_58:
                                        ; implicit-def: $vgpr13
                                        ; implicit-def: $vgpr17
                                        ; implicit-def: $vgpr21
                                        ; implicit-def: $vgpr25
	s_cbranch_execz .LBB678_60
; %bb.59:
	s_waitcnt vmcnt(0)
	v_lshlrev_b32_e32 v10, 1, v26
	v_lshl_or_b32 v26, v35, 9, v10
	s_and_b32 s5, s5, 0xffff
	s_mov_b32 s7, 0x20000
	s_movk_i32 s6, 0x4000
	s_movk_i32 s0, 0x80
	buffer_load_dwordx4 v[10:13], v26, s[4:7], 0 offen
	buffer_load_dwordx4 v[14:17], v26, s[4:7], 0 offen offset:256
	buffer_load_dwordx4 v[18:21], v26, s[4:7], s0 offen
	buffer_load_dwordx4 v[22:25], v26, s[4:7], s0 offen offset:256
.LBB678_60:
	ds_read2st64_b64 v[30:33], v49 offset0:76 offset1:77
	ds_read2st64_b64 v[26:29], v49 offset0:78 offset1:79
	ds_read_b64 v[40:41], v36 offset:24576
	ds_read_b64 v[42:43], v37 offset:24576
	;; [unrolled: 1-line block ×4, first 2 shown]
	v_and_b32_e32 v50, 6, v0
	v_xor_b32_e32 v35, v35, v50
	v_lshlrev_b32_e32 v35, 2, v35
	v_and_b32_e32 v51, 1, v0
	v_xor_b32_e32 v52, 0x440, v35
	v_cmp_eq_u32_e32 vcc, 0, v51
	s_mov_b32 s0, 0x1000504
	s_waitcnt vmcnt(0)
	v_perm_b32 v51, v18, v22, s0
	v_cndmask_b32_e32 v35, v52, v35, vcc
	v_lshl_or_b32 v35, v50, 10, v35
	v_perm_b32 v50, v10, v14, s0
	ds_write2st64_b32 v35, v50, v51 offset1:32
	v_xor_b32_e32 v50, 8, v35
	s_mov_b32 s1, 0x3020706
	v_perm_b32 v10, v10, v14, s1
	v_perm_b32 v14, v18, v22, s1
	v_add_u32_e32 v18, 0x80, v50
	ds_write2st64_b32 v18, v10, v14 offset1:32
	v_xor_b32_e32 v10, 16, v35
	v_perm_b32 v14, v11, v15, s0
	v_perm_b32 v18, v19, v23, s0
	ds_write2st64_b32 v10, v14, v18 offset0:1 offset1:33
	v_xor_b32_e32 v10, 24, v35
	v_perm_b32 v11, v11, v15, s1
	v_perm_b32 v14, v19, v23, s1
	v_add_u32_e32 v10, 0x80, v10
	ds_write2st64_b32 v10, v11, v14 offset0:1 offset1:33
	v_xor_b32_e32 v10, 32, v35
	v_perm_b32 v11, v12, v16, s0
	v_perm_b32 v14, v20, v24, s0
	ds_write2st64_b32 v10, v11, v14 offset0:2 offset1:34
	v_xor_b32_e32 v10, 40, v35
	v_perm_b32 v11, v12, v16, s1
	v_perm_b32 v12, v20, v24, s1
	v_add_u32_e32 v10, 0x80, v10
	ds_write2st64_b32 v10, v11, v12 offset0:2 offset1:34
	v_xor_b32_e32 v10, 48, v35
	v_perm_b32 v11, v13, v17, s0
	v_perm_b32 v12, v21, v25, s0
	ds_write2st64_b32 v10, v11, v12 offset0:3 offset1:35
	v_xor_b32_e32 v10, 56, v35
	v_and_or_b32 v16, v48, 12, v47
	v_perm_b32 v11, v13, v17, s1
	v_perm_b32 v12, v21, v25, s1
	v_add_u32_e32 v10, 0x80, v10
	v_cmp_gt_i32_e32 vcc, s49, v16
	v_mov_b32_e32 v17, 0
	v_mov_b32_e32 v21, 0
	ds_write2st64_b32 v10, v11, v12 offset0:3 offset1:35
	s_and_saveexec_b64 s[0:1], vcc
	s_cbranch_execz .LBB678_62
; %bb.61:
	v_add_u32_e32 v10, s20, v16
	v_ashrrev_i32_e32 v11, 31, v10
	v_mul_lo_u32 v12, v11, s14
	v_mul_lo_u32 v13, v10, s15
	v_mad_u64_u32 v[10:11], s[2:3], v10, s14, 0
	v_add3_u32 v11, v11, v13, v12
	v_lshl_add_u64 v[10:11], v[10:11], 2, s[10:11]
	global_load_dword v10, v[10:11], off
	s_waitcnt vmcnt(0)
	v_sub_f32_e32 v10, s16, v10
	v_exp_f32_e32 v21, v10
.LBB678_62:
	s_or_b64 exec, exec, s[0:1]
	v_or_b32_e32 v19, 1, v16
	v_cmp_gt_i32_e64 s[0:1], s49, v19
	s_and_saveexec_b64 s[2:3], s[0:1]
	s_cbranch_execz .LBB678_64
; %bb.63:
	v_add_u32_e32 v10, s20, v19
	v_ashrrev_i32_e32 v11, 31, v10
	v_mul_lo_u32 v12, v11, s14
	v_mul_lo_u32 v13, v10, s15
	v_mad_u64_u32 v[10:11], s[4:5], v10, s14, 0
	v_add3_u32 v11, v11, v13, v12
	v_lshl_add_u64 v[10:11], v[10:11], 2, s[10:11]
	global_load_dword v10, v[10:11], off
	s_waitcnt vmcnt(0)
	v_sub_f32_e32 v10, s16, v10
	v_exp_f32_e32 v17, v10
.LBB678_64:
	s_or_b64 exec, exec, s[2:3]
	v_or_b32_e32 v20, 2, v16
	v_cmp_gt_i32_e64 s[2:3], s49, v20
	v_mov_b32_e32 v18, 0
	v_mov_b32_e32 v23, 0
	s_and_saveexec_b64 s[4:5], s[2:3]
	s_cbranch_execz .LBB678_66
; %bb.65:
	v_add_u32_e32 v10, s20, v20
	v_ashrrev_i32_e32 v11, 31, v10
	v_mul_lo_u32 v12, v11, s14
	v_mul_lo_u32 v13, v10, s15
	v_mad_u64_u32 v[10:11], s[6:7], v10, s14, 0
	v_add3_u32 v11, v11, v13, v12
	v_lshl_add_u64 v[10:11], v[10:11], 2, s[10:11]
	global_load_dword v10, v[10:11], off
	s_waitcnt vmcnt(0)
	v_sub_f32_e32 v10, s16, v10
	v_exp_f32_e32 v23, v10
.LBB678_66:
	s_or_b64 exec, exec, s[4:5]
	v_or_b32_e32 v22, 3, v16
	v_cmp_gt_i32_e64 s[4:5], s49, v22
	s_and_saveexec_b64 s[6:7], s[4:5]
	s_cbranch_execz .LBB678_68
; %bb.67:
	v_add_u32_e32 v10, s20, v22
	v_ashrrev_i32_e32 v11, 31, v10
	v_mul_lo_u32 v12, v11, s14
	v_mul_lo_u32 v13, v10, s15
	v_mad_u64_u32 v[10:11], s[14:15], v10, s14, 0
	v_add3_u32 v11, v11, v13, v12
	v_lshl_add_u64 v[10:11], v[10:11], 2, s[10:11]
	global_load_dword v10, v[10:11], off
	s_waitcnt vmcnt(0)
	v_sub_f32_e32 v10, s16, v10
	v_exp_f32_e32 v18, v10
.LBB678_68:
	s_or_b64 exec, exec, s[6:7]
	s_waitcnt lgkmcnt(11)
	v_mfma_f32_16x16x16_bf16 a[0:3], v[40:41], v[30:31], a[0:3]
	s_add_u32 s6, s8, s28
	v_ashrrev_i32_e32 v35, 31, v34
	s_addc_u32 s7, s9, s29
	s_waitcnt lgkmcnt(10)
	v_mfma_f32_16x16x16_bf16 a[0:3], v[42:43], v[32:33], a[0:3]
	v_mov_b32_e32 v24, 0
	v_lshl_add_u64 v[14:15], v[34:35], 1, s[6:7]
	v_mov_b32_e32 v25, 0
	s_waitcnt lgkmcnt(9)
	v_mfma_f32_16x16x16_bf16 a[0:3], v[38:39], v[26:27], a[0:3]
	s_waitcnt lgkmcnt(8)
	v_mfma_f32_16x16x16_bf16 a[0:3], v[36:37], v[28:29], a[0:3]
	s_nop 6
	v_accvgpr_read_b32 v13, a3
	v_accvgpr_read_b32 v12, a2
	;; [unrolled: 1-line block ×4, first 2 shown]
	s_and_saveexec_b64 s[6:7], vcc
	s_cbranch_execz .LBB678_70
; %bb.69:
	v_lshlrev_b32_e32 v26, 8, v16
	v_mov_b32_e32 v27, 0
	v_lshl_add_u64 v[26:27], v[14:15], 0, v[26:27]
	global_load_ushort v25, v[26:27], off
	s_waitcnt vmcnt(0)
	v_lshlrev_b32_e32 v25, 16, v25
	v_sub_f32_e32 v10, v25, v10
	v_mul_f32_e32 v10, v21, v10
	v_lshrrev_b32_e32 v25, 16, v10
.LBB678_70:
	s_or_b64 exec, exec, s[6:7]
	s_and_saveexec_b64 s[6:7], s[0:1]
	s_cbranch_execz .LBB678_72
; %bb.71:
	v_lshlrev_b32_e32 v26, 8, v19
	v_mov_b32_e32 v27, 0
	v_lshl_add_u64 v[26:27], v[14:15], 0, v[26:27]
	global_load_ushort v10, v[26:27], off
	s_waitcnt vmcnt(0)
	v_lshlrev_b32_e32 v10, 16, v10
	v_sub_f32_e32 v10, v10, v11
	v_mul_f32_e32 v10, v17, v10
	v_lshrrev_b32_e32 v24, 16, v10
.LBB678_72:
	s_or_b64 exec, exec, s[6:7]
	v_mov_b32_e32 v11, 0
	v_mov_b32_e32 v17, 0
	s_and_saveexec_b64 s[0:1], s[2:3]
	s_cbranch_execz .LBB678_74
; %bb.73:
	v_lshlrev_b32_e32 v20, 8, v20
	v_mov_b32_e32 v21, 0
	v_lshl_add_u64 v[20:21], v[14:15], 0, v[20:21]
	global_load_ushort v10, v[20:21], off
	s_waitcnt vmcnt(0)
	v_lshlrev_b32_e32 v10, 16, v10
	v_sub_f32_e32 v10, v10, v12
	v_mul_f32_e32 v10, v23, v10
	v_lshrrev_b32_e32 v17, 16, v10
.LBB678_74:
	s_or_b64 exec, exec, s[0:1]
	v_or_b32_e32 v10, 0x9800, v49
	s_and_saveexec_b64 s[0:1], s[4:5]
	s_cbranch_execz .LBB678_76
; %bb.75:
	v_lshlrev_b32_e32 v20, 8, v22
	v_mov_b32_e32 v21, 0
	v_lshl_add_u64 v[14:15], v[14:15], 0, v[20:21]
	global_load_ushort v11, v[14:15], off
	s_waitcnt vmcnt(0)
	v_lshlrev_b32_e32 v11, 16, v11
	v_sub_f32_e32 v11, v11, v13
	v_mul_f32_e32 v11, v18, v11
	v_lshrrev_b32_e32 v11, 16, v11
.LBB678_76:
	s_or_b64 exec, exec, s[0:1]
	s_mov_b32 s0, 0x5040100
	v_perm_b32 v13, v11, v17, s0
	v_lshlrev_b32_e32 v11, 1, v44
	v_perm_b32 v12, v24, v25, s0
	v_lshl_or_b32 v11, v16, 5, v11
	s_movk_i32 s0, 0xff
	ds_write_b64 v11, v[12:13] offset:38912
	v_and_b32_e32 v11, 7, v0
	v_and_b32_e32 v12, 8, v0
	v_cmp_lt_u32_e32 vcc, s0, v0
	v_lshrrev_b32_e32 v0, 1, v0
	v_lshlrev_b32_e32 v22, 3, v11
	v_lshlrev_b32_e32 v23, 7, v11
	v_cndmask_b32_e64 v11, 0, 1, vcc
	v_lshlrev_b32_e32 v25, 3, v46
	v_and_b32_e32 v0, 24, v0
	v_lshlrev_b32_e32 v24, 13, v11
	v_xor_b32_e32 v11, v25, v0
	v_or_b32_e32 v13, 0x440, v11
	v_cmp_eq_u32_e32 vcc, 0, v12
	s_waitcnt lgkmcnt(0)
	s_barrier
	v_cndmask_b32_e32 v11, v13, v11, vcc
	v_or_b32_e32 v11, v11, v45
	v_xad_u32 v26, v11, v22, v23
	v_add_u32_e32 v11, v24, v26
	ds_read_b64 v[20:21], v11
	ds_read2st64_b64 v[12:15], v10 offset1:1
	ds_read2st64_b64 v[16:19], v10 offset0:2 offset1:3
	v_or_b32_e32 v10, 32, v0
	v_xor_b32_e32 v10, v25, v10
	v_or_b32_e32 v11, 0x440, v10
	v_cndmask_b32_e32 v10, v11, v10, vcc
	v_or_b32_e32 v10, v10, v45
	v_xad_u32 v27, v10, v22, v23
	v_add_u32_e32 v10, v24, v27
	ds_read_b64 v[10:11], v10
	s_waitcnt lgkmcnt(2)
	v_mfma_f32_16x16x16_bf16 a[0:3], v[20:21], v[12:13], 0
	s_waitcnt lgkmcnt(0)
	v_mfma_f32_16x16x16_bf16 a[0:3], v[10:11], v[14:15], a[0:3]
	v_or_b32_e32 v10, 64, v0
	v_xor_b32_e32 v10, v25, v10
	v_xor_b32_e32 v11, 0x440, v10
	v_cndmask_b32_e32 v10, v11, v10, vcc
	v_or_b32_e32 v10, v10, v45
	v_or_b32_e32 v0, 0x60, v0
	v_xad_u32 v28, v10, v22, v23
	v_xor_b32_e32 v0, v25, v0
	v_add_u32_e32 v10, v24, v28
	v_xor_b32_e32 v20, 0x440, v0
	ds_read_b64 v[10:11], v10
	v_cndmask_b32_e32 v0, v20, v0, vcc
	v_or_b32_e32 v0, v0, v45
	v_xad_u32 v0, v0, v22, v23
	v_add_u32_e32 v20, v24, v0
	ds_read_b64 v[20:21], v20
	s_waitcnt lgkmcnt(1)
	v_mfma_f32_16x16x16_bf16 a[0:3], v[10:11], v[16:17], a[0:3]
	ds_read_b64 v[10:11], v26 offset:8192
	ds_read_b64 v[22:23], v28 offset:8192
	v_exp_f32_e32 v24, s16
	s_waitcnt lgkmcnt(2)
	v_mfma_f32_16x16x16_bf16 a[0:3], v[20:21], v[18:19], a[0:3]
	ds_read_b64 v[20:21], v27 offset:8192
	s_waitcnt lgkmcnt(2)
	v_mfma_f32_16x16x16_bf16 a[4:7], v[10:11], v[12:13], 0
	s_nop 3
	v_accvgpr_read_b32 v10, a0
	v_fma_f32 v12, v2, v24, v10
	ds_read_b64 v[10:11], v0 offset:8192
	s_waitcnt lgkmcnt(1)
	v_mfma_f32_16x16x16_bf16 a[4:7], v[20:21], v[14:15], a[4:7]
	v_accvgpr_read_b32 v0, a1
	v_fma_f32 v13, v3, v24, v0
	v_accvgpr_read_b32 v0, a2
	v_mfma_f32_16x16x16_bf16 a[4:7], v[22:23], v[16:17], a[4:7]
	v_accvgpr_read_b32 v15, a3
	v_fma_f32 v14, v4, v24, v0
	v_fmac_f32_e32 v15, v5, v24
	s_waitcnt lgkmcnt(0)
	v_mfma_f32_16x16x16_bf16 a[0:3], v[10:11], v[18:19], a[4:7]
	v_mov_b32_e32 v10, v34
	s_nop 5
	v_accvgpr_read_b32 v0, a0
	v_fma_f32 v16, v6, v24, v0
	v_accvgpr_read_b32 v0, a1
	v_fma_f32 v17, v7, v24, v0
	v_accvgpr_read_b32 v0, a2
	v_accvgpr_read_b32 v19, a3
	v_fma_f32 v18, v8, v24, v0
	v_fmac_f32_e32 v19, v9, v24
	v_mov_b64_e32 v[2:3], v[12:13]
	v_mov_b64_e32 v[4:5], v[14:15]
	;; [unrolled: 1-line block ×4, first 2 shown]
.LBB678_77:
	s_mul_i32 s0, s45, s35
	s_mul_hi_u32 s1, s45, s34
	s_add_i32 s0, s1, s0
	s_mul_i32 s1, s33, s34
	s_add_i32 s1, s0, s1
	s_mul_i32 s0, s45, s34
	s_add_u32 s0, s0, s44
	s_addc_u32 s1, s1, s21
	s_lshl_b64 s[0:1], s[0:1], 16
	s_add_u32 s0, s12, s0
	v_lshlrev_b32_e32 v10, 7, v10
	s_addc_u32 s1, s13, s1
	v_ashrrev_i32_e32 v11, 31, v10
	v_lshl_add_u64 v[10:11], v[10:11], 2, s[0:1]
	v_lshlrev_b32_e32 v0, 2, v1
	v_mov_b32_e32 v1, 0
	v_lshl_add_u64 v[0:1], v[10:11], 0, v[0:1]
	global_store_dwordx4 v[0:1], v[2:5], off
	global_store_dwordx4 v[0:1], v[6:9], off offset:256
	s_endpgm
	.section	.rodata,"a",@progbits
	.p2align	6, 0x0
	.amdhsa_kernel _ZN12_GLOBAL__N_139chunk_gated_delta_rule_fwd_h_hip_kernelILi16ELb0ELb1ELb0ELb1ELb1ELb0ELb1ELb0EEEvPK12hip_bfloat16S3_S3_PKfS5_PKvPS1_S8_PvPKiSB_iiiiilll
		.amdhsa_group_segment_fixed_size 40960
		.amdhsa_private_segment_fixed_size 0
		.amdhsa_kernarg_size 136
		.amdhsa_user_sgpr_count 2
		.amdhsa_user_sgpr_dispatch_ptr 0
		.amdhsa_user_sgpr_queue_ptr 0
		.amdhsa_user_sgpr_kernarg_segment_ptr 1
		.amdhsa_user_sgpr_dispatch_id 0
		.amdhsa_user_sgpr_kernarg_preload_length 0
		.amdhsa_user_sgpr_kernarg_preload_offset 0
		.amdhsa_user_sgpr_private_segment_size 0
		.amdhsa_uses_dynamic_stack 0
		.amdhsa_enable_private_segment 0
		.amdhsa_system_sgpr_workgroup_id_x 1
		.amdhsa_system_sgpr_workgroup_id_y 1
		.amdhsa_system_sgpr_workgroup_id_z 0
		.amdhsa_system_sgpr_workgroup_info 0
		.amdhsa_system_vgpr_workitem_id 0
		.amdhsa_next_free_vgpr 116
		.amdhsa_next_free_sgpr 63
		.amdhsa_accum_offset 108
		.amdhsa_reserve_vcc 1
		.amdhsa_float_round_mode_32 0
		.amdhsa_float_round_mode_16_64 0
		.amdhsa_float_denorm_mode_32 3
		.amdhsa_float_denorm_mode_16_64 3
		.amdhsa_dx10_clamp 1
		.amdhsa_ieee_mode 1
		.amdhsa_fp16_overflow 0
		.amdhsa_tg_split 0
		.amdhsa_exception_fp_ieee_invalid_op 0
		.amdhsa_exception_fp_denorm_src 0
		.amdhsa_exception_fp_ieee_div_zero 0
		.amdhsa_exception_fp_ieee_overflow 0
		.amdhsa_exception_fp_ieee_underflow 0
		.amdhsa_exception_fp_ieee_inexact 0
		.amdhsa_exception_int_div_zero 0
	.end_amdhsa_kernel
	.section	.text._ZN12_GLOBAL__N_139chunk_gated_delta_rule_fwd_h_hip_kernelILi16ELb0ELb1ELb0ELb1ELb1ELb0ELb1ELb0EEEvPK12hip_bfloat16S3_S3_PKfS5_PKvPS1_S8_PvPKiSB_iiiiilll,"axG",@progbits,_ZN12_GLOBAL__N_139chunk_gated_delta_rule_fwd_h_hip_kernelILi16ELb0ELb1ELb0ELb1ELb1ELb0ELb1ELb0EEEvPK12hip_bfloat16S3_S3_PKfS5_PKvPS1_S8_PvPKiSB_iiiiilll,comdat
.Lfunc_end678:
	.size	_ZN12_GLOBAL__N_139chunk_gated_delta_rule_fwd_h_hip_kernelILi16ELb0ELb1ELb0ELb1ELb1ELb0ELb1ELb0EEEvPK12hip_bfloat16S3_S3_PKfS5_PKvPS1_S8_PvPKiSB_iiiiilll, .Lfunc_end678-_ZN12_GLOBAL__N_139chunk_gated_delta_rule_fwd_h_hip_kernelILi16ELb0ELb1ELb0ELb1ELb1ELb0ELb1ELb0EEEvPK12hip_bfloat16S3_S3_PKfS5_PKvPS1_S8_PvPKiSB_iiiiilll
                                        ; -- End function
	.section	.AMDGPU.csdata,"",@progbits
; Kernel info:
; codeLenInByte = 7652
; NumSgprs: 69
; NumVgprs: 106
; NumAgprs: 8
; TotalNumVgprs: 116
; ScratchSize: 0
; MemoryBound: 0
; FloatMode: 240
; IeeeMode: 1
; LDSByteSize: 40960 bytes/workgroup (compile time only)
; SGPRBlocks: 8
; VGPRBlocks: 14
; NumSGPRsForWavesPerEU: 69
; NumVGPRsForWavesPerEU: 116
; AccumOffset: 108
; Occupancy: 1
; WaveLimiterHint : 1
; COMPUTE_PGM_RSRC2:SCRATCH_EN: 0
; COMPUTE_PGM_RSRC2:USER_SGPR: 2
; COMPUTE_PGM_RSRC2:TRAP_HANDLER: 0
; COMPUTE_PGM_RSRC2:TGID_X_EN: 1
; COMPUTE_PGM_RSRC2:TGID_Y_EN: 1
; COMPUTE_PGM_RSRC2:TGID_Z_EN: 0
; COMPUTE_PGM_RSRC2:TIDIG_COMP_CNT: 0
; COMPUTE_PGM_RSRC3_GFX90A:ACCUM_OFFSET: 26
; COMPUTE_PGM_RSRC3_GFX90A:TG_SPLIT: 0
	.section	.text._ZN12_GLOBAL__N_139chunk_gated_delta_rule_fwd_h_hip_kernelILi16ELb0ELb0ELb1ELb1ELb1ELb0ELb1ELb0EEEvPK12hip_bfloat16S3_S3_PKfS5_PKvPS1_S8_PvPKiSB_iiiiilll,"axG",@progbits,_ZN12_GLOBAL__N_139chunk_gated_delta_rule_fwd_h_hip_kernelILi16ELb0ELb0ELb1ELb1ELb1ELb0ELb1ELb0EEEvPK12hip_bfloat16S3_S3_PKfS5_PKvPS1_S8_PvPKiSB_iiiiilll,comdat
	.globl	_ZN12_GLOBAL__N_139chunk_gated_delta_rule_fwd_h_hip_kernelILi16ELb0ELb0ELb1ELb1ELb1ELb0ELb1ELb0EEEvPK12hip_bfloat16S3_S3_PKfS5_PKvPS1_S8_PvPKiSB_iiiiilll ; -- Begin function _ZN12_GLOBAL__N_139chunk_gated_delta_rule_fwd_h_hip_kernelILi16ELb0ELb0ELb1ELb1ELb1ELb0ELb1ELb0EEEvPK12hip_bfloat16S3_S3_PKfS5_PKvPS1_S8_PvPKiSB_iiiiilll
	.p2align	8
	.type	_ZN12_GLOBAL__N_139chunk_gated_delta_rule_fwd_h_hip_kernelILi16ELb0ELb0ELb1ELb1ELb1ELb0ELb1ELb0EEEvPK12hip_bfloat16S3_S3_PKfS5_PKvPS1_S8_PvPKiSB_iiiiilll,@function
_ZN12_GLOBAL__N_139chunk_gated_delta_rule_fwd_h_hip_kernelILi16ELb0ELb0ELb1ELb1ELb1ELb0ELb1ELb0EEEvPK12hip_bfloat16S3_S3_PKfS5_PKvPS1_S8_PvPKiSB_iiiiilll: ; @_ZN12_GLOBAL__N_139chunk_gated_delta_rule_fwd_h_hip_kernelILi16ELb0ELb0ELb1ELb1ELb1ELb0ELb1ELb0EEEvPK12hip_bfloat16S3_S3_PKfS5_PKvPS1_S8_PvPKiSB_iiiiilll
; %bb.0:
	s_load_dwordx4 s[16:19], s[0:1], 0x5c
	s_load_dwordx4 s[20:23], s[0:1], 0x70
	s_abs_i32 s25, s3
	s_ashr_i32 s24, s3, 31
	s_load_dwordx4 s[12:15], s[0:1], 0x30
	s_load_dwordx4 s[28:31], s[0:1], 0x48
	s_waitcnt lgkmcnt(0)
	s_abs_i32 s34, s17
	v_cvt_f32_u32_e32 v1, s34
	s_sub_i32 s26, 0, s34
	s_ashr_i32 s35, s17, 31
	s_xor_b32 s24, s24, s35
	v_rcp_iflag_f32_e32 v1, v1
	s_load_dwordx8 s[4:11], s[0:1], 0x0
	v_lshrrev_b32_e32 v44, 6, v0
	v_bfe_u32 v45, v0, 4, 2
	v_mul_f32_e32 v1, 0x4f7ffffe, v1
	v_cvt_u32_f32_e32 v1, v1
	v_lshlrev_b32_e32 v42, 4, v44
	v_lshlrev_b32_e32 v2, 2, v45
	v_and_b32_e32 v43, 63, v0
	v_readfirstlane_b32 s27, v1
	s_mul_i32 s26, s26, s27
	s_mul_hi_u32 s26, s27, s26
	s_add_i32 s27, s27, s26
	s_mul_hi_u32 s26, s25, s27
	s_mul_i32 s27, s26, s34
	s_sub_i32 s25, s25, s27
	s_add_i32 s33, s26, 1
	s_sub_i32 s27, s25, s34
	s_cmp_ge_u32 s25, s34
	s_cselect_b32 s26, s33, s26
	s_cselect_b32 s25, s27, s25
	s_add_i32 s27, s26, 1
	s_cmp_ge_u32 s25, s34
	s_cselect_b32 s25, s27, s26
	s_xor_b32 s25, s25, s24
	s_sub_i32 s24, s25, s24
	s_mul_i32 s25, s24, s17
	s_sub_i32 s33, s3, s25
	s_ashr_i32 s25, s24, 31
	s_lshl_b64 s[26:27], s[24:25], 2
	s_add_u32 s28, s28, s26
	s_addc_u32 s29, s29, s27
	s_add_u32 s26, s30, s26
	s_addc_u32 s27, s31, s27
	s_abs_i32 s3, s18
	v_cvt_f32_u32_e32 v1, s3
	s_load_dwordx2 s[38:39], s[28:29], 0x0
	s_sub_i32 s29, 0, s3
	s_load_dword s47, s[26:27], 0x0
	v_rcp_iflag_f32_e32 v1, v1
	v_or_b32_e32 v49, v2, v42
	s_waitcnt lgkmcnt(0)
	s_sub_i32 s45, s39, s38
	s_ashr_i32 s28, s45, 31
	v_mul_f32_e32 v1, 0x4f7ffffe, v1
	v_cvt_u32_f32_e32 v1, v1
	s_lshr_b32 s28, s28, 26
	s_add_i32 s28, s45, s28
	s_ashr_i32 s46, s28, 6
	v_readfirstlane_b32 s30, v1
	s_mul_i32 s29, s29, s30
	s_mul_hi_u32 s29, s30, s29
	s_add_i32 s30, s30, s29
	s_mul_hi_u32 s29, s34, s30
	s_mul_i32 s30, s29, s3
	s_ashr_i32 s28, s18, 31
	s_sub_i32 s30, s34, s30
	s_xor_b32 s28, s35, s28
	s_add_i32 s31, s29, 1
	s_sub_i32 s34, s30, s3
	s_cmp_ge_u32 s30, s3
	s_cselect_b32 s29, s31, s29
	s_cselect_b32 s30, s34, s30
	s_add_i32 s31, s29, 1
	s_cmp_ge_u32 s30, s3
	s_cselect_b32 s3, s31, s29
	s_xor_b32 s3, s3, s28
	s_sub_i32 s3, s3, s28
	s_abs_i32 s28, s3
	v_cvt_f32_u32_e32 v1, s28
	s_load_dwordx2 s[34:35], s[0:1], 0x80
	s_xor_b32 s0, s33, s3
	s_sub_i32 s3, 0, s28
	v_rcp_iflag_f32_e32 v1, v1
	s_abs_i32 s1, s33
	s_ashr_i32 s0, s0, 31
	v_or_b32_e32 v48, 64, v49
	v_mul_f32_e32 v1, 0x4f7ffffe, v1
	v_cvt_u32_f32_e32 v1, v1
	v_mov_b32_e32 v3, 0
	s_mul_hi_i32 s48, s33, s16
	s_mul_i32 s49, s33, s16
	v_readfirstlane_b32 s26, v1
	s_mul_i32 s3, s3, s26
	s_mul_hi_u32 s3, s26, s3
	s_add_i32 s26, s26, s3
	s_mul_hi_u32 s3, s1, s26
	s_mul_i32 s26, s3, s28
	s_sub_i32 s1, s1, s26
	s_add_i32 s26, s3, 1
	s_sub_i32 s27, s1, s28
	s_cmp_ge_u32 s1, s28
	s_cselect_b32 s3, s26, s3
	s_cselect_b32 s1, s27, s1
	s_add_i32 s26, s3, 1
	s_cmp_ge_u32 s1, s28
	s_cselect_b32 s1, s26, s3
	s_xor_b32 s1, s1, s0
	s_sub_i32 s51, s1, s0
	s_lshl_b32 s36, s2, 4
	v_and_b32_e32 v1, 15, v0
	s_cmp_lt_i32 s45, 64
	v_lshrrev_b32_e32 v47, 3, v43
	v_lshlrev_b32_e32 v46, 3, v0
	s_mul_i32 s42, s24, s21
	s_mul_hi_u32 s43, s24, s20
	s_mul_i32 s44, s25, s20
	s_mul_i32 s20, s24, s20
	v_mov_b32_e32 v65, 0
	v_mov_b32_e32 v34, 0
	;; [unrolled: 1-line block ×7, first 2 shown]
	s_cbranch_scc1 .LBB679_18
; %bb.1:
	s_ashr_i32 s53, s33, 31
	s_ashr_i32 s1, s38, 31
	s_add_u32 s0, s49, s38
	s_addc_u32 s1, s48, s1
	s_lshl_b64 s[0:1], s[0:1], 8
	v_and_b32_e32 v51, 56, v46
	s_add_u32 s0, s6, s0
	v_lshl_or_b32 v50, v44, 3, v47
	v_lshlrev_b32_e32 v3, 1, v51
	s_addc_u32 s1, s7, s1
	v_lshl_or_b32 v52, v50, 8, v3
	s_and_b32 s1, s1, 0xffff
	s_mov_b32 s3, 0x20000
	s_movk_i32 s2, 0x4000
	s_movk_i32 s21, 0x80
	v_or_b32_e32 v53, 0x2000, v52
	buffer_load_dwordx4 v[4:7], v52, s[0:3], 0 offen
	buffer_load_dwordx4 v[8:11], v52, s[0:3], s21 offen
	;; [unrolled: 1-line block ×4, first 2 shown]
	v_lshlrev_b32_e32 v20, 3, v50
	v_and_or_b32 v22, v0, 7, v20
	v_and_b32_e32 v20, 0x78, v20
	v_lshlrev_b32_e32 v22, 4, v22
	v_xor_b32_e32 v54, v22, v20
	v_mul_lo_u32 v21, v50, s19
	v_or_b32_e32 v55, 0x1000, v54
	s_cmpk_eq_i32 s19, 0x80
	s_mov_b32 s50, s17
	s_mov_b32 s52, s38
	v_xor_b32_e32 v20, 8, v54
	v_xor_b32_e32 v22, 8, v55
	s_cselect_b64 s[0:1], -1, 0
	s_cmpk_lg_i32 s19, 0x80
	s_waitcnt vmcnt(3)
	ds_write_b64 v54, v[4:5] offset:16384
	ds_write_b64 v20, v[6:7] offset:16384
	s_waitcnt vmcnt(2)
	ds_write_b64 v54, v[8:9] offset:24576
	ds_write_b64 v20, v[10:11] offset:24576
	;; [unrolled: 3-line block ×4, first 2 shown]
	v_lshl_add_u32 v4, v21, 1, v51
	s_cbranch_scc0 .LBB679_3
; %bb.2:
	v_lshlrev_b32_e32 v6, 1, v4
	v_add_lshl_u32 v5, v4, s19, 1
	s_lshl_b32 s26, s19, 7
	v_lshl_or_b32 v3, v50, 9, v3
	s_cbranch_execz .LBB679_4
	s_branch .LBB679_5
.LBB679_3:
                                        ; implicit-def: $vgpr5
                                        ; implicit-def: $vgpr6
                                        ; implicit-def: $sgpr26
	v_lshl_or_b32 v3, v50, 9, v3
.LBB679_4:
	v_or_b32_e32 v5, 0x100, v3
	s_movk_i32 s26, 0x4000
	v_mov_b32_e32 v6, v3
.LBB679_5:
	s_mul_i32 s2, s38, s18
	s_ashr_i32 s54, s51, 31
	s_mul_hi_i32 s3, s38, s18
	s_add_u32 s2, s2, s51
	s_addc_u32 s3, s3, s54
	s_lshl_b64 s[2:3], s[2:3], 8
	s_add_u32 s24, s4, s2
	s_addc_u32 s2, s5, s3
	s_and_b32 s25, s2, 0xffff
	s_mov_b32 s27, 0x20000
	s_movk_i32 s55, 0x80
	buffer_load_dwordx4 v[8:11], v6, s[24:27], 0 offen
	buffer_load_dwordx4 v[12:15], v6, s[24:27], s55 offen
	buffer_load_dwordx4 v[16:19], v5, s[24:27], 0 offen
	buffer_load_dwordx4 v[20:23], v5, s[24:27], s55 offen
	v_and_b32_e32 v5, 6, v0
	v_lshlrev_b32_e32 v7, 2, v1
	v_lshlrev_b32_e32 v24, 3, v1
	v_xor_b32_e32 v26, v50, v5
	v_and_b32_e32 v6, 1, v0
	v_lshl_or_b32 v24, v49, 5, v24
	v_xor_b32_e32 v27, v49, v7
	v_lshlrev_b32_e32 v26, 2, v26
	s_mul_i32 s3, s33, s23
	s_mul_hi_u32 s21, s33, s22
	v_or_b32_e32 v56, 0x9000, v24
	v_or_b32_e32 v57, 0x9800, v24
	v_lshlrev_b32_e32 v24, 1, v27
	v_xor_b32_e32 v27, 0x440, v26
	v_cmp_eq_u32_e32 vcc, 0, v6
	s_add_i32 s25, s43, s42
	s_mul_i32 s24, s53, s22
	v_cndmask_b32_e32 v6, v27, v26, vcc
	s_add_i32 s3, s21, s3
	s_add_i32 s21, s25, s44
	s_mov_b32 s56, 0x1000504
	v_lshlrev_b32_e32 v25, 8, v1
	s_mov_b32 s26, 0x8000
	v_xor_b32_e32 v7, v48, v7
	v_lshl_or_b32 v5, v5, 10, v6
	s_add_i32 s3, s3, s24
	s_lshl_b64 s[24:25], s[20:21], 2
	s_mov_b32 s57, 0x3020706
	s_mul_i32 s2, s33, s22
	v_lshlrev_b32_e32 v7, 1, v7
	v_or3_b32 v58, v24, v25, s26
	v_xor_b32_e32 v6, 8, v5
	v_xor_b32_e32 v24, 24, v5
	;; [unrolled: 1-line block ×4, first 2 shown]
	s_add_u32 s21, s10, s24
	v_or3_b32 v59, v7, v25, s26
	v_xor_b32_e32 v7, 16, v5
	v_xor_b32_e32 v25, 32, v5
	;; [unrolled: 1-line block ×3, first 2 shown]
	v_add_u32_e32 v6, 0x80, v6
	v_add_u32_e32 v24, 0x80, v24
	;; [unrolled: 1-line block ×4, first 2 shown]
	s_addc_u32 s24, s11, s25
	s_lshl_b64 s[2:3], s[2:3], 2
	s_add_u32 s2, s21, s2
	s_movk_i32 s21, 0xf8
	s_addc_u32 s3, s24, s3
	s_ashr_i32 s37, s36, 31
	s_lshl_b32 s30, s19, 7
	s_lshl_b64 s[24:25], s[36:37], 8
	s_add_u32 s24, s12, s24
	s_addc_u32 s25, s13, s25
	v_mov_b32_e32 v35, 0
	s_mov_b32 s58, 0
	v_add_u32_e32 v78, v42, v2
	v_mov_b32_e32 v68, v35
	v_mov_b32_e32 v69, v35
	;; [unrolled: 1-line block ×6, first 2 shown]
	s_waitcnt vmcnt(1)
	v_perm_b32 v29, v8, v16, s56
	s_waitcnt vmcnt(0)
	v_perm_b32 v30, v12, v20, s56
	v_perm_b32 v8, v8, v16, s57
	;; [unrolled: 1-line block ×15, first 2 shown]
	ds_write2st64_b32 v5, v29, v30 offset1:32
	ds_write2st64_b32 v6, v8, v12 offset1:32
	ds_write2st64_b32 v7, v16, v20 offset0:1 offset1:33
	ds_write2st64_b32 v24, v9, v13 offset0:1 offset1:33
	;; [unrolled: 1-line block ×6, first 2 shown]
	v_or_b32_e32 v5, v42, v1
	v_lshlrev_b32_e32 v5, 3, v5
	v_lshrrev_b32_e32 v7, 5, v43
	v_and_or_b32 v7, v5, s21, v7
	v_lshlrev_b32_e32 v7, 4, v7
	v_lshlrev_b32_e32 v10, 11, v44
	v_and_b32_e32 v5, 0x78, v5
	v_or_b32_e32 v12, 32, v7
	v_and_b32_e32 v6, 0x1000, v10
	v_lshrrev_b32_e32 v11, 1, v0
	v_xor_b32_e32 v12, v12, v5
	v_and_b32_e32 v9, 8, v11
	v_or_b32_e32 v12, v12, v6
	v_xor_b32_e32 v8, v7, v5
	v_xor_b32_e32 v62, v12, v9
	v_or_b32_e32 v12, 64, v7
	v_or_b32_e32 v7, 0x60, v7
	v_xor_b32_e32 v12, v12, v5
	v_xor_b32_e32 v5, v7, v5
	v_or_b32_e32 v5, v5, v6
	v_or_b32_e32 v12, v12, v6
	v_xor_b32_e32 v66, v5, v9
	v_lshlrev_b32_e32 v5, 1, v1
	v_xor_b32_e32 v63, v12, v9
	v_lshlrev_b32_e32 v12, 1, v4
	v_add_lshl_u32 v13, v4, s19, 1
	v_lshrrev_b32_e32 v4, 4, v0
	v_or_b32_e32 v15, 1, v5
	v_xor_b32_e32 v5, v4, v5
	v_xor_b32_e32 v15, v15, v4
	v_lshlrev_b32_e32 v5, 3, v5
	v_lshlrev_b32_e32 v34, 8, v4
	;; [unrolled: 1-line block ×3, first 2 shown]
	v_or3_b32 v70, v5, v34, s26
	v_or3_b32 v71, v4, v34, s26
	v_lshl_add_u64 v[4:5], s[24:25], 0, v[34:35]
	v_lshlrev_b32_e32 v34, 4, v1
	s_movk_i32 s21, 0xff
	v_lshlrev_b32_e32 v17, 3, v44
	v_and_b32_e32 v11, 24, v11
	v_lshl_add_u64 v[36:37], v[4:5], 0, v[34:35]
	v_and_b32_e32 v5, 8, v0
	v_cmp_lt_u32_e32 vcc, s21, v0
	v_xor_b32_e32 v18, v17, v11
	v_or_b32_e32 v19, 0x440, v18
	v_cndmask_b32_e64 v16, 0, 1, vcc
	v_cmp_eq_u32_e32 vcc, 0, v5
	v_and_b32_e32 v4, 7, v0
	v_lshlrev_b32_e32 v15, 3, v4
	v_cndmask_b32_e32 v5, v19, v18, vcc
	v_lshlrev_b32_e32 v4, 7, v4
	v_or_b32_e32 v5, v5, v10
	v_xad_u32 v72, v5, v15, v4
	v_or_b32_e32 v5, 32, v11
	v_xor_b32_e32 v5, v17, v5
	v_or_b32_e32 v18, 0x440, v5
	v_cndmask_b32_e32 v5, v18, v5, vcc
	v_or_b32_e32 v5, v5, v10
	v_xad_u32 v73, v5, v15, v4
	v_or_b32_e32 v5, 64, v11
	v_xor_b32_e32 v5, v17, v5
	v_xor_b32_e32 v18, 0x440, v5
	v_cndmask_b32_e32 v5, v18, v5, vcc
	v_or_b32_e32 v5, v5, v10
	v_xad_u32 v74, v5, v15, v4
	v_or_b32_e32 v5, 0x60, v11
	v_xor_b32_e32 v5, v17, v5
	v_or_b32_e32 v8, v8, v6
	v_or_b32_e32 v6, s36, v1
	v_xor_b32_e32 v11, 0x440, v5
	v_xor_b32_e32 v60, v8, v9
	v_and_b32_e32 v8, 0x78, v46
	v_ashrrev_i32_e32 v7, 31, v6
	v_cndmask_b32_e32 v5, v11, v5, vcc
	v_lshl_or_b32 v8, v45, 7, v8
	v_lshlrev_b64 v[6:7], 1, v[6:7]
	v_or_b32_e32 v5, v5, v10
	v_or_b32_e32 v61, 0x9000, v8
	;; [unrolled: 1-line block ×3, first 2 shown]
	v_lshl_add_u64 v[8:9], s[8:9], 0, v[6:7]
	v_lshl_add_u64 v[6:7], s[14:15], 0, v[6:7]
	v_or_b32_e32 v14, 0x100, v3
	v_lshlrev_b32_e32 v16, 13, v16
	v_xad_u32 v75, v5, v15, v4
	v_lshlrev_b32_e32 v34, 8, v49
	v_cndmask_b32_e64 v76, v12, v3, s[0:1]
	v_cndmask_b32_e64 v77, v13, v14, s[0:1]
	v_lshl_add_u64 v[38:39], v[8:9], 0, v[34:35]
	v_lshl_add_u64 v[40:41], v[6:7], 0, v[34:35]
	s_mov_b32 s21, 0x7060302
	s_movk_i32 s26, 0x4000
	v_add_u32_e32 v79, v16, v72
	v_add_u32_e32 v80, v16, v73
	;; [unrolled: 1-line block ×4, first 2 shown]
	v_mov_b32_e32 v34, v35
	s_waitcnt lgkmcnt(0)
	s_barrier
.LBB679_6:                              ; =>This Inner Loop Header: Depth=1
	s_add_i32 s37, s58, 1
	s_cmp_lt_i32 s37, s46
	s_mov_b64 s[28:29], 0
	s_cselect_b64 s[40:41], -1, 0
	s_cmp_ge_i32 s37, s46
	s_mov_b64 s[24:25], 0
	s_cbranch_scc1 .LBB679_8
; %bb.7:                                ;   in Loop: Header=BB679_6 Depth=1
	s_add_i32 s0, s52, 64
	s_ashr_i32 s1, s0, 31
	s_add_u32 s0, s49, s0
	s_addc_u32 s1, s48, s1
	s_lshl_b64 s[0:1], s[0:1], 8
	s_add_u32 s24, s6, s0
	s_addc_u32 s25, s7, s1
.LBB679_8:                              ;   in Loop: Header=BB679_6 Depth=1
	v_cndmask_b32_e64 v2, 0, 1, s[40:41]
	v_cmp_ne_u32_e64 s[0:1], 1, v2
	s_andn2_b64 vcc, exec, s[40:41]
	s_cbranch_vccnz .LBB679_10
; %bb.9:                                ;   in Loop: Header=BB679_6 Depth=1
	s_add_i32 s28, s52, 64
	s_mul_hi_i32 s29, s28, s18
	s_mul_i32 s28, s28, s18
	s_add_u32 s28, s28, s51
	s_addc_u32 s29, s29, s54
	s_lshl_b64 s[28:29], s[28:29], 8
	s_add_u32 s28, s4, s28
	s_addc_u32 s29, s5, s29
.LBB679_10:                             ;   in Loop: Header=BB679_6 Depth=1
	v_perm_b32 v3, v84, v69, s21
	v_perm_b32 v2, v68, v35, s21
	;; [unrolled: 1-line block ×4, first 2 shown]
	ds_write_b64 v56, v[2:3]
	ds_write_b64 v57, v[4:5]
	;; [unrolled: 1-line block ×4, first 2 shown]
	s_waitcnt lgkmcnt(0)
	s_barrier
	ds_read_b64 v[10:11], v60 offset:16384
	ds_read_b64 v[12:13], v62 offset:16384
	ds_read2st64_b64 v[2:5], v61 offset1:1
	s_waitcnt lgkmcnt(0)
	v_mfma_f32_16x16x16_bf16 a[0:3], v[10:11], v[2:3], 0
	ds_read2st64_b64 v[6:9], v61 offset0:2 offset1:3
	ds_read_b64 v[14:15], v63 offset:16384
	ds_read_b64 v[2:3], v66 offset:16384
	s_add_i32 s31, s52, 63
	v_mfma_f32_16x16x16_bf16 a[0:3], v[12:13], v[4:5], a[0:3]
	s_ashr_i32 s40, s31, 31
	s_mul_i32 s41, s31, s35
	s_mul_hi_u32 s59, s31, s34
	s_waitcnt lgkmcnt(1)
	v_mfma_f32_16x16x16_bf16 a[0:3], v[14:15], v[6:7], a[0:3]
	s_add_i32 s41, s59, s41
	s_mul_i32 s40, s40, s34
	s_add_i32 s41, s41, s40
	s_mul_i32 s40, s31, s34
	s_waitcnt lgkmcnt(0)
	v_mfma_f32_16x16x16_bf16 a[0:3], v[2:3], v[8:9], a[0:3]
	s_lshl_b64 s[40:41], s[40:41], 2
	s_add_u32 s40, s2, s40
	s_addc_u32 s41, s3, s41
	s_and_b64 vcc, exec, s[0:1]
	v_mov_b32_e32 v87, 0
	v_mov_b32_e32 v86, 0
	;; [unrolled: 1-line block ×19, first 2 shown]
	s_cbranch_vccnz .LBB679_12
; %bb.11:                               ;   in Loop: Header=BB679_6 Depth=1
	s_and_b32 s25, s25, 0xffff
	buffer_load_dwordx4 v[14:17], v52, s[24:27], 0 offen
	buffer_load_dwordx4 v[10:13], v52, s[24:27], s55 offen
	;; [unrolled: 1-line block ×4, first 2 shown]
	v_mov_b32_e32 v86, v54
	v_mov_b32_e32 v85, v55
.LBB679_12:                             ;   in Loop: Header=BB679_6 Depth=1
	s_waitcnt vmcnt(3)
	v_add_u32_e32 v22, s52, v78
	s_waitcnt vmcnt(1)
	v_ashrrev_i32_e32 v18, 31, v22
	v_mul_lo_u32 v20, v18, s34
	v_mul_lo_u32 v21, v22, s35
	v_mad_u64_u32 v[18:19], s[24:25], v22, s34, 0
	v_add3_u32 v19, v19, v21, v20
	v_lshl_add_u64 v[18:19], v[18:19], 2, s[2:3]
	global_load_dword v89, v[18:19], off
	v_add_u32_e32 v18, 1, v22
	v_ashrrev_i32_e32 v19, 31, v18
	v_mul_lo_u32 v20, v19, s34
	v_mul_lo_u32 v21, v18, s35
	v_mad_u64_u32 v[18:19], s[24:25], v18, s34, 0
	v_add3_u32 v19, v19, v21, v20
	v_add_u32_e32 v20, 2, v22
	v_ashrrev_i32_e32 v21, 31, v20
	v_mul_lo_u32 v23, v21, s34
	v_mul_lo_u32 v24, v20, s35
	v_mad_u64_u32 v[20:21], s[24:25], v20, s34, 0
	v_add_u32_e32 v22, 3, v22
	v_add3_u32 v21, v21, v24, v23
	v_ashrrev_i32_e32 v23, 31, v22
	v_mul_lo_u32 v26, v23, s34
	v_mul_lo_u32 v27, v22, s35
	v_mad_u64_u32 v[22:23], s[24:25], v22, s34, 0
	s_ashr_i32 s25, s52, 31
	s_add_u32 s24, s49, s52
	s_addc_u32 s25, s48, s25
	s_lshl_b64 s[60:61], s[24:25], 8
	v_lshl_add_u64 v[18:19], v[18:19], 2, s[2:3]
	v_lshl_add_u64 v[24:25], v[38:39], 0, s[60:61]
	v_add3_u32 v23, v23, v27, v26
	v_lshl_add_u64 v[20:21], v[20:21], 2, s[2:3]
	global_load_ushort v92, v[24:25], off
	global_load_ushort v93, v[24:25], off offset:256
	global_load_ushort v94, v[24:25], off offset:512
	;; [unrolled: 1-line block ×3, first 2 shown]
	v_lshl_add_u64 v[22:23], v[22:23], 2, s[2:3]
	global_load_dword v96, v[18:19], off
	global_load_dword v97, v[20:21], off
	global_load_dword v98, v[22:23], off
	s_load_dword s24, s[40:41], 0x0
	ds_read_b64 v[20:21], v60 offset:24576
	ds_read2st64_b64 v[22:25], v67 offset1:1
	ds_read2st64_b64 v[26:29], v67 offset0:2 offset1:3
	ds_read_b64 v[30:31], v62 offset:24576
	ds_read_b64 v[32:33], v63 offset:24576
	;; [unrolled: 1-line block ×3, first 2 shown]
	s_waitcnt lgkmcnt(0)
	v_mfma_f32_16x16x16_bf16 a[0:3], v[20:21], v[22:23], a[0:3]
	v_mov_b32_e32 v88, 0
	v_mov_b32_e32 v18, 0
	v_mov_b32_e32 v19, 0
	v_mfma_f32_16x16x16_bf16 a[0:3], v[30:31], v[24:25], a[0:3]
	v_lshl_add_u64 v[30:31], v[40:41], 0, s[60:61]
	v_mov_b32_e32 v20, 0
	v_mov_b32_e32 v21, 0
	v_mfma_f32_16x16x16_bf16 a[0:3], v[32:33], v[26:27], a[0:3]
	v_mov_b32_e32 v22, 0
	v_mov_b32_e32 v23, 0
	;; [unrolled: 1-line block ×3, first 2 shown]
	v_mfma_f32_16x16x16_bf16 a[0:3], v[90:91], v[28:29], a[0:3]
	v_mov_b32_e32 v25, 0
	v_mov_b32_e32 v26, 0
	s_and_b64 vcc, exec, s[0:1]
	s_waitcnt vmcnt(7)
	v_sub_f32_e32 v27, s24, v89
	s_nop 1
	v_accvgpr_read_b32 v33, a1
	v_accvgpr_read_b32 v32, a0
	;; [unrolled: 1-line block ×4, first 2 shown]
	s_waitcnt vmcnt(6)
	v_lshlrev_b32_e32 v90, 16, v92
	s_waitcnt vmcnt(5)
	v_lshlrev_b32_e32 v91, 16, v93
	;; [unrolled: 2-line block ×3, first 2 shown]
	v_exp_f32_e32 v94, v27
	s_waitcnt vmcnt(2)
	v_sub_f32_e32 v27, s24, v96
	s_waitcnt vmcnt(1)
	v_sub_f32_e32 v89, s24, v97
	;; [unrolled: 2-line block ×3, first 2 shown]
	v_lshlrev_b32_e32 v93, 16, v95
	v_pk_add_f32 v[32:33], v[90:91], v[32:33] neg_lo:[0,1] neg_hi:[0,1]
	v_exp_f32_e32 v95, v27
	v_exp_f32_e32 v90, v89
	;; [unrolled: 1-line block ×3, first 2 shown]
	v_pk_add_f32 v[28:29], v[92:93], v[28:29] neg_lo:[0,1] neg_hi:[0,1]
	global_store_short_d16_hi v[30:31], v32, off
	global_store_short_d16_hi v[30:31], v33, off offset:256
	global_store_short_d16_hi v[30:31], v28, off offset:512
	;; [unrolled: 1-line block ×3, first 2 shown]
	v_pk_mul_f32 v[30:31], v[94:95], v[32:33]
	v_pk_mul_f32 v[28:29], v[90:91], v[28:29]
	v_perm_b32 v30, v31, v30, s21
	v_perm_b32 v31, v29, v28, s21
	ds_write_b64 v57, v[30:31]
	v_mov_b32_e32 v27, 0
	v_mov_b32_e32 v28, 0
	v_mov_b32_e32 v29, 0
	v_mov_b32_e32 v30, 0
	v_mov_b32_e32 v31, 0
	v_mov_b32_e32 v32, 0
	v_mov_b32_e32 v33, 0
	s_cbranch_vccnz .LBB679_14
; %bb.13:                               ;   in Loop: Header=BB679_6 Depth=1
	s_and_b32 s29, s29, 0xffff
	s_mov_b32 s31, s27
	buffer_load_dwordx4 v[30:33], v76, s[28:31], 0 offen
	buffer_load_dwordx4 v[22:25], v76, s[28:31], s55 offen
	;; [unrolled: 1-line block ×4, first 2 shown]
	v_mov_b32_e32 v87, v51
	v_mov_b32_e32 v88, v50
.LBB679_14:                             ;   in Loop: Header=BB679_6 Depth=1
	s_waitcnt lgkmcnt(0)
	s_barrier
	ds_read_b64 v[98:99], v79
	ds_read2st64_b64 v[90:93], v67 offset1:1
	ds_read2st64_b64 v[94:97], v67 offset0:2 offset1:3
	ds_read_b64 v[100:101], v80
	ds_read_b64 v[102:103], v81
	;; [unrolled: 1-line block ×3, first 2 shown]
	s_waitcnt lgkmcnt(4)
	v_mfma_f32_16x16x16_bf16 a[0:3], v[98:99], v[90:91], 0
	ds_read_b64 v[98:99], v72 offset:8192
	ds_read_b64 v[106:107], v73 offset:8192
	s_add_i32 s25, s47, s58
	s_mul_hi_i32 s29, s25, s50
	s_waitcnt lgkmcnt(1)
	v_mfma_f32_16x16x16_bf16 a[4:7], v[98:99], v[90:91], 0
	s_mul_i32 s25, s25, s50
	s_add_u32 s28, s25, s33
	s_addc_u32 s29, s29, s53
	v_mfma_f32_16x16x16_bf16 a[0:3], v[100:101], v[92:93], a[0:3]
	ds_read_b64 v[98:99], v70
	ds_read_b64 v[100:101], v71
	ds_read_b64 v[90:91], v74 offset:8192
	s_lshl_b64 s[28:29], s[28:29], 15
	v_mfma_f32_16x16x16_bf16 a[0:3], v[102:103], v[94:95], a[0:3]
	ds_read_b64 v[102:103], v75 offset:8192
	s_and_b64 vcc, exec, s[0:1]
	s_waitcnt lgkmcnt(4)
	v_mfma_f32_16x16x16_bf16 a[4:7], v[106:107], v[92:93], a[4:7]
	s_waitcnt lgkmcnt(1)
	v_mfma_f32_16x16x16_bf16 a[4:7], v[90:91], v[94:95], a[4:7]
	v_lshl_add_u64 v[90:91], v[36:37], 0, s[28:29]
	global_store_dwordx4 v[90:91], v[98:101], off
	v_mfma_f32_16x16x16_bf16 a[0:3], v[104:105], v[96:97], a[0:3]
	s_waitcnt lgkmcnt(0)
	v_mfma_f32_16x16x16_bf16 a[4:7], v[102:103], v[96:97], a[4:7]
	s_cbranch_vccnz .LBB679_16
; %bb.15:                               ;   in Loop: Header=BB679_6 Depth=1
	v_lshrrev_b32_e32 v89, 3, v87
	v_and_b32_e32 v89, 6, v89
	v_xor_b32_e32 v88, v89, v88
	v_lshlrev_b32_e32 v88, 2, v88
	v_and_b32_e32 v87, 8, v87
	v_xor_b32_e32 v90, 0x440, v88
	v_cmp_eq_u32_e32 vcc, 0, v87
	s_barrier
	s_nop 0
	v_cndmask_b32_e32 v87, v90, v88, vcc
	v_lshl_or_b32 v87, v89, 10, v87
	s_waitcnt vmcnt(2)
	v_perm_b32 v88, v30, v26, s56
	s_waitcnt vmcnt(1)
	v_perm_b32 v89, v22, v18, s56
	ds_write2st64_b32 v87, v88, v89 offset1:32
	v_xor_b32_e32 v88, 8, v87
	v_perm_b32 v26, v30, v26, s57
	v_perm_b32 v18, v22, v18, s57
	v_add_u32_e32 v22, 0x80, v88
	ds_write2st64_b32 v22, v26, v18 offset1:32
	v_xor_b32_e32 v18, 16, v87
	v_perm_b32 v22, v31, v27, s56
	v_perm_b32 v26, v23, v19, s56
	ds_write2st64_b32 v18, v22, v26 offset0:1 offset1:33
	v_xor_b32_e32 v18, 24, v87
	v_perm_b32 v22, v31, v27, s57
	v_perm_b32 v19, v23, v19, s57
	v_add_u32_e32 v18, 0x80, v18
	ds_write2st64_b32 v18, v22, v19 offset0:1 offset1:33
	v_xor_b32_e32 v18, 32, v87
	v_perm_b32 v19, v32, v28, s56
	v_perm_b32 v22, v24, v20, s56
	ds_write2st64_b32 v18, v19, v22 offset0:2 offset1:34
	v_xor_b32_e32 v18, 40, v87
	v_perm_b32 v19, v32, v28, s57
	v_perm_b32 v20, v24, v20, s57
	v_add_u32_e32 v18, 0x80, v18
	ds_write2st64_b32 v18, v19, v20 offset0:2 offset1:34
	;; [unrolled: 9-line block ×3, first 2 shown]
	ds_write_b64 v86, v[14:15] offset:16384
	v_xor_b32_e32 v14, 8, v86
	ds_write_b64 v14, v[16:17] offset:16384
	ds_write_b64 v86, v[10:11] offset:24576
	;; [unrolled: 1-line block ×4, first 2 shown]
	v_xor_b32_e32 v6, 8, v85
	ds_write_b64 v6, v[8:9] offset:16384
	ds_write_b64 v85, v[2:3] offset:24576
	;; [unrolled: 1-line block ×3, first 2 shown]
.LBB679_16:                             ;   in Loop: Header=BB679_6 Depth=1
	v_exp_f32_e32 v2, s24
	s_nop 2
	v_accvgpr_read_b32 v3, a0
	v_accvgpr_read_b32 v4, a1
	s_add_i32 s52, s52, 64
	v_fma_f32 v35, v35, v2, v3
	v_accvgpr_read_b32 v3, a2
	v_fma_f32 v69, v69, v2, v3
	v_accvgpr_read_b32 v3, a4
	;; [unrolled: 2-line block ×6, first 2 shown]
	v_fmac_f32_e32 v4, v84, v2
	s_cmp_eq_u32 s46, s37
	v_fmac_f32_e32 v3, v83, v2
	s_cbranch_scc1 .LBB679_18
; %bb.17:                               ;   in Loop: Header=BB679_6 Depth=1
	s_mov_b32 s58, s37
	v_mov_b32_e32 v84, v4
	v_mov_b32_e32 v83, v3
	s_branch .LBB679_6
.LBB679_18:
	s_lshl_b32 s0, s46, 6
	s_sub_i32 s45, s45, s0
	s_cmp_gt_i32 s45, 0
	s_cbranch_scc0 .LBB679_75
; %bb.19:
	s_add_i32 s38, s0, s38
	s_ashr_i32 s2, s38, 31
	s_cmpk_lg_i32 s19, 0x80
	s_cselect_b64 s[30:31], -1, 0
	s_and_b64 vcc, exec, s[30:31]
	s_cbranch_vccz .LBB679_21
; %bb.20:
	s_mul_i32 s1, s38, s18
	s_ashr_i32 s3, s51, 31
	s_mul_hi_i32 s0, s38, s18
	s_add_u32 s40, s1, s51
	s_addc_u32 s41, s0, s3
	s_cbranch_execz .LBB679_22
	s_branch .LBB679_23
.LBB679_21:
                                        ; implicit-def: $sgpr40_sgpr41
.LBB679_22:
	s_mul_i32 s1, s51, s16
	s_mul_hi_i32 s0, s51, s16
	s_add_u32 s40, s1, s38
	s_addc_u32 s41, s0, s2
.LBB679_23:
	s_add_i32 s3, s46, s47
	s_ashr_i32 s16, s33, 31
	s_add_u32 s0, s49, s38
	s_addc_u32 s1, s48, s2
	s_mov_b32 s2, 0x7060302
	v_lshlrev_b32_e32 v6, 3, v1
	v_perm_b32 v5, v4, v69, s2
	v_perm_b32 v4, v68, v35, s2
	;; [unrolled: 1-line block ×4, first 2 shown]
	v_lshlrev_b32_e32 v34, 2, v1
	v_lshl_or_b32 v6, v49, 5, v6
	s_lshl_b64 s[28:29], s[0:1], 8
	ds_write2st64_b64 v6, v[4:5], v[2:3] offset0:72 offset1:76
	v_xor_b32_e32 v6, v49, v34
	v_lshlrev_b32_e32 v7, 8, v1
	s_add_u32 s0, s6, s28
	v_lshl_or_b32 v6, v6, 1, v7
	s_addc_u32 s1, s7, s29
	ds_write_b64 v6, v[4:5] offset:32768
	v_xor_b32_e32 v4, v48, v34
	s_mul_hi_i32 s6, s3, s17
	s_mul_i32 s3, s3, s17
	v_lshl_or_b32 v4, v4, 1, v7
	s_add_u32 s2, s3, s33
	ds_write_b64 v4, v[2:3] offset:32768
	s_addc_u32 s3, s6, s16
	v_lshlrev_b32_e32 v3, 1, v1
	v_lshrrev_b32_e32 v2, 4, v0
	s_ashr_i32 s37, s36, 31
	s_lshl_b64 s[2:3], s[2:3], 15
	v_or_b32_e32 v4, 1, v3
	s_add_u32 s6, s12, s2
	v_xor_b32_e32 v3, v2, v3
	v_xor_b32_e32 v4, v4, v2
	v_lshlrev_b32_e32 v6, 8, v2
	s_addc_u32 s7, s13, s3
	s_lshl_b64 s[2:3], s[36:37], 8
	v_lshl_or_b32 v2, v3, 3, v6
	v_lshl_or_b32 v4, v4, 3, v6
	s_waitcnt lgkmcnt(0)
	s_barrier
	s_add_u32 s2, s6, s2
	ds_read_b64 v[2:3], v2 offset:32768
	ds_read_b64 v[4:5], v4 offset:32768
	s_addc_u32 s3, s7, s3
	v_mov_b32_e32 v7, 0
	s_cmp_lg_u32 s45, 64
	v_lshl_add_u64 v[8:9], s[2:3], 0, v[6:7]
	v_lshlrev_b32_e32 v6, 4, v1
	s_cselect_b64 s[6:7], -1, 0
	v_lshl_or_b32 v35, v44, 3, v47
	s_mov_b32 s24, 0
	v_lshl_add_u64 v[6:7], v[8:9], 0, v[6:7]
	s_waitcnt vmcnt(1)
	v_or_b32_e32 v19, 32, v35
	v_and_b32_e32 v18, 56, v46
	s_and_b64 vcc, exec, s[6:7]
	s_waitcnt lgkmcnt(0)
	global_store_dwordx4 v[6:7], v[2:5], off
	s_cbranch_vccz .LBB679_29
; %bb.24:
	s_mov_b32 s25, s24
	s_mov_b32 s26, s24
	;; [unrolled: 1-line block ×3, first 2 shown]
	v_mov_b64_e32 v[6:7], s[24:25]
	v_mov_b64_e32 v[8:9], s[26:27]
	;; [unrolled: 1-line block ×3, first 2 shown]
	v_cmp_gt_i32_e32 vcc, s45, v35
	v_mov_b64_e32 v[4:5], v[8:9]
	s_and_saveexec_b64 s[2:3], vcc
	s_cbranch_execz .LBB679_26
; %bb.25:
	v_lshlrev_b32_e32 v2, 8, v35
	v_mov_b32_e32 v3, 0
	v_lshl_add_u64 v[4:5], s[0:1], 0, v[2:3]
	v_lshlrev_b32_e32 v2, 1, v18
	v_lshl_add_u64 v[10:11], v[4:5], 0, v[2:3]
	global_load_dwordx4 v[6:9], v[10:11], off
	global_load_dwordx4 v[2:5], v[10:11], off offset:128
.LBB679_26:
	s_or_b64 exec, exec, s[2:3]
	s_mov_b32 s25, s24
	s_mov_b32 s26, s24
	;; [unrolled: 1-line block ×3, first 2 shown]
	v_mov_b64_e32 v[14:15], s[24:25]
	v_mov_b64_e32 v[16:17], s[26:27]
	;; [unrolled: 1-line block ×3, first 2 shown]
	v_cmp_gt_i32_e32 vcc, s45, v19
	v_lshlrev_b32_e32 v20, 7, v19
	v_mov_b64_e32 v[12:13], v[16:17]
	s_and_saveexec_b64 s[2:3], vcc
	s_cbranch_execz .LBB679_28
; %bb.27:
	v_lshlrev_b32_e32 v10, 1, v20
	v_mov_b32_e32 v11, 0
	v_lshl_add_u64 v[12:13], s[0:1], 0, v[10:11]
	v_lshlrev_b32_e32 v10, 1, v18
	v_lshl_add_u64 v[22:23], v[12:13], 0, v[10:11]
	global_load_dwordx4 v[14:17], v[22:23], off
	global_load_dwordx4 v[10:13], v[22:23], off offset:128
.LBB679_28:
	s_or_b64 exec, exec, s[2:3]
	v_lshrrev_b32_e32 v21, 3, v18
	v_lshlrev_b32_e32 v22, 3, v35
	v_or_b32_e32 v21, v22, v21
	v_lshlrev_b32_e32 v21, 4, v21
	v_and_b32_e32 v22, 0x78, v22
	v_xor_b32_e32 v21, v21, v22
	s_branch .LBB679_31
.LBB679_29:
                                        ; implicit-def: $vgpr21
                                        ; implicit-def: $vgpr20
                                        ; implicit-def: $vgpr6_vgpr7_vgpr8_vgpr9
                                        ; implicit-def: $vgpr2_vgpr3_vgpr4_vgpr5
                                        ; implicit-def: $vgpr14_vgpr15_vgpr16_vgpr17
                                        ; implicit-def: $vgpr10_vgpr11_vgpr12_vgpr13
	s_cbranch_execz .LBB679_31
; %bb.30:
	s_waitcnt vmcnt(0)
	v_lshlrev_b32_e32 v2, 1, v18
	v_lshl_or_b32 v20, v35, 8, v2
	s_and_b32 s1, s1, 0xffff
	s_mov_b32 s3, 0x20000
	s_movk_i32 s2, 0x4000
	v_lshl_or_b32 v21, v19, 8, v2
	s_movk_i32 s12, 0x80
	buffer_load_dwordx4 v[6:9], v20, s[0:3], 0 offen
	buffer_load_dwordx4 v[2:5], v20, s[0:3], s12 offen
	;; [unrolled: 1-line block ×4, first 2 shown]
	v_lshrrev_b32_e32 v20, 3, v18
	v_lshlrev_b32_e32 v21, 3, v35
	v_or_b32_e32 v20, v21, v20
	v_lshlrev_b32_e32 v20, 4, v20
	v_and_b32_e32 v21, 0x78, v21
	v_xor_b32_e32 v21, v20, v21
	v_lshlrev_b32_e32 v20, 7, v19
.LBB679_31:
	s_lshl_b64 s[0:1], s[40:41], 8
	s_add_u32 s4, s4, s0
	s_movk_i32 s0, 0x1000
	v_and_or_b32 v19, v20, s0, v21
	s_waitcnt vmcnt(1)
	ds_write_b64 v21, v[6:7] offset:16384
	v_xor_b32_e32 v6, 8, v21
	s_addc_u32 s5, s5, s1
	ds_write_b64 v6, v[8:9] offset:16384
	s_waitcnt vmcnt(0)
	ds_write_b64 v21, v[2:3] offset:24576
	ds_write_b64 v6, v[4:5] offset:24576
	;; [unrolled: 1-line block ×3, first 2 shown]
	v_xor_b32_e32 v2, 8, v19
	s_add_i32 s0, s43, s42
	ds_write_b64 v2, v[16:17] offset:16384
	ds_write_b64 v19, v[10:11] offset:24576
	;; [unrolled: 1-line block ×3, first 2 shown]
	s_add_i32 s21, s0, s44
	s_mul_i32 s0, s33, s23
	s_mul_hi_u32 s1, s33, s22
	v_or_b32_e32 v2, v42, v1
	s_add_i32 s0, s1, s0
	s_mul_i32 s1, s16, s22
	v_lshlrev_b32_e32 v2, 3, v2
	v_lshrrev_b32_e32 v4, 5, v43
	s_movk_i32 s16, 0xf8
	v_and_or_b32 v4, v2, s16, v4
	v_lshlrev_b32_e32 v3, 11, v44
	v_lshlrev_b32_e32 v12, 4, v4
	v_and_b32_e32 v13, 0x78, v2
	v_and_b32_e32 v14, 0x1000, v3
	v_lshlrev_b32_e32 v3, 2, v0
	v_xor_b32_e32 v2, v12, v13
	v_lshrrev_b32_e32 v4, 1, v43
	v_and_b32_e32 v3, 60, v3
	v_or_b32_e32 v2, v2, v14
	v_and_b32_e32 v15, 8, v4
	v_xor_b32_e32 v26, v2, v15
	v_lshl_or_b32 v2, v45, 6, v3
	v_lshlrev_b32_e32 v19, 1, v2
	v_or_b32_e32 v2, 32, v12
	v_xor_b32_e32 v2, v2, v13
	s_waitcnt lgkmcnt(0)
	s_barrier
	ds_read_b64 v[10:11], v26 offset:16384
	v_or_b32_e32 v2, v2, v14
	v_xor_b32_e32 v27, v2, v15
	v_or_b32_e32 v2, 64, v12
	v_xor_b32_e32 v2, v2, v13
	v_or_b32_e32 v2, v2, v14
	v_or_b32_e32 v12, 0x60, v12
	v_xor_b32_e32 v28, v2, v15
	ds_read2st64_b64 v[2:5], v19 offset0:72 offset1:73
	ds_read2st64_b64 v[6:9], v19 offset0:74 offset1:75
	v_xor_b32_e32 v16, v12, v13
	ds_read_b64 v[12:13], v27 offset:16384
	s_waitcnt lgkmcnt(2)
	v_mfma_f32_16x16x16_bf16 a[0:3], v[10:11], v[2:3], 0
	s_add_i32 s2, s39, -1
	s_ashr_i32 s3, s2, 31
	s_mul_i32 s12, s2, s35
	s_mul_hi_u32 s13, s2, s34
	s_add_i32 s12, s13, s12
	s_mul_i32 s3, s3, s34
	v_or_b32_e32 v14, v16, v14
	s_add_i32 s1, s0, s1
	s_add_i32 s3, s12, s3
	s_lshl_b64 s[12:13], s[20:21], 2
	v_xor_b32_e32 v36, v14, v15
	ds_read_b64 v[14:15], v28 offset:16384
	ds_read_b64 v[16:17], v36 offset:16384
	s_waitcnt lgkmcnt(2)
	v_mfma_f32_16x16x16_bf16 a[0:3], v[12:13], v[4:5], a[0:3]
	s_mul_i32 s0, s33, s22
	s_add_u32 s10, s10, s12
	s_addc_u32 s11, s11, s13
	s_lshl_b64 s[0:1], s[0:1], 2
	s_mul_i32 s2, s2, s34
	s_add_u32 s10, s10, s0
	s_addc_u32 s11, s11, s1
	s_lshl_b64 s[0:1], s[2:3], 2
	s_waitcnt lgkmcnt(1)
	v_mfma_f32_16x16x16_bf16 a[0:3], v[14:15], v[6:7], a[0:3]
	s_add_u32 s0, s10, s0
	s_addc_u32 s1, s11, s1
	s_load_dword s12, s[0:1], 0x0
	s_waitcnt lgkmcnt(0)
	v_mfma_f32_16x16x16_bf16 a[0:3], v[16:17], v[8:9], a[0:3]
	s_and_b64 vcc, exec, s[30:31]
	s_cbranch_vccz .LBB679_42
; %bb.32:
	v_lshlrev_b32_e32 v20, 1, v35
	s_and_b64 vcc, exec, s[6:7]
	s_cbranch_vccz .LBB679_43
; %bb.33:
	v_cmp_gt_i32_e32 vcc, s45, v20
	v_mov_b32_e32 v6, 0
	v_mov_b32_e32 v2, 0
	v_mov_b32_e32 v3, 0
	v_mov_b32_e32 v4, 0
	v_mov_b32_e32 v5, 0
	s_and_saveexec_b64 s[0:1], vcc
	s_cbranch_execz .LBB679_35
; %bb.34:
	v_mad_i64_i32 v[2:3], s[2:3], s19, v20, 0
	v_lshl_add_u64 v[2:3], v[2:3], 1, s[4:5]
	v_lshlrev_b32_e32 v4, 1, v18
	v_mov_b32_e32 v5, 0
	v_lshl_add_u64 v[2:3], v[2:3], 0, v[4:5]
	global_load_dwordx4 v[2:5], v[2:3], off
.LBB679_35:
	s_or_b64 exec, exec, s[0:1]
	v_or_b32_e32 v21, 1, v20
	v_cmp_gt_i32_e64 s[0:1], s45, v21
	v_mov_b32_e32 v7, 0
	v_mov_b32_e32 v8, 0
	;; [unrolled: 1-line block ×3, first 2 shown]
	s_and_saveexec_b64 s[2:3], s[0:1]
	s_cbranch_execz .LBB679_37
; %bb.36:
	v_mad_i64_i32 v[6:7], s[16:17], s19, v21, 0
	v_lshl_add_u64 v[6:7], v[6:7], 1, s[4:5]
	v_lshlrev_b32_e32 v8, 1, v18
	v_mov_b32_e32 v9, 0
	v_lshl_add_u64 v[6:7], v[6:7], 0, v[8:9]
	global_load_dwordx4 v[6:9], v[6:7], off
.LBB679_37:
	s_or_b64 exec, exec, s[2:3]
	v_mov_b32_e32 v17, 0
	v_mov_b32_e32 v10, 0
	;; [unrolled: 1-line block ×5, first 2 shown]
	s_and_saveexec_b64 s[2:3], vcc
	s_cbranch_execz .LBB679_39
; %bb.38:
	v_mad_i64_i32 v[10:11], s[16:17], s19, v20, 0
	v_lshl_add_u64 v[10:11], v[10:11], 1, s[4:5]
	v_lshlrev_b32_e32 v12, 1, v18
	v_mov_b32_e32 v13, 0
	v_lshl_add_u64 v[10:11], v[10:11], 0, v[12:13]
	global_load_dwordx4 v[10:13], v[10:11], off offset:128
.LBB679_39:
	s_or_b64 exec, exec, s[2:3]
	v_mov_b32_e32 v16, 0
	v_mov_b32_e32 v15, 0
	;; [unrolled: 1-line block ×3, first 2 shown]
	s_and_saveexec_b64 s[2:3], s[0:1]
	s_cbranch_execz .LBB679_41
; %bb.40:
	v_mad_i64_i32 v[14:15], s[0:1], s19, v21, 0
	v_lshl_add_u64 v[14:15], v[14:15], 1, s[4:5]
	v_lshlrev_b32_e32 v16, 1, v18
	v_mov_b32_e32 v17, 0
	v_lshl_add_u64 v[14:15], v[14:15], 0, v[16:17]
	global_load_dwordx4 v[14:17], v[14:15], off offset:128
.LBB679_41:
	s_or_b64 exec, exec, s[2:3]
	s_branch .LBB679_45
.LBB679_42:
                                        ; implicit-def: $vgpr5
                                        ; implicit-def: $vgpr9
                                        ; implicit-def: $vgpr13
                                        ; implicit-def: $vgpr17
	v_lshrrev_b32_e32 v37, 2, v43
	s_branch .LBB679_46
.LBB679_43:
                                        ; implicit-def: $vgpr5
                                        ; implicit-def: $vgpr9
                                        ; implicit-def: $vgpr13
                                        ; implicit-def: $vgpr17
	s_cbranch_execz .LBB679_45
; %bb.44:
	s_waitcnt vmcnt(0)
	v_mad_u64_u32 v[2:3], s[0:1], v20, s19, v[18:19]
	v_lshlrev_b32_e32 v20, 1, v2
	s_lshl_b32 s2, s19, 7
	s_and_b32 s1, s5, 0xffff
	s_mov_b32 s3, 0x20000
	s_mov_b32 s0, s4
	v_add_lshl_u32 v21, v2, s19, 1
	s_movk_i32 s13, 0x80
	buffer_load_dwordx4 v[2:5], v20, s[0:3], 0 offen
	buffer_load_dwordx4 v[10:13], v20, s[0:3], s13 offen
	;; [unrolled: 1-line block ×4, first 2 shown]
.LBB679_45:
	v_lshrrev_b32_e32 v37, 2, v43
	s_cbranch_execnz .LBB679_58
.LBB679_46:
	s_and_b64 vcc, exec, s[6:7]
	s_cbranch_vccz .LBB679_56
; %bb.47:
	s_waitcnt vmcnt(0)
	v_lshlrev_b32_e32 v7, 1, v35
	v_cmp_gt_i32_e32 vcc, s45, v7
	v_mov_b32_e32 v6, 0
	v_lshlrev_b32_e32 v14, 9, v35
	v_mov_b32_e32 v2, 0
	v_mov_b32_e32 v3, 0
	;; [unrolled: 1-line block ×4, first 2 shown]
	s_and_saveexec_b64 s[0:1], vcc
	s_cbranch_execz .LBB679_49
; %bb.48:
	v_mov_b32_e32 v15, 0
	v_lshl_add_u64 v[2:3], s[4:5], 0, v[14:15]
	v_lshlrev_b32_e32 v4, 1, v18
	v_mov_b32_e32 v5, v15
	v_lshl_add_u64 v[2:3], v[2:3], 0, v[4:5]
	global_load_dwordx4 v[2:5], v[2:3], off
.LBB679_49:
	s_or_b64 exec, exec, s[0:1]
	v_or_b32_e32 v7, 1, v7
	v_cmp_gt_i32_e64 s[0:1], s45, v7
	v_lshlrev_b32_e32 v20, 8, v7
	v_mov_b32_e32 v7, 0
	v_mov_b32_e32 v8, 0
	;; [unrolled: 1-line block ×3, first 2 shown]
	s_and_saveexec_b64 s[2:3], s[0:1]
	s_cbranch_execz .LBB679_51
; %bb.50:
	v_mov_b32_e32 v21, 0
	v_lshl_add_u64 v[6:7], s[4:5], 0, v[20:21]
	v_lshlrev_b32_e32 v8, 1, v18
	v_mov_b32_e32 v9, v21
	v_lshl_add_u64 v[6:7], v[6:7], 0, v[8:9]
	global_load_dwordx4 v[6:9], v[6:7], off
.LBB679_51:
	s_or_b64 exec, exec, s[2:3]
	v_mov_b32_e32 v17, 0
	v_mov_b32_e32 v10, 0
	;; [unrolled: 1-line block ×5, first 2 shown]
	s_and_saveexec_b64 s[2:3], vcc
	s_cbranch_execz .LBB679_53
; %bb.52:
	v_mov_b32_e32 v15, 0
	v_lshl_add_u64 v[10:11], s[4:5], 0, v[14:15]
	v_lshlrev_b32_e32 v14, 1, v18
	v_lshl_add_u64 v[10:11], v[10:11], 0, v[14:15]
	global_load_dwordx4 v[10:13], v[10:11], off offset:128
.LBB679_53:
	s_or_b64 exec, exec, s[2:3]
	v_mov_b32_e32 v16, 0
	v_mov_b32_e32 v15, 0
	;; [unrolled: 1-line block ×3, first 2 shown]
	s_and_saveexec_b64 s[2:3], s[0:1]
	s_cbranch_execz .LBB679_55
; %bb.54:
	v_mov_b32_e32 v21, 0
	v_lshl_add_u64 v[14:15], s[4:5], 0, v[20:21]
	v_lshlrev_b32_e32 v20, 1, v18
	v_lshl_add_u64 v[14:15], v[14:15], 0, v[20:21]
	global_load_dwordx4 v[14:17], v[14:15], off offset:128
.LBB679_55:
	s_or_b64 exec, exec, s[2:3]
	s_branch .LBB679_58
.LBB679_56:
                                        ; implicit-def: $vgpr5
                                        ; implicit-def: $vgpr9
                                        ; implicit-def: $vgpr13
                                        ; implicit-def: $vgpr17
	s_cbranch_execz .LBB679_58
; %bb.57:
	s_waitcnt vmcnt(0)
	v_lshlrev_b32_e32 v2, 1, v18
	v_lshl_or_b32 v18, v35, 9, v2
	s_and_b32 s5, s5, 0xffff
	s_mov_b32 s7, 0x20000
	s_movk_i32 s6, 0x4000
	s_movk_i32 s0, 0x80
	buffer_load_dwordx4 v[2:5], v18, s[4:7], 0 offen
	buffer_load_dwordx4 v[6:9], v18, s[4:7], 0 offen offset:256
	buffer_load_dwordx4 v[10:13], v18, s[4:7], s0 offen
	buffer_load_dwordx4 v[14:17], v18, s[4:7], s0 offen offset:256
.LBB679_58:
	ds_read2st64_b64 v[22:25], v19 offset0:76 offset1:77
	ds_read2st64_b64 v[18:21], v19 offset0:78 offset1:79
	ds_read_b64 v[32:33], v26 offset:24576
	ds_read_b64 v[30:31], v27 offset:24576
	;; [unrolled: 1-line block ×4, first 2 shown]
	v_and_b32_e32 v36, 6, v0
	v_xor_b32_e32 v35, v35, v36
	v_lshlrev_b32_e32 v35, 2, v35
	v_and_b32_e32 v0, 1, v0
	v_xor_b32_e32 v38, 0x440, v35
	v_cmp_eq_u32_e32 vcc, 0, v0
	s_mov_b32 s0, 0x1000504
	s_mov_b32 s1, 0x3020706
	v_cndmask_b32_e32 v0, v38, v35, vcc
	v_lshl_or_b32 v0, v36, 10, v0
	s_waitcnt vmcnt(0)
	v_perm_b32 v35, v2, v6, s0
	v_perm_b32 v36, v10, v14, s0
	ds_write2st64_b32 v0, v35, v36 offset1:32
	v_xor_b32_e32 v35, 8, v0
	v_perm_b32 v2, v2, v6, s1
	v_perm_b32 v6, v10, v14, s1
	v_add_u32_e32 v10, 0x80, v35
	ds_write2st64_b32 v10, v2, v6 offset1:32
	v_xor_b32_e32 v2, 16, v0
	v_perm_b32 v6, v3, v7, s0
	v_perm_b32 v10, v11, v15, s0
	ds_write2st64_b32 v2, v6, v10 offset0:1 offset1:33
	v_xor_b32_e32 v2, 24, v0
	v_perm_b32 v3, v3, v7, s1
	v_perm_b32 v6, v11, v15, s1
	v_add_u32_e32 v2, 0x80, v2
	ds_write2st64_b32 v2, v3, v6 offset0:1 offset1:33
	v_xor_b32_e32 v2, 32, v0
	v_perm_b32 v3, v4, v8, s0
	v_perm_b32 v6, v12, v16, s0
	ds_write2st64_b32 v2, v3, v6 offset0:2 offset1:34
	v_xor_b32_e32 v2, 40, v0
	v_perm_b32 v3, v4, v8, s1
	v_perm_b32 v4, v12, v16, s1
	v_add_u32_e32 v2, 0x80, v2
	ds_write2st64_b32 v2, v3, v4 offset0:2 offset1:34
	v_xor_b32_e32 v2, 48, v0
	v_perm_b32 v3, v5, v9, s0
	v_perm_b32 v4, v13, v17, s0
	v_xor_b32_e32 v0, 56, v0
	v_and_or_b32 v8, v37, 12, v42
	ds_write2st64_b32 v2, v3, v4 offset0:3 offset1:35
	v_perm_b32 v2, v5, v9, s1
	v_perm_b32 v3, v13, v17, s1
	v_add_u32_e32 v0, 0x80, v0
	v_cmp_gt_i32_e64 s[2:3], s45, v8
	v_mov_b32_e32 v10, 0
	v_mov_b32_e32 v15, 0
	ds_write2st64_b32 v0, v2, v3 offset0:3 offset1:35
	s_and_saveexec_b64 s[0:1], s[2:3]
	s_cbranch_execz .LBB679_60
; %bb.59:
	v_add_u32_e32 v0, s38, v8
	v_ashrrev_i32_e32 v2, 31, v0
	v_mul_lo_u32 v4, v2, s34
	v_mul_lo_u32 v5, v0, s35
	v_mad_u64_u32 v[2:3], s[4:5], v0, s34, 0
	v_add3_u32 v3, v3, v5, v4
	v_lshl_add_u64 v[2:3], v[2:3], 2, s[10:11]
	global_load_dword v0, v[2:3], off
	s_waitcnt vmcnt(0)
	v_sub_f32_e32 v0, s12, v0
	v_exp_f32_e32 v15, v0
.LBB679_60:
	s_or_b64 exec, exec, s[0:1]
	v_or_b32_e32 v13, 1, v8
	v_cmp_gt_i32_e64 s[4:5], s45, v13
	s_and_saveexec_b64 s[0:1], s[4:5]
	s_cbranch_execz .LBB679_62
; %bb.61:
	v_add_u32_e32 v0, s38, v13
	v_ashrrev_i32_e32 v2, 31, v0
	v_mul_lo_u32 v4, v2, s34
	v_mul_lo_u32 v5, v0, s35
	v_mad_u64_u32 v[2:3], s[6:7], v0, s34, 0
	v_add3_u32 v3, v3, v5, v4
	v_lshl_add_u64 v[2:3], v[2:3], 2, s[10:11]
	global_load_dword v0, v[2:3], off
	s_waitcnt vmcnt(0)
	v_sub_f32_e32 v0, s12, v0
	v_exp_f32_e32 v10, v0
.LBB679_62:
	s_or_b64 exec, exec, s[0:1]
	v_or_b32_e32 v11, 2, v8
	v_cmp_gt_i32_e32 vcc, s45, v11
	v_mov_b32_e32 v9, 0
	v_mov_b32_e32 v14, 0
	s_and_saveexec_b64 s[0:1], vcc
	s_cbranch_execz .LBB679_64
; %bb.63:
	v_add_u32_e32 v0, s38, v11
	v_ashrrev_i32_e32 v2, 31, v0
	v_mul_lo_u32 v4, v2, s34
	v_mul_lo_u32 v5, v0, s35
	v_mad_u64_u32 v[2:3], s[6:7], v0, s34, 0
	v_add3_u32 v3, v3, v5, v4
	v_lshl_add_u64 v[2:3], v[2:3], 2, s[10:11]
	global_load_dword v0, v[2:3], off
	s_waitcnt vmcnt(0)
	v_sub_f32_e32 v0, s12, v0
	v_exp_f32_e32 v14, v0
.LBB679_64:
	s_or_b64 exec, exec, s[0:1]
	v_or_b32_e32 v12, 3, v8
	v_cmp_gt_i32_e64 s[0:1], s45, v12
	s_and_saveexec_b64 s[6:7], s[0:1]
	s_cbranch_execz .LBB679_66
; %bb.65:
	v_add_u32_e32 v0, s38, v12
	v_ashrrev_i32_e32 v2, 31, v0
	v_mul_lo_u32 v4, v2, s34
	v_mul_lo_u32 v5, v0, s35
	v_mad_u64_u32 v[2:3], s[16:17], v0, s34, 0
	v_add3_u32 v3, v3, v5, v4
	v_lshl_add_u64 v[2:3], v[2:3], 2, s[10:11]
	global_load_dword v0, v[2:3], off
	s_waitcnt vmcnt(0)
	v_sub_f32_e32 v0, s12, v0
	v_exp_f32_e32 v9, v0
.LBB679_66:
	s_or_b64 exec, exec, s[6:7]
	s_waitcnt lgkmcnt(11)
	v_mfma_f32_16x16x16_bf16 a[0:3], v[32:33], v[22:23], a[0:3]
	v_or_b32_e32 v0, s36, v1
	s_add_u32 s6, s8, s28
	v_ashrrev_i32_e32 v1, 31, v0
	s_waitcnt lgkmcnt(10)
	v_mfma_f32_16x16x16_bf16 a[0:3], v[30:31], v[24:25], a[0:3]
	s_addc_u32 s7, s9, s29
	v_lshlrev_b64 v[0:1], 1, v[0:1]
	v_lshl_add_u64 v[4:5], s[6:7], 0, v[0:1]
	s_waitcnt lgkmcnt(9)
	v_mfma_f32_16x16x16_bf16 a[0:3], v[28:29], v[18:19], a[0:3]
	s_add_u32 s6, s14, s28
	s_addc_u32 s7, s15, s29
	v_lshl_add_u64 v[6:7], s[6:7], 0, v[0:1]
	s_waitcnt lgkmcnt(8)
	v_mfma_f32_16x16x16_bf16 a[0:3], v[26:27], v[20:21], a[0:3]
	v_mov_b32_e32 v16, 0
	v_mov_b32_e32 v17, 0
	s_nop 4
	v_accvgpr_read_b32 v0, a0
	v_accvgpr_read_b32 v1, a1
	;; [unrolled: 1-line block ×4, first 2 shown]
	s_and_saveexec_b64 s[6:7], s[2:3]
	s_cbranch_execz .LBB679_68
; %bb.67:
	v_lshlrev_b32_e32 v18, 8, v8
	v_mov_b32_e32 v19, 0
	v_lshl_add_u64 v[20:21], v[4:5], 0, v[18:19]
	global_load_ushort v17, v[20:21], off
	v_lshl_add_u64 v[18:19], v[6:7], 0, v[18:19]
	s_waitcnt vmcnt(0)
	v_lshlrev_b32_e32 v17, 16, v17
	v_sub_f32_e32 v0, v17, v0
	global_store_short_d16_hi v[18:19], v0, off
	v_mul_f32_e32 v0, v15, v0
	v_lshrrev_b32_e32 v17, 16, v0
.LBB679_68:
	s_or_b64 exec, exec, s[6:7]
	s_and_saveexec_b64 s[2:3], s[4:5]
	s_cbranch_execz .LBB679_70
; %bb.69:
	v_lshlrev_b32_e32 v18, 8, v13
	v_mov_b32_e32 v19, 0
	v_lshl_add_u64 v[20:21], v[4:5], 0, v[18:19]
	global_load_ushort v0, v[20:21], off
	v_lshl_add_u64 v[18:19], v[6:7], 0, v[18:19]
	s_waitcnt vmcnt(0)
	v_lshlrev_b32_e32 v0, 16, v0
	v_sub_f32_e32 v0, v0, v1
	global_store_short_d16_hi v[18:19], v0, off
	v_mul_f32_e32 v0, v10, v0
	v_lshrrev_b32_e32 v16, 16, v0
.LBB679_70:
	s_or_b64 exec, exec, s[2:3]
	v_mov_b32_e32 v0, 0
	v_mov_b32_e32 v1, 0
	s_and_saveexec_b64 s[2:3], vcc
	s_cbranch_execz .LBB679_72
; %bb.71:
	v_lshlrev_b32_e32 v10, 8, v11
	v_mov_b32_e32 v11, 0
	v_lshl_add_u64 v[18:19], v[4:5], 0, v[10:11]
	global_load_ushort v1, v[18:19], off
	v_lshl_add_u64 v[10:11], v[6:7], 0, v[10:11]
	s_waitcnt vmcnt(0)
	v_lshlrev_b32_e32 v1, 16, v1
	v_sub_f32_e32 v1, v1, v2
	global_store_short_d16_hi v[10:11], v1, off
	v_mul_f32_e32 v1, v14, v1
	v_lshrrev_b32_e32 v1, 16, v1
.LBB679_72:
	s_or_b64 exec, exec, s[2:3]
	s_and_saveexec_b64 s[2:3], s[0:1]
	s_cbranch_execz .LBB679_74
; %bb.73:
	v_lshlrev_b32_e32 v10, 8, v12
	v_mov_b32_e32 v11, 0
	v_lshl_add_u64 v[4:5], v[4:5], 0, v[10:11]
	global_load_ushort v0, v[4:5], off
	v_lshl_add_u64 v[4:5], v[6:7], 0, v[10:11]
	s_waitcnt vmcnt(0)
	v_lshlrev_b32_e32 v0, 16, v0
	v_sub_f32_e32 v0, v0, v3
	global_store_short_d16_hi v[4:5], v0, off
	v_mul_f32_e32 v0, v9, v0
	v_lshrrev_b32_e32 v0, 16, v0
.LBB679_74:
	s_or_b64 exec, exec, s[2:3]
	s_mov_b32 s0, 0x5040100
	v_lshlrev_b32_e32 v2, 1, v34
	v_perm_b32 v1, v0, v1, s0
	v_perm_b32 v0, v16, v17, s0
	v_lshl_or_b32 v2, v8, 5, v2
	ds_write_b64 v2, v[0:1] offset:38912
	s_waitcnt lgkmcnt(0)
	s_barrier
.LBB679_75:
	s_endpgm
	.section	.rodata,"a",@progbits
	.p2align	6, 0x0
	.amdhsa_kernel _ZN12_GLOBAL__N_139chunk_gated_delta_rule_fwd_h_hip_kernelILi16ELb0ELb0ELb1ELb1ELb1ELb0ELb1ELb0EEEvPK12hip_bfloat16S3_S3_PKfS5_PKvPS1_S8_PvPKiSB_iiiiilll
		.amdhsa_group_segment_fixed_size 40960
		.amdhsa_private_segment_fixed_size 0
		.amdhsa_kernarg_size 136
		.amdhsa_user_sgpr_count 2
		.amdhsa_user_sgpr_dispatch_ptr 0
		.amdhsa_user_sgpr_queue_ptr 0
		.amdhsa_user_sgpr_kernarg_segment_ptr 1
		.amdhsa_user_sgpr_dispatch_id 0
		.amdhsa_user_sgpr_kernarg_preload_length 0
		.amdhsa_user_sgpr_kernarg_preload_offset 0
		.amdhsa_user_sgpr_private_segment_size 0
		.amdhsa_uses_dynamic_stack 0
		.amdhsa_enable_private_segment 0
		.amdhsa_system_sgpr_workgroup_id_x 1
		.amdhsa_system_sgpr_workgroup_id_y 1
		.amdhsa_system_sgpr_workgroup_id_z 0
		.amdhsa_system_sgpr_workgroup_info 0
		.amdhsa_system_vgpr_workitem_id 0
		.amdhsa_next_free_vgpr 116
		.amdhsa_next_free_sgpr 62
		.amdhsa_accum_offset 108
		.amdhsa_reserve_vcc 1
		.amdhsa_float_round_mode_32 0
		.amdhsa_float_round_mode_16_64 0
		.amdhsa_float_denorm_mode_32 3
		.amdhsa_float_denorm_mode_16_64 3
		.amdhsa_dx10_clamp 1
		.amdhsa_ieee_mode 1
		.amdhsa_fp16_overflow 0
		.amdhsa_tg_split 0
		.amdhsa_exception_fp_ieee_invalid_op 0
		.amdhsa_exception_fp_denorm_src 0
		.amdhsa_exception_fp_ieee_div_zero 0
		.amdhsa_exception_fp_ieee_overflow 0
		.amdhsa_exception_fp_ieee_underflow 0
		.amdhsa_exception_fp_ieee_inexact 0
		.amdhsa_exception_int_div_zero 0
	.end_amdhsa_kernel
	.section	.text._ZN12_GLOBAL__N_139chunk_gated_delta_rule_fwd_h_hip_kernelILi16ELb0ELb0ELb1ELb1ELb1ELb0ELb1ELb0EEEvPK12hip_bfloat16S3_S3_PKfS5_PKvPS1_S8_PvPKiSB_iiiiilll,"axG",@progbits,_ZN12_GLOBAL__N_139chunk_gated_delta_rule_fwd_h_hip_kernelILi16ELb0ELb0ELb1ELb1ELb1ELb0ELb1ELb0EEEvPK12hip_bfloat16S3_S3_PKfS5_PKvPS1_S8_PvPKiSB_iiiiilll,comdat
.Lfunc_end679:
	.size	_ZN12_GLOBAL__N_139chunk_gated_delta_rule_fwd_h_hip_kernelILi16ELb0ELb0ELb1ELb1ELb1ELb0ELb1ELb0EEEvPK12hip_bfloat16S3_S3_PKfS5_PKvPS1_S8_PvPKiSB_iiiiilll, .Lfunc_end679-_ZN12_GLOBAL__N_139chunk_gated_delta_rule_fwd_h_hip_kernelILi16ELb0ELb0ELb1ELb1ELb1ELb0ELb1ELb0EEEvPK12hip_bfloat16S3_S3_PKfS5_PKvPS1_S8_PvPKiSB_iiiiilll
                                        ; -- End function
	.section	.AMDGPU.csdata,"",@progbits
; Kernel info:
; codeLenInByte = 7160
; NumSgprs: 68
; NumVgprs: 108
; NumAgprs: 8
; TotalNumVgprs: 116
; ScratchSize: 0
; MemoryBound: 0
; FloatMode: 240
; IeeeMode: 1
; LDSByteSize: 40960 bytes/workgroup (compile time only)
; SGPRBlocks: 8
; VGPRBlocks: 14
; NumSGPRsForWavesPerEU: 68
; NumVGPRsForWavesPerEU: 116
; AccumOffset: 108
; Occupancy: 1
; WaveLimiterHint : 1
; COMPUTE_PGM_RSRC2:SCRATCH_EN: 0
; COMPUTE_PGM_RSRC2:USER_SGPR: 2
; COMPUTE_PGM_RSRC2:TRAP_HANDLER: 0
; COMPUTE_PGM_RSRC2:TGID_X_EN: 1
; COMPUTE_PGM_RSRC2:TGID_Y_EN: 1
; COMPUTE_PGM_RSRC2:TGID_Z_EN: 0
; COMPUTE_PGM_RSRC2:TIDIG_COMP_CNT: 0
; COMPUTE_PGM_RSRC3_GFX90A:ACCUM_OFFSET: 26
; COMPUTE_PGM_RSRC3_GFX90A:TG_SPLIT: 0
	.section	.text._ZN12_GLOBAL__N_139chunk_gated_delta_rule_fwd_h_hip_kernelILi16ELb0ELb0ELb0ELb1ELb1ELb0ELb1ELb0EEEvPK12hip_bfloat16S3_S3_PKfS5_PKvPS1_S8_PvPKiSB_iiiiilll,"axG",@progbits,_ZN12_GLOBAL__N_139chunk_gated_delta_rule_fwd_h_hip_kernelILi16ELb0ELb0ELb0ELb1ELb1ELb0ELb1ELb0EEEvPK12hip_bfloat16S3_S3_PKfS5_PKvPS1_S8_PvPKiSB_iiiiilll,comdat
	.globl	_ZN12_GLOBAL__N_139chunk_gated_delta_rule_fwd_h_hip_kernelILi16ELb0ELb0ELb0ELb1ELb1ELb0ELb1ELb0EEEvPK12hip_bfloat16S3_S3_PKfS5_PKvPS1_S8_PvPKiSB_iiiiilll ; -- Begin function _ZN12_GLOBAL__N_139chunk_gated_delta_rule_fwd_h_hip_kernelILi16ELb0ELb0ELb0ELb1ELb1ELb0ELb1ELb0EEEvPK12hip_bfloat16S3_S3_PKfS5_PKvPS1_S8_PvPKiSB_iiiiilll
	.p2align	8
	.type	_ZN12_GLOBAL__N_139chunk_gated_delta_rule_fwd_h_hip_kernelILi16ELb0ELb0ELb0ELb1ELb1ELb0ELb1ELb0EEEvPK12hip_bfloat16S3_S3_PKfS5_PKvPS1_S8_PvPKiSB_iiiiilll,@function
_ZN12_GLOBAL__N_139chunk_gated_delta_rule_fwd_h_hip_kernelILi16ELb0ELb0ELb0ELb1ELb1ELb0ELb1ELb0EEEvPK12hip_bfloat16S3_S3_PKfS5_PKvPS1_S8_PvPKiSB_iiiiilll: ; @_ZN12_GLOBAL__N_139chunk_gated_delta_rule_fwd_h_hip_kernelILi16ELb0ELb0ELb0ELb1ELb1ELb0ELb1ELb0EEEvPK12hip_bfloat16S3_S3_PKfS5_PKvPS1_S8_PvPKiSB_iiiiilll
; %bb.0:
	s_load_dwordx4 s[12:15], s[0:1], 0x5c
	s_load_dwordx4 s[16:19], s[0:1], 0x70
	s_abs_i32 s21, s3
	s_ashr_i32 s20, s3, 31
	s_load_dwordx2 s[36:37], s[0:1], 0x30
	s_load_dwordx4 s[24:27], s[0:1], 0x48
	s_waitcnt lgkmcnt(0)
	s_abs_i32 s28, s13
	v_cvt_f32_u32_e32 v1, s28
	s_sub_i32 s22, 0, s28
	s_ashr_i32 s29, s13, 31
	s_xor_b32 s20, s20, s29
	v_rcp_iflag_f32_e32 v1, v1
	s_load_dwordx8 s[4:11], s[0:1], 0x0
	v_lshrrev_b32_e32 v42, 6, v0
	v_bfe_u32 v43, v0, 4, 2
	v_mul_f32_e32 v1, 0x4f7ffffe, v1
	v_cvt_u32_f32_e32 v1, v1
	v_lshlrev_b32_e32 v40, 4, v42
	v_lshlrev_b32_e32 v2, 2, v43
	v_and_b32_e32 v41, 63, v0
	v_readfirstlane_b32 s23, v1
	s_mul_i32 s22, s22, s23
	s_mul_hi_u32 s22, s23, s22
	s_add_i32 s23, s23, s22
	s_mul_hi_u32 s22, s21, s23
	s_mul_i32 s23, s22, s28
	s_sub_i32 s21, s21, s23
	s_add_i32 s30, s22, 1
	s_sub_i32 s23, s21, s28
	s_cmp_ge_u32 s21, s28
	s_cselect_b32 s22, s30, s22
	s_cselect_b32 s21, s23, s21
	s_add_i32 s23, s22, 1
	s_cmp_ge_u32 s21, s28
	s_cselect_b32 s21, s23, s22
	s_xor_b32 s21, s21, s20
	s_sub_i32 s20, s21, s20
	s_mul_i32 s21, s20, s13
	s_sub_i32 s33, s3, s21
	s_ashr_i32 s21, s20, 31
	s_lshl_b64 s[22:23], s[20:21], 2
	s_add_u32 s24, s24, s22
	s_addc_u32 s25, s25, s23
	s_add_u32 s22, s26, s22
	s_addc_u32 s23, s27, s23
	s_abs_i32 s3, s14
	v_cvt_f32_u32_e32 v1, s3
	s_load_dwordx2 s[34:35], s[24:25], 0x0
	s_sub_i32 s25, 0, s3
	s_load_dword s45, s[22:23], 0x0
	v_rcp_iflag_f32_e32 v1, v1
	v_or_b32_e32 v47, v2, v40
	s_waitcnt lgkmcnt(0)
	s_sub_i32 s43, s35, s34
	s_ashr_i32 s24, s43, 31
	v_mul_f32_e32 v1, 0x4f7ffffe, v1
	v_cvt_u32_f32_e32 v1, v1
	s_lshr_b32 s24, s24, 26
	s_add_i32 s24, s43, s24
	s_ashr_i32 s44, s24, 6
	v_readfirstlane_b32 s26, v1
	s_mul_i32 s25, s25, s26
	s_mul_hi_u32 s25, s26, s25
	s_add_i32 s26, s26, s25
	s_mul_hi_u32 s25, s28, s26
	s_mul_i32 s26, s25, s3
	s_ashr_i32 s24, s14, 31
	s_sub_i32 s26, s28, s26
	s_xor_b32 s24, s29, s24
	s_add_i32 s27, s25, 1
	s_sub_i32 s28, s26, s3
	s_cmp_ge_u32 s26, s3
	s_cselect_b32 s25, s27, s25
	s_cselect_b32 s26, s28, s26
	s_add_i32 s27, s25, 1
	s_cmp_ge_u32 s26, s3
	s_cselect_b32 s3, s27, s25
	s_xor_b32 s3, s3, s24
	s_sub_i32 s3, s3, s24
	s_abs_i32 s24, s3
	v_cvt_f32_u32_e32 v1, s24
	s_load_dwordx2 s[28:29], s[0:1], 0x80
	s_xor_b32 s0, s33, s3
	s_sub_i32 s3, 0, s24
	v_rcp_iflag_f32_e32 v1, v1
	s_abs_i32 s1, s33
	s_ashr_i32 s0, s0, 31
	v_or_b32_e32 v46, 64, v47
	v_mul_f32_e32 v1, 0x4f7ffffe, v1
	v_cvt_u32_f32_e32 v1, v1
	v_mov_b32_e32 v3, 0
	s_mul_hi_i32 s46, s33, s12
	s_mul_i32 s47, s33, s12
	v_readfirstlane_b32 s22, v1
	s_mul_i32 s3, s3, s22
	s_mul_hi_u32 s3, s22, s3
	s_add_i32 s22, s22, s3
	s_mul_hi_u32 s3, s1, s22
	s_mul_i32 s22, s3, s24
	s_sub_i32 s1, s1, s22
	s_add_i32 s22, s3, 1
	s_sub_i32 s23, s1, s24
	s_cmp_ge_u32 s1, s24
	s_cselect_b32 s3, s22, s3
	s_cselect_b32 s1, s23, s1
	s_add_i32 s22, s3, 1
	s_cmp_ge_u32 s1, s24
	s_cselect_b32 s1, s22, s3
	s_xor_b32 s1, s1, s0
	s_sub_i32 s49, s1, s0
	s_lshl_b32 s30, s2, 4
	v_and_b32_e32 v1, 15, v0
	s_cmp_lt_i32 s43, 64
	v_lshrrev_b32_e32 v45, 3, v41
	v_lshlrev_b32_e32 v44, 3, v0
	s_mul_i32 s40, s20, s17
	s_mul_hi_u32 s41, s20, s16
	s_mul_i32 s42, s21, s16
	s_mul_i32 s16, s20, s16
	v_mov_b32_e32 v63, 0
	v_mov_b32_e32 v34, 0
	v_mov_b32_e32 v61, 0
	v_mov_b32_e32 v4, 0
	v_mov_b32_e32 v66, 0
	v_mov_b32_e32 v64, 0
	v_mov_b32_e32 v35, 0
	s_cbranch_scc1 .LBB680_18
; %bb.1:
	s_ashr_i32 s51, s33, 31
	s_ashr_i32 s1, s34, 31
	s_add_u32 s0, s47, s34
	s_addc_u32 s1, s46, s1
	s_lshl_b64 s[0:1], s[0:1], 8
	v_and_b32_e32 v49, 56, v44
	s_add_u32 s0, s6, s0
	v_lshl_or_b32 v48, v42, 3, v45
	v_lshlrev_b32_e32 v3, 1, v49
	s_addc_u32 s1, s7, s1
	v_lshl_or_b32 v50, v48, 8, v3
	s_and_b32 s1, s1, 0xffff
	s_mov_b32 s3, 0x20000
	s_movk_i32 s2, 0x4000
	s_movk_i32 s17, 0x80
	v_or_b32_e32 v51, 0x2000, v50
	buffer_load_dwordx4 v[4:7], v50, s[0:3], 0 offen
	buffer_load_dwordx4 v[8:11], v50, s[0:3], s17 offen
	;; [unrolled: 1-line block ×4, first 2 shown]
	v_lshlrev_b32_e32 v20, 3, v48
	v_and_or_b32 v22, v0, 7, v20
	v_and_b32_e32 v20, 0x78, v20
	v_lshlrev_b32_e32 v22, 4, v22
	v_xor_b32_e32 v52, v22, v20
	v_mul_lo_u32 v21, v48, s15
	v_or_b32_e32 v53, 0x1000, v52
	s_cmpk_eq_i32 s15, 0x80
	s_mov_b32 s48, s13
	s_mov_b32 s50, s34
	v_xor_b32_e32 v20, 8, v52
	v_xor_b32_e32 v22, 8, v53
	s_cselect_b64 s[0:1], -1, 0
	s_cmpk_lg_i32 s15, 0x80
	s_waitcnt vmcnt(3)
	ds_write_b64 v52, v[4:5] offset:16384
	ds_write_b64 v20, v[6:7] offset:16384
	s_waitcnt vmcnt(2)
	ds_write_b64 v52, v[8:9] offset:24576
	ds_write_b64 v20, v[10:11] offset:24576
	;; [unrolled: 3-line block ×4, first 2 shown]
	v_lshl_add_u32 v4, v21, 1, v49
	s_cbranch_scc0 .LBB680_3
; %bb.2:
	v_lshlrev_b32_e32 v6, 1, v4
	v_add_lshl_u32 v5, v4, s15, 1
	s_lshl_b32 s22, s15, 7
	v_lshl_or_b32 v3, v48, 9, v3
	s_cbranch_execz .LBB680_4
	s_branch .LBB680_5
.LBB680_3:
                                        ; implicit-def: $vgpr5
                                        ; implicit-def: $vgpr6
                                        ; implicit-def: $sgpr22
	v_lshl_or_b32 v3, v48, 9, v3
.LBB680_4:
	v_or_b32_e32 v5, 0x100, v3
	s_movk_i32 s22, 0x4000
	v_mov_b32_e32 v6, v3
.LBB680_5:
	s_mul_i32 s2, s34, s14
	s_ashr_i32 s52, s49, 31
	s_mul_hi_i32 s3, s34, s14
	s_add_u32 s2, s2, s49
	s_addc_u32 s3, s3, s52
	s_lshl_b64 s[2:3], s[2:3], 8
	s_add_u32 s20, s4, s2
	s_addc_u32 s2, s5, s3
	s_and_b32 s21, s2, 0xffff
	s_mov_b32 s23, 0x20000
	s_movk_i32 s53, 0x80
	buffer_load_dwordx4 v[8:11], v6, s[20:23], 0 offen
	buffer_load_dwordx4 v[12:15], v6, s[20:23], s53 offen
	;; [unrolled: 1-line block ×4, first 2 shown]
	v_and_b32_e32 v5, 6, v0
	v_lshlrev_b32_e32 v7, 2, v1
	v_lshlrev_b32_e32 v24, 3, v1
	v_xor_b32_e32 v26, v48, v5
	v_and_b32_e32 v6, 1, v0
	v_lshl_or_b32 v24, v47, 5, v24
	v_xor_b32_e32 v27, v47, v7
	v_lshlrev_b32_e32 v26, 2, v26
	s_mul_i32 s3, s33, s19
	s_mul_hi_u32 s17, s33, s18
	v_or_b32_e32 v54, 0x9000, v24
	v_or_b32_e32 v55, 0x9800, v24
	v_lshlrev_b32_e32 v24, 1, v27
	v_xor_b32_e32 v27, 0x440, v26
	v_cmp_eq_u32_e32 vcc, 0, v6
	s_add_i32 s21, s41, s40
	s_mul_i32 s20, s51, s18
	v_cndmask_b32_e32 v6, v27, v26, vcc
	s_add_i32 s3, s17, s3
	s_add_i32 s17, s21, s42
	s_mov_b32 s54, 0x1000504
	v_lshlrev_b32_e32 v25, 8, v1
	s_mov_b32 s22, 0x8000
	v_xor_b32_e32 v7, v46, v7
	v_lshl_or_b32 v5, v5, 10, v6
	s_add_i32 s3, s3, s20
	s_lshl_b64 s[20:21], s[16:17], 2
	s_mov_b32 s55, 0x3020706
	s_mul_i32 s2, s33, s18
	v_lshlrev_b32_e32 v7, 1, v7
	v_or3_b32 v56, v24, v25, s22
	v_xor_b32_e32 v6, 8, v5
	v_xor_b32_e32 v24, 24, v5
	;; [unrolled: 1-line block ×4, first 2 shown]
	s_add_u32 s17, s10, s20
	v_or3_b32 v57, v7, v25, s22
	v_xor_b32_e32 v7, 16, v5
	v_xor_b32_e32 v25, 32, v5
	;; [unrolled: 1-line block ×3, first 2 shown]
	v_add_u32_e32 v6, 0x80, v6
	v_add_u32_e32 v24, 0x80, v24
	;; [unrolled: 1-line block ×4, first 2 shown]
	s_addc_u32 s20, s11, s21
	s_lshl_b64 s[2:3], s[2:3], 2
	s_add_u32 s2, s17, s2
	s_movk_i32 s17, 0xf8
	s_addc_u32 s3, s20, s3
	s_ashr_i32 s31, s30, 31
	s_lshl_b32 s26, s15, 7
	s_lshl_b64 s[20:21], s[30:31], 8
	s_add_u32 s20, s36, s20
	s_addc_u32 s21, s37, s21
	v_mov_b32_e32 v35, 0
	s_mov_b32 s56, 0
	v_add_u32_e32 v76, v40, v2
	v_mov_b32_e32 v64, v35
	v_mov_b32_e32 v66, v35
	;; [unrolled: 1-line block ×6, first 2 shown]
	s_waitcnt vmcnt(1)
	v_perm_b32 v29, v8, v16, s54
	s_waitcnt vmcnt(0)
	v_perm_b32 v30, v12, v20, s54
	v_perm_b32 v8, v8, v16, s55
	;; [unrolled: 1-line block ×15, first 2 shown]
	ds_write2st64_b32 v5, v29, v30 offset1:32
	ds_write2st64_b32 v6, v8, v12 offset1:32
	ds_write2st64_b32 v7, v16, v20 offset0:1 offset1:33
	ds_write2st64_b32 v24, v9, v13 offset0:1 offset1:33
	;; [unrolled: 1-line block ×6, first 2 shown]
	v_or_b32_e32 v5, v40, v1
	v_lshlrev_b32_e32 v5, 3, v5
	v_lshrrev_b32_e32 v7, 5, v41
	v_and_or_b32 v7, v5, s17, v7
	v_lshlrev_b32_e32 v7, 4, v7
	v_lshlrev_b32_e32 v8, 11, v42
	v_and_b32_e32 v5, 0x78, v5
	v_or_b32_e32 v12, 32, v7
	v_and_b32_e32 v6, 0x1000, v8
	v_lshrrev_b32_e32 v10, 1, v0
	v_xor_b32_e32 v12, v12, v5
	v_and_b32_e32 v11, 8, v10
	v_or_b32_e32 v12, v12, v6
	v_xor_b32_e32 v9, v7, v5
	v_xor_b32_e32 v60, v12, v11
	v_or_b32_e32 v12, 64, v7
	v_or_b32_e32 v7, 0x60, v7
	;; [unrolled: 1-line block ×3, first 2 shown]
	v_xor_b32_e32 v12, v12, v5
	v_xor_b32_e32 v5, v7, v5
	;; [unrolled: 1-line block ×3, first 2 shown]
	v_and_b32_e32 v9, 0x78, v44
	v_or_b32_e32 v5, v5, v6
	v_lshl_or_b32 v9, v43, 7, v9
	v_or_b32_e32 v12, v12, v6
	v_xor_b32_e32 v65, v5, v11
	v_lshlrev_b32_e32 v5, 1, v1
	v_or_b32_e32 v59, 0x9000, v9
	v_xor_b32_e32 v62, v12, v11
	v_or_b32_e32 v67, 0x9800, v9
	v_lshlrev_b32_e32 v9, 1, v4
	v_add_lshl_u32 v11, v4, s15, 1
	v_lshrrev_b32_e32 v4, 4, v0
	v_or_b32_e32 v13, 1, v5
	v_xor_b32_e32 v5, v4, v5
	v_xor_b32_e32 v13, v13, v4
	v_lshlrev_b32_e32 v5, 3, v5
	v_lshlrev_b32_e32 v34, 8, v4
	;; [unrolled: 1-line block ×3, first 2 shown]
	v_or3_b32 v68, v5, v34, s22
	v_or3_b32 v69, v4, v34, s22
	v_lshl_add_u64 v[4:5], s[20:21], 0, v[34:35]
	v_lshlrev_b32_e32 v34, 4, v1
	s_movk_i32 s17, 0xff
	v_lshlrev_b32_e32 v15, 3, v42
	v_and_b32_e32 v10, 24, v10
	v_lshl_add_u64 v[36:37], v[4:5], 0, v[34:35]
	v_and_b32_e32 v5, 8, v0
	v_cmp_lt_u32_e32 vcc, s17, v0
	v_xor_b32_e32 v16, v15, v10
	v_or_b32_e32 v17, 0x440, v16
	v_cndmask_b32_e64 v14, 0, 1, vcc
	v_cmp_eq_u32_e32 vcc, 0, v5
	v_and_b32_e32 v4, 7, v0
	v_lshlrev_b32_e32 v13, 3, v4
	v_cndmask_b32_e32 v5, v17, v16, vcc
	v_lshlrev_b32_e32 v4, 7, v4
	v_or_b32_e32 v5, v5, v8
	v_xad_u32 v70, v5, v13, v4
	v_or_b32_e32 v5, 32, v10
	v_xor_b32_e32 v5, v15, v5
	v_or_b32_e32 v16, 0x440, v5
	v_cndmask_b32_e32 v5, v16, v5, vcc
	v_or_b32_e32 v5, v5, v8
	v_xad_u32 v71, v5, v13, v4
	v_or_b32_e32 v5, 64, v10
	v_xor_b32_e32 v5, v15, v5
	v_xor_b32_e32 v16, 0x440, v5
	v_cndmask_b32_e32 v5, v16, v5, vcc
	v_or_b32_e32 v5, v5, v8
	v_xad_u32 v72, v5, v13, v4
	v_or_b32_e32 v5, 0x60, v10
	v_xor_b32_e32 v5, v15, v5
	v_xor_b32_e32 v10, 0x440, v5
	v_or_b32_e32 v6, s30, v1
	v_cndmask_b32_e32 v5, v10, v5, vcc
	v_ashrrev_i32_e32 v7, 31, v6
	v_or_b32_e32 v5, v5, v8
	v_lshl_add_u64 v[6:7], v[6:7], 1, s[8:9]
	v_or_b32_e32 v12, 0x100, v3
	v_lshlrev_b32_e32 v14, 13, v14
	v_xad_u32 v73, v5, v13, v4
	v_lshlrev_b32_e32 v34, 8, v47
	v_cndmask_b32_e64 v74, v9, v3, s[0:1]
	v_cndmask_b32_e64 v75, v11, v12, s[0:1]
	v_lshl_add_u64 v[38:39], v[6:7], 0, v[34:35]
	s_mov_b32 s17, 0x7060302
	s_movk_i32 s22, 0x4000
	v_add_u32_e32 v77, v14, v70
	v_add_u32_e32 v78, v14, v71
	;; [unrolled: 1-line block ×4, first 2 shown]
	v_mov_b32_e32 v34, v35
	s_waitcnt lgkmcnt(0)
	s_barrier
.LBB680_6:                              ; =>This Inner Loop Header: Depth=1
	s_add_i32 s31, s56, 1
	s_cmp_lt_i32 s31, s44
	s_mov_b64 s[24:25], 0
	s_cselect_b64 s[38:39], -1, 0
	s_cmp_ge_i32 s31, s44
	s_mov_b64 s[20:21], 0
	s_cbranch_scc1 .LBB680_8
; %bb.7:                                ;   in Loop: Header=BB680_6 Depth=1
	s_add_i32 s0, s50, 64
	s_ashr_i32 s1, s0, 31
	s_add_u32 s0, s47, s0
	s_addc_u32 s1, s46, s1
	s_lshl_b64 s[0:1], s[0:1], 8
	s_add_u32 s20, s6, s0
	s_addc_u32 s21, s7, s1
.LBB680_8:                              ;   in Loop: Header=BB680_6 Depth=1
	v_cndmask_b32_e64 v2, 0, 1, s[38:39]
	v_cmp_ne_u32_e64 s[0:1], 1, v2
	s_andn2_b64 vcc, exec, s[38:39]
	s_cbranch_vccnz .LBB680_10
; %bb.9:                                ;   in Loop: Header=BB680_6 Depth=1
	s_add_i32 s24, s50, 64
	s_mul_hi_i32 s25, s24, s14
	s_mul_i32 s24, s24, s14
	s_add_u32 s24, s24, s49
	s_addc_u32 s25, s25, s52
	s_lshl_b64 s[24:25], s[24:25], 8
	s_add_u32 s24, s4, s24
	s_addc_u32 s25, s5, s25
.LBB680_10:                             ;   in Loop: Header=BB680_6 Depth=1
	v_perm_b32 v3, v82, v66, s17
	v_perm_b32 v2, v64, v35, s17
	;; [unrolled: 1-line block ×4, first 2 shown]
	ds_write_b64 v54, v[2:3]
	ds_write_b64 v55, v[4:5]
	;; [unrolled: 1-line block ×4, first 2 shown]
	s_waitcnt lgkmcnt(0)
	s_barrier
	ds_read_b64 v[10:11], v58 offset:16384
	ds_read_b64 v[12:13], v60 offset:16384
	ds_read2st64_b64 v[2:5], v59 offset1:1
	s_waitcnt lgkmcnt(0)
	v_mfma_f32_16x16x16_bf16 a[0:3], v[10:11], v[2:3], 0
	ds_read2st64_b64 v[6:9], v59 offset0:2 offset1:3
	ds_read_b64 v[14:15], v62 offset:16384
	ds_read_b64 v[2:3], v65 offset:16384
	s_add_i32 s27, s50, 63
	v_mfma_f32_16x16x16_bf16 a[0:3], v[12:13], v[4:5], a[0:3]
	s_ashr_i32 s38, s27, 31
	s_mul_i32 s39, s27, s29
	s_mul_hi_u32 s57, s27, s28
	s_waitcnt lgkmcnt(1)
	v_mfma_f32_16x16x16_bf16 a[0:3], v[14:15], v[6:7], a[0:3]
	s_add_i32 s39, s57, s39
	s_mul_i32 s38, s38, s28
	s_add_i32 s39, s39, s38
	s_mul_i32 s38, s27, s28
	s_waitcnt lgkmcnt(0)
	v_mfma_f32_16x16x16_bf16 a[0:3], v[2:3], v[8:9], a[0:3]
	s_lshl_b64 s[38:39], s[38:39], 2
	s_add_u32 s38, s2, s38
	s_addc_u32 s39, s3, s39
	s_and_b64 vcc, exec, s[0:1]
	v_mov_b32_e32 v85, 0
	v_mov_b32_e32 v84, 0
	;; [unrolled: 1-line block ×19, first 2 shown]
	s_cbranch_vccnz .LBB680_12
; %bb.11:                               ;   in Loop: Header=BB680_6 Depth=1
	s_and_b32 s21, s21, 0xffff
	buffer_load_dwordx4 v[14:17], v50, s[20:23], 0 offen
	buffer_load_dwordx4 v[10:13], v50, s[20:23], s53 offen
	;; [unrolled: 1-line block ×4, first 2 shown]
	v_mov_b32_e32 v84, v52
	v_mov_b32_e32 v83, v53
.LBB680_12:                             ;   in Loop: Header=BB680_6 Depth=1
	s_waitcnt vmcnt(3)
	v_add_u32_e32 v22, s50, v76
	s_waitcnt vmcnt(1)
	v_ashrrev_i32_e32 v18, 31, v22
	v_mul_lo_u32 v20, v18, s28
	v_mul_lo_u32 v21, v22, s29
	v_mad_u64_u32 v[18:19], s[20:21], v22, s28, 0
	v_add3_u32 v19, v19, v21, v20
	v_lshl_add_u64 v[18:19], v[18:19], 2, s[2:3]
	global_load_dword v87, v[18:19], off
	v_add_u32_e32 v18, 1, v22
	v_ashrrev_i32_e32 v19, 31, v18
	v_mul_lo_u32 v20, v19, s28
	v_mul_lo_u32 v21, v18, s29
	v_mad_u64_u32 v[18:19], s[20:21], v18, s28, 0
	v_add3_u32 v19, v19, v21, v20
	v_add_u32_e32 v20, 2, v22
	v_ashrrev_i32_e32 v21, 31, v20
	v_mul_lo_u32 v23, v21, s28
	v_mul_lo_u32 v24, v20, s29
	v_mad_u64_u32 v[20:21], s[20:21], v20, s28, 0
	v_add_u32_e32 v22, 3, v22
	v_add3_u32 v21, v21, v24, v23
	v_ashrrev_i32_e32 v23, 31, v22
	v_mul_lo_u32 v26, v23, s28
	v_mul_lo_u32 v27, v22, s29
	v_mad_u64_u32 v[22:23], s[20:21], v22, s28, 0
	s_ashr_i32 s21, s50, 31
	s_add_u32 s20, s47, s50
	s_addc_u32 s21, s46, s21
	s_lshl_b64 s[20:21], s[20:21], 8
	v_lshl_add_u64 v[18:19], v[18:19], 2, s[2:3]
	v_lshl_add_u64 v[24:25], v[38:39], 0, s[20:21]
	v_add3_u32 v23, v23, v27, v26
	v_lshl_add_u64 v[20:21], v[20:21], 2, s[2:3]
	global_load_ushort v94, v[24:25], off
	global_load_ushort v95, v[24:25], off offset:256
	global_load_ushort v96, v[24:25], off offset:512
	;; [unrolled: 1-line block ×3, first 2 shown]
	v_lshl_add_u64 v[22:23], v[22:23], 2, s[2:3]
	global_load_dword v98, v[18:19], off
	global_load_dword v99, v[20:21], off
	;; [unrolled: 1-line block ×3, first 2 shown]
	s_load_dword s20, s[38:39], 0x0
	ds_read2st64_b64 v[26:29], v67 offset1:1
	ds_read2st64_b64 v[30:33], v67 offset0:2 offset1:3
	ds_read_b64 v[24:25], v58 offset:24576
	ds_read_b64 v[88:89], v60 offset:24576
	;; [unrolled: 1-line block ×4, first 2 shown]
	s_waitcnt lgkmcnt(0)
	v_mfma_f32_16x16x16_bf16 a[0:3], v[24:25], v[26:27], a[0:3]
	v_mov_b32_e32 v86, 0
	v_mov_b32_e32 v18, 0
	v_mov_b32_e32 v19, 0
	v_mfma_f32_16x16x16_bf16 a[0:3], v[88:89], v[28:29], a[0:3]
	v_mov_b32_e32 v20, 0
	v_mov_b32_e32 v21, 0
	v_mov_b32_e32 v22, 0
	;; [unrolled: 4-line block ×4, first 2 shown]
	v_mov_b32_e32 v29, 0
	v_mov_b32_e32 v30, 0
	;; [unrolled: 1-line block ×3, first 2 shown]
	s_and_b64 vcc, exec, s[0:1]
	v_accvgpr_read_b32 v89, a1
	v_accvgpr_read_b32 v33, a3
	;; [unrolled: 1-line block ×4, first 2 shown]
	s_waitcnt vmcnt(7)
	v_sub_f32_e32 v87, s20, v87
	s_waitcnt vmcnt(6)
	v_lshlrev_b32_e32 v90, 16, v94
	v_exp_f32_e32 v94, v87
	s_waitcnt vmcnt(4)
	v_lshlrev_b32_e32 v92, 16, v96
	s_waitcnt vmcnt(3)
	v_lshlrev_b32_e32 v93, 16, v97
	s_waitcnt vmcnt(2)
	v_sub_f32_e32 v87, s20, v98
	s_waitcnt vmcnt(1)
	v_sub_f32_e32 v96, s20, v99
	;; [unrolled: 2-line block ×3, first 2 shown]
	v_lshlrev_b32_e32 v91, 16, v95
	v_exp_f32_e32 v95, v87
	v_exp_f32_e32 v96, v96
	;; [unrolled: 1-line block ×3, first 2 shown]
	v_pk_add_f32 v[88:89], v[90:91], v[88:89] neg_lo:[0,1] neg_hi:[0,1]
	v_pk_add_f32 v[32:33], v[92:93], v[32:33] neg_lo:[0,1] neg_hi:[0,1]
	v_pk_mul_f32 v[88:89], v[94:95], v[88:89]
	v_pk_mul_f32 v[32:33], v[96:97], v[32:33]
	s_nop 0
	v_perm_b32 v33, v33, v32, s17
	v_perm_b32 v32, v89, v88, s17
	ds_write_b64 v55, v[32:33]
	v_mov_b32_e32 v32, 0
	v_mov_b32_e32 v33, 0
	s_cbranch_vccnz .LBB680_14
; %bb.13:                               ;   in Loop: Header=BB680_6 Depth=1
	s_and_b32 s25, s25, 0xffff
	s_mov_b32 s27, s23
	buffer_load_dwordx4 v[30:33], v74, s[24:27], 0 offen
	buffer_load_dwordx4 v[22:25], v74, s[24:27], s53 offen
	;; [unrolled: 1-line block ×4, first 2 shown]
	v_mov_b32_e32 v85, v49
	v_mov_b32_e32 v86, v48
.LBB680_14:                             ;   in Loop: Header=BB680_6 Depth=1
	s_waitcnt lgkmcnt(0)
	s_barrier
	ds_read_b64 v[96:97], v77
	ds_read2st64_b64 v[88:91], v67 offset1:1
	ds_read2st64_b64 v[92:95], v67 offset0:2 offset1:3
	ds_read_b64 v[98:99], v78
	ds_read_b64 v[100:101], v79
	;; [unrolled: 1-line block ×3, first 2 shown]
	s_waitcnt lgkmcnt(4)
	v_mfma_f32_16x16x16_bf16 a[0:3], v[96:97], v[88:89], 0
	ds_read_b64 v[96:97], v70 offset:8192
	ds_read_b64 v[104:105], v71 offset:8192
	s_add_i32 s21, s45, s56
	s_mul_hi_i32 s25, s21, s48
	s_waitcnt lgkmcnt(1)
	v_mfma_f32_16x16x16_bf16 a[4:7], v[96:97], v[88:89], 0
	s_mul_i32 s21, s21, s48
	s_add_u32 s24, s21, s33
	s_addc_u32 s25, s25, s51
	v_mfma_f32_16x16x16_bf16 a[0:3], v[98:99], v[90:91], a[0:3]
	ds_read_b64 v[96:97], v68
	ds_read_b64 v[98:99], v69
	ds_read_b64 v[88:89], v72 offset:8192
	s_lshl_b64 s[24:25], s[24:25], 15
	v_mfma_f32_16x16x16_bf16 a[0:3], v[100:101], v[92:93], a[0:3]
	ds_read_b64 v[100:101], v73 offset:8192
	s_and_b64 vcc, exec, s[0:1]
	s_waitcnt lgkmcnt(4)
	v_mfma_f32_16x16x16_bf16 a[4:7], v[104:105], v[90:91], a[4:7]
	s_waitcnt lgkmcnt(1)
	v_mfma_f32_16x16x16_bf16 a[4:7], v[88:89], v[92:93], a[4:7]
	v_lshl_add_u64 v[88:89], v[36:37], 0, s[24:25]
	global_store_dwordx4 v[88:89], v[96:99], off
	v_mfma_f32_16x16x16_bf16 a[0:3], v[102:103], v[94:95], a[0:3]
	s_waitcnt lgkmcnt(0)
	v_mfma_f32_16x16x16_bf16 a[4:7], v[100:101], v[94:95], a[4:7]
	s_cbranch_vccnz .LBB680_16
; %bb.15:                               ;   in Loop: Header=BB680_6 Depth=1
	v_lshrrev_b32_e32 v87, 3, v85
	v_and_b32_e32 v87, 6, v87
	v_xor_b32_e32 v86, v87, v86
	v_lshlrev_b32_e32 v86, 2, v86
	v_and_b32_e32 v85, 8, v85
	v_xor_b32_e32 v88, 0x440, v86
	v_cmp_eq_u32_e32 vcc, 0, v85
	s_barrier
	s_nop 0
	v_cndmask_b32_e32 v85, v88, v86, vcc
	v_lshl_or_b32 v85, v87, 10, v85
	s_waitcnt vmcnt(2)
	v_perm_b32 v86, v30, v26, s54
	s_waitcnt vmcnt(1)
	v_perm_b32 v87, v22, v18, s54
	ds_write2st64_b32 v85, v86, v87 offset1:32
	v_xor_b32_e32 v86, 8, v85
	v_perm_b32 v26, v30, v26, s55
	v_perm_b32 v18, v22, v18, s55
	v_add_u32_e32 v22, 0x80, v86
	ds_write2st64_b32 v22, v26, v18 offset1:32
	v_xor_b32_e32 v18, 16, v85
	v_perm_b32 v22, v31, v27, s54
	v_perm_b32 v26, v23, v19, s54
	ds_write2st64_b32 v18, v22, v26 offset0:1 offset1:33
	v_xor_b32_e32 v18, 24, v85
	v_perm_b32 v22, v31, v27, s55
	v_perm_b32 v19, v23, v19, s55
	v_add_u32_e32 v18, 0x80, v18
	ds_write2st64_b32 v18, v22, v19 offset0:1 offset1:33
	v_xor_b32_e32 v18, 32, v85
	v_perm_b32 v19, v32, v28, s54
	v_perm_b32 v22, v24, v20, s54
	ds_write2st64_b32 v18, v19, v22 offset0:2 offset1:34
	v_xor_b32_e32 v18, 40, v85
	v_perm_b32 v19, v32, v28, s55
	v_perm_b32 v20, v24, v20, s55
	v_add_u32_e32 v18, 0x80, v18
	ds_write2st64_b32 v18, v19, v20 offset0:2 offset1:34
	;; [unrolled: 9-line block ×3, first 2 shown]
	ds_write_b64 v84, v[14:15] offset:16384
	v_xor_b32_e32 v14, 8, v84
	ds_write_b64 v14, v[16:17] offset:16384
	ds_write_b64 v84, v[10:11] offset:24576
	;; [unrolled: 1-line block ×4, first 2 shown]
	v_xor_b32_e32 v6, 8, v83
	ds_write_b64 v6, v[8:9] offset:16384
	ds_write_b64 v83, v[2:3] offset:24576
	;; [unrolled: 1-line block ×3, first 2 shown]
.LBB680_16:                             ;   in Loop: Header=BB680_6 Depth=1
	v_exp_f32_e32 v2, s20
	s_nop 2
	v_accvgpr_read_b32 v3, a0
	v_accvgpr_read_b32 v4, a1
	s_add_i32 s50, s50, 64
	v_fma_f32 v35, v35, v2, v3
	v_accvgpr_read_b32 v3, a2
	v_fma_f32 v66, v66, v2, v3
	v_accvgpr_read_b32 v3, a4
	;; [unrolled: 2-line block ×6, first 2 shown]
	v_fmac_f32_e32 v4, v82, v2
	s_cmp_eq_u32 s44, s31
	v_fmac_f32_e32 v3, v81, v2
	s_cbranch_scc1 .LBB680_18
; %bb.17:                               ;   in Loop: Header=BB680_6 Depth=1
	s_mov_b32 s56, s31
	v_mov_b32_e32 v82, v4
	v_mov_b32_e32 v81, v3
	s_branch .LBB680_6
.LBB680_18:
	s_lshl_b32 s0, s44, 6
	s_sub_i32 s43, s43, s0
	s_cmp_gt_i32 s43, 0
	s_cbranch_scc0 .LBB680_75
; %bb.19:
	s_add_i32 s34, s0, s34
	s_ashr_i32 s2, s34, 31
	s_cmpk_lg_i32 s15, 0x80
	s_cselect_b64 s[26:27], -1, 0
	s_and_b64 vcc, exec, s[26:27]
	s_cbranch_vccz .LBB680_21
; %bb.20:
	s_mul_i32 s1, s34, s14
	s_ashr_i32 s3, s49, 31
	s_mul_hi_i32 s0, s34, s14
	s_add_u32 s38, s1, s49
	s_addc_u32 s39, s0, s3
	s_cbranch_execz .LBB680_22
	s_branch .LBB680_23
.LBB680_21:
                                        ; implicit-def: $sgpr38_sgpr39
.LBB680_22:
	s_mul_i32 s1, s49, s12
	s_mul_hi_i32 s0, s49, s12
	s_add_u32 s38, s1, s34
	s_addc_u32 s39, s0, s2
.LBB680_23:
	s_add_i32 s3, s44, s45
	s_ashr_i32 s12, s33, 31
	s_add_u32 s0, s47, s34
	s_addc_u32 s1, s46, s2
	s_mov_b32 s2, 0x7060302
	v_lshlrev_b32_e32 v6, 3, v1
	v_perm_b32 v5, v4, v66, s2
	v_perm_b32 v4, v64, v35, s2
	;; [unrolled: 1-line block ×4, first 2 shown]
	v_lshlrev_b32_e32 v34, 2, v1
	v_lshl_or_b32 v6, v47, 5, v6
	s_lshl_b64 s[24:25], s[0:1], 8
	ds_write2st64_b64 v6, v[4:5], v[2:3] offset0:72 offset1:76
	v_xor_b32_e32 v6, v47, v34
	v_lshlrev_b32_e32 v7, 8, v1
	s_add_u32 s0, s6, s24
	v_lshl_or_b32 v6, v6, 1, v7
	s_addc_u32 s1, s7, s25
	ds_write_b64 v6, v[4:5] offset:32768
	v_xor_b32_e32 v4, v46, v34
	s_mul_hi_i32 s6, s3, s13
	s_mul_i32 s3, s3, s13
	v_lshl_or_b32 v4, v4, 1, v7
	s_add_u32 s2, s3, s33
	ds_write_b64 v4, v[2:3] offset:32768
	s_addc_u32 s3, s6, s12
	v_lshlrev_b32_e32 v3, 1, v1
	v_lshrrev_b32_e32 v2, 4, v0
	s_ashr_i32 s31, s30, 31
	s_lshl_b64 s[2:3], s[2:3], 15
	v_or_b32_e32 v4, 1, v3
	s_add_u32 s6, s36, s2
	v_xor_b32_e32 v3, v2, v3
	v_xor_b32_e32 v4, v4, v2
	v_lshlrev_b32_e32 v6, 8, v2
	s_addc_u32 s7, s37, s3
	s_lshl_b64 s[2:3], s[30:31], 8
	v_lshl_or_b32 v2, v3, 3, v6
	v_lshl_or_b32 v4, v4, 3, v6
	s_waitcnt lgkmcnt(0)
	s_barrier
	s_add_u32 s2, s6, s2
	ds_read_b64 v[2:3], v2 offset:32768
	ds_read_b64 v[4:5], v4 offset:32768
	s_addc_u32 s3, s7, s3
	v_mov_b32_e32 v7, 0
	s_cmp_lg_u32 s43, 64
	v_lshl_add_u64 v[8:9], s[2:3], 0, v[6:7]
	v_lshlrev_b32_e32 v6, 4, v1
	s_cselect_b64 s[6:7], -1, 0
	v_lshl_or_b32 v35, v42, 3, v45
	s_mov_b32 s20, 0
	v_lshl_add_u64 v[6:7], v[8:9], 0, v[6:7]
	s_waitcnt vmcnt(1)
	v_or_b32_e32 v19, 32, v35
	v_and_b32_e32 v18, 56, v44
	s_and_b64 vcc, exec, s[6:7]
	s_waitcnt lgkmcnt(0)
	global_store_dwordx4 v[6:7], v[2:5], off
	s_cbranch_vccz .LBB680_29
; %bb.24:
	s_mov_b32 s21, s20
	s_mov_b32 s22, s20
	;; [unrolled: 1-line block ×3, first 2 shown]
	v_mov_b64_e32 v[6:7], s[20:21]
	v_mov_b64_e32 v[8:9], s[22:23]
	;; [unrolled: 1-line block ×3, first 2 shown]
	v_cmp_gt_i32_e32 vcc, s43, v35
	v_mov_b64_e32 v[4:5], v[8:9]
	s_and_saveexec_b64 s[2:3], vcc
	s_cbranch_execz .LBB680_26
; %bb.25:
	v_lshlrev_b32_e32 v2, 8, v35
	v_mov_b32_e32 v3, 0
	v_lshl_add_u64 v[4:5], s[0:1], 0, v[2:3]
	v_lshlrev_b32_e32 v2, 1, v18
	v_lshl_add_u64 v[10:11], v[4:5], 0, v[2:3]
	global_load_dwordx4 v[6:9], v[10:11], off
	global_load_dwordx4 v[2:5], v[10:11], off offset:128
.LBB680_26:
	s_or_b64 exec, exec, s[2:3]
	s_mov_b32 s21, s20
	s_mov_b32 s22, s20
	;; [unrolled: 1-line block ×3, first 2 shown]
	v_mov_b64_e32 v[14:15], s[20:21]
	v_mov_b64_e32 v[16:17], s[22:23]
	v_mov_b64_e32 v[10:11], v[14:15]
	v_cmp_gt_i32_e32 vcc, s43, v19
	v_lshlrev_b32_e32 v20, 7, v19
	v_mov_b64_e32 v[12:13], v[16:17]
	s_and_saveexec_b64 s[2:3], vcc
	s_cbranch_execz .LBB680_28
; %bb.27:
	v_lshlrev_b32_e32 v10, 1, v20
	v_mov_b32_e32 v11, 0
	v_lshl_add_u64 v[12:13], s[0:1], 0, v[10:11]
	v_lshlrev_b32_e32 v10, 1, v18
	v_lshl_add_u64 v[22:23], v[12:13], 0, v[10:11]
	global_load_dwordx4 v[14:17], v[22:23], off
	global_load_dwordx4 v[10:13], v[22:23], off offset:128
.LBB680_28:
	s_or_b64 exec, exec, s[2:3]
	v_lshrrev_b32_e32 v21, 3, v18
	v_lshlrev_b32_e32 v22, 3, v35
	v_or_b32_e32 v21, v22, v21
	v_lshlrev_b32_e32 v21, 4, v21
	v_and_b32_e32 v22, 0x78, v22
	v_xor_b32_e32 v21, v21, v22
	s_branch .LBB680_31
.LBB680_29:
                                        ; implicit-def: $vgpr21
                                        ; implicit-def: $vgpr20
                                        ; implicit-def: $vgpr6_vgpr7_vgpr8_vgpr9
                                        ; implicit-def: $vgpr2_vgpr3_vgpr4_vgpr5
                                        ; implicit-def: $vgpr14_vgpr15_vgpr16_vgpr17
                                        ; implicit-def: $vgpr10_vgpr11_vgpr12_vgpr13
	s_cbranch_execz .LBB680_31
; %bb.30:
	s_waitcnt vmcnt(0)
	v_lshlrev_b32_e32 v2, 1, v18
	v_lshl_or_b32 v20, v35, 8, v2
	s_and_b32 s1, s1, 0xffff
	s_mov_b32 s3, 0x20000
	s_movk_i32 s2, 0x4000
	v_lshl_or_b32 v21, v19, 8, v2
	s_movk_i32 s13, 0x80
	buffer_load_dwordx4 v[6:9], v20, s[0:3], 0 offen
	buffer_load_dwordx4 v[2:5], v20, s[0:3], s13 offen
	;; [unrolled: 1-line block ×4, first 2 shown]
	v_lshrrev_b32_e32 v20, 3, v18
	v_lshlrev_b32_e32 v21, 3, v35
	v_or_b32_e32 v20, v21, v20
	v_lshlrev_b32_e32 v20, 4, v20
	v_and_b32_e32 v21, 0x78, v21
	v_xor_b32_e32 v21, v20, v21
	v_lshlrev_b32_e32 v20, 7, v19
.LBB680_31:
	s_lshl_b64 s[0:1], s[38:39], 8
	s_add_u32 s4, s4, s0
	s_movk_i32 s0, 0x1000
	v_and_or_b32 v19, v20, s0, v21
	s_waitcnt vmcnt(1)
	ds_write_b64 v21, v[6:7] offset:16384
	v_xor_b32_e32 v6, 8, v21
	ds_write_b64 v6, v[8:9] offset:16384
	s_waitcnt vmcnt(0)
	ds_write_b64 v21, v[2:3] offset:24576
	ds_write_b64 v6, v[4:5] offset:24576
	;; [unrolled: 1-line block ×3, first 2 shown]
	v_xor_b32_e32 v2, 8, v19
	ds_write_b64 v2, v[16:17] offset:16384
	ds_write_b64 v19, v[10:11] offset:24576
	;; [unrolled: 1-line block ×3, first 2 shown]
	v_or_b32_e32 v2, v40, v1
	v_lshlrev_b32_e32 v2, 3, v2
	v_lshrrev_b32_e32 v4, 5, v41
	s_movk_i32 s14, 0xf8
	v_and_or_b32 v4, v2, s14, v4
	v_lshlrev_b32_e32 v3, 11, v42
	v_lshlrev_b32_e32 v12, 4, v4
	v_and_b32_e32 v13, 0x78, v2
	v_and_b32_e32 v14, 0x1000, v3
	v_lshlrev_b32_e32 v3, 2, v0
	v_xor_b32_e32 v2, v12, v13
	v_lshrrev_b32_e32 v4, 1, v41
	v_and_b32_e32 v3, 60, v3
	v_or_b32_e32 v2, v2, v14
	v_and_b32_e32 v15, 8, v4
	v_xor_b32_e32 v26, v2, v15
	v_lshl_or_b32 v2, v43, 6, v3
	v_lshlrev_b32_e32 v19, 1, v2
	v_or_b32_e32 v2, 32, v12
	v_xor_b32_e32 v2, v2, v13
	s_waitcnt lgkmcnt(0)
	s_barrier
	ds_read_b64 v[10:11], v26 offset:16384
	v_or_b32_e32 v2, v2, v14
	v_xor_b32_e32 v27, v2, v15
	v_or_b32_e32 v2, 64, v12
	v_xor_b32_e32 v2, v2, v13
	v_or_b32_e32 v2, v2, v14
	v_or_b32_e32 v12, 0x60, v12
	v_xor_b32_e32 v28, v2, v15
	ds_read2st64_b64 v[2:5], v19 offset0:72 offset1:73
	ds_read2st64_b64 v[6:9], v19 offset0:74 offset1:75
	v_xor_b32_e32 v16, v12, v13
	ds_read_b64 v[12:13], v27 offset:16384
	s_addc_u32 s5, s5, s1
	s_add_i32 s0, s41, s40
	s_waitcnt lgkmcnt(2)
	v_mfma_f32_16x16x16_bf16 a[0:3], v[10:11], v[2:3], 0
	s_add_i32 s2, s35, -1
	s_add_i32 s17, s0, s42
	s_mul_i32 s0, s33, s19
	s_mul_hi_u32 s1, s33, s18
	s_add_i32 s0, s1, s0
	s_mul_i32 s1, s12, s18
	s_ashr_i32 s3, s2, 31
	s_mul_i32 s12, s2, s29
	s_mul_hi_u32 s13, s2, s28
	s_add_i32 s12, s13, s12
	s_mul_i32 s3, s3, s28
	v_or_b32_e32 v14, v16, v14
	s_add_i32 s1, s0, s1
	s_add_i32 s3, s12, s3
	s_lshl_b64 s[12:13], s[16:17], 2
	v_xor_b32_e32 v36, v14, v15
	ds_read_b64 v[14:15], v28 offset:16384
	ds_read_b64 v[16:17], v36 offset:16384
	s_waitcnt lgkmcnt(2)
	v_mfma_f32_16x16x16_bf16 a[0:3], v[12:13], v[4:5], a[0:3]
	s_mul_i32 s0, s33, s18
	s_add_u32 s10, s10, s12
	s_addc_u32 s11, s11, s13
	s_lshl_b64 s[0:1], s[0:1], 2
	s_mul_i32 s2, s2, s28
	s_add_u32 s10, s10, s0
	s_addc_u32 s11, s11, s1
	s_lshl_b64 s[0:1], s[2:3], 2
	s_waitcnt lgkmcnt(1)
	v_mfma_f32_16x16x16_bf16 a[0:3], v[14:15], v[6:7], a[0:3]
	s_add_u32 s0, s10, s0
	s_addc_u32 s1, s11, s1
	s_load_dword s12, s[0:1], 0x0
	s_waitcnt lgkmcnt(0)
	v_mfma_f32_16x16x16_bf16 a[0:3], v[16:17], v[8:9], a[0:3]
	s_and_b64 vcc, exec, s[26:27]
	s_cbranch_vccz .LBB680_42
; %bb.32:
	v_lshlrev_b32_e32 v20, 1, v35
	s_and_b64 vcc, exec, s[6:7]
	s_cbranch_vccz .LBB680_43
; %bb.33:
	v_cmp_gt_i32_e32 vcc, s43, v20
	v_mov_b32_e32 v6, 0
	v_mov_b32_e32 v2, 0
	;; [unrolled: 1-line block ×5, first 2 shown]
	s_and_saveexec_b64 s[0:1], vcc
	s_cbranch_execz .LBB680_35
; %bb.34:
	v_mad_i64_i32 v[2:3], s[2:3], s15, v20, 0
	v_lshl_add_u64 v[2:3], v[2:3], 1, s[4:5]
	v_lshlrev_b32_e32 v4, 1, v18
	v_mov_b32_e32 v5, 0
	v_lshl_add_u64 v[2:3], v[2:3], 0, v[4:5]
	global_load_dwordx4 v[2:5], v[2:3], off
.LBB680_35:
	s_or_b64 exec, exec, s[0:1]
	v_or_b32_e32 v21, 1, v20
	v_cmp_gt_i32_e64 s[0:1], s43, v21
	v_mov_b32_e32 v7, 0
	v_mov_b32_e32 v8, 0
	;; [unrolled: 1-line block ×3, first 2 shown]
	s_and_saveexec_b64 s[2:3], s[0:1]
	s_cbranch_execz .LBB680_37
; %bb.36:
	v_mad_i64_i32 v[6:7], s[16:17], s15, v21, 0
	v_lshl_add_u64 v[6:7], v[6:7], 1, s[4:5]
	v_lshlrev_b32_e32 v8, 1, v18
	v_mov_b32_e32 v9, 0
	v_lshl_add_u64 v[6:7], v[6:7], 0, v[8:9]
	global_load_dwordx4 v[6:9], v[6:7], off
.LBB680_37:
	s_or_b64 exec, exec, s[2:3]
	v_mov_b32_e32 v17, 0
	v_mov_b32_e32 v10, 0
	;; [unrolled: 1-line block ×5, first 2 shown]
	s_and_saveexec_b64 s[2:3], vcc
	s_cbranch_execz .LBB680_39
; %bb.38:
	v_mad_i64_i32 v[10:11], s[16:17], s15, v20, 0
	v_lshl_add_u64 v[10:11], v[10:11], 1, s[4:5]
	v_lshlrev_b32_e32 v12, 1, v18
	v_mov_b32_e32 v13, 0
	v_lshl_add_u64 v[10:11], v[10:11], 0, v[12:13]
	global_load_dwordx4 v[10:13], v[10:11], off offset:128
.LBB680_39:
	s_or_b64 exec, exec, s[2:3]
	v_mov_b32_e32 v16, 0
	v_mov_b32_e32 v15, 0
	;; [unrolled: 1-line block ×3, first 2 shown]
	s_and_saveexec_b64 s[2:3], s[0:1]
	s_cbranch_execz .LBB680_41
; %bb.40:
	v_mad_i64_i32 v[14:15], s[0:1], s15, v21, 0
	v_lshl_add_u64 v[14:15], v[14:15], 1, s[4:5]
	v_lshlrev_b32_e32 v16, 1, v18
	v_mov_b32_e32 v17, 0
	v_lshl_add_u64 v[14:15], v[14:15], 0, v[16:17]
	global_load_dwordx4 v[14:17], v[14:15], off offset:128
.LBB680_41:
	s_or_b64 exec, exec, s[2:3]
	s_branch .LBB680_45
.LBB680_42:
                                        ; implicit-def: $vgpr5
                                        ; implicit-def: $vgpr9
                                        ; implicit-def: $vgpr13
                                        ; implicit-def: $vgpr17
	v_lshrrev_b32_e32 v37, 2, v41
	s_branch .LBB680_46
.LBB680_43:
                                        ; implicit-def: $vgpr5
                                        ; implicit-def: $vgpr9
                                        ; implicit-def: $vgpr13
                                        ; implicit-def: $vgpr17
	s_cbranch_execz .LBB680_45
; %bb.44:
	s_waitcnt vmcnt(0)
	v_mad_u64_u32 v[2:3], s[0:1], v20, s15, v[18:19]
	v_lshlrev_b32_e32 v20, 1, v2
	s_lshl_b32 s2, s15, 7
	s_and_b32 s1, s5, 0xffff
	s_mov_b32 s3, 0x20000
	s_mov_b32 s0, s4
	v_add_lshl_u32 v21, v2, s15, 1
	s_movk_i32 s13, 0x80
	buffer_load_dwordx4 v[2:5], v20, s[0:3], 0 offen
	buffer_load_dwordx4 v[10:13], v20, s[0:3], s13 offen
	;; [unrolled: 1-line block ×4, first 2 shown]
.LBB680_45:
	v_lshrrev_b32_e32 v37, 2, v41
	s_cbranch_execnz .LBB680_58
.LBB680_46:
	s_and_b64 vcc, exec, s[6:7]
	s_cbranch_vccz .LBB680_56
; %bb.47:
	s_waitcnt vmcnt(0)
	v_lshlrev_b32_e32 v7, 1, v35
	v_cmp_gt_i32_e32 vcc, s43, v7
	v_mov_b32_e32 v6, 0
	v_lshlrev_b32_e32 v14, 9, v35
	v_mov_b32_e32 v2, 0
	v_mov_b32_e32 v3, 0
	;; [unrolled: 1-line block ×4, first 2 shown]
	s_and_saveexec_b64 s[0:1], vcc
	s_cbranch_execz .LBB680_49
; %bb.48:
	v_mov_b32_e32 v15, 0
	v_lshl_add_u64 v[2:3], s[4:5], 0, v[14:15]
	v_lshlrev_b32_e32 v4, 1, v18
	v_mov_b32_e32 v5, v15
	v_lshl_add_u64 v[2:3], v[2:3], 0, v[4:5]
	global_load_dwordx4 v[2:5], v[2:3], off
.LBB680_49:
	s_or_b64 exec, exec, s[0:1]
	v_or_b32_e32 v7, 1, v7
	v_cmp_gt_i32_e64 s[0:1], s43, v7
	v_lshlrev_b32_e32 v20, 8, v7
	v_mov_b32_e32 v7, 0
	v_mov_b32_e32 v8, 0
	;; [unrolled: 1-line block ×3, first 2 shown]
	s_and_saveexec_b64 s[2:3], s[0:1]
	s_cbranch_execz .LBB680_51
; %bb.50:
	v_mov_b32_e32 v21, 0
	v_lshl_add_u64 v[6:7], s[4:5], 0, v[20:21]
	v_lshlrev_b32_e32 v8, 1, v18
	v_mov_b32_e32 v9, v21
	v_lshl_add_u64 v[6:7], v[6:7], 0, v[8:9]
	global_load_dwordx4 v[6:9], v[6:7], off
.LBB680_51:
	s_or_b64 exec, exec, s[2:3]
	v_mov_b32_e32 v17, 0
	v_mov_b32_e32 v10, 0
	;; [unrolled: 1-line block ×5, first 2 shown]
	s_and_saveexec_b64 s[2:3], vcc
	s_cbranch_execz .LBB680_53
; %bb.52:
	v_mov_b32_e32 v15, 0
	v_lshl_add_u64 v[10:11], s[4:5], 0, v[14:15]
	v_lshlrev_b32_e32 v14, 1, v18
	v_lshl_add_u64 v[10:11], v[10:11], 0, v[14:15]
	global_load_dwordx4 v[10:13], v[10:11], off offset:128
.LBB680_53:
	s_or_b64 exec, exec, s[2:3]
	v_mov_b32_e32 v16, 0
	v_mov_b32_e32 v15, 0
	v_mov_b32_e32 v14, 0
	s_and_saveexec_b64 s[2:3], s[0:1]
	s_cbranch_execz .LBB680_55
; %bb.54:
	v_mov_b32_e32 v21, 0
	v_lshl_add_u64 v[14:15], s[4:5], 0, v[20:21]
	v_lshlrev_b32_e32 v20, 1, v18
	v_lshl_add_u64 v[14:15], v[14:15], 0, v[20:21]
	global_load_dwordx4 v[14:17], v[14:15], off offset:128
.LBB680_55:
	s_or_b64 exec, exec, s[2:3]
	s_branch .LBB680_58
.LBB680_56:
                                        ; implicit-def: $vgpr5
                                        ; implicit-def: $vgpr9
                                        ; implicit-def: $vgpr13
                                        ; implicit-def: $vgpr17
	s_cbranch_execz .LBB680_58
; %bb.57:
	s_waitcnt vmcnt(0)
	v_lshlrev_b32_e32 v2, 1, v18
	v_lshl_or_b32 v18, v35, 9, v2
	s_and_b32 s5, s5, 0xffff
	s_mov_b32 s7, 0x20000
	s_movk_i32 s6, 0x4000
	s_movk_i32 s0, 0x80
	buffer_load_dwordx4 v[2:5], v18, s[4:7], 0 offen
	buffer_load_dwordx4 v[6:9], v18, s[4:7], 0 offen offset:256
	buffer_load_dwordx4 v[10:13], v18, s[4:7], s0 offen
	buffer_load_dwordx4 v[14:17], v18, s[4:7], s0 offen offset:256
.LBB680_58:
	ds_read2st64_b64 v[22:25], v19 offset0:76 offset1:77
	ds_read2st64_b64 v[18:21], v19 offset0:78 offset1:79
	ds_read_b64 v[30:31], v26 offset:24576
	ds_read_b64 v[32:33], v27 offset:24576
	;; [unrolled: 1-line block ×4, first 2 shown]
	v_and_b32_e32 v36, 6, v0
	v_xor_b32_e32 v35, v35, v36
	v_lshlrev_b32_e32 v35, 2, v35
	v_and_b32_e32 v0, 1, v0
	v_xor_b32_e32 v38, 0x440, v35
	v_cmp_eq_u32_e32 vcc, 0, v0
	s_mov_b32 s0, 0x1000504
	s_mov_b32 s1, 0x3020706
	v_cndmask_b32_e32 v0, v38, v35, vcc
	v_lshl_or_b32 v0, v36, 10, v0
	s_waitcnt vmcnt(0)
	v_perm_b32 v35, v2, v6, s0
	v_perm_b32 v36, v10, v14, s0
	ds_write2st64_b32 v0, v35, v36 offset1:32
	v_xor_b32_e32 v35, 8, v0
	v_perm_b32 v2, v2, v6, s1
	v_perm_b32 v6, v10, v14, s1
	v_add_u32_e32 v10, 0x80, v35
	ds_write2st64_b32 v10, v2, v6 offset1:32
	v_xor_b32_e32 v2, 16, v0
	v_perm_b32 v6, v3, v7, s0
	v_perm_b32 v10, v11, v15, s0
	ds_write2st64_b32 v2, v6, v10 offset0:1 offset1:33
	v_xor_b32_e32 v2, 24, v0
	v_perm_b32 v3, v3, v7, s1
	v_perm_b32 v6, v11, v15, s1
	v_add_u32_e32 v2, 0x80, v2
	ds_write2st64_b32 v2, v3, v6 offset0:1 offset1:33
	v_xor_b32_e32 v2, 32, v0
	v_perm_b32 v3, v4, v8, s0
	v_perm_b32 v6, v12, v16, s0
	ds_write2st64_b32 v2, v3, v6 offset0:2 offset1:34
	v_xor_b32_e32 v2, 40, v0
	v_perm_b32 v3, v4, v8, s1
	v_perm_b32 v4, v12, v16, s1
	v_add_u32_e32 v2, 0x80, v2
	ds_write2st64_b32 v2, v3, v4 offset0:2 offset1:34
	v_xor_b32_e32 v2, 48, v0
	v_perm_b32 v3, v5, v9, s0
	v_perm_b32 v4, v13, v17, s0
	v_xor_b32_e32 v0, 56, v0
	v_and_or_b32 v6, v37, 12, v40
	ds_write2st64_b32 v2, v3, v4 offset0:3 offset1:35
	v_perm_b32 v2, v5, v9, s1
	v_perm_b32 v3, v13, v17, s1
	v_add_u32_e32 v0, 0x80, v0
	v_cmp_gt_i32_e32 vcc, s43, v6
	v_mov_b32_e32 v7, 0
	v_mov_b32_e32 v11, 0
	ds_write2st64_b32 v0, v2, v3 offset0:3 offset1:35
	s_and_saveexec_b64 s[0:1], vcc
	s_cbranch_execz .LBB680_60
; %bb.59:
	v_add_u32_e32 v0, s34, v6
	v_ashrrev_i32_e32 v2, 31, v0
	v_mul_lo_u32 v4, v2, s28
	v_mul_lo_u32 v5, v0, s29
	v_mad_u64_u32 v[2:3], s[2:3], v0, s28, 0
	v_add3_u32 v3, v3, v5, v4
	v_lshl_add_u64 v[2:3], v[2:3], 2, s[10:11]
	global_load_dword v0, v[2:3], off
	s_waitcnt vmcnt(0)
	v_sub_f32_e32 v0, s12, v0
	v_exp_f32_e32 v11, v0
.LBB680_60:
	s_or_b64 exec, exec, s[0:1]
	v_or_b32_e32 v9, 1, v6
	v_cmp_gt_i32_e64 s[0:1], s43, v9
	s_and_saveexec_b64 s[2:3], s[0:1]
	s_cbranch_execz .LBB680_62
; %bb.61:
	v_add_u32_e32 v0, s34, v9
	v_ashrrev_i32_e32 v2, 31, v0
	v_mul_lo_u32 v4, v2, s28
	v_mul_lo_u32 v5, v0, s29
	v_mad_u64_u32 v[2:3], s[4:5], v0, s28, 0
	v_add3_u32 v3, v3, v5, v4
	v_lshl_add_u64 v[2:3], v[2:3], 2, s[10:11]
	global_load_dword v0, v[2:3], off
	s_waitcnt vmcnt(0)
	v_sub_f32_e32 v0, s12, v0
	v_exp_f32_e32 v7, v0
.LBB680_62:
	s_or_b64 exec, exec, s[2:3]
	v_or_b32_e32 v10, 2, v6
	v_cmp_gt_i32_e64 s[2:3], s43, v10
	v_mov_b32_e32 v8, 0
	v_mov_b32_e32 v13, 0
	s_and_saveexec_b64 s[4:5], s[2:3]
	s_cbranch_execz .LBB680_64
; %bb.63:
	v_add_u32_e32 v0, s34, v10
	v_ashrrev_i32_e32 v2, 31, v0
	v_mul_lo_u32 v4, v2, s28
	v_mul_lo_u32 v5, v0, s29
	v_mad_u64_u32 v[2:3], s[6:7], v0, s28, 0
	v_add3_u32 v3, v3, v5, v4
	v_lshl_add_u64 v[2:3], v[2:3], 2, s[10:11]
	global_load_dword v0, v[2:3], off
	s_waitcnt vmcnt(0)
	v_sub_f32_e32 v0, s12, v0
	v_exp_f32_e32 v13, v0
.LBB680_64:
	s_or_b64 exec, exec, s[4:5]
	v_or_b32_e32 v12, 3, v6
	v_cmp_gt_i32_e64 s[4:5], s43, v12
	s_and_saveexec_b64 s[6:7], s[4:5]
	s_cbranch_execz .LBB680_66
; %bb.65:
	v_add_u32_e32 v0, s34, v12
	v_ashrrev_i32_e32 v2, 31, v0
	v_mul_lo_u32 v4, v2, s28
	v_mul_lo_u32 v5, v0, s29
	v_mad_u64_u32 v[2:3], s[14:15], v0, s28, 0
	v_add3_u32 v3, v3, v5, v4
	v_lshl_add_u64 v[2:3], v[2:3], 2, s[10:11]
	global_load_dword v0, v[2:3], off
	s_waitcnt vmcnt(0)
	v_sub_f32_e32 v0, s12, v0
	v_exp_f32_e32 v8, v0
.LBB680_66:
	s_or_b64 exec, exec, s[6:7]
	s_waitcnt lgkmcnt(11)
	v_mfma_f32_16x16x16_bf16 a[0:3], v[30:31], v[22:23], a[0:3]
	v_or_b32_e32 v0, s30, v1
	s_add_u32 s6, s8, s24
	s_addc_u32 s7, s9, s25
	s_waitcnt lgkmcnt(10)
	v_mfma_f32_16x16x16_bf16 a[0:3], v[32:33], v[24:25], a[0:3]
	v_ashrrev_i32_e32 v1, 31, v0
	v_lshl_add_u64 v[4:5], v[0:1], 1, s[6:7]
	v_mov_b32_e32 v14, 0
	s_waitcnt lgkmcnt(9)
	v_mfma_f32_16x16x16_bf16 a[0:3], v[28:29], v[18:19], a[0:3]
	v_mov_b32_e32 v15, 0
	s_waitcnt lgkmcnt(8)
	v_mfma_f32_16x16x16_bf16 a[0:3], v[26:27], v[20:21], a[0:3]
	s_nop 6
	v_accvgpr_read_b32 v0, a0
	v_accvgpr_read_b32 v1, a1
	;; [unrolled: 1-line block ×4, first 2 shown]
	s_and_saveexec_b64 s[6:7], vcc
	s_cbranch_execz .LBB680_68
; %bb.67:
	v_lshlrev_b32_e32 v16, 8, v6
	v_mov_b32_e32 v17, 0
	v_lshl_add_u64 v[16:17], v[4:5], 0, v[16:17]
	global_load_ushort v15, v[16:17], off
	s_waitcnt vmcnt(0)
	v_lshlrev_b32_e32 v15, 16, v15
	v_sub_f32_e32 v0, v15, v0
	v_mul_f32_e32 v0, v11, v0
	v_lshrrev_b32_e32 v15, 16, v0
.LBB680_68:
	s_or_b64 exec, exec, s[6:7]
	s_and_saveexec_b64 s[6:7], s[0:1]
	s_cbranch_execz .LBB680_70
; %bb.69:
	v_lshlrev_b32_e32 v16, 8, v9
	v_mov_b32_e32 v17, 0
	v_lshl_add_u64 v[16:17], v[4:5], 0, v[16:17]
	global_load_ushort v0, v[16:17], off
	s_waitcnt vmcnt(0)
	v_lshlrev_b32_e32 v0, 16, v0
	v_sub_f32_e32 v0, v0, v1
	v_mul_f32_e32 v0, v7, v0
	v_lshrrev_b32_e32 v14, 16, v0
.LBB680_70:
	s_or_b64 exec, exec, s[6:7]
	v_mov_b32_e32 v0, 0
	v_mov_b32_e32 v1, 0
	s_and_saveexec_b64 s[0:1], s[2:3]
	s_cbranch_execz .LBB680_72
; %bb.71:
	v_lshlrev_b32_e32 v10, 8, v10
	v_mov_b32_e32 v11, 0
	v_lshl_add_u64 v[10:11], v[4:5], 0, v[10:11]
	global_load_ushort v1, v[10:11], off
	s_waitcnt vmcnt(0)
	v_lshlrev_b32_e32 v1, 16, v1
	v_sub_f32_e32 v1, v1, v2
	v_mul_f32_e32 v1, v13, v1
	v_lshrrev_b32_e32 v1, 16, v1
.LBB680_72:
	s_or_b64 exec, exec, s[0:1]
	s_and_saveexec_b64 s[0:1], s[4:5]
	s_cbranch_execz .LBB680_74
; %bb.73:
	v_lshlrev_b32_e32 v10, 8, v12
	v_mov_b32_e32 v11, 0
	v_lshl_add_u64 v[4:5], v[4:5], 0, v[10:11]
	global_load_ushort v0, v[4:5], off
	s_waitcnt vmcnt(0)
	v_lshlrev_b32_e32 v0, 16, v0
	v_sub_f32_e32 v0, v0, v3
	v_mul_f32_e32 v0, v8, v0
	v_lshrrev_b32_e32 v0, 16, v0
.LBB680_74:
	s_or_b64 exec, exec, s[0:1]
	s_mov_b32 s0, 0x5040100
	v_lshlrev_b32_e32 v2, 1, v34
	v_perm_b32 v1, v0, v1, s0
	v_perm_b32 v0, v14, v15, s0
	v_lshl_or_b32 v2, v6, 5, v2
	ds_write_b64 v2, v[0:1] offset:38912
	s_waitcnt lgkmcnt(0)
	s_barrier
.LBB680_75:
	s_endpgm
	.section	.rodata,"a",@progbits
	.p2align	6, 0x0
	.amdhsa_kernel _ZN12_GLOBAL__N_139chunk_gated_delta_rule_fwd_h_hip_kernelILi16ELb0ELb0ELb0ELb1ELb1ELb0ELb1ELb0EEEvPK12hip_bfloat16S3_S3_PKfS5_PKvPS1_S8_PvPKiSB_iiiiilll
		.amdhsa_group_segment_fixed_size 40960
		.amdhsa_private_segment_fixed_size 0
		.amdhsa_kernarg_size 136
		.amdhsa_user_sgpr_count 2
		.amdhsa_user_sgpr_dispatch_ptr 0
		.amdhsa_user_sgpr_queue_ptr 0
		.amdhsa_user_sgpr_kernarg_segment_ptr 1
		.amdhsa_user_sgpr_dispatch_id 0
		.amdhsa_user_sgpr_kernarg_preload_length 0
		.amdhsa_user_sgpr_kernarg_preload_offset 0
		.amdhsa_user_sgpr_private_segment_size 0
		.amdhsa_uses_dynamic_stack 0
		.amdhsa_enable_private_segment 0
		.amdhsa_system_sgpr_workgroup_id_x 1
		.amdhsa_system_sgpr_workgroup_id_y 1
		.amdhsa_system_sgpr_workgroup_id_z 0
		.amdhsa_system_sgpr_workgroup_info 0
		.amdhsa_system_vgpr_workitem_id 0
		.amdhsa_next_free_vgpr 116
		.amdhsa_next_free_sgpr 58
		.amdhsa_accum_offset 108
		.amdhsa_reserve_vcc 1
		.amdhsa_float_round_mode_32 0
		.amdhsa_float_round_mode_16_64 0
		.amdhsa_float_denorm_mode_32 3
		.amdhsa_float_denorm_mode_16_64 3
		.amdhsa_dx10_clamp 1
		.amdhsa_ieee_mode 1
		.amdhsa_fp16_overflow 0
		.amdhsa_tg_split 0
		.amdhsa_exception_fp_ieee_invalid_op 0
		.amdhsa_exception_fp_denorm_src 0
		.amdhsa_exception_fp_ieee_div_zero 0
		.amdhsa_exception_fp_ieee_overflow 0
		.amdhsa_exception_fp_ieee_underflow 0
		.amdhsa_exception_fp_ieee_inexact 0
		.amdhsa_exception_int_div_zero 0
	.end_amdhsa_kernel
	.section	.text._ZN12_GLOBAL__N_139chunk_gated_delta_rule_fwd_h_hip_kernelILi16ELb0ELb0ELb0ELb1ELb1ELb0ELb1ELb0EEEvPK12hip_bfloat16S3_S3_PKfS5_PKvPS1_S8_PvPKiSB_iiiiilll,"axG",@progbits,_ZN12_GLOBAL__N_139chunk_gated_delta_rule_fwd_h_hip_kernelILi16ELb0ELb0ELb0ELb1ELb1ELb0ELb1ELb0EEEvPK12hip_bfloat16S3_S3_PKfS5_PKvPS1_S8_PvPKiSB_iiiiilll,comdat
.Lfunc_end680:
	.size	_ZN12_GLOBAL__N_139chunk_gated_delta_rule_fwd_h_hip_kernelILi16ELb0ELb0ELb0ELb1ELb1ELb0ELb1ELb0EEEvPK12hip_bfloat16S3_S3_PKfS5_PKvPS1_S8_PvPKiSB_iiiiilll, .Lfunc_end680-_ZN12_GLOBAL__N_139chunk_gated_delta_rule_fwd_h_hip_kernelILi16ELb0ELb0ELb0ELb1ELb1ELb0ELb1ELb0EEEvPK12hip_bfloat16S3_S3_PKfS5_PKvPS1_S8_PvPKiSB_iiiiilll
                                        ; -- End function
	.section	.AMDGPU.csdata,"",@progbits
; Kernel info:
; codeLenInByte = 7008
; NumSgprs: 64
; NumVgprs: 106
; NumAgprs: 8
; TotalNumVgprs: 116
; ScratchSize: 0
; MemoryBound: 0
; FloatMode: 240
; IeeeMode: 1
; LDSByteSize: 40960 bytes/workgroup (compile time only)
; SGPRBlocks: 7
; VGPRBlocks: 14
; NumSGPRsForWavesPerEU: 64
; NumVGPRsForWavesPerEU: 116
; AccumOffset: 108
; Occupancy: 1
; WaveLimiterHint : 1
; COMPUTE_PGM_RSRC2:SCRATCH_EN: 0
; COMPUTE_PGM_RSRC2:USER_SGPR: 2
; COMPUTE_PGM_RSRC2:TRAP_HANDLER: 0
; COMPUTE_PGM_RSRC2:TGID_X_EN: 1
; COMPUTE_PGM_RSRC2:TGID_Y_EN: 1
; COMPUTE_PGM_RSRC2:TGID_Z_EN: 0
; COMPUTE_PGM_RSRC2:TIDIG_COMP_CNT: 0
; COMPUTE_PGM_RSRC3_GFX90A:ACCUM_OFFSET: 26
; COMPUTE_PGM_RSRC3_GFX90A:TG_SPLIT: 0
	.section	.text._ZN12_GLOBAL__N_139chunk_gated_delta_rule_fwd_h_hip_kernelILi16ELb1ELb1ELb1ELb0ELb1ELb0ELb1ELb0EEEvPK12hip_bfloat16S3_S3_PKfS5_PKvPS1_S8_PvPKiSB_iiiiilll,"axG",@progbits,_ZN12_GLOBAL__N_139chunk_gated_delta_rule_fwd_h_hip_kernelILi16ELb1ELb1ELb1ELb0ELb1ELb0ELb1ELb0EEEvPK12hip_bfloat16S3_S3_PKfS5_PKvPS1_S8_PvPKiSB_iiiiilll,comdat
	.globl	_ZN12_GLOBAL__N_139chunk_gated_delta_rule_fwd_h_hip_kernelILi16ELb1ELb1ELb1ELb0ELb1ELb0ELb1ELb0EEEvPK12hip_bfloat16S3_S3_PKfS5_PKvPS1_S8_PvPKiSB_iiiiilll ; -- Begin function _ZN12_GLOBAL__N_139chunk_gated_delta_rule_fwd_h_hip_kernelILi16ELb1ELb1ELb1ELb0ELb1ELb0ELb1ELb0EEEvPK12hip_bfloat16S3_S3_PKfS5_PKvPS1_S8_PvPKiSB_iiiiilll
	.p2align	8
	.type	_ZN12_GLOBAL__N_139chunk_gated_delta_rule_fwd_h_hip_kernelILi16ELb1ELb1ELb1ELb0ELb1ELb0ELb1ELb0EEEvPK12hip_bfloat16S3_S3_PKfS5_PKvPS1_S8_PvPKiSB_iiiiilll,@function
_ZN12_GLOBAL__N_139chunk_gated_delta_rule_fwd_h_hip_kernelILi16ELb1ELb1ELb1ELb0ELb1ELb0ELb1ELb0EEEvPK12hip_bfloat16S3_S3_PKfS5_PKvPS1_S8_PvPKiSB_iiiiilll: ; @_ZN12_GLOBAL__N_139chunk_gated_delta_rule_fwd_h_hip_kernelILi16ELb1ELb1ELb1ELb0ELb1ELb0ELb1ELb0EEEvPK12hip_bfloat16S3_S3_PKfS5_PKvPS1_S8_PvPKiSB_iiiiilll
; %bb.0:
	s_load_dwordx4 s[20:23], s[0:1], 0x5c
	s_load_dwordx4 s[24:27], s[0:1], 0x70
	s_abs_i32 s6, s3
	s_ashr_i32 s5, s3, 31
	v_and_b32_e32 v56, 15, v0
	s_waitcnt lgkmcnt(0)
	s_abs_i32 s4, s21
	v_cvt_f32_u32_e32 v1, s4
	s_sub_i32 s8, 0, s4
	s_ashr_i32 s7, s21, 31
	s_xor_b32 s5, s5, s7
	v_rcp_iflag_f32_e32 v1, v1
	v_bfe_u32 v55, v0, 4, 2
	v_mov_b32_e32 v45, 0
	v_lshlrev_b32_e32 v57, 3, v0
	v_mul_f32_e32 v1, 0x4f7ffffe, v1
	v_cvt_u32_f32_e32 v1, v1
	s_nop 0
	v_readfirstlane_b32 s9, v1
	s_mul_i32 s8, s8, s9
	s_mul_hi_u32 s8, s9, s8
	s_add_i32 s9, s9, s8
	s_mul_hi_u32 s8, s6, s9
	s_mul_i32 s9, s8, s4
	s_sub_i32 s6, s6, s9
	s_add_i32 s10, s8, 1
	s_sub_i32 s9, s6, s4
	s_cmp_ge_u32 s6, s4
	s_cselect_b32 s8, s10, s8
	s_cselect_b32 s6, s9, s6
	s_add_i32 s9, s8, 1
	s_cmp_ge_u32 s6, s4
	s_cselect_b32 s6, s9, s8
	s_xor_b32 s6, s6, s5
	s_add_i32 s8, s20, 63
	s_sub_i32 s55, s6, s5
	s_ashr_i32 s9, s8, 31
	s_mul_i32 s12, s55, s21
	s_sub_i32 s53, s3, s12
	s_lshr_b32 s3, s9, 26
	s_add_i32 s8, s8, s3
	s_abs_i32 s3, s22
	v_cvt_f32_u32_e32 v1, s3
	s_ashr_i32 s54, s20, 31
	s_lshr_b32 s5, s54, 26
	s_add_i32 s5, s20, s5
	v_rcp_iflag_f32_e32 v1, v1
	s_ashr_i32 s58, s22, 31
	s_ashr_i32 s56, s5, 6
	s_xor_b32 s5, s7, s58
	v_mul_f32_e32 v1, 0x4f7ffffe, v1
	v_cvt_u32_f32_e32 v1, v1
	s_sub_i32 s6, 0, s3
	s_ashr_i32 s28, s8, 6
	s_lshl_b32 s2, s2, 4
	v_readfirstlane_b32 s7, v1
	s_mul_i32 s6, s6, s7
	s_mul_hi_u32 s6, s7, s6
	s_add_i32 s7, s7, s6
	s_mul_hi_u32 s6, s4, s7
	s_mul_i32 s7, s6, s3
	s_sub_i32 s4, s4, s7
	s_add_i32 s7, s6, 1
	s_sub_i32 s8, s4, s3
	s_cmp_ge_u32 s4, s3
	s_cselect_b32 s6, s7, s6
	s_cselect_b32 s4, s8, s4
	s_add_i32 s7, s6, 1
	s_cmp_ge_u32 s4, s3
	s_cselect_b32 s3, s7, s6
	s_xor_b32 s3, s3, s5
	s_sub_i32 s3, s3, s5
	s_abs_i32 s13, s3
	v_cvt_f32_u32_e32 v1, s13
	s_sub_i32 s15, 0, s13
	s_abs_i32 s14, s53
	s_xor_b32 s3, s53, s3
	v_rcp_iflag_f32_e32 v2, v1
	s_ashr_i32 s3, s3, 31
	s_load_dwordx8 s[4:11], s[0:1], 0x28
	v_lshrrev_b32_e32 v1, 6, v0
	v_mul_f32_e32 v2, 0x4f7ffffe, v2
	v_cvt_u32_f32_e32 v2, v2
	v_or_b32_e32 v46, s2, v56
	v_lshlrev_b32_e32 v54, 4, v1
	v_lshlrev_b32_e32 v42, 7, v46
	v_readfirstlane_b32 s16, v2
	s_mul_i32 s15, s15, s16
	s_mul_hi_u32 s15, s16, s15
	s_add_i32 s16, s16, s15
	s_mul_hi_u32 s15, s14, s16
	s_mul_i32 s16, s15, s13
	s_sub_i32 s14, s14, s16
	s_add_i32 s16, s15, 1
	s_sub_i32 s17, s14, s13
	s_cmp_ge_u32 s14, s13
	s_cselect_b32 s15, s16, s15
	s_cselect_b32 s14, s17, s14
	s_add_i32 s16, s15, 1
	s_cmp_ge_u32 s14, s13
	s_cselect_b32 s13, s16, s15
	s_xor_b32 s13, s13, s3
	s_sub_i32 s59, s13, s3
	s_ashr_i32 s3, s55, 31
	s_ashr_i32 s57, s53, 31
	s_mul_hi_i32 s13, s55, s21
	s_add_u32 s42, s12, s53
	s_addc_u32 s43, s13, s57
	s_lshl_b64 s[34:35], s[42:43], 16
	s_waitcnt lgkmcnt(0)
	s_add_u32 s4, s4, s34
	v_lshl_or_b32 v59, v55, 2, v54
	s_addc_u32 s5, s5, s35
	v_ashrrev_i32_e32 v43, 31, v42
	v_lshl_add_u64 v[2:3], v[42:43], 2, s[4:5]
	v_lshlrev_b32_e32 v44, 2, v59
	v_lshl_add_u64 v[10:11], v[2:3], 0, v[44:45]
	global_load_dwordx4 v[2:5], v[10:11], off
	global_load_dwordx4 v[6:9], v[10:11], off offset:256
	s_load_dwordx8 s[12:19], s[0:1], 0x0
	s_load_dwordx2 s[36:37], s[0:1], 0x80
	v_and_b32_e32 v45, 63, v0
	v_lshrrev_b32_e32 v58, 3, v45
	v_or_b32_e32 v60, 64, v59
	s_mul_i32 s33, s55, s25
	s_mul_hi_u32 s48, s55, s24
	s_mul_i32 s40, s55, s24
	s_mul_i32 s60, s55, s28
	;; [unrolled: 1-line block ×3, first 2 shown]
	s_mul_hi_u32 s50, s53, s26
	s_mul_i32 s52, s3, s24
	s_mul_i32 s51, s57, s26
	s_mul_hi_u32 s61, s42, s20
	s_mul_i32 s4, s42, s20
	s_mul_i32 s43, s43, s20
	s_cmp_lt_i32 s20, 64
	s_mul_i32 s38, s53, s26
	s_waitcnt vmcnt(1)
	v_mov_b32_e32 v65, v5
	s_waitcnt vmcnt(0)
	v_mov_b32_e32 v62, v9
	s_cbranch_scc1 .LBB681_3
; %bb.1:
	s_add_i32 s5, s61, s43
	s_lshl_b64 s[0:1], s[4:5], 8
	v_and_b32_e32 v63, 56, v57
	s_waitcnt lgkmcnt(0)
	s_add_u32 s24, s14, s0
	v_lshl_or_b32 v61, v1, 3, v58
	v_lshlrev_b32_e32 v5, 1, v63
	s_addc_u32 s0, s15, s1
	v_lshl_or_b32 v64, v61, 8, v5
	s_and_b32 s25, s0, 0xffff
	s_mov_b32 s27, 0x20000
	s_movk_i32 s26, 0x4000
	s_movk_i32 s0, 0x80
	v_or_b32_e32 v66, 0x2000, v64
	buffer_load_dwordx4 v[10:13], v64, s[24:27], 0 offen
	buffer_load_dwordx4 v[14:17], v64, s[24:27], s0 offen
	;; [unrolled: 1-line block ×4, first 2 shown]
	v_lshlrev_b32_e32 v9, 3, v61
	v_and_or_b32 v27, v0, 7, v9
	v_and_b32_e32 v9, 0x78, v9
	v_lshlrev_b32_e32 v27, 4, v27
	v_xor_b32_e32 v67, v27, v9
	v_mul_lo_u32 v26, v61, s23
	v_or_b32_e32 v68, 0x1000, v67
	v_xor_b32_e32 v9, 8, v67
	s_cmpk_eq_i32 s23, 0x80
	s_mov_b32 s62, s22
	v_xor_b32_e32 v27, 8, v68
	s_cselect_b64 s[0:1], -1, 0
	s_cmpk_lg_i32 s23, 0x80
	s_waitcnt vmcnt(3)
	ds_write_b64 v67, v[10:11] offset:16384
	ds_write_b64 v9, v[12:13] offset:16384
	s_waitcnt vmcnt(2)
	ds_write_b64 v67, v[14:15] offset:24576
	ds_write_b64 v9, v[16:17] offset:24576
	;; [unrolled: 3-line block ×4, first 2 shown]
	v_lshl_add_u32 v9, v26, 1, v63
	s_cbranch_scc0 .LBB681_29
; %bb.2:
	v_lshlrev_b32_e32 v11, 1, v9
	v_add_lshl_u32 v10, v9, s23, 1
	s_lshl_b32 s26, s23, 7
	v_lshl_or_b32 v5, v61, 9, v5
	s_cbranch_execz .LBB681_30
	s_branch .LBB681_31
.LBB681_3:
	v_mov_b32_e32 v9, v62
	v_mov_b32_e32 v5, v65
.LBB681_4:
	s_lshl_b32 s30, s56, 6
	s_sub_i32 s31, s20, s30
	s_cmp_gt_i32 s31, 0
	s_cbranch_scc0 .LBB681_76
; %bb.5:
	s_ashr_i32 s3, s30, 31
	s_cmpk_lg_i32 s23, 0x80
	s_cselect_b64 s[26:27], -1, 0
	s_and_b64 vcc, exec, s[26:27]
	s_cbranch_vccz .LBB681_7
; %bb.6:
	s_mul_i32 s1, s55, s20
	s_mul_hi_i32 s0, s55, s20
	s_add_u32 s1, s1, s30
	s_addc_u32 s0, s0, s3
	s_mul_i32 s5, s1, s58
	s_mul_hi_u32 s24, s1, s22
	s_add_i32 s5, s24, s5
	s_mul_i32 s0, s0, s22
	s_add_i32 s5, s5, s0
	s_mul_i32 s1, s1, s22
	s_ashr_i32 s0, s59, 31
	s_add_u32 s28, s1, s59
	s_addc_u32 s29, s5, s0
	s_cbranch_execz .LBB681_8
	s_branch .LBB681_9
.LBB681_7:
                                        ; implicit-def: $sgpr28_sgpr29
.LBB681_8:
	s_mul_hi_i32 s0, s55, s22
	s_mul_i32 s55, s55, s22
	s_ashr_i32 s1, s59, 31
	s_add_u32 s5, s55, s59
	s_addc_u32 s0, s0, s1
	s_mul_i32 s1, s5, s54
	s_mul_hi_u32 s22, s5, s20
	s_add_i32 s1, s22, s1
	s_mul_i32 s0, s0, s20
	s_add_i32 s1, s1, s0
	s_mul_i32 s5, s5, s20
	s_add_u32 s28, s5, s30
	s_addc_u32 s29, s1, s3
.LBB681_9:
	s_mul_i32 s0, s42, s54
	s_add_i32 s0, s61, s0
	s_add_i32 s5, s60, s56
	;; [unrolled: 1-line block ×3, first 2 shown]
	s_add_u32 s0, s4, s30
	s_addc_u32 s1, s1, s3
	s_mov_b32 s3, 0x7060302
	v_lshlrev_b32_e32 v14, 3, v56
	s_lshl_b64 s[24:25], s[0:1], 8
	v_perm_b32 v11, v5, v4, s3
	v_perm_b32 v10, v3, v2, s3
	;; [unrolled: 1-line block ×4, first 2 shown]
	v_lshlrev_b32_e32 v48, 2, v56
	v_lshl_or_b32 v14, v59, 5, v14
	s_waitcnt lgkmcnt(0)
	s_add_u32 s0, s14, s24
	ds_write2st64_b64 v14, v[10:11], v[12:13] offset0:72 offset1:76
	v_xor_b32_e32 v14, v59, v48
	v_lshlrev_b32_e32 v15, 8, v56
	s_addc_u32 s1, s15, s25
	v_lshl_or_b32 v14, v14, 1, v15
	s_mul_hi_i32 s3, s5, s21
	s_mul_i32 s5, s5, s21
	ds_write_b64 v14, v[10:11] offset:32768
	v_xor_b32_e32 v10, v60, v48
	s_add_u32 s4, s5, s53
	v_lshl_or_b32 v10, v10, 1, v15
	s_addc_u32 s5, s3, s57
	v_lshlrev_b32_e32 v11, 1, v56
	ds_write_b64 v10, v[12:13] offset:32768
	v_lshrrev_b32_e32 v10, 4, v0
	s_ashr_i32 s3, s2, 31
	s_lshl_b64 s[4:5], s[4:5], 15
	v_or_b32_e32 v12, 1, v11
	s_add_u32 s4, s6, s4
	v_xor_b32_e32 v11, v10, v11
	v_xor_b32_e32 v12, v12, v10
	v_lshlrev_b32_e32 v14, 8, v10
	s_addc_u32 s5, s7, s5
	s_lshl_b64 s[2:3], s[2:3], 8
	v_lshl_or_b32 v10, v11, 3, v14
	v_lshl_or_b32 v12, v12, 3, v14
	s_waitcnt lgkmcnt(0)
	s_barrier
	s_add_u32 s2, s4, s2
	ds_read_b64 v[10:11], v10 offset:32768
	ds_read_b64 v[12:13], v12 offset:32768
	s_addc_u32 s3, s5, s3
	v_mov_b32_e32 v15, 0
	s_cmp_lg_u32 s31, 64
	v_lshl_add_u64 v[16:17], s[2:3], 0, v[14:15]
	v_lshlrev_b32_e32 v14, 4, v56
	s_cselect_b64 s[14:15], -1, 0
	v_lshl_or_b32 v47, v1, 3, v58
	s_mov_b32 s4, 0
	v_lshl_add_u64 v[14:15], v[16:17], 0, v[14:15]
	s_waitcnt vmcnt(1)
	v_or_b32_e32 v27, 32, v47
	v_and_b32_e32 v26, 56, v57
	s_and_b64 vcc, exec, s[14:15]
	s_waitcnt lgkmcnt(0)
	global_store_dwordx4 v[14:15], v[10:13], off
	s_cbranch_vccz .LBB681_15
; %bb.10:
	s_mov_b32 s6, s4
	s_mov_b32 s7, s4
	;; [unrolled: 1-line block ×3, first 2 shown]
	v_mov_b64_e32 v[16:17], s[6:7]
	v_mov_b64_e32 v[14:15], s[4:5]
	;; [unrolled: 1-line block ×3, first 2 shown]
	v_cmp_gt_i32_e32 vcc, s31, v47
	v_mov_b64_e32 v[12:13], v[16:17]
	s_and_saveexec_b64 s[2:3], vcc
	s_cbranch_execz .LBB681_12
; %bb.11:
	v_lshlrev_b32_e32 v10, 8, v47
	v_mov_b32_e32 v11, 0
	v_lshl_add_u64 v[12:13], s[0:1], 0, v[10:11]
	v_lshlrev_b32_e32 v10, 1, v26
	v_lshl_add_u64 v[18:19], v[12:13], 0, v[10:11]
	global_load_dwordx4 v[14:17], v[18:19], off
	global_load_dwordx4 v[10:13], v[18:19], off offset:128
.LBB681_12:
	s_or_b64 exec, exec, s[2:3]
	s_mov_b32 s6, s4
	s_mov_b32 s7, s4
	;; [unrolled: 1-line block ×3, first 2 shown]
	v_mov_b64_e32 v[24:25], s[6:7]
	v_mov_b64_e32 v[22:23], s[4:5]
	v_mov_b64_e32 v[18:19], v[22:23]
	v_cmp_gt_i32_e32 vcc, s31, v27
	v_lshlrev_b32_e32 v28, 7, v27
	v_mov_b64_e32 v[20:21], v[24:25]
	s_and_saveexec_b64 s[2:3], vcc
	s_cbranch_execz .LBB681_14
; %bb.13:
	v_lshlrev_b32_e32 v18, 1, v28
	v_mov_b32_e32 v19, 0
	v_lshl_add_u64 v[20:21], s[0:1], 0, v[18:19]
	v_lshlrev_b32_e32 v18, 1, v26
	v_lshl_add_u64 v[30:31], v[20:21], 0, v[18:19]
	global_load_dwordx4 v[22:25], v[30:31], off
	global_load_dwordx4 v[18:21], v[30:31], off offset:128
.LBB681_14:
	s_or_b64 exec, exec, s[2:3]
	v_lshrrev_b32_e32 v29, 3, v26
	v_lshlrev_b32_e32 v30, 3, v47
	v_or_b32_e32 v29, v30, v29
	v_lshlrev_b32_e32 v29, 4, v29
	v_and_b32_e32 v30, 0x78, v30
	v_xor_b32_e32 v29, v29, v30
	s_branch .LBB681_17
.LBB681_15:
                                        ; implicit-def: $vgpr29
                                        ; implicit-def: $vgpr28
                                        ; implicit-def: $vgpr14_vgpr15_vgpr16_vgpr17
                                        ; implicit-def: $vgpr10_vgpr11_vgpr12_vgpr13
                                        ; implicit-def: $vgpr22_vgpr23_vgpr24_vgpr25
                                        ; implicit-def: $vgpr18_vgpr19_vgpr20_vgpr21
	s_cbranch_execz .LBB681_17
; %bb.16:
	s_waitcnt vmcnt(0)
	v_lshlrev_b32_e32 v10, 1, v26
	v_lshl_or_b32 v28, v47, 8, v10
	s_and_b32 s1, s1, 0xffff
	s_mov_b32 s3, 0x20000
	s_movk_i32 s2, 0x4000
	v_lshl_or_b32 v29, v27, 8, v10
	s_movk_i32 s4, 0x80
	buffer_load_dwordx4 v[14:17], v28, s[0:3], 0 offen
	buffer_load_dwordx4 v[10:13], v28, s[0:3], s4 offen
	;; [unrolled: 1-line block ×4, first 2 shown]
	v_lshrrev_b32_e32 v28, 3, v26
	v_lshlrev_b32_e32 v29, 3, v47
	v_or_b32_e32 v28, v29, v28
	v_lshlrev_b32_e32 v28, 4, v28
	v_and_b32_e32 v29, 0x78, v29
	v_xor_b32_e32 v29, v28, v29
	v_lshlrev_b32_e32 v28, 7, v27
.LBB681_17:
	s_lshl_b64 s[0:1], s[28:29], 8
	s_add_u32 s4, s12, s0
	s_movk_i32 s0, 0x1000
	v_and_or_b32 v27, v28, s0, v29
	s_waitcnt vmcnt(1)
	ds_write_b64 v29, v[14:15] offset:16384
	v_xor_b32_e32 v14, 8, v29
	ds_write_b64 v14, v[16:17] offset:16384
	s_waitcnt vmcnt(0)
	ds_write_b64 v29, v[10:11] offset:24576
	ds_write_b64 v14, v[12:13] offset:24576
	;; [unrolled: 1-line block ×3, first 2 shown]
	v_xor_b32_e32 v10, 8, v27
	ds_write_b64 v10, v[24:25] offset:16384
	ds_write_b64 v27, v[18:19] offset:24576
	;; [unrolled: 1-line block ×3, first 2 shown]
	v_or_b32_e32 v10, v54, v56
	v_lshlrev_b32_e32 v10, 3, v10
	v_lshrrev_b32_e32 v12, 5, v45
	s_movk_i32 s6, 0xf8
	v_and_or_b32 v12, v10, s6, v12
	v_lshlrev_b32_e32 v49, 11, v1
	v_lshlrev_b32_e32 v20, 4, v12
	v_and_b32_e32 v21, 0x78, v10
	v_and_b32_e32 v22, 0x1000, v49
	v_lshlrev_b32_e32 v11, 2, v0
	v_xor_b32_e32 v10, v20, v21
	v_lshrrev_b32_e32 v12, 1, v45
	v_and_b32_e32 v11, 60, v11
	v_or_b32_e32 v10, v10, v22
	v_and_b32_e32 v23, 8, v12
	v_xor_b32_e32 v34, v10, v23
	v_lshl_or_b32 v10, v55, 6, v11
	v_lshlrev_b32_e32 v50, 1, v10
	v_or_b32_e32 v10, 32, v20
	v_xor_b32_e32 v10, v10, v21
	s_waitcnt lgkmcnt(0)
	s_barrier
	ds_read_b64 v[18:19], v34 offset:16384
	v_or_b32_e32 v10, v10, v22
	v_xor_b32_e32 v35, v10, v23
	v_or_b32_e32 v10, 64, v20
	v_xor_b32_e32 v10, v10, v21
	v_or_b32_e32 v10, v10, v22
	v_or_b32_e32 v20, 0x60, v20
	v_xor_b32_e32 v36, v10, v23
	ds_read2st64_b64 v[10:13], v50 offset0:72 offset1:73
	ds_read2st64_b64 v[14:17], v50 offset0:74 offset1:75
	v_xor_b32_e32 v24, v20, v21
	ds_read_b64 v[20:21], v35 offset:16384
	s_addc_u32 s5, s13, s1
	s_add_i32 s1, s48, s33
	s_waitcnt lgkmcnt(2)
	v_mfma_f32_16x16x16_bf16 a[0:3], v[18:19], v[10:11], 0
	s_add_i32 s0, s20, -1
	s_add_i32 s41, s1, s52
	s_add_i32 s1, s50, s49
	;; [unrolled: 1-line block ×3, first 2 shown]
	s_ashr_i32 s1, s0, 31
	s_mul_i32 s2, s0, s37
	s_mul_hi_u32 s3, s0, s36
	s_add_i32 s2, s3, s2
	s_mul_i32 s1, s1, s36
	v_or_b32_e32 v22, v24, v22
	s_add_i32 s1, s2, s1
	s_lshl_b64 s[2:3], s[40:41], 2
	v_xor_b32_e32 v51, v22, v23
	ds_read_b64 v[22:23], v36 offset:16384
	ds_read_b64 v[24:25], v51 offset:16384
	s_waitcnt lgkmcnt(2)
	v_mfma_f32_16x16x16_bf16 a[0:3], v[20:21], v[12:13], a[0:3]
	s_add_u32 s6, s18, s2
	s_addc_u32 s7, s19, s3
	s_lshl_b64 s[2:3], s[38:39], 2
	s_mul_i32 s0, s0, s36
	s_add_u32 s12, s6, s2
	s_addc_u32 s13, s7, s3
	s_lshl_b64 s[0:1], s[0:1], 2
	s_waitcnt lgkmcnt(1)
	v_mfma_f32_16x16x16_bf16 a[0:3], v[22:23], v[14:15], a[0:3]
	s_add_u32 s0, s12, s0
	s_addc_u32 s1, s13, s1
	s_load_dword s18, s[0:1], 0x0
	s_waitcnt lgkmcnt(0)
	v_mfma_f32_16x16x16_bf16 a[0:3], v[24:25], v[16:17], a[0:3]
	s_and_b64 vcc, exec, s[26:27]
	s_cbranch_vccz .LBB681_28
; %bb.18:
	v_lshlrev_b32_e32 v27, 1, v47
	s_and_b64 vcc, exec, s[14:15]
	s_cbranch_vccz .LBB681_44
; %bb.19:
	v_cmp_gt_i32_e32 vcc, s31, v27
	v_mov_b32_e32 v14, 0
	v_mov_b32_e32 v10, 0
	;; [unrolled: 1-line block ×5, first 2 shown]
	s_and_saveexec_b64 s[0:1], vcc
	s_cbranch_execz .LBB681_21
; %bb.20:
	v_mad_i64_i32 v[10:11], s[2:3], s23, v27, 0
	v_lshl_add_u64 v[10:11], v[10:11], 1, s[4:5]
	v_lshlrev_b32_e32 v12, 1, v26
	v_mov_b32_e32 v13, 0
	v_lshl_add_u64 v[10:11], v[10:11], 0, v[12:13]
	global_load_dwordx4 v[10:13], v[10:11], off
.LBB681_21:
	s_or_b64 exec, exec, s[0:1]
	v_or_b32_e32 v28, 1, v27
	v_cmp_gt_i32_e64 s[0:1], s31, v28
	v_mov_b32_e32 v15, 0
	v_mov_b32_e32 v16, 0
	v_mov_b32_e32 v17, 0
	s_and_saveexec_b64 s[2:3], s[0:1]
	s_cbranch_execz .LBB681_23
; %bb.22:
	v_mad_i64_i32 v[14:15], s[6:7], s23, v28, 0
	v_lshl_add_u64 v[14:15], v[14:15], 1, s[4:5]
	v_lshlrev_b32_e32 v16, 1, v26
	v_mov_b32_e32 v17, 0
	v_lshl_add_u64 v[14:15], v[14:15], 0, v[16:17]
	global_load_dwordx4 v[14:17], v[14:15], off
.LBB681_23:
	s_or_b64 exec, exec, s[2:3]
	v_mov_b32_e32 v25, 0
	v_mov_b32_e32 v18, 0
	;; [unrolled: 1-line block ×5, first 2 shown]
	s_and_saveexec_b64 s[2:3], vcc
	s_cbranch_execz .LBB681_25
; %bb.24:
	v_mad_i64_i32 v[18:19], s[6:7], s23, v27, 0
	v_lshl_add_u64 v[18:19], v[18:19], 1, s[4:5]
	v_lshlrev_b32_e32 v20, 1, v26
	v_mov_b32_e32 v21, 0
	v_lshl_add_u64 v[18:19], v[18:19], 0, v[20:21]
	global_load_dwordx4 v[18:21], v[18:19], off offset:128
.LBB681_25:
	s_or_b64 exec, exec, s[2:3]
	v_mov_b32_e32 v24, 0
	v_mov_b32_e32 v23, 0
	;; [unrolled: 1-line block ×3, first 2 shown]
	s_and_saveexec_b64 s[2:3], s[0:1]
	s_cbranch_execz .LBB681_27
; %bb.26:
	v_mad_i64_i32 v[22:23], s[0:1], s23, v28, 0
	v_lshl_add_u64 v[22:23], v[22:23], 1, s[4:5]
	v_lshlrev_b32_e32 v24, 1, v26
	v_mov_b32_e32 v25, 0
	v_lshl_add_u64 v[22:23], v[22:23], 0, v[24:25]
	global_load_dwordx4 v[22:25], v[22:23], off offset:128
.LBB681_27:
	s_or_b64 exec, exec, s[2:3]
	s_branch .LBB681_46
.LBB681_28:
                                        ; implicit-def: $vgpr13
                                        ; implicit-def: $vgpr17
                                        ; implicit-def: $vgpr21
                                        ; implicit-def: $vgpr25
	v_lshrrev_b32_e32 v45, 2, v45
	s_branch .LBB681_47
.LBB681_29:
                                        ; implicit-def: $vgpr10
                                        ; implicit-def: $vgpr11
                                        ; implicit-def: $sgpr26
	v_lshl_or_b32 v5, v61, 9, v5
.LBB681_30:
	v_or_b32_e32 v10, 0x100, v5
	s_movk_i32 s26, 0x4000
	v_mov_b32_e32 v11, v5
.LBB681_31:
	s_mul_hi_u32 s24, s22, s20
	s_mul_i32 s25, s58, s20
	s_add_i32 s24, s24, s25
	s_mul_i32 s25, s22, s20
	s_mul_i32 s27, s25, s3
	s_mul_hi_u32 s28, s25, s55
	s_add_i32 s27, s28, s27
	s_mul_i32 s24, s24, s55
	s_add_i32 s27, s27, s24
	s_mul_i32 s25, s25, s55
	s_ashr_i32 s63, s59, 31
	s_add_u32 s24, s25, s59
	s_addc_u32 s25, s27, s63
	s_lshl_b64 s[24:25], s[24:25], 8
	s_add_u32 s24, s12, s24
	s_addc_u32 s25, s13, s25
	s_and_b32 s25, s25, 0xffff
	s_mov_b32 s27, 0x20000
	s_movk_i32 s64, 0x80
	buffer_load_dwordx4 v[12:15], v11, s[24:27], 0 offen
	buffer_load_dwordx4 v[16:19], v11, s[24:27], s64 offen
	;; [unrolled: 1-line block ×4, first 2 shown]
	v_and_b32_e32 v10, 6, v0
	v_lshlrev_b32_e32 v28, 2, v56
	v_lshlrev_b32_e32 v29, 3, v56
	v_xor_b32_e32 v31, v61, v10
	v_and_b32_e32 v11, 1, v0
	s_mul_i32 s3, s3, s20
	s_mul_hi_u32 s24, s55, s20
	v_lshl_or_b32 v29, v59, 5, v29
	v_xor_b32_e32 v32, v59, v28
	v_lshlrev_b32_e32 v31, 2, v31
	v_or_b32_e32 v69, 0x9000, v29
	v_or_b32_e32 v70, 0x9800, v29
	v_lshlrev_b32_e32 v29, 1, v32
	v_xor_b32_e32 v32, 0x440, v31
	v_cmp_eq_u32_e32 vcc, 0, v11
	s_add_i32 s69, s24, s3
	s_add_i32 s3, s48, s33
	v_cndmask_b32_e32 v11, v32, v31, vcc
	s_add_i32 s24, s50, s49
	s_add_i32 s41, s3, s52
	s_mov_b32 s66, 0x1000504
	v_lshlrev_b32_e32 v30, 8, v56
	s_mov_b32 s26, 0x8000
	v_xor_b32_e32 v28, v60, v28
	v_lshl_or_b32 v10, v10, 10, v11
	s_add_i32 s39, s24, s51
	s_lshl_b64 s[24:25], s[40:41], 2
	s_mov_b32 s67, 0x3020706
	v_lshlrev_b32_e32 v28, 1, v28
	v_or3_b32 v71, v29, v30, s26
	v_xor_b32_e32 v11, 8, v10
	v_xor_b32_e32 v29, 24, v10
	;; [unrolled: 1-line block ×4, first 2 shown]
	s_add_u32 s3, s18, s24
	v_or3_b32 v72, v28, v30, s26
	v_xor_b32_e32 v28, 16, v10
	v_xor_b32_e32 v30, 32, v10
	;; [unrolled: 1-line block ×3, first 2 shown]
	v_add_u32_e32 v11, 0x80, v11
	v_add_u32_e32 v29, 0x80, v29
	;; [unrolled: 1-line block ×4, first 2 shown]
	s_addc_u32 s28, s19, s25
	s_lshl_b64 s[24:25], s[38:39], 2
	s_add_u32 s44, s3, s24
	s_movk_i32 s3, 0xf8
	s_addc_u32 s45, s28, s25
	v_ashrrev_i32_e32 v47, 31, v46
	s_lshl_b32 s30, s23, 7
	s_mov_b32 s65, 0
	s_mul_i32 s68, s55, s20
	s_mov_b32 s41, 0
	s_waitcnt vmcnt(1)
	v_perm_b32 v34, v12, v20, s66
	s_waitcnt vmcnt(0)
	v_perm_b32 v35, v16, v24, s66
	v_perm_b32 v12, v12, v20, s67
	;; [unrolled: 1-line block ×15, first 2 shown]
	ds_write2st64_b32 v10, v34, v35 offset1:32
	ds_write2st64_b32 v11, v12, v16 offset1:32
	ds_write2st64_b32 v28, v20, v24 offset0:1 offset1:33
	ds_write2st64_b32 v29, v13, v17 offset0:1 offset1:33
	;; [unrolled: 1-line block ×6, first 2 shown]
	v_or_b32_e32 v10, v54, v56
	v_lshlrev_b32_e32 v10, 3, v10
	v_lshrrev_b32_e32 v12, 5, v45
	v_and_or_b32 v12, v10, s3, v12
	v_lshlrev_b32_e32 v12, 4, v12
	v_lshlrev_b32_e32 v18, 11, v1
	v_and_b32_e32 v10, 0x78, v10
	v_or_b32_e32 v15, 32, v12
	v_and_b32_e32 v11, 0x1000, v18
	v_lshrrev_b32_e32 v19, 1, v0
	v_xor_b32_e32 v15, v15, v10
	v_and_b32_e32 v14, 8, v19
	v_or_b32_e32 v15, v15, v11
	v_xor_b32_e32 v13, v12, v10
	v_xor_b32_e32 v75, v15, v14
	v_or_b32_e32 v15, 64, v12
	v_or_b32_e32 v12, 0x60, v12
	v_xor_b32_e32 v15, v15, v10
	v_xor_b32_e32 v10, v12, v10
	v_or_b32_e32 v13, v13, v11
	v_or_b32_e32 v15, v15, v11
	;; [unrolled: 1-line block ×3, first 2 shown]
	v_xor_b32_e32 v73, v13, v14
	v_xor_b32_e32 v76, v15, v14
	;; [unrolled: 1-line block ×3, first 2 shown]
	v_lshrrev_b32_e32 v14, 4, v0
	v_lshlrev_b32_e32 v15, 1, v56
	s_ashr_i32 s3, s2, 31
	v_or_b32_e32 v16, 1, v15
	v_xor_b32_e32 v15, v14, v15
	s_lshl_b64 s[24:25], s[2:3], 8
	v_xor_b32_e32 v16, v16, v14
	v_lshlrev_b32_e32 v15, 3, v15
	v_lshlrev_b32_e32 v14, 8, v14
	v_lshlrev_b64 v[10:11], 1, v[46:47]
	s_add_u32 s24, s6, s24
	v_or3_b32 v47, v15, v14, s26
	v_lshlrev_b32_e32 v15, 3, v16
	s_addc_u32 s25, s7, s25
	v_or3_b32 v79, v15, v14, s26
	v_mov_b32_e32 v15, 0
	v_lshl_add_u64 v[16:17], s[24:25], 0, v[14:15]
	v_lshlrev_b32_e32 v14, 4, v56
	s_movk_i32 s3, 0xff
	v_lshlrev_b32_e32 v23, 3, v1
	v_and_b32_e32 v19, 24, v19
	v_lshl_add_u64 v[48:49], v[16:17], 0, v[14:15]
	v_and_b32_e32 v16, 8, v0
	v_cmp_lt_u32_e32 vcc, s3, v0
	v_xor_b32_e32 v24, v23, v19
	v_or_b32_e32 v25, 0x440, v24
	v_cndmask_b32_e64 v22, 0, 1, vcc
	v_cmp_eq_u32_e32 vcc, 0, v16
	v_and_b32_e32 v14, 7, v0
	v_lshlrev_b32_e32 v17, 3, v14
	v_cndmask_b32_e32 v16, v25, v24, vcc
	v_lshlrev_b32_e32 v14, 7, v14
	v_or_b32_e32 v16, v16, v18
	v_xad_u32 v80, v16, v17, v14
	v_or_b32_e32 v16, 32, v19
	v_xor_b32_e32 v16, v23, v16
	v_or_b32_e32 v24, 0x440, v16
	v_cndmask_b32_e32 v16, v24, v16, vcc
	v_or_b32_e32 v16, v16, v18
	v_xad_u32 v81, v16, v17, v14
	v_or_b32_e32 v16, 64, v19
	v_xor_b32_e32 v16, v23, v16
	v_xor_b32_e32 v24, 0x440, v16
	v_cndmask_b32_e32 v16, v24, v16, vcc
	v_or_b32_e32 v16, v16, v18
	v_xad_u32 v82, v16, v17, v14
	v_or_b32_e32 v16, 0x60, v19
	v_xor_b32_e32 v16, v23, v16
	v_xor_b32_e32 v19, 0x440, v16
	v_and_b32_e32 v13, 0x78, v57
	v_cndmask_b32_e32 v16, v19, v16, vcc
	v_lshl_or_b32 v13, v55, 7, v13
	v_or_b32_e32 v16, v16, v18
	v_or_b32_e32 v74, 0x9000, v13
	;; [unrolled: 1-line block ×3, first 2 shown]
	v_lshl_add_u64 v[12:13], s[16:17], 0, v[10:11]
	v_lshl_add_u64 v[10:11], s[8:9], 0, v[10:11]
	v_lshlrev_b32_e32 v20, 1, v9
	v_add_lshl_u32 v9, v9, s23, 1
	v_or_b32_e32 v21, 0x100, v5
	v_lshlrev_b32_e32 v22, 13, v22
	v_xad_u32 v83, v16, v17, v14
	v_lshlrev_b32_e32 v14, 8, v59
	v_cndmask_b32_e64 v84, v20, v5, s[0:1]
	v_cndmask_b32_e64 v85, v9, v21, s[0:1]
	v_lshl_add_u64 v[50:51], v[12:13], 0, v[14:15]
	v_lshl_add_u64 v[52:53], v[10:11], 0, v[14:15]
	s_mov_b32 s3, 0x7060302
	s_movk_i32 s26, 0x4000
	v_add_u32_e32 v86, v22, v80
	v_add_u32_e32 v87, v22, v81
	;; [unrolled: 1-line block ×4, first 2 shown]
	s_waitcnt lgkmcnt(0)
	s_barrier
.LBB681_32:                             ; =>This Inner Loop Header: Depth=1
	s_add_i32 s39, s41, 1
	s_cmp_lt_i32 s39, s56
	s_mov_b64 s[28:29], 0
	s_cselect_b64 s[46:47], -1, 0
	s_cmp_ge_i32 s39, s56
	s_mov_b64 s[24:25], 0
	s_cbranch_scc1 .LBB681_34
; %bb.33:                               ;   in Loop: Header=BB681_32 Depth=1
	s_add_i32 s0, s65, 64
	s_add_u32 s0, s4, s0
	s_addc_u32 s1, s5, 0
	s_lshl_b64 s[0:1], s[0:1], 8
	s_add_u32 s24, s14, s0
	s_addc_u32 s25, s15, s1
.LBB681_34:                             ;   in Loop: Header=BB681_32 Depth=1
	v_cndmask_b32_e64 v5, 0, 1, s[46:47]
	v_cmp_ne_u32_e64 s[0:1], 1, v5
	s_andn2_b64 vcc, exec, s[46:47]
	s_cbranch_vccnz .LBB681_36
; %bb.35:                               ;   in Loop: Header=BB681_32 Depth=1
	s_add_i32 s28, s65, 64
	s_add_u32 s28, s68, s28
	s_addc_u32 s29, s69, 0
	s_mul_i32 s31, s28, s58
	s_mul_hi_u32 s46, s28, s62
	s_add_i32 s31, s46, s31
	s_mul_i32 s29, s29, s62
	s_add_i32 s31, s31, s29
	s_mul_i32 s28, s28, s62
	s_add_u32 s28, s28, s59
	s_addc_u32 s29, s31, s63
	s_lshl_b64 s[28:29], s[28:29], 8
	s_add_u32 s28, s12, s28
	s_addc_u32 s29, s13, s29
.LBB681_36:                             ;   in Loop: Header=BB681_32 Depth=1
	v_perm_b32 v11, v65, v4, s3
	v_perm_b32 v10, v3, v2, s3
	;; [unrolled: 1-line block ×4, first 2 shown]
	ds_write_b64 v69, v[10:11]
	ds_write_b64 v70, v[12:13]
	;; [unrolled: 1-line block ×4, first 2 shown]
	s_waitcnt lgkmcnt(0)
	s_barrier
	ds_read_b64 v[18:19], v73 offset:16384
	ds_read_b64 v[20:21], v75 offset:16384
	ds_read2st64_b64 v[10:13], v74 offset1:1
	ds_read2st64_b64 v[14:17], v74 offset0:2 offset1:3
	ds_read_b64 v[22:23], v76 offset:16384
	s_waitcnt lgkmcnt(2)
	v_mfma_f32_16x16x16_bf16 a[0:3], v[18:19], v[10:11], 0
	ds_read_b64 v[10:11], v77 offset:16384
	s_add_i32 s31, s65, 63
	s_mul_i32 s46, s31, s37
	v_mfma_f32_16x16x16_bf16 a[0:3], v[20:21], v[12:13], a[0:3]
	s_mul_hi_u32 s47, s31, s36
	s_add_i32 s47, s47, s46
	s_mul_i32 s46, s31, s36
	s_waitcnt lgkmcnt(1)
	v_mfma_f32_16x16x16_bf16 a[0:3], v[22:23], v[14:15], a[0:3]
	s_lshl_b64 s[46:47], s[46:47], 2
	s_add_u32 s46, s44, s46
	s_addc_u32 s47, s45, s47
	s_waitcnt lgkmcnt(0)
	v_mfma_f32_16x16x16_bf16 a[0:3], v[10:11], v[16:17], a[0:3]
	s_and_b64 vcc, exec, s[0:1]
	v_mov_b32_e32 v90, 0
	v_mov_b32_e32 v9, 0
	;; [unrolled: 1-line block ×19, first 2 shown]
	s_cbranch_vccnz .LBB681_38
; %bb.37:                               ;   in Loop: Header=BB681_32 Depth=1
	s_and_b32 s25, s25, 0xffff
	buffer_load_dwordx4 v[22:25], v64, s[24:27], 0 offen
	buffer_load_dwordx4 v[18:21], v64, s[24:27], s64 offen
	;; [unrolled: 1-line block ×4, first 2 shown]
	v_mov_b32_e32 v9, v67
	v_mov_b32_e32 v5, v68
.LBB681_38:                             ;   in Loop: Header=BB681_32 Depth=1
	s_waitcnt vmcnt(3)
	v_add_u32_e32 v32, s65, v59
	s_waitcnt vmcnt(1)
	v_ashrrev_i32_e32 v26, 31, v32
	v_mul_lo_u32 v28, v26, s36
	v_mul_lo_u32 v29, v32, s37
	v_mad_u64_u32 v[26:27], s[24:25], v32, s36, 0
	v_add3_u32 v27, v27, v29, v28
	v_add_u32_e32 v28, 1, v32
	v_ashrrev_i32_e32 v29, 31, v28
	v_mul_lo_u32 v30, v29, s36
	v_mul_lo_u32 v31, v28, s37
	v_mad_u64_u32 v[28:29], s[24:25], v28, s36, 0
	v_add3_u32 v29, v29, v31, v30
	v_add_u32_e32 v30, 2, v32
	v_ashrrev_i32_e32 v31, 31, v30
	v_mul_lo_u32 v33, v31, s36
	v_mul_lo_u32 v34, v30, s37
	v_mad_u64_u32 v[30:31], s[24:25], v30, s36, 0
	s_add_u32 s24, s4, s65
	v_add3_u32 v31, v31, v34, v33
	v_add_u32_e32 v34, 3, v32
	s_addc_u32 s25, s5, 0
	v_ashrrev_i32_e32 v32, 31, v34
	s_lshl_b64 s[70:71], s[24:25], 8
	v_lshl_add_u64 v[26:27], v[26:27], 2, s[44:45]
	v_mul_lo_u32 v35, v32, s36
	v_lshl_add_u64 v[32:33], v[50:51], 0, s[70:71]
	v_mul_lo_u32 v36, v34, s37
	global_load_ushort v96, v[32:33], off
	global_load_ushort v97, v[32:33], off offset:256
	global_load_ushort v98, v[32:33], off offset:512
	;; [unrolled: 1-line block ×3, first 2 shown]
	global_load_dword v100, v[26:27], off
	v_mad_u64_u32 v[26:27], s[24:25], v34, s36, 0
	v_lshl_add_u64 v[28:29], v[28:29], 2, s[44:45]
	v_add3_u32 v27, v27, v36, v35
	v_lshl_add_u64 v[30:31], v[30:31], 2, s[44:45]
	v_lshl_add_u64 v[26:27], v[26:27], 2, s[44:45]
	global_load_dword v101, v[28:29], off
	global_load_dword v102, v[30:31], off
	;; [unrolled: 1-line block ×3, first 2 shown]
	s_load_dword s24, s[46:47], 0x0
	ds_read_b64 v[34:35], v73 offset:24576
	ds_read2st64_b64 v[30:33], v78 offset1:1
	ds_read2st64_b64 v[36:39], v78 offset0:2 offset1:3
	ds_read_b64 v[40:41], v75 offset:24576
	ds_read_b64 v[92:93], v76 offset:24576
	;; [unrolled: 1-line block ×3, first 2 shown]
	s_waitcnt lgkmcnt(0)
	v_mfma_f32_16x16x16_bf16 a[0:3], v[34:35], v[30:31], a[0:3]
	v_mov_b32_e32 v91, 0
	v_mov_b32_e32 v26, 0
	;; [unrolled: 1-line block ×3, first 2 shown]
	v_mfma_f32_16x16x16_bf16 a[0:3], v[40:41], v[32:33], a[0:3]
	v_mov_b32_e32 v28, 0
	v_mov_b32_e32 v29, 0
	;; [unrolled: 1-line block ×3, first 2 shown]
	v_mfma_f32_16x16x16_bf16 a[0:3], v[92:93], v[36:37], a[0:3]
	v_lshl_add_u64 v[36:37], v[52:53], 0, s[70:71]
	v_mov_b32_e32 v31, 0
	v_mov_b32_e32 v32, 0
	v_mfma_f32_16x16x16_bf16 a[0:3], v[94:95], v[38:39], a[0:3]
	v_mov_b32_e32 v33, 0
	v_mov_b32_e32 v34, 0
	;; [unrolled: 1-line block ×3, first 2 shown]
	s_and_b64 vcc, exec, s[0:1]
	s_waitcnt vmcnt(7)
	v_lshlrev_b32_e32 v92, 16, v96
	s_nop 0
	v_accvgpr_read_b32 v41, a1
	v_accvgpr_read_b32 v39, a3
	;; [unrolled: 1-line block ×4, first 2 shown]
	s_waitcnt vmcnt(6)
	v_lshlrev_b32_e32 v93, 16, v97
	s_waitcnt vmcnt(4)
	v_lshlrev_b32_e32 v95, 16, v99
	v_lshlrev_b32_e32 v94, 16, v98
	s_waitcnt vmcnt(3)
	v_sub_f32_e32 v96, s24, v100
	v_pk_add_f32 v[40:41], v[92:93], v[40:41] neg_lo:[0,1] neg_hi:[0,1]
	v_pk_add_f32 v[38:39], v[94:95], v[38:39] neg_lo:[0,1] neg_hi:[0,1]
	s_waitcnt vmcnt(2)
	v_sub_f32_e32 v93, s24, v101
	s_waitcnt vmcnt(1)
	v_sub_f32_e32 v94, s24, v102
	;; [unrolled: 2-line block ×3, first 2 shown]
	v_exp_f32_e32 v92, v96
	v_exp_f32_e32 v93, v93
	;; [unrolled: 1-line block ×4, first 2 shown]
	global_store_short_d16_hi v[36:37], v40, off
	global_store_short_d16_hi v[36:37], v41, off offset:256
	global_store_short_d16_hi v[36:37], v38, off offset:512
	;; [unrolled: 1-line block ×3, first 2 shown]
	v_pk_mul_f32 v[36:37], v[92:93], v[40:41]
	v_pk_mul_f32 v[38:39], v[94:95], v[38:39]
	v_perm_b32 v36, v37, v36, s3
	v_perm_b32 v37, v39, v38, s3
	ds_write_b64 v70, v[36:37]
	v_mov_b32_e32 v36, 0
	v_mov_b32_e32 v37, 0
	;; [unrolled: 1-line block ×6, first 2 shown]
	s_cbranch_vccnz .LBB681_40
; %bb.39:                               ;   in Loop: Header=BB681_32 Depth=1
	s_and_b32 s29, s29, 0xffff
	s_mov_b32 s31, s27
	buffer_load_dwordx4 v[38:41], v84, s[28:31], 0 offen
	buffer_load_dwordx4 v[30:33], v84, s[28:31], s64 offen
	;; [unrolled: 1-line block ×4, first 2 shown]
	v_mov_b32_e32 v90, v63
	v_mov_b32_e32 v91, v61
.LBB681_40:                             ;   in Loop: Header=BB681_32 Depth=1
	s_waitcnt lgkmcnt(0)
	s_barrier
	ds_read_b64 v[100:101], v86
	ds_read2st64_b64 v[92:95], v78 offset1:1
	ds_read2st64_b64 v[96:99], v78 offset0:2 offset1:3
	ds_read_b64 v[102:103], v87
	ds_read_b64 v[104:105], v88
	;; [unrolled: 1-line block ×3, first 2 shown]
	s_waitcnt lgkmcnt(4)
	v_mfma_f32_16x16x16_bf16 a[0:3], v[100:101], v[92:93], 0
	ds_read_b64 v[100:101], v80 offset:8192
	ds_read_b64 v[108:109], v81 offset:8192
	s_add_i32 s25, s60, s41
	s_mul_hi_i32 s29, s25, s21
	s_waitcnt lgkmcnt(1)
	v_mfma_f32_16x16x16_bf16 a[4:7], v[100:101], v[92:93], 0
	s_mul_i32 s25, s25, s21
	s_add_u32 s28, s25, s53
	s_addc_u32 s29, s29, s57
	v_mfma_f32_16x16x16_bf16 a[0:3], v[102:103], v[94:95], a[0:3]
	ds_read_b64 v[100:101], v47
	ds_read_b64 v[102:103], v79
	ds_read_b64 v[92:93], v82 offset:8192
	s_lshl_b64 s[28:29], s[28:29], 15
	v_mfma_f32_16x16x16_bf16 a[0:3], v[104:105], v[96:97], a[0:3]
	ds_read_b64 v[104:105], v83 offset:8192
	s_and_b64 vcc, exec, s[0:1]
	s_waitcnt lgkmcnt(4)
	v_mfma_f32_16x16x16_bf16 a[4:7], v[108:109], v[94:95], a[4:7]
	s_waitcnt lgkmcnt(1)
	v_mfma_f32_16x16x16_bf16 a[4:7], v[92:93], v[96:97], a[4:7]
	v_lshl_add_u64 v[92:93], v[48:49], 0, s[28:29]
	global_store_dwordx4 v[92:93], v[100:103], off
	v_mfma_f32_16x16x16_bf16 a[0:3], v[106:107], v[98:99], a[0:3]
	s_waitcnt lgkmcnt(0)
	v_mfma_f32_16x16x16_bf16 a[4:7], v[104:105], v[98:99], a[4:7]
	s_cbranch_vccnz .LBB681_42
; %bb.41:                               ;   in Loop: Header=BB681_32 Depth=1
	v_lshrrev_b32_e32 v92, 3, v90
	v_and_b32_e32 v92, 6, v92
	v_xor_b32_e32 v91, v92, v91
	v_lshlrev_b32_e32 v91, 2, v91
	v_and_b32_e32 v90, 8, v90
	v_xor_b32_e32 v93, 0x440, v91
	v_cmp_eq_u32_e32 vcc, 0, v90
	s_barrier
	s_nop 0
	v_cndmask_b32_e32 v90, v93, v91, vcc
	v_lshl_or_b32 v90, v92, 10, v90
	s_waitcnt vmcnt(2)
	v_perm_b32 v91, v38, v34, s66
	s_waitcnt vmcnt(1)
	v_perm_b32 v92, v30, v26, s66
	ds_write2st64_b32 v90, v91, v92 offset1:32
	v_xor_b32_e32 v91, 8, v90
	v_perm_b32 v34, v38, v34, s67
	v_perm_b32 v26, v30, v26, s67
	v_add_u32_e32 v30, 0x80, v91
	ds_write2st64_b32 v30, v34, v26 offset1:32
	v_xor_b32_e32 v26, 16, v90
	v_perm_b32 v30, v39, v35, s66
	v_perm_b32 v34, v31, v27, s66
	ds_write2st64_b32 v26, v30, v34 offset0:1 offset1:33
	v_xor_b32_e32 v26, 24, v90
	v_perm_b32 v30, v39, v35, s67
	v_perm_b32 v27, v31, v27, s67
	v_add_u32_e32 v26, 0x80, v26
	ds_write2st64_b32 v26, v30, v27 offset0:1 offset1:33
	v_xor_b32_e32 v26, 32, v90
	v_perm_b32 v27, v40, v36, s66
	v_perm_b32 v30, v32, v28, s66
	ds_write2st64_b32 v26, v27, v30 offset0:2 offset1:34
	v_xor_b32_e32 v26, 40, v90
	v_perm_b32 v27, v40, v36, s67
	v_perm_b32 v28, v32, v28, s67
	v_add_u32_e32 v26, 0x80, v26
	ds_write2st64_b32 v26, v27, v28 offset0:2 offset1:34
	;; [unrolled: 9-line block ×3, first 2 shown]
	ds_write_b64 v9, v[22:23] offset:16384
	v_xor_b32_e32 v22, 8, v9
	ds_write_b64 v22, v[24:25] offset:16384
	ds_write_b64 v9, v[18:19] offset:24576
	;; [unrolled: 1-line block ×4, first 2 shown]
	v_xor_b32_e32 v9, 8, v5
	ds_write_b64 v9, v[16:17] offset:16384
	ds_write_b64 v5, v[10:11] offset:24576
	ds_write_b64 v9, v[12:13] offset:24576
.LBB681_42:                             ;   in Loop: Header=BB681_32 Depth=1
	v_exp_f32_e32 v10, s24
	s_nop 2
	v_accvgpr_read_b32 v9, a1
	v_accvgpr_read_b32 v5, a0
	s_add_i32 s65, s65, 64
	v_fma_f32 v3, v3, v10, v9
	v_accvgpr_read_b32 v9, a4
	v_fma_f32 v6, v6, v10, v9
	v_accvgpr_read_b32 v9, a5
	;; [unrolled: 2-line block ×6, first 2 shown]
	v_fmac_f32_e32 v5, v65, v10
	s_cmp_eq_u32 s56, s39
	v_fmac_f32_e32 v9, v62, v10
	s_cbranch_scc1 .LBB681_4
; %bb.43:                               ;   in Loop: Header=BB681_32 Depth=1
	s_mov_b32 s41, s39
	v_mov_b32_e32 v65, v5
	v_mov_b32_e32 v62, v9
	s_branch .LBB681_32
.LBB681_44:
                                        ; implicit-def: $vgpr13
                                        ; implicit-def: $vgpr17
                                        ; implicit-def: $vgpr21
                                        ; implicit-def: $vgpr25
	s_cbranch_execz .LBB681_46
; %bb.45:
	s_waitcnt vmcnt(0)
	v_mad_u64_u32 v[10:11], s[0:1], v27, s23, v[26:27]
	v_lshlrev_b32_e32 v27, 1, v10
	s_lshl_b32 s2, s23, 7
	s_and_b32 s1, s5, 0xffff
	s_mov_b32 s3, 0x20000
	s_mov_b32 s0, s4
	v_add_lshl_u32 v28, v10, s23, 1
	s_movk_i32 s6, 0x80
	buffer_load_dwordx4 v[10:13], v27, s[0:3], 0 offen
	buffer_load_dwordx4 v[18:21], v27, s[0:3], s6 offen
	;; [unrolled: 1-line block ×4, first 2 shown]
.LBB681_46:
	v_lshrrev_b32_e32 v45, 2, v45
	s_cbranch_execnz .LBB681_59
.LBB681_47:
	s_and_b64 vcc, exec, s[14:15]
	s_cbranch_vccz .LBB681_57
; %bb.48:
	s_waitcnt vmcnt(0)
	v_lshlrev_b32_e32 v15, 1, v47
	v_cmp_gt_i32_e32 vcc, s31, v15
	v_mov_b32_e32 v14, 0
	v_lshlrev_b32_e32 v22, 9, v47
	v_mov_b32_e32 v10, 0
	v_mov_b32_e32 v11, 0
	;; [unrolled: 1-line block ×4, first 2 shown]
	s_and_saveexec_b64 s[0:1], vcc
	s_cbranch_execz .LBB681_50
; %bb.49:
	v_mov_b32_e32 v23, 0
	v_lshl_add_u64 v[10:11], s[4:5], 0, v[22:23]
	v_lshlrev_b32_e32 v12, 1, v26
	v_mov_b32_e32 v13, v23
	v_lshl_add_u64 v[10:11], v[10:11], 0, v[12:13]
	global_load_dwordx4 v[10:13], v[10:11], off
.LBB681_50:
	s_or_b64 exec, exec, s[0:1]
	v_or_b32_e32 v15, 1, v15
	v_cmp_gt_i32_e64 s[0:1], s31, v15
	v_lshlrev_b32_e32 v28, 8, v15
	v_mov_b32_e32 v15, 0
	v_mov_b32_e32 v16, 0
	;; [unrolled: 1-line block ×3, first 2 shown]
	s_and_saveexec_b64 s[2:3], s[0:1]
	s_cbranch_execz .LBB681_52
; %bb.51:
	v_mov_b32_e32 v29, 0
	v_lshl_add_u64 v[14:15], s[4:5], 0, v[28:29]
	v_lshlrev_b32_e32 v16, 1, v26
	v_mov_b32_e32 v17, v29
	v_lshl_add_u64 v[14:15], v[14:15], 0, v[16:17]
	global_load_dwordx4 v[14:17], v[14:15], off
.LBB681_52:
	s_or_b64 exec, exec, s[2:3]
	v_mov_b32_e32 v25, 0
	v_mov_b32_e32 v18, 0
	;; [unrolled: 1-line block ×5, first 2 shown]
	s_and_saveexec_b64 s[2:3], vcc
	s_cbranch_execz .LBB681_54
; %bb.53:
	v_mov_b32_e32 v23, 0
	v_lshl_add_u64 v[18:19], s[4:5], 0, v[22:23]
	v_lshlrev_b32_e32 v22, 1, v26
	v_lshl_add_u64 v[18:19], v[18:19], 0, v[22:23]
	global_load_dwordx4 v[18:21], v[18:19], off offset:128
.LBB681_54:
	s_or_b64 exec, exec, s[2:3]
	v_mov_b32_e32 v24, 0
	v_mov_b32_e32 v23, 0
	;; [unrolled: 1-line block ×3, first 2 shown]
	s_and_saveexec_b64 s[2:3], s[0:1]
	s_cbranch_execz .LBB681_56
; %bb.55:
	v_mov_b32_e32 v29, 0
	v_lshl_add_u64 v[22:23], s[4:5], 0, v[28:29]
	v_lshlrev_b32_e32 v28, 1, v26
	v_lshl_add_u64 v[22:23], v[22:23], 0, v[28:29]
	global_load_dwordx4 v[22:25], v[22:23], off offset:128
.LBB681_56:
	s_or_b64 exec, exec, s[2:3]
	s_branch .LBB681_59
.LBB681_57:
                                        ; implicit-def: $vgpr13
                                        ; implicit-def: $vgpr17
                                        ; implicit-def: $vgpr21
                                        ; implicit-def: $vgpr25
	s_cbranch_execz .LBB681_59
; %bb.58:
	s_waitcnt vmcnt(0)
	v_lshlrev_b32_e32 v10, 1, v26
	v_lshl_or_b32 v26, v47, 9, v10
	s_and_b32 s5, s5, 0xffff
	s_mov_b32 s7, 0x20000
	s_movk_i32 s6, 0x4000
	s_movk_i32 s0, 0x80
	buffer_load_dwordx4 v[10:13], v26, s[4:7], 0 offen
	buffer_load_dwordx4 v[14:17], v26, s[4:7], 0 offen offset:256
	buffer_load_dwordx4 v[18:21], v26, s[4:7], s0 offen
	buffer_load_dwordx4 v[22:25], v26, s[4:7], s0 offen offset:256
.LBB681_59:
	ds_read2st64_b64 v[30:33], v50 offset0:76 offset1:77
	ds_read2st64_b64 v[26:29], v50 offset0:78 offset1:79
	ds_read_b64 v[40:41], v34 offset:24576
	ds_read_b64 v[38:39], v35 offset:24576
	;; [unrolled: 1-line block ×4, first 2 shown]
	v_and_b32_e32 v51, 6, v0
	v_xor_b32_e32 v47, v47, v51
	v_lshlrev_b32_e32 v47, 2, v47
	v_and_b32_e32 v52, 1, v0
	v_xor_b32_e32 v53, 0x440, v47
	v_cmp_eq_u32_e32 vcc, 0, v52
	s_mov_b32 s0, 0x1000504
	s_waitcnt vmcnt(0)
	v_perm_b32 v52, v18, v22, s0
	v_cndmask_b32_e32 v47, v53, v47, vcc
	v_lshl_or_b32 v47, v51, 10, v47
	v_perm_b32 v51, v10, v14, s0
	ds_write2st64_b32 v47, v51, v52 offset1:32
	v_xor_b32_e32 v51, 8, v47
	s_mov_b32 s1, 0x3020706
	v_perm_b32 v10, v10, v14, s1
	v_perm_b32 v14, v18, v22, s1
	v_add_u32_e32 v18, 0x80, v51
	ds_write2st64_b32 v18, v10, v14 offset1:32
	v_xor_b32_e32 v10, 16, v47
	v_perm_b32 v14, v11, v15, s0
	v_perm_b32 v18, v19, v23, s0
	ds_write2st64_b32 v10, v14, v18 offset0:1 offset1:33
	v_xor_b32_e32 v10, 24, v47
	v_perm_b32 v11, v11, v15, s1
	v_perm_b32 v14, v19, v23, s1
	v_add_u32_e32 v10, 0x80, v10
	ds_write2st64_b32 v10, v11, v14 offset0:1 offset1:33
	v_xor_b32_e32 v10, 32, v47
	v_perm_b32 v11, v12, v16, s0
	v_perm_b32 v14, v20, v24, s0
	ds_write2st64_b32 v10, v11, v14 offset0:2 offset1:34
	v_xor_b32_e32 v10, 40, v47
	v_perm_b32 v11, v12, v16, s1
	v_perm_b32 v12, v20, v24, s1
	v_add_u32_e32 v10, 0x80, v10
	ds_write2st64_b32 v10, v11, v12 offset0:2 offset1:34
	v_xor_b32_e32 v10, 48, v47
	v_perm_b32 v11, v13, v17, s0
	v_perm_b32 v12, v21, v25, s0
	ds_write2st64_b32 v10, v11, v12 offset0:3 offset1:35
	v_xor_b32_e32 v10, 56, v47
	v_and_or_b32 v18, v45, 12, v54
	v_perm_b32 v11, v13, v17, s1
	v_perm_b32 v12, v21, v25, s1
	v_add_u32_e32 v10, 0x80, v10
	v_cmp_gt_i32_e64 s[2:3], s31, v18
	v_mov_b32_e32 v20, 0
	v_mov_b32_e32 v25, 0
	ds_write2st64_b32 v10, v11, v12 offset0:3 offset1:35
	s_and_saveexec_b64 s[0:1], s[2:3]
	s_cbranch_execz .LBB681_61
; %bb.60:
	v_add_u32_e32 v10, s30, v18
	v_ashrrev_i32_e32 v11, 31, v10
	v_mul_lo_u32 v12, v11, s36
	v_mul_lo_u32 v13, v10, s37
	v_mad_u64_u32 v[10:11], s[4:5], v10, s36, 0
	v_add3_u32 v11, v11, v13, v12
	v_lshl_add_u64 v[10:11], v[10:11], 2, s[12:13]
	global_load_dword v10, v[10:11], off
	s_waitcnt vmcnt(0)
	v_sub_f32_e32 v10, s18, v10
	v_exp_f32_e32 v25, v10
.LBB681_61:
	s_or_b64 exec, exec, s[0:1]
	v_or_b32_e32 v23, 1, v18
	v_cmp_gt_i32_e64 s[4:5], s31, v23
	s_and_saveexec_b64 s[0:1], s[4:5]
	s_cbranch_execz .LBB681_63
; %bb.62:
	v_add_u32_e32 v10, s30, v23
	v_ashrrev_i32_e32 v11, 31, v10
	v_mul_lo_u32 v12, v11, s36
	v_mul_lo_u32 v13, v10, s37
	v_mad_u64_u32 v[10:11], s[6:7], v10, s36, 0
	v_add3_u32 v11, v11, v13, v12
	v_lshl_add_u64 v[10:11], v[10:11], 2, s[12:13]
	global_load_dword v10, v[10:11], off
	s_waitcnt vmcnt(0)
	v_sub_f32_e32 v10, s18, v10
	v_exp_f32_e32 v20, v10
.LBB681_63:
	s_or_b64 exec, exec, s[0:1]
	v_or_b32_e32 v22, 2, v18
	v_cmp_gt_i32_e64 s[0:1], s31, v22
	v_mov_b32_e32 v19, 0
	v_mov_b32_e32 v24, 0
	s_and_saveexec_b64 s[6:7], s[0:1]
	s_cbranch_execz .LBB681_65
; %bb.64:
	v_add_u32_e32 v10, s30, v22
	v_ashrrev_i32_e32 v11, 31, v10
	v_mul_lo_u32 v12, v11, s36
	v_mul_lo_u32 v13, v10, s37
	v_mad_u64_u32 v[10:11], s[14:15], v10, s36, 0
	v_add3_u32 v11, v11, v13, v12
	v_lshl_add_u64 v[10:11], v[10:11], 2, s[12:13]
	global_load_dword v10, v[10:11], off
	s_waitcnt vmcnt(0)
	v_sub_f32_e32 v10, s18, v10
	v_exp_f32_e32 v24, v10
.LBB681_65:
	s_or_b64 exec, exec, s[6:7]
	v_or_b32_e32 v21, 3, v18
	v_cmp_gt_i32_e32 vcc, s31, v21
	s_and_saveexec_b64 s[6:7], vcc
	s_cbranch_execz .LBB681_67
; %bb.66:
	v_add_u32_e32 v10, s30, v21
	v_ashrrev_i32_e32 v11, 31, v10
	v_mul_lo_u32 v12, v11, s36
	v_mul_lo_u32 v13, v10, s37
	v_mad_u64_u32 v[10:11], s[14:15], v10, s36, 0
	v_add3_u32 v11, v11, v13, v12
	v_lshl_add_u64 v[10:11], v[10:11], 2, s[12:13]
	global_load_dword v10, v[10:11], off
	s_waitcnt vmcnt(0)
	v_sub_f32_e32 v10, s18, v10
	v_exp_f32_e32 v19, v10
.LBB681_67:
	s_or_b64 exec, exec, s[6:7]
	s_waitcnt lgkmcnt(11)
	v_mfma_f32_16x16x16_bf16 a[0:3], v[40:41], v[30:31], a[0:3]
	s_add_u32 s6, s16, s24
	v_ashrrev_i32_e32 v47, 31, v46
	s_addc_u32 s7, s17, s25
	s_waitcnt lgkmcnt(10)
	v_mfma_f32_16x16x16_bf16 a[0:3], v[38:39], v[32:33], a[0:3]
	v_lshlrev_b64 v[10:11], 1, v[46:47]
	v_lshl_add_u64 v[14:15], s[6:7], 0, v[10:11]
	s_add_u32 s6, s8, s24
	s_waitcnt lgkmcnt(9)
	v_mfma_f32_16x16x16_bf16 a[0:3], v[36:37], v[26:27], a[0:3]
	s_addc_u32 s7, s9, s25
	v_lshl_add_u64 v[16:17], s[6:7], 0, v[10:11]
	v_mov_b32_e32 v26, 0
	s_waitcnt lgkmcnt(8)
	v_mfma_f32_16x16x16_bf16 a[0:3], v[34:35], v[28:29], a[0:3]
	v_mov_b32_e32 v27, 0
	s_nop 5
	v_accvgpr_read_b32 v13, a3
	v_accvgpr_read_b32 v12, a2
	;; [unrolled: 1-line block ×4, first 2 shown]
	s_and_saveexec_b64 s[6:7], s[2:3]
	s_cbranch_execz .LBB681_69
; %bb.68:
	v_lshlrev_b32_e32 v28, 8, v18
	v_mov_b32_e32 v29, 0
	v_lshl_add_u64 v[30:31], v[14:15], 0, v[28:29]
	global_load_ushort v27, v[30:31], off
	v_lshl_add_u64 v[28:29], v[16:17], 0, v[28:29]
	s_waitcnt vmcnt(0)
	v_lshlrev_b32_e32 v27, 16, v27
	v_sub_f32_e32 v10, v27, v10
	global_store_short_d16_hi v[28:29], v10, off
	v_mul_f32_e32 v10, v25, v10
	v_lshrrev_b32_e32 v27, 16, v10
.LBB681_69:
	s_or_b64 exec, exec, s[6:7]
	s_and_saveexec_b64 s[2:3], s[4:5]
	s_cbranch_execz .LBB681_71
; %bb.70:
	v_lshlrev_b32_e32 v28, 8, v23
	v_mov_b32_e32 v29, 0
	v_lshl_add_u64 v[30:31], v[14:15], 0, v[28:29]
	global_load_ushort v10, v[30:31], off
	v_lshl_add_u64 v[28:29], v[16:17], 0, v[28:29]
	s_waitcnt vmcnt(0)
	v_lshlrev_b32_e32 v10, 16, v10
	v_sub_f32_e32 v10, v10, v11
	global_store_short_d16_hi v[28:29], v10, off
	v_mul_f32_e32 v10, v20, v10
	v_lshrrev_b32_e32 v26, 16, v10
.LBB681_71:
	s_or_b64 exec, exec, s[2:3]
	v_mov_b32_e32 v11, 0
	v_mov_b32_e32 v20, 0
	s_and_saveexec_b64 s[2:3], s[0:1]
	s_cbranch_execz .LBB681_73
; %bb.72:
	v_lshlrev_b32_e32 v22, 8, v22
	v_mov_b32_e32 v23, 0
	v_lshl_add_u64 v[28:29], v[14:15], 0, v[22:23]
	global_load_ushort v10, v[28:29], off
	v_lshl_add_u64 v[22:23], v[16:17], 0, v[22:23]
	s_waitcnt vmcnt(0)
	v_lshlrev_b32_e32 v10, 16, v10
	v_sub_f32_e32 v10, v10, v12
	global_store_short_d16_hi v[22:23], v10, off
	v_mul_f32_e32 v10, v24, v10
	v_lshrrev_b32_e32 v20, 16, v10
.LBB681_73:
	s_or_b64 exec, exec, s[2:3]
	v_or_b32_e32 v10, 0x9800, v50
	s_and_saveexec_b64 s[0:1], vcc
	s_cbranch_execz .LBB681_75
; %bb.74:
	v_lshlrev_b32_e32 v22, 8, v21
	v_mov_b32_e32 v23, 0
	v_lshl_add_u64 v[14:15], v[14:15], 0, v[22:23]
	global_load_ushort v11, v[14:15], off
	v_lshl_add_u64 v[14:15], v[16:17], 0, v[22:23]
	s_waitcnt vmcnt(0)
	v_lshlrev_b32_e32 v11, 16, v11
	v_sub_f32_e32 v11, v11, v13
	global_store_short_d16_hi v[14:15], v11, off
	v_mul_f32_e32 v11, v19, v11
	v_lshrrev_b32_e32 v11, 16, v11
.LBB681_75:
	s_or_b64 exec, exec, s[0:1]
	s_mov_b32 s0, 0x5040100
	v_perm_b32 v13, v11, v20, s0
	v_lshlrev_b32_e32 v11, 1, v48
	v_perm_b32 v12, v26, v27, s0
	v_lshl_or_b32 v11, v18, 5, v11
	s_movk_i32 s0, 0xff
	ds_write_b64 v11, v[12:13] offset:38912
	v_and_b32_e32 v11, 7, v0
	v_and_b32_e32 v12, 8, v0
	v_cmp_lt_u32_e32 vcc, s0, v0
	v_lshrrev_b32_e32 v0, 1, v0
	v_lshlrev_b32_e32 v22, 3, v1
	v_and_b32_e32 v23, 24, v0
	v_xor_b32_e32 v0, v22, v23
	v_cndmask_b32_e64 v13, 0, 1, vcc
	v_or_b32_e32 v1, 0x440, v0
	v_cmp_eq_u32_e32 vcc, 0, v12
	v_lshlrev_b32_e32 v20, 3, v11
	v_lshlrev_b32_e32 v11, 7, v11
	v_cndmask_b32_e32 v0, v1, v0, vcc
	v_or_b32_e32 v0, v0, v49
	v_lshlrev_b32_e32 v21, 13, v13
	v_xad_u32 v24, v0, v20, v11
	v_add_u32_e32 v0, v21, v24
	s_waitcnt lgkmcnt(0)
	s_barrier
	ds_read_b64 v[0:1], v0
	ds_read2st64_b64 v[12:15], v10 offset1:1
	ds_read2st64_b64 v[16:19], v10 offset0:2 offset1:3
	s_waitcnt lgkmcnt(1)
	v_mfma_f32_16x16x16_bf16 a[0:3], v[0:1], v[12:13], 0
	v_or_b32_e32 v0, 32, v23
	v_xor_b32_e32 v0, v22, v0
	v_or_b32_e32 v1, 0x440, v0
	v_cndmask_b32_e32 v0, v1, v0, vcc
	v_or_b32_e32 v0, v0, v49
	v_xad_u32 v25, v0, v20, v11
	v_add_u32_e32 v0, v21, v25
	ds_read_b64 v[0:1], v0
	v_or_b32_e32 v10, 0x60, v23
	s_waitcnt lgkmcnt(0)
	v_mfma_f32_16x16x16_bf16 a[0:3], v[0:1], v[14:15], a[0:3]
	v_or_b32_e32 v0, 64, v23
	v_xor_b32_e32 v0, v22, v0
	v_xor_b32_e32 v1, 0x440, v0
	v_cndmask_b32_e32 v0, v1, v0, vcc
	v_or_b32_e32 v0, v0, v49
	v_xad_u32 v26, v0, v20, v11
	v_xor_b32_e32 v10, v22, v10
	v_add_u32_e32 v0, v21, v26
	v_xor_b32_e32 v22, 0x440, v10
	ds_read_b64 v[0:1], v0
	v_cndmask_b32_e32 v10, v22, v10, vcc
	v_or_b32_e32 v10, v10, v49
	v_xad_u32 v22, v10, v20, v11
	v_add_u32_e32 v10, v21, v22
	ds_read_b64 v[10:11], v10
	s_waitcnt lgkmcnt(1)
	v_mfma_f32_16x16x16_bf16 a[0:3], v[0:1], v[16:17], a[0:3]
	ds_read_b64 v[0:1], v24 offset:8192
	ds_read_b64 v[20:21], v26 offset:8192
	v_exp_f32_e32 v23, s18
	s_waitcnt lgkmcnt(2)
	v_mfma_f32_16x16x16_bf16 a[0:3], v[10:11], v[18:19], a[0:3]
	ds_read_b64 v[10:11], v25 offset:8192
	s_waitcnt lgkmcnt(2)
	v_mfma_f32_16x16x16_bf16 a[4:7], v[0:1], v[12:13], 0
	ds_read_b64 v[12:13], v22 offset:8192
	s_nop 2
	v_accvgpr_read_b32 v0, a0
	v_accvgpr_read_b32 v1, a1
	s_waitcnt lgkmcnt(1)
	v_mfma_f32_16x16x16_bf16 a[4:7], v[10:11], v[14:15], a[4:7]
	v_fma_f32 v0, v2, v23, v0
	v_fma_f32 v1, v3, v23, v1
	v_accvgpr_read_b32 v2, a2
	v_mfma_f32_16x16x16_bf16 a[4:7], v[20:21], v[16:17], a[4:7]
	v_accvgpr_read_b32 v3, a3
	v_fma_f32 v2, v4, v23, v2
	v_fmac_f32_e32 v3, v5, v23
	s_waitcnt lgkmcnt(0)
	v_mfma_f32_16x16x16_bf16 a[0:3], v[12:13], v[18:19], a[4:7]
	s_nop 6
	v_accvgpr_read_b32 v4, a0
	v_accvgpr_read_b32 v5, a1
	v_fma_f32 v4, v6, v23, v4
	v_fma_f32 v5, v7, v23, v5
	v_accvgpr_read_b32 v6, a2
	v_accvgpr_read_b32 v7, a3
	v_fma_f32 v6, v8, v23, v6
	v_fmac_f32_e32 v7, v9, v23
	v_mov_b64_e32 v[8:9], v[6:7]
	v_mov_b64_e32 v[6:7], v[4:5]
	;; [unrolled: 1-line block ×4, first 2 shown]
.LBB681_76:
	s_add_u32 s0, s10, s34
	s_addc_u32 s1, s11, s35
	v_lshl_add_u64 v[0:1], v[42:43], 2, s[0:1]
	v_mov_b32_e32 v45, 0
	v_lshl_add_u64 v[0:1], v[0:1], 0, v[44:45]
	global_store_dwordx4 v[0:1], v[2:5], off
	global_store_dwordx4 v[0:1], v[6:9], off offset:256
	s_endpgm
	.section	.rodata,"a",@progbits
	.p2align	6, 0x0
	.amdhsa_kernel _ZN12_GLOBAL__N_139chunk_gated_delta_rule_fwd_h_hip_kernelILi16ELb1ELb1ELb1ELb0ELb1ELb0ELb1ELb0EEEvPK12hip_bfloat16S3_S3_PKfS5_PKvPS1_S8_PvPKiSB_iiiiilll
		.amdhsa_group_segment_fixed_size 40960
		.amdhsa_private_segment_fixed_size 0
		.amdhsa_kernarg_size 136
		.amdhsa_user_sgpr_count 2
		.amdhsa_user_sgpr_dispatch_ptr 0
		.amdhsa_user_sgpr_queue_ptr 0
		.amdhsa_user_sgpr_kernarg_segment_ptr 1
		.amdhsa_user_sgpr_dispatch_id 0
		.amdhsa_user_sgpr_kernarg_preload_length 0
		.amdhsa_user_sgpr_kernarg_preload_offset 0
		.amdhsa_user_sgpr_private_segment_size 0
		.amdhsa_uses_dynamic_stack 0
		.amdhsa_enable_private_segment 0
		.amdhsa_system_sgpr_workgroup_id_x 1
		.amdhsa_system_sgpr_workgroup_id_y 1
		.amdhsa_system_sgpr_workgroup_id_z 0
		.amdhsa_system_sgpr_workgroup_info 0
		.amdhsa_system_vgpr_workitem_id 0
		.amdhsa_next_free_vgpr 120
		.amdhsa_next_free_sgpr 72
		.amdhsa_accum_offset 112
		.amdhsa_reserve_vcc 1
		.amdhsa_float_round_mode_32 0
		.amdhsa_float_round_mode_16_64 0
		.amdhsa_float_denorm_mode_32 3
		.amdhsa_float_denorm_mode_16_64 3
		.amdhsa_dx10_clamp 1
		.amdhsa_ieee_mode 1
		.amdhsa_fp16_overflow 0
		.amdhsa_tg_split 0
		.amdhsa_exception_fp_ieee_invalid_op 0
		.amdhsa_exception_fp_denorm_src 0
		.amdhsa_exception_fp_ieee_div_zero 0
		.amdhsa_exception_fp_ieee_overflow 0
		.amdhsa_exception_fp_ieee_underflow 0
		.amdhsa_exception_fp_ieee_inexact 0
		.amdhsa_exception_int_div_zero 0
	.end_amdhsa_kernel
	.section	.text._ZN12_GLOBAL__N_139chunk_gated_delta_rule_fwd_h_hip_kernelILi16ELb1ELb1ELb1ELb0ELb1ELb0ELb1ELb0EEEvPK12hip_bfloat16S3_S3_PKfS5_PKvPS1_S8_PvPKiSB_iiiiilll,"axG",@progbits,_ZN12_GLOBAL__N_139chunk_gated_delta_rule_fwd_h_hip_kernelILi16ELb1ELb1ELb1ELb0ELb1ELb0ELb1ELb0EEEvPK12hip_bfloat16S3_S3_PKfS5_PKvPS1_S8_PvPKiSB_iiiiilll,comdat
.Lfunc_end681:
	.size	_ZN12_GLOBAL__N_139chunk_gated_delta_rule_fwd_h_hip_kernelILi16ELb1ELb1ELb1ELb0ELb1ELb0ELb1ELb0EEEvPK12hip_bfloat16S3_S3_PKfS5_PKvPS1_S8_PvPKiSB_iiiiilll, .Lfunc_end681-_ZN12_GLOBAL__N_139chunk_gated_delta_rule_fwd_h_hip_kernelILi16ELb1ELb1ELb1ELb0ELb1ELb0ELb1ELb0EEEvPK12hip_bfloat16S3_S3_PKfS5_PKvPS1_S8_PvPKiSB_iiiiilll
                                        ; -- End function
	.section	.AMDGPU.csdata,"",@progbits
; Kernel info:
; codeLenInByte = 7848
; NumSgprs: 78
; NumVgprs: 110
; NumAgprs: 8
; TotalNumVgprs: 120
; ScratchSize: 0
; MemoryBound: 0
; FloatMode: 240
; IeeeMode: 1
; LDSByteSize: 40960 bytes/workgroup (compile time only)
; SGPRBlocks: 9
; VGPRBlocks: 14
; NumSGPRsForWavesPerEU: 78
; NumVGPRsForWavesPerEU: 120
; AccumOffset: 112
; Occupancy: 1
; WaveLimiterHint : 1
; COMPUTE_PGM_RSRC2:SCRATCH_EN: 0
; COMPUTE_PGM_RSRC2:USER_SGPR: 2
; COMPUTE_PGM_RSRC2:TRAP_HANDLER: 0
; COMPUTE_PGM_RSRC2:TGID_X_EN: 1
; COMPUTE_PGM_RSRC2:TGID_Y_EN: 1
; COMPUTE_PGM_RSRC2:TGID_Z_EN: 0
; COMPUTE_PGM_RSRC2:TIDIG_COMP_CNT: 0
; COMPUTE_PGM_RSRC3_GFX90A:ACCUM_OFFSET: 27
; COMPUTE_PGM_RSRC3_GFX90A:TG_SPLIT: 0
	.section	.text._ZN12_GLOBAL__N_139chunk_gated_delta_rule_fwd_h_hip_kernelILi16ELb1ELb1ELb0ELb0ELb1ELb0ELb1ELb0EEEvPK12hip_bfloat16S3_S3_PKfS5_PKvPS1_S8_PvPKiSB_iiiiilll,"axG",@progbits,_ZN12_GLOBAL__N_139chunk_gated_delta_rule_fwd_h_hip_kernelILi16ELb1ELb1ELb0ELb0ELb1ELb0ELb1ELb0EEEvPK12hip_bfloat16S3_S3_PKfS5_PKvPS1_S8_PvPKiSB_iiiiilll,comdat
	.globl	_ZN12_GLOBAL__N_139chunk_gated_delta_rule_fwd_h_hip_kernelILi16ELb1ELb1ELb0ELb0ELb1ELb0ELb1ELb0EEEvPK12hip_bfloat16S3_S3_PKfS5_PKvPS1_S8_PvPKiSB_iiiiilll ; -- Begin function _ZN12_GLOBAL__N_139chunk_gated_delta_rule_fwd_h_hip_kernelILi16ELb1ELb1ELb0ELb0ELb1ELb0ELb1ELb0EEEvPK12hip_bfloat16S3_S3_PKfS5_PKvPS1_S8_PvPKiSB_iiiiilll
	.p2align	8
	.type	_ZN12_GLOBAL__N_139chunk_gated_delta_rule_fwd_h_hip_kernelILi16ELb1ELb1ELb0ELb0ELb1ELb0ELb1ELb0EEEvPK12hip_bfloat16S3_S3_PKfS5_PKvPS1_S8_PvPKiSB_iiiiilll,@function
_ZN12_GLOBAL__N_139chunk_gated_delta_rule_fwd_h_hip_kernelILi16ELb1ELb1ELb0ELb0ELb1ELb0ELb1ELb0EEEvPK12hip_bfloat16S3_S3_PKfS5_PKvPS1_S8_PvPKiSB_iiiiilll: ; @_ZN12_GLOBAL__N_139chunk_gated_delta_rule_fwd_h_hip_kernelILi16ELb1ELb1ELb0ELb0ELb1ELb0ELb1ELb0EEEvPK12hip_bfloat16S3_S3_PKfS5_PKvPS1_S8_PvPKiSB_iiiiilll
; %bb.0:
	s_load_dwordx4 s[12:15], s[0:1], 0x5c
	s_load_dwordx4 s[20:23], s[0:1], 0x70
	s_abs_i32 s6, s3
	s_ashr_i32 s5, s3, 31
	s_load_dwordx4 s[16:19], s[0:1], 0x28
	s_waitcnt lgkmcnt(0)
	s_abs_i32 s4, s13
	v_cvt_f32_u32_e32 v1, s4
	s_sub_i32 s8, 0, s4
	s_ashr_i32 s7, s13, 31
	s_xor_b32 s5, s5, s7
	v_rcp_iflag_f32_e32 v1, v1
	v_and_b32_e32 v54, 15, v0
	v_bfe_u32 v53, v0, 4, 2
	v_mov_b32_e32 v45, 0
	v_mul_f32_e32 v1, 0x4f7ffffe, v1
	v_cvt_u32_f32_e32 v1, v1
	v_lshlrev_b32_e32 v55, 3, v0
	v_readfirstlane_b32 s9, v1
	s_mul_i32 s8, s8, s9
	s_mul_hi_u32 s8, s9, s8
	s_add_i32 s9, s9, s8
	s_mul_hi_u32 s8, s6, s9
	s_mul_i32 s9, s8, s4
	s_sub_i32 s6, s6, s9
	s_add_i32 s10, s8, 1
	s_sub_i32 s9, s6, s4
	s_cmp_ge_u32 s6, s4
	s_cselect_b32 s8, s10, s8
	s_cselect_b32 s6, s9, s6
	s_add_i32 s9, s8, 1
	s_cmp_ge_u32 s6, s4
	s_cselect_b32 s6, s9, s8
	s_xor_b32 s6, s6, s5
	s_add_i32 s8, s12, 63
	s_sub_i32 s53, s6, s5
	s_ashr_i32 s9, s8, 31
	s_mul_i32 s5, s53, s13
	s_sub_i32 s51, s3, s5
	s_lshr_b32 s3, s9, 26
	s_add_i32 s8, s8, s3
	s_abs_i32 s3, s14
	v_cvt_f32_u32_e32 v1, s3
	s_ashr_i32 s52, s12, 31
	s_lshr_b32 s6, s52, 26
	s_add_i32 s6, s12, s6
	v_rcp_iflag_f32_e32 v1, v1
	s_ashr_i32 s56, s14, 31
	s_ashr_i32 s24, s8, 6
	;; [unrolled: 1-line block ×3, first 2 shown]
	v_mul_f32_e32 v1, 0x4f7ffffe, v1
	v_cvt_u32_f32_e32 v1, v1
	s_xor_b32 s6, s7, s56
	s_sub_i32 s7, 0, s3
	s_lshl_b32 s2, s2, 4
	v_readfirstlane_b32 s8, v1
	s_mul_i32 s7, s7, s8
	s_mul_hi_u32 s7, s8, s7
	s_add_i32 s8, s8, s7
	s_mul_hi_u32 s7, s4, s8
	s_mul_i32 s8, s7, s3
	s_sub_i32 s4, s4, s8
	s_add_i32 s8, s7, 1
	s_sub_i32 s9, s4, s3
	s_cmp_ge_u32 s4, s3
	s_cselect_b32 s7, s8, s7
	s_cselect_b32 s4, s9, s4
	s_add_i32 s8, s7, 1
	s_cmp_ge_u32 s4, s3
	s_cselect_b32 s3, s8, s7
	s_xor_b32 s3, s3, s6
	s_sub_i32 s3, s3, s6
	s_abs_i32 s4, s3
	v_cvt_f32_u32_e32 v1, s4
	s_sub_i32 s7, 0, s4
	s_abs_i32 s6, s51
	s_xor_b32 s3, s51, s3
	v_rcp_iflag_f32_e32 v2, v1
	s_ashr_i32 s3, s3, 31
	v_lshrrev_b32_e32 v1, 6, v0
	v_or_b32_e32 v46, s2, v54
	v_mul_f32_e32 v2, 0x4f7ffffe, v2
	v_cvt_u32_f32_e32 v2, v2
	v_lshlrev_b32_e32 v52, 4, v1
	v_lshlrev_b32_e32 v42, 7, v46
	v_lshl_or_b32 v57, v53, 2, v52
	v_readfirstlane_b32 s8, v2
	s_mul_i32 s7, s7, s8
	s_mul_hi_u32 s7, s8, s7
	s_add_i32 s8, s8, s7
	s_mul_hi_u32 s7, s6, s8
	s_mul_i32 s8, s7, s4
	s_sub_i32 s6, s6, s8
	s_add_i32 s8, s7, 1
	s_sub_i32 s9, s6, s4
	s_cmp_ge_u32 s6, s4
	s_cselect_b32 s7, s8, s7
	s_cselect_b32 s6, s9, s6
	s_add_i32 s8, s7, 1
	s_cmp_ge_u32 s6, s4
	s_cselect_b32 s4, s8, s7
	s_xor_b32 s4, s4, s3
	s_sub_i32 s57, s4, s3
	s_ashr_i32 s3, s53, 31
	s_ashr_i32 s55, s51, 31
	s_mul_hi_i32 s4, s53, s13
	s_add_u32 s40, s5, s51
	s_addc_u32 s41, s4, s55
	s_lshl_b64 s[28:29], s[40:41], 16
	s_add_u32 s4, s16, s28
	s_addc_u32 s5, s17, s29
	v_ashrrev_i32_e32 v43, 31, v42
	v_lshl_add_u64 v[2:3], v[42:43], 2, s[4:5]
	v_lshlrev_b32_e32 v44, 2, v57
	v_lshl_add_u64 v[10:11], v[2:3], 0, v[44:45]
	global_load_dwordx4 v[2:5], v[10:11], off
	global_load_dwordx4 v[6:9], v[10:11], off offset:256
	s_load_dwordx2 s[30:31], s[0:1], 0x40
	s_load_dwordx8 s[4:11], s[0:1], 0x0
	s_load_dwordx2 s[34:35], s[0:1], 0x80
	v_and_b32_e32 v45, 63, v0
	v_lshrrev_b32_e32 v56, 3, v45
	v_or_b32_e32 v58, 64, v57
	s_mul_i32 s33, s53, s21
	s_mul_hi_u32 s46, s53, s20
	s_mul_i32 s38, s53, s20
	s_mul_i32 s58, s53, s24
	;; [unrolled: 1-line block ×3, first 2 shown]
	s_mul_hi_u32 s48, s51, s22
	s_mul_i32 s50, s3, s20
	s_mul_i32 s49, s55, s22
	s_mul_hi_u32 s59, s40, s12
	s_mul_i32 s16, s40, s12
	s_mul_i32 s41, s41, s12
	s_cmp_lt_i32 s12, 64
	s_mul_i32 s36, s51, s22
	s_waitcnt vmcnt(1)
	v_mov_b32_e32 v63, v5
	s_waitcnt vmcnt(0)
	v_mov_b32_e32 v60, v9
	s_cbranch_scc1 .LBB682_3
; %bb.1:
	s_add_i32 s17, s59, s41
	s_lshl_b64 s[0:1], s[16:17], 8
	v_and_b32_e32 v61, 56, v55
	s_waitcnt lgkmcnt(0)
	s_add_u32 s20, s6, s0
	v_lshl_or_b32 v59, v1, 3, v56
	v_lshlrev_b32_e32 v5, 1, v61
	s_addc_u32 s0, s7, s1
	v_lshl_or_b32 v62, v59, 8, v5
	s_and_b32 s21, s0, 0xffff
	s_mov_b32 s23, 0x20000
	s_movk_i32 s22, 0x4000
	s_movk_i32 s0, 0x80
	v_or_b32_e32 v64, 0x2000, v62
	buffer_load_dwordx4 v[10:13], v62, s[20:23], 0 offen
	buffer_load_dwordx4 v[14:17], v62, s[20:23], s0 offen
	;; [unrolled: 1-line block ×4, first 2 shown]
	v_lshlrev_b32_e32 v9, 3, v59
	v_and_or_b32 v27, v0, 7, v9
	v_and_b32_e32 v9, 0x78, v9
	v_lshlrev_b32_e32 v27, 4, v27
	v_xor_b32_e32 v65, v27, v9
	v_mul_lo_u32 v26, v59, s15
	v_or_b32_e32 v66, 0x1000, v65
	v_xor_b32_e32 v9, 8, v65
	s_cmpk_eq_i32 s15, 0x80
	s_mov_b32 s60, s14
	v_xor_b32_e32 v27, 8, v66
	s_cselect_b64 s[0:1], -1, 0
	s_cmpk_lg_i32 s15, 0x80
	s_waitcnt vmcnt(3)
	ds_write_b64 v65, v[10:11] offset:16384
	ds_write_b64 v9, v[12:13] offset:16384
	s_waitcnt vmcnt(2)
	ds_write_b64 v65, v[14:15] offset:24576
	ds_write_b64 v9, v[16:17] offset:24576
	;; [unrolled: 3-line block ×4, first 2 shown]
	v_lshl_add_u32 v9, v26, 1, v61
	s_cbranch_scc0 .LBB682_29
; %bb.2:
	v_lshlrev_b32_e32 v11, 1, v9
	v_add_lshl_u32 v10, v9, s15, 1
	s_lshl_b32 s22, s15, 7
	v_lshl_or_b32 v5, v59, 9, v5
	s_cbranch_execz .LBB682_30
	s_branch .LBB682_31
.LBB682_3:
	v_mov_b32_e32 v9, v60
	v_mov_b32_e32 v5, v63
.LBB682_4:
	s_lshl_b32 s26, s54, 6
	s_sub_i32 s27, s12, s26
	s_cmp_gt_i32 s27, 0
	s_cbranch_scc0 .LBB682_76
; %bb.5:
	s_ashr_i32 s3, s26, 31
	s_cmpk_lg_i32 s15, 0x80
	s_cselect_b64 s[22:23], -1, 0
	s_and_b64 vcc, exec, s[22:23]
	s_cbranch_vccz .LBB682_7
; %bb.6:
	s_mul_i32 s1, s53, s12
	s_mul_hi_i32 s0, s53, s12
	s_add_u32 s1, s1, s26
	s_addc_u32 s0, s0, s3
	s_mul_i32 s17, s1, s56
	s_mul_hi_u32 s20, s1, s14
	s_add_i32 s17, s20, s17
	s_mul_i32 s0, s0, s14
	s_add_i32 s17, s17, s0
	s_mul_i32 s1, s1, s14
	s_ashr_i32 s0, s57, 31
	s_add_u32 s24, s1, s57
	s_addc_u32 s25, s17, s0
	s_cbranch_execz .LBB682_8
	s_branch .LBB682_9
.LBB682_7:
                                        ; implicit-def: $sgpr24_sgpr25
.LBB682_8:
	s_mul_hi_i32 s0, s53, s14
	s_mul_i32 s53, s53, s14
	s_ashr_i32 s1, s57, 31
	s_add_u32 s14, s53, s57
	s_addc_u32 s0, s0, s1
	s_mul_i32 s1, s14, s52
	s_mul_hi_u32 s17, s14, s12
	s_add_i32 s1, s17, s1
	s_mul_i32 s0, s0, s12
	s_add_i32 s1, s1, s0
	s_mul_i32 s14, s14, s12
	s_add_u32 s24, s14, s26
	s_addc_u32 s25, s1, s3
.LBB682_9:
	s_mul_i32 s0, s40, s52
	s_add_i32 s0, s59, s0
	s_add_i32 s14, s58, s54
	;; [unrolled: 1-line block ×3, first 2 shown]
	s_add_u32 s0, s16, s26
	s_addc_u32 s1, s1, s3
	s_mov_b32 s3, 0x7060302
	v_lshlrev_b32_e32 v14, 3, v54
	s_lshl_b64 s[20:21], s[0:1], 8
	v_perm_b32 v11, v5, v4, s3
	v_perm_b32 v10, v3, v2, s3
	;; [unrolled: 1-line block ×4, first 2 shown]
	v_lshlrev_b32_e32 v48, 2, v54
	v_lshl_or_b32 v14, v57, 5, v14
	s_waitcnt lgkmcnt(0)
	s_add_u32 s0, s6, s20
	ds_write2st64_b64 v14, v[10:11], v[12:13] offset0:72 offset1:76
	v_xor_b32_e32 v14, v57, v48
	v_lshlrev_b32_e32 v15, 8, v54
	s_addc_u32 s1, s7, s21
	v_lshl_or_b32 v14, v14, 1, v15
	s_mul_hi_i32 s3, s14, s13
	s_mul_i32 s14, s14, s13
	ds_write_b64 v14, v[10:11] offset:32768
	v_xor_b32_e32 v10, v58, v48
	s_add_u32 s6, s14, s51
	v_lshl_or_b32 v10, v10, 1, v15
	s_addc_u32 s7, s3, s55
	v_lshlrev_b32_e32 v11, 1, v54
	ds_write_b64 v10, v[12:13] offset:32768
	v_lshrrev_b32_e32 v10, 4, v0
	s_ashr_i32 s3, s2, 31
	s_lshl_b64 s[6:7], s[6:7], 15
	v_or_b32_e32 v12, 1, v11
	s_add_u32 s6, s18, s6
	v_xor_b32_e32 v11, v10, v11
	v_xor_b32_e32 v12, v12, v10
	v_lshlrev_b32_e32 v14, 8, v10
	s_addc_u32 s7, s19, s7
	s_lshl_b64 s[2:3], s[2:3], 8
	v_lshl_or_b32 v10, v11, 3, v14
	v_lshl_or_b32 v12, v12, 3, v14
	s_waitcnt lgkmcnt(0)
	s_barrier
	s_add_u32 s2, s6, s2
	ds_read_b64 v[10:11], v10 offset:32768
	ds_read_b64 v[12:13], v12 offset:32768
	s_addc_u32 s3, s7, s3
	v_mov_b32_e32 v15, 0
	s_cmp_lg_u32 s27, 64
	v_lshl_add_u64 v[16:17], s[2:3], 0, v[14:15]
	v_lshlrev_b32_e32 v14, 4, v54
	s_cselect_b64 s[6:7], -1, 0
	v_lshl_or_b32 v47, v1, 3, v56
	s_mov_b32 s16, 0
	v_lshl_add_u64 v[14:15], v[16:17], 0, v[14:15]
	s_waitcnt vmcnt(1)
	v_or_b32_e32 v27, 32, v47
	v_and_b32_e32 v26, 56, v55
	s_and_b64 vcc, exec, s[6:7]
	s_waitcnt lgkmcnt(0)
	global_store_dwordx4 v[14:15], v[10:13], off
	s_cbranch_vccz .LBB682_15
; %bb.10:
	s_mov_b32 s17, s16
	s_mov_b32 s18, s16
	;; [unrolled: 1-line block ×3, first 2 shown]
	v_mov_b64_e32 v[14:15], s[16:17]
	v_mov_b64_e32 v[16:17], s[18:19]
	;; [unrolled: 1-line block ×3, first 2 shown]
	v_cmp_gt_i32_e32 vcc, s27, v47
	v_mov_b64_e32 v[12:13], v[16:17]
	s_and_saveexec_b64 s[2:3], vcc
	s_cbranch_execz .LBB682_12
; %bb.11:
	v_lshlrev_b32_e32 v10, 8, v47
	v_mov_b32_e32 v11, 0
	v_lshl_add_u64 v[12:13], s[0:1], 0, v[10:11]
	v_lshlrev_b32_e32 v10, 1, v26
	v_lshl_add_u64 v[18:19], v[12:13], 0, v[10:11]
	global_load_dwordx4 v[14:17], v[18:19], off
	global_load_dwordx4 v[10:13], v[18:19], off offset:128
.LBB682_12:
	s_or_b64 exec, exec, s[2:3]
	s_mov_b32 s18, s16
	s_mov_b32 s19, s16
	;; [unrolled: 1-line block ×3, first 2 shown]
	v_mov_b64_e32 v[24:25], s[18:19]
	v_mov_b64_e32 v[22:23], s[16:17]
	;; [unrolled: 1-line block ×3, first 2 shown]
	v_cmp_gt_i32_e32 vcc, s27, v27
	v_lshlrev_b32_e32 v28, 7, v27
	v_mov_b64_e32 v[20:21], v[24:25]
	s_and_saveexec_b64 s[2:3], vcc
	s_cbranch_execz .LBB682_14
; %bb.13:
	v_lshlrev_b32_e32 v18, 1, v28
	v_mov_b32_e32 v19, 0
	v_lshl_add_u64 v[20:21], s[0:1], 0, v[18:19]
	v_lshlrev_b32_e32 v18, 1, v26
	v_lshl_add_u64 v[30:31], v[20:21], 0, v[18:19]
	global_load_dwordx4 v[22:25], v[30:31], off
	global_load_dwordx4 v[18:21], v[30:31], off offset:128
.LBB682_14:
	s_or_b64 exec, exec, s[2:3]
	v_lshrrev_b32_e32 v29, 3, v26
	v_lshlrev_b32_e32 v30, 3, v47
	v_or_b32_e32 v29, v30, v29
	v_lshlrev_b32_e32 v29, 4, v29
	v_and_b32_e32 v30, 0x78, v30
	v_xor_b32_e32 v29, v29, v30
	s_branch .LBB682_17
.LBB682_15:
                                        ; implicit-def: $vgpr29
                                        ; implicit-def: $vgpr28
                                        ; implicit-def: $vgpr14_vgpr15_vgpr16_vgpr17
                                        ; implicit-def: $vgpr10_vgpr11_vgpr12_vgpr13
                                        ; implicit-def: $vgpr22_vgpr23_vgpr24_vgpr25
                                        ; implicit-def: $vgpr18_vgpr19_vgpr20_vgpr21
	s_cbranch_execz .LBB682_17
; %bb.16:
	s_waitcnt vmcnt(0)
	v_lshlrev_b32_e32 v10, 1, v26
	v_lshl_or_b32 v28, v47, 8, v10
	s_and_b32 s1, s1, 0xffff
	s_mov_b32 s3, 0x20000
	s_movk_i32 s2, 0x4000
	v_lshl_or_b32 v29, v27, 8, v10
	s_movk_i32 s13, 0x80
	buffer_load_dwordx4 v[14:17], v28, s[0:3], 0 offen
	buffer_load_dwordx4 v[10:13], v28, s[0:3], s13 offen
	;; [unrolled: 1-line block ×4, first 2 shown]
	v_lshrrev_b32_e32 v28, 3, v26
	v_lshlrev_b32_e32 v29, 3, v47
	v_or_b32_e32 v28, v29, v28
	v_lshlrev_b32_e32 v28, 4, v28
	v_and_b32_e32 v29, 0x78, v29
	v_xor_b32_e32 v29, v28, v29
	v_lshlrev_b32_e32 v28, 7, v27
.LBB682_17:
	s_lshl_b64 s[0:1], s[24:25], 8
	s_add_u32 s4, s4, s0
	s_movk_i32 s0, 0x1000
	v_and_or_b32 v27, v28, s0, v29
	s_waitcnt vmcnt(1)
	ds_write_b64 v29, v[14:15] offset:16384
	v_xor_b32_e32 v14, 8, v29
	ds_write_b64 v14, v[16:17] offset:16384
	s_waitcnt vmcnt(0)
	ds_write_b64 v29, v[10:11] offset:24576
	ds_write_b64 v14, v[12:13] offset:24576
	;; [unrolled: 1-line block ×3, first 2 shown]
	v_xor_b32_e32 v10, 8, v27
	ds_write_b64 v10, v[24:25] offset:16384
	ds_write_b64 v27, v[18:19] offset:24576
	;; [unrolled: 1-line block ×3, first 2 shown]
	v_or_b32_e32 v10, v52, v54
	s_addc_u32 s5, s5, s1
	s_add_i32 s0, s12, -1
	v_lshlrev_b32_e32 v10, 3, v10
	v_lshrrev_b32_e32 v12, 5, v45
	s_movk_i32 s12, 0xf8
	v_and_or_b32 v12, v10, s12, v12
	v_lshlrev_b32_e32 v49, 11, v1
	v_lshlrev_b32_e32 v20, 4, v12
	v_and_b32_e32 v21, 0x78, v10
	v_and_b32_e32 v22, 0x1000, v49
	v_lshlrev_b32_e32 v11, 2, v0
	v_xor_b32_e32 v10, v20, v21
	v_lshrrev_b32_e32 v12, 1, v45
	v_and_b32_e32 v11, 60, v11
	v_or_b32_e32 v10, v10, v22
	v_and_b32_e32 v23, 8, v12
	v_xor_b32_e32 v34, v10, v23
	v_lshl_or_b32 v10, v53, 6, v11
	v_lshlrev_b32_e32 v50, 1, v10
	v_or_b32_e32 v10, 32, v20
	v_xor_b32_e32 v10, v10, v21
	s_waitcnt lgkmcnt(0)
	s_barrier
	ds_read_b64 v[18:19], v34 offset:16384
	v_or_b32_e32 v10, v10, v22
	v_xor_b32_e32 v35, v10, v23
	v_or_b32_e32 v10, 64, v20
	v_xor_b32_e32 v10, v10, v21
	v_or_b32_e32 v10, v10, v22
	v_or_b32_e32 v20, 0x60, v20
	v_xor_b32_e32 v36, v10, v23
	ds_read2st64_b64 v[10:13], v50 offset0:72 offset1:73
	ds_read2st64_b64 v[14:17], v50 offset0:74 offset1:75
	v_xor_b32_e32 v24, v20, v21
	ds_read_b64 v[20:21], v35 offset:16384
	s_add_i32 s1, s46, s33
	s_waitcnt lgkmcnt(2)
	v_mfma_f32_16x16x16_bf16 a[0:3], v[18:19], v[10:11], 0
	s_add_i32 s39, s1, s50
	s_add_i32 s1, s48, s47
	;; [unrolled: 1-line block ×3, first 2 shown]
	s_ashr_i32 s1, s0, 31
	s_mul_i32 s2, s0, s35
	s_mul_hi_u32 s3, s0, s34
	s_add_i32 s2, s3, s2
	s_mul_i32 s1, s1, s34
	v_or_b32_e32 v22, v24, v22
	s_add_i32 s1, s2, s1
	s_lshl_b64 s[2:3], s[38:39], 2
	v_xor_b32_e32 v51, v22, v23
	ds_read_b64 v[22:23], v36 offset:16384
	ds_read_b64 v[24:25], v51 offset:16384
	s_waitcnt lgkmcnt(2)
	v_mfma_f32_16x16x16_bf16 a[0:3], v[20:21], v[12:13], a[0:3]
	s_add_u32 s10, s10, s2
	s_addc_u32 s11, s11, s3
	s_lshl_b64 s[2:3], s[36:37], 2
	s_mul_i32 s0, s0, s34
	s_add_u32 s10, s10, s2
	s_addc_u32 s11, s11, s3
	s_lshl_b64 s[0:1], s[0:1], 2
	s_waitcnt lgkmcnt(1)
	v_mfma_f32_16x16x16_bf16 a[0:3], v[22:23], v[14:15], a[0:3]
	s_add_u32 s0, s10, s0
	s_addc_u32 s1, s11, s1
	s_load_dword s12, s[0:1], 0x0
	s_waitcnt lgkmcnt(0)
	v_mfma_f32_16x16x16_bf16 a[0:3], v[24:25], v[16:17], a[0:3]
	s_and_b64 vcc, exec, s[22:23]
	s_cbranch_vccz .LBB682_28
; %bb.18:
	v_lshlrev_b32_e32 v27, 1, v47
	s_and_b64 vcc, exec, s[6:7]
	s_cbranch_vccz .LBB682_44
; %bb.19:
	v_cmp_gt_i32_e32 vcc, s27, v27
	v_mov_b32_e32 v14, 0
	v_mov_b32_e32 v10, 0
	;; [unrolled: 1-line block ×5, first 2 shown]
	s_and_saveexec_b64 s[0:1], vcc
	s_cbranch_execz .LBB682_21
; %bb.20:
	v_mad_i64_i32 v[10:11], s[2:3], s15, v27, 0
	v_lshl_add_u64 v[10:11], v[10:11], 1, s[4:5]
	v_lshlrev_b32_e32 v12, 1, v26
	v_mov_b32_e32 v13, 0
	v_lshl_add_u64 v[10:11], v[10:11], 0, v[12:13]
	global_load_dwordx4 v[10:13], v[10:11], off
.LBB682_21:
	s_or_b64 exec, exec, s[0:1]
	v_or_b32_e32 v28, 1, v27
	v_cmp_gt_i32_e64 s[0:1], s27, v28
	v_mov_b32_e32 v15, 0
	v_mov_b32_e32 v16, 0
	;; [unrolled: 1-line block ×3, first 2 shown]
	s_and_saveexec_b64 s[2:3], s[0:1]
	s_cbranch_execz .LBB682_23
; %bb.22:
	v_mad_i64_i32 v[14:15], s[16:17], s15, v28, 0
	v_lshl_add_u64 v[14:15], v[14:15], 1, s[4:5]
	v_lshlrev_b32_e32 v16, 1, v26
	v_mov_b32_e32 v17, 0
	v_lshl_add_u64 v[14:15], v[14:15], 0, v[16:17]
	global_load_dwordx4 v[14:17], v[14:15], off
.LBB682_23:
	s_or_b64 exec, exec, s[2:3]
	v_mov_b32_e32 v25, 0
	v_mov_b32_e32 v18, 0
	;; [unrolled: 1-line block ×5, first 2 shown]
	s_and_saveexec_b64 s[2:3], vcc
	s_cbranch_execz .LBB682_25
; %bb.24:
	v_mad_i64_i32 v[18:19], s[16:17], s15, v27, 0
	v_lshl_add_u64 v[18:19], v[18:19], 1, s[4:5]
	v_lshlrev_b32_e32 v20, 1, v26
	v_mov_b32_e32 v21, 0
	v_lshl_add_u64 v[18:19], v[18:19], 0, v[20:21]
	global_load_dwordx4 v[18:21], v[18:19], off offset:128
.LBB682_25:
	s_or_b64 exec, exec, s[2:3]
	v_mov_b32_e32 v24, 0
	v_mov_b32_e32 v23, 0
	;; [unrolled: 1-line block ×3, first 2 shown]
	s_and_saveexec_b64 s[2:3], s[0:1]
	s_cbranch_execz .LBB682_27
; %bb.26:
	v_mad_i64_i32 v[22:23], s[0:1], s15, v28, 0
	v_lshl_add_u64 v[22:23], v[22:23], 1, s[4:5]
	v_lshlrev_b32_e32 v24, 1, v26
	v_mov_b32_e32 v25, 0
	v_lshl_add_u64 v[22:23], v[22:23], 0, v[24:25]
	global_load_dwordx4 v[22:25], v[22:23], off offset:128
.LBB682_27:
	s_or_b64 exec, exec, s[2:3]
	s_branch .LBB682_46
.LBB682_28:
                                        ; implicit-def: $vgpr13
                                        ; implicit-def: $vgpr17
                                        ; implicit-def: $vgpr21
                                        ; implicit-def: $vgpr25
	v_lshrrev_b32_e32 v45, 2, v45
	s_branch .LBB682_47
.LBB682_29:
                                        ; implicit-def: $vgpr10
                                        ; implicit-def: $vgpr11
                                        ; implicit-def: $sgpr22
	v_lshl_or_b32 v5, v59, 9, v5
.LBB682_30:
	v_or_b32_e32 v10, 0x100, v5
	s_movk_i32 s22, 0x4000
	v_mov_b32_e32 v11, v5
.LBB682_31:
	s_mul_hi_u32 s20, s14, s12
	s_mul_i32 s21, s56, s12
	s_add_i32 s20, s20, s21
	s_mul_i32 s21, s14, s12
	s_mul_i32 s23, s21, s3
	s_mul_hi_u32 s24, s21, s53
	s_add_i32 s23, s24, s23
	s_mul_i32 s20, s20, s53
	s_add_i32 s23, s23, s20
	s_mul_i32 s21, s21, s53
	s_ashr_i32 s61, s57, 31
	s_add_u32 s20, s21, s57
	s_addc_u32 s21, s23, s61
	s_lshl_b64 s[20:21], s[20:21], 8
	s_add_u32 s20, s4, s20
	s_addc_u32 s21, s5, s21
	s_and_b32 s21, s21, 0xffff
	s_mov_b32 s23, 0x20000
	s_movk_i32 s62, 0x80
	buffer_load_dwordx4 v[12:15], v11, s[20:23], 0 offen
	buffer_load_dwordx4 v[16:19], v11, s[20:23], s62 offen
	;; [unrolled: 1-line block ×4, first 2 shown]
	v_and_b32_e32 v10, 6, v0
	v_lshlrev_b32_e32 v28, 2, v54
	v_lshlrev_b32_e32 v29, 3, v54
	v_xor_b32_e32 v31, v59, v10
	v_and_b32_e32 v11, 1, v0
	s_mul_i32 s3, s3, s12
	s_mul_hi_u32 s20, s53, s12
	v_lshl_or_b32 v29, v57, 5, v29
	v_xor_b32_e32 v32, v57, v28
	v_lshlrev_b32_e32 v31, 2, v31
	v_or_b32_e32 v67, 0x9000, v29
	v_or_b32_e32 v68, 0x9800, v29
	v_lshlrev_b32_e32 v29, 1, v32
	v_xor_b32_e32 v32, 0x440, v31
	v_cmp_eq_u32_e32 vcc, 0, v11
	s_add_i32 s67, s20, s3
	s_add_i32 s3, s46, s33
	v_cndmask_b32_e32 v11, v32, v31, vcc
	s_add_i32 s20, s48, s47
	s_add_i32 s39, s3, s50
	s_mov_b32 s64, 0x1000504
	v_lshlrev_b32_e32 v30, 8, v54
	s_mov_b32 s22, 0x8000
	v_xor_b32_e32 v28, v58, v28
	v_lshl_or_b32 v10, v10, 10, v11
	s_add_i32 s37, s20, s49
	s_lshl_b64 s[20:21], s[38:39], 2
	s_mov_b32 s65, 0x3020706
	v_lshlrev_b32_e32 v28, 1, v28
	v_or3_b32 v69, v29, v30, s22
	v_xor_b32_e32 v11, 8, v10
	v_xor_b32_e32 v29, 24, v10
	;; [unrolled: 1-line block ×4, first 2 shown]
	s_add_u32 s3, s10, s20
	v_or3_b32 v70, v28, v30, s22
	v_xor_b32_e32 v28, 16, v10
	v_xor_b32_e32 v30, 32, v10
	;; [unrolled: 1-line block ×3, first 2 shown]
	v_add_u32_e32 v11, 0x80, v11
	v_add_u32_e32 v29, 0x80, v29
	;; [unrolled: 1-line block ×4, first 2 shown]
	s_addc_u32 s24, s11, s21
	s_lshl_b64 s[20:21], s[36:37], 2
	s_add_u32 s42, s3, s20
	s_movk_i32 s3, 0xf8
	s_addc_u32 s43, s24, s21
	v_ashrrev_i32_e32 v47, 31, v46
	s_lshl_b32 s26, s15, 7
	s_mov_b32 s63, 0
	s_mul_i32 s66, s53, s12
	s_mov_b32 s39, 0
	s_waitcnt vmcnt(1)
	v_perm_b32 v34, v12, v20, s64
	s_waitcnt vmcnt(0)
	v_perm_b32 v35, v16, v24, s64
	v_perm_b32 v12, v12, v20, s65
	;; [unrolled: 1-line block ×15, first 2 shown]
	ds_write2st64_b32 v10, v34, v35 offset1:32
	ds_write2st64_b32 v11, v12, v16 offset1:32
	ds_write2st64_b32 v28, v20, v24 offset0:1 offset1:33
	ds_write2st64_b32 v29, v13, v17 offset0:1 offset1:33
	ds_write2st64_b32 v30, v21, v25 offset0:2 offset1:34
	ds_write2st64_b32 v31, v14, v18 offset0:2 offset1:34
	ds_write2st64_b32 v32, v22, v26 offset0:3 offset1:35
	ds_write2st64_b32 v33, v15, v19 offset0:3 offset1:35
	v_or_b32_e32 v10, v52, v54
	v_lshlrev_b32_e32 v10, 3, v10
	v_lshrrev_b32_e32 v12, 5, v45
	v_and_or_b32 v12, v10, s3, v12
	v_lshlrev_b32_e32 v12, 4, v12
	v_lshlrev_b32_e32 v16, 11, v1
	v_and_b32_e32 v10, 0x78, v10
	v_or_b32_e32 v15, 32, v12
	v_and_b32_e32 v11, 0x1000, v16
	v_xor_b32_e32 v13, v12, v10
	v_lshrrev_b32_e32 v17, 1, v0
	v_xor_b32_e32 v15, v15, v10
	v_or_b32_e32 v13, v13, v11
	v_and_b32_e32 v14, 8, v17
	v_or_b32_e32 v15, v15, v11
	v_xor_b32_e32 v71, v13, v14
	v_and_b32_e32 v13, 0x78, v55
	v_xor_b32_e32 v73, v15, v14
	v_or_b32_e32 v15, 64, v12
	v_or_b32_e32 v12, 0x60, v12
	v_lshl_or_b32 v13, v53, 7, v13
	v_xor_b32_e32 v15, v15, v10
	v_xor_b32_e32 v10, v12, v10
	v_or_b32_e32 v72, 0x9000, v13
	v_or_b32_e32 v15, v15, v11
	;; [unrolled: 1-line block ×4, first 2 shown]
	v_lshrrev_b32_e32 v12, 4, v0
	v_lshlrev_b32_e32 v13, 1, v54
	v_xor_b32_e32 v74, v15, v14
	v_xor_b32_e32 v75, v10, v14
	s_ashr_i32 s3, s2, 31
	v_or_b32_e32 v14, 1, v13
	v_xor_b32_e32 v13, v12, v13
	s_lshl_b64 s[20:21], s[2:3], 8
	v_xor_b32_e32 v14, v14, v12
	v_lshlrev_b32_e32 v13, 3, v13
	v_lshlrev_b32_e32 v12, 8, v12
	v_lshl_add_u64 v[10:11], v[46:47], 1, s[8:9]
	s_add_u32 s20, s18, s20
	v_or3_b32 v47, v13, v12, s22
	v_lshlrev_b32_e32 v13, 3, v14
	s_addc_u32 s21, s19, s21
	v_or3_b32 v77, v13, v12, s22
	v_mov_b32_e32 v13, 0
	v_lshl_add_u64 v[14:15], s[20:21], 0, v[12:13]
	v_lshlrev_b32_e32 v12, 4, v54
	s_movk_i32 s3, 0xff
	v_lshlrev_b32_e32 v21, 3, v1
	v_and_b32_e32 v17, 24, v17
	v_lshl_add_u64 v[48:49], v[14:15], 0, v[12:13]
	v_and_b32_e32 v14, 8, v0
	v_cmp_lt_u32_e32 vcc, s3, v0
	v_xor_b32_e32 v22, v21, v17
	v_or_b32_e32 v23, 0x440, v22
	v_cndmask_b32_e64 v20, 0, 1, vcc
	v_cmp_eq_u32_e32 vcc, 0, v14
	v_and_b32_e32 v12, 7, v0
	v_lshlrev_b32_e32 v15, 3, v12
	v_cndmask_b32_e32 v14, v23, v22, vcc
	v_lshlrev_b32_e32 v12, 7, v12
	v_or_b32_e32 v14, v14, v16
	v_xad_u32 v78, v14, v15, v12
	v_or_b32_e32 v14, 32, v17
	v_xor_b32_e32 v14, v21, v14
	v_or_b32_e32 v22, 0x440, v14
	v_cndmask_b32_e32 v14, v22, v14, vcc
	v_or_b32_e32 v14, v14, v16
	v_xad_u32 v79, v14, v15, v12
	v_or_b32_e32 v14, 64, v17
	v_xor_b32_e32 v14, v21, v14
	v_xor_b32_e32 v22, 0x440, v14
	v_cndmask_b32_e32 v14, v22, v14, vcc
	v_or_b32_e32 v14, v14, v16
	v_xad_u32 v80, v14, v15, v12
	v_or_b32_e32 v14, 0x60, v17
	v_xor_b32_e32 v14, v21, v14
	v_xor_b32_e32 v17, 0x440, v14
	v_cndmask_b32_e32 v14, v17, v14, vcc
	v_or_b32_e32 v14, v14, v16
	v_lshlrev_b32_e32 v18, 1, v9
	v_add_lshl_u32 v9, v9, s15, 1
	v_or_b32_e32 v19, 0x100, v5
	v_lshlrev_b32_e32 v20, 13, v20
	v_xad_u32 v81, v14, v15, v12
	v_lshlrev_b32_e32 v12, 8, v57
	v_cndmask_b32_e64 v82, v18, v5, s[0:1]
	v_cndmask_b32_e64 v83, v9, v19, s[0:1]
	v_lshl_add_u64 v[50:51], v[10:11], 0, v[12:13]
	s_mov_b32 s3, 0x7060302
	s_movk_i32 s22, 0x4000
	v_add_u32_e32 v84, v20, v78
	v_add_u32_e32 v85, v20, v79
	;; [unrolled: 1-line block ×4, first 2 shown]
	s_waitcnt lgkmcnt(0)
	s_barrier
.LBB682_32:                             ; =>This Inner Loop Header: Depth=1
	s_add_i32 s37, s39, 1
	s_cmp_lt_i32 s37, s54
	s_mov_b64 s[24:25], 0
	s_cselect_b64 s[44:45], -1, 0
	s_cmp_ge_i32 s37, s54
	s_mov_b64 s[20:21], 0
	s_cbranch_scc1 .LBB682_34
; %bb.33:                               ;   in Loop: Header=BB682_32 Depth=1
	s_add_i32 s0, s63, 64
	s_add_u32 s0, s16, s0
	s_addc_u32 s1, s17, 0
	s_lshl_b64 s[0:1], s[0:1], 8
	s_add_u32 s20, s6, s0
	s_addc_u32 s21, s7, s1
.LBB682_34:                             ;   in Loop: Header=BB682_32 Depth=1
	v_cndmask_b32_e64 v5, 0, 1, s[44:45]
	v_cmp_ne_u32_e64 s[0:1], 1, v5
	s_andn2_b64 vcc, exec, s[44:45]
	s_cbranch_vccnz .LBB682_36
; %bb.35:                               ;   in Loop: Header=BB682_32 Depth=1
	s_add_i32 s24, s63, 64
	s_add_u32 s24, s66, s24
	s_addc_u32 s25, s67, 0
	s_mul_i32 s27, s24, s56
	s_mul_hi_u32 s44, s24, s60
	s_add_i32 s27, s44, s27
	s_mul_i32 s25, s25, s60
	s_add_i32 s27, s27, s25
	s_mul_i32 s24, s24, s60
	s_add_u32 s24, s24, s57
	s_addc_u32 s25, s27, s61
	s_lshl_b64 s[24:25], s[24:25], 8
	s_add_u32 s24, s4, s24
	s_addc_u32 s25, s5, s25
.LBB682_36:                             ;   in Loop: Header=BB682_32 Depth=1
	v_perm_b32 v11, v63, v4, s3
	v_perm_b32 v10, v3, v2, s3
	;; [unrolled: 1-line block ×4, first 2 shown]
	ds_write_b64 v67, v[10:11]
	ds_write_b64 v68, v[12:13]
	;; [unrolled: 1-line block ×4, first 2 shown]
	s_waitcnt lgkmcnt(0)
	s_barrier
	ds_read_b64 v[18:19], v71 offset:16384
	ds_read_b64 v[20:21], v73 offset:16384
	ds_read2st64_b64 v[10:13], v72 offset1:1
	ds_read2st64_b64 v[14:17], v72 offset0:2 offset1:3
	ds_read_b64 v[22:23], v74 offset:16384
	s_waitcnt lgkmcnt(2)
	v_mfma_f32_16x16x16_bf16 a[0:3], v[18:19], v[10:11], 0
	ds_read_b64 v[10:11], v75 offset:16384
	s_add_i32 s27, s63, 63
	s_mul_i32 s44, s27, s35
	v_mfma_f32_16x16x16_bf16 a[0:3], v[20:21], v[12:13], a[0:3]
	s_mul_hi_u32 s45, s27, s34
	s_add_i32 s45, s45, s44
	s_mul_i32 s44, s27, s34
	s_waitcnt lgkmcnt(1)
	v_mfma_f32_16x16x16_bf16 a[0:3], v[22:23], v[14:15], a[0:3]
	s_lshl_b64 s[44:45], s[44:45], 2
	s_add_u32 s44, s42, s44
	s_addc_u32 s45, s43, s45
	s_waitcnt lgkmcnt(0)
	v_mfma_f32_16x16x16_bf16 a[0:3], v[10:11], v[16:17], a[0:3]
	s_and_b64 vcc, exec, s[0:1]
	v_mov_b32_e32 v88, 0
	v_mov_b32_e32 v9, 0
	;; [unrolled: 1-line block ×19, first 2 shown]
	s_cbranch_vccnz .LBB682_38
; %bb.37:                               ;   in Loop: Header=BB682_32 Depth=1
	s_and_b32 s21, s21, 0xffff
	buffer_load_dwordx4 v[22:25], v62, s[20:23], 0 offen
	buffer_load_dwordx4 v[18:21], v62, s[20:23], s62 offen
	;; [unrolled: 1-line block ×4, first 2 shown]
	v_mov_b32_e32 v9, v65
	v_mov_b32_e32 v5, v66
.LBB682_38:                             ;   in Loop: Header=BB682_32 Depth=1
	s_waitcnt vmcnt(3)
	v_add_u32_e32 v32, s63, v57
	s_waitcnt vmcnt(1)
	v_ashrrev_i32_e32 v26, 31, v32
	v_mul_lo_u32 v28, v26, s34
	v_mul_lo_u32 v29, v32, s35
	v_mad_u64_u32 v[26:27], s[20:21], v32, s34, 0
	v_add3_u32 v27, v27, v29, v28
	v_add_u32_e32 v28, 1, v32
	v_ashrrev_i32_e32 v29, 31, v28
	v_mul_lo_u32 v30, v29, s34
	v_mul_lo_u32 v31, v28, s35
	v_mad_u64_u32 v[28:29], s[20:21], v28, s34, 0
	v_add3_u32 v29, v29, v31, v30
	v_add_u32_e32 v30, 2, v32
	v_ashrrev_i32_e32 v31, 31, v30
	v_mul_lo_u32 v33, v31, s34
	v_mul_lo_u32 v34, v30, s35
	v_mad_u64_u32 v[30:31], s[20:21], v30, s34, 0
	v_add_u32_e32 v32, 3, v32
	v_add3_u32 v31, v31, v34, v33
	v_ashrrev_i32_e32 v33, 31, v32
	v_mul_lo_u32 v36, v33, s34
	v_mul_lo_u32 v37, v32, s35
	v_mad_u64_u32 v[32:33], s[20:21], v32, s34, 0
	s_add_u32 s20, s16, s63
	s_addc_u32 s21, s17, 0
	s_lshl_b64 s[20:21], s[20:21], 8
	v_lshl_add_u64 v[26:27], v[26:27], 2, s[42:43]
	v_lshl_add_u64 v[34:35], v[50:51], 0, s[20:21]
	;; [unrolled: 1-line block ×3, first 2 shown]
	global_load_ushort v98, v[34:35], off
	global_load_ushort v99, v[34:35], off offset:256
	global_load_ushort v100, v[34:35], off offset:512
	;; [unrolled: 1-line block ×3, first 2 shown]
	v_add3_u32 v33, v33, v37, v36
	global_load_dword v102, v[26:27], off
	v_lshl_add_u64 v[30:31], v[30:31], 2, s[42:43]
	v_lshl_add_u64 v[26:27], v[32:33], 2, s[42:43]
	global_load_dword v103, v[28:29], off
	global_load_dword v104, v[30:31], off
	;; [unrolled: 1-line block ×3, first 2 shown]
	s_load_dword s20, s[44:45], 0x0
	ds_read2st64_b64 v[34:37], v76 offset1:1
	ds_read2st64_b64 v[90:93], v76 offset0:2 offset1:3
	ds_read_b64 v[38:39], v71 offset:24576
	ds_read_b64 v[40:41], v73 offset:24576
	ds_read_b64 v[94:95], v74 offset:24576
	ds_read_b64 v[96:97], v75 offset:24576
	s_waitcnt lgkmcnt(0)
	v_mfma_f32_16x16x16_bf16 a[0:3], v[38:39], v[34:35], a[0:3]
	v_mov_b32_e32 v89, 0
	v_mov_b32_e32 v26, 0
	v_mov_b32_e32 v27, 0
	v_mfma_f32_16x16x16_bf16 a[0:3], v[40:41], v[36:37], a[0:3]
	v_mov_b32_e32 v28, 0
	v_mov_b32_e32 v29, 0
	v_mov_b32_e32 v30, 0
	;; [unrolled: 4-line block ×4, first 2 shown]
	v_mov_b32_e32 v37, 0
	v_mov_b32_e32 v38, 0
	;; [unrolled: 1-line block ×4, first 2 shown]
	v_accvgpr_read_b32 v93, a1
	v_accvgpr_read_b32 v91, a3
	;; [unrolled: 1-line block ×4, first 2 shown]
	s_and_b64 vcc, exec, s[0:1]
	s_waitcnt vmcnt(7)
	v_lshlrev_b32_e32 v94, 16, v98
	s_waitcnt vmcnt(6)
	v_lshlrev_b32_e32 v95, 16, v99
	s_waitcnt vmcnt(5)
	v_lshlrev_b32_e32 v96, 16, v100
	s_waitcnt vmcnt(4)
	v_lshlrev_b32_e32 v97, 16, v101
	v_pk_add_f32 v[92:93], v[94:95], v[92:93] neg_lo:[0,1] neg_hi:[0,1]
	s_waitcnt vmcnt(3)
	v_sub_f32_e32 v41, s20, v102
	v_exp_f32_e32 v98, v41
	s_waitcnt vmcnt(2)
	v_sub_f32_e32 v41, s20, v103
	s_waitcnt vmcnt(1)
	v_sub_f32_e32 v100, s20, v104
	;; [unrolled: 2-line block ×3, first 2 shown]
	v_exp_f32_e32 v99, v41
	v_exp_f32_e32 v100, v100
	;; [unrolled: 1-line block ×3, first 2 shown]
	v_pk_add_f32 v[90:91], v[96:97], v[90:91] neg_lo:[0,1] neg_hi:[0,1]
	v_pk_mul_f32 v[92:93], v[98:99], v[92:93]
	v_mov_b32_e32 v41, 0
	v_pk_mul_f32 v[90:91], v[100:101], v[90:91]
	s_nop 0
	v_perm_b32 v91, v91, v90, s3
	v_perm_b32 v90, v93, v92, s3
	ds_write_b64 v68, v[90:91]
	s_cbranch_vccnz .LBB682_40
; %bb.39:                               ;   in Loop: Header=BB682_32 Depth=1
	s_and_b32 s25, s25, 0xffff
	s_mov_b32 s27, s23
	buffer_load_dwordx4 v[38:41], v82, s[24:27], 0 offen
	buffer_load_dwordx4 v[30:33], v82, s[24:27], s62 offen
	;; [unrolled: 1-line block ×4, first 2 shown]
	v_mov_b32_e32 v88, v61
	v_mov_b32_e32 v89, v59
.LBB682_40:                             ;   in Loop: Header=BB682_32 Depth=1
	s_waitcnt lgkmcnt(0)
	s_barrier
	ds_read_b64 v[98:99], v84
	ds_read2st64_b64 v[90:93], v76 offset1:1
	ds_read2st64_b64 v[94:97], v76 offset0:2 offset1:3
	ds_read_b64 v[100:101], v85
	ds_read_b64 v[102:103], v86
	;; [unrolled: 1-line block ×3, first 2 shown]
	s_waitcnt lgkmcnt(4)
	v_mfma_f32_16x16x16_bf16 a[0:3], v[98:99], v[90:91], 0
	ds_read_b64 v[98:99], v78 offset:8192
	ds_read_b64 v[106:107], v79 offset:8192
	s_add_i32 s21, s58, s39
	s_mul_hi_i32 s25, s21, s13
	s_waitcnt lgkmcnt(1)
	v_mfma_f32_16x16x16_bf16 a[4:7], v[98:99], v[90:91], 0
	s_mul_i32 s21, s21, s13
	s_add_u32 s24, s21, s51
	s_addc_u32 s25, s25, s55
	v_mfma_f32_16x16x16_bf16 a[0:3], v[100:101], v[92:93], a[0:3]
	ds_read_b64 v[98:99], v47
	ds_read_b64 v[100:101], v77
	ds_read_b64 v[90:91], v80 offset:8192
	s_lshl_b64 s[24:25], s[24:25], 15
	v_mfma_f32_16x16x16_bf16 a[0:3], v[102:103], v[94:95], a[0:3]
	ds_read_b64 v[102:103], v81 offset:8192
	s_and_b64 vcc, exec, s[0:1]
	s_waitcnt lgkmcnt(4)
	v_mfma_f32_16x16x16_bf16 a[4:7], v[106:107], v[92:93], a[4:7]
	s_waitcnt lgkmcnt(1)
	v_mfma_f32_16x16x16_bf16 a[4:7], v[90:91], v[94:95], a[4:7]
	v_lshl_add_u64 v[90:91], v[48:49], 0, s[24:25]
	global_store_dwordx4 v[90:91], v[98:101], off
	v_mfma_f32_16x16x16_bf16 a[0:3], v[104:105], v[96:97], a[0:3]
	s_waitcnt lgkmcnt(0)
	v_mfma_f32_16x16x16_bf16 a[4:7], v[102:103], v[96:97], a[4:7]
	s_cbranch_vccnz .LBB682_42
; %bb.41:                               ;   in Loop: Header=BB682_32 Depth=1
	v_lshrrev_b32_e32 v90, 3, v88
	v_and_b32_e32 v90, 6, v90
	v_xor_b32_e32 v89, v90, v89
	v_lshlrev_b32_e32 v89, 2, v89
	v_and_b32_e32 v88, 8, v88
	v_xor_b32_e32 v91, 0x440, v89
	v_cmp_eq_u32_e32 vcc, 0, v88
	s_barrier
	s_nop 0
	v_cndmask_b32_e32 v88, v91, v89, vcc
	v_lshl_or_b32 v88, v90, 10, v88
	s_waitcnt vmcnt(2)
	v_perm_b32 v89, v38, v34, s64
	s_waitcnt vmcnt(1)
	v_perm_b32 v90, v30, v26, s64
	ds_write2st64_b32 v88, v89, v90 offset1:32
	v_xor_b32_e32 v89, 8, v88
	v_perm_b32 v34, v38, v34, s65
	v_perm_b32 v26, v30, v26, s65
	v_add_u32_e32 v30, 0x80, v89
	ds_write2st64_b32 v30, v34, v26 offset1:32
	v_xor_b32_e32 v26, 16, v88
	v_perm_b32 v30, v39, v35, s64
	v_perm_b32 v34, v31, v27, s64
	ds_write2st64_b32 v26, v30, v34 offset0:1 offset1:33
	v_xor_b32_e32 v26, 24, v88
	v_perm_b32 v30, v39, v35, s65
	v_perm_b32 v27, v31, v27, s65
	v_add_u32_e32 v26, 0x80, v26
	ds_write2st64_b32 v26, v30, v27 offset0:1 offset1:33
	v_xor_b32_e32 v26, 32, v88
	v_perm_b32 v27, v40, v36, s64
	v_perm_b32 v30, v32, v28, s64
	ds_write2st64_b32 v26, v27, v30 offset0:2 offset1:34
	v_xor_b32_e32 v26, 40, v88
	v_perm_b32 v27, v40, v36, s65
	v_perm_b32 v28, v32, v28, s65
	v_add_u32_e32 v26, 0x80, v26
	ds_write2st64_b32 v26, v27, v28 offset0:2 offset1:34
	;; [unrolled: 9-line block ×3, first 2 shown]
	ds_write_b64 v9, v[22:23] offset:16384
	v_xor_b32_e32 v22, 8, v9
	ds_write_b64 v22, v[24:25] offset:16384
	ds_write_b64 v9, v[18:19] offset:24576
	;; [unrolled: 1-line block ×4, first 2 shown]
	v_xor_b32_e32 v9, 8, v5
	ds_write_b64 v9, v[16:17] offset:16384
	ds_write_b64 v5, v[10:11] offset:24576
	;; [unrolled: 1-line block ×3, first 2 shown]
.LBB682_42:                             ;   in Loop: Header=BB682_32 Depth=1
	v_exp_f32_e32 v10, s20
	s_nop 2
	v_accvgpr_read_b32 v9, a1
	v_accvgpr_read_b32 v5, a0
	s_add_i32 s63, s63, 64
	v_fma_f32 v3, v3, v10, v9
	v_accvgpr_read_b32 v9, a4
	v_fma_f32 v6, v6, v10, v9
	v_accvgpr_read_b32 v9, a5
	;; [unrolled: 2-line block ×6, first 2 shown]
	v_fmac_f32_e32 v5, v63, v10
	s_cmp_eq_u32 s54, s37
	v_fmac_f32_e32 v9, v60, v10
	s_cbranch_scc1 .LBB682_4
; %bb.43:                               ;   in Loop: Header=BB682_32 Depth=1
	s_mov_b32 s39, s37
	v_mov_b32_e32 v63, v5
	v_mov_b32_e32 v60, v9
	s_branch .LBB682_32
.LBB682_44:
                                        ; implicit-def: $vgpr13
                                        ; implicit-def: $vgpr17
                                        ; implicit-def: $vgpr21
                                        ; implicit-def: $vgpr25
	s_cbranch_execz .LBB682_46
; %bb.45:
	s_waitcnt vmcnt(0)
	v_mad_u64_u32 v[10:11], s[0:1], v27, s15, v[26:27]
	v_lshlrev_b32_e32 v27, 1, v10
	s_lshl_b32 s2, s15, 7
	s_and_b32 s1, s5, 0xffff
	s_mov_b32 s3, 0x20000
	s_mov_b32 s0, s4
	v_add_lshl_u32 v28, v10, s15, 1
	s_movk_i32 s13, 0x80
	buffer_load_dwordx4 v[10:13], v27, s[0:3], 0 offen
	buffer_load_dwordx4 v[18:21], v27, s[0:3], s13 offen
	;; [unrolled: 1-line block ×4, first 2 shown]
.LBB682_46:
	v_lshrrev_b32_e32 v45, 2, v45
	s_cbranch_execnz .LBB682_59
.LBB682_47:
	s_and_b64 vcc, exec, s[6:7]
	s_cbranch_vccz .LBB682_57
; %bb.48:
	s_waitcnt vmcnt(0)
	v_lshlrev_b32_e32 v15, 1, v47
	v_cmp_gt_i32_e32 vcc, s27, v15
	v_mov_b32_e32 v14, 0
	v_lshlrev_b32_e32 v22, 9, v47
	v_mov_b32_e32 v10, 0
	v_mov_b32_e32 v11, 0
	;; [unrolled: 1-line block ×4, first 2 shown]
	s_and_saveexec_b64 s[0:1], vcc
	s_cbranch_execz .LBB682_50
; %bb.49:
	v_mov_b32_e32 v23, 0
	v_lshl_add_u64 v[10:11], s[4:5], 0, v[22:23]
	v_lshlrev_b32_e32 v12, 1, v26
	v_mov_b32_e32 v13, v23
	v_lshl_add_u64 v[10:11], v[10:11], 0, v[12:13]
	global_load_dwordx4 v[10:13], v[10:11], off
.LBB682_50:
	s_or_b64 exec, exec, s[0:1]
	v_or_b32_e32 v15, 1, v15
	v_cmp_gt_i32_e64 s[0:1], s27, v15
	v_lshlrev_b32_e32 v28, 8, v15
	v_mov_b32_e32 v15, 0
	v_mov_b32_e32 v16, 0
	v_mov_b32_e32 v17, 0
	s_and_saveexec_b64 s[2:3], s[0:1]
	s_cbranch_execz .LBB682_52
; %bb.51:
	v_mov_b32_e32 v29, 0
	v_lshl_add_u64 v[14:15], s[4:5], 0, v[28:29]
	v_lshlrev_b32_e32 v16, 1, v26
	v_mov_b32_e32 v17, v29
	v_lshl_add_u64 v[14:15], v[14:15], 0, v[16:17]
	global_load_dwordx4 v[14:17], v[14:15], off
.LBB682_52:
	s_or_b64 exec, exec, s[2:3]
	v_mov_b32_e32 v25, 0
	v_mov_b32_e32 v18, 0
	v_mov_b32_e32 v19, 0
	v_mov_b32_e32 v20, 0
	v_mov_b32_e32 v21, 0
	s_and_saveexec_b64 s[2:3], vcc
	s_cbranch_execz .LBB682_54
; %bb.53:
	v_mov_b32_e32 v23, 0
	v_lshl_add_u64 v[18:19], s[4:5], 0, v[22:23]
	v_lshlrev_b32_e32 v22, 1, v26
	v_lshl_add_u64 v[18:19], v[18:19], 0, v[22:23]
	global_load_dwordx4 v[18:21], v[18:19], off offset:128
.LBB682_54:
	s_or_b64 exec, exec, s[2:3]
	v_mov_b32_e32 v24, 0
	v_mov_b32_e32 v23, 0
	;; [unrolled: 1-line block ×3, first 2 shown]
	s_and_saveexec_b64 s[2:3], s[0:1]
	s_cbranch_execz .LBB682_56
; %bb.55:
	v_mov_b32_e32 v29, 0
	v_lshl_add_u64 v[22:23], s[4:5], 0, v[28:29]
	v_lshlrev_b32_e32 v28, 1, v26
	v_lshl_add_u64 v[22:23], v[22:23], 0, v[28:29]
	global_load_dwordx4 v[22:25], v[22:23], off offset:128
.LBB682_56:
	s_or_b64 exec, exec, s[2:3]
	s_branch .LBB682_59
.LBB682_57:
                                        ; implicit-def: $vgpr13
                                        ; implicit-def: $vgpr17
                                        ; implicit-def: $vgpr21
                                        ; implicit-def: $vgpr25
	s_cbranch_execz .LBB682_59
; %bb.58:
	s_waitcnt vmcnt(0)
	v_lshlrev_b32_e32 v10, 1, v26
	v_lshl_or_b32 v26, v47, 9, v10
	s_and_b32 s5, s5, 0xffff
	s_mov_b32 s7, 0x20000
	s_movk_i32 s6, 0x4000
	s_movk_i32 s0, 0x80
	buffer_load_dwordx4 v[10:13], v26, s[4:7], 0 offen
	buffer_load_dwordx4 v[14:17], v26, s[4:7], 0 offen offset:256
	buffer_load_dwordx4 v[18:21], v26, s[4:7], s0 offen
	buffer_load_dwordx4 v[22:25], v26, s[4:7], s0 offen offset:256
.LBB682_59:
	ds_read2st64_b64 v[30:33], v50 offset0:76 offset1:77
	ds_read2st64_b64 v[26:29], v50 offset0:78 offset1:79
	ds_read_b64 v[38:39], v34 offset:24576
	ds_read_b64 v[40:41], v35 offset:24576
	;; [unrolled: 1-line block ×4, first 2 shown]
	v_and_b32_e32 v51, 6, v0
	v_xor_b32_e32 v47, v47, v51
	v_lshlrev_b32_e32 v47, 2, v47
	v_and_b32_e32 v53, 1, v0
	v_xor_b32_e32 v54, 0x440, v47
	v_cmp_eq_u32_e32 vcc, 0, v53
	s_mov_b32 s0, 0x1000504
	s_waitcnt vmcnt(0)
	v_perm_b32 v53, v18, v22, s0
	v_cndmask_b32_e32 v47, v54, v47, vcc
	v_lshl_or_b32 v47, v51, 10, v47
	v_perm_b32 v51, v10, v14, s0
	ds_write2st64_b32 v47, v51, v53 offset1:32
	v_xor_b32_e32 v51, 8, v47
	s_mov_b32 s1, 0x3020706
	v_perm_b32 v10, v10, v14, s1
	v_perm_b32 v14, v18, v22, s1
	v_add_u32_e32 v18, 0x80, v51
	ds_write2st64_b32 v18, v10, v14 offset1:32
	v_xor_b32_e32 v10, 16, v47
	v_perm_b32 v14, v11, v15, s0
	v_perm_b32 v18, v19, v23, s0
	ds_write2st64_b32 v10, v14, v18 offset0:1 offset1:33
	v_xor_b32_e32 v10, 24, v47
	v_perm_b32 v11, v11, v15, s1
	v_perm_b32 v14, v19, v23, s1
	v_add_u32_e32 v10, 0x80, v10
	ds_write2st64_b32 v10, v11, v14 offset0:1 offset1:33
	v_xor_b32_e32 v10, 32, v47
	v_perm_b32 v11, v12, v16, s0
	v_perm_b32 v14, v20, v24, s0
	ds_write2st64_b32 v10, v11, v14 offset0:2 offset1:34
	v_xor_b32_e32 v10, 40, v47
	v_perm_b32 v11, v12, v16, s1
	v_perm_b32 v12, v20, v24, s1
	v_add_u32_e32 v10, 0x80, v10
	ds_write2st64_b32 v10, v11, v12 offset0:2 offset1:34
	v_xor_b32_e32 v10, 48, v47
	v_perm_b32 v11, v13, v17, s0
	v_perm_b32 v12, v21, v25, s0
	ds_write2st64_b32 v10, v11, v12 offset0:3 offset1:35
	v_xor_b32_e32 v10, 56, v47
	v_and_or_b32 v16, v45, 12, v52
	v_perm_b32 v11, v13, v17, s1
	v_perm_b32 v12, v21, v25, s1
	v_add_u32_e32 v10, 0x80, v10
	v_cmp_gt_i32_e32 vcc, s27, v16
	v_mov_b32_e32 v17, 0
	v_mov_b32_e32 v21, 0
	ds_write2st64_b32 v10, v11, v12 offset0:3 offset1:35
	s_and_saveexec_b64 s[0:1], vcc
	s_cbranch_execz .LBB682_61
; %bb.60:
	v_add_u32_e32 v10, s26, v16
	v_ashrrev_i32_e32 v11, 31, v10
	v_mul_lo_u32 v12, v11, s34
	v_mul_lo_u32 v13, v10, s35
	v_mad_u64_u32 v[10:11], s[2:3], v10, s34, 0
	v_add3_u32 v11, v11, v13, v12
	v_lshl_add_u64 v[10:11], v[10:11], 2, s[10:11]
	global_load_dword v10, v[10:11], off
	s_waitcnt vmcnt(0)
	v_sub_f32_e32 v10, s12, v10
	v_exp_f32_e32 v21, v10
.LBB682_61:
	s_or_b64 exec, exec, s[0:1]
	v_or_b32_e32 v19, 1, v16
	v_cmp_gt_i32_e64 s[0:1], s27, v19
	s_and_saveexec_b64 s[2:3], s[0:1]
	s_cbranch_execz .LBB682_63
; %bb.62:
	v_add_u32_e32 v10, s26, v19
	v_ashrrev_i32_e32 v11, 31, v10
	v_mul_lo_u32 v12, v11, s34
	v_mul_lo_u32 v13, v10, s35
	v_mad_u64_u32 v[10:11], s[4:5], v10, s34, 0
	v_add3_u32 v11, v11, v13, v12
	v_lshl_add_u64 v[10:11], v[10:11], 2, s[10:11]
	global_load_dword v10, v[10:11], off
	s_waitcnt vmcnt(0)
	v_sub_f32_e32 v10, s12, v10
	v_exp_f32_e32 v17, v10
.LBB682_63:
	s_or_b64 exec, exec, s[2:3]
	v_or_b32_e32 v20, 2, v16
	v_cmp_gt_i32_e64 s[2:3], s27, v20
	v_mov_b32_e32 v18, 0
	v_mov_b32_e32 v23, 0
	s_and_saveexec_b64 s[4:5], s[2:3]
	s_cbranch_execz .LBB682_65
; %bb.64:
	v_add_u32_e32 v10, s26, v20
	v_ashrrev_i32_e32 v11, 31, v10
	v_mul_lo_u32 v12, v11, s34
	v_mul_lo_u32 v13, v10, s35
	v_mad_u64_u32 v[10:11], s[6:7], v10, s34, 0
	v_add3_u32 v11, v11, v13, v12
	v_lshl_add_u64 v[10:11], v[10:11], 2, s[10:11]
	global_load_dword v10, v[10:11], off
	s_waitcnt vmcnt(0)
	v_sub_f32_e32 v10, s12, v10
	v_exp_f32_e32 v23, v10
.LBB682_65:
	s_or_b64 exec, exec, s[4:5]
	v_or_b32_e32 v22, 3, v16
	v_cmp_gt_i32_e64 s[4:5], s27, v22
	s_and_saveexec_b64 s[6:7], s[4:5]
	s_cbranch_execz .LBB682_67
; %bb.66:
	v_add_u32_e32 v10, s26, v22
	v_ashrrev_i32_e32 v11, 31, v10
	v_mul_lo_u32 v12, v11, s34
	v_mul_lo_u32 v13, v10, s35
	v_mad_u64_u32 v[10:11], s[14:15], v10, s34, 0
	v_add3_u32 v11, v11, v13, v12
	v_lshl_add_u64 v[10:11], v[10:11], 2, s[10:11]
	global_load_dword v10, v[10:11], off
	s_waitcnt vmcnt(0)
	v_sub_f32_e32 v10, s12, v10
	v_exp_f32_e32 v18, v10
.LBB682_67:
	s_or_b64 exec, exec, s[6:7]
	s_waitcnt lgkmcnt(11)
	v_mfma_f32_16x16x16_bf16 a[0:3], v[38:39], v[30:31], a[0:3]
	s_add_u32 s6, s8, s20
	v_ashrrev_i32_e32 v47, 31, v46
	s_addc_u32 s7, s9, s21
	s_waitcnt lgkmcnt(10)
	v_mfma_f32_16x16x16_bf16 a[0:3], v[40:41], v[32:33], a[0:3]
	v_mov_b32_e32 v24, 0
	v_lshl_add_u64 v[14:15], v[46:47], 1, s[6:7]
	v_mov_b32_e32 v25, 0
	s_waitcnt lgkmcnt(9)
	v_mfma_f32_16x16x16_bf16 a[0:3], v[36:37], v[26:27], a[0:3]
	s_waitcnt lgkmcnt(8)
	v_mfma_f32_16x16x16_bf16 a[0:3], v[34:35], v[28:29], a[0:3]
	s_nop 6
	v_accvgpr_read_b32 v13, a3
	v_accvgpr_read_b32 v12, a2
	;; [unrolled: 1-line block ×4, first 2 shown]
	s_and_saveexec_b64 s[6:7], vcc
	s_cbranch_execz .LBB682_69
; %bb.68:
	v_lshlrev_b32_e32 v26, 8, v16
	v_mov_b32_e32 v27, 0
	v_lshl_add_u64 v[26:27], v[14:15], 0, v[26:27]
	global_load_ushort v25, v[26:27], off
	s_waitcnt vmcnt(0)
	v_lshlrev_b32_e32 v25, 16, v25
	v_sub_f32_e32 v10, v25, v10
	v_mul_f32_e32 v10, v21, v10
	v_lshrrev_b32_e32 v25, 16, v10
.LBB682_69:
	s_or_b64 exec, exec, s[6:7]
	s_and_saveexec_b64 s[6:7], s[0:1]
	s_cbranch_execz .LBB682_71
; %bb.70:
	v_lshlrev_b32_e32 v26, 8, v19
	v_mov_b32_e32 v27, 0
	v_lshl_add_u64 v[26:27], v[14:15], 0, v[26:27]
	global_load_ushort v10, v[26:27], off
	s_waitcnt vmcnt(0)
	v_lshlrev_b32_e32 v10, 16, v10
	v_sub_f32_e32 v10, v10, v11
	v_mul_f32_e32 v10, v17, v10
	v_lshrrev_b32_e32 v24, 16, v10
.LBB682_71:
	s_or_b64 exec, exec, s[6:7]
	v_mov_b32_e32 v11, 0
	v_mov_b32_e32 v17, 0
	s_and_saveexec_b64 s[0:1], s[2:3]
	s_cbranch_execz .LBB682_73
; %bb.72:
	v_lshlrev_b32_e32 v20, 8, v20
	v_mov_b32_e32 v21, 0
	v_lshl_add_u64 v[20:21], v[14:15], 0, v[20:21]
	global_load_ushort v10, v[20:21], off
	s_waitcnt vmcnt(0)
	v_lshlrev_b32_e32 v10, 16, v10
	v_sub_f32_e32 v10, v10, v12
	v_mul_f32_e32 v10, v23, v10
	v_lshrrev_b32_e32 v17, 16, v10
.LBB682_73:
	s_or_b64 exec, exec, s[0:1]
	v_or_b32_e32 v10, 0x9800, v50
	s_and_saveexec_b64 s[0:1], s[4:5]
	s_cbranch_execz .LBB682_75
; %bb.74:
	v_lshlrev_b32_e32 v20, 8, v22
	v_mov_b32_e32 v21, 0
	v_lshl_add_u64 v[14:15], v[14:15], 0, v[20:21]
	global_load_ushort v11, v[14:15], off
	s_waitcnt vmcnt(0)
	v_lshlrev_b32_e32 v11, 16, v11
	v_sub_f32_e32 v11, v11, v13
	v_mul_f32_e32 v11, v18, v11
	v_lshrrev_b32_e32 v11, 16, v11
.LBB682_75:
	s_or_b64 exec, exec, s[0:1]
	s_mov_b32 s0, 0x5040100
	v_perm_b32 v13, v11, v17, s0
	v_lshlrev_b32_e32 v11, 1, v48
	v_perm_b32 v12, v24, v25, s0
	v_lshl_or_b32 v11, v16, 5, v11
	s_movk_i32 s0, 0xff
	ds_write_b64 v11, v[12:13] offset:38912
	v_and_b32_e32 v11, 7, v0
	v_and_b32_e32 v12, 8, v0
	v_cmp_lt_u32_e32 vcc, s0, v0
	v_lshrrev_b32_e32 v0, 1, v0
	v_lshlrev_b32_e32 v22, 3, v1
	v_and_b32_e32 v23, 24, v0
	v_xor_b32_e32 v0, v22, v23
	v_cndmask_b32_e64 v13, 0, 1, vcc
	v_or_b32_e32 v1, 0x440, v0
	v_cmp_eq_u32_e32 vcc, 0, v12
	v_lshlrev_b32_e32 v20, 3, v11
	v_lshlrev_b32_e32 v11, 7, v11
	v_cndmask_b32_e32 v0, v1, v0, vcc
	v_or_b32_e32 v0, v0, v49
	v_lshlrev_b32_e32 v21, 13, v13
	v_xad_u32 v24, v0, v20, v11
	v_add_u32_e32 v0, v21, v24
	s_waitcnt lgkmcnt(0)
	s_barrier
	ds_read_b64 v[0:1], v0
	ds_read2st64_b64 v[12:15], v10 offset1:1
	ds_read2st64_b64 v[16:19], v10 offset0:2 offset1:3
	s_waitcnt lgkmcnt(1)
	v_mfma_f32_16x16x16_bf16 a[0:3], v[0:1], v[12:13], 0
	v_or_b32_e32 v0, 32, v23
	v_xor_b32_e32 v0, v22, v0
	v_or_b32_e32 v1, 0x440, v0
	v_cndmask_b32_e32 v0, v1, v0, vcc
	v_or_b32_e32 v0, v0, v49
	v_xad_u32 v25, v0, v20, v11
	v_add_u32_e32 v0, v21, v25
	ds_read_b64 v[0:1], v0
	v_or_b32_e32 v10, 0x60, v23
	s_waitcnt lgkmcnt(0)
	v_mfma_f32_16x16x16_bf16 a[0:3], v[0:1], v[14:15], a[0:3]
	v_or_b32_e32 v0, 64, v23
	v_xor_b32_e32 v0, v22, v0
	v_xor_b32_e32 v1, 0x440, v0
	v_cndmask_b32_e32 v0, v1, v0, vcc
	v_or_b32_e32 v0, v0, v49
	v_xad_u32 v26, v0, v20, v11
	v_xor_b32_e32 v10, v22, v10
	v_add_u32_e32 v0, v21, v26
	v_xor_b32_e32 v22, 0x440, v10
	ds_read_b64 v[0:1], v0
	v_cndmask_b32_e32 v10, v22, v10, vcc
	v_or_b32_e32 v10, v10, v49
	v_xad_u32 v22, v10, v20, v11
	v_add_u32_e32 v10, v21, v22
	ds_read_b64 v[10:11], v10
	s_waitcnt lgkmcnt(1)
	v_mfma_f32_16x16x16_bf16 a[0:3], v[0:1], v[16:17], a[0:3]
	ds_read_b64 v[0:1], v24 offset:8192
	ds_read_b64 v[20:21], v26 offset:8192
	v_exp_f32_e32 v23, s12
	s_waitcnt lgkmcnt(2)
	v_mfma_f32_16x16x16_bf16 a[0:3], v[10:11], v[18:19], a[0:3]
	ds_read_b64 v[10:11], v25 offset:8192
	s_waitcnt lgkmcnt(2)
	v_mfma_f32_16x16x16_bf16 a[4:7], v[0:1], v[12:13], 0
	ds_read_b64 v[12:13], v22 offset:8192
	s_nop 2
	v_accvgpr_read_b32 v0, a0
	v_accvgpr_read_b32 v1, a1
	s_waitcnt lgkmcnt(1)
	v_mfma_f32_16x16x16_bf16 a[4:7], v[10:11], v[14:15], a[4:7]
	v_fma_f32 v0, v2, v23, v0
	v_fma_f32 v1, v3, v23, v1
	v_accvgpr_read_b32 v2, a2
	v_mfma_f32_16x16x16_bf16 a[4:7], v[20:21], v[16:17], a[4:7]
	v_accvgpr_read_b32 v3, a3
	v_fma_f32 v2, v4, v23, v2
	v_fmac_f32_e32 v3, v5, v23
	s_waitcnt lgkmcnt(0)
	v_mfma_f32_16x16x16_bf16 a[0:3], v[12:13], v[18:19], a[4:7]
	s_nop 6
	v_accvgpr_read_b32 v4, a0
	v_accvgpr_read_b32 v5, a1
	v_fma_f32 v4, v6, v23, v4
	v_fma_f32 v5, v7, v23, v5
	v_accvgpr_read_b32 v6, a2
	v_accvgpr_read_b32 v7, a3
	v_fma_f32 v6, v8, v23, v6
	v_fmac_f32_e32 v7, v9, v23
	v_mov_b64_e32 v[8:9], v[6:7]
	v_mov_b64_e32 v[6:7], v[4:5]
	;; [unrolled: 1-line block ×4, first 2 shown]
.LBB682_76:
	s_waitcnt lgkmcnt(0)
	s_add_u32 s0, s30, s28
	s_addc_u32 s1, s31, s29
	v_lshl_add_u64 v[0:1], v[42:43], 2, s[0:1]
	v_mov_b32_e32 v45, 0
	v_lshl_add_u64 v[0:1], v[0:1], 0, v[44:45]
	global_store_dwordx4 v[0:1], v[2:5], off
	global_store_dwordx4 v[0:1], v[6:9], off offset:256
	s_endpgm
	.section	.rodata,"a",@progbits
	.p2align	6, 0x0
	.amdhsa_kernel _ZN12_GLOBAL__N_139chunk_gated_delta_rule_fwd_h_hip_kernelILi16ELb1ELb1ELb0ELb0ELb1ELb0ELb1ELb0EEEvPK12hip_bfloat16S3_S3_PKfS5_PKvPS1_S8_PvPKiSB_iiiiilll
		.amdhsa_group_segment_fixed_size 40960
		.amdhsa_private_segment_fixed_size 0
		.amdhsa_kernarg_size 136
		.amdhsa_user_sgpr_count 2
		.amdhsa_user_sgpr_dispatch_ptr 0
		.amdhsa_user_sgpr_queue_ptr 0
		.amdhsa_user_sgpr_kernarg_segment_ptr 1
		.amdhsa_user_sgpr_dispatch_id 0
		.amdhsa_user_sgpr_kernarg_preload_length 0
		.amdhsa_user_sgpr_kernarg_preload_offset 0
		.amdhsa_user_sgpr_private_segment_size 0
		.amdhsa_uses_dynamic_stack 0
		.amdhsa_enable_private_segment 0
		.amdhsa_system_sgpr_workgroup_id_x 1
		.amdhsa_system_sgpr_workgroup_id_y 1
		.amdhsa_system_sgpr_workgroup_id_z 0
		.amdhsa_system_sgpr_workgroup_info 0
		.amdhsa_system_vgpr_workitem_id 0
		.amdhsa_next_free_vgpr 116
		.amdhsa_next_free_sgpr 68
		.amdhsa_accum_offset 108
		.amdhsa_reserve_vcc 1
		.amdhsa_float_round_mode_32 0
		.amdhsa_float_round_mode_16_64 0
		.amdhsa_float_denorm_mode_32 3
		.amdhsa_float_denorm_mode_16_64 3
		.amdhsa_dx10_clamp 1
		.amdhsa_ieee_mode 1
		.amdhsa_fp16_overflow 0
		.amdhsa_tg_split 0
		.amdhsa_exception_fp_ieee_invalid_op 0
		.amdhsa_exception_fp_denorm_src 0
		.amdhsa_exception_fp_ieee_div_zero 0
		.amdhsa_exception_fp_ieee_overflow 0
		.amdhsa_exception_fp_ieee_underflow 0
		.amdhsa_exception_fp_ieee_inexact 0
		.amdhsa_exception_int_div_zero 0
	.end_amdhsa_kernel
	.section	.text._ZN12_GLOBAL__N_139chunk_gated_delta_rule_fwd_h_hip_kernelILi16ELb1ELb1ELb0ELb0ELb1ELb0ELb1ELb0EEEvPK12hip_bfloat16S3_S3_PKfS5_PKvPS1_S8_PvPKiSB_iiiiilll,"axG",@progbits,_ZN12_GLOBAL__N_139chunk_gated_delta_rule_fwd_h_hip_kernelILi16ELb1ELb1ELb0ELb0ELb1ELb0ELb1ELb0EEEvPK12hip_bfloat16S3_S3_PKfS5_PKvPS1_S8_PvPKiSB_iiiiilll,comdat
.Lfunc_end682:
	.size	_ZN12_GLOBAL__N_139chunk_gated_delta_rule_fwd_h_hip_kernelILi16ELb1ELb1ELb0ELb0ELb1ELb0ELb1ELb0EEEvPK12hip_bfloat16S3_S3_PKfS5_PKvPS1_S8_PvPKiSB_iiiiilll, .Lfunc_end682-_ZN12_GLOBAL__N_139chunk_gated_delta_rule_fwd_h_hip_kernelILi16ELb1ELb1ELb0ELb0ELb1ELb0ELb1ELb0EEEvPK12hip_bfloat16S3_S3_PKfS5_PKvPS1_S8_PvPKiSB_iiiiilll
                                        ; -- End function
	.section	.AMDGPU.csdata,"",@progbits
; Kernel info:
; codeLenInByte = 7704
; NumSgprs: 74
; NumVgprs: 108
; NumAgprs: 8
; TotalNumVgprs: 116
; ScratchSize: 0
; MemoryBound: 0
; FloatMode: 240
; IeeeMode: 1
; LDSByteSize: 40960 bytes/workgroup (compile time only)
; SGPRBlocks: 9
; VGPRBlocks: 14
; NumSGPRsForWavesPerEU: 74
; NumVGPRsForWavesPerEU: 116
; AccumOffset: 108
; Occupancy: 1
; WaveLimiterHint : 1
; COMPUTE_PGM_RSRC2:SCRATCH_EN: 0
; COMPUTE_PGM_RSRC2:USER_SGPR: 2
; COMPUTE_PGM_RSRC2:TRAP_HANDLER: 0
; COMPUTE_PGM_RSRC2:TGID_X_EN: 1
; COMPUTE_PGM_RSRC2:TGID_Y_EN: 1
; COMPUTE_PGM_RSRC2:TGID_Z_EN: 0
; COMPUTE_PGM_RSRC2:TIDIG_COMP_CNT: 0
; COMPUTE_PGM_RSRC3_GFX90A:ACCUM_OFFSET: 26
; COMPUTE_PGM_RSRC3_GFX90A:TG_SPLIT: 0
	.section	.text._ZN12_GLOBAL__N_139chunk_gated_delta_rule_fwd_h_hip_kernelILi16ELb1ELb0ELb1ELb0ELb1ELb0ELb1ELb0EEEvPK12hip_bfloat16S3_S3_PKfS5_PKvPS1_S8_PvPKiSB_iiiiilll,"axG",@progbits,_ZN12_GLOBAL__N_139chunk_gated_delta_rule_fwd_h_hip_kernelILi16ELb1ELb0ELb1ELb0ELb1ELb0ELb1ELb0EEEvPK12hip_bfloat16S3_S3_PKfS5_PKvPS1_S8_PvPKiSB_iiiiilll,comdat
	.globl	_ZN12_GLOBAL__N_139chunk_gated_delta_rule_fwd_h_hip_kernelILi16ELb1ELb0ELb1ELb0ELb1ELb0ELb1ELb0EEEvPK12hip_bfloat16S3_S3_PKfS5_PKvPS1_S8_PvPKiSB_iiiiilll ; -- Begin function _ZN12_GLOBAL__N_139chunk_gated_delta_rule_fwd_h_hip_kernelILi16ELb1ELb0ELb1ELb0ELb1ELb0ELb1ELb0EEEvPK12hip_bfloat16S3_S3_PKfS5_PKvPS1_S8_PvPKiSB_iiiiilll
	.p2align	8
	.type	_ZN12_GLOBAL__N_139chunk_gated_delta_rule_fwd_h_hip_kernelILi16ELb1ELb0ELb1ELb0ELb1ELb0ELb1ELb0EEEvPK12hip_bfloat16S3_S3_PKfS5_PKvPS1_S8_PvPKiSB_iiiiilll,@function
_ZN12_GLOBAL__N_139chunk_gated_delta_rule_fwd_h_hip_kernelILi16ELb1ELb0ELb1ELb0ELb1ELb0ELb1ELb0EEEvPK12hip_bfloat16S3_S3_PKfS5_PKvPS1_S8_PvPKiSB_iiiiilll: ; @_ZN12_GLOBAL__N_139chunk_gated_delta_rule_fwd_h_hip_kernelILi16ELb1ELb0ELb1ELb0ELb1ELb0ELb1ELb0EEEvPK12hip_bfloat16S3_S3_PKfS5_PKvPS1_S8_PvPKiSB_iiiiilll
; %bb.0:
	s_load_dwordx4 s[12:15], s[0:1], 0x5c
	s_load_dwordx4 s[20:23], s[0:1], 0x70
	s_abs_i32 s6, s3
	s_ashr_i32 s5, s3, 31
	s_load_dwordx4 s[16:19], s[0:1], 0x28
	s_load_dwordx2 s[28:29], s[0:1], 0x38
	s_waitcnt lgkmcnt(0)
	s_abs_i32 s4, s13
	v_cvt_f32_u32_e32 v1, s4
	s_sub_i32 s8, 0, s4
	s_ashr_i32 s7, s13, 31
	s_xor_b32 s5, s5, s7
	v_rcp_iflag_f32_e32 v1, v1
	v_and_b32_e32 v53, 15, v0
	v_lshrrev_b32_e32 v51, 6, v0
	v_bfe_u32 v52, v0, 4, 2
	v_mul_f32_e32 v1, 0x4f7ffffe, v1
	v_cvt_u32_f32_e32 v1, v1
	v_mov_b32_e32 v5, 0
	v_and_b32_e32 v50, 63, v0
	v_lshrrev_b32_e32 v55, 3, v50
	v_readfirstlane_b32 s9, v1
	s_mul_i32 s8, s8, s9
	s_mul_hi_u32 s8, s9, s8
	s_add_i32 s9, s9, s8
	s_mul_hi_u32 s8, s6, s9
	s_mul_i32 s9, s8, s4
	s_sub_i32 s6, s6, s9
	s_add_i32 s10, s8, 1
	s_sub_i32 s9, s6, s4
	s_cmp_ge_u32 s6, s4
	s_cselect_b32 s8, s10, s8
	s_cselect_b32 s6, s9, s6
	s_add_i32 s9, s8, 1
	s_cmp_ge_u32 s6, s4
	s_cselect_b32 s6, s9, s8
	s_xor_b32 s6, s6, s5
	s_add_i32 s8, s12, 63
	s_sub_i32 s50, s6, s5
	s_ashr_i32 s9, s8, 31
	s_mul_i32 s5, s50, s13
	s_sub_i32 s48, s3, s5
	s_lshr_b32 s3, s9, 26
	s_add_i32 s8, s8, s3
	s_abs_i32 s3, s14
	v_cvt_f32_u32_e32 v1, s3
	s_ashr_i32 s49, s12, 31
	s_lshr_b32 s6, s49, 26
	s_add_i32 s6, s12, s6
	v_rcp_iflag_f32_e32 v1, v1
	s_ashr_i32 s53, s14, 31
	s_ashr_i32 s24, s8, 6
	;; [unrolled: 1-line block ×3, first 2 shown]
	v_mul_f32_e32 v1, 0x4f7ffffe, v1
	v_cvt_u32_f32_e32 v1, v1
	s_xor_b32 s6, s7, s53
	s_sub_i32 s7, 0, s3
	s_lshl_b32 s2, s2, 4
	v_readfirstlane_b32 s8, v1
	s_mul_i32 s7, s7, s8
	s_mul_hi_u32 s7, s8, s7
	s_add_i32 s8, s8, s7
	s_mul_hi_u32 s7, s4, s8
	s_mul_i32 s8, s7, s3
	s_sub_i32 s4, s4, s8
	s_add_i32 s8, s7, 1
	s_sub_i32 s9, s4, s3
	s_cmp_ge_u32 s4, s3
	s_cselect_b32 s7, s8, s7
	s_cselect_b32 s4, s9, s4
	s_add_i32 s8, s7, 1
	s_cmp_ge_u32 s4, s3
	s_cselect_b32 s3, s8, s7
	s_xor_b32 s3, s3, s6
	s_sub_i32 s3, s3, s6
	s_abs_i32 s4, s3
	v_cvt_f32_u32_e32 v1, s4
	s_sub_i32 s7, 0, s4
	s_abs_i32 s6, s48
	s_xor_b32 s3, s48, s3
	v_rcp_iflag_f32_e32 v1, v1
	s_ashr_i32 s3, s3, 31
	v_or_b32_e32 v42, s2, v53
	v_lshlrev_b32_e32 v2, 7, v42
	v_mul_f32_e32 v1, 0x4f7ffffe, v1
	v_cvt_u32_f32_e32 v1, v1
	v_ashrrev_i32_e32 v3, 31, v2
	s_mul_i32 s55, s50, s24
	v_lshlrev_b32_e32 v54, 3, v0
	v_readfirstlane_b32 s8, v1
	s_mul_i32 s7, s7, s8
	s_mul_hi_u32 s7, s8, s7
	s_add_i32 s8, s8, s7
	s_mul_hi_u32 s7, s6, s8
	s_mul_i32 s8, s7, s4
	s_sub_i32 s6, s6, s8
	s_add_i32 s8, s7, 1
	s_sub_i32 s9, s6, s4
	s_cmp_ge_u32 s6, s4
	s_cselect_b32 s7, s8, s7
	s_cselect_b32 s6, s9, s6
	s_add_i32 s8, s7, 1
	s_cmp_ge_u32 s6, s4
	s_cselect_b32 s4, s8, s7
	s_xor_b32 s4, s4, s3
	s_sub_i32 s54, s4, s3
	s_ashr_i32 s3, s50, 31
	s_ashr_i32 s52, s48, 31
	s_mul_hi_i32 s4, s50, s13
	s_add_u32 s38, s5, s48
	s_addc_u32 s39, s4, s52
	s_lshl_b64 s[4:5], s[38:39], 16
	v_lshlrev_b32_e32 v1, 4, v51
	s_add_u32 s4, s16, s4
	v_lshl_or_b32 v56, v52, 2, v1
	s_addc_u32 s5, s17, s5
	v_lshl_add_u64 v[2:3], v[2:3], 2, s[4:5]
	v_lshlrev_b32_e32 v4, 2, v56
	v_lshl_add_u64 v[10:11], v[2:3], 0, v[4:5]
	global_load_dwordx4 v[6:9], v[10:11], off
	global_load_dwordx4 v[2:5], v[10:11], off offset:256
	s_load_dwordx8 s[4:11], s[0:1], 0x0
	s_load_dwordx2 s[30:31], s[0:1], 0x80
	v_or_b32_e32 v57, 64, v56
	s_cmp_lt_i32 s12, 64
	s_mul_i32 s56, s39, s12
	s_mul_hi_u32 s57, s38, s12
	s_mul_i32 s16, s38, s12
	s_mul_i32 s33, s50, s21
	s_mul_hi_u32 s44, s50, s20
	s_mul_i32 s45, s3, s20
	s_mul_i32 s36, s50, s20
	;; [unrolled: 1-line block ×3, first 2 shown]
	s_mul_hi_u32 s46, s48, s22
	s_mul_i32 s47, s52, s22
	s_mul_i32 s34, s48, s22
	s_cbranch_scc1 .LBB683_3
; %bb.1:
	s_add_i32 s17, s57, s56
	s_lshl_b64 s[0:1], s[16:17], 8
	v_and_b32_e32 v59, 56, v54
	s_waitcnt lgkmcnt(0)
	s_add_u32 s20, s6, s0
	v_lshl_or_b32 v58, v51, 3, v55
	v_lshlrev_b32_e32 v10, 1, v59
	s_addc_u32 s0, s7, s1
	v_lshl_or_b32 v60, v58, 8, v10
	s_and_b32 s21, s0, 0xffff
	s_mov_b32 s23, 0x20000
	s_movk_i32 s22, 0x4000
	s_movk_i32 s0, 0x80
	v_or_b32_e32 v61, 0x2000, v60
	buffer_load_dwordx4 v[12:15], v60, s[20:23], 0 offen
	buffer_load_dwordx4 v[16:19], v60, s[20:23], s0 offen
	;; [unrolled: 1-line block ×4, first 2 shown]
	v_lshlrev_b32_e32 v11, 3, v58
	v_and_or_b32 v29, v0, 7, v11
	v_and_b32_e32 v11, 0x78, v11
	v_lshlrev_b32_e32 v29, 4, v29
	v_xor_b32_e32 v62, v29, v11
	v_mul_lo_u32 v28, v58, s15
	v_or_b32_e32 v63, 0x1000, v62
	v_xor_b32_e32 v11, 8, v62
	s_cmpk_eq_i32 s15, 0x80
	s_mov_b32 s58, s14
	v_xor_b32_e32 v29, 8, v63
	s_cselect_b64 s[0:1], -1, 0
	s_cmpk_lg_i32 s15, 0x80
	s_waitcnt vmcnt(3)
	ds_write_b64 v62, v[12:13] offset:16384
	ds_write_b64 v11, v[14:15] offset:16384
	s_waitcnt vmcnt(2)
	ds_write_b64 v62, v[16:17] offset:24576
	ds_write_b64 v11, v[18:19] offset:24576
	;; [unrolled: 3-line block ×4, first 2 shown]
	v_lshl_add_u32 v11, v28, 1, v59
	s_cbranch_scc0 .LBB683_29
; %bb.2:
	v_lshlrev_b32_e32 v13, 1, v11
	v_add_lshl_u32 v12, v11, s15, 1
	s_lshl_b32 s22, s15, 7
	v_lshl_or_b32 v10, v58, 9, v10
	s_cbranch_execz .LBB683_30
	s_branch .LBB683_31
.LBB683_3:
	s_waitcnt vmcnt(0)
	v_mov_b32_e32 v10, v5
	v_mov_b32_e32 v11, v9
.LBB683_4:
	s_lshl_b32 s26, s51, 6
	s_sub_i32 s27, s12, s26
	s_cmp_gt_i32 s27, 0
	s_cbranch_scc0 .LBB683_76
; %bb.5:
	s_ashr_i32 s3, s26, 31
	s_cmpk_lg_i32 s15, 0x80
	s_cselect_b64 s[22:23], -1, 0
	s_and_b64 vcc, exec, s[22:23]
	s_cbranch_vccz .LBB683_7
; %bb.6:
	s_mul_i32 s1, s50, s12
	s_mul_hi_i32 s0, s50, s12
	s_add_u32 s1, s1, s26
	s_addc_u32 s0, s0, s3
	s_mul_i32 s17, s1, s53
	s_mul_hi_u32 s20, s1, s14
	s_add_i32 s17, s20, s17
	s_mul_i32 s0, s0, s14
	s_add_i32 s17, s17, s0
	s_mul_i32 s1, s1, s14
	s_ashr_i32 s0, s54, 31
	s_add_u32 s24, s1, s54
	s_addc_u32 s25, s17, s0
	s_cbranch_execz .LBB683_8
	s_branch .LBB683_9
.LBB683_7:
                                        ; implicit-def: $sgpr24_sgpr25
.LBB683_8:
	s_mul_hi_i32 s0, s50, s14
	s_mul_i32 s50, s50, s14
	s_ashr_i32 s1, s54, 31
	s_add_u32 s14, s50, s54
	s_addc_u32 s0, s0, s1
	s_mul_i32 s1, s14, s49
	s_mul_hi_u32 s17, s14, s12
	s_add_i32 s1, s17, s1
	s_mul_i32 s0, s0, s12
	s_add_i32 s1, s1, s0
	s_mul_i32 s14, s14, s12
	s_add_u32 s24, s14, s26
	s_addc_u32 s25, s1, s3
.LBB683_9:
	s_mul_i32 s0, s38, s49
	s_add_i32 s0, s57, s0
	s_add_i32 s14, s55, s51
	;; [unrolled: 1-line block ×3, first 2 shown]
	s_add_u32 s0, s16, s26
	s_addc_u32 s1, s1, s3
	s_mov_b32 s3, 0x7060302
	v_perm_b32 v5, v10, v4, s3
	v_perm_b32 v4, v3, v2, s3
	v_lshlrev_b32_e32 v2, 3, v53
	s_lshl_b64 s[20:21], s[0:1], 8
	v_perm_b32 v9, v11, v8, s3
	v_perm_b32 v8, v7, v6, s3
	s_waitcnt vmcnt(2)
	v_lshlrev_b32_e32 v34, 2, v53
	v_lshl_or_b32 v2, v56, 5, v2
	s_waitcnt lgkmcnt(0)
	s_add_u32 s0, s6, s20
	ds_write2st64_b64 v2, v[8:9], v[4:5] offset0:72 offset1:76
	v_xor_b32_e32 v2, v56, v34
	v_lshlrev_b32_e32 v3, 8, v53
	s_addc_u32 s1, s7, s21
	v_lshl_or_b32 v2, v2, 1, v3
	s_mul_hi_i32 s3, s14, s13
	s_mul_i32 s14, s14, s13
	ds_write_b64 v2, v[8:9] offset:32768
	v_xor_b32_e32 v2, v57, v34
	s_add_u32 s6, s14, s48
	v_lshl_or_b32 v2, v2, 1, v3
	s_addc_u32 s7, s3, s52
	v_lshlrev_b32_e32 v3, 1, v53
	ds_write_b64 v2, v[4:5] offset:32768
	v_lshrrev_b32_e32 v2, 4, v0
	s_ashr_i32 s3, s2, 31
	s_lshl_b64 s[6:7], s[6:7], 15
	v_or_b32_e32 v4, 1, v3
	s_add_u32 s6, s18, s6
	v_xor_b32_e32 v3, v2, v3
	v_xor_b32_e32 v4, v4, v2
	v_lshlrev_b32_e32 v6, 8, v2
	s_addc_u32 s7, s19, s7
	s_lshl_b64 s[2:3], s[2:3], 8
	v_lshl_or_b32 v2, v3, 3, v6
	v_lshl_or_b32 v4, v4, 3, v6
	s_waitcnt lgkmcnt(0)
	s_barrier
	s_add_u32 s2, s6, s2
	ds_read_b64 v[2:3], v2 offset:32768
	ds_read_b64 v[4:5], v4 offset:32768
	s_addc_u32 s3, s7, s3
	v_mov_b32_e32 v7, 0
	s_cmp_lg_u32 s27, 64
	v_lshl_add_u64 v[8:9], s[2:3], 0, v[6:7]
	v_lshlrev_b32_e32 v6, 4, v53
	s_cselect_b64 s[6:7], -1, 0
	v_lshl_or_b32 v35, v51, 3, v55
	s_mov_b32 s16, 0
	v_lshl_add_u64 v[6:7], v[8:9], 0, v[6:7]
	v_or_b32_e32 v19, 32, v35
	v_and_b32_e32 v18, 56, v54
	s_and_b64 vcc, exec, s[6:7]
	s_waitcnt lgkmcnt(0)
	global_store_dwordx4 v[6:7], v[2:5], off
	s_cbranch_vccz .LBB683_15
; %bb.10:
	s_mov_b32 s17, s16
	s_mov_b32 s18, s16
	;; [unrolled: 1-line block ×3, first 2 shown]
	v_mov_b64_e32 v[6:7], s[16:17]
	v_mov_b64_e32 v[8:9], s[18:19]
	;; [unrolled: 1-line block ×3, first 2 shown]
	v_cmp_gt_i32_e32 vcc, s27, v35
	v_mov_b64_e32 v[4:5], v[8:9]
	s_and_saveexec_b64 s[2:3], vcc
	s_cbranch_execz .LBB683_12
; %bb.11:
	v_lshlrev_b32_e32 v2, 8, v35
	v_mov_b32_e32 v3, 0
	v_lshl_add_u64 v[4:5], s[0:1], 0, v[2:3]
	v_lshlrev_b32_e32 v2, 1, v18
	v_lshl_add_u64 v[10:11], v[4:5], 0, v[2:3]
	global_load_dwordx4 v[6:9], v[10:11], off
	global_load_dwordx4 v[2:5], v[10:11], off offset:128
.LBB683_12:
	s_or_b64 exec, exec, s[2:3]
	s_mov_b32 s17, s16
	s_mov_b32 s18, s16
	s_mov_b32 s19, s16
	v_mov_b64_e32 v[14:15], s[16:17]
	v_mov_b64_e32 v[16:17], s[18:19]
	;; [unrolled: 1-line block ×3, first 2 shown]
	v_cmp_gt_i32_e32 vcc, s27, v19
	v_lshlrev_b32_e32 v20, 7, v19
	v_mov_b64_e32 v[12:13], v[16:17]
	s_and_saveexec_b64 s[2:3], vcc
	s_cbranch_execz .LBB683_14
; %bb.13:
	v_lshlrev_b32_e32 v10, 1, v20
	v_mov_b32_e32 v11, 0
	v_lshl_add_u64 v[12:13], s[0:1], 0, v[10:11]
	v_lshlrev_b32_e32 v10, 1, v18
	v_lshl_add_u64 v[22:23], v[12:13], 0, v[10:11]
	global_load_dwordx4 v[14:17], v[22:23], off
	global_load_dwordx4 v[10:13], v[22:23], off offset:128
.LBB683_14:
	s_or_b64 exec, exec, s[2:3]
	v_lshrrev_b32_e32 v21, 3, v18
	v_lshlrev_b32_e32 v22, 3, v35
	v_or_b32_e32 v21, v22, v21
	v_lshlrev_b32_e32 v21, 4, v21
	v_and_b32_e32 v22, 0x78, v22
	v_xor_b32_e32 v21, v21, v22
	s_branch .LBB683_17
.LBB683_15:
                                        ; implicit-def: $vgpr21
                                        ; implicit-def: $vgpr20
                                        ; implicit-def: $vgpr6_vgpr7_vgpr8_vgpr9
                                        ; implicit-def: $vgpr2_vgpr3_vgpr4_vgpr5
                                        ; implicit-def: $vgpr14_vgpr15_vgpr16_vgpr17
                                        ; implicit-def: $vgpr10_vgpr11_vgpr12_vgpr13
	s_cbranch_execz .LBB683_17
; %bb.16:
	s_waitcnt vmcnt(0)
	v_lshlrev_b32_e32 v2, 1, v18
	v_lshl_or_b32 v20, v35, 8, v2
	s_and_b32 s1, s1, 0xffff
	s_mov_b32 s3, 0x20000
	s_movk_i32 s2, 0x4000
	v_lshl_or_b32 v21, v19, 8, v2
	s_movk_i32 s13, 0x80
	buffer_load_dwordx4 v[6:9], v20, s[0:3], 0 offen
	buffer_load_dwordx4 v[2:5], v20, s[0:3], s13 offen
	;; [unrolled: 1-line block ×4, first 2 shown]
	v_lshrrev_b32_e32 v20, 3, v18
	v_lshlrev_b32_e32 v21, 3, v35
	v_or_b32_e32 v20, v21, v20
	v_lshlrev_b32_e32 v20, 4, v20
	v_and_b32_e32 v21, 0x78, v21
	v_xor_b32_e32 v21, v20, v21
	v_lshlrev_b32_e32 v20, 7, v19
.LBB683_17:
	s_lshl_b64 s[0:1], s[24:25], 8
	s_add_u32 s4, s4, s0
	s_movk_i32 s0, 0x1000
	v_and_or_b32 v19, v20, s0, v21
	s_waitcnt vmcnt(1)
	ds_write_b64 v21, v[6:7] offset:16384
	v_xor_b32_e32 v6, 8, v21
	ds_write_b64 v6, v[8:9] offset:16384
	s_waitcnt vmcnt(0)
	ds_write_b64 v21, v[2:3] offset:24576
	ds_write_b64 v6, v[4:5] offset:24576
	;; [unrolled: 1-line block ×3, first 2 shown]
	v_xor_b32_e32 v2, 8, v19
	ds_write_b64 v2, v[16:17] offset:16384
	ds_write_b64 v19, v[10:11] offset:24576
	;; [unrolled: 1-line block ×3, first 2 shown]
	v_or_b32_e32 v2, v1, v53
	s_addc_u32 s5, s5, s1
	s_add_i32 s0, s12, -1
	v_lshlrev_b32_e32 v2, 3, v2
	v_lshrrev_b32_e32 v4, 5, v50
	s_movk_i32 s12, 0xf8
	v_and_or_b32 v4, v2, s12, v4
	v_lshlrev_b32_e32 v3, 11, v51
	v_lshlrev_b32_e32 v12, 4, v4
	v_and_b32_e32 v13, 0x78, v2
	v_and_b32_e32 v14, 0x1000, v3
	v_lshlrev_b32_e32 v3, 2, v0
	v_xor_b32_e32 v2, v12, v13
	v_lshrrev_b32_e32 v4, 1, v50
	v_and_b32_e32 v3, 60, v3
	v_or_b32_e32 v2, v2, v14
	v_and_b32_e32 v15, 8, v4
	v_xor_b32_e32 v26, v2, v15
	v_lshl_or_b32 v2, v52, 6, v3
	v_lshlrev_b32_e32 v19, 1, v2
	v_or_b32_e32 v2, 32, v12
	v_xor_b32_e32 v2, v2, v13
	s_waitcnt lgkmcnt(0)
	s_barrier
	ds_read_b64 v[10:11], v26 offset:16384
	v_or_b32_e32 v2, v2, v14
	v_xor_b32_e32 v27, v2, v15
	v_or_b32_e32 v2, 64, v12
	v_xor_b32_e32 v2, v2, v13
	v_or_b32_e32 v2, v2, v14
	v_or_b32_e32 v12, 0x60, v12
	v_xor_b32_e32 v28, v2, v15
	ds_read2st64_b64 v[2:5], v19 offset0:72 offset1:73
	ds_read2st64_b64 v[6:9], v19 offset0:74 offset1:75
	v_xor_b32_e32 v16, v12, v13
	ds_read_b64 v[12:13], v27 offset:16384
	s_add_i32 s1, s44, s33
	s_waitcnt lgkmcnt(2)
	v_mfma_f32_16x16x16_bf16 a[0:3], v[10:11], v[2:3], 0
	s_add_i32 s37, s1, s45
	s_add_i32 s1, s46, s39
	;; [unrolled: 1-line block ×3, first 2 shown]
	s_ashr_i32 s1, s0, 31
	s_mul_i32 s2, s0, s31
	s_mul_hi_u32 s3, s0, s30
	s_add_i32 s2, s3, s2
	s_mul_i32 s1, s1, s30
	v_or_b32_e32 v14, v16, v14
	s_add_i32 s1, s2, s1
	s_lshl_b64 s[2:3], s[36:37], 2
	v_xor_b32_e32 v36, v14, v15
	ds_read_b64 v[14:15], v28 offset:16384
	ds_read_b64 v[16:17], v36 offset:16384
	s_waitcnt lgkmcnt(2)
	v_mfma_f32_16x16x16_bf16 a[0:3], v[12:13], v[4:5], a[0:3]
	s_add_u32 s10, s10, s2
	s_addc_u32 s11, s11, s3
	s_lshl_b64 s[2:3], s[34:35], 2
	s_mul_i32 s0, s0, s30
	s_add_u32 s10, s10, s2
	s_addc_u32 s11, s11, s3
	s_lshl_b64 s[0:1], s[0:1], 2
	s_waitcnt lgkmcnt(1)
	v_mfma_f32_16x16x16_bf16 a[0:3], v[14:15], v[6:7], a[0:3]
	s_add_u32 s0, s10, s0
	s_addc_u32 s1, s11, s1
	s_load_dword s12, s[0:1], 0x0
	s_waitcnt lgkmcnt(0)
	v_mfma_f32_16x16x16_bf16 a[0:3], v[16:17], v[8:9], a[0:3]
	s_and_b64 vcc, exec, s[22:23]
	s_cbranch_vccz .LBB683_28
; %bb.18:
	v_lshlrev_b32_e32 v20, 1, v35
	s_and_b64 vcc, exec, s[6:7]
	s_cbranch_vccz .LBB683_44
; %bb.19:
	v_cmp_gt_i32_e32 vcc, s27, v20
	v_mov_b32_e32 v6, 0
	v_mov_b32_e32 v2, 0
	;; [unrolled: 1-line block ×5, first 2 shown]
	s_and_saveexec_b64 s[0:1], vcc
	s_cbranch_execz .LBB683_21
; %bb.20:
	v_mad_i64_i32 v[2:3], s[2:3], s15, v20, 0
	v_lshl_add_u64 v[2:3], v[2:3], 1, s[4:5]
	v_lshlrev_b32_e32 v4, 1, v18
	v_mov_b32_e32 v5, 0
	v_lshl_add_u64 v[2:3], v[2:3], 0, v[4:5]
	global_load_dwordx4 v[2:5], v[2:3], off
.LBB683_21:
	s_or_b64 exec, exec, s[0:1]
	v_or_b32_e32 v21, 1, v20
	v_cmp_gt_i32_e64 s[0:1], s27, v21
	v_mov_b32_e32 v7, 0
	v_mov_b32_e32 v8, 0
	;; [unrolled: 1-line block ×3, first 2 shown]
	s_and_saveexec_b64 s[2:3], s[0:1]
	s_cbranch_execz .LBB683_23
; %bb.22:
	v_mad_i64_i32 v[6:7], s[16:17], s15, v21, 0
	v_lshl_add_u64 v[6:7], v[6:7], 1, s[4:5]
	v_lshlrev_b32_e32 v8, 1, v18
	v_mov_b32_e32 v9, 0
	v_lshl_add_u64 v[6:7], v[6:7], 0, v[8:9]
	global_load_dwordx4 v[6:9], v[6:7], off
.LBB683_23:
	s_or_b64 exec, exec, s[2:3]
	v_mov_b32_e32 v17, 0
	v_mov_b32_e32 v10, 0
	;; [unrolled: 1-line block ×5, first 2 shown]
	s_and_saveexec_b64 s[2:3], vcc
	s_cbranch_execz .LBB683_25
; %bb.24:
	v_mad_i64_i32 v[10:11], s[16:17], s15, v20, 0
	v_lshl_add_u64 v[10:11], v[10:11], 1, s[4:5]
	v_lshlrev_b32_e32 v12, 1, v18
	v_mov_b32_e32 v13, 0
	v_lshl_add_u64 v[10:11], v[10:11], 0, v[12:13]
	global_load_dwordx4 v[10:13], v[10:11], off offset:128
.LBB683_25:
	s_or_b64 exec, exec, s[2:3]
	v_mov_b32_e32 v16, 0
	v_mov_b32_e32 v15, 0
	;; [unrolled: 1-line block ×3, first 2 shown]
	s_and_saveexec_b64 s[2:3], s[0:1]
	s_cbranch_execz .LBB683_27
; %bb.26:
	v_mad_i64_i32 v[14:15], s[0:1], s15, v21, 0
	v_lshl_add_u64 v[14:15], v[14:15], 1, s[4:5]
	v_lshlrev_b32_e32 v16, 1, v18
	v_mov_b32_e32 v17, 0
	v_lshl_add_u64 v[14:15], v[14:15], 0, v[16:17]
	global_load_dwordx4 v[14:17], v[14:15], off offset:128
.LBB683_27:
	s_or_b64 exec, exec, s[2:3]
	s_branch .LBB683_46
.LBB683_28:
                                        ; implicit-def: $vgpr5
                                        ; implicit-def: $vgpr9
                                        ; implicit-def: $vgpr13
                                        ; implicit-def: $vgpr17
	v_lshrrev_b32_e32 v37, 2, v50
	s_branch .LBB683_47
.LBB683_29:
                                        ; implicit-def: $vgpr12
                                        ; implicit-def: $vgpr13
                                        ; implicit-def: $sgpr22
	v_lshl_or_b32 v10, v58, 9, v10
.LBB683_30:
	v_or_b32_e32 v12, 0x100, v10
	s_movk_i32 s22, 0x4000
	v_mov_b32_e32 v13, v10
.LBB683_31:
	s_mul_hi_u32 s20, s14, s12
	s_mul_i32 s21, s53, s12
	s_add_i32 s20, s20, s21
	s_mul_i32 s21, s14, s12
	s_mul_i32 s23, s21, s3
	s_mul_hi_u32 s24, s21, s50
	s_add_i32 s23, s24, s23
	s_mul_i32 s20, s20, s50
	s_add_i32 s23, s23, s20
	s_mul_i32 s21, s21, s50
	s_ashr_i32 s59, s54, 31
	s_add_u32 s20, s21, s54
	s_addc_u32 s21, s23, s59
	s_lshl_b64 s[20:21], s[20:21], 8
	s_add_u32 s20, s4, s20
	s_addc_u32 s21, s5, s21
	s_and_b32 s21, s21, 0xffff
	s_mov_b32 s23, 0x20000
	s_movk_i32 s60, 0x80
	buffer_load_dwordx4 v[14:17], v13, s[20:23], 0 offen
	buffer_load_dwordx4 v[18:21], v13, s[20:23], s60 offen
	;; [unrolled: 1-line block ×4, first 2 shown]
	v_and_b32_e32 v12, 6, v0
	v_lshlrev_b32_e32 v30, 2, v53
	v_lshlrev_b32_e32 v31, 3, v53
	v_xor_b32_e32 v33, v58, v12
	v_and_b32_e32 v13, 1, v0
	s_mul_i32 s3, s3, s12
	s_mul_hi_u32 s20, s50, s12
	v_lshl_or_b32 v31, v56, 5, v31
	v_xor_b32_e32 v34, v56, v30
	v_lshlrev_b32_e32 v33, 2, v33
	v_or_b32_e32 v64, 0x9000, v31
	v_or_b32_e32 v65, 0x9800, v31
	v_lshlrev_b32_e32 v31, 1, v34
	v_xor_b32_e32 v34, 0x440, v33
	v_cmp_eq_u32_e32 vcc, 0, v13
	s_add_i32 s65, s20, s3
	s_add_i32 s3, s44, s33
	v_cndmask_b32_e32 v13, v34, v33, vcc
	s_add_i32 s20, s46, s39
	s_add_i32 s37, s3, s45
	s_mov_b32 s62, 0x1000504
	v_lshlrev_b32_e32 v32, 8, v53
	s_mov_b32 s22, 0x8000
	v_xor_b32_e32 v30, v57, v30
	v_lshl_or_b32 v12, v12, 10, v13
	s_add_i32 s35, s20, s47
	s_lshl_b64 s[20:21], s[36:37], 2
	s_mov_b32 s63, 0x3020706
	v_lshlrev_b32_e32 v30, 1, v30
	v_or3_b32 v66, v31, v32, s22
	v_xor_b32_e32 v13, 8, v12
	v_xor_b32_e32 v31, 24, v12
	;; [unrolled: 1-line block ×4, first 2 shown]
	s_add_u32 s3, s10, s20
	v_or3_b32 v67, v30, v32, s22
	v_xor_b32_e32 v30, 16, v12
	v_xor_b32_e32 v32, 32, v12
	;; [unrolled: 1-line block ×3, first 2 shown]
	v_add_u32_e32 v13, 0x80, v13
	v_add_u32_e32 v31, 0x80, v31
	;; [unrolled: 1-line block ×4, first 2 shown]
	s_addc_u32 s24, s11, s21
	s_lshl_b64 s[20:21], s[34:35], 2
	s_add_u32 s40, s3, s20
	s_movk_i32 s3, 0xf8
	s_addc_u32 s41, s24, s21
	v_ashrrev_i32_e32 v43, 31, v42
	s_lshl_b32 s26, s15, 7
	s_mov_b32 s61, 0
	s_mul_i32 s64, s50, s12
	s_mov_b32 s37, 0
	s_waitcnt vmcnt(1)
	v_perm_b32 v36, v14, v22, s62
	s_waitcnt vmcnt(0)
	v_perm_b32 v37, v18, v26, s62
	v_perm_b32 v14, v14, v22, s63
	;; [unrolled: 1-line block ×15, first 2 shown]
	ds_write2st64_b32 v12, v36, v37 offset1:32
	ds_write2st64_b32 v13, v14, v18 offset1:32
	ds_write2st64_b32 v30, v22, v26 offset0:1 offset1:33
	ds_write2st64_b32 v31, v15, v19 offset0:1 offset1:33
	;; [unrolled: 1-line block ×6, first 2 shown]
	v_or_b32_e32 v12, v1, v53
	v_lshlrev_b32_e32 v12, 3, v12
	v_lshrrev_b32_e32 v14, 5, v50
	v_and_or_b32 v14, v12, s3, v14
	v_lshlrev_b32_e32 v14, 4, v14
	v_lshlrev_b32_e32 v20, 11, v51
	v_and_b32_e32 v12, 0x78, v12
	v_or_b32_e32 v17, 32, v14
	v_and_b32_e32 v13, 0x1000, v20
	v_lshrrev_b32_e32 v21, 1, v0
	v_xor_b32_e32 v17, v17, v12
	v_and_b32_e32 v16, 8, v21
	v_or_b32_e32 v17, v17, v13
	v_xor_b32_e32 v15, v14, v12
	v_xor_b32_e32 v70, v17, v16
	v_or_b32_e32 v17, 64, v14
	v_or_b32_e32 v14, 0x60, v14
	v_xor_b32_e32 v17, v17, v12
	v_xor_b32_e32 v12, v14, v12
	v_or_b32_e32 v15, v15, v13
	v_or_b32_e32 v17, v17, v13
	;; [unrolled: 1-line block ×3, first 2 shown]
	v_xor_b32_e32 v68, v15, v16
	v_xor_b32_e32 v71, v17, v16
	;; [unrolled: 1-line block ×3, first 2 shown]
	v_lshrrev_b32_e32 v16, 4, v0
	v_lshlrev_b32_e32 v17, 1, v53
	s_ashr_i32 s3, s2, 31
	v_or_b32_e32 v18, 1, v17
	v_xor_b32_e32 v17, v16, v17
	s_lshl_b64 s[20:21], s[2:3], 8
	v_xor_b32_e32 v18, v18, v16
	v_lshlrev_b32_e32 v17, 3, v17
	v_lshlrev_b32_e32 v16, 8, v16
	v_lshlrev_b64 v[12:13], 1, v[42:43]
	s_add_u32 s20, s18, s20
	v_or3_b32 v43, v17, v16, s22
	v_lshlrev_b32_e32 v17, 3, v18
	s_addc_u32 s21, s19, s21
	v_or3_b32 v74, v17, v16, s22
	v_mov_b32_e32 v17, 0
	v_lshl_add_u64 v[18:19], s[20:21], 0, v[16:17]
	v_lshlrev_b32_e32 v16, 4, v53
	s_movk_i32 s3, 0xff
	v_lshlrev_b32_e32 v25, 3, v51
	v_and_b32_e32 v21, 24, v21
	v_lshl_add_u64 v[44:45], v[18:19], 0, v[16:17]
	v_and_b32_e32 v18, 8, v0
	v_cmp_lt_u32_e32 vcc, s3, v0
	v_xor_b32_e32 v26, v25, v21
	v_or_b32_e32 v27, 0x440, v26
	v_cndmask_b32_e64 v24, 0, 1, vcc
	v_cmp_eq_u32_e32 vcc, 0, v18
	v_and_b32_e32 v16, 7, v0
	v_lshlrev_b32_e32 v19, 3, v16
	v_cndmask_b32_e32 v18, v27, v26, vcc
	v_lshlrev_b32_e32 v16, 7, v16
	v_or_b32_e32 v18, v18, v20
	v_xad_u32 v75, v18, v19, v16
	v_or_b32_e32 v18, 32, v21
	v_xor_b32_e32 v18, v25, v18
	v_or_b32_e32 v26, 0x440, v18
	v_cndmask_b32_e32 v18, v26, v18, vcc
	v_or_b32_e32 v18, v18, v20
	v_xad_u32 v76, v18, v19, v16
	v_or_b32_e32 v18, 64, v21
	v_xor_b32_e32 v18, v25, v18
	v_xor_b32_e32 v26, 0x440, v18
	v_cndmask_b32_e32 v18, v26, v18, vcc
	v_or_b32_e32 v18, v18, v20
	v_xad_u32 v77, v18, v19, v16
	v_or_b32_e32 v18, 0x60, v21
	v_xor_b32_e32 v18, v25, v18
	v_xor_b32_e32 v21, 0x440, v18
	v_and_b32_e32 v15, 0x78, v54
	v_cndmask_b32_e32 v18, v21, v18, vcc
	v_lshl_or_b32 v15, v52, 7, v15
	v_or_b32_e32 v18, v18, v20
	v_or_b32_e32 v69, 0x9000, v15
	;; [unrolled: 1-line block ×3, first 2 shown]
	v_lshl_add_u64 v[14:15], s[8:9], 0, v[12:13]
	v_lshl_add_u64 v[12:13], s[28:29], 0, v[12:13]
	v_lshlrev_b32_e32 v22, 1, v11
	v_add_lshl_u32 v11, v11, s15, 1
	v_or_b32_e32 v23, 0x100, v10
	v_lshlrev_b32_e32 v24, 13, v24
	v_xad_u32 v78, v18, v19, v16
	v_lshlrev_b32_e32 v16, 8, v56
	v_cndmask_b32_e64 v79, v22, v10, s[0:1]
	v_cndmask_b32_e64 v80, v11, v23, s[0:1]
	v_lshl_add_u64 v[46:47], v[14:15], 0, v[16:17]
	v_lshl_add_u64 v[48:49], v[12:13], 0, v[16:17]
	s_mov_b32 s3, 0x7060302
	s_movk_i32 s22, 0x4000
	v_add_u32_e32 v81, v24, v75
	v_add_u32_e32 v82, v24, v76
	;; [unrolled: 1-line block ×4, first 2 shown]
	s_waitcnt lgkmcnt(0)
	s_barrier
.LBB683_32:                             ; =>This Inner Loop Header: Depth=1
	s_add_i32 s35, s37, 1
	s_cmp_lt_i32 s35, s51
	s_mov_b64 s[24:25], 0
	s_cselect_b64 s[42:43], -1, 0
	s_cmp_ge_i32 s35, s51
	s_mov_b64 s[20:21], 0
	s_cbranch_scc1 .LBB683_34
; %bb.33:                               ;   in Loop: Header=BB683_32 Depth=1
	s_add_i32 s0, s61, 64
	s_add_u32 s0, s16, s0
	s_addc_u32 s1, s17, 0
	s_lshl_b64 s[0:1], s[0:1], 8
	s_add_u32 s20, s6, s0
	s_addc_u32 s21, s7, s1
.LBB683_34:                             ;   in Loop: Header=BB683_32 Depth=1
	v_cndmask_b32_e64 v10, 0, 1, s[42:43]
	v_cmp_ne_u32_e64 s[0:1], 1, v10
	s_andn2_b64 vcc, exec, s[42:43]
	s_cbranch_vccnz .LBB683_36
; %bb.35:                               ;   in Loop: Header=BB683_32 Depth=1
	s_add_i32 s24, s61, 64
	s_add_u32 s24, s64, s24
	s_addc_u32 s25, s65, 0
	s_mul_i32 s27, s24, s53
	s_mul_hi_u32 s42, s24, s58
	s_add_i32 s27, s42, s27
	s_mul_i32 s25, s25, s58
	s_add_i32 s27, s27, s25
	s_mul_i32 s24, s24, s58
	s_add_u32 s24, s24, s54
	s_addc_u32 s25, s27, s59
	s_lshl_b64 s[24:25], s[24:25], 8
	s_add_u32 s24, s4, s24
	s_addc_u32 s25, s5, s25
.LBB683_36:                             ;   in Loop: Header=BB683_32 Depth=1
	v_perm_b32 v11, v9, v8, s3
	v_perm_b32 v10, v7, v6, s3
	;; [unrolled: 1-line block ×4, first 2 shown]
	ds_write_b64 v64, v[10:11]
	ds_write_b64 v65, v[12:13]
	;; [unrolled: 1-line block ×4, first 2 shown]
	s_waitcnt lgkmcnt(0)
	s_barrier
	ds_read_b64 v[18:19], v68 offset:16384
	ds_read_b64 v[20:21], v70 offset:16384
	ds_read2st64_b64 v[10:13], v69 offset1:1
	ds_read2st64_b64 v[14:17], v69 offset0:2 offset1:3
	ds_read_b64 v[22:23], v71 offset:16384
	s_waitcnt lgkmcnt(2)
	v_mfma_f32_16x16x16_bf16 a[0:3], v[18:19], v[10:11], 0
	ds_read_b64 v[10:11], v72 offset:16384
	s_add_i32 s27, s61, 63
	s_mul_i32 s42, s27, s31
	v_mfma_f32_16x16x16_bf16 a[0:3], v[20:21], v[12:13], a[0:3]
	s_mul_hi_u32 s43, s27, s30
	s_add_i32 s43, s43, s42
	s_mul_i32 s42, s27, s30
	s_waitcnt lgkmcnt(1)
	v_mfma_f32_16x16x16_bf16 a[0:3], v[22:23], v[14:15], a[0:3]
	s_lshl_b64 s[42:43], s[42:43], 2
	s_add_u32 s42, s40, s42
	s_addc_u32 s43, s41, s43
	s_waitcnt lgkmcnt(0)
	v_mfma_f32_16x16x16_bf16 a[0:3], v[10:11], v[16:17], a[0:3]
	s_and_b64 vcc, exec, s[0:1]
	v_mov_b32_e32 v87, 0
	v_mov_b32_e32 v86, 0
	;; [unrolled: 1-line block ×19, first 2 shown]
	s_cbranch_vccnz .LBB683_38
; %bb.37:                               ;   in Loop: Header=BB683_32 Depth=1
	s_and_b32 s21, s21, 0xffff
	buffer_load_dwordx4 v[22:25], v60, s[20:23], 0 offen
	buffer_load_dwordx4 v[18:21], v60, s[20:23], s60 offen
	;; [unrolled: 1-line block ×4, first 2 shown]
	v_mov_b32_e32 v86, v62
	v_mov_b32_e32 v85, v63
.LBB683_38:                             ;   in Loop: Header=BB683_32 Depth=1
	s_waitcnt vmcnt(3)
	v_add_u32_e32 v32, s61, v56
	s_waitcnt vmcnt(1)
	v_ashrrev_i32_e32 v26, 31, v32
	v_mul_lo_u32 v28, v26, s30
	v_mul_lo_u32 v29, v32, s31
	v_mad_u64_u32 v[26:27], s[20:21], v32, s30, 0
	v_add3_u32 v27, v27, v29, v28
	v_add_u32_e32 v28, 1, v32
	v_ashrrev_i32_e32 v29, 31, v28
	v_mul_lo_u32 v30, v29, s30
	v_mul_lo_u32 v31, v28, s31
	v_mad_u64_u32 v[28:29], s[20:21], v28, s30, 0
	v_add3_u32 v29, v29, v31, v30
	v_add_u32_e32 v30, 2, v32
	v_ashrrev_i32_e32 v31, 31, v30
	v_mul_lo_u32 v33, v31, s30
	v_mul_lo_u32 v34, v30, s31
	v_mad_u64_u32 v[30:31], s[20:21], v30, s30, 0
	s_add_u32 s20, s16, s61
	v_add3_u32 v31, v31, v34, v33
	v_add_u32_e32 v34, 3, v32
	s_addc_u32 s21, s17, 0
	v_ashrrev_i32_e32 v32, 31, v34
	s_lshl_b64 s[66:67], s[20:21], 8
	v_lshl_add_u64 v[26:27], v[26:27], 2, s[40:41]
	v_mul_lo_u32 v35, v32, s30
	v_lshl_add_u64 v[32:33], v[46:47], 0, s[66:67]
	v_mul_lo_u32 v36, v34, s31
	global_load_ushort v89, v[32:33], off
	global_load_ushort v94, v[32:33], off offset:256
	global_load_ushort v95, v[32:33], off offset:512
	;; [unrolled: 1-line block ×3, first 2 shown]
	global_load_dword v97, v[26:27], off
	v_mad_u64_u32 v[26:27], s[20:21], v34, s30, 0
	v_lshl_add_u64 v[28:29], v[28:29], 2, s[40:41]
	v_add3_u32 v27, v27, v36, v35
	v_lshl_add_u64 v[30:31], v[30:31], 2, s[40:41]
	v_lshl_add_u64 v[26:27], v[26:27], 2, s[40:41]
	global_load_dword v98, v[28:29], off
	global_load_dword v99, v[30:31], off
	;; [unrolled: 1-line block ×3, first 2 shown]
	s_load_dword s20, s[42:43], 0x0
	ds_read_b64 v[34:35], v68 offset:24576
	ds_read2st64_b64 v[30:33], v73 offset1:1
	ds_read2st64_b64 v[36:39], v73 offset0:2 offset1:3
	ds_read_b64 v[40:41], v70 offset:24576
	ds_read_b64 v[90:91], v71 offset:24576
	;; [unrolled: 1-line block ×3, first 2 shown]
	s_waitcnt lgkmcnt(0)
	v_mfma_f32_16x16x16_bf16 a[0:3], v[34:35], v[30:31], a[0:3]
	v_mov_b32_e32 v88, 0
	v_mov_b32_e32 v26, 0
	;; [unrolled: 1-line block ×3, first 2 shown]
	v_mfma_f32_16x16x16_bf16 a[0:3], v[40:41], v[32:33], a[0:3]
	v_mov_b32_e32 v28, 0
	v_mov_b32_e32 v29, 0
	v_mov_b32_e32 v30, 0
	v_mfma_f32_16x16x16_bf16 a[0:3], v[90:91], v[36:37], a[0:3]
	v_lshl_add_u64 v[36:37], v[48:49], 0, s[66:67]
	v_mov_b32_e32 v31, 0
	v_mov_b32_e32 v32, 0
	v_mfma_f32_16x16x16_bf16 a[0:3], v[92:93], v[38:39], a[0:3]
	v_mov_b32_e32 v33, 0
	v_mov_b32_e32 v34, 0
	;; [unrolled: 1-line block ×3, first 2 shown]
	s_and_b64 vcc, exec, s[0:1]
	s_waitcnt vmcnt(7)
	v_lshlrev_b32_e32 v90, 16, v89
	s_nop 0
	v_accvgpr_read_b32 v41, a1
	v_accvgpr_read_b32 v39, a3
	;; [unrolled: 1-line block ×4, first 2 shown]
	s_waitcnt vmcnt(6)
	v_lshlrev_b32_e32 v91, 16, v94
	s_waitcnt vmcnt(4)
	v_lshlrev_b32_e32 v93, 16, v96
	v_lshlrev_b32_e32 v92, 16, v95
	s_waitcnt vmcnt(3)
	v_sub_f32_e32 v89, s20, v97
	v_pk_add_f32 v[40:41], v[90:91], v[40:41] neg_lo:[0,1] neg_hi:[0,1]
	v_pk_add_f32 v[38:39], v[92:93], v[38:39] neg_lo:[0,1] neg_hi:[0,1]
	v_exp_f32_e32 v90, v89
	s_waitcnt vmcnt(2)
	v_sub_f32_e32 v89, s20, v98
	s_waitcnt vmcnt(1)
	v_sub_f32_e32 v92, s20, v99
	s_waitcnt vmcnt(0)
	v_sub_f32_e32 v93, s20, v100
	v_exp_f32_e32 v91, v89
	v_exp_f32_e32 v92, v92
	;; [unrolled: 1-line block ×3, first 2 shown]
	global_store_short_d16_hi v[36:37], v40, off
	global_store_short_d16_hi v[36:37], v41, off offset:256
	global_store_short_d16_hi v[36:37], v38, off offset:512
	;; [unrolled: 1-line block ×3, first 2 shown]
	v_pk_mul_f32 v[36:37], v[90:91], v[40:41]
	v_pk_mul_f32 v[38:39], v[92:93], v[38:39]
	v_perm_b32 v36, v37, v36, s3
	v_perm_b32 v37, v39, v38, s3
	ds_write_b64 v65, v[36:37]
	v_mov_b32_e32 v36, 0
	v_mov_b32_e32 v37, 0
	;; [unrolled: 1-line block ×6, first 2 shown]
	s_cbranch_vccnz .LBB683_40
; %bb.39:                               ;   in Loop: Header=BB683_32 Depth=1
	s_and_b32 s25, s25, 0xffff
	s_mov_b32 s27, s23
	buffer_load_dwordx4 v[38:41], v79, s[24:27], 0 offen
	buffer_load_dwordx4 v[30:33], v79, s[24:27], s60 offen
	;; [unrolled: 1-line block ×4, first 2 shown]
	v_mov_b32_e32 v87, v59
	v_mov_b32_e32 v88, v58
.LBB683_40:                             ;   in Loop: Header=BB683_32 Depth=1
	s_waitcnt lgkmcnt(0)
	s_barrier
	ds_read_b64 v[98:99], v81
	ds_read2st64_b64 v[90:93], v73 offset1:1
	ds_read2st64_b64 v[94:97], v73 offset0:2 offset1:3
	ds_read_b64 v[100:101], v82
	ds_read_b64 v[102:103], v83
	;; [unrolled: 1-line block ×3, first 2 shown]
	s_waitcnt lgkmcnt(4)
	v_mfma_f32_16x16x16_bf16 a[0:3], v[98:99], v[90:91], 0
	ds_read_b64 v[98:99], v75 offset:8192
	ds_read_b64 v[106:107], v76 offset:8192
	s_add_i32 s21, s55, s37
	s_mul_hi_i32 s25, s21, s13
	s_waitcnt lgkmcnt(1)
	v_mfma_f32_16x16x16_bf16 a[4:7], v[98:99], v[90:91], 0
	s_mul_i32 s21, s21, s13
	s_add_u32 s24, s21, s48
	s_addc_u32 s25, s25, s52
	v_mfma_f32_16x16x16_bf16 a[0:3], v[100:101], v[92:93], a[0:3]
	ds_read_b64 v[98:99], v43
	ds_read_b64 v[100:101], v74
	ds_read_b64 v[90:91], v77 offset:8192
	s_lshl_b64 s[24:25], s[24:25], 15
	v_mfma_f32_16x16x16_bf16 a[0:3], v[102:103], v[94:95], a[0:3]
	ds_read_b64 v[102:103], v78 offset:8192
	s_and_b64 vcc, exec, s[0:1]
	s_waitcnt lgkmcnt(4)
	v_mfma_f32_16x16x16_bf16 a[4:7], v[106:107], v[92:93], a[4:7]
	s_waitcnt lgkmcnt(1)
	v_mfma_f32_16x16x16_bf16 a[4:7], v[90:91], v[94:95], a[4:7]
	v_lshl_add_u64 v[90:91], v[44:45], 0, s[24:25]
	global_store_dwordx4 v[90:91], v[98:101], off
	v_mfma_f32_16x16x16_bf16 a[0:3], v[104:105], v[96:97], a[0:3]
	s_waitcnt lgkmcnt(0)
	v_mfma_f32_16x16x16_bf16 a[4:7], v[102:103], v[96:97], a[4:7]
	s_cbranch_vccnz .LBB683_42
; %bb.41:                               ;   in Loop: Header=BB683_32 Depth=1
	v_lshrrev_b32_e32 v89, 3, v87
	v_and_b32_e32 v89, 6, v89
	v_xor_b32_e32 v88, v89, v88
	v_lshlrev_b32_e32 v88, 2, v88
	v_and_b32_e32 v87, 8, v87
	v_xor_b32_e32 v90, 0x440, v88
	v_cmp_eq_u32_e32 vcc, 0, v87
	s_barrier
	s_nop 0
	v_cndmask_b32_e32 v87, v90, v88, vcc
	v_lshl_or_b32 v87, v89, 10, v87
	s_waitcnt vmcnt(2)
	v_perm_b32 v88, v38, v34, s62
	s_waitcnt vmcnt(1)
	v_perm_b32 v89, v30, v26, s62
	ds_write2st64_b32 v87, v88, v89 offset1:32
	v_xor_b32_e32 v88, 8, v87
	v_perm_b32 v34, v38, v34, s63
	v_perm_b32 v26, v30, v26, s63
	v_add_u32_e32 v30, 0x80, v88
	ds_write2st64_b32 v30, v34, v26 offset1:32
	v_xor_b32_e32 v26, 16, v87
	v_perm_b32 v30, v39, v35, s62
	v_perm_b32 v34, v31, v27, s62
	ds_write2st64_b32 v26, v30, v34 offset0:1 offset1:33
	v_xor_b32_e32 v26, 24, v87
	v_perm_b32 v30, v39, v35, s63
	v_perm_b32 v27, v31, v27, s63
	v_add_u32_e32 v26, 0x80, v26
	ds_write2st64_b32 v26, v30, v27 offset0:1 offset1:33
	v_xor_b32_e32 v26, 32, v87
	v_perm_b32 v27, v40, v36, s62
	v_perm_b32 v30, v32, v28, s62
	ds_write2st64_b32 v26, v27, v30 offset0:2 offset1:34
	v_xor_b32_e32 v26, 40, v87
	v_perm_b32 v27, v40, v36, s63
	v_perm_b32 v28, v32, v28, s63
	v_add_u32_e32 v26, 0x80, v26
	ds_write2st64_b32 v26, v27, v28 offset0:2 offset1:34
	v_xor_b32_e32 v26, 48, v87
	v_perm_b32 v27, v41, v37, s62
	v_perm_b32 v28, v33, v29, s62
	ds_write2st64_b32 v26, v27, v28 offset0:3 offset1:35
	v_xor_b32_e32 v26, 56, v87
	v_perm_b32 v27, v41, v37, s63
	v_perm_b32 v28, v33, v29, s63
	v_add_u32_e32 v26, 0x80, v26
	ds_write2st64_b32 v26, v27, v28 offset0:3 offset1:35
	ds_write_b64 v86, v[22:23] offset:16384
	v_xor_b32_e32 v22, 8, v86
	ds_write_b64 v22, v[24:25] offset:16384
	ds_write_b64 v86, v[18:19] offset:24576
	;; [unrolled: 1-line block ×4, first 2 shown]
	v_xor_b32_e32 v14, 8, v85
	ds_write_b64 v14, v[16:17] offset:16384
	ds_write_b64 v85, v[10:11] offset:24576
	;; [unrolled: 1-line block ×3, first 2 shown]
.LBB683_42:                             ;   in Loop: Header=BB683_32 Depth=1
	v_exp_f32_e32 v12, s20
	s_nop 2
	v_accvgpr_read_b32 v11, a1
	v_accvgpr_read_b32 v10, a0
	s_add_i32 s61, s61, 64
	v_fma_f32 v7, v7, v12, v11
	v_accvgpr_read_b32 v11, a3
	v_fmac_f32_e32 v11, v9, v12
	v_accvgpr_read_b32 v9, a4
	v_fma_f32 v6, v6, v12, v10
	v_accvgpr_read_b32 v10, a2
	v_fma_f32 v2, v2, v12, v9
	;; [unrolled: 2-line block ×3, first 2 shown]
	v_fma_f32 v3, v3, v12, v9
	v_accvgpr_read_b32 v9, a6
	v_accvgpr_read_b32 v10, a7
	v_fma_f32 v4, v4, v12, v9
	s_cmp_eq_u32 s51, s35
	v_fmac_f32_e32 v10, v5, v12
	s_cbranch_scc1 .LBB683_4
; %bb.43:                               ;   in Loop: Header=BB683_32 Depth=1
	s_mov_b32 s37, s35
	v_mov_b32_e32 v9, v11
	v_mov_b32_e32 v5, v10
	s_branch .LBB683_32
.LBB683_44:
                                        ; implicit-def: $vgpr5
                                        ; implicit-def: $vgpr9
                                        ; implicit-def: $vgpr13
                                        ; implicit-def: $vgpr17
	s_cbranch_execz .LBB683_46
; %bb.45:
	s_waitcnt vmcnt(0)
	v_mad_u64_u32 v[2:3], s[0:1], v20, s15, v[18:19]
	v_lshlrev_b32_e32 v20, 1, v2
	s_lshl_b32 s2, s15, 7
	s_and_b32 s1, s5, 0xffff
	s_mov_b32 s3, 0x20000
	s_mov_b32 s0, s4
	v_add_lshl_u32 v21, v2, s15, 1
	s_movk_i32 s13, 0x80
	buffer_load_dwordx4 v[2:5], v20, s[0:3], 0 offen
	buffer_load_dwordx4 v[10:13], v20, s[0:3], s13 offen
	;; [unrolled: 1-line block ×4, first 2 shown]
.LBB683_46:
	v_lshrrev_b32_e32 v37, 2, v50
	s_cbranch_execnz .LBB683_59
.LBB683_47:
	s_and_b64 vcc, exec, s[6:7]
	s_cbranch_vccz .LBB683_57
; %bb.48:
	s_waitcnt vmcnt(0)
	v_lshlrev_b32_e32 v7, 1, v35
	v_cmp_gt_i32_e32 vcc, s27, v7
	v_mov_b32_e32 v6, 0
	v_lshlrev_b32_e32 v14, 9, v35
	v_mov_b32_e32 v2, 0
	v_mov_b32_e32 v3, 0
	;; [unrolled: 1-line block ×4, first 2 shown]
	s_and_saveexec_b64 s[0:1], vcc
	s_cbranch_execz .LBB683_50
; %bb.49:
	v_mov_b32_e32 v15, 0
	v_lshl_add_u64 v[2:3], s[4:5], 0, v[14:15]
	v_lshlrev_b32_e32 v4, 1, v18
	v_mov_b32_e32 v5, v15
	v_lshl_add_u64 v[2:3], v[2:3], 0, v[4:5]
	global_load_dwordx4 v[2:5], v[2:3], off
.LBB683_50:
	s_or_b64 exec, exec, s[0:1]
	v_or_b32_e32 v7, 1, v7
	v_cmp_gt_i32_e64 s[0:1], s27, v7
	v_lshlrev_b32_e32 v20, 8, v7
	v_mov_b32_e32 v7, 0
	v_mov_b32_e32 v8, 0
	;; [unrolled: 1-line block ×3, first 2 shown]
	s_and_saveexec_b64 s[2:3], s[0:1]
	s_cbranch_execz .LBB683_52
; %bb.51:
	v_mov_b32_e32 v21, 0
	v_lshl_add_u64 v[6:7], s[4:5], 0, v[20:21]
	v_lshlrev_b32_e32 v8, 1, v18
	v_mov_b32_e32 v9, v21
	v_lshl_add_u64 v[6:7], v[6:7], 0, v[8:9]
	global_load_dwordx4 v[6:9], v[6:7], off
.LBB683_52:
	s_or_b64 exec, exec, s[2:3]
	v_mov_b32_e32 v17, 0
	v_mov_b32_e32 v10, 0
	;; [unrolled: 1-line block ×5, first 2 shown]
	s_and_saveexec_b64 s[2:3], vcc
	s_cbranch_execz .LBB683_54
; %bb.53:
	v_mov_b32_e32 v15, 0
	v_lshl_add_u64 v[10:11], s[4:5], 0, v[14:15]
	v_lshlrev_b32_e32 v14, 1, v18
	v_lshl_add_u64 v[10:11], v[10:11], 0, v[14:15]
	global_load_dwordx4 v[10:13], v[10:11], off offset:128
.LBB683_54:
	s_or_b64 exec, exec, s[2:3]
	v_mov_b32_e32 v16, 0
	v_mov_b32_e32 v15, 0
	;; [unrolled: 1-line block ×3, first 2 shown]
	s_and_saveexec_b64 s[2:3], s[0:1]
	s_cbranch_execz .LBB683_56
; %bb.55:
	v_mov_b32_e32 v21, 0
	v_lshl_add_u64 v[14:15], s[4:5], 0, v[20:21]
	v_lshlrev_b32_e32 v20, 1, v18
	v_lshl_add_u64 v[14:15], v[14:15], 0, v[20:21]
	global_load_dwordx4 v[14:17], v[14:15], off offset:128
.LBB683_56:
	s_or_b64 exec, exec, s[2:3]
	s_branch .LBB683_59
.LBB683_57:
                                        ; implicit-def: $vgpr5
                                        ; implicit-def: $vgpr9
                                        ; implicit-def: $vgpr13
                                        ; implicit-def: $vgpr17
	s_cbranch_execz .LBB683_59
; %bb.58:
	s_waitcnt vmcnt(0)
	v_lshlrev_b32_e32 v2, 1, v18
	v_lshl_or_b32 v18, v35, 9, v2
	s_and_b32 s5, s5, 0xffff
	s_mov_b32 s7, 0x20000
	s_movk_i32 s6, 0x4000
	s_movk_i32 s0, 0x80
	buffer_load_dwordx4 v[2:5], v18, s[4:7], 0 offen
	buffer_load_dwordx4 v[6:9], v18, s[4:7], 0 offen offset:256
	buffer_load_dwordx4 v[10:13], v18, s[4:7], s0 offen
	buffer_load_dwordx4 v[14:17], v18, s[4:7], s0 offen offset:256
.LBB683_59:
	ds_read2st64_b64 v[22:25], v19 offset0:76 offset1:77
	ds_read2st64_b64 v[18:21], v19 offset0:78 offset1:79
	ds_read_b64 v[32:33], v26 offset:24576
	ds_read_b64 v[30:31], v27 offset:24576
	ds_read_b64 v[28:29], v28 offset:24576
	ds_read_b64 v[26:27], v36 offset:24576
	v_and_b32_e32 v36, 6, v0
	v_xor_b32_e32 v35, v35, v36
	v_lshlrev_b32_e32 v35, 2, v35
	v_and_b32_e32 v0, 1, v0
	v_xor_b32_e32 v38, 0x440, v35
	v_cmp_eq_u32_e32 vcc, 0, v0
	s_mov_b32 s0, 0x1000504
	s_mov_b32 s1, 0x3020706
	v_cndmask_b32_e32 v0, v38, v35, vcc
	v_lshl_or_b32 v0, v36, 10, v0
	s_waitcnt vmcnt(0)
	v_perm_b32 v35, v2, v6, s0
	v_perm_b32 v36, v10, v14, s0
	ds_write2st64_b32 v0, v35, v36 offset1:32
	v_xor_b32_e32 v35, 8, v0
	v_perm_b32 v2, v2, v6, s1
	v_perm_b32 v6, v10, v14, s1
	v_add_u32_e32 v10, 0x80, v35
	ds_write2st64_b32 v10, v2, v6 offset1:32
	v_xor_b32_e32 v2, 16, v0
	v_perm_b32 v6, v3, v7, s0
	v_perm_b32 v10, v11, v15, s0
	ds_write2st64_b32 v2, v6, v10 offset0:1 offset1:33
	v_xor_b32_e32 v2, 24, v0
	v_perm_b32 v3, v3, v7, s1
	v_perm_b32 v6, v11, v15, s1
	v_add_u32_e32 v2, 0x80, v2
	ds_write2st64_b32 v2, v3, v6 offset0:1 offset1:33
	v_xor_b32_e32 v2, 32, v0
	v_perm_b32 v3, v4, v8, s0
	v_perm_b32 v6, v12, v16, s0
	ds_write2st64_b32 v2, v3, v6 offset0:2 offset1:34
	v_xor_b32_e32 v2, 40, v0
	v_perm_b32 v3, v4, v8, s1
	v_perm_b32 v4, v12, v16, s1
	v_add_u32_e32 v2, 0x80, v2
	ds_write2st64_b32 v2, v3, v4 offset0:2 offset1:34
	v_xor_b32_e32 v2, 48, v0
	v_perm_b32 v3, v5, v9, s0
	v_perm_b32 v4, v13, v17, s0
	v_xor_b32_e32 v0, 56, v0
	v_and_or_b32 v8, v37, 12, v1
	ds_write2st64_b32 v2, v3, v4 offset0:3 offset1:35
	v_perm_b32 v2, v5, v9, s1
	v_perm_b32 v3, v13, v17, s1
	v_add_u32_e32 v0, 0x80, v0
	v_cmp_gt_i32_e64 s[2:3], s27, v8
	v_mov_b32_e32 v10, 0
	v_mov_b32_e32 v15, 0
	ds_write2st64_b32 v0, v2, v3 offset0:3 offset1:35
	s_and_saveexec_b64 s[0:1], s[2:3]
	s_cbranch_execz .LBB683_61
; %bb.60:
	v_add_u32_e32 v0, s26, v8
	v_ashrrev_i32_e32 v1, 31, v0
	v_mul_lo_u32 v2, v1, s30
	v_mul_lo_u32 v3, v0, s31
	v_mad_u64_u32 v[0:1], s[4:5], v0, s30, 0
	v_add3_u32 v1, v1, v3, v2
	v_lshl_add_u64 v[0:1], v[0:1], 2, s[10:11]
	global_load_dword v0, v[0:1], off
	s_waitcnt vmcnt(0)
	v_sub_f32_e32 v0, s12, v0
	v_exp_f32_e32 v15, v0
.LBB683_61:
	s_or_b64 exec, exec, s[0:1]
	v_or_b32_e32 v13, 1, v8
	v_cmp_gt_i32_e64 s[4:5], s27, v13
	s_and_saveexec_b64 s[0:1], s[4:5]
	s_cbranch_execz .LBB683_63
; %bb.62:
	v_add_u32_e32 v0, s26, v13
	v_ashrrev_i32_e32 v1, 31, v0
	v_mul_lo_u32 v2, v1, s30
	v_mul_lo_u32 v3, v0, s31
	v_mad_u64_u32 v[0:1], s[6:7], v0, s30, 0
	v_add3_u32 v1, v1, v3, v2
	v_lshl_add_u64 v[0:1], v[0:1], 2, s[10:11]
	global_load_dword v0, v[0:1], off
	s_waitcnt vmcnt(0)
	v_sub_f32_e32 v0, s12, v0
	v_exp_f32_e32 v10, v0
.LBB683_63:
	s_or_b64 exec, exec, s[0:1]
	v_or_b32_e32 v11, 2, v8
	v_cmp_gt_i32_e32 vcc, s27, v11
	v_mov_b32_e32 v9, 0
	v_mov_b32_e32 v14, 0
	s_and_saveexec_b64 s[0:1], vcc
	s_cbranch_execz .LBB683_65
; %bb.64:
	v_add_u32_e32 v0, s26, v11
	v_ashrrev_i32_e32 v1, 31, v0
	v_mul_lo_u32 v2, v1, s30
	v_mul_lo_u32 v3, v0, s31
	v_mad_u64_u32 v[0:1], s[6:7], v0, s30, 0
	v_add3_u32 v1, v1, v3, v2
	v_lshl_add_u64 v[0:1], v[0:1], 2, s[10:11]
	global_load_dword v0, v[0:1], off
	s_waitcnt vmcnt(0)
	v_sub_f32_e32 v0, s12, v0
	v_exp_f32_e32 v14, v0
.LBB683_65:
	s_or_b64 exec, exec, s[0:1]
	v_or_b32_e32 v12, 3, v8
	v_cmp_gt_i32_e64 s[0:1], s27, v12
	s_and_saveexec_b64 s[6:7], s[0:1]
	s_cbranch_execz .LBB683_67
; %bb.66:
	v_add_u32_e32 v0, s26, v12
	v_ashrrev_i32_e32 v1, 31, v0
	v_mul_lo_u32 v2, v1, s30
	v_mul_lo_u32 v3, v0, s31
	v_mad_u64_u32 v[0:1], s[14:15], v0, s30, 0
	v_add3_u32 v1, v1, v3, v2
	v_lshl_add_u64 v[0:1], v[0:1], 2, s[10:11]
	global_load_dword v0, v[0:1], off
	s_waitcnt vmcnt(0)
	v_sub_f32_e32 v0, s12, v0
	v_exp_f32_e32 v9, v0
.LBB683_67:
	s_or_b64 exec, exec, s[6:7]
	s_waitcnt lgkmcnt(11)
	v_mfma_f32_16x16x16_bf16 a[0:3], v[32:33], v[22:23], a[0:3]
	s_add_u32 s6, s8, s20
	v_ashrrev_i32_e32 v43, 31, v42
	s_addc_u32 s7, s9, s21
	s_waitcnt lgkmcnt(10)
	v_mfma_f32_16x16x16_bf16 a[0:3], v[30:31], v[24:25], a[0:3]
	v_lshlrev_b64 v[0:1], 1, v[42:43]
	v_lshl_add_u64 v[4:5], s[6:7], 0, v[0:1]
	s_add_u32 s6, s28, s20
	s_waitcnt lgkmcnt(9)
	v_mfma_f32_16x16x16_bf16 a[0:3], v[28:29], v[18:19], a[0:3]
	s_addc_u32 s7, s29, s21
	v_lshl_add_u64 v[6:7], s[6:7], 0, v[0:1]
	v_mov_b32_e32 v16, 0
	s_waitcnt lgkmcnt(8)
	v_mfma_f32_16x16x16_bf16 a[0:3], v[26:27], v[20:21], a[0:3]
	v_mov_b32_e32 v17, 0
	s_nop 5
	v_accvgpr_read_b32 v0, a0
	v_accvgpr_read_b32 v1, a1
	;; [unrolled: 1-line block ×4, first 2 shown]
	s_and_saveexec_b64 s[6:7], s[2:3]
	s_cbranch_execz .LBB683_69
; %bb.68:
	v_lshlrev_b32_e32 v18, 8, v8
	v_mov_b32_e32 v19, 0
	v_lshl_add_u64 v[20:21], v[4:5], 0, v[18:19]
	global_load_ushort v17, v[20:21], off
	v_lshl_add_u64 v[18:19], v[6:7], 0, v[18:19]
	s_waitcnt vmcnt(0)
	v_lshlrev_b32_e32 v17, 16, v17
	v_sub_f32_e32 v0, v17, v0
	global_store_short_d16_hi v[18:19], v0, off
	v_mul_f32_e32 v0, v15, v0
	v_lshrrev_b32_e32 v17, 16, v0
.LBB683_69:
	s_or_b64 exec, exec, s[6:7]
	s_and_saveexec_b64 s[2:3], s[4:5]
	s_cbranch_execz .LBB683_71
; %bb.70:
	v_lshlrev_b32_e32 v18, 8, v13
	v_mov_b32_e32 v19, 0
	v_lshl_add_u64 v[20:21], v[4:5], 0, v[18:19]
	global_load_ushort v0, v[20:21], off
	v_lshl_add_u64 v[18:19], v[6:7], 0, v[18:19]
	s_waitcnt vmcnt(0)
	v_lshlrev_b32_e32 v0, 16, v0
	v_sub_f32_e32 v0, v0, v1
	global_store_short_d16_hi v[18:19], v0, off
	v_mul_f32_e32 v0, v10, v0
	v_lshrrev_b32_e32 v16, 16, v0
.LBB683_71:
	s_or_b64 exec, exec, s[2:3]
	v_mov_b32_e32 v0, 0
	v_mov_b32_e32 v1, 0
	s_and_saveexec_b64 s[2:3], vcc
	s_cbranch_execz .LBB683_73
; %bb.72:
	v_lshlrev_b32_e32 v10, 8, v11
	v_mov_b32_e32 v11, 0
	v_lshl_add_u64 v[18:19], v[4:5], 0, v[10:11]
	global_load_ushort v1, v[18:19], off
	v_lshl_add_u64 v[10:11], v[6:7], 0, v[10:11]
	s_waitcnt vmcnt(0)
	v_lshlrev_b32_e32 v1, 16, v1
	v_sub_f32_e32 v1, v1, v2
	global_store_short_d16_hi v[10:11], v1, off
	v_mul_f32_e32 v1, v14, v1
	v_lshrrev_b32_e32 v1, 16, v1
.LBB683_73:
	s_or_b64 exec, exec, s[2:3]
	s_and_saveexec_b64 s[2:3], s[0:1]
	s_cbranch_execz .LBB683_75
; %bb.74:
	v_lshlrev_b32_e32 v10, 8, v12
	v_mov_b32_e32 v11, 0
	v_lshl_add_u64 v[4:5], v[4:5], 0, v[10:11]
	global_load_ushort v0, v[4:5], off
	v_lshl_add_u64 v[4:5], v[6:7], 0, v[10:11]
	s_waitcnt vmcnt(0)
	v_lshlrev_b32_e32 v0, 16, v0
	v_sub_f32_e32 v0, v0, v3
	global_store_short_d16_hi v[4:5], v0, off
	v_mul_f32_e32 v0, v9, v0
	v_lshrrev_b32_e32 v0, 16, v0
.LBB683_75:
	s_or_b64 exec, exec, s[2:3]
	s_mov_b32 s0, 0x5040100
	v_lshlrev_b32_e32 v2, 1, v34
	v_perm_b32 v1, v0, v1, s0
	v_perm_b32 v0, v16, v17, s0
	v_lshl_or_b32 v2, v8, 5, v2
	ds_write_b64 v2, v[0:1] offset:38912
	s_waitcnt lgkmcnt(0)
	s_barrier
.LBB683_76:
	s_endpgm
	.section	.rodata,"a",@progbits
	.p2align	6, 0x0
	.amdhsa_kernel _ZN12_GLOBAL__N_139chunk_gated_delta_rule_fwd_h_hip_kernelILi16ELb1ELb0ELb1ELb0ELb1ELb0ELb1ELb0EEEvPK12hip_bfloat16S3_S3_PKfS5_PKvPS1_S8_PvPKiSB_iiiiilll
		.amdhsa_group_segment_fixed_size 40960
		.amdhsa_private_segment_fixed_size 0
		.amdhsa_kernarg_size 136
		.amdhsa_user_sgpr_count 2
		.amdhsa_user_sgpr_dispatch_ptr 0
		.amdhsa_user_sgpr_queue_ptr 0
		.amdhsa_user_sgpr_kernarg_segment_ptr 1
		.amdhsa_user_sgpr_dispatch_id 0
		.amdhsa_user_sgpr_kernarg_preload_length 0
		.amdhsa_user_sgpr_kernarg_preload_offset 0
		.amdhsa_user_sgpr_private_segment_size 0
		.amdhsa_uses_dynamic_stack 0
		.amdhsa_enable_private_segment 0
		.amdhsa_system_sgpr_workgroup_id_x 1
		.amdhsa_system_sgpr_workgroup_id_y 1
		.amdhsa_system_sgpr_workgroup_id_z 0
		.amdhsa_system_sgpr_workgroup_info 0
		.amdhsa_system_vgpr_workitem_id 0
		.amdhsa_next_free_vgpr 116
		.amdhsa_next_free_sgpr 68
		.amdhsa_accum_offset 108
		.amdhsa_reserve_vcc 1
		.amdhsa_float_round_mode_32 0
		.amdhsa_float_round_mode_16_64 0
		.amdhsa_float_denorm_mode_32 3
		.amdhsa_float_denorm_mode_16_64 3
		.amdhsa_dx10_clamp 1
		.amdhsa_ieee_mode 1
		.amdhsa_fp16_overflow 0
		.amdhsa_tg_split 0
		.amdhsa_exception_fp_ieee_invalid_op 0
		.amdhsa_exception_fp_denorm_src 0
		.amdhsa_exception_fp_ieee_div_zero 0
		.amdhsa_exception_fp_ieee_overflow 0
		.amdhsa_exception_fp_ieee_underflow 0
		.amdhsa_exception_fp_ieee_inexact 0
		.amdhsa_exception_int_div_zero 0
	.end_amdhsa_kernel
	.section	.text._ZN12_GLOBAL__N_139chunk_gated_delta_rule_fwd_h_hip_kernelILi16ELb1ELb0ELb1ELb0ELb1ELb0ELb1ELb0EEEvPK12hip_bfloat16S3_S3_PKfS5_PKvPS1_S8_PvPKiSB_iiiiilll,"axG",@progbits,_ZN12_GLOBAL__N_139chunk_gated_delta_rule_fwd_h_hip_kernelILi16ELb1ELb0ELb1ELb0ELb1ELb0ELb1ELb0EEEvPK12hip_bfloat16S3_S3_PKfS5_PKvPS1_S8_PvPKiSB_iiiiilll,comdat
.Lfunc_end683:
	.size	_ZN12_GLOBAL__N_139chunk_gated_delta_rule_fwd_h_hip_kernelILi16ELb1ELb0ELb1ELb0ELb1ELb0ELb1ELb0EEEvPK12hip_bfloat16S3_S3_PKfS5_PKvPS1_S8_PvPKiSB_iiiiilll, .Lfunc_end683-_ZN12_GLOBAL__N_139chunk_gated_delta_rule_fwd_h_hip_kernelILi16ELb1ELb0ELb1ELb0ELb1ELb0ELb1ELb0EEEvPK12hip_bfloat16S3_S3_PKfS5_PKvPS1_S8_PvPKiSB_iiiiilll
                                        ; -- End function
	.section	.AMDGPU.csdata,"",@progbits
; Kernel info:
; codeLenInByte = 7268
; NumSgprs: 74
; NumVgprs: 108
; NumAgprs: 8
; TotalNumVgprs: 116
; ScratchSize: 0
; MemoryBound: 0
; FloatMode: 240
; IeeeMode: 1
; LDSByteSize: 40960 bytes/workgroup (compile time only)
; SGPRBlocks: 9
; VGPRBlocks: 14
; NumSGPRsForWavesPerEU: 74
; NumVGPRsForWavesPerEU: 116
; AccumOffset: 108
; Occupancy: 1
; WaveLimiterHint : 1
; COMPUTE_PGM_RSRC2:SCRATCH_EN: 0
; COMPUTE_PGM_RSRC2:USER_SGPR: 2
; COMPUTE_PGM_RSRC2:TRAP_HANDLER: 0
; COMPUTE_PGM_RSRC2:TGID_X_EN: 1
; COMPUTE_PGM_RSRC2:TGID_Y_EN: 1
; COMPUTE_PGM_RSRC2:TGID_Z_EN: 0
; COMPUTE_PGM_RSRC2:TIDIG_COMP_CNT: 0
; COMPUTE_PGM_RSRC3_GFX90A:ACCUM_OFFSET: 26
; COMPUTE_PGM_RSRC3_GFX90A:TG_SPLIT: 0
	.section	.text._ZN12_GLOBAL__N_139chunk_gated_delta_rule_fwd_h_hip_kernelILi16ELb1ELb0ELb0ELb0ELb1ELb0ELb1ELb0EEEvPK12hip_bfloat16S3_S3_PKfS5_PKvPS1_S8_PvPKiSB_iiiiilll,"axG",@progbits,_ZN12_GLOBAL__N_139chunk_gated_delta_rule_fwd_h_hip_kernelILi16ELb1ELb0ELb0ELb0ELb1ELb0ELb1ELb0EEEvPK12hip_bfloat16S3_S3_PKfS5_PKvPS1_S8_PvPKiSB_iiiiilll,comdat
	.globl	_ZN12_GLOBAL__N_139chunk_gated_delta_rule_fwd_h_hip_kernelILi16ELb1ELb0ELb0ELb0ELb1ELb0ELb1ELb0EEEvPK12hip_bfloat16S3_S3_PKfS5_PKvPS1_S8_PvPKiSB_iiiiilll ; -- Begin function _ZN12_GLOBAL__N_139chunk_gated_delta_rule_fwd_h_hip_kernelILi16ELb1ELb0ELb0ELb0ELb1ELb0ELb1ELb0EEEvPK12hip_bfloat16S3_S3_PKfS5_PKvPS1_S8_PvPKiSB_iiiiilll
	.p2align	8
	.type	_ZN12_GLOBAL__N_139chunk_gated_delta_rule_fwd_h_hip_kernelILi16ELb1ELb0ELb0ELb0ELb1ELb0ELb1ELb0EEEvPK12hip_bfloat16S3_S3_PKfS5_PKvPS1_S8_PvPKiSB_iiiiilll,@function
_ZN12_GLOBAL__N_139chunk_gated_delta_rule_fwd_h_hip_kernelILi16ELb1ELb0ELb0ELb0ELb1ELb0ELb1ELb0EEEvPK12hip_bfloat16S3_S3_PKfS5_PKvPS1_S8_PvPKiSB_iiiiilll: ; @_ZN12_GLOBAL__N_139chunk_gated_delta_rule_fwd_h_hip_kernelILi16ELb1ELb0ELb0ELb0ELb1ELb0ELb1ELb0EEEvPK12hip_bfloat16S3_S3_PKfS5_PKvPS1_S8_PvPKiSB_iiiiilll
; %bb.0:
	s_load_dwordx4 s[12:15], s[0:1], 0x5c
	s_load_dwordx4 s[16:19], s[0:1], 0x28
	s_abs_i32 s6, s3
	s_ashr_i32 s5, s3, 31
	v_and_b32_e32 v51, 15, v0
	s_waitcnt lgkmcnt(0)
	s_abs_i32 s4, s13
	v_cvt_f32_u32_e32 v1, s4
	s_sub_i32 s8, 0, s4
	s_ashr_i32 s7, s13, 31
	s_xor_b32 s5, s5, s7
	v_rcp_iflag_f32_e32 v1, v1
	v_lshrrev_b32_e32 v49, 6, v0
	v_bfe_u32 v50, v0, 4, 2
	v_mov_b32_e32 v5, 0
	v_mul_f32_e32 v1, 0x4f7ffffe, v1
	v_cvt_u32_f32_e32 v1, v1
	v_and_b32_e32 v48, 63, v0
	v_lshrrev_b32_e32 v53, 3, v48
	v_lshlrev_b32_e32 v52, 3, v0
	v_readfirstlane_b32 s9, v1
	s_mul_i32 s8, s8, s9
	s_mul_hi_u32 s8, s9, s8
	s_add_i32 s9, s9, s8
	s_mul_hi_u32 s8, s6, s9
	s_mul_i32 s9, s8, s4
	s_sub_i32 s6, s6, s9
	s_add_i32 s10, s8, 1
	s_sub_i32 s9, s6, s4
	s_cmp_ge_u32 s6, s4
	s_cselect_b32 s8, s10, s8
	s_cselect_b32 s6, s9, s6
	s_add_i32 s9, s8, 1
	s_cmp_ge_u32 s6, s4
	s_cselect_b32 s6, s9, s8
	s_xor_b32 s6, s6, s5
	s_sub_i32 s48, s6, s5
	s_mul_i32 s6, s48, s13
	s_sub_i32 s46, s3, s6
	s_abs_i32 s3, s14
	v_cvt_f32_u32_e32 v1, s3
	s_add_i32 s8, s12, 63
	s_ashr_i32 s9, s8, 31
	s_lshr_b32 s5, s9, 26
	v_rcp_iflag_f32_e32 v1, v1
	s_ashr_i32 s47, s12, 31
	s_add_i32 s8, s8, s5
	s_lshr_b32 s5, s47, 26
	v_mul_f32_e32 v1, 0x4f7ffffe, v1
	v_cvt_u32_f32_e32 v1, v1
	s_add_i32 s5, s12, s5
	s_ashr_i32 s51, s14, 31
	s_ashr_i32 s24, s8, 6
	;; [unrolled: 1-line block ×3, first 2 shown]
	s_xor_b32 s5, s7, s51
	s_sub_i32 s7, 0, s3
	v_readfirstlane_b32 s8, v1
	s_mul_i32 s7, s7, s8
	s_mul_hi_u32 s7, s8, s7
	s_add_i32 s8, s8, s7
	s_mul_hi_u32 s7, s4, s8
	s_mul_i32 s8, s7, s3
	s_sub_i32 s4, s4, s8
	s_lshl_b32 s2, s2, 4
	s_add_i32 s8, s7, 1
	s_sub_i32 s9, s4, s3
	s_cmp_ge_u32 s4, s3
	s_cselect_b32 s7, s8, s7
	s_cselect_b32 s4, s9, s4
	s_add_i32 s8, s7, 1
	s_cmp_ge_u32 s4, s3
	s_cselect_b32 s3, s8, s7
	s_xor_b32 s3, s3, s5
	s_sub_i32 s3, s3, s5
	s_abs_i32 s4, s3
	v_cvt_f32_u32_e32 v1, s4
	s_sub_i32 s7, 0, s4
	s_abs_i32 s5, s46
	s_xor_b32 s3, s46, s3
	v_rcp_iflag_f32_e32 v1, v1
	s_ashr_i32 s3, s3, 31
	v_or_b32_e32 v42, s2, v51
	v_lshlrev_b32_e32 v2, 7, v42
	v_mul_f32_e32 v1, 0x4f7ffffe, v1
	v_cvt_u32_f32_e32 v1, v1
	v_ashrrev_i32_e32 v3, 31, v2
	s_mul_i32 s53, s48, s24
	v_readfirstlane_b32 s8, v1
	s_mul_i32 s7, s7, s8
	s_mul_hi_u32 s7, s8, s7
	s_add_i32 s8, s8, s7
	s_mul_hi_u32 s7, s5, s8
	s_mul_i32 s8, s7, s4
	s_sub_i32 s5, s5, s8
	s_add_i32 s8, s7, 1
	s_sub_i32 s9, s5, s4
	s_cmp_ge_u32 s5, s4
	s_cselect_b32 s7, s8, s7
	s_cselect_b32 s5, s9, s5
	s_add_i32 s8, s7, 1
	s_cmp_ge_u32 s5, s4
	s_cselect_b32 s4, s8, s7
	s_xor_b32 s4, s4, s3
	s_sub_i32 s52, s4, s3
	s_ashr_i32 s3, s48, 31
	s_ashr_i32 s50, s46, 31
	s_mul_hi_i32 s4, s48, s13
	s_add_u32 s36, s6, s46
	s_addc_u32 s37, s4, s50
	s_lshl_b64 s[4:5], s[36:37], 16
	v_lshlrev_b32_e32 v1, 4, v49
	s_add_u32 s4, s16, s4
	v_lshl_or_b32 v54, v50, 2, v1
	s_addc_u32 s5, s17, s5
	v_lshl_add_u64 v[2:3], v[2:3], 2, s[4:5]
	v_lshlrev_b32_e32 v4, 2, v54
	v_lshl_add_u64 v[10:11], v[2:3], 0, v[4:5]
	global_load_dwordx4 v[6:9], v[10:11], off
	global_load_dwordx4 v[2:5], v[10:11], off offset:256
	s_load_dwordx8 s[4:11], s[0:1], 0x0
	s_load_dwordx2 s[28:29], s[0:1], 0x80
	s_load_dwordx4 s[20:23], s[0:1], 0x70
	v_or_b32_e32 v55, 64, v54
	s_cmp_lt_i32 s12, 64
	s_mul_i32 s54, s37, s12
	s_mul_hi_u32 s55, s36, s12
	s_mul_i32 s16, s36, s12
	s_waitcnt lgkmcnt(0)
	s_mul_i32 s33, s48, s21
	s_mul_hi_u32 s42, s48, s20
	s_mul_i32 s43, s3, s20
	s_mul_i32 s34, s48, s20
	;; [unrolled: 1-line block ×3, first 2 shown]
	s_mul_hi_u32 s44, s46, s22
	s_mul_i32 s45, s50, s22
	s_mul_i32 s30, s46, s22
	s_cbranch_scc1 .LBB684_3
; %bb.1:
	s_add_i32 s17, s55, s54
	s_lshl_b64 s[0:1], s[16:17], 8
	v_and_b32_e32 v57, 56, v52
	s_add_u32 s20, s6, s0
	v_lshl_or_b32 v56, v49, 3, v53
	v_lshlrev_b32_e32 v10, 1, v57
	s_addc_u32 s0, s7, s1
	v_lshl_or_b32 v58, v56, 8, v10
	s_and_b32 s21, s0, 0xffff
	s_mov_b32 s23, 0x20000
	s_movk_i32 s22, 0x4000
	s_movk_i32 s0, 0x80
	v_or_b32_e32 v59, 0x2000, v58
	buffer_load_dwordx4 v[12:15], v58, s[20:23], 0 offen
	buffer_load_dwordx4 v[16:19], v58, s[20:23], s0 offen
	;; [unrolled: 1-line block ×4, first 2 shown]
	v_lshlrev_b32_e32 v11, 3, v56
	v_and_or_b32 v29, v0, 7, v11
	v_and_b32_e32 v11, 0x78, v11
	v_lshlrev_b32_e32 v29, 4, v29
	v_xor_b32_e32 v60, v29, v11
	v_mul_lo_u32 v28, v56, s15
	v_or_b32_e32 v61, 0x1000, v60
	v_xor_b32_e32 v11, 8, v60
	s_cmpk_eq_i32 s15, 0x80
	s_mov_b32 s56, s14
	v_xor_b32_e32 v29, 8, v61
	s_cselect_b64 s[0:1], -1, 0
	s_cmpk_lg_i32 s15, 0x80
	s_waitcnt vmcnt(3)
	ds_write_b64 v60, v[12:13] offset:16384
	ds_write_b64 v11, v[14:15] offset:16384
	s_waitcnt vmcnt(2)
	ds_write_b64 v60, v[16:17] offset:24576
	ds_write_b64 v11, v[18:19] offset:24576
	;; [unrolled: 3-line block ×4, first 2 shown]
	v_lshl_add_u32 v11, v28, 1, v57
	s_cbranch_scc0 .LBB684_29
; %bb.2:
	v_lshlrev_b32_e32 v13, 1, v11
	v_add_lshl_u32 v12, v11, s15, 1
	s_lshl_b32 s22, s15, 7
	v_lshl_or_b32 v10, v56, 9, v10
	s_cbranch_execz .LBB684_30
	s_branch .LBB684_31
.LBB684_3:
	s_waitcnt vmcnt(0)
	v_mov_b32_e32 v10, v5
	v_mov_b32_e32 v11, v9
.LBB684_4:
	s_lshl_b32 s26, s49, 6
	s_sub_i32 s27, s12, s26
	s_cmp_gt_i32 s27, 0
	s_cbranch_scc0 .LBB684_76
; %bb.5:
	s_ashr_i32 s3, s26, 31
	s_cmpk_lg_i32 s15, 0x80
	s_cselect_b64 s[22:23], -1, 0
	s_and_b64 vcc, exec, s[22:23]
	s_cbranch_vccz .LBB684_7
; %bb.6:
	s_mul_i32 s1, s48, s12
	s_mul_hi_i32 s0, s48, s12
	s_add_u32 s1, s1, s26
	s_addc_u32 s0, s0, s3
	s_mul_i32 s17, s1, s51
	s_mul_hi_u32 s20, s1, s14
	s_add_i32 s17, s20, s17
	s_mul_i32 s0, s0, s14
	s_add_i32 s17, s17, s0
	s_mul_i32 s1, s1, s14
	s_ashr_i32 s0, s52, 31
	s_add_u32 s24, s1, s52
	s_addc_u32 s25, s17, s0
	s_cbranch_execz .LBB684_8
	s_branch .LBB684_9
.LBB684_7:
                                        ; implicit-def: $sgpr24_sgpr25
.LBB684_8:
	s_mul_hi_i32 s0, s48, s14
	s_mul_i32 s48, s48, s14
	s_ashr_i32 s1, s52, 31
	s_add_u32 s14, s48, s52
	s_addc_u32 s0, s0, s1
	s_mul_i32 s1, s14, s47
	s_mul_hi_u32 s17, s14, s12
	s_add_i32 s1, s17, s1
	s_mul_i32 s0, s0, s12
	s_add_i32 s1, s1, s0
	s_mul_i32 s14, s14, s12
	s_add_u32 s24, s14, s26
	s_addc_u32 s25, s1, s3
.LBB684_9:
	s_mul_i32 s0, s36, s47
	s_add_i32 s0, s55, s0
	s_add_i32 s14, s53, s49
	;; [unrolled: 1-line block ×3, first 2 shown]
	s_add_u32 s0, s16, s26
	s_addc_u32 s1, s1, s3
	s_mov_b32 s3, 0x7060302
	v_perm_b32 v5, v10, v4, s3
	v_perm_b32 v4, v3, v2, s3
	v_lshlrev_b32_e32 v2, 3, v51
	s_lshl_b64 s[20:21], s[0:1], 8
	v_perm_b32 v9, v11, v8, s3
	v_perm_b32 v8, v7, v6, s3
	s_waitcnt vmcnt(2)
	v_lshlrev_b32_e32 v34, 2, v51
	v_lshl_or_b32 v2, v54, 5, v2
	s_add_u32 s0, s6, s20
	ds_write2st64_b64 v2, v[8:9], v[4:5] offset0:72 offset1:76
	v_xor_b32_e32 v2, v54, v34
	v_lshlrev_b32_e32 v3, 8, v51
	s_addc_u32 s1, s7, s21
	v_lshl_or_b32 v2, v2, 1, v3
	s_mul_hi_i32 s3, s14, s13
	s_mul_i32 s14, s14, s13
	ds_write_b64 v2, v[8:9] offset:32768
	v_xor_b32_e32 v2, v55, v34
	s_add_u32 s6, s14, s46
	v_lshl_or_b32 v2, v2, 1, v3
	s_addc_u32 s7, s3, s50
	v_lshlrev_b32_e32 v3, 1, v51
	ds_write_b64 v2, v[4:5] offset:32768
	v_lshrrev_b32_e32 v2, 4, v0
	s_ashr_i32 s3, s2, 31
	s_lshl_b64 s[6:7], s[6:7], 15
	v_or_b32_e32 v4, 1, v3
	s_add_u32 s6, s18, s6
	v_xor_b32_e32 v3, v2, v3
	v_xor_b32_e32 v4, v4, v2
	v_lshlrev_b32_e32 v6, 8, v2
	s_addc_u32 s7, s19, s7
	s_lshl_b64 s[2:3], s[2:3], 8
	v_lshl_or_b32 v2, v3, 3, v6
	v_lshl_or_b32 v4, v4, 3, v6
	s_waitcnt lgkmcnt(0)
	s_barrier
	s_add_u32 s2, s6, s2
	ds_read_b64 v[2:3], v2 offset:32768
	ds_read_b64 v[4:5], v4 offset:32768
	s_addc_u32 s3, s7, s3
	v_mov_b32_e32 v7, 0
	s_cmp_lg_u32 s27, 64
	v_lshl_add_u64 v[8:9], s[2:3], 0, v[6:7]
	v_lshlrev_b32_e32 v6, 4, v51
	s_cselect_b64 s[6:7], -1, 0
	v_lshl_or_b32 v35, v49, 3, v53
	s_mov_b32 s16, 0
	v_lshl_add_u64 v[6:7], v[8:9], 0, v[6:7]
	v_or_b32_e32 v19, 32, v35
	v_and_b32_e32 v18, 56, v52
	s_and_b64 vcc, exec, s[6:7]
	s_waitcnt lgkmcnt(0)
	global_store_dwordx4 v[6:7], v[2:5], off
	s_cbranch_vccz .LBB684_15
; %bb.10:
	s_mov_b32 s17, s16
	s_mov_b32 s18, s16
	;; [unrolled: 1-line block ×3, first 2 shown]
	v_mov_b64_e32 v[6:7], s[16:17]
	v_mov_b64_e32 v[8:9], s[18:19]
	;; [unrolled: 1-line block ×3, first 2 shown]
	v_cmp_gt_i32_e32 vcc, s27, v35
	v_mov_b64_e32 v[4:5], v[8:9]
	s_and_saveexec_b64 s[2:3], vcc
	s_cbranch_execz .LBB684_12
; %bb.11:
	v_lshlrev_b32_e32 v2, 8, v35
	v_mov_b32_e32 v3, 0
	v_lshl_add_u64 v[4:5], s[0:1], 0, v[2:3]
	v_lshlrev_b32_e32 v2, 1, v18
	v_lshl_add_u64 v[10:11], v[4:5], 0, v[2:3]
	global_load_dwordx4 v[6:9], v[10:11], off
	global_load_dwordx4 v[2:5], v[10:11], off offset:128
.LBB684_12:
	s_or_b64 exec, exec, s[2:3]
	s_mov_b32 s17, s16
	s_mov_b32 s18, s16
	;; [unrolled: 1-line block ×3, first 2 shown]
	v_mov_b64_e32 v[14:15], s[16:17]
	v_mov_b64_e32 v[16:17], s[18:19]
	;; [unrolled: 1-line block ×3, first 2 shown]
	v_cmp_gt_i32_e32 vcc, s27, v19
	v_lshlrev_b32_e32 v20, 7, v19
	v_mov_b64_e32 v[12:13], v[16:17]
	s_and_saveexec_b64 s[2:3], vcc
	s_cbranch_execz .LBB684_14
; %bb.13:
	v_lshlrev_b32_e32 v10, 1, v20
	v_mov_b32_e32 v11, 0
	v_lshl_add_u64 v[12:13], s[0:1], 0, v[10:11]
	v_lshlrev_b32_e32 v10, 1, v18
	v_lshl_add_u64 v[22:23], v[12:13], 0, v[10:11]
	global_load_dwordx4 v[14:17], v[22:23], off
	global_load_dwordx4 v[10:13], v[22:23], off offset:128
.LBB684_14:
	s_or_b64 exec, exec, s[2:3]
	v_lshrrev_b32_e32 v21, 3, v18
	v_lshlrev_b32_e32 v22, 3, v35
	v_or_b32_e32 v21, v22, v21
	v_lshlrev_b32_e32 v21, 4, v21
	v_and_b32_e32 v22, 0x78, v22
	v_xor_b32_e32 v21, v21, v22
	s_branch .LBB684_17
.LBB684_15:
                                        ; implicit-def: $vgpr21
                                        ; implicit-def: $vgpr20
                                        ; implicit-def: $vgpr6_vgpr7_vgpr8_vgpr9
                                        ; implicit-def: $vgpr2_vgpr3_vgpr4_vgpr5
                                        ; implicit-def: $vgpr14_vgpr15_vgpr16_vgpr17
                                        ; implicit-def: $vgpr10_vgpr11_vgpr12_vgpr13
	s_cbranch_execz .LBB684_17
; %bb.16:
	s_waitcnt vmcnt(0)
	v_lshlrev_b32_e32 v2, 1, v18
	v_lshl_or_b32 v20, v35, 8, v2
	s_and_b32 s1, s1, 0xffff
	s_mov_b32 s3, 0x20000
	s_movk_i32 s2, 0x4000
	v_lshl_or_b32 v21, v19, 8, v2
	s_movk_i32 s13, 0x80
	buffer_load_dwordx4 v[6:9], v20, s[0:3], 0 offen
	buffer_load_dwordx4 v[2:5], v20, s[0:3], s13 offen
	;; [unrolled: 1-line block ×4, first 2 shown]
	v_lshrrev_b32_e32 v20, 3, v18
	v_lshlrev_b32_e32 v21, 3, v35
	v_or_b32_e32 v20, v21, v20
	v_lshlrev_b32_e32 v20, 4, v20
	v_and_b32_e32 v21, 0x78, v21
	v_xor_b32_e32 v21, v20, v21
	v_lshlrev_b32_e32 v20, 7, v19
.LBB684_17:
	s_lshl_b64 s[0:1], s[24:25], 8
	s_add_u32 s4, s4, s0
	s_movk_i32 s0, 0x1000
	v_and_or_b32 v19, v20, s0, v21
	s_waitcnt vmcnt(1)
	ds_write_b64 v21, v[6:7] offset:16384
	v_xor_b32_e32 v6, 8, v21
	ds_write_b64 v6, v[8:9] offset:16384
	s_waitcnt vmcnt(0)
	ds_write_b64 v21, v[2:3] offset:24576
	ds_write_b64 v6, v[4:5] offset:24576
	;; [unrolled: 1-line block ×3, first 2 shown]
	v_xor_b32_e32 v2, 8, v19
	ds_write_b64 v2, v[16:17] offset:16384
	ds_write_b64 v19, v[10:11] offset:24576
	;; [unrolled: 1-line block ×3, first 2 shown]
	v_or_b32_e32 v2, v1, v51
	s_addc_u32 s5, s5, s1
	s_add_i32 s0, s12, -1
	v_lshlrev_b32_e32 v2, 3, v2
	v_lshrrev_b32_e32 v4, 5, v48
	s_movk_i32 s12, 0xf8
	v_and_or_b32 v4, v2, s12, v4
	v_lshlrev_b32_e32 v3, 11, v49
	v_lshlrev_b32_e32 v12, 4, v4
	v_and_b32_e32 v13, 0x78, v2
	v_and_b32_e32 v14, 0x1000, v3
	v_lshlrev_b32_e32 v3, 2, v0
	v_xor_b32_e32 v2, v12, v13
	v_lshrrev_b32_e32 v4, 1, v48
	v_and_b32_e32 v3, 60, v3
	v_or_b32_e32 v2, v2, v14
	v_and_b32_e32 v15, 8, v4
	v_xor_b32_e32 v26, v2, v15
	v_lshl_or_b32 v2, v50, 6, v3
	v_lshlrev_b32_e32 v19, 1, v2
	v_or_b32_e32 v2, 32, v12
	v_xor_b32_e32 v2, v2, v13
	s_waitcnt lgkmcnt(0)
	s_barrier
	ds_read_b64 v[10:11], v26 offset:16384
	v_or_b32_e32 v2, v2, v14
	v_xor_b32_e32 v27, v2, v15
	v_or_b32_e32 v2, 64, v12
	v_xor_b32_e32 v2, v2, v13
	v_or_b32_e32 v2, v2, v14
	v_or_b32_e32 v12, 0x60, v12
	v_xor_b32_e32 v28, v2, v15
	ds_read2st64_b64 v[2:5], v19 offset0:72 offset1:73
	ds_read2st64_b64 v[6:9], v19 offset0:74 offset1:75
	v_xor_b32_e32 v16, v12, v13
	ds_read_b64 v[12:13], v27 offset:16384
	s_add_i32 s1, s42, s33
	s_waitcnt lgkmcnt(2)
	v_mfma_f32_16x16x16_bf16 a[0:3], v[10:11], v[2:3], 0
	s_add_i32 s35, s1, s43
	s_add_i32 s1, s44, s37
	;; [unrolled: 1-line block ×3, first 2 shown]
	s_ashr_i32 s1, s0, 31
	s_mul_i32 s2, s0, s29
	s_mul_hi_u32 s3, s0, s28
	s_add_i32 s2, s3, s2
	s_mul_i32 s1, s1, s28
	v_or_b32_e32 v14, v16, v14
	s_add_i32 s1, s2, s1
	s_lshl_b64 s[2:3], s[34:35], 2
	v_xor_b32_e32 v36, v14, v15
	ds_read_b64 v[14:15], v28 offset:16384
	ds_read_b64 v[16:17], v36 offset:16384
	s_waitcnt lgkmcnt(2)
	v_mfma_f32_16x16x16_bf16 a[0:3], v[12:13], v[4:5], a[0:3]
	s_add_u32 s10, s10, s2
	s_addc_u32 s11, s11, s3
	s_lshl_b64 s[2:3], s[30:31], 2
	s_mul_i32 s0, s0, s28
	s_add_u32 s10, s10, s2
	s_addc_u32 s11, s11, s3
	s_lshl_b64 s[0:1], s[0:1], 2
	s_waitcnt lgkmcnt(1)
	v_mfma_f32_16x16x16_bf16 a[0:3], v[14:15], v[6:7], a[0:3]
	s_add_u32 s0, s10, s0
	s_addc_u32 s1, s11, s1
	s_load_dword s12, s[0:1], 0x0
	s_waitcnt lgkmcnt(0)
	v_mfma_f32_16x16x16_bf16 a[0:3], v[16:17], v[8:9], a[0:3]
	s_and_b64 vcc, exec, s[22:23]
	s_cbranch_vccz .LBB684_28
; %bb.18:
	v_lshlrev_b32_e32 v20, 1, v35
	s_and_b64 vcc, exec, s[6:7]
	s_cbranch_vccz .LBB684_44
; %bb.19:
	v_cmp_gt_i32_e32 vcc, s27, v20
	v_mov_b32_e32 v6, 0
	v_mov_b32_e32 v2, 0
	;; [unrolled: 1-line block ×5, first 2 shown]
	s_and_saveexec_b64 s[0:1], vcc
	s_cbranch_execz .LBB684_21
; %bb.20:
	v_mad_i64_i32 v[2:3], s[2:3], s15, v20, 0
	v_lshl_add_u64 v[2:3], v[2:3], 1, s[4:5]
	v_lshlrev_b32_e32 v4, 1, v18
	v_mov_b32_e32 v5, 0
	v_lshl_add_u64 v[2:3], v[2:3], 0, v[4:5]
	global_load_dwordx4 v[2:5], v[2:3], off
.LBB684_21:
	s_or_b64 exec, exec, s[0:1]
	v_or_b32_e32 v21, 1, v20
	v_cmp_gt_i32_e64 s[0:1], s27, v21
	v_mov_b32_e32 v7, 0
	v_mov_b32_e32 v8, 0
	;; [unrolled: 1-line block ×3, first 2 shown]
	s_and_saveexec_b64 s[2:3], s[0:1]
	s_cbranch_execz .LBB684_23
; %bb.22:
	v_mad_i64_i32 v[6:7], s[16:17], s15, v21, 0
	v_lshl_add_u64 v[6:7], v[6:7], 1, s[4:5]
	v_lshlrev_b32_e32 v8, 1, v18
	v_mov_b32_e32 v9, 0
	v_lshl_add_u64 v[6:7], v[6:7], 0, v[8:9]
	global_load_dwordx4 v[6:9], v[6:7], off
.LBB684_23:
	s_or_b64 exec, exec, s[2:3]
	v_mov_b32_e32 v17, 0
	v_mov_b32_e32 v10, 0
	v_mov_b32_e32 v11, 0
	v_mov_b32_e32 v12, 0
	v_mov_b32_e32 v13, 0
	s_and_saveexec_b64 s[2:3], vcc
	s_cbranch_execz .LBB684_25
; %bb.24:
	v_mad_i64_i32 v[10:11], s[16:17], s15, v20, 0
	v_lshl_add_u64 v[10:11], v[10:11], 1, s[4:5]
	v_lshlrev_b32_e32 v12, 1, v18
	v_mov_b32_e32 v13, 0
	v_lshl_add_u64 v[10:11], v[10:11], 0, v[12:13]
	global_load_dwordx4 v[10:13], v[10:11], off offset:128
.LBB684_25:
	s_or_b64 exec, exec, s[2:3]
	v_mov_b32_e32 v16, 0
	v_mov_b32_e32 v15, 0
	;; [unrolled: 1-line block ×3, first 2 shown]
	s_and_saveexec_b64 s[2:3], s[0:1]
	s_cbranch_execz .LBB684_27
; %bb.26:
	v_mad_i64_i32 v[14:15], s[0:1], s15, v21, 0
	v_lshl_add_u64 v[14:15], v[14:15], 1, s[4:5]
	v_lshlrev_b32_e32 v16, 1, v18
	v_mov_b32_e32 v17, 0
	v_lshl_add_u64 v[14:15], v[14:15], 0, v[16:17]
	global_load_dwordx4 v[14:17], v[14:15], off offset:128
.LBB684_27:
	s_or_b64 exec, exec, s[2:3]
	s_branch .LBB684_46
.LBB684_28:
                                        ; implicit-def: $vgpr5
                                        ; implicit-def: $vgpr9
                                        ; implicit-def: $vgpr13
                                        ; implicit-def: $vgpr17
	v_lshrrev_b32_e32 v37, 2, v48
	s_branch .LBB684_47
.LBB684_29:
                                        ; implicit-def: $vgpr12
                                        ; implicit-def: $vgpr13
                                        ; implicit-def: $sgpr22
	v_lshl_or_b32 v10, v56, 9, v10
.LBB684_30:
	v_or_b32_e32 v12, 0x100, v10
	s_movk_i32 s22, 0x4000
	v_mov_b32_e32 v13, v10
.LBB684_31:
	s_mul_hi_u32 s20, s14, s12
	s_mul_i32 s21, s51, s12
	s_add_i32 s20, s20, s21
	s_mul_i32 s21, s14, s12
	s_mul_i32 s23, s21, s3
	s_mul_hi_u32 s24, s21, s48
	s_add_i32 s23, s24, s23
	s_mul_i32 s20, s20, s48
	s_add_i32 s23, s23, s20
	s_mul_i32 s21, s21, s48
	s_ashr_i32 s57, s52, 31
	s_add_u32 s20, s21, s52
	s_addc_u32 s21, s23, s57
	s_lshl_b64 s[20:21], s[20:21], 8
	s_add_u32 s20, s4, s20
	s_addc_u32 s21, s5, s21
	s_and_b32 s21, s21, 0xffff
	s_mov_b32 s23, 0x20000
	s_movk_i32 s58, 0x80
	buffer_load_dwordx4 v[14:17], v13, s[20:23], 0 offen
	buffer_load_dwordx4 v[18:21], v13, s[20:23], s58 offen
	;; [unrolled: 1-line block ×4, first 2 shown]
	v_and_b32_e32 v12, 6, v0
	v_lshlrev_b32_e32 v30, 2, v51
	v_lshlrev_b32_e32 v31, 3, v51
	v_xor_b32_e32 v33, v56, v12
	v_and_b32_e32 v13, 1, v0
	s_mul_i32 s3, s3, s12
	s_mul_hi_u32 s20, s48, s12
	v_lshl_or_b32 v31, v54, 5, v31
	v_xor_b32_e32 v34, v54, v30
	v_lshlrev_b32_e32 v33, 2, v33
	v_or_b32_e32 v62, 0x9000, v31
	v_or_b32_e32 v63, 0x9800, v31
	v_lshlrev_b32_e32 v31, 1, v34
	v_xor_b32_e32 v34, 0x440, v33
	v_cmp_eq_u32_e32 vcc, 0, v13
	s_add_i32 s63, s20, s3
	s_add_i32 s3, s42, s33
	v_cndmask_b32_e32 v13, v34, v33, vcc
	s_add_i32 s20, s44, s37
	s_add_i32 s35, s3, s43
	s_mov_b32 s60, 0x1000504
	v_lshlrev_b32_e32 v32, 8, v51
	s_mov_b32 s22, 0x8000
	v_xor_b32_e32 v30, v55, v30
	v_lshl_or_b32 v12, v12, 10, v13
	s_add_i32 s31, s20, s45
	s_lshl_b64 s[20:21], s[34:35], 2
	s_mov_b32 s61, 0x3020706
	v_lshlrev_b32_e32 v30, 1, v30
	v_or3_b32 v64, v31, v32, s22
	v_xor_b32_e32 v13, 8, v12
	v_xor_b32_e32 v31, 24, v12
	;; [unrolled: 1-line block ×4, first 2 shown]
	s_add_u32 s3, s10, s20
	v_or3_b32 v65, v30, v32, s22
	v_xor_b32_e32 v30, 16, v12
	v_xor_b32_e32 v32, 32, v12
	;; [unrolled: 1-line block ×3, first 2 shown]
	v_add_u32_e32 v13, 0x80, v13
	v_add_u32_e32 v31, 0x80, v31
	;; [unrolled: 1-line block ×4, first 2 shown]
	s_addc_u32 s24, s11, s21
	s_lshl_b64 s[20:21], s[30:31], 2
	s_add_u32 s38, s3, s20
	s_movk_i32 s3, 0xf8
	s_addc_u32 s39, s24, s21
	v_ashrrev_i32_e32 v43, 31, v42
	s_lshl_b32 s26, s15, 7
	s_mov_b32 s59, 0
	s_mul_i32 s62, s48, s12
	s_mov_b32 s35, 0
	s_waitcnt vmcnt(1)
	v_perm_b32 v36, v14, v22, s60
	s_waitcnt vmcnt(0)
	v_perm_b32 v37, v18, v26, s60
	v_perm_b32 v14, v14, v22, s61
	;; [unrolled: 1-line block ×15, first 2 shown]
	ds_write2st64_b32 v12, v36, v37 offset1:32
	ds_write2st64_b32 v13, v14, v18 offset1:32
	ds_write2st64_b32 v30, v22, v26 offset0:1 offset1:33
	ds_write2st64_b32 v31, v15, v19 offset0:1 offset1:33
	;; [unrolled: 1-line block ×6, first 2 shown]
	v_or_b32_e32 v12, v1, v51
	v_lshlrev_b32_e32 v12, 3, v12
	v_lshrrev_b32_e32 v14, 5, v48
	v_and_or_b32 v14, v12, s3, v14
	v_lshlrev_b32_e32 v14, 4, v14
	v_lshlrev_b32_e32 v18, 11, v49
	v_and_b32_e32 v12, 0x78, v12
	v_or_b32_e32 v17, 32, v14
	v_and_b32_e32 v13, 0x1000, v18
	v_xor_b32_e32 v15, v14, v12
	v_lshrrev_b32_e32 v19, 1, v0
	v_xor_b32_e32 v17, v17, v12
	v_or_b32_e32 v15, v15, v13
	v_and_b32_e32 v16, 8, v19
	v_or_b32_e32 v17, v17, v13
	v_xor_b32_e32 v66, v15, v16
	v_and_b32_e32 v15, 0x78, v52
	v_xor_b32_e32 v68, v17, v16
	v_or_b32_e32 v17, 64, v14
	v_or_b32_e32 v14, 0x60, v14
	v_lshl_or_b32 v15, v50, 7, v15
	v_xor_b32_e32 v17, v17, v12
	v_xor_b32_e32 v12, v14, v12
	v_or_b32_e32 v67, 0x9000, v15
	v_or_b32_e32 v17, v17, v13
	v_or_b32_e32 v12, v12, v13
	v_or_b32_e32 v71, 0x9800, v15
	v_lshrrev_b32_e32 v14, 4, v0
	v_lshlrev_b32_e32 v15, 1, v51
	v_xor_b32_e32 v69, v17, v16
	v_xor_b32_e32 v70, v12, v16
	s_ashr_i32 s3, s2, 31
	v_or_b32_e32 v16, 1, v15
	v_xor_b32_e32 v15, v14, v15
	s_lshl_b64 s[20:21], s[2:3], 8
	v_xor_b32_e32 v16, v16, v14
	v_lshlrev_b32_e32 v15, 3, v15
	v_lshlrev_b32_e32 v14, 8, v14
	v_lshl_add_u64 v[12:13], v[42:43], 1, s[8:9]
	s_add_u32 s20, s18, s20
	v_or3_b32 v43, v15, v14, s22
	v_lshlrev_b32_e32 v15, 3, v16
	s_addc_u32 s21, s19, s21
	v_or3_b32 v72, v15, v14, s22
	v_mov_b32_e32 v15, 0
	v_lshl_add_u64 v[16:17], s[20:21], 0, v[14:15]
	v_lshlrev_b32_e32 v14, 4, v51
	s_movk_i32 s3, 0xff
	v_lshlrev_b32_e32 v23, 3, v49
	v_and_b32_e32 v19, 24, v19
	v_lshl_add_u64 v[44:45], v[16:17], 0, v[14:15]
	v_and_b32_e32 v16, 8, v0
	v_cmp_lt_u32_e32 vcc, s3, v0
	v_xor_b32_e32 v24, v23, v19
	v_or_b32_e32 v25, 0x440, v24
	v_cndmask_b32_e64 v22, 0, 1, vcc
	v_cmp_eq_u32_e32 vcc, 0, v16
	v_and_b32_e32 v14, 7, v0
	v_lshlrev_b32_e32 v17, 3, v14
	v_cndmask_b32_e32 v16, v25, v24, vcc
	v_lshlrev_b32_e32 v14, 7, v14
	v_or_b32_e32 v16, v16, v18
	v_xad_u32 v73, v16, v17, v14
	v_or_b32_e32 v16, 32, v19
	v_xor_b32_e32 v16, v23, v16
	v_or_b32_e32 v24, 0x440, v16
	v_cndmask_b32_e32 v16, v24, v16, vcc
	v_or_b32_e32 v16, v16, v18
	v_xad_u32 v74, v16, v17, v14
	v_or_b32_e32 v16, 64, v19
	v_xor_b32_e32 v16, v23, v16
	v_xor_b32_e32 v24, 0x440, v16
	v_cndmask_b32_e32 v16, v24, v16, vcc
	v_or_b32_e32 v16, v16, v18
	v_xad_u32 v75, v16, v17, v14
	v_or_b32_e32 v16, 0x60, v19
	v_xor_b32_e32 v16, v23, v16
	v_xor_b32_e32 v19, 0x440, v16
	v_cndmask_b32_e32 v16, v19, v16, vcc
	v_or_b32_e32 v16, v16, v18
	v_lshlrev_b32_e32 v20, 1, v11
	v_add_lshl_u32 v11, v11, s15, 1
	v_or_b32_e32 v21, 0x100, v10
	v_lshlrev_b32_e32 v22, 13, v22
	v_xad_u32 v76, v16, v17, v14
	v_lshlrev_b32_e32 v14, 8, v54
	v_cndmask_b32_e64 v77, v20, v10, s[0:1]
	v_cndmask_b32_e64 v78, v11, v21, s[0:1]
	v_lshl_add_u64 v[46:47], v[12:13], 0, v[14:15]
	s_mov_b32 s3, 0x7060302
	s_movk_i32 s22, 0x4000
	v_add_u32_e32 v79, v22, v73
	v_add_u32_e32 v80, v22, v74
	;; [unrolled: 1-line block ×4, first 2 shown]
	s_waitcnt lgkmcnt(0)
	s_barrier
.LBB684_32:                             ; =>This Inner Loop Header: Depth=1
	s_add_i32 s31, s35, 1
	s_cmp_lt_i32 s31, s49
	s_mov_b64 s[24:25], 0
	s_cselect_b64 s[40:41], -1, 0
	s_cmp_ge_i32 s31, s49
	s_mov_b64 s[20:21], 0
	s_cbranch_scc1 .LBB684_34
; %bb.33:                               ;   in Loop: Header=BB684_32 Depth=1
	s_add_i32 s0, s59, 64
	s_add_u32 s0, s16, s0
	s_addc_u32 s1, s17, 0
	s_lshl_b64 s[0:1], s[0:1], 8
	s_add_u32 s20, s6, s0
	s_addc_u32 s21, s7, s1
.LBB684_34:                             ;   in Loop: Header=BB684_32 Depth=1
	v_cndmask_b32_e64 v10, 0, 1, s[40:41]
	v_cmp_ne_u32_e64 s[0:1], 1, v10
	s_andn2_b64 vcc, exec, s[40:41]
	s_cbranch_vccnz .LBB684_36
; %bb.35:                               ;   in Loop: Header=BB684_32 Depth=1
	s_add_i32 s24, s59, 64
	s_add_u32 s24, s62, s24
	s_addc_u32 s25, s63, 0
	s_mul_i32 s27, s24, s51
	s_mul_hi_u32 s40, s24, s56
	s_add_i32 s27, s40, s27
	s_mul_i32 s25, s25, s56
	s_add_i32 s27, s27, s25
	s_mul_i32 s24, s24, s56
	s_add_u32 s24, s24, s52
	s_addc_u32 s25, s27, s57
	s_lshl_b64 s[24:25], s[24:25], 8
	s_add_u32 s24, s4, s24
	s_addc_u32 s25, s5, s25
.LBB684_36:                             ;   in Loop: Header=BB684_32 Depth=1
	v_perm_b32 v11, v9, v8, s3
	v_perm_b32 v10, v7, v6, s3
	;; [unrolled: 1-line block ×4, first 2 shown]
	ds_write_b64 v62, v[10:11]
	ds_write_b64 v63, v[12:13]
	ds_write_b64 v64, v[10:11]
	ds_write_b64 v65, v[12:13]
	s_waitcnt lgkmcnt(0)
	s_barrier
	ds_read_b64 v[18:19], v66 offset:16384
	ds_read_b64 v[20:21], v68 offset:16384
	ds_read2st64_b64 v[10:13], v67 offset1:1
	ds_read2st64_b64 v[14:17], v67 offset0:2 offset1:3
	ds_read_b64 v[22:23], v69 offset:16384
	s_waitcnt lgkmcnt(2)
	v_mfma_f32_16x16x16_bf16 a[0:3], v[18:19], v[10:11], 0
	ds_read_b64 v[10:11], v70 offset:16384
	s_add_i32 s27, s59, 63
	s_mul_i32 s40, s27, s29
	v_mfma_f32_16x16x16_bf16 a[0:3], v[20:21], v[12:13], a[0:3]
	s_mul_hi_u32 s41, s27, s28
	s_add_i32 s41, s41, s40
	s_mul_i32 s40, s27, s28
	s_waitcnt lgkmcnt(1)
	v_mfma_f32_16x16x16_bf16 a[0:3], v[22:23], v[14:15], a[0:3]
	s_lshl_b64 s[40:41], s[40:41], 2
	s_add_u32 s40, s38, s40
	s_addc_u32 s41, s39, s41
	s_waitcnt lgkmcnt(0)
	v_mfma_f32_16x16x16_bf16 a[0:3], v[10:11], v[16:17], a[0:3]
	s_and_b64 vcc, exec, s[0:1]
	v_mov_b32_e32 v85, 0
	v_mov_b32_e32 v84, 0
	;; [unrolled: 1-line block ×19, first 2 shown]
	s_cbranch_vccnz .LBB684_38
; %bb.37:                               ;   in Loop: Header=BB684_32 Depth=1
	s_and_b32 s21, s21, 0xffff
	buffer_load_dwordx4 v[22:25], v58, s[20:23], 0 offen
	buffer_load_dwordx4 v[18:21], v58, s[20:23], s58 offen
	buffer_load_dwordx4 v[14:17], v59, s[20:23], 0 offen
	buffer_load_dwordx4 v[10:13], v59, s[20:23], s58 offen
	v_mov_b32_e32 v84, v60
	v_mov_b32_e32 v83, v61
.LBB684_38:                             ;   in Loop: Header=BB684_32 Depth=1
	s_waitcnt vmcnt(3)
	v_add_u32_e32 v32, s59, v54
	s_waitcnt vmcnt(1)
	v_ashrrev_i32_e32 v26, 31, v32
	v_mul_lo_u32 v28, v26, s28
	v_mul_lo_u32 v29, v32, s29
	v_mad_u64_u32 v[26:27], s[20:21], v32, s28, 0
	v_add3_u32 v27, v27, v29, v28
	v_add_u32_e32 v28, 1, v32
	v_ashrrev_i32_e32 v29, 31, v28
	v_mul_lo_u32 v30, v29, s28
	v_mul_lo_u32 v31, v28, s29
	v_mad_u64_u32 v[28:29], s[20:21], v28, s28, 0
	v_add3_u32 v29, v29, v31, v30
	v_add_u32_e32 v30, 2, v32
	v_ashrrev_i32_e32 v31, 31, v30
	v_mul_lo_u32 v33, v31, s28
	v_mul_lo_u32 v34, v30, s29
	v_mad_u64_u32 v[30:31], s[20:21], v30, s28, 0
	v_add_u32_e32 v32, 3, v32
	v_add3_u32 v31, v31, v34, v33
	v_ashrrev_i32_e32 v33, 31, v32
	v_mul_lo_u32 v36, v33, s28
	v_mul_lo_u32 v37, v32, s29
	v_mad_u64_u32 v[32:33], s[20:21], v32, s28, 0
	s_add_u32 s20, s16, s59
	s_addc_u32 s21, s17, 0
	s_lshl_b64 s[20:21], s[20:21], 8
	v_lshl_add_u64 v[26:27], v[26:27], 2, s[38:39]
	v_lshl_add_u64 v[34:35], v[46:47], 0, s[20:21]
	;; [unrolled: 1-line block ×3, first 2 shown]
	global_load_ushort v87, v[34:35], off
	global_load_ushort v96, v[34:35], off offset:256
	global_load_ushort v97, v[34:35], off offset:512
	;; [unrolled: 1-line block ×3, first 2 shown]
	v_add3_u32 v33, v33, v37, v36
	global_load_dword v99, v[26:27], off
	v_lshl_add_u64 v[30:31], v[30:31], 2, s[38:39]
	v_lshl_add_u64 v[26:27], v[32:33], 2, s[38:39]
	global_load_dword v100, v[28:29], off
	global_load_dword v101, v[30:31], off
	;; [unrolled: 1-line block ×3, first 2 shown]
	s_load_dword s20, s[40:41], 0x0
	ds_read2st64_b64 v[34:37], v71 offset1:1
	ds_read2st64_b64 v[88:91], v71 offset0:2 offset1:3
	ds_read_b64 v[38:39], v66 offset:24576
	ds_read_b64 v[40:41], v68 offset:24576
	;; [unrolled: 1-line block ×4, first 2 shown]
	s_waitcnt lgkmcnt(0)
	v_mfma_f32_16x16x16_bf16 a[0:3], v[38:39], v[34:35], a[0:3]
	v_mov_b32_e32 v86, 0
	v_mov_b32_e32 v26, 0
	v_mov_b32_e32 v27, 0
	v_mfma_f32_16x16x16_bf16 a[0:3], v[40:41], v[36:37], a[0:3]
	v_mov_b32_e32 v28, 0
	v_mov_b32_e32 v29, 0
	v_mov_b32_e32 v30, 0
	;; [unrolled: 4-line block ×4, first 2 shown]
	v_mov_b32_e32 v37, 0
	v_mov_b32_e32 v38, 0
	;; [unrolled: 1-line block ×4, first 2 shown]
	v_accvgpr_read_b32 v91, a1
	v_accvgpr_read_b32 v89, a3
	;; [unrolled: 1-line block ×4, first 2 shown]
	s_and_b64 vcc, exec, s[0:1]
	s_waitcnt vmcnt(7)
	v_lshlrev_b32_e32 v92, 16, v87
	s_waitcnt vmcnt(6)
	v_lshlrev_b32_e32 v93, 16, v96
	;; [unrolled: 2-line block ×4, first 2 shown]
	v_pk_add_f32 v[90:91], v[92:93], v[90:91] neg_lo:[0,1] neg_hi:[0,1]
	s_waitcnt vmcnt(3)
	v_sub_f32_e32 v41, s20, v99
	v_exp_f32_e32 v96, v41
	s_waitcnt vmcnt(2)
	v_sub_f32_e32 v41, s20, v100
	s_waitcnt vmcnt(1)
	v_sub_f32_e32 v87, s20, v101
	;; [unrolled: 2-line block ×3, first 2 shown]
	v_exp_f32_e32 v97, v41
	v_exp_f32_e32 v98, v87
	;; [unrolled: 1-line block ×3, first 2 shown]
	v_pk_add_f32 v[88:89], v[94:95], v[88:89] neg_lo:[0,1] neg_hi:[0,1]
	v_pk_mul_f32 v[90:91], v[96:97], v[90:91]
	v_mov_b32_e32 v41, 0
	v_pk_mul_f32 v[88:89], v[98:99], v[88:89]
	s_nop 0
	v_perm_b32 v89, v89, v88, s3
	v_perm_b32 v88, v91, v90, s3
	ds_write_b64 v63, v[88:89]
	s_cbranch_vccnz .LBB684_40
; %bb.39:                               ;   in Loop: Header=BB684_32 Depth=1
	s_and_b32 s25, s25, 0xffff
	s_mov_b32 s27, s23
	buffer_load_dwordx4 v[38:41], v77, s[24:27], 0 offen
	buffer_load_dwordx4 v[30:33], v77, s[24:27], s58 offen
	;; [unrolled: 1-line block ×4, first 2 shown]
	v_mov_b32_e32 v85, v57
	v_mov_b32_e32 v86, v56
.LBB684_40:                             ;   in Loop: Header=BB684_32 Depth=1
	s_waitcnt lgkmcnt(0)
	s_barrier
	ds_read_b64 v[96:97], v79
	ds_read2st64_b64 v[88:91], v71 offset1:1
	ds_read2st64_b64 v[92:95], v71 offset0:2 offset1:3
	ds_read_b64 v[98:99], v80
	ds_read_b64 v[100:101], v81
	;; [unrolled: 1-line block ×3, first 2 shown]
	s_waitcnt lgkmcnt(4)
	v_mfma_f32_16x16x16_bf16 a[0:3], v[96:97], v[88:89], 0
	ds_read_b64 v[96:97], v73 offset:8192
	ds_read_b64 v[104:105], v74 offset:8192
	s_add_i32 s21, s53, s35
	s_mul_hi_i32 s25, s21, s13
	s_waitcnt lgkmcnt(1)
	v_mfma_f32_16x16x16_bf16 a[4:7], v[96:97], v[88:89], 0
	s_mul_i32 s21, s21, s13
	s_add_u32 s24, s21, s46
	s_addc_u32 s25, s25, s50
	v_mfma_f32_16x16x16_bf16 a[0:3], v[98:99], v[90:91], a[0:3]
	ds_read_b64 v[96:97], v43
	ds_read_b64 v[98:99], v72
	ds_read_b64 v[88:89], v75 offset:8192
	s_lshl_b64 s[24:25], s[24:25], 15
	v_mfma_f32_16x16x16_bf16 a[0:3], v[100:101], v[92:93], a[0:3]
	ds_read_b64 v[100:101], v76 offset:8192
	s_and_b64 vcc, exec, s[0:1]
	s_waitcnt lgkmcnt(4)
	v_mfma_f32_16x16x16_bf16 a[4:7], v[104:105], v[90:91], a[4:7]
	s_waitcnt lgkmcnt(1)
	v_mfma_f32_16x16x16_bf16 a[4:7], v[88:89], v[92:93], a[4:7]
	v_lshl_add_u64 v[88:89], v[44:45], 0, s[24:25]
	global_store_dwordx4 v[88:89], v[96:99], off
	v_mfma_f32_16x16x16_bf16 a[0:3], v[102:103], v[94:95], a[0:3]
	s_waitcnt lgkmcnt(0)
	v_mfma_f32_16x16x16_bf16 a[4:7], v[100:101], v[94:95], a[4:7]
	s_cbranch_vccnz .LBB684_42
; %bb.41:                               ;   in Loop: Header=BB684_32 Depth=1
	v_lshrrev_b32_e32 v87, 3, v85
	v_and_b32_e32 v87, 6, v87
	v_xor_b32_e32 v86, v87, v86
	v_lshlrev_b32_e32 v86, 2, v86
	v_and_b32_e32 v85, 8, v85
	v_xor_b32_e32 v88, 0x440, v86
	v_cmp_eq_u32_e32 vcc, 0, v85
	s_barrier
	s_nop 0
	v_cndmask_b32_e32 v85, v88, v86, vcc
	v_lshl_or_b32 v85, v87, 10, v85
	s_waitcnt vmcnt(2)
	v_perm_b32 v86, v38, v34, s60
	s_waitcnt vmcnt(1)
	v_perm_b32 v87, v30, v26, s60
	ds_write2st64_b32 v85, v86, v87 offset1:32
	v_xor_b32_e32 v86, 8, v85
	v_perm_b32 v34, v38, v34, s61
	v_perm_b32 v26, v30, v26, s61
	v_add_u32_e32 v30, 0x80, v86
	ds_write2st64_b32 v30, v34, v26 offset1:32
	v_xor_b32_e32 v26, 16, v85
	v_perm_b32 v30, v39, v35, s60
	v_perm_b32 v34, v31, v27, s60
	ds_write2st64_b32 v26, v30, v34 offset0:1 offset1:33
	v_xor_b32_e32 v26, 24, v85
	v_perm_b32 v30, v39, v35, s61
	v_perm_b32 v27, v31, v27, s61
	v_add_u32_e32 v26, 0x80, v26
	ds_write2st64_b32 v26, v30, v27 offset0:1 offset1:33
	v_xor_b32_e32 v26, 32, v85
	v_perm_b32 v27, v40, v36, s60
	v_perm_b32 v30, v32, v28, s60
	ds_write2st64_b32 v26, v27, v30 offset0:2 offset1:34
	v_xor_b32_e32 v26, 40, v85
	v_perm_b32 v27, v40, v36, s61
	v_perm_b32 v28, v32, v28, s61
	v_add_u32_e32 v26, 0x80, v26
	ds_write2st64_b32 v26, v27, v28 offset0:2 offset1:34
	;; [unrolled: 9-line block ×3, first 2 shown]
	ds_write_b64 v84, v[22:23] offset:16384
	v_xor_b32_e32 v22, 8, v84
	ds_write_b64 v22, v[24:25] offset:16384
	ds_write_b64 v84, v[18:19] offset:24576
	;; [unrolled: 1-line block ×4, first 2 shown]
	v_xor_b32_e32 v14, 8, v83
	ds_write_b64 v14, v[16:17] offset:16384
	ds_write_b64 v83, v[10:11] offset:24576
	;; [unrolled: 1-line block ×3, first 2 shown]
.LBB684_42:                             ;   in Loop: Header=BB684_32 Depth=1
	v_exp_f32_e32 v12, s20
	s_nop 2
	v_accvgpr_read_b32 v11, a1
	v_accvgpr_read_b32 v10, a0
	s_add_i32 s59, s59, 64
	v_fma_f32 v7, v7, v12, v11
	v_accvgpr_read_b32 v11, a3
	v_fmac_f32_e32 v11, v9, v12
	v_accvgpr_read_b32 v9, a4
	v_fma_f32 v6, v6, v12, v10
	v_accvgpr_read_b32 v10, a2
	v_fma_f32 v2, v2, v12, v9
	;; [unrolled: 2-line block ×3, first 2 shown]
	v_fma_f32 v3, v3, v12, v9
	v_accvgpr_read_b32 v9, a6
	v_accvgpr_read_b32 v10, a7
	v_fma_f32 v4, v4, v12, v9
	s_cmp_eq_u32 s49, s31
	v_fmac_f32_e32 v10, v5, v12
	s_cbranch_scc1 .LBB684_4
; %bb.43:                               ;   in Loop: Header=BB684_32 Depth=1
	s_mov_b32 s35, s31
	v_mov_b32_e32 v9, v11
	v_mov_b32_e32 v5, v10
	s_branch .LBB684_32
.LBB684_44:
                                        ; implicit-def: $vgpr5
                                        ; implicit-def: $vgpr9
                                        ; implicit-def: $vgpr13
                                        ; implicit-def: $vgpr17
	s_cbranch_execz .LBB684_46
; %bb.45:
	s_waitcnt vmcnt(0)
	v_mad_u64_u32 v[2:3], s[0:1], v20, s15, v[18:19]
	v_lshlrev_b32_e32 v20, 1, v2
	s_lshl_b32 s2, s15, 7
	s_and_b32 s1, s5, 0xffff
	s_mov_b32 s3, 0x20000
	s_mov_b32 s0, s4
	v_add_lshl_u32 v21, v2, s15, 1
	s_movk_i32 s13, 0x80
	buffer_load_dwordx4 v[2:5], v20, s[0:3], 0 offen
	buffer_load_dwordx4 v[10:13], v20, s[0:3], s13 offen
	;; [unrolled: 1-line block ×4, first 2 shown]
.LBB684_46:
	v_lshrrev_b32_e32 v37, 2, v48
	s_cbranch_execnz .LBB684_59
.LBB684_47:
	s_and_b64 vcc, exec, s[6:7]
	s_cbranch_vccz .LBB684_57
; %bb.48:
	s_waitcnt vmcnt(0)
	v_lshlrev_b32_e32 v7, 1, v35
	v_cmp_gt_i32_e32 vcc, s27, v7
	v_mov_b32_e32 v6, 0
	v_lshlrev_b32_e32 v14, 9, v35
	v_mov_b32_e32 v2, 0
	v_mov_b32_e32 v3, 0
	;; [unrolled: 1-line block ×4, first 2 shown]
	s_and_saveexec_b64 s[0:1], vcc
	s_cbranch_execz .LBB684_50
; %bb.49:
	v_mov_b32_e32 v15, 0
	v_lshl_add_u64 v[2:3], s[4:5], 0, v[14:15]
	v_lshlrev_b32_e32 v4, 1, v18
	v_mov_b32_e32 v5, v15
	v_lshl_add_u64 v[2:3], v[2:3], 0, v[4:5]
	global_load_dwordx4 v[2:5], v[2:3], off
.LBB684_50:
	s_or_b64 exec, exec, s[0:1]
	v_or_b32_e32 v7, 1, v7
	v_cmp_gt_i32_e64 s[0:1], s27, v7
	v_lshlrev_b32_e32 v20, 8, v7
	v_mov_b32_e32 v7, 0
	v_mov_b32_e32 v8, 0
	;; [unrolled: 1-line block ×3, first 2 shown]
	s_and_saveexec_b64 s[2:3], s[0:1]
	s_cbranch_execz .LBB684_52
; %bb.51:
	v_mov_b32_e32 v21, 0
	v_lshl_add_u64 v[6:7], s[4:5], 0, v[20:21]
	v_lshlrev_b32_e32 v8, 1, v18
	v_mov_b32_e32 v9, v21
	v_lshl_add_u64 v[6:7], v[6:7], 0, v[8:9]
	global_load_dwordx4 v[6:9], v[6:7], off
.LBB684_52:
	s_or_b64 exec, exec, s[2:3]
	v_mov_b32_e32 v17, 0
	v_mov_b32_e32 v10, 0
	;; [unrolled: 1-line block ×5, first 2 shown]
	s_and_saveexec_b64 s[2:3], vcc
	s_cbranch_execz .LBB684_54
; %bb.53:
	v_mov_b32_e32 v15, 0
	v_lshl_add_u64 v[10:11], s[4:5], 0, v[14:15]
	v_lshlrev_b32_e32 v14, 1, v18
	v_lshl_add_u64 v[10:11], v[10:11], 0, v[14:15]
	global_load_dwordx4 v[10:13], v[10:11], off offset:128
.LBB684_54:
	s_or_b64 exec, exec, s[2:3]
	v_mov_b32_e32 v16, 0
	v_mov_b32_e32 v15, 0
	;; [unrolled: 1-line block ×3, first 2 shown]
	s_and_saveexec_b64 s[2:3], s[0:1]
	s_cbranch_execz .LBB684_56
; %bb.55:
	v_mov_b32_e32 v21, 0
	v_lshl_add_u64 v[14:15], s[4:5], 0, v[20:21]
	v_lshlrev_b32_e32 v20, 1, v18
	v_lshl_add_u64 v[14:15], v[14:15], 0, v[20:21]
	global_load_dwordx4 v[14:17], v[14:15], off offset:128
.LBB684_56:
	s_or_b64 exec, exec, s[2:3]
	s_branch .LBB684_59
.LBB684_57:
                                        ; implicit-def: $vgpr5
                                        ; implicit-def: $vgpr9
                                        ; implicit-def: $vgpr13
                                        ; implicit-def: $vgpr17
	s_cbranch_execz .LBB684_59
; %bb.58:
	s_waitcnt vmcnt(0)
	v_lshlrev_b32_e32 v2, 1, v18
	v_lshl_or_b32 v18, v35, 9, v2
	s_and_b32 s5, s5, 0xffff
	s_mov_b32 s7, 0x20000
	s_movk_i32 s6, 0x4000
	s_movk_i32 s0, 0x80
	buffer_load_dwordx4 v[2:5], v18, s[4:7], 0 offen
	buffer_load_dwordx4 v[6:9], v18, s[4:7], 0 offen offset:256
	buffer_load_dwordx4 v[10:13], v18, s[4:7], s0 offen
	buffer_load_dwordx4 v[14:17], v18, s[4:7], s0 offen offset:256
.LBB684_59:
	ds_read2st64_b64 v[22:25], v19 offset0:76 offset1:77
	ds_read2st64_b64 v[18:21], v19 offset0:78 offset1:79
	ds_read_b64 v[30:31], v26 offset:24576
	ds_read_b64 v[32:33], v27 offset:24576
	;; [unrolled: 1-line block ×4, first 2 shown]
	v_and_b32_e32 v36, 6, v0
	v_xor_b32_e32 v35, v35, v36
	v_lshlrev_b32_e32 v35, 2, v35
	v_and_b32_e32 v0, 1, v0
	v_xor_b32_e32 v38, 0x440, v35
	v_cmp_eq_u32_e32 vcc, 0, v0
	s_mov_b32 s0, 0x1000504
	s_mov_b32 s1, 0x3020706
	v_cndmask_b32_e32 v0, v38, v35, vcc
	v_lshl_or_b32 v0, v36, 10, v0
	s_waitcnt vmcnt(0)
	v_perm_b32 v35, v2, v6, s0
	v_perm_b32 v36, v10, v14, s0
	ds_write2st64_b32 v0, v35, v36 offset1:32
	v_xor_b32_e32 v35, 8, v0
	v_perm_b32 v2, v2, v6, s1
	v_perm_b32 v6, v10, v14, s1
	v_add_u32_e32 v10, 0x80, v35
	ds_write2st64_b32 v10, v2, v6 offset1:32
	v_xor_b32_e32 v2, 16, v0
	v_perm_b32 v6, v3, v7, s0
	v_perm_b32 v10, v11, v15, s0
	ds_write2st64_b32 v2, v6, v10 offset0:1 offset1:33
	v_xor_b32_e32 v2, 24, v0
	v_perm_b32 v3, v3, v7, s1
	v_perm_b32 v6, v11, v15, s1
	v_add_u32_e32 v2, 0x80, v2
	ds_write2st64_b32 v2, v3, v6 offset0:1 offset1:33
	v_xor_b32_e32 v2, 32, v0
	v_perm_b32 v3, v4, v8, s0
	v_perm_b32 v6, v12, v16, s0
	ds_write2st64_b32 v2, v3, v6 offset0:2 offset1:34
	v_xor_b32_e32 v2, 40, v0
	v_perm_b32 v3, v4, v8, s1
	v_perm_b32 v4, v12, v16, s1
	v_add_u32_e32 v2, 0x80, v2
	ds_write2st64_b32 v2, v3, v4 offset0:2 offset1:34
	v_xor_b32_e32 v2, 48, v0
	v_perm_b32 v3, v5, v9, s0
	v_perm_b32 v4, v13, v17, s0
	v_xor_b32_e32 v0, 56, v0
	v_and_or_b32 v6, v37, 12, v1
	ds_write2st64_b32 v2, v3, v4 offset0:3 offset1:35
	v_perm_b32 v2, v5, v9, s1
	v_perm_b32 v3, v13, v17, s1
	v_add_u32_e32 v0, 0x80, v0
	v_cmp_gt_i32_e32 vcc, s27, v6
	v_mov_b32_e32 v7, 0
	v_mov_b32_e32 v11, 0
	ds_write2st64_b32 v0, v2, v3 offset0:3 offset1:35
	s_and_saveexec_b64 s[0:1], vcc
	s_cbranch_execz .LBB684_61
; %bb.60:
	v_add_u32_e32 v0, s26, v6
	v_ashrrev_i32_e32 v1, 31, v0
	v_mul_lo_u32 v2, v1, s28
	v_mul_lo_u32 v3, v0, s29
	v_mad_u64_u32 v[0:1], s[2:3], v0, s28, 0
	v_add3_u32 v1, v1, v3, v2
	v_lshl_add_u64 v[0:1], v[0:1], 2, s[10:11]
	global_load_dword v0, v[0:1], off
	s_waitcnt vmcnt(0)
	v_sub_f32_e32 v0, s12, v0
	v_exp_f32_e32 v11, v0
.LBB684_61:
	s_or_b64 exec, exec, s[0:1]
	v_or_b32_e32 v9, 1, v6
	v_cmp_gt_i32_e64 s[0:1], s27, v9
	s_and_saveexec_b64 s[2:3], s[0:1]
	s_cbranch_execz .LBB684_63
; %bb.62:
	v_add_u32_e32 v0, s26, v9
	v_ashrrev_i32_e32 v1, 31, v0
	v_mul_lo_u32 v2, v1, s28
	v_mul_lo_u32 v3, v0, s29
	v_mad_u64_u32 v[0:1], s[4:5], v0, s28, 0
	v_add3_u32 v1, v1, v3, v2
	v_lshl_add_u64 v[0:1], v[0:1], 2, s[10:11]
	global_load_dword v0, v[0:1], off
	s_waitcnt vmcnt(0)
	v_sub_f32_e32 v0, s12, v0
	v_exp_f32_e32 v7, v0
.LBB684_63:
	s_or_b64 exec, exec, s[2:3]
	v_or_b32_e32 v10, 2, v6
	v_cmp_gt_i32_e64 s[2:3], s27, v10
	v_mov_b32_e32 v8, 0
	v_mov_b32_e32 v13, 0
	s_and_saveexec_b64 s[4:5], s[2:3]
	s_cbranch_execz .LBB684_65
; %bb.64:
	v_add_u32_e32 v0, s26, v10
	v_ashrrev_i32_e32 v1, 31, v0
	v_mul_lo_u32 v2, v1, s28
	v_mul_lo_u32 v3, v0, s29
	v_mad_u64_u32 v[0:1], s[6:7], v0, s28, 0
	v_add3_u32 v1, v1, v3, v2
	v_lshl_add_u64 v[0:1], v[0:1], 2, s[10:11]
	global_load_dword v0, v[0:1], off
	s_waitcnt vmcnt(0)
	v_sub_f32_e32 v0, s12, v0
	v_exp_f32_e32 v13, v0
.LBB684_65:
	s_or_b64 exec, exec, s[4:5]
	v_or_b32_e32 v12, 3, v6
	v_cmp_gt_i32_e64 s[4:5], s27, v12
	s_and_saveexec_b64 s[6:7], s[4:5]
	s_cbranch_execz .LBB684_67
; %bb.66:
	v_add_u32_e32 v0, s26, v12
	v_ashrrev_i32_e32 v1, 31, v0
	v_mul_lo_u32 v2, v1, s28
	v_mul_lo_u32 v3, v0, s29
	v_mad_u64_u32 v[0:1], s[14:15], v0, s28, 0
	v_add3_u32 v1, v1, v3, v2
	v_lshl_add_u64 v[0:1], v[0:1], 2, s[10:11]
	global_load_dword v0, v[0:1], off
	s_waitcnt vmcnt(0)
	v_sub_f32_e32 v0, s12, v0
	v_exp_f32_e32 v8, v0
.LBB684_67:
	s_or_b64 exec, exec, s[6:7]
	s_waitcnt lgkmcnt(11)
	v_mfma_f32_16x16x16_bf16 a[0:3], v[30:31], v[22:23], a[0:3]
	s_add_u32 s6, s8, s20
	v_ashrrev_i32_e32 v43, 31, v42
	s_addc_u32 s7, s9, s21
	s_waitcnt lgkmcnt(10)
	v_mfma_f32_16x16x16_bf16 a[0:3], v[32:33], v[24:25], a[0:3]
	v_mov_b32_e32 v14, 0
	v_lshl_add_u64 v[4:5], v[42:43], 1, s[6:7]
	v_mov_b32_e32 v15, 0
	s_waitcnt lgkmcnt(9)
	v_mfma_f32_16x16x16_bf16 a[0:3], v[28:29], v[18:19], a[0:3]
	s_waitcnt lgkmcnt(8)
	v_mfma_f32_16x16x16_bf16 a[0:3], v[26:27], v[20:21], a[0:3]
	s_nop 6
	v_accvgpr_read_b32 v0, a0
	v_accvgpr_read_b32 v1, a1
	;; [unrolled: 1-line block ×4, first 2 shown]
	s_and_saveexec_b64 s[6:7], vcc
	s_cbranch_execz .LBB684_69
; %bb.68:
	v_lshlrev_b32_e32 v16, 8, v6
	v_mov_b32_e32 v17, 0
	v_lshl_add_u64 v[16:17], v[4:5], 0, v[16:17]
	global_load_ushort v15, v[16:17], off
	s_waitcnt vmcnt(0)
	v_lshlrev_b32_e32 v15, 16, v15
	v_sub_f32_e32 v0, v15, v0
	v_mul_f32_e32 v0, v11, v0
	v_lshrrev_b32_e32 v15, 16, v0
.LBB684_69:
	s_or_b64 exec, exec, s[6:7]
	s_and_saveexec_b64 s[6:7], s[0:1]
	s_cbranch_execz .LBB684_71
; %bb.70:
	v_lshlrev_b32_e32 v16, 8, v9
	v_mov_b32_e32 v17, 0
	v_lshl_add_u64 v[16:17], v[4:5], 0, v[16:17]
	global_load_ushort v0, v[16:17], off
	s_waitcnt vmcnt(0)
	v_lshlrev_b32_e32 v0, 16, v0
	v_sub_f32_e32 v0, v0, v1
	v_mul_f32_e32 v0, v7, v0
	v_lshrrev_b32_e32 v14, 16, v0
.LBB684_71:
	s_or_b64 exec, exec, s[6:7]
	v_mov_b32_e32 v0, 0
	v_mov_b32_e32 v1, 0
	s_and_saveexec_b64 s[0:1], s[2:3]
	s_cbranch_execz .LBB684_73
; %bb.72:
	v_lshlrev_b32_e32 v10, 8, v10
	v_mov_b32_e32 v11, 0
	v_lshl_add_u64 v[10:11], v[4:5], 0, v[10:11]
	global_load_ushort v1, v[10:11], off
	s_waitcnt vmcnt(0)
	v_lshlrev_b32_e32 v1, 16, v1
	v_sub_f32_e32 v1, v1, v2
	v_mul_f32_e32 v1, v13, v1
	v_lshrrev_b32_e32 v1, 16, v1
.LBB684_73:
	s_or_b64 exec, exec, s[0:1]
	s_and_saveexec_b64 s[0:1], s[4:5]
	s_cbranch_execz .LBB684_75
; %bb.74:
	v_lshlrev_b32_e32 v10, 8, v12
	v_mov_b32_e32 v11, 0
	v_lshl_add_u64 v[4:5], v[4:5], 0, v[10:11]
	global_load_ushort v0, v[4:5], off
	s_waitcnt vmcnt(0)
	v_lshlrev_b32_e32 v0, 16, v0
	v_sub_f32_e32 v0, v0, v3
	v_mul_f32_e32 v0, v8, v0
	v_lshrrev_b32_e32 v0, 16, v0
.LBB684_75:
	s_or_b64 exec, exec, s[0:1]
	s_mov_b32 s0, 0x5040100
	v_lshlrev_b32_e32 v2, 1, v34
	v_perm_b32 v1, v0, v1, s0
	v_perm_b32 v0, v14, v15, s0
	v_lshl_or_b32 v2, v6, 5, v2
	ds_write_b64 v2, v[0:1] offset:38912
	s_waitcnt lgkmcnt(0)
	s_barrier
.LBB684_76:
	s_endpgm
	.section	.rodata,"a",@progbits
	.p2align	6, 0x0
	.amdhsa_kernel _ZN12_GLOBAL__N_139chunk_gated_delta_rule_fwd_h_hip_kernelILi16ELb1ELb0ELb0ELb0ELb1ELb0ELb1ELb0EEEvPK12hip_bfloat16S3_S3_PKfS5_PKvPS1_S8_PvPKiSB_iiiiilll
		.amdhsa_group_segment_fixed_size 40960
		.amdhsa_private_segment_fixed_size 0
		.amdhsa_kernarg_size 136
		.amdhsa_user_sgpr_count 2
		.amdhsa_user_sgpr_dispatch_ptr 0
		.amdhsa_user_sgpr_queue_ptr 0
		.amdhsa_user_sgpr_kernarg_segment_ptr 1
		.amdhsa_user_sgpr_dispatch_id 0
		.amdhsa_user_sgpr_kernarg_preload_length 0
		.amdhsa_user_sgpr_kernarg_preload_offset 0
		.amdhsa_user_sgpr_private_segment_size 0
		.amdhsa_uses_dynamic_stack 0
		.amdhsa_enable_private_segment 0
		.amdhsa_system_sgpr_workgroup_id_x 1
		.amdhsa_system_sgpr_workgroup_id_y 1
		.amdhsa_system_sgpr_workgroup_id_z 0
		.amdhsa_system_sgpr_workgroup_info 0
		.amdhsa_system_vgpr_workitem_id 0
		.amdhsa_next_free_vgpr 116
		.amdhsa_next_free_sgpr 64
		.amdhsa_accum_offset 108
		.amdhsa_reserve_vcc 1
		.amdhsa_float_round_mode_32 0
		.amdhsa_float_round_mode_16_64 0
		.amdhsa_float_denorm_mode_32 3
		.amdhsa_float_denorm_mode_16_64 3
		.amdhsa_dx10_clamp 1
		.amdhsa_ieee_mode 1
		.amdhsa_fp16_overflow 0
		.amdhsa_tg_split 0
		.amdhsa_exception_fp_ieee_invalid_op 0
		.amdhsa_exception_fp_denorm_src 0
		.amdhsa_exception_fp_ieee_div_zero 0
		.amdhsa_exception_fp_ieee_overflow 0
		.amdhsa_exception_fp_ieee_underflow 0
		.amdhsa_exception_fp_ieee_inexact 0
		.amdhsa_exception_int_div_zero 0
	.end_amdhsa_kernel
	.section	.text._ZN12_GLOBAL__N_139chunk_gated_delta_rule_fwd_h_hip_kernelILi16ELb1ELb0ELb0ELb0ELb1ELb0ELb1ELb0EEEvPK12hip_bfloat16S3_S3_PKfS5_PKvPS1_S8_PvPKiSB_iiiiilll,"axG",@progbits,_ZN12_GLOBAL__N_139chunk_gated_delta_rule_fwd_h_hip_kernelILi16ELb1ELb0ELb0ELb0ELb1ELb0ELb1ELb0EEEvPK12hip_bfloat16S3_S3_PKfS5_PKvPS1_S8_PvPKiSB_iiiiilll,comdat
.Lfunc_end684:
	.size	_ZN12_GLOBAL__N_139chunk_gated_delta_rule_fwd_h_hip_kernelILi16ELb1ELb0ELb0ELb0ELb1ELb0ELb1ELb0EEEvPK12hip_bfloat16S3_S3_PKfS5_PKvPS1_S8_PvPKiSB_iiiiilll, .Lfunc_end684-_ZN12_GLOBAL__N_139chunk_gated_delta_rule_fwd_h_hip_kernelILi16ELb1ELb0ELb0ELb0ELb1ELb0ELb1ELb0EEEvPK12hip_bfloat16S3_S3_PKfS5_PKvPS1_S8_PvPKiSB_iiiiilll
                                        ; -- End function
	.section	.AMDGPU.csdata,"",@progbits
; Kernel info:
; codeLenInByte = 7108
; NumSgprs: 70
; NumVgprs: 106
; NumAgprs: 8
; TotalNumVgprs: 116
; ScratchSize: 0
; MemoryBound: 0
; FloatMode: 240
; IeeeMode: 1
; LDSByteSize: 40960 bytes/workgroup (compile time only)
; SGPRBlocks: 8
; VGPRBlocks: 14
; NumSGPRsForWavesPerEU: 70
; NumVGPRsForWavesPerEU: 116
; AccumOffset: 108
; Occupancy: 1
; WaveLimiterHint : 1
; COMPUTE_PGM_RSRC2:SCRATCH_EN: 0
; COMPUTE_PGM_RSRC2:USER_SGPR: 2
; COMPUTE_PGM_RSRC2:TRAP_HANDLER: 0
; COMPUTE_PGM_RSRC2:TGID_X_EN: 1
; COMPUTE_PGM_RSRC2:TGID_Y_EN: 1
; COMPUTE_PGM_RSRC2:TGID_Z_EN: 0
; COMPUTE_PGM_RSRC2:TIDIG_COMP_CNT: 0
; COMPUTE_PGM_RSRC3_GFX90A:ACCUM_OFFSET: 26
; COMPUTE_PGM_RSRC3_GFX90A:TG_SPLIT: 0
	.section	.text._ZN12_GLOBAL__N_139chunk_gated_delta_rule_fwd_h_hip_kernelILi16ELb0ELb1ELb1ELb0ELb1ELb0ELb1ELb0EEEvPK12hip_bfloat16S3_S3_PKfS5_PKvPS1_S8_PvPKiSB_iiiiilll,"axG",@progbits,_ZN12_GLOBAL__N_139chunk_gated_delta_rule_fwd_h_hip_kernelILi16ELb0ELb1ELb1ELb0ELb1ELb0ELb1ELb0EEEvPK12hip_bfloat16S3_S3_PKfS5_PKvPS1_S8_PvPKiSB_iiiiilll,comdat
	.globl	_ZN12_GLOBAL__N_139chunk_gated_delta_rule_fwd_h_hip_kernelILi16ELb0ELb1ELb1ELb0ELb1ELb0ELb1ELb0EEEvPK12hip_bfloat16S3_S3_PKfS5_PKvPS1_S8_PvPKiSB_iiiiilll ; -- Begin function _ZN12_GLOBAL__N_139chunk_gated_delta_rule_fwd_h_hip_kernelILi16ELb0ELb1ELb1ELb0ELb1ELb0ELb1ELb0EEEvPK12hip_bfloat16S3_S3_PKfS5_PKvPS1_S8_PvPKiSB_iiiiilll
	.p2align	8
	.type	_ZN12_GLOBAL__N_139chunk_gated_delta_rule_fwd_h_hip_kernelILi16ELb0ELb1ELb1ELb0ELb1ELb0ELb1ELb0EEEvPK12hip_bfloat16S3_S3_PKfS5_PKvPS1_S8_PvPKiSB_iiiiilll,@function
_ZN12_GLOBAL__N_139chunk_gated_delta_rule_fwd_h_hip_kernelILi16ELb0ELb1ELb1ELb0ELb1ELb0ELb1ELb0EEEvPK12hip_bfloat16S3_S3_PKfS5_PKvPS1_S8_PvPKiSB_iiiiilll: ; @_ZN12_GLOBAL__N_139chunk_gated_delta_rule_fwd_h_hip_kernelILi16ELb0ELb1ELb1ELb0ELb1ELb0ELb1ELb0EEEvPK12hip_bfloat16S3_S3_PKfS5_PKvPS1_S8_PvPKiSB_iiiiilll
; %bb.0:
	s_load_dwordx4 s[16:19], s[0:1], 0x5c
	s_load_dwordx4 s[20:23], s[0:1], 0x70
	s_abs_i32 s14, s3
	s_ashr_i32 s13, s3, 31
	s_load_dwordx8 s[4:11], s[0:1], 0x0
	s_waitcnt lgkmcnt(0)
	s_abs_i32 s12, s17
	v_cvt_f32_u32_e32 v1, s12
	s_sub_i32 s24, 0, s12
	s_ashr_i32 s15, s17, 31
	s_xor_b32 s13, s13, s15
	v_rcp_iflag_f32_e32 v1, v1
	v_lshrrev_b32_e32 v48, 6, v0
	v_bfe_u32 v51, v0, 4, 2
	v_lshlrev_b32_e32 v49, 4, v48
	v_mul_f32_e32 v1, 0x4f7ffffe, v1
	v_cvt_u32_f32_e32 v1, v1
	v_lshlrev_b32_e32 v10, 2, v51
	v_and_b32_e32 v50, 63, v0
	v_mov_b32_e32 v9, 0
	v_readfirstlane_b32 s25, v1
	s_mul_i32 s24, s24, s25
	s_mul_hi_u32 s24, s25, s24
	s_add_i32 s25, s25, s24
	s_mul_hi_u32 s24, s14, s25
	s_mul_i32 s25, s24, s12
	s_sub_i32 s14, s14, s25
	s_add_i32 s26, s24, 1
	s_sub_i32 s25, s14, s12
	s_cmp_ge_u32 s14, s12
	s_cselect_b32 s24, s26, s24
	s_cselect_b32 s14, s25, s14
	s_add_i32 s25, s24, 1
	s_cmp_ge_u32 s14, s12
	s_cselect_b32 s14, s25, s24
	s_xor_b32 s14, s14, s13
	s_sub_i32 s49, s14, s13
	s_abs_i32 s13, s18
	v_cvt_f32_u32_e32 v1, s13
	s_add_i32 s24, s16, 63
	s_mul_i32 s47, s49, s17
	s_sub_i32 s33, s3, s47
	v_rcp_iflag_f32_e32 v1, v1
	s_ashr_i32 s3, s24, 31
	s_ashr_i32 s48, s16, 31
	s_lshr_b32 s3, s3, 26
	v_mul_f32_e32 v1, 0x4f7ffffe, v1
	v_cvt_u32_f32_e32 v1, v1
	s_lshr_b32 s14, s48, 26
	s_add_i32 s24, s24, s3
	s_add_i32 s14, s16, s14
	s_ashr_i32 s51, s18, 31
	s_ashr_i32 s3, s24, 6
	;; [unrolled: 1-line block ×3, first 2 shown]
	s_xor_b32 s14, s15, s51
	s_sub_i32 s15, 0, s13
	v_readfirstlane_b32 s24, v1
	s_mul_i32 s15, s15, s24
	s_mul_hi_u32 s15, s24, s15
	s_add_i32 s24, s24, s15
	s_mul_hi_u32 s15, s12, s24
	s_mul_i32 s24, s15, s13
	s_sub_i32 s12, s12, s24
	s_add_i32 s24, s15, 1
	s_sub_i32 s25, s12, s13
	s_cmp_ge_u32 s12, s13
	s_cselect_b32 s15, s24, s15
	s_cselect_b32 s12, s25, s12
	s_add_i32 s24, s15, 1
	s_cmp_ge_u32 s12, s13
	s_cselect_b32 s12, s24, s15
	s_xor_b32 s12, s12, s14
	s_sub_i32 s24, s12, s14
	s_abs_i32 s25, s24
	v_cvt_f32_u32_e32 v1, s25
	s_load_dwordx2 s[34:35], s[0:1], 0x40
	s_load_dwordx4 s[12:15], s[0:1], 0x30
	s_load_dwordx2 s[36:37], s[0:1], 0x80
	s_xor_b32 s0, s33, s24
	s_sub_i32 s24, 0, s25
	v_rcp_iflag_f32_e32 v1, v1
	s_abs_i32 s1, s33
	s_ashr_i32 s0, s0, 31
	s_mul_i32 s52, s49, s3
	v_mul_f32_e32 v1, 0x4f7ffffe, v1
	v_cvt_u32_f32_e32 v1, v1
	v_and_b32_e32 v52, 15, v0
	s_mul_hi_i32 s53, s49, s17
	v_lshrrev_b32_e32 v54, 3, v50
	v_readfirstlane_b32 s26, v1
	s_mul_i32 s24, s24, s26
	s_mul_hi_u32 s24, s26, s24
	s_add_i32 s26, s26, s24
	s_mul_hi_u32 s24, s1, s26
	s_mul_i32 s26, s24, s25
	s_sub_i32 s1, s1, s26
	s_add_i32 s26, s24, 1
	s_sub_i32 s27, s1, s25
	s_cmp_ge_u32 s1, s25
	s_cselect_b32 s24, s26, s24
	s_cselect_b32 s1, s27, s1
	s_add_i32 s26, s24, 1
	s_cmp_ge_u32 s1, s25
	s_cselect_b32 s1, s26, s24
	s_xor_b32 s1, s1, s0
	s_sub_i32 s54, s1, s0
	v_or_b32_e32 v1, v10, v49
	s_lshl_b32 s2, s2, 4
	v_or_b32_e32 v55, 64, v1
	s_cmp_lt_i32 s16, 64
	v_lshlrev_b32_e32 v53, 3, v0
	s_mul_i32 s21, s49, s21
	s_mul_hi_u32 s46, s49, s20
	s_mul_i32 s38, s49, s20
	v_mov_b32_e32 v8, v9
	v_mov_b32_e32 v7, v9
	;; [unrolled: 1-line block ×7, first 2 shown]
	s_cbranch_scc1 .LBB685_18
; %bb.1:
	s_ashr_i32 s3, s49, 31
	s_ashr_i32 s56, s33, 31
	s_add_u32 s0, s47, s33
	s_addc_u32 s1, s53, s56
	s_mul_i32 s1, s16, s1
	s_mul_hi_u32 s24, s16, s0
	s_add_i32 s41, s24, s1
	s_mul_i32 s40, s16, s0
	s_lshl_b64 s[0:1], s[40:41], 8
	v_and_b32_e32 v57, 56, v53
	s_add_u32 s24, s6, s0
	v_lshl_or_b32 v56, v48, 3, v54
	v_lshlrev_b32_e32 v3, 1, v57
	s_addc_u32 s0, s7, s1
	v_lshl_or_b32 v58, v56, 8, v3
	s_and_b32 s25, s0, 0xffff
	s_mov_b32 s27, 0x20000
	s_movk_i32 s26, 0x4000
	s_movk_i32 s0, 0x80
	v_or_b32_e32 v59, 0x2000, v58
	buffer_load_dwordx4 v[4:7], v58, s[24:27], 0 offen
	buffer_load_dwordx4 v[12:15], v58, s[24:27], s0 offen
	;; [unrolled: 1-line block ×4, first 2 shown]
	v_lshlrev_b32_e32 v2, 3, v56
	v_and_or_b32 v9, v0, 7, v2
	v_and_b32_e32 v2, 0x78, v2
	v_lshlrev_b32_e32 v9, 4, v9
	v_xor_b32_e32 v60, v9, v2
	v_mul_lo_u32 v8, v56, s19
	v_or_b32_e32 v61, 0x1000, v60
	v_xor_b32_e32 v2, 8, v60
	s_cmpk_eq_i32 s19, 0x80
	s_mov_b32 s55, s18
	v_xor_b32_e32 v9, 8, v61
	s_cselect_b64 s[0:1], -1, 0
	s_cmpk_lg_i32 s19, 0x80
	s_waitcnt vmcnt(3)
	ds_write_b64 v60, v[4:5] offset:16384
	ds_write_b64 v2, v[6:7] offset:16384
	s_waitcnt vmcnt(2)
	ds_write_b64 v60, v[12:13] offset:24576
	ds_write_b64 v2, v[14:15] offset:24576
	;; [unrolled: 3-line block ×4, first 2 shown]
	v_lshl_add_u32 v2, v8, 1, v57
	s_cbranch_scc0 .LBB685_3
; %bb.2:
	v_lshlrev_b32_e32 v6, 1, v2
	v_add_lshl_u32 v5, v2, s19, 1
	s_lshl_b32 s26, s19, 7
	v_lshl_or_b32 v4, v56, 9, v3
	s_cbranch_execz .LBB685_4
	s_branch .LBB685_5
.LBB685_3:
                                        ; implicit-def: $vgpr5
                                        ; implicit-def: $vgpr6
                                        ; implicit-def: $sgpr26
	v_lshl_or_b32 v4, v56, 9, v3
.LBB685_4:
	v_or_b32_e32 v5, 0x100, v4
	s_movk_i32 s26, 0x4000
	v_mov_b32_e32 v6, v4
.LBB685_5:
	s_mul_hi_u32 s24, s18, s16
	s_mul_i32 s25, s51, s16
	s_add_i32 s24, s24, s25
	s_mul_i32 s25, s18, s16
	s_mul_i32 s27, s25, s3
	s_mul_hi_u32 s28, s25, s49
	s_add_i32 s27, s28, s27
	s_mul_i32 s24, s24, s49
	s_add_i32 s27, s27, s24
	s_mul_i32 s25, s25, s49
	s_ashr_i32 s57, s54, 31
	s_add_u32 s24, s25, s54
	s_addc_u32 s25, s27, s57
	s_lshl_b64 s[24:25], s[24:25], 8
	s_add_u32 s24, s4, s24
	s_addc_u32 s25, s5, s25
	s_and_b32 s25, s25, 0xffff
	s_mov_b32 s27, 0x20000
	s_movk_i32 s58, 0x80
	buffer_load_dwordx4 v[12:15], v6, s[24:27], 0 offen
	buffer_load_dwordx4 v[16:19], v6, s[24:27], s58 offen
	;; [unrolled: 1-line block ×4, first 2 shown]
	v_and_b32_e32 v3, 6, v0
	s_mul_i32 s24, s3, s16
	s_mul_hi_u32 s25, s49, s16
	v_lshlrev_b32_e32 v6, 2, v52
	v_lshlrev_b32_e32 v7, 3, v52
	v_xor_b32_e32 v9, v56, v3
	v_and_b32_e32 v5, 1, v0
	s_mul_i32 s3, s3, s20
	v_lshl_or_b32 v7, v1, 5, v7
	v_xor_b32_e32 v11, v1, v6
	v_lshlrev_b32_e32 v9, 2, v9
	s_add_i32 s63, s25, s24
	s_add_i32 s24, s46, s21
	v_or_b32_e32 v62, 0x9000, v7
	v_or_b32_e32 v63, 0x9800, v7
	v_lshlrev_b32_e32 v7, 1, v11
	v_xor_b32_e32 v11, 0x440, v9
	v_cmp_eq_u32_e32 vcc, 0, v5
	s_add_i32 s39, s24, s3
	s_mul_i32 s3, s33, s23
	s_mul_hi_u32 s24, s33, s22
	v_cndmask_b32_e32 v5, v11, v9, vcc
	s_add_i32 s3, s24, s3
	s_mul_i32 s24, s56, s22
	s_mov_b32 s60, 0x1000504
	v_lshlrev_b32_e32 v8, 8, v52
	s_mov_b32 s26, 0x8000
	v_xor_b32_e32 v6, v55, v6
	v_lshl_or_b32 v3, v3, 10, v5
	s_add_i32 s25, s3, s24
	s_lshl_b64 s[28:29], s[38:39], 2
	s_mov_b32 s61, 0x3020706
	v_lshlrev_b32_e32 v6, 1, v6
	v_or3_b32 v64, v7, v8, s26
	v_xor_b32_e32 v5, 8, v3
	v_xor_b32_e32 v7, 24, v3
	;; [unrolled: 1-line block ×4, first 2 shown]
	s_mul_i32 s24, s33, s22
	s_add_u32 s3, s10, s28
	v_or3_b32 v65, v6, v8, s26
	v_xor_b32_e32 v6, 16, v3
	v_xor_b32_e32 v8, 32, v3
	;; [unrolled: 1-line block ×3, first 2 shown]
	v_add_u32_e32 v5, 0x80, v5
	v_add_u32_e32 v7, 0x80, v7
	;; [unrolled: 1-line block ×4, first 2 shown]
	s_addc_u32 s28, s11, s29
	s_lshl_b64 s[24:25], s[24:25], 2
	s_add_u32 s42, s3, s24
	s_movk_i32 s3, 0xf8
	s_addc_u32 s43, s28, s25
	s_lshl_b32 s30, s19, 7
	s_mov_b32 s59, 0
	s_mul_i32 s62, s49, s16
	v_add_u32_e32 v80, v49, v10
	s_mov_b32 s64, 0
	s_waitcnt vmcnt(1)
	v_perm_b32 v29, v12, v20, s60
	s_waitcnt vmcnt(0)
	v_perm_b32 v30, v16, v24, s60
	v_perm_b32 v12, v12, v20, s61
	;; [unrolled: 1-line block ×15, first 2 shown]
	ds_write2st64_b32 v3, v29, v30 offset1:32
	ds_write2st64_b32 v5, v12, v16 offset1:32
	ds_write2st64_b32 v6, v20, v24 offset0:1 offset1:33
	ds_write2st64_b32 v7, v13, v17 offset0:1 offset1:33
	;; [unrolled: 1-line block ×6, first 2 shown]
	v_or_b32_e32 v3, v49, v52
	v_lshlrev_b32_e32 v3, 3, v3
	v_lshrrev_b32_e32 v7, 5, v50
	v_and_or_b32 v7, v3, s3, v7
	v_lshlrev_b32_e32 v7, 4, v7
	v_lshlrev_b32_e32 v5, 11, v48
	v_and_b32_e32 v3, 0x78, v3
	v_or_b32_e32 v12, 32, v7
	v_and_b32_e32 v6, 0x1000, v5
	v_lshrrev_b32_e32 v11, 1, v0
	v_xor_b32_e32 v12, v12, v3
	v_and_b32_e32 v9, 8, v11
	v_or_b32_e32 v12, v12, v6
	v_xor_b32_e32 v8, v7, v3
	v_xor_b32_e32 v68, v12, v9
	v_or_b32_e32 v12, 64, v7
	v_or_b32_e32 v7, 0x60, v7
	v_xor_b32_e32 v12, v12, v3
	v_xor_b32_e32 v3, v7, v3
	v_or_b32_e32 v3, v3, v6
	v_or_b32_e32 v12, v12, v6
	v_xor_b32_e32 v70, v3, v9
	v_lshlrev_b32_e32 v14, 1, v2
	v_add_lshl_u32 v15, v2, s19, 1
	v_lshrrev_b32_e32 v2, 4, v0
	v_lshlrev_b32_e32 v3, 1, v52
	v_xor_b32_e32 v69, v12, v9
	s_ashr_i32 s3, s2, 31
	v_or_b32_e32 v12, 1, v3
	v_xor_b32_e32 v3, v2, v3
	s_lshl_b64 s[24:25], s[2:3], 8
	v_xor_b32_e32 v12, v12, v2
	v_lshlrev_b32_e32 v3, 3, v3
	v_lshlrev_b32_e32 v2, 8, v2
	s_waitcnt lgkmcnt(0)
	s_add_u32 s24, s12, s24
	v_or3_b32 v72, v3, v2, s26
	v_lshlrev_b32_e32 v3, 3, v12
	s_addc_u32 s25, s13, s25
	v_or3_b32 v73, v3, v2, s26
	v_mov_b32_e32 v3, 0
	v_lshl_add_u64 v[12:13], s[24:25], 0, v[2:3]
	v_lshlrev_b32_e32 v2, 4, v52
	s_movk_i32 s3, 0xff
	v_lshlrev_b32_e32 v18, 3, v48
	v_and_b32_e32 v11, 24, v11
	v_lshl_add_u64 v[42:43], v[12:13], 0, v[2:3]
	v_and_b32_e32 v12, 8, v0
	v_cmp_lt_u32_e32 vcc, s3, v0
	v_xor_b32_e32 v19, v18, v11
	v_or_b32_e32 v20, 0x440, v19
	v_cndmask_b32_e64 v17, 0, 1, vcc
	v_cmp_eq_u32_e32 vcc, 0, v12
	v_and_b32_e32 v2, 7, v0
	v_lshlrev_b32_e32 v13, 3, v2
	v_cndmask_b32_e32 v12, v20, v19, vcc
	v_lshlrev_b32_e32 v2, 7, v2
	v_or_b32_e32 v12, v12, v5
	v_xad_u32 v74, v12, v13, v2
	v_or_b32_e32 v12, 32, v11
	v_xor_b32_e32 v12, v18, v12
	v_or_b32_e32 v19, 0x440, v12
	v_cndmask_b32_e32 v12, v19, v12, vcc
	v_or_b32_e32 v12, v12, v5
	v_xad_u32 v75, v12, v13, v2
	v_or_b32_e32 v12, 64, v11
	v_xor_b32_e32 v12, v18, v12
	v_xor_b32_e32 v19, 0x440, v12
	v_cndmask_b32_e32 v12, v19, v12, vcc
	v_or_b32_e32 v11, 0x60, v11
	v_or_b32_e32 v12, v12, v5
	v_xor_b32_e32 v11, v18, v11
	v_or_b32_e32 v8, v8, v6
	v_or_b32_e32 v6, s2, v52
	v_xad_u32 v76, v12, v13, v2
	v_xor_b32_e32 v12, 0x440, v11
	v_xor_b32_e32 v66, v8, v9
	v_and_b32_e32 v8, 0x78, v53
	v_ashrrev_i32_e32 v7, 31, v6
	v_cndmask_b32_e32 v11, v12, v11, vcc
	v_lshl_or_b32 v8, v51, 7, v8
	v_lshlrev_b64 v[6:7], 1, v[6:7]
	v_or_b32_e32 v5, v11, v5
	v_or_b32_e32 v67, 0x9000, v8
	v_or_b32_e32 v71, 0x9800, v8
	v_lshl_add_u64 v[8:9], s[8:9], 0, v[6:7]
	v_lshl_add_u64 v[6:7], s[14:15], 0, v[6:7]
	v_or_b32_e32 v16, 0x100, v4
	v_lshlrev_b32_e32 v17, 13, v17
	v_xad_u32 v77, v5, v13, v2
	v_lshlrev_b32_e32 v2, 8, v1
	v_cndmask_b32_e64 v78, v14, v4, s[0:1]
	v_cndmask_b32_e64 v79, v15, v16, s[0:1]
	v_lshl_add_u64 v[44:45], v[8:9], 0, v[2:3]
	v_lshl_add_u64 v[46:47], v[6:7], 0, v[2:3]
	s_mov_b32 s3, 0x7060302
	s_movk_i32 s26, 0x4000
	v_add_u32_e32 v81, v17, v74
	v_add_u32_e32 v82, v17, v75
	v_add_u32_e32 v83, v17, v76
	v_add_u32_e32 v84, v17, v77
	v_mov_b32_e32 v2, v3
	v_mov_b32_e32 v4, v3
	;; [unrolled: 1-line block ×7, first 2 shown]
	s_barrier
.LBB685_6:                              ; =>This Inner Loop Header: Depth=1
	s_add_i32 s39, s64, 1
	s_cmp_lt_i32 s39, s50
	s_mov_b64 s[28:29], 0
	s_cselect_b64 s[44:45], -1, 0
	s_cmp_ge_i32 s39, s50
	s_mov_b64 s[24:25], 0
	s_cbranch_scc1 .LBB685_8
; %bb.7:                                ;   in Loop: Header=BB685_6 Depth=1
	s_add_i32 s0, s59, 64
	s_add_u32 s0, s40, s0
	s_addc_u32 s1, s41, 0
	s_lshl_b64 s[0:1], s[0:1], 8
	s_add_u32 s24, s6, s0
	s_addc_u32 s25, s7, s1
.LBB685_8:                              ;   in Loop: Header=BB685_6 Depth=1
	v_cndmask_b32_e64 v5, 0, 1, s[44:45]
	v_cmp_ne_u32_e64 s[0:1], 1, v5
	s_andn2_b64 vcc, exec, s[44:45]
	s_cbranch_vccnz .LBB685_10
; %bb.9:                                ;   in Loop: Header=BB685_6 Depth=1
	s_add_i32 s28, s59, 64
	s_add_u32 s28, s62, s28
	s_addc_u32 s29, s63, 0
	s_mul_i32 s31, s28, s51
	s_mul_hi_u32 s44, s28, s55
	s_add_i32 s31, s44, s31
	s_mul_i32 s29, s29, s55
	s_add_i32 s31, s31, s29
	s_mul_i32 s28, s28, s55
	s_add_u32 s28, s28, s54
	s_addc_u32 s29, s31, s57
	s_lshl_b64 s[28:29], s[28:29], 8
	s_add_u32 s28, s4, s28
	s_addc_u32 s29, s5, s29
.LBB685_10:                             ;   in Loop: Header=BB685_6 Depth=1
	v_perm_b32 v11, v86, v4, s3
	v_perm_b32 v10, v3, v2, s3
	;; [unrolled: 1-line block ×4, first 2 shown]
	ds_write_b64 v62, v[10:11]
	ds_write_b64 v63, v[12:13]
	;; [unrolled: 1-line block ×4, first 2 shown]
	s_waitcnt lgkmcnt(0)
	s_barrier
	ds_read_b64 v[18:19], v66 offset:16384
	ds_read_b64 v[20:21], v68 offset:16384
	ds_read2st64_b64 v[10:13], v67 offset1:1
	ds_read2st64_b64 v[14:17], v67 offset0:2 offset1:3
	ds_read_b64 v[22:23], v69 offset:16384
	s_waitcnt lgkmcnt(2)
	v_mfma_f32_16x16x16_bf16 a[0:3], v[18:19], v[10:11], 0
	ds_read_b64 v[10:11], v70 offset:16384
	s_add_i32 s31, s59, 63
	s_mul_i32 s44, s31, s37
	v_mfma_f32_16x16x16_bf16 a[0:3], v[20:21], v[12:13], a[0:3]
	s_mul_hi_u32 s45, s31, s36
	s_add_i32 s45, s45, s44
	s_mul_i32 s44, s31, s36
	s_waitcnt lgkmcnt(1)
	v_mfma_f32_16x16x16_bf16 a[0:3], v[22:23], v[14:15], a[0:3]
	s_lshl_b64 s[44:45], s[44:45], 2
	s_add_u32 s44, s42, s44
	s_addc_u32 s45, s43, s45
	s_waitcnt lgkmcnt(0)
	v_mfma_f32_16x16x16_bf16 a[0:3], v[10:11], v[16:17], a[0:3]
	s_and_b64 vcc, exec, s[0:1]
	v_mov_b32_e32 v87, 0
	v_mov_b32_e32 v9, 0
	;; [unrolled: 1-line block ×19, first 2 shown]
	s_cbranch_vccnz .LBB685_12
; %bb.11:                               ;   in Loop: Header=BB685_6 Depth=1
	s_and_b32 s25, s25, 0xffff
	buffer_load_dwordx4 v[22:25], v58, s[24:27], 0 offen
	buffer_load_dwordx4 v[18:21], v58, s[24:27], s58 offen
	;; [unrolled: 1-line block ×4, first 2 shown]
	v_mov_b32_e32 v9, v60
	v_mov_b32_e32 v5, v61
.LBB685_12:                             ;   in Loop: Header=BB685_6 Depth=1
	s_waitcnt vmcnt(3)
	v_add_u32_e32 v32, s59, v80
	s_waitcnt vmcnt(1)
	v_ashrrev_i32_e32 v26, 31, v32
	v_mul_lo_u32 v28, v26, s36
	v_mul_lo_u32 v29, v32, s37
	v_mad_u64_u32 v[26:27], s[24:25], v32, s36, 0
	v_add3_u32 v27, v27, v29, v28
	v_add_u32_e32 v28, 1, v32
	v_ashrrev_i32_e32 v29, 31, v28
	v_mul_lo_u32 v30, v29, s36
	v_mul_lo_u32 v31, v28, s37
	v_mad_u64_u32 v[28:29], s[24:25], v28, s36, 0
	v_add3_u32 v29, v29, v31, v30
	v_add_u32_e32 v30, 2, v32
	v_ashrrev_i32_e32 v31, 31, v30
	v_mul_lo_u32 v33, v31, s36
	v_mul_lo_u32 v34, v30, s37
	v_mad_u64_u32 v[30:31], s[24:25], v30, s36, 0
	s_add_u32 s24, s40, s59
	v_add3_u32 v31, v31, v34, v33
	v_add_u32_e32 v34, 3, v32
	s_addc_u32 s25, s41, 0
	v_ashrrev_i32_e32 v32, 31, v34
	s_lshl_b64 s[66:67], s[24:25], 8
	v_lshl_add_u64 v[26:27], v[26:27], 2, s[42:43]
	v_mul_lo_u32 v35, v32, s36
	v_lshl_add_u64 v[32:33], v[44:45], 0, s[66:67]
	v_mul_lo_u32 v36, v34, s37
	global_load_ushort v89, v[32:33], off
	global_load_ushort v94, v[32:33], off offset:256
	global_load_ushort v95, v[32:33], off offset:512
	;; [unrolled: 1-line block ×3, first 2 shown]
	global_load_dword v97, v[26:27], off
	v_mad_u64_u32 v[26:27], s[24:25], v34, s36, 0
	v_lshl_add_u64 v[28:29], v[28:29], 2, s[42:43]
	v_add3_u32 v27, v27, v36, v35
	v_lshl_add_u64 v[30:31], v[30:31], 2, s[42:43]
	v_lshl_add_u64 v[26:27], v[26:27], 2, s[42:43]
	global_load_dword v98, v[28:29], off
	global_load_dword v99, v[30:31], off
	global_load_dword v100, v[26:27], off
	s_load_dword s24, s[44:45], 0x0
	ds_read_b64 v[34:35], v66 offset:24576
	ds_read2st64_b64 v[30:33], v71 offset1:1
	ds_read2st64_b64 v[36:39], v71 offset0:2 offset1:3
	ds_read_b64 v[40:41], v68 offset:24576
	ds_read_b64 v[90:91], v69 offset:24576
	;; [unrolled: 1-line block ×3, first 2 shown]
	s_waitcnt lgkmcnt(0)
	v_mfma_f32_16x16x16_bf16 a[0:3], v[34:35], v[30:31], a[0:3]
	v_mov_b32_e32 v88, 0
	v_mov_b32_e32 v26, 0
	;; [unrolled: 1-line block ×3, first 2 shown]
	v_mfma_f32_16x16x16_bf16 a[0:3], v[40:41], v[32:33], a[0:3]
	v_mov_b32_e32 v28, 0
	v_mov_b32_e32 v29, 0
	;; [unrolled: 1-line block ×3, first 2 shown]
	v_mfma_f32_16x16x16_bf16 a[0:3], v[90:91], v[36:37], a[0:3]
	v_lshl_add_u64 v[36:37], v[46:47], 0, s[66:67]
	v_mov_b32_e32 v31, 0
	v_mov_b32_e32 v32, 0
	v_mfma_f32_16x16x16_bf16 a[0:3], v[92:93], v[38:39], a[0:3]
	v_mov_b32_e32 v33, 0
	v_mov_b32_e32 v34, 0
	;; [unrolled: 1-line block ×3, first 2 shown]
	s_and_b64 vcc, exec, s[0:1]
	s_waitcnt vmcnt(7)
	v_lshlrev_b32_e32 v90, 16, v89
	s_nop 0
	v_accvgpr_read_b32 v41, a1
	v_accvgpr_read_b32 v39, a3
	v_accvgpr_read_b32 v38, a2
	v_accvgpr_read_b32 v40, a0
	s_waitcnt vmcnt(6)
	v_lshlrev_b32_e32 v91, 16, v94
	s_waitcnt vmcnt(4)
	v_lshlrev_b32_e32 v93, 16, v96
	v_lshlrev_b32_e32 v92, 16, v95
	s_waitcnt vmcnt(3)
	v_sub_f32_e32 v89, s24, v97
	v_pk_add_f32 v[40:41], v[90:91], v[40:41] neg_lo:[0,1] neg_hi:[0,1]
	v_pk_add_f32 v[38:39], v[92:93], v[38:39] neg_lo:[0,1] neg_hi:[0,1]
	v_exp_f32_e32 v90, v89
	s_waitcnt vmcnt(2)
	v_sub_f32_e32 v89, s24, v98
	s_waitcnt vmcnt(1)
	v_sub_f32_e32 v92, s24, v99
	;; [unrolled: 2-line block ×3, first 2 shown]
	v_exp_f32_e32 v91, v89
	v_exp_f32_e32 v92, v92
	v_exp_f32_e32 v93, v93
	global_store_short_d16_hi v[36:37], v40, off
	global_store_short_d16_hi v[36:37], v41, off offset:256
	global_store_short_d16_hi v[36:37], v38, off offset:512
	;; [unrolled: 1-line block ×3, first 2 shown]
	v_pk_mul_f32 v[36:37], v[90:91], v[40:41]
	v_pk_mul_f32 v[38:39], v[92:93], v[38:39]
	v_perm_b32 v36, v37, v36, s3
	v_perm_b32 v37, v39, v38, s3
	ds_write_b64 v63, v[36:37]
	v_mov_b32_e32 v36, 0
	v_mov_b32_e32 v37, 0
	;; [unrolled: 1-line block ×6, first 2 shown]
	s_cbranch_vccnz .LBB685_14
; %bb.13:                               ;   in Loop: Header=BB685_6 Depth=1
	s_and_b32 s29, s29, 0xffff
	s_mov_b32 s31, s27
	buffer_load_dwordx4 v[38:41], v78, s[28:31], 0 offen
	buffer_load_dwordx4 v[30:33], v78, s[28:31], s58 offen
	;; [unrolled: 1-line block ×4, first 2 shown]
	v_mov_b32_e32 v87, v57
	v_mov_b32_e32 v88, v56
.LBB685_14:                             ;   in Loop: Header=BB685_6 Depth=1
	s_waitcnt lgkmcnt(0)
	s_barrier
	ds_read_b64 v[98:99], v81
	ds_read2st64_b64 v[90:93], v71 offset1:1
	ds_read2st64_b64 v[94:97], v71 offset0:2 offset1:3
	ds_read_b64 v[100:101], v82
	ds_read_b64 v[102:103], v83
	ds_read_b64 v[104:105], v84
	s_waitcnt lgkmcnt(4)
	v_mfma_f32_16x16x16_bf16 a[0:3], v[98:99], v[90:91], 0
	ds_read_b64 v[98:99], v74 offset:8192
	ds_read_b64 v[106:107], v75 offset:8192
	s_add_i32 s25, s52, s64
	s_mul_hi_i32 s29, s25, s17
	s_waitcnt lgkmcnt(1)
	v_mfma_f32_16x16x16_bf16 a[4:7], v[98:99], v[90:91], 0
	s_mul_i32 s25, s25, s17
	s_add_u32 s28, s25, s33
	s_addc_u32 s29, s29, s56
	v_mfma_f32_16x16x16_bf16 a[0:3], v[100:101], v[92:93], a[0:3]
	ds_read_b64 v[98:99], v72
	ds_read_b64 v[100:101], v73
	ds_read_b64 v[90:91], v76 offset:8192
	s_lshl_b64 s[28:29], s[28:29], 15
	v_mfma_f32_16x16x16_bf16 a[0:3], v[102:103], v[94:95], a[0:3]
	ds_read_b64 v[102:103], v77 offset:8192
	s_and_b64 vcc, exec, s[0:1]
	s_waitcnt lgkmcnt(4)
	v_mfma_f32_16x16x16_bf16 a[4:7], v[106:107], v[92:93], a[4:7]
	s_waitcnt lgkmcnt(1)
	v_mfma_f32_16x16x16_bf16 a[4:7], v[90:91], v[94:95], a[4:7]
	v_lshl_add_u64 v[90:91], v[42:43], 0, s[28:29]
	global_store_dwordx4 v[90:91], v[98:101], off
	v_mfma_f32_16x16x16_bf16 a[0:3], v[104:105], v[96:97], a[0:3]
	s_waitcnt lgkmcnt(0)
	v_mfma_f32_16x16x16_bf16 a[4:7], v[102:103], v[96:97], a[4:7]
	s_cbranch_vccnz .LBB685_16
; %bb.15:                               ;   in Loop: Header=BB685_6 Depth=1
	v_lshrrev_b32_e32 v89, 3, v87
	v_and_b32_e32 v89, 6, v89
	v_xor_b32_e32 v88, v89, v88
	v_lshlrev_b32_e32 v88, 2, v88
	v_and_b32_e32 v87, 8, v87
	v_xor_b32_e32 v90, 0x440, v88
	v_cmp_eq_u32_e32 vcc, 0, v87
	s_barrier
	s_nop 0
	v_cndmask_b32_e32 v87, v90, v88, vcc
	v_lshl_or_b32 v87, v89, 10, v87
	s_waitcnt vmcnt(2)
	v_perm_b32 v88, v38, v34, s60
	s_waitcnt vmcnt(1)
	v_perm_b32 v89, v30, v26, s60
	ds_write2st64_b32 v87, v88, v89 offset1:32
	v_xor_b32_e32 v88, 8, v87
	v_perm_b32 v34, v38, v34, s61
	v_perm_b32 v26, v30, v26, s61
	v_add_u32_e32 v30, 0x80, v88
	ds_write2st64_b32 v30, v34, v26 offset1:32
	v_xor_b32_e32 v26, 16, v87
	v_perm_b32 v30, v39, v35, s60
	v_perm_b32 v34, v31, v27, s60
	ds_write2st64_b32 v26, v30, v34 offset0:1 offset1:33
	v_xor_b32_e32 v26, 24, v87
	v_perm_b32 v30, v39, v35, s61
	v_perm_b32 v27, v31, v27, s61
	v_add_u32_e32 v26, 0x80, v26
	ds_write2st64_b32 v26, v30, v27 offset0:1 offset1:33
	v_xor_b32_e32 v26, 32, v87
	v_perm_b32 v27, v40, v36, s60
	v_perm_b32 v30, v32, v28, s60
	ds_write2st64_b32 v26, v27, v30 offset0:2 offset1:34
	v_xor_b32_e32 v26, 40, v87
	v_perm_b32 v27, v40, v36, s61
	v_perm_b32 v28, v32, v28, s61
	v_add_u32_e32 v26, 0x80, v26
	ds_write2st64_b32 v26, v27, v28 offset0:2 offset1:34
	;; [unrolled: 9-line block ×3, first 2 shown]
	ds_write_b64 v9, v[22:23] offset:16384
	v_xor_b32_e32 v22, 8, v9
	ds_write_b64 v22, v[24:25] offset:16384
	ds_write_b64 v9, v[18:19] offset:24576
	;; [unrolled: 1-line block ×4, first 2 shown]
	v_xor_b32_e32 v9, 8, v5
	ds_write_b64 v9, v[16:17] offset:16384
	ds_write_b64 v5, v[10:11] offset:24576
	;; [unrolled: 1-line block ×3, first 2 shown]
.LBB685_16:                             ;   in Loop: Header=BB685_6 Depth=1
	v_exp_f32_e32 v10, s24
	s_nop 2
	v_accvgpr_read_b32 v9, a1
	v_accvgpr_read_b32 v5, a0
	s_add_i32 s59, s59, 64
	v_fma_f32 v3, v3, v10, v9
	v_accvgpr_read_b32 v9, a4
	v_fma_f32 v6, v6, v10, v9
	v_accvgpr_read_b32 v9, a5
	;; [unrolled: 2-line block ×6, first 2 shown]
	v_fmac_f32_e32 v5, v86, v10
	s_cmp_eq_u32 s50, s39
	v_fmac_f32_e32 v9, v85, v10
	s_cbranch_scc1 .LBB685_18
; %bb.17:                               ;   in Loop: Header=BB685_6 Depth=1
	s_mov_b32 s64, s39
	v_mov_b32_e32 v86, v5
	v_mov_b32_e32 v85, v9
	s_branch .LBB685_6
.LBB685_18:
	s_lshl_b32 s44, s50, 6
	s_sub_i32 s45, s16, s44
	s_cmp_gt_i32 s45, 0
	s_waitcnt vmcnt(2)
	v_or_b32_e32 v34, s2, v52
	s_cbranch_scc1 .LBB685_20
; %bb.19:
	s_ashr_i32 s0, s33, 31
	s_add_u32 s28, s47, s33
	s_addc_u32 s29, s53, s0
	v_or_b32_e32 v10, s2, v52
	s_cbranch_execz .LBB685_21
	s_branch .LBB685_77
.LBB685_20:
                                        ; implicit-def: $sgpr28_sgpr29
                                        ; implicit-def: $vgpr10
.LBB685_21:
	s_ashr_i32 s39, s49, 31
	s_ashr_i32 s3, s44, 31
	s_cmpk_lg_i32 s19, 0x80
	s_cselect_b64 s[40:41], -1, 0
	s_and_b64 vcc, exec, s[40:41]
	s_cbranch_vccz .LBB685_23
; %bb.22:
	s_mul_i32 s1, s49, s16
	s_mul_hi_i32 s0, s49, s16
	s_add_u32 s1, s1, s44
	s_addc_u32 s0, s0, s3
	s_mul_i32 s24, s1, s51
	s_mul_hi_u32 s25, s1, s18
	s_add_i32 s24, s25, s24
	s_mul_i32 s0, s0, s18
	s_add_i32 s24, s24, s0
	s_mul_i32 s1, s1, s18
	s_ashr_i32 s0, s54, 31
	s_add_u32 s42, s1, s54
	s_addc_u32 s43, s24, s0
	s_cbranch_execz .LBB685_24
	s_branch .LBB685_25
.LBB685_23:
                                        ; implicit-def: $sgpr42_sgpr43
.LBB685_24:
	s_mul_hi_i32 s0, s49, s18
	s_mul_i32 s49, s49, s18
	s_ashr_i32 s1, s54, 31
	s_add_u32 s18, s49, s54
	s_addc_u32 s0, s0, s1
	s_mul_i32 s1, s18, s48
	s_mul_hi_u32 s24, s18, s16
	s_add_i32 s1, s24, s1
	s_mul_i32 s0, s0, s16
	s_add_i32 s1, s1, s0
	s_mul_i32 s18, s18, s16
	s_add_u32 s42, s18, s44
	s_addc_u32 s43, s1, s3
.LBB685_25:
	s_add_i32 s24, s52, s50
	s_ashr_i32 s18, s33, 31
	s_add_u32 s28, s47, s33
	s_addc_u32 s29, s53, s18
	s_mul_i32 s0, s28, s48
	s_mul_hi_u32 s1, s28, s16
	s_add_i32 s0, s1, s0
	s_mul_i32 s1, s29, s16
	s_add_i32 s1, s0, s1
	s_mul_i32 s0, s28, s16
	s_add_u32 s0, s0, s44
	s_addc_u32 s1, s1, s3
	s_mov_b32 s3, 0x7060302
	v_lshlrev_b32_e32 v14, 3, v52
	s_lshl_b64 s[30:31], s[0:1], 8
	v_perm_b32 v11, v5, v4, s3
	v_perm_b32 v10, v3, v2, s3
	;; [unrolled: 1-line block ×4, first 2 shown]
	v_lshlrev_b32_e32 v44, 2, v52
	v_lshl_or_b32 v14, v1, 5, v14
	s_add_u32 s0, s6, s30
	ds_write2st64_b64 v14, v[10:11], v[12:13] offset0:72 offset1:76
	v_xor_b32_e32 v14, v1, v44
	v_lshlrev_b32_e32 v15, 8, v52
	s_addc_u32 s1, s7, s31
	v_lshl_or_b32 v14, v14, 1, v15
	s_mul_hi_i32 s3, s24, s17
	s_mul_i32 s24, s24, s17
	ds_write_b64 v14, v[10:11] offset:32768
	v_xor_b32_e32 v10, v55, v44
	s_add_u32 s6, s24, s33
	v_lshl_or_b32 v10, v10, 1, v15
	s_addc_u32 s7, s3, s18
	v_lshlrev_b32_e32 v11, 1, v52
	ds_write_b64 v10, v[12:13] offset:32768
	v_lshrrev_b32_e32 v10, 4, v0
	s_ashr_i32 s3, s2, 31
	s_lshl_b64 s[6:7], s[6:7], 15
	v_or_b32_e32 v12, 1, v11
	s_waitcnt lgkmcnt(0)
	s_add_u32 s6, s12, s6
	v_xor_b32_e32 v11, v10, v11
	v_xor_b32_e32 v12, v12, v10
	v_lshlrev_b32_e32 v14, 8, v10
	s_addc_u32 s7, s13, s7
	s_lshl_b64 s[2:3], s[2:3], 8
	v_lshl_or_b32 v10, v11, 3, v14
	v_lshl_or_b32 v12, v12, 3, v14
	s_barrier
	s_add_u32 s2, s6, s2
	ds_read_b64 v[10:11], v10 offset:32768
	ds_read_b64 v[12:13], v12 offset:32768
	s_addc_u32 s3, s7, s3
	v_mov_b32_e32 v15, 0
	s_cmp_lg_u32 s45, 64
	v_lshl_add_u64 v[16:17], s[2:3], 0, v[14:15]
	v_lshlrev_b32_e32 v14, 4, v52
	s_cselect_b64 s[6:7], -1, 0
	v_lshl_or_b32 v35, v48, 3, v54
	s_mov_b32 s24, 0
	v_lshl_add_u64 v[14:15], v[16:17], 0, v[14:15]
	s_waitcnt vmcnt(1)
	v_or_b32_e32 v27, 32, v35
	v_and_b32_e32 v26, 56, v53
	s_and_b64 vcc, exec, s[6:7]
	s_waitcnt lgkmcnt(0)
	global_store_dwordx4 v[14:15], v[10:13], off
	s_cbranch_vccz .LBB685_31
; %bb.26:
	s_mov_b32 s25, s24
	s_mov_b32 s26, s24
	;; [unrolled: 1-line block ×3, first 2 shown]
	v_mov_b64_e32 v[14:15], s[24:25]
	v_mov_b64_e32 v[16:17], s[26:27]
	;; [unrolled: 1-line block ×3, first 2 shown]
	v_cmp_gt_i32_e32 vcc, s45, v35
	v_mov_b64_e32 v[12:13], v[16:17]
	s_and_saveexec_b64 s[2:3], vcc
	s_cbranch_execz .LBB685_28
; %bb.27:
	v_lshlrev_b32_e32 v10, 8, v35
	v_mov_b32_e32 v11, 0
	v_lshl_add_u64 v[12:13], s[0:1], 0, v[10:11]
	v_lshlrev_b32_e32 v10, 1, v26
	v_lshl_add_u64 v[18:19], v[12:13], 0, v[10:11]
	global_load_dwordx4 v[14:17], v[18:19], off
	global_load_dwordx4 v[10:13], v[18:19], off offset:128
.LBB685_28:
	s_or_b64 exec, exec, s[2:3]
	s_mov_b32 s25, s24
	s_mov_b32 s26, s24
	;; [unrolled: 1-line block ×3, first 2 shown]
	v_mov_b64_e32 v[22:23], s[24:25]
	v_mov_b64_e32 v[24:25], s[26:27]
	;; [unrolled: 1-line block ×3, first 2 shown]
	v_cmp_gt_i32_e32 vcc, s45, v27
	v_lshlrev_b32_e32 v28, 7, v27
	v_mov_b64_e32 v[20:21], v[24:25]
	s_and_saveexec_b64 s[2:3], vcc
	s_cbranch_execz .LBB685_30
; %bb.29:
	v_lshlrev_b32_e32 v18, 1, v28
	v_mov_b32_e32 v19, 0
	v_lshl_add_u64 v[20:21], s[0:1], 0, v[18:19]
	v_lshlrev_b32_e32 v18, 1, v26
	v_lshl_add_u64 v[30:31], v[20:21], 0, v[18:19]
	global_load_dwordx4 v[22:25], v[30:31], off
	global_load_dwordx4 v[18:21], v[30:31], off offset:128
.LBB685_30:
	s_or_b64 exec, exec, s[2:3]
	v_lshrrev_b32_e32 v29, 3, v26
	v_lshlrev_b32_e32 v30, 3, v35
	v_or_b32_e32 v29, v30, v29
	v_lshlrev_b32_e32 v29, 4, v29
	v_and_b32_e32 v30, 0x78, v30
	v_xor_b32_e32 v29, v29, v30
	s_branch .LBB685_33
.LBB685_31:
                                        ; implicit-def: $vgpr29
                                        ; implicit-def: $vgpr28
                                        ; implicit-def: $vgpr14_vgpr15_vgpr16_vgpr17
                                        ; implicit-def: $vgpr10_vgpr11_vgpr12_vgpr13
                                        ; implicit-def: $vgpr22_vgpr23_vgpr24_vgpr25
                                        ; implicit-def: $vgpr18_vgpr19_vgpr20_vgpr21
	s_cbranch_execz .LBB685_33
; %bb.32:
	s_waitcnt vmcnt(0)
	v_lshlrev_b32_e32 v10, 1, v26
	v_lshl_or_b32 v28, v35, 8, v10
	s_and_b32 s1, s1, 0xffff
	s_mov_b32 s3, 0x20000
	s_movk_i32 s2, 0x4000
	v_lshl_or_b32 v29, v27, 8, v10
	s_movk_i32 s12, 0x80
	buffer_load_dwordx4 v[14:17], v28, s[0:3], 0 offen
	buffer_load_dwordx4 v[10:13], v28, s[0:3], s12 offen
	;; [unrolled: 1-line block ×4, first 2 shown]
	v_lshrrev_b32_e32 v28, 3, v26
	v_lshlrev_b32_e32 v29, 3, v35
	v_or_b32_e32 v28, v29, v28
	v_lshlrev_b32_e32 v28, 4, v28
	v_and_b32_e32 v29, 0x78, v29
	v_xor_b32_e32 v29, v28, v29
	v_lshlrev_b32_e32 v28, 7, v27
.LBB685_33:
	s_lshl_b64 s[0:1], s[42:43], 8
	s_add_u32 s4, s4, s0
	s_movk_i32 s0, 0x1000
	v_and_or_b32 v27, v28, s0, v29
	s_waitcnt vmcnt(1)
	ds_write_b64 v29, v[14:15] offset:16384
	v_xor_b32_e32 v14, 8, v29
	ds_write_b64 v14, v[16:17] offset:16384
	s_waitcnt vmcnt(0)
	ds_write_b64 v29, v[10:11] offset:24576
	ds_write_b64 v14, v[12:13] offset:24576
	;; [unrolled: 1-line block ×3, first 2 shown]
	v_xor_b32_e32 v10, 8, v27
	ds_write_b64 v10, v[24:25] offset:16384
	ds_write_b64 v27, v[18:19] offset:24576
	ds_write_b64 v10, v[20:21] offset:24576
	v_or_b32_e32 v10, v49, v52
	s_addc_u32 s5, s5, s1
	s_add_i32 s2, s16, -1
	v_lshlrev_b32_e32 v10, 3, v10
	v_lshrrev_b32_e32 v12, 5, v50
	s_movk_i32 s16, 0xf8
	v_and_or_b32 v12, v10, s16, v12
	v_lshlrev_b32_e32 v45, 11, v48
	v_lshlrev_b32_e32 v20, 4, v12
	v_and_b32_e32 v21, 0x78, v10
	v_and_b32_e32 v22, 0x1000, v45
	v_lshlrev_b32_e32 v11, 2, v0
	v_xor_b32_e32 v10, v20, v21
	v_lshrrev_b32_e32 v12, 1, v50
	v_and_b32_e32 v11, 60, v11
	v_or_b32_e32 v10, v10, v22
	v_and_b32_e32 v23, 8, v12
	v_xor_b32_e32 v36, v10, v23
	v_lshl_or_b32 v10, v51, 6, v11
	v_lshlrev_b32_e32 v46, 1, v10
	v_or_b32_e32 v10, 32, v20
	v_xor_b32_e32 v10, v10, v21
	s_waitcnt lgkmcnt(0)
	s_barrier
	ds_read_b64 v[18:19], v36 offset:16384
	v_or_b32_e32 v10, v10, v22
	v_xor_b32_e32 v37, v10, v23
	v_or_b32_e32 v10, 64, v20
	v_xor_b32_e32 v10, v10, v21
	v_or_b32_e32 v10, v10, v22
	v_or_b32_e32 v20, 0x60, v20
	v_xor_b32_e32 v38, v10, v23
	ds_read2st64_b64 v[10:13], v46 offset0:72 offset1:73
	ds_read2st64_b64 v[14:17], v46 offset0:74 offset1:75
	v_xor_b32_e32 v24, v20, v21
	ds_read_b64 v[20:21], v37 offset:16384
	s_waitcnt lgkmcnt(2)
	v_mfma_f32_16x16x16_bf16 a[0:3], v[18:19], v[10:11], 0
	s_add_i32 s0, s46, s21
	s_mul_i32 s39, s39, s20
	s_add_i32 s39, s0, s39
	s_mul_i32 s0, s33, s23
	s_mul_hi_u32 s1, s33, s22
	s_ashr_i32 s3, s2, 31
	s_mul_i32 s12, s2, s37
	s_mul_hi_u32 s13, s2, s36
	s_add_i32 s0, s1, s0
	s_mul_i32 s1, s18, s22
	s_add_i32 s12, s13, s12
	s_mul_i32 s3, s3, s36
	v_or_b32_e32 v22, v24, v22
	s_add_i32 s1, s0, s1
	s_add_i32 s3, s12, s3
	s_lshl_b64 s[12:13], s[38:39], 2
	v_xor_b32_e32 v47, v22, v23
	ds_read_b64 v[22:23], v38 offset:16384
	ds_read_b64 v[24:25], v47 offset:16384
	s_waitcnt lgkmcnt(2)
	v_mfma_f32_16x16x16_bf16 a[0:3], v[20:21], v[12:13], a[0:3]
	s_mul_i32 s0, s33, s22
	s_add_u32 s10, s10, s12
	s_addc_u32 s11, s11, s13
	s_lshl_b64 s[0:1], s[0:1], 2
	s_mul_i32 s2, s2, s36
	s_add_u32 s10, s10, s0
	s_addc_u32 s11, s11, s1
	s_lshl_b64 s[0:1], s[2:3], 2
	s_waitcnt lgkmcnt(1)
	v_mfma_f32_16x16x16_bf16 a[0:3], v[22:23], v[14:15], a[0:3]
	s_add_u32 s0, s10, s0
	s_addc_u32 s1, s11, s1
	s_load_dword s12, s[0:1], 0x0
	s_waitcnt lgkmcnt(0)
	v_mfma_f32_16x16x16_bf16 a[0:3], v[24:25], v[16:17], a[0:3]
	s_and_b64 vcc, exec, s[40:41]
	s_cbranch_vccz .LBB685_44
; %bb.34:
	v_lshlrev_b32_e32 v27, 1, v35
	s_and_b64 vcc, exec, s[6:7]
	s_cbranch_vccz .LBB685_45
; %bb.35:
	v_cmp_gt_i32_e32 vcc, s45, v27
	v_mov_b32_e32 v14, 0
	v_mov_b32_e32 v10, 0
	;; [unrolled: 1-line block ×5, first 2 shown]
	s_and_saveexec_b64 s[0:1], vcc
	s_cbranch_execz .LBB685_37
; %bb.36:
	v_mad_i64_i32 v[10:11], s[2:3], s19, v27, 0
	v_lshl_add_u64 v[10:11], v[10:11], 1, s[4:5]
	v_lshlrev_b32_e32 v12, 1, v26
	v_mov_b32_e32 v13, 0
	v_lshl_add_u64 v[10:11], v[10:11], 0, v[12:13]
	global_load_dwordx4 v[10:13], v[10:11], off
.LBB685_37:
	s_or_b64 exec, exec, s[0:1]
	v_or_b32_e32 v28, 1, v27
	v_cmp_gt_i32_e64 s[0:1], s45, v28
	v_mov_b32_e32 v15, 0
	v_mov_b32_e32 v16, 0
	;; [unrolled: 1-line block ×3, first 2 shown]
	s_and_saveexec_b64 s[2:3], s[0:1]
	s_cbranch_execz .LBB685_39
; %bb.38:
	v_mad_i64_i32 v[14:15], s[16:17], s19, v28, 0
	v_lshl_add_u64 v[14:15], v[14:15], 1, s[4:5]
	v_lshlrev_b32_e32 v16, 1, v26
	v_mov_b32_e32 v17, 0
	v_lshl_add_u64 v[14:15], v[14:15], 0, v[16:17]
	global_load_dwordx4 v[14:17], v[14:15], off
.LBB685_39:
	s_or_b64 exec, exec, s[2:3]
	v_mov_b32_e32 v25, 0
	v_mov_b32_e32 v18, 0
	;; [unrolled: 1-line block ×5, first 2 shown]
	s_and_saveexec_b64 s[2:3], vcc
	s_cbranch_execz .LBB685_41
; %bb.40:
	v_mad_i64_i32 v[18:19], s[16:17], s19, v27, 0
	v_lshl_add_u64 v[18:19], v[18:19], 1, s[4:5]
	v_lshlrev_b32_e32 v20, 1, v26
	v_mov_b32_e32 v21, 0
	v_lshl_add_u64 v[18:19], v[18:19], 0, v[20:21]
	global_load_dwordx4 v[18:21], v[18:19], off offset:128
.LBB685_41:
	s_or_b64 exec, exec, s[2:3]
	v_mov_b32_e32 v24, 0
	v_mov_b32_e32 v23, 0
	;; [unrolled: 1-line block ×3, first 2 shown]
	s_and_saveexec_b64 s[2:3], s[0:1]
	s_cbranch_execz .LBB685_43
; %bb.42:
	v_mad_i64_i32 v[22:23], s[0:1], s19, v28, 0
	v_lshl_add_u64 v[22:23], v[22:23], 1, s[4:5]
	v_lshlrev_b32_e32 v24, 1, v26
	v_mov_b32_e32 v25, 0
	v_lshl_add_u64 v[22:23], v[22:23], 0, v[24:25]
	global_load_dwordx4 v[22:25], v[22:23], off offset:128
.LBB685_43:
	s_or_b64 exec, exec, s[2:3]
	s_branch .LBB685_47
.LBB685_44:
                                        ; implicit-def: $vgpr13
                                        ; implicit-def: $vgpr17
                                        ; implicit-def: $vgpr21
                                        ; implicit-def: $vgpr25
	v_lshrrev_b32_e32 v50, 2, v50
	s_branch .LBB685_48
.LBB685_45:
                                        ; implicit-def: $vgpr13
                                        ; implicit-def: $vgpr17
                                        ; implicit-def: $vgpr21
                                        ; implicit-def: $vgpr25
	s_cbranch_execz .LBB685_47
; %bb.46:
	s_waitcnt vmcnt(0)
	v_mad_u64_u32 v[10:11], s[0:1], v27, s19, v[26:27]
	v_lshlrev_b32_e32 v27, 1, v10
	s_lshl_b32 s2, s19, 7
	s_and_b32 s1, s5, 0xffff
	s_mov_b32 s3, 0x20000
	s_mov_b32 s0, s4
	v_add_lshl_u32 v28, v10, s19, 1
	s_movk_i32 s13, 0x80
	buffer_load_dwordx4 v[10:13], v27, s[0:3], 0 offen
	buffer_load_dwordx4 v[18:21], v27, s[0:3], s13 offen
	;; [unrolled: 1-line block ×4, first 2 shown]
.LBB685_47:
	v_lshrrev_b32_e32 v50, 2, v50
	s_cbranch_execnz .LBB685_60
.LBB685_48:
	s_and_b64 vcc, exec, s[6:7]
	s_cbranch_vccz .LBB685_58
; %bb.49:
	s_waitcnt vmcnt(0)
	v_lshlrev_b32_e32 v15, 1, v35
	v_cmp_gt_i32_e32 vcc, s45, v15
	v_mov_b32_e32 v14, 0
	v_lshlrev_b32_e32 v22, 9, v35
	v_mov_b32_e32 v10, 0
	v_mov_b32_e32 v11, 0
	;; [unrolled: 1-line block ×4, first 2 shown]
	s_and_saveexec_b64 s[0:1], vcc
	s_cbranch_execz .LBB685_51
; %bb.50:
	v_mov_b32_e32 v23, 0
	v_lshl_add_u64 v[10:11], s[4:5], 0, v[22:23]
	v_lshlrev_b32_e32 v12, 1, v26
	v_mov_b32_e32 v13, v23
	v_lshl_add_u64 v[10:11], v[10:11], 0, v[12:13]
	global_load_dwordx4 v[10:13], v[10:11], off
.LBB685_51:
	s_or_b64 exec, exec, s[0:1]
	v_or_b32_e32 v15, 1, v15
	v_cmp_gt_i32_e64 s[0:1], s45, v15
	v_lshlrev_b32_e32 v28, 8, v15
	v_mov_b32_e32 v15, 0
	v_mov_b32_e32 v16, 0
	;; [unrolled: 1-line block ×3, first 2 shown]
	s_and_saveexec_b64 s[2:3], s[0:1]
	s_cbranch_execz .LBB685_53
; %bb.52:
	v_mov_b32_e32 v29, 0
	v_lshl_add_u64 v[14:15], s[4:5], 0, v[28:29]
	v_lshlrev_b32_e32 v16, 1, v26
	v_mov_b32_e32 v17, v29
	v_lshl_add_u64 v[14:15], v[14:15], 0, v[16:17]
	global_load_dwordx4 v[14:17], v[14:15], off
.LBB685_53:
	s_or_b64 exec, exec, s[2:3]
	v_mov_b32_e32 v25, 0
	v_mov_b32_e32 v18, 0
	;; [unrolled: 1-line block ×5, first 2 shown]
	s_and_saveexec_b64 s[2:3], vcc
	s_cbranch_execz .LBB685_55
; %bb.54:
	v_mov_b32_e32 v23, 0
	v_lshl_add_u64 v[18:19], s[4:5], 0, v[22:23]
	v_lshlrev_b32_e32 v22, 1, v26
	v_lshl_add_u64 v[18:19], v[18:19], 0, v[22:23]
	global_load_dwordx4 v[18:21], v[18:19], off offset:128
.LBB685_55:
	s_or_b64 exec, exec, s[2:3]
	v_mov_b32_e32 v24, 0
	v_mov_b32_e32 v23, 0
	;; [unrolled: 1-line block ×3, first 2 shown]
	s_and_saveexec_b64 s[2:3], s[0:1]
	s_cbranch_execz .LBB685_57
; %bb.56:
	v_mov_b32_e32 v29, 0
	v_lshl_add_u64 v[22:23], s[4:5], 0, v[28:29]
	v_lshlrev_b32_e32 v28, 1, v26
	v_lshl_add_u64 v[22:23], v[22:23], 0, v[28:29]
	global_load_dwordx4 v[22:25], v[22:23], off offset:128
.LBB685_57:
	s_or_b64 exec, exec, s[2:3]
	s_branch .LBB685_60
.LBB685_58:
                                        ; implicit-def: $vgpr13
                                        ; implicit-def: $vgpr17
                                        ; implicit-def: $vgpr21
                                        ; implicit-def: $vgpr25
	s_cbranch_execz .LBB685_60
; %bb.59:
	s_waitcnt vmcnt(0)
	v_lshlrev_b32_e32 v10, 1, v26
	v_lshl_or_b32 v26, v35, 9, v10
	s_and_b32 s5, s5, 0xffff
	s_mov_b32 s7, 0x20000
	s_movk_i32 s6, 0x4000
	s_movk_i32 s0, 0x80
	buffer_load_dwordx4 v[10:13], v26, s[4:7], 0 offen
	buffer_load_dwordx4 v[14:17], v26, s[4:7], 0 offen offset:256
	buffer_load_dwordx4 v[18:21], v26, s[4:7], s0 offen
	buffer_load_dwordx4 v[22:25], v26, s[4:7], s0 offen offset:256
.LBB685_60:
	ds_read2st64_b64 v[30:33], v46 offset0:76 offset1:77
	ds_read2st64_b64 v[26:29], v46 offset0:78 offset1:79
	ds_read_b64 v[42:43], v36 offset:24576
	ds_read_b64 v[40:41], v37 offset:24576
	;; [unrolled: 1-line block ×4, first 2 shown]
	v_and_b32_e32 v47, 6, v0
	v_xor_b32_e32 v35, v35, v47
	v_lshlrev_b32_e32 v35, 2, v35
	v_and_b32_e32 v51, 1, v0
	v_xor_b32_e32 v52, 0x440, v35
	v_cmp_eq_u32_e32 vcc, 0, v51
	s_mov_b32 s0, 0x1000504
	s_waitcnt vmcnt(0)
	v_perm_b32 v51, v18, v22, s0
	v_cndmask_b32_e32 v35, v52, v35, vcc
	v_lshl_or_b32 v35, v47, 10, v35
	v_perm_b32 v47, v10, v14, s0
	ds_write2st64_b32 v35, v47, v51 offset1:32
	v_xor_b32_e32 v47, 8, v35
	s_mov_b32 s1, 0x3020706
	v_perm_b32 v10, v10, v14, s1
	v_perm_b32 v14, v18, v22, s1
	v_add_u32_e32 v18, 0x80, v47
	ds_write2st64_b32 v18, v10, v14 offset1:32
	v_xor_b32_e32 v10, 16, v35
	v_perm_b32 v14, v11, v15, s0
	v_perm_b32 v18, v19, v23, s0
	ds_write2st64_b32 v10, v14, v18 offset0:1 offset1:33
	v_xor_b32_e32 v10, 24, v35
	v_perm_b32 v11, v11, v15, s1
	v_perm_b32 v14, v19, v23, s1
	v_add_u32_e32 v10, 0x80, v10
	ds_write2st64_b32 v10, v11, v14 offset0:1 offset1:33
	v_xor_b32_e32 v10, 32, v35
	v_perm_b32 v11, v12, v16, s0
	v_perm_b32 v14, v20, v24, s0
	ds_write2st64_b32 v10, v11, v14 offset0:2 offset1:34
	v_xor_b32_e32 v10, 40, v35
	v_perm_b32 v11, v12, v16, s1
	v_perm_b32 v12, v20, v24, s1
	v_add_u32_e32 v10, 0x80, v10
	ds_write2st64_b32 v10, v11, v12 offset0:2 offset1:34
	v_xor_b32_e32 v10, 48, v35
	v_perm_b32 v11, v13, v17, s0
	v_perm_b32 v12, v21, v25, s0
	ds_write2st64_b32 v10, v11, v12 offset0:3 offset1:35
	v_xor_b32_e32 v10, 56, v35
	v_and_or_b32 v18, v50, 12, v49
	v_perm_b32 v11, v13, v17, s1
	v_perm_b32 v12, v21, v25, s1
	v_add_u32_e32 v10, 0x80, v10
	v_cmp_gt_i32_e64 s[2:3], s45, v18
	v_mov_b32_e32 v20, 0
	v_mov_b32_e32 v25, 0
	ds_write2st64_b32 v10, v11, v12 offset0:3 offset1:35
	s_and_saveexec_b64 s[0:1], s[2:3]
	s_cbranch_execz .LBB685_62
; %bb.61:
	v_add_u32_e32 v10, s44, v18
	v_ashrrev_i32_e32 v11, 31, v10
	v_mul_lo_u32 v12, v11, s36
	v_mul_lo_u32 v13, v10, s37
	v_mad_u64_u32 v[10:11], s[4:5], v10, s36, 0
	v_add3_u32 v11, v11, v13, v12
	v_lshl_add_u64 v[10:11], v[10:11], 2, s[10:11]
	global_load_dword v10, v[10:11], off
	s_waitcnt vmcnt(0)
	v_sub_f32_e32 v10, s12, v10
	v_exp_f32_e32 v25, v10
.LBB685_62:
	s_or_b64 exec, exec, s[0:1]
	v_or_b32_e32 v23, 1, v18
	v_cmp_gt_i32_e64 s[4:5], s45, v23
	s_and_saveexec_b64 s[0:1], s[4:5]
	s_cbranch_execz .LBB685_64
; %bb.63:
	v_add_u32_e32 v10, s44, v23
	v_ashrrev_i32_e32 v11, 31, v10
	v_mul_lo_u32 v12, v11, s36
	v_mul_lo_u32 v13, v10, s37
	v_mad_u64_u32 v[10:11], s[6:7], v10, s36, 0
	v_add3_u32 v11, v11, v13, v12
	v_lshl_add_u64 v[10:11], v[10:11], 2, s[10:11]
	global_load_dword v10, v[10:11], off
	s_waitcnt vmcnt(0)
	v_sub_f32_e32 v10, s12, v10
	v_exp_f32_e32 v20, v10
.LBB685_64:
	s_or_b64 exec, exec, s[0:1]
	v_or_b32_e32 v22, 2, v18
	v_cmp_gt_i32_e64 s[0:1], s45, v22
	v_mov_b32_e32 v19, 0
	v_mov_b32_e32 v24, 0
	s_and_saveexec_b64 s[6:7], s[0:1]
	s_cbranch_execz .LBB685_66
; %bb.65:
	v_add_u32_e32 v10, s44, v22
	v_ashrrev_i32_e32 v11, 31, v10
	v_mul_lo_u32 v12, v11, s36
	v_mul_lo_u32 v13, v10, s37
	v_mad_u64_u32 v[10:11], s[16:17], v10, s36, 0
	v_add3_u32 v11, v11, v13, v12
	v_lshl_add_u64 v[10:11], v[10:11], 2, s[10:11]
	global_load_dword v10, v[10:11], off
	s_waitcnt vmcnt(0)
	v_sub_f32_e32 v10, s12, v10
	v_exp_f32_e32 v24, v10
.LBB685_66:
	s_or_b64 exec, exec, s[6:7]
	v_or_b32_e32 v21, 3, v18
	v_cmp_gt_i32_e32 vcc, s45, v21
	s_and_saveexec_b64 s[6:7], vcc
	s_cbranch_execz .LBB685_68
; %bb.67:
	v_add_u32_e32 v10, s44, v21
	v_ashrrev_i32_e32 v11, 31, v10
	v_mul_lo_u32 v12, v11, s36
	v_mul_lo_u32 v13, v10, s37
	v_mad_u64_u32 v[10:11], s[16:17], v10, s36, 0
	v_add3_u32 v11, v11, v13, v12
	v_lshl_add_u64 v[10:11], v[10:11], 2, s[10:11]
	global_load_dword v10, v[10:11], off
	s_waitcnt vmcnt(0)
	v_sub_f32_e32 v10, s12, v10
	v_exp_f32_e32 v19, v10
.LBB685_68:
	s_or_b64 exec, exec, s[6:7]
	s_waitcnt lgkmcnt(11)
	v_mfma_f32_16x16x16_bf16 a[0:3], v[42:43], v[30:31], a[0:3]
	s_add_u32 s6, s8, s30
	v_ashrrev_i32_e32 v35, 31, v34
	s_addc_u32 s7, s9, s31
	s_waitcnt lgkmcnt(10)
	v_mfma_f32_16x16x16_bf16 a[0:3], v[40:41], v[32:33], a[0:3]
	v_lshlrev_b64 v[10:11], 1, v[34:35]
	v_lshl_add_u64 v[14:15], s[6:7], 0, v[10:11]
	s_add_u32 s6, s14, s30
	s_waitcnt lgkmcnt(9)
	v_mfma_f32_16x16x16_bf16 a[0:3], v[38:39], v[26:27], a[0:3]
	s_addc_u32 s7, s15, s31
	v_lshl_add_u64 v[16:17], s[6:7], 0, v[10:11]
	v_mov_b32_e32 v26, 0
	s_waitcnt lgkmcnt(8)
	v_mfma_f32_16x16x16_bf16 a[0:3], v[36:37], v[28:29], a[0:3]
	v_mov_b32_e32 v27, 0
	s_nop 5
	v_accvgpr_read_b32 v13, a3
	v_accvgpr_read_b32 v12, a2
	;; [unrolled: 1-line block ×4, first 2 shown]
	s_and_saveexec_b64 s[6:7], s[2:3]
	s_cbranch_execz .LBB685_70
; %bb.69:
	v_lshlrev_b32_e32 v28, 8, v18
	v_mov_b32_e32 v29, 0
	v_lshl_add_u64 v[30:31], v[14:15], 0, v[28:29]
	global_load_ushort v27, v[30:31], off
	v_lshl_add_u64 v[28:29], v[16:17], 0, v[28:29]
	s_waitcnt vmcnt(0)
	v_lshlrev_b32_e32 v27, 16, v27
	v_sub_f32_e32 v10, v27, v10
	global_store_short_d16_hi v[28:29], v10, off
	v_mul_f32_e32 v10, v25, v10
	v_lshrrev_b32_e32 v27, 16, v10
.LBB685_70:
	s_or_b64 exec, exec, s[6:7]
	s_and_saveexec_b64 s[2:3], s[4:5]
	s_cbranch_execz .LBB685_72
; %bb.71:
	v_lshlrev_b32_e32 v28, 8, v23
	v_mov_b32_e32 v29, 0
	v_lshl_add_u64 v[30:31], v[14:15], 0, v[28:29]
	global_load_ushort v10, v[30:31], off
	v_lshl_add_u64 v[28:29], v[16:17], 0, v[28:29]
	s_waitcnt vmcnt(0)
	v_lshlrev_b32_e32 v10, 16, v10
	v_sub_f32_e32 v10, v10, v11
	global_store_short_d16_hi v[28:29], v10, off
	v_mul_f32_e32 v10, v20, v10
	v_lshrrev_b32_e32 v26, 16, v10
.LBB685_72:
	s_or_b64 exec, exec, s[2:3]
	v_mov_b32_e32 v11, 0
	v_mov_b32_e32 v20, 0
	s_and_saveexec_b64 s[2:3], s[0:1]
	s_cbranch_execz .LBB685_74
; %bb.73:
	v_lshlrev_b32_e32 v22, 8, v22
	v_mov_b32_e32 v23, 0
	v_lshl_add_u64 v[28:29], v[14:15], 0, v[22:23]
	global_load_ushort v10, v[28:29], off
	v_lshl_add_u64 v[22:23], v[16:17], 0, v[22:23]
	s_waitcnt vmcnt(0)
	v_lshlrev_b32_e32 v10, 16, v10
	v_sub_f32_e32 v10, v10, v12
	global_store_short_d16_hi v[22:23], v10, off
	v_mul_f32_e32 v10, v24, v10
	v_lshrrev_b32_e32 v20, 16, v10
.LBB685_74:
	s_or_b64 exec, exec, s[2:3]
	v_or_b32_e32 v10, 0x9800, v46
	s_and_saveexec_b64 s[0:1], vcc
	s_cbranch_execz .LBB685_76
; %bb.75:
	v_lshlrev_b32_e32 v22, 8, v21
	v_mov_b32_e32 v23, 0
	v_lshl_add_u64 v[14:15], v[14:15], 0, v[22:23]
	global_load_ushort v11, v[14:15], off
	v_lshl_add_u64 v[14:15], v[16:17], 0, v[22:23]
	s_waitcnt vmcnt(0)
	v_lshlrev_b32_e32 v11, 16, v11
	v_sub_f32_e32 v11, v11, v13
	global_store_short_d16_hi v[14:15], v11, off
	v_mul_f32_e32 v11, v19, v11
	v_lshrrev_b32_e32 v11, 16, v11
.LBB685_76:
	s_or_b64 exec, exec, s[0:1]
	s_mov_b32 s0, 0x5040100
	v_perm_b32 v13, v11, v20, s0
	v_lshlrev_b32_e32 v11, 1, v44
	v_perm_b32 v12, v26, v27, s0
	v_lshl_or_b32 v11, v18, 5, v11
	s_movk_i32 s0, 0xff
	ds_write_b64 v11, v[12:13] offset:38912
	v_and_b32_e32 v11, 7, v0
	v_and_b32_e32 v12, 8, v0
	v_cmp_lt_u32_e32 vcc, s0, v0
	v_lshrrev_b32_e32 v0, 1, v0
	v_lshlrev_b32_e32 v22, 3, v11
	v_lshlrev_b32_e32 v23, 7, v11
	v_cndmask_b32_e64 v11, 0, 1, vcc
	v_lshlrev_b32_e32 v25, 3, v48
	v_and_b32_e32 v0, 24, v0
	v_lshlrev_b32_e32 v24, 13, v11
	v_xor_b32_e32 v11, v25, v0
	v_or_b32_e32 v13, 0x440, v11
	v_cmp_eq_u32_e32 vcc, 0, v12
	s_waitcnt lgkmcnt(0)
	s_barrier
	v_cndmask_b32_e32 v11, v13, v11, vcc
	v_or_b32_e32 v11, v11, v45
	v_xad_u32 v26, v11, v22, v23
	v_add_u32_e32 v11, v24, v26
	ds_read_b64 v[20:21], v11
	ds_read2st64_b64 v[12:15], v10 offset1:1
	ds_read2st64_b64 v[16:19], v10 offset0:2 offset1:3
	v_or_b32_e32 v10, 32, v0
	v_xor_b32_e32 v10, v25, v10
	v_or_b32_e32 v11, 0x440, v10
	v_cndmask_b32_e32 v10, v11, v10, vcc
	v_or_b32_e32 v10, v10, v45
	v_xad_u32 v27, v10, v22, v23
	v_add_u32_e32 v10, v24, v27
	ds_read_b64 v[10:11], v10
	s_waitcnt lgkmcnt(2)
	v_mfma_f32_16x16x16_bf16 a[0:3], v[20:21], v[12:13], 0
	s_waitcnt lgkmcnt(0)
	v_mfma_f32_16x16x16_bf16 a[0:3], v[10:11], v[14:15], a[0:3]
	v_or_b32_e32 v10, 64, v0
	v_xor_b32_e32 v10, v25, v10
	v_xor_b32_e32 v11, 0x440, v10
	v_cndmask_b32_e32 v10, v11, v10, vcc
	v_or_b32_e32 v10, v10, v45
	v_or_b32_e32 v0, 0x60, v0
	v_xad_u32 v28, v10, v22, v23
	v_xor_b32_e32 v0, v25, v0
	v_add_u32_e32 v10, v24, v28
	v_xor_b32_e32 v20, 0x440, v0
	ds_read_b64 v[10:11], v10
	v_cndmask_b32_e32 v0, v20, v0, vcc
	v_or_b32_e32 v0, v0, v45
	v_xad_u32 v0, v0, v22, v23
	v_add_u32_e32 v20, v24, v0
	ds_read_b64 v[20:21], v20
	s_waitcnt lgkmcnt(1)
	v_mfma_f32_16x16x16_bf16 a[0:3], v[10:11], v[16:17], a[0:3]
	ds_read_b64 v[10:11], v26 offset:8192
	ds_read_b64 v[22:23], v28 offset:8192
	v_exp_f32_e32 v24, s12
	s_waitcnt lgkmcnt(2)
	v_mfma_f32_16x16x16_bf16 a[0:3], v[20:21], v[18:19], a[0:3]
	ds_read_b64 v[20:21], v27 offset:8192
	s_waitcnt lgkmcnt(2)
	v_mfma_f32_16x16x16_bf16 a[4:7], v[10:11], v[12:13], 0
	s_nop 3
	v_accvgpr_read_b32 v10, a0
	v_fma_f32 v12, v2, v24, v10
	ds_read_b64 v[10:11], v0 offset:8192
	s_waitcnt lgkmcnt(1)
	v_mfma_f32_16x16x16_bf16 a[4:7], v[20:21], v[14:15], a[4:7]
	v_accvgpr_read_b32 v0, a1
	v_fma_f32 v13, v3, v24, v0
	v_accvgpr_read_b32 v0, a2
	v_mfma_f32_16x16x16_bf16 a[4:7], v[22:23], v[16:17], a[4:7]
	v_accvgpr_read_b32 v15, a3
	v_fma_f32 v14, v4, v24, v0
	v_fmac_f32_e32 v15, v5, v24
	s_waitcnt lgkmcnt(0)
	v_mfma_f32_16x16x16_bf16 a[0:3], v[10:11], v[18:19], a[4:7]
	v_mov_b32_e32 v10, v34
	s_nop 5
	v_accvgpr_read_b32 v0, a0
	v_fma_f32 v16, v6, v24, v0
	v_accvgpr_read_b32 v0, a1
	v_fma_f32 v17, v7, v24, v0
	v_accvgpr_read_b32 v0, a2
	v_accvgpr_read_b32 v19, a3
	v_fma_f32 v18, v8, v24, v0
	v_fmac_f32_e32 v19, v9, v24
	v_mov_b64_e32 v[2:3], v[12:13]
	v_mov_b64_e32 v[4:5], v[14:15]
	;; [unrolled: 1-line block ×4, first 2 shown]
.LBB685_77:
	s_lshl_b64 s[0:1], s[28:29], 16
	s_waitcnt lgkmcnt(0)
	s_add_u32 s0, s34, s0
	v_lshlrev_b32_e32 v10, 7, v10
	s_addc_u32 s1, s35, s1
	v_ashrrev_i32_e32 v11, 31, v10
	v_lshl_add_u64 v[10:11], v[10:11], 2, s[0:1]
	v_lshlrev_b32_e32 v0, 2, v1
	v_mov_b32_e32 v1, 0
	v_lshl_add_u64 v[0:1], v[10:11], 0, v[0:1]
	global_store_dwordx4 v[0:1], v[2:5], off
	global_store_dwordx4 v[0:1], v[6:9], off offset:256
	s_endpgm
	.section	.rodata,"a",@progbits
	.p2align	6, 0x0
	.amdhsa_kernel _ZN12_GLOBAL__N_139chunk_gated_delta_rule_fwd_h_hip_kernelILi16ELb0ELb1ELb1ELb0ELb1ELb0ELb1ELb0EEEvPK12hip_bfloat16S3_S3_PKfS5_PKvPS1_S8_PvPKiSB_iiiiilll
		.amdhsa_group_segment_fixed_size 40960
		.amdhsa_private_segment_fixed_size 0
		.amdhsa_kernarg_size 136
		.amdhsa_user_sgpr_count 2
		.amdhsa_user_sgpr_dispatch_ptr 0
		.amdhsa_user_sgpr_queue_ptr 0
		.amdhsa_user_sgpr_kernarg_segment_ptr 1
		.amdhsa_user_sgpr_dispatch_id 0
		.amdhsa_user_sgpr_kernarg_preload_length 0
		.amdhsa_user_sgpr_kernarg_preload_offset 0
		.amdhsa_user_sgpr_private_segment_size 0
		.amdhsa_uses_dynamic_stack 0
		.amdhsa_enable_private_segment 0
		.amdhsa_system_sgpr_workgroup_id_x 1
		.amdhsa_system_sgpr_workgroup_id_y 1
		.amdhsa_system_sgpr_workgroup_id_z 0
		.amdhsa_system_sgpr_workgroup_info 0
		.amdhsa_system_vgpr_workitem_id 0
		.amdhsa_next_free_vgpr 116
		.amdhsa_next_free_sgpr 68
		.amdhsa_accum_offset 108
		.amdhsa_reserve_vcc 1
		.amdhsa_float_round_mode_32 0
		.amdhsa_float_round_mode_16_64 0
		.amdhsa_float_denorm_mode_32 3
		.amdhsa_float_denorm_mode_16_64 3
		.amdhsa_dx10_clamp 1
		.amdhsa_ieee_mode 1
		.amdhsa_fp16_overflow 0
		.amdhsa_tg_split 0
		.amdhsa_exception_fp_ieee_invalid_op 0
		.amdhsa_exception_fp_denorm_src 0
		.amdhsa_exception_fp_ieee_div_zero 0
		.amdhsa_exception_fp_ieee_overflow 0
		.amdhsa_exception_fp_ieee_underflow 0
		.amdhsa_exception_fp_ieee_inexact 0
		.amdhsa_exception_int_div_zero 0
	.end_amdhsa_kernel
	.section	.text._ZN12_GLOBAL__N_139chunk_gated_delta_rule_fwd_h_hip_kernelILi16ELb0ELb1ELb1ELb0ELb1ELb0ELb1ELb0EEEvPK12hip_bfloat16S3_S3_PKfS5_PKvPS1_S8_PvPKiSB_iiiiilll,"axG",@progbits,_ZN12_GLOBAL__N_139chunk_gated_delta_rule_fwd_h_hip_kernelILi16ELb0ELb1ELb1ELb0ELb1ELb0ELb1ELb0EEEvPK12hip_bfloat16S3_S3_PKfS5_PKvPS1_S8_PvPKiSB_iiiiilll,comdat
.Lfunc_end685:
	.size	_ZN12_GLOBAL__N_139chunk_gated_delta_rule_fwd_h_hip_kernelILi16ELb0ELb1ELb1ELb0ELb1ELb0ELb1ELb0EEEvPK12hip_bfloat16S3_S3_PKfS5_PKvPS1_S8_PvPKiSB_iiiiilll, .Lfunc_end685-_ZN12_GLOBAL__N_139chunk_gated_delta_rule_fwd_h_hip_kernelILi16ELb0ELb1ELb1ELb0ELb1ELb0ELb1ELb0EEEvPK12hip_bfloat16S3_S3_PKfS5_PKvPS1_S8_PvPKiSB_iiiiilll
                                        ; -- End function
	.section	.AMDGPU.csdata,"",@progbits
; Kernel info:
; codeLenInByte = 7924
; NumSgprs: 74
; NumVgprs: 108
; NumAgprs: 8
; TotalNumVgprs: 116
; ScratchSize: 0
; MemoryBound: 0
; FloatMode: 240
; IeeeMode: 1
; LDSByteSize: 40960 bytes/workgroup (compile time only)
; SGPRBlocks: 9
; VGPRBlocks: 14
; NumSGPRsForWavesPerEU: 74
; NumVGPRsForWavesPerEU: 116
; AccumOffset: 108
; Occupancy: 1
; WaveLimiterHint : 1
; COMPUTE_PGM_RSRC2:SCRATCH_EN: 0
; COMPUTE_PGM_RSRC2:USER_SGPR: 2
; COMPUTE_PGM_RSRC2:TRAP_HANDLER: 0
; COMPUTE_PGM_RSRC2:TGID_X_EN: 1
; COMPUTE_PGM_RSRC2:TGID_Y_EN: 1
; COMPUTE_PGM_RSRC2:TGID_Z_EN: 0
; COMPUTE_PGM_RSRC2:TIDIG_COMP_CNT: 0
; COMPUTE_PGM_RSRC3_GFX90A:ACCUM_OFFSET: 26
; COMPUTE_PGM_RSRC3_GFX90A:TG_SPLIT: 0
	.section	.text._ZN12_GLOBAL__N_139chunk_gated_delta_rule_fwd_h_hip_kernelILi16ELb0ELb1ELb0ELb0ELb1ELb0ELb1ELb0EEEvPK12hip_bfloat16S3_S3_PKfS5_PKvPS1_S8_PvPKiSB_iiiiilll,"axG",@progbits,_ZN12_GLOBAL__N_139chunk_gated_delta_rule_fwd_h_hip_kernelILi16ELb0ELb1ELb0ELb0ELb1ELb0ELb1ELb0EEEvPK12hip_bfloat16S3_S3_PKfS5_PKvPS1_S8_PvPKiSB_iiiiilll,comdat
	.globl	_ZN12_GLOBAL__N_139chunk_gated_delta_rule_fwd_h_hip_kernelILi16ELb0ELb1ELb0ELb0ELb1ELb0ELb1ELb0EEEvPK12hip_bfloat16S3_S3_PKfS5_PKvPS1_S8_PvPKiSB_iiiiilll ; -- Begin function _ZN12_GLOBAL__N_139chunk_gated_delta_rule_fwd_h_hip_kernelILi16ELb0ELb1ELb0ELb0ELb1ELb0ELb1ELb0EEEvPK12hip_bfloat16S3_S3_PKfS5_PKvPS1_S8_PvPKiSB_iiiiilll
	.p2align	8
	.type	_ZN12_GLOBAL__N_139chunk_gated_delta_rule_fwd_h_hip_kernelILi16ELb0ELb1ELb0ELb0ELb1ELb0ELb1ELb0EEEvPK12hip_bfloat16S3_S3_PKfS5_PKvPS1_S8_PvPKiSB_iiiiilll,@function
_ZN12_GLOBAL__N_139chunk_gated_delta_rule_fwd_h_hip_kernelILi16ELb0ELb1ELb0ELb0ELb1ELb0ELb1ELb0EEEvPK12hip_bfloat16S3_S3_PKfS5_PKvPS1_S8_PvPKiSB_iiiiilll: ; @_ZN12_GLOBAL__N_139chunk_gated_delta_rule_fwd_h_hip_kernelILi16ELb0ELb1ELb0ELb0ELb1ELb0ELb1ELb0EEEvPK12hip_bfloat16S3_S3_PKfS5_PKvPS1_S8_PvPKiSB_iiiiilll
; %bb.0:
	s_load_dwordx4 s[12:15], s[0:1], 0x5c
	s_load_dwordx4 s[16:19], s[0:1], 0x70
	s_abs_i32 s22, s3
	s_ashr_i32 s21, s3, 31
	s_load_dwordx8 s[4:11], s[0:1], 0x0
	s_waitcnt lgkmcnt(0)
	s_abs_i32 s20, s13
	v_cvt_f32_u32_e32 v1, s20
	s_sub_i32 s24, 0, s20
	s_ashr_i32 s23, s13, 31
	s_xor_b32 s21, s21, s23
	v_rcp_iflag_f32_e32 v1, v1
	s_load_dwordx2 s[28:29], s[0:1], 0x40
	s_load_dwordx2 s[36:37], s[0:1], 0x30
	;; [unrolled: 1-line block ×3, first 2 shown]
	v_lshrrev_b32_e32 v46, 6, v0
	v_bfe_u32 v49, v0, 4, 2
	v_mul_f32_e32 v1, 0x4f7ffffe, v1
	v_cvt_u32_f32_e32 v1, v1
	v_lshlrev_b32_e32 v47, 4, v46
	v_lshlrev_b32_e32 v10, 2, v49
	v_and_b32_e32 v48, 63, v0
	v_readfirstlane_b32 s25, v1
	s_mul_i32 s24, s24, s25
	s_mul_hi_u32 s24, s25, s24
	s_add_i32 s25, s25, s24
	s_mul_hi_u32 s24, s22, s25
	s_mul_i32 s25, s24, s20
	s_sub_i32 s22, s22, s25
	s_add_i32 s26, s24, 1
	s_sub_i32 s25, s22, s20
	s_cmp_ge_u32 s22, s20
	s_cselect_b32 s24, s26, s24
	s_cselect_b32 s22, s25, s22
	s_add_i32 s25, s24, 1
	s_cmp_ge_u32 s22, s20
	s_cselect_b32 s22, s25, s24
	s_xor_b32 s22, s22, s21
	s_sub_i32 s47, s22, s21
	s_abs_i32 s21, s14
	v_cvt_f32_u32_e32 v1, s21
	s_add_i32 s24, s12, 63
	s_mul_i32 s45, s47, s13
	s_sub_i32 s33, s3, s45
	v_rcp_iflag_f32_e32 v1, v1
	s_ashr_i32 s3, s24, 31
	s_ashr_i32 s46, s12, 31
	s_lshr_b32 s3, s3, 26
	v_mul_f32_e32 v1, 0x4f7ffffe, v1
	v_cvt_u32_f32_e32 v1, v1
	s_lshr_b32 s22, s46, 26
	s_add_i32 s24, s24, s3
	s_add_i32 s22, s12, s22
	s_ashr_i32 s49, s14, 31
	s_ashr_i32 s3, s24, 6
	;; [unrolled: 1-line block ×3, first 2 shown]
	s_xor_b32 s22, s23, s49
	s_sub_i32 s23, 0, s21
	v_readfirstlane_b32 s24, v1
	s_mul_i32 s23, s23, s24
	s_mul_hi_u32 s23, s24, s23
	s_add_i32 s24, s24, s23
	s_mul_hi_u32 s23, s20, s24
	s_mul_i32 s24, s23, s21
	s_sub_i32 s20, s20, s24
	s_add_i32 s24, s23, 1
	s_sub_i32 s25, s20, s21
	s_cmp_ge_u32 s20, s21
	s_cselect_b32 s23, s24, s23
	s_cselect_b32 s20, s25, s20
	s_add_i32 s24, s23, 1
	s_cmp_ge_u32 s20, s21
	s_cselect_b32 s20, s24, s23
	s_xor_b32 s20, s20, s22
	s_sub_i32 s20, s20, s22
	s_abs_i32 s21, s20
	v_cvt_f32_u32_e32 v1, s21
	s_xor_b32 s0, s33, s20
	s_sub_i32 s20, 0, s21
	s_abs_i32 s1, s33
	v_rcp_iflag_f32_e32 v1, v1
	s_ashr_i32 s0, s0, 31
	v_mov_b32_e32 v9, 0
	s_mul_i32 s50, s47, s3
	v_mul_f32_e32 v1, 0x4f7ffffe, v1
	v_cvt_u32_f32_e32 v1, v1
	v_and_b32_e32 v50, 15, v0
	s_mul_hi_i32 s51, s47, s13
	v_lshrrev_b32_e32 v52, 3, v48
	v_readfirstlane_b32 s22, v1
	s_mul_i32 s20, s20, s22
	s_mul_hi_u32 s20, s22, s20
	s_add_i32 s22, s22, s20
	s_mul_hi_u32 s20, s1, s22
	s_mul_i32 s22, s20, s21
	s_sub_i32 s1, s1, s22
	s_add_i32 s22, s20, 1
	s_sub_i32 s23, s1, s21
	s_cmp_ge_u32 s1, s21
	s_cselect_b32 s20, s22, s20
	s_cselect_b32 s1, s23, s1
	s_add_i32 s22, s20, 1
	s_cmp_ge_u32 s1, s21
	s_cselect_b32 s1, s22, s20
	s_xor_b32 s1, s1, s0
	s_sub_i32 s52, s1, s0
	v_or_b32_e32 v1, v10, v47
	s_lshl_b32 s2, s2, 4
	v_or_b32_e32 v53, 64, v1
	s_cmp_lt_i32 s12, 64
	v_lshlrev_b32_e32 v51, 3, v0
	s_mul_i32 s17, s47, s17
	s_mul_hi_u32 s44, s47, s16
	s_mul_i32 s34, s47, s16
	v_mov_b32_e32 v8, v9
	v_mov_b32_e32 v7, v9
	;; [unrolled: 1-line block ×7, first 2 shown]
	s_cbranch_scc1 .LBB686_18
; %bb.1:
	s_ashr_i32 s3, s47, 31
	s_ashr_i32 s54, s33, 31
	s_add_u32 s0, s45, s33
	s_addc_u32 s1, s51, s54
	s_mul_i32 s1, s12, s1
	s_mul_hi_u32 s20, s12, s0
	s_add_i32 s39, s20, s1
	s_mul_i32 s38, s12, s0
	s_lshl_b64 s[0:1], s[38:39], 8
	v_and_b32_e32 v55, 56, v51
	s_add_u32 s20, s6, s0
	v_lshl_or_b32 v54, v46, 3, v52
	v_lshlrev_b32_e32 v3, 1, v55
	s_addc_u32 s0, s7, s1
	v_lshl_or_b32 v56, v54, 8, v3
	s_and_b32 s21, s0, 0xffff
	s_mov_b32 s23, 0x20000
	s_movk_i32 s22, 0x4000
	s_movk_i32 s0, 0x80
	v_or_b32_e32 v57, 0x2000, v56
	buffer_load_dwordx4 v[4:7], v56, s[20:23], 0 offen
	buffer_load_dwordx4 v[12:15], v56, s[20:23], s0 offen
	;; [unrolled: 1-line block ×4, first 2 shown]
	v_lshlrev_b32_e32 v2, 3, v54
	v_and_or_b32 v9, v0, 7, v2
	v_and_b32_e32 v2, 0x78, v2
	v_lshlrev_b32_e32 v9, 4, v9
	v_xor_b32_e32 v58, v9, v2
	v_mul_lo_u32 v8, v54, s15
	v_or_b32_e32 v59, 0x1000, v58
	v_xor_b32_e32 v2, 8, v58
	s_cmpk_eq_i32 s15, 0x80
	s_mov_b32 s53, s14
	v_xor_b32_e32 v9, 8, v59
	s_cselect_b64 s[0:1], -1, 0
	s_cmpk_lg_i32 s15, 0x80
	s_waitcnt vmcnt(3)
	ds_write_b64 v58, v[4:5] offset:16384
	ds_write_b64 v2, v[6:7] offset:16384
	s_waitcnt vmcnt(2)
	ds_write_b64 v58, v[12:13] offset:24576
	ds_write_b64 v2, v[14:15] offset:24576
	;; [unrolled: 3-line block ×4, first 2 shown]
	v_lshl_add_u32 v2, v8, 1, v55
	s_cbranch_scc0 .LBB686_3
; %bb.2:
	v_lshlrev_b32_e32 v6, 1, v2
	v_add_lshl_u32 v5, v2, s15, 1
	s_lshl_b32 s22, s15, 7
	v_lshl_or_b32 v4, v54, 9, v3
	s_cbranch_execz .LBB686_4
	s_branch .LBB686_5
.LBB686_3:
                                        ; implicit-def: $vgpr5
                                        ; implicit-def: $vgpr6
                                        ; implicit-def: $sgpr22
	v_lshl_or_b32 v4, v54, 9, v3
.LBB686_4:
	v_or_b32_e32 v5, 0x100, v4
	s_movk_i32 s22, 0x4000
	v_mov_b32_e32 v6, v4
.LBB686_5:
	s_mul_hi_u32 s20, s14, s12
	s_mul_i32 s21, s49, s12
	s_add_i32 s20, s20, s21
	s_mul_i32 s21, s14, s12
	s_mul_i32 s23, s21, s3
	s_mul_hi_u32 s24, s21, s47
	s_add_i32 s23, s24, s23
	s_mul_i32 s20, s20, s47
	s_add_i32 s23, s23, s20
	s_mul_i32 s21, s21, s47
	s_ashr_i32 s55, s52, 31
	s_add_u32 s20, s21, s52
	s_addc_u32 s21, s23, s55
	s_lshl_b64 s[20:21], s[20:21], 8
	s_add_u32 s20, s4, s20
	s_addc_u32 s21, s5, s21
	s_and_b32 s21, s21, 0xffff
	s_mov_b32 s23, 0x20000
	s_movk_i32 s56, 0x80
	buffer_load_dwordx4 v[12:15], v6, s[20:23], 0 offen
	buffer_load_dwordx4 v[16:19], v6, s[20:23], s56 offen
	buffer_load_dwordx4 v[20:23], v5, s[20:23], 0 offen
	buffer_load_dwordx4 v[24:27], v5, s[20:23], s56 offen
	v_and_b32_e32 v3, 6, v0
	s_mul_i32 s20, s3, s12
	s_mul_hi_u32 s21, s47, s12
	v_lshlrev_b32_e32 v6, 2, v50
	v_lshlrev_b32_e32 v7, 3, v50
	v_xor_b32_e32 v9, v54, v3
	v_and_b32_e32 v5, 1, v0
	s_mul_i32 s3, s3, s16
	v_lshl_or_b32 v7, v1, 5, v7
	v_xor_b32_e32 v11, v1, v6
	v_lshlrev_b32_e32 v9, 2, v9
	s_add_i32 s61, s21, s20
	s_add_i32 s20, s44, s17
	v_or_b32_e32 v60, 0x9000, v7
	v_or_b32_e32 v61, 0x9800, v7
	v_lshlrev_b32_e32 v7, 1, v11
	v_xor_b32_e32 v11, 0x440, v9
	v_cmp_eq_u32_e32 vcc, 0, v5
	s_add_i32 s35, s20, s3
	s_mul_i32 s3, s33, s19
	s_mul_hi_u32 s20, s33, s18
	v_cndmask_b32_e32 v5, v11, v9, vcc
	s_add_i32 s3, s20, s3
	s_mul_i32 s20, s54, s18
	s_mov_b32 s58, 0x1000504
	v_lshlrev_b32_e32 v8, 8, v50
	s_mov_b32 s22, 0x8000
	v_xor_b32_e32 v6, v53, v6
	v_lshl_or_b32 v3, v3, 10, v5
	s_add_i32 s21, s3, s20
	s_lshl_b64 s[24:25], s[34:35], 2
	s_mov_b32 s59, 0x3020706
	v_lshlrev_b32_e32 v6, 1, v6
	v_or3_b32 v62, v7, v8, s22
	v_xor_b32_e32 v5, 8, v3
	v_xor_b32_e32 v7, 24, v3
	;; [unrolled: 1-line block ×4, first 2 shown]
	s_mul_i32 s20, s33, s18
	s_add_u32 s3, s10, s24
	v_or3_b32 v63, v6, v8, s22
	v_xor_b32_e32 v6, 16, v3
	v_xor_b32_e32 v8, 32, v3
	;; [unrolled: 1-line block ×3, first 2 shown]
	v_add_u32_e32 v5, 0x80, v5
	v_add_u32_e32 v7, 0x80, v7
	;; [unrolled: 1-line block ×4, first 2 shown]
	s_addc_u32 s24, s11, s25
	s_lshl_b64 s[20:21], s[20:21], 2
	s_add_u32 s40, s3, s20
	s_movk_i32 s3, 0xf8
	s_addc_u32 s41, s24, s21
	s_lshl_b32 s26, s15, 7
	s_mov_b32 s57, 0
	s_mul_i32 s60, s47, s12
	v_add_u32_e32 v78, v47, v10
	s_mov_b32 s62, 0
	s_waitcnt vmcnt(1)
	v_perm_b32 v29, v12, v20, s58
	s_waitcnt vmcnt(0)
	v_perm_b32 v30, v16, v24, s58
	v_perm_b32 v12, v12, v20, s59
	;; [unrolled: 1-line block ×15, first 2 shown]
	ds_write2st64_b32 v3, v29, v30 offset1:32
	ds_write2st64_b32 v5, v12, v16 offset1:32
	ds_write2st64_b32 v6, v20, v24 offset0:1 offset1:33
	ds_write2st64_b32 v7, v13, v17 offset0:1 offset1:33
	;; [unrolled: 1-line block ×6, first 2 shown]
	v_or_b32_e32 v3, v47, v50
	v_lshlrev_b32_e32 v3, 3, v3
	v_lshrrev_b32_e32 v7, 5, v48
	v_and_or_b32 v7, v3, s3, v7
	v_lshlrev_b32_e32 v7, 4, v7
	v_lshlrev_b32_e32 v5, 11, v46
	v_and_b32_e32 v3, 0x78, v3
	v_or_b32_e32 v12, 32, v7
	v_and_b32_e32 v6, 0x1000, v5
	v_lshrrev_b32_e32 v11, 1, v0
	v_xor_b32_e32 v12, v12, v3
	v_and_b32_e32 v9, 8, v11
	v_or_b32_e32 v12, v12, v6
	v_xor_b32_e32 v8, v7, v3
	v_xor_b32_e32 v66, v12, v9
	v_or_b32_e32 v12, 64, v7
	v_or_b32_e32 v7, 0x60, v7
	;; [unrolled: 1-line block ×3, first 2 shown]
	v_xor_b32_e32 v12, v12, v3
	v_xor_b32_e32 v3, v7, v3
	;; [unrolled: 1-line block ×3, first 2 shown]
	v_and_b32_e32 v8, 0x78, v51
	v_or_b32_e32 v12, v12, v6
	v_or_b32_e32 v3, v3, v6
	v_lshl_or_b32 v8, v49, 7, v8
	v_xor_b32_e32 v67, v12, v9
	v_xor_b32_e32 v68, v3, v9
	v_lshlrev_b32_e32 v12, 1, v2
	v_add_lshl_u32 v13, v2, s15, 1
	v_lshrrev_b32_e32 v2, 4, v0
	v_lshlrev_b32_e32 v3, 1, v50
	v_or_b32_e32 v65, 0x9000, v8
	v_or_b32_e32 v69, 0x9800, v8
	s_ashr_i32 s3, s2, 31
	v_or_b32_e32 v8, 1, v3
	v_xor_b32_e32 v3, v2, v3
	s_lshl_b64 s[20:21], s[2:3], 8
	v_xor_b32_e32 v8, v8, v2
	v_lshlrev_b32_e32 v3, 3, v3
	v_lshlrev_b32_e32 v2, 8, v2
	s_waitcnt lgkmcnt(0)
	s_add_u32 s20, s36, s20
	v_or3_b32 v70, v3, v2, s22
	v_lshlrev_b32_e32 v3, 3, v8
	s_addc_u32 s21, s37, s21
	v_or3_b32 v71, v3, v2, s22
	v_mov_b32_e32 v3, 0
	v_lshl_add_u64 v[8:9], s[20:21], 0, v[2:3]
	v_lshlrev_b32_e32 v2, 4, v50
	s_movk_i32 s3, 0xff
	v_lshlrev_b32_e32 v16, 3, v46
	v_and_b32_e32 v11, 24, v11
	v_lshl_add_u64 v[42:43], v[8:9], 0, v[2:3]
	v_and_b32_e32 v8, 8, v0
	v_cmp_lt_u32_e32 vcc, s3, v0
	v_xor_b32_e32 v17, v16, v11
	v_or_b32_e32 v18, 0x440, v17
	v_cndmask_b32_e64 v15, 0, 1, vcc
	v_cmp_eq_u32_e32 vcc, 0, v8
	v_and_b32_e32 v2, 7, v0
	v_lshlrev_b32_e32 v9, 3, v2
	v_cndmask_b32_e32 v8, v18, v17, vcc
	v_lshlrev_b32_e32 v2, 7, v2
	v_or_b32_e32 v8, v8, v5
	v_xad_u32 v72, v8, v9, v2
	v_or_b32_e32 v8, 32, v11
	v_xor_b32_e32 v8, v16, v8
	v_or_b32_e32 v17, 0x440, v8
	v_cndmask_b32_e32 v8, v17, v8, vcc
	v_or_b32_e32 v8, v8, v5
	v_xad_u32 v73, v8, v9, v2
	v_or_b32_e32 v8, 64, v11
	v_xor_b32_e32 v8, v16, v8
	v_xor_b32_e32 v17, 0x440, v8
	v_cndmask_b32_e32 v8, v17, v8, vcc
	v_or_b32_e32 v8, v8, v5
	v_xad_u32 v74, v8, v9, v2
	v_or_b32_e32 v8, 0x60, v11
	v_xor_b32_e32 v8, v16, v8
	v_xor_b32_e32 v11, 0x440, v8
	v_or_b32_e32 v6, s2, v50
	v_cndmask_b32_e32 v8, v11, v8, vcc
	v_ashrrev_i32_e32 v7, 31, v6
	v_or_b32_e32 v5, v8, v5
	v_lshl_add_u64 v[6:7], v[6:7], 1, s[8:9]
	v_or_b32_e32 v14, 0x100, v4
	v_lshlrev_b32_e32 v15, 13, v15
	v_xad_u32 v75, v5, v9, v2
	v_lshlrev_b32_e32 v2, 8, v1
	v_cndmask_b32_e64 v76, v12, v4, s[0:1]
	v_cndmask_b32_e64 v77, v13, v14, s[0:1]
	v_lshl_add_u64 v[44:45], v[6:7], 0, v[2:3]
	s_mov_b32 s3, 0x7060302
	s_movk_i32 s22, 0x4000
	v_add_u32_e32 v79, v15, v72
	v_add_u32_e32 v80, v15, v73
	;; [unrolled: 1-line block ×4, first 2 shown]
	v_mov_b32_e32 v2, v3
	v_mov_b32_e32 v4, v3
	;; [unrolled: 1-line block ×7, first 2 shown]
	s_barrier
.LBB686_6:                              ; =>This Inner Loop Header: Depth=1
	s_add_i32 s35, s62, 1
	s_cmp_lt_i32 s35, s48
	s_mov_b64 s[24:25], 0
	s_cselect_b64 s[42:43], -1, 0
	s_cmp_ge_i32 s35, s48
	s_mov_b64 s[20:21], 0
	s_cbranch_scc1 .LBB686_8
; %bb.7:                                ;   in Loop: Header=BB686_6 Depth=1
	s_add_i32 s0, s57, 64
	s_add_u32 s0, s38, s0
	s_addc_u32 s1, s39, 0
	s_lshl_b64 s[0:1], s[0:1], 8
	s_add_u32 s20, s6, s0
	s_addc_u32 s21, s7, s1
.LBB686_8:                              ;   in Loop: Header=BB686_6 Depth=1
	v_cndmask_b32_e64 v5, 0, 1, s[42:43]
	v_cmp_ne_u32_e64 s[0:1], 1, v5
	s_andn2_b64 vcc, exec, s[42:43]
	s_cbranch_vccnz .LBB686_10
; %bb.9:                                ;   in Loop: Header=BB686_6 Depth=1
	s_add_i32 s24, s57, 64
	s_add_u32 s24, s60, s24
	s_addc_u32 s25, s61, 0
	s_mul_i32 s27, s24, s49
	s_mul_hi_u32 s42, s24, s53
	s_add_i32 s27, s42, s27
	s_mul_i32 s25, s25, s53
	s_add_i32 s27, s27, s25
	s_mul_i32 s24, s24, s53
	s_add_u32 s24, s24, s52
	s_addc_u32 s25, s27, s55
	s_lshl_b64 s[24:25], s[24:25], 8
	s_add_u32 s24, s4, s24
	s_addc_u32 s25, s5, s25
.LBB686_10:                             ;   in Loop: Header=BB686_6 Depth=1
	v_perm_b32 v11, v84, v4, s3
	v_perm_b32 v10, v3, v2, s3
	;; [unrolled: 1-line block ×4, first 2 shown]
	ds_write_b64 v60, v[10:11]
	ds_write_b64 v61, v[12:13]
	;; [unrolled: 1-line block ×4, first 2 shown]
	s_waitcnt lgkmcnt(0)
	s_barrier
	ds_read_b64 v[18:19], v64 offset:16384
	ds_read_b64 v[20:21], v66 offset:16384
	ds_read2st64_b64 v[10:13], v65 offset1:1
	ds_read2st64_b64 v[14:17], v65 offset0:2 offset1:3
	ds_read_b64 v[22:23], v67 offset:16384
	s_waitcnt lgkmcnt(2)
	v_mfma_f32_16x16x16_bf16 a[0:3], v[18:19], v[10:11], 0
	ds_read_b64 v[10:11], v68 offset:16384
	s_add_i32 s27, s57, 63
	s_mul_i32 s42, s27, s31
	v_mfma_f32_16x16x16_bf16 a[0:3], v[20:21], v[12:13], a[0:3]
	s_mul_hi_u32 s43, s27, s30
	s_add_i32 s43, s43, s42
	s_mul_i32 s42, s27, s30
	s_waitcnt lgkmcnt(1)
	v_mfma_f32_16x16x16_bf16 a[0:3], v[22:23], v[14:15], a[0:3]
	s_lshl_b64 s[42:43], s[42:43], 2
	s_add_u32 s42, s40, s42
	s_addc_u32 s43, s41, s43
	s_waitcnt lgkmcnt(0)
	v_mfma_f32_16x16x16_bf16 a[0:3], v[10:11], v[16:17], a[0:3]
	s_and_b64 vcc, exec, s[0:1]
	v_mov_b32_e32 v85, 0
	v_mov_b32_e32 v9, 0
	v_mov_b32_e32 v5, 0
	v_mov_b32_e32 v10, 0
	v_mov_b32_e32 v11, 0
	v_mov_b32_e32 v12, 0
	v_mov_b32_e32 v13, 0
	v_mov_b32_e32 v14, 0
	v_mov_b32_e32 v15, 0
	v_mov_b32_e32 v16, 0
	v_mov_b32_e32 v17, 0
	v_mov_b32_e32 v18, 0
	v_mov_b32_e32 v19, 0
	v_mov_b32_e32 v20, 0
	v_mov_b32_e32 v21, 0
	v_mov_b32_e32 v22, 0
	v_mov_b32_e32 v23, 0
	v_mov_b32_e32 v24, 0
	v_mov_b32_e32 v25, 0
	s_cbranch_vccnz .LBB686_12
; %bb.11:                               ;   in Loop: Header=BB686_6 Depth=1
	s_and_b32 s21, s21, 0xffff
	buffer_load_dwordx4 v[22:25], v56, s[20:23], 0 offen
	buffer_load_dwordx4 v[18:21], v56, s[20:23], s56 offen
	;; [unrolled: 1-line block ×4, first 2 shown]
	v_mov_b32_e32 v9, v58
	v_mov_b32_e32 v5, v59
.LBB686_12:                             ;   in Loop: Header=BB686_6 Depth=1
	s_waitcnt vmcnt(3)
	v_add_u32_e32 v32, s57, v78
	s_waitcnt vmcnt(1)
	v_ashrrev_i32_e32 v26, 31, v32
	v_mul_lo_u32 v28, v26, s30
	v_mul_lo_u32 v29, v32, s31
	v_mad_u64_u32 v[26:27], s[20:21], v32, s30, 0
	v_add3_u32 v27, v27, v29, v28
	v_add_u32_e32 v28, 1, v32
	v_ashrrev_i32_e32 v29, 31, v28
	v_mul_lo_u32 v30, v29, s30
	v_mul_lo_u32 v31, v28, s31
	v_mad_u64_u32 v[28:29], s[20:21], v28, s30, 0
	v_add3_u32 v29, v29, v31, v30
	v_add_u32_e32 v30, 2, v32
	v_ashrrev_i32_e32 v31, 31, v30
	v_mul_lo_u32 v33, v31, s30
	v_mul_lo_u32 v34, v30, s31
	v_mad_u64_u32 v[30:31], s[20:21], v30, s30, 0
	v_add_u32_e32 v32, 3, v32
	v_add3_u32 v31, v31, v34, v33
	v_ashrrev_i32_e32 v33, 31, v32
	v_mul_lo_u32 v36, v33, s30
	v_mul_lo_u32 v37, v32, s31
	v_mad_u64_u32 v[32:33], s[20:21], v32, s30, 0
	s_add_u32 s20, s38, s57
	s_addc_u32 s21, s39, 0
	s_lshl_b64 s[20:21], s[20:21], 8
	v_lshl_add_u64 v[26:27], v[26:27], 2, s[40:41]
	v_lshl_add_u64 v[34:35], v[44:45], 0, s[20:21]
	v_lshl_add_u64 v[28:29], v[28:29], 2, s[40:41]
	global_load_ushort v87, v[34:35], off
	global_load_ushort v96, v[34:35], off offset:256
	global_load_ushort v97, v[34:35], off offset:512
	global_load_ushort v98, v[34:35], off offset:768
	v_add3_u32 v33, v33, v37, v36
	global_load_dword v99, v[26:27], off
	v_lshl_add_u64 v[30:31], v[30:31], 2, s[40:41]
	v_lshl_add_u64 v[26:27], v[32:33], 2, s[40:41]
	global_load_dword v100, v[28:29], off
	global_load_dword v101, v[30:31], off
	;; [unrolled: 1-line block ×3, first 2 shown]
	s_load_dword s20, s[42:43], 0x0
	ds_read2st64_b64 v[34:37], v69 offset1:1
	ds_read2st64_b64 v[88:91], v69 offset0:2 offset1:3
	ds_read_b64 v[38:39], v64 offset:24576
	ds_read_b64 v[40:41], v66 offset:24576
	;; [unrolled: 1-line block ×4, first 2 shown]
	s_waitcnt lgkmcnt(0)
	v_mfma_f32_16x16x16_bf16 a[0:3], v[38:39], v[34:35], a[0:3]
	v_mov_b32_e32 v86, 0
	v_mov_b32_e32 v26, 0
	v_mov_b32_e32 v27, 0
	v_mfma_f32_16x16x16_bf16 a[0:3], v[40:41], v[36:37], a[0:3]
	v_mov_b32_e32 v28, 0
	v_mov_b32_e32 v29, 0
	v_mov_b32_e32 v30, 0
	;; [unrolled: 4-line block ×4, first 2 shown]
	v_mov_b32_e32 v37, 0
	v_mov_b32_e32 v38, 0
	v_mov_b32_e32 v39, 0
	v_mov_b32_e32 v40, 0
	v_accvgpr_read_b32 v91, a1
	v_accvgpr_read_b32 v89, a3
	;; [unrolled: 1-line block ×4, first 2 shown]
	s_and_b64 vcc, exec, s[0:1]
	s_waitcnt vmcnt(7)
	v_lshlrev_b32_e32 v92, 16, v87
	s_waitcnt vmcnt(6)
	v_lshlrev_b32_e32 v93, 16, v96
	;; [unrolled: 2-line block ×4, first 2 shown]
	v_pk_add_f32 v[90:91], v[92:93], v[90:91] neg_lo:[0,1] neg_hi:[0,1]
	s_waitcnt vmcnt(3)
	v_sub_f32_e32 v41, s20, v99
	v_exp_f32_e32 v96, v41
	s_waitcnt vmcnt(2)
	v_sub_f32_e32 v41, s20, v100
	s_waitcnt vmcnt(1)
	v_sub_f32_e32 v87, s20, v101
	;; [unrolled: 2-line block ×3, first 2 shown]
	v_exp_f32_e32 v97, v41
	v_exp_f32_e32 v98, v87
	;; [unrolled: 1-line block ×3, first 2 shown]
	v_pk_add_f32 v[88:89], v[94:95], v[88:89] neg_lo:[0,1] neg_hi:[0,1]
	v_pk_mul_f32 v[90:91], v[96:97], v[90:91]
	v_mov_b32_e32 v41, 0
	v_pk_mul_f32 v[88:89], v[98:99], v[88:89]
	s_nop 0
	v_perm_b32 v89, v89, v88, s3
	v_perm_b32 v88, v91, v90, s3
	ds_write_b64 v61, v[88:89]
	s_cbranch_vccnz .LBB686_14
; %bb.13:                               ;   in Loop: Header=BB686_6 Depth=1
	s_and_b32 s25, s25, 0xffff
	s_mov_b32 s27, s23
	buffer_load_dwordx4 v[38:41], v76, s[24:27], 0 offen
	buffer_load_dwordx4 v[30:33], v76, s[24:27], s56 offen
	;; [unrolled: 1-line block ×4, first 2 shown]
	v_mov_b32_e32 v85, v55
	v_mov_b32_e32 v86, v54
.LBB686_14:                             ;   in Loop: Header=BB686_6 Depth=1
	s_waitcnt lgkmcnt(0)
	s_barrier
	ds_read_b64 v[96:97], v79
	ds_read2st64_b64 v[88:91], v69 offset1:1
	ds_read2st64_b64 v[92:95], v69 offset0:2 offset1:3
	ds_read_b64 v[98:99], v80
	ds_read_b64 v[100:101], v81
	;; [unrolled: 1-line block ×3, first 2 shown]
	s_waitcnt lgkmcnt(4)
	v_mfma_f32_16x16x16_bf16 a[0:3], v[96:97], v[88:89], 0
	ds_read_b64 v[96:97], v72 offset:8192
	ds_read_b64 v[104:105], v73 offset:8192
	s_add_i32 s21, s50, s62
	s_mul_hi_i32 s25, s21, s13
	s_waitcnt lgkmcnt(1)
	v_mfma_f32_16x16x16_bf16 a[4:7], v[96:97], v[88:89], 0
	s_mul_i32 s21, s21, s13
	s_add_u32 s24, s21, s33
	s_addc_u32 s25, s25, s54
	v_mfma_f32_16x16x16_bf16 a[0:3], v[98:99], v[90:91], a[0:3]
	ds_read_b64 v[96:97], v70
	ds_read_b64 v[98:99], v71
	ds_read_b64 v[88:89], v74 offset:8192
	s_lshl_b64 s[24:25], s[24:25], 15
	v_mfma_f32_16x16x16_bf16 a[0:3], v[100:101], v[92:93], a[0:3]
	ds_read_b64 v[100:101], v75 offset:8192
	s_and_b64 vcc, exec, s[0:1]
	s_waitcnt lgkmcnt(4)
	v_mfma_f32_16x16x16_bf16 a[4:7], v[104:105], v[90:91], a[4:7]
	s_waitcnt lgkmcnt(1)
	v_mfma_f32_16x16x16_bf16 a[4:7], v[88:89], v[92:93], a[4:7]
	v_lshl_add_u64 v[88:89], v[42:43], 0, s[24:25]
	global_store_dwordx4 v[88:89], v[96:99], off
	v_mfma_f32_16x16x16_bf16 a[0:3], v[102:103], v[94:95], a[0:3]
	s_waitcnt lgkmcnt(0)
	v_mfma_f32_16x16x16_bf16 a[4:7], v[100:101], v[94:95], a[4:7]
	s_cbranch_vccnz .LBB686_16
; %bb.15:                               ;   in Loop: Header=BB686_6 Depth=1
	v_lshrrev_b32_e32 v87, 3, v85
	v_and_b32_e32 v87, 6, v87
	v_xor_b32_e32 v86, v87, v86
	v_lshlrev_b32_e32 v86, 2, v86
	v_and_b32_e32 v85, 8, v85
	v_xor_b32_e32 v88, 0x440, v86
	v_cmp_eq_u32_e32 vcc, 0, v85
	s_barrier
	s_nop 0
	v_cndmask_b32_e32 v85, v88, v86, vcc
	v_lshl_or_b32 v85, v87, 10, v85
	s_waitcnt vmcnt(2)
	v_perm_b32 v86, v38, v34, s58
	s_waitcnt vmcnt(1)
	v_perm_b32 v87, v30, v26, s58
	ds_write2st64_b32 v85, v86, v87 offset1:32
	v_xor_b32_e32 v86, 8, v85
	v_perm_b32 v34, v38, v34, s59
	v_perm_b32 v26, v30, v26, s59
	v_add_u32_e32 v30, 0x80, v86
	ds_write2st64_b32 v30, v34, v26 offset1:32
	v_xor_b32_e32 v26, 16, v85
	v_perm_b32 v30, v39, v35, s58
	v_perm_b32 v34, v31, v27, s58
	ds_write2st64_b32 v26, v30, v34 offset0:1 offset1:33
	v_xor_b32_e32 v26, 24, v85
	v_perm_b32 v30, v39, v35, s59
	v_perm_b32 v27, v31, v27, s59
	v_add_u32_e32 v26, 0x80, v26
	ds_write2st64_b32 v26, v30, v27 offset0:1 offset1:33
	v_xor_b32_e32 v26, 32, v85
	v_perm_b32 v27, v40, v36, s58
	v_perm_b32 v30, v32, v28, s58
	ds_write2st64_b32 v26, v27, v30 offset0:2 offset1:34
	v_xor_b32_e32 v26, 40, v85
	v_perm_b32 v27, v40, v36, s59
	v_perm_b32 v28, v32, v28, s59
	v_add_u32_e32 v26, 0x80, v26
	ds_write2st64_b32 v26, v27, v28 offset0:2 offset1:34
	;; [unrolled: 9-line block ×3, first 2 shown]
	ds_write_b64 v9, v[22:23] offset:16384
	v_xor_b32_e32 v22, 8, v9
	ds_write_b64 v22, v[24:25] offset:16384
	ds_write_b64 v9, v[18:19] offset:24576
	;; [unrolled: 1-line block ×4, first 2 shown]
	v_xor_b32_e32 v9, 8, v5
	ds_write_b64 v9, v[16:17] offset:16384
	ds_write_b64 v5, v[10:11] offset:24576
	;; [unrolled: 1-line block ×3, first 2 shown]
.LBB686_16:                             ;   in Loop: Header=BB686_6 Depth=1
	v_exp_f32_e32 v10, s20
	s_nop 2
	v_accvgpr_read_b32 v9, a1
	v_accvgpr_read_b32 v5, a0
	s_add_i32 s57, s57, 64
	v_fma_f32 v3, v3, v10, v9
	v_accvgpr_read_b32 v9, a4
	v_fma_f32 v6, v6, v10, v9
	v_accvgpr_read_b32 v9, a5
	;; [unrolled: 2-line block ×6, first 2 shown]
	v_fmac_f32_e32 v5, v84, v10
	s_cmp_eq_u32 s48, s35
	v_fmac_f32_e32 v9, v83, v10
	s_cbranch_scc1 .LBB686_18
; %bb.17:                               ;   in Loop: Header=BB686_6 Depth=1
	s_mov_b32 s62, s35
	v_mov_b32_e32 v84, v5
	v_mov_b32_e32 v83, v9
	s_branch .LBB686_6
.LBB686_18:
	s_lshl_b32 s42, s48, 6
	s_sub_i32 s43, s12, s42
	s_cmp_gt_i32 s43, 0
	s_waitcnt vmcnt(2)
	v_or_b32_e32 v34, s2, v50
	s_cbranch_scc1 .LBB686_20
; %bb.19:
	s_ashr_i32 s0, s33, 31
	s_add_u32 s24, s45, s33
	s_addc_u32 s25, s51, s0
	v_or_b32_e32 v10, s2, v50
	s_cbranch_execz .LBB686_21
	s_branch .LBB686_77
.LBB686_20:
                                        ; implicit-def: $sgpr24_sgpr25
                                        ; implicit-def: $vgpr10
.LBB686_21:
	s_ashr_i32 s35, s47, 31
	s_ashr_i32 s3, s42, 31
	s_cmpk_lg_i32 s15, 0x80
	s_cselect_b64 s[38:39], -1, 0
	s_and_b64 vcc, exec, s[38:39]
	s_cbranch_vccz .LBB686_23
; %bb.22:
	s_mul_i32 s1, s47, s12
	s_mul_hi_i32 s0, s47, s12
	s_add_u32 s1, s1, s42
	s_addc_u32 s0, s0, s3
	s_mul_i32 s20, s1, s49
	s_mul_hi_u32 s21, s1, s14
	s_add_i32 s20, s21, s20
	s_mul_i32 s0, s0, s14
	s_add_i32 s20, s20, s0
	s_mul_i32 s1, s1, s14
	s_ashr_i32 s0, s52, 31
	s_add_u32 s40, s1, s52
	s_addc_u32 s41, s20, s0
	s_cbranch_execz .LBB686_24
	s_branch .LBB686_25
.LBB686_23:
                                        ; implicit-def: $sgpr40_sgpr41
.LBB686_24:
	s_mul_hi_i32 s0, s47, s14
	s_mul_i32 s47, s47, s14
	s_ashr_i32 s1, s52, 31
	s_add_u32 s14, s47, s52
	s_addc_u32 s0, s0, s1
	s_mul_i32 s1, s14, s46
	s_mul_hi_u32 s20, s14, s12
	s_add_i32 s1, s20, s1
	s_mul_i32 s0, s0, s12
	s_add_i32 s1, s1, s0
	s_mul_i32 s14, s14, s12
	s_add_u32 s40, s14, s42
	s_addc_u32 s41, s1, s3
.LBB686_25:
	s_add_i32 s20, s50, s48
	s_ashr_i32 s14, s33, 31
	s_add_u32 s24, s45, s33
	s_addc_u32 s25, s51, s14
	s_mul_i32 s0, s24, s46
	s_mul_hi_u32 s1, s24, s12
	s_add_i32 s0, s1, s0
	s_mul_i32 s1, s25, s12
	s_add_i32 s1, s0, s1
	s_mul_i32 s0, s24, s12
	s_add_u32 s0, s0, s42
	s_addc_u32 s1, s1, s3
	s_mov_b32 s3, 0x7060302
	v_lshlrev_b32_e32 v14, 3, v50
	s_lshl_b64 s[26:27], s[0:1], 8
	v_perm_b32 v11, v5, v4, s3
	v_perm_b32 v10, v3, v2, s3
	;; [unrolled: 1-line block ×4, first 2 shown]
	v_lshlrev_b32_e32 v44, 2, v50
	v_lshl_or_b32 v14, v1, 5, v14
	s_add_u32 s0, s6, s26
	ds_write2st64_b64 v14, v[10:11], v[12:13] offset0:72 offset1:76
	v_xor_b32_e32 v14, v1, v44
	v_lshlrev_b32_e32 v15, 8, v50
	s_addc_u32 s1, s7, s27
	v_lshl_or_b32 v14, v14, 1, v15
	s_mul_hi_i32 s3, s20, s13
	s_mul_i32 s20, s20, s13
	ds_write_b64 v14, v[10:11] offset:32768
	v_xor_b32_e32 v10, v53, v44
	s_add_u32 s6, s20, s33
	v_lshl_or_b32 v10, v10, 1, v15
	s_addc_u32 s7, s3, s14
	v_lshlrev_b32_e32 v11, 1, v50
	ds_write_b64 v10, v[12:13] offset:32768
	v_lshrrev_b32_e32 v10, 4, v0
	s_ashr_i32 s3, s2, 31
	s_lshl_b64 s[6:7], s[6:7], 15
	v_or_b32_e32 v12, 1, v11
	s_waitcnt lgkmcnt(0)
	s_add_u32 s6, s36, s6
	v_xor_b32_e32 v11, v10, v11
	v_xor_b32_e32 v12, v12, v10
	v_lshlrev_b32_e32 v14, 8, v10
	s_addc_u32 s7, s37, s7
	s_lshl_b64 s[2:3], s[2:3], 8
	v_lshl_or_b32 v10, v11, 3, v14
	v_lshl_or_b32 v12, v12, 3, v14
	s_barrier
	s_add_u32 s2, s6, s2
	ds_read_b64 v[10:11], v10 offset:32768
	ds_read_b64 v[12:13], v12 offset:32768
	s_addc_u32 s3, s7, s3
	v_mov_b32_e32 v15, 0
	s_cmp_lg_u32 s43, 64
	v_lshl_add_u64 v[16:17], s[2:3], 0, v[14:15]
	v_lshlrev_b32_e32 v14, 4, v50
	s_cselect_b64 s[6:7], -1, 0
	v_lshl_or_b32 v35, v46, 3, v52
	s_mov_b32 s20, 0
	v_lshl_add_u64 v[14:15], v[16:17], 0, v[14:15]
	s_waitcnt vmcnt(1)
	v_or_b32_e32 v27, 32, v35
	v_and_b32_e32 v26, 56, v51
	s_and_b64 vcc, exec, s[6:7]
	s_waitcnt lgkmcnt(0)
	global_store_dwordx4 v[14:15], v[10:13], off
	s_cbranch_vccz .LBB686_31
; %bb.26:
	s_mov_b32 s21, s20
	s_mov_b32 s22, s20
	;; [unrolled: 1-line block ×3, first 2 shown]
	v_mov_b64_e32 v[14:15], s[20:21]
	v_mov_b64_e32 v[16:17], s[22:23]
	;; [unrolled: 1-line block ×3, first 2 shown]
	v_cmp_gt_i32_e32 vcc, s43, v35
	v_mov_b64_e32 v[12:13], v[16:17]
	s_and_saveexec_b64 s[2:3], vcc
	s_cbranch_execz .LBB686_28
; %bb.27:
	v_lshlrev_b32_e32 v10, 8, v35
	v_mov_b32_e32 v11, 0
	v_lshl_add_u64 v[12:13], s[0:1], 0, v[10:11]
	v_lshlrev_b32_e32 v10, 1, v26
	v_lshl_add_u64 v[18:19], v[12:13], 0, v[10:11]
	global_load_dwordx4 v[14:17], v[18:19], off
	global_load_dwordx4 v[10:13], v[18:19], off offset:128
.LBB686_28:
	s_or_b64 exec, exec, s[2:3]
	s_mov_b32 s22, s20
	s_mov_b32 s23, s20
	;; [unrolled: 1-line block ×3, first 2 shown]
	v_mov_b64_e32 v[24:25], s[22:23]
	v_mov_b64_e32 v[22:23], s[20:21]
	;; [unrolled: 1-line block ×3, first 2 shown]
	v_cmp_gt_i32_e32 vcc, s43, v27
	v_lshlrev_b32_e32 v28, 7, v27
	v_mov_b64_e32 v[20:21], v[24:25]
	s_and_saveexec_b64 s[2:3], vcc
	s_cbranch_execz .LBB686_30
; %bb.29:
	v_lshlrev_b32_e32 v18, 1, v28
	v_mov_b32_e32 v19, 0
	v_lshl_add_u64 v[20:21], s[0:1], 0, v[18:19]
	v_lshlrev_b32_e32 v18, 1, v26
	v_lshl_add_u64 v[30:31], v[20:21], 0, v[18:19]
	global_load_dwordx4 v[22:25], v[30:31], off
	global_load_dwordx4 v[18:21], v[30:31], off offset:128
.LBB686_30:
	s_or_b64 exec, exec, s[2:3]
	v_lshrrev_b32_e32 v29, 3, v26
	v_lshlrev_b32_e32 v30, 3, v35
	v_or_b32_e32 v29, v30, v29
	v_lshlrev_b32_e32 v29, 4, v29
	v_and_b32_e32 v30, 0x78, v30
	v_xor_b32_e32 v29, v29, v30
	s_branch .LBB686_33
.LBB686_31:
                                        ; implicit-def: $vgpr29
                                        ; implicit-def: $vgpr28
                                        ; implicit-def: $vgpr14_vgpr15_vgpr16_vgpr17
                                        ; implicit-def: $vgpr10_vgpr11_vgpr12_vgpr13
                                        ; implicit-def: $vgpr22_vgpr23_vgpr24_vgpr25
                                        ; implicit-def: $vgpr18_vgpr19_vgpr20_vgpr21
	s_cbranch_execz .LBB686_33
; %bb.32:
	s_waitcnt vmcnt(0)
	v_lshlrev_b32_e32 v10, 1, v26
	v_lshl_or_b32 v28, v35, 8, v10
	s_and_b32 s1, s1, 0xffff
	s_mov_b32 s3, 0x20000
	s_movk_i32 s2, 0x4000
	v_lshl_or_b32 v29, v27, 8, v10
	s_movk_i32 s13, 0x80
	buffer_load_dwordx4 v[14:17], v28, s[0:3], 0 offen
	buffer_load_dwordx4 v[10:13], v28, s[0:3], s13 offen
	;; [unrolled: 1-line block ×4, first 2 shown]
	v_lshrrev_b32_e32 v28, 3, v26
	v_lshlrev_b32_e32 v29, 3, v35
	v_or_b32_e32 v28, v29, v28
	v_lshlrev_b32_e32 v28, 4, v28
	v_and_b32_e32 v29, 0x78, v29
	v_xor_b32_e32 v29, v28, v29
	v_lshlrev_b32_e32 v28, 7, v27
.LBB686_33:
	s_lshl_b64 s[0:1], s[40:41], 8
	s_add_u32 s4, s4, s0
	s_movk_i32 s0, 0x1000
	v_and_or_b32 v27, v28, s0, v29
	s_waitcnt vmcnt(1)
	ds_write_b64 v29, v[14:15] offset:16384
	v_xor_b32_e32 v14, 8, v29
	s_addc_u32 s5, s5, s1
	ds_write_b64 v14, v[16:17] offset:16384
	s_waitcnt vmcnt(0)
	ds_write_b64 v29, v[10:11] offset:24576
	ds_write_b64 v14, v[12:13] offset:24576
	ds_write_b64 v27, v[22:23] offset:16384
	v_xor_b32_e32 v10, 8, v27
	s_add_i32 s0, s44, s17
	s_mul_i32 s35, s35, s16
	ds_write_b64 v10, v[24:25] offset:16384
	ds_write_b64 v27, v[18:19] offset:24576
	;; [unrolled: 1-line block ×3, first 2 shown]
	s_add_i32 s35, s0, s35
	s_mul_i32 s0, s33, s19
	s_mul_hi_u32 s1, s33, s18
	v_or_b32_e32 v10, v47, v50
	s_add_i32 s0, s1, s0
	s_mul_i32 s1, s14, s18
	v_lshlrev_b32_e32 v10, 3, v10
	v_lshrrev_b32_e32 v12, 5, v48
	s_movk_i32 s14, 0xf8
	v_and_or_b32 v12, v10, s14, v12
	v_lshlrev_b32_e32 v45, 11, v46
	v_lshlrev_b32_e32 v20, 4, v12
	v_and_b32_e32 v21, 0x78, v10
	v_and_b32_e32 v22, 0x1000, v45
	v_lshlrev_b32_e32 v11, 2, v0
	v_xor_b32_e32 v10, v20, v21
	v_lshrrev_b32_e32 v12, 1, v48
	v_and_b32_e32 v11, 60, v11
	v_or_b32_e32 v10, v10, v22
	v_and_b32_e32 v23, 8, v12
	v_xor_b32_e32 v36, v10, v23
	v_lshl_or_b32 v10, v49, 6, v11
	v_lshlrev_b32_e32 v49, 1, v10
	v_or_b32_e32 v10, 32, v20
	v_xor_b32_e32 v10, v10, v21
	s_waitcnt lgkmcnt(0)
	s_barrier
	ds_read_b64 v[18:19], v36 offset:16384
	v_or_b32_e32 v10, v10, v22
	v_xor_b32_e32 v37, v10, v23
	v_or_b32_e32 v10, 64, v20
	v_xor_b32_e32 v10, v10, v21
	v_or_b32_e32 v10, v10, v22
	v_or_b32_e32 v20, 0x60, v20
	v_xor_b32_e32 v38, v10, v23
	ds_read2st64_b64 v[10:13], v49 offset0:72 offset1:73
	ds_read2st64_b64 v[14:17], v49 offset0:74 offset1:75
	v_xor_b32_e32 v24, v20, v21
	ds_read_b64 v[20:21], v37 offset:16384
	s_waitcnt lgkmcnt(2)
	v_mfma_f32_16x16x16_bf16 a[0:3], v[18:19], v[10:11], 0
	s_add_i32 s2, s12, -1
	s_ashr_i32 s3, s2, 31
	s_mul_i32 s12, s2, s31
	s_mul_hi_u32 s13, s2, s30
	s_add_i32 s12, s13, s12
	s_mul_i32 s3, s3, s30
	v_or_b32_e32 v22, v24, v22
	s_add_i32 s1, s0, s1
	s_add_i32 s3, s12, s3
	s_lshl_b64 s[12:13], s[34:35], 2
	v_xor_b32_e32 v50, v22, v23
	ds_read_b64 v[22:23], v38 offset:16384
	ds_read_b64 v[24:25], v50 offset:16384
	s_waitcnt lgkmcnt(2)
	v_mfma_f32_16x16x16_bf16 a[0:3], v[20:21], v[12:13], a[0:3]
	s_mul_i32 s0, s33, s18
	s_add_u32 s10, s10, s12
	s_addc_u32 s11, s11, s13
	s_lshl_b64 s[0:1], s[0:1], 2
	s_mul_i32 s2, s2, s30
	s_add_u32 s10, s10, s0
	s_addc_u32 s11, s11, s1
	s_lshl_b64 s[0:1], s[2:3], 2
	s_waitcnt lgkmcnt(1)
	v_mfma_f32_16x16x16_bf16 a[0:3], v[22:23], v[14:15], a[0:3]
	s_add_u32 s0, s10, s0
	s_addc_u32 s1, s11, s1
	s_load_dword s12, s[0:1], 0x0
	s_waitcnt lgkmcnt(0)
	v_mfma_f32_16x16x16_bf16 a[0:3], v[24:25], v[16:17], a[0:3]
	s_and_b64 vcc, exec, s[38:39]
	s_cbranch_vccz .LBB686_44
; %bb.34:
	v_lshlrev_b32_e32 v27, 1, v35
	s_and_b64 vcc, exec, s[6:7]
	s_cbranch_vccz .LBB686_45
; %bb.35:
	v_cmp_gt_i32_e32 vcc, s43, v27
	v_mov_b32_e32 v14, 0
	v_mov_b32_e32 v10, 0
	v_mov_b32_e32 v11, 0
	v_mov_b32_e32 v12, 0
	v_mov_b32_e32 v13, 0
	s_and_saveexec_b64 s[0:1], vcc
	s_cbranch_execz .LBB686_37
; %bb.36:
	v_mad_i64_i32 v[10:11], s[2:3], s15, v27, 0
	v_lshl_add_u64 v[10:11], v[10:11], 1, s[4:5]
	v_lshlrev_b32_e32 v12, 1, v26
	v_mov_b32_e32 v13, 0
	v_lshl_add_u64 v[10:11], v[10:11], 0, v[12:13]
	global_load_dwordx4 v[10:13], v[10:11], off
.LBB686_37:
	s_or_b64 exec, exec, s[0:1]
	v_or_b32_e32 v28, 1, v27
	v_cmp_gt_i32_e64 s[0:1], s43, v28
	v_mov_b32_e32 v15, 0
	v_mov_b32_e32 v16, 0
	;; [unrolled: 1-line block ×3, first 2 shown]
	s_and_saveexec_b64 s[2:3], s[0:1]
	s_cbranch_execz .LBB686_39
; %bb.38:
	v_mad_i64_i32 v[14:15], s[16:17], s15, v28, 0
	v_lshl_add_u64 v[14:15], v[14:15], 1, s[4:5]
	v_lshlrev_b32_e32 v16, 1, v26
	v_mov_b32_e32 v17, 0
	v_lshl_add_u64 v[14:15], v[14:15], 0, v[16:17]
	global_load_dwordx4 v[14:17], v[14:15], off
.LBB686_39:
	s_or_b64 exec, exec, s[2:3]
	v_mov_b32_e32 v25, 0
	v_mov_b32_e32 v18, 0
	;; [unrolled: 1-line block ×5, first 2 shown]
	s_and_saveexec_b64 s[2:3], vcc
	s_cbranch_execz .LBB686_41
; %bb.40:
	v_mad_i64_i32 v[18:19], s[16:17], s15, v27, 0
	v_lshl_add_u64 v[18:19], v[18:19], 1, s[4:5]
	v_lshlrev_b32_e32 v20, 1, v26
	v_mov_b32_e32 v21, 0
	v_lshl_add_u64 v[18:19], v[18:19], 0, v[20:21]
	global_load_dwordx4 v[18:21], v[18:19], off offset:128
.LBB686_41:
	s_or_b64 exec, exec, s[2:3]
	v_mov_b32_e32 v24, 0
	v_mov_b32_e32 v23, 0
	;; [unrolled: 1-line block ×3, first 2 shown]
	s_and_saveexec_b64 s[2:3], s[0:1]
	s_cbranch_execz .LBB686_43
; %bb.42:
	v_mad_i64_i32 v[22:23], s[0:1], s15, v28, 0
	v_lshl_add_u64 v[22:23], v[22:23], 1, s[4:5]
	v_lshlrev_b32_e32 v24, 1, v26
	v_mov_b32_e32 v25, 0
	v_lshl_add_u64 v[22:23], v[22:23], 0, v[24:25]
	global_load_dwordx4 v[22:25], v[22:23], off offset:128
.LBB686_43:
	s_or_b64 exec, exec, s[2:3]
	s_branch .LBB686_47
.LBB686_44:
                                        ; implicit-def: $vgpr13
                                        ; implicit-def: $vgpr17
                                        ; implicit-def: $vgpr21
                                        ; implicit-def: $vgpr25
	v_lshrrev_b32_e32 v48, 2, v48
	s_branch .LBB686_48
.LBB686_45:
                                        ; implicit-def: $vgpr13
                                        ; implicit-def: $vgpr17
                                        ; implicit-def: $vgpr21
                                        ; implicit-def: $vgpr25
	s_cbranch_execz .LBB686_47
; %bb.46:
	s_waitcnt vmcnt(0)
	v_mad_u64_u32 v[10:11], s[0:1], v27, s15, v[26:27]
	v_lshlrev_b32_e32 v27, 1, v10
	s_lshl_b32 s2, s15, 7
	s_and_b32 s1, s5, 0xffff
	s_mov_b32 s3, 0x20000
	s_mov_b32 s0, s4
	v_add_lshl_u32 v28, v10, s15, 1
	s_movk_i32 s13, 0x80
	buffer_load_dwordx4 v[10:13], v27, s[0:3], 0 offen
	buffer_load_dwordx4 v[18:21], v27, s[0:3], s13 offen
	;; [unrolled: 1-line block ×4, first 2 shown]
.LBB686_47:
	v_lshrrev_b32_e32 v48, 2, v48
	s_cbranch_execnz .LBB686_60
.LBB686_48:
	s_and_b64 vcc, exec, s[6:7]
	s_cbranch_vccz .LBB686_58
; %bb.49:
	s_waitcnt vmcnt(0)
	v_lshlrev_b32_e32 v15, 1, v35
	v_cmp_gt_i32_e32 vcc, s43, v15
	v_mov_b32_e32 v14, 0
	v_lshlrev_b32_e32 v22, 9, v35
	v_mov_b32_e32 v10, 0
	v_mov_b32_e32 v11, 0
	;; [unrolled: 1-line block ×4, first 2 shown]
	s_and_saveexec_b64 s[0:1], vcc
	s_cbranch_execz .LBB686_51
; %bb.50:
	v_mov_b32_e32 v23, 0
	v_lshl_add_u64 v[10:11], s[4:5], 0, v[22:23]
	v_lshlrev_b32_e32 v12, 1, v26
	v_mov_b32_e32 v13, v23
	v_lshl_add_u64 v[10:11], v[10:11], 0, v[12:13]
	global_load_dwordx4 v[10:13], v[10:11], off
.LBB686_51:
	s_or_b64 exec, exec, s[0:1]
	v_or_b32_e32 v15, 1, v15
	v_cmp_gt_i32_e64 s[0:1], s43, v15
	v_lshlrev_b32_e32 v28, 8, v15
	v_mov_b32_e32 v15, 0
	v_mov_b32_e32 v16, 0
	;; [unrolled: 1-line block ×3, first 2 shown]
	s_and_saveexec_b64 s[2:3], s[0:1]
	s_cbranch_execz .LBB686_53
; %bb.52:
	v_mov_b32_e32 v29, 0
	v_lshl_add_u64 v[14:15], s[4:5], 0, v[28:29]
	v_lshlrev_b32_e32 v16, 1, v26
	v_mov_b32_e32 v17, v29
	v_lshl_add_u64 v[14:15], v[14:15], 0, v[16:17]
	global_load_dwordx4 v[14:17], v[14:15], off
.LBB686_53:
	s_or_b64 exec, exec, s[2:3]
	v_mov_b32_e32 v25, 0
	v_mov_b32_e32 v18, 0
	;; [unrolled: 1-line block ×5, first 2 shown]
	s_and_saveexec_b64 s[2:3], vcc
	s_cbranch_execz .LBB686_55
; %bb.54:
	v_mov_b32_e32 v23, 0
	v_lshl_add_u64 v[18:19], s[4:5], 0, v[22:23]
	v_lshlrev_b32_e32 v22, 1, v26
	v_lshl_add_u64 v[18:19], v[18:19], 0, v[22:23]
	global_load_dwordx4 v[18:21], v[18:19], off offset:128
.LBB686_55:
	s_or_b64 exec, exec, s[2:3]
	v_mov_b32_e32 v24, 0
	v_mov_b32_e32 v23, 0
	;; [unrolled: 1-line block ×3, first 2 shown]
	s_and_saveexec_b64 s[2:3], s[0:1]
	s_cbranch_execz .LBB686_57
; %bb.56:
	v_mov_b32_e32 v29, 0
	v_lshl_add_u64 v[22:23], s[4:5], 0, v[28:29]
	v_lshlrev_b32_e32 v28, 1, v26
	v_lshl_add_u64 v[22:23], v[22:23], 0, v[28:29]
	global_load_dwordx4 v[22:25], v[22:23], off offset:128
.LBB686_57:
	s_or_b64 exec, exec, s[2:3]
	s_branch .LBB686_60
.LBB686_58:
                                        ; implicit-def: $vgpr13
                                        ; implicit-def: $vgpr17
                                        ; implicit-def: $vgpr21
                                        ; implicit-def: $vgpr25
	s_cbranch_execz .LBB686_60
; %bb.59:
	s_waitcnt vmcnt(0)
	v_lshlrev_b32_e32 v10, 1, v26
	v_lshl_or_b32 v26, v35, 9, v10
	s_and_b32 s5, s5, 0xffff
	s_mov_b32 s7, 0x20000
	s_movk_i32 s6, 0x4000
	s_movk_i32 s0, 0x80
	buffer_load_dwordx4 v[10:13], v26, s[4:7], 0 offen
	buffer_load_dwordx4 v[14:17], v26, s[4:7], 0 offen offset:256
	buffer_load_dwordx4 v[18:21], v26, s[4:7], s0 offen
	buffer_load_dwordx4 v[22:25], v26, s[4:7], s0 offen offset:256
.LBB686_60:
	ds_read2st64_b64 v[30:33], v49 offset0:76 offset1:77
	ds_read2st64_b64 v[26:29], v49 offset0:78 offset1:79
	ds_read_b64 v[40:41], v36 offset:24576
	ds_read_b64 v[42:43], v37 offset:24576
	;; [unrolled: 1-line block ×4, first 2 shown]
	v_and_b32_e32 v50, 6, v0
	v_xor_b32_e32 v35, v35, v50
	v_lshlrev_b32_e32 v35, 2, v35
	v_and_b32_e32 v51, 1, v0
	v_xor_b32_e32 v52, 0x440, v35
	v_cmp_eq_u32_e32 vcc, 0, v51
	s_mov_b32 s0, 0x1000504
	s_waitcnt vmcnt(0)
	v_perm_b32 v51, v18, v22, s0
	v_cndmask_b32_e32 v35, v52, v35, vcc
	v_lshl_or_b32 v35, v50, 10, v35
	v_perm_b32 v50, v10, v14, s0
	ds_write2st64_b32 v35, v50, v51 offset1:32
	v_xor_b32_e32 v50, 8, v35
	s_mov_b32 s1, 0x3020706
	v_perm_b32 v10, v10, v14, s1
	v_perm_b32 v14, v18, v22, s1
	v_add_u32_e32 v18, 0x80, v50
	ds_write2st64_b32 v18, v10, v14 offset1:32
	v_xor_b32_e32 v10, 16, v35
	v_perm_b32 v14, v11, v15, s0
	v_perm_b32 v18, v19, v23, s0
	ds_write2st64_b32 v10, v14, v18 offset0:1 offset1:33
	v_xor_b32_e32 v10, 24, v35
	v_perm_b32 v11, v11, v15, s1
	v_perm_b32 v14, v19, v23, s1
	v_add_u32_e32 v10, 0x80, v10
	ds_write2st64_b32 v10, v11, v14 offset0:1 offset1:33
	v_xor_b32_e32 v10, 32, v35
	v_perm_b32 v11, v12, v16, s0
	v_perm_b32 v14, v20, v24, s0
	ds_write2st64_b32 v10, v11, v14 offset0:2 offset1:34
	v_xor_b32_e32 v10, 40, v35
	v_perm_b32 v11, v12, v16, s1
	v_perm_b32 v12, v20, v24, s1
	v_add_u32_e32 v10, 0x80, v10
	ds_write2st64_b32 v10, v11, v12 offset0:2 offset1:34
	v_xor_b32_e32 v10, 48, v35
	v_perm_b32 v11, v13, v17, s0
	v_perm_b32 v12, v21, v25, s0
	ds_write2st64_b32 v10, v11, v12 offset0:3 offset1:35
	v_xor_b32_e32 v10, 56, v35
	v_and_or_b32 v16, v48, 12, v47
	v_perm_b32 v11, v13, v17, s1
	v_perm_b32 v12, v21, v25, s1
	v_add_u32_e32 v10, 0x80, v10
	v_cmp_gt_i32_e32 vcc, s43, v16
	v_mov_b32_e32 v17, 0
	v_mov_b32_e32 v21, 0
	ds_write2st64_b32 v10, v11, v12 offset0:3 offset1:35
	s_and_saveexec_b64 s[0:1], vcc
	s_cbranch_execz .LBB686_62
; %bb.61:
	v_add_u32_e32 v10, s42, v16
	v_ashrrev_i32_e32 v11, 31, v10
	v_mul_lo_u32 v12, v11, s30
	v_mul_lo_u32 v13, v10, s31
	v_mad_u64_u32 v[10:11], s[2:3], v10, s30, 0
	v_add3_u32 v11, v11, v13, v12
	v_lshl_add_u64 v[10:11], v[10:11], 2, s[10:11]
	global_load_dword v10, v[10:11], off
	s_waitcnt vmcnt(0)
	v_sub_f32_e32 v10, s12, v10
	v_exp_f32_e32 v21, v10
.LBB686_62:
	s_or_b64 exec, exec, s[0:1]
	v_or_b32_e32 v19, 1, v16
	v_cmp_gt_i32_e64 s[0:1], s43, v19
	s_and_saveexec_b64 s[2:3], s[0:1]
	s_cbranch_execz .LBB686_64
; %bb.63:
	v_add_u32_e32 v10, s42, v19
	v_ashrrev_i32_e32 v11, 31, v10
	v_mul_lo_u32 v12, v11, s30
	v_mul_lo_u32 v13, v10, s31
	v_mad_u64_u32 v[10:11], s[4:5], v10, s30, 0
	v_add3_u32 v11, v11, v13, v12
	v_lshl_add_u64 v[10:11], v[10:11], 2, s[10:11]
	global_load_dword v10, v[10:11], off
	s_waitcnt vmcnt(0)
	v_sub_f32_e32 v10, s12, v10
	v_exp_f32_e32 v17, v10
.LBB686_64:
	s_or_b64 exec, exec, s[2:3]
	v_or_b32_e32 v20, 2, v16
	v_cmp_gt_i32_e64 s[2:3], s43, v20
	v_mov_b32_e32 v18, 0
	v_mov_b32_e32 v23, 0
	s_and_saveexec_b64 s[4:5], s[2:3]
	s_cbranch_execz .LBB686_66
; %bb.65:
	v_add_u32_e32 v10, s42, v20
	v_ashrrev_i32_e32 v11, 31, v10
	v_mul_lo_u32 v12, v11, s30
	v_mul_lo_u32 v13, v10, s31
	v_mad_u64_u32 v[10:11], s[6:7], v10, s30, 0
	v_add3_u32 v11, v11, v13, v12
	v_lshl_add_u64 v[10:11], v[10:11], 2, s[10:11]
	global_load_dword v10, v[10:11], off
	s_waitcnt vmcnt(0)
	v_sub_f32_e32 v10, s12, v10
	v_exp_f32_e32 v23, v10
.LBB686_66:
	s_or_b64 exec, exec, s[4:5]
	v_or_b32_e32 v22, 3, v16
	v_cmp_gt_i32_e64 s[4:5], s43, v22
	s_and_saveexec_b64 s[6:7], s[4:5]
	s_cbranch_execz .LBB686_68
; %bb.67:
	v_add_u32_e32 v10, s42, v22
	v_ashrrev_i32_e32 v11, 31, v10
	v_mul_lo_u32 v12, v11, s30
	v_mul_lo_u32 v13, v10, s31
	v_mad_u64_u32 v[10:11], s[14:15], v10, s30, 0
	v_add3_u32 v11, v11, v13, v12
	v_lshl_add_u64 v[10:11], v[10:11], 2, s[10:11]
	global_load_dword v10, v[10:11], off
	s_waitcnt vmcnt(0)
	v_sub_f32_e32 v10, s12, v10
	v_exp_f32_e32 v18, v10
.LBB686_68:
	s_or_b64 exec, exec, s[6:7]
	s_waitcnt lgkmcnt(11)
	v_mfma_f32_16x16x16_bf16 a[0:3], v[40:41], v[30:31], a[0:3]
	s_add_u32 s6, s8, s26
	v_ashrrev_i32_e32 v35, 31, v34
	s_addc_u32 s7, s9, s27
	s_waitcnt lgkmcnt(10)
	v_mfma_f32_16x16x16_bf16 a[0:3], v[42:43], v[32:33], a[0:3]
	v_mov_b32_e32 v24, 0
	v_lshl_add_u64 v[14:15], v[34:35], 1, s[6:7]
	v_mov_b32_e32 v25, 0
	s_waitcnt lgkmcnt(9)
	v_mfma_f32_16x16x16_bf16 a[0:3], v[38:39], v[26:27], a[0:3]
	s_waitcnt lgkmcnt(8)
	v_mfma_f32_16x16x16_bf16 a[0:3], v[36:37], v[28:29], a[0:3]
	s_nop 6
	v_accvgpr_read_b32 v13, a3
	v_accvgpr_read_b32 v12, a2
	;; [unrolled: 1-line block ×4, first 2 shown]
	s_and_saveexec_b64 s[6:7], vcc
	s_cbranch_execz .LBB686_70
; %bb.69:
	v_lshlrev_b32_e32 v26, 8, v16
	v_mov_b32_e32 v27, 0
	v_lshl_add_u64 v[26:27], v[14:15], 0, v[26:27]
	global_load_ushort v25, v[26:27], off
	s_waitcnt vmcnt(0)
	v_lshlrev_b32_e32 v25, 16, v25
	v_sub_f32_e32 v10, v25, v10
	v_mul_f32_e32 v10, v21, v10
	v_lshrrev_b32_e32 v25, 16, v10
.LBB686_70:
	s_or_b64 exec, exec, s[6:7]
	s_and_saveexec_b64 s[6:7], s[0:1]
	s_cbranch_execz .LBB686_72
; %bb.71:
	v_lshlrev_b32_e32 v26, 8, v19
	v_mov_b32_e32 v27, 0
	v_lshl_add_u64 v[26:27], v[14:15], 0, v[26:27]
	global_load_ushort v10, v[26:27], off
	s_waitcnt vmcnt(0)
	v_lshlrev_b32_e32 v10, 16, v10
	v_sub_f32_e32 v10, v10, v11
	v_mul_f32_e32 v10, v17, v10
	v_lshrrev_b32_e32 v24, 16, v10
.LBB686_72:
	s_or_b64 exec, exec, s[6:7]
	v_mov_b32_e32 v11, 0
	v_mov_b32_e32 v17, 0
	s_and_saveexec_b64 s[0:1], s[2:3]
	s_cbranch_execz .LBB686_74
; %bb.73:
	v_lshlrev_b32_e32 v20, 8, v20
	v_mov_b32_e32 v21, 0
	v_lshl_add_u64 v[20:21], v[14:15], 0, v[20:21]
	global_load_ushort v10, v[20:21], off
	s_waitcnt vmcnt(0)
	v_lshlrev_b32_e32 v10, 16, v10
	v_sub_f32_e32 v10, v10, v12
	v_mul_f32_e32 v10, v23, v10
	v_lshrrev_b32_e32 v17, 16, v10
.LBB686_74:
	s_or_b64 exec, exec, s[0:1]
	v_or_b32_e32 v10, 0x9800, v49
	s_and_saveexec_b64 s[0:1], s[4:5]
	s_cbranch_execz .LBB686_76
; %bb.75:
	v_lshlrev_b32_e32 v20, 8, v22
	v_mov_b32_e32 v21, 0
	v_lshl_add_u64 v[14:15], v[14:15], 0, v[20:21]
	global_load_ushort v11, v[14:15], off
	s_waitcnt vmcnt(0)
	v_lshlrev_b32_e32 v11, 16, v11
	v_sub_f32_e32 v11, v11, v13
	v_mul_f32_e32 v11, v18, v11
	v_lshrrev_b32_e32 v11, 16, v11
.LBB686_76:
	s_or_b64 exec, exec, s[0:1]
	s_mov_b32 s0, 0x5040100
	v_perm_b32 v13, v11, v17, s0
	v_lshlrev_b32_e32 v11, 1, v44
	v_perm_b32 v12, v24, v25, s0
	v_lshl_or_b32 v11, v16, 5, v11
	s_movk_i32 s0, 0xff
	ds_write_b64 v11, v[12:13] offset:38912
	v_and_b32_e32 v11, 7, v0
	v_and_b32_e32 v12, 8, v0
	v_cmp_lt_u32_e32 vcc, s0, v0
	v_lshrrev_b32_e32 v0, 1, v0
	v_lshlrev_b32_e32 v22, 3, v11
	v_lshlrev_b32_e32 v23, 7, v11
	v_cndmask_b32_e64 v11, 0, 1, vcc
	v_lshlrev_b32_e32 v25, 3, v46
	v_and_b32_e32 v0, 24, v0
	v_lshlrev_b32_e32 v24, 13, v11
	v_xor_b32_e32 v11, v25, v0
	v_or_b32_e32 v13, 0x440, v11
	v_cmp_eq_u32_e32 vcc, 0, v12
	s_waitcnt lgkmcnt(0)
	s_barrier
	v_cndmask_b32_e32 v11, v13, v11, vcc
	v_or_b32_e32 v11, v11, v45
	v_xad_u32 v26, v11, v22, v23
	v_add_u32_e32 v11, v24, v26
	ds_read_b64 v[20:21], v11
	ds_read2st64_b64 v[12:15], v10 offset1:1
	ds_read2st64_b64 v[16:19], v10 offset0:2 offset1:3
	v_or_b32_e32 v10, 32, v0
	v_xor_b32_e32 v10, v25, v10
	v_or_b32_e32 v11, 0x440, v10
	v_cndmask_b32_e32 v10, v11, v10, vcc
	v_or_b32_e32 v10, v10, v45
	v_xad_u32 v27, v10, v22, v23
	v_add_u32_e32 v10, v24, v27
	ds_read_b64 v[10:11], v10
	s_waitcnt lgkmcnt(2)
	v_mfma_f32_16x16x16_bf16 a[0:3], v[20:21], v[12:13], 0
	s_waitcnt lgkmcnt(0)
	v_mfma_f32_16x16x16_bf16 a[0:3], v[10:11], v[14:15], a[0:3]
	v_or_b32_e32 v10, 64, v0
	v_xor_b32_e32 v10, v25, v10
	v_xor_b32_e32 v11, 0x440, v10
	v_cndmask_b32_e32 v10, v11, v10, vcc
	v_or_b32_e32 v10, v10, v45
	v_or_b32_e32 v0, 0x60, v0
	v_xad_u32 v28, v10, v22, v23
	v_xor_b32_e32 v0, v25, v0
	v_add_u32_e32 v10, v24, v28
	v_xor_b32_e32 v20, 0x440, v0
	ds_read_b64 v[10:11], v10
	v_cndmask_b32_e32 v0, v20, v0, vcc
	v_or_b32_e32 v0, v0, v45
	v_xad_u32 v0, v0, v22, v23
	v_add_u32_e32 v20, v24, v0
	ds_read_b64 v[20:21], v20
	s_waitcnt lgkmcnt(1)
	v_mfma_f32_16x16x16_bf16 a[0:3], v[10:11], v[16:17], a[0:3]
	ds_read_b64 v[10:11], v26 offset:8192
	ds_read_b64 v[22:23], v28 offset:8192
	v_exp_f32_e32 v24, s12
	s_waitcnt lgkmcnt(2)
	v_mfma_f32_16x16x16_bf16 a[0:3], v[20:21], v[18:19], a[0:3]
	ds_read_b64 v[20:21], v27 offset:8192
	s_waitcnt lgkmcnt(2)
	v_mfma_f32_16x16x16_bf16 a[4:7], v[10:11], v[12:13], 0
	s_nop 3
	v_accvgpr_read_b32 v10, a0
	v_fma_f32 v12, v2, v24, v10
	ds_read_b64 v[10:11], v0 offset:8192
	s_waitcnt lgkmcnt(1)
	v_mfma_f32_16x16x16_bf16 a[4:7], v[20:21], v[14:15], a[4:7]
	v_accvgpr_read_b32 v0, a1
	v_fma_f32 v13, v3, v24, v0
	v_accvgpr_read_b32 v0, a2
	v_mfma_f32_16x16x16_bf16 a[4:7], v[22:23], v[16:17], a[4:7]
	v_accvgpr_read_b32 v15, a3
	v_fma_f32 v14, v4, v24, v0
	v_fmac_f32_e32 v15, v5, v24
	s_waitcnt lgkmcnt(0)
	v_mfma_f32_16x16x16_bf16 a[0:3], v[10:11], v[18:19], a[4:7]
	v_mov_b32_e32 v10, v34
	s_nop 5
	v_accvgpr_read_b32 v0, a0
	v_fma_f32 v16, v6, v24, v0
	v_accvgpr_read_b32 v0, a1
	v_fma_f32 v17, v7, v24, v0
	v_accvgpr_read_b32 v0, a2
	v_accvgpr_read_b32 v19, a3
	v_fma_f32 v18, v8, v24, v0
	v_fmac_f32_e32 v19, v9, v24
	v_mov_b64_e32 v[2:3], v[12:13]
	v_mov_b64_e32 v[4:5], v[14:15]
	;; [unrolled: 1-line block ×4, first 2 shown]
.LBB686_77:
	s_lshl_b64 s[0:1], s[24:25], 16
	s_waitcnt lgkmcnt(0)
	s_add_u32 s0, s28, s0
	v_lshlrev_b32_e32 v10, 7, v10
	s_addc_u32 s1, s29, s1
	v_ashrrev_i32_e32 v11, 31, v10
	v_lshl_add_u64 v[10:11], v[10:11], 2, s[0:1]
	v_lshlrev_b32_e32 v0, 2, v1
	v_mov_b32_e32 v1, 0
	v_lshl_add_u64 v[0:1], v[10:11], 0, v[0:1]
	global_store_dwordx4 v[0:1], v[2:5], off
	global_store_dwordx4 v[0:1], v[6:9], off offset:256
	s_endpgm
	.section	.rodata,"a",@progbits
	.p2align	6, 0x0
	.amdhsa_kernel _ZN12_GLOBAL__N_139chunk_gated_delta_rule_fwd_h_hip_kernelILi16ELb0ELb1ELb0ELb0ELb1ELb0ELb1ELb0EEEvPK12hip_bfloat16S3_S3_PKfS5_PKvPS1_S8_PvPKiSB_iiiiilll
		.amdhsa_group_segment_fixed_size 40960
		.amdhsa_private_segment_fixed_size 0
		.amdhsa_kernarg_size 136
		.amdhsa_user_sgpr_count 2
		.amdhsa_user_sgpr_dispatch_ptr 0
		.amdhsa_user_sgpr_queue_ptr 0
		.amdhsa_user_sgpr_kernarg_segment_ptr 1
		.amdhsa_user_sgpr_dispatch_id 0
		.amdhsa_user_sgpr_kernarg_preload_length 0
		.amdhsa_user_sgpr_kernarg_preload_offset 0
		.amdhsa_user_sgpr_private_segment_size 0
		.amdhsa_uses_dynamic_stack 0
		.amdhsa_enable_private_segment 0
		.amdhsa_system_sgpr_workgroup_id_x 1
		.amdhsa_system_sgpr_workgroup_id_y 1
		.amdhsa_system_sgpr_workgroup_id_z 0
		.amdhsa_system_sgpr_workgroup_info 0
		.amdhsa_system_vgpr_workitem_id 0
		.amdhsa_next_free_vgpr 116
		.amdhsa_next_free_sgpr 63
		.amdhsa_accum_offset 108
		.amdhsa_reserve_vcc 1
		.amdhsa_float_round_mode_32 0
		.amdhsa_float_round_mode_16_64 0
		.amdhsa_float_denorm_mode_32 3
		.amdhsa_float_denorm_mode_16_64 3
		.amdhsa_dx10_clamp 1
		.amdhsa_ieee_mode 1
		.amdhsa_fp16_overflow 0
		.amdhsa_tg_split 0
		.amdhsa_exception_fp_ieee_invalid_op 0
		.amdhsa_exception_fp_denorm_src 0
		.amdhsa_exception_fp_ieee_div_zero 0
		.amdhsa_exception_fp_ieee_overflow 0
		.amdhsa_exception_fp_ieee_underflow 0
		.amdhsa_exception_fp_ieee_inexact 0
		.amdhsa_exception_int_div_zero 0
	.end_amdhsa_kernel
	.section	.text._ZN12_GLOBAL__N_139chunk_gated_delta_rule_fwd_h_hip_kernelILi16ELb0ELb1ELb0ELb0ELb1ELb0ELb1ELb0EEEvPK12hip_bfloat16S3_S3_PKfS5_PKvPS1_S8_PvPKiSB_iiiiilll,"axG",@progbits,_ZN12_GLOBAL__N_139chunk_gated_delta_rule_fwd_h_hip_kernelILi16ELb0ELb1ELb0ELb0ELb1ELb0ELb1ELb0EEEvPK12hip_bfloat16S3_S3_PKfS5_PKvPS1_S8_PvPKiSB_iiiiilll,comdat
.Lfunc_end686:
	.size	_ZN12_GLOBAL__N_139chunk_gated_delta_rule_fwd_h_hip_kernelILi16ELb0ELb1ELb0ELb0ELb1ELb0ELb1ELb0EEEvPK12hip_bfloat16S3_S3_PKfS5_PKvPS1_S8_PvPKiSB_iiiiilll, .Lfunc_end686-_ZN12_GLOBAL__N_139chunk_gated_delta_rule_fwd_h_hip_kernelILi16ELb0ELb1ELb0ELb0ELb1ELb0ELb1ELb0EEEvPK12hip_bfloat16S3_S3_PKfS5_PKvPS1_S8_PvPKiSB_iiiiilll
                                        ; -- End function
	.section	.AMDGPU.csdata,"",@progbits
; Kernel info:
; codeLenInByte = 7776
; NumSgprs: 69
; NumVgprs: 106
; NumAgprs: 8
; TotalNumVgprs: 116
; ScratchSize: 0
; MemoryBound: 0
; FloatMode: 240
; IeeeMode: 1
; LDSByteSize: 40960 bytes/workgroup (compile time only)
; SGPRBlocks: 8
; VGPRBlocks: 14
; NumSGPRsForWavesPerEU: 69
; NumVGPRsForWavesPerEU: 116
; AccumOffset: 108
; Occupancy: 1
; WaveLimiterHint : 1
; COMPUTE_PGM_RSRC2:SCRATCH_EN: 0
; COMPUTE_PGM_RSRC2:USER_SGPR: 2
; COMPUTE_PGM_RSRC2:TRAP_HANDLER: 0
; COMPUTE_PGM_RSRC2:TGID_X_EN: 1
; COMPUTE_PGM_RSRC2:TGID_Y_EN: 1
; COMPUTE_PGM_RSRC2:TGID_Z_EN: 0
; COMPUTE_PGM_RSRC2:TIDIG_COMP_CNT: 0
; COMPUTE_PGM_RSRC3_GFX90A:ACCUM_OFFSET: 26
; COMPUTE_PGM_RSRC3_GFX90A:TG_SPLIT: 0
	.section	.text._ZN12_GLOBAL__N_139chunk_gated_delta_rule_fwd_h_hip_kernelILi16ELb0ELb0ELb1ELb0ELb1ELb0ELb1ELb0EEEvPK12hip_bfloat16S3_S3_PKfS5_PKvPS1_S8_PvPKiSB_iiiiilll,"axG",@progbits,_ZN12_GLOBAL__N_139chunk_gated_delta_rule_fwd_h_hip_kernelILi16ELb0ELb0ELb1ELb0ELb1ELb0ELb1ELb0EEEvPK12hip_bfloat16S3_S3_PKfS5_PKvPS1_S8_PvPKiSB_iiiiilll,comdat
	.globl	_ZN12_GLOBAL__N_139chunk_gated_delta_rule_fwd_h_hip_kernelILi16ELb0ELb0ELb1ELb0ELb1ELb0ELb1ELb0EEEvPK12hip_bfloat16S3_S3_PKfS5_PKvPS1_S8_PvPKiSB_iiiiilll ; -- Begin function _ZN12_GLOBAL__N_139chunk_gated_delta_rule_fwd_h_hip_kernelILi16ELb0ELb0ELb1ELb0ELb1ELb0ELb1ELb0EEEvPK12hip_bfloat16S3_S3_PKfS5_PKvPS1_S8_PvPKiSB_iiiiilll
	.p2align	8
	.type	_ZN12_GLOBAL__N_139chunk_gated_delta_rule_fwd_h_hip_kernelILi16ELb0ELb0ELb1ELb0ELb1ELb0ELb1ELb0EEEvPK12hip_bfloat16S3_S3_PKfS5_PKvPS1_S8_PvPKiSB_iiiiilll,@function
_ZN12_GLOBAL__N_139chunk_gated_delta_rule_fwd_h_hip_kernelILi16ELb0ELb0ELb1ELb0ELb1ELb0ELb1ELb0EEEvPK12hip_bfloat16S3_S3_PKfS5_PKvPS1_S8_PvPKiSB_iiiiilll: ; @_ZN12_GLOBAL__N_139chunk_gated_delta_rule_fwd_h_hip_kernelILi16ELb0ELb0ELb1ELb0ELb1ELb0ELb1ELb0EEEvPK12hip_bfloat16S3_S3_PKfS5_PKvPS1_S8_PvPKiSB_iiiiilll
; %bb.0:
	s_load_dwordx4 s[16:19], s[0:1], 0x5c
	s_load_dwordx4 s[12:15], s[0:1], 0x30
	s_abs_i32 s22, s3
	s_ashr_i32 s21, s3, 31
	s_load_dwordx8 s[4:11], s[0:1], 0x0
	s_waitcnt lgkmcnt(0)
	s_abs_i32 s20, s17
	v_cvt_f32_u32_e32 v1, s20
	s_sub_i32 s24, 0, s20
	s_ashr_i32 s23, s17, 31
	s_xor_b32 s21, s21, s23
	v_rcp_iflag_f32_e32 v1, v1
	v_lshrrev_b32_e32 v44, 6, v0
	v_bfe_u32 v45, v0, 4, 2
	v_lshlrev_b32_e32 v42, 4, v44
	v_mul_f32_e32 v1, 0x4f7ffffe, v1
	v_cvt_u32_f32_e32 v1, v1
	v_lshlrev_b32_e32 v2, 2, v45
	v_and_b32_e32 v43, 63, v0
	v_or_b32_e32 v48, v2, v42
	v_readfirstlane_b32 s25, v1
	s_mul_i32 s24, s24, s25
	s_mul_hi_u32 s24, s25, s24
	s_add_i32 s25, s25, s24
	s_mul_hi_u32 s24, s22, s25
	s_mul_i32 s25, s24, s20
	s_sub_i32 s22, s22, s25
	s_add_i32 s26, s24, 1
	s_sub_i32 s25, s22, s20
	s_cmp_ge_u32 s22, s20
	s_cselect_b32 s24, s26, s24
	s_cselect_b32 s22, s25, s22
	s_add_i32 s25, s24, 1
	s_cmp_ge_u32 s22, s20
	s_cselect_b32 s22, s25, s24
	s_xor_b32 s22, s22, s21
	s_sub_i32 s47, s22, s21
	s_abs_i32 s21, s18
	v_cvt_f32_u32_e32 v1, s21
	s_add_i32 s24, s16, 63
	s_mul_i32 s45, s47, s17
	s_sub_i32 s33, s3, s45
	v_rcp_iflag_f32_e32 v1, v1
	s_ashr_i32 s3, s24, 31
	s_ashr_i32 s46, s16, 31
	s_lshr_b32 s3, s3, 26
	v_mul_f32_e32 v1, 0x4f7ffffe, v1
	v_cvt_u32_f32_e32 v1, v1
	s_lshr_b32 s22, s46, 26
	s_add_i32 s24, s24, s3
	s_add_i32 s22, s16, s22
	s_ashr_i32 s49, s18, 31
	s_ashr_i32 s3, s24, 6
	s_ashr_i32 s48, s22, 6
	s_xor_b32 s22, s23, s49
	s_sub_i32 s23, 0, s21
	v_readfirstlane_b32 s24, v1
	s_mul_i32 s23, s23, s24
	s_mul_hi_u32 s23, s24, s23
	s_add_i32 s24, s24, s23
	s_mul_hi_u32 s23, s20, s24
	s_mul_i32 s24, s23, s21
	s_sub_i32 s20, s20, s24
	s_add_i32 s24, s23, 1
	s_sub_i32 s25, s20, s21
	s_cmp_ge_u32 s20, s21
	s_cselect_b32 s23, s24, s23
	s_cselect_b32 s20, s25, s20
	s_add_i32 s24, s23, 1
	s_cmp_ge_u32 s20, s21
	s_cselect_b32 s20, s24, s23
	s_xor_b32 s20, s20, s22
	s_sub_i32 s24, s20, s22
	s_abs_i32 s25, s24
	v_cvt_f32_u32_e32 v1, s25
	s_load_dwordx2 s[34:35], s[0:1], 0x80
	s_load_dwordx4 s[20:23], s[0:1], 0x70
	s_xor_b32 s0, s33, s24
	s_sub_i32 s24, 0, s25
	v_rcp_iflag_f32_e32 v1, v1
	s_abs_i32 s1, s33
	s_ashr_i32 s0, s0, 31
	s_mul_i32 s50, s47, s3
	v_mul_f32_e32 v1, 0x4f7ffffe, v1
	v_cvt_u32_f32_e32 v1, v1
	v_or_b32_e32 v49, 64, v48
	v_mov_b32_e32 v3, 0
	s_mul_hi_i32 s51, s47, s17
	v_readfirstlane_b32 s26, v1
	s_mul_i32 s24, s24, s26
	s_mul_hi_u32 s24, s26, s24
	s_add_i32 s26, s26, s24
	s_mul_hi_u32 s24, s1, s26
	s_mul_i32 s26, s24, s25
	s_sub_i32 s1, s1, s26
	s_add_i32 s26, s24, 1
	s_sub_i32 s27, s1, s25
	s_cmp_ge_u32 s1, s25
	s_cselect_b32 s24, s26, s24
	s_cselect_b32 s1, s27, s1
	s_add_i32 s26, s24, 1
	s_cmp_ge_u32 s1, s25
	s_cselect_b32 s1, s26, s24
	s_xor_b32 s1, s1, s0
	s_sub_i32 s52, s1, s0
	s_lshl_b32 s36, s2, 4
	v_and_b32_e32 v1, 15, v0
	s_cmp_lt_i32 s16, 64
	v_lshrrev_b32_e32 v47, 3, v43
	v_lshlrev_b32_e32 v46, 3, v0
	s_waitcnt lgkmcnt(0)
	s_mul_i32 s21, s47, s21
	s_mul_hi_u32 s44, s47, s20
	s_mul_i32 s38, s47, s20
	v_mov_b32_e32 v61, 0
	v_mov_b32_e32 v34, 0
	;; [unrolled: 1-line block ×7, first 2 shown]
	s_cbranch_scc1 .LBB687_18
; %bb.1:
	s_ashr_i32 s28, s47, 31
	s_ashr_i32 s54, s33, 31
	s_add_u32 s0, s45, s33
	s_addc_u32 s1, s51, s54
	s_mul_i32 s1, s16, s1
	s_mul_hi_u32 s2, s16, s0
	s_add_i32 s3, s2, s1
	s_mul_i32 s2, s16, s0
	s_lshl_b64 s[0:1], s[2:3], 8
	v_and_b32_e32 v51, 56, v46
	s_add_u32 s24, s6, s0
	v_lshl_or_b32 v50, v44, 3, v47
	v_lshlrev_b32_e32 v3, 1, v51
	s_addc_u32 s0, s7, s1
	v_lshl_or_b32 v52, v50, 8, v3
	s_and_b32 s25, s0, 0xffff
	s_mov_b32 s27, 0x20000
	s_movk_i32 s26, 0x4000
	s_movk_i32 s0, 0x80
	v_or_b32_e32 v53, 0x2000, v52
	buffer_load_dwordx4 v[4:7], v52, s[24:27], 0 offen
	buffer_load_dwordx4 v[8:11], v52, s[24:27], s0 offen
	;; [unrolled: 1-line block ×4, first 2 shown]
	v_lshlrev_b32_e32 v20, 3, v50
	v_and_or_b32 v22, v0, 7, v20
	v_and_b32_e32 v20, 0x78, v20
	v_lshlrev_b32_e32 v22, 4, v22
	v_xor_b32_e32 v54, v22, v20
	v_mul_lo_u32 v21, v50, s19
	v_or_b32_e32 v55, 0x1000, v54
	s_cmpk_eq_i32 s19, 0x80
	s_mov_b32 s53, s18
	v_xor_b32_e32 v20, 8, v54
	v_xor_b32_e32 v22, 8, v55
	s_cselect_b64 s[0:1], -1, 0
	s_cmpk_lg_i32 s19, 0x80
	s_waitcnt vmcnt(3)
	ds_write_b64 v54, v[4:5] offset:16384
	ds_write_b64 v20, v[6:7] offset:16384
	s_waitcnt vmcnt(2)
	ds_write_b64 v54, v[8:9] offset:24576
	ds_write_b64 v20, v[10:11] offset:24576
	;; [unrolled: 3-line block ×4, first 2 shown]
	v_lshl_add_u32 v4, v21, 1, v51
	s_cbranch_scc0 .LBB687_3
; %bb.2:
	v_lshlrev_b32_e32 v6, 1, v4
	v_add_lshl_u32 v5, v4, s19, 1
	s_lshl_b32 s26, s19, 7
	v_lshl_or_b32 v3, v50, 9, v3
	s_cbranch_execz .LBB687_4
	s_branch .LBB687_5
.LBB687_3:
                                        ; implicit-def: $vgpr5
                                        ; implicit-def: $vgpr6
                                        ; implicit-def: $sgpr26
	v_lshl_or_b32 v3, v50, 9, v3
.LBB687_4:
	v_or_b32_e32 v5, 0x100, v3
	s_movk_i32 s26, 0x4000
	v_mov_b32_e32 v6, v3
.LBB687_5:
	s_mul_hi_u32 s24, s18, s16
	s_mul_i32 s25, s49, s16
	s_add_i32 s24, s24, s25
	s_mul_i32 s25, s18, s16
	s_mul_i32 s27, s25, s28
	s_mul_hi_u32 s29, s25, s47
	s_add_i32 s27, s29, s27
	s_mul_i32 s24, s24, s47
	s_add_i32 s27, s27, s24
	s_mul_i32 s25, s25, s47
	s_ashr_i32 s55, s52, 31
	s_add_u32 s24, s25, s52
	s_addc_u32 s25, s27, s55
	s_lshl_b64 s[24:25], s[24:25], 8
	s_add_u32 s24, s4, s24
	s_addc_u32 s25, s5, s25
	s_and_b32 s25, s25, 0xffff
	s_mov_b32 s27, 0x20000
	s_movk_i32 s56, 0x80
	buffer_load_dwordx4 v[8:11], v6, s[24:27], 0 offen
	buffer_load_dwordx4 v[12:15], v6, s[24:27], s56 offen
	;; [unrolled: 1-line block ×4, first 2 shown]
	v_and_b32_e32 v5, 6, v0
	s_mul_i32 s24, s28, s16
	s_mul_hi_u32 s25, s47, s16
	v_lshlrev_b32_e32 v7, 2, v1
	v_lshlrev_b32_e32 v24, 3, v1
	v_xor_b32_e32 v26, v50, v5
	v_and_b32_e32 v6, 1, v0
	s_mul_i32 s28, s28, s20
	v_lshl_or_b32 v24, v48, 5, v24
	v_xor_b32_e32 v27, v48, v7
	v_lshlrev_b32_e32 v26, 2, v26
	s_add_i32 s61, s25, s24
	s_add_i32 s24, s44, s21
	v_or_b32_e32 v56, 0x9000, v24
	v_or_b32_e32 v57, 0x9800, v24
	v_lshlrev_b32_e32 v24, 1, v27
	v_xor_b32_e32 v27, 0x440, v26
	v_cmp_eq_u32_e32 vcc, 0, v6
	s_add_i32 s39, s24, s28
	s_mul_i32 s24, s33, s23
	s_mul_hi_u32 s25, s33, s22
	v_cndmask_b32_e32 v6, v27, v26, vcc
	s_add_i32 s24, s25, s24
	s_mul_i32 s25, s54, s22
	s_mov_b32 s58, 0x1000504
	v_lshlrev_b32_e32 v25, 8, v1
	s_mov_b32 s26, 0x8000
	v_xor_b32_e32 v7, v49, v7
	v_lshl_or_b32 v5, v5, 10, v6
	s_add_i32 s25, s24, s25
	s_lshl_b64 s[28:29], s[38:39], 2
	s_mov_b32 s59, 0x3020706
	v_lshlrev_b32_e32 v7, 1, v7
	v_or3_b32 v58, v24, v25, s26
	v_xor_b32_e32 v6, 8, v5
	v_xor_b32_e32 v24, 24, v5
	;; [unrolled: 1-line block ×4, first 2 shown]
	s_mul_i32 s24, s33, s22
	s_add_u32 s28, s10, s28
	v_or3_b32 v59, v7, v25, s26
	v_xor_b32_e32 v7, 16, v5
	v_xor_b32_e32 v25, 32, v5
	;; [unrolled: 1-line block ×3, first 2 shown]
	v_add_u32_e32 v6, 0x80, v6
	v_add_u32_e32 v24, 0x80, v24
	;; [unrolled: 1-line block ×4, first 2 shown]
	s_addc_u32 s29, s11, s29
	s_lshl_b64 s[24:25], s[24:25], 2
	s_add_u32 s40, s28, s24
	s_movk_i32 s24, 0xf8
	s_addc_u32 s41, s29, s25
	s_ashr_i32 s37, s36, 31
	s_lshl_b32 s30, s19, 7
	v_mov_b32_e32 v35, 0
	s_mov_b32 s57, 0
	s_mul_i32 s60, s47, s16
	v_add_u32_e32 v78, v42, v2
	s_mov_b32 s62, 0
	v_mov_b32_e32 v62, v35
	v_mov_b32_e32 v63, v35
	v_mov_b32_e32 v84, v35
	v_mov_b32_e32 v60, v35
	v_mov_b32_e32 v61, v35
	v_mov_b32_e32 v83, v35
	s_waitcnt vmcnt(1)
	v_perm_b32 v29, v8, v16, s58
	s_waitcnt vmcnt(0)
	v_perm_b32 v30, v12, v20, s58
	v_perm_b32 v8, v8, v16, s59
	;; [unrolled: 1-line block ×15, first 2 shown]
	ds_write2st64_b32 v5, v29, v30 offset1:32
	ds_write2st64_b32 v6, v8, v12 offset1:32
	ds_write2st64_b32 v7, v16, v20 offset0:1 offset1:33
	ds_write2st64_b32 v24, v9, v13 offset0:1 offset1:33
	;; [unrolled: 1-line block ×6, first 2 shown]
	v_or_b32_e32 v5, v42, v1
	v_lshlrev_b32_e32 v5, 3, v5
	v_lshrrev_b32_e32 v7, 5, v43
	v_and_or_b32 v7, v5, s24, v7
	v_lshlrev_b32_e32 v7, 4, v7
	v_lshlrev_b32_e32 v10, 11, v44
	v_and_b32_e32 v5, 0x78, v5
	v_or_b32_e32 v12, 32, v7
	v_and_b32_e32 v6, 0x1000, v10
	v_lshrrev_b32_e32 v11, 1, v0
	v_xor_b32_e32 v12, v12, v5
	v_and_b32_e32 v9, 8, v11
	v_or_b32_e32 v12, v12, v6
	v_xor_b32_e32 v8, v7, v5
	v_xor_b32_e32 v66, v12, v9
	v_or_b32_e32 v12, 64, v7
	v_or_b32_e32 v7, 0x60, v7
	v_xor_b32_e32 v12, v12, v5
	v_xor_b32_e32 v5, v7, v5
	v_or_b32_e32 v5, v5, v6
	v_or_b32_e32 v12, v12, v6
	v_xor_b32_e32 v68, v5, v9
	v_lshlrev_b32_e32 v5, 1, v1
	v_xor_b32_e32 v67, v12, v9
	v_lshlrev_b32_e32 v12, 1, v4
	v_add_lshl_u32 v13, v4, s19, 1
	v_lshrrev_b32_e32 v4, 4, v0
	s_lshl_b64 s[24:25], s[36:37], 8
	v_or_b32_e32 v15, 1, v5
	s_add_u32 s24, s12, s24
	v_xor_b32_e32 v5, v4, v5
	v_xor_b32_e32 v15, v15, v4
	s_addc_u32 s25, s13, s25
	v_lshlrev_b32_e32 v5, 3, v5
	v_lshlrev_b32_e32 v34, 8, v4
	;; [unrolled: 1-line block ×3, first 2 shown]
	v_or3_b32 v70, v5, v34, s26
	v_or3_b32 v71, v4, v34, s26
	v_lshl_add_u64 v[4:5], s[24:25], 0, v[34:35]
	v_lshlrev_b32_e32 v34, 4, v1
	s_movk_i32 s24, 0xff
	v_lshlrev_b32_e32 v17, 3, v44
	v_and_b32_e32 v11, 24, v11
	v_lshl_add_u64 v[36:37], v[4:5], 0, v[34:35]
	v_and_b32_e32 v5, 8, v0
	v_cmp_lt_u32_e32 vcc, s24, v0
	v_xor_b32_e32 v18, v17, v11
	v_or_b32_e32 v19, 0x440, v18
	v_cndmask_b32_e64 v16, 0, 1, vcc
	v_cmp_eq_u32_e32 vcc, 0, v5
	v_and_b32_e32 v4, 7, v0
	v_lshlrev_b32_e32 v15, 3, v4
	v_cndmask_b32_e32 v5, v19, v18, vcc
	v_lshlrev_b32_e32 v4, 7, v4
	v_or_b32_e32 v5, v5, v10
	v_xad_u32 v72, v5, v15, v4
	v_or_b32_e32 v5, 32, v11
	v_xor_b32_e32 v5, v17, v5
	v_or_b32_e32 v18, 0x440, v5
	v_cndmask_b32_e32 v5, v18, v5, vcc
	v_or_b32_e32 v5, v5, v10
	v_xad_u32 v73, v5, v15, v4
	v_or_b32_e32 v5, 64, v11
	v_xor_b32_e32 v5, v17, v5
	v_xor_b32_e32 v18, 0x440, v5
	v_cndmask_b32_e32 v5, v18, v5, vcc
	v_or_b32_e32 v5, v5, v10
	v_xad_u32 v74, v5, v15, v4
	v_or_b32_e32 v5, 0x60, v11
	v_xor_b32_e32 v5, v17, v5
	v_or_b32_e32 v8, v8, v6
	v_or_b32_e32 v6, s36, v1
	v_xor_b32_e32 v11, 0x440, v5
	v_xor_b32_e32 v64, v8, v9
	v_and_b32_e32 v8, 0x78, v46
	v_ashrrev_i32_e32 v7, 31, v6
	v_cndmask_b32_e32 v5, v11, v5, vcc
	v_lshl_or_b32 v8, v45, 7, v8
	v_lshlrev_b64 v[6:7], 1, v[6:7]
	v_or_b32_e32 v5, v5, v10
	v_or_b32_e32 v65, 0x9000, v8
	;; [unrolled: 1-line block ×3, first 2 shown]
	v_lshl_add_u64 v[8:9], s[8:9], 0, v[6:7]
	v_lshl_add_u64 v[6:7], s[14:15], 0, v[6:7]
	v_or_b32_e32 v14, 0x100, v3
	v_lshlrev_b32_e32 v16, 13, v16
	v_xad_u32 v75, v5, v15, v4
	v_lshlrev_b32_e32 v34, 8, v48
	v_cndmask_b32_e64 v76, v12, v3, s[0:1]
	v_cndmask_b32_e64 v77, v13, v14, s[0:1]
	v_lshl_add_u64 v[38:39], v[8:9], 0, v[34:35]
	v_lshl_add_u64 v[40:41], v[6:7], 0, v[34:35]
	s_mov_b32 s37, 0x7060302
	s_movk_i32 s26, 0x4000
	v_add_u32_e32 v79, v16, v72
	v_add_u32_e32 v80, v16, v73
	;; [unrolled: 1-line block ×4, first 2 shown]
	v_mov_b32_e32 v34, v35
	s_waitcnt lgkmcnt(0)
	s_barrier
.LBB687_6:                              ; =>This Inner Loop Header: Depth=1
	s_add_i32 s39, s62, 1
	s_cmp_lt_i32 s39, s48
	s_mov_b64 s[28:29], 0
	s_cselect_b64 s[42:43], -1, 0
	s_cmp_ge_i32 s39, s48
	s_mov_b64 s[24:25], 0
	s_cbranch_scc1 .LBB687_8
; %bb.7:                                ;   in Loop: Header=BB687_6 Depth=1
	s_add_i32 s0, s57, 64
	s_add_u32 s0, s2, s0
	s_addc_u32 s1, s3, 0
	s_lshl_b64 s[0:1], s[0:1], 8
	s_add_u32 s24, s6, s0
	s_addc_u32 s25, s7, s1
.LBB687_8:                              ;   in Loop: Header=BB687_6 Depth=1
	v_cndmask_b32_e64 v2, 0, 1, s[42:43]
	v_cmp_ne_u32_e64 s[0:1], 1, v2
	s_andn2_b64 vcc, exec, s[42:43]
	s_cbranch_vccnz .LBB687_10
; %bb.9:                                ;   in Loop: Header=BB687_6 Depth=1
	s_add_i32 s28, s57, 64
	s_add_u32 s28, s60, s28
	s_addc_u32 s29, s61, 0
	s_mul_i32 s31, s28, s49
	s_mul_hi_u32 s42, s28, s53
	s_add_i32 s31, s42, s31
	s_mul_i32 s29, s29, s53
	s_add_i32 s31, s31, s29
	s_mul_i32 s28, s28, s53
	s_add_u32 s28, s28, s52
	s_addc_u32 s29, s31, s55
	s_lshl_b64 s[28:29], s[28:29], 8
	s_add_u32 s28, s4, s28
	s_addc_u32 s29, s5, s29
.LBB687_10:                             ;   in Loop: Header=BB687_6 Depth=1
	v_perm_b32 v3, v84, v63, s37
	v_perm_b32 v2, v62, v35, s37
	;; [unrolled: 1-line block ×4, first 2 shown]
	ds_write_b64 v56, v[2:3]
	ds_write_b64 v57, v[4:5]
	;; [unrolled: 1-line block ×4, first 2 shown]
	s_waitcnt lgkmcnt(0)
	s_barrier
	ds_read_b64 v[10:11], v64 offset:16384
	ds_read_b64 v[12:13], v66 offset:16384
	ds_read2st64_b64 v[2:5], v65 offset1:1
	ds_read2st64_b64 v[6:9], v65 offset0:2 offset1:3
	ds_read_b64 v[14:15], v67 offset:16384
	s_waitcnt lgkmcnt(2)
	v_mfma_f32_16x16x16_bf16 a[0:3], v[10:11], v[2:3], 0
	ds_read_b64 v[2:3], v68 offset:16384
	s_add_i32 s31, s57, 63
	s_mul_i32 s42, s31, s35
	v_mfma_f32_16x16x16_bf16 a[0:3], v[12:13], v[4:5], a[0:3]
	s_mul_hi_u32 s43, s31, s34
	s_add_i32 s43, s43, s42
	s_mul_i32 s42, s31, s34
	s_waitcnt lgkmcnt(1)
	v_mfma_f32_16x16x16_bf16 a[0:3], v[14:15], v[6:7], a[0:3]
	s_lshl_b64 s[42:43], s[42:43], 2
	s_add_u32 s42, s40, s42
	s_addc_u32 s43, s41, s43
	s_waitcnt lgkmcnt(0)
	v_mfma_f32_16x16x16_bf16 a[0:3], v[2:3], v[8:9], a[0:3]
	s_and_b64 vcc, exec, s[0:1]
	v_mov_b32_e32 v87, 0
	v_mov_b32_e32 v86, 0
	;; [unrolled: 1-line block ×19, first 2 shown]
	s_cbranch_vccnz .LBB687_12
; %bb.11:                               ;   in Loop: Header=BB687_6 Depth=1
	s_and_b32 s25, s25, 0xffff
	buffer_load_dwordx4 v[14:17], v52, s[24:27], 0 offen
	buffer_load_dwordx4 v[10:13], v52, s[24:27], s56 offen
	;; [unrolled: 1-line block ×4, first 2 shown]
	v_mov_b32_e32 v86, v54
	v_mov_b32_e32 v85, v55
.LBB687_12:                             ;   in Loop: Header=BB687_6 Depth=1
	s_waitcnt vmcnt(3)
	v_add_u32_e32 v24, s57, v78
	s_waitcnt vmcnt(1)
	v_ashrrev_i32_e32 v18, 31, v24
	v_mul_lo_u32 v20, v18, s34
	v_mul_lo_u32 v21, v24, s35
	v_mad_u64_u32 v[18:19], s[24:25], v24, s34, 0
	v_add3_u32 v19, v19, v21, v20
	v_add_u32_e32 v20, 1, v24
	v_ashrrev_i32_e32 v21, 31, v20
	v_mul_lo_u32 v22, v21, s34
	v_mul_lo_u32 v23, v20, s35
	v_mad_u64_u32 v[20:21], s[24:25], v20, s34, 0
	v_add3_u32 v21, v21, v23, v22
	v_add_u32_e32 v22, 2, v24
	v_ashrrev_i32_e32 v23, 31, v22
	v_mul_lo_u32 v25, v23, s34
	v_mul_lo_u32 v26, v22, s35
	v_mad_u64_u32 v[22:23], s[24:25], v22, s34, 0
	s_add_u32 s24, s2, s57
	v_add3_u32 v23, v23, v26, v25
	v_add_u32_e32 v26, 3, v24
	s_addc_u32 s25, s3, 0
	v_ashrrev_i32_e32 v24, 31, v26
	s_lshl_b64 s[64:65], s[24:25], 8
	v_lshl_add_u64 v[18:19], v[18:19], 2, s[40:41]
	v_mul_lo_u32 v27, v24, s34
	v_lshl_add_u64 v[24:25], v[38:39], 0, s[64:65]
	v_mul_lo_u32 v28, v26, s35
	global_load_ushort v89, v[24:25], off
	global_load_ushort v94, v[24:25], off offset:256
	global_load_ushort v95, v[24:25], off offset:512
	;; [unrolled: 1-line block ×3, first 2 shown]
	global_load_dword v97, v[18:19], off
	v_mad_u64_u32 v[18:19], s[24:25], v26, s34, 0
	v_lshl_add_u64 v[20:21], v[20:21], 2, s[40:41]
	v_add3_u32 v19, v19, v28, v27
	v_lshl_add_u64 v[22:23], v[22:23], 2, s[40:41]
	v_lshl_add_u64 v[18:19], v[18:19], 2, s[40:41]
	global_load_dword v98, v[20:21], off
	global_load_dword v99, v[22:23], off
	;; [unrolled: 1-line block ×3, first 2 shown]
	s_load_dword s24, s[42:43], 0x0
	ds_read_b64 v[26:27], v64 offset:24576
	ds_read2st64_b64 v[22:25], v69 offset1:1
	ds_read2st64_b64 v[28:31], v69 offset0:2 offset1:3
	ds_read_b64 v[32:33], v66 offset:24576
	ds_read_b64 v[90:91], v67 offset:24576
	;; [unrolled: 1-line block ×3, first 2 shown]
	s_waitcnt lgkmcnt(0)
	v_mfma_f32_16x16x16_bf16 a[0:3], v[26:27], v[22:23], a[0:3]
	v_mov_b32_e32 v88, 0
	v_mov_b32_e32 v18, 0
	;; [unrolled: 1-line block ×3, first 2 shown]
	v_mfma_f32_16x16x16_bf16 a[0:3], v[32:33], v[24:25], a[0:3]
	v_mov_b32_e32 v20, 0
	v_mov_b32_e32 v21, 0
	;; [unrolled: 1-line block ×3, first 2 shown]
	v_mfma_f32_16x16x16_bf16 a[0:3], v[90:91], v[28:29], a[0:3]
	v_lshl_add_u64 v[28:29], v[40:41], 0, s[64:65]
	v_mov_b32_e32 v23, 0
	v_mov_b32_e32 v24, 0
	v_mfma_f32_16x16x16_bf16 a[0:3], v[92:93], v[30:31], a[0:3]
	v_mov_b32_e32 v25, 0
	v_mov_b32_e32 v26, 0
	;; [unrolled: 1-line block ×3, first 2 shown]
	s_and_b64 vcc, exec, s[0:1]
	s_waitcnt vmcnt(7)
	v_lshlrev_b32_e32 v90, 16, v89
	s_nop 0
	v_accvgpr_read_b32 v33, a1
	v_accvgpr_read_b32 v31, a3
	v_accvgpr_read_b32 v30, a2
	v_accvgpr_read_b32 v32, a0
	s_waitcnt vmcnt(6)
	v_lshlrev_b32_e32 v91, 16, v94
	s_waitcnt vmcnt(4)
	v_lshlrev_b32_e32 v93, 16, v96
	v_lshlrev_b32_e32 v92, 16, v95
	s_waitcnt vmcnt(3)
	v_sub_f32_e32 v89, s24, v97
	v_pk_add_f32 v[32:33], v[90:91], v[32:33] neg_lo:[0,1] neg_hi:[0,1]
	v_pk_add_f32 v[30:31], v[92:93], v[30:31] neg_lo:[0,1] neg_hi:[0,1]
	v_exp_f32_e32 v90, v89
	s_waitcnt vmcnt(2)
	v_sub_f32_e32 v89, s24, v98
	s_waitcnt vmcnt(1)
	v_sub_f32_e32 v92, s24, v99
	;; [unrolled: 2-line block ×3, first 2 shown]
	v_exp_f32_e32 v91, v89
	v_exp_f32_e32 v92, v92
	;; [unrolled: 1-line block ×3, first 2 shown]
	global_store_short_d16_hi v[28:29], v32, off
	global_store_short_d16_hi v[28:29], v33, off offset:256
	global_store_short_d16_hi v[28:29], v30, off offset:512
	;; [unrolled: 1-line block ×3, first 2 shown]
	v_pk_mul_f32 v[28:29], v[90:91], v[32:33]
	v_pk_mul_f32 v[30:31], v[92:93], v[30:31]
	v_perm_b32 v28, v29, v28, s37
	v_perm_b32 v29, v31, v30, s37
	ds_write_b64 v57, v[28:29]
	v_mov_b32_e32 v28, 0
	v_mov_b32_e32 v29, 0
	v_mov_b32_e32 v30, 0
	v_mov_b32_e32 v31, 0
	v_mov_b32_e32 v32, 0
	v_mov_b32_e32 v33, 0
	s_cbranch_vccnz .LBB687_14
; %bb.13:                               ;   in Loop: Header=BB687_6 Depth=1
	s_and_b32 s29, s29, 0xffff
	s_mov_b32 s31, s27
	buffer_load_dwordx4 v[30:33], v76, s[28:31], 0 offen
	buffer_load_dwordx4 v[22:25], v76, s[28:31], s56 offen
	;; [unrolled: 1-line block ×4, first 2 shown]
	v_mov_b32_e32 v87, v51
	v_mov_b32_e32 v88, v50
.LBB687_14:                             ;   in Loop: Header=BB687_6 Depth=1
	s_waitcnt lgkmcnt(0)
	s_barrier
	ds_read_b64 v[98:99], v79
	ds_read2st64_b64 v[90:93], v69 offset1:1
	ds_read2st64_b64 v[94:97], v69 offset0:2 offset1:3
	ds_read_b64 v[100:101], v80
	ds_read_b64 v[102:103], v81
	;; [unrolled: 1-line block ×3, first 2 shown]
	s_waitcnt lgkmcnt(4)
	v_mfma_f32_16x16x16_bf16 a[0:3], v[98:99], v[90:91], 0
	ds_read_b64 v[98:99], v72 offset:8192
	ds_read_b64 v[106:107], v73 offset:8192
	s_add_i32 s25, s50, s62
	s_mul_hi_i32 s29, s25, s17
	s_waitcnt lgkmcnt(1)
	v_mfma_f32_16x16x16_bf16 a[4:7], v[98:99], v[90:91], 0
	s_mul_i32 s25, s25, s17
	s_add_u32 s28, s25, s33
	s_addc_u32 s29, s29, s54
	v_mfma_f32_16x16x16_bf16 a[0:3], v[100:101], v[92:93], a[0:3]
	ds_read_b64 v[98:99], v70
	ds_read_b64 v[100:101], v71
	ds_read_b64 v[90:91], v74 offset:8192
	s_lshl_b64 s[28:29], s[28:29], 15
	v_mfma_f32_16x16x16_bf16 a[0:3], v[102:103], v[94:95], a[0:3]
	ds_read_b64 v[102:103], v75 offset:8192
	s_and_b64 vcc, exec, s[0:1]
	s_waitcnt lgkmcnt(4)
	v_mfma_f32_16x16x16_bf16 a[4:7], v[106:107], v[92:93], a[4:7]
	s_waitcnt lgkmcnt(1)
	v_mfma_f32_16x16x16_bf16 a[4:7], v[90:91], v[94:95], a[4:7]
	v_lshl_add_u64 v[90:91], v[36:37], 0, s[28:29]
	global_store_dwordx4 v[90:91], v[98:101], off
	v_mfma_f32_16x16x16_bf16 a[0:3], v[104:105], v[96:97], a[0:3]
	s_waitcnt lgkmcnt(0)
	v_mfma_f32_16x16x16_bf16 a[4:7], v[102:103], v[96:97], a[4:7]
	s_cbranch_vccnz .LBB687_16
; %bb.15:                               ;   in Loop: Header=BB687_6 Depth=1
	v_lshrrev_b32_e32 v89, 3, v87
	v_and_b32_e32 v89, 6, v89
	v_xor_b32_e32 v88, v89, v88
	v_lshlrev_b32_e32 v88, 2, v88
	v_and_b32_e32 v87, 8, v87
	v_xor_b32_e32 v90, 0x440, v88
	v_cmp_eq_u32_e32 vcc, 0, v87
	s_barrier
	s_nop 0
	v_cndmask_b32_e32 v87, v90, v88, vcc
	v_lshl_or_b32 v87, v89, 10, v87
	s_waitcnt vmcnt(2)
	v_perm_b32 v88, v30, v26, s58
	s_waitcnt vmcnt(1)
	v_perm_b32 v89, v22, v18, s58
	ds_write2st64_b32 v87, v88, v89 offset1:32
	v_xor_b32_e32 v88, 8, v87
	v_perm_b32 v26, v30, v26, s59
	v_perm_b32 v18, v22, v18, s59
	v_add_u32_e32 v22, 0x80, v88
	ds_write2st64_b32 v22, v26, v18 offset1:32
	v_xor_b32_e32 v18, 16, v87
	v_perm_b32 v22, v31, v27, s58
	v_perm_b32 v26, v23, v19, s58
	ds_write2st64_b32 v18, v22, v26 offset0:1 offset1:33
	v_xor_b32_e32 v18, 24, v87
	v_perm_b32 v22, v31, v27, s59
	v_perm_b32 v19, v23, v19, s59
	v_add_u32_e32 v18, 0x80, v18
	ds_write2st64_b32 v18, v22, v19 offset0:1 offset1:33
	v_xor_b32_e32 v18, 32, v87
	v_perm_b32 v19, v32, v28, s58
	v_perm_b32 v22, v24, v20, s58
	ds_write2st64_b32 v18, v19, v22 offset0:2 offset1:34
	v_xor_b32_e32 v18, 40, v87
	v_perm_b32 v19, v32, v28, s59
	v_perm_b32 v20, v24, v20, s59
	v_add_u32_e32 v18, 0x80, v18
	ds_write2st64_b32 v18, v19, v20 offset0:2 offset1:34
	;; [unrolled: 9-line block ×3, first 2 shown]
	ds_write_b64 v86, v[14:15] offset:16384
	v_xor_b32_e32 v14, 8, v86
	ds_write_b64 v14, v[16:17] offset:16384
	ds_write_b64 v86, v[10:11] offset:24576
	;; [unrolled: 1-line block ×4, first 2 shown]
	v_xor_b32_e32 v6, 8, v85
	ds_write_b64 v6, v[8:9] offset:16384
	ds_write_b64 v85, v[2:3] offset:24576
	;; [unrolled: 1-line block ×3, first 2 shown]
.LBB687_16:                             ;   in Loop: Header=BB687_6 Depth=1
	v_exp_f32_e32 v2, s24
	s_nop 2
	v_accvgpr_read_b32 v3, a0
	v_accvgpr_read_b32 v4, a1
	s_add_i32 s57, s57, 64
	v_fma_f32 v35, v35, v2, v3
	v_accvgpr_read_b32 v3, a2
	v_fma_f32 v63, v63, v2, v3
	v_accvgpr_read_b32 v3, a4
	;; [unrolled: 2-line block ×6, first 2 shown]
	v_fmac_f32_e32 v4, v84, v2
	s_cmp_eq_u32 s48, s39
	v_fmac_f32_e32 v3, v83, v2
	s_cbranch_scc1 .LBB687_18
; %bb.17:                               ;   in Loop: Header=BB687_6 Depth=1
	s_mov_b32 s62, s39
	v_mov_b32_e32 v84, v4
	v_mov_b32_e32 v83, v3
	s_branch .LBB687_6
.LBB687_18:
	s_lshl_b32 s42, s48, 6
	s_sub_i32 s43, s16, s42
	s_cmp_gt_i32 s43, 0
	s_cbranch_scc0 .LBB687_75
; %bb.19:
	s_ashr_i32 s39, s47, 31
	s_ashr_i32 s2, s42, 31
	s_cmpk_lg_i32 s19, 0x80
	s_cselect_b64 s[30:31], -1, 0
	s_and_b64 vcc, exec, s[30:31]
	s_cbranch_vccz .LBB687_21
; %bb.20:
	s_mul_i32 s1, s47, s16
	s_mul_hi_i32 s0, s47, s16
	s_add_u32 s1, s1, s42
	s_addc_u32 s0, s0, s2
	s_mul_i32 s3, s1, s49
	s_mul_hi_u32 s24, s1, s18
	s_add_i32 s3, s24, s3
	s_mul_i32 s0, s0, s18
	s_add_i32 s3, s3, s0
	s_mul_i32 s1, s1, s18
	s_ashr_i32 s0, s52, 31
	s_add_u32 s40, s1, s52
	s_addc_u32 s41, s3, s0
	s_cbranch_execz .LBB687_22
	s_branch .LBB687_23
.LBB687_21:
                                        ; implicit-def: $sgpr40_sgpr41
.LBB687_22:
	s_mul_hi_i32 s0, s47, s18
	s_mul_i32 s47, s47, s18
	s_ashr_i32 s1, s52, 31
	s_add_u32 s3, s47, s52
	s_addc_u32 s0, s0, s1
	s_mul_i32 s1, s3, s46
	s_mul_hi_u32 s18, s3, s16
	s_add_i32 s1, s18, s1
	s_mul_i32 s0, s0, s16
	s_add_i32 s1, s1, s0
	s_mul_i32 s3, s3, s16
	s_add_u32 s40, s3, s42
	s_addc_u32 s41, s1, s2
.LBB687_23:
	s_add_i32 s3, s50, s48
	s_ashr_i32 s18, s33, 31
	s_add_u32 s0, s45, s33
	s_addc_u32 s1, s51, s18
	s_mul_i32 s24, s0, s46
	s_mul_hi_u32 s25, s0, s16
	s_add_i32 s24, s25, s24
	s_mul_i32 s1, s1, s16
	s_add_i32 s24, s24, s1
	s_mul_i32 s0, s0, s16
	s_add_u32 s0, s0, s42
	s_addc_u32 s1, s24, s2
	s_mov_b32 s2, 0x7060302
	v_lshlrev_b32_e32 v6, 3, v1
	v_perm_b32 v5, v4, v63, s2
	v_perm_b32 v4, v62, v35, s2
	;; [unrolled: 1-line block ×4, first 2 shown]
	v_lshlrev_b32_e32 v34, 2, v1
	v_lshl_or_b32 v6, v48, 5, v6
	s_lshl_b64 s[28:29], s[0:1], 8
	ds_write2st64_b64 v6, v[4:5], v[2:3] offset0:72 offset1:76
	v_xor_b32_e32 v6, v48, v34
	v_lshlrev_b32_e32 v7, 8, v1
	s_add_u32 s0, s6, s28
	v_lshl_or_b32 v6, v6, 1, v7
	s_addc_u32 s1, s7, s29
	ds_write_b64 v6, v[4:5] offset:32768
	v_xor_b32_e32 v4, v49, v34
	s_mul_hi_i32 s6, s3, s17
	s_mul_i32 s3, s3, s17
	v_lshl_or_b32 v4, v4, 1, v7
	s_add_u32 s2, s3, s33
	ds_write_b64 v4, v[2:3] offset:32768
	s_addc_u32 s3, s6, s18
	v_lshlrev_b32_e32 v3, 1, v1
	v_lshrrev_b32_e32 v2, 4, v0
	s_ashr_i32 s37, s36, 31
	s_lshl_b64 s[2:3], s[2:3], 15
	v_or_b32_e32 v4, 1, v3
	s_add_u32 s6, s12, s2
	v_xor_b32_e32 v3, v2, v3
	v_xor_b32_e32 v4, v4, v2
	v_lshlrev_b32_e32 v6, 8, v2
	s_addc_u32 s7, s13, s3
	s_lshl_b64 s[2:3], s[36:37], 8
	v_lshl_or_b32 v2, v3, 3, v6
	v_lshl_or_b32 v4, v4, 3, v6
	s_waitcnt lgkmcnt(0)
	s_barrier
	s_add_u32 s2, s6, s2
	ds_read_b64 v[2:3], v2 offset:32768
	ds_read_b64 v[4:5], v4 offset:32768
	s_addc_u32 s3, s7, s3
	v_mov_b32_e32 v7, 0
	s_cmp_lg_u32 s43, 64
	v_lshl_add_u64 v[8:9], s[2:3], 0, v[6:7]
	v_lshlrev_b32_e32 v6, 4, v1
	s_cselect_b64 s[6:7], -1, 0
	v_lshl_or_b32 v35, v44, 3, v47
	s_mov_b32 s24, 0
	v_lshl_add_u64 v[6:7], v[8:9], 0, v[6:7]
	s_waitcnt vmcnt(1)
	v_or_b32_e32 v19, 32, v35
	v_and_b32_e32 v18, 56, v46
	s_and_b64 vcc, exec, s[6:7]
	s_waitcnt lgkmcnt(0)
	global_store_dwordx4 v[6:7], v[2:5], off
	s_cbranch_vccz .LBB687_29
; %bb.24:
	s_mov_b32 s25, s24
	s_mov_b32 s26, s24
	;; [unrolled: 1-line block ×3, first 2 shown]
	v_mov_b64_e32 v[6:7], s[24:25]
	v_mov_b64_e32 v[8:9], s[26:27]
	;; [unrolled: 1-line block ×3, first 2 shown]
	v_cmp_gt_i32_e32 vcc, s43, v35
	v_mov_b64_e32 v[4:5], v[8:9]
	s_and_saveexec_b64 s[2:3], vcc
	s_cbranch_execz .LBB687_26
; %bb.25:
	v_lshlrev_b32_e32 v2, 8, v35
	v_mov_b32_e32 v3, 0
	v_lshl_add_u64 v[4:5], s[0:1], 0, v[2:3]
	v_lshlrev_b32_e32 v2, 1, v18
	v_lshl_add_u64 v[10:11], v[4:5], 0, v[2:3]
	global_load_dwordx4 v[6:9], v[10:11], off
	global_load_dwordx4 v[2:5], v[10:11], off offset:128
.LBB687_26:
	s_or_b64 exec, exec, s[2:3]
	s_mov_b32 s25, s24
	s_mov_b32 s26, s24
	;; [unrolled: 1-line block ×3, first 2 shown]
	v_mov_b64_e32 v[14:15], s[24:25]
	v_mov_b64_e32 v[16:17], s[26:27]
	;; [unrolled: 1-line block ×3, first 2 shown]
	v_cmp_gt_i32_e32 vcc, s43, v19
	v_lshlrev_b32_e32 v20, 7, v19
	v_mov_b64_e32 v[12:13], v[16:17]
	s_and_saveexec_b64 s[2:3], vcc
	s_cbranch_execz .LBB687_28
; %bb.27:
	v_lshlrev_b32_e32 v10, 1, v20
	v_mov_b32_e32 v11, 0
	v_lshl_add_u64 v[12:13], s[0:1], 0, v[10:11]
	v_lshlrev_b32_e32 v10, 1, v18
	v_lshl_add_u64 v[22:23], v[12:13], 0, v[10:11]
	global_load_dwordx4 v[14:17], v[22:23], off
	global_load_dwordx4 v[10:13], v[22:23], off offset:128
.LBB687_28:
	s_or_b64 exec, exec, s[2:3]
	v_lshrrev_b32_e32 v21, 3, v18
	v_lshlrev_b32_e32 v22, 3, v35
	v_or_b32_e32 v21, v22, v21
	v_lshlrev_b32_e32 v21, 4, v21
	v_and_b32_e32 v22, 0x78, v22
	v_xor_b32_e32 v21, v21, v22
	s_branch .LBB687_31
.LBB687_29:
                                        ; implicit-def: $vgpr21
                                        ; implicit-def: $vgpr20
                                        ; implicit-def: $vgpr6_vgpr7_vgpr8_vgpr9
                                        ; implicit-def: $vgpr2_vgpr3_vgpr4_vgpr5
                                        ; implicit-def: $vgpr14_vgpr15_vgpr16_vgpr17
                                        ; implicit-def: $vgpr10_vgpr11_vgpr12_vgpr13
	s_cbranch_execz .LBB687_31
; %bb.30:
	s_waitcnt vmcnt(0)
	v_lshlrev_b32_e32 v2, 1, v18
	v_lshl_or_b32 v20, v35, 8, v2
	s_and_b32 s1, s1, 0xffff
	s_mov_b32 s3, 0x20000
	s_movk_i32 s2, 0x4000
	v_lshl_or_b32 v21, v19, 8, v2
	s_movk_i32 s12, 0x80
	buffer_load_dwordx4 v[6:9], v20, s[0:3], 0 offen
	buffer_load_dwordx4 v[2:5], v20, s[0:3], s12 offen
	;; [unrolled: 1-line block ×4, first 2 shown]
	v_lshrrev_b32_e32 v20, 3, v18
	v_lshlrev_b32_e32 v21, 3, v35
	v_or_b32_e32 v20, v21, v20
	v_lshlrev_b32_e32 v20, 4, v20
	v_and_b32_e32 v21, 0x78, v21
	v_xor_b32_e32 v21, v20, v21
	v_lshlrev_b32_e32 v20, 7, v19
.LBB687_31:
	s_lshl_b64 s[0:1], s[40:41], 8
	s_add_u32 s4, s4, s0
	s_movk_i32 s0, 0x1000
	v_and_or_b32 v19, v20, s0, v21
	s_waitcnt vmcnt(1)
	ds_write_b64 v21, v[6:7] offset:16384
	v_xor_b32_e32 v6, 8, v21
	ds_write_b64 v6, v[8:9] offset:16384
	s_waitcnt vmcnt(0)
	ds_write_b64 v21, v[2:3] offset:24576
	ds_write_b64 v6, v[4:5] offset:24576
	;; [unrolled: 1-line block ×3, first 2 shown]
	v_xor_b32_e32 v2, 8, v19
	ds_write_b64 v2, v[16:17] offset:16384
	ds_write_b64 v19, v[10:11] offset:24576
	;; [unrolled: 1-line block ×3, first 2 shown]
	v_or_b32_e32 v2, v42, v1
	s_addc_u32 s5, s5, s1
	s_add_i32 s2, s16, -1
	v_lshlrev_b32_e32 v2, 3, v2
	v_lshrrev_b32_e32 v4, 5, v43
	s_movk_i32 s16, 0xf8
	v_and_or_b32 v4, v2, s16, v4
	v_lshlrev_b32_e32 v3, 11, v44
	v_lshlrev_b32_e32 v12, 4, v4
	v_and_b32_e32 v13, 0x78, v2
	v_and_b32_e32 v14, 0x1000, v3
	v_lshlrev_b32_e32 v3, 2, v0
	v_xor_b32_e32 v2, v12, v13
	v_lshrrev_b32_e32 v4, 1, v43
	v_and_b32_e32 v3, 60, v3
	v_or_b32_e32 v2, v2, v14
	v_and_b32_e32 v15, 8, v4
	v_xor_b32_e32 v26, v2, v15
	v_lshl_or_b32 v2, v45, 6, v3
	v_lshlrev_b32_e32 v19, 1, v2
	v_or_b32_e32 v2, 32, v12
	v_xor_b32_e32 v2, v2, v13
	s_waitcnt lgkmcnt(0)
	s_barrier
	ds_read_b64 v[10:11], v26 offset:16384
	v_or_b32_e32 v2, v2, v14
	v_xor_b32_e32 v27, v2, v15
	v_or_b32_e32 v2, 64, v12
	v_xor_b32_e32 v2, v2, v13
	v_or_b32_e32 v2, v2, v14
	v_or_b32_e32 v12, 0x60, v12
	v_xor_b32_e32 v28, v2, v15
	ds_read2st64_b64 v[2:5], v19 offset0:72 offset1:73
	ds_read2st64_b64 v[6:9], v19 offset0:74 offset1:75
	v_xor_b32_e32 v16, v12, v13
	ds_read_b64 v[12:13], v27 offset:16384
	s_waitcnt lgkmcnt(2)
	v_mfma_f32_16x16x16_bf16 a[0:3], v[10:11], v[2:3], 0
	s_add_i32 s0, s44, s21
	s_mul_i32 s39, s39, s20
	s_add_i32 s39, s0, s39
	s_mul_i32 s0, s33, s23
	s_mul_hi_u32 s1, s33, s22
	s_ashr_i32 s3, s2, 31
	s_mul_i32 s12, s2, s35
	s_mul_hi_u32 s13, s2, s34
	s_add_i32 s0, s1, s0
	s_mul_i32 s1, s18, s22
	s_add_i32 s12, s13, s12
	s_mul_i32 s3, s3, s34
	v_or_b32_e32 v14, v16, v14
	s_add_i32 s1, s0, s1
	s_add_i32 s3, s12, s3
	s_lshl_b64 s[12:13], s[38:39], 2
	v_xor_b32_e32 v36, v14, v15
	ds_read_b64 v[14:15], v28 offset:16384
	ds_read_b64 v[16:17], v36 offset:16384
	s_waitcnt lgkmcnt(2)
	v_mfma_f32_16x16x16_bf16 a[0:3], v[12:13], v[4:5], a[0:3]
	s_mul_i32 s0, s33, s22
	s_add_u32 s10, s10, s12
	s_addc_u32 s11, s11, s13
	s_lshl_b64 s[0:1], s[0:1], 2
	s_mul_i32 s2, s2, s34
	s_add_u32 s10, s10, s0
	s_addc_u32 s11, s11, s1
	s_lshl_b64 s[0:1], s[2:3], 2
	s_waitcnt lgkmcnt(1)
	v_mfma_f32_16x16x16_bf16 a[0:3], v[14:15], v[6:7], a[0:3]
	s_add_u32 s0, s10, s0
	s_addc_u32 s1, s11, s1
	s_load_dword s12, s[0:1], 0x0
	s_waitcnt lgkmcnt(0)
	v_mfma_f32_16x16x16_bf16 a[0:3], v[16:17], v[8:9], a[0:3]
	s_and_b64 vcc, exec, s[30:31]
	s_cbranch_vccz .LBB687_42
; %bb.32:
	v_lshlrev_b32_e32 v20, 1, v35
	s_and_b64 vcc, exec, s[6:7]
	s_cbranch_vccz .LBB687_43
; %bb.33:
	v_cmp_gt_i32_e32 vcc, s43, v20
	v_mov_b32_e32 v6, 0
	v_mov_b32_e32 v2, 0
	;; [unrolled: 1-line block ×5, first 2 shown]
	s_and_saveexec_b64 s[0:1], vcc
	s_cbranch_execz .LBB687_35
; %bb.34:
	v_mad_i64_i32 v[2:3], s[2:3], s19, v20, 0
	v_lshl_add_u64 v[2:3], v[2:3], 1, s[4:5]
	v_lshlrev_b32_e32 v4, 1, v18
	v_mov_b32_e32 v5, 0
	v_lshl_add_u64 v[2:3], v[2:3], 0, v[4:5]
	global_load_dwordx4 v[2:5], v[2:3], off
.LBB687_35:
	s_or_b64 exec, exec, s[0:1]
	v_or_b32_e32 v21, 1, v20
	v_cmp_gt_i32_e64 s[0:1], s43, v21
	v_mov_b32_e32 v7, 0
	v_mov_b32_e32 v8, 0
	;; [unrolled: 1-line block ×3, first 2 shown]
	s_and_saveexec_b64 s[2:3], s[0:1]
	s_cbranch_execz .LBB687_37
; %bb.36:
	v_mad_i64_i32 v[6:7], s[16:17], s19, v21, 0
	v_lshl_add_u64 v[6:7], v[6:7], 1, s[4:5]
	v_lshlrev_b32_e32 v8, 1, v18
	v_mov_b32_e32 v9, 0
	v_lshl_add_u64 v[6:7], v[6:7], 0, v[8:9]
	global_load_dwordx4 v[6:9], v[6:7], off
.LBB687_37:
	s_or_b64 exec, exec, s[2:3]
	v_mov_b32_e32 v17, 0
	v_mov_b32_e32 v10, 0
	;; [unrolled: 1-line block ×5, first 2 shown]
	s_and_saveexec_b64 s[2:3], vcc
	s_cbranch_execz .LBB687_39
; %bb.38:
	v_mad_i64_i32 v[10:11], s[16:17], s19, v20, 0
	v_lshl_add_u64 v[10:11], v[10:11], 1, s[4:5]
	v_lshlrev_b32_e32 v12, 1, v18
	v_mov_b32_e32 v13, 0
	v_lshl_add_u64 v[10:11], v[10:11], 0, v[12:13]
	global_load_dwordx4 v[10:13], v[10:11], off offset:128
.LBB687_39:
	s_or_b64 exec, exec, s[2:3]
	v_mov_b32_e32 v16, 0
	v_mov_b32_e32 v15, 0
	;; [unrolled: 1-line block ×3, first 2 shown]
	s_and_saveexec_b64 s[2:3], s[0:1]
	s_cbranch_execz .LBB687_41
; %bb.40:
	v_mad_i64_i32 v[14:15], s[0:1], s19, v21, 0
	v_lshl_add_u64 v[14:15], v[14:15], 1, s[4:5]
	v_lshlrev_b32_e32 v16, 1, v18
	v_mov_b32_e32 v17, 0
	v_lshl_add_u64 v[14:15], v[14:15], 0, v[16:17]
	global_load_dwordx4 v[14:17], v[14:15], off offset:128
.LBB687_41:
	s_or_b64 exec, exec, s[2:3]
	s_branch .LBB687_45
.LBB687_42:
                                        ; implicit-def: $vgpr5
                                        ; implicit-def: $vgpr9
                                        ; implicit-def: $vgpr13
                                        ; implicit-def: $vgpr17
	v_lshrrev_b32_e32 v37, 2, v43
	s_branch .LBB687_46
.LBB687_43:
                                        ; implicit-def: $vgpr5
                                        ; implicit-def: $vgpr9
                                        ; implicit-def: $vgpr13
                                        ; implicit-def: $vgpr17
	s_cbranch_execz .LBB687_45
; %bb.44:
	s_waitcnt vmcnt(0)
	v_mad_u64_u32 v[2:3], s[0:1], v20, s19, v[18:19]
	v_lshlrev_b32_e32 v20, 1, v2
	s_lshl_b32 s2, s19, 7
	s_and_b32 s1, s5, 0xffff
	s_mov_b32 s3, 0x20000
	s_mov_b32 s0, s4
	v_add_lshl_u32 v21, v2, s19, 1
	s_movk_i32 s13, 0x80
	buffer_load_dwordx4 v[2:5], v20, s[0:3], 0 offen
	buffer_load_dwordx4 v[10:13], v20, s[0:3], s13 offen
	;; [unrolled: 1-line block ×4, first 2 shown]
.LBB687_45:
	v_lshrrev_b32_e32 v37, 2, v43
	s_cbranch_execnz .LBB687_58
.LBB687_46:
	s_and_b64 vcc, exec, s[6:7]
	s_cbranch_vccz .LBB687_56
; %bb.47:
	s_waitcnt vmcnt(0)
	v_lshlrev_b32_e32 v7, 1, v35
	v_cmp_gt_i32_e32 vcc, s43, v7
	v_mov_b32_e32 v6, 0
	v_lshlrev_b32_e32 v14, 9, v35
	v_mov_b32_e32 v2, 0
	v_mov_b32_e32 v3, 0
	;; [unrolled: 1-line block ×4, first 2 shown]
	s_and_saveexec_b64 s[0:1], vcc
	s_cbranch_execz .LBB687_49
; %bb.48:
	v_mov_b32_e32 v15, 0
	v_lshl_add_u64 v[2:3], s[4:5], 0, v[14:15]
	v_lshlrev_b32_e32 v4, 1, v18
	v_mov_b32_e32 v5, v15
	v_lshl_add_u64 v[2:3], v[2:3], 0, v[4:5]
	global_load_dwordx4 v[2:5], v[2:3], off
.LBB687_49:
	s_or_b64 exec, exec, s[0:1]
	v_or_b32_e32 v7, 1, v7
	v_cmp_gt_i32_e64 s[0:1], s43, v7
	v_lshlrev_b32_e32 v20, 8, v7
	v_mov_b32_e32 v7, 0
	v_mov_b32_e32 v8, 0
	;; [unrolled: 1-line block ×3, first 2 shown]
	s_and_saveexec_b64 s[2:3], s[0:1]
	s_cbranch_execz .LBB687_51
; %bb.50:
	v_mov_b32_e32 v21, 0
	v_lshl_add_u64 v[6:7], s[4:5], 0, v[20:21]
	v_lshlrev_b32_e32 v8, 1, v18
	v_mov_b32_e32 v9, v21
	v_lshl_add_u64 v[6:7], v[6:7], 0, v[8:9]
	global_load_dwordx4 v[6:9], v[6:7], off
.LBB687_51:
	s_or_b64 exec, exec, s[2:3]
	v_mov_b32_e32 v17, 0
	v_mov_b32_e32 v10, 0
	;; [unrolled: 1-line block ×5, first 2 shown]
	s_and_saveexec_b64 s[2:3], vcc
	s_cbranch_execz .LBB687_53
; %bb.52:
	v_mov_b32_e32 v15, 0
	v_lshl_add_u64 v[10:11], s[4:5], 0, v[14:15]
	v_lshlrev_b32_e32 v14, 1, v18
	v_lshl_add_u64 v[10:11], v[10:11], 0, v[14:15]
	global_load_dwordx4 v[10:13], v[10:11], off offset:128
.LBB687_53:
	s_or_b64 exec, exec, s[2:3]
	v_mov_b32_e32 v16, 0
	v_mov_b32_e32 v15, 0
	;; [unrolled: 1-line block ×3, first 2 shown]
	s_and_saveexec_b64 s[2:3], s[0:1]
	s_cbranch_execz .LBB687_55
; %bb.54:
	v_mov_b32_e32 v21, 0
	v_lshl_add_u64 v[14:15], s[4:5], 0, v[20:21]
	v_lshlrev_b32_e32 v20, 1, v18
	v_lshl_add_u64 v[14:15], v[14:15], 0, v[20:21]
	global_load_dwordx4 v[14:17], v[14:15], off offset:128
.LBB687_55:
	s_or_b64 exec, exec, s[2:3]
	s_branch .LBB687_58
.LBB687_56:
                                        ; implicit-def: $vgpr5
                                        ; implicit-def: $vgpr9
                                        ; implicit-def: $vgpr13
                                        ; implicit-def: $vgpr17
	s_cbranch_execz .LBB687_58
; %bb.57:
	s_waitcnt vmcnt(0)
	v_lshlrev_b32_e32 v2, 1, v18
	v_lshl_or_b32 v18, v35, 9, v2
	s_and_b32 s5, s5, 0xffff
	s_mov_b32 s7, 0x20000
	s_movk_i32 s6, 0x4000
	s_movk_i32 s0, 0x80
	buffer_load_dwordx4 v[2:5], v18, s[4:7], 0 offen
	buffer_load_dwordx4 v[6:9], v18, s[4:7], 0 offen offset:256
	buffer_load_dwordx4 v[10:13], v18, s[4:7], s0 offen
	buffer_load_dwordx4 v[14:17], v18, s[4:7], s0 offen offset:256
.LBB687_58:
	ds_read2st64_b64 v[22:25], v19 offset0:76 offset1:77
	ds_read2st64_b64 v[18:21], v19 offset0:78 offset1:79
	ds_read_b64 v[32:33], v26 offset:24576
	ds_read_b64 v[30:31], v27 offset:24576
	;; [unrolled: 1-line block ×4, first 2 shown]
	v_and_b32_e32 v36, 6, v0
	v_xor_b32_e32 v35, v35, v36
	v_lshlrev_b32_e32 v35, 2, v35
	v_and_b32_e32 v0, 1, v0
	v_xor_b32_e32 v38, 0x440, v35
	v_cmp_eq_u32_e32 vcc, 0, v0
	s_mov_b32 s0, 0x1000504
	s_mov_b32 s1, 0x3020706
	v_cndmask_b32_e32 v0, v38, v35, vcc
	v_lshl_or_b32 v0, v36, 10, v0
	s_waitcnt vmcnt(0)
	v_perm_b32 v35, v2, v6, s0
	v_perm_b32 v36, v10, v14, s0
	ds_write2st64_b32 v0, v35, v36 offset1:32
	v_xor_b32_e32 v35, 8, v0
	v_perm_b32 v2, v2, v6, s1
	v_perm_b32 v6, v10, v14, s1
	v_add_u32_e32 v10, 0x80, v35
	ds_write2st64_b32 v10, v2, v6 offset1:32
	v_xor_b32_e32 v2, 16, v0
	v_perm_b32 v6, v3, v7, s0
	v_perm_b32 v10, v11, v15, s0
	ds_write2st64_b32 v2, v6, v10 offset0:1 offset1:33
	v_xor_b32_e32 v2, 24, v0
	v_perm_b32 v3, v3, v7, s1
	v_perm_b32 v6, v11, v15, s1
	v_add_u32_e32 v2, 0x80, v2
	ds_write2st64_b32 v2, v3, v6 offset0:1 offset1:33
	v_xor_b32_e32 v2, 32, v0
	v_perm_b32 v3, v4, v8, s0
	v_perm_b32 v6, v12, v16, s0
	ds_write2st64_b32 v2, v3, v6 offset0:2 offset1:34
	v_xor_b32_e32 v2, 40, v0
	v_perm_b32 v3, v4, v8, s1
	v_perm_b32 v4, v12, v16, s1
	v_add_u32_e32 v2, 0x80, v2
	ds_write2st64_b32 v2, v3, v4 offset0:2 offset1:34
	v_xor_b32_e32 v2, 48, v0
	v_perm_b32 v3, v5, v9, s0
	v_perm_b32 v4, v13, v17, s0
	v_xor_b32_e32 v0, 56, v0
	v_and_or_b32 v8, v37, 12, v42
	ds_write2st64_b32 v2, v3, v4 offset0:3 offset1:35
	v_perm_b32 v2, v5, v9, s1
	v_perm_b32 v3, v13, v17, s1
	v_add_u32_e32 v0, 0x80, v0
	v_cmp_gt_i32_e64 s[2:3], s43, v8
	v_mov_b32_e32 v10, 0
	v_mov_b32_e32 v15, 0
	ds_write2st64_b32 v0, v2, v3 offset0:3 offset1:35
	s_and_saveexec_b64 s[0:1], s[2:3]
	s_cbranch_execz .LBB687_60
; %bb.59:
	v_add_u32_e32 v0, s42, v8
	v_ashrrev_i32_e32 v2, 31, v0
	v_mul_lo_u32 v4, v2, s34
	v_mul_lo_u32 v5, v0, s35
	v_mad_u64_u32 v[2:3], s[4:5], v0, s34, 0
	v_add3_u32 v3, v3, v5, v4
	v_lshl_add_u64 v[2:3], v[2:3], 2, s[10:11]
	global_load_dword v0, v[2:3], off
	s_waitcnt vmcnt(0)
	v_sub_f32_e32 v0, s12, v0
	v_exp_f32_e32 v15, v0
.LBB687_60:
	s_or_b64 exec, exec, s[0:1]
	v_or_b32_e32 v13, 1, v8
	v_cmp_gt_i32_e64 s[4:5], s43, v13
	s_and_saveexec_b64 s[0:1], s[4:5]
	s_cbranch_execz .LBB687_62
; %bb.61:
	v_add_u32_e32 v0, s42, v13
	v_ashrrev_i32_e32 v2, 31, v0
	v_mul_lo_u32 v4, v2, s34
	v_mul_lo_u32 v5, v0, s35
	v_mad_u64_u32 v[2:3], s[6:7], v0, s34, 0
	v_add3_u32 v3, v3, v5, v4
	v_lshl_add_u64 v[2:3], v[2:3], 2, s[10:11]
	global_load_dword v0, v[2:3], off
	s_waitcnt vmcnt(0)
	v_sub_f32_e32 v0, s12, v0
	v_exp_f32_e32 v10, v0
.LBB687_62:
	s_or_b64 exec, exec, s[0:1]
	v_or_b32_e32 v11, 2, v8
	v_cmp_gt_i32_e32 vcc, s43, v11
	v_mov_b32_e32 v9, 0
	v_mov_b32_e32 v14, 0
	s_and_saveexec_b64 s[0:1], vcc
	s_cbranch_execz .LBB687_64
; %bb.63:
	v_add_u32_e32 v0, s42, v11
	v_ashrrev_i32_e32 v2, 31, v0
	v_mul_lo_u32 v4, v2, s34
	v_mul_lo_u32 v5, v0, s35
	v_mad_u64_u32 v[2:3], s[6:7], v0, s34, 0
	v_add3_u32 v3, v3, v5, v4
	v_lshl_add_u64 v[2:3], v[2:3], 2, s[10:11]
	global_load_dword v0, v[2:3], off
	s_waitcnt vmcnt(0)
	v_sub_f32_e32 v0, s12, v0
	v_exp_f32_e32 v14, v0
.LBB687_64:
	s_or_b64 exec, exec, s[0:1]
	v_or_b32_e32 v12, 3, v8
	v_cmp_gt_i32_e64 s[0:1], s43, v12
	s_and_saveexec_b64 s[6:7], s[0:1]
	s_cbranch_execz .LBB687_66
; %bb.65:
	v_add_u32_e32 v0, s42, v12
	v_ashrrev_i32_e32 v2, 31, v0
	v_mul_lo_u32 v4, v2, s34
	v_mul_lo_u32 v5, v0, s35
	v_mad_u64_u32 v[2:3], s[16:17], v0, s34, 0
	v_add3_u32 v3, v3, v5, v4
	v_lshl_add_u64 v[2:3], v[2:3], 2, s[10:11]
	global_load_dword v0, v[2:3], off
	s_waitcnt vmcnt(0)
	v_sub_f32_e32 v0, s12, v0
	v_exp_f32_e32 v9, v0
.LBB687_66:
	s_or_b64 exec, exec, s[6:7]
	s_waitcnt lgkmcnt(11)
	v_mfma_f32_16x16x16_bf16 a[0:3], v[32:33], v[22:23], a[0:3]
	v_or_b32_e32 v0, s36, v1
	s_add_u32 s6, s8, s28
	v_ashrrev_i32_e32 v1, 31, v0
	s_waitcnt lgkmcnt(10)
	v_mfma_f32_16x16x16_bf16 a[0:3], v[30:31], v[24:25], a[0:3]
	s_addc_u32 s7, s9, s29
	v_lshlrev_b64 v[0:1], 1, v[0:1]
	v_lshl_add_u64 v[4:5], s[6:7], 0, v[0:1]
	s_waitcnt lgkmcnt(9)
	v_mfma_f32_16x16x16_bf16 a[0:3], v[28:29], v[18:19], a[0:3]
	s_add_u32 s6, s14, s28
	s_addc_u32 s7, s15, s29
	v_lshl_add_u64 v[6:7], s[6:7], 0, v[0:1]
	s_waitcnt lgkmcnt(8)
	v_mfma_f32_16x16x16_bf16 a[0:3], v[26:27], v[20:21], a[0:3]
	v_mov_b32_e32 v16, 0
	v_mov_b32_e32 v17, 0
	s_nop 4
	v_accvgpr_read_b32 v0, a0
	v_accvgpr_read_b32 v1, a1
	;; [unrolled: 1-line block ×4, first 2 shown]
	s_and_saveexec_b64 s[6:7], s[2:3]
	s_cbranch_execz .LBB687_68
; %bb.67:
	v_lshlrev_b32_e32 v18, 8, v8
	v_mov_b32_e32 v19, 0
	v_lshl_add_u64 v[20:21], v[4:5], 0, v[18:19]
	global_load_ushort v17, v[20:21], off
	v_lshl_add_u64 v[18:19], v[6:7], 0, v[18:19]
	s_waitcnt vmcnt(0)
	v_lshlrev_b32_e32 v17, 16, v17
	v_sub_f32_e32 v0, v17, v0
	global_store_short_d16_hi v[18:19], v0, off
	v_mul_f32_e32 v0, v15, v0
	v_lshrrev_b32_e32 v17, 16, v0
.LBB687_68:
	s_or_b64 exec, exec, s[6:7]
	s_and_saveexec_b64 s[2:3], s[4:5]
	s_cbranch_execz .LBB687_70
; %bb.69:
	v_lshlrev_b32_e32 v18, 8, v13
	v_mov_b32_e32 v19, 0
	v_lshl_add_u64 v[20:21], v[4:5], 0, v[18:19]
	global_load_ushort v0, v[20:21], off
	v_lshl_add_u64 v[18:19], v[6:7], 0, v[18:19]
	s_waitcnt vmcnt(0)
	v_lshlrev_b32_e32 v0, 16, v0
	v_sub_f32_e32 v0, v0, v1
	global_store_short_d16_hi v[18:19], v0, off
	v_mul_f32_e32 v0, v10, v0
	v_lshrrev_b32_e32 v16, 16, v0
.LBB687_70:
	s_or_b64 exec, exec, s[2:3]
	v_mov_b32_e32 v0, 0
	v_mov_b32_e32 v1, 0
	s_and_saveexec_b64 s[2:3], vcc
	s_cbranch_execz .LBB687_72
; %bb.71:
	v_lshlrev_b32_e32 v10, 8, v11
	v_mov_b32_e32 v11, 0
	v_lshl_add_u64 v[18:19], v[4:5], 0, v[10:11]
	global_load_ushort v1, v[18:19], off
	v_lshl_add_u64 v[10:11], v[6:7], 0, v[10:11]
	s_waitcnt vmcnt(0)
	v_lshlrev_b32_e32 v1, 16, v1
	v_sub_f32_e32 v1, v1, v2
	global_store_short_d16_hi v[10:11], v1, off
	v_mul_f32_e32 v1, v14, v1
	v_lshrrev_b32_e32 v1, 16, v1
.LBB687_72:
	s_or_b64 exec, exec, s[2:3]
	s_and_saveexec_b64 s[2:3], s[0:1]
	s_cbranch_execz .LBB687_74
; %bb.73:
	v_lshlrev_b32_e32 v10, 8, v12
	v_mov_b32_e32 v11, 0
	v_lshl_add_u64 v[4:5], v[4:5], 0, v[10:11]
	global_load_ushort v0, v[4:5], off
	v_lshl_add_u64 v[4:5], v[6:7], 0, v[10:11]
	s_waitcnt vmcnt(0)
	v_lshlrev_b32_e32 v0, 16, v0
	v_sub_f32_e32 v0, v0, v3
	global_store_short_d16_hi v[4:5], v0, off
	v_mul_f32_e32 v0, v9, v0
	v_lshrrev_b32_e32 v0, 16, v0
.LBB687_74:
	s_or_b64 exec, exec, s[2:3]
	s_mov_b32 s0, 0x5040100
	v_lshlrev_b32_e32 v2, 1, v34
	v_perm_b32 v1, v0, v1, s0
	v_perm_b32 v0, v16, v17, s0
	v_lshl_or_b32 v2, v8, 5, v2
	ds_write_b64 v2, v[0:1] offset:38912
	s_waitcnt lgkmcnt(0)
	s_barrier
.LBB687_75:
	s_endpgm
	.section	.rodata,"a",@progbits
	.p2align	6, 0x0
	.amdhsa_kernel _ZN12_GLOBAL__N_139chunk_gated_delta_rule_fwd_h_hip_kernelILi16ELb0ELb0ELb1ELb0ELb1ELb0ELb1ELb0EEEvPK12hip_bfloat16S3_S3_PKfS5_PKvPS1_S8_PvPKiSB_iiiiilll
		.amdhsa_group_segment_fixed_size 40960
		.amdhsa_private_segment_fixed_size 0
		.amdhsa_kernarg_size 136
		.amdhsa_user_sgpr_count 2
		.amdhsa_user_sgpr_dispatch_ptr 0
		.amdhsa_user_sgpr_queue_ptr 0
		.amdhsa_user_sgpr_kernarg_segment_ptr 1
		.amdhsa_user_sgpr_dispatch_id 0
		.amdhsa_user_sgpr_kernarg_preload_length 0
		.amdhsa_user_sgpr_kernarg_preload_offset 0
		.amdhsa_user_sgpr_private_segment_size 0
		.amdhsa_uses_dynamic_stack 0
		.amdhsa_enable_private_segment 0
		.amdhsa_system_sgpr_workgroup_id_x 1
		.amdhsa_system_sgpr_workgroup_id_y 1
		.amdhsa_system_sgpr_workgroup_id_z 0
		.amdhsa_system_sgpr_workgroup_info 0
		.amdhsa_system_vgpr_workitem_id 0
		.amdhsa_next_free_vgpr 116
		.amdhsa_next_free_sgpr 66
		.amdhsa_accum_offset 108
		.amdhsa_reserve_vcc 1
		.amdhsa_float_round_mode_32 0
		.amdhsa_float_round_mode_16_64 0
		.amdhsa_float_denorm_mode_32 3
		.amdhsa_float_denorm_mode_16_64 3
		.amdhsa_dx10_clamp 1
		.amdhsa_ieee_mode 1
		.amdhsa_fp16_overflow 0
		.amdhsa_tg_split 0
		.amdhsa_exception_fp_ieee_invalid_op 0
		.amdhsa_exception_fp_denorm_src 0
		.amdhsa_exception_fp_ieee_div_zero 0
		.amdhsa_exception_fp_ieee_overflow 0
		.amdhsa_exception_fp_ieee_underflow 0
		.amdhsa_exception_fp_ieee_inexact 0
		.amdhsa_exception_int_div_zero 0
	.end_amdhsa_kernel
	.section	.text._ZN12_GLOBAL__N_139chunk_gated_delta_rule_fwd_h_hip_kernelILi16ELb0ELb0ELb1ELb0ELb1ELb0ELb1ELb0EEEvPK12hip_bfloat16S3_S3_PKfS5_PKvPS1_S8_PvPKiSB_iiiiilll,"axG",@progbits,_ZN12_GLOBAL__N_139chunk_gated_delta_rule_fwd_h_hip_kernelILi16ELb0ELb0ELb1ELb0ELb1ELb0ELb1ELb0EEEvPK12hip_bfloat16S3_S3_PKfS5_PKvPS1_S8_PvPKiSB_iiiiilll,comdat
.Lfunc_end687:
	.size	_ZN12_GLOBAL__N_139chunk_gated_delta_rule_fwd_h_hip_kernelILi16ELb0ELb0ELb1ELb0ELb1ELb0ELb1ELb0EEEvPK12hip_bfloat16S3_S3_PKfS5_PKvPS1_S8_PvPKiSB_iiiiilll, .Lfunc_end687-_ZN12_GLOBAL__N_139chunk_gated_delta_rule_fwd_h_hip_kernelILi16ELb0ELb0ELb1ELb0ELb1ELb0ELb1ELb0EEEvPK12hip_bfloat16S3_S3_PKfS5_PKvPS1_S8_PvPKiSB_iiiiilll
                                        ; -- End function
	.section	.AMDGPU.csdata,"",@progbits
; Kernel info:
; codeLenInByte = 7300
; NumSgprs: 72
; NumVgprs: 108
; NumAgprs: 8
; TotalNumVgprs: 116
; ScratchSize: 0
; MemoryBound: 0
; FloatMode: 240
; IeeeMode: 1
; LDSByteSize: 40960 bytes/workgroup (compile time only)
; SGPRBlocks: 8
; VGPRBlocks: 14
; NumSGPRsForWavesPerEU: 72
; NumVGPRsForWavesPerEU: 116
; AccumOffset: 108
; Occupancy: 1
; WaveLimiterHint : 1
; COMPUTE_PGM_RSRC2:SCRATCH_EN: 0
; COMPUTE_PGM_RSRC2:USER_SGPR: 2
; COMPUTE_PGM_RSRC2:TRAP_HANDLER: 0
; COMPUTE_PGM_RSRC2:TGID_X_EN: 1
; COMPUTE_PGM_RSRC2:TGID_Y_EN: 1
; COMPUTE_PGM_RSRC2:TGID_Z_EN: 0
; COMPUTE_PGM_RSRC2:TIDIG_COMP_CNT: 0
; COMPUTE_PGM_RSRC3_GFX90A:ACCUM_OFFSET: 26
; COMPUTE_PGM_RSRC3_GFX90A:TG_SPLIT: 0
	.section	.text._ZN12_GLOBAL__N_139chunk_gated_delta_rule_fwd_h_hip_kernelILi16ELb0ELb0ELb0ELb0ELb1ELb0ELb1ELb0EEEvPK12hip_bfloat16S3_S3_PKfS5_PKvPS1_S8_PvPKiSB_iiiiilll,"axG",@progbits,_ZN12_GLOBAL__N_139chunk_gated_delta_rule_fwd_h_hip_kernelILi16ELb0ELb0ELb0ELb0ELb1ELb0ELb1ELb0EEEvPK12hip_bfloat16S3_S3_PKfS5_PKvPS1_S8_PvPKiSB_iiiiilll,comdat
	.globl	_ZN12_GLOBAL__N_139chunk_gated_delta_rule_fwd_h_hip_kernelILi16ELb0ELb0ELb0ELb0ELb1ELb0ELb1ELb0EEEvPK12hip_bfloat16S3_S3_PKfS5_PKvPS1_S8_PvPKiSB_iiiiilll ; -- Begin function _ZN12_GLOBAL__N_139chunk_gated_delta_rule_fwd_h_hip_kernelILi16ELb0ELb0ELb0ELb0ELb1ELb0ELb1ELb0EEEvPK12hip_bfloat16S3_S3_PKfS5_PKvPS1_S8_PvPKiSB_iiiiilll
	.p2align	8
	.type	_ZN12_GLOBAL__N_139chunk_gated_delta_rule_fwd_h_hip_kernelILi16ELb0ELb0ELb0ELb0ELb1ELb0ELb1ELb0EEEvPK12hip_bfloat16S3_S3_PKfS5_PKvPS1_S8_PvPKiSB_iiiiilll,@function
_ZN12_GLOBAL__N_139chunk_gated_delta_rule_fwd_h_hip_kernelILi16ELb0ELb0ELb0ELb0ELb1ELb0ELb1ELb0EEEvPK12hip_bfloat16S3_S3_PKfS5_PKvPS1_S8_PvPKiSB_iiiiilll: ; @_ZN12_GLOBAL__N_139chunk_gated_delta_rule_fwd_h_hip_kernelILi16ELb0ELb0ELb0ELb0ELb1ELb0ELb1ELb0EEEvPK12hip_bfloat16S3_S3_PKfS5_PKvPS1_S8_PvPKiSB_iiiiilll
; %bb.0:
	s_load_dwordx4 s[12:15], s[0:1], 0x5c
	s_load_dwordx2 s[36:37], s[0:1], 0x30
	s_abs_i32 s18, s3
	s_ashr_i32 s17, s3, 31
	s_load_dwordx8 s[4:11], s[0:1], 0x0
	s_waitcnt lgkmcnt(0)
	s_abs_i32 s16, s13
	v_cvt_f32_u32_e32 v1, s16
	s_sub_i32 s20, 0, s16
	s_ashr_i32 s19, s13, 31
	s_xor_b32 s17, s17, s19
	v_rcp_iflag_f32_e32 v1, v1
	v_lshrrev_b32_e32 v42, 6, v0
	v_bfe_u32 v43, v0, 4, 2
	v_lshlrev_b32_e32 v40, 4, v42
	v_mul_f32_e32 v1, 0x4f7ffffe, v1
	v_cvt_u32_f32_e32 v1, v1
	v_lshlrev_b32_e32 v2, 2, v43
	v_and_b32_e32 v41, 63, v0
	v_or_b32_e32 v46, v2, v40
	v_readfirstlane_b32 s21, v1
	s_mul_i32 s20, s20, s21
	s_mul_hi_u32 s20, s21, s20
	s_add_i32 s21, s21, s20
	s_mul_hi_u32 s20, s18, s21
	s_mul_i32 s21, s20, s16
	s_sub_i32 s18, s18, s21
	s_add_i32 s22, s20, 1
	s_sub_i32 s21, s18, s16
	s_cmp_ge_u32 s18, s16
	s_cselect_b32 s20, s22, s20
	s_cselect_b32 s18, s21, s18
	s_add_i32 s21, s20, 1
	s_cmp_ge_u32 s18, s16
	s_cselect_b32 s18, s21, s20
	s_xor_b32 s18, s18, s17
	s_sub_i32 s45, s18, s17
	s_abs_i32 s17, s14
	v_cvt_f32_u32_e32 v1, s17
	s_add_i32 s20, s12, 63
	s_mul_i32 s43, s45, s13
	s_sub_i32 s33, s3, s43
	v_rcp_iflag_f32_e32 v1, v1
	s_ashr_i32 s3, s20, 31
	s_ashr_i32 s44, s12, 31
	s_lshr_b32 s3, s3, 26
	v_mul_f32_e32 v1, 0x4f7ffffe, v1
	v_cvt_u32_f32_e32 v1, v1
	s_lshr_b32 s18, s44, 26
	s_add_i32 s20, s20, s3
	s_add_i32 s18, s12, s18
	s_ashr_i32 s47, s14, 31
	s_ashr_i32 s3, s20, 6
	;; [unrolled: 1-line block ×3, first 2 shown]
	s_xor_b32 s18, s19, s47
	s_sub_i32 s19, 0, s17
	v_readfirstlane_b32 s20, v1
	s_mul_i32 s19, s19, s20
	s_mul_hi_u32 s19, s20, s19
	s_add_i32 s20, s20, s19
	s_mul_hi_u32 s19, s16, s20
	s_mul_i32 s20, s19, s17
	s_sub_i32 s16, s16, s20
	s_add_i32 s20, s19, 1
	s_sub_i32 s21, s16, s17
	s_cmp_ge_u32 s16, s17
	s_cselect_b32 s19, s20, s19
	s_cselect_b32 s16, s21, s16
	s_add_i32 s20, s19, 1
	s_cmp_ge_u32 s16, s17
	s_cselect_b32 s16, s20, s19
	s_xor_b32 s16, s16, s18
	s_sub_i32 s20, s16, s18
	s_abs_i32 s21, s20
	v_cvt_f32_u32_e32 v1, s21
	s_load_dwordx2 s[28:29], s[0:1], 0x80
	s_load_dwordx4 s[16:19], s[0:1], 0x70
	s_xor_b32 s0, s33, s20
	s_sub_i32 s20, 0, s21
	v_rcp_iflag_f32_e32 v1, v1
	s_abs_i32 s1, s33
	s_ashr_i32 s0, s0, 31
	s_mul_i32 s48, s45, s3
	v_mul_f32_e32 v1, 0x4f7ffffe, v1
	v_cvt_u32_f32_e32 v1, v1
	v_or_b32_e32 v47, 64, v46
	v_mov_b32_e32 v3, 0
	s_mul_hi_i32 s49, s45, s13
	v_readfirstlane_b32 s22, v1
	s_mul_i32 s20, s20, s22
	s_mul_hi_u32 s20, s22, s20
	s_add_i32 s22, s22, s20
	s_mul_hi_u32 s20, s1, s22
	s_mul_i32 s22, s20, s21
	s_sub_i32 s1, s1, s22
	s_add_i32 s22, s20, 1
	s_sub_i32 s23, s1, s21
	s_cmp_ge_u32 s1, s21
	s_cselect_b32 s20, s22, s20
	s_cselect_b32 s1, s23, s1
	s_add_i32 s22, s20, 1
	s_cmp_ge_u32 s1, s21
	s_cselect_b32 s1, s22, s20
	s_xor_b32 s1, s1, s0
	s_sub_i32 s50, s1, s0
	s_lshl_b32 s30, s2, 4
	v_and_b32_e32 v1, 15, v0
	s_cmp_lt_i32 s12, 64
	v_lshrrev_b32_e32 v45, 3, v41
	v_lshlrev_b32_e32 v44, 3, v0
	s_waitcnt lgkmcnt(0)
	s_mul_i32 s17, s45, s17
	s_mul_hi_u32 s42, s45, s16
	s_mul_i32 s34, s45, s16
	v_mov_b32_e32 v59, 0
	v_mov_b32_e32 v34, 0
	;; [unrolled: 1-line block ×7, first 2 shown]
	s_cbranch_scc1 .LBB688_18
; %bb.1:
	s_ashr_i32 s24, s45, 31
	s_ashr_i32 s52, s33, 31
	s_add_u32 s0, s43, s33
	s_addc_u32 s1, s49, s52
	s_mul_i32 s1, s12, s1
	s_mul_hi_u32 s2, s12, s0
	s_add_i32 s3, s2, s1
	s_mul_i32 s2, s12, s0
	s_lshl_b64 s[0:1], s[2:3], 8
	v_and_b32_e32 v49, 56, v44
	s_add_u32 s20, s6, s0
	v_lshl_or_b32 v48, v42, 3, v45
	v_lshlrev_b32_e32 v3, 1, v49
	s_addc_u32 s0, s7, s1
	v_lshl_or_b32 v50, v48, 8, v3
	s_and_b32 s21, s0, 0xffff
	s_mov_b32 s23, 0x20000
	s_movk_i32 s22, 0x4000
	s_movk_i32 s0, 0x80
	v_or_b32_e32 v51, 0x2000, v50
	buffer_load_dwordx4 v[4:7], v50, s[20:23], 0 offen
	buffer_load_dwordx4 v[8:11], v50, s[20:23], s0 offen
	;; [unrolled: 1-line block ×4, first 2 shown]
	v_lshlrev_b32_e32 v20, 3, v48
	v_and_or_b32 v22, v0, 7, v20
	v_and_b32_e32 v20, 0x78, v20
	v_lshlrev_b32_e32 v22, 4, v22
	v_xor_b32_e32 v52, v22, v20
	v_mul_lo_u32 v21, v48, s15
	v_or_b32_e32 v53, 0x1000, v52
	s_cmpk_eq_i32 s15, 0x80
	s_mov_b32 s51, s14
	v_xor_b32_e32 v20, 8, v52
	v_xor_b32_e32 v22, 8, v53
	s_cselect_b64 s[0:1], -1, 0
	s_cmpk_lg_i32 s15, 0x80
	s_waitcnt vmcnt(3)
	ds_write_b64 v52, v[4:5] offset:16384
	ds_write_b64 v20, v[6:7] offset:16384
	s_waitcnt vmcnt(2)
	ds_write_b64 v52, v[8:9] offset:24576
	ds_write_b64 v20, v[10:11] offset:24576
	;; [unrolled: 3-line block ×4, first 2 shown]
	v_lshl_add_u32 v4, v21, 1, v49
	s_cbranch_scc0 .LBB688_3
; %bb.2:
	v_lshlrev_b32_e32 v6, 1, v4
	v_add_lshl_u32 v5, v4, s15, 1
	s_lshl_b32 s22, s15, 7
	v_lshl_or_b32 v3, v48, 9, v3
	s_cbranch_execz .LBB688_4
	s_branch .LBB688_5
.LBB688_3:
                                        ; implicit-def: $vgpr5
                                        ; implicit-def: $vgpr6
                                        ; implicit-def: $sgpr22
	v_lshl_or_b32 v3, v48, 9, v3
.LBB688_4:
	v_or_b32_e32 v5, 0x100, v3
	s_movk_i32 s22, 0x4000
	v_mov_b32_e32 v6, v3
.LBB688_5:
	s_mul_hi_u32 s20, s14, s12
	s_mul_i32 s21, s47, s12
	s_add_i32 s20, s20, s21
	s_mul_i32 s21, s14, s12
	s_mul_i32 s23, s21, s24
	s_mul_hi_u32 s25, s21, s45
	s_add_i32 s23, s25, s23
	s_mul_i32 s20, s20, s45
	s_add_i32 s23, s23, s20
	s_mul_i32 s21, s21, s45
	s_ashr_i32 s53, s50, 31
	s_add_u32 s20, s21, s50
	s_addc_u32 s21, s23, s53
	s_lshl_b64 s[20:21], s[20:21], 8
	s_add_u32 s20, s4, s20
	s_addc_u32 s21, s5, s21
	s_and_b32 s21, s21, 0xffff
	s_mov_b32 s23, 0x20000
	s_movk_i32 s54, 0x80
	buffer_load_dwordx4 v[8:11], v6, s[20:23], 0 offen
	buffer_load_dwordx4 v[12:15], v6, s[20:23], s54 offen
	;; [unrolled: 1-line block ×4, first 2 shown]
	v_and_b32_e32 v5, 6, v0
	s_mul_i32 s20, s24, s12
	s_mul_hi_u32 s21, s45, s12
	v_lshlrev_b32_e32 v7, 2, v1
	v_lshlrev_b32_e32 v24, 3, v1
	v_xor_b32_e32 v26, v48, v5
	v_and_b32_e32 v6, 1, v0
	s_mul_i32 s24, s24, s16
	v_lshl_or_b32 v24, v46, 5, v24
	v_xor_b32_e32 v27, v46, v7
	v_lshlrev_b32_e32 v26, 2, v26
	s_add_i32 s59, s21, s20
	s_add_i32 s20, s42, s17
	v_or_b32_e32 v54, 0x9000, v24
	v_or_b32_e32 v55, 0x9800, v24
	v_lshlrev_b32_e32 v24, 1, v27
	v_xor_b32_e32 v27, 0x440, v26
	v_cmp_eq_u32_e32 vcc, 0, v6
	s_add_i32 s35, s20, s24
	s_mul_i32 s20, s33, s19
	s_mul_hi_u32 s21, s33, s18
	v_cndmask_b32_e32 v6, v27, v26, vcc
	s_add_i32 s20, s21, s20
	s_mul_i32 s21, s52, s18
	s_mov_b32 s56, 0x1000504
	v_lshlrev_b32_e32 v25, 8, v1
	s_mov_b32 s22, 0x8000
	v_xor_b32_e32 v7, v47, v7
	v_lshl_or_b32 v5, v5, 10, v6
	s_add_i32 s21, s20, s21
	s_lshl_b64 s[24:25], s[34:35], 2
	s_mov_b32 s57, 0x3020706
	v_lshlrev_b32_e32 v7, 1, v7
	v_or3_b32 v56, v24, v25, s22
	v_xor_b32_e32 v6, 8, v5
	v_xor_b32_e32 v24, 24, v5
	;; [unrolled: 1-line block ×4, first 2 shown]
	s_mul_i32 s20, s33, s18
	s_add_u32 s24, s10, s24
	v_or3_b32 v57, v7, v25, s22
	v_xor_b32_e32 v7, 16, v5
	v_xor_b32_e32 v25, 32, v5
	;; [unrolled: 1-line block ×3, first 2 shown]
	v_add_u32_e32 v6, 0x80, v6
	v_add_u32_e32 v24, 0x80, v24
	;; [unrolled: 1-line block ×4, first 2 shown]
	s_addc_u32 s25, s11, s25
	s_lshl_b64 s[20:21], s[20:21], 2
	s_add_u32 s38, s24, s20
	s_movk_i32 s20, 0xf8
	s_addc_u32 s39, s25, s21
	s_ashr_i32 s31, s30, 31
	s_lshl_b32 s26, s15, 7
	v_mov_b32_e32 v35, 0
	s_mov_b32 s55, 0
	s_mul_i32 s58, s45, s12
	v_add_u32_e32 v76, v40, v2
	s_mov_b32 s60, 0
	v_mov_b32_e32 v60, v35
	v_mov_b32_e32 v61, v35
	;; [unrolled: 1-line block ×6, first 2 shown]
	s_waitcnt vmcnt(1)
	v_perm_b32 v29, v8, v16, s56
	s_waitcnt vmcnt(0)
	v_perm_b32 v30, v12, v20, s56
	v_perm_b32 v8, v8, v16, s57
	v_perm_b32 v12, v12, v20, s57
	v_perm_b32 v16, v9, v17, s56
	v_perm_b32 v20, v13, v21, s56
	v_perm_b32 v9, v9, v17, s57
	v_perm_b32 v13, v13, v21, s57
	v_perm_b32 v17, v10, v18, s56
	v_perm_b32 v21, v14, v22, s56
	v_perm_b32 v10, v10, v18, s57
	v_perm_b32 v14, v14, v22, s57
	v_perm_b32 v18, v11, v19, s56
	v_perm_b32 v22, v15, v23, s56
	v_perm_b32 v11, v11, v19, s57
	v_perm_b32 v15, v15, v23, s57
	ds_write2st64_b32 v5, v29, v30 offset1:32
	ds_write2st64_b32 v6, v8, v12 offset1:32
	ds_write2st64_b32 v7, v16, v20 offset0:1 offset1:33
	ds_write2st64_b32 v24, v9, v13 offset0:1 offset1:33
	;; [unrolled: 1-line block ×6, first 2 shown]
	v_or_b32_e32 v5, v40, v1
	v_lshlrev_b32_e32 v5, 3, v5
	v_lshrrev_b32_e32 v7, 5, v41
	v_and_or_b32 v7, v5, s20, v7
	v_lshlrev_b32_e32 v7, 4, v7
	v_lshlrev_b32_e32 v8, 11, v42
	v_and_b32_e32 v5, 0x78, v5
	v_or_b32_e32 v12, 32, v7
	v_and_b32_e32 v6, 0x1000, v8
	v_lshrrev_b32_e32 v10, 1, v0
	v_xor_b32_e32 v12, v12, v5
	v_and_b32_e32 v11, 8, v10
	v_or_b32_e32 v12, v12, v6
	v_xor_b32_e32 v9, v7, v5
	v_xor_b32_e32 v64, v12, v11
	v_or_b32_e32 v12, 64, v7
	v_or_b32_e32 v7, 0x60, v7
	;; [unrolled: 1-line block ×3, first 2 shown]
	v_xor_b32_e32 v12, v12, v5
	v_xor_b32_e32 v5, v7, v5
	;; [unrolled: 1-line block ×3, first 2 shown]
	v_and_b32_e32 v9, 0x78, v44
	v_or_b32_e32 v5, v5, v6
	v_lshl_or_b32 v9, v43, 7, v9
	v_or_b32_e32 v12, v12, v6
	v_xor_b32_e32 v66, v5, v11
	v_lshlrev_b32_e32 v5, 1, v1
	v_or_b32_e32 v63, 0x9000, v9
	v_xor_b32_e32 v65, v12, v11
	v_or_b32_e32 v67, 0x9800, v9
	v_lshlrev_b32_e32 v9, 1, v4
	v_add_lshl_u32 v11, v4, s15, 1
	v_lshrrev_b32_e32 v4, 4, v0
	s_lshl_b64 s[20:21], s[30:31], 8
	v_or_b32_e32 v13, 1, v5
	s_add_u32 s20, s36, s20
	v_xor_b32_e32 v5, v4, v5
	v_xor_b32_e32 v13, v13, v4
	s_addc_u32 s21, s37, s21
	v_lshlrev_b32_e32 v5, 3, v5
	v_lshlrev_b32_e32 v34, 8, v4
	;; [unrolled: 1-line block ×3, first 2 shown]
	v_or3_b32 v68, v5, v34, s22
	v_or3_b32 v69, v4, v34, s22
	v_lshl_add_u64 v[4:5], s[20:21], 0, v[34:35]
	v_lshlrev_b32_e32 v34, 4, v1
	s_movk_i32 s20, 0xff
	v_lshlrev_b32_e32 v15, 3, v42
	v_and_b32_e32 v10, 24, v10
	v_lshl_add_u64 v[36:37], v[4:5], 0, v[34:35]
	v_and_b32_e32 v5, 8, v0
	v_cmp_lt_u32_e32 vcc, s20, v0
	v_xor_b32_e32 v16, v15, v10
	v_or_b32_e32 v17, 0x440, v16
	v_cndmask_b32_e64 v14, 0, 1, vcc
	v_cmp_eq_u32_e32 vcc, 0, v5
	v_and_b32_e32 v4, 7, v0
	v_lshlrev_b32_e32 v13, 3, v4
	v_cndmask_b32_e32 v5, v17, v16, vcc
	v_lshlrev_b32_e32 v4, 7, v4
	v_or_b32_e32 v5, v5, v8
	v_xad_u32 v70, v5, v13, v4
	v_or_b32_e32 v5, 32, v10
	v_xor_b32_e32 v5, v15, v5
	v_or_b32_e32 v16, 0x440, v5
	v_cndmask_b32_e32 v5, v16, v5, vcc
	v_or_b32_e32 v5, v5, v8
	v_xad_u32 v71, v5, v13, v4
	v_or_b32_e32 v5, 64, v10
	v_xor_b32_e32 v5, v15, v5
	v_xor_b32_e32 v16, 0x440, v5
	v_cndmask_b32_e32 v5, v16, v5, vcc
	v_or_b32_e32 v5, v5, v8
	v_xad_u32 v72, v5, v13, v4
	v_or_b32_e32 v5, 0x60, v10
	v_xor_b32_e32 v5, v15, v5
	v_xor_b32_e32 v10, 0x440, v5
	v_or_b32_e32 v6, s30, v1
	v_cndmask_b32_e32 v5, v10, v5, vcc
	v_ashrrev_i32_e32 v7, 31, v6
	v_or_b32_e32 v5, v5, v8
	v_lshl_add_u64 v[6:7], v[6:7], 1, s[8:9]
	v_or_b32_e32 v12, 0x100, v3
	v_lshlrev_b32_e32 v14, 13, v14
	v_xad_u32 v73, v5, v13, v4
	v_lshlrev_b32_e32 v34, 8, v46
	v_cndmask_b32_e64 v74, v9, v3, s[0:1]
	v_cndmask_b32_e64 v75, v11, v12, s[0:1]
	v_lshl_add_u64 v[38:39], v[6:7], 0, v[34:35]
	s_mov_b32 s31, 0x7060302
	s_movk_i32 s22, 0x4000
	v_add_u32_e32 v77, v14, v70
	v_add_u32_e32 v78, v14, v71
	;; [unrolled: 1-line block ×4, first 2 shown]
	v_mov_b32_e32 v34, v35
	s_waitcnt lgkmcnt(0)
	s_barrier
.LBB688_6:                              ; =>This Inner Loop Header: Depth=1
	s_add_i32 s35, s60, 1
	s_cmp_lt_i32 s35, s46
	s_mov_b64 s[24:25], 0
	s_cselect_b64 s[40:41], -1, 0
	s_cmp_ge_i32 s35, s46
	s_mov_b64 s[20:21], 0
	s_cbranch_scc1 .LBB688_8
; %bb.7:                                ;   in Loop: Header=BB688_6 Depth=1
	s_add_i32 s0, s55, 64
	s_add_u32 s0, s2, s0
	s_addc_u32 s1, s3, 0
	s_lshl_b64 s[0:1], s[0:1], 8
	s_add_u32 s20, s6, s0
	s_addc_u32 s21, s7, s1
.LBB688_8:                              ;   in Loop: Header=BB688_6 Depth=1
	v_cndmask_b32_e64 v2, 0, 1, s[40:41]
	v_cmp_ne_u32_e64 s[0:1], 1, v2
	s_andn2_b64 vcc, exec, s[40:41]
	s_cbranch_vccnz .LBB688_10
; %bb.9:                                ;   in Loop: Header=BB688_6 Depth=1
	s_add_i32 s24, s55, 64
	s_add_u32 s24, s58, s24
	s_addc_u32 s25, s59, 0
	s_mul_i32 s27, s24, s47
	s_mul_hi_u32 s40, s24, s51
	s_add_i32 s27, s40, s27
	s_mul_i32 s25, s25, s51
	s_add_i32 s27, s27, s25
	s_mul_i32 s24, s24, s51
	s_add_u32 s24, s24, s50
	s_addc_u32 s25, s27, s53
	s_lshl_b64 s[24:25], s[24:25], 8
	s_add_u32 s24, s4, s24
	s_addc_u32 s25, s5, s25
.LBB688_10:                             ;   in Loop: Header=BB688_6 Depth=1
	v_perm_b32 v3, v82, v61, s31
	v_perm_b32 v2, v60, v35, s31
	;; [unrolled: 1-line block ×4, first 2 shown]
	ds_write_b64 v54, v[2:3]
	ds_write_b64 v55, v[4:5]
	;; [unrolled: 1-line block ×4, first 2 shown]
	s_waitcnt lgkmcnt(0)
	s_barrier
	ds_read_b64 v[10:11], v62 offset:16384
	ds_read_b64 v[12:13], v64 offset:16384
	ds_read2st64_b64 v[2:5], v63 offset1:1
	ds_read2st64_b64 v[6:9], v63 offset0:2 offset1:3
	ds_read_b64 v[14:15], v65 offset:16384
	s_waitcnt lgkmcnt(2)
	v_mfma_f32_16x16x16_bf16 a[0:3], v[10:11], v[2:3], 0
	ds_read_b64 v[2:3], v66 offset:16384
	s_add_i32 s27, s55, 63
	s_mul_i32 s40, s27, s29
	v_mfma_f32_16x16x16_bf16 a[0:3], v[12:13], v[4:5], a[0:3]
	s_mul_hi_u32 s41, s27, s28
	s_add_i32 s41, s41, s40
	s_mul_i32 s40, s27, s28
	s_waitcnt lgkmcnt(1)
	v_mfma_f32_16x16x16_bf16 a[0:3], v[14:15], v[6:7], a[0:3]
	s_lshl_b64 s[40:41], s[40:41], 2
	s_add_u32 s40, s38, s40
	s_addc_u32 s41, s39, s41
	s_waitcnt lgkmcnt(0)
	v_mfma_f32_16x16x16_bf16 a[0:3], v[2:3], v[8:9], a[0:3]
	s_and_b64 vcc, exec, s[0:1]
	v_mov_b32_e32 v85, 0
	v_mov_b32_e32 v84, 0
	v_mov_b32_e32 v83, 0
	v_mov_b32_e32 v2, 0
	v_mov_b32_e32 v3, 0
	v_mov_b32_e32 v4, 0
	v_mov_b32_e32 v5, 0
	v_mov_b32_e32 v6, 0
	v_mov_b32_e32 v7, 0
	v_mov_b32_e32 v8, 0
	v_mov_b32_e32 v9, 0
	v_mov_b32_e32 v10, 0
	v_mov_b32_e32 v11, 0
	v_mov_b32_e32 v12, 0
	v_mov_b32_e32 v13, 0
	v_mov_b32_e32 v14, 0
	v_mov_b32_e32 v15, 0
	v_mov_b32_e32 v16, 0
	v_mov_b32_e32 v17, 0
	s_cbranch_vccnz .LBB688_12
; %bb.11:                               ;   in Loop: Header=BB688_6 Depth=1
	s_and_b32 s21, s21, 0xffff
	buffer_load_dwordx4 v[14:17], v50, s[20:23], 0 offen
	buffer_load_dwordx4 v[10:13], v50, s[20:23], s54 offen
	;; [unrolled: 1-line block ×4, first 2 shown]
	v_mov_b32_e32 v84, v52
	v_mov_b32_e32 v83, v53
.LBB688_12:                             ;   in Loop: Header=BB688_6 Depth=1
	s_waitcnt vmcnt(3)
	v_add_u32_e32 v24, s55, v76
	s_waitcnt vmcnt(1)
	v_ashrrev_i32_e32 v18, 31, v24
	v_mul_lo_u32 v20, v18, s28
	v_mul_lo_u32 v21, v24, s29
	v_mad_u64_u32 v[18:19], s[20:21], v24, s28, 0
	v_add3_u32 v19, v19, v21, v20
	v_add_u32_e32 v20, 1, v24
	v_ashrrev_i32_e32 v21, 31, v20
	v_mul_lo_u32 v22, v21, s28
	v_mul_lo_u32 v23, v20, s29
	v_mad_u64_u32 v[20:21], s[20:21], v20, s28, 0
	v_add3_u32 v21, v21, v23, v22
	v_add_u32_e32 v22, 2, v24
	v_ashrrev_i32_e32 v23, 31, v22
	v_mul_lo_u32 v25, v23, s28
	v_mul_lo_u32 v26, v22, s29
	v_mad_u64_u32 v[22:23], s[20:21], v22, s28, 0
	v_add_u32_e32 v24, 3, v24
	v_add3_u32 v23, v23, v26, v25
	v_ashrrev_i32_e32 v25, 31, v24
	v_mul_lo_u32 v28, v25, s28
	v_mul_lo_u32 v29, v24, s29
	v_mad_u64_u32 v[24:25], s[20:21], v24, s28, 0
	s_add_u32 s20, s2, s55
	s_addc_u32 s21, s3, 0
	s_lshl_b64 s[20:21], s[20:21], 8
	v_lshl_add_u64 v[18:19], v[18:19], 2, s[38:39]
	v_lshl_add_u64 v[26:27], v[38:39], 0, s[20:21]
	;; [unrolled: 1-line block ×3, first 2 shown]
	global_load_ushort v87, v[26:27], off
	global_load_ushort v96, v[26:27], off offset:256
	global_load_ushort v97, v[26:27], off offset:512
	;; [unrolled: 1-line block ×3, first 2 shown]
	v_add3_u32 v25, v25, v29, v28
	global_load_dword v99, v[18:19], off
	v_lshl_add_u64 v[22:23], v[22:23], 2, s[38:39]
	v_lshl_add_u64 v[18:19], v[24:25], 2, s[38:39]
	global_load_dword v100, v[20:21], off
	global_load_dword v101, v[22:23], off
	;; [unrolled: 1-line block ×3, first 2 shown]
	s_load_dword s20, s[40:41], 0x0
	ds_read2st64_b64 v[26:29], v67 offset1:1
	ds_read2st64_b64 v[88:91], v67 offset0:2 offset1:3
	ds_read_b64 v[30:31], v62 offset:24576
	ds_read_b64 v[32:33], v64 offset:24576
	;; [unrolled: 1-line block ×4, first 2 shown]
	s_waitcnt lgkmcnt(0)
	v_mfma_f32_16x16x16_bf16 a[0:3], v[30:31], v[26:27], a[0:3]
	v_mov_b32_e32 v86, 0
	v_mov_b32_e32 v18, 0
	v_mov_b32_e32 v19, 0
	v_mfma_f32_16x16x16_bf16 a[0:3], v[32:33], v[28:29], a[0:3]
	v_mov_b32_e32 v20, 0
	v_mov_b32_e32 v21, 0
	v_mov_b32_e32 v22, 0
	;; [unrolled: 4-line block ×4, first 2 shown]
	v_mov_b32_e32 v29, 0
	v_mov_b32_e32 v30, 0
	v_mov_b32_e32 v31, 0
	v_mov_b32_e32 v32, 0
	v_accvgpr_read_b32 v91, a1
	v_accvgpr_read_b32 v89, a3
	;; [unrolled: 1-line block ×4, first 2 shown]
	s_and_b64 vcc, exec, s[0:1]
	s_waitcnt vmcnt(7)
	v_lshlrev_b32_e32 v92, 16, v87
	s_waitcnt vmcnt(6)
	v_lshlrev_b32_e32 v93, 16, v96
	;; [unrolled: 2-line block ×4, first 2 shown]
	v_pk_add_f32 v[90:91], v[92:93], v[90:91] neg_lo:[0,1] neg_hi:[0,1]
	s_waitcnt vmcnt(3)
	v_sub_f32_e32 v33, s20, v99
	v_exp_f32_e32 v96, v33
	s_waitcnt vmcnt(2)
	v_sub_f32_e32 v33, s20, v100
	s_waitcnt vmcnt(1)
	v_sub_f32_e32 v87, s20, v101
	;; [unrolled: 2-line block ×3, first 2 shown]
	v_exp_f32_e32 v97, v33
	v_exp_f32_e32 v98, v87
	;; [unrolled: 1-line block ×3, first 2 shown]
	v_pk_add_f32 v[88:89], v[94:95], v[88:89] neg_lo:[0,1] neg_hi:[0,1]
	v_pk_mul_f32 v[90:91], v[96:97], v[90:91]
	v_mov_b32_e32 v33, 0
	v_pk_mul_f32 v[88:89], v[98:99], v[88:89]
	s_nop 0
	v_perm_b32 v89, v89, v88, s31
	v_perm_b32 v88, v91, v90, s31
	ds_write_b64 v55, v[88:89]
	s_cbranch_vccnz .LBB688_14
; %bb.13:                               ;   in Loop: Header=BB688_6 Depth=1
	s_and_b32 s25, s25, 0xffff
	s_mov_b32 s27, s23
	buffer_load_dwordx4 v[30:33], v74, s[24:27], 0 offen
	buffer_load_dwordx4 v[22:25], v74, s[24:27], s54 offen
	;; [unrolled: 1-line block ×4, first 2 shown]
	v_mov_b32_e32 v85, v49
	v_mov_b32_e32 v86, v48
.LBB688_14:                             ;   in Loop: Header=BB688_6 Depth=1
	s_waitcnt lgkmcnt(0)
	s_barrier
	ds_read_b64 v[96:97], v77
	ds_read2st64_b64 v[88:91], v67 offset1:1
	ds_read2st64_b64 v[92:95], v67 offset0:2 offset1:3
	ds_read_b64 v[98:99], v78
	ds_read_b64 v[100:101], v79
	ds_read_b64 v[102:103], v80
	s_waitcnt lgkmcnt(4)
	v_mfma_f32_16x16x16_bf16 a[0:3], v[96:97], v[88:89], 0
	ds_read_b64 v[96:97], v70 offset:8192
	ds_read_b64 v[104:105], v71 offset:8192
	s_add_i32 s21, s48, s60
	s_mul_hi_i32 s25, s21, s13
	s_waitcnt lgkmcnt(1)
	v_mfma_f32_16x16x16_bf16 a[4:7], v[96:97], v[88:89], 0
	s_mul_i32 s21, s21, s13
	s_add_u32 s24, s21, s33
	s_addc_u32 s25, s25, s52
	v_mfma_f32_16x16x16_bf16 a[0:3], v[98:99], v[90:91], a[0:3]
	ds_read_b64 v[96:97], v68
	ds_read_b64 v[98:99], v69
	ds_read_b64 v[88:89], v72 offset:8192
	s_lshl_b64 s[24:25], s[24:25], 15
	v_mfma_f32_16x16x16_bf16 a[0:3], v[100:101], v[92:93], a[0:3]
	ds_read_b64 v[100:101], v73 offset:8192
	s_and_b64 vcc, exec, s[0:1]
	s_waitcnt lgkmcnt(4)
	v_mfma_f32_16x16x16_bf16 a[4:7], v[104:105], v[90:91], a[4:7]
	s_waitcnt lgkmcnt(1)
	v_mfma_f32_16x16x16_bf16 a[4:7], v[88:89], v[92:93], a[4:7]
	v_lshl_add_u64 v[88:89], v[36:37], 0, s[24:25]
	global_store_dwordx4 v[88:89], v[96:99], off
	v_mfma_f32_16x16x16_bf16 a[0:3], v[102:103], v[94:95], a[0:3]
	s_waitcnt lgkmcnt(0)
	v_mfma_f32_16x16x16_bf16 a[4:7], v[100:101], v[94:95], a[4:7]
	s_cbranch_vccnz .LBB688_16
; %bb.15:                               ;   in Loop: Header=BB688_6 Depth=1
	v_lshrrev_b32_e32 v87, 3, v85
	v_and_b32_e32 v87, 6, v87
	v_xor_b32_e32 v86, v87, v86
	v_lshlrev_b32_e32 v86, 2, v86
	v_and_b32_e32 v85, 8, v85
	v_xor_b32_e32 v88, 0x440, v86
	v_cmp_eq_u32_e32 vcc, 0, v85
	s_barrier
	s_nop 0
	v_cndmask_b32_e32 v85, v88, v86, vcc
	v_lshl_or_b32 v85, v87, 10, v85
	s_waitcnt vmcnt(2)
	v_perm_b32 v86, v30, v26, s56
	s_waitcnt vmcnt(1)
	v_perm_b32 v87, v22, v18, s56
	ds_write2st64_b32 v85, v86, v87 offset1:32
	v_xor_b32_e32 v86, 8, v85
	v_perm_b32 v26, v30, v26, s57
	v_perm_b32 v18, v22, v18, s57
	v_add_u32_e32 v22, 0x80, v86
	ds_write2st64_b32 v22, v26, v18 offset1:32
	v_xor_b32_e32 v18, 16, v85
	v_perm_b32 v22, v31, v27, s56
	v_perm_b32 v26, v23, v19, s56
	ds_write2st64_b32 v18, v22, v26 offset0:1 offset1:33
	v_xor_b32_e32 v18, 24, v85
	v_perm_b32 v22, v31, v27, s57
	v_perm_b32 v19, v23, v19, s57
	v_add_u32_e32 v18, 0x80, v18
	ds_write2st64_b32 v18, v22, v19 offset0:1 offset1:33
	v_xor_b32_e32 v18, 32, v85
	v_perm_b32 v19, v32, v28, s56
	v_perm_b32 v22, v24, v20, s56
	ds_write2st64_b32 v18, v19, v22 offset0:2 offset1:34
	v_xor_b32_e32 v18, 40, v85
	v_perm_b32 v19, v32, v28, s57
	v_perm_b32 v20, v24, v20, s57
	v_add_u32_e32 v18, 0x80, v18
	ds_write2st64_b32 v18, v19, v20 offset0:2 offset1:34
	;; [unrolled: 9-line block ×3, first 2 shown]
	ds_write_b64 v84, v[14:15] offset:16384
	v_xor_b32_e32 v14, 8, v84
	ds_write_b64 v14, v[16:17] offset:16384
	ds_write_b64 v84, v[10:11] offset:24576
	;; [unrolled: 1-line block ×4, first 2 shown]
	v_xor_b32_e32 v6, 8, v83
	ds_write_b64 v6, v[8:9] offset:16384
	ds_write_b64 v83, v[2:3] offset:24576
	;; [unrolled: 1-line block ×3, first 2 shown]
.LBB688_16:                             ;   in Loop: Header=BB688_6 Depth=1
	v_exp_f32_e32 v2, s20
	s_nop 2
	v_accvgpr_read_b32 v3, a0
	v_accvgpr_read_b32 v4, a1
	s_add_i32 s55, s55, 64
	v_fma_f32 v35, v35, v2, v3
	v_accvgpr_read_b32 v3, a2
	v_fma_f32 v61, v61, v2, v3
	v_accvgpr_read_b32 v3, a4
	;; [unrolled: 2-line block ×6, first 2 shown]
	v_fmac_f32_e32 v4, v82, v2
	s_cmp_eq_u32 s46, s35
	v_fmac_f32_e32 v3, v81, v2
	s_cbranch_scc1 .LBB688_18
; %bb.17:                               ;   in Loop: Header=BB688_6 Depth=1
	s_mov_b32 s60, s35
	v_mov_b32_e32 v82, v4
	v_mov_b32_e32 v81, v3
	s_branch .LBB688_6
.LBB688_18:
	s_lshl_b32 s40, s46, 6
	s_sub_i32 s41, s12, s40
	s_cmp_gt_i32 s41, 0
	s_cbranch_scc0 .LBB688_75
; %bb.19:
	s_ashr_i32 s35, s45, 31
	s_ashr_i32 s2, s40, 31
	s_cmpk_lg_i32 s15, 0x80
	s_cselect_b64 s[26:27], -1, 0
	s_and_b64 vcc, exec, s[26:27]
	s_cbranch_vccz .LBB688_21
; %bb.20:
	s_mul_i32 s1, s45, s12
	s_mul_hi_i32 s0, s45, s12
	s_add_u32 s1, s1, s40
	s_addc_u32 s0, s0, s2
	s_mul_i32 s3, s1, s47
	s_mul_hi_u32 s20, s1, s14
	s_add_i32 s3, s20, s3
	s_mul_i32 s0, s0, s14
	s_add_i32 s3, s3, s0
	s_mul_i32 s1, s1, s14
	s_ashr_i32 s0, s50, 31
	s_add_u32 s38, s1, s50
	s_addc_u32 s39, s3, s0
	s_cbranch_execz .LBB688_22
	s_branch .LBB688_23
.LBB688_21:
                                        ; implicit-def: $sgpr38_sgpr39
.LBB688_22:
	s_mul_hi_i32 s0, s45, s14
	s_mul_i32 s45, s45, s14
	s_ashr_i32 s1, s50, 31
	s_add_u32 s3, s45, s50
	s_addc_u32 s0, s0, s1
	s_mul_i32 s1, s3, s44
	s_mul_hi_u32 s14, s3, s12
	s_add_i32 s1, s14, s1
	s_mul_i32 s0, s0, s12
	s_add_i32 s1, s1, s0
	s_mul_i32 s3, s3, s12
	s_add_u32 s38, s3, s40
	s_addc_u32 s39, s1, s2
.LBB688_23:
	s_add_i32 s3, s48, s46
	s_ashr_i32 s14, s33, 31
	s_add_u32 s0, s43, s33
	s_addc_u32 s1, s49, s14
	s_mul_i32 s20, s0, s44
	s_mul_hi_u32 s21, s0, s12
	s_add_i32 s20, s21, s20
	s_mul_i32 s1, s1, s12
	s_add_i32 s20, s20, s1
	s_mul_i32 s0, s0, s12
	s_add_u32 s0, s0, s40
	s_addc_u32 s1, s20, s2
	s_mov_b32 s2, 0x7060302
	v_lshlrev_b32_e32 v6, 3, v1
	v_perm_b32 v5, v4, v61, s2
	v_perm_b32 v4, v60, v35, s2
	v_perm_b32 v3, v3, v59, s2
	v_perm_b32 v2, v34, v58, s2
	v_lshlrev_b32_e32 v34, 2, v1
	v_lshl_or_b32 v6, v46, 5, v6
	s_lshl_b64 s[24:25], s[0:1], 8
	ds_write2st64_b64 v6, v[4:5], v[2:3] offset0:72 offset1:76
	v_xor_b32_e32 v6, v46, v34
	v_lshlrev_b32_e32 v7, 8, v1
	s_add_u32 s0, s6, s24
	v_lshl_or_b32 v6, v6, 1, v7
	s_addc_u32 s1, s7, s25
	ds_write_b64 v6, v[4:5] offset:32768
	v_xor_b32_e32 v4, v47, v34
	s_mul_hi_i32 s6, s3, s13
	s_mul_i32 s3, s3, s13
	v_lshl_or_b32 v4, v4, 1, v7
	s_add_u32 s2, s3, s33
	ds_write_b64 v4, v[2:3] offset:32768
	s_addc_u32 s3, s6, s14
	v_lshlrev_b32_e32 v3, 1, v1
	v_lshrrev_b32_e32 v2, 4, v0
	s_ashr_i32 s31, s30, 31
	s_lshl_b64 s[2:3], s[2:3], 15
	v_or_b32_e32 v4, 1, v3
	s_add_u32 s6, s36, s2
	v_xor_b32_e32 v3, v2, v3
	v_xor_b32_e32 v4, v4, v2
	v_lshlrev_b32_e32 v6, 8, v2
	s_addc_u32 s7, s37, s3
	s_lshl_b64 s[2:3], s[30:31], 8
	v_lshl_or_b32 v2, v3, 3, v6
	v_lshl_or_b32 v4, v4, 3, v6
	s_waitcnt lgkmcnt(0)
	s_barrier
	s_add_u32 s2, s6, s2
	ds_read_b64 v[2:3], v2 offset:32768
	ds_read_b64 v[4:5], v4 offset:32768
	s_addc_u32 s3, s7, s3
	v_mov_b32_e32 v7, 0
	s_cmp_lg_u32 s41, 64
	v_lshl_add_u64 v[8:9], s[2:3], 0, v[6:7]
	v_lshlrev_b32_e32 v6, 4, v1
	s_cselect_b64 s[6:7], -1, 0
	v_lshl_or_b32 v35, v42, 3, v45
	s_mov_b32 s20, 0
	v_lshl_add_u64 v[6:7], v[8:9], 0, v[6:7]
	s_waitcnt vmcnt(1)
	v_or_b32_e32 v19, 32, v35
	v_and_b32_e32 v18, 56, v44
	s_and_b64 vcc, exec, s[6:7]
	s_waitcnt lgkmcnt(0)
	global_store_dwordx4 v[6:7], v[2:5], off
	s_cbranch_vccz .LBB688_29
; %bb.24:
	s_mov_b32 s21, s20
	s_mov_b32 s22, s20
	;; [unrolled: 1-line block ×3, first 2 shown]
	v_mov_b64_e32 v[6:7], s[20:21]
	v_mov_b64_e32 v[8:9], s[22:23]
	;; [unrolled: 1-line block ×3, first 2 shown]
	v_cmp_gt_i32_e32 vcc, s41, v35
	v_mov_b64_e32 v[4:5], v[8:9]
	s_and_saveexec_b64 s[2:3], vcc
	s_cbranch_execz .LBB688_26
; %bb.25:
	v_lshlrev_b32_e32 v2, 8, v35
	v_mov_b32_e32 v3, 0
	v_lshl_add_u64 v[4:5], s[0:1], 0, v[2:3]
	v_lshlrev_b32_e32 v2, 1, v18
	v_lshl_add_u64 v[10:11], v[4:5], 0, v[2:3]
	global_load_dwordx4 v[6:9], v[10:11], off
	global_load_dwordx4 v[2:5], v[10:11], off offset:128
.LBB688_26:
	s_or_b64 exec, exec, s[2:3]
	s_mov_b32 s21, s20
	s_mov_b32 s22, s20
	;; [unrolled: 1-line block ×3, first 2 shown]
	v_mov_b64_e32 v[14:15], s[20:21]
	v_mov_b64_e32 v[16:17], s[22:23]
	v_mov_b64_e32 v[10:11], v[14:15]
	v_cmp_gt_i32_e32 vcc, s41, v19
	v_lshlrev_b32_e32 v20, 7, v19
	v_mov_b64_e32 v[12:13], v[16:17]
	s_and_saveexec_b64 s[2:3], vcc
	s_cbranch_execz .LBB688_28
; %bb.27:
	v_lshlrev_b32_e32 v10, 1, v20
	v_mov_b32_e32 v11, 0
	v_lshl_add_u64 v[12:13], s[0:1], 0, v[10:11]
	v_lshlrev_b32_e32 v10, 1, v18
	v_lshl_add_u64 v[22:23], v[12:13], 0, v[10:11]
	global_load_dwordx4 v[14:17], v[22:23], off
	global_load_dwordx4 v[10:13], v[22:23], off offset:128
.LBB688_28:
	s_or_b64 exec, exec, s[2:3]
	v_lshrrev_b32_e32 v21, 3, v18
	v_lshlrev_b32_e32 v22, 3, v35
	v_or_b32_e32 v21, v22, v21
	v_lshlrev_b32_e32 v21, 4, v21
	v_and_b32_e32 v22, 0x78, v22
	v_xor_b32_e32 v21, v21, v22
	s_branch .LBB688_31
.LBB688_29:
                                        ; implicit-def: $vgpr21
                                        ; implicit-def: $vgpr20
                                        ; implicit-def: $vgpr6_vgpr7_vgpr8_vgpr9
                                        ; implicit-def: $vgpr2_vgpr3_vgpr4_vgpr5
                                        ; implicit-def: $vgpr14_vgpr15_vgpr16_vgpr17
                                        ; implicit-def: $vgpr10_vgpr11_vgpr12_vgpr13
	s_cbranch_execz .LBB688_31
; %bb.30:
	s_waitcnt vmcnt(0)
	v_lshlrev_b32_e32 v2, 1, v18
	v_lshl_or_b32 v20, v35, 8, v2
	s_and_b32 s1, s1, 0xffff
	s_mov_b32 s3, 0x20000
	s_movk_i32 s2, 0x4000
	v_lshl_or_b32 v21, v19, 8, v2
	s_movk_i32 s13, 0x80
	buffer_load_dwordx4 v[6:9], v20, s[0:3], 0 offen
	buffer_load_dwordx4 v[2:5], v20, s[0:3], s13 offen
	;; [unrolled: 1-line block ×4, first 2 shown]
	v_lshrrev_b32_e32 v20, 3, v18
	v_lshlrev_b32_e32 v21, 3, v35
	v_or_b32_e32 v20, v21, v20
	v_lshlrev_b32_e32 v20, 4, v20
	v_and_b32_e32 v21, 0x78, v21
	v_xor_b32_e32 v21, v20, v21
	v_lshlrev_b32_e32 v20, 7, v19
.LBB688_31:
	s_lshl_b64 s[0:1], s[38:39], 8
	s_add_u32 s4, s4, s0
	s_movk_i32 s0, 0x1000
	v_and_or_b32 v19, v20, s0, v21
	s_waitcnt vmcnt(1)
	ds_write_b64 v21, v[6:7] offset:16384
	v_xor_b32_e32 v6, 8, v21
	s_addc_u32 s5, s5, s1
	ds_write_b64 v6, v[8:9] offset:16384
	s_waitcnt vmcnt(0)
	ds_write_b64 v21, v[2:3] offset:24576
	ds_write_b64 v6, v[4:5] offset:24576
	;; [unrolled: 1-line block ×3, first 2 shown]
	v_xor_b32_e32 v2, 8, v19
	s_add_i32 s0, s42, s17
	s_mul_i32 s35, s35, s16
	ds_write_b64 v2, v[16:17] offset:16384
	ds_write_b64 v19, v[10:11] offset:24576
	;; [unrolled: 1-line block ×3, first 2 shown]
	s_add_i32 s35, s0, s35
	s_mul_i32 s0, s33, s19
	s_mul_hi_u32 s1, s33, s18
	v_or_b32_e32 v2, v40, v1
	s_add_i32 s0, s1, s0
	s_mul_i32 s1, s14, s18
	v_lshlrev_b32_e32 v2, 3, v2
	v_lshrrev_b32_e32 v4, 5, v41
	s_movk_i32 s14, 0xf8
	v_and_or_b32 v4, v2, s14, v4
	v_lshlrev_b32_e32 v3, 11, v42
	v_lshlrev_b32_e32 v12, 4, v4
	v_and_b32_e32 v13, 0x78, v2
	v_and_b32_e32 v14, 0x1000, v3
	v_lshlrev_b32_e32 v3, 2, v0
	v_xor_b32_e32 v2, v12, v13
	v_lshrrev_b32_e32 v4, 1, v41
	v_and_b32_e32 v3, 60, v3
	v_or_b32_e32 v2, v2, v14
	v_and_b32_e32 v15, 8, v4
	v_xor_b32_e32 v26, v2, v15
	v_lshl_or_b32 v2, v43, 6, v3
	v_lshlrev_b32_e32 v19, 1, v2
	v_or_b32_e32 v2, 32, v12
	v_xor_b32_e32 v2, v2, v13
	s_waitcnt lgkmcnt(0)
	s_barrier
	ds_read_b64 v[10:11], v26 offset:16384
	v_or_b32_e32 v2, v2, v14
	v_xor_b32_e32 v27, v2, v15
	v_or_b32_e32 v2, 64, v12
	v_xor_b32_e32 v2, v2, v13
	v_or_b32_e32 v2, v2, v14
	v_or_b32_e32 v12, 0x60, v12
	v_xor_b32_e32 v28, v2, v15
	ds_read2st64_b64 v[2:5], v19 offset0:72 offset1:73
	ds_read2st64_b64 v[6:9], v19 offset0:74 offset1:75
	v_xor_b32_e32 v16, v12, v13
	ds_read_b64 v[12:13], v27 offset:16384
	s_waitcnt lgkmcnt(2)
	v_mfma_f32_16x16x16_bf16 a[0:3], v[10:11], v[2:3], 0
	s_add_i32 s2, s12, -1
	s_ashr_i32 s3, s2, 31
	s_mul_i32 s12, s2, s29
	s_mul_hi_u32 s13, s2, s28
	s_add_i32 s12, s13, s12
	s_mul_i32 s3, s3, s28
	v_or_b32_e32 v14, v16, v14
	s_add_i32 s1, s0, s1
	s_add_i32 s3, s12, s3
	s_lshl_b64 s[12:13], s[34:35], 2
	v_xor_b32_e32 v36, v14, v15
	ds_read_b64 v[14:15], v28 offset:16384
	ds_read_b64 v[16:17], v36 offset:16384
	s_waitcnt lgkmcnt(2)
	v_mfma_f32_16x16x16_bf16 a[0:3], v[12:13], v[4:5], a[0:3]
	s_mul_i32 s0, s33, s18
	s_add_u32 s10, s10, s12
	s_addc_u32 s11, s11, s13
	s_lshl_b64 s[0:1], s[0:1], 2
	s_mul_i32 s2, s2, s28
	s_add_u32 s10, s10, s0
	s_addc_u32 s11, s11, s1
	s_lshl_b64 s[0:1], s[2:3], 2
	s_waitcnt lgkmcnt(1)
	v_mfma_f32_16x16x16_bf16 a[0:3], v[14:15], v[6:7], a[0:3]
	s_add_u32 s0, s10, s0
	s_addc_u32 s1, s11, s1
	s_load_dword s12, s[0:1], 0x0
	s_waitcnt lgkmcnt(0)
	v_mfma_f32_16x16x16_bf16 a[0:3], v[16:17], v[8:9], a[0:3]
	s_and_b64 vcc, exec, s[26:27]
	s_cbranch_vccz .LBB688_42
; %bb.32:
	v_lshlrev_b32_e32 v20, 1, v35
	s_and_b64 vcc, exec, s[6:7]
	s_cbranch_vccz .LBB688_43
; %bb.33:
	v_cmp_gt_i32_e32 vcc, s41, v20
	v_mov_b32_e32 v6, 0
	v_mov_b32_e32 v2, 0
	;; [unrolled: 1-line block ×5, first 2 shown]
	s_and_saveexec_b64 s[0:1], vcc
	s_cbranch_execz .LBB688_35
; %bb.34:
	v_mad_i64_i32 v[2:3], s[2:3], s15, v20, 0
	v_lshl_add_u64 v[2:3], v[2:3], 1, s[4:5]
	v_lshlrev_b32_e32 v4, 1, v18
	v_mov_b32_e32 v5, 0
	v_lshl_add_u64 v[2:3], v[2:3], 0, v[4:5]
	global_load_dwordx4 v[2:5], v[2:3], off
.LBB688_35:
	s_or_b64 exec, exec, s[0:1]
	v_or_b32_e32 v21, 1, v20
	v_cmp_gt_i32_e64 s[0:1], s41, v21
	v_mov_b32_e32 v7, 0
	v_mov_b32_e32 v8, 0
	;; [unrolled: 1-line block ×3, first 2 shown]
	s_and_saveexec_b64 s[2:3], s[0:1]
	s_cbranch_execz .LBB688_37
; %bb.36:
	v_mad_i64_i32 v[6:7], s[16:17], s15, v21, 0
	v_lshl_add_u64 v[6:7], v[6:7], 1, s[4:5]
	v_lshlrev_b32_e32 v8, 1, v18
	v_mov_b32_e32 v9, 0
	v_lshl_add_u64 v[6:7], v[6:7], 0, v[8:9]
	global_load_dwordx4 v[6:9], v[6:7], off
.LBB688_37:
	s_or_b64 exec, exec, s[2:3]
	v_mov_b32_e32 v17, 0
	v_mov_b32_e32 v10, 0
	;; [unrolled: 1-line block ×5, first 2 shown]
	s_and_saveexec_b64 s[2:3], vcc
	s_cbranch_execz .LBB688_39
; %bb.38:
	v_mad_i64_i32 v[10:11], s[16:17], s15, v20, 0
	v_lshl_add_u64 v[10:11], v[10:11], 1, s[4:5]
	v_lshlrev_b32_e32 v12, 1, v18
	v_mov_b32_e32 v13, 0
	v_lshl_add_u64 v[10:11], v[10:11], 0, v[12:13]
	global_load_dwordx4 v[10:13], v[10:11], off offset:128
.LBB688_39:
	s_or_b64 exec, exec, s[2:3]
	v_mov_b32_e32 v16, 0
	v_mov_b32_e32 v15, 0
	;; [unrolled: 1-line block ×3, first 2 shown]
	s_and_saveexec_b64 s[2:3], s[0:1]
	s_cbranch_execz .LBB688_41
; %bb.40:
	v_mad_i64_i32 v[14:15], s[0:1], s15, v21, 0
	v_lshl_add_u64 v[14:15], v[14:15], 1, s[4:5]
	v_lshlrev_b32_e32 v16, 1, v18
	v_mov_b32_e32 v17, 0
	v_lshl_add_u64 v[14:15], v[14:15], 0, v[16:17]
	global_load_dwordx4 v[14:17], v[14:15], off offset:128
.LBB688_41:
	s_or_b64 exec, exec, s[2:3]
	s_branch .LBB688_45
.LBB688_42:
                                        ; implicit-def: $vgpr5
                                        ; implicit-def: $vgpr9
                                        ; implicit-def: $vgpr13
                                        ; implicit-def: $vgpr17
	v_lshrrev_b32_e32 v37, 2, v41
	s_branch .LBB688_46
.LBB688_43:
                                        ; implicit-def: $vgpr5
                                        ; implicit-def: $vgpr9
                                        ; implicit-def: $vgpr13
                                        ; implicit-def: $vgpr17
	s_cbranch_execz .LBB688_45
; %bb.44:
	s_waitcnt vmcnt(0)
	v_mad_u64_u32 v[2:3], s[0:1], v20, s15, v[18:19]
	v_lshlrev_b32_e32 v20, 1, v2
	s_lshl_b32 s2, s15, 7
	s_and_b32 s1, s5, 0xffff
	s_mov_b32 s3, 0x20000
	s_mov_b32 s0, s4
	v_add_lshl_u32 v21, v2, s15, 1
	s_movk_i32 s13, 0x80
	buffer_load_dwordx4 v[2:5], v20, s[0:3], 0 offen
	buffer_load_dwordx4 v[10:13], v20, s[0:3], s13 offen
	;; [unrolled: 1-line block ×4, first 2 shown]
.LBB688_45:
	v_lshrrev_b32_e32 v37, 2, v41
	s_cbranch_execnz .LBB688_58
.LBB688_46:
	s_and_b64 vcc, exec, s[6:7]
	s_cbranch_vccz .LBB688_56
; %bb.47:
	s_waitcnt vmcnt(0)
	v_lshlrev_b32_e32 v7, 1, v35
	v_cmp_gt_i32_e32 vcc, s41, v7
	v_mov_b32_e32 v6, 0
	v_lshlrev_b32_e32 v14, 9, v35
	v_mov_b32_e32 v2, 0
	v_mov_b32_e32 v3, 0
	;; [unrolled: 1-line block ×4, first 2 shown]
	s_and_saveexec_b64 s[0:1], vcc
	s_cbranch_execz .LBB688_49
; %bb.48:
	v_mov_b32_e32 v15, 0
	v_lshl_add_u64 v[2:3], s[4:5], 0, v[14:15]
	v_lshlrev_b32_e32 v4, 1, v18
	v_mov_b32_e32 v5, v15
	v_lshl_add_u64 v[2:3], v[2:3], 0, v[4:5]
	global_load_dwordx4 v[2:5], v[2:3], off
.LBB688_49:
	s_or_b64 exec, exec, s[0:1]
	v_or_b32_e32 v7, 1, v7
	v_cmp_gt_i32_e64 s[0:1], s41, v7
	v_lshlrev_b32_e32 v20, 8, v7
	v_mov_b32_e32 v7, 0
	v_mov_b32_e32 v8, 0
	;; [unrolled: 1-line block ×3, first 2 shown]
	s_and_saveexec_b64 s[2:3], s[0:1]
	s_cbranch_execz .LBB688_51
; %bb.50:
	v_mov_b32_e32 v21, 0
	v_lshl_add_u64 v[6:7], s[4:5], 0, v[20:21]
	v_lshlrev_b32_e32 v8, 1, v18
	v_mov_b32_e32 v9, v21
	v_lshl_add_u64 v[6:7], v[6:7], 0, v[8:9]
	global_load_dwordx4 v[6:9], v[6:7], off
.LBB688_51:
	s_or_b64 exec, exec, s[2:3]
	v_mov_b32_e32 v17, 0
	v_mov_b32_e32 v10, 0
	;; [unrolled: 1-line block ×5, first 2 shown]
	s_and_saveexec_b64 s[2:3], vcc
	s_cbranch_execz .LBB688_53
; %bb.52:
	v_mov_b32_e32 v15, 0
	v_lshl_add_u64 v[10:11], s[4:5], 0, v[14:15]
	v_lshlrev_b32_e32 v14, 1, v18
	v_lshl_add_u64 v[10:11], v[10:11], 0, v[14:15]
	global_load_dwordx4 v[10:13], v[10:11], off offset:128
.LBB688_53:
	s_or_b64 exec, exec, s[2:3]
	v_mov_b32_e32 v16, 0
	v_mov_b32_e32 v15, 0
	;; [unrolled: 1-line block ×3, first 2 shown]
	s_and_saveexec_b64 s[2:3], s[0:1]
	s_cbranch_execz .LBB688_55
; %bb.54:
	v_mov_b32_e32 v21, 0
	v_lshl_add_u64 v[14:15], s[4:5], 0, v[20:21]
	v_lshlrev_b32_e32 v20, 1, v18
	v_lshl_add_u64 v[14:15], v[14:15], 0, v[20:21]
	global_load_dwordx4 v[14:17], v[14:15], off offset:128
.LBB688_55:
	s_or_b64 exec, exec, s[2:3]
	s_branch .LBB688_58
.LBB688_56:
                                        ; implicit-def: $vgpr5
                                        ; implicit-def: $vgpr9
                                        ; implicit-def: $vgpr13
                                        ; implicit-def: $vgpr17
	s_cbranch_execz .LBB688_58
; %bb.57:
	s_waitcnt vmcnt(0)
	v_lshlrev_b32_e32 v2, 1, v18
	v_lshl_or_b32 v18, v35, 9, v2
	s_and_b32 s5, s5, 0xffff
	s_mov_b32 s7, 0x20000
	s_movk_i32 s6, 0x4000
	s_movk_i32 s0, 0x80
	buffer_load_dwordx4 v[2:5], v18, s[4:7], 0 offen
	buffer_load_dwordx4 v[6:9], v18, s[4:7], 0 offen offset:256
	buffer_load_dwordx4 v[10:13], v18, s[4:7], s0 offen
	buffer_load_dwordx4 v[14:17], v18, s[4:7], s0 offen offset:256
.LBB688_58:
	ds_read2st64_b64 v[22:25], v19 offset0:76 offset1:77
	ds_read2st64_b64 v[18:21], v19 offset0:78 offset1:79
	ds_read_b64 v[30:31], v26 offset:24576
	ds_read_b64 v[32:33], v27 offset:24576
	;; [unrolled: 1-line block ×4, first 2 shown]
	v_and_b32_e32 v36, 6, v0
	v_xor_b32_e32 v35, v35, v36
	v_lshlrev_b32_e32 v35, 2, v35
	v_and_b32_e32 v0, 1, v0
	v_xor_b32_e32 v38, 0x440, v35
	v_cmp_eq_u32_e32 vcc, 0, v0
	s_mov_b32 s0, 0x1000504
	s_mov_b32 s1, 0x3020706
	v_cndmask_b32_e32 v0, v38, v35, vcc
	v_lshl_or_b32 v0, v36, 10, v0
	s_waitcnt vmcnt(0)
	v_perm_b32 v35, v2, v6, s0
	v_perm_b32 v36, v10, v14, s0
	ds_write2st64_b32 v0, v35, v36 offset1:32
	v_xor_b32_e32 v35, 8, v0
	v_perm_b32 v2, v2, v6, s1
	v_perm_b32 v6, v10, v14, s1
	v_add_u32_e32 v10, 0x80, v35
	ds_write2st64_b32 v10, v2, v6 offset1:32
	v_xor_b32_e32 v2, 16, v0
	v_perm_b32 v6, v3, v7, s0
	v_perm_b32 v10, v11, v15, s0
	ds_write2st64_b32 v2, v6, v10 offset0:1 offset1:33
	v_xor_b32_e32 v2, 24, v0
	v_perm_b32 v3, v3, v7, s1
	v_perm_b32 v6, v11, v15, s1
	v_add_u32_e32 v2, 0x80, v2
	ds_write2st64_b32 v2, v3, v6 offset0:1 offset1:33
	v_xor_b32_e32 v2, 32, v0
	v_perm_b32 v3, v4, v8, s0
	v_perm_b32 v6, v12, v16, s0
	ds_write2st64_b32 v2, v3, v6 offset0:2 offset1:34
	v_xor_b32_e32 v2, 40, v0
	v_perm_b32 v3, v4, v8, s1
	v_perm_b32 v4, v12, v16, s1
	v_add_u32_e32 v2, 0x80, v2
	ds_write2st64_b32 v2, v3, v4 offset0:2 offset1:34
	v_xor_b32_e32 v2, 48, v0
	v_perm_b32 v3, v5, v9, s0
	v_perm_b32 v4, v13, v17, s0
	v_xor_b32_e32 v0, 56, v0
	v_and_or_b32 v6, v37, 12, v40
	ds_write2st64_b32 v2, v3, v4 offset0:3 offset1:35
	v_perm_b32 v2, v5, v9, s1
	v_perm_b32 v3, v13, v17, s1
	v_add_u32_e32 v0, 0x80, v0
	v_cmp_gt_i32_e32 vcc, s41, v6
	v_mov_b32_e32 v7, 0
	v_mov_b32_e32 v11, 0
	ds_write2st64_b32 v0, v2, v3 offset0:3 offset1:35
	s_and_saveexec_b64 s[0:1], vcc
	s_cbranch_execz .LBB688_60
; %bb.59:
	v_add_u32_e32 v0, s40, v6
	v_ashrrev_i32_e32 v2, 31, v0
	v_mul_lo_u32 v4, v2, s28
	v_mul_lo_u32 v5, v0, s29
	v_mad_u64_u32 v[2:3], s[2:3], v0, s28, 0
	v_add3_u32 v3, v3, v5, v4
	v_lshl_add_u64 v[2:3], v[2:3], 2, s[10:11]
	global_load_dword v0, v[2:3], off
	s_waitcnt vmcnt(0)
	v_sub_f32_e32 v0, s12, v0
	v_exp_f32_e32 v11, v0
.LBB688_60:
	s_or_b64 exec, exec, s[0:1]
	v_or_b32_e32 v9, 1, v6
	v_cmp_gt_i32_e64 s[0:1], s41, v9
	s_and_saveexec_b64 s[2:3], s[0:1]
	s_cbranch_execz .LBB688_62
; %bb.61:
	v_add_u32_e32 v0, s40, v9
	v_ashrrev_i32_e32 v2, 31, v0
	v_mul_lo_u32 v4, v2, s28
	v_mul_lo_u32 v5, v0, s29
	v_mad_u64_u32 v[2:3], s[4:5], v0, s28, 0
	v_add3_u32 v3, v3, v5, v4
	v_lshl_add_u64 v[2:3], v[2:3], 2, s[10:11]
	global_load_dword v0, v[2:3], off
	s_waitcnt vmcnt(0)
	v_sub_f32_e32 v0, s12, v0
	v_exp_f32_e32 v7, v0
.LBB688_62:
	s_or_b64 exec, exec, s[2:3]
	v_or_b32_e32 v10, 2, v6
	v_cmp_gt_i32_e64 s[2:3], s41, v10
	v_mov_b32_e32 v8, 0
	v_mov_b32_e32 v13, 0
	s_and_saveexec_b64 s[4:5], s[2:3]
	s_cbranch_execz .LBB688_64
; %bb.63:
	v_add_u32_e32 v0, s40, v10
	v_ashrrev_i32_e32 v2, 31, v0
	v_mul_lo_u32 v4, v2, s28
	v_mul_lo_u32 v5, v0, s29
	v_mad_u64_u32 v[2:3], s[6:7], v0, s28, 0
	v_add3_u32 v3, v3, v5, v4
	v_lshl_add_u64 v[2:3], v[2:3], 2, s[10:11]
	global_load_dword v0, v[2:3], off
	s_waitcnt vmcnt(0)
	v_sub_f32_e32 v0, s12, v0
	v_exp_f32_e32 v13, v0
.LBB688_64:
	s_or_b64 exec, exec, s[4:5]
	v_or_b32_e32 v12, 3, v6
	v_cmp_gt_i32_e64 s[4:5], s41, v12
	s_and_saveexec_b64 s[6:7], s[4:5]
	s_cbranch_execz .LBB688_66
; %bb.65:
	v_add_u32_e32 v0, s40, v12
	v_ashrrev_i32_e32 v2, 31, v0
	v_mul_lo_u32 v4, v2, s28
	v_mul_lo_u32 v5, v0, s29
	v_mad_u64_u32 v[2:3], s[14:15], v0, s28, 0
	v_add3_u32 v3, v3, v5, v4
	v_lshl_add_u64 v[2:3], v[2:3], 2, s[10:11]
	global_load_dword v0, v[2:3], off
	s_waitcnt vmcnt(0)
	v_sub_f32_e32 v0, s12, v0
	v_exp_f32_e32 v8, v0
.LBB688_66:
	s_or_b64 exec, exec, s[6:7]
	s_waitcnt lgkmcnt(11)
	v_mfma_f32_16x16x16_bf16 a[0:3], v[30:31], v[22:23], a[0:3]
	v_or_b32_e32 v0, s30, v1
	s_add_u32 s6, s8, s24
	s_addc_u32 s7, s9, s25
	s_waitcnt lgkmcnt(10)
	v_mfma_f32_16x16x16_bf16 a[0:3], v[32:33], v[24:25], a[0:3]
	v_ashrrev_i32_e32 v1, 31, v0
	v_lshl_add_u64 v[4:5], v[0:1], 1, s[6:7]
	v_mov_b32_e32 v14, 0
	s_waitcnt lgkmcnt(9)
	v_mfma_f32_16x16x16_bf16 a[0:3], v[28:29], v[18:19], a[0:3]
	v_mov_b32_e32 v15, 0
	s_waitcnt lgkmcnt(8)
	v_mfma_f32_16x16x16_bf16 a[0:3], v[26:27], v[20:21], a[0:3]
	s_nop 6
	v_accvgpr_read_b32 v0, a0
	v_accvgpr_read_b32 v1, a1
	;; [unrolled: 1-line block ×4, first 2 shown]
	s_and_saveexec_b64 s[6:7], vcc
	s_cbranch_execz .LBB688_68
; %bb.67:
	v_lshlrev_b32_e32 v16, 8, v6
	v_mov_b32_e32 v17, 0
	v_lshl_add_u64 v[16:17], v[4:5], 0, v[16:17]
	global_load_ushort v15, v[16:17], off
	s_waitcnt vmcnt(0)
	v_lshlrev_b32_e32 v15, 16, v15
	v_sub_f32_e32 v0, v15, v0
	v_mul_f32_e32 v0, v11, v0
	v_lshrrev_b32_e32 v15, 16, v0
.LBB688_68:
	s_or_b64 exec, exec, s[6:7]
	s_and_saveexec_b64 s[6:7], s[0:1]
	s_cbranch_execz .LBB688_70
; %bb.69:
	v_lshlrev_b32_e32 v16, 8, v9
	v_mov_b32_e32 v17, 0
	v_lshl_add_u64 v[16:17], v[4:5], 0, v[16:17]
	global_load_ushort v0, v[16:17], off
	s_waitcnt vmcnt(0)
	v_lshlrev_b32_e32 v0, 16, v0
	v_sub_f32_e32 v0, v0, v1
	v_mul_f32_e32 v0, v7, v0
	v_lshrrev_b32_e32 v14, 16, v0
.LBB688_70:
	s_or_b64 exec, exec, s[6:7]
	v_mov_b32_e32 v0, 0
	v_mov_b32_e32 v1, 0
	s_and_saveexec_b64 s[0:1], s[2:3]
	s_cbranch_execz .LBB688_72
; %bb.71:
	v_lshlrev_b32_e32 v10, 8, v10
	v_mov_b32_e32 v11, 0
	v_lshl_add_u64 v[10:11], v[4:5], 0, v[10:11]
	global_load_ushort v1, v[10:11], off
	s_waitcnt vmcnt(0)
	v_lshlrev_b32_e32 v1, 16, v1
	v_sub_f32_e32 v1, v1, v2
	v_mul_f32_e32 v1, v13, v1
	v_lshrrev_b32_e32 v1, 16, v1
.LBB688_72:
	s_or_b64 exec, exec, s[0:1]
	s_and_saveexec_b64 s[0:1], s[4:5]
	s_cbranch_execz .LBB688_74
; %bb.73:
	v_lshlrev_b32_e32 v10, 8, v12
	v_mov_b32_e32 v11, 0
	v_lshl_add_u64 v[4:5], v[4:5], 0, v[10:11]
	global_load_ushort v0, v[4:5], off
	s_waitcnt vmcnt(0)
	v_lshlrev_b32_e32 v0, 16, v0
	v_sub_f32_e32 v0, v0, v3
	v_mul_f32_e32 v0, v8, v0
	v_lshrrev_b32_e32 v0, 16, v0
.LBB688_74:
	s_or_b64 exec, exec, s[0:1]
	s_mov_b32 s0, 0x5040100
	v_lshlrev_b32_e32 v2, 1, v34
	v_perm_b32 v1, v0, v1, s0
	v_perm_b32 v0, v14, v15, s0
	v_lshl_or_b32 v2, v6, 5, v2
	ds_write_b64 v2, v[0:1] offset:38912
	s_waitcnt lgkmcnt(0)
	s_barrier
.LBB688_75:
	s_endpgm
	.section	.rodata,"a",@progbits
	.p2align	6, 0x0
	.amdhsa_kernel _ZN12_GLOBAL__N_139chunk_gated_delta_rule_fwd_h_hip_kernelILi16ELb0ELb0ELb0ELb0ELb1ELb0ELb1ELb0EEEvPK12hip_bfloat16S3_S3_PKfS5_PKvPS1_S8_PvPKiSB_iiiiilll
		.amdhsa_group_segment_fixed_size 40960
		.amdhsa_private_segment_fixed_size 0
		.amdhsa_kernarg_size 136
		.amdhsa_user_sgpr_count 2
		.amdhsa_user_sgpr_dispatch_ptr 0
		.amdhsa_user_sgpr_queue_ptr 0
		.amdhsa_user_sgpr_kernarg_segment_ptr 1
		.amdhsa_user_sgpr_dispatch_id 0
		.amdhsa_user_sgpr_kernarg_preload_length 0
		.amdhsa_user_sgpr_kernarg_preload_offset 0
		.amdhsa_user_sgpr_private_segment_size 0
		.amdhsa_uses_dynamic_stack 0
		.amdhsa_enable_private_segment 0
		.amdhsa_system_sgpr_workgroup_id_x 1
		.amdhsa_system_sgpr_workgroup_id_y 1
		.amdhsa_system_sgpr_workgroup_id_z 0
		.amdhsa_system_sgpr_workgroup_info 0
		.amdhsa_system_vgpr_workitem_id 0
		.amdhsa_next_free_vgpr 116
		.amdhsa_next_free_sgpr 61
		.amdhsa_accum_offset 108
		.amdhsa_reserve_vcc 1
		.amdhsa_float_round_mode_32 0
		.amdhsa_float_round_mode_16_64 0
		.amdhsa_float_denorm_mode_32 3
		.amdhsa_float_denorm_mode_16_64 3
		.amdhsa_dx10_clamp 1
		.amdhsa_ieee_mode 1
		.amdhsa_fp16_overflow 0
		.amdhsa_tg_split 0
		.amdhsa_exception_fp_ieee_invalid_op 0
		.amdhsa_exception_fp_denorm_src 0
		.amdhsa_exception_fp_ieee_div_zero 0
		.amdhsa_exception_fp_ieee_overflow 0
		.amdhsa_exception_fp_ieee_underflow 0
		.amdhsa_exception_fp_ieee_inexact 0
		.amdhsa_exception_int_div_zero 0
	.end_amdhsa_kernel
	.section	.text._ZN12_GLOBAL__N_139chunk_gated_delta_rule_fwd_h_hip_kernelILi16ELb0ELb0ELb0ELb0ELb1ELb0ELb1ELb0EEEvPK12hip_bfloat16S3_S3_PKfS5_PKvPS1_S8_PvPKiSB_iiiiilll,"axG",@progbits,_ZN12_GLOBAL__N_139chunk_gated_delta_rule_fwd_h_hip_kernelILi16ELb0ELb0ELb0ELb0ELb1ELb0ELb1ELb0EEEvPK12hip_bfloat16S3_S3_PKfS5_PKvPS1_S8_PvPKiSB_iiiiilll,comdat
.Lfunc_end688:
	.size	_ZN12_GLOBAL__N_139chunk_gated_delta_rule_fwd_h_hip_kernelILi16ELb0ELb0ELb0ELb0ELb1ELb0ELb1ELb0EEEvPK12hip_bfloat16S3_S3_PKfS5_PKvPS1_S8_PvPKiSB_iiiiilll, .Lfunc_end688-_ZN12_GLOBAL__N_139chunk_gated_delta_rule_fwd_h_hip_kernelILi16ELb0ELb0ELb0ELb0ELb1ELb0ELb1ELb0EEEvPK12hip_bfloat16S3_S3_PKfS5_PKvPS1_S8_PvPKiSB_iiiiilll
                                        ; -- End function
	.section	.AMDGPU.csdata,"",@progbits
; Kernel info:
; codeLenInByte = 7152
; NumSgprs: 67
; NumVgprs: 106
; NumAgprs: 8
; TotalNumVgprs: 116
; ScratchSize: 0
; MemoryBound: 0
; FloatMode: 240
; IeeeMode: 1
; LDSByteSize: 40960 bytes/workgroup (compile time only)
; SGPRBlocks: 8
; VGPRBlocks: 14
; NumSGPRsForWavesPerEU: 67
; NumVGPRsForWavesPerEU: 116
; AccumOffset: 108
; Occupancy: 1
; WaveLimiterHint : 1
; COMPUTE_PGM_RSRC2:SCRATCH_EN: 0
; COMPUTE_PGM_RSRC2:USER_SGPR: 2
; COMPUTE_PGM_RSRC2:TRAP_HANDLER: 0
; COMPUTE_PGM_RSRC2:TGID_X_EN: 1
; COMPUTE_PGM_RSRC2:TGID_Y_EN: 1
; COMPUTE_PGM_RSRC2:TGID_Z_EN: 0
; COMPUTE_PGM_RSRC2:TIDIG_COMP_CNT: 0
; COMPUTE_PGM_RSRC3_GFX90A:ACCUM_OFFSET: 26
; COMPUTE_PGM_RSRC3_GFX90A:TG_SPLIT: 0
	.section	.text._ZN12_GLOBAL__N_139chunk_gated_delta_rule_fwd_h_hip_kernelILi16ELb1ELb1ELb1ELb1ELb1ELb0ELb0ELb0EEEvPK12hip_bfloat16S3_S3_PKfS5_PKvPS1_S8_PvPKiSB_iiiiilll,"axG",@progbits,_ZN12_GLOBAL__N_139chunk_gated_delta_rule_fwd_h_hip_kernelILi16ELb1ELb1ELb1ELb1ELb1ELb0ELb0ELb0EEEvPK12hip_bfloat16S3_S3_PKfS5_PKvPS1_S8_PvPKiSB_iiiiilll,comdat
	.globl	_ZN12_GLOBAL__N_139chunk_gated_delta_rule_fwd_h_hip_kernelILi16ELb1ELb1ELb1ELb1ELb1ELb0ELb0ELb0EEEvPK12hip_bfloat16S3_S3_PKfS5_PKvPS1_S8_PvPKiSB_iiiiilll ; -- Begin function _ZN12_GLOBAL__N_139chunk_gated_delta_rule_fwd_h_hip_kernelILi16ELb1ELb1ELb1ELb1ELb1ELb0ELb0ELb0EEEvPK12hip_bfloat16S3_S3_PKfS5_PKvPS1_S8_PvPKiSB_iiiiilll
	.p2align	8
	.type	_ZN12_GLOBAL__N_139chunk_gated_delta_rule_fwd_h_hip_kernelILi16ELb1ELb1ELb1ELb1ELb1ELb0ELb0ELb0EEEvPK12hip_bfloat16S3_S3_PKfS5_PKvPS1_S8_PvPKiSB_iiiiilll,@function
_ZN12_GLOBAL__N_139chunk_gated_delta_rule_fwd_h_hip_kernelILi16ELb1ELb1ELb1ELb1ELb1ELb0ELb0ELb0EEEvPK12hip_bfloat16S3_S3_PKfS5_PKvPS1_S8_PvPKiSB_iiiiilll: ; @_ZN12_GLOBAL__N_139chunk_gated_delta_rule_fwd_h_hip_kernelILi16ELb1ELb1ELb1ELb1ELb1ELb0ELb0ELb0EEEvPK12hip_bfloat16S3_S3_PKfS5_PKvPS1_S8_PvPKiSB_iiiiilll
; %bb.0:
	s_load_dwordx4 s[20:23], s[0:1], 0x5c
	s_load_dwordx4 s[4:7], s[0:1], 0x48
	s_abs_i32 s9, s3
	s_ashr_i32 s8, s3, 31
	v_and_b32_e32 v56, 15, v0
	s_waitcnt lgkmcnt(0)
	s_abs_i32 s10, s21
	v_cvt_f32_u32_e32 v1, s10
	s_sub_i32 s12, 0, s10
	s_ashr_i32 s11, s21, 31
	s_xor_b32 s8, s8, s11
	v_rcp_iflag_f32_e32 v1, v1
	v_bfe_u32 v55, v0, 4, 2
	v_mov_b32_e32 v45, 0
	v_lshlrev_b32_e32 v57, 3, v0
	v_mul_f32_e32 v1, 0x4f7ffffe, v1
	v_cvt_u32_f32_e32 v1, v1
	s_nop 0
	v_readfirstlane_b32 s13, v1
	s_mul_i32 s12, s12, s13
	s_mul_hi_u32 s12, s13, s12
	s_add_i32 s13, s13, s12
	s_mul_hi_u32 s12, s9, s13
	s_mul_i32 s13, s12, s10
	s_sub_i32 s9, s9, s13
	s_add_i32 s14, s12, 1
	s_sub_i32 s13, s9, s10
	s_cmp_ge_u32 s9, s10
	s_cselect_b32 s12, s14, s12
	s_cselect_b32 s9, s13, s9
	s_add_i32 s13, s12, 1
	s_cmp_ge_u32 s9, s10
	s_cselect_b32 s9, s13, s12
	s_xor_b32 s9, s9, s8
	s_sub_i32 s24, s9, s8
	s_mul_i32 s12, s24, s21
	s_ashr_i32 s25, s24, 31
	s_sub_i32 s51, s3, s12
	s_lshl_b64 s[8:9], s[24:25], 2
	s_add_u32 s4, s4, s8
	s_addc_u32 s5, s5, s9
	s_add_u32 s26, s6, s8
	s_addc_u32 s27, s7, s9
	s_abs_i32 s3, s22
	v_cvt_f32_u32_e32 v1, s3
	s_load_dwordx2 s[38:39], s[4:5], 0x0
	s_sub_i32 s5, 0, s3
	s_lshl_b32 s2, s2, 4
	v_rcp_iflag_f32_e32 v1, v1
	v_or_b32_e32 v46, s2, v56
	s_waitcnt lgkmcnt(0)
	s_sub_i32 s54, s39, s38
	s_ashr_i32 s4, s54, 31
	v_mul_f32_e32 v1, 0x4f7ffffe, v1
	v_cvt_u32_f32_e32 v1, v1
	s_lshr_b32 s4, s4, 26
	s_add_i32 s4, s54, s4
	s_ashr_i32 s52, s4, 6
	v_readfirstlane_b32 s6, v1
	s_mul_i32 s5, s5, s6
	s_mul_hi_u32 s5, s6, s5
	s_add_i32 s6, s6, s5
	s_mul_hi_u32 s5, s10, s6
	s_mul_i32 s6, s5, s3
	s_ashr_i32 s4, s22, 31
	s_sub_i32 s6, s10, s6
	s_xor_b32 s4, s11, s4
	s_add_i32 s7, s5, 1
	s_sub_i32 s8, s6, s3
	s_cmp_ge_u32 s6, s3
	s_cselect_b32 s5, s7, s5
	s_cselect_b32 s6, s8, s6
	s_add_i32 s7, s5, 1
	s_cmp_ge_u32 s6, s3
	s_cselect_b32 s3, s7, s5
	s_xor_b32 s3, s3, s4
	s_sub_i32 s3, s3, s4
	s_abs_i32 s13, s3
	v_cvt_f32_u32_e32 v1, s13
	s_sub_i32 s15, 0, s13
	s_abs_i32 s14, s51
	s_xor_b32 s3, s51, s3
	v_rcp_iflag_f32_e32 v2, v1
	s_ashr_i32 s3, s3, 31
	s_load_dwordx8 s[4:11], s[0:1], 0x28
	v_lshrrev_b32_e32 v1, 6, v0
	v_mul_f32_e32 v2, 0x4f7ffffe, v2
	v_cvt_u32_f32_e32 v2, v2
	v_lshlrev_b32_e32 v54, 4, v1
	v_lshlrev_b32_e32 v42, 7, v46
	v_lshl_or_b32 v59, v55, 2, v54
	v_readfirstlane_b32 s16, v2
	s_mul_i32 s15, s15, s16
	s_mul_hi_u32 s15, s16, s15
	s_add_i32 s16, s16, s15
	s_mul_hi_u32 s15, s14, s16
	s_mul_i32 s16, s15, s13
	s_sub_i32 s14, s14, s16
	s_add_i32 s16, s15, 1
	s_sub_i32 s17, s14, s13
	s_cmp_ge_u32 s14, s13
	s_cselect_b32 s15, s16, s15
	s_cselect_b32 s14, s17, s14
	s_add_i32 s16, s15, 1
	s_cmp_ge_u32 s14, s13
	s_cselect_b32 s13, s16, s15
	s_xor_b32 s13, s13, s3
	s_sub_i32 s55, s13, s3
	s_ashr_i32 s53, s51, 31
	s_mul_hi_i32 s3, s24, s21
	s_add_u32 s12, s12, s51
	s_addc_u32 s13, s3, s53
	s_lshl_b64 s[34:35], s[12:13], 16
	s_waitcnt lgkmcnt(0)
	s_add_u32 s4, s4, s34
	s_addc_u32 s5, s5, s35
	v_ashrrev_i32_e32 v43, 31, v42
	v_lshl_add_u64 v[2:3], v[42:43], 2, s[4:5]
	v_lshlrev_b32_e32 v44, 2, v59
	v_lshl_add_u64 v[10:11], v[2:3], 0, v[44:45]
	global_load_dwordx4 v[2:5], v[10:11], off
	global_load_dwordx4 v[6:9], v[10:11], off offset:256
	s_load_dwordx8 s[12:19], s[0:1], 0x0
	s_load_dwordx2 s[36:37], s[0:1], 0x80
	s_load_dwordx4 s[28:31], s[0:1], 0x70
	s_load_dword s58, s[26:27], 0x0
	v_and_b32_e32 v45, 63, v0
	v_lshrrev_b32_e32 v58, 3, v45
	v_or_b32_e32 v60, 64, v59
	s_waitcnt lgkmcnt(0)
	s_mul_i32 s33, s24, s29
	s_mul_hi_u32 s46, s24, s28
	s_mul_i32 s42, s24, s28
	s_mul_i32 s47, s25, s28
	s_mul_hi_i32 s56, s51, s20
	s_mul_i32 s57, s51, s20
	s_mul_i32 s48, s51, s31
	s_mul_hi_u32 s49, s51, s30
	s_mul_i32 s50, s53, s30
	s_cmp_lt_i32 s54, 64
	s_mul_i32 s40, s51, s30
	s_waitcnt vmcnt(1)
	v_mov_b32_e32 v62, v5
	s_waitcnt vmcnt(0)
	v_mov_b32_e32 v61, v9
	s_cbranch_scc1 .LBB689_3
; %bb.1:
	s_ashr_i32 s1, s38, 31
	s_add_u32 s0, s57, s38
	s_addc_u32 s1, s56, s1
	s_lshl_b64 s[0:1], s[0:1], 8
	v_and_b32_e32 v64, 56, v57
	s_add_u32 s24, s14, s0
	v_lshl_or_b32 v63, v1, 3, v58
	v_lshlrev_b32_e32 v5, 1, v64
	s_addc_u32 s0, s15, s1
	v_lshl_or_b32 v65, v63, 8, v5
	s_and_b32 s25, s0, 0xffff
	s_mov_b32 s27, 0x20000
	s_movk_i32 s26, 0x4000
	s_movk_i32 s0, 0x80
	v_or_b32_e32 v66, 0x2000, v65
	buffer_load_dwordx4 v[10:13], v65, s[24:27], 0 offen
	buffer_load_dwordx4 v[14:17], v65, s[24:27], s0 offen
	;; [unrolled: 1-line block ×4, first 2 shown]
	v_lshlrev_b32_e32 v9, 3, v63
	v_and_or_b32 v27, v0, 7, v9
	v_and_b32_e32 v9, 0x78, v9
	v_lshlrev_b32_e32 v27, 4, v27
	v_xor_b32_e32 v67, v27, v9
	v_mul_lo_u32 v26, v63, s23
	v_or_b32_e32 v68, 0x1000, v67
	v_xor_b32_e32 v9, 8, v67
	s_cmpk_eq_i32 s23, 0x80
	s_mov_b32 s59, s38
	v_xor_b32_e32 v27, 8, v68
	s_cselect_b64 s[0:1], -1, 0
	s_cmpk_lg_i32 s23, 0x80
	s_waitcnt vmcnt(3)
	ds_write_b64 v67, v[10:11] offset:16384
	ds_write_b64 v9, v[12:13] offset:16384
	s_waitcnt vmcnt(2)
	ds_write_b64 v67, v[14:15] offset:24576
	ds_write_b64 v9, v[16:17] offset:24576
	;; [unrolled: 3-line block ×4, first 2 shown]
	v_lshl_add_u32 v9, v26, 1, v64
	s_cbranch_scc0 .LBB689_29
; %bb.2:
	v_lshlrev_b32_e32 v11, 1, v9
	v_add_lshl_u32 v10, v9, s23, 1
	s_lshl_b32 s26, s23, 7
	v_lshl_or_b32 v5, v63, 9, v5
	s_cbranch_execz .LBB689_30
	s_branch .LBB689_31
.LBB689_3:
	v_mov_b32_e32 v9, v61
	v_mov_b32_e32 v5, v62
.LBB689_4:
	s_lshl_b32 s31, s52, 6
	s_sub_i32 s30, s54, s31
	s_cmp_gt_i32 s30, 0
	s_cbranch_scc0 .LBB689_76
; %bb.5:
	s_add_i32 s31, s31, s38
	s_ashr_i32 s3, s31, 31
	s_cmpk_lg_i32 s23, 0x80
	s_cselect_b64 s[26:27], -1, 0
	s_and_b64 vcc, exec, s[26:27]
	s_cbranch_vccz .LBB689_7
; %bb.6:
	s_mul_i32 s1, s31, s22
	s_ashr_i32 s4, s55, 31
	s_mul_hi_i32 s0, s31, s22
	s_add_u32 s28, s1, s55
	s_addc_u32 s29, s0, s4
	s_cbranch_execz .LBB689_8
	s_branch .LBB689_9
.LBB689_7:
                                        ; implicit-def: $sgpr28_sgpr29
.LBB689_8:
	s_mul_i32 s1, s55, s20
	s_mul_hi_i32 s0, s55, s20
	s_add_u32 s28, s1, s31
	s_addc_u32 s29, s0, s3
.LBB689_9:
	s_add_i32 s4, s52, s58
	s_add_u32 s0, s57, s31
	s_addc_u32 s1, s56, s3
	s_mov_b32 s3, 0x7060302
	v_lshlrev_b32_e32 v14, 3, v56
	s_lshl_b64 s[24:25], s[0:1], 8
	v_perm_b32 v11, v5, v4, s3
	v_perm_b32 v10, v3, v2, s3
	;; [unrolled: 1-line block ×4, first 2 shown]
	v_lshlrev_b32_e32 v48, 2, v56
	v_lshl_or_b32 v14, v59, 5, v14
	s_add_u32 s0, s14, s24
	ds_write2st64_b64 v14, v[10:11], v[12:13] offset0:72 offset1:76
	v_xor_b32_e32 v14, v59, v48
	v_lshlrev_b32_e32 v15, 8, v56
	s_addc_u32 s1, s15, s25
	v_lshl_or_b32 v14, v14, 1, v15
	s_mul_hi_i32 s3, s4, s21
	s_mul_i32 s4, s4, s21
	ds_write_b64 v14, v[10:11] offset:32768
	v_xor_b32_e32 v10, v60, v48
	s_add_u32 s4, s4, s51
	v_lshl_or_b32 v10, v10, 1, v15
	s_addc_u32 s5, s3, s53
	v_lshlrev_b32_e32 v11, 1, v56
	ds_write_b64 v10, v[12:13] offset:32768
	v_lshrrev_b32_e32 v10, 4, v0
	s_ashr_i32 s3, s2, 31
	s_lshl_b64 s[4:5], s[4:5], 15
	v_or_b32_e32 v12, 1, v11
	s_add_u32 s4, s6, s4
	v_xor_b32_e32 v11, v10, v11
	v_xor_b32_e32 v12, v12, v10
	v_lshlrev_b32_e32 v14, 8, v10
	s_addc_u32 s5, s7, s5
	s_lshl_b64 s[2:3], s[2:3], 8
	v_lshl_or_b32 v10, v11, 3, v14
	v_lshl_or_b32 v12, v12, 3, v14
	s_waitcnt lgkmcnt(0)
	s_barrier
	s_add_u32 s2, s4, s2
	ds_read_b64 v[10:11], v10 offset:32768
	ds_read_b64 v[12:13], v12 offset:32768
	s_addc_u32 s3, s5, s3
	v_mov_b32_e32 v15, 0
	s_cmp_lg_u32 s30, 64
	v_lshl_add_u64 v[16:17], s[2:3], 0, v[14:15]
	v_lshlrev_b32_e32 v14, 4, v56
	s_cselect_b64 s[14:15], -1, 0
	v_lshl_or_b32 v47, v1, 3, v58
	s_mov_b32 s4, 0
	v_lshl_add_u64 v[14:15], v[16:17], 0, v[14:15]
	s_waitcnt vmcnt(1)
	v_or_b32_e32 v27, 32, v47
	v_and_b32_e32 v26, 56, v57
	s_and_b64 vcc, exec, s[14:15]
	s_waitcnt lgkmcnt(0)
	global_store_dwordx4 v[14:15], v[10:13], off
	s_cbranch_vccz .LBB689_15
; %bb.10:
	s_mov_b32 s6, s4
	s_mov_b32 s7, s4
	;; [unrolled: 1-line block ×3, first 2 shown]
	v_mov_b64_e32 v[16:17], s[6:7]
	v_mov_b64_e32 v[14:15], s[4:5]
	;; [unrolled: 1-line block ×3, first 2 shown]
	v_cmp_gt_i32_e32 vcc, s30, v47
	v_mov_b64_e32 v[12:13], v[16:17]
	s_and_saveexec_b64 s[2:3], vcc
	s_cbranch_execz .LBB689_12
; %bb.11:
	v_lshlrev_b32_e32 v10, 8, v47
	v_mov_b32_e32 v11, 0
	v_lshl_add_u64 v[12:13], s[0:1], 0, v[10:11]
	v_lshlrev_b32_e32 v10, 1, v26
	v_lshl_add_u64 v[18:19], v[12:13], 0, v[10:11]
	global_load_dwordx4 v[14:17], v[18:19], off
	global_load_dwordx4 v[10:13], v[18:19], off offset:128
.LBB689_12:
	s_or_b64 exec, exec, s[2:3]
	s_mov_b32 s6, s4
	s_mov_b32 s7, s4
	;; [unrolled: 1-line block ×3, first 2 shown]
	v_mov_b64_e32 v[24:25], s[6:7]
	v_mov_b64_e32 v[22:23], s[4:5]
	;; [unrolled: 1-line block ×3, first 2 shown]
	v_cmp_gt_i32_e32 vcc, s30, v27
	v_lshlrev_b32_e32 v28, 7, v27
	v_mov_b64_e32 v[20:21], v[24:25]
	s_and_saveexec_b64 s[2:3], vcc
	s_cbranch_execz .LBB689_14
; %bb.13:
	v_lshlrev_b32_e32 v18, 1, v28
	v_mov_b32_e32 v19, 0
	v_lshl_add_u64 v[20:21], s[0:1], 0, v[18:19]
	v_lshlrev_b32_e32 v18, 1, v26
	v_lshl_add_u64 v[30:31], v[20:21], 0, v[18:19]
	global_load_dwordx4 v[22:25], v[30:31], off
	global_load_dwordx4 v[18:21], v[30:31], off offset:128
.LBB689_14:
	s_or_b64 exec, exec, s[2:3]
	v_lshrrev_b32_e32 v29, 3, v26
	v_lshlrev_b32_e32 v30, 3, v47
	v_or_b32_e32 v29, v30, v29
	v_lshlrev_b32_e32 v29, 4, v29
	v_and_b32_e32 v30, 0x78, v30
	v_xor_b32_e32 v29, v29, v30
	s_branch .LBB689_17
.LBB689_15:
                                        ; implicit-def: $vgpr29
                                        ; implicit-def: $vgpr28
                                        ; implicit-def: $vgpr14_vgpr15_vgpr16_vgpr17
                                        ; implicit-def: $vgpr10_vgpr11_vgpr12_vgpr13
                                        ; implicit-def: $vgpr22_vgpr23_vgpr24_vgpr25
                                        ; implicit-def: $vgpr18_vgpr19_vgpr20_vgpr21
	s_cbranch_execz .LBB689_17
; %bb.16:
	s_waitcnt vmcnt(0)
	v_lshlrev_b32_e32 v10, 1, v26
	v_lshl_or_b32 v28, v47, 8, v10
	s_and_b32 s1, s1, 0xffff
	s_mov_b32 s3, 0x20000
	s_movk_i32 s2, 0x4000
	v_lshl_or_b32 v29, v27, 8, v10
	s_movk_i32 s4, 0x80
	buffer_load_dwordx4 v[14:17], v28, s[0:3], 0 offen
	buffer_load_dwordx4 v[10:13], v28, s[0:3], s4 offen
	;; [unrolled: 1-line block ×4, first 2 shown]
	v_lshrrev_b32_e32 v28, 3, v26
	v_lshlrev_b32_e32 v29, 3, v47
	v_or_b32_e32 v28, v29, v28
	v_lshlrev_b32_e32 v28, 4, v28
	v_and_b32_e32 v29, 0x78, v29
	v_xor_b32_e32 v29, v28, v29
	v_lshlrev_b32_e32 v28, 7, v27
.LBB689_17:
	s_lshl_b64 s[0:1], s[28:29], 8
	s_add_u32 s4, s12, s0
	s_movk_i32 s0, 0x1000
	v_and_or_b32 v27, v28, s0, v29
	s_waitcnt vmcnt(1)
	ds_write_b64 v29, v[14:15] offset:16384
	v_xor_b32_e32 v14, 8, v29
	ds_write_b64 v14, v[16:17] offset:16384
	s_waitcnt vmcnt(0)
	ds_write_b64 v29, v[10:11] offset:24576
	ds_write_b64 v14, v[12:13] offset:24576
	ds_write_b64 v27, v[22:23] offset:16384
	v_xor_b32_e32 v10, 8, v27
	ds_write_b64 v10, v[24:25] offset:16384
	ds_write_b64 v27, v[18:19] offset:24576
	;; [unrolled: 1-line block ×3, first 2 shown]
	v_or_b32_e32 v10, v54, v56
	v_lshlrev_b32_e32 v10, 3, v10
	v_lshrrev_b32_e32 v12, 5, v45
	s_movk_i32 s6, 0xf8
	v_and_or_b32 v12, v10, s6, v12
	v_lshlrev_b32_e32 v49, 11, v1
	v_lshlrev_b32_e32 v20, 4, v12
	v_and_b32_e32 v21, 0x78, v10
	v_and_b32_e32 v22, 0x1000, v49
	v_lshlrev_b32_e32 v11, 2, v0
	v_xor_b32_e32 v10, v20, v21
	v_lshrrev_b32_e32 v12, 1, v45
	v_and_b32_e32 v11, 60, v11
	v_or_b32_e32 v10, v10, v22
	v_and_b32_e32 v23, 8, v12
	v_xor_b32_e32 v34, v10, v23
	v_lshl_or_b32 v10, v55, 6, v11
	v_lshlrev_b32_e32 v50, 1, v10
	v_or_b32_e32 v10, 32, v20
	v_xor_b32_e32 v10, v10, v21
	s_waitcnt lgkmcnt(0)
	s_barrier
	ds_read_b64 v[18:19], v34 offset:16384
	v_or_b32_e32 v10, v10, v22
	v_xor_b32_e32 v35, v10, v23
	v_or_b32_e32 v10, 64, v20
	v_xor_b32_e32 v10, v10, v21
	v_or_b32_e32 v10, v10, v22
	v_or_b32_e32 v20, 0x60, v20
	v_xor_b32_e32 v36, v10, v23
	ds_read2st64_b64 v[10:13], v50 offset0:72 offset1:73
	ds_read2st64_b64 v[14:17], v50 offset0:74 offset1:75
	v_xor_b32_e32 v24, v20, v21
	ds_read_b64 v[20:21], v35 offset:16384
	s_addc_u32 s5, s13, s1
	s_add_i32 s1, s46, s33
	s_waitcnt lgkmcnt(2)
	v_mfma_f32_16x16x16_bf16 a[0:3], v[18:19], v[10:11], 0
	s_add_i32 s0, s39, -1
	s_add_i32 s43, s1, s47
	s_add_i32 s1, s49, s48
	;; [unrolled: 1-line block ×3, first 2 shown]
	s_ashr_i32 s1, s0, 31
	s_mul_i32 s2, s0, s37
	s_mul_hi_u32 s3, s0, s36
	s_add_i32 s2, s3, s2
	s_mul_i32 s1, s1, s36
	v_or_b32_e32 v22, v24, v22
	s_add_i32 s1, s2, s1
	s_lshl_b64 s[2:3], s[42:43], 2
	v_xor_b32_e32 v51, v22, v23
	ds_read_b64 v[22:23], v36 offset:16384
	ds_read_b64 v[24:25], v51 offset:16384
	s_waitcnt lgkmcnt(2)
	v_mfma_f32_16x16x16_bf16 a[0:3], v[20:21], v[12:13], a[0:3]
	s_add_u32 s6, s18, s2
	s_addc_u32 s7, s19, s3
	s_lshl_b64 s[2:3], s[40:41], 2
	s_mul_i32 s0, s0, s36
	s_add_u32 s12, s6, s2
	s_addc_u32 s13, s7, s3
	s_lshl_b64 s[0:1], s[0:1], 2
	s_waitcnt lgkmcnt(1)
	v_mfma_f32_16x16x16_bf16 a[0:3], v[22:23], v[14:15], a[0:3]
	s_add_u32 s0, s12, s0
	s_addc_u32 s1, s13, s1
	s_load_dword s18, s[0:1], 0x0
	s_waitcnt lgkmcnt(0)
	v_mfma_f32_16x16x16_bf16 a[0:3], v[24:25], v[16:17], a[0:3]
	s_and_b64 vcc, exec, s[26:27]
	s_cbranch_vccz .LBB689_28
; %bb.18:
	v_lshlrev_b32_e32 v27, 1, v47
	s_and_b64 vcc, exec, s[14:15]
	s_cbranch_vccz .LBB689_44
; %bb.19:
	v_cmp_gt_i32_e32 vcc, s30, v27
	v_mov_b32_e32 v14, 0
	v_mov_b32_e32 v10, 0
	;; [unrolled: 1-line block ×5, first 2 shown]
	s_and_saveexec_b64 s[0:1], vcc
	s_cbranch_execz .LBB689_21
; %bb.20:
	v_mad_i64_i32 v[10:11], s[2:3], s23, v27, 0
	v_lshl_add_u64 v[10:11], v[10:11], 1, s[4:5]
	v_lshlrev_b32_e32 v12, 1, v26
	v_mov_b32_e32 v13, 0
	v_lshl_add_u64 v[10:11], v[10:11], 0, v[12:13]
	global_load_dwordx4 v[10:13], v[10:11], off
.LBB689_21:
	s_or_b64 exec, exec, s[0:1]
	v_or_b32_e32 v28, 1, v27
	v_cmp_gt_i32_e64 s[0:1], s30, v28
	v_mov_b32_e32 v15, 0
	v_mov_b32_e32 v16, 0
	;; [unrolled: 1-line block ×3, first 2 shown]
	s_and_saveexec_b64 s[2:3], s[0:1]
	s_cbranch_execz .LBB689_23
; %bb.22:
	v_mad_i64_i32 v[14:15], s[6:7], s23, v28, 0
	v_lshl_add_u64 v[14:15], v[14:15], 1, s[4:5]
	v_lshlrev_b32_e32 v16, 1, v26
	v_mov_b32_e32 v17, 0
	v_lshl_add_u64 v[14:15], v[14:15], 0, v[16:17]
	global_load_dwordx4 v[14:17], v[14:15], off
.LBB689_23:
	s_or_b64 exec, exec, s[2:3]
	v_mov_b32_e32 v25, 0
	v_mov_b32_e32 v18, 0
	;; [unrolled: 1-line block ×5, first 2 shown]
	s_and_saveexec_b64 s[2:3], vcc
	s_cbranch_execz .LBB689_25
; %bb.24:
	v_mad_i64_i32 v[18:19], s[6:7], s23, v27, 0
	v_lshl_add_u64 v[18:19], v[18:19], 1, s[4:5]
	v_lshlrev_b32_e32 v20, 1, v26
	v_mov_b32_e32 v21, 0
	v_lshl_add_u64 v[18:19], v[18:19], 0, v[20:21]
	global_load_dwordx4 v[18:21], v[18:19], off offset:128
.LBB689_25:
	s_or_b64 exec, exec, s[2:3]
	v_mov_b32_e32 v24, 0
	v_mov_b32_e32 v23, 0
	;; [unrolled: 1-line block ×3, first 2 shown]
	s_and_saveexec_b64 s[2:3], s[0:1]
	s_cbranch_execz .LBB689_27
; %bb.26:
	v_mad_i64_i32 v[22:23], s[0:1], s23, v28, 0
	v_lshl_add_u64 v[22:23], v[22:23], 1, s[4:5]
	v_lshlrev_b32_e32 v24, 1, v26
	v_mov_b32_e32 v25, 0
	v_lshl_add_u64 v[22:23], v[22:23], 0, v[24:25]
	global_load_dwordx4 v[22:25], v[22:23], off offset:128
.LBB689_27:
	s_or_b64 exec, exec, s[2:3]
	s_branch .LBB689_46
.LBB689_28:
                                        ; implicit-def: $vgpr13
                                        ; implicit-def: $vgpr17
                                        ; implicit-def: $vgpr21
                                        ; implicit-def: $vgpr25
	v_lshrrev_b32_e32 v45, 2, v45
	s_branch .LBB689_47
.LBB689_29:
                                        ; implicit-def: $vgpr10
                                        ; implicit-def: $vgpr11
                                        ; implicit-def: $sgpr26
	v_lshl_or_b32 v5, v63, 9, v5
.LBB689_30:
	v_or_b32_e32 v10, 0x100, v5
	s_movk_i32 s26, 0x4000
	v_mov_b32_e32 v11, v5
.LBB689_31:
	s_mul_i32 s4, s38, s22
	s_ashr_i32 s60, s55, 31
	s_mul_hi_i32 s3, s38, s22
	s_add_u32 s4, s4, s55
	s_addc_u32 s5, s3, s60
	s_lshl_b64 s[4:5], s[4:5], 8
	s_add_u32 s24, s12, s4
	s_addc_u32 s3, s13, s5
	s_and_b32 s25, s3, 0xffff
	s_movk_i32 s61, 0x80
	buffer_load_dwordx4 v[12:15], v11, s[24:27], 0 offen
	buffer_load_dwordx4 v[16:19], v11, s[24:27], s61 offen
	;; [unrolled: 1-line block ×4, first 2 shown]
	v_and_b32_e32 v10, 6, v0
	v_lshlrev_b32_e32 v28, 2, v56
	v_lshlrev_b32_e32 v29, 3, v56
	v_xor_b32_e32 v32, v63, v10
	v_and_b32_e32 v11, 1, v0
	v_lshl_or_b32 v29, v59, 5, v29
	v_xor_b32_e32 v33, v59, v28
	v_lshlrev_b32_e32 v32, 2, v32
	v_or_b32_e32 v69, 0x9000, v29
	v_or_b32_e32 v70, 0x9800, v29
	v_lshlrev_b32_e32 v29, 1, v33
	v_xor_b32_e32 v33, 0x440, v32
	v_cmp_eq_u32_e32 vcc, 0, v11
	s_add_i32 s3, s46, s33
	s_add_i32 s4, s49, s48
	v_cndmask_b32_e32 v11, v33, v32, vcc
	s_add_i32 s43, s3, s47
	v_lshl_or_b32 v10, v10, 10, v11
	s_add_i32 s41, s4, s50
	s_lshl_b64 s[4:5], s[42:43], 2
	s_mov_b32 s62, 0x1000504
	v_lshlrev_b32_e32 v30, 8, v56
	s_mov_b32 s26, 0x8000
	v_xor_b32_e32 v28, v60, v28
	v_xor_b32_e32 v11, 8, v10
	s_add_u32 s3, s18, s4
	s_mov_b32 s63, 0x3020706
	v_or_b32_e32 v31, v54, v56
	v_lshlrev_b32_e32 v28, 1, v28
	v_or3_b32 v71, v29, v30, s26
	v_xor_b32_e32 v29, 24, v10
	v_xor_b32_e32 v32, 40, v10
	;; [unrolled: 1-line block ×3, first 2 shown]
	v_add_u32_e32 v11, 0x80, v11
	s_addc_u32 s24, s19, s5
	s_lshl_b64 s[4:5], s[40:41], 2
	v_lshlrev_b32_e32 v31, 3, v31
	v_or3_b32 v72, v28, v30, s26
	v_xor_b32_e32 v28, 16, v10
	v_xor_b32_e32 v30, 32, v10
	;; [unrolled: 1-line block ×3, first 2 shown]
	v_add_u32_e32 v29, 0x80, v29
	v_add_u32_e32 v32, 0x80, v32
	;; [unrolled: 1-line block ×3, first 2 shown]
	s_add_u32 s4, s3, s4
	s_movk_i32 s3, 0xf8
	s_addc_u32 s5, s24, s5
	v_ashrrev_i32_e32 v47, 31, v46
	s_lshl_b32 s30, s23, 7
	s_mov_b32 s64, 0
	s_waitcnt vmcnt(1)
	v_perm_b32 v35, v12, v20, s62
	s_waitcnt vmcnt(0)
	v_perm_b32 v36, v16, v24, s62
	v_perm_b32 v12, v12, v20, s63
	;; [unrolled: 1-line block ×15, first 2 shown]
	ds_write2st64_b32 v10, v35, v36 offset1:32
	ds_write2st64_b32 v11, v12, v16 offset1:32
	ds_write2st64_b32 v28, v20, v24 offset0:1 offset1:33
	ds_write2st64_b32 v29, v13, v17 offset0:1 offset1:33
	;; [unrolled: 1-line block ×6, first 2 shown]
	v_lshrrev_b32_e32 v11, 5, v45
	v_and_or_b32 v11, v31, s3, v11
	v_lshlrev_b32_e32 v11, 4, v11
	v_lshlrev_b32_e32 v18, 11, v1
	v_and_b32_e32 v12, 0x78, v31
	v_or_b32_e32 v15, 32, v11
	v_and_b32_e32 v10, 0x1000, v18
	v_lshrrev_b32_e32 v19, 1, v0
	v_xor_b32_e32 v15, v15, v12
	v_and_b32_e32 v14, 8, v19
	v_or_b32_e32 v15, v15, v10
	v_xor_b32_e32 v13, v11, v12
	v_xor_b32_e32 v75, v15, v14
	v_or_b32_e32 v15, 64, v11
	v_or_b32_e32 v11, 0x60, v11
	v_xor_b32_e32 v15, v15, v12
	v_xor_b32_e32 v11, v11, v12
	v_or_b32_e32 v13, v13, v10
	v_or_b32_e32 v15, v15, v10
	;; [unrolled: 1-line block ×3, first 2 shown]
	v_xor_b32_e32 v73, v13, v14
	v_xor_b32_e32 v76, v15, v14
	;; [unrolled: 1-line block ×3, first 2 shown]
	v_lshrrev_b32_e32 v14, 4, v0
	v_lshlrev_b32_e32 v15, 1, v56
	s_ashr_i32 s3, s2, 31
	v_or_b32_e32 v16, 1, v15
	v_xor_b32_e32 v15, v14, v15
	s_lshl_b64 s[24:25], s[2:3], 8
	v_xor_b32_e32 v16, v16, v14
	v_lshlrev_b32_e32 v15, 3, v15
	v_lshlrev_b32_e32 v14, 8, v14
	v_lshlrev_b64 v[10:11], 1, v[46:47]
	s_add_u32 s24, s6, s24
	v_or3_b32 v47, v15, v14, s26
	v_lshlrev_b32_e32 v15, 3, v16
	s_addc_u32 s25, s7, s25
	v_or3_b32 v79, v15, v14, s26
	v_mov_b32_e32 v15, 0
	v_lshl_add_u64 v[16:17], s[24:25], 0, v[14:15]
	v_lshlrev_b32_e32 v14, 4, v56
	s_movk_i32 s3, 0xff
	v_lshlrev_b32_e32 v23, 3, v1
	v_and_b32_e32 v19, 24, v19
	v_lshl_add_u64 v[48:49], v[16:17], 0, v[14:15]
	v_and_b32_e32 v16, 8, v0
	v_cmp_lt_u32_e32 vcc, s3, v0
	v_xor_b32_e32 v24, v23, v19
	v_or_b32_e32 v25, 0x440, v24
	v_cndmask_b32_e64 v22, 0, 1, vcc
	v_cmp_eq_u32_e32 vcc, 0, v16
	v_and_b32_e32 v14, 7, v0
	v_lshlrev_b32_e32 v17, 3, v14
	v_cndmask_b32_e32 v16, v25, v24, vcc
	v_lshlrev_b32_e32 v14, 7, v14
	v_or_b32_e32 v16, v16, v18
	v_xad_u32 v80, v16, v17, v14
	v_or_b32_e32 v16, 32, v19
	v_xor_b32_e32 v16, v23, v16
	v_or_b32_e32 v24, 0x440, v16
	v_cndmask_b32_e32 v16, v24, v16, vcc
	v_or_b32_e32 v16, v16, v18
	v_xad_u32 v81, v16, v17, v14
	v_or_b32_e32 v16, 64, v19
	v_xor_b32_e32 v16, v23, v16
	v_xor_b32_e32 v24, 0x440, v16
	v_cndmask_b32_e32 v16, v24, v16, vcc
	v_or_b32_e32 v16, v16, v18
	v_xad_u32 v82, v16, v17, v14
	v_or_b32_e32 v16, 0x60, v19
	v_xor_b32_e32 v16, v23, v16
	v_xor_b32_e32 v19, 0x440, v16
	v_and_b32_e32 v13, 0x78, v57
	v_cndmask_b32_e32 v16, v19, v16, vcc
	v_lshl_or_b32 v13, v55, 7, v13
	v_or_b32_e32 v16, v16, v18
	v_or_b32_e32 v74, 0x9000, v13
	v_or_b32_e32 v78, 0x9800, v13
	v_lshl_add_u64 v[12:13], s[16:17], 0, v[10:11]
	v_lshl_add_u64 v[10:11], s[8:9], 0, v[10:11]
	v_lshlrev_b32_e32 v20, 1, v9
	v_add_lshl_u32 v9, v9, s23, 1
	v_or_b32_e32 v21, 0x100, v5
	v_lshlrev_b32_e32 v22, 13, v22
	v_xad_u32 v83, v16, v17, v14
	v_lshlrev_b32_e32 v14, 8, v59
	v_cndmask_b32_e64 v84, v20, v5, s[0:1]
	v_cndmask_b32_e64 v85, v9, v21, s[0:1]
	v_lshl_add_u64 v[50:51], v[12:13], 0, v[14:15]
	v_lshl_add_u64 v[52:53], v[10:11], 0, v[14:15]
	s_mov_b32 s3, 0x7060302
	s_movk_i32 s26, 0x4000
	v_add_u32_e32 v86, v22, v80
	v_add_u32_e32 v87, v22, v81
	;; [unrolled: 1-line block ×4, first 2 shown]
	s_waitcnt lgkmcnt(0)
	s_barrier
.LBB689_32:                             ; =>This Inner Loop Header: Depth=1
	s_add_i32 s41, s64, 1
	s_cmp_lt_i32 s41, s52
	s_mov_b64 s[28:29], 0
	s_cselect_b64 s[44:45], -1, 0
	s_cmp_ge_i32 s41, s52
	s_mov_b64 s[24:25], 0
	s_cbranch_scc1 .LBB689_34
; %bb.33:                               ;   in Loop: Header=BB689_32 Depth=1
	s_add_i32 s0, s59, 64
	s_ashr_i32 s1, s0, 31
	s_add_u32 s0, s57, s0
	s_addc_u32 s1, s56, s1
	s_lshl_b64 s[0:1], s[0:1], 8
	s_add_u32 s24, s14, s0
	s_addc_u32 s25, s15, s1
.LBB689_34:                             ;   in Loop: Header=BB689_32 Depth=1
	v_cndmask_b32_e64 v5, 0, 1, s[44:45]
	v_cmp_ne_u32_e64 s[0:1], 1, v5
	s_andn2_b64 vcc, exec, s[44:45]
	s_cbranch_vccnz .LBB689_36
; %bb.35:                               ;   in Loop: Header=BB689_32 Depth=1
	s_add_i32 s28, s59, 64
	s_mul_hi_i32 s29, s28, s22
	s_mul_i32 s28, s28, s22
	s_add_u32 s28, s28, s55
	s_addc_u32 s29, s29, s60
	s_lshl_b64 s[28:29], s[28:29], 8
	s_add_u32 s28, s12, s28
	s_addc_u32 s29, s13, s29
.LBB689_36:                             ;   in Loop: Header=BB689_32 Depth=1
	v_perm_b32 v11, v62, v4, s3
	v_perm_b32 v10, v3, v2, s3
	;; [unrolled: 1-line block ×4, first 2 shown]
	ds_write_b64 v69, v[10:11]
	ds_write_b64 v70, v[12:13]
	;; [unrolled: 1-line block ×4, first 2 shown]
	s_waitcnt lgkmcnt(0)
	s_barrier
	ds_read_b64 v[18:19], v73 offset:16384
	ds_read_b64 v[20:21], v75 offset:16384
	ds_read2st64_b64 v[10:13], v74 offset1:1
	s_waitcnt lgkmcnt(0)
	v_mfma_f32_16x16x16_bf16 a[0:3], v[18:19], v[10:11], 0
	ds_read2st64_b64 v[14:17], v74 offset0:2 offset1:3
	ds_read_b64 v[22:23], v76 offset:16384
	ds_read_b64 v[10:11], v77 offset:16384
	s_add_i32 s31, s59, 63
	v_mfma_f32_16x16x16_bf16 a[0:3], v[20:21], v[12:13], a[0:3]
	s_ashr_i32 s43, s31, 31
	s_mul_i32 s44, s31, s37
	s_mul_hi_u32 s45, s31, s36
	s_waitcnt lgkmcnt(1)
	v_mfma_f32_16x16x16_bf16 a[0:3], v[22:23], v[14:15], a[0:3]
	s_add_i32 s44, s45, s44
	s_mul_i32 s43, s43, s36
	s_add_i32 s45, s44, s43
	s_mul_i32 s44, s31, s36
	s_waitcnt lgkmcnt(0)
	v_mfma_f32_16x16x16_bf16 a[0:3], v[10:11], v[16:17], a[0:3]
	s_lshl_b64 s[44:45], s[44:45], 2
	s_add_u32 s44, s4, s44
	s_addc_u32 s45, s5, s45
	s_and_b64 vcc, exec, s[0:1]
	v_mov_b32_e32 v90, 0
	v_mov_b32_e32 v9, 0
	;; [unrolled: 1-line block ×19, first 2 shown]
	s_cbranch_vccnz .LBB689_38
; %bb.37:                               ;   in Loop: Header=BB689_32 Depth=1
	s_and_b32 s25, s25, 0xffff
	buffer_load_dwordx4 v[22:25], v65, s[24:27], 0 offen
	buffer_load_dwordx4 v[18:21], v65, s[24:27], s61 offen
	;; [unrolled: 1-line block ×4, first 2 shown]
	v_mov_b32_e32 v9, v67
	v_mov_b32_e32 v5, v68
.LBB689_38:                             ;   in Loop: Header=BB689_32 Depth=1
	s_waitcnt vmcnt(3)
	v_add_u32_e32 v30, s59, v59
	s_waitcnt vmcnt(1)
	v_ashrrev_i32_e32 v26, 31, v30
	v_mul_lo_u32 v28, v26, s36
	v_mul_lo_u32 v29, v30, s37
	v_mad_u64_u32 v[26:27], s[24:25], v30, s36, 0
	v_add3_u32 v27, v27, v29, v28
	v_lshl_add_u64 v[26:27], v[26:27], 2, s[4:5]
	global_load_dword v94, v[26:27], off
	v_add_u32_e32 v26, 1, v30
	v_ashrrev_i32_e32 v27, 31, v26
	v_mul_lo_u32 v28, v27, s36
	v_mul_lo_u32 v29, v26, s37
	v_mad_u64_u32 v[26:27], s[24:25], v26, s36, 0
	v_add3_u32 v27, v27, v29, v28
	v_add_u32_e32 v28, 2, v30
	v_ashrrev_i32_e32 v29, 31, v28
	v_mul_lo_u32 v31, v29, s36
	v_mul_lo_u32 v32, v28, s37
	v_mad_u64_u32 v[28:29], s[24:25], v28, s36, 0
	v_add_u32_e32 v30, 3, v30
	v_add3_u32 v29, v29, v32, v31
	v_ashrrev_i32_e32 v31, 31, v30
	v_mul_lo_u32 v34, v31, s36
	v_mul_lo_u32 v35, v30, s37
	v_mad_u64_u32 v[30:31], s[24:25], v30, s36, 0
	s_ashr_i32 s25, s59, 31
	s_add_u32 s24, s57, s59
	s_addc_u32 s25, s56, s25
	s_lshl_b64 s[66:67], s[24:25], 8
	v_lshl_add_u64 v[26:27], v[26:27], 2, s[4:5]
	v_lshl_add_u64 v[32:33], v[50:51], 0, s[66:67]
	v_add3_u32 v31, v31, v35, v34
	v_lshl_add_u64 v[28:29], v[28:29], 2, s[4:5]
	global_load_ushort v95, v[32:33], off
	global_load_ushort v96, v[32:33], off offset:256
	global_load_ushort v97, v[32:33], off offset:512
	global_load_ushort v98, v[32:33], off offset:768
	v_lshl_add_u64 v[30:31], v[30:31], 2, s[4:5]
	global_load_dword v99, v[26:27], off
	global_load_dword v100, v[28:29], off
	global_load_dword v101, v[30:31], off
	s_load_dword s24, s[44:45], 0x0
	ds_read_b64 v[28:29], v73 offset:24576
	ds_read2st64_b64 v[30:33], v78 offset1:1
	ds_read2st64_b64 v[34:37], v78 offset0:2 offset1:3
	ds_read_b64 v[38:39], v75 offset:24576
	ds_read_b64 v[40:41], v76 offset:24576
	;; [unrolled: 1-line block ×3, first 2 shown]
	s_waitcnt lgkmcnt(0)
	v_mfma_f32_16x16x16_bf16 a[0:3], v[28:29], v[30:31], a[0:3]
	v_mov_b32_e32 v91, 0
	v_mov_b32_e32 v26, 0
	;; [unrolled: 1-line block ×3, first 2 shown]
	v_mfma_f32_16x16x16_bf16 a[0:3], v[38:39], v[32:33], a[0:3]
	v_lshl_add_u64 v[38:39], v[52:53], 0, s[66:67]
	v_mov_b32_e32 v28, 0
	v_mov_b32_e32 v29, 0
	v_mfma_f32_16x16x16_bf16 a[0:3], v[40:41], v[34:35], a[0:3]
	v_mov_b32_e32 v30, 0
	v_mov_b32_e32 v31, 0
	;; [unrolled: 1-line block ×3, first 2 shown]
	v_mfma_f32_16x16x16_bf16 a[0:3], v[92:93], v[36:37], a[0:3]
	v_mov_b32_e32 v33, 0
	v_mov_b32_e32 v34, 0
	s_and_b64 vcc, exec, s[0:1]
	s_waitcnt vmcnt(7)
	v_sub_f32_e32 v35, s24, v94
	s_nop 1
	v_accvgpr_read_b32 v41, a1
	v_accvgpr_read_b32 v40, a0
	v_accvgpr_read_b32 v37, a3
	v_accvgpr_read_b32 v36, a2
	s_waitcnt vmcnt(6)
	v_lshlrev_b32_e32 v92, 16, v95
	s_waitcnt vmcnt(5)
	v_lshlrev_b32_e32 v93, 16, v96
	v_exp_f32_e32 v96, v35
	s_waitcnt vmcnt(3)
	v_lshlrev_b32_e32 v95, 16, v98
	s_waitcnt vmcnt(2)
	v_sub_f32_e32 v35, s24, v99
	s_waitcnt vmcnt(1)
	v_sub_f32_e32 v98, s24, v100
	;; [unrolled: 2-line block ×3, first 2 shown]
	v_lshlrev_b32_e32 v94, 16, v97
	v_pk_add_f32 v[40:41], v[92:93], v[40:41] neg_lo:[0,1] neg_hi:[0,1]
	v_exp_f32_e32 v97, v35
	v_exp_f32_e32 v92, v98
	;; [unrolled: 1-line block ×3, first 2 shown]
	v_pk_add_f32 v[36:37], v[94:95], v[36:37] neg_lo:[0,1] neg_hi:[0,1]
	global_store_short_d16_hi v[38:39], v40, off
	global_store_short_d16_hi v[38:39], v41, off offset:256
	global_store_short_d16_hi v[38:39], v36, off offset:512
	;; [unrolled: 1-line block ×3, first 2 shown]
	v_pk_mul_f32 v[38:39], v[96:97], v[40:41]
	v_pk_mul_f32 v[36:37], v[92:93], v[36:37]
	v_perm_b32 v38, v39, v38, s3
	v_perm_b32 v39, v37, v36, s3
	ds_write_b64 v70, v[38:39]
	v_mov_b32_e32 v35, 0
	v_mov_b32_e32 v36, 0
	;; [unrolled: 1-line block ×7, first 2 shown]
	s_cbranch_vccnz .LBB689_40
; %bb.39:                               ;   in Loop: Header=BB689_32 Depth=1
	s_and_b32 s29, s29, 0xffff
	s_mov_b32 s31, s27
	buffer_load_dwordx4 v[38:41], v84, s[28:31], 0 offen
	buffer_load_dwordx4 v[30:33], v84, s[28:31], s61 offen
	;; [unrolled: 1-line block ×4, first 2 shown]
	v_mov_b32_e32 v90, v64
	v_mov_b32_e32 v91, v63
.LBB689_40:                             ;   in Loop: Header=BB689_32 Depth=1
	s_waitcnt lgkmcnt(0)
	s_barrier
	ds_read_b64 v[100:101], v86
	ds_read2st64_b64 v[92:95], v78 offset1:1
	ds_read2st64_b64 v[96:99], v78 offset0:2 offset1:3
	ds_read_b64 v[102:103], v87
	ds_read_b64 v[104:105], v88
	ds_read_b64 v[106:107], v89
	s_waitcnt lgkmcnt(4)
	v_mfma_f32_16x16x16_bf16 a[0:3], v[100:101], v[92:93], 0
	ds_read_b64 v[100:101], v80 offset:8192
	ds_read_b64 v[108:109], v81 offset:8192
	s_add_i32 s25, s58, s64
	s_mul_hi_i32 s29, s25, s21
	s_waitcnt lgkmcnt(1)
	v_mfma_f32_16x16x16_bf16 a[4:7], v[100:101], v[92:93], 0
	s_mul_i32 s25, s25, s21
	s_add_u32 s28, s25, s51
	s_addc_u32 s29, s29, s53
	v_mfma_f32_16x16x16_bf16 a[0:3], v[102:103], v[94:95], a[0:3]
	ds_read_b64 v[100:101], v47
	ds_read_b64 v[102:103], v79
	ds_read_b64 v[92:93], v82 offset:8192
	s_lshl_b64 s[28:29], s[28:29], 15
	v_mfma_f32_16x16x16_bf16 a[0:3], v[104:105], v[96:97], a[0:3]
	ds_read_b64 v[104:105], v83 offset:8192
	s_and_b64 vcc, exec, s[0:1]
	s_waitcnt lgkmcnt(4)
	v_mfma_f32_16x16x16_bf16 a[4:7], v[108:109], v[94:95], a[4:7]
	s_waitcnt lgkmcnt(1)
	v_mfma_f32_16x16x16_bf16 a[4:7], v[92:93], v[96:97], a[4:7]
	v_lshl_add_u64 v[92:93], v[48:49], 0, s[28:29]
	global_store_dwordx4 v[92:93], v[100:103], off
	v_mfma_f32_16x16x16_bf16 a[0:3], v[106:107], v[98:99], a[0:3]
	s_waitcnt lgkmcnt(0)
	v_mfma_f32_16x16x16_bf16 a[4:7], v[104:105], v[98:99], a[4:7]
	s_cbranch_vccnz .LBB689_42
; %bb.41:                               ;   in Loop: Header=BB689_32 Depth=1
	v_lshrrev_b32_e32 v92, 3, v90
	v_and_b32_e32 v92, 6, v92
	v_xor_b32_e32 v91, v92, v91
	v_lshlrev_b32_e32 v91, 2, v91
	v_and_b32_e32 v90, 8, v90
	v_xor_b32_e32 v93, 0x440, v91
	v_cmp_eq_u32_e32 vcc, 0, v90
	s_barrier
	s_nop 0
	v_cndmask_b32_e32 v90, v93, v91, vcc
	v_lshl_or_b32 v90, v92, 10, v90
	s_waitcnt vmcnt(2)
	v_perm_b32 v91, v38, v34, s62
	s_waitcnt vmcnt(1)
	v_perm_b32 v92, v30, v26, s62
	ds_write2st64_b32 v90, v91, v92 offset1:32
	v_xor_b32_e32 v91, 8, v90
	v_perm_b32 v34, v38, v34, s63
	v_perm_b32 v26, v30, v26, s63
	v_add_u32_e32 v30, 0x80, v91
	ds_write2st64_b32 v30, v34, v26 offset1:32
	v_xor_b32_e32 v26, 16, v90
	v_perm_b32 v30, v39, v35, s62
	v_perm_b32 v34, v31, v27, s62
	ds_write2st64_b32 v26, v30, v34 offset0:1 offset1:33
	v_xor_b32_e32 v26, 24, v90
	v_perm_b32 v30, v39, v35, s63
	v_perm_b32 v27, v31, v27, s63
	v_add_u32_e32 v26, 0x80, v26
	ds_write2st64_b32 v26, v30, v27 offset0:1 offset1:33
	v_xor_b32_e32 v26, 32, v90
	v_perm_b32 v27, v40, v36, s62
	v_perm_b32 v30, v32, v28, s62
	ds_write2st64_b32 v26, v27, v30 offset0:2 offset1:34
	v_xor_b32_e32 v26, 40, v90
	v_perm_b32 v27, v40, v36, s63
	v_perm_b32 v28, v32, v28, s63
	v_add_u32_e32 v26, 0x80, v26
	ds_write2st64_b32 v26, v27, v28 offset0:2 offset1:34
	;; [unrolled: 9-line block ×3, first 2 shown]
	ds_write_b64 v9, v[22:23] offset:16384
	v_xor_b32_e32 v22, 8, v9
	ds_write_b64 v22, v[24:25] offset:16384
	ds_write_b64 v9, v[18:19] offset:24576
	;; [unrolled: 1-line block ×4, first 2 shown]
	v_xor_b32_e32 v9, 8, v5
	ds_write_b64 v9, v[16:17] offset:16384
	ds_write_b64 v5, v[10:11] offset:24576
	;; [unrolled: 1-line block ×3, first 2 shown]
.LBB689_42:                             ;   in Loop: Header=BB689_32 Depth=1
	v_exp_f32_e32 v10, s24
	s_nop 2
	v_accvgpr_read_b32 v9, a1
	v_accvgpr_read_b32 v5, a0
	s_add_i32 s59, s59, 64
	v_fma_f32 v3, v3, v10, v9
	v_accvgpr_read_b32 v9, a4
	v_fma_f32 v6, v6, v10, v9
	v_accvgpr_read_b32 v9, a5
	v_fma_f32 v2, v2, v10, v5
	v_accvgpr_read_b32 v5, a2
	v_fma_f32 v7, v7, v10, v9
	v_accvgpr_read_b32 v9, a6
	v_fma_f32 v4, v4, v10, v5
	v_accvgpr_read_b32 v5, a3
	v_fma_f32 v8, v8, v10, v9
	v_accvgpr_read_b32 v9, a7
	v_fmac_f32_e32 v5, v62, v10
	s_cmp_eq_u32 s52, s41
	v_fmac_f32_e32 v9, v61, v10
	s_cbranch_scc1 .LBB689_4
; %bb.43:                               ;   in Loop: Header=BB689_32 Depth=1
	s_mov_b32 s64, s41
	v_mov_b32_e32 v62, v5
	v_mov_b32_e32 v61, v9
	s_branch .LBB689_32
.LBB689_44:
                                        ; implicit-def: $vgpr13
                                        ; implicit-def: $vgpr17
                                        ; implicit-def: $vgpr21
                                        ; implicit-def: $vgpr25
	s_cbranch_execz .LBB689_46
; %bb.45:
	s_waitcnt vmcnt(0)
	v_mad_u64_u32 v[10:11], s[0:1], v27, s23, v[26:27]
	v_lshlrev_b32_e32 v27, 1, v10
	s_lshl_b32 s2, s23, 7
	s_and_b32 s1, s5, 0xffff
	s_mov_b32 s3, 0x20000
	s_mov_b32 s0, s4
	v_add_lshl_u32 v28, v10, s23, 1
	s_movk_i32 s6, 0x80
	buffer_load_dwordx4 v[10:13], v27, s[0:3], 0 offen
	buffer_load_dwordx4 v[18:21], v27, s[0:3], s6 offen
	;; [unrolled: 1-line block ×4, first 2 shown]
.LBB689_46:
	v_lshrrev_b32_e32 v45, 2, v45
	s_cbranch_execnz .LBB689_59
.LBB689_47:
	s_and_b64 vcc, exec, s[14:15]
	s_cbranch_vccz .LBB689_57
; %bb.48:
	s_waitcnt vmcnt(0)
	v_lshlrev_b32_e32 v15, 1, v47
	v_cmp_gt_i32_e32 vcc, s30, v15
	v_mov_b32_e32 v14, 0
	v_lshlrev_b32_e32 v22, 9, v47
	v_mov_b32_e32 v10, 0
	v_mov_b32_e32 v11, 0
	;; [unrolled: 1-line block ×4, first 2 shown]
	s_and_saveexec_b64 s[0:1], vcc
	s_cbranch_execz .LBB689_50
; %bb.49:
	v_mov_b32_e32 v23, 0
	v_lshl_add_u64 v[10:11], s[4:5], 0, v[22:23]
	v_lshlrev_b32_e32 v12, 1, v26
	v_mov_b32_e32 v13, v23
	v_lshl_add_u64 v[10:11], v[10:11], 0, v[12:13]
	global_load_dwordx4 v[10:13], v[10:11], off
.LBB689_50:
	s_or_b64 exec, exec, s[0:1]
	v_or_b32_e32 v15, 1, v15
	v_cmp_gt_i32_e64 s[0:1], s30, v15
	v_lshlrev_b32_e32 v28, 8, v15
	v_mov_b32_e32 v15, 0
	v_mov_b32_e32 v16, 0
	;; [unrolled: 1-line block ×3, first 2 shown]
	s_and_saveexec_b64 s[2:3], s[0:1]
	s_cbranch_execz .LBB689_52
; %bb.51:
	v_mov_b32_e32 v29, 0
	v_lshl_add_u64 v[14:15], s[4:5], 0, v[28:29]
	v_lshlrev_b32_e32 v16, 1, v26
	v_mov_b32_e32 v17, v29
	v_lshl_add_u64 v[14:15], v[14:15], 0, v[16:17]
	global_load_dwordx4 v[14:17], v[14:15], off
.LBB689_52:
	s_or_b64 exec, exec, s[2:3]
	v_mov_b32_e32 v25, 0
	v_mov_b32_e32 v18, 0
	;; [unrolled: 1-line block ×5, first 2 shown]
	s_and_saveexec_b64 s[2:3], vcc
	s_cbranch_execz .LBB689_54
; %bb.53:
	v_mov_b32_e32 v23, 0
	v_lshl_add_u64 v[18:19], s[4:5], 0, v[22:23]
	v_lshlrev_b32_e32 v22, 1, v26
	v_lshl_add_u64 v[18:19], v[18:19], 0, v[22:23]
	global_load_dwordx4 v[18:21], v[18:19], off offset:128
.LBB689_54:
	s_or_b64 exec, exec, s[2:3]
	v_mov_b32_e32 v24, 0
	v_mov_b32_e32 v23, 0
	;; [unrolled: 1-line block ×3, first 2 shown]
	s_and_saveexec_b64 s[2:3], s[0:1]
	s_cbranch_execz .LBB689_56
; %bb.55:
	v_mov_b32_e32 v29, 0
	v_lshl_add_u64 v[22:23], s[4:5], 0, v[28:29]
	v_lshlrev_b32_e32 v28, 1, v26
	v_lshl_add_u64 v[22:23], v[22:23], 0, v[28:29]
	global_load_dwordx4 v[22:25], v[22:23], off offset:128
.LBB689_56:
	s_or_b64 exec, exec, s[2:3]
	s_branch .LBB689_59
.LBB689_57:
                                        ; implicit-def: $vgpr13
                                        ; implicit-def: $vgpr17
                                        ; implicit-def: $vgpr21
                                        ; implicit-def: $vgpr25
	s_cbranch_execz .LBB689_59
; %bb.58:
	s_waitcnt vmcnt(0)
	v_lshlrev_b32_e32 v10, 1, v26
	v_lshl_or_b32 v26, v47, 9, v10
	s_and_b32 s5, s5, 0xffff
	s_mov_b32 s7, 0x20000
	s_movk_i32 s6, 0x4000
	s_movk_i32 s0, 0x80
	buffer_load_dwordx4 v[10:13], v26, s[4:7], 0 offen
	buffer_load_dwordx4 v[14:17], v26, s[4:7], 0 offen offset:256
	buffer_load_dwordx4 v[18:21], v26, s[4:7], s0 offen
	buffer_load_dwordx4 v[22:25], v26, s[4:7], s0 offen offset:256
.LBB689_59:
	ds_read2st64_b64 v[30:33], v50 offset0:76 offset1:77
	ds_read2st64_b64 v[26:29], v50 offset0:78 offset1:79
	ds_read_b64 v[40:41], v34 offset:24576
	ds_read_b64 v[38:39], v35 offset:24576
	;; [unrolled: 1-line block ×4, first 2 shown]
	v_and_b32_e32 v51, 6, v0
	v_xor_b32_e32 v47, v47, v51
	v_lshlrev_b32_e32 v47, 2, v47
	v_and_b32_e32 v52, 1, v0
	v_xor_b32_e32 v53, 0x440, v47
	v_cmp_eq_u32_e32 vcc, 0, v52
	s_mov_b32 s0, 0x1000504
	s_waitcnt vmcnt(0)
	v_perm_b32 v52, v18, v22, s0
	v_cndmask_b32_e32 v47, v53, v47, vcc
	v_lshl_or_b32 v47, v51, 10, v47
	v_perm_b32 v51, v10, v14, s0
	ds_write2st64_b32 v47, v51, v52 offset1:32
	v_xor_b32_e32 v51, 8, v47
	s_mov_b32 s1, 0x3020706
	v_perm_b32 v10, v10, v14, s1
	v_perm_b32 v14, v18, v22, s1
	v_add_u32_e32 v18, 0x80, v51
	ds_write2st64_b32 v18, v10, v14 offset1:32
	v_xor_b32_e32 v10, 16, v47
	v_perm_b32 v14, v11, v15, s0
	v_perm_b32 v18, v19, v23, s0
	ds_write2st64_b32 v10, v14, v18 offset0:1 offset1:33
	v_xor_b32_e32 v10, 24, v47
	v_perm_b32 v11, v11, v15, s1
	v_perm_b32 v14, v19, v23, s1
	v_add_u32_e32 v10, 0x80, v10
	ds_write2st64_b32 v10, v11, v14 offset0:1 offset1:33
	v_xor_b32_e32 v10, 32, v47
	v_perm_b32 v11, v12, v16, s0
	v_perm_b32 v14, v20, v24, s0
	ds_write2st64_b32 v10, v11, v14 offset0:2 offset1:34
	v_xor_b32_e32 v10, 40, v47
	v_perm_b32 v11, v12, v16, s1
	v_perm_b32 v12, v20, v24, s1
	v_add_u32_e32 v10, 0x80, v10
	ds_write2st64_b32 v10, v11, v12 offset0:2 offset1:34
	v_xor_b32_e32 v10, 48, v47
	v_perm_b32 v11, v13, v17, s0
	v_perm_b32 v12, v21, v25, s0
	ds_write2st64_b32 v10, v11, v12 offset0:3 offset1:35
	v_xor_b32_e32 v10, 56, v47
	v_and_or_b32 v18, v45, 12, v54
	v_perm_b32 v11, v13, v17, s1
	v_perm_b32 v12, v21, v25, s1
	v_add_u32_e32 v10, 0x80, v10
	v_cmp_gt_i32_e64 s[2:3], s30, v18
	v_mov_b32_e32 v20, 0
	v_mov_b32_e32 v25, 0
	ds_write2st64_b32 v10, v11, v12 offset0:3 offset1:35
	s_and_saveexec_b64 s[0:1], s[2:3]
	s_cbranch_execz .LBB689_61
; %bb.60:
	v_add_u32_e32 v10, s31, v18
	v_ashrrev_i32_e32 v11, 31, v10
	v_mul_lo_u32 v12, v11, s36
	v_mul_lo_u32 v13, v10, s37
	v_mad_u64_u32 v[10:11], s[4:5], v10, s36, 0
	v_add3_u32 v11, v11, v13, v12
	v_lshl_add_u64 v[10:11], v[10:11], 2, s[12:13]
	global_load_dword v10, v[10:11], off
	s_waitcnt vmcnt(0)
	v_sub_f32_e32 v10, s18, v10
	v_exp_f32_e32 v25, v10
.LBB689_61:
	s_or_b64 exec, exec, s[0:1]
	v_or_b32_e32 v23, 1, v18
	v_cmp_gt_i32_e64 s[4:5], s30, v23
	s_and_saveexec_b64 s[0:1], s[4:5]
	s_cbranch_execz .LBB689_63
; %bb.62:
	v_add_u32_e32 v10, s31, v23
	v_ashrrev_i32_e32 v11, 31, v10
	v_mul_lo_u32 v12, v11, s36
	v_mul_lo_u32 v13, v10, s37
	v_mad_u64_u32 v[10:11], s[6:7], v10, s36, 0
	v_add3_u32 v11, v11, v13, v12
	v_lshl_add_u64 v[10:11], v[10:11], 2, s[12:13]
	global_load_dword v10, v[10:11], off
	s_waitcnt vmcnt(0)
	v_sub_f32_e32 v10, s18, v10
	v_exp_f32_e32 v20, v10
.LBB689_63:
	s_or_b64 exec, exec, s[0:1]
	v_or_b32_e32 v22, 2, v18
	v_cmp_gt_i32_e64 s[0:1], s30, v22
	v_mov_b32_e32 v19, 0
	v_mov_b32_e32 v24, 0
	s_and_saveexec_b64 s[6:7], s[0:1]
	s_cbranch_execz .LBB689_65
; %bb.64:
	v_add_u32_e32 v10, s31, v22
	v_ashrrev_i32_e32 v11, 31, v10
	v_mul_lo_u32 v12, v11, s36
	v_mul_lo_u32 v13, v10, s37
	v_mad_u64_u32 v[10:11], s[14:15], v10, s36, 0
	v_add3_u32 v11, v11, v13, v12
	v_lshl_add_u64 v[10:11], v[10:11], 2, s[12:13]
	global_load_dword v10, v[10:11], off
	s_waitcnt vmcnt(0)
	v_sub_f32_e32 v10, s18, v10
	v_exp_f32_e32 v24, v10
.LBB689_65:
	s_or_b64 exec, exec, s[6:7]
	v_or_b32_e32 v21, 3, v18
	v_cmp_gt_i32_e32 vcc, s30, v21
	s_and_saveexec_b64 s[6:7], vcc
	s_cbranch_execz .LBB689_67
; %bb.66:
	v_add_u32_e32 v10, s31, v21
	v_ashrrev_i32_e32 v11, 31, v10
	v_mul_lo_u32 v12, v11, s36
	v_mul_lo_u32 v13, v10, s37
	v_mad_u64_u32 v[10:11], s[14:15], v10, s36, 0
	v_add3_u32 v11, v11, v13, v12
	v_lshl_add_u64 v[10:11], v[10:11], 2, s[12:13]
	global_load_dword v10, v[10:11], off
	s_waitcnt vmcnt(0)
	v_sub_f32_e32 v10, s18, v10
	v_exp_f32_e32 v19, v10
.LBB689_67:
	s_or_b64 exec, exec, s[6:7]
	s_waitcnt lgkmcnt(11)
	v_mfma_f32_16x16x16_bf16 a[0:3], v[40:41], v[30:31], a[0:3]
	s_add_u32 s6, s16, s24
	v_ashrrev_i32_e32 v47, 31, v46
	s_addc_u32 s7, s17, s25
	s_waitcnt lgkmcnt(10)
	v_mfma_f32_16x16x16_bf16 a[0:3], v[38:39], v[32:33], a[0:3]
	v_lshlrev_b64 v[10:11], 1, v[46:47]
	v_lshl_add_u64 v[14:15], s[6:7], 0, v[10:11]
	s_add_u32 s6, s8, s24
	s_waitcnt lgkmcnt(9)
	v_mfma_f32_16x16x16_bf16 a[0:3], v[36:37], v[26:27], a[0:3]
	s_addc_u32 s7, s9, s25
	v_lshl_add_u64 v[16:17], s[6:7], 0, v[10:11]
	v_mov_b32_e32 v26, 0
	s_waitcnt lgkmcnt(8)
	v_mfma_f32_16x16x16_bf16 a[0:3], v[34:35], v[28:29], a[0:3]
	v_mov_b32_e32 v27, 0
	s_nop 5
	v_accvgpr_read_b32 v13, a3
	v_accvgpr_read_b32 v12, a2
	;; [unrolled: 1-line block ×4, first 2 shown]
	s_and_saveexec_b64 s[6:7], s[2:3]
	s_cbranch_execz .LBB689_69
; %bb.68:
	v_lshlrev_b32_e32 v28, 8, v18
	v_mov_b32_e32 v29, 0
	v_lshl_add_u64 v[30:31], v[14:15], 0, v[28:29]
	global_load_ushort v27, v[30:31], off
	v_lshl_add_u64 v[28:29], v[16:17], 0, v[28:29]
	s_waitcnt vmcnt(0)
	v_lshlrev_b32_e32 v27, 16, v27
	v_sub_f32_e32 v10, v27, v10
	global_store_short_d16_hi v[28:29], v10, off
	v_mul_f32_e32 v10, v25, v10
	v_lshrrev_b32_e32 v27, 16, v10
.LBB689_69:
	s_or_b64 exec, exec, s[6:7]
	s_and_saveexec_b64 s[2:3], s[4:5]
	s_cbranch_execz .LBB689_71
; %bb.70:
	v_lshlrev_b32_e32 v28, 8, v23
	v_mov_b32_e32 v29, 0
	v_lshl_add_u64 v[30:31], v[14:15], 0, v[28:29]
	global_load_ushort v10, v[30:31], off
	v_lshl_add_u64 v[28:29], v[16:17], 0, v[28:29]
	s_waitcnt vmcnt(0)
	v_lshlrev_b32_e32 v10, 16, v10
	v_sub_f32_e32 v10, v10, v11
	global_store_short_d16_hi v[28:29], v10, off
	v_mul_f32_e32 v10, v20, v10
	v_lshrrev_b32_e32 v26, 16, v10
.LBB689_71:
	s_or_b64 exec, exec, s[2:3]
	v_mov_b32_e32 v11, 0
	v_mov_b32_e32 v20, 0
	s_and_saveexec_b64 s[2:3], s[0:1]
	s_cbranch_execz .LBB689_73
; %bb.72:
	v_lshlrev_b32_e32 v22, 8, v22
	v_mov_b32_e32 v23, 0
	v_lshl_add_u64 v[28:29], v[14:15], 0, v[22:23]
	global_load_ushort v10, v[28:29], off
	v_lshl_add_u64 v[22:23], v[16:17], 0, v[22:23]
	s_waitcnt vmcnt(0)
	v_lshlrev_b32_e32 v10, 16, v10
	v_sub_f32_e32 v10, v10, v12
	global_store_short_d16_hi v[22:23], v10, off
	v_mul_f32_e32 v10, v24, v10
	v_lshrrev_b32_e32 v20, 16, v10
.LBB689_73:
	s_or_b64 exec, exec, s[2:3]
	v_or_b32_e32 v10, 0x9800, v50
	s_and_saveexec_b64 s[0:1], vcc
	s_cbranch_execz .LBB689_75
; %bb.74:
	v_lshlrev_b32_e32 v22, 8, v21
	v_mov_b32_e32 v23, 0
	v_lshl_add_u64 v[14:15], v[14:15], 0, v[22:23]
	global_load_ushort v11, v[14:15], off
	v_lshl_add_u64 v[14:15], v[16:17], 0, v[22:23]
	s_waitcnt vmcnt(0)
	v_lshlrev_b32_e32 v11, 16, v11
	v_sub_f32_e32 v11, v11, v13
	global_store_short_d16_hi v[14:15], v11, off
	v_mul_f32_e32 v11, v19, v11
	v_lshrrev_b32_e32 v11, 16, v11
.LBB689_75:
	s_or_b64 exec, exec, s[0:1]
	s_mov_b32 s0, 0x5040100
	v_perm_b32 v13, v11, v20, s0
	v_lshlrev_b32_e32 v11, 1, v48
	v_perm_b32 v12, v26, v27, s0
	v_lshl_or_b32 v11, v18, 5, v11
	s_movk_i32 s0, 0xff
	ds_write_b64 v11, v[12:13] offset:38912
	v_and_b32_e32 v11, 7, v0
	v_and_b32_e32 v12, 8, v0
	v_cmp_lt_u32_e32 vcc, s0, v0
	v_lshrrev_b32_e32 v0, 1, v0
	v_lshlrev_b32_e32 v22, 3, v1
	v_and_b32_e32 v23, 24, v0
	v_xor_b32_e32 v0, v22, v23
	v_cndmask_b32_e64 v13, 0, 1, vcc
	v_or_b32_e32 v1, 0x440, v0
	v_cmp_eq_u32_e32 vcc, 0, v12
	v_lshlrev_b32_e32 v20, 3, v11
	v_lshlrev_b32_e32 v11, 7, v11
	v_cndmask_b32_e32 v0, v1, v0, vcc
	v_or_b32_e32 v0, v0, v49
	v_lshlrev_b32_e32 v21, 13, v13
	v_xad_u32 v24, v0, v20, v11
	v_add_u32_e32 v0, v21, v24
	s_waitcnt lgkmcnt(0)
	s_barrier
	ds_read_b64 v[0:1], v0
	ds_read2st64_b64 v[12:15], v10 offset1:1
	ds_read2st64_b64 v[16:19], v10 offset0:2 offset1:3
	s_waitcnt lgkmcnt(1)
	v_mfma_f32_16x16x16_bf16 a[0:3], v[0:1], v[12:13], 0
	v_or_b32_e32 v0, 32, v23
	v_xor_b32_e32 v0, v22, v0
	v_or_b32_e32 v1, 0x440, v0
	v_cndmask_b32_e32 v0, v1, v0, vcc
	v_or_b32_e32 v0, v0, v49
	v_xad_u32 v25, v0, v20, v11
	v_add_u32_e32 v0, v21, v25
	ds_read_b64 v[0:1], v0
	v_or_b32_e32 v10, 0x60, v23
	s_waitcnt lgkmcnt(0)
	v_mfma_f32_16x16x16_bf16 a[0:3], v[0:1], v[14:15], a[0:3]
	v_or_b32_e32 v0, 64, v23
	v_xor_b32_e32 v0, v22, v0
	v_xor_b32_e32 v1, 0x440, v0
	v_cndmask_b32_e32 v0, v1, v0, vcc
	v_or_b32_e32 v0, v0, v49
	v_xad_u32 v26, v0, v20, v11
	v_xor_b32_e32 v10, v22, v10
	v_add_u32_e32 v0, v21, v26
	v_xor_b32_e32 v22, 0x440, v10
	ds_read_b64 v[0:1], v0
	v_cndmask_b32_e32 v10, v22, v10, vcc
	v_or_b32_e32 v10, v10, v49
	v_xad_u32 v22, v10, v20, v11
	v_add_u32_e32 v10, v21, v22
	ds_read_b64 v[10:11], v10
	s_waitcnt lgkmcnt(1)
	v_mfma_f32_16x16x16_bf16 a[0:3], v[0:1], v[16:17], a[0:3]
	ds_read_b64 v[0:1], v24 offset:8192
	ds_read_b64 v[20:21], v26 offset:8192
	v_exp_f32_e32 v23, s18
	s_waitcnt lgkmcnt(2)
	v_mfma_f32_16x16x16_bf16 a[0:3], v[10:11], v[18:19], a[0:3]
	ds_read_b64 v[10:11], v25 offset:8192
	s_waitcnt lgkmcnt(2)
	v_mfma_f32_16x16x16_bf16 a[4:7], v[0:1], v[12:13], 0
	ds_read_b64 v[12:13], v22 offset:8192
	s_nop 2
	v_accvgpr_read_b32 v0, a0
	v_accvgpr_read_b32 v1, a1
	s_waitcnt lgkmcnt(1)
	v_mfma_f32_16x16x16_bf16 a[4:7], v[10:11], v[14:15], a[4:7]
	v_fma_f32 v0, v2, v23, v0
	v_fma_f32 v1, v3, v23, v1
	v_accvgpr_read_b32 v2, a2
	v_mfma_f32_16x16x16_bf16 a[4:7], v[20:21], v[16:17], a[4:7]
	v_accvgpr_read_b32 v3, a3
	v_fma_f32 v2, v4, v23, v2
	v_fmac_f32_e32 v3, v5, v23
	s_waitcnt lgkmcnt(0)
	v_mfma_f32_16x16x16_bf16 a[0:3], v[12:13], v[18:19], a[4:7]
	s_nop 6
	v_accvgpr_read_b32 v4, a0
	v_accvgpr_read_b32 v5, a1
	v_fma_f32 v4, v6, v23, v4
	v_fma_f32 v5, v7, v23, v5
	v_accvgpr_read_b32 v6, a2
	v_accvgpr_read_b32 v7, a3
	v_fma_f32 v6, v8, v23, v6
	v_fmac_f32_e32 v7, v9, v23
	v_mov_b64_e32 v[8:9], v[6:7]
	v_mov_b64_e32 v[6:7], v[4:5]
	;; [unrolled: 1-line block ×4, first 2 shown]
.LBB689_76:
	s_add_u32 s0, s10, s34
	s_addc_u32 s1, s11, s35
	v_lshl_add_u64 v[0:1], v[42:43], 2, s[0:1]
	v_mov_b32_e32 v45, 0
	v_lshl_add_u64 v[0:1], v[0:1], 0, v[44:45]
	global_store_dwordx4 v[0:1], v[2:5], off
	global_store_dwordx4 v[0:1], v[6:9], off offset:256
	s_endpgm
	.section	.rodata,"a",@progbits
	.p2align	6, 0x0
	.amdhsa_kernel _ZN12_GLOBAL__N_139chunk_gated_delta_rule_fwd_h_hip_kernelILi16ELb1ELb1ELb1ELb1ELb1ELb0ELb0ELb0EEEvPK12hip_bfloat16S3_S3_PKfS5_PKvPS1_S8_PvPKiSB_iiiiilll
		.amdhsa_group_segment_fixed_size 40960
		.amdhsa_private_segment_fixed_size 0
		.amdhsa_kernarg_size 136
		.amdhsa_user_sgpr_count 2
		.amdhsa_user_sgpr_dispatch_ptr 0
		.amdhsa_user_sgpr_queue_ptr 0
		.amdhsa_user_sgpr_kernarg_segment_ptr 1
		.amdhsa_user_sgpr_dispatch_id 0
		.amdhsa_user_sgpr_kernarg_preload_length 0
		.amdhsa_user_sgpr_kernarg_preload_offset 0
		.amdhsa_user_sgpr_private_segment_size 0
		.amdhsa_uses_dynamic_stack 0
		.amdhsa_enable_private_segment 0
		.amdhsa_system_sgpr_workgroup_id_x 1
		.amdhsa_system_sgpr_workgroup_id_y 1
		.amdhsa_system_sgpr_workgroup_id_z 0
		.amdhsa_system_sgpr_workgroup_info 0
		.amdhsa_system_vgpr_workitem_id 0
		.amdhsa_next_free_vgpr 120
		.amdhsa_next_free_sgpr 68
		.amdhsa_accum_offset 112
		.amdhsa_reserve_vcc 1
		.amdhsa_float_round_mode_32 0
		.amdhsa_float_round_mode_16_64 0
		.amdhsa_float_denorm_mode_32 3
		.amdhsa_float_denorm_mode_16_64 3
		.amdhsa_dx10_clamp 1
		.amdhsa_ieee_mode 1
		.amdhsa_fp16_overflow 0
		.amdhsa_tg_split 0
		.amdhsa_exception_fp_ieee_invalid_op 0
		.amdhsa_exception_fp_denorm_src 0
		.amdhsa_exception_fp_ieee_div_zero 0
		.amdhsa_exception_fp_ieee_overflow 0
		.amdhsa_exception_fp_ieee_underflow 0
		.amdhsa_exception_fp_ieee_inexact 0
		.amdhsa_exception_int_div_zero 0
	.end_amdhsa_kernel
	.section	.text._ZN12_GLOBAL__N_139chunk_gated_delta_rule_fwd_h_hip_kernelILi16ELb1ELb1ELb1ELb1ELb1ELb0ELb0ELb0EEEvPK12hip_bfloat16S3_S3_PKfS5_PKvPS1_S8_PvPKiSB_iiiiilll,"axG",@progbits,_ZN12_GLOBAL__N_139chunk_gated_delta_rule_fwd_h_hip_kernelILi16ELb1ELb1ELb1ELb1ELb1ELb0ELb0ELb0EEEvPK12hip_bfloat16S3_S3_PKfS5_PKvPS1_S8_PvPKiSB_iiiiilll,comdat
.Lfunc_end689:
	.size	_ZN12_GLOBAL__N_139chunk_gated_delta_rule_fwd_h_hip_kernelILi16ELb1ELb1ELb1ELb1ELb1ELb0ELb0ELb0EEEvPK12hip_bfloat16S3_S3_PKfS5_PKvPS1_S8_PvPKiSB_iiiiilll, .Lfunc_end689-_ZN12_GLOBAL__N_139chunk_gated_delta_rule_fwd_h_hip_kernelILi16ELb1ELb1ELb1ELb1ELb1ELb0ELb0ELb0EEEvPK12hip_bfloat16S3_S3_PKfS5_PKvPS1_S8_PvPKiSB_iiiiilll
                                        ; -- End function
	.section	.AMDGPU.csdata,"",@progbits
; Kernel info:
; codeLenInByte = 7736
; NumSgprs: 74
; NumVgprs: 110
; NumAgprs: 8
; TotalNumVgprs: 120
; ScratchSize: 0
; MemoryBound: 0
; FloatMode: 240
; IeeeMode: 1
; LDSByteSize: 40960 bytes/workgroup (compile time only)
; SGPRBlocks: 9
; VGPRBlocks: 14
; NumSGPRsForWavesPerEU: 74
; NumVGPRsForWavesPerEU: 120
; AccumOffset: 112
; Occupancy: 1
; WaveLimiterHint : 1
; COMPUTE_PGM_RSRC2:SCRATCH_EN: 0
; COMPUTE_PGM_RSRC2:USER_SGPR: 2
; COMPUTE_PGM_RSRC2:TRAP_HANDLER: 0
; COMPUTE_PGM_RSRC2:TGID_X_EN: 1
; COMPUTE_PGM_RSRC2:TGID_Y_EN: 1
; COMPUTE_PGM_RSRC2:TGID_Z_EN: 0
; COMPUTE_PGM_RSRC2:TIDIG_COMP_CNT: 0
; COMPUTE_PGM_RSRC3_GFX90A:ACCUM_OFFSET: 27
; COMPUTE_PGM_RSRC3_GFX90A:TG_SPLIT: 0
	.section	.text._ZN12_GLOBAL__N_139chunk_gated_delta_rule_fwd_h_hip_kernelILi16ELb1ELb1ELb0ELb1ELb1ELb0ELb0ELb0EEEvPK12hip_bfloat16S3_S3_PKfS5_PKvPS1_S8_PvPKiSB_iiiiilll,"axG",@progbits,_ZN12_GLOBAL__N_139chunk_gated_delta_rule_fwd_h_hip_kernelILi16ELb1ELb1ELb0ELb1ELb1ELb0ELb0ELb0EEEvPK12hip_bfloat16S3_S3_PKfS5_PKvPS1_S8_PvPKiSB_iiiiilll,comdat
	.globl	_ZN12_GLOBAL__N_139chunk_gated_delta_rule_fwd_h_hip_kernelILi16ELb1ELb1ELb0ELb1ELb1ELb0ELb0ELb0EEEvPK12hip_bfloat16S3_S3_PKfS5_PKvPS1_S8_PvPKiSB_iiiiilll ; -- Begin function _ZN12_GLOBAL__N_139chunk_gated_delta_rule_fwd_h_hip_kernelILi16ELb1ELb1ELb0ELb1ELb1ELb0ELb0ELb0EEEvPK12hip_bfloat16S3_S3_PKfS5_PKvPS1_S8_PvPKiSB_iiiiilll
	.p2align	8
	.type	_ZN12_GLOBAL__N_139chunk_gated_delta_rule_fwd_h_hip_kernelILi16ELb1ELb1ELb0ELb1ELb1ELb0ELb0ELb0EEEvPK12hip_bfloat16S3_S3_PKfS5_PKvPS1_S8_PvPKiSB_iiiiilll,@function
_ZN12_GLOBAL__N_139chunk_gated_delta_rule_fwd_h_hip_kernelILi16ELb1ELb1ELb0ELb1ELb1ELb0ELb0ELb0EEEvPK12hip_bfloat16S3_S3_PKfS5_PKvPS1_S8_PvPKiSB_iiiiilll: ; @_ZN12_GLOBAL__N_139chunk_gated_delta_rule_fwd_h_hip_kernelILi16ELb1ELb1ELb0ELb1ELb1ELb0ELb0ELb0EEEvPK12hip_bfloat16S3_S3_PKfS5_PKvPS1_S8_PvPKiSB_iiiiilll
; %bb.0:
	s_load_dwordx4 s[16:19], s[0:1], 0x5c
	s_load_dwordx2 s[4:5], s[0:1], 0x50
	s_abs_i32 s7, s3
	s_ashr_i32 s6, s3, 31
	s_load_dwordx4 s[12:15], s[0:1], 0x40
	s_load_dwordx4 s[20:23], s[0:1], 0x28
	s_waitcnt lgkmcnt(0)
	s_abs_i32 s10, s17
	v_cvt_f32_u32_e32 v1, s10
	s_sub_i32 s8, 0, s10
	s_ashr_i32 s11, s17, 31
	s_xor_b32 s6, s6, s11
	v_rcp_iflag_f32_e32 v1, v1
	v_and_b32_e32 v54, 15, v0
	v_bfe_u32 v53, v0, 4, 2
	v_mov_b32_e32 v45, 0
	v_mul_f32_e32 v1, 0x4f7ffffe, v1
	v_cvt_u32_f32_e32 v1, v1
	v_lshlrev_b32_e32 v55, 3, v0
	v_readfirstlane_b32 s9, v1
	s_mul_i32 s8, s8, s9
	s_mul_hi_u32 s8, s9, s8
	s_add_i32 s9, s9, s8
	s_mul_hi_u32 s8, s7, s9
	s_mul_i32 s9, s8, s10
	s_sub_i32 s7, s7, s9
	s_add_i32 s24, s8, 1
	s_sub_i32 s9, s7, s10
	s_cmp_ge_u32 s7, s10
	s_cselect_b32 s8, s24, s8
	s_cselect_b32 s7, s9, s7
	s_add_i32 s9, s8, 1
	s_cmp_ge_u32 s7, s10
	s_cselect_b32 s7, s9, s8
	s_xor_b32 s7, s7, s6
	s_sub_i32 s24, s7, s6
	s_mul_i32 s28, s24, s17
	s_ashr_i32 s25, s24, 31
	s_sub_i32 s49, s3, s28
	s_lshl_b64 s[6:7], s[24:25], 2
	s_add_u32 s8, s14, s6
	s_addc_u32 s9, s15, s7
	s_add_u32 s26, s4, s6
	s_addc_u32 s27, s5, s7
	s_abs_i32 s3, s18
	v_cvt_f32_u32_e32 v1, s3
	s_load_dwordx2 s[36:37], s[8:9], 0x0
	s_sub_i32 s5, 0, s3
	s_lshl_b32 s2, s2, 4
	v_rcp_iflag_f32_e32 v1, v1
	v_or_b32_e32 v46, s2, v54
	s_waitcnt lgkmcnt(0)
	s_sub_i32 s52, s37, s36
	s_ashr_i32 s4, s52, 31
	v_mul_f32_e32 v1, 0x4f7ffffe, v1
	v_cvt_u32_f32_e32 v1, v1
	s_lshr_b32 s4, s4, 26
	s_add_i32 s4, s52, s4
	s_ashr_i32 s50, s4, 6
	v_readfirstlane_b32 s6, v1
	s_mul_i32 s5, s5, s6
	s_mul_hi_u32 s5, s6, s5
	s_add_i32 s6, s6, s5
	s_mul_hi_u32 s5, s10, s6
	s_mul_i32 s6, s5, s3
	s_ashr_i32 s4, s18, 31
	s_sub_i32 s6, s10, s6
	s_xor_b32 s4, s11, s4
	s_add_i32 s7, s5, 1
	s_sub_i32 s8, s6, s3
	s_cmp_ge_u32 s6, s3
	s_cselect_b32 s5, s7, s5
	s_cselect_b32 s6, s8, s6
	s_add_i32 s7, s5, 1
	s_cmp_ge_u32 s6, s3
	s_cselect_b32 s3, s7, s5
	s_xor_b32 s3, s3, s4
	s_sub_i32 s3, s3, s4
	s_abs_i32 s4, s3
	v_cvt_f32_u32_e32 v1, s4
	s_sub_i32 s6, 0, s4
	s_abs_i32 s5, s49
	s_xor_b32 s3, s49, s3
	v_rcp_iflag_f32_e32 v2, v1
	s_ashr_i32 s3, s3, 31
	v_lshrrev_b32_e32 v1, 6, v0
	v_lshlrev_b32_e32 v52, 4, v1
	v_mul_f32_e32 v2, 0x4f7ffffe, v2
	v_cvt_u32_f32_e32 v2, v2
	v_lshlrev_b32_e32 v42, 7, v46
	v_lshl_or_b32 v57, v53, 2, v52
	v_ashrrev_i32_e32 v43, 31, v42
	v_readfirstlane_b32 s7, v2
	s_mul_i32 s6, s6, s7
	s_mul_hi_u32 s6, s7, s6
	s_add_i32 s7, s7, s6
	s_mul_hi_u32 s6, s5, s7
	s_mul_i32 s7, s6, s4
	s_sub_i32 s5, s5, s7
	s_add_i32 s7, s6, 1
	s_sub_i32 s8, s5, s4
	s_cmp_ge_u32 s5, s4
	s_cselect_b32 s6, s7, s6
	s_cselect_b32 s5, s8, s5
	s_add_i32 s7, s6, 1
	s_cmp_ge_u32 s5, s4
	s_cselect_b32 s4, s7, s6
	s_xor_b32 s4, s4, s3
	s_sub_i32 s53, s4, s3
	s_ashr_i32 s51, s49, 31
	s_mul_hi_i32 s3, s24, s17
	s_add_u32 s4, s28, s49
	s_addc_u32 s5, s3, s51
	s_lshl_b64 s[14:15], s[4:5], 16
	s_add_u32 s4, s20, s14
	s_addc_u32 s5, s21, s15
	v_lshl_add_u64 v[2:3], v[42:43], 2, s[4:5]
	v_lshlrev_b32_e32 v44, 2, v57
	v_lshl_add_u64 v[10:11], v[2:3], 0, v[44:45]
	global_load_dwordx4 v[2:5], v[10:11], off
	global_load_dwordx4 v[6:9], v[10:11], off offset:256
	s_load_dwordx8 s[4:11], s[0:1], 0x0
	s_load_dwordx2 s[34:35], s[0:1], 0x80
	s_load_dwordx4 s[28:31], s[0:1], 0x70
	s_load_dword s56, s[26:27], 0x0
	v_and_b32_e32 v45, 63, v0
	v_lshrrev_b32_e32 v56, 3, v45
	v_or_b32_e32 v58, 64, v57
	s_waitcnt lgkmcnt(0)
	s_mul_i32 s33, s24, s29
	s_mul_hi_u32 s44, s24, s28
	s_mul_i32 s40, s24, s28
	s_mul_i32 s45, s25, s28
	s_mul_hi_i32 s54, s49, s16
	s_mul_i32 s55, s49, s16
	s_mul_i32 s46, s49, s31
	s_mul_hi_u32 s47, s49, s30
	s_mul_i32 s48, s51, s30
	s_cmp_lt_i32 s52, 64
	s_mul_i32 s38, s49, s30
	s_waitcnt vmcnt(1)
	v_mov_b32_e32 v60, v5
	s_waitcnt vmcnt(0)
	v_mov_b32_e32 v59, v9
	s_cbranch_scc1 .LBB690_3
; %bb.1:
	s_ashr_i32 s1, s36, 31
	s_add_u32 s0, s55, s36
	s_addc_u32 s1, s54, s1
	s_lshl_b64 s[0:1], s[0:1], 8
	v_and_b32_e32 v62, 56, v55
	s_add_u32 s24, s6, s0
	v_lshl_or_b32 v61, v1, 3, v56
	v_lshlrev_b32_e32 v5, 1, v62
	s_addc_u32 s0, s7, s1
	v_lshl_or_b32 v63, v61, 8, v5
	s_and_b32 s25, s0, 0xffff
	s_mov_b32 s27, 0x20000
	s_movk_i32 s26, 0x4000
	s_movk_i32 s0, 0x80
	v_or_b32_e32 v64, 0x2000, v63
	buffer_load_dwordx4 v[10:13], v63, s[24:27], 0 offen
	buffer_load_dwordx4 v[14:17], v63, s[24:27], s0 offen
	;; [unrolled: 1-line block ×4, first 2 shown]
	v_lshlrev_b32_e32 v9, 3, v61
	v_and_or_b32 v27, v0, 7, v9
	v_and_b32_e32 v9, 0x78, v9
	v_lshlrev_b32_e32 v27, 4, v27
	v_xor_b32_e32 v65, v27, v9
	v_mul_lo_u32 v26, v61, s19
	v_or_b32_e32 v66, 0x1000, v65
	v_xor_b32_e32 v9, 8, v65
	s_cmpk_eq_i32 s19, 0x80
	s_mov_b32 s57, s36
	v_xor_b32_e32 v27, 8, v66
	s_cselect_b64 s[0:1], -1, 0
	s_cmpk_lg_i32 s19, 0x80
	s_waitcnt vmcnt(3)
	ds_write_b64 v65, v[10:11] offset:16384
	ds_write_b64 v9, v[12:13] offset:16384
	s_waitcnt vmcnt(2)
	ds_write_b64 v65, v[14:15] offset:24576
	ds_write_b64 v9, v[16:17] offset:24576
	;; [unrolled: 3-line block ×4, first 2 shown]
	v_lshl_add_u32 v9, v26, 1, v62
	s_cbranch_scc0 .LBB690_29
; %bb.2:
	v_lshlrev_b32_e32 v11, 1, v9
	v_add_lshl_u32 v10, v9, s19, 1
	s_lshl_b32 s26, s19, 7
	v_lshl_or_b32 v5, v61, 9, v5
	s_cbranch_execz .LBB690_30
	s_branch .LBB690_31
.LBB690_3:
	v_mov_b32_e32 v9, v59
	v_mov_b32_e32 v5, v60
.LBB690_4:
	s_lshl_b32 s31, s50, 6
	s_sub_i32 s30, s52, s31
	s_cmp_gt_i32 s30, 0
	s_cbranch_scc0 .LBB690_76
; %bb.5:
	s_add_i32 s31, s31, s36
	s_ashr_i32 s3, s31, 31
	s_cmpk_lg_i32 s19, 0x80
	s_cselect_b64 s[26:27], -1, 0
	s_and_b64 vcc, exec, s[26:27]
	s_cbranch_vccz .LBB690_7
; %bb.6:
	s_mul_hi_i32 s0, s31, s18
	s_mul_i32 s1, s31, s18
	s_ashr_i32 s18, s53, 31
	s_add_u32 s28, s1, s53
	s_addc_u32 s29, s0, s18
	s_cbranch_execz .LBB690_8
	s_branch .LBB690_9
.LBB690_7:
                                        ; implicit-def: $sgpr28_sgpr29
.LBB690_8:
	s_mul_i32 s1, s53, s16
	s_mul_hi_i32 s0, s53, s16
	s_add_u32 s28, s1, s31
	s_addc_u32 s29, s0, s3
.LBB690_9:
	s_add_i32 s16, s50, s56
	s_add_u32 s0, s55, s31
	s_addc_u32 s1, s54, s3
	s_mov_b32 s3, 0x7060302
	v_lshlrev_b32_e32 v14, 3, v54
	s_lshl_b64 s[24:25], s[0:1], 8
	v_perm_b32 v11, v5, v4, s3
	v_perm_b32 v10, v3, v2, s3
	;; [unrolled: 1-line block ×4, first 2 shown]
	v_lshlrev_b32_e32 v48, 2, v54
	v_lshl_or_b32 v14, v57, 5, v14
	s_add_u32 s0, s6, s24
	ds_write2st64_b64 v14, v[10:11], v[12:13] offset0:72 offset1:76
	v_xor_b32_e32 v14, v57, v48
	v_lshlrev_b32_e32 v15, 8, v54
	s_addc_u32 s1, s7, s25
	v_lshl_or_b32 v14, v14, 1, v15
	s_mul_hi_i32 s3, s16, s17
	s_mul_i32 s16, s16, s17
	ds_write_b64 v14, v[10:11] offset:32768
	v_xor_b32_e32 v10, v58, v48
	s_add_u32 s6, s16, s49
	v_lshl_or_b32 v10, v10, 1, v15
	s_addc_u32 s7, s3, s51
	v_lshlrev_b32_e32 v11, 1, v54
	ds_write_b64 v10, v[12:13] offset:32768
	v_lshrrev_b32_e32 v10, 4, v0
	s_ashr_i32 s3, s2, 31
	s_lshl_b64 s[6:7], s[6:7], 15
	v_or_b32_e32 v12, 1, v11
	s_add_u32 s6, s22, s6
	v_xor_b32_e32 v11, v10, v11
	v_xor_b32_e32 v12, v12, v10
	v_lshlrev_b32_e32 v14, 8, v10
	s_addc_u32 s7, s23, s7
	s_lshl_b64 s[2:3], s[2:3], 8
	v_lshl_or_b32 v10, v11, 3, v14
	v_lshl_or_b32 v12, v12, 3, v14
	s_waitcnt lgkmcnt(0)
	s_barrier
	s_add_u32 s2, s6, s2
	ds_read_b64 v[10:11], v10 offset:32768
	ds_read_b64 v[12:13], v12 offset:32768
	s_addc_u32 s3, s7, s3
	v_mov_b32_e32 v15, 0
	s_cmp_lg_u32 s30, 64
	v_lshl_add_u64 v[16:17], s[2:3], 0, v[14:15]
	v_lshlrev_b32_e32 v14, 4, v54
	s_cselect_b64 s[6:7], -1, 0
	v_lshl_or_b32 v47, v1, 3, v56
	s_mov_b32 s20, 0
	v_lshl_add_u64 v[14:15], v[16:17], 0, v[14:15]
	s_waitcnt vmcnt(1)
	v_or_b32_e32 v27, 32, v47
	v_and_b32_e32 v26, 56, v55
	s_and_b64 vcc, exec, s[6:7]
	s_waitcnt lgkmcnt(0)
	global_store_dwordx4 v[14:15], v[10:13], off
	s_cbranch_vccz .LBB690_15
; %bb.10:
	s_mov_b32 s21, s20
	s_mov_b32 s22, s20
	;; [unrolled: 1-line block ×3, first 2 shown]
	v_mov_b64_e32 v[14:15], s[20:21]
	v_mov_b64_e32 v[16:17], s[22:23]
	;; [unrolled: 1-line block ×3, first 2 shown]
	v_cmp_gt_i32_e32 vcc, s30, v47
	v_mov_b64_e32 v[12:13], v[16:17]
	s_and_saveexec_b64 s[2:3], vcc
	s_cbranch_execz .LBB690_12
; %bb.11:
	v_lshlrev_b32_e32 v10, 8, v47
	v_mov_b32_e32 v11, 0
	v_lshl_add_u64 v[12:13], s[0:1], 0, v[10:11]
	v_lshlrev_b32_e32 v10, 1, v26
	v_lshl_add_u64 v[18:19], v[12:13], 0, v[10:11]
	global_load_dwordx4 v[14:17], v[18:19], off
	global_load_dwordx4 v[10:13], v[18:19], off offset:128
.LBB690_12:
	s_or_b64 exec, exec, s[2:3]
	s_mov_b32 s22, s20
	s_mov_b32 s23, s20
	;; [unrolled: 1-line block ×3, first 2 shown]
	v_mov_b64_e32 v[24:25], s[22:23]
	v_mov_b64_e32 v[22:23], s[20:21]
	;; [unrolled: 1-line block ×3, first 2 shown]
	v_cmp_gt_i32_e32 vcc, s30, v27
	v_lshlrev_b32_e32 v28, 7, v27
	v_mov_b64_e32 v[20:21], v[24:25]
	s_and_saveexec_b64 s[2:3], vcc
	s_cbranch_execz .LBB690_14
; %bb.13:
	v_lshlrev_b32_e32 v18, 1, v28
	v_mov_b32_e32 v19, 0
	v_lshl_add_u64 v[20:21], s[0:1], 0, v[18:19]
	v_lshlrev_b32_e32 v18, 1, v26
	v_lshl_add_u64 v[30:31], v[20:21], 0, v[18:19]
	global_load_dwordx4 v[22:25], v[30:31], off
	global_load_dwordx4 v[18:21], v[30:31], off offset:128
.LBB690_14:
	s_or_b64 exec, exec, s[2:3]
	v_lshrrev_b32_e32 v29, 3, v26
	v_lshlrev_b32_e32 v30, 3, v47
	v_or_b32_e32 v29, v30, v29
	v_lshlrev_b32_e32 v29, 4, v29
	v_and_b32_e32 v30, 0x78, v30
	v_xor_b32_e32 v29, v29, v30
	s_branch .LBB690_17
.LBB690_15:
                                        ; implicit-def: $vgpr29
                                        ; implicit-def: $vgpr28
                                        ; implicit-def: $vgpr14_vgpr15_vgpr16_vgpr17
                                        ; implicit-def: $vgpr10_vgpr11_vgpr12_vgpr13
                                        ; implicit-def: $vgpr22_vgpr23_vgpr24_vgpr25
                                        ; implicit-def: $vgpr18_vgpr19_vgpr20_vgpr21
	s_cbranch_execz .LBB690_17
; %bb.16:
	s_waitcnt vmcnt(0)
	v_lshlrev_b32_e32 v10, 1, v26
	v_lshl_or_b32 v28, v47, 8, v10
	s_and_b32 s1, s1, 0xffff
	s_mov_b32 s3, 0x20000
	s_movk_i32 s2, 0x4000
	v_lshl_or_b32 v29, v27, 8, v10
	s_movk_i32 s16, 0x80
	buffer_load_dwordx4 v[14:17], v28, s[0:3], 0 offen
	buffer_load_dwordx4 v[10:13], v28, s[0:3], s16 offen
	;; [unrolled: 1-line block ×4, first 2 shown]
	v_lshrrev_b32_e32 v28, 3, v26
	v_lshlrev_b32_e32 v29, 3, v47
	v_or_b32_e32 v28, v29, v28
	v_lshlrev_b32_e32 v28, 4, v28
	v_and_b32_e32 v29, 0x78, v29
	v_xor_b32_e32 v29, v28, v29
	v_lshlrev_b32_e32 v28, 7, v27
.LBB690_17:
	s_lshl_b64 s[0:1], s[28:29], 8
	s_add_u32 s4, s4, s0
	s_movk_i32 s0, 0x1000
	v_and_or_b32 v27, v28, s0, v29
	s_waitcnt vmcnt(1)
	ds_write_b64 v29, v[14:15] offset:16384
	v_xor_b32_e32 v14, 8, v29
	ds_write_b64 v14, v[16:17] offset:16384
	s_waitcnt vmcnt(0)
	ds_write_b64 v29, v[10:11] offset:24576
	ds_write_b64 v14, v[12:13] offset:24576
	;; [unrolled: 1-line block ×3, first 2 shown]
	v_xor_b32_e32 v10, 8, v27
	ds_write_b64 v10, v[24:25] offset:16384
	ds_write_b64 v27, v[18:19] offset:24576
	;; [unrolled: 1-line block ×3, first 2 shown]
	v_or_b32_e32 v10, v52, v54
	v_lshlrev_b32_e32 v10, 3, v10
	v_lshrrev_b32_e32 v12, 5, v45
	s_movk_i32 s16, 0xf8
	v_and_or_b32 v12, v10, s16, v12
	v_lshlrev_b32_e32 v49, 11, v1
	v_lshlrev_b32_e32 v20, 4, v12
	v_and_b32_e32 v21, 0x78, v10
	v_and_b32_e32 v22, 0x1000, v49
	v_lshlrev_b32_e32 v11, 2, v0
	v_xor_b32_e32 v10, v20, v21
	v_lshrrev_b32_e32 v12, 1, v45
	v_and_b32_e32 v11, 60, v11
	v_or_b32_e32 v10, v10, v22
	v_and_b32_e32 v23, 8, v12
	v_xor_b32_e32 v34, v10, v23
	v_lshl_or_b32 v10, v53, 6, v11
	v_lshlrev_b32_e32 v50, 1, v10
	v_or_b32_e32 v10, 32, v20
	v_xor_b32_e32 v10, v10, v21
	s_waitcnt lgkmcnt(0)
	s_barrier
	ds_read_b64 v[18:19], v34 offset:16384
	v_or_b32_e32 v10, v10, v22
	v_xor_b32_e32 v35, v10, v23
	v_or_b32_e32 v10, 64, v20
	v_xor_b32_e32 v10, v10, v21
	v_or_b32_e32 v10, v10, v22
	v_or_b32_e32 v20, 0x60, v20
	v_xor_b32_e32 v36, v10, v23
	ds_read2st64_b64 v[10:13], v50 offset0:72 offset1:73
	ds_read2st64_b64 v[14:17], v50 offset0:74 offset1:75
	v_xor_b32_e32 v24, v20, v21
	ds_read_b64 v[20:21], v35 offset:16384
	s_addc_u32 s5, s5, s1
	s_add_i32 s1, s44, s33
	s_waitcnt lgkmcnt(2)
	v_mfma_f32_16x16x16_bf16 a[0:3], v[18:19], v[10:11], 0
	s_add_i32 s0, s37, -1
	s_add_i32 s41, s1, s45
	s_add_i32 s1, s47, s46
	;; [unrolled: 1-line block ×3, first 2 shown]
	s_ashr_i32 s1, s0, 31
	s_mul_i32 s2, s0, s35
	s_mul_hi_u32 s3, s0, s34
	s_add_i32 s2, s3, s2
	s_mul_i32 s1, s1, s34
	v_or_b32_e32 v22, v24, v22
	s_add_i32 s1, s2, s1
	s_lshl_b64 s[2:3], s[40:41], 2
	v_xor_b32_e32 v51, v22, v23
	ds_read_b64 v[22:23], v36 offset:16384
	ds_read_b64 v[24:25], v51 offset:16384
	s_waitcnt lgkmcnt(2)
	v_mfma_f32_16x16x16_bf16 a[0:3], v[20:21], v[12:13], a[0:3]
	s_add_u32 s10, s10, s2
	s_addc_u32 s11, s11, s3
	s_lshl_b64 s[2:3], s[38:39], 2
	s_mul_i32 s0, s0, s34
	s_add_u32 s10, s10, s2
	s_addc_u32 s11, s11, s3
	s_lshl_b64 s[0:1], s[0:1], 2
	s_waitcnt lgkmcnt(1)
	v_mfma_f32_16x16x16_bf16 a[0:3], v[22:23], v[14:15], a[0:3]
	s_add_u32 s0, s10, s0
	s_addc_u32 s1, s11, s1
	s_load_dword s16, s[0:1], 0x0
	s_waitcnt lgkmcnt(0)
	v_mfma_f32_16x16x16_bf16 a[0:3], v[24:25], v[16:17], a[0:3]
	s_and_b64 vcc, exec, s[26:27]
	s_cbranch_vccz .LBB690_28
; %bb.18:
	v_lshlrev_b32_e32 v27, 1, v47
	s_and_b64 vcc, exec, s[6:7]
	s_cbranch_vccz .LBB690_44
; %bb.19:
	v_cmp_gt_i32_e32 vcc, s30, v27
	v_mov_b32_e32 v14, 0
	v_mov_b32_e32 v10, 0
	;; [unrolled: 1-line block ×5, first 2 shown]
	s_and_saveexec_b64 s[0:1], vcc
	s_cbranch_execz .LBB690_21
; %bb.20:
	v_mad_i64_i32 v[10:11], s[2:3], s19, v27, 0
	v_lshl_add_u64 v[10:11], v[10:11], 1, s[4:5]
	v_lshlrev_b32_e32 v12, 1, v26
	v_mov_b32_e32 v13, 0
	v_lshl_add_u64 v[10:11], v[10:11], 0, v[12:13]
	global_load_dwordx4 v[10:13], v[10:11], off
.LBB690_21:
	s_or_b64 exec, exec, s[0:1]
	v_or_b32_e32 v28, 1, v27
	v_cmp_gt_i32_e64 s[0:1], s30, v28
	v_mov_b32_e32 v15, 0
	v_mov_b32_e32 v16, 0
	;; [unrolled: 1-line block ×3, first 2 shown]
	s_and_saveexec_b64 s[2:3], s[0:1]
	s_cbranch_execz .LBB690_23
; %bb.22:
	v_mad_i64_i32 v[14:15], s[20:21], s19, v28, 0
	v_lshl_add_u64 v[14:15], v[14:15], 1, s[4:5]
	v_lshlrev_b32_e32 v16, 1, v26
	v_mov_b32_e32 v17, 0
	v_lshl_add_u64 v[14:15], v[14:15], 0, v[16:17]
	global_load_dwordx4 v[14:17], v[14:15], off
.LBB690_23:
	s_or_b64 exec, exec, s[2:3]
	v_mov_b32_e32 v25, 0
	v_mov_b32_e32 v18, 0
	;; [unrolled: 1-line block ×5, first 2 shown]
	s_and_saveexec_b64 s[2:3], vcc
	s_cbranch_execz .LBB690_25
; %bb.24:
	v_mad_i64_i32 v[18:19], s[20:21], s19, v27, 0
	v_lshl_add_u64 v[18:19], v[18:19], 1, s[4:5]
	v_lshlrev_b32_e32 v20, 1, v26
	v_mov_b32_e32 v21, 0
	v_lshl_add_u64 v[18:19], v[18:19], 0, v[20:21]
	global_load_dwordx4 v[18:21], v[18:19], off offset:128
.LBB690_25:
	s_or_b64 exec, exec, s[2:3]
	v_mov_b32_e32 v24, 0
	v_mov_b32_e32 v23, 0
	;; [unrolled: 1-line block ×3, first 2 shown]
	s_and_saveexec_b64 s[2:3], s[0:1]
	s_cbranch_execz .LBB690_27
; %bb.26:
	v_mad_i64_i32 v[22:23], s[0:1], s19, v28, 0
	v_lshl_add_u64 v[22:23], v[22:23], 1, s[4:5]
	v_lshlrev_b32_e32 v24, 1, v26
	v_mov_b32_e32 v25, 0
	v_lshl_add_u64 v[22:23], v[22:23], 0, v[24:25]
	global_load_dwordx4 v[22:25], v[22:23], off offset:128
.LBB690_27:
	s_or_b64 exec, exec, s[2:3]
	s_branch .LBB690_46
.LBB690_28:
                                        ; implicit-def: $vgpr13
                                        ; implicit-def: $vgpr17
                                        ; implicit-def: $vgpr21
                                        ; implicit-def: $vgpr25
	v_lshrrev_b32_e32 v45, 2, v45
	s_branch .LBB690_47
.LBB690_29:
                                        ; implicit-def: $vgpr10
                                        ; implicit-def: $vgpr11
                                        ; implicit-def: $sgpr26
	v_lshl_or_b32 v5, v61, 9, v5
.LBB690_30:
	v_or_b32_e32 v10, 0x100, v5
	s_movk_i32 s26, 0x4000
	v_mov_b32_e32 v11, v5
.LBB690_31:
	s_mul_i32 s20, s36, s18
	s_ashr_i32 s58, s53, 31
	s_mul_hi_i32 s3, s36, s18
	s_add_u32 s20, s20, s53
	s_addc_u32 s21, s3, s58
	s_lshl_b64 s[20:21], s[20:21], 8
	s_add_u32 s24, s4, s20
	s_addc_u32 s3, s5, s21
	s_and_b32 s25, s3, 0xffff
	s_movk_i32 s59, 0x80
	buffer_load_dwordx4 v[12:15], v11, s[24:27], 0 offen
	buffer_load_dwordx4 v[16:19], v11, s[24:27], s59 offen
	buffer_load_dwordx4 v[20:23], v10, s[24:27], 0 offen
	buffer_load_dwordx4 v[24:27], v10, s[24:27], s59 offen
	v_and_b32_e32 v10, 6, v0
	v_lshlrev_b32_e32 v28, 2, v54
	v_lshlrev_b32_e32 v29, 3, v54
	v_xor_b32_e32 v32, v61, v10
	v_and_b32_e32 v11, 1, v0
	v_lshl_or_b32 v29, v57, 5, v29
	v_xor_b32_e32 v33, v57, v28
	v_lshlrev_b32_e32 v32, 2, v32
	v_or_b32_e32 v67, 0x9000, v29
	v_or_b32_e32 v68, 0x9800, v29
	v_lshlrev_b32_e32 v29, 1, v33
	v_xor_b32_e32 v33, 0x440, v32
	v_cmp_eq_u32_e32 vcc, 0, v11
	s_add_i32 s3, s44, s33
	s_add_i32 s20, s47, s46
	v_cndmask_b32_e32 v11, v33, v32, vcc
	s_add_i32 s41, s3, s45
	v_lshl_or_b32 v10, v10, 10, v11
	s_add_i32 s39, s20, s48
	s_lshl_b64 s[20:21], s[40:41], 2
	s_mov_b32 s60, 0x1000504
	v_lshlrev_b32_e32 v30, 8, v54
	s_mov_b32 s26, 0x8000
	v_xor_b32_e32 v28, v58, v28
	v_xor_b32_e32 v11, 8, v10
	s_add_u32 s3, s10, s20
	s_mov_b32 s61, 0x3020706
	v_or_b32_e32 v31, v52, v54
	v_lshlrev_b32_e32 v28, 1, v28
	v_or3_b32 v69, v29, v30, s26
	v_xor_b32_e32 v29, 24, v10
	v_xor_b32_e32 v32, 40, v10
	;; [unrolled: 1-line block ×3, first 2 shown]
	v_add_u32_e32 v11, 0x80, v11
	s_addc_u32 s24, s11, s21
	s_lshl_b64 s[20:21], s[38:39], 2
	v_lshlrev_b32_e32 v31, 3, v31
	v_or3_b32 v70, v28, v30, s26
	v_xor_b32_e32 v28, 16, v10
	v_xor_b32_e32 v30, 32, v10
	;; [unrolled: 1-line block ×3, first 2 shown]
	v_add_u32_e32 v29, 0x80, v29
	v_add_u32_e32 v32, 0x80, v32
	;; [unrolled: 1-line block ×3, first 2 shown]
	s_add_u32 s20, s3, s20
	s_movk_i32 s3, 0xf8
	s_addc_u32 s21, s24, s21
	v_ashrrev_i32_e32 v47, 31, v46
	s_lshl_b32 s30, s19, 7
	s_mov_b32 s62, 0
	s_waitcnt vmcnt(1)
	v_perm_b32 v35, v12, v20, s60
	s_waitcnt vmcnt(0)
	v_perm_b32 v36, v16, v24, s60
	v_perm_b32 v12, v12, v20, s61
	;; [unrolled: 1-line block ×15, first 2 shown]
	ds_write2st64_b32 v10, v35, v36 offset1:32
	ds_write2st64_b32 v11, v12, v16 offset1:32
	ds_write2st64_b32 v28, v20, v24 offset0:1 offset1:33
	ds_write2st64_b32 v29, v13, v17 offset0:1 offset1:33
	;; [unrolled: 1-line block ×6, first 2 shown]
	v_lshrrev_b32_e32 v11, 5, v45
	v_and_or_b32 v11, v31, s3, v11
	v_lshlrev_b32_e32 v11, 4, v11
	v_lshlrev_b32_e32 v16, 11, v1
	v_and_b32_e32 v12, 0x78, v31
	v_or_b32_e32 v15, 32, v11
	v_and_b32_e32 v10, 0x1000, v16
	v_xor_b32_e32 v13, v11, v12
	v_lshrrev_b32_e32 v17, 1, v0
	v_xor_b32_e32 v15, v15, v12
	v_or_b32_e32 v13, v13, v10
	v_and_b32_e32 v14, 8, v17
	v_or_b32_e32 v15, v15, v10
	v_xor_b32_e32 v71, v13, v14
	v_and_b32_e32 v13, 0x78, v55
	v_xor_b32_e32 v73, v15, v14
	v_or_b32_e32 v15, 64, v11
	v_or_b32_e32 v11, 0x60, v11
	v_lshl_or_b32 v13, v53, 7, v13
	v_xor_b32_e32 v15, v15, v12
	v_xor_b32_e32 v11, v11, v12
	v_or_b32_e32 v72, 0x9000, v13
	v_or_b32_e32 v15, v15, v10
	;; [unrolled: 1-line block ×4, first 2 shown]
	v_lshrrev_b32_e32 v12, 4, v0
	v_lshlrev_b32_e32 v13, 1, v54
	v_xor_b32_e32 v74, v15, v14
	v_xor_b32_e32 v75, v10, v14
	s_ashr_i32 s3, s2, 31
	v_or_b32_e32 v14, 1, v13
	v_xor_b32_e32 v13, v12, v13
	s_lshl_b64 s[24:25], s[2:3], 8
	v_xor_b32_e32 v14, v14, v12
	v_lshlrev_b32_e32 v13, 3, v13
	v_lshlrev_b32_e32 v12, 8, v12
	v_lshl_add_u64 v[10:11], v[46:47], 1, s[8:9]
	s_add_u32 s24, s22, s24
	v_or3_b32 v47, v13, v12, s26
	v_lshlrev_b32_e32 v13, 3, v14
	s_addc_u32 s25, s23, s25
	v_or3_b32 v77, v13, v12, s26
	v_mov_b32_e32 v13, 0
	v_lshl_add_u64 v[14:15], s[24:25], 0, v[12:13]
	v_lshlrev_b32_e32 v12, 4, v54
	s_movk_i32 s3, 0xff
	v_lshlrev_b32_e32 v21, 3, v1
	v_and_b32_e32 v17, 24, v17
	v_lshl_add_u64 v[48:49], v[14:15], 0, v[12:13]
	v_and_b32_e32 v14, 8, v0
	v_cmp_lt_u32_e32 vcc, s3, v0
	v_xor_b32_e32 v22, v21, v17
	v_or_b32_e32 v23, 0x440, v22
	v_cndmask_b32_e64 v20, 0, 1, vcc
	v_cmp_eq_u32_e32 vcc, 0, v14
	v_and_b32_e32 v12, 7, v0
	v_lshlrev_b32_e32 v15, 3, v12
	v_cndmask_b32_e32 v14, v23, v22, vcc
	v_lshlrev_b32_e32 v12, 7, v12
	v_or_b32_e32 v14, v14, v16
	v_xad_u32 v78, v14, v15, v12
	v_or_b32_e32 v14, 32, v17
	v_xor_b32_e32 v14, v21, v14
	v_or_b32_e32 v22, 0x440, v14
	v_cndmask_b32_e32 v14, v22, v14, vcc
	v_or_b32_e32 v14, v14, v16
	v_xad_u32 v79, v14, v15, v12
	v_or_b32_e32 v14, 64, v17
	v_xor_b32_e32 v14, v21, v14
	v_xor_b32_e32 v22, 0x440, v14
	v_cndmask_b32_e32 v14, v22, v14, vcc
	v_or_b32_e32 v14, v14, v16
	v_xad_u32 v80, v14, v15, v12
	v_or_b32_e32 v14, 0x60, v17
	v_xor_b32_e32 v14, v21, v14
	v_xor_b32_e32 v17, 0x440, v14
	v_cndmask_b32_e32 v14, v17, v14, vcc
	v_or_b32_e32 v14, v14, v16
	v_lshlrev_b32_e32 v18, 1, v9
	v_add_lshl_u32 v9, v9, s19, 1
	v_or_b32_e32 v19, 0x100, v5
	v_lshlrev_b32_e32 v20, 13, v20
	v_xad_u32 v81, v14, v15, v12
	v_lshlrev_b32_e32 v12, 8, v57
	v_cndmask_b32_e64 v82, v18, v5, s[0:1]
	v_cndmask_b32_e64 v83, v9, v19, s[0:1]
	v_lshl_add_u64 v[50:51], v[10:11], 0, v[12:13]
	s_mov_b32 s3, 0x7060302
	s_movk_i32 s26, 0x4000
	v_add_u32_e32 v84, v20, v78
	v_add_u32_e32 v85, v20, v79
	;; [unrolled: 1-line block ×4, first 2 shown]
	s_waitcnt lgkmcnt(0)
	s_barrier
.LBB690_32:                             ; =>This Inner Loop Header: Depth=1
	s_add_i32 s39, s62, 1
	s_cmp_lt_i32 s39, s50
	s_mov_b64 s[28:29], 0
	s_cselect_b64 s[42:43], -1, 0
	s_cmp_ge_i32 s39, s50
	s_mov_b64 s[24:25], 0
	s_cbranch_scc1 .LBB690_34
; %bb.33:                               ;   in Loop: Header=BB690_32 Depth=1
	s_add_i32 s0, s57, 64
	s_ashr_i32 s1, s0, 31
	s_add_u32 s0, s55, s0
	s_addc_u32 s1, s54, s1
	s_lshl_b64 s[0:1], s[0:1], 8
	s_add_u32 s24, s6, s0
	s_addc_u32 s25, s7, s1
.LBB690_34:                             ;   in Loop: Header=BB690_32 Depth=1
	v_cndmask_b32_e64 v5, 0, 1, s[42:43]
	v_cmp_ne_u32_e64 s[0:1], 1, v5
	s_andn2_b64 vcc, exec, s[42:43]
	s_cbranch_vccnz .LBB690_36
; %bb.35:                               ;   in Loop: Header=BB690_32 Depth=1
	s_add_i32 s28, s57, 64
	s_mul_hi_i32 s29, s28, s18
	s_mul_i32 s28, s28, s18
	s_add_u32 s28, s28, s53
	s_addc_u32 s29, s29, s58
	s_lshl_b64 s[28:29], s[28:29], 8
	s_add_u32 s28, s4, s28
	s_addc_u32 s29, s5, s29
.LBB690_36:                             ;   in Loop: Header=BB690_32 Depth=1
	v_perm_b32 v11, v60, v4, s3
	v_perm_b32 v10, v3, v2, s3
	v_perm_b32 v13, v59, v8, s3
	v_perm_b32 v12, v7, v6, s3
	ds_write_b64 v67, v[10:11]
	ds_write_b64 v68, v[12:13]
	;; [unrolled: 1-line block ×4, first 2 shown]
	s_waitcnt lgkmcnt(0)
	s_barrier
	ds_read_b64 v[18:19], v71 offset:16384
	ds_read_b64 v[20:21], v73 offset:16384
	ds_read2st64_b64 v[10:13], v72 offset1:1
	s_waitcnt lgkmcnt(0)
	v_mfma_f32_16x16x16_bf16 a[0:3], v[18:19], v[10:11], 0
	ds_read2st64_b64 v[14:17], v72 offset0:2 offset1:3
	ds_read_b64 v[22:23], v74 offset:16384
	ds_read_b64 v[10:11], v75 offset:16384
	s_add_i32 s31, s57, 63
	v_mfma_f32_16x16x16_bf16 a[0:3], v[20:21], v[12:13], a[0:3]
	s_ashr_i32 s41, s31, 31
	s_mul_i32 s42, s31, s35
	s_mul_hi_u32 s43, s31, s34
	s_waitcnt lgkmcnt(1)
	v_mfma_f32_16x16x16_bf16 a[0:3], v[22:23], v[14:15], a[0:3]
	s_add_i32 s42, s43, s42
	s_mul_i32 s41, s41, s34
	s_add_i32 s43, s42, s41
	s_mul_i32 s42, s31, s34
	s_waitcnt lgkmcnt(0)
	v_mfma_f32_16x16x16_bf16 a[0:3], v[10:11], v[16:17], a[0:3]
	s_lshl_b64 s[42:43], s[42:43], 2
	s_add_u32 s42, s20, s42
	s_addc_u32 s43, s21, s43
	s_and_b64 vcc, exec, s[0:1]
	v_mov_b32_e32 v88, 0
	v_mov_b32_e32 v9, 0
	v_mov_b32_e32 v5, 0
	v_mov_b32_e32 v10, 0
	v_mov_b32_e32 v11, 0
	v_mov_b32_e32 v12, 0
	v_mov_b32_e32 v13, 0
	v_mov_b32_e32 v14, 0
	v_mov_b32_e32 v15, 0
	v_mov_b32_e32 v16, 0
	v_mov_b32_e32 v17, 0
	v_mov_b32_e32 v18, 0
	v_mov_b32_e32 v19, 0
	v_mov_b32_e32 v20, 0
	v_mov_b32_e32 v21, 0
	v_mov_b32_e32 v22, 0
	v_mov_b32_e32 v23, 0
	v_mov_b32_e32 v24, 0
	v_mov_b32_e32 v25, 0
	s_cbranch_vccnz .LBB690_38
; %bb.37:                               ;   in Loop: Header=BB690_32 Depth=1
	s_and_b32 s25, s25, 0xffff
	buffer_load_dwordx4 v[22:25], v63, s[24:27], 0 offen
	buffer_load_dwordx4 v[18:21], v63, s[24:27], s59 offen
	buffer_load_dwordx4 v[14:17], v64, s[24:27], 0 offen
	buffer_load_dwordx4 v[10:13], v64, s[24:27], s59 offen
	v_mov_b32_e32 v9, v65
	v_mov_b32_e32 v5, v66
.LBB690_38:                             ;   in Loop: Header=BB690_32 Depth=1
	s_waitcnt vmcnt(3)
	v_add_u32_e32 v30, s57, v57
	s_waitcnt vmcnt(1)
	v_ashrrev_i32_e32 v26, 31, v30
	v_mul_lo_u32 v28, v26, s34
	v_mul_lo_u32 v29, v30, s35
	v_mad_u64_u32 v[26:27], s[24:25], v30, s34, 0
	v_add3_u32 v27, v27, v29, v28
	v_lshl_add_u64 v[26:27], v[26:27], 2, s[20:21]
	global_load_dword v96, v[26:27], off
	v_add_u32_e32 v26, 1, v30
	v_ashrrev_i32_e32 v27, 31, v26
	v_mul_lo_u32 v28, v27, s34
	v_mul_lo_u32 v29, v26, s35
	v_mad_u64_u32 v[26:27], s[24:25], v26, s34, 0
	v_add3_u32 v27, v27, v29, v28
	v_add_u32_e32 v28, 2, v30
	v_ashrrev_i32_e32 v29, 31, v28
	v_mul_lo_u32 v31, v29, s34
	v_mul_lo_u32 v32, v28, s35
	v_mad_u64_u32 v[28:29], s[24:25], v28, s34, 0
	v_add_u32_e32 v30, 3, v30
	v_add3_u32 v29, v29, v32, v31
	v_ashrrev_i32_e32 v31, 31, v30
	v_mul_lo_u32 v34, v31, s34
	v_mul_lo_u32 v35, v30, s35
	v_mad_u64_u32 v[30:31], s[24:25], v30, s34, 0
	s_ashr_i32 s25, s57, 31
	s_add_u32 s24, s55, s57
	s_addc_u32 s25, s54, s25
	s_lshl_b64 s[24:25], s[24:25], 8
	v_lshl_add_u64 v[26:27], v[26:27], 2, s[20:21]
	v_lshl_add_u64 v[32:33], v[50:51], 0, s[24:25]
	v_add3_u32 v31, v31, v35, v34
	v_lshl_add_u64 v[28:29], v[28:29], 2, s[20:21]
	global_load_ushort v97, v[32:33], off
	global_load_ushort v98, v[32:33], off offset:256
	global_load_ushort v99, v[32:33], off offset:512
	;; [unrolled: 1-line block ×3, first 2 shown]
	v_lshl_add_u64 v[30:31], v[30:31], 2, s[20:21]
	global_load_dword v101, v[26:27], off
	global_load_dword v102, v[28:29], off
	;; [unrolled: 1-line block ×3, first 2 shown]
	s_load_dword s24, s[42:43], 0x0
	ds_read2st64_b64 v[34:37], v76 offset1:1
	ds_read2st64_b64 v[38:41], v76 offset0:2 offset1:3
	ds_read_b64 v[32:33], v71 offset:24576
	ds_read_b64 v[90:91], v73 offset:24576
	;; [unrolled: 1-line block ×4, first 2 shown]
	s_waitcnt lgkmcnt(0)
	v_mfma_f32_16x16x16_bf16 a[0:3], v[32:33], v[34:35], a[0:3]
	v_mov_b32_e32 v89, 0
	v_mov_b32_e32 v26, 0
	v_mov_b32_e32 v27, 0
	v_mfma_f32_16x16x16_bf16 a[0:3], v[90:91], v[36:37], a[0:3]
	v_mov_b32_e32 v28, 0
	v_mov_b32_e32 v29, 0
	v_mov_b32_e32 v30, 0
	;; [unrolled: 4-line block ×4, first 2 shown]
	v_mov_b32_e32 v37, 0
	v_mov_b32_e32 v38, 0
	;; [unrolled: 1-line block ×3, first 2 shown]
	s_and_b64 vcc, exec, s[0:1]
	v_accvgpr_read_b32 v91, a1
	v_accvgpr_read_b32 v41, a3
	v_accvgpr_read_b32 v40, a2
	v_accvgpr_read_b32 v90, a0
	s_waitcnt vmcnt(7)
	v_sub_f32_e32 v96, s24, v96
	v_exp_f32_e32 v96, v96
	s_waitcnt vmcnt(6)
	v_lshlrev_b32_e32 v92, 16, v97
	s_waitcnt vmcnt(5)
	v_lshlrev_b32_e32 v93, 16, v98
	;; [unrolled: 2-line block ×3, first 2 shown]
	s_waitcnt vmcnt(2)
	v_sub_f32_e32 v97, s24, v101
	s_waitcnt vmcnt(1)
	v_sub_f32_e32 v98, s24, v102
	;; [unrolled: 2-line block ×3, first 2 shown]
	v_exp_f32_e32 v97, v97
	v_exp_f32_e32 v98, v98
	v_exp_f32_e32 v99, v99
	v_lshlrev_b32_e32 v95, 16, v100
	v_pk_add_f32 v[90:91], v[92:93], v[90:91] neg_lo:[0,1] neg_hi:[0,1]
	v_pk_add_f32 v[40:41], v[94:95], v[40:41] neg_lo:[0,1] neg_hi:[0,1]
	v_pk_mul_f32 v[90:91], v[96:97], v[90:91]
	v_pk_mul_f32 v[40:41], v[98:99], v[40:41]
	s_nop 0
	v_perm_b32 v41, v41, v40, s3
	v_perm_b32 v40, v91, v90, s3
	ds_write_b64 v68, v[40:41]
	v_mov_b32_e32 v40, 0
	v_mov_b32_e32 v41, 0
	s_cbranch_vccnz .LBB690_40
; %bb.39:                               ;   in Loop: Header=BB690_32 Depth=1
	s_and_b32 s29, s29, 0xffff
	s_mov_b32 s31, s27
	buffer_load_dwordx4 v[38:41], v82, s[28:31], 0 offen
	buffer_load_dwordx4 v[30:33], v82, s[28:31], s59 offen
	;; [unrolled: 1-line block ×4, first 2 shown]
	v_mov_b32_e32 v88, v62
	v_mov_b32_e32 v89, v61
.LBB690_40:                             ;   in Loop: Header=BB690_32 Depth=1
	s_waitcnt lgkmcnt(0)
	s_barrier
	ds_read_b64 v[98:99], v84
	ds_read2st64_b64 v[90:93], v76 offset1:1
	ds_read2st64_b64 v[94:97], v76 offset0:2 offset1:3
	ds_read_b64 v[100:101], v85
	ds_read_b64 v[102:103], v86
	;; [unrolled: 1-line block ×3, first 2 shown]
	s_waitcnt lgkmcnt(4)
	v_mfma_f32_16x16x16_bf16 a[0:3], v[98:99], v[90:91], 0
	ds_read_b64 v[98:99], v78 offset:8192
	ds_read_b64 v[106:107], v79 offset:8192
	s_add_i32 s25, s56, s62
	s_mul_hi_i32 s29, s25, s17
	s_waitcnt lgkmcnt(1)
	v_mfma_f32_16x16x16_bf16 a[4:7], v[98:99], v[90:91], 0
	s_mul_i32 s25, s25, s17
	s_add_u32 s28, s25, s49
	s_addc_u32 s29, s29, s51
	v_mfma_f32_16x16x16_bf16 a[0:3], v[100:101], v[92:93], a[0:3]
	ds_read_b64 v[98:99], v47
	ds_read_b64 v[100:101], v77
	ds_read_b64 v[90:91], v80 offset:8192
	s_lshl_b64 s[28:29], s[28:29], 15
	v_mfma_f32_16x16x16_bf16 a[0:3], v[102:103], v[94:95], a[0:3]
	ds_read_b64 v[102:103], v81 offset:8192
	s_and_b64 vcc, exec, s[0:1]
	s_waitcnt lgkmcnt(4)
	v_mfma_f32_16x16x16_bf16 a[4:7], v[106:107], v[92:93], a[4:7]
	s_waitcnt lgkmcnt(1)
	v_mfma_f32_16x16x16_bf16 a[4:7], v[90:91], v[94:95], a[4:7]
	v_lshl_add_u64 v[90:91], v[48:49], 0, s[28:29]
	global_store_dwordx4 v[90:91], v[98:101], off
	v_mfma_f32_16x16x16_bf16 a[0:3], v[104:105], v[96:97], a[0:3]
	s_waitcnt lgkmcnt(0)
	v_mfma_f32_16x16x16_bf16 a[4:7], v[102:103], v[96:97], a[4:7]
	s_cbranch_vccnz .LBB690_42
; %bb.41:                               ;   in Loop: Header=BB690_32 Depth=1
	v_lshrrev_b32_e32 v90, 3, v88
	v_and_b32_e32 v90, 6, v90
	v_xor_b32_e32 v89, v90, v89
	v_lshlrev_b32_e32 v89, 2, v89
	v_and_b32_e32 v88, 8, v88
	v_xor_b32_e32 v91, 0x440, v89
	v_cmp_eq_u32_e32 vcc, 0, v88
	s_barrier
	s_nop 0
	v_cndmask_b32_e32 v88, v91, v89, vcc
	v_lshl_or_b32 v88, v90, 10, v88
	s_waitcnt vmcnt(2)
	v_perm_b32 v89, v38, v34, s60
	s_waitcnt vmcnt(1)
	v_perm_b32 v90, v30, v26, s60
	ds_write2st64_b32 v88, v89, v90 offset1:32
	v_xor_b32_e32 v89, 8, v88
	v_perm_b32 v34, v38, v34, s61
	v_perm_b32 v26, v30, v26, s61
	v_add_u32_e32 v30, 0x80, v89
	ds_write2st64_b32 v30, v34, v26 offset1:32
	v_xor_b32_e32 v26, 16, v88
	v_perm_b32 v30, v39, v35, s60
	v_perm_b32 v34, v31, v27, s60
	ds_write2st64_b32 v26, v30, v34 offset0:1 offset1:33
	v_xor_b32_e32 v26, 24, v88
	v_perm_b32 v30, v39, v35, s61
	v_perm_b32 v27, v31, v27, s61
	v_add_u32_e32 v26, 0x80, v26
	ds_write2st64_b32 v26, v30, v27 offset0:1 offset1:33
	v_xor_b32_e32 v26, 32, v88
	v_perm_b32 v27, v40, v36, s60
	v_perm_b32 v30, v32, v28, s60
	ds_write2st64_b32 v26, v27, v30 offset0:2 offset1:34
	v_xor_b32_e32 v26, 40, v88
	v_perm_b32 v27, v40, v36, s61
	v_perm_b32 v28, v32, v28, s61
	v_add_u32_e32 v26, 0x80, v26
	ds_write2st64_b32 v26, v27, v28 offset0:2 offset1:34
	;; [unrolled: 9-line block ×3, first 2 shown]
	ds_write_b64 v9, v[22:23] offset:16384
	v_xor_b32_e32 v22, 8, v9
	ds_write_b64 v22, v[24:25] offset:16384
	ds_write_b64 v9, v[18:19] offset:24576
	;; [unrolled: 1-line block ×4, first 2 shown]
	v_xor_b32_e32 v9, 8, v5
	ds_write_b64 v9, v[16:17] offset:16384
	ds_write_b64 v5, v[10:11] offset:24576
	;; [unrolled: 1-line block ×3, first 2 shown]
.LBB690_42:                             ;   in Loop: Header=BB690_32 Depth=1
	v_exp_f32_e32 v10, s24
	s_nop 2
	v_accvgpr_read_b32 v9, a1
	v_accvgpr_read_b32 v5, a0
	s_add_i32 s57, s57, 64
	v_fma_f32 v3, v3, v10, v9
	v_accvgpr_read_b32 v9, a4
	v_fma_f32 v6, v6, v10, v9
	v_accvgpr_read_b32 v9, a5
	;; [unrolled: 2-line block ×6, first 2 shown]
	v_fmac_f32_e32 v5, v60, v10
	s_cmp_eq_u32 s50, s39
	v_fmac_f32_e32 v9, v59, v10
	s_cbranch_scc1 .LBB690_4
; %bb.43:                               ;   in Loop: Header=BB690_32 Depth=1
	s_mov_b32 s62, s39
	v_mov_b32_e32 v60, v5
	v_mov_b32_e32 v59, v9
	s_branch .LBB690_32
.LBB690_44:
                                        ; implicit-def: $vgpr13
                                        ; implicit-def: $vgpr17
                                        ; implicit-def: $vgpr21
                                        ; implicit-def: $vgpr25
	s_cbranch_execz .LBB690_46
; %bb.45:
	s_waitcnt vmcnt(0)
	v_mad_u64_u32 v[10:11], s[0:1], v27, s19, v[26:27]
	v_lshlrev_b32_e32 v27, 1, v10
	s_lshl_b32 s2, s19, 7
	s_and_b32 s1, s5, 0xffff
	s_mov_b32 s3, 0x20000
	s_mov_b32 s0, s4
	v_add_lshl_u32 v28, v10, s19, 1
	s_movk_i32 s17, 0x80
	buffer_load_dwordx4 v[10:13], v27, s[0:3], 0 offen
	buffer_load_dwordx4 v[18:21], v27, s[0:3], s17 offen
	;; [unrolled: 1-line block ×4, first 2 shown]
.LBB690_46:
	v_lshrrev_b32_e32 v45, 2, v45
	s_cbranch_execnz .LBB690_59
.LBB690_47:
	s_and_b64 vcc, exec, s[6:7]
	s_cbranch_vccz .LBB690_57
; %bb.48:
	s_waitcnt vmcnt(0)
	v_lshlrev_b32_e32 v15, 1, v47
	v_cmp_gt_i32_e32 vcc, s30, v15
	v_mov_b32_e32 v14, 0
	v_lshlrev_b32_e32 v22, 9, v47
	v_mov_b32_e32 v10, 0
	v_mov_b32_e32 v11, 0
	;; [unrolled: 1-line block ×4, first 2 shown]
	s_and_saveexec_b64 s[0:1], vcc
	s_cbranch_execz .LBB690_50
; %bb.49:
	v_mov_b32_e32 v23, 0
	v_lshl_add_u64 v[10:11], s[4:5], 0, v[22:23]
	v_lshlrev_b32_e32 v12, 1, v26
	v_mov_b32_e32 v13, v23
	v_lshl_add_u64 v[10:11], v[10:11], 0, v[12:13]
	global_load_dwordx4 v[10:13], v[10:11], off
.LBB690_50:
	s_or_b64 exec, exec, s[0:1]
	v_or_b32_e32 v15, 1, v15
	v_cmp_gt_i32_e64 s[0:1], s30, v15
	v_lshlrev_b32_e32 v28, 8, v15
	v_mov_b32_e32 v15, 0
	v_mov_b32_e32 v16, 0
	;; [unrolled: 1-line block ×3, first 2 shown]
	s_and_saveexec_b64 s[2:3], s[0:1]
	s_cbranch_execz .LBB690_52
; %bb.51:
	v_mov_b32_e32 v29, 0
	v_lshl_add_u64 v[14:15], s[4:5], 0, v[28:29]
	v_lshlrev_b32_e32 v16, 1, v26
	v_mov_b32_e32 v17, v29
	v_lshl_add_u64 v[14:15], v[14:15], 0, v[16:17]
	global_load_dwordx4 v[14:17], v[14:15], off
.LBB690_52:
	s_or_b64 exec, exec, s[2:3]
	v_mov_b32_e32 v25, 0
	v_mov_b32_e32 v18, 0
	;; [unrolled: 1-line block ×5, first 2 shown]
	s_and_saveexec_b64 s[2:3], vcc
	s_cbranch_execz .LBB690_54
; %bb.53:
	v_mov_b32_e32 v23, 0
	v_lshl_add_u64 v[18:19], s[4:5], 0, v[22:23]
	v_lshlrev_b32_e32 v22, 1, v26
	v_lshl_add_u64 v[18:19], v[18:19], 0, v[22:23]
	global_load_dwordx4 v[18:21], v[18:19], off offset:128
.LBB690_54:
	s_or_b64 exec, exec, s[2:3]
	v_mov_b32_e32 v24, 0
	v_mov_b32_e32 v23, 0
	;; [unrolled: 1-line block ×3, first 2 shown]
	s_and_saveexec_b64 s[2:3], s[0:1]
	s_cbranch_execz .LBB690_56
; %bb.55:
	v_mov_b32_e32 v29, 0
	v_lshl_add_u64 v[22:23], s[4:5], 0, v[28:29]
	v_lshlrev_b32_e32 v28, 1, v26
	v_lshl_add_u64 v[22:23], v[22:23], 0, v[28:29]
	global_load_dwordx4 v[22:25], v[22:23], off offset:128
.LBB690_56:
	s_or_b64 exec, exec, s[2:3]
	s_branch .LBB690_59
.LBB690_57:
                                        ; implicit-def: $vgpr13
                                        ; implicit-def: $vgpr17
                                        ; implicit-def: $vgpr21
                                        ; implicit-def: $vgpr25
	s_cbranch_execz .LBB690_59
; %bb.58:
	s_waitcnt vmcnt(0)
	v_lshlrev_b32_e32 v10, 1, v26
	v_lshl_or_b32 v26, v47, 9, v10
	s_and_b32 s5, s5, 0xffff
	s_mov_b32 s7, 0x20000
	s_movk_i32 s6, 0x4000
	s_movk_i32 s0, 0x80
	buffer_load_dwordx4 v[10:13], v26, s[4:7], 0 offen
	buffer_load_dwordx4 v[14:17], v26, s[4:7], 0 offen offset:256
	buffer_load_dwordx4 v[18:21], v26, s[4:7], s0 offen
	buffer_load_dwordx4 v[22:25], v26, s[4:7], s0 offen offset:256
.LBB690_59:
	ds_read2st64_b64 v[30:33], v50 offset0:76 offset1:77
	ds_read2st64_b64 v[26:29], v50 offset0:78 offset1:79
	ds_read_b64 v[38:39], v34 offset:24576
	ds_read_b64 v[40:41], v35 offset:24576
	;; [unrolled: 1-line block ×4, first 2 shown]
	v_and_b32_e32 v51, 6, v0
	v_xor_b32_e32 v47, v47, v51
	v_lshlrev_b32_e32 v47, 2, v47
	v_and_b32_e32 v53, 1, v0
	v_xor_b32_e32 v54, 0x440, v47
	v_cmp_eq_u32_e32 vcc, 0, v53
	s_mov_b32 s0, 0x1000504
	s_waitcnt vmcnt(0)
	v_perm_b32 v53, v18, v22, s0
	v_cndmask_b32_e32 v47, v54, v47, vcc
	v_lshl_or_b32 v47, v51, 10, v47
	v_perm_b32 v51, v10, v14, s0
	ds_write2st64_b32 v47, v51, v53 offset1:32
	v_xor_b32_e32 v51, 8, v47
	s_mov_b32 s1, 0x3020706
	v_perm_b32 v10, v10, v14, s1
	v_perm_b32 v14, v18, v22, s1
	v_add_u32_e32 v18, 0x80, v51
	ds_write2st64_b32 v18, v10, v14 offset1:32
	v_xor_b32_e32 v10, 16, v47
	v_perm_b32 v14, v11, v15, s0
	v_perm_b32 v18, v19, v23, s0
	ds_write2st64_b32 v10, v14, v18 offset0:1 offset1:33
	v_xor_b32_e32 v10, 24, v47
	v_perm_b32 v11, v11, v15, s1
	v_perm_b32 v14, v19, v23, s1
	v_add_u32_e32 v10, 0x80, v10
	ds_write2st64_b32 v10, v11, v14 offset0:1 offset1:33
	v_xor_b32_e32 v10, 32, v47
	v_perm_b32 v11, v12, v16, s0
	v_perm_b32 v14, v20, v24, s0
	ds_write2st64_b32 v10, v11, v14 offset0:2 offset1:34
	v_xor_b32_e32 v10, 40, v47
	v_perm_b32 v11, v12, v16, s1
	v_perm_b32 v12, v20, v24, s1
	v_add_u32_e32 v10, 0x80, v10
	ds_write2st64_b32 v10, v11, v12 offset0:2 offset1:34
	v_xor_b32_e32 v10, 48, v47
	v_perm_b32 v11, v13, v17, s0
	v_perm_b32 v12, v21, v25, s0
	ds_write2st64_b32 v10, v11, v12 offset0:3 offset1:35
	v_xor_b32_e32 v10, 56, v47
	v_and_or_b32 v16, v45, 12, v52
	v_perm_b32 v11, v13, v17, s1
	v_perm_b32 v12, v21, v25, s1
	v_add_u32_e32 v10, 0x80, v10
	v_cmp_gt_i32_e32 vcc, s30, v16
	v_mov_b32_e32 v17, 0
	v_mov_b32_e32 v21, 0
	ds_write2st64_b32 v10, v11, v12 offset0:3 offset1:35
	s_and_saveexec_b64 s[0:1], vcc
	s_cbranch_execz .LBB690_61
; %bb.60:
	v_add_u32_e32 v10, s31, v16
	v_ashrrev_i32_e32 v11, 31, v10
	v_mul_lo_u32 v12, v11, s34
	v_mul_lo_u32 v13, v10, s35
	v_mad_u64_u32 v[10:11], s[2:3], v10, s34, 0
	v_add3_u32 v11, v11, v13, v12
	v_lshl_add_u64 v[10:11], v[10:11], 2, s[10:11]
	global_load_dword v10, v[10:11], off
	s_waitcnt vmcnt(0)
	v_sub_f32_e32 v10, s16, v10
	v_exp_f32_e32 v21, v10
.LBB690_61:
	s_or_b64 exec, exec, s[0:1]
	v_or_b32_e32 v19, 1, v16
	v_cmp_gt_i32_e64 s[0:1], s30, v19
	s_and_saveexec_b64 s[2:3], s[0:1]
	s_cbranch_execz .LBB690_63
; %bb.62:
	v_add_u32_e32 v10, s31, v19
	v_ashrrev_i32_e32 v11, 31, v10
	v_mul_lo_u32 v12, v11, s34
	v_mul_lo_u32 v13, v10, s35
	v_mad_u64_u32 v[10:11], s[4:5], v10, s34, 0
	v_add3_u32 v11, v11, v13, v12
	v_lshl_add_u64 v[10:11], v[10:11], 2, s[10:11]
	global_load_dword v10, v[10:11], off
	s_waitcnt vmcnt(0)
	v_sub_f32_e32 v10, s16, v10
	v_exp_f32_e32 v17, v10
.LBB690_63:
	s_or_b64 exec, exec, s[2:3]
	v_or_b32_e32 v20, 2, v16
	v_cmp_gt_i32_e64 s[2:3], s30, v20
	v_mov_b32_e32 v18, 0
	v_mov_b32_e32 v23, 0
	s_and_saveexec_b64 s[4:5], s[2:3]
	s_cbranch_execz .LBB690_65
; %bb.64:
	v_add_u32_e32 v10, s31, v20
	v_ashrrev_i32_e32 v11, 31, v10
	v_mul_lo_u32 v12, v11, s34
	v_mul_lo_u32 v13, v10, s35
	v_mad_u64_u32 v[10:11], s[6:7], v10, s34, 0
	v_add3_u32 v11, v11, v13, v12
	v_lshl_add_u64 v[10:11], v[10:11], 2, s[10:11]
	global_load_dword v10, v[10:11], off
	s_waitcnt vmcnt(0)
	v_sub_f32_e32 v10, s16, v10
	v_exp_f32_e32 v23, v10
.LBB690_65:
	s_or_b64 exec, exec, s[4:5]
	v_or_b32_e32 v22, 3, v16
	v_cmp_gt_i32_e64 s[4:5], s30, v22
	s_and_saveexec_b64 s[6:7], s[4:5]
	s_cbranch_execz .LBB690_67
; %bb.66:
	v_add_u32_e32 v10, s31, v22
	v_ashrrev_i32_e32 v11, 31, v10
	v_mul_lo_u32 v12, v11, s34
	v_mul_lo_u32 v13, v10, s35
	v_mad_u64_u32 v[10:11], s[18:19], v10, s34, 0
	v_add3_u32 v11, v11, v13, v12
	v_lshl_add_u64 v[10:11], v[10:11], 2, s[10:11]
	global_load_dword v10, v[10:11], off
	s_waitcnt vmcnt(0)
	v_sub_f32_e32 v10, s16, v10
	v_exp_f32_e32 v18, v10
.LBB690_67:
	s_or_b64 exec, exec, s[6:7]
	s_waitcnt lgkmcnt(11)
	v_mfma_f32_16x16x16_bf16 a[0:3], v[38:39], v[30:31], a[0:3]
	s_add_u32 s6, s8, s24
	v_ashrrev_i32_e32 v47, 31, v46
	s_addc_u32 s7, s9, s25
	s_waitcnt lgkmcnt(10)
	v_mfma_f32_16x16x16_bf16 a[0:3], v[40:41], v[32:33], a[0:3]
	v_mov_b32_e32 v24, 0
	v_lshl_add_u64 v[14:15], v[46:47], 1, s[6:7]
	v_mov_b32_e32 v25, 0
	s_waitcnt lgkmcnt(9)
	v_mfma_f32_16x16x16_bf16 a[0:3], v[36:37], v[26:27], a[0:3]
	s_waitcnt lgkmcnt(8)
	v_mfma_f32_16x16x16_bf16 a[0:3], v[34:35], v[28:29], a[0:3]
	s_nop 6
	v_accvgpr_read_b32 v13, a3
	v_accvgpr_read_b32 v12, a2
	;; [unrolled: 1-line block ×4, first 2 shown]
	s_and_saveexec_b64 s[6:7], vcc
	s_cbranch_execz .LBB690_69
; %bb.68:
	v_lshlrev_b32_e32 v26, 8, v16
	v_mov_b32_e32 v27, 0
	v_lshl_add_u64 v[26:27], v[14:15], 0, v[26:27]
	global_load_ushort v25, v[26:27], off
	s_waitcnt vmcnt(0)
	v_lshlrev_b32_e32 v25, 16, v25
	v_sub_f32_e32 v10, v25, v10
	v_mul_f32_e32 v10, v21, v10
	v_lshrrev_b32_e32 v25, 16, v10
.LBB690_69:
	s_or_b64 exec, exec, s[6:7]
	s_and_saveexec_b64 s[6:7], s[0:1]
	s_cbranch_execz .LBB690_71
; %bb.70:
	v_lshlrev_b32_e32 v26, 8, v19
	v_mov_b32_e32 v27, 0
	v_lshl_add_u64 v[26:27], v[14:15], 0, v[26:27]
	global_load_ushort v10, v[26:27], off
	s_waitcnt vmcnt(0)
	v_lshlrev_b32_e32 v10, 16, v10
	v_sub_f32_e32 v10, v10, v11
	v_mul_f32_e32 v10, v17, v10
	v_lshrrev_b32_e32 v24, 16, v10
.LBB690_71:
	s_or_b64 exec, exec, s[6:7]
	v_mov_b32_e32 v11, 0
	v_mov_b32_e32 v17, 0
	s_and_saveexec_b64 s[0:1], s[2:3]
	s_cbranch_execz .LBB690_73
; %bb.72:
	v_lshlrev_b32_e32 v20, 8, v20
	v_mov_b32_e32 v21, 0
	v_lshl_add_u64 v[20:21], v[14:15], 0, v[20:21]
	global_load_ushort v10, v[20:21], off
	s_waitcnt vmcnt(0)
	v_lshlrev_b32_e32 v10, 16, v10
	v_sub_f32_e32 v10, v10, v12
	v_mul_f32_e32 v10, v23, v10
	v_lshrrev_b32_e32 v17, 16, v10
.LBB690_73:
	s_or_b64 exec, exec, s[0:1]
	v_or_b32_e32 v10, 0x9800, v50
	s_and_saveexec_b64 s[0:1], s[4:5]
	s_cbranch_execz .LBB690_75
; %bb.74:
	v_lshlrev_b32_e32 v20, 8, v22
	v_mov_b32_e32 v21, 0
	v_lshl_add_u64 v[14:15], v[14:15], 0, v[20:21]
	global_load_ushort v11, v[14:15], off
	s_waitcnt vmcnt(0)
	v_lshlrev_b32_e32 v11, 16, v11
	v_sub_f32_e32 v11, v11, v13
	v_mul_f32_e32 v11, v18, v11
	v_lshrrev_b32_e32 v11, 16, v11
.LBB690_75:
	s_or_b64 exec, exec, s[0:1]
	s_mov_b32 s0, 0x5040100
	v_perm_b32 v13, v11, v17, s0
	v_lshlrev_b32_e32 v11, 1, v48
	v_perm_b32 v12, v24, v25, s0
	v_lshl_or_b32 v11, v16, 5, v11
	s_movk_i32 s0, 0xff
	ds_write_b64 v11, v[12:13] offset:38912
	v_and_b32_e32 v11, 7, v0
	v_and_b32_e32 v12, 8, v0
	v_cmp_lt_u32_e32 vcc, s0, v0
	v_lshrrev_b32_e32 v0, 1, v0
	v_lshlrev_b32_e32 v22, 3, v1
	v_and_b32_e32 v23, 24, v0
	v_xor_b32_e32 v0, v22, v23
	v_cndmask_b32_e64 v13, 0, 1, vcc
	v_or_b32_e32 v1, 0x440, v0
	v_cmp_eq_u32_e32 vcc, 0, v12
	v_lshlrev_b32_e32 v20, 3, v11
	v_lshlrev_b32_e32 v11, 7, v11
	v_cndmask_b32_e32 v0, v1, v0, vcc
	v_or_b32_e32 v0, v0, v49
	v_lshlrev_b32_e32 v21, 13, v13
	v_xad_u32 v24, v0, v20, v11
	v_add_u32_e32 v0, v21, v24
	s_waitcnt lgkmcnt(0)
	s_barrier
	ds_read_b64 v[0:1], v0
	ds_read2st64_b64 v[12:15], v10 offset1:1
	ds_read2st64_b64 v[16:19], v10 offset0:2 offset1:3
	s_waitcnt lgkmcnt(1)
	v_mfma_f32_16x16x16_bf16 a[0:3], v[0:1], v[12:13], 0
	v_or_b32_e32 v0, 32, v23
	v_xor_b32_e32 v0, v22, v0
	v_or_b32_e32 v1, 0x440, v0
	v_cndmask_b32_e32 v0, v1, v0, vcc
	v_or_b32_e32 v0, v0, v49
	v_xad_u32 v25, v0, v20, v11
	v_add_u32_e32 v0, v21, v25
	ds_read_b64 v[0:1], v0
	v_or_b32_e32 v10, 0x60, v23
	s_waitcnt lgkmcnt(0)
	v_mfma_f32_16x16x16_bf16 a[0:3], v[0:1], v[14:15], a[0:3]
	v_or_b32_e32 v0, 64, v23
	v_xor_b32_e32 v0, v22, v0
	v_xor_b32_e32 v1, 0x440, v0
	v_cndmask_b32_e32 v0, v1, v0, vcc
	v_or_b32_e32 v0, v0, v49
	v_xad_u32 v26, v0, v20, v11
	v_xor_b32_e32 v10, v22, v10
	v_add_u32_e32 v0, v21, v26
	v_xor_b32_e32 v22, 0x440, v10
	ds_read_b64 v[0:1], v0
	v_cndmask_b32_e32 v10, v22, v10, vcc
	v_or_b32_e32 v10, v10, v49
	v_xad_u32 v22, v10, v20, v11
	v_add_u32_e32 v10, v21, v22
	ds_read_b64 v[10:11], v10
	s_waitcnt lgkmcnt(1)
	v_mfma_f32_16x16x16_bf16 a[0:3], v[0:1], v[16:17], a[0:3]
	ds_read_b64 v[0:1], v24 offset:8192
	ds_read_b64 v[20:21], v26 offset:8192
	v_exp_f32_e32 v23, s16
	s_waitcnt lgkmcnt(2)
	v_mfma_f32_16x16x16_bf16 a[0:3], v[10:11], v[18:19], a[0:3]
	ds_read_b64 v[10:11], v25 offset:8192
	s_waitcnt lgkmcnt(2)
	v_mfma_f32_16x16x16_bf16 a[4:7], v[0:1], v[12:13], 0
	ds_read_b64 v[12:13], v22 offset:8192
	s_nop 2
	v_accvgpr_read_b32 v0, a0
	v_accvgpr_read_b32 v1, a1
	s_waitcnt lgkmcnt(1)
	v_mfma_f32_16x16x16_bf16 a[4:7], v[10:11], v[14:15], a[4:7]
	v_fma_f32 v0, v2, v23, v0
	v_fma_f32 v1, v3, v23, v1
	v_accvgpr_read_b32 v2, a2
	v_mfma_f32_16x16x16_bf16 a[4:7], v[20:21], v[16:17], a[4:7]
	v_accvgpr_read_b32 v3, a3
	v_fma_f32 v2, v4, v23, v2
	v_fmac_f32_e32 v3, v5, v23
	s_waitcnt lgkmcnt(0)
	v_mfma_f32_16x16x16_bf16 a[0:3], v[12:13], v[18:19], a[4:7]
	s_nop 6
	v_accvgpr_read_b32 v4, a0
	v_accvgpr_read_b32 v5, a1
	v_fma_f32 v4, v6, v23, v4
	v_fma_f32 v5, v7, v23, v5
	v_accvgpr_read_b32 v6, a2
	v_accvgpr_read_b32 v7, a3
	v_fma_f32 v6, v8, v23, v6
	v_fmac_f32_e32 v7, v9, v23
	v_mov_b64_e32 v[8:9], v[6:7]
	v_mov_b64_e32 v[6:7], v[4:5]
	;; [unrolled: 1-line block ×4, first 2 shown]
.LBB690_76:
	s_add_u32 s0, s12, s14
	s_addc_u32 s1, s13, s15
	v_lshl_add_u64 v[0:1], v[42:43], 2, s[0:1]
	v_mov_b32_e32 v45, 0
	v_lshl_add_u64 v[0:1], v[0:1], 0, v[44:45]
	global_store_dwordx4 v[0:1], v[2:5], off
	global_store_dwordx4 v[0:1], v[6:9], off offset:256
	s_endpgm
	.section	.rodata,"a",@progbits
	.p2align	6, 0x0
	.amdhsa_kernel _ZN12_GLOBAL__N_139chunk_gated_delta_rule_fwd_h_hip_kernelILi16ELb1ELb1ELb0ELb1ELb1ELb0ELb0ELb0EEEvPK12hip_bfloat16S3_S3_PKfS5_PKvPS1_S8_PvPKiSB_iiiiilll
		.amdhsa_group_segment_fixed_size 40960
		.amdhsa_private_segment_fixed_size 0
		.amdhsa_kernarg_size 136
		.amdhsa_user_sgpr_count 2
		.amdhsa_user_sgpr_dispatch_ptr 0
		.amdhsa_user_sgpr_queue_ptr 0
		.amdhsa_user_sgpr_kernarg_segment_ptr 1
		.amdhsa_user_sgpr_dispatch_id 0
		.amdhsa_user_sgpr_kernarg_preload_length 0
		.amdhsa_user_sgpr_kernarg_preload_offset 0
		.amdhsa_user_sgpr_private_segment_size 0
		.amdhsa_uses_dynamic_stack 0
		.amdhsa_enable_private_segment 0
		.amdhsa_system_sgpr_workgroup_id_x 1
		.amdhsa_system_sgpr_workgroup_id_y 1
		.amdhsa_system_sgpr_workgroup_id_z 0
		.amdhsa_system_sgpr_workgroup_info 0
		.amdhsa_system_vgpr_workitem_id 0
		.amdhsa_next_free_vgpr 116
		.amdhsa_next_free_sgpr 63
		.amdhsa_accum_offset 108
		.amdhsa_reserve_vcc 1
		.amdhsa_float_round_mode_32 0
		.amdhsa_float_round_mode_16_64 0
		.amdhsa_float_denorm_mode_32 3
		.amdhsa_float_denorm_mode_16_64 3
		.amdhsa_dx10_clamp 1
		.amdhsa_ieee_mode 1
		.amdhsa_fp16_overflow 0
		.amdhsa_tg_split 0
		.amdhsa_exception_fp_ieee_invalid_op 0
		.amdhsa_exception_fp_denorm_src 0
		.amdhsa_exception_fp_ieee_div_zero 0
		.amdhsa_exception_fp_ieee_overflow 0
		.amdhsa_exception_fp_ieee_underflow 0
		.amdhsa_exception_fp_ieee_inexact 0
		.amdhsa_exception_int_div_zero 0
	.end_amdhsa_kernel
	.section	.text._ZN12_GLOBAL__N_139chunk_gated_delta_rule_fwd_h_hip_kernelILi16ELb1ELb1ELb0ELb1ELb1ELb0ELb0ELb0EEEvPK12hip_bfloat16S3_S3_PKfS5_PKvPS1_S8_PvPKiSB_iiiiilll,"axG",@progbits,_ZN12_GLOBAL__N_139chunk_gated_delta_rule_fwd_h_hip_kernelILi16ELb1ELb1ELb0ELb1ELb1ELb0ELb0ELb0EEEvPK12hip_bfloat16S3_S3_PKfS5_PKvPS1_S8_PvPKiSB_iiiiilll,comdat
.Lfunc_end690:
	.size	_ZN12_GLOBAL__N_139chunk_gated_delta_rule_fwd_h_hip_kernelILi16ELb1ELb1ELb0ELb1ELb1ELb0ELb0ELb0EEEvPK12hip_bfloat16S3_S3_PKfS5_PKvPS1_S8_PvPKiSB_iiiiilll, .Lfunc_end690-_ZN12_GLOBAL__N_139chunk_gated_delta_rule_fwd_h_hip_kernelILi16ELb1ELb1ELb0ELb1ELb1ELb0ELb0ELb0EEEvPK12hip_bfloat16S3_S3_PKfS5_PKvPS1_S8_PvPKiSB_iiiiilll
                                        ; -- End function
	.section	.AMDGPU.csdata,"",@progbits
; Kernel info:
; codeLenInByte = 7584
; NumSgprs: 69
; NumVgprs: 108
; NumAgprs: 8
; TotalNumVgprs: 116
; ScratchSize: 0
; MemoryBound: 0
; FloatMode: 240
; IeeeMode: 1
; LDSByteSize: 40960 bytes/workgroup (compile time only)
; SGPRBlocks: 8
; VGPRBlocks: 14
; NumSGPRsForWavesPerEU: 69
; NumVGPRsForWavesPerEU: 116
; AccumOffset: 108
; Occupancy: 1
; WaveLimiterHint : 1
; COMPUTE_PGM_RSRC2:SCRATCH_EN: 0
; COMPUTE_PGM_RSRC2:USER_SGPR: 2
; COMPUTE_PGM_RSRC2:TRAP_HANDLER: 0
; COMPUTE_PGM_RSRC2:TGID_X_EN: 1
; COMPUTE_PGM_RSRC2:TGID_Y_EN: 1
; COMPUTE_PGM_RSRC2:TGID_Z_EN: 0
; COMPUTE_PGM_RSRC2:TIDIG_COMP_CNT: 0
; COMPUTE_PGM_RSRC3_GFX90A:ACCUM_OFFSET: 26
; COMPUTE_PGM_RSRC3_GFX90A:TG_SPLIT: 0
	.section	.text._ZN12_GLOBAL__N_139chunk_gated_delta_rule_fwd_h_hip_kernelILi16ELb1ELb0ELb1ELb1ELb1ELb0ELb0ELb0EEEvPK12hip_bfloat16S3_S3_PKfS5_PKvPS1_S8_PvPKiSB_iiiiilll,"axG",@progbits,_ZN12_GLOBAL__N_139chunk_gated_delta_rule_fwd_h_hip_kernelILi16ELb1ELb0ELb1ELb1ELb1ELb0ELb0ELb0EEEvPK12hip_bfloat16S3_S3_PKfS5_PKvPS1_S8_PvPKiSB_iiiiilll,comdat
	.globl	_ZN12_GLOBAL__N_139chunk_gated_delta_rule_fwd_h_hip_kernelILi16ELb1ELb0ELb1ELb1ELb1ELb0ELb0ELb0EEEvPK12hip_bfloat16S3_S3_PKfS5_PKvPS1_S8_PvPKiSB_iiiiilll ; -- Begin function _ZN12_GLOBAL__N_139chunk_gated_delta_rule_fwd_h_hip_kernelILi16ELb1ELb0ELb1ELb1ELb1ELb0ELb0ELb0EEEvPK12hip_bfloat16S3_S3_PKfS5_PKvPS1_S8_PvPKiSB_iiiiilll
	.p2align	8
	.type	_ZN12_GLOBAL__N_139chunk_gated_delta_rule_fwd_h_hip_kernelILi16ELb1ELb0ELb1ELb1ELb1ELb0ELb0ELb0EEEvPK12hip_bfloat16S3_S3_PKfS5_PKvPS1_S8_PvPKiSB_iiiiilll,@function
_ZN12_GLOBAL__N_139chunk_gated_delta_rule_fwd_h_hip_kernelILi16ELb1ELb0ELb1ELb1ELb1ELb0ELb0ELb0EEEvPK12hip_bfloat16S3_S3_PKfS5_PKvPS1_S8_PvPKiSB_iiiiilll: ; @_ZN12_GLOBAL__N_139chunk_gated_delta_rule_fwd_h_hip_kernelILi16ELb1ELb0ELb1ELb1ELb1ELb0ELb0ELb0EEEvPK12hip_bfloat16S3_S3_PKfS5_PKvPS1_S8_PvPKiSB_iiiiilll
; %bb.0:
	s_load_dwordx4 s[12:15], s[0:1], 0x5c
	s_load_dwordx4 s[4:7], s[0:1], 0x48
	s_abs_i32 s9, s3
	s_ashr_i32 s8, s3, 31
	v_and_b32_e32 v53, 15, v0
	s_waitcnt lgkmcnt(0)
	s_abs_i32 s10, s13
	v_cvt_f32_u32_e32 v1, s10
	s_sub_i32 s16, 0, s10
	s_ashr_i32 s11, s13, 31
	s_xor_b32 s8, s8, s11
	v_rcp_iflag_f32_e32 v1, v1
	v_lshrrev_b32_e32 v51, 6, v0
	v_bfe_u32 v52, v0, 4, 2
	v_mov_b32_e32 v5, 0
	v_mul_f32_e32 v1, 0x4f7ffffe, v1
	v_cvt_u32_f32_e32 v1, v1
	v_and_b32_e32 v50, 63, v0
	v_lshrrev_b32_e32 v55, 3, v50
	v_lshlrev_b32_e32 v54, 3, v0
	v_readfirstlane_b32 s17, v1
	s_mul_i32 s16, s16, s17
	s_mul_hi_u32 s16, s17, s16
	s_add_i32 s17, s17, s16
	s_mul_hi_u32 s16, s9, s17
	s_mul_i32 s17, s16, s10
	s_sub_i32 s9, s9, s17
	s_add_i32 s18, s16, 1
	s_sub_i32 s17, s9, s10
	s_cmp_ge_u32 s9, s10
	s_cselect_b32 s16, s18, s16
	s_cselect_b32 s9, s17, s9
	s_add_i32 s17, s16, 1
	s_cmp_ge_u32 s9, s10
	s_cselect_b32 s9, s17, s16
	s_xor_b32 s9, s9, s8
	s_sub_i32 s20, s9, s8
	s_mul_i32 s24, s20, s13
	s_ashr_i32 s21, s20, 31
	s_sub_i32 s47, s3, s24
	s_lshl_b64 s[8:9], s[20:21], 2
	s_add_u32 s4, s4, s8
	s_addc_u32 s5, s5, s9
	s_add_u32 s22, s6, s8
	s_addc_u32 s23, s7, s9
	s_abs_i32 s3, s14
	v_cvt_f32_u32_e32 v1, s3
	s_load_dwordx2 s[34:35], s[4:5], 0x0
	s_sub_i32 s5, 0, s3
	s_lshl_b32 s2, s2, 4
	v_rcp_iflag_f32_e32 v1, v1
	s_load_dwordx4 s[16:19], s[0:1], 0x28
	s_load_dwordx2 s[28:29], s[0:1], 0x38
	s_waitcnt lgkmcnt(0)
	s_sub_i32 s50, s35, s34
	s_ashr_i32 s4, s50, 31
	v_mul_f32_e32 v1, 0x4f7ffffe, v1
	v_cvt_u32_f32_e32 v1, v1
	s_lshr_b32 s4, s4, 26
	s_add_i32 s4, s50, s4
	s_ashr_i32 s48, s4, 6
	v_readfirstlane_b32 s6, v1
	s_mul_i32 s5, s5, s6
	s_mul_hi_u32 s5, s6, s5
	s_add_i32 s6, s6, s5
	s_mul_hi_u32 s5, s10, s6
	s_mul_i32 s6, s5, s3
	s_ashr_i32 s4, s14, 31
	s_sub_i32 s6, s10, s6
	s_xor_b32 s4, s11, s4
	s_add_i32 s7, s5, 1
	s_sub_i32 s8, s6, s3
	s_cmp_ge_u32 s6, s3
	s_cselect_b32 s5, s7, s5
	s_cselect_b32 s6, s8, s6
	s_add_i32 s7, s5, 1
	s_cmp_ge_u32 s6, s3
	s_cselect_b32 s3, s7, s5
	s_xor_b32 s3, s3, s4
	s_sub_i32 s3, s3, s4
	s_abs_i32 s4, s3
	v_cvt_f32_u32_e32 v1, s4
	s_sub_i32 s6, 0, s4
	s_abs_i32 s5, s47
	s_xor_b32 s3, s47, s3
	v_rcp_iflag_f32_e32 v1, v1
	s_ashr_i32 s3, s3, 31
	v_or_b32_e32 v42, s2, v53
	v_lshlrev_b32_e32 v2, 7, v42
	v_mul_f32_e32 v1, 0x4f7ffffe, v1
	v_cvt_u32_f32_e32 v1, v1
	v_ashrrev_i32_e32 v3, 31, v2
	s_mul_hi_i32 s53, s47, s12
	s_mul_i32 s54, s47, s12
	v_readfirstlane_b32 s7, v1
	s_mul_i32 s6, s6, s7
	s_mul_hi_u32 s6, s7, s6
	s_add_i32 s7, s7, s6
	s_mul_hi_u32 s6, s5, s7
	s_mul_i32 s7, s6, s4
	s_sub_i32 s5, s5, s7
	s_add_i32 s7, s6, 1
	s_sub_i32 s8, s5, s4
	s_cmp_ge_u32 s5, s4
	s_cselect_b32 s6, s7, s6
	s_cselect_b32 s5, s8, s5
	s_add_i32 s7, s6, 1
	s_cmp_ge_u32 s5, s4
	s_cselect_b32 s4, s7, s6
	s_xor_b32 s4, s4, s3
	s_sub_i32 s51, s4, s3
	s_ashr_i32 s49, s47, 31
	s_mul_hi_i32 s3, s20, s13
	s_add_u32 s4, s24, s47
	s_addc_u32 s5, s3, s49
	s_lshl_b64 s[4:5], s[4:5], 16
	v_lshlrev_b32_e32 v1, 4, v51
	s_add_u32 s4, s16, s4
	v_lshl_or_b32 v56, v52, 2, v1
	s_addc_u32 s5, s17, s5
	v_lshl_add_u64 v[2:3], v[2:3], 2, s[4:5]
	v_lshlrev_b32_e32 v4, 2, v56
	v_lshl_add_u64 v[10:11], v[2:3], 0, v[4:5]
	global_load_dwordx4 v[6:9], v[10:11], off
	global_load_dwordx4 v[2:5], v[10:11], off offset:256
	s_load_dwordx8 s[4:11], s[0:1], 0x0
	s_load_dwordx2 s[30:31], s[0:1], 0x80
	s_load_dwordx4 s[24:27], s[0:1], 0x70
	s_load_dword s52, s[22:23], 0x0
	v_or_b32_e32 v57, 64, v56
	s_cmp_lt_i32 s50, 64
	s_waitcnt lgkmcnt(0)
	s_mul_i32 s33, s20, s25
	s_mul_hi_u32 s43, s20, s24
	s_mul_i32 s44, s21, s24
	s_mul_i32 s38, s20, s24
	;; [unrolled: 1-line block ×3, first 2 shown]
	s_mul_hi_u32 s45, s47, s26
	s_mul_i32 s46, s49, s26
	s_mul_i32 s36, s47, s26
	s_cbranch_scc1 .LBB691_3
; %bb.1:
	s_ashr_i32 s1, s34, 31
	s_add_u32 s0, s54, s34
	s_addc_u32 s1, s53, s1
	s_lshl_b64 s[0:1], s[0:1], 8
	v_and_b32_e32 v59, 56, v54
	s_add_u32 s20, s6, s0
	v_lshl_or_b32 v58, v51, 3, v55
	v_lshlrev_b32_e32 v10, 1, v59
	s_addc_u32 s0, s7, s1
	v_lshl_or_b32 v60, v58, 8, v10
	s_and_b32 s21, s0, 0xffff
	s_mov_b32 s23, 0x20000
	s_movk_i32 s22, 0x4000
	s_movk_i32 s0, 0x80
	v_or_b32_e32 v61, 0x2000, v60
	buffer_load_dwordx4 v[12:15], v60, s[20:23], 0 offen
	buffer_load_dwordx4 v[16:19], v60, s[20:23], s0 offen
	;; [unrolled: 1-line block ×4, first 2 shown]
	v_lshlrev_b32_e32 v11, 3, v58
	v_and_or_b32 v29, v0, 7, v11
	v_and_b32_e32 v11, 0x78, v11
	v_lshlrev_b32_e32 v29, 4, v29
	v_xor_b32_e32 v62, v29, v11
	v_mul_lo_u32 v28, v58, s15
	v_or_b32_e32 v63, 0x1000, v62
	v_xor_b32_e32 v11, 8, v62
	s_cmpk_eq_i32 s15, 0x80
	s_mov_b32 s55, s34
	v_xor_b32_e32 v29, 8, v63
	s_cselect_b64 s[0:1], -1, 0
	s_cmpk_lg_i32 s15, 0x80
	s_waitcnt vmcnt(3)
	ds_write_b64 v62, v[12:13] offset:16384
	ds_write_b64 v11, v[14:15] offset:16384
	s_waitcnt vmcnt(2)
	ds_write_b64 v62, v[16:17] offset:24576
	ds_write_b64 v11, v[18:19] offset:24576
	;; [unrolled: 3-line block ×4, first 2 shown]
	v_lshl_add_u32 v11, v28, 1, v59
	s_cbranch_scc0 .LBB691_29
; %bb.2:
	v_lshlrev_b32_e32 v13, 1, v11
	v_add_lshl_u32 v12, v11, s15, 1
	s_lshl_b32 s22, s15, 7
	v_lshl_or_b32 v10, v58, 9, v10
	s_cbranch_execz .LBB691_30
	s_branch .LBB691_31
.LBB691_3:
	s_waitcnt vmcnt(0)
	v_mov_b32_e32 v10, v5
	v_mov_b32_e32 v11, v9
.LBB691_4:
	s_lshl_b32 s26, s48, 6
	s_sub_i32 s27, s50, s26
	s_cmp_gt_i32 s27, 0
	s_cbranch_scc0 .LBB691_76
; %bb.5:
	s_add_i32 s26, s26, s34
	s_ashr_i32 s3, s26, 31
	s_cmpk_lg_i32 s15, 0x80
	s_cselect_b64 s[22:23], -1, 0
	s_and_b64 vcc, exec, s[22:23]
	s_cbranch_vccz .LBB691_7
; %bb.6:
	s_mul_hi_i32 s0, s26, s14
	s_mul_i32 s1, s26, s14
	s_ashr_i32 s14, s51, 31
	s_add_u32 s24, s1, s51
	s_addc_u32 s25, s0, s14
	s_cbranch_execz .LBB691_8
	s_branch .LBB691_9
.LBB691_7:
                                        ; implicit-def: $sgpr24_sgpr25
.LBB691_8:
	s_mul_i32 s1, s51, s12
	s_mul_hi_i32 s0, s51, s12
	s_add_u32 s24, s1, s26
	s_addc_u32 s25, s0, s3
.LBB691_9:
	s_add_i32 s12, s48, s52
	s_add_u32 s0, s54, s26
	s_addc_u32 s1, s53, s3
	s_mov_b32 s3, 0x7060302
	v_perm_b32 v5, v10, v4, s3
	v_perm_b32 v4, v3, v2, s3
	v_lshlrev_b32_e32 v2, 3, v53
	s_lshl_b64 s[20:21], s[0:1], 8
	v_perm_b32 v9, v11, v8, s3
	v_perm_b32 v8, v7, v6, s3
	s_waitcnt vmcnt(2)
	v_lshlrev_b32_e32 v34, 2, v53
	v_lshl_or_b32 v2, v56, 5, v2
	s_add_u32 s0, s6, s20
	ds_write2st64_b64 v2, v[8:9], v[4:5] offset0:72 offset1:76
	v_xor_b32_e32 v2, v56, v34
	v_lshlrev_b32_e32 v3, 8, v53
	s_addc_u32 s1, s7, s21
	v_lshl_or_b32 v2, v2, 1, v3
	s_mul_hi_i32 s3, s12, s13
	s_mul_i32 s12, s12, s13
	ds_write_b64 v2, v[8:9] offset:32768
	v_xor_b32_e32 v2, v57, v34
	s_add_u32 s6, s12, s47
	v_lshl_or_b32 v2, v2, 1, v3
	s_addc_u32 s7, s3, s49
	v_lshlrev_b32_e32 v3, 1, v53
	ds_write_b64 v2, v[4:5] offset:32768
	v_lshrrev_b32_e32 v2, 4, v0
	s_ashr_i32 s3, s2, 31
	s_lshl_b64 s[6:7], s[6:7], 15
	v_or_b32_e32 v4, 1, v3
	s_add_u32 s6, s18, s6
	v_xor_b32_e32 v3, v2, v3
	v_xor_b32_e32 v4, v4, v2
	v_lshlrev_b32_e32 v6, 8, v2
	s_addc_u32 s7, s19, s7
	s_lshl_b64 s[2:3], s[2:3], 8
	v_lshl_or_b32 v2, v3, 3, v6
	v_lshl_or_b32 v4, v4, 3, v6
	s_waitcnt lgkmcnt(0)
	s_barrier
	s_add_u32 s2, s6, s2
	ds_read_b64 v[2:3], v2 offset:32768
	ds_read_b64 v[4:5], v4 offset:32768
	s_addc_u32 s3, s7, s3
	v_mov_b32_e32 v7, 0
	s_cmp_lg_u32 s27, 64
	v_lshl_add_u64 v[8:9], s[2:3], 0, v[6:7]
	v_lshlrev_b32_e32 v6, 4, v53
	s_cselect_b64 s[6:7], -1, 0
	v_lshl_or_b32 v35, v51, 3, v55
	s_mov_b32 s16, 0
	v_lshl_add_u64 v[6:7], v[8:9], 0, v[6:7]
	v_or_b32_e32 v19, 32, v35
	v_and_b32_e32 v18, 56, v54
	s_and_b64 vcc, exec, s[6:7]
	s_waitcnt lgkmcnt(0)
	global_store_dwordx4 v[6:7], v[2:5], off
	s_cbranch_vccz .LBB691_15
; %bb.10:
	s_mov_b32 s17, s16
	s_mov_b32 s18, s16
	s_mov_b32 s19, s16
	v_mov_b64_e32 v[6:7], s[16:17]
	v_mov_b64_e32 v[8:9], s[18:19]
	;; [unrolled: 1-line block ×3, first 2 shown]
	v_cmp_gt_i32_e32 vcc, s27, v35
	v_mov_b64_e32 v[4:5], v[8:9]
	s_and_saveexec_b64 s[2:3], vcc
	s_cbranch_execz .LBB691_12
; %bb.11:
	v_lshlrev_b32_e32 v2, 8, v35
	v_mov_b32_e32 v3, 0
	v_lshl_add_u64 v[4:5], s[0:1], 0, v[2:3]
	v_lshlrev_b32_e32 v2, 1, v18
	v_lshl_add_u64 v[10:11], v[4:5], 0, v[2:3]
	global_load_dwordx4 v[6:9], v[10:11], off
	global_load_dwordx4 v[2:5], v[10:11], off offset:128
.LBB691_12:
	s_or_b64 exec, exec, s[2:3]
	s_mov_b32 s17, s16
	s_mov_b32 s18, s16
	;; [unrolled: 1-line block ×3, first 2 shown]
	v_mov_b64_e32 v[14:15], s[16:17]
	v_mov_b64_e32 v[16:17], s[18:19]
	;; [unrolled: 1-line block ×3, first 2 shown]
	v_cmp_gt_i32_e32 vcc, s27, v19
	v_lshlrev_b32_e32 v20, 7, v19
	v_mov_b64_e32 v[12:13], v[16:17]
	s_and_saveexec_b64 s[2:3], vcc
	s_cbranch_execz .LBB691_14
; %bb.13:
	v_lshlrev_b32_e32 v10, 1, v20
	v_mov_b32_e32 v11, 0
	v_lshl_add_u64 v[12:13], s[0:1], 0, v[10:11]
	v_lshlrev_b32_e32 v10, 1, v18
	v_lshl_add_u64 v[22:23], v[12:13], 0, v[10:11]
	global_load_dwordx4 v[14:17], v[22:23], off
	global_load_dwordx4 v[10:13], v[22:23], off offset:128
.LBB691_14:
	s_or_b64 exec, exec, s[2:3]
	v_lshrrev_b32_e32 v21, 3, v18
	v_lshlrev_b32_e32 v22, 3, v35
	v_or_b32_e32 v21, v22, v21
	v_lshlrev_b32_e32 v21, 4, v21
	v_and_b32_e32 v22, 0x78, v22
	v_xor_b32_e32 v21, v21, v22
	s_branch .LBB691_17
.LBB691_15:
                                        ; implicit-def: $vgpr21
                                        ; implicit-def: $vgpr20
                                        ; implicit-def: $vgpr6_vgpr7_vgpr8_vgpr9
                                        ; implicit-def: $vgpr2_vgpr3_vgpr4_vgpr5
                                        ; implicit-def: $vgpr14_vgpr15_vgpr16_vgpr17
                                        ; implicit-def: $vgpr10_vgpr11_vgpr12_vgpr13
	s_cbranch_execz .LBB691_17
; %bb.16:
	s_waitcnt vmcnt(0)
	v_lshlrev_b32_e32 v2, 1, v18
	v_lshl_or_b32 v20, v35, 8, v2
	s_and_b32 s1, s1, 0xffff
	s_mov_b32 s3, 0x20000
	s_movk_i32 s2, 0x4000
	v_lshl_or_b32 v21, v19, 8, v2
	s_movk_i32 s12, 0x80
	buffer_load_dwordx4 v[6:9], v20, s[0:3], 0 offen
	buffer_load_dwordx4 v[2:5], v20, s[0:3], s12 offen
	;; [unrolled: 1-line block ×4, first 2 shown]
	v_lshrrev_b32_e32 v20, 3, v18
	v_lshlrev_b32_e32 v21, 3, v35
	v_or_b32_e32 v20, v21, v20
	v_lshlrev_b32_e32 v20, 4, v20
	v_and_b32_e32 v21, 0x78, v21
	v_xor_b32_e32 v21, v20, v21
	v_lshlrev_b32_e32 v20, 7, v19
.LBB691_17:
	s_lshl_b64 s[0:1], s[24:25], 8
	s_add_u32 s4, s4, s0
	s_movk_i32 s0, 0x1000
	v_and_or_b32 v19, v20, s0, v21
	s_waitcnt vmcnt(1)
	ds_write_b64 v21, v[6:7] offset:16384
	v_xor_b32_e32 v6, 8, v21
	ds_write_b64 v6, v[8:9] offset:16384
	s_waitcnt vmcnt(0)
	ds_write_b64 v21, v[2:3] offset:24576
	ds_write_b64 v6, v[4:5] offset:24576
	ds_write_b64 v19, v[14:15] offset:16384
	v_xor_b32_e32 v2, 8, v19
	ds_write_b64 v2, v[16:17] offset:16384
	ds_write_b64 v19, v[10:11] offset:24576
	;; [unrolled: 1-line block ×3, first 2 shown]
	v_or_b32_e32 v2, v1, v53
	v_lshlrev_b32_e32 v2, 3, v2
	v_lshrrev_b32_e32 v4, 5, v50
	s_movk_i32 s12, 0xf8
	v_and_or_b32 v4, v2, s12, v4
	v_lshlrev_b32_e32 v3, 11, v51
	v_lshlrev_b32_e32 v12, 4, v4
	v_and_b32_e32 v13, 0x78, v2
	v_and_b32_e32 v14, 0x1000, v3
	v_lshlrev_b32_e32 v3, 2, v0
	v_xor_b32_e32 v2, v12, v13
	v_lshrrev_b32_e32 v4, 1, v50
	v_and_b32_e32 v3, 60, v3
	v_or_b32_e32 v2, v2, v14
	v_and_b32_e32 v15, 8, v4
	v_xor_b32_e32 v26, v2, v15
	v_lshl_or_b32 v2, v52, 6, v3
	v_lshlrev_b32_e32 v19, 1, v2
	v_or_b32_e32 v2, 32, v12
	v_xor_b32_e32 v2, v2, v13
	s_waitcnt lgkmcnt(0)
	s_barrier
	ds_read_b64 v[10:11], v26 offset:16384
	v_or_b32_e32 v2, v2, v14
	v_xor_b32_e32 v27, v2, v15
	v_or_b32_e32 v2, 64, v12
	v_xor_b32_e32 v2, v2, v13
	v_or_b32_e32 v2, v2, v14
	v_or_b32_e32 v12, 0x60, v12
	v_xor_b32_e32 v28, v2, v15
	ds_read2st64_b64 v[2:5], v19 offset0:72 offset1:73
	ds_read2st64_b64 v[6:9], v19 offset0:74 offset1:75
	v_xor_b32_e32 v16, v12, v13
	ds_read_b64 v[12:13], v27 offset:16384
	s_addc_u32 s5, s5, s1
	s_add_i32 s1, s43, s33
	s_waitcnt lgkmcnt(2)
	v_mfma_f32_16x16x16_bf16 a[0:3], v[10:11], v[2:3], 0
	s_add_i32 s0, s35, -1
	s_add_i32 s39, s1, s44
	s_add_i32 s1, s45, s42
	;; [unrolled: 1-line block ×3, first 2 shown]
	s_ashr_i32 s1, s0, 31
	s_mul_i32 s2, s0, s31
	s_mul_hi_u32 s3, s0, s30
	s_add_i32 s2, s3, s2
	s_mul_i32 s1, s1, s30
	v_or_b32_e32 v14, v16, v14
	s_add_i32 s1, s2, s1
	s_lshl_b64 s[2:3], s[38:39], 2
	v_xor_b32_e32 v36, v14, v15
	ds_read_b64 v[14:15], v28 offset:16384
	ds_read_b64 v[16:17], v36 offset:16384
	s_waitcnt lgkmcnt(2)
	v_mfma_f32_16x16x16_bf16 a[0:3], v[12:13], v[4:5], a[0:3]
	s_add_u32 s10, s10, s2
	s_addc_u32 s11, s11, s3
	s_lshl_b64 s[2:3], s[36:37], 2
	s_mul_i32 s0, s0, s30
	s_add_u32 s10, s10, s2
	s_addc_u32 s11, s11, s3
	s_lshl_b64 s[0:1], s[0:1], 2
	s_waitcnt lgkmcnt(1)
	v_mfma_f32_16x16x16_bf16 a[0:3], v[14:15], v[6:7], a[0:3]
	s_add_u32 s0, s10, s0
	s_addc_u32 s1, s11, s1
	s_load_dword s12, s[0:1], 0x0
	s_waitcnt lgkmcnt(0)
	v_mfma_f32_16x16x16_bf16 a[0:3], v[16:17], v[8:9], a[0:3]
	s_and_b64 vcc, exec, s[22:23]
	s_cbranch_vccz .LBB691_28
; %bb.18:
	v_lshlrev_b32_e32 v20, 1, v35
	s_and_b64 vcc, exec, s[6:7]
	s_cbranch_vccz .LBB691_44
; %bb.19:
	v_cmp_gt_i32_e32 vcc, s27, v20
	v_mov_b32_e32 v6, 0
	v_mov_b32_e32 v2, 0
	;; [unrolled: 1-line block ×5, first 2 shown]
	s_and_saveexec_b64 s[0:1], vcc
	s_cbranch_execz .LBB691_21
; %bb.20:
	v_mad_i64_i32 v[2:3], s[2:3], s15, v20, 0
	v_lshl_add_u64 v[2:3], v[2:3], 1, s[4:5]
	v_lshlrev_b32_e32 v4, 1, v18
	v_mov_b32_e32 v5, 0
	v_lshl_add_u64 v[2:3], v[2:3], 0, v[4:5]
	global_load_dwordx4 v[2:5], v[2:3], off
.LBB691_21:
	s_or_b64 exec, exec, s[0:1]
	v_or_b32_e32 v21, 1, v20
	v_cmp_gt_i32_e64 s[0:1], s27, v21
	v_mov_b32_e32 v7, 0
	v_mov_b32_e32 v8, 0
	;; [unrolled: 1-line block ×3, first 2 shown]
	s_and_saveexec_b64 s[2:3], s[0:1]
	s_cbranch_execz .LBB691_23
; %bb.22:
	v_mad_i64_i32 v[6:7], s[16:17], s15, v21, 0
	v_lshl_add_u64 v[6:7], v[6:7], 1, s[4:5]
	v_lshlrev_b32_e32 v8, 1, v18
	v_mov_b32_e32 v9, 0
	v_lshl_add_u64 v[6:7], v[6:7], 0, v[8:9]
	global_load_dwordx4 v[6:9], v[6:7], off
.LBB691_23:
	s_or_b64 exec, exec, s[2:3]
	v_mov_b32_e32 v17, 0
	v_mov_b32_e32 v10, 0
	;; [unrolled: 1-line block ×5, first 2 shown]
	s_and_saveexec_b64 s[2:3], vcc
	s_cbranch_execz .LBB691_25
; %bb.24:
	v_mad_i64_i32 v[10:11], s[16:17], s15, v20, 0
	v_lshl_add_u64 v[10:11], v[10:11], 1, s[4:5]
	v_lshlrev_b32_e32 v12, 1, v18
	v_mov_b32_e32 v13, 0
	v_lshl_add_u64 v[10:11], v[10:11], 0, v[12:13]
	global_load_dwordx4 v[10:13], v[10:11], off offset:128
.LBB691_25:
	s_or_b64 exec, exec, s[2:3]
	v_mov_b32_e32 v16, 0
	v_mov_b32_e32 v15, 0
	;; [unrolled: 1-line block ×3, first 2 shown]
	s_and_saveexec_b64 s[2:3], s[0:1]
	s_cbranch_execz .LBB691_27
; %bb.26:
	v_mad_i64_i32 v[14:15], s[0:1], s15, v21, 0
	v_lshl_add_u64 v[14:15], v[14:15], 1, s[4:5]
	v_lshlrev_b32_e32 v16, 1, v18
	v_mov_b32_e32 v17, 0
	v_lshl_add_u64 v[14:15], v[14:15], 0, v[16:17]
	global_load_dwordx4 v[14:17], v[14:15], off offset:128
.LBB691_27:
	s_or_b64 exec, exec, s[2:3]
	s_branch .LBB691_46
.LBB691_28:
                                        ; implicit-def: $vgpr5
                                        ; implicit-def: $vgpr9
                                        ; implicit-def: $vgpr13
                                        ; implicit-def: $vgpr17
	v_lshrrev_b32_e32 v37, 2, v50
	s_branch .LBB691_47
.LBB691_29:
                                        ; implicit-def: $vgpr12
                                        ; implicit-def: $vgpr13
                                        ; implicit-def: $sgpr22
	v_lshl_or_b32 v10, v58, 9, v10
.LBB691_30:
	v_or_b32_e32 v12, 0x100, v10
	s_movk_i32 s22, 0x4000
	v_mov_b32_e32 v13, v10
.LBB691_31:
	s_mul_i32 s16, s34, s14
	s_ashr_i32 s56, s51, 31
	s_mul_hi_i32 s3, s34, s14
	s_add_u32 s16, s16, s51
	s_addc_u32 s17, s3, s56
	s_lshl_b64 s[16:17], s[16:17], 8
	s_add_u32 s20, s4, s16
	s_addc_u32 s3, s5, s17
	s_and_b32 s21, s3, 0xffff
	s_movk_i32 s57, 0x80
	buffer_load_dwordx4 v[14:17], v13, s[20:23], 0 offen
	buffer_load_dwordx4 v[18:21], v13, s[20:23], s57 offen
	;; [unrolled: 1-line block ×4, first 2 shown]
	v_and_b32_e32 v12, 6, v0
	v_lshlrev_b32_e32 v30, 2, v53
	v_lshlrev_b32_e32 v31, 3, v53
	v_xor_b32_e32 v34, v58, v12
	v_and_b32_e32 v13, 1, v0
	v_lshl_or_b32 v31, v56, 5, v31
	v_xor_b32_e32 v35, v56, v30
	v_lshlrev_b32_e32 v34, 2, v34
	v_or_b32_e32 v64, 0x9000, v31
	v_or_b32_e32 v65, 0x9800, v31
	v_lshlrev_b32_e32 v31, 1, v35
	v_xor_b32_e32 v35, 0x440, v34
	v_cmp_eq_u32_e32 vcc, 0, v13
	s_add_i32 s3, s43, s33
	s_add_i32 s16, s45, s42
	v_cndmask_b32_e32 v13, v35, v34, vcc
	s_add_i32 s39, s3, s44
	v_lshl_or_b32 v12, v12, 10, v13
	s_add_i32 s37, s16, s46
	s_lshl_b64 s[16:17], s[38:39], 2
	s_mov_b32 s58, 0x1000504
	v_lshlrev_b32_e32 v32, 8, v53
	s_mov_b32 s22, 0x8000
	v_xor_b32_e32 v30, v57, v30
	v_xor_b32_e32 v13, 8, v12
	s_add_u32 s3, s10, s16
	s_mov_b32 s59, 0x3020706
	v_or_b32_e32 v33, v1, v53
	v_lshlrev_b32_e32 v30, 1, v30
	v_or3_b32 v66, v31, v32, s22
	v_xor_b32_e32 v31, 24, v12
	v_xor_b32_e32 v34, 40, v12
	;; [unrolled: 1-line block ×3, first 2 shown]
	v_add_u32_e32 v13, 0x80, v13
	s_addc_u32 s20, s11, s17
	s_lshl_b64 s[16:17], s[36:37], 2
	v_lshlrev_b32_e32 v33, 3, v33
	v_or3_b32 v67, v30, v32, s22
	v_xor_b32_e32 v30, 16, v12
	v_xor_b32_e32 v32, 32, v12
	;; [unrolled: 1-line block ×3, first 2 shown]
	v_add_u32_e32 v31, 0x80, v31
	v_add_u32_e32 v34, 0x80, v34
	;; [unrolled: 1-line block ×3, first 2 shown]
	s_add_u32 s16, s3, s16
	s_movk_i32 s3, 0xf8
	s_addc_u32 s17, s20, s17
	v_ashrrev_i32_e32 v43, 31, v42
	s_lshl_b32 s26, s15, 7
	s_mov_b32 s60, 0
	s_waitcnt vmcnt(1)
	v_perm_b32 v37, v14, v22, s58
	s_waitcnt vmcnt(0)
	v_perm_b32 v38, v18, v26, s58
	v_perm_b32 v14, v14, v22, s59
	;; [unrolled: 1-line block ×15, first 2 shown]
	ds_write2st64_b32 v12, v37, v38 offset1:32
	ds_write2st64_b32 v13, v14, v18 offset1:32
	ds_write2st64_b32 v30, v22, v26 offset0:1 offset1:33
	ds_write2st64_b32 v31, v15, v19 offset0:1 offset1:33
	;; [unrolled: 1-line block ×6, first 2 shown]
	v_lshrrev_b32_e32 v13, 5, v50
	v_and_or_b32 v13, v33, s3, v13
	v_lshlrev_b32_e32 v13, 4, v13
	v_lshlrev_b32_e32 v20, 11, v51
	v_and_b32_e32 v14, 0x78, v33
	v_or_b32_e32 v17, 32, v13
	v_and_b32_e32 v12, 0x1000, v20
	v_lshrrev_b32_e32 v21, 1, v0
	v_xor_b32_e32 v17, v17, v14
	v_and_b32_e32 v16, 8, v21
	v_or_b32_e32 v17, v17, v12
	v_xor_b32_e32 v15, v13, v14
	v_xor_b32_e32 v70, v17, v16
	v_or_b32_e32 v17, 64, v13
	v_or_b32_e32 v13, 0x60, v13
	v_xor_b32_e32 v17, v17, v14
	v_xor_b32_e32 v13, v13, v14
	v_or_b32_e32 v15, v15, v12
	v_or_b32_e32 v17, v17, v12
	;; [unrolled: 1-line block ×3, first 2 shown]
	v_xor_b32_e32 v68, v15, v16
	v_xor_b32_e32 v71, v17, v16
	;; [unrolled: 1-line block ×3, first 2 shown]
	v_lshrrev_b32_e32 v16, 4, v0
	v_lshlrev_b32_e32 v17, 1, v53
	s_ashr_i32 s3, s2, 31
	v_or_b32_e32 v18, 1, v17
	v_xor_b32_e32 v17, v16, v17
	s_lshl_b64 s[20:21], s[2:3], 8
	v_xor_b32_e32 v18, v18, v16
	v_lshlrev_b32_e32 v17, 3, v17
	v_lshlrev_b32_e32 v16, 8, v16
	v_lshlrev_b64 v[12:13], 1, v[42:43]
	s_add_u32 s20, s18, s20
	v_or3_b32 v43, v17, v16, s22
	v_lshlrev_b32_e32 v17, 3, v18
	s_addc_u32 s21, s19, s21
	v_or3_b32 v74, v17, v16, s22
	v_mov_b32_e32 v17, 0
	v_lshl_add_u64 v[18:19], s[20:21], 0, v[16:17]
	v_lshlrev_b32_e32 v16, 4, v53
	s_movk_i32 s3, 0xff
	v_lshlrev_b32_e32 v25, 3, v51
	v_and_b32_e32 v21, 24, v21
	v_lshl_add_u64 v[44:45], v[18:19], 0, v[16:17]
	v_and_b32_e32 v18, 8, v0
	v_cmp_lt_u32_e32 vcc, s3, v0
	v_xor_b32_e32 v26, v25, v21
	v_or_b32_e32 v27, 0x440, v26
	v_cndmask_b32_e64 v24, 0, 1, vcc
	v_cmp_eq_u32_e32 vcc, 0, v18
	v_and_b32_e32 v16, 7, v0
	v_lshlrev_b32_e32 v19, 3, v16
	v_cndmask_b32_e32 v18, v27, v26, vcc
	v_lshlrev_b32_e32 v16, 7, v16
	v_or_b32_e32 v18, v18, v20
	v_xad_u32 v75, v18, v19, v16
	v_or_b32_e32 v18, 32, v21
	v_xor_b32_e32 v18, v25, v18
	v_or_b32_e32 v26, 0x440, v18
	v_cndmask_b32_e32 v18, v26, v18, vcc
	v_or_b32_e32 v18, v18, v20
	v_xad_u32 v76, v18, v19, v16
	v_or_b32_e32 v18, 64, v21
	v_xor_b32_e32 v18, v25, v18
	v_xor_b32_e32 v26, 0x440, v18
	v_cndmask_b32_e32 v18, v26, v18, vcc
	v_or_b32_e32 v18, v18, v20
	v_xad_u32 v77, v18, v19, v16
	v_or_b32_e32 v18, 0x60, v21
	v_xor_b32_e32 v18, v25, v18
	v_xor_b32_e32 v21, 0x440, v18
	v_and_b32_e32 v15, 0x78, v54
	v_cndmask_b32_e32 v18, v21, v18, vcc
	v_lshl_or_b32 v15, v52, 7, v15
	v_or_b32_e32 v18, v18, v20
	v_or_b32_e32 v69, 0x9000, v15
	;; [unrolled: 1-line block ×3, first 2 shown]
	v_lshl_add_u64 v[14:15], s[8:9], 0, v[12:13]
	v_lshl_add_u64 v[12:13], s[28:29], 0, v[12:13]
	v_lshlrev_b32_e32 v22, 1, v11
	v_add_lshl_u32 v11, v11, s15, 1
	v_or_b32_e32 v23, 0x100, v10
	v_lshlrev_b32_e32 v24, 13, v24
	v_xad_u32 v78, v18, v19, v16
	v_lshlrev_b32_e32 v16, 8, v56
	v_cndmask_b32_e64 v79, v22, v10, s[0:1]
	v_cndmask_b32_e64 v80, v11, v23, s[0:1]
	v_lshl_add_u64 v[46:47], v[14:15], 0, v[16:17]
	v_lshl_add_u64 v[48:49], v[12:13], 0, v[16:17]
	s_mov_b32 s3, 0x7060302
	s_movk_i32 s22, 0x4000
	v_add_u32_e32 v81, v24, v75
	v_add_u32_e32 v82, v24, v76
	v_add_u32_e32 v83, v24, v77
	v_add_u32_e32 v84, v24, v78
	s_waitcnt lgkmcnt(0)
	s_barrier
.LBB691_32:                             ; =>This Inner Loop Header: Depth=1
	s_add_i32 s37, s60, 1
	s_cmp_lt_i32 s37, s48
	s_mov_b64 s[24:25], 0
	s_cselect_b64 s[40:41], -1, 0
	s_cmp_ge_i32 s37, s48
	s_mov_b64 s[20:21], 0
	s_cbranch_scc1 .LBB691_34
; %bb.33:                               ;   in Loop: Header=BB691_32 Depth=1
	s_add_i32 s0, s55, 64
	s_ashr_i32 s1, s0, 31
	s_add_u32 s0, s54, s0
	s_addc_u32 s1, s53, s1
	s_lshl_b64 s[0:1], s[0:1], 8
	s_add_u32 s20, s6, s0
	s_addc_u32 s21, s7, s1
.LBB691_34:                             ;   in Loop: Header=BB691_32 Depth=1
	v_cndmask_b32_e64 v10, 0, 1, s[40:41]
	v_cmp_ne_u32_e64 s[0:1], 1, v10
	s_andn2_b64 vcc, exec, s[40:41]
	s_cbranch_vccnz .LBB691_36
; %bb.35:                               ;   in Loop: Header=BB691_32 Depth=1
	s_add_i32 s24, s55, 64
	s_mul_hi_i32 s25, s24, s14
	s_mul_i32 s24, s24, s14
	s_add_u32 s24, s24, s51
	s_addc_u32 s25, s25, s56
	s_lshl_b64 s[24:25], s[24:25], 8
	s_add_u32 s24, s4, s24
	s_addc_u32 s25, s5, s25
.LBB691_36:                             ;   in Loop: Header=BB691_32 Depth=1
	v_perm_b32 v11, v9, v8, s3
	v_perm_b32 v10, v7, v6, s3
	v_perm_b32 v13, v5, v4, s3
	v_perm_b32 v12, v3, v2, s3
	ds_write_b64 v64, v[10:11]
	ds_write_b64 v65, v[12:13]
	;; [unrolled: 1-line block ×4, first 2 shown]
	s_waitcnt lgkmcnt(0)
	s_barrier
	ds_read_b64 v[18:19], v68 offset:16384
	ds_read_b64 v[20:21], v70 offset:16384
	ds_read2st64_b64 v[10:13], v69 offset1:1
	s_waitcnt lgkmcnt(0)
	v_mfma_f32_16x16x16_bf16 a[0:3], v[18:19], v[10:11], 0
	ds_read2st64_b64 v[14:17], v69 offset0:2 offset1:3
	ds_read_b64 v[22:23], v71 offset:16384
	ds_read_b64 v[10:11], v72 offset:16384
	s_add_i32 s27, s55, 63
	v_mfma_f32_16x16x16_bf16 a[0:3], v[20:21], v[12:13], a[0:3]
	s_ashr_i32 s39, s27, 31
	s_mul_i32 s40, s27, s31
	s_mul_hi_u32 s41, s27, s30
	s_waitcnt lgkmcnt(1)
	v_mfma_f32_16x16x16_bf16 a[0:3], v[22:23], v[14:15], a[0:3]
	s_add_i32 s40, s41, s40
	s_mul_i32 s39, s39, s30
	s_add_i32 s41, s40, s39
	s_mul_i32 s40, s27, s30
	s_waitcnt lgkmcnt(0)
	v_mfma_f32_16x16x16_bf16 a[0:3], v[10:11], v[16:17], a[0:3]
	s_lshl_b64 s[40:41], s[40:41], 2
	s_add_u32 s40, s16, s40
	s_addc_u32 s41, s17, s41
	s_and_b64 vcc, exec, s[0:1]
	v_mov_b32_e32 v87, 0
	v_mov_b32_e32 v86, 0
	;; [unrolled: 1-line block ×19, first 2 shown]
	s_cbranch_vccnz .LBB691_38
; %bb.37:                               ;   in Loop: Header=BB691_32 Depth=1
	s_and_b32 s21, s21, 0xffff
	buffer_load_dwordx4 v[22:25], v60, s[20:23], 0 offen
	buffer_load_dwordx4 v[18:21], v60, s[20:23], s57 offen
	buffer_load_dwordx4 v[14:17], v61, s[20:23], 0 offen
	buffer_load_dwordx4 v[10:13], v61, s[20:23], s57 offen
	v_mov_b32_e32 v86, v62
	v_mov_b32_e32 v85, v63
.LBB691_38:                             ;   in Loop: Header=BB691_32 Depth=1
	s_waitcnt vmcnt(3)
	v_add_u32_e32 v30, s55, v56
	s_waitcnt vmcnt(1)
	v_ashrrev_i32_e32 v26, 31, v30
	v_mul_lo_u32 v28, v26, s30
	v_mul_lo_u32 v29, v30, s31
	v_mad_u64_u32 v[26:27], s[20:21], v30, s30, 0
	v_add3_u32 v27, v27, v29, v28
	v_lshl_add_u64 v[26:27], v[26:27], 2, s[16:17]
	global_load_dword v89, v[26:27], off
	v_add_u32_e32 v26, 1, v30
	v_ashrrev_i32_e32 v27, 31, v26
	v_mul_lo_u32 v28, v27, s30
	v_mul_lo_u32 v29, v26, s31
	v_mad_u64_u32 v[26:27], s[20:21], v26, s30, 0
	v_add3_u32 v27, v27, v29, v28
	v_add_u32_e32 v28, 2, v30
	v_ashrrev_i32_e32 v29, 31, v28
	v_mul_lo_u32 v31, v29, s30
	v_mul_lo_u32 v32, v28, s31
	v_mad_u64_u32 v[28:29], s[20:21], v28, s30, 0
	v_add_u32_e32 v30, 3, v30
	v_add3_u32 v29, v29, v32, v31
	v_ashrrev_i32_e32 v31, 31, v30
	v_mul_lo_u32 v34, v31, s30
	v_mul_lo_u32 v35, v30, s31
	v_mad_u64_u32 v[30:31], s[20:21], v30, s30, 0
	s_ashr_i32 s21, s55, 31
	s_add_u32 s20, s54, s55
	s_addc_u32 s21, s53, s21
	s_lshl_b64 s[62:63], s[20:21], 8
	v_lshl_add_u64 v[26:27], v[26:27], 2, s[16:17]
	v_lshl_add_u64 v[32:33], v[46:47], 0, s[62:63]
	v_add3_u32 v31, v31, v35, v34
	v_lshl_add_u64 v[28:29], v[28:29], 2, s[16:17]
	global_load_ushort v92, v[32:33], off
	global_load_ushort v93, v[32:33], off offset:256
	global_load_ushort v94, v[32:33], off offset:512
	;; [unrolled: 1-line block ×3, first 2 shown]
	v_lshl_add_u64 v[30:31], v[30:31], 2, s[16:17]
	global_load_dword v96, v[26:27], off
	global_load_dword v97, v[28:29], off
	;; [unrolled: 1-line block ×3, first 2 shown]
	s_load_dword s20, s[40:41], 0x0
	ds_read_b64 v[28:29], v68 offset:24576
	ds_read2st64_b64 v[30:33], v73 offset1:1
	ds_read2st64_b64 v[34:37], v73 offset0:2 offset1:3
	ds_read_b64 v[38:39], v70 offset:24576
	ds_read_b64 v[40:41], v71 offset:24576
	;; [unrolled: 1-line block ×3, first 2 shown]
	s_waitcnt lgkmcnt(0)
	v_mfma_f32_16x16x16_bf16 a[0:3], v[28:29], v[30:31], a[0:3]
	v_mov_b32_e32 v88, 0
	v_mov_b32_e32 v26, 0
	;; [unrolled: 1-line block ×3, first 2 shown]
	v_mfma_f32_16x16x16_bf16 a[0:3], v[38:39], v[32:33], a[0:3]
	v_lshl_add_u64 v[38:39], v[48:49], 0, s[62:63]
	v_mov_b32_e32 v28, 0
	v_mov_b32_e32 v29, 0
	v_mfma_f32_16x16x16_bf16 a[0:3], v[40:41], v[34:35], a[0:3]
	v_mov_b32_e32 v30, 0
	v_mov_b32_e32 v31, 0
	;; [unrolled: 1-line block ×3, first 2 shown]
	v_mfma_f32_16x16x16_bf16 a[0:3], v[90:91], v[36:37], a[0:3]
	v_mov_b32_e32 v33, 0
	v_mov_b32_e32 v34, 0
	s_and_b64 vcc, exec, s[0:1]
	s_waitcnt vmcnt(7)
	v_sub_f32_e32 v35, s20, v89
	s_nop 1
	v_accvgpr_read_b32 v41, a1
	v_accvgpr_read_b32 v40, a0
	;; [unrolled: 1-line block ×4, first 2 shown]
	s_waitcnt vmcnt(6)
	v_lshlrev_b32_e32 v90, 16, v92
	s_waitcnt vmcnt(5)
	v_lshlrev_b32_e32 v91, 16, v93
	;; [unrolled: 2-line block ×3, first 2 shown]
	v_exp_f32_e32 v94, v35
	s_waitcnt vmcnt(2)
	v_sub_f32_e32 v35, s20, v96
	s_waitcnt vmcnt(1)
	v_sub_f32_e32 v89, s20, v97
	;; [unrolled: 2-line block ×3, first 2 shown]
	v_lshlrev_b32_e32 v93, 16, v95
	v_pk_add_f32 v[40:41], v[90:91], v[40:41] neg_lo:[0,1] neg_hi:[0,1]
	v_exp_f32_e32 v95, v35
	v_exp_f32_e32 v90, v89
	;; [unrolled: 1-line block ×3, first 2 shown]
	v_pk_add_f32 v[36:37], v[92:93], v[36:37] neg_lo:[0,1] neg_hi:[0,1]
	global_store_short_d16_hi v[38:39], v40, off
	global_store_short_d16_hi v[38:39], v41, off offset:256
	global_store_short_d16_hi v[38:39], v36, off offset:512
	;; [unrolled: 1-line block ×3, first 2 shown]
	v_pk_mul_f32 v[38:39], v[94:95], v[40:41]
	v_pk_mul_f32 v[36:37], v[90:91], v[36:37]
	v_perm_b32 v38, v39, v38, s3
	v_perm_b32 v39, v37, v36, s3
	ds_write_b64 v65, v[38:39]
	v_mov_b32_e32 v35, 0
	v_mov_b32_e32 v36, 0
	;; [unrolled: 1-line block ×7, first 2 shown]
	s_cbranch_vccnz .LBB691_40
; %bb.39:                               ;   in Loop: Header=BB691_32 Depth=1
	s_and_b32 s25, s25, 0xffff
	s_mov_b32 s27, s23
	buffer_load_dwordx4 v[38:41], v79, s[24:27], 0 offen
	buffer_load_dwordx4 v[30:33], v79, s[24:27], s57 offen
	buffer_load_dwordx4 v[34:37], v80, s[24:27], 0 offen
	buffer_load_dwordx4 v[26:29], v80, s[24:27], s57 offen
	v_mov_b32_e32 v87, v59
	v_mov_b32_e32 v88, v58
.LBB691_40:                             ;   in Loop: Header=BB691_32 Depth=1
	s_waitcnt lgkmcnt(0)
	s_barrier
	ds_read_b64 v[98:99], v81
	ds_read2st64_b64 v[90:93], v73 offset1:1
	ds_read2st64_b64 v[94:97], v73 offset0:2 offset1:3
	ds_read_b64 v[100:101], v82
	ds_read_b64 v[102:103], v83
	;; [unrolled: 1-line block ×3, first 2 shown]
	s_waitcnt lgkmcnt(4)
	v_mfma_f32_16x16x16_bf16 a[0:3], v[98:99], v[90:91], 0
	ds_read_b64 v[98:99], v75 offset:8192
	ds_read_b64 v[106:107], v76 offset:8192
	s_add_i32 s21, s52, s60
	s_mul_hi_i32 s25, s21, s13
	s_waitcnt lgkmcnt(1)
	v_mfma_f32_16x16x16_bf16 a[4:7], v[98:99], v[90:91], 0
	s_mul_i32 s21, s21, s13
	s_add_u32 s24, s21, s47
	s_addc_u32 s25, s25, s49
	v_mfma_f32_16x16x16_bf16 a[0:3], v[100:101], v[92:93], a[0:3]
	ds_read_b64 v[98:99], v43
	ds_read_b64 v[100:101], v74
	ds_read_b64 v[90:91], v77 offset:8192
	s_lshl_b64 s[24:25], s[24:25], 15
	v_mfma_f32_16x16x16_bf16 a[0:3], v[102:103], v[94:95], a[0:3]
	ds_read_b64 v[102:103], v78 offset:8192
	s_and_b64 vcc, exec, s[0:1]
	s_waitcnt lgkmcnt(4)
	v_mfma_f32_16x16x16_bf16 a[4:7], v[106:107], v[92:93], a[4:7]
	s_waitcnt lgkmcnt(1)
	v_mfma_f32_16x16x16_bf16 a[4:7], v[90:91], v[94:95], a[4:7]
	v_lshl_add_u64 v[90:91], v[44:45], 0, s[24:25]
	global_store_dwordx4 v[90:91], v[98:101], off
	v_mfma_f32_16x16x16_bf16 a[0:3], v[104:105], v[96:97], a[0:3]
	s_waitcnt lgkmcnt(0)
	v_mfma_f32_16x16x16_bf16 a[4:7], v[102:103], v[96:97], a[4:7]
	s_cbranch_vccnz .LBB691_42
; %bb.41:                               ;   in Loop: Header=BB691_32 Depth=1
	v_lshrrev_b32_e32 v89, 3, v87
	v_and_b32_e32 v89, 6, v89
	v_xor_b32_e32 v88, v89, v88
	v_lshlrev_b32_e32 v88, 2, v88
	v_and_b32_e32 v87, 8, v87
	v_xor_b32_e32 v90, 0x440, v88
	v_cmp_eq_u32_e32 vcc, 0, v87
	s_barrier
	s_nop 0
	v_cndmask_b32_e32 v87, v90, v88, vcc
	v_lshl_or_b32 v87, v89, 10, v87
	s_waitcnt vmcnt(2)
	v_perm_b32 v88, v38, v34, s58
	s_waitcnt vmcnt(1)
	v_perm_b32 v89, v30, v26, s58
	ds_write2st64_b32 v87, v88, v89 offset1:32
	v_xor_b32_e32 v88, 8, v87
	v_perm_b32 v34, v38, v34, s59
	v_perm_b32 v26, v30, v26, s59
	v_add_u32_e32 v30, 0x80, v88
	ds_write2st64_b32 v30, v34, v26 offset1:32
	v_xor_b32_e32 v26, 16, v87
	v_perm_b32 v30, v39, v35, s58
	v_perm_b32 v34, v31, v27, s58
	ds_write2st64_b32 v26, v30, v34 offset0:1 offset1:33
	v_xor_b32_e32 v26, 24, v87
	v_perm_b32 v30, v39, v35, s59
	v_perm_b32 v27, v31, v27, s59
	v_add_u32_e32 v26, 0x80, v26
	ds_write2st64_b32 v26, v30, v27 offset0:1 offset1:33
	v_xor_b32_e32 v26, 32, v87
	v_perm_b32 v27, v40, v36, s58
	v_perm_b32 v30, v32, v28, s58
	ds_write2st64_b32 v26, v27, v30 offset0:2 offset1:34
	v_xor_b32_e32 v26, 40, v87
	v_perm_b32 v27, v40, v36, s59
	v_perm_b32 v28, v32, v28, s59
	v_add_u32_e32 v26, 0x80, v26
	ds_write2st64_b32 v26, v27, v28 offset0:2 offset1:34
	;; [unrolled: 9-line block ×3, first 2 shown]
	ds_write_b64 v86, v[22:23] offset:16384
	v_xor_b32_e32 v22, 8, v86
	ds_write_b64 v22, v[24:25] offset:16384
	ds_write_b64 v86, v[18:19] offset:24576
	;; [unrolled: 1-line block ×4, first 2 shown]
	v_xor_b32_e32 v14, 8, v85
	ds_write_b64 v14, v[16:17] offset:16384
	ds_write_b64 v85, v[10:11] offset:24576
	;; [unrolled: 1-line block ×3, first 2 shown]
.LBB691_42:                             ;   in Loop: Header=BB691_32 Depth=1
	v_exp_f32_e32 v12, s20
	s_nop 2
	v_accvgpr_read_b32 v11, a1
	v_accvgpr_read_b32 v10, a0
	s_add_i32 s55, s55, 64
	v_fma_f32 v7, v7, v12, v11
	v_accvgpr_read_b32 v11, a3
	v_fmac_f32_e32 v11, v9, v12
	v_accvgpr_read_b32 v9, a4
	v_fma_f32 v6, v6, v12, v10
	v_accvgpr_read_b32 v10, a2
	v_fma_f32 v2, v2, v12, v9
	;; [unrolled: 2-line block ×3, first 2 shown]
	v_fma_f32 v3, v3, v12, v9
	v_accvgpr_read_b32 v9, a6
	v_accvgpr_read_b32 v10, a7
	v_fma_f32 v4, v4, v12, v9
	s_cmp_eq_u32 s48, s37
	v_fmac_f32_e32 v10, v5, v12
	s_cbranch_scc1 .LBB691_4
; %bb.43:                               ;   in Loop: Header=BB691_32 Depth=1
	s_mov_b32 s60, s37
	v_mov_b32_e32 v9, v11
	v_mov_b32_e32 v5, v10
	s_branch .LBB691_32
.LBB691_44:
                                        ; implicit-def: $vgpr5
                                        ; implicit-def: $vgpr9
                                        ; implicit-def: $vgpr13
                                        ; implicit-def: $vgpr17
	s_cbranch_execz .LBB691_46
; %bb.45:
	s_waitcnt vmcnt(0)
	v_mad_u64_u32 v[2:3], s[0:1], v20, s15, v[18:19]
	v_lshlrev_b32_e32 v20, 1, v2
	s_lshl_b32 s2, s15, 7
	s_and_b32 s1, s5, 0xffff
	s_mov_b32 s3, 0x20000
	s_mov_b32 s0, s4
	v_add_lshl_u32 v21, v2, s15, 1
	s_movk_i32 s13, 0x80
	buffer_load_dwordx4 v[2:5], v20, s[0:3], 0 offen
	buffer_load_dwordx4 v[10:13], v20, s[0:3], s13 offen
	;; [unrolled: 1-line block ×4, first 2 shown]
.LBB691_46:
	v_lshrrev_b32_e32 v37, 2, v50
	s_cbranch_execnz .LBB691_59
.LBB691_47:
	s_and_b64 vcc, exec, s[6:7]
	s_cbranch_vccz .LBB691_57
; %bb.48:
	s_waitcnt vmcnt(0)
	v_lshlrev_b32_e32 v7, 1, v35
	v_cmp_gt_i32_e32 vcc, s27, v7
	v_mov_b32_e32 v6, 0
	v_lshlrev_b32_e32 v14, 9, v35
	v_mov_b32_e32 v2, 0
	v_mov_b32_e32 v3, 0
	;; [unrolled: 1-line block ×4, first 2 shown]
	s_and_saveexec_b64 s[0:1], vcc
	s_cbranch_execz .LBB691_50
; %bb.49:
	v_mov_b32_e32 v15, 0
	v_lshl_add_u64 v[2:3], s[4:5], 0, v[14:15]
	v_lshlrev_b32_e32 v4, 1, v18
	v_mov_b32_e32 v5, v15
	v_lshl_add_u64 v[2:3], v[2:3], 0, v[4:5]
	global_load_dwordx4 v[2:5], v[2:3], off
.LBB691_50:
	s_or_b64 exec, exec, s[0:1]
	v_or_b32_e32 v7, 1, v7
	v_cmp_gt_i32_e64 s[0:1], s27, v7
	v_lshlrev_b32_e32 v20, 8, v7
	v_mov_b32_e32 v7, 0
	v_mov_b32_e32 v8, 0
	;; [unrolled: 1-line block ×3, first 2 shown]
	s_and_saveexec_b64 s[2:3], s[0:1]
	s_cbranch_execz .LBB691_52
; %bb.51:
	v_mov_b32_e32 v21, 0
	v_lshl_add_u64 v[6:7], s[4:5], 0, v[20:21]
	v_lshlrev_b32_e32 v8, 1, v18
	v_mov_b32_e32 v9, v21
	v_lshl_add_u64 v[6:7], v[6:7], 0, v[8:9]
	global_load_dwordx4 v[6:9], v[6:7], off
.LBB691_52:
	s_or_b64 exec, exec, s[2:3]
	v_mov_b32_e32 v17, 0
	v_mov_b32_e32 v10, 0
	;; [unrolled: 1-line block ×5, first 2 shown]
	s_and_saveexec_b64 s[2:3], vcc
	s_cbranch_execz .LBB691_54
; %bb.53:
	v_mov_b32_e32 v15, 0
	v_lshl_add_u64 v[10:11], s[4:5], 0, v[14:15]
	v_lshlrev_b32_e32 v14, 1, v18
	v_lshl_add_u64 v[10:11], v[10:11], 0, v[14:15]
	global_load_dwordx4 v[10:13], v[10:11], off offset:128
.LBB691_54:
	s_or_b64 exec, exec, s[2:3]
	v_mov_b32_e32 v16, 0
	v_mov_b32_e32 v15, 0
	;; [unrolled: 1-line block ×3, first 2 shown]
	s_and_saveexec_b64 s[2:3], s[0:1]
	s_cbranch_execz .LBB691_56
; %bb.55:
	v_mov_b32_e32 v21, 0
	v_lshl_add_u64 v[14:15], s[4:5], 0, v[20:21]
	v_lshlrev_b32_e32 v20, 1, v18
	v_lshl_add_u64 v[14:15], v[14:15], 0, v[20:21]
	global_load_dwordx4 v[14:17], v[14:15], off offset:128
.LBB691_56:
	s_or_b64 exec, exec, s[2:3]
	s_branch .LBB691_59
.LBB691_57:
                                        ; implicit-def: $vgpr5
                                        ; implicit-def: $vgpr9
                                        ; implicit-def: $vgpr13
                                        ; implicit-def: $vgpr17
	s_cbranch_execz .LBB691_59
; %bb.58:
	s_waitcnt vmcnt(0)
	v_lshlrev_b32_e32 v2, 1, v18
	v_lshl_or_b32 v18, v35, 9, v2
	s_and_b32 s5, s5, 0xffff
	s_mov_b32 s7, 0x20000
	s_movk_i32 s6, 0x4000
	s_movk_i32 s0, 0x80
	buffer_load_dwordx4 v[2:5], v18, s[4:7], 0 offen
	buffer_load_dwordx4 v[6:9], v18, s[4:7], 0 offen offset:256
	buffer_load_dwordx4 v[10:13], v18, s[4:7], s0 offen
	buffer_load_dwordx4 v[14:17], v18, s[4:7], s0 offen offset:256
.LBB691_59:
	ds_read2st64_b64 v[22:25], v19 offset0:76 offset1:77
	ds_read2st64_b64 v[18:21], v19 offset0:78 offset1:79
	ds_read_b64 v[32:33], v26 offset:24576
	ds_read_b64 v[30:31], v27 offset:24576
	;; [unrolled: 1-line block ×4, first 2 shown]
	v_and_b32_e32 v36, 6, v0
	v_xor_b32_e32 v35, v35, v36
	v_lshlrev_b32_e32 v35, 2, v35
	v_and_b32_e32 v0, 1, v0
	v_xor_b32_e32 v38, 0x440, v35
	v_cmp_eq_u32_e32 vcc, 0, v0
	s_mov_b32 s0, 0x1000504
	s_mov_b32 s1, 0x3020706
	v_cndmask_b32_e32 v0, v38, v35, vcc
	v_lshl_or_b32 v0, v36, 10, v0
	s_waitcnt vmcnt(0)
	v_perm_b32 v35, v2, v6, s0
	v_perm_b32 v36, v10, v14, s0
	ds_write2st64_b32 v0, v35, v36 offset1:32
	v_xor_b32_e32 v35, 8, v0
	v_perm_b32 v2, v2, v6, s1
	v_perm_b32 v6, v10, v14, s1
	v_add_u32_e32 v10, 0x80, v35
	ds_write2st64_b32 v10, v2, v6 offset1:32
	v_xor_b32_e32 v2, 16, v0
	v_perm_b32 v6, v3, v7, s0
	v_perm_b32 v10, v11, v15, s0
	ds_write2st64_b32 v2, v6, v10 offset0:1 offset1:33
	v_xor_b32_e32 v2, 24, v0
	v_perm_b32 v3, v3, v7, s1
	v_perm_b32 v6, v11, v15, s1
	v_add_u32_e32 v2, 0x80, v2
	ds_write2st64_b32 v2, v3, v6 offset0:1 offset1:33
	v_xor_b32_e32 v2, 32, v0
	v_perm_b32 v3, v4, v8, s0
	v_perm_b32 v6, v12, v16, s0
	ds_write2st64_b32 v2, v3, v6 offset0:2 offset1:34
	v_xor_b32_e32 v2, 40, v0
	v_perm_b32 v3, v4, v8, s1
	v_perm_b32 v4, v12, v16, s1
	v_add_u32_e32 v2, 0x80, v2
	ds_write2st64_b32 v2, v3, v4 offset0:2 offset1:34
	v_xor_b32_e32 v2, 48, v0
	v_perm_b32 v3, v5, v9, s0
	v_perm_b32 v4, v13, v17, s0
	v_xor_b32_e32 v0, 56, v0
	v_and_or_b32 v8, v37, 12, v1
	ds_write2st64_b32 v2, v3, v4 offset0:3 offset1:35
	v_perm_b32 v2, v5, v9, s1
	v_perm_b32 v3, v13, v17, s1
	v_add_u32_e32 v0, 0x80, v0
	v_cmp_gt_i32_e64 s[2:3], s27, v8
	v_mov_b32_e32 v10, 0
	v_mov_b32_e32 v15, 0
	ds_write2st64_b32 v0, v2, v3 offset0:3 offset1:35
	s_and_saveexec_b64 s[0:1], s[2:3]
	s_cbranch_execz .LBB691_61
; %bb.60:
	v_add_u32_e32 v0, s26, v8
	v_ashrrev_i32_e32 v1, 31, v0
	v_mul_lo_u32 v2, v1, s30
	v_mul_lo_u32 v3, v0, s31
	v_mad_u64_u32 v[0:1], s[4:5], v0, s30, 0
	v_add3_u32 v1, v1, v3, v2
	v_lshl_add_u64 v[0:1], v[0:1], 2, s[10:11]
	global_load_dword v0, v[0:1], off
	s_waitcnt vmcnt(0)
	v_sub_f32_e32 v0, s12, v0
	v_exp_f32_e32 v15, v0
.LBB691_61:
	s_or_b64 exec, exec, s[0:1]
	v_or_b32_e32 v13, 1, v8
	v_cmp_gt_i32_e64 s[4:5], s27, v13
	s_and_saveexec_b64 s[0:1], s[4:5]
	s_cbranch_execz .LBB691_63
; %bb.62:
	v_add_u32_e32 v0, s26, v13
	v_ashrrev_i32_e32 v1, 31, v0
	v_mul_lo_u32 v2, v1, s30
	v_mul_lo_u32 v3, v0, s31
	v_mad_u64_u32 v[0:1], s[6:7], v0, s30, 0
	v_add3_u32 v1, v1, v3, v2
	v_lshl_add_u64 v[0:1], v[0:1], 2, s[10:11]
	global_load_dword v0, v[0:1], off
	s_waitcnt vmcnt(0)
	v_sub_f32_e32 v0, s12, v0
	v_exp_f32_e32 v10, v0
.LBB691_63:
	s_or_b64 exec, exec, s[0:1]
	v_or_b32_e32 v11, 2, v8
	v_cmp_gt_i32_e32 vcc, s27, v11
	v_mov_b32_e32 v9, 0
	v_mov_b32_e32 v14, 0
	s_and_saveexec_b64 s[0:1], vcc
	s_cbranch_execz .LBB691_65
; %bb.64:
	v_add_u32_e32 v0, s26, v11
	v_ashrrev_i32_e32 v1, 31, v0
	v_mul_lo_u32 v2, v1, s30
	v_mul_lo_u32 v3, v0, s31
	v_mad_u64_u32 v[0:1], s[6:7], v0, s30, 0
	v_add3_u32 v1, v1, v3, v2
	v_lshl_add_u64 v[0:1], v[0:1], 2, s[10:11]
	global_load_dword v0, v[0:1], off
	s_waitcnt vmcnt(0)
	v_sub_f32_e32 v0, s12, v0
	v_exp_f32_e32 v14, v0
.LBB691_65:
	s_or_b64 exec, exec, s[0:1]
	v_or_b32_e32 v12, 3, v8
	v_cmp_gt_i32_e64 s[0:1], s27, v12
	s_and_saveexec_b64 s[6:7], s[0:1]
	s_cbranch_execz .LBB691_67
; %bb.66:
	v_add_u32_e32 v0, s26, v12
	v_ashrrev_i32_e32 v1, 31, v0
	v_mul_lo_u32 v2, v1, s30
	v_mul_lo_u32 v3, v0, s31
	v_mad_u64_u32 v[0:1], s[14:15], v0, s30, 0
	v_add3_u32 v1, v1, v3, v2
	v_lshl_add_u64 v[0:1], v[0:1], 2, s[10:11]
	global_load_dword v0, v[0:1], off
	s_waitcnt vmcnt(0)
	v_sub_f32_e32 v0, s12, v0
	v_exp_f32_e32 v9, v0
.LBB691_67:
	s_or_b64 exec, exec, s[6:7]
	s_waitcnt lgkmcnt(11)
	v_mfma_f32_16x16x16_bf16 a[0:3], v[32:33], v[22:23], a[0:3]
	s_add_u32 s6, s8, s20
	v_ashrrev_i32_e32 v43, 31, v42
	s_addc_u32 s7, s9, s21
	s_waitcnt lgkmcnt(10)
	v_mfma_f32_16x16x16_bf16 a[0:3], v[30:31], v[24:25], a[0:3]
	v_lshlrev_b64 v[0:1], 1, v[42:43]
	v_lshl_add_u64 v[4:5], s[6:7], 0, v[0:1]
	s_add_u32 s6, s28, s20
	s_waitcnt lgkmcnt(9)
	v_mfma_f32_16x16x16_bf16 a[0:3], v[28:29], v[18:19], a[0:3]
	s_addc_u32 s7, s29, s21
	v_lshl_add_u64 v[6:7], s[6:7], 0, v[0:1]
	v_mov_b32_e32 v16, 0
	s_waitcnt lgkmcnt(8)
	v_mfma_f32_16x16x16_bf16 a[0:3], v[26:27], v[20:21], a[0:3]
	v_mov_b32_e32 v17, 0
	s_nop 5
	v_accvgpr_read_b32 v0, a0
	v_accvgpr_read_b32 v1, a1
	;; [unrolled: 1-line block ×4, first 2 shown]
	s_and_saveexec_b64 s[6:7], s[2:3]
	s_cbranch_execz .LBB691_69
; %bb.68:
	v_lshlrev_b32_e32 v18, 8, v8
	v_mov_b32_e32 v19, 0
	v_lshl_add_u64 v[20:21], v[4:5], 0, v[18:19]
	global_load_ushort v17, v[20:21], off
	v_lshl_add_u64 v[18:19], v[6:7], 0, v[18:19]
	s_waitcnt vmcnt(0)
	v_lshlrev_b32_e32 v17, 16, v17
	v_sub_f32_e32 v0, v17, v0
	global_store_short_d16_hi v[18:19], v0, off
	v_mul_f32_e32 v0, v15, v0
	v_lshrrev_b32_e32 v17, 16, v0
.LBB691_69:
	s_or_b64 exec, exec, s[6:7]
	s_and_saveexec_b64 s[2:3], s[4:5]
	s_cbranch_execz .LBB691_71
; %bb.70:
	v_lshlrev_b32_e32 v18, 8, v13
	v_mov_b32_e32 v19, 0
	v_lshl_add_u64 v[20:21], v[4:5], 0, v[18:19]
	global_load_ushort v0, v[20:21], off
	v_lshl_add_u64 v[18:19], v[6:7], 0, v[18:19]
	s_waitcnt vmcnt(0)
	v_lshlrev_b32_e32 v0, 16, v0
	v_sub_f32_e32 v0, v0, v1
	global_store_short_d16_hi v[18:19], v0, off
	v_mul_f32_e32 v0, v10, v0
	v_lshrrev_b32_e32 v16, 16, v0
.LBB691_71:
	s_or_b64 exec, exec, s[2:3]
	v_mov_b32_e32 v0, 0
	v_mov_b32_e32 v1, 0
	s_and_saveexec_b64 s[2:3], vcc
	s_cbranch_execz .LBB691_73
; %bb.72:
	v_lshlrev_b32_e32 v10, 8, v11
	v_mov_b32_e32 v11, 0
	v_lshl_add_u64 v[18:19], v[4:5], 0, v[10:11]
	global_load_ushort v1, v[18:19], off
	v_lshl_add_u64 v[10:11], v[6:7], 0, v[10:11]
	s_waitcnt vmcnt(0)
	v_lshlrev_b32_e32 v1, 16, v1
	v_sub_f32_e32 v1, v1, v2
	global_store_short_d16_hi v[10:11], v1, off
	v_mul_f32_e32 v1, v14, v1
	v_lshrrev_b32_e32 v1, 16, v1
.LBB691_73:
	s_or_b64 exec, exec, s[2:3]
	s_and_saveexec_b64 s[2:3], s[0:1]
	s_cbranch_execz .LBB691_75
; %bb.74:
	v_lshlrev_b32_e32 v10, 8, v12
	v_mov_b32_e32 v11, 0
	v_lshl_add_u64 v[4:5], v[4:5], 0, v[10:11]
	global_load_ushort v0, v[4:5], off
	v_lshl_add_u64 v[4:5], v[6:7], 0, v[10:11]
	s_waitcnt vmcnt(0)
	v_lshlrev_b32_e32 v0, 16, v0
	v_sub_f32_e32 v0, v0, v3
	global_store_short_d16_hi v[4:5], v0, off
	v_mul_f32_e32 v0, v9, v0
	v_lshrrev_b32_e32 v0, 16, v0
.LBB691_75:
	s_or_b64 exec, exec, s[2:3]
	s_mov_b32 s0, 0x5040100
	v_lshlrev_b32_e32 v2, 1, v34
	v_perm_b32 v1, v0, v1, s0
	v_perm_b32 v0, v16, v17, s0
	v_lshl_or_b32 v2, v8, 5, v2
	ds_write_b64 v2, v[0:1] offset:38912
	s_waitcnt lgkmcnt(0)
	s_barrier
.LBB691_76:
	s_endpgm
	.section	.rodata,"a",@progbits
	.p2align	6, 0x0
	.amdhsa_kernel _ZN12_GLOBAL__N_139chunk_gated_delta_rule_fwd_h_hip_kernelILi16ELb1ELb0ELb1ELb1ELb1ELb0ELb0ELb0EEEvPK12hip_bfloat16S3_S3_PKfS5_PKvPS1_S8_PvPKiSB_iiiiilll
		.amdhsa_group_segment_fixed_size 40960
		.amdhsa_private_segment_fixed_size 0
		.amdhsa_kernarg_size 136
		.amdhsa_user_sgpr_count 2
		.amdhsa_user_sgpr_dispatch_ptr 0
		.amdhsa_user_sgpr_queue_ptr 0
		.amdhsa_user_sgpr_kernarg_segment_ptr 1
		.amdhsa_user_sgpr_dispatch_id 0
		.amdhsa_user_sgpr_kernarg_preload_length 0
		.amdhsa_user_sgpr_kernarg_preload_offset 0
		.amdhsa_user_sgpr_private_segment_size 0
		.amdhsa_uses_dynamic_stack 0
		.amdhsa_enable_private_segment 0
		.amdhsa_system_sgpr_workgroup_id_x 1
		.amdhsa_system_sgpr_workgroup_id_y 1
		.amdhsa_system_sgpr_workgroup_id_z 0
		.amdhsa_system_sgpr_workgroup_info 0
		.amdhsa_system_vgpr_workitem_id 0
		.amdhsa_next_free_vgpr 116
		.amdhsa_next_free_sgpr 64
		.amdhsa_accum_offset 108
		.amdhsa_reserve_vcc 1
		.amdhsa_float_round_mode_32 0
		.amdhsa_float_round_mode_16_64 0
		.amdhsa_float_denorm_mode_32 3
		.amdhsa_float_denorm_mode_16_64 3
		.amdhsa_dx10_clamp 1
		.amdhsa_ieee_mode 1
		.amdhsa_fp16_overflow 0
		.amdhsa_tg_split 0
		.amdhsa_exception_fp_ieee_invalid_op 0
		.amdhsa_exception_fp_denorm_src 0
		.amdhsa_exception_fp_ieee_div_zero 0
		.amdhsa_exception_fp_ieee_overflow 0
		.amdhsa_exception_fp_ieee_underflow 0
		.amdhsa_exception_fp_ieee_inexact 0
		.amdhsa_exception_int_div_zero 0
	.end_amdhsa_kernel
	.section	.text._ZN12_GLOBAL__N_139chunk_gated_delta_rule_fwd_h_hip_kernelILi16ELb1ELb0ELb1ELb1ELb1ELb0ELb0ELb0EEEvPK12hip_bfloat16S3_S3_PKfS5_PKvPS1_S8_PvPKiSB_iiiiilll,"axG",@progbits,_ZN12_GLOBAL__N_139chunk_gated_delta_rule_fwd_h_hip_kernelILi16ELb1ELb0ELb1ELb1ELb1ELb0ELb0ELb0EEEvPK12hip_bfloat16S3_S3_PKfS5_PKvPS1_S8_PvPKiSB_iiiiilll,comdat
.Lfunc_end691:
	.size	_ZN12_GLOBAL__N_139chunk_gated_delta_rule_fwd_h_hip_kernelILi16ELb1ELb0ELb1ELb1ELb1ELb0ELb0ELb0EEEvPK12hip_bfloat16S3_S3_PKfS5_PKvPS1_S8_PvPKiSB_iiiiilll, .Lfunc_end691-_ZN12_GLOBAL__N_139chunk_gated_delta_rule_fwd_h_hip_kernelILi16ELb1ELb0ELb1ELb1ELb1ELb0ELb0ELb0EEEvPK12hip_bfloat16S3_S3_PKfS5_PKvPS1_S8_PvPKiSB_iiiiilll
                                        ; -- End function
	.section	.AMDGPU.csdata,"",@progbits
; Kernel info:
; codeLenInByte = 7156
; NumSgprs: 70
; NumVgprs: 108
; NumAgprs: 8
; TotalNumVgprs: 116
; ScratchSize: 0
; MemoryBound: 0
; FloatMode: 240
; IeeeMode: 1
; LDSByteSize: 40960 bytes/workgroup (compile time only)
; SGPRBlocks: 8
; VGPRBlocks: 14
; NumSGPRsForWavesPerEU: 70
; NumVGPRsForWavesPerEU: 116
; AccumOffset: 108
; Occupancy: 1
; WaveLimiterHint : 1
; COMPUTE_PGM_RSRC2:SCRATCH_EN: 0
; COMPUTE_PGM_RSRC2:USER_SGPR: 2
; COMPUTE_PGM_RSRC2:TRAP_HANDLER: 0
; COMPUTE_PGM_RSRC2:TGID_X_EN: 1
; COMPUTE_PGM_RSRC2:TGID_Y_EN: 1
; COMPUTE_PGM_RSRC2:TGID_Z_EN: 0
; COMPUTE_PGM_RSRC2:TIDIG_COMP_CNT: 0
; COMPUTE_PGM_RSRC3_GFX90A:ACCUM_OFFSET: 26
; COMPUTE_PGM_RSRC3_GFX90A:TG_SPLIT: 0
	.section	.text._ZN12_GLOBAL__N_139chunk_gated_delta_rule_fwd_h_hip_kernelILi16ELb1ELb0ELb0ELb1ELb1ELb0ELb0ELb0EEEvPK12hip_bfloat16S3_S3_PKfS5_PKvPS1_S8_PvPKiSB_iiiiilll,"axG",@progbits,_ZN12_GLOBAL__N_139chunk_gated_delta_rule_fwd_h_hip_kernelILi16ELb1ELb0ELb0ELb1ELb1ELb0ELb0ELb0EEEvPK12hip_bfloat16S3_S3_PKfS5_PKvPS1_S8_PvPKiSB_iiiiilll,comdat
	.globl	_ZN12_GLOBAL__N_139chunk_gated_delta_rule_fwd_h_hip_kernelILi16ELb1ELb0ELb0ELb1ELb1ELb0ELb0ELb0EEEvPK12hip_bfloat16S3_S3_PKfS5_PKvPS1_S8_PvPKiSB_iiiiilll ; -- Begin function _ZN12_GLOBAL__N_139chunk_gated_delta_rule_fwd_h_hip_kernelILi16ELb1ELb0ELb0ELb1ELb1ELb0ELb0ELb0EEEvPK12hip_bfloat16S3_S3_PKfS5_PKvPS1_S8_PvPKiSB_iiiiilll
	.p2align	8
	.type	_ZN12_GLOBAL__N_139chunk_gated_delta_rule_fwd_h_hip_kernelILi16ELb1ELb0ELb0ELb1ELb1ELb0ELb0ELb0EEEvPK12hip_bfloat16S3_S3_PKfS5_PKvPS1_S8_PvPKiSB_iiiiilll,@function
_ZN12_GLOBAL__N_139chunk_gated_delta_rule_fwd_h_hip_kernelILi16ELb1ELb0ELb0ELb1ELb1ELb0ELb0ELb0EEEvPK12hip_bfloat16S3_S3_PKfS5_PKvPS1_S8_PvPKiSB_iiiiilll: ; @_ZN12_GLOBAL__N_139chunk_gated_delta_rule_fwd_h_hip_kernelILi16ELb1ELb0ELb0ELb1ELb1ELb0ELb0ELb0EEEvPK12hip_bfloat16S3_S3_PKfS5_PKvPS1_S8_PvPKiSB_iiiiilll
; %bb.0:
	s_load_dwordx4 s[12:15], s[0:1], 0x5c
	s_load_dwordx4 s[20:23], s[0:1], 0x70
	s_abs_i32 s9, s3
	s_ashr_i32 s8, s3, 31
	s_load_dwordx4 s[4:7], s[0:1], 0x48
	s_waitcnt lgkmcnt(0)
	s_abs_i32 s10, s13
	v_cvt_f32_u32_e32 v1, s10
	s_sub_i32 s16, 0, s10
	s_ashr_i32 s11, s13, 31
	s_xor_b32 s8, s8, s11
	v_rcp_iflag_f32_e32 v1, v1
	v_and_b32_e32 v51, 15, v0
	v_lshrrev_b32_e32 v49, 6, v0
	v_bfe_u32 v50, v0, 4, 2
	v_mul_f32_e32 v1, 0x4f7ffffe, v1
	v_cvt_u32_f32_e32 v1, v1
	v_mov_b32_e32 v5, 0
	v_and_b32_e32 v48, 63, v0
	v_lshrrev_b32_e32 v53, 3, v48
	v_readfirstlane_b32 s17, v1
	s_mul_i32 s16, s16, s17
	s_mul_hi_u32 s16, s17, s16
	s_add_i32 s17, s17, s16
	s_mul_hi_u32 s16, s9, s17
	s_mul_i32 s17, s16, s10
	s_sub_i32 s9, s9, s17
	s_add_i32 s18, s16, 1
	s_sub_i32 s17, s9, s10
	s_cmp_ge_u32 s9, s10
	s_cselect_b32 s16, s18, s16
	s_cselect_b32 s9, s17, s9
	s_add_i32 s17, s16, 1
	s_cmp_ge_u32 s9, s10
	s_cselect_b32 s9, s17, s16
	s_load_dwordx4 s[16:19], s[0:1], 0x28
	s_xor_b32 s9, s9, s8
	s_sub_i32 s24, s9, s8
	s_mul_i32 s28, s24, s13
	s_ashr_i32 s25, s24, 31
	s_sub_i32 s45, s3, s28
	s_lshl_b64 s[8:9], s[24:25], 2
	s_add_u32 s4, s4, s8
	s_addc_u32 s5, s5, s9
	s_add_u32 s26, s6, s8
	s_addc_u32 s27, s7, s9
	s_abs_i32 s3, s14
	v_cvt_f32_u32_e32 v1, s3
	s_load_dwordx2 s[30:31], s[4:5], 0x0
	s_sub_i32 s5, 0, s3
	s_lshl_b32 s2, s2, 4
	v_rcp_iflag_f32_e32 v1, v1
	v_or_b32_e32 v42, s2, v51
	s_waitcnt lgkmcnt(0)
	s_sub_i32 s48, s31, s30
	s_ashr_i32 s4, s48, 31
	v_mul_f32_e32 v1, 0x4f7ffffe, v1
	v_cvt_u32_f32_e32 v1, v1
	s_lshr_b32 s4, s4, 26
	s_add_i32 s4, s48, s4
	s_ashr_i32 s46, s4, 6
	v_readfirstlane_b32 s6, v1
	s_mul_i32 s5, s5, s6
	s_mul_hi_u32 s5, s6, s5
	s_add_i32 s6, s6, s5
	s_mul_hi_u32 s5, s10, s6
	s_mul_i32 s6, s5, s3
	s_ashr_i32 s4, s14, 31
	s_sub_i32 s6, s10, s6
	s_xor_b32 s4, s11, s4
	s_add_i32 s7, s5, 1
	s_sub_i32 s8, s6, s3
	s_cmp_ge_u32 s6, s3
	s_cselect_b32 s5, s7, s5
	s_cselect_b32 s6, s8, s6
	s_add_i32 s7, s5, 1
	s_cmp_ge_u32 s6, s3
	s_cselect_b32 s3, s7, s5
	s_xor_b32 s3, s3, s4
	s_sub_i32 s3, s3, s4
	s_abs_i32 s4, s3
	v_cvt_f32_u32_e32 v1, s4
	s_sub_i32 s6, 0, s4
	s_abs_i32 s5, s45
	s_xor_b32 s3, s45, s3
	v_rcp_iflag_f32_e32 v1, v1
	s_ashr_i32 s3, s3, 31
	v_lshlrev_b32_e32 v2, 7, v42
	v_ashrrev_i32_e32 v3, 31, v2
	v_mul_f32_e32 v1, 0x4f7ffffe, v1
	v_cvt_u32_f32_e32 v1, v1
	s_mul_hi_i32 s51, s45, s12
	s_mul_i32 s52, s45, s12
	v_lshlrev_b32_e32 v52, 3, v0
	v_readfirstlane_b32 s7, v1
	s_mul_i32 s6, s6, s7
	s_mul_hi_u32 s6, s7, s6
	s_add_i32 s7, s7, s6
	s_mul_hi_u32 s6, s5, s7
	s_mul_i32 s7, s6, s4
	s_sub_i32 s5, s5, s7
	s_add_i32 s7, s6, 1
	s_sub_i32 s8, s5, s4
	s_cmp_ge_u32 s5, s4
	s_cselect_b32 s6, s7, s6
	s_cselect_b32 s5, s8, s5
	s_add_i32 s7, s6, 1
	s_cmp_ge_u32 s5, s4
	s_cselect_b32 s4, s7, s6
	s_xor_b32 s4, s4, s3
	s_sub_i32 s49, s4, s3
	s_ashr_i32 s47, s45, 31
	s_mul_hi_i32 s3, s24, s13
	s_add_u32 s4, s28, s45
	s_addc_u32 s5, s3, s47
	s_lshl_b64 s[4:5], s[4:5], 16
	v_lshlrev_b32_e32 v1, 4, v49
	s_add_u32 s4, s16, s4
	v_lshl_or_b32 v54, v50, 2, v1
	s_addc_u32 s5, s17, s5
	v_lshl_add_u64 v[2:3], v[2:3], 2, s[4:5]
	v_lshlrev_b32_e32 v4, 2, v54
	v_lshl_add_u64 v[10:11], v[2:3], 0, v[4:5]
	global_load_dwordx4 v[6:9], v[10:11], off
	global_load_dwordx4 v[2:5], v[10:11], off offset:256
	s_load_dwordx8 s[4:11], s[0:1], 0x0
	s_load_dwordx2 s[28:29], s[0:1], 0x80
	s_load_dword s50, s[26:27], 0x0
	v_or_b32_e32 v55, 64, v54
	s_cmp_lt_i32 s48, 64
	s_mul_i32 s33, s24, s21
	s_mul_hi_u32 s41, s24, s20
	s_mul_i32 s42, s25, s20
	s_mul_i32 s36, s24, s20
	;; [unrolled: 1-line block ×3, first 2 shown]
	s_mul_hi_u32 s43, s45, s22
	s_mul_i32 s44, s47, s22
	s_mul_i32 s34, s45, s22
	s_cbranch_scc1 .LBB692_3
; %bb.1:
	s_ashr_i32 s1, s30, 31
	s_add_u32 s0, s52, s30
	s_addc_u32 s1, s51, s1
	s_lshl_b64 s[0:1], s[0:1], 8
	v_and_b32_e32 v57, 56, v52
	s_waitcnt lgkmcnt(0)
	s_add_u32 s20, s6, s0
	v_lshl_or_b32 v56, v49, 3, v53
	v_lshlrev_b32_e32 v10, 1, v57
	s_addc_u32 s0, s7, s1
	v_lshl_or_b32 v58, v56, 8, v10
	s_and_b32 s21, s0, 0xffff
	s_mov_b32 s23, 0x20000
	s_movk_i32 s22, 0x4000
	s_movk_i32 s0, 0x80
	v_or_b32_e32 v59, 0x2000, v58
	buffer_load_dwordx4 v[12:15], v58, s[20:23], 0 offen
	buffer_load_dwordx4 v[16:19], v58, s[20:23], s0 offen
	;; [unrolled: 1-line block ×4, first 2 shown]
	v_lshlrev_b32_e32 v11, 3, v56
	v_and_or_b32 v29, v0, 7, v11
	v_and_b32_e32 v11, 0x78, v11
	v_lshlrev_b32_e32 v29, 4, v29
	v_xor_b32_e32 v60, v29, v11
	v_mul_lo_u32 v28, v56, s15
	v_or_b32_e32 v61, 0x1000, v60
	v_xor_b32_e32 v11, 8, v60
	s_cmpk_eq_i32 s15, 0x80
	s_mov_b32 s53, s30
	v_xor_b32_e32 v29, 8, v61
	s_cselect_b64 s[0:1], -1, 0
	s_cmpk_lg_i32 s15, 0x80
	s_waitcnt vmcnt(3)
	ds_write_b64 v60, v[12:13] offset:16384
	ds_write_b64 v11, v[14:15] offset:16384
	s_waitcnt vmcnt(2)
	ds_write_b64 v60, v[16:17] offset:24576
	ds_write_b64 v11, v[18:19] offset:24576
	;; [unrolled: 3-line block ×4, first 2 shown]
	v_lshl_add_u32 v11, v28, 1, v57
	s_cbranch_scc0 .LBB692_29
; %bb.2:
	v_lshlrev_b32_e32 v13, 1, v11
	v_add_lshl_u32 v12, v11, s15, 1
	s_lshl_b32 s22, s15, 7
	v_lshl_or_b32 v10, v56, 9, v10
	s_cbranch_execz .LBB692_30
	s_branch .LBB692_31
.LBB692_3:
	s_waitcnt vmcnt(0)
	v_mov_b32_e32 v10, v5
	v_mov_b32_e32 v11, v9
.LBB692_4:
	s_lshl_b32 s26, s46, 6
	s_sub_i32 s27, s48, s26
	s_cmp_gt_i32 s27, 0
	s_cbranch_scc0 .LBB692_76
; %bb.5:
	s_add_i32 s26, s26, s30
	s_ashr_i32 s3, s26, 31
	s_cmpk_lg_i32 s15, 0x80
	s_cselect_b64 s[22:23], -1, 0
	s_and_b64 vcc, exec, s[22:23]
	s_cbranch_vccz .LBB692_7
; %bb.6:
	s_mul_hi_i32 s0, s26, s14
	s_mul_i32 s1, s26, s14
	s_ashr_i32 s14, s49, 31
	s_add_u32 s24, s1, s49
	s_addc_u32 s25, s0, s14
	s_cbranch_execz .LBB692_8
	s_branch .LBB692_9
.LBB692_7:
                                        ; implicit-def: $sgpr24_sgpr25
.LBB692_8:
	s_mul_i32 s1, s49, s12
	s_mul_hi_i32 s0, s49, s12
	s_add_u32 s24, s1, s26
	s_addc_u32 s25, s0, s3
.LBB692_9:
	s_waitcnt lgkmcnt(0)
	s_add_i32 s12, s46, s50
	s_add_u32 s0, s52, s26
	s_addc_u32 s1, s51, s3
	s_mov_b32 s3, 0x7060302
	v_perm_b32 v5, v10, v4, s3
	v_perm_b32 v4, v3, v2, s3
	v_lshlrev_b32_e32 v2, 3, v51
	s_lshl_b64 s[20:21], s[0:1], 8
	v_perm_b32 v9, v11, v8, s3
	v_perm_b32 v8, v7, v6, s3
	s_waitcnt vmcnt(2)
	v_lshlrev_b32_e32 v34, 2, v51
	v_lshl_or_b32 v2, v54, 5, v2
	s_add_u32 s0, s6, s20
	ds_write2st64_b64 v2, v[8:9], v[4:5] offset0:72 offset1:76
	v_xor_b32_e32 v2, v54, v34
	v_lshlrev_b32_e32 v3, 8, v51
	s_addc_u32 s1, s7, s21
	v_lshl_or_b32 v2, v2, 1, v3
	s_mul_hi_i32 s3, s12, s13
	s_mul_i32 s12, s12, s13
	ds_write_b64 v2, v[8:9] offset:32768
	v_xor_b32_e32 v2, v55, v34
	s_add_u32 s6, s12, s45
	v_lshl_or_b32 v2, v2, 1, v3
	s_addc_u32 s7, s3, s47
	v_lshlrev_b32_e32 v3, 1, v51
	ds_write_b64 v2, v[4:5] offset:32768
	v_lshrrev_b32_e32 v2, 4, v0
	s_ashr_i32 s3, s2, 31
	s_lshl_b64 s[6:7], s[6:7], 15
	v_or_b32_e32 v4, 1, v3
	s_add_u32 s6, s18, s6
	v_xor_b32_e32 v3, v2, v3
	v_xor_b32_e32 v4, v4, v2
	v_lshlrev_b32_e32 v6, 8, v2
	s_addc_u32 s7, s19, s7
	s_lshl_b64 s[2:3], s[2:3], 8
	v_lshl_or_b32 v2, v3, 3, v6
	v_lshl_or_b32 v4, v4, 3, v6
	s_waitcnt lgkmcnt(0)
	s_barrier
	s_add_u32 s2, s6, s2
	ds_read_b64 v[2:3], v2 offset:32768
	ds_read_b64 v[4:5], v4 offset:32768
	s_addc_u32 s3, s7, s3
	v_mov_b32_e32 v7, 0
	s_cmp_lg_u32 s27, 64
	v_lshl_add_u64 v[8:9], s[2:3], 0, v[6:7]
	v_lshlrev_b32_e32 v6, 4, v51
	s_cselect_b64 s[6:7], -1, 0
	v_lshl_or_b32 v35, v49, 3, v53
	s_mov_b32 s16, 0
	v_lshl_add_u64 v[6:7], v[8:9], 0, v[6:7]
	v_or_b32_e32 v19, 32, v35
	v_and_b32_e32 v18, 56, v52
	s_and_b64 vcc, exec, s[6:7]
	s_waitcnt lgkmcnt(0)
	global_store_dwordx4 v[6:7], v[2:5], off
	s_cbranch_vccz .LBB692_15
; %bb.10:
	s_mov_b32 s17, s16
	s_mov_b32 s18, s16
	;; [unrolled: 1-line block ×3, first 2 shown]
	v_mov_b64_e32 v[6:7], s[16:17]
	v_mov_b64_e32 v[8:9], s[18:19]
	;; [unrolled: 1-line block ×3, first 2 shown]
	v_cmp_gt_i32_e32 vcc, s27, v35
	v_mov_b64_e32 v[4:5], v[8:9]
	s_and_saveexec_b64 s[2:3], vcc
	s_cbranch_execz .LBB692_12
; %bb.11:
	v_lshlrev_b32_e32 v2, 8, v35
	v_mov_b32_e32 v3, 0
	v_lshl_add_u64 v[4:5], s[0:1], 0, v[2:3]
	v_lshlrev_b32_e32 v2, 1, v18
	v_lshl_add_u64 v[10:11], v[4:5], 0, v[2:3]
	global_load_dwordx4 v[6:9], v[10:11], off
	global_load_dwordx4 v[2:5], v[10:11], off offset:128
.LBB692_12:
	s_or_b64 exec, exec, s[2:3]
	s_mov_b32 s17, s16
	s_mov_b32 s18, s16
	;; [unrolled: 1-line block ×3, first 2 shown]
	v_mov_b64_e32 v[14:15], s[16:17]
	v_mov_b64_e32 v[16:17], s[18:19]
	;; [unrolled: 1-line block ×3, first 2 shown]
	v_cmp_gt_i32_e32 vcc, s27, v19
	v_lshlrev_b32_e32 v20, 7, v19
	v_mov_b64_e32 v[12:13], v[16:17]
	s_and_saveexec_b64 s[2:3], vcc
	s_cbranch_execz .LBB692_14
; %bb.13:
	v_lshlrev_b32_e32 v10, 1, v20
	v_mov_b32_e32 v11, 0
	v_lshl_add_u64 v[12:13], s[0:1], 0, v[10:11]
	v_lshlrev_b32_e32 v10, 1, v18
	v_lshl_add_u64 v[22:23], v[12:13], 0, v[10:11]
	global_load_dwordx4 v[14:17], v[22:23], off
	global_load_dwordx4 v[10:13], v[22:23], off offset:128
.LBB692_14:
	s_or_b64 exec, exec, s[2:3]
	v_lshrrev_b32_e32 v21, 3, v18
	v_lshlrev_b32_e32 v22, 3, v35
	v_or_b32_e32 v21, v22, v21
	v_lshlrev_b32_e32 v21, 4, v21
	v_and_b32_e32 v22, 0x78, v22
	v_xor_b32_e32 v21, v21, v22
	s_branch .LBB692_17
.LBB692_15:
                                        ; implicit-def: $vgpr21
                                        ; implicit-def: $vgpr20
                                        ; implicit-def: $vgpr6_vgpr7_vgpr8_vgpr9
                                        ; implicit-def: $vgpr2_vgpr3_vgpr4_vgpr5
                                        ; implicit-def: $vgpr14_vgpr15_vgpr16_vgpr17
                                        ; implicit-def: $vgpr10_vgpr11_vgpr12_vgpr13
	s_cbranch_execz .LBB692_17
; %bb.16:
	s_waitcnt vmcnt(0)
	v_lshlrev_b32_e32 v2, 1, v18
	v_lshl_or_b32 v20, v35, 8, v2
	s_and_b32 s1, s1, 0xffff
	s_mov_b32 s3, 0x20000
	s_movk_i32 s2, 0x4000
	v_lshl_or_b32 v21, v19, 8, v2
	s_movk_i32 s12, 0x80
	buffer_load_dwordx4 v[6:9], v20, s[0:3], 0 offen
	buffer_load_dwordx4 v[2:5], v20, s[0:3], s12 offen
	;; [unrolled: 1-line block ×4, first 2 shown]
	v_lshrrev_b32_e32 v20, 3, v18
	v_lshlrev_b32_e32 v21, 3, v35
	v_or_b32_e32 v20, v21, v20
	v_lshlrev_b32_e32 v20, 4, v20
	v_and_b32_e32 v21, 0x78, v21
	v_xor_b32_e32 v21, v20, v21
	v_lshlrev_b32_e32 v20, 7, v19
.LBB692_17:
	s_lshl_b64 s[0:1], s[24:25], 8
	s_add_u32 s4, s4, s0
	s_movk_i32 s0, 0x1000
	v_and_or_b32 v19, v20, s0, v21
	s_waitcnt vmcnt(1)
	ds_write_b64 v21, v[6:7] offset:16384
	v_xor_b32_e32 v6, 8, v21
	ds_write_b64 v6, v[8:9] offset:16384
	s_waitcnt vmcnt(0)
	ds_write_b64 v21, v[2:3] offset:24576
	ds_write_b64 v6, v[4:5] offset:24576
	;; [unrolled: 1-line block ×3, first 2 shown]
	v_xor_b32_e32 v2, 8, v19
	ds_write_b64 v2, v[16:17] offset:16384
	ds_write_b64 v19, v[10:11] offset:24576
	;; [unrolled: 1-line block ×3, first 2 shown]
	v_or_b32_e32 v2, v1, v51
	v_lshlrev_b32_e32 v2, 3, v2
	v_lshrrev_b32_e32 v4, 5, v48
	s_movk_i32 s12, 0xf8
	v_and_or_b32 v4, v2, s12, v4
	v_lshlrev_b32_e32 v3, 11, v49
	v_lshlrev_b32_e32 v12, 4, v4
	v_and_b32_e32 v13, 0x78, v2
	v_and_b32_e32 v14, 0x1000, v3
	v_lshlrev_b32_e32 v3, 2, v0
	v_xor_b32_e32 v2, v12, v13
	v_lshrrev_b32_e32 v4, 1, v48
	v_and_b32_e32 v3, 60, v3
	v_or_b32_e32 v2, v2, v14
	v_and_b32_e32 v15, 8, v4
	v_xor_b32_e32 v26, v2, v15
	v_lshl_or_b32 v2, v50, 6, v3
	v_lshlrev_b32_e32 v19, 1, v2
	v_or_b32_e32 v2, 32, v12
	v_xor_b32_e32 v2, v2, v13
	s_waitcnt lgkmcnt(0)
	s_barrier
	ds_read_b64 v[10:11], v26 offset:16384
	v_or_b32_e32 v2, v2, v14
	v_xor_b32_e32 v27, v2, v15
	v_or_b32_e32 v2, 64, v12
	v_xor_b32_e32 v2, v2, v13
	v_or_b32_e32 v2, v2, v14
	v_or_b32_e32 v12, 0x60, v12
	v_xor_b32_e32 v28, v2, v15
	ds_read2st64_b64 v[2:5], v19 offset0:72 offset1:73
	ds_read2st64_b64 v[6:9], v19 offset0:74 offset1:75
	v_xor_b32_e32 v16, v12, v13
	ds_read_b64 v[12:13], v27 offset:16384
	s_addc_u32 s5, s5, s1
	s_add_i32 s1, s41, s33
	s_waitcnt lgkmcnt(2)
	v_mfma_f32_16x16x16_bf16 a[0:3], v[10:11], v[2:3], 0
	s_add_i32 s0, s31, -1
	s_add_i32 s37, s1, s42
	s_add_i32 s1, s43, s40
	;; [unrolled: 1-line block ×3, first 2 shown]
	s_ashr_i32 s1, s0, 31
	s_mul_i32 s2, s0, s29
	s_mul_hi_u32 s3, s0, s28
	s_add_i32 s2, s3, s2
	s_mul_i32 s1, s1, s28
	v_or_b32_e32 v14, v16, v14
	s_add_i32 s1, s2, s1
	s_lshl_b64 s[2:3], s[36:37], 2
	v_xor_b32_e32 v36, v14, v15
	ds_read_b64 v[14:15], v28 offset:16384
	ds_read_b64 v[16:17], v36 offset:16384
	s_waitcnt lgkmcnt(2)
	v_mfma_f32_16x16x16_bf16 a[0:3], v[12:13], v[4:5], a[0:3]
	s_add_u32 s10, s10, s2
	s_addc_u32 s11, s11, s3
	s_lshl_b64 s[2:3], s[34:35], 2
	s_mul_i32 s0, s0, s28
	s_add_u32 s10, s10, s2
	s_addc_u32 s11, s11, s3
	s_lshl_b64 s[0:1], s[0:1], 2
	s_waitcnt lgkmcnt(1)
	v_mfma_f32_16x16x16_bf16 a[0:3], v[14:15], v[6:7], a[0:3]
	s_add_u32 s0, s10, s0
	s_addc_u32 s1, s11, s1
	s_load_dword s12, s[0:1], 0x0
	s_waitcnt lgkmcnt(0)
	v_mfma_f32_16x16x16_bf16 a[0:3], v[16:17], v[8:9], a[0:3]
	s_and_b64 vcc, exec, s[22:23]
	s_cbranch_vccz .LBB692_28
; %bb.18:
	v_lshlrev_b32_e32 v20, 1, v35
	s_and_b64 vcc, exec, s[6:7]
	s_cbranch_vccz .LBB692_44
; %bb.19:
	v_cmp_gt_i32_e32 vcc, s27, v20
	v_mov_b32_e32 v6, 0
	v_mov_b32_e32 v2, 0
	;; [unrolled: 1-line block ×5, first 2 shown]
	s_and_saveexec_b64 s[0:1], vcc
	s_cbranch_execz .LBB692_21
; %bb.20:
	v_mad_i64_i32 v[2:3], s[2:3], s15, v20, 0
	v_lshl_add_u64 v[2:3], v[2:3], 1, s[4:5]
	v_lshlrev_b32_e32 v4, 1, v18
	v_mov_b32_e32 v5, 0
	v_lshl_add_u64 v[2:3], v[2:3], 0, v[4:5]
	global_load_dwordx4 v[2:5], v[2:3], off
.LBB692_21:
	s_or_b64 exec, exec, s[0:1]
	v_or_b32_e32 v21, 1, v20
	v_cmp_gt_i32_e64 s[0:1], s27, v21
	v_mov_b32_e32 v7, 0
	v_mov_b32_e32 v8, 0
	;; [unrolled: 1-line block ×3, first 2 shown]
	s_and_saveexec_b64 s[2:3], s[0:1]
	s_cbranch_execz .LBB692_23
; %bb.22:
	v_mad_i64_i32 v[6:7], s[16:17], s15, v21, 0
	v_lshl_add_u64 v[6:7], v[6:7], 1, s[4:5]
	v_lshlrev_b32_e32 v8, 1, v18
	v_mov_b32_e32 v9, 0
	v_lshl_add_u64 v[6:7], v[6:7], 0, v[8:9]
	global_load_dwordx4 v[6:9], v[6:7], off
.LBB692_23:
	s_or_b64 exec, exec, s[2:3]
	v_mov_b32_e32 v17, 0
	v_mov_b32_e32 v10, 0
	;; [unrolled: 1-line block ×5, first 2 shown]
	s_and_saveexec_b64 s[2:3], vcc
	s_cbranch_execz .LBB692_25
; %bb.24:
	v_mad_i64_i32 v[10:11], s[16:17], s15, v20, 0
	v_lshl_add_u64 v[10:11], v[10:11], 1, s[4:5]
	v_lshlrev_b32_e32 v12, 1, v18
	v_mov_b32_e32 v13, 0
	v_lshl_add_u64 v[10:11], v[10:11], 0, v[12:13]
	global_load_dwordx4 v[10:13], v[10:11], off offset:128
.LBB692_25:
	s_or_b64 exec, exec, s[2:3]
	v_mov_b32_e32 v16, 0
	v_mov_b32_e32 v15, 0
	;; [unrolled: 1-line block ×3, first 2 shown]
	s_and_saveexec_b64 s[2:3], s[0:1]
	s_cbranch_execz .LBB692_27
; %bb.26:
	v_mad_i64_i32 v[14:15], s[0:1], s15, v21, 0
	v_lshl_add_u64 v[14:15], v[14:15], 1, s[4:5]
	v_lshlrev_b32_e32 v16, 1, v18
	v_mov_b32_e32 v17, 0
	v_lshl_add_u64 v[14:15], v[14:15], 0, v[16:17]
	global_load_dwordx4 v[14:17], v[14:15], off offset:128
.LBB692_27:
	s_or_b64 exec, exec, s[2:3]
	s_branch .LBB692_46
.LBB692_28:
                                        ; implicit-def: $vgpr5
                                        ; implicit-def: $vgpr9
                                        ; implicit-def: $vgpr13
                                        ; implicit-def: $vgpr17
	v_lshrrev_b32_e32 v37, 2, v48
	s_branch .LBB692_47
.LBB692_29:
                                        ; implicit-def: $vgpr12
                                        ; implicit-def: $vgpr13
                                        ; implicit-def: $sgpr22
	v_lshl_or_b32 v10, v56, 9, v10
.LBB692_30:
	v_or_b32_e32 v12, 0x100, v10
	s_movk_i32 s22, 0x4000
	v_mov_b32_e32 v13, v10
.LBB692_31:
	s_mul_i32 s16, s30, s14
	s_ashr_i32 s54, s49, 31
	s_mul_hi_i32 s3, s30, s14
	s_add_u32 s16, s16, s49
	s_addc_u32 s17, s3, s54
	s_lshl_b64 s[16:17], s[16:17], 8
	s_add_u32 s20, s4, s16
	s_addc_u32 s3, s5, s17
	s_and_b32 s21, s3, 0xffff
	s_movk_i32 s55, 0x80
	buffer_load_dwordx4 v[14:17], v13, s[20:23], 0 offen
	buffer_load_dwordx4 v[18:21], v13, s[20:23], s55 offen
	buffer_load_dwordx4 v[22:25], v12, s[20:23], 0 offen
	buffer_load_dwordx4 v[26:29], v12, s[20:23], s55 offen
	v_and_b32_e32 v12, 6, v0
	v_lshlrev_b32_e32 v30, 2, v51
	v_lshlrev_b32_e32 v31, 3, v51
	v_xor_b32_e32 v34, v56, v12
	v_and_b32_e32 v13, 1, v0
	v_lshl_or_b32 v31, v54, 5, v31
	v_xor_b32_e32 v35, v54, v30
	v_lshlrev_b32_e32 v34, 2, v34
	v_or_b32_e32 v62, 0x9000, v31
	v_or_b32_e32 v63, 0x9800, v31
	v_lshlrev_b32_e32 v31, 1, v35
	v_xor_b32_e32 v35, 0x440, v34
	v_cmp_eq_u32_e32 vcc, 0, v13
	s_add_i32 s3, s41, s33
	s_add_i32 s16, s43, s40
	v_cndmask_b32_e32 v13, v35, v34, vcc
	s_add_i32 s37, s3, s42
	v_lshl_or_b32 v12, v12, 10, v13
	s_add_i32 s35, s16, s44
	s_lshl_b64 s[16:17], s[36:37], 2
	s_mov_b32 s56, 0x1000504
	v_lshlrev_b32_e32 v32, 8, v51
	s_mov_b32 s22, 0x8000
	v_xor_b32_e32 v30, v55, v30
	v_xor_b32_e32 v13, 8, v12
	s_add_u32 s3, s10, s16
	s_mov_b32 s57, 0x3020706
	v_or_b32_e32 v33, v1, v51
	v_lshlrev_b32_e32 v30, 1, v30
	v_or3_b32 v64, v31, v32, s22
	v_xor_b32_e32 v31, 24, v12
	v_xor_b32_e32 v34, 40, v12
	;; [unrolled: 1-line block ×3, first 2 shown]
	v_add_u32_e32 v13, 0x80, v13
	s_addc_u32 s20, s11, s17
	s_lshl_b64 s[16:17], s[34:35], 2
	v_lshlrev_b32_e32 v33, 3, v33
	v_or3_b32 v65, v30, v32, s22
	v_xor_b32_e32 v30, 16, v12
	v_xor_b32_e32 v32, 32, v12
	;; [unrolled: 1-line block ×3, first 2 shown]
	v_add_u32_e32 v31, 0x80, v31
	v_add_u32_e32 v34, 0x80, v34
	;; [unrolled: 1-line block ×3, first 2 shown]
	s_add_u32 s16, s3, s16
	s_movk_i32 s3, 0xf8
	s_addc_u32 s17, s20, s17
	v_ashrrev_i32_e32 v43, 31, v42
	s_lshl_b32 s26, s15, 7
	s_mov_b32 s58, 0
	s_waitcnt vmcnt(1)
	v_perm_b32 v37, v14, v22, s56
	s_waitcnt vmcnt(0)
	v_perm_b32 v38, v18, v26, s56
	v_perm_b32 v14, v14, v22, s57
	;; [unrolled: 1-line block ×15, first 2 shown]
	ds_write2st64_b32 v12, v37, v38 offset1:32
	ds_write2st64_b32 v13, v14, v18 offset1:32
	ds_write2st64_b32 v30, v22, v26 offset0:1 offset1:33
	ds_write2st64_b32 v31, v15, v19 offset0:1 offset1:33
	;; [unrolled: 1-line block ×6, first 2 shown]
	v_lshrrev_b32_e32 v13, 5, v48
	v_and_or_b32 v13, v33, s3, v13
	v_lshlrev_b32_e32 v13, 4, v13
	v_lshlrev_b32_e32 v18, 11, v49
	v_and_b32_e32 v14, 0x78, v33
	v_or_b32_e32 v17, 32, v13
	v_and_b32_e32 v12, 0x1000, v18
	v_xor_b32_e32 v15, v13, v14
	v_lshrrev_b32_e32 v19, 1, v0
	v_xor_b32_e32 v17, v17, v14
	v_or_b32_e32 v15, v15, v12
	v_and_b32_e32 v16, 8, v19
	v_or_b32_e32 v17, v17, v12
	v_xor_b32_e32 v66, v15, v16
	v_and_b32_e32 v15, 0x78, v52
	v_xor_b32_e32 v68, v17, v16
	v_or_b32_e32 v17, 64, v13
	v_or_b32_e32 v13, 0x60, v13
	v_lshl_or_b32 v15, v50, 7, v15
	v_xor_b32_e32 v17, v17, v14
	v_xor_b32_e32 v13, v13, v14
	v_or_b32_e32 v67, 0x9000, v15
	v_or_b32_e32 v17, v17, v12
	v_or_b32_e32 v12, v13, v12
	v_or_b32_e32 v71, 0x9800, v15
	v_lshrrev_b32_e32 v14, 4, v0
	v_lshlrev_b32_e32 v15, 1, v51
	v_xor_b32_e32 v69, v17, v16
	v_xor_b32_e32 v70, v12, v16
	s_ashr_i32 s3, s2, 31
	v_or_b32_e32 v16, 1, v15
	v_xor_b32_e32 v15, v14, v15
	s_lshl_b64 s[20:21], s[2:3], 8
	v_xor_b32_e32 v16, v16, v14
	v_lshlrev_b32_e32 v15, 3, v15
	v_lshlrev_b32_e32 v14, 8, v14
	v_lshl_add_u64 v[12:13], v[42:43], 1, s[8:9]
	s_add_u32 s20, s18, s20
	v_or3_b32 v43, v15, v14, s22
	v_lshlrev_b32_e32 v15, 3, v16
	s_addc_u32 s21, s19, s21
	v_or3_b32 v72, v15, v14, s22
	v_mov_b32_e32 v15, 0
	v_lshl_add_u64 v[16:17], s[20:21], 0, v[14:15]
	v_lshlrev_b32_e32 v14, 4, v51
	s_movk_i32 s3, 0xff
	v_lshlrev_b32_e32 v23, 3, v49
	v_and_b32_e32 v19, 24, v19
	v_lshl_add_u64 v[44:45], v[16:17], 0, v[14:15]
	v_and_b32_e32 v16, 8, v0
	v_cmp_lt_u32_e32 vcc, s3, v0
	v_xor_b32_e32 v24, v23, v19
	v_or_b32_e32 v25, 0x440, v24
	v_cndmask_b32_e64 v22, 0, 1, vcc
	v_cmp_eq_u32_e32 vcc, 0, v16
	v_and_b32_e32 v14, 7, v0
	v_lshlrev_b32_e32 v17, 3, v14
	v_cndmask_b32_e32 v16, v25, v24, vcc
	v_lshlrev_b32_e32 v14, 7, v14
	v_or_b32_e32 v16, v16, v18
	v_xad_u32 v73, v16, v17, v14
	v_or_b32_e32 v16, 32, v19
	v_xor_b32_e32 v16, v23, v16
	v_or_b32_e32 v24, 0x440, v16
	v_cndmask_b32_e32 v16, v24, v16, vcc
	v_or_b32_e32 v16, v16, v18
	v_xad_u32 v74, v16, v17, v14
	v_or_b32_e32 v16, 64, v19
	v_xor_b32_e32 v16, v23, v16
	v_xor_b32_e32 v24, 0x440, v16
	v_cndmask_b32_e32 v16, v24, v16, vcc
	v_or_b32_e32 v16, v16, v18
	v_xad_u32 v75, v16, v17, v14
	v_or_b32_e32 v16, 0x60, v19
	v_xor_b32_e32 v16, v23, v16
	v_xor_b32_e32 v19, 0x440, v16
	v_cndmask_b32_e32 v16, v19, v16, vcc
	v_or_b32_e32 v16, v16, v18
	v_lshlrev_b32_e32 v20, 1, v11
	v_add_lshl_u32 v11, v11, s15, 1
	v_or_b32_e32 v21, 0x100, v10
	v_lshlrev_b32_e32 v22, 13, v22
	v_xad_u32 v76, v16, v17, v14
	v_lshlrev_b32_e32 v14, 8, v54
	v_cndmask_b32_e64 v77, v20, v10, s[0:1]
	v_cndmask_b32_e64 v78, v11, v21, s[0:1]
	v_lshl_add_u64 v[46:47], v[12:13], 0, v[14:15]
	s_mov_b32 s3, 0x7060302
	s_movk_i32 s22, 0x4000
	v_add_u32_e32 v79, v22, v73
	v_add_u32_e32 v80, v22, v74
	v_add_u32_e32 v81, v22, v75
	v_add_u32_e32 v82, v22, v76
	s_waitcnt lgkmcnt(0)
	s_barrier
.LBB692_32:                             ; =>This Inner Loop Header: Depth=1
	s_add_i32 s35, s58, 1
	s_cmp_lt_i32 s35, s46
	s_mov_b64 s[24:25], 0
	s_cselect_b64 s[38:39], -1, 0
	s_cmp_ge_i32 s35, s46
	s_mov_b64 s[20:21], 0
	s_cbranch_scc1 .LBB692_34
; %bb.33:                               ;   in Loop: Header=BB692_32 Depth=1
	s_add_i32 s0, s53, 64
	s_ashr_i32 s1, s0, 31
	s_add_u32 s0, s52, s0
	s_addc_u32 s1, s51, s1
	s_lshl_b64 s[0:1], s[0:1], 8
	s_add_u32 s20, s6, s0
	s_addc_u32 s21, s7, s1
.LBB692_34:                             ;   in Loop: Header=BB692_32 Depth=1
	v_cndmask_b32_e64 v10, 0, 1, s[38:39]
	v_cmp_ne_u32_e64 s[0:1], 1, v10
	s_andn2_b64 vcc, exec, s[38:39]
	s_cbranch_vccnz .LBB692_36
; %bb.35:                               ;   in Loop: Header=BB692_32 Depth=1
	s_add_i32 s24, s53, 64
	s_mul_hi_i32 s25, s24, s14
	s_mul_i32 s24, s24, s14
	s_add_u32 s24, s24, s49
	s_addc_u32 s25, s25, s54
	s_lshl_b64 s[24:25], s[24:25], 8
	s_add_u32 s24, s4, s24
	s_addc_u32 s25, s5, s25
.LBB692_36:                             ;   in Loop: Header=BB692_32 Depth=1
	v_perm_b32 v11, v9, v8, s3
	v_perm_b32 v10, v7, v6, s3
	v_perm_b32 v13, v5, v4, s3
	v_perm_b32 v12, v3, v2, s3
	ds_write_b64 v62, v[10:11]
	ds_write_b64 v63, v[12:13]
	;; [unrolled: 1-line block ×4, first 2 shown]
	s_waitcnt lgkmcnt(0)
	s_barrier
	ds_read_b64 v[18:19], v66 offset:16384
	ds_read_b64 v[20:21], v68 offset:16384
	ds_read2st64_b64 v[10:13], v67 offset1:1
	s_waitcnt lgkmcnt(0)
	v_mfma_f32_16x16x16_bf16 a[0:3], v[18:19], v[10:11], 0
	ds_read2st64_b64 v[14:17], v67 offset0:2 offset1:3
	ds_read_b64 v[22:23], v69 offset:16384
	ds_read_b64 v[10:11], v70 offset:16384
	s_add_i32 s27, s53, 63
	v_mfma_f32_16x16x16_bf16 a[0:3], v[20:21], v[12:13], a[0:3]
	s_ashr_i32 s37, s27, 31
	s_mul_i32 s38, s27, s29
	s_mul_hi_u32 s39, s27, s28
	s_waitcnt lgkmcnt(1)
	v_mfma_f32_16x16x16_bf16 a[0:3], v[22:23], v[14:15], a[0:3]
	s_add_i32 s38, s39, s38
	s_mul_i32 s37, s37, s28
	s_add_i32 s39, s38, s37
	s_mul_i32 s38, s27, s28
	s_waitcnt lgkmcnt(0)
	v_mfma_f32_16x16x16_bf16 a[0:3], v[10:11], v[16:17], a[0:3]
	s_lshl_b64 s[38:39], s[38:39], 2
	s_add_u32 s38, s16, s38
	s_addc_u32 s39, s17, s39
	s_and_b64 vcc, exec, s[0:1]
	v_mov_b32_e32 v85, 0
	v_mov_b32_e32 v84, 0
	;; [unrolled: 1-line block ×19, first 2 shown]
	s_cbranch_vccnz .LBB692_38
; %bb.37:                               ;   in Loop: Header=BB692_32 Depth=1
	s_and_b32 s21, s21, 0xffff
	buffer_load_dwordx4 v[22:25], v58, s[20:23], 0 offen
	buffer_load_dwordx4 v[18:21], v58, s[20:23], s55 offen
	;; [unrolled: 1-line block ×4, first 2 shown]
	v_mov_b32_e32 v84, v60
	v_mov_b32_e32 v83, v61
.LBB692_38:                             ;   in Loop: Header=BB692_32 Depth=1
	s_waitcnt vmcnt(3)
	v_add_u32_e32 v30, s53, v54
	s_waitcnt vmcnt(1)
	v_ashrrev_i32_e32 v26, 31, v30
	v_mul_lo_u32 v28, v26, s28
	v_mul_lo_u32 v29, v30, s29
	v_mad_u64_u32 v[26:27], s[20:21], v30, s28, 0
	v_add3_u32 v27, v27, v29, v28
	v_lshl_add_u64 v[26:27], v[26:27], 2, s[16:17]
	global_load_dword v87, v[26:27], off
	v_add_u32_e32 v26, 1, v30
	v_ashrrev_i32_e32 v27, 31, v26
	v_mul_lo_u32 v28, v27, s28
	v_mul_lo_u32 v29, v26, s29
	v_mad_u64_u32 v[26:27], s[20:21], v26, s28, 0
	v_add3_u32 v27, v27, v29, v28
	v_add_u32_e32 v28, 2, v30
	v_ashrrev_i32_e32 v29, 31, v28
	v_mul_lo_u32 v31, v29, s28
	v_mul_lo_u32 v32, v28, s29
	v_mad_u64_u32 v[28:29], s[20:21], v28, s28, 0
	v_add_u32_e32 v30, 3, v30
	v_add3_u32 v29, v29, v32, v31
	v_ashrrev_i32_e32 v31, 31, v30
	v_mul_lo_u32 v34, v31, s28
	v_mul_lo_u32 v35, v30, s29
	v_mad_u64_u32 v[30:31], s[20:21], v30, s28, 0
	s_ashr_i32 s21, s53, 31
	s_add_u32 s20, s52, s53
	s_addc_u32 s21, s51, s21
	s_lshl_b64 s[20:21], s[20:21], 8
	v_lshl_add_u64 v[26:27], v[26:27], 2, s[16:17]
	v_lshl_add_u64 v[32:33], v[46:47], 0, s[20:21]
	v_add3_u32 v31, v31, v35, v34
	v_lshl_add_u64 v[28:29], v[28:29], 2, s[16:17]
	global_load_ushort v94, v[32:33], off
	global_load_ushort v95, v[32:33], off offset:256
	global_load_ushort v96, v[32:33], off offset:512
	;; [unrolled: 1-line block ×3, first 2 shown]
	v_lshl_add_u64 v[30:31], v[30:31], 2, s[16:17]
	global_load_dword v98, v[26:27], off
	global_load_dword v99, v[28:29], off
	;; [unrolled: 1-line block ×3, first 2 shown]
	s_load_dword s20, s[38:39], 0x0
	ds_read2st64_b64 v[34:37], v71 offset1:1
	ds_read2st64_b64 v[38:41], v71 offset0:2 offset1:3
	ds_read_b64 v[32:33], v66 offset:24576
	ds_read_b64 v[88:89], v68 offset:24576
	;; [unrolled: 1-line block ×4, first 2 shown]
	s_waitcnt lgkmcnt(0)
	v_mfma_f32_16x16x16_bf16 a[0:3], v[32:33], v[34:35], a[0:3]
	v_mov_b32_e32 v86, 0
	v_mov_b32_e32 v26, 0
	v_mov_b32_e32 v27, 0
	v_mfma_f32_16x16x16_bf16 a[0:3], v[88:89], v[36:37], a[0:3]
	v_mov_b32_e32 v28, 0
	v_mov_b32_e32 v29, 0
	v_mov_b32_e32 v30, 0
	v_mfma_f32_16x16x16_bf16 a[0:3], v[90:91], v[38:39], a[0:3]
	v_mov_b32_e32 v31, 0
	v_mov_b32_e32 v32, 0
	v_mov_b32_e32 v33, 0
	v_mfma_f32_16x16x16_bf16 a[0:3], v[92:93], v[40:41], a[0:3]
	v_mov_b32_e32 v34, 0
	v_mov_b32_e32 v35, 0
	v_mov_b32_e32 v36, 0
	v_mov_b32_e32 v37, 0
	v_mov_b32_e32 v38, 0
	;; [unrolled: 1-line block ×3, first 2 shown]
	s_and_b64 vcc, exec, s[0:1]
	v_accvgpr_read_b32 v89, a1
	v_accvgpr_read_b32 v41, a3
	;; [unrolled: 1-line block ×4, first 2 shown]
	s_waitcnt vmcnt(7)
	v_sub_f32_e32 v87, s20, v87
	s_waitcnt vmcnt(6)
	v_lshlrev_b32_e32 v90, 16, v94
	v_exp_f32_e32 v94, v87
	s_waitcnt vmcnt(4)
	v_lshlrev_b32_e32 v92, 16, v96
	s_waitcnt vmcnt(3)
	v_lshlrev_b32_e32 v93, 16, v97
	s_waitcnt vmcnt(2)
	v_sub_f32_e32 v87, s20, v98
	s_waitcnt vmcnt(1)
	v_sub_f32_e32 v96, s20, v99
	;; [unrolled: 2-line block ×3, first 2 shown]
	v_lshlrev_b32_e32 v91, 16, v95
	v_exp_f32_e32 v95, v87
	v_exp_f32_e32 v96, v96
	;; [unrolled: 1-line block ×3, first 2 shown]
	v_pk_add_f32 v[88:89], v[90:91], v[88:89] neg_lo:[0,1] neg_hi:[0,1]
	v_pk_add_f32 v[40:41], v[92:93], v[40:41] neg_lo:[0,1] neg_hi:[0,1]
	v_pk_mul_f32 v[88:89], v[94:95], v[88:89]
	v_pk_mul_f32 v[40:41], v[96:97], v[40:41]
	s_nop 0
	v_perm_b32 v41, v41, v40, s3
	v_perm_b32 v40, v89, v88, s3
	ds_write_b64 v63, v[40:41]
	v_mov_b32_e32 v40, 0
	v_mov_b32_e32 v41, 0
	s_cbranch_vccnz .LBB692_40
; %bb.39:                               ;   in Loop: Header=BB692_32 Depth=1
	s_and_b32 s25, s25, 0xffff
	s_mov_b32 s27, s23
	buffer_load_dwordx4 v[38:41], v77, s[24:27], 0 offen
	buffer_load_dwordx4 v[30:33], v77, s[24:27], s55 offen
	;; [unrolled: 1-line block ×4, first 2 shown]
	v_mov_b32_e32 v85, v57
	v_mov_b32_e32 v86, v56
.LBB692_40:                             ;   in Loop: Header=BB692_32 Depth=1
	s_waitcnt lgkmcnt(0)
	s_barrier
	ds_read_b64 v[96:97], v79
	ds_read2st64_b64 v[88:91], v71 offset1:1
	ds_read2st64_b64 v[92:95], v71 offset0:2 offset1:3
	ds_read_b64 v[98:99], v80
	ds_read_b64 v[100:101], v81
	;; [unrolled: 1-line block ×3, first 2 shown]
	s_waitcnt lgkmcnt(4)
	v_mfma_f32_16x16x16_bf16 a[0:3], v[96:97], v[88:89], 0
	ds_read_b64 v[96:97], v73 offset:8192
	ds_read_b64 v[104:105], v74 offset:8192
	s_add_i32 s21, s50, s58
	s_mul_hi_i32 s25, s21, s13
	s_waitcnt lgkmcnt(1)
	v_mfma_f32_16x16x16_bf16 a[4:7], v[96:97], v[88:89], 0
	s_mul_i32 s21, s21, s13
	s_add_u32 s24, s21, s45
	s_addc_u32 s25, s25, s47
	v_mfma_f32_16x16x16_bf16 a[0:3], v[98:99], v[90:91], a[0:3]
	ds_read_b64 v[96:97], v43
	ds_read_b64 v[98:99], v72
	ds_read_b64 v[88:89], v75 offset:8192
	s_lshl_b64 s[24:25], s[24:25], 15
	v_mfma_f32_16x16x16_bf16 a[0:3], v[100:101], v[92:93], a[0:3]
	ds_read_b64 v[100:101], v76 offset:8192
	s_and_b64 vcc, exec, s[0:1]
	s_waitcnt lgkmcnt(4)
	v_mfma_f32_16x16x16_bf16 a[4:7], v[104:105], v[90:91], a[4:7]
	s_waitcnt lgkmcnt(1)
	v_mfma_f32_16x16x16_bf16 a[4:7], v[88:89], v[92:93], a[4:7]
	v_lshl_add_u64 v[88:89], v[44:45], 0, s[24:25]
	global_store_dwordx4 v[88:89], v[96:99], off
	v_mfma_f32_16x16x16_bf16 a[0:3], v[102:103], v[94:95], a[0:3]
	s_waitcnt lgkmcnt(0)
	v_mfma_f32_16x16x16_bf16 a[4:7], v[100:101], v[94:95], a[4:7]
	s_cbranch_vccnz .LBB692_42
; %bb.41:                               ;   in Loop: Header=BB692_32 Depth=1
	v_lshrrev_b32_e32 v87, 3, v85
	v_and_b32_e32 v87, 6, v87
	v_xor_b32_e32 v86, v87, v86
	v_lshlrev_b32_e32 v86, 2, v86
	v_and_b32_e32 v85, 8, v85
	v_xor_b32_e32 v88, 0x440, v86
	v_cmp_eq_u32_e32 vcc, 0, v85
	s_barrier
	s_nop 0
	v_cndmask_b32_e32 v85, v88, v86, vcc
	v_lshl_or_b32 v85, v87, 10, v85
	s_waitcnt vmcnt(2)
	v_perm_b32 v86, v38, v34, s56
	s_waitcnt vmcnt(1)
	v_perm_b32 v87, v30, v26, s56
	ds_write2st64_b32 v85, v86, v87 offset1:32
	v_xor_b32_e32 v86, 8, v85
	v_perm_b32 v34, v38, v34, s57
	v_perm_b32 v26, v30, v26, s57
	v_add_u32_e32 v30, 0x80, v86
	ds_write2st64_b32 v30, v34, v26 offset1:32
	v_xor_b32_e32 v26, 16, v85
	v_perm_b32 v30, v39, v35, s56
	v_perm_b32 v34, v31, v27, s56
	ds_write2st64_b32 v26, v30, v34 offset0:1 offset1:33
	v_xor_b32_e32 v26, 24, v85
	v_perm_b32 v30, v39, v35, s57
	v_perm_b32 v27, v31, v27, s57
	v_add_u32_e32 v26, 0x80, v26
	ds_write2st64_b32 v26, v30, v27 offset0:1 offset1:33
	v_xor_b32_e32 v26, 32, v85
	v_perm_b32 v27, v40, v36, s56
	v_perm_b32 v30, v32, v28, s56
	ds_write2st64_b32 v26, v27, v30 offset0:2 offset1:34
	v_xor_b32_e32 v26, 40, v85
	v_perm_b32 v27, v40, v36, s57
	v_perm_b32 v28, v32, v28, s57
	v_add_u32_e32 v26, 0x80, v26
	ds_write2st64_b32 v26, v27, v28 offset0:2 offset1:34
	;; [unrolled: 9-line block ×3, first 2 shown]
	ds_write_b64 v84, v[22:23] offset:16384
	v_xor_b32_e32 v22, 8, v84
	ds_write_b64 v22, v[24:25] offset:16384
	ds_write_b64 v84, v[18:19] offset:24576
	;; [unrolled: 1-line block ×4, first 2 shown]
	v_xor_b32_e32 v14, 8, v83
	ds_write_b64 v14, v[16:17] offset:16384
	ds_write_b64 v83, v[10:11] offset:24576
	;; [unrolled: 1-line block ×3, first 2 shown]
.LBB692_42:                             ;   in Loop: Header=BB692_32 Depth=1
	v_exp_f32_e32 v12, s20
	s_nop 2
	v_accvgpr_read_b32 v11, a1
	v_accvgpr_read_b32 v10, a0
	s_add_i32 s53, s53, 64
	v_fma_f32 v7, v7, v12, v11
	v_accvgpr_read_b32 v11, a3
	v_fmac_f32_e32 v11, v9, v12
	v_accvgpr_read_b32 v9, a4
	v_fma_f32 v6, v6, v12, v10
	v_accvgpr_read_b32 v10, a2
	v_fma_f32 v2, v2, v12, v9
	;; [unrolled: 2-line block ×3, first 2 shown]
	v_fma_f32 v3, v3, v12, v9
	v_accvgpr_read_b32 v9, a6
	v_accvgpr_read_b32 v10, a7
	v_fma_f32 v4, v4, v12, v9
	s_cmp_eq_u32 s46, s35
	v_fmac_f32_e32 v10, v5, v12
	s_cbranch_scc1 .LBB692_4
; %bb.43:                               ;   in Loop: Header=BB692_32 Depth=1
	s_mov_b32 s58, s35
	v_mov_b32_e32 v9, v11
	v_mov_b32_e32 v5, v10
	s_branch .LBB692_32
.LBB692_44:
                                        ; implicit-def: $vgpr5
                                        ; implicit-def: $vgpr9
                                        ; implicit-def: $vgpr13
                                        ; implicit-def: $vgpr17
	s_cbranch_execz .LBB692_46
; %bb.45:
	s_waitcnt vmcnt(0)
	v_mad_u64_u32 v[2:3], s[0:1], v20, s15, v[18:19]
	v_lshlrev_b32_e32 v20, 1, v2
	s_lshl_b32 s2, s15, 7
	s_and_b32 s1, s5, 0xffff
	s_mov_b32 s3, 0x20000
	s_mov_b32 s0, s4
	v_add_lshl_u32 v21, v2, s15, 1
	s_movk_i32 s13, 0x80
	buffer_load_dwordx4 v[2:5], v20, s[0:3], 0 offen
	buffer_load_dwordx4 v[10:13], v20, s[0:3], s13 offen
	buffer_load_dwordx4 v[6:9], v21, s[0:3], 0 offen
	buffer_load_dwordx4 v[14:17], v21, s[0:3], s13 offen
.LBB692_46:
	v_lshrrev_b32_e32 v37, 2, v48
	s_cbranch_execnz .LBB692_59
.LBB692_47:
	s_and_b64 vcc, exec, s[6:7]
	s_cbranch_vccz .LBB692_57
; %bb.48:
	s_waitcnt vmcnt(0)
	v_lshlrev_b32_e32 v7, 1, v35
	v_cmp_gt_i32_e32 vcc, s27, v7
	v_mov_b32_e32 v6, 0
	v_lshlrev_b32_e32 v14, 9, v35
	v_mov_b32_e32 v2, 0
	v_mov_b32_e32 v3, 0
	;; [unrolled: 1-line block ×4, first 2 shown]
	s_and_saveexec_b64 s[0:1], vcc
	s_cbranch_execz .LBB692_50
; %bb.49:
	v_mov_b32_e32 v15, 0
	v_lshl_add_u64 v[2:3], s[4:5], 0, v[14:15]
	v_lshlrev_b32_e32 v4, 1, v18
	v_mov_b32_e32 v5, v15
	v_lshl_add_u64 v[2:3], v[2:3], 0, v[4:5]
	global_load_dwordx4 v[2:5], v[2:3], off
.LBB692_50:
	s_or_b64 exec, exec, s[0:1]
	v_or_b32_e32 v7, 1, v7
	v_cmp_gt_i32_e64 s[0:1], s27, v7
	v_lshlrev_b32_e32 v20, 8, v7
	v_mov_b32_e32 v7, 0
	v_mov_b32_e32 v8, 0
	;; [unrolled: 1-line block ×3, first 2 shown]
	s_and_saveexec_b64 s[2:3], s[0:1]
	s_cbranch_execz .LBB692_52
; %bb.51:
	v_mov_b32_e32 v21, 0
	v_lshl_add_u64 v[6:7], s[4:5], 0, v[20:21]
	v_lshlrev_b32_e32 v8, 1, v18
	v_mov_b32_e32 v9, v21
	v_lshl_add_u64 v[6:7], v[6:7], 0, v[8:9]
	global_load_dwordx4 v[6:9], v[6:7], off
.LBB692_52:
	s_or_b64 exec, exec, s[2:3]
	v_mov_b32_e32 v17, 0
	v_mov_b32_e32 v10, 0
	;; [unrolled: 1-line block ×5, first 2 shown]
	s_and_saveexec_b64 s[2:3], vcc
	s_cbranch_execz .LBB692_54
; %bb.53:
	v_mov_b32_e32 v15, 0
	v_lshl_add_u64 v[10:11], s[4:5], 0, v[14:15]
	v_lshlrev_b32_e32 v14, 1, v18
	v_lshl_add_u64 v[10:11], v[10:11], 0, v[14:15]
	global_load_dwordx4 v[10:13], v[10:11], off offset:128
.LBB692_54:
	s_or_b64 exec, exec, s[2:3]
	v_mov_b32_e32 v16, 0
	v_mov_b32_e32 v15, 0
	;; [unrolled: 1-line block ×3, first 2 shown]
	s_and_saveexec_b64 s[2:3], s[0:1]
	s_cbranch_execz .LBB692_56
; %bb.55:
	v_mov_b32_e32 v21, 0
	v_lshl_add_u64 v[14:15], s[4:5], 0, v[20:21]
	v_lshlrev_b32_e32 v20, 1, v18
	v_lshl_add_u64 v[14:15], v[14:15], 0, v[20:21]
	global_load_dwordx4 v[14:17], v[14:15], off offset:128
.LBB692_56:
	s_or_b64 exec, exec, s[2:3]
	s_branch .LBB692_59
.LBB692_57:
                                        ; implicit-def: $vgpr5
                                        ; implicit-def: $vgpr9
                                        ; implicit-def: $vgpr13
                                        ; implicit-def: $vgpr17
	s_cbranch_execz .LBB692_59
; %bb.58:
	s_waitcnt vmcnt(0)
	v_lshlrev_b32_e32 v2, 1, v18
	v_lshl_or_b32 v18, v35, 9, v2
	s_and_b32 s5, s5, 0xffff
	s_mov_b32 s7, 0x20000
	s_movk_i32 s6, 0x4000
	s_movk_i32 s0, 0x80
	buffer_load_dwordx4 v[2:5], v18, s[4:7], 0 offen
	buffer_load_dwordx4 v[6:9], v18, s[4:7], 0 offen offset:256
	buffer_load_dwordx4 v[10:13], v18, s[4:7], s0 offen
	buffer_load_dwordx4 v[14:17], v18, s[4:7], s0 offen offset:256
.LBB692_59:
	ds_read2st64_b64 v[22:25], v19 offset0:76 offset1:77
	ds_read2st64_b64 v[18:21], v19 offset0:78 offset1:79
	ds_read_b64 v[30:31], v26 offset:24576
	ds_read_b64 v[32:33], v27 offset:24576
	ds_read_b64 v[28:29], v28 offset:24576
	ds_read_b64 v[26:27], v36 offset:24576
	v_and_b32_e32 v36, 6, v0
	v_xor_b32_e32 v35, v35, v36
	v_lshlrev_b32_e32 v35, 2, v35
	v_and_b32_e32 v0, 1, v0
	v_xor_b32_e32 v38, 0x440, v35
	v_cmp_eq_u32_e32 vcc, 0, v0
	s_mov_b32 s0, 0x1000504
	s_mov_b32 s1, 0x3020706
	v_cndmask_b32_e32 v0, v38, v35, vcc
	v_lshl_or_b32 v0, v36, 10, v0
	s_waitcnt vmcnt(0)
	v_perm_b32 v35, v2, v6, s0
	v_perm_b32 v36, v10, v14, s0
	ds_write2st64_b32 v0, v35, v36 offset1:32
	v_xor_b32_e32 v35, 8, v0
	v_perm_b32 v2, v2, v6, s1
	v_perm_b32 v6, v10, v14, s1
	v_add_u32_e32 v10, 0x80, v35
	ds_write2st64_b32 v10, v2, v6 offset1:32
	v_xor_b32_e32 v2, 16, v0
	v_perm_b32 v6, v3, v7, s0
	v_perm_b32 v10, v11, v15, s0
	ds_write2st64_b32 v2, v6, v10 offset0:1 offset1:33
	v_xor_b32_e32 v2, 24, v0
	v_perm_b32 v3, v3, v7, s1
	v_perm_b32 v6, v11, v15, s1
	v_add_u32_e32 v2, 0x80, v2
	ds_write2st64_b32 v2, v3, v6 offset0:1 offset1:33
	v_xor_b32_e32 v2, 32, v0
	v_perm_b32 v3, v4, v8, s0
	v_perm_b32 v6, v12, v16, s0
	ds_write2st64_b32 v2, v3, v6 offset0:2 offset1:34
	v_xor_b32_e32 v2, 40, v0
	v_perm_b32 v3, v4, v8, s1
	v_perm_b32 v4, v12, v16, s1
	v_add_u32_e32 v2, 0x80, v2
	ds_write2st64_b32 v2, v3, v4 offset0:2 offset1:34
	v_xor_b32_e32 v2, 48, v0
	v_perm_b32 v3, v5, v9, s0
	v_perm_b32 v4, v13, v17, s0
	v_xor_b32_e32 v0, 56, v0
	v_and_or_b32 v6, v37, 12, v1
	ds_write2st64_b32 v2, v3, v4 offset0:3 offset1:35
	v_perm_b32 v2, v5, v9, s1
	v_perm_b32 v3, v13, v17, s1
	v_add_u32_e32 v0, 0x80, v0
	v_cmp_gt_i32_e32 vcc, s27, v6
	v_mov_b32_e32 v7, 0
	v_mov_b32_e32 v11, 0
	ds_write2st64_b32 v0, v2, v3 offset0:3 offset1:35
	s_and_saveexec_b64 s[0:1], vcc
	s_cbranch_execz .LBB692_61
; %bb.60:
	v_add_u32_e32 v0, s26, v6
	v_ashrrev_i32_e32 v1, 31, v0
	v_mul_lo_u32 v2, v1, s28
	v_mul_lo_u32 v3, v0, s29
	v_mad_u64_u32 v[0:1], s[2:3], v0, s28, 0
	v_add3_u32 v1, v1, v3, v2
	v_lshl_add_u64 v[0:1], v[0:1], 2, s[10:11]
	global_load_dword v0, v[0:1], off
	s_waitcnt vmcnt(0)
	v_sub_f32_e32 v0, s12, v0
	v_exp_f32_e32 v11, v0
.LBB692_61:
	s_or_b64 exec, exec, s[0:1]
	v_or_b32_e32 v9, 1, v6
	v_cmp_gt_i32_e64 s[0:1], s27, v9
	s_and_saveexec_b64 s[2:3], s[0:1]
	s_cbranch_execz .LBB692_63
; %bb.62:
	v_add_u32_e32 v0, s26, v9
	v_ashrrev_i32_e32 v1, 31, v0
	v_mul_lo_u32 v2, v1, s28
	v_mul_lo_u32 v3, v0, s29
	v_mad_u64_u32 v[0:1], s[4:5], v0, s28, 0
	v_add3_u32 v1, v1, v3, v2
	v_lshl_add_u64 v[0:1], v[0:1], 2, s[10:11]
	global_load_dword v0, v[0:1], off
	s_waitcnt vmcnt(0)
	v_sub_f32_e32 v0, s12, v0
	v_exp_f32_e32 v7, v0
.LBB692_63:
	s_or_b64 exec, exec, s[2:3]
	v_or_b32_e32 v10, 2, v6
	v_cmp_gt_i32_e64 s[2:3], s27, v10
	v_mov_b32_e32 v8, 0
	v_mov_b32_e32 v13, 0
	s_and_saveexec_b64 s[4:5], s[2:3]
	s_cbranch_execz .LBB692_65
; %bb.64:
	v_add_u32_e32 v0, s26, v10
	v_ashrrev_i32_e32 v1, 31, v0
	v_mul_lo_u32 v2, v1, s28
	v_mul_lo_u32 v3, v0, s29
	v_mad_u64_u32 v[0:1], s[6:7], v0, s28, 0
	v_add3_u32 v1, v1, v3, v2
	v_lshl_add_u64 v[0:1], v[0:1], 2, s[10:11]
	global_load_dword v0, v[0:1], off
	s_waitcnt vmcnt(0)
	v_sub_f32_e32 v0, s12, v0
	v_exp_f32_e32 v13, v0
.LBB692_65:
	s_or_b64 exec, exec, s[4:5]
	v_or_b32_e32 v12, 3, v6
	v_cmp_gt_i32_e64 s[4:5], s27, v12
	s_and_saveexec_b64 s[6:7], s[4:5]
	s_cbranch_execz .LBB692_67
; %bb.66:
	v_add_u32_e32 v0, s26, v12
	v_ashrrev_i32_e32 v1, 31, v0
	v_mul_lo_u32 v2, v1, s28
	v_mul_lo_u32 v3, v0, s29
	v_mad_u64_u32 v[0:1], s[14:15], v0, s28, 0
	v_add3_u32 v1, v1, v3, v2
	v_lshl_add_u64 v[0:1], v[0:1], 2, s[10:11]
	global_load_dword v0, v[0:1], off
	s_waitcnt vmcnt(0)
	v_sub_f32_e32 v0, s12, v0
	v_exp_f32_e32 v8, v0
.LBB692_67:
	s_or_b64 exec, exec, s[6:7]
	s_waitcnt lgkmcnt(11)
	v_mfma_f32_16x16x16_bf16 a[0:3], v[30:31], v[22:23], a[0:3]
	s_add_u32 s6, s8, s20
	v_ashrrev_i32_e32 v43, 31, v42
	s_addc_u32 s7, s9, s21
	s_waitcnt lgkmcnt(10)
	v_mfma_f32_16x16x16_bf16 a[0:3], v[32:33], v[24:25], a[0:3]
	v_mov_b32_e32 v14, 0
	v_lshl_add_u64 v[4:5], v[42:43], 1, s[6:7]
	v_mov_b32_e32 v15, 0
	s_waitcnt lgkmcnt(9)
	v_mfma_f32_16x16x16_bf16 a[0:3], v[28:29], v[18:19], a[0:3]
	s_waitcnt lgkmcnt(8)
	v_mfma_f32_16x16x16_bf16 a[0:3], v[26:27], v[20:21], a[0:3]
	s_nop 6
	v_accvgpr_read_b32 v0, a0
	v_accvgpr_read_b32 v1, a1
	;; [unrolled: 1-line block ×4, first 2 shown]
	s_and_saveexec_b64 s[6:7], vcc
	s_cbranch_execz .LBB692_69
; %bb.68:
	v_lshlrev_b32_e32 v16, 8, v6
	v_mov_b32_e32 v17, 0
	v_lshl_add_u64 v[16:17], v[4:5], 0, v[16:17]
	global_load_ushort v15, v[16:17], off
	s_waitcnt vmcnt(0)
	v_lshlrev_b32_e32 v15, 16, v15
	v_sub_f32_e32 v0, v15, v0
	v_mul_f32_e32 v0, v11, v0
	v_lshrrev_b32_e32 v15, 16, v0
.LBB692_69:
	s_or_b64 exec, exec, s[6:7]
	s_and_saveexec_b64 s[6:7], s[0:1]
	s_cbranch_execz .LBB692_71
; %bb.70:
	v_lshlrev_b32_e32 v16, 8, v9
	v_mov_b32_e32 v17, 0
	v_lshl_add_u64 v[16:17], v[4:5], 0, v[16:17]
	global_load_ushort v0, v[16:17], off
	s_waitcnt vmcnt(0)
	v_lshlrev_b32_e32 v0, 16, v0
	v_sub_f32_e32 v0, v0, v1
	v_mul_f32_e32 v0, v7, v0
	v_lshrrev_b32_e32 v14, 16, v0
.LBB692_71:
	s_or_b64 exec, exec, s[6:7]
	v_mov_b32_e32 v0, 0
	v_mov_b32_e32 v1, 0
	s_and_saveexec_b64 s[0:1], s[2:3]
	s_cbranch_execz .LBB692_73
; %bb.72:
	v_lshlrev_b32_e32 v10, 8, v10
	v_mov_b32_e32 v11, 0
	v_lshl_add_u64 v[10:11], v[4:5], 0, v[10:11]
	global_load_ushort v1, v[10:11], off
	s_waitcnt vmcnt(0)
	v_lshlrev_b32_e32 v1, 16, v1
	v_sub_f32_e32 v1, v1, v2
	v_mul_f32_e32 v1, v13, v1
	v_lshrrev_b32_e32 v1, 16, v1
.LBB692_73:
	s_or_b64 exec, exec, s[0:1]
	s_and_saveexec_b64 s[0:1], s[4:5]
	s_cbranch_execz .LBB692_75
; %bb.74:
	v_lshlrev_b32_e32 v10, 8, v12
	v_mov_b32_e32 v11, 0
	v_lshl_add_u64 v[4:5], v[4:5], 0, v[10:11]
	global_load_ushort v0, v[4:5], off
	s_waitcnt vmcnt(0)
	v_lshlrev_b32_e32 v0, 16, v0
	v_sub_f32_e32 v0, v0, v3
	v_mul_f32_e32 v0, v8, v0
	v_lshrrev_b32_e32 v0, 16, v0
.LBB692_75:
	s_or_b64 exec, exec, s[0:1]
	s_mov_b32 s0, 0x5040100
	v_lshlrev_b32_e32 v2, 1, v34
	v_perm_b32 v1, v0, v1, s0
	v_perm_b32 v0, v14, v15, s0
	v_lshl_or_b32 v2, v6, 5, v2
	ds_write_b64 v2, v[0:1] offset:38912
	s_waitcnt lgkmcnt(0)
	s_barrier
.LBB692_76:
	s_endpgm
	.section	.rodata,"a",@progbits
	.p2align	6, 0x0
	.amdhsa_kernel _ZN12_GLOBAL__N_139chunk_gated_delta_rule_fwd_h_hip_kernelILi16ELb1ELb0ELb0ELb1ELb1ELb0ELb0ELb0EEEvPK12hip_bfloat16S3_S3_PKfS5_PKvPS1_S8_PvPKiSB_iiiiilll
		.amdhsa_group_segment_fixed_size 40960
		.amdhsa_private_segment_fixed_size 0
		.amdhsa_kernarg_size 136
		.amdhsa_user_sgpr_count 2
		.amdhsa_user_sgpr_dispatch_ptr 0
		.amdhsa_user_sgpr_queue_ptr 0
		.amdhsa_user_sgpr_kernarg_segment_ptr 1
		.amdhsa_user_sgpr_dispatch_id 0
		.amdhsa_user_sgpr_kernarg_preload_length 0
		.amdhsa_user_sgpr_kernarg_preload_offset 0
		.amdhsa_user_sgpr_private_segment_size 0
		.amdhsa_uses_dynamic_stack 0
		.amdhsa_enable_private_segment 0
		.amdhsa_system_sgpr_workgroup_id_x 1
		.amdhsa_system_sgpr_workgroup_id_y 1
		.amdhsa_system_sgpr_workgroup_id_z 0
		.amdhsa_system_sgpr_workgroup_info 0
		.amdhsa_system_vgpr_workitem_id 0
		.amdhsa_next_free_vgpr 116
		.amdhsa_next_free_sgpr 59
		.amdhsa_accum_offset 108
		.amdhsa_reserve_vcc 1
		.amdhsa_float_round_mode_32 0
		.amdhsa_float_round_mode_16_64 0
		.amdhsa_float_denorm_mode_32 3
		.amdhsa_float_denorm_mode_16_64 3
		.amdhsa_dx10_clamp 1
		.amdhsa_ieee_mode 1
		.amdhsa_fp16_overflow 0
		.amdhsa_tg_split 0
		.amdhsa_exception_fp_ieee_invalid_op 0
		.amdhsa_exception_fp_denorm_src 0
		.amdhsa_exception_fp_ieee_div_zero 0
		.amdhsa_exception_fp_ieee_overflow 0
		.amdhsa_exception_fp_ieee_underflow 0
		.amdhsa_exception_fp_ieee_inexact 0
		.amdhsa_exception_int_div_zero 0
	.end_amdhsa_kernel
	.section	.text._ZN12_GLOBAL__N_139chunk_gated_delta_rule_fwd_h_hip_kernelILi16ELb1ELb0ELb0ELb1ELb1ELb0ELb0ELb0EEEvPK12hip_bfloat16S3_S3_PKfS5_PKvPS1_S8_PvPKiSB_iiiiilll,"axG",@progbits,_ZN12_GLOBAL__N_139chunk_gated_delta_rule_fwd_h_hip_kernelILi16ELb1ELb0ELb0ELb1ELb1ELb0ELb0ELb0EEEvPK12hip_bfloat16S3_S3_PKfS5_PKvPS1_S8_PvPKiSB_iiiiilll,comdat
.Lfunc_end692:
	.size	_ZN12_GLOBAL__N_139chunk_gated_delta_rule_fwd_h_hip_kernelILi16ELb1ELb0ELb0ELb1ELb1ELb0ELb0ELb0EEEvPK12hip_bfloat16S3_S3_PKfS5_PKvPS1_S8_PvPKiSB_iiiiilll, .Lfunc_end692-_ZN12_GLOBAL__N_139chunk_gated_delta_rule_fwd_h_hip_kernelILi16ELb1ELb0ELb0ELb1ELb1ELb0ELb0ELb0EEEvPK12hip_bfloat16S3_S3_PKfS5_PKvPS1_S8_PvPKiSB_iiiiilll
                                        ; -- End function
	.section	.AMDGPU.csdata,"",@progbits
; Kernel info:
; codeLenInByte = 7000
; NumSgprs: 65
; NumVgprs: 106
; NumAgprs: 8
; TotalNumVgprs: 116
; ScratchSize: 0
; MemoryBound: 0
; FloatMode: 240
; IeeeMode: 1
; LDSByteSize: 40960 bytes/workgroup (compile time only)
; SGPRBlocks: 8
; VGPRBlocks: 14
; NumSGPRsForWavesPerEU: 65
; NumVGPRsForWavesPerEU: 116
; AccumOffset: 108
; Occupancy: 1
; WaveLimiterHint : 1
; COMPUTE_PGM_RSRC2:SCRATCH_EN: 0
; COMPUTE_PGM_RSRC2:USER_SGPR: 2
; COMPUTE_PGM_RSRC2:TRAP_HANDLER: 0
; COMPUTE_PGM_RSRC2:TGID_X_EN: 1
; COMPUTE_PGM_RSRC2:TGID_Y_EN: 1
; COMPUTE_PGM_RSRC2:TGID_Z_EN: 0
; COMPUTE_PGM_RSRC2:TIDIG_COMP_CNT: 0
; COMPUTE_PGM_RSRC3_GFX90A:ACCUM_OFFSET: 26
; COMPUTE_PGM_RSRC3_GFX90A:TG_SPLIT: 0
	.section	.text._ZN12_GLOBAL__N_139chunk_gated_delta_rule_fwd_h_hip_kernelILi16ELb0ELb1ELb1ELb1ELb1ELb0ELb0ELb0EEEvPK12hip_bfloat16S3_S3_PKfS5_PKvPS1_S8_PvPKiSB_iiiiilll,"axG",@progbits,_ZN12_GLOBAL__N_139chunk_gated_delta_rule_fwd_h_hip_kernelILi16ELb0ELb1ELb1ELb1ELb1ELb0ELb0ELb0EEEvPK12hip_bfloat16S3_S3_PKfS5_PKvPS1_S8_PvPKiSB_iiiiilll,comdat
	.globl	_ZN12_GLOBAL__N_139chunk_gated_delta_rule_fwd_h_hip_kernelILi16ELb0ELb1ELb1ELb1ELb1ELb0ELb0ELb0EEEvPK12hip_bfloat16S3_S3_PKfS5_PKvPS1_S8_PvPKiSB_iiiiilll ; -- Begin function _ZN12_GLOBAL__N_139chunk_gated_delta_rule_fwd_h_hip_kernelILi16ELb0ELb1ELb1ELb1ELb1ELb0ELb0ELb0EEEvPK12hip_bfloat16S3_S3_PKfS5_PKvPS1_S8_PvPKiSB_iiiiilll
	.p2align	8
	.type	_ZN12_GLOBAL__N_139chunk_gated_delta_rule_fwd_h_hip_kernelILi16ELb0ELb1ELb1ELb1ELb1ELb0ELb0ELb0EEEvPK12hip_bfloat16S3_S3_PKfS5_PKvPS1_S8_PvPKiSB_iiiiilll,@function
_ZN12_GLOBAL__N_139chunk_gated_delta_rule_fwd_h_hip_kernelILi16ELb0ELb1ELb1ELb1ELb1ELb0ELb0ELb0EEEvPK12hip_bfloat16S3_S3_PKfS5_PKvPS1_S8_PvPKiSB_iiiiilll: ; @_ZN12_GLOBAL__N_139chunk_gated_delta_rule_fwd_h_hip_kernelILi16ELb0ELb1ELb1ELb1ELb1ELb0ELb0ELb0EEEvPK12hip_bfloat16S3_S3_PKfS5_PKvPS1_S8_PvPKiSB_iiiiilll
; %bb.0:
	s_load_dwordx4 s[20:23], s[0:1], 0x5c
	s_abs_i32 s27, s3
	s_ashr_i32 s26, s3, 31
	s_load_dwordx2 s[24:25], s[0:1], 0x50
	s_load_dwordx8 s[4:11], s[0:1], 0x30
	s_load_dwordx8 s[12:19], s[0:1], 0x0
	s_waitcnt lgkmcnt(0)
	s_abs_i32 s30, s21
	v_cvt_f32_u32_e32 v1, s30
	s_sub_i32 s28, 0, s30
	s_ashr_i32 s33, s21, 31
	s_xor_b32 s26, s26, s33
	v_rcp_iflag_f32_e32 v1, v1
	v_lshrrev_b32_e32 v48, 6, v0
	v_bfe_u32 v51, v0, 4, 2
	v_lshlrev_b32_e32 v49, 4, v48
	v_mul_f32_e32 v1, 0x4f7ffffe, v1
	v_cvt_u32_f32_e32 v1, v1
	v_lshlrev_b32_e32 v10, 2, v51
	v_and_b32_e32 v50, 63, v0
	v_mov_b32_e32 v9, 0
	v_readfirstlane_b32 s29, v1
	s_mul_i32 s28, s28, s29
	s_mul_hi_u32 s28, s29, s28
	s_add_i32 s29, s29, s28
	s_mul_hi_u32 s28, s27, s29
	s_mul_i32 s29, s28, s30
	s_sub_i32 s27, s27, s29
	s_add_i32 s31, s28, 1
	s_sub_i32 s29, s27, s30
	s_cmp_ge_u32 s27, s30
	s_cselect_b32 s28, s31, s28
	s_cselect_b32 s27, s29, s27
	s_add_i32 s29, s28, 1
	s_cmp_ge_u32 s27, s30
	s_cselect_b32 s27, s29, s28
	s_xor_b32 s27, s27, s26
	s_sub_i32 s34, s27, s26
	s_mul_i32 s26, s34, s21
	s_ashr_i32 s35, s34, 31
	s_sub_i32 s46, s3, s26
	s_lshl_b64 s[26:27], s[34:35], 2
	s_add_u32 s10, s10, s26
	s_addc_u32 s11, s11, s27
	s_add_u32 s28, s24, s26
	s_addc_u32 s29, s25, s27
	s_abs_i32 s3, s22
	v_cvt_f32_u32_e32 v1, s3
	s_load_dwordx2 s[40:41], s[10:11], 0x0
	s_sub_i32 s11, 0, s3
	s_mov_b32 s47, s21
	v_rcp_iflag_f32_e32 v1, v1
	v_and_b32_e32 v52, 15, v0
	s_waitcnt lgkmcnt(0)
	s_sub_i32 s51, s41, s40
	s_ashr_i32 s10, s51, 31
	v_mul_f32_e32 v1, 0x4f7ffffe, v1
	v_cvt_u32_f32_e32 v1, v1
	s_lshr_b32 s10, s10, 26
	s_add_i32 s10, s51, s10
	s_ashr_i32 s52, s10, 6
	v_readfirstlane_b32 s24, v1
	s_mul_i32 s11, s11, s24
	s_mul_hi_u32 s11, s24, s11
	s_add_i32 s24, s24, s11
	s_mul_hi_u32 s11, s30, s24
	s_mul_i32 s24, s11, s3
	s_ashr_i32 s10, s22, 31
	s_sub_i32 s24, s30, s24
	s_xor_b32 s10, s33, s10
	s_add_i32 s25, s11, 1
	s_sub_i32 s26, s24, s3
	s_cmp_ge_u32 s24, s3
	s_cselect_b32 s11, s25, s11
	s_cselect_b32 s24, s26, s24
	s_add_i32 s25, s11, 1
	s_cmp_ge_u32 s24, s3
	s_cselect_b32 s3, s25, s11
	s_xor_b32 s3, s3, s10
	s_sub_i32 s3, s3, s10
	s_abs_i32 s30, s3
	v_cvt_f32_u32_e32 v1, s30
	s_load_dwordx2 s[10:11], s[0:1], 0x80
	s_load_dwordx4 s[24:27], s[0:1], 0x70
	s_load_dword s53, s[28:29], 0x0
	s_xor_b32 s0, s46, s3
	v_rcp_iflag_f32_e32 v1, v1
	s_sub_i32 s3, 0, s30
	s_abs_i32 s1, s46
	s_ashr_i32 s0, s0, 31
	v_mul_f32_e32 v1, 0x4f7ffffe, v1
	v_cvt_u32_f32_e32 v1, v1
	s_mul_hi_i32 s54, s46, s20
	s_mul_i32 s55, s46, s20
	v_lshrrev_b32_e32 v54, 3, v50
	v_readfirstlane_b32 s28, v1
	s_mul_i32 s3, s3, s28
	s_mul_hi_u32 s3, s28, s3
	s_add_i32 s28, s28, s3
	s_mul_hi_u32 s3, s1, s28
	s_mul_i32 s28, s3, s30
	s_sub_i32 s1, s1, s28
	s_add_i32 s28, s3, 1
	s_sub_i32 s29, s1, s30
	s_cmp_ge_u32 s1, s30
	s_cselect_b32 s3, s28, s3
	s_cselect_b32 s1, s29, s1
	s_add_i32 s28, s3, 1
	s_cmp_ge_u32 s1, s30
	s_cselect_b32 s1, s28, s3
	s_xor_b32 s1, s1, s0
	s_sub_i32 s56, s1, s0
	v_or_b32_e32 v1, v10, v49
	s_lshl_b32 s2, s2, 4
	v_or_b32_e32 v55, 64, v1
	s_cmp_lt_i32 s51, 64
	v_lshlrev_b32_e32 v53, 3, v0
	s_waitcnt lgkmcnt(0)
	s_mul_i32 s48, s34, s25
	s_mul_hi_u32 s49, s34, s24
	s_mul_i32 s50, s35, s24
	s_mul_i32 s42, s34, s24
	v_mov_b32_e32 v8, v9
	v_mov_b32_e32 v7, v9
	;; [unrolled: 1-line block ×7, first 2 shown]
	s_cbranch_scc1 .LBB693_18
; %bb.1:
	s_ashr_i32 s58, s46, 31
	s_ashr_i32 s1, s40, 31
	s_add_u32 s0, s55, s40
	s_addc_u32 s1, s54, s1
	s_lshl_b64 s[0:1], s[0:1], 8
	v_and_b32_e32 v57, 56, v53
	s_add_u32 s28, s14, s0
	v_lshl_or_b32 v56, v48, 3, v54
	v_lshlrev_b32_e32 v3, 1, v57
	s_addc_u32 s0, s15, s1
	v_lshl_or_b32 v58, v56, 8, v3
	s_and_b32 s29, s0, 0xffff
	s_mov_b32 s31, 0x20000
	s_movk_i32 s30, 0x4000
	s_movk_i32 s0, 0x80
	v_or_b32_e32 v59, 0x2000, v58
	buffer_load_dwordx4 v[4:7], v58, s[28:31], 0 offen
	buffer_load_dwordx4 v[12:15], v58, s[28:31], s0 offen
	;; [unrolled: 1-line block ×4, first 2 shown]
	v_lshlrev_b32_e32 v2, 3, v56
	v_and_or_b32 v9, v0, 7, v2
	v_and_b32_e32 v2, 0x78, v2
	v_lshlrev_b32_e32 v9, 4, v9
	v_xor_b32_e32 v60, v9, v2
	v_mul_lo_u32 v8, v56, s23
	v_or_b32_e32 v61, 0x1000, v60
	v_xor_b32_e32 v2, 8, v60
	s_cmpk_eq_i32 s23, 0x80
	s_mov_b32 s57, s40
	v_xor_b32_e32 v9, 8, v61
	s_cselect_b64 s[0:1], -1, 0
	s_cmpk_lg_i32 s23, 0x80
	s_waitcnt vmcnt(3)
	ds_write_b64 v60, v[4:5] offset:16384
	ds_write_b64 v2, v[6:7] offset:16384
	s_waitcnt vmcnt(2)
	ds_write_b64 v60, v[12:13] offset:24576
	ds_write_b64 v2, v[14:15] offset:24576
	;; [unrolled: 3-line block ×4, first 2 shown]
	v_lshl_add_u32 v2, v8, 1, v57
	s_cbranch_scc0 .LBB693_3
; %bb.2:
	v_lshlrev_b32_e32 v6, 1, v2
	v_add_lshl_u32 v5, v2, s23, 1
	s_lshl_b32 s30, s23, 7
	v_lshl_or_b32 v4, v56, 9, v3
	s_cbranch_execz .LBB693_4
	s_branch .LBB693_5
.LBB693_3:
                                        ; implicit-def: $vgpr5
                                        ; implicit-def: $vgpr6
                                        ; implicit-def: $sgpr30
	v_lshl_or_b32 v4, v56, 9, v3
.LBB693_4:
	v_or_b32_e32 v5, 0x100, v4
	s_movk_i32 s30, 0x4000
	v_mov_b32_e32 v6, v4
.LBB693_5:
	s_mul_i32 s24, s40, s22
	s_ashr_i32 s59, s56, 31
	s_mul_hi_i32 s3, s40, s22
	s_add_u32 s24, s24, s56
	s_addc_u32 s25, s3, s59
	s_lshl_b64 s[24:25], s[24:25], 8
	s_add_u32 s28, s12, s24
	s_addc_u32 s3, s13, s25
	s_and_b32 s29, s3, 0xffff
	s_movk_i32 s60, 0x80
	buffer_load_dwordx4 v[12:15], v6, s[28:31], 0 offen
	s_nop 0
	buffer_load_dwordx4 v[6:9], v6, s[28:31], s60 offen
	s_nop 0
	buffer_load_dwordx4 v[16:19], v5, s[28:31], 0 offen
	buffer_load_dwordx4 v[20:23], v5, s[28:31], s60 offen
	v_and_b32_e32 v3, 6, v0
	v_lshlrev_b32_e32 v11, 2, v52
	v_lshlrev_b32_e32 v24, 3, v52
	v_xor_b32_e32 v26, v56, v3
	v_and_b32_e32 v5, 1, v0
	v_lshl_or_b32 v24, v1, 5, v24
	v_xor_b32_e32 v27, v1, v11
	v_lshlrev_b32_e32 v26, 2, v26
	s_mul_i32 s3, s46, s27
	s_mul_hi_u32 s25, s46, s26
	v_or_b32_e32 v62, 0x9000, v24
	v_or_b32_e32 v63, 0x9800, v24
	v_lshlrev_b32_e32 v24, 1, v27
	v_xor_b32_e32 v27, 0x440, v26
	v_cmp_eq_u32_e32 vcc, 0, v5
	s_add_i32 s29, s49, s48
	s_mul_i32 s28, s58, s26
	v_cndmask_b32_e32 v5, v27, v26, vcc
	s_add_i32 s3, s25, s3
	s_add_i32 s43, s29, s50
	s_mov_b32 s61, 0x1000504
	v_lshlrev_b32_e32 v25, 8, v52
	s_mov_b32 s30, 0x8000
	v_xor_b32_e32 v11, v55, v11
	v_lshl_or_b32 v3, v3, 10, v5
	s_add_i32 s25, s3, s28
	s_lshl_b64 s[28:29], s[42:43], 2
	s_mov_b32 s62, 0x3020706
	s_mul_i32 s24, s46, s26
	v_lshlrev_b32_e32 v11, 1, v11
	v_or3_b32 v64, v24, v25, s30
	v_xor_b32_e32 v5, 8, v3
	v_xor_b32_e32 v24, 24, v3
	;; [unrolled: 1-line block ×4, first 2 shown]
	s_add_u32 s3, s18, s28
	v_or3_b32 v65, v11, v25, s30
	v_xor_b32_e32 v11, 16, v3
	v_xor_b32_e32 v25, 32, v3
	;; [unrolled: 1-line block ×3, first 2 shown]
	v_add_u32_e32 v5, 0x80, v5
	v_add_u32_e32 v24, 0x80, v24
	;; [unrolled: 1-line block ×4, first 2 shown]
	s_addc_u32 s28, s19, s29
	s_lshl_b64 s[24:25], s[24:25], 2
	s_add_u32 s24, s3, s24
	s_movk_i32 s3, 0xf8
	s_addc_u32 s25, s28, s25
	s_lshl_b32 s38, s23, 7
	s_mov_b32 s63, 0
	v_add_u32_e32 v80, v49, v10
	s_waitcnt vmcnt(1)
	v_perm_b32 v29, v12, v16, s61
	s_waitcnt vmcnt(0)
	v_perm_b32 v30, v6, v20, s61
	v_perm_b32 v12, v12, v16, s62
	;; [unrolled: 1-line block ×15, first 2 shown]
	ds_write2st64_b32 v3, v29, v30 offset1:32
	ds_write2st64_b32 v5, v12, v6 offset1:32
	ds_write2st64_b32 v11, v16, v20 offset0:1 offset1:33
	ds_write2st64_b32 v24, v13, v7 offset0:1 offset1:33
	;; [unrolled: 1-line block ×6, first 2 shown]
	v_or_b32_e32 v3, v49, v52
	v_lshlrev_b32_e32 v3, 3, v3
	v_lshrrev_b32_e32 v7, 5, v50
	v_and_or_b32 v7, v3, s3, v7
	v_lshlrev_b32_e32 v7, 4, v7
	v_lshlrev_b32_e32 v5, 11, v48
	v_and_b32_e32 v3, 0x78, v3
	v_or_b32_e32 v12, 32, v7
	v_and_b32_e32 v6, 0x1000, v5
	v_lshrrev_b32_e32 v11, 1, v0
	v_xor_b32_e32 v12, v12, v3
	v_and_b32_e32 v9, 8, v11
	v_or_b32_e32 v12, v12, v6
	v_xor_b32_e32 v8, v7, v3
	v_xor_b32_e32 v68, v12, v9
	v_or_b32_e32 v12, 64, v7
	v_or_b32_e32 v7, 0x60, v7
	v_xor_b32_e32 v12, v12, v3
	v_xor_b32_e32 v3, v7, v3
	v_or_b32_e32 v3, v3, v6
	v_or_b32_e32 v12, v12, v6
	v_xor_b32_e32 v70, v3, v9
	v_lshlrev_b32_e32 v14, 1, v2
	v_add_lshl_u32 v15, v2, s23, 1
	v_lshrrev_b32_e32 v2, 4, v0
	v_lshlrev_b32_e32 v3, 1, v52
	v_xor_b32_e32 v69, v12, v9
	s_ashr_i32 s3, s2, 31
	v_or_b32_e32 v12, 1, v3
	v_xor_b32_e32 v3, v2, v3
	s_lshl_b64 s[28:29], s[2:3], 8
	v_xor_b32_e32 v12, v12, v2
	v_lshlrev_b32_e32 v3, 3, v3
	v_lshlrev_b32_e32 v2, 8, v2
	s_add_u32 s28, s4, s28
	v_or3_b32 v72, v3, v2, s30
	v_lshlrev_b32_e32 v3, 3, v12
	s_addc_u32 s29, s5, s29
	v_or3_b32 v73, v3, v2, s30
	v_mov_b32_e32 v3, 0
	v_lshl_add_u64 v[12:13], s[28:29], 0, v[2:3]
	v_lshlrev_b32_e32 v2, 4, v52
	s_movk_i32 s3, 0xff
	v_lshlrev_b32_e32 v18, 3, v48
	v_and_b32_e32 v11, 24, v11
	v_lshl_add_u64 v[42:43], v[12:13], 0, v[2:3]
	v_and_b32_e32 v12, 8, v0
	v_cmp_lt_u32_e32 vcc, s3, v0
	v_xor_b32_e32 v19, v18, v11
	v_or_b32_e32 v20, 0x440, v19
	v_cndmask_b32_e64 v17, 0, 1, vcc
	v_cmp_eq_u32_e32 vcc, 0, v12
	v_and_b32_e32 v2, 7, v0
	v_lshlrev_b32_e32 v13, 3, v2
	v_cndmask_b32_e32 v12, v20, v19, vcc
	v_lshlrev_b32_e32 v2, 7, v2
	v_or_b32_e32 v12, v12, v5
	v_xad_u32 v74, v12, v13, v2
	v_or_b32_e32 v12, 32, v11
	v_xor_b32_e32 v12, v18, v12
	v_or_b32_e32 v19, 0x440, v12
	v_cndmask_b32_e32 v12, v19, v12, vcc
	v_or_b32_e32 v12, v12, v5
	v_xad_u32 v75, v12, v13, v2
	v_or_b32_e32 v12, 64, v11
	v_xor_b32_e32 v12, v18, v12
	v_xor_b32_e32 v19, 0x440, v12
	v_cndmask_b32_e32 v12, v19, v12, vcc
	v_or_b32_e32 v11, 0x60, v11
	v_or_b32_e32 v12, v12, v5
	v_xor_b32_e32 v11, v18, v11
	v_or_b32_e32 v8, v8, v6
	v_or_b32_e32 v6, s2, v52
	v_xad_u32 v76, v12, v13, v2
	v_xor_b32_e32 v12, 0x440, v11
	v_xor_b32_e32 v66, v8, v9
	v_and_b32_e32 v8, 0x78, v53
	v_ashrrev_i32_e32 v7, 31, v6
	v_cndmask_b32_e32 v11, v12, v11, vcc
	v_lshl_or_b32 v8, v51, 7, v8
	v_lshlrev_b64 v[6:7], 1, v[6:7]
	v_or_b32_e32 v5, v11, v5
	v_or_b32_e32 v67, 0x9000, v8
	;; [unrolled: 1-line block ×3, first 2 shown]
	v_lshl_add_u64 v[8:9], s[16:17], 0, v[6:7]
	v_lshl_add_u64 v[6:7], s[6:7], 0, v[6:7]
	v_or_b32_e32 v16, 0x100, v4
	v_lshlrev_b32_e32 v17, 13, v17
	v_xad_u32 v77, v5, v13, v2
	v_lshlrev_b32_e32 v2, 8, v1
	v_cndmask_b32_e64 v78, v14, v4, s[0:1]
	v_cndmask_b32_e64 v79, v15, v16, s[0:1]
	v_lshl_add_u64 v[44:45], v[8:9], 0, v[2:3]
	v_lshl_add_u64 v[46:47], v[6:7], 0, v[2:3]
	s_mov_b32 s3, 0x7060302
	s_movk_i32 s30, 0x4000
	v_add_u32_e32 v81, v17, v74
	v_add_u32_e32 v82, v17, v75
	v_add_u32_e32 v83, v17, v76
	v_add_u32_e32 v84, v17, v77
	v_mov_b32_e32 v2, v3
	v_mov_b32_e32 v4, v3
	;; [unrolled: 1-line block ×7, first 2 shown]
	s_waitcnt lgkmcnt(0)
	s_barrier
.LBB693_6:                              ; =>This Inner Loop Header: Depth=1
	s_add_i32 s43, s63, 1
	s_cmp_lt_i32 s43, s52
	s_mov_b64 s[36:37], 0
	s_cselect_b64 s[44:45], -1, 0
	s_cmp_ge_i32 s43, s52
	s_mov_b64 s[28:29], 0
	s_cbranch_scc1 .LBB693_8
; %bb.7:                                ;   in Loop: Header=BB693_6 Depth=1
	s_add_i32 s0, s57, 64
	s_ashr_i32 s1, s0, 31
	s_add_u32 s0, s55, s0
	s_addc_u32 s1, s54, s1
	s_lshl_b64 s[0:1], s[0:1], 8
	s_add_u32 s28, s14, s0
	s_addc_u32 s29, s15, s1
.LBB693_8:                              ;   in Loop: Header=BB693_6 Depth=1
	v_cndmask_b32_e64 v5, 0, 1, s[44:45]
	v_cmp_ne_u32_e64 s[0:1], 1, v5
	s_andn2_b64 vcc, exec, s[44:45]
	s_cbranch_vccnz .LBB693_10
; %bb.9:                                ;   in Loop: Header=BB693_6 Depth=1
	s_add_i32 s36, s57, 64
	s_mul_hi_i32 s37, s36, s22
	s_mul_i32 s36, s36, s22
	s_add_u32 s36, s36, s56
	s_addc_u32 s37, s37, s59
	s_lshl_b64 s[36:37], s[36:37], 8
	s_add_u32 s36, s12, s36
	s_addc_u32 s37, s13, s37
.LBB693_10:                             ;   in Loop: Header=BB693_6 Depth=1
	v_perm_b32 v11, v86, v4, s3
	v_perm_b32 v10, v3, v2, s3
	;; [unrolled: 1-line block ×4, first 2 shown]
	ds_write_b64 v62, v[10:11]
	ds_write_b64 v63, v[12:13]
	;; [unrolled: 1-line block ×4, first 2 shown]
	s_waitcnt lgkmcnt(0)
	s_barrier
	ds_read_b64 v[18:19], v66 offset:16384
	ds_read_b64 v[20:21], v68 offset:16384
	ds_read2st64_b64 v[10:13], v67 offset1:1
	s_waitcnt lgkmcnt(0)
	v_mfma_f32_16x16x16_bf16 a[0:3], v[18:19], v[10:11], 0
	ds_read2st64_b64 v[14:17], v67 offset0:2 offset1:3
	ds_read_b64 v[22:23], v69 offset:16384
	ds_read_b64 v[10:11], v70 offset:16384
	s_add_i32 s39, s57, 63
	v_mfma_f32_16x16x16_bf16 a[0:3], v[20:21], v[12:13], a[0:3]
	s_ashr_i32 s44, s39, 31
	s_mul_i32 s45, s39, s11
	s_mul_hi_u32 s64, s39, s10
	s_waitcnt lgkmcnt(1)
	v_mfma_f32_16x16x16_bf16 a[0:3], v[22:23], v[14:15], a[0:3]
	s_add_i32 s45, s64, s45
	s_mul_i32 s44, s44, s10
	s_add_i32 s45, s45, s44
	s_mul_i32 s44, s39, s10
	s_waitcnt lgkmcnt(0)
	v_mfma_f32_16x16x16_bf16 a[0:3], v[10:11], v[16:17], a[0:3]
	s_lshl_b64 s[44:45], s[44:45], 2
	s_add_u32 s44, s24, s44
	s_addc_u32 s45, s25, s45
	s_and_b64 vcc, exec, s[0:1]
	v_mov_b32_e32 v87, 0
	v_mov_b32_e32 v9, 0
	;; [unrolled: 1-line block ×19, first 2 shown]
	s_cbranch_vccnz .LBB693_12
; %bb.11:                               ;   in Loop: Header=BB693_6 Depth=1
	s_and_b32 s29, s29, 0xffff
	buffer_load_dwordx4 v[22:25], v58, s[28:31], 0 offen
	buffer_load_dwordx4 v[18:21], v58, s[28:31], s60 offen
	;; [unrolled: 1-line block ×4, first 2 shown]
	v_mov_b32_e32 v9, v60
	v_mov_b32_e32 v5, v61
.LBB693_12:                             ;   in Loop: Header=BB693_6 Depth=1
	s_waitcnt vmcnt(3)
	v_add_u32_e32 v30, s57, v80
	s_waitcnt vmcnt(1)
	v_ashrrev_i32_e32 v26, 31, v30
	v_mul_lo_u32 v28, v26, s10
	v_mul_lo_u32 v29, v30, s11
	v_mad_u64_u32 v[26:27], s[28:29], v30, s10, 0
	v_add3_u32 v27, v27, v29, v28
	v_lshl_add_u64 v[26:27], v[26:27], 2, s[24:25]
	global_load_dword v89, v[26:27], off
	v_add_u32_e32 v26, 1, v30
	v_ashrrev_i32_e32 v27, 31, v26
	v_mul_lo_u32 v28, v27, s10
	v_mul_lo_u32 v29, v26, s11
	v_mad_u64_u32 v[26:27], s[28:29], v26, s10, 0
	v_add3_u32 v27, v27, v29, v28
	v_add_u32_e32 v28, 2, v30
	v_ashrrev_i32_e32 v29, 31, v28
	v_mul_lo_u32 v31, v29, s10
	v_mul_lo_u32 v32, v28, s11
	v_mad_u64_u32 v[28:29], s[28:29], v28, s10, 0
	v_add_u32_e32 v30, 3, v30
	v_add3_u32 v29, v29, v32, v31
	v_ashrrev_i32_e32 v31, 31, v30
	v_mul_lo_u32 v34, v31, s10
	v_mul_lo_u32 v35, v30, s11
	v_mad_u64_u32 v[30:31], s[28:29], v30, s10, 0
	s_ashr_i32 s29, s57, 31
	s_add_u32 s28, s55, s57
	s_addc_u32 s29, s54, s29
	s_lshl_b64 s[64:65], s[28:29], 8
	v_lshl_add_u64 v[26:27], v[26:27], 2, s[24:25]
	v_lshl_add_u64 v[32:33], v[44:45], 0, s[64:65]
	v_add3_u32 v31, v31, v35, v34
	v_lshl_add_u64 v[28:29], v[28:29], 2, s[24:25]
	global_load_ushort v92, v[32:33], off
	global_load_ushort v93, v[32:33], off offset:256
	global_load_ushort v94, v[32:33], off offset:512
	global_load_ushort v95, v[32:33], off offset:768
	v_lshl_add_u64 v[30:31], v[30:31], 2, s[24:25]
	global_load_dword v96, v[26:27], off
	global_load_dword v97, v[28:29], off
	;; [unrolled: 1-line block ×3, first 2 shown]
	s_load_dword s28, s[44:45], 0x0
	ds_read_b64 v[28:29], v66 offset:24576
	ds_read2st64_b64 v[30:33], v71 offset1:1
	ds_read2st64_b64 v[34:37], v71 offset0:2 offset1:3
	ds_read_b64 v[38:39], v68 offset:24576
	ds_read_b64 v[40:41], v69 offset:24576
	;; [unrolled: 1-line block ×3, first 2 shown]
	s_waitcnt lgkmcnt(0)
	v_mfma_f32_16x16x16_bf16 a[0:3], v[28:29], v[30:31], a[0:3]
	v_mov_b32_e32 v88, 0
	v_mov_b32_e32 v26, 0
	;; [unrolled: 1-line block ×3, first 2 shown]
	v_mfma_f32_16x16x16_bf16 a[0:3], v[38:39], v[32:33], a[0:3]
	v_lshl_add_u64 v[38:39], v[46:47], 0, s[64:65]
	v_mov_b32_e32 v28, 0
	v_mov_b32_e32 v29, 0
	v_mfma_f32_16x16x16_bf16 a[0:3], v[40:41], v[34:35], a[0:3]
	v_mov_b32_e32 v30, 0
	v_mov_b32_e32 v31, 0
	;; [unrolled: 1-line block ×3, first 2 shown]
	v_mfma_f32_16x16x16_bf16 a[0:3], v[90:91], v[36:37], a[0:3]
	v_mov_b32_e32 v33, 0
	v_mov_b32_e32 v34, 0
	s_and_b64 vcc, exec, s[0:1]
	s_waitcnt vmcnt(7)
	v_sub_f32_e32 v35, s28, v89
	s_nop 1
	v_accvgpr_read_b32 v41, a1
	v_accvgpr_read_b32 v40, a0
	;; [unrolled: 1-line block ×4, first 2 shown]
	s_waitcnt vmcnt(6)
	v_lshlrev_b32_e32 v90, 16, v92
	s_waitcnt vmcnt(5)
	v_lshlrev_b32_e32 v91, 16, v93
	;; [unrolled: 2-line block ×3, first 2 shown]
	v_exp_f32_e32 v94, v35
	s_waitcnt vmcnt(2)
	v_sub_f32_e32 v35, s28, v96
	s_waitcnt vmcnt(1)
	v_sub_f32_e32 v89, s28, v97
	;; [unrolled: 2-line block ×3, first 2 shown]
	v_lshlrev_b32_e32 v93, 16, v95
	v_pk_add_f32 v[40:41], v[90:91], v[40:41] neg_lo:[0,1] neg_hi:[0,1]
	v_exp_f32_e32 v95, v35
	v_exp_f32_e32 v90, v89
	;; [unrolled: 1-line block ×3, first 2 shown]
	v_pk_add_f32 v[36:37], v[92:93], v[36:37] neg_lo:[0,1] neg_hi:[0,1]
	global_store_short_d16_hi v[38:39], v40, off
	global_store_short_d16_hi v[38:39], v41, off offset:256
	global_store_short_d16_hi v[38:39], v36, off offset:512
	global_store_short_d16_hi v[38:39], v37, off offset:768
	v_pk_mul_f32 v[38:39], v[94:95], v[40:41]
	v_pk_mul_f32 v[36:37], v[90:91], v[36:37]
	v_perm_b32 v38, v39, v38, s3
	v_perm_b32 v39, v37, v36, s3
	ds_write_b64 v63, v[38:39]
	v_mov_b32_e32 v35, 0
	v_mov_b32_e32 v36, 0
	;; [unrolled: 1-line block ×7, first 2 shown]
	s_cbranch_vccnz .LBB693_14
; %bb.13:                               ;   in Loop: Header=BB693_6 Depth=1
	s_and_b32 s37, s37, 0xffff
	s_mov_b32 s39, s31
	buffer_load_dwordx4 v[38:41], v78, s[36:39], 0 offen
	buffer_load_dwordx4 v[30:33], v78, s[36:39], s60 offen
	;; [unrolled: 1-line block ×4, first 2 shown]
	v_mov_b32_e32 v87, v57
	v_mov_b32_e32 v88, v56
.LBB693_14:                             ;   in Loop: Header=BB693_6 Depth=1
	s_waitcnt lgkmcnt(0)
	s_barrier
	ds_read_b64 v[98:99], v81
	ds_read2st64_b64 v[90:93], v71 offset1:1
	ds_read2st64_b64 v[94:97], v71 offset0:2 offset1:3
	ds_read_b64 v[100:101], v82
	ds_read_b64 v[102:103], v83
	ds_read_b64 v[104:105], v84
	s_waitcnt lgkmcnt(4)
	v_mfma_f32_16x16x16_bf16 a[0:3], v[98:99], v[90:91], 0
	ds_read_b64 v[98:99], v74 offset:8192
	ds_read_b64 v[106:107], v75 offset:8192
	s_add_i32 s29, s53, s63
	s_mul_hi_i32 s37, s29, s47
	s_waitcnt lgkmcnt(1)
	v_mfma_f32_16x16x16_bf16 a[4:7], v[98:99], v[90:91], 0
	s_mul_i32 s29, s29, s47
	s_add_u32 s36, s29, s46
	s_addc_u32 s37, s37, s58
	v_mfma_f32_16x16x16_bf16 a[0:3], v[100:101], v[92:93], a[0:3]
	ds_read_b64 v[98:99], v72
	ds_read_b64 v[100:101], v73
	ds_read_b64 v[90:91], v76 offset:8192
	s_lshl_b64 s[36:37], s[36:37], 15
	v_mfma_f32_16x16x16_bf16 a[0:3], v[102:103], v[94:95], a[0:3]
	ds_read_b64 v[102:103], v77 offset:8192
	s_and_b64 vcc, exec, s[0:1]
	s_waitcnt lgkmcnt(4)
	v_mfma_f32_16x16x16_bf16 a[4:7], v[106:107], v[92:93], a[4:7]
	s_waitcnt lgkmcnt(1)
	v_mfma_f32_16x16x16_bf16 a[4:7], v[90:91], v[94:95], a[4:7]
	v_lshl_add_u64 v[90:91], v[42:43], 0, s[36:37]
	global_store_dwordx4 v[90:91], v[98:101], off
	v_mfma_f32_16x16x16_bf16 a[0:3], v[104:105], v[96:97], a[0:3]
	s_waitcnt lgkmcnt(0)
	v_mfma_f32_16x16x16_bf16 a[4:7], v[102:103], v[96:97], a[4:7]
	s_cbranch_vccnz .LBB693_16
; %bb.15:                               ;   in Loop: Header=BB693_6 Depth=1
	v_lshrrev_b32_e32 v89, 3, v87
	v_and_b32_e32 v89, 6, v89
	v_xor_b32_e32 v88, v89, v88
	v_lshlrev_b32_e32 v88, 2, v88
	v_and_b32_e32 v87, 8, v87
	v_xor_b32_e32 v90, 0x440, v88
	v_cmp_eq_u32_e32 vcc, 0, v87
	s_barrier
	s_nop 0
	v_cndmask_b32_e32 v87, v90, v88, vcc
	v_lshl_or_b32 v87, v89, 10, v87
	s_waitcnt vmcnt(2)
	v_perm_b32 v88, v38, v34, s61
	s_waitcnt vmcnt(1)
	v_perm_b32 v89, v30, v26, s61
	ds_write2st64_b32 v87, v88, v89 offset1:32
	v_xor_b32_e32 v88, 8, v87
	v_perm_b32 v34, v38, v34, s62
	v_perm_b32 v26, v30, v26, s62
	v_add_u32_e32 v30, 0x80, v88
	ds_write2st64_b32 v30, v34, v26 offset1:32
	v_xor_b32_e32 v26, 16, v87
	v_perm_b32 v30, v39, v35, s61
	v_perm_b32 v34, v31, v27, s61
	ds_write2st64_b32 v26, v30, v34 offset0:1 offset1:33
	v_xor_b32_e32 v26, 24, v87
	v_perm_b32 v30, v39, v35, s62
	v_perm_b32 v27, v31, v27, s62
	v_add_u32_e32 v26, 0x80, v26
	ds_write2st64_b32 v26, v30, v27 offset0:1 offset1:33
	v_xor_b32_e32 v26, 32, v87
	v_perm_b32 v27, v40, v36, s61
	v_perm_b32 v30, v32, v28, s61
	ds_write2st64_b32 v26, v27, v30 offset0:2 offset1:34
	v_xor_b32_e32 v26, 40, v87
	v_perm_b32 v27, v40, v36, s62
	v_perm_b32 v28, v32, v28, s62
	v_add_u32_e32 v26, 0x80, v26
	ds_write2st64_b32 v26, v27, v28 offset0:2 offset1:34
	;; [unrolled: 9-line block ×3, first 2 shown]
	ds_write_b64 v9, v[22:23] offset:16384
	v_xor_b32_e32 v22, 8, v9
	ds_write_b64 v22, v[24:25] offset:16384
	ds_write_b64 v9, v[18:19] offset:24576
	;; [unrolled: 1-line block ×4, first 2 shown]
	v_xor_b32_e32 v9, 8, v5
	ds_write_b64 v9, v[16:17] offset:16384
	ds_write_b64 v5, v[10:11] offset:24576
	;; [unrolled: 1-line block ×3, first 2 shown]
.LBB693_16:                             ;   in Loop: Header=BB693_6 Depth=1
	v_exp_f32_e32 v10, s28
	s_nop 2
	v_accvgpr_read_b32 v9, a1
	v_accvgpr_read_b32 v5, a0
	s_add_i32 s57, s57, 64
	v_fma_f32 v3, v3, v10, v9
	v_accvgpr_read_b32 v9, a4
	v_fma_f32 v6, v6, v10, v9
	v_accvgpr_read_b32 v9, a5
	;; [unrolled: 2-line block ×6, first 2 shown]
	v_fmac_f32_e32 v5, v86, v10
	s_cmp_eq_u32 s52, s43
	v_fmac_f32_e32 v9, v85, v10
	s_cbranch_scc1 .LBB693_18
; %bb.17:                               ;   in Loop: Header=BB693_6 Depth=1
	s_mov_b32 s63, s43
	v_mov_b32_e32 v86, v5
	v_mov_b32_e32 v85, v9
	s_branch .LBB693_6
.LBB693_18:
	s_lshl_b32 s3, s52, 6
	s_sub_i32 s51, s51, s3
	s_cmp_gt_i32 s51, 0
	s_waitcnt vmcnt(2)
	v_or_b32_e32 v34, s2, v52
	s_cbranch_scc1 .LBB693_20
; %bb.19:
	s_ashr_i32 s25, s46, 31
	v_or_b32_e32 v10, s2, v52
	s_cbranch_execz .LBB693_21
	s_branch .LBB693_77
.LBB693_20:
                                        ; implicit-def: $vgpr10
                                        ; implicit-def: $sgpr24_sgpr25
.LBB693_21:
	s_add_i32 s24, s3, s40
	s_ashr_i32 s3, s24, 31
	s_cmpk_lg_i32 s23, 0x80
	s_cselect_b64 s[38:39], -1, 0
	s_and_b64 vcc, exec, s[38:39]
	s_cbranch_vccz .LBB693_23
; %bb.22:
	s_mul_hi_i32 s0, s24, s22
	s_mul_i32 s1, s24, s22
	s_ashr_i32 s22, s56, 31
	s_add_u32 s44, s1, s56
	s_addc_u32 s45, s0, s22
	s_cbranch_execz .LBB693_24
	s_branch .LBB693_25
.LBB693_23:
                                        ; implicit-def: $sgpr44_sgpr45
.LBB693_24:
	s_mul_i32 s1, s56, s20
	s_mul_hi_i32 s0, s56, s20
	s_add_u32 s44, s1, s24
	s_addc_u32 s45, s0, s3
.LBB693_25:
	s_add_i32 s20, s52, s53
	s_ashr_i32 s25, s46, 31
	s_add_u32 s0, s55, s24
	s_addc_u32 s1, s54, s3
	s_mov_b32 s3, 0x7060302
	v_lshlrev_b32_e32 v14, 3, v52
	s_lshl_b64 s[36:37], s[0:1], 8
	v_perm_b32 v11, v5, v4, s3
	v_perm_b32 v10, v3, v2, s3
	;; [unrolled: 1-line block ×4, first 2 shown]
	v_lshlrev_b32_e32 v44, 2, v52
	v_lshl_or_b32 v14, v1, 5, v14
	s_add_u32 s0, s14, s36
	ds_write2st64_b64 v14, v[10:11], v[12:13] offset0:72 offset1:76
	v_xor_b32_e32 v14, v1, v44
	v_lshlrev_b32_e32 v15, 8, v52
	s_addc_u32 s1, s15, s37
	v_lshl_or_b32 v14, v14, 1, v15
	s_mul_hi_i32 s3, s20, s21
	s_mul_i32 s20, s20, s21
	ds_write_b64 v14, v[10:11] offset:32768
	v_xor_b32_e32 v10, v55, v44
	s_add_u32 s14, s20, s46
	v_lshl_or_b32 v10, v10, 1, v15
	s_addc_u32 s15, s3, s25
	v_lshlrev_b32_e32 v11, 1, v52
	ds_write_b64 v10, v[12:13] offset:32768
	v_lshrrev_b32_e32 v10, 4, v0
	s_ashr_i32 s3, s2, 31
	s_lshl_b64 s[14:15], s[14:15], 15
	v_or_b32_e32 v12, 1, v11
	s_add_u32 s4, s4, s14
	v_xor_b32_e32 v11, v10, v11
	v_xor_b32_e32 v12, v12, v10
	v_lshlrev_b32_e32 v14, 8, v10
	s_addc_u32 s5, s5, s15
	s_lshl_b64 s[2:3], s[2:3], 8
	v_lshl_or_b32 v10, v11, 3, v14
	v_lshl_or_b32 v12, v12, 3, v14
	s_waitcnt lgkmcnt(0)
	s_barrier
	s_add_u32 s2, s4, s2
	ds_read_b64 v[10:11], v10 offset:32768
	ds_read_b64 v[12:13], v12 offset:32768
	s_addc_u32 s3, s5, s3
	v_mov_b32_e32 v15, 0
	s_cmp_lg_u32 s51, 64
	v_lshl_add_u64 v[16:17], s[2:3], 0, v[14:15]
	v_lshlrev_b32_e32 v14, 4, v52
	s_cselect_b64 s[4:5], -1, 0
	v_lshl_or_b32 v35, v48, 3, v54
	s_mov_b32 s28, 0
	v_lshl_add_u64 v[14:15], v[16:17], 0, v[14:15]
	s_waitcnt vmcnt(1)
	v_or_b32_e32 v27, 32, v35
	v_and_b32_e32 v26, 56, v53
	s_and_b64 vcc, exec, s[4:5]
	s_waitcnt lgkmcnt(0)
	global_store_dwordx4 v[14:15], v[10:13], off
	s_cbranch_vccz .LBB693_31
; %bb.26:
	s_mov_b32 s29, s28
	s_mov_b32 s30, s28
	;; [unrolled: 1-line block ×3, first 2 shown]
	v_mov_b64_e32 v[14:15], s[28:29]
	v_mov_b64_e32 v[16:17], s[30:31]
	;; [unrolled: 1-line block ×3, first 2 shown]
	v_cmp_gt_i32_e32 vcc, s51, v35
	v_mov_b64_e32 v[12:13], v[16:17]
	s_and_saveexec_b64 s[2:3], vcc
	s_cbranch_execz .LBB693_28
; %bb.27:
	v_lshlrev_b32_e32 v10, 8, v35
	v_mov_b32_e32 v11, 0
	v_lshl_add_u64 v[12:13], s[0:1], 0, v[10:11]
	v_lshlrev_b32_e32 v10, 1, v26
	v_lshl_add_u64 v[18:19], v[12:13], 0, v[10:11]
	global_load_dwordx4 v[14:17], v[18:19], off
	global_load_dwordx4 v[10:13], v[18:19], off offset:128
.LBB693_28:
	s_or_b64 exec, exec, s[2:3]
	s_mov_b32 s29, s28
	s_mov_b32 s30, s28
	;; [unrolled: 1-line block ×3, first 2 shown]
	v_mov_b64_e32 v[22:23], s[28:29]
	v_mov_b64_e32 v[24:25], s[30:31]
	;; [unrolled: 1-line block ×3, first 2 shown]
	v_cmp_gt_i32_e32 vcc, s51, v27
	v_lshlrev_b32_e32 v28, 7, v27
	v_mov_b64_e32 v[20:21], v[24:25]
	s_and_saveexec_b64 s[2:3], vcc
	s_cbranch_execz .LBB693_30
; %bb.29:
	v_lshlrev_b32_e32 v18, 1, v28
	v_mov_b32_e32 v19, 0
	v_lshl_add_u64 v[20:21], s[0:1], 0, v[18:19]
	v_lshlrev_b32_e32 v18, 1, v26
	v_lshl_add_u64 v[30:31], v[20:21], 0, v[18:19]
	global_load_dwordx4 v[22:25], v[30:31], off
	global_load_dwordx4 v[18:21], v[30:31], off offset:128
.LBB693_30:
	s_or_b64 exec, exec, s[2:3]
	v_lshrrev_b32_e32 v29, 3, v26
	v_lshlrev_b32_e32 v30, 3, v35
	v_or_b32_e32 v29, v30, v29
	v_lshlrev_b32_e32 v29, 4, v29
	v_and_b32_e32 v30, 0x78, v30
	v_xor_b32_e32 v29, v29, v30
	s_branch .LBB693_33
.LBB693_31:
                                        ; implicit-def: $vgpr29
                                        ; implicit-def: $vgpr28
                                        ; implicit-def: $vgpr14_vgpr15_vgpr16_vgpr17
                                        ; implicit-def: $vgpr10_vgpr11_vgpr12_vgpr13
                                        ; implicit-def: $vgpr22_vgpr23_vgpr24_vgpr25
                                        ; implicit-def: $vgpr18_vgpr19_vgpr20_vgpr21
	s_cbranch_execz .LBB693_33
; %bb.32:
	s_waitcnt vmcnt(0)
	v_lshlrev_b32_e32 v10, 1, v26
	v_lshl_or_b32 v28, v35, 8, v10
	s_and_b32 s1, s1, 0xffff
	s_mov_b32 s3, 0x20000
	s_movk_i32 s2, 0x4000
	v_lshl_or_b32 v29, v27, 8, v10
	s_movk_i32 s14, 0x80
	buffer_load_dwordx4 v[14:17], v28, s[0:3], 0 offen
	buffer_load_dwordx4 v[10:13], v28, s[0:3], s14 offen
	;; [unrolled: 1-line block ×4, first 2 shown]
	v_lshrrev_b32_e32 v28, 3, v26
	v_lshlrev_b32_e32 v29, 3, v35
	v_or_b32_e32 v28, v29, v28
	v_lshlrev_b32_e32 v28, 4, v28
	v_and_b32_e32 v29, 0x78, v29
	v_xor_b32_e32 v29, v28, v29
	v_lshlrev_b32_e32 v28, 7, v27
.LBB693_33:
	s_lshl_b64 s[0:1], s[44:45], 8
	s_add_u32 s12, s12, s0
	s_movk_i32 s0, 0x1000
	v_and_or_b32 v27, v28, s0, v29
	s_waitcnt vmcnt(1)
	ds_write_b64 v29, v[14:15] offset:16384
	v_xor_b32_e32 v14, 8, v29
	ds_write_b64 v14, v[16:17] offset:16384
	s_waitcnt vmcnt(0)
	ds_write_b64 v29, v[10:11] offset:24576
	ds_write_b64 v14, v[12:13] offset:24576
	;; [unrolled: 1-line block ×3, first 2 shown]
	v_xor_b32_e32 v10, 8, v27
	ds_write_b64 v10, v[24:25] offset:16384
	ds_write_b64 v27, v[18:19] offset:24576
	;; [unrolled: 1-line block ×3, first 2 shown]
	v_or_b32_e32 v10, v49, v52
	v_lshlrev_b32_e32 v10, 3, v10
	v_lshrrev_b32_e32 v12, 5, v50
	s_movk_i32 s20, 0xf8
	v_and_or_b32 v12, v10, s20, v12
	v_lshlrev_b32_e32 v45, 11, v48
	v_lshlrev_b32_e32 v20, 4, v12
	v_and_b32_e32 v21, 0x78, v10
	v_and_b32_e32 v22, 0x1000, v45
	v_lshlrev_b32_e32 v11, 2, v0
	v_xor_b32_e32 v10, v20, v21
	v_lshrrev_b32_e32 v12, 1, v50
	v_and_b32_e32 v11, 60, v11
	v_or_b32_e32 v10, v10, v22
	v_and_b32_e32 v23, 8, v12
	v_xor_b32_e32 v36, v10, v23
	v_lshl_or_b32 v10, v51, 6, v11
	v_lshlrev_b32_e32 v46, 1, v10
	v_or_b32_e32 v10, 32, v20
	v_xor_b32_e32 v10, v10, v21
	s_waitcnt lgkmcnt(0)
	s_barrier
	ds_read_b64 v[18:19], v36 offset:16384
	v_or_b32_e32 v10, v10, v22
	v_xor_b32_e32 v37, v10, v23
	v_or_b32_e32 v10, 64, v20
	v_xor_b32_e32 v10, v10, v21
	v_or_b32_e32 v10, v10, v22
	v_or_b32_e32 v20, 0x60, v20
	v_xor_b32_e32 v38, v10, v23
	ds_read2st64_b64 v[10:13], v46 offset0:72 offset1:73
	ds_read2st64_b64 v[14:17], v46 offset0:74 offset1:75
	v_xor_b32_e32 v24, v20, v21
	ds_read_b64 v[20:21], v37 offset:16384
	s_waitcnt lgkmcnt(2)
	v_mfma_f32_16x16x16_bf16 a[0:3], v[18:19], v[10:11], 0
	s_addc_u32 s13, s13, s1
	s_add_i32 s2, s41, -1
	s_add_i32 s0, s49, s48
	s_add_i32 s43, s0, s50
	s_mul_i32 s0, s46, s27
	s_mul_hi_u32 s1, s46, s26
	s_ashr_i32 s3, s2, 31
	s_mul_i32 s14, s2, s11
	s_mul_hi_u32 s15, s2, s10
	s_add_i32 s0, s1, s0
	s_mul_i32 s1, s25, s26
	s_add_i32 s14, s15, s14
	s_mul_i32 s3, s3, s10
	v_or_b32_e32 v22, v24, v22
	s_add_i32 s1, s0, s1
	s_add_i32 s3, s14, s3
	s_lshl_b64 s[14:15], s[42:43], 2
	v_xor_b32_e32 v47, v22, v23
	ds_read_b64 v[22:23], v38 offset:16384
	ds_read_b64 v[24:25], v47 offset:16384
	s_waitcnt lgkmcnt(2)
	v_mfma_f32_16x16x16_bf16 a[0:3], v[20:21], v[12:13], a[0:3]
	s_mul_i32 s0, s46, s26
	s_add_u32 s14, s18, s14
	s_addc_u32 s15, s19, s15
	s_lshl_b64 s[0:1], s[0:1], 2
	s_mul_i32 s2, s2, s10
	s_add_u32 s18, s14, s0
	s_addc_u32 s19, s15, s1
	s_lshl_b64 s[0:1], s[2:3], 2
	s_waitcnt lgkmcnt(1)
	v_mfma_f32_16x16x16_bf16 a[0:3], v[22:23], v[14:15], a[0:3]
	s_add_u32 s0, s18, s0
	s_addc_u32 s1, s19, s1
	s_load_dword s20, s[0:1], 0x0
	s_waitcnt lgkmcnt(0)
	v_mfma_f32_16x16x16_bf16 a[0:3], v[24:25], v[16:17], a[0:3]
	s_and_b64 vcc, exec, s[38:39]
	s_cbranch_vccz .LBB693_44
; %bb.34:
	v_lshlrev_b32_e32 v27, 1, v35
	s_and_b64 vcc, exec, s[4:5]
	s_cbranch_vccz .LBB693_45
; %bb.35:
	v_cmp_gt_i32_e32 vcc, s51, v27
	v_mov_b32_e32 v14, 0
	v_mov_b32_e32 v10, 0
	;; [unrolled: 1-line block ×5, first 2 shown]
	s_and_saveexec_b64 s[0:1], vcc
	s_cbranch_execz .LBB693_37
; %bb.36:
	v_mad_i64_i32 v[10:11], s[2:3], s23, v27, 0
	v_lshl_add_u64 v[10:11], v[10:11], 1, s[12:13]
	v_lshlrev_b32_e32 v12, 1, v26
	v_mov_b32_e32 v13, 0
	v_lshl_add_u64 v[10:11], v[10:11], 0, v[12:13]
	global_load_dwordx4 v[10:13], v[10:11], off
.LBB693_37:
	s_or_b64 exec, exec, s[0:1]
	v_or_b32_e32 v28, 1, v27
	v_cmp_gt_i32_e64 s[0:1], s51, v28
	v_mov_b32_e32 v15, 0
	v_mov_b32_e32 v16, 0
	;; [unrolled: 1-line block ×3, first 2 shown]
	s_and_saveexec_b64 s[2:3], s[0:1]
	s_cbranch_execz .LBB693_39
; %bb.38:
	v_mad_i64_i32 v[14:15], s[14:15], s23, v28, 0
	v_lshl_add_u64 v[14:15], v[14:15], 1, s[12:13]
	v_lshlrev_b32_e32 v16, 1, v26
	v_mov_b32_e32 v17, 0
	v_lshl_add_u64 v[14:15], v[14:15], 0, v[16:17]
	global_load_dwordx4 v[14:17], v[14:15], off
.LBB693_39:
	s_or_b64 exec, exec, s[2:3]
	v_mov_b32_e32 v25, 0
	v_mov_b32_e32 v18, 0
	;; [unrolled: 1-line block ×5, first 2 shown]
	s_and_saveexec_b64 s[2:3], vcc
	s_cbranch_execz .LBB693_41
; %bb.40:
	v_mad_i64_i32 v[18:19], s[14:15], s23, v27, 0
	v_lshl_add_u64 v[18:19], v[18:19], 1, s[12:13]
	v_lshlrev_b32_e32 v20, 1, v26
	v_mov_b32_e32 v21, 0
	v_lshl_add_u64 v[18:19], v[18:19], 0, v[20:21]
	global_load_dwordx4 v[18:21], v[18:19], off offset:128
.LBB693_41:
	s_or_b64 exec, exec, s[2:3]
	v_mov_b32_e32 v24, 0
	v_mov_b32_e32 v23, 0
	;; [unrolled: 1-line block ×3, first 2 shown]
	s_and_saveexec_b64 s[2:3], s[0:1]
	s_cbranch_execz .LBB693_43
; %bb.42:
	v_mad_i64_i32 v[22:23], s[0:1], s23, v28, 0
	v_lshl_add_u64 v[22:23], v[22:23], 1, s[12:13]
	v_lshlrev_b32_e32 v24, 1, v26
	v_mov_b32_e32 v25, 0
	v_lshl_add_u64 v[22:23], v[22:23], 0, v[24:25]
	global_load_dwordx4 v[22:25], v[22:23], off offset:128
.LBB693_43:
	s_or_b64 exec, exec, s[2:3]
	s_branch .LBB693_47
.LBB693_44:
                                        ; implicit-def: $vgpr13
                                        ; implicit-def: $vgpr17
                                        ; implicit-def: $vgpr21
                                        ; implicit-def: $vgpr25
	v_lshrrev_b32_e32 v50, 2, v50
	s_branch .LBB693_48
.LBB693_45:
                                        ; implicit-def: $vgpr13
                                        ; implicit-def: $vgpr17
                                        ; implicit-def: $vgpr21
                                        ; implicit-def: $vgpr25
	s_cbranch_execz .LBB693_47
; %bb.46:
	s_waitcnt vmcnt(0)
	v_mad_u64_u32 v[10:11], s[0:1], v27, s23, v[26:27]
	v_lshlrev_b32_e32 v27, 1, v10
	s_lshl_b32 s2, s23, 7
	s_and_b32 s1, s13, 0xffff
	s_mov_b32 s3, 0x20000
	s_mov_b32 s0, s12
	v_add_lshl_u32 v28, v10, s23, 1
	s_movk_i32 s14, 0x80
	buffer_load_dwordx4 v[10:13], v27, s[0:3], 0 offen
	buffer_load_dwordx4 v[18:21], v27, s[0:3], s14 offen
	;; [unrolled: 1-line block ×4, first 2 shown]
.LBB693_47:
	v_lshrrev_b32_e32 v50, 2, v50
	s_cbranch_execnz .LBB693_60
.LBB693_48:
	s_and_b64 vcc, exec, s[4:5]
	s_cbranch_vccz .LBB693_58
; %bb.49:
	s_waitcnt vmcnt(0)
	v_lshlrev_b32_e32 v15, 1, v35
	v_cmp_gt_i32_e32 vcc, s51, v15
	v_mov_b32_e32 v14, 0
	v_lshlrev_b32_e32 v22, 9, v35
	v_mov_b32_e32 v10, 0
	v_mov_b32_e32 v11, 0
	v_mov_b32_e32 v12, 0
	v_mov_b32_e32 v13, 0
	s_and_saveexec_b64 s[0:1], vcc
	s_cbranch_execz .LBB693_51
; %bb.50:
	v_mov_b32_e32 v23, 0
	v_lshl_add_u64 v[10:11], s[12:13], 0, v[22:23]
	v_lshlrev_b32_e32 v12, 1, v26
	v_mov_b32_e32 v13, v23
	v_lshl_add_u64 v[10:11], v[10:11], 0, v[12:13]
	global_load_dwordx4 v[10:13], v[10:11], off
.LBB693_51:
	s_or_b64 exec, exec, s[0:1]
	v_or_b32_e32 v15, 1, v15
	v_cmp_gt_i32_e64 s[0:1], s51, v15
	v_lshlrev_b32_e32 v28, 8, v15
	v_mov_b32_e32 v15, 0
	v_mov_b32_e32 v16, 0
	;; [unrolled: 1-line block ×3, first 2 shown]
	s_and_saveexec_b64 s[2:3], s[0:1]
	s_cbranch_execz .LBB693_53
; %bb.52:
	v_mov_b32_e32 v29, 0
	v_lshl_add_u64 v[14:15], s[12:13], 0, v[28:29]
	v_lshlrev_b32_e32 v16, 1, v26
	v_mov_b32_e32 v17, v29
	v_lshl_add_u64 v[14:15], v[14:15], 0, v[16:17]
	global_load_dwordx4 v[14:17], v[14:15], off
.LBB693_53:
	s_or_b64 exec, exec, s[2:3]
	v_mov_b32_e32 v25, 0
	v_mov_b32_e32 v18, 0
	;; [unrolled: 1-line block ×5, first 2 shown]
	s_and_saveexec_b64 s[2:3], vcc
	s_cbranch_execz .LBB693_55
; %bb.54:
	v_mov_b32_e32 v23, 0
	v_lshl_add_u64 v[18:19], s[12:13], 0, v[22:23]
	v_lshlrev_b32_e32 v22, 1, v26
	v_lshl_add_u64 v[18:19], v[18:19], 0, v[22:23]
	global_load_dwordx4 v[18:21], v[18:19], off offset:128
.LBB693_55:
	s_or_b64 exec, exec, s[2:3]
	v_mov_b32_e32 v24, 0
	v_mov_b32_e32 v23, 0
	;; [unrolled: 1-line block ×3, first 2 shown]
	s_and_saveexec_b64 s[2:3], s[0:1]
	s_cbranch_execz .LBB693_57
; %bb.56:
	v_mov_b32_e32 v29, 0
	v_lshl_add_u64 v[22:23], s[12:13], 0, v[28:29]
	v_lshlrev_b32_e32 v28, 1, v26
	v_lshl_add_u64 v[22:23], v[22:23], 0, v[28:29]
	global_load_dwordx4 v[22:25], v[22:23], off offset:128
.LBB693_57:
	s_or_b64 exec, exec, s[2:3]
	s_branch .LBB693_60
.LBB693_58:
                                        ; implicit-def: $vgpr13
                                        ; implicit-def: $vgpr17
                                        ; implicit-def: $vgpr21
                                        ; implicit-def: $vgpr25
	s_cbranch_execz .LBB693_60
; %bb.59:
	s_waitcnt vmcnt(0)
	v_lshlrev_b32_e32 v10, 1, v26
	v_lshl_or_b32 v26, v35, 9, v10
	s_and_b32 s13, s13, 0xffff
	s_mov_b32 s15, 0x20000
	s_movk_i32 s14, 0x4000
	s_movk_i32 s0, 0x80
	buffer_load_dwordx4 v[10:13], v26, s[12:15], 0 offen
	buffer_load_dwordx4 v[14:17], v26, s[12:15], 0 offen offset:256
	buffer_load_dwordx4 v[18:21], v26, s[12:15], s0 offen
	buffer_load_dwordx4 v[22:25], v26, s[12:15], s0 offen offset:256
.LBB693_60:
	ds_read2st64_b64 v[30:33], v46 offset0:76 offset1:77
	ds_read2st64_b64 v[26:29], v46 offset0:78 offset1:79
	ds_read_b64 v[42:43], v36 offset:24576
	ds_read_b64 v[40:41], v37 offset:24576
	;; [unrolled: 1-line block ×4, first 2 shown]
	v_and_b32_e32 v47, 6, v0
	v_xor_b32_e32 v35, v35, v47
	v_lshlrev_b32_e32 v35, 2, v35
	v_and_b32_e32 v51, 1, v0
	v_xor_b32_e32 v52, 0x440, v35
	v_cmp_eq_u32_e32 vcc, 0, v51
	s_mov_b32 s0, 0x1000504
	s_waitcnt vmcnt(0)
	v_perm_b32 v51, v18, v22, s0
	v_cndmask_b32_e32 v35, v52, v35, vcc
	v_lshl_or_b32 v35, v47, 10, v35
	v_perm_b32 v47, v10, v14, s0
	ds_write2st64_b32 v35, v47, v51 offset1:32
	v_xor_b32_e32 v47, 8, v35
	s_mov_b32 s1, 0x3020706
	v_perm_b32 v10, v10, v14, s1
	v_perm_b32 v14, v18, v22, s1
	v_add_u32_e32 v18, 0x80, v47
	ds_write2st64_b32 v18, v10, v14 offset1:32
	v_xor_b32_e32 v10, 16, v35
	v_perm_b32 v14, v11, v15, s0
	v_perm_b32 v18, v19, v23, s0
	ds_write2st64_b32 v10, v14, v18 offset0:1 offset1:33
	v_xor_b32_e32 v10, 24, v35
	v_perm_b32 v11, v11, v15, s1
	v_perm_b32 v14, v19, v23, s1
	v_add_u32_e32 v10, 0x80, v10
	ds_write2st64_b32 v10, v11, v14 offset0:1 offset1:33
	v_xor_b32_e32 v10, 32, v35
	v_perm_b32 v11, v12, v16, s0
	v_perm_b32 v14, v20, v24, s0
	ds_write2st64_b32 v10, v11, v14 offset0:2 offset1:34
	v_xor_b32_e32 v10, 40, v35
	v_perm_b32 v11, v12, v16, s1
	v_perm_b32 v12, v20, v24, s1
	v_add_u32_e32 v10, 0x80, v10
	ds_write2st64_b32 v10, v11, v12 offset0:2 offset1:34
	v_xor_b32_e32 v10, 48, v35
	v_perm_b32 v11, v13, v17, s0
	v_perm_b32 v12, v21, v25, s0
	ds_write2st64_b32 v10, v11, v12 offset0:3 offset1:35
	v_xor_b32_e32 v10, 56, v35
	v_and_or_b32 v18, v50, 12, v49
	v_perm_b32 v11, v13, v17, s1
	v_perm_b32 v12, v21, v25, s1
	v_add_u32_e32 v10, 0x80, v10
	v_cmp_gt_i32_e64 s[2:3], s51, v18
	v_mov_b32_e32 v20, 0
	v_mov_b32_e32 v25, 0
	ds_write2st64_b32 v10, v11, v12 offset0:3 offset1:35
	s_and_saveexec_b64 s[0:1], s[2:3]
	s_cbranch_execz .LBB693_62
; %bb.61:
	v_add_u32_e32 v10, s24, v18
	v_ashrrev_i32_e32 v11, 31, v10
	v_mul_lo_u32 v12, v11, s10
	v_mul_lo_u32 v13, v10, s11
	v_mad_u64_u32 v[10:11], s[4:5], v10, s10, 0
	v_add3_u32 v11, v11, v13, v12
	v_lshl_add_u64 v[10:11], v[10:11], 2, s[18:19]
	global_load_dword v10, v[10:11], off
	s_waitcnt vmcnt(0)
	v_sub_f32_e32 v10, s20, v10
	v_exp_f32_e32 v25, v10
.LBB693_62:
	s_or_b64 exec, exec, s[0:1]
	v_or_b32_e32 v23, 1, v18
	v_cmp_gt_i32_e64 s[4:5], s51, v23
	s_and_saveexec_b64 s[0:1], s[4:5]
	s_cbranch_execz .LBB693_64
; %bb.63:
	v_add_u32_e32 v10, s24, v23
	v_ashrrev_i32_e32 v11, 31, v10
	v_mul_lo_u32 v12, v11, s10
	v_mul_lo_u32 v13, v10, s11
	v_mad_u64_u32 v[10:11], s[12:13], v10, s10, 0
	v_add3_u32 v11, v11, v13, v12
	v_lshl_add_u64 v[10:11], v[10:11], 2, s[18:19]
	global_load_dword v10, v[10:11], off
	s_waitcnt vmcnt(0)
	v_sub_f32_e32 v10, s20, v10
	v_exp_f32_e32 v20, v10
.LBB693_64:
	s_or_b64 exec, exec, s[0:1]
	v_or_b32_e32 v22, 2, v18
	v_cmp_gt_i32_e64 s[0:1], s51, v22
	v_mov_b32_e32 v19, 0
	v_mov_b32_e32 v24, 0
	s_and_saveexec_b64 s[12:13], s[0:1]
	s_cbranch_execz .LBB693_66
; %bb.65:
	v_add_u32_e32 v10, s24, v22
	v_ashrrev_i32_e32 v11, 31, v10
	v_mul_lo_u32 v12, v11, s10
	v_mul_lo_u32 v13, v10, s11
	v_mad_u64_u32 v[10:11], s[14:15], v10, s10, 0
	v_add3_u32 v11, v11, v13, v12
	v_lshl_add_u64 v[10:11], v[10:11], 2, s[18:19]
	global_load_dword v10, v[10:11], off
	s_waitcnt vmcnt(0)
	v_sub_f32_e32 v10, s20, v10
	v_exp_f32_e32 v24, v10
.LBB693_66:
	s_or_b64 exec, exec, s[12:13]
	v_or_b32_e32 v21, 3, v18
	v_cmp_gt_i32_e32 vcc, s51, v21
	s_and_saveexec_b64 s[12:13], vcc
	s_cbranch_execz .LBB693_68
; %bb.67:
	v_add_u32_e32 v10, s24, v21
	v_ashrrev_i32_e32 v11, 31, v10
	v_mul_lo_u32 v12, v11, s10
	v_mul_lo_u32 v13, v10, s11
	v_mad_u64_u32 v[10:11], s[10:11], v10, s10, 0
	v_add3_u32 v11, v11, v13, v12
	v_lshl_add_u64 v[10:11], v[10:11], 2, s[18:19]
	global_load_dword v10, v[10:11], off
	s_waitcnt vmcnt(0)
	v_sub_f32_e32 v10, s20, v10
	v_exp_f32_e32 v19, v10
.LBB693_68:
	s_or_b64 exec, exec, s[12:13]
	s_waitcnt lgkmcnt(11)
	v_mfma_f32_16x16x16_bf16 a[0:3], v[42:43], v[30:31], a[0:3]
	s_add_u32 s10, s16, s36
	s_addc_u32 s11, s17, s37
	v_ashrrev_i32_e32 v35, 31, v34
	s_waitcnt lgkmcnt(10)
	v_mfma_f32_16x16x16_bf16 a[0:3], v[40:41], v[32:33], a[0:3]
	s_add_u32 s6, s6, s36
	v_lshlrev_b64 v[10:11], 1, v[34:35]
	s_addc_u32 s7, s7, s37
	s_waitcnt lgkmcnt(9)
	v_mfma_f32_16x16x16_bf16 a[0:3], v[38:39], v[26:27], a[0:3]
	v_lshl_add_u64 v[14:15], s[10:11], 0, v[10:11]
	v_lshl_add_u64 v[16:17], s[6:7], 0, v[10:11]
	v_mov_b32_e32 v26, 0
	s_waitcnt lgkmcnt(8)
	v_mfma_f32_16x16x16_bf16 a[0:3], v[36:37], v[28:29], a[0:3]
	v_mov_b32_e32 v27, 0
	s_nop 5
	v_accvgpr_read_b32 v13, a3
	v_accvgpr_read_b32 v12, a2
	;; [unrolled: 1-line block ×4, first 2 shown]
	s_and_saveexec_b64 s[6:7], s[2:3]
	s_cbranch_execz .LBB693_70
; %bb.69:
	v_lshlrev_b32_e32 v28, 8, v18
	v_mov_b32_e32 v29, 0
	v_lshl_add_u64 v[30:31], v[14:15], 0, v[28:29]
	global_load_ushort v27, v[30:31], off
	v_lshl_add_u64 v[28:29], v[16:17], 0, v[28:29]
	s_waitcnt vmcnt(0)
	v_lshlrev_b32_e32 v27, 16, v27
	v_sub_f32_e32 v10, v27, v10
	global_store_short_d16_hi v[28:29], v10, off
	v_mul_f32_e32 v10, v25, v10
	v_lshrrev_b32_e32 v27, 16, v10
.LBB693_70:
	s_or_b64 exec, exec, s[6:7]
	s_and_saveexec_b64 s[2:3], s[4:5]
	s_cbranch_execz .LBB693_72
; %bb.71:
	v_lshlrev_b32_e32 v28, 8, v23
	v_mov_b32_e32 v29, 0
	v_lshl_add_u64 v[30:31], v[14:15], 0, v[28:29]
	global_load_ushort v10, v[30:31], off
	v_lshl_add_u64 v[28:29], v[16:17], 0, v[28:29]
	s_waitcnt vmcnt(0)
	v_lshlrev_b32_e32 v10, 16, v10
	v_sub_f32_e32 v10, v10, v11
	global_store_short_d16_hi v[28:29], v10, off
	v_mul_f32_e32 v10, v20, v10
	v_lshrrev_b32_e32 v26, 16, v10
.LBB693_72:
	s_or_b64 exec, exec, s[2:3]
	v_mov_b32_e32 v11, 0
	v_mov_b32_e32 v20, 0
	s_and_saveexec_b64 s[2:3], s[0:1]
	s_cbranch_execz .LBB693_74
; %bb.73:
	v_lshlrev_b32_e32 v22, 8, v22
	v_mov_b32_e32 v23, 0
	v_lshl_add_u64 v[28:29], v[14:15], 0, v[22:23]
	global_load_ushort v10, v[28:29], off
	v_lshl_add_u64 v[22:23], v[16:17], 0, v[22:23]
	s_waitcnt vmcnt(0)
	v_lshlrev_b32_e32 v10, 16, v10
	v_sub_f32_e32 v10, v10, v12
	global_store_short_d16_hi v[22:23], v10, off
	v_mul_f32_e32 v10, v24, v10
	v_lshrrev_b32_e32 v20, 16, v10
.LBB693_74:
	s_or_b64 exec, exec, s[2:3]
	v_or_b32_e32 v10, 0x9800, v46
	s_and_saveexec_b64 s[0:1], vcc
	s_cbranch_execz .LBB693_76
; %bb.75:
	v_lshlrev_b32_e32 v22, 8, v21
	v_mov_b32_e32 v23, 0
	v_lshl_add_u64 v[14:15], v[14:15], 0, v[22:23]
	global_load_ushort v11, v[14:15], off
	v_lshl_add_u64 v[14:15], v[16:17], 0, v[22:23]
	s_waitcnt vmcnt(0)
	v_lshlrev_b32_e32 v11, 16, v11
	v_sub_f32_e32 v11, v11, v13
	global_store_short_d16_hi v[14:15], v11, off
	v_mul_f32_e32 v11, v19, v11
	v_lshrrev_b32_e32 v11, 16, v11
.LBB693_76:
	s_or_b64 exec, exec, s[0:1]
	s_mov_b32 s0, 0x5040100
	v_perm_b32 v13, v11, v20, s0
	v_lshlrev_b32_e32 v11, 1, v44
	v_perm_b32 v12, v26, v27, s0
	v_lshl_or_b32 v11, v18, 5, v11
	s_movk_i32 s0, 0xff
	ds_write_b64 v11, v[12:13] offset:38912
	v_and_b32_e32 v11, 7, v0
	v_and_b32_e32 v12, 8, v0
	v_cmp_lt_u32_e32 vcc, s0, v0
	v_lshrrev_b32_e32 v0, 1, v0
	v_lshlrev_b32_e32 v22, 3, v11
	v_lshlrev_b32_e32 v23, 7, v11
	v_cndmask_b32_e64 v11, 0, 1, vcc
	v_lshlrev_b32_e32 v25, 3, v48
	v_and_b32_e32 v0, 24, v0
	v_lshlrev_b32_e32 v24, 13, v11
	v_xor_b32_e32 v11, v25, v0
	v_or_b32_e32 v13, 0x440, v11
	v_cmp_eq_u32_e32 vcc, 0, v12
	s_waitcnt lgkmcnt(0)
	s_barrier
	v_cndmask_b32_e32 v11, v13, v11, vcc
	v_or_b32_e32 v11, v11, v45
	v_xad_u32 v26, v11, v22, v23
	v_add_u32_e32 v11, v24, v26
	ds_read_b64 v[20:21], v11
	ds_read2st64_b64 v[12:15], v10 offset1:1
	ds_read2st64_b64 v[16:19], v10 offset0:2 offset1:3
	v_or_b32_e32 v10, 32, v0
	v_xor_b32_e32 v10, v25, v10
	v_or_b32_e32 v11, 0x440, v10
	v_cndmask_b32_e32 v10, v11, v10, vcc
	v_or_b32_e32 v10, v10, v45
	v_xad_u32 v27, v10, v22, v23
	v_add_u32_e32 v10, v24, v27
	ds_read_b64 v[10:11], v10
	s_waitcnt lgkmcnt(2)
	v_mfma_f32_16x16x16_bf16 a[0:3], v[20:21], v[12:13], 0
	s_waitcnt lgkmcnt(0)
	v_mfma_f32_16x16x16_bf16 a[0:3], v[10:11], v[14:15], a[0:3]
	v_or_b32_e32 v10, 64, v0
	v_xor_b32_e32 v10, v25, v10
	v_xor_b32_e32 v11, 0x440, v10
	v_cndmask_b32_e32 v10, v11, v10, vcc
	v_or_b32_e32 v10, v10, v45
	v_or_b32_e32 v0, 0x60, v0
	v_xad_u32 v28, v10, v22, v23
	v_xor_b32_e32 v0, v25, v0
	v_add_u32_e32 v10, v24, v28
	v_xor_b32_e32 v20, 0x440, v0
	ds_read_b64 v[10:11], v10
	v_cndmask_b32_e32 v0, v20, v0, vcc
	v_or_b32_e32 v0, v0, v45
	v_xad_u32 v0, v0, v22, v23
	v_add_u32_e32 v20, v24, v0
	ds_read_b64 v[20:21], v20
	s_waitcnt lgkmcnt(1)
	v_mfma_f32_16x16x16_bf16 a[0:3], v[10:11], v[16:17], a[0:3]
	ds_read_b64 v[10:11], v26 offset:8192
	ds_read_b64 v[22:23], v28 offset:8192
	v_exp_f32_e32 v24, s20
	s_waitcnt lgkmcnt(2)
	v_mfma_f32_16x16x16_bf16 a[0:3], v[20:21], v[18:19], a[0:3]
	ds_read_b64 v[20:21], v27 offset:8192
	s_waitcnt lgkmcnt(2)
	v_mfma_f32_16x16x16_bf16 a[4:7], v[10:11], v[12:13], 0
	s_nop 3
	v_accvgpr_read_b32 v10, a0
	v_fma_f32 v12, v2, v24, v10
	ds_read_b64 v[10:11], v0 offset:8192
	s_waitcnt lgkmcnt(1)
	v_mfma_f32_16x16x16_bf16 a[4:7], v[20:21], v[14:15], a[4:7]
	v_accvgpr_read_b32 v0, a1
	v_fma_f32 v13, v3, v24, v0
	v_accvgpr_read_b32 v0, a2
	v_mfma_f32_16x16x16_bf16 a[4:7], v[22:23], v[16:17], a[4:7]
	v_accvgpr_read_b32 v15, a3
	v_fma_f32 v14, v4, v24, v0
	v_fmac_f32_e32 v15, v5, v24
	s_waitcnt lgkmcnt(0)
	v_mfma_f32_16x16x16_bf16 a[0:3], v[10:11], v[18:19], a[4:7]
	v_mov_b32_e32 v10, v34
	s_nop 5
	v_accvgpr_read_b32 v0, a0
	v_fma_f32 v16, v6, v24, v0
	v_accvgpr_read_b32 v0, a1
	v_fma_f32 v17, v7, v24, v0
	v_accvgpr_read_b32 v0, a2
	v_accvgpr_read_b32 v19, a3
	v_fma_f32 v18, v8, v24, v0
	v_fmac_f32_e32 v19, v9, v24
	v_mov_b64_e32 v[2:3], v[12:13]
	v_mov_b64_e32 v[4:5], v[14:15]
	;; [unrolled: 1-line block ×4, first 2 shown]
.LBB693_77:
	s_mul_i32 s0, s47, s35
	s_mul_hi_u32 s1, s47, s34
	s_add_i32 s0, s1, s0
	s_mul_i32 s1, s33, s34
	s_add_i32 s1, s0, s1
	s_mul_i32 s0, s47, s34
	s_add_u32 s0, s0, s46
	s_addc_u32 s1, s1, s25
	s_lshl_b64 s[0:1], s[0:1], 16
	s_add_u32 s0, s8, s0
	v_lshlrev_b32_e32 v10, 7, v10
	s_addc_u32 s1, s9, s1
	v_ashrrev_i32_e32 v11, 31, v10
	v_lshl_add_u64 v[10:11], v[10:11], 2, s[0:1]
	v_lshlrev_b32_e32 v0, 2, v1
	v_mov_b32_e32 v1, 0
	v_lshl_add_u64 v[0:1], v[10:11], 0, v[0:1]
	global_store_dwordx4 v[0:1], v[2:5], off
	global_store_dwordx4 v[0:1], v[6:9], off offset:256
	s_endpgm
	.section	.rodata,"a",@progbits
	.p2align	6, 0x0
	.amdhsa_kernel _ZN12_GLOBAL__N_139chunk_gated_delta_rule_fwd_h_hip_kernelILi16ELb0ELb1ELb1ELb1ELb1ELb0ELb0ELb0EEEvPK12hip_bfloat16S3_S3_PKfS5_PKvPS1_S8_PvPKiSB_iiiiilll
		.amdhsa_group_segment_fixed_size 40960
		.amdhsa_private_segment_fixed_size 0
		.amdhsa_kernarg_size 136
		.amdhsa_user_sgpr_count 2
		.amdhsa_user_sgpr_dispatch_ptr 0
		.amdhsa_user_sgpr_queue_ptr 0
		.amdhsa_user_sgpr_kernarg_segment_ptr 1
		.amdhsa_user_sgpr_dispatch_id 0
		.amdhsa_user_sgpr_kernarg_preload_length 0
		.amdhsa_user_sgpr_kernarg_preload_offset 0
		.amdhsa_user_sgpr_private_segment_size 0
		.amdhsa_uses_dynamic_stack 0
		.amdhsa_enable_private_segment 0
		.amdhsa_system_sgpr_workgroup_id_x 1
		.amdhsa_system_sgpr_workgroup_id_y 1
		.amdhsa_system_sgpr_workgroup_id_z 0
		.amdhsa_system_sgpr_workgroup_info 0
		.amdhsa_system_vgpr_workitem_id 0
		.amdhsa_next_free_vgpr 116
		.amdhsa_next_free_sgpr 66
		.amdhsa_accum_offset 108
		.amdhsa_reserve_vcc 1
		.amdhsa_float_round_mode_32 0
		.amdhsa_float_round_mode_16_64 0
		.amdhsa_float_denorm_mode_32 3
		.amdhsa_float_denorm_mode_16_64 3
		.amdhsa_dx10_clamp 1
		.amdhsa_ieee_mode 1
		.amdhsa_fp16_overflow 0
		.amdhsa_tg_split 0
		.amdhsa_exception_fp_ieee_invalid_op 0
		.amdhsa_exception_fp_denorm_src 0
		.amdhsa_exception_fp_ieee_div_zero 0
		.amdhsa_exception_fp_ieee_overflow 0
		.amdhsa_exception_fp_ieee_underflow 0
		.amdhsa_exception_fp_ieee_inexact 0
		.amdhsa_exception_int_div_zero 0
	.end_amdhsa_kernel
	.section	.text._ZN12_GLOBAL__N_139chunk_gated_delta_rule_fwd_h_hip_kernelILi16ELb0ELb1ELb1ELb1ELb1ELb0ELb0ELb0EEEvPK12hip_bfloat16S3_S3_PKfS5_PKvPS1_S8_PvPKiSB_iiiiilll,"axG",@progbits,_ZN12_GLOBAL__N_139chunk_gated_delta_rule_fwd_h_hip_kernelILi16ELb0ELb1ELb1ELb1ELb1ELb0ELb0ELb0EEEvPK12hip_bfloat16S3_S3_PKfS5_PKvPS1_S8_PvPKiSB_iiiiilll,comdat
.Lfunc_end693:
	.size	_ZN12_GLOBAL__N_139chunk_gated_delta_rule_fwd_h_hip_kernelILi16ELb0ELb1ELb1ELb1ELb1ELb0ELb0ELb0EEEvPK12hip_bfloat16S3_S3_PKfS5_PKvPS1_S8_PvPKiSB_iiiiilll, .Lfunc_end693-_ZN12_GLOBAL__N_139chunk_gated_delta_rule_fwd_h_hip_kernelILi16ELb0ELb1ELb1ELb1ELb1ELb0ELb0ELb0EEEvPK12hip_bfloat16S3_S3_PKfS5_PKvPS1_S8_PvPKiSB_iiiiilll
                                        ; -- End function
	.section	.AMDGPU.csdata,"",@progbits
; Kernel info:
; codeLenInByte = 7804
; NumSgprs: 72
; NumVgprs: 108
; NumAgprs: 8
; TotalNumVgprs: 116
; ScratchSize: 0
; MemoryBound: 0
; FloatMode: 240
; IeeeMode: 1
; LDSByteSize: 40960 bytes/workgroup (compile time only)
; SGPRBlocks: 8
; VGPRBlocks: 14
; NumSGPRsForWavesPerEU: 72
; NumVGPRsForWavesPerEU: 116
; AccumOffset: 108
; Occupancy: 1
; WaveLimiterHint : 1
; COMPUTE_PGM_RSRC2:SCRATCH_EN: 0
; COMPUTE_PGM_RSRC2:USER_SGPR: 2
; COMPUTE_PGM_RSRC2:TRAP_HANDLER: 0
; COMPUTE_PGM_RSRC2:TGID_X_EN: 1
; COMPUTE_PGM_RSRC2:TGID_Y_EN: 1
; COMPUTE_PGM_RSRC2:TGID_Z_EN: 0
; COMPUTE_PGM_RSRC2:TIDIG_COMP_CNT: 0
; COMPUTE_PGM_RSRC3_GFX90A:ACCUM_OFFSET: 26
; COMPUTE_PGM_RSRC3_GFX90A:TG_SPLIT: 0
	.section	.text._ZN12_GLOBAL__N_139chunk_gated_delta_rule_fwd_h_hip_kernelILi16ELb0ELb1ELb0ELb1ELb1ELb0ELb0ELb0EEEvPK12hip_bfloat16S3_S3_PKfS5_PKvPS1_S8_PvPKiSB_iiiiilll,"axG",@progbits,_ZN12_GLOBAL__N_139chunk_gated_delta_rule_fwd_h_hip_kernelILi16ELb0ELb1ELb0ELb1ELb1ELb0ELb0ELb0EEEvPK12hip_bfloat16S3_S3_PKfS5_PKvPS1_S8_PvPKiSB_iiiiilll,comdat
	.globl	_ZN12_GLOBAL__N_139chunk_gated_delta_rule_fwd_h_hip_kernelILi16ELb0ELb1ELb0ELb1ELb1ELb0ELb0ELb0EEEvPK12hip_bfloat16S3_S3_PKfS5_PKvPS1_S8_PvPKiSB_iiiiilll ; -- Begin function _ZN12_GLOBAL__N_139chunk_gated_delta_rule_fwd_h_hip_kernelILi16ELb0ELb1ELb0ELb1ELb1ELb0ELb0ELb0EEEvPK12hip_bfloat16S3_S3_PKfS5_PKvPS1_S8_PvPKiSB_iiiiilll
	.p2align	8
	.type	_ZN12_GLOBAL__N_139chunk_gated_delta_rule_fwd_h_hip_kernelILi16ELb0ELb1ELb0ELb1ELb1ELb0ELb0ELb0EEEvPK12hip_bfloat16S3_S3_PKfS5_PKvPS1_S8_PvPKiSB_iiiiilll,@function
_ZN12_GLOBAL__N_139chunk_gated_delta_rule_fwd_h_hip_kernelILi16ELb0ELb1ELb0ELb1ELb1ELb0ELb0ELb0EEEvPK12hip_bfloat16S3_S3_PKfS5_PKvPS1_S8_PvPKiSB_iiiiilll: ; @_ZN12_GLOBAL__N_139chunk_gated_delta_rule_fwd_h_hip_kernelILi16ELb0ELb1ELb0ELb1ELb1ELb0ELb0ELb0EEEvPK12hip_bfloat16S3_S3_PKfS5_PKvPS1_S8_PvPKiSB_iiiiilll
; %bb.0:
	s_load_dwordx4 s[16:19], s[0:1], 0x5c
	s_abs_i32 s23, s3
	s_ashr_i32 s22, s3, 31
	s_load_dwordx2 s[20:21], s[0:1], 0x50
	s_load_dwordx8 s[4:11], s[0:1], 0x0
	s_load_dwordx4 s[12:15], s[0:1], 0x40
	s_load_dwordx2 s[40:41], s[0:1], 0x30
	s_waitcnt lgkmcnt(0)
	s_abs_i32 s26, s17
	v_cvt_f32_u32_e32 v1, s26
	s_sub_i32 s24, 0, s26
	s_ashr_i32 s33, s17, 31
	s_xor_b32 s22, s22, s33
	v_rcp_iflag_f32_e32 v1, v1
	v_lshrrev_b32_e32 v46, 6, v0
	v_bfe_u32 v49, v0, 4, 2
	v_lshlrev_b32_e32 v47, 4, v46
	v_mul_f32_e32 v1, 0x4f7ffffe, v1
	v_cvt_u32_f32_e32 v1, v1
	v_lshlrev_b32_e32 v10, 2, v49
	v_and_b32_e32 v48, 63, v0
	v_mov_b32_e32 v9, 0
	v_readfirstlane_b32 s25, v1
	s_mul_i32 s24, s24, s25
	s_mul_hi_u32 s24, s25, s24
	s_add_i32 s25, s25, s24
	s_mul_hi_u32 s24, s23, s25
	s_mul_i32 s25, s24, s26
	s_sub_i32 s23, s23, s25
	s_add_i32 s27, s24, 1
	s_sub_i32 s25, s23, s26
	s_cmp_ge_u32 s23, s26
	s_cselect_b32 s24, s27, s24
	s_cselect_b32 s23, s25, s23
	s_add_i32 s25, s24, 1
	s_cmp_ge_u32 s23, s26
	s_cselect_b32 s23, s25, s24
	s_xor_b32 s23, s23, s22
	s_sub_i32 s34, s23, s22
	s_mul_i32 s22, s34, s17
	s_ashr_i32 s35, s34, 31
	s_sub_i32 s44, s3, s22
	s_lshl_b64 s[22:23], s[34:35], 2
	s_add_u32 s14, s14, s22
	s_addc_u32 s15, s15, s23
	s_add_u32 s24, s20, s22
	s_addc_u32 s25, s21, s23
	s_abs_i32 s3, s18
	v_cvt_f32_u32_e32 v1, s3
	s_load_dwordx2 s[36:37], s[14:15], 0x0
	s_sub_i32 s15, 0, s3
	s_mov_b32 s45, s17
	v_rcp_iflag_f32_e32 v1, v1
	v_and_b32_e32 v50, 15, v0
	s_waitcnt lgkmcnt(0)
	s_sub_i32 s49, s37, s36
	s_ashr_i32 s14, s49, 31
	v_mul_f32_e32 v1, 0x4f7ffffe, v1
	v_cvt_u32_f32_e32 v1, v1
	s_lshr_b32 s14, s14, 26
	s_add_i32 s14, s49, s14
	s_ashr_i32 s50, s14, 6
	v_readfirstlane_b32 s20, v1
	s_mul_i32 s15, s15, s20
	s_mul_hi_u32 s15, s20, s15
	s_add_i32 s20, s20, s15
	s_mul_hi_u32 s15, s26, s20
	s_mul_i32 s20, s15, s3
	s_ashr_i32 s14, s18, 31
	s_sub_i32 s20, s26, s20
	s_xor_b32 s14, s33, s14
	s_add_i32 s21, s15, 1
	s_sub_i32 s22, s20, s3
	s_cmp_ge_u32 s20, s3
	s_cselect_b32 s15, s21, s15
	s_cselect_b32 s20, s22, s20
	s_add_i32 s21, s15, 1
	s_cmp_ge_u32 s20, s3
	s_cselect_b32 s3, s21, s15
	s_xor_b32 s3, s3, s14
	s_sub_i32 s3, s3, s14
	s_abs_i32 s26, s3
	v_cvt_f32_u32_e32 v1, s26
	s_load_dwordx2 s[14:15], s[0:1], 0x80
	s_load_dwordx4 s[20:23], s[0:1], 0x70
	s_load_dword s51, s[24:25], 0x0
	s_xor_b32 s0, s44, s3
	v_rcp_iflag_f32_e32 v1, v1
	s_sub_i32 s3, 0, s26
	s_abs_i32 s1, s44
	s_ashr_i32 s0, s0, 31
	v_mul_f32_e32 v1, 0x4f7ffffe, v1
	v_cvt_u32_f32_e32 v1, v1
	s_mul_hi_i32 s52, s44, s16
	s_mul_i32 s53, s44, s16
	v_lshrrev_b32_e32 v52, 3, v48
	v_readfirstlane_b32 s24, v1
	s_mul_i32 s3, s3, s24
	s_mul_hi_u32 s3, s24, s3
	s_add_i32 s24, s24, s3
	s_mul_hi_u32 s3, s1, s24
	s_mul_i32 s24, s3, s26
	s_sub_i32 s1, s1, s24
	s_add_i32 s24, s3, 1
	s_sub_i32 s25, s1, s26
	s_cmp_ge_u32 s1, s26
	s_cselect_b32 s3, s24, s3
	s_cselect_b32 s1, s25, s1
	s_add_i32 s24, s3, 1
	s_cmp_ge_u32 s1, s26
	s_cselect_b32 s1, s24, s3
	s_xor_b32 s1, s1, s0
	s_sub_i32 s54, s1, s0
	v_or_b32_e32 v1, v10, v47
	s_lshl_b32 s2, s2, 4
	v_or_b32_e32 v53, 64, v1
	s_cmp_lt_i32 s49, 64
	v_lshlrev_b32_e32 v51, 3, v0
	s_waitcnt lgkmcnt(0)
	s_mul_i32 s46, s34, s21
	s_mul_hi_u32 s47, s34, s20
	s_mul_i32 s48, s35, s20
	s_mul_i32 s38, s34, s20
	v_mov_b32_e32 v8, v9
	v_mov_b32_e32 v7, v9
	v_mov_b32_e32 v6, v9
	v_mov_b32_e32 v5, v9
	v_mov_b32_e32 v4, v9
	v_mov_b32_e32 v3, v9
	v_mov_b32_e32 v2, v9
	s_cbranch_scc1 .LBB694_18
; %bb.1:
	s_ashr_i32 s56, s44, 31
	s_ashr_i32 s1, s36, 31
	s_add_u32 s0, s53, s36
	s_addc_u32 s1, s52, s1
	s_lshl_b64 s[0:1], s[0:1], 8
	v_and_b32_e32 v55, 56, v51
	s_add_u32 s24, s6, s0
	v_lshl_or_b32 v54, v46, 3, v52
	v_lshlrev_b32_e32 v3, 1, v55
	s_addc_u32 s0, s7, s1
	v_lshl_or_b32 v56, v54, 8, v3
	s_and_b32 s25, s0, 0xffff
	s_mov_b32 s27, 0x20000
	s_movk_i32 s26, 0x4000
	s_movk_i32 s0, 0x80
	v_or_b32_e32 v57, 0x2000, v56
	buffer_load_dwordx4 v[4:7], v56, s[24:27], 0 offen
	buffer_load_dwordx4 v[12:15], v56, s[24:27], s0 offen
	;; [unrolled: 1-line block ×4, first 2 shown]
	v_lshlrev_b32_e32 v2, 3, v54
	v_and_or_b32 v9, v0, 7, v2
	v_and_b32_e32 v2, 0x78, v2
	v_lshlrev_b32_e32 v9, 4, v9
	v_xor_b32_e32 v58, v9, v2
	v_mul_lo_u32 v8, v54, s19
	v_or_b32_e32 v59, 0x1000, v58
	v_xor_b32_e32 v2, 8, v58
	s_cmpk_eq_i32 s19, 0x80
	s_mov_b32 s55, s36
	v_xor_b32_e32 v9, 8, v59
	s_cselect_b64 s[0:1], -1, 0
	s_cmpk_lg_i32 s19, 0x80
	s_waitcnt vmcnt(3)
	ds_write_b64 v58, v[4:5] offset:16384
	ds_write_b64 v2, v[6:7] offset:16384
	s_waitcnt vmcnt(2)
	ds_write_b64 v58, v[12:13] offset:24576
	ds_write_b64 v2, v[14:15] offset:24576
	;; [unrolled: 3-line block ×4, first 2 shown]
	v_lshl_add_u32 v2, v8, 1, v55
	s_cbranch_scc0 .LBB694_3
; %bb.2:
	v_lshlrev_b32_e32 v6, 1, v2
	v_add_lshl_u32 v5, v2, s19, 1
	s_lshl_b32 s26, s19, 7
	v_lshl_or_b32 v4, v54, 9, v3
	s_cbranch_execz .LBB694_4
	s_branch .LBB694_5
.LBB694_3:
                                        ; implicit-def: $vgpr5
                                        ; implicit-def: $vgpr6
                                        ; implicit-def: $sgpr26
	v_lshl_or_b32 v4, v54, 9, v3
.LBB694_4:
	v_or_b32_e32 v5, 0x100, v4
	s_movk_i32 s26, 0x4000
	v_mov_b32_e32 v6, v4
.LBB694_5:
	s_mul_i32 s20, s36, s18
	s_ashr_i32 s57, s54, 31
	s_mul_hi_i32 s3, s36, s18
	s_add_u32 s20, s20, s54
	s_addc_u32 s21, s3, s57
	s_lshl_b64 s[20:21], s[20:21], 8
	s_add_u32 s24, s4, s20
	s_addc_u32 s3, s5, s21
	s_and_b32 s25, s3, 0xffff
	s_movk_i32 s58, 0x80
	buffer_load_dwordx4 v[12:15], v6, s[24:27], 0 offen
	buffer_load_dwordx4 v[16:19], v6, s[24:27], s58 offen
	;; [unrolled: 1-line block ×4, first 2 shown]
	v_and_b32_e32 v3, 6, v0
	v_lshlrev_b32_e32 v6, 2, v50
	v_lshlrev_b32_e32 v7, 3, v50
	v_xor_b32_e32 v9, v54, v3
	v_and_b32_e32 v5, 1, v0
	v_lshl_or_b32 v7, v1, 5, v7
	v_xor_b32_e32 v11, v1, v6
	v_lshlrev_b32_e32 v9, 2, v9
	s_mul_i32 s3, s44, s23
	s_mul_hi_u32 s21, s44, s22
	v_or_b32_e32 v60, 0x9000, v7
	v_or_b32_e32 v61, 0x9800, v7
	v_lshlrev_b32_e32 v7, 1, v11
	v_xor_b32_e32 v11, 0x440, v9
	v_cmp_eq_u32_e32 vcc, 0, v5
	s_add_i32 s25, s47, s46
	s_mul_i32 s24, s56, s22
	v_cndmask_b32_e32 v5, v11, v9, vcc
	s_add_i32 s3, s21, s3
	s_add_i32 s39, s25, s48
	s_mov_b32 s59, 0x1000504
	v_lshlrev_b32_e32 v8, 8, v50
	s_mov_b32 s26, 0x8000
	v_xor_b32_e32 v6, v53, v6
	v_lshl_or_b32 v3, v3, 10, v5
	s_add_i32 s21, s3, s24
	s_lshl_b64 s[24:25], s[38:39], 2
	s_mov_b32 s60, 0x3020706
	s_mul_i32 s20, s44, s22
	v_lshlrev_b32_e32 v6, 1, v6
	v_or3_b32 v62, v7, v8, s26
	v_xor_b32_e32 v5, 8, v3
	v_xor_b32_e32 v7, 24, v3
	;; [unrolled: 1-line block ×4, first 2 shown]
	s_add_u32 s3, s10, s24
	v_or3_b32 v63, v6, v8, s26
	v_xor_b32_e32 v6, 16, v3
	v_xor_b32_e32 v8, 32, v3
	;; [unrolled: 1-line block ×3, first 2 shown]
	v_add_u32_e32 v5, 0x80, v5
	v_add_u32_e32 v7, 0x80, v7
	;; [unrolled: 1-line block ×4, first 2 shown]
	s_addc_u32 s24, s11, s25
	s_lshl_b64 s[20:21], s[20:21], 2
	s_add_u32 s20, s3, s20
	s_movk_i32 s3, 0xf8
	s_addc_u32 s21, s24, s21
	s_lshl_b32 s30, s19, 7
	s_mov_b32 s61, 0
	v_add_u32_e32 v78, v47, v10
	s_waitcnt vmcnt(1)
	v_perm_b32 v29, v12, v20, s59
	s_waitcnt vmcnt(0)
	v_perm_b32 v30, v16, v24, s59
	v_perm_b32 v12, v12, v20, s60
	;; [unrolled: 1-line block ×15, first 2 shown]
	ds_write2st64_b32 v3, v29, v30 offset1:32
	ds_write2st64_b32 v5, v12, v16 offset1:32
	ds_write2st64_b32 v6, v20, v24 offset0:1 offset1:33
	ds_write2st64_b32 v7, v13, v17 offset0:1 offset1:33
	;; [unrolled: 1-line block ×6, first 2 shown]
	v_or_b32_e32 v3, v47, v50
	v_lshlrev_b32_e32 v3, 3, v3
	v_lshrrev_b32_e32 v7, 5, v48
	v_and_or_b32 v7, v3, s3, v7
	v_lshlrev_b32_e32 v7, 4, v7
	v_lshlrev_b32_e32 v5, 11, v46
	v_and_b32_e32 v3, 0x78, v3
	v_or_b32_e32 v12, 32, v7
	v_and_b32_e32 v6, 0x1000, v5
	v_lshrrev_b32_e32 v11, 1, v0
	v_xor_b32_e32 v12, v12, v3
	v_and_b32_e32 v9, 8, v11
	v_or_b32_e32 v12, v12, v6
	v_xor_b32_e32 v8, v7, v3
	v_xor_b32_e32 v66, v12, v9
	v_or_b32_e32 v12, 64, v7
	v_or_b32_e32 v7, 0x60, v7
	;; [unrolled: 1-line block ×3, first 2 shown]
	v_xor_b32_e32 v12, v12, v3
	v_xor_b32_e32 v3, v7, v3
	;; [unrolled: 1-line block ×3, first 2 shown]
	v_and_b32_e32 v8, 0x78, v51
	v_or_b32_e32 v12, v12, v6
	v_or_b32_e32 v3, v3, v6
	v_lshl_or_b32 v8, v49, 7, v8
	v_xor_b32_e32 v67, v12, v9
	v_xor_b32_e32 v68, v3, v9
	v_lshlrev_b32_e32 v12, 1, v2
	v_add_lshl_u32 v13, v2, s19, 1
	v_lshrrev_b32_e32 v2, 4, v0
	v_lshlrev_b32_e32 v3, 1, v50
	v_or_b32_e32 v65, 0x9000, v8
	v_or_b32_e32 v69, 0x9800, v8
	s_ashr_i32 s3, s2, 31
	v_or_b32_e32 v8, 1, v3
	v_xor_b32_e32 v3, v2, v3
	s_lshl_b64 s[24:25], s[2:3], 8
	v_xor_b32_e32 v8, v8, v2
	v_lshlrev_b32_e32 v3, 3, v3
	v_lshlrev_b32_e32 v2, 8, v2
	s_add_u32 s24, s40, s24
	v_or3_b32 v70, v3, v2, s26
	v_lshlrev_b32_e32 v3, 3, v8
	s_addc_u32 s25, s41, s25
	v_or3_b32 v71, v3, v2, s26
	v_mov_b32_e32 v3, 0
	v_lshl_add_u64 v[8:9], s[24:25], 0, v[2:3]
	v_lshlrev_b32_e32 v2, 4, v50
	s_movk_i32 s3, 0xff
	v_lshlrev_b32_e32 v16, 3, v46
	v_and_b32_e32 v11, 24, v11
	v_lshl_add_u64 v[42:43], v[8:9], 0, v[2:3]
	v_and_b32_e32 v8, 8, v0
	v_cmp_lt_u32_e32 vcc, s3, v0
	v_xor_b32_e32 v17, v16, v11
	v_or_b32_e32 v18, 0x440, v17
	v_cndmask_b32_e64 v15, 0, 1, vcc
	v_cmp_eq_u32_e32 vcc, 0, v8
	v_and_b32_e32 v2, 7, v0
	v_lshlrev_b32_e32 v9, 3, v2
	v_cndmask_b32_e32 v8, v18, v17, vcc
	v_lshlrev_b32_e32 v2, 7, v2
	v_or_b32_e32 v8, v8, v5
	v_xad_u32 v72, v8, v9, v2
	v_or_b32_e32 v8, 32, v11
	v_xor_b32_e32 v8, v16, v8
	v_or_b32_e32 v17, 0x440, v8
	v_cndmask_b32_e32 v8, v17, v8, vcc
	v_or_b32_e32 v8, v8, v5
	v_xad_u32 v73, v8, v9, v2
	v_or_b32_e32 v8, 64, v11
	v_xor_b32_e32 v8, v16, v8
	v_xor_b32_e32 v17, 0x440, v8
	v_cndmask_b32_e32 v8, v17, v8, vcc
	v_or_b32_e32 v8, v8, v5
	v_xad_u32 v74, v8, v9, v2
	v_or_b32_e32 v8, 0x60, v11
	v_xor_b32_e32 v8, v16, v8
	v_xor_b32_e32 v11, 0x440, v8
	v_or_b32_e32 v6, s2, v50
	v_cndmask_b32_e32 v8, v11, v8, vcc
	v_ashrrev_i32_e32 v7, 31, v6
	v_or_b32_e32 v5, v8, v5
	v_lshl_add_u64 v[6:7], v[6:7], 1, s[8:9]
	v_or_b32_e32 v14, 0x100, v4
	v_lshlrev_b32_e32 v15, 13, v15
	v_xad_u32 v75, v5, v9, v2
	v_lshlrev_b32_e32 v2, 8, v1
	v_cndmask_b32_e64 v76, v12, v4, s[0:1]
	v_cndmask_b32_e64 v77, v13, v14, s[0:1]
	v_lshl_add_u64 v[44:45], v[6:7], 0, v[2:3]
	s_mov_b32 s3, 0x7060302
	s_movk_i32 s26, 0x4000
	v_add_u32_e32 v79, v15, v72
	v_add_u32_e32 v80, v15, v73
	;; [unrolled: 1-line block ×4, first 2 shown]
	v_mov_b32_e32 v2, v3
	v_mov_b32_e32 v4, v3
	;; [unrolled: 1-line block ×7, first 2 shown]
	s_waitcnt lgkmcnt(0)
	s_barrier
.LBB694_6:                              ; =>This Inner Loop Header: Depth=1
	s_add_i32 s39, s61, 1
	s_cmp_lt_i32 s39, s50
	s_mov_b64 s[28:29], 0
	s_cselect_b64 s[42:43], -1, 0
	s_cmp_ge_i32 s39, s50
	s_mov_b64 s[24:25], 0
	s_cbranch_scc1 .LBB694_8
; %bb.7:                                ;   in Loop: Header=BB694_6 Depth=1
	s_add_i32 s0, s55, 64
	s_ashr_i32 s1, s0, 31
	s_add_u32 s0, s53, s0
	s_addc_u32 s1, s52, s1
	s_lshl_b64 s[0:1], s[0:1], 8
	s_add_u32 s24, s6, s0
	s_addc_u32 s25, s7, s1
.LBB694_8:                              ;   in Loop: Header=BB694_6 Depth=1
	v_cndmask_b32_e64 v5, 0, 1, s[42:43]
	v_cmp_ne_u32_e64 s[0:1], 1, v5
	s_andn2_b64 vcc, exec, s[42:43]
	s_cbranch_vccnz .LBB694_10
; %bb.9:                                ;   in Loop: Header=BB694_6 Depth=1
	s_add_i32 s28, s55, 64
	s_mul_hi_i32 s29, s28, s18
	s_mul_i32 s28, s28, s18
	s_add_u32 s28, s28, s54
	s_addc_u32 s29, s29, s57
	s_lshl_b64 s[28:29], s[28:29], 8
	s_add_u32 s28, s4, s28
	s_addc_u32 s29, s5, s29
.LBB694_10:                             ;   in Loop: Header=BB694_6 Depth=1
	v_perm_b32 v11, v84, v4, s3
	v_perm_b32 v10, v3, v2, s3
	;; [unrolled: 1-line block ×4, first 2 shown]
	ds_write_b64 v60, v[10:11]
	ds_write_b64 v61, v[12:13]
	;; [unrolled: 1-line block ×4, first 2 shown]
	s_waitcnt lgkmcnt(0)
	s_barrier
	ds_read_b64 v[18:19], v64 offset:16384
	ds_read_b64 v[20:21], v66 offset:16384
	ds_read2st64_b64 v[10:13], v65 offset1:1
	s_waitcnt lgkmcnt(0)
	v_mfma_f32_16x16x16_bf16 a[0:3], v[18:19], v[10:11], 0
	ds_read2st64_b64 v[14:17], v65 offset0:2 offset1:3
	ds_read_b64 v[22:23], v67 offset:16384
	ds_read_b64 v[10:11], v68 offset:16384
	s_add_i32 s31, s55, 63
	v_mfma_f32_16x16x16_bf16 a[0:3], v[20:21], v[12:13], a[0:3]
	s_ashr_i32 s42, s31, 31
	s_mul_i32 s43, s31, s15
	s_mul_hi_u32 s62, s31, s14
	s_waitcnt lgkmcnt(1)
	v_mfma_f32_16x16x16_bf16 a[0:3], v[22:23], v[14:15], a[0:3]
	s_add_i32 s43, s62, s43
	s_mul_i32 s42, s42, s14
	s_add_i32 s43, s43, s42
	s_mul_i32 s42, s31, s14
	s_waitcnt lgkmcnt(0)
	v_mfma_f32_16x16x16_bf16 a[0:3], v[10:11], v[16:17], a[0:3]
	s_lshl_b64 s[42:43], s[42:43], 2
	s_add_u32 s42, s20, s42
	s_addc_u32 s43, s21, s43
	s_and_b64 vcc, exec, s[0:1]
	v_mov_b32_e32 v85, 0
	v_mov_b32_e32 v9, 0
	;; [unrolled: 1-line block ×19, first 2 shown]
	s_cbranch_vccnz .LBB694_12
; %bb.11:                               ;   in Loop: Header=BB694_6 Depth=1
	s_and_b32 s25, s25, 0xffff
	buffer_load_dwordx4 v[22:25], v56, s[24:27], 0 offen
	buffer_load_dwordx4 v[18:21], v56, s[24:27], s58 offen
	;; [unrolled: 1-line block ×4, first 2 shown]
	v_mov_b32_e32 v9, v58
	v_mov_b32_e32 v5, v59
.LBB694_12:                             ;   in Loop: Header=BB694_6 Depth=1
	s_waitcnt vmcnt(3)
	v_add_u32_e32 v30, s55, v78
	s_waitcnt vmcnt(1)
	v_ashrrev_i32_e32 v26, 31, v30
	v_mul_lo_u32 v28, v26, s14
	v_mul_lo_u32 v29, v30, s15
	v_mad_u64_u32 v[26:27], s[24:25], v30, s14, 0
	v_add3_u32 v27, v27, v29, v28
	v_lshl_add_u64 v[26:27], v[26:27], 2, s[20:21]
	global_load_dword v87, v[26:27], off
	v_add_u32_e32 v26, 1, v30
	v_ashrrev_i32_e32 v27, 31, v26
	v_mul_lo_u32 v28, v27, s14
	v_mul_lo_u32 v29, v26, s15
	v_mad_u64_u32 v[26:27], s[24:25], v26, s14, 0
	v_add3_u32 v27, v27, v29, v28
	v_add_u32_e32 v28, 2, v30
	v_ashrrev_i32_e32 v29, 31, v28
	v_mul_lo_u32 v31, v29, s14
	v_mul_lo_u32 v32, v28, s15
	v_mad_u64_u32 v[28:29], s[24:25], v28, s14, 0
	v_add_u32_e32 v30, 3, v30
	v_add3_u32 v29, v29, v32, v31
	v_ashrrev_i32_e32 v31, 31, v30
	v_mul_lo_u32 v34, v31, s14
	v_mul_lo_u32 v35, v30, s15
	v_mad_u64_u32 v[30:31], s[24:25], v30, s14, 0
	s_ashr_i32 s25, s55, 31
	s_add_u32 s24, s53, s55
	s_addc_u32 s25, s52, s25
	s_lshl_b64 s[24:25], s[24:25], 8
	v_lshl_add_u64 v[26:27], v[26:27], 2, s[20:21]
	v_lshl_add_u64 v[32:33], v[44:45], 0, s[24:25]
	v_add3_u32 v31, v31, v35, v34
	v_lshl_add_u64 v[28:29], v[28:29], 2, s[20:21]
	global_load_ushort v94, v[32:33], off
	global_load_ushort v95, v[32:33], off offset:256
	global_load_ushort v96, v[32:33], off offset:512
	;; [unrolled: 1-line block ×3, first 2 shown]
	v_lshl_add_u64 v[30:31], v[30:31], 2, s[20:21]
	global_load_dword v98, v[26:27], off
	global_load_dword v99, v[28:29], off
	global_load_dword v100, v[30:31], off
	s_load_dword s24, s[42:43], 0x0
	ds_read2st64_b64 v[34:37], v69 offset1:1
	ds_read2st64_b64 v[38:41], v69 offset0:2 offset1:3
	ds_read_b64 v[32:33], v64 offset:24576
	ds_read_b64 v[88:89], v66 offset:24576
	;; [unrolled: 1-line block ×4, first 2 shown]
	s_waitcnt lgkmcnt(0)
	v_mfma_f32_16x16x16_bf16 a[0:3], v[32:33], v[34:35], a[0:3]
	v_mov_b32_e32 v86, 0
	v_mov_b32_e32 v26, 0
	v_mov_b32_e32 v27, 0
	v_mfma_f32_16x16x16_bf16 a[0:3], v[88:89], v[36:37], a[0:3]
	v_mov_b32_e32 v28, 0
	v_mov_b32_e32 v29, 0
	v_mov_b32_e32 v30, 0
	;; [unrolled: 4-line block ×4, first 2 shown]
	v_mov_b32_e32 v37, 0
	v_mov_b32_e32 v38, 0
	;; [unrolled: 1-line block ×3, first 2 shown]
	s_and_b64 vcc, exec, s[0:1]
	v_accvgpr_read_b32 v89, a1
	v_accvgpr_read_b32 v41, a3
	;; [unrolled: 1-line block ×4, first 2 shown]
	s_waitcnt vmcnt(7)
	v_sub_f32_e32 v87, s24, v87
	s_waitcnt vmcnt(6)
	v_lshlrev_b32_e32 v90, 16, v94
	v_exp_f32_e32 v94, v87
	s_waitcnt vmcnt(4)
	v_lshlrev_b32_e32 v92, 16, v96
	s_waitcnt vmcnt(3)
	v_lshlrev_b32_e32 v93, 16, v97
	s_waitcnt vmcnt(2)
	v_sub_f32_e32 v87, s24, v98
	s_waitcnt vmcnt(1)
	v_sub_f32_e32 v96, s24, v99
	;; [unrolled: 2-line block ×3, first 2 shown]
	v_lshlrev_b32_e32 v91, 16, v95
	v_exp_f32_e32 v95, v87
	v_exp_f32_e32 v96, v96
	v_exp_f32_e32 v97, v97
	v_pk_add_f32 v[88:89], v[90:91], v[88:89] neg_lo:[0,1] neg_hi:[0,1]
	v_pk_add_f32 v[40:41], v[92:93], v[40:41] neg_lo:[0,1] neg_hi:[0,1]
	v_pk_mul_f32 v[88:89], v[94:95], v[88:89]
	v_pk_mul_f32 v[40:41], v[96:97], v[40:41]
	s_nop 0
	v_perm_b32 v41, v41, v40, s3
	v_perm_b32 v40, v89, v88, s3
	ds_write_b64 v61, v[40:41]
	v_mov_b32_e32 v40, 0
	v_mov_b32_e32 v41, 0
	s_cbranch_vccnz .LBB694_14
; %bb.13:                               ;   in Loop: Header=BB694_6 Depth=1
	s_and_b32 s29, s29, 0xffff
	s_mov_b32 s31, s27
	buffer_load_dwordx4 v[38:41], v76, s[28:31], 0 offen
	buffer_load_dwordx4 v[30:33], v76, s[28:31], s58 offen
	;; [unrolled: 1-line block ×4, first 2 shown]
	v_mov_b32_e32 v85, v55
	v_mov_b32_e32 v86, v54
.LBB694_14:                             ;   in Loop: Header=BB694_6 Depth=1
	s_waitcnt lgkmcnt(0)
	s_barrier
	ds_read_b64 v[96:97], v79
	ds_read2st64_b64 v[88:91], v69 offset1:1
	ds_read2st64_b64 v[92:95], v69 offset0:2 offset1:3
	ds_read_b64 v[98:99], v80
	ds_read_b64 v[100:101], v81
	;; [unrolled: 1-line block ×3, first 2 shown]
	s_waitcnt lgkmcnt(4)
	v_mfma_f32_16x16x16_bf16 a[0:3], v[96:97], v[88:89], 0
	ds_read_b64 v[96:97], v72 offset:8192
	ds_read_b64 v[104:105], v73 offset:8192
	s_add_i32 s25, s51, s61
	s_mul_hi_i32 s29, s25, s45
	s_waitcnt lgkmcnt(1)
	v_mfma_f32_16x16x16_bf16 a[4:7], v[96:97], v[88:89], 0
	s_mul_i32 s25, s25, s45
	s_add_u32 s28, s25, s44
	s_addc_u32 s29, s29, s56
	v_mfma_f32_16x16x16_bf16 a[0:3], v[98:99], v[90:91], a[0:3]
	ds_read_b64 v[96:97], v70
	ds_read_b64 v[98:99], v71
	ds_read_b64 v[88:89], v74 offset:8192
	s_lshl_b64 s[28:29], s[28:29], 15
	v_mfma_f32_16x16x16_bf16 a[0:3], v[100:101], v[92:93], a[0:3]
	ds_read_b64 v[100:101], v75 offset:8192
	s_and_b64 vcc, exec, s[0:1]
	s_waitcnt lgkmcnt(4)
	v_mfma_f32_16x16x16_bf16 a[4:7], v[104:105], v[90:91], a[4:7]
	s_waitcnt lgkmcnt(1)
	v_mfma_f32_16x16x16_bf16 a[4:7], v[88:89], v[92:93], a[4:7]
	v_lshl_add_u64 v[88:89], v[42:43], 0, s[28:29]
	global_store_dwordx4 v[88:89], v[96:99], off
	v_mfma_f32_16x16x16_bf16 a[0:3], v[102:103], v[94:95], a[0:3]
	s_waitcnt lgkmcnt(0)
	v_mfma_f32_16x16x16_bf16 a[4:7], v[100:101], v[94:95], a[4:7]
	s_cbranch_vccnz .LBB694_16
; %bb.15:                               ;   in Loop: Header=BB694_6 Depth=1
	v_lshrrev_b32_e32 v87, 3, v85
	v_and_b32_e32 v87, 6, v87
	v_xor_b32_e32 v86, v87, v86
	v_lshlrev_b32_e32 v86, 2, v86
	v_and_b32_e32 v85, 8, v85
	v_xor_b32_e32 v88, 0x440, v86
	v_cmp_eq_u32_e32 vcc, 0, v85
	s_barrier
	s_nop 0
	v_cndmask_b32_e32 v85, v88, v86, vcc
	v_lshl_or_b32 v85, v87, 10, v85
	s_waitcnt vmcnt(2)
	v_perm_b32 v86, v38, v34, s59
	s_waitcnt vmcnt(1)
	v_perm_b32 v87, v30, v26, s59
	ds_write2st64_b32 v85, v86, v87 offset1:32
	v_xor_b32_e32 v86, 8, v85
	v_perm_b32 v34, v38, v34, s60
	v_perm_b32 v26, v30, v26, s60
	v_add_u32_e32 v30, 0x80, v86
	ds_write2st64_b32 v30, v34, v26 offset1:32
	v_xor_b32_e32 v26, 16, v85
	v_perm_b32 v30, v39, v35, s59
	v_perm_b32 v34, v31, v27, s59
	ds_write2st64_b32 v26, v30, v34 offset0:1 offset1:33
	v_xor_b32_e32 v26, 24, v85
	v_perm_b32 v30, v39, v35, s60
	v_perm_b32 v27, v31, v27, s60
	v_add_u32_e32 v26, 0x80, v26
	ds_write2st64_b32 v26, v30, v27 offset0:1 offset1:33
	v_xor_b32_e32 v26, 32, v85
	v_perm_b32 v27, v40, v36, s59
	v_perm_b32 v30, v32, v28, s59
	ds_write2st64_b32 v26, v27, v30 offset0:2 offset1:34
	v_xor_b32_e32 v26, 40, v85
	v_perm_b32 v27, v40, v36, s60
	v_perm_b32 v28, v32, v28, s60
	v_add_u32_e32 v26, 0x80, v26
	ds_write2st64_b32 v26, v27, v28 offset0:2 offset1:34
	;; [unrolled: 9-line block ×3, first 2 shown]
	ds_write_b64 v9, v[22:23] offset:16384
	v_xor_b32_e32 v22, 8, v9
	ds_write_b64 v22, v[24:25] offset:16384
	ds_write_b64 v9, v[18:19] offset:24576
	;; [unrolled: 1-line block ×4, first 2 shown]
	v_xor_b32_e32 v9, 8, v5
	ds_write_b64 v9, v[16:17] offset:16384
	ds_write_b64 v5, v[10:11] offset:24576
	;; [unrolled: 1-line block ×3, first 2 shown]
.LBB694_16:                             ;   in Loop: Header=BB694_6 Depth=1
	v_exp_f32_e32 v10, s24
	s_nop 2
	v_accvgpr_read_b32 v9, a1
	v_accvgpr_read_b32 v5, a0
	s_add_i32 s55, s55, 64
	v_fma_f32 v3, v3, v10, v9
	v_accvgpr_read_b32 v9, a4
	v_fma_f32 v6, v6, v10, v9
	v_accvgpr_read_b32 v9, a5
	;; [unrolled: 2-line block ×6, first 2 shown]
	v_fmac_f32_e32 v5, v84, v10
	s_cmp_eq_u32 s50, s39
	v_fmac_f32_e32 v9, v83, v10
	s_cbranch_scc1 .LBB694_18
; %bb.17:                               ;   in Loop: Header=BB694_6 Depth=1
	s_mov_b32 s61, s39
	v_mov_b32_e32 v84, v5
	v_mov_b32_e32 v83, v9
	s_branch .LBB694_6
.LBB694_18:
	s_lshl_b32 s3, s50, 6
	s_sub_i32 s49, s49, s3
	s_cmp_gt_i32 s49, 0
	s_waitcnt vmcnt(2)
	v_or_b32_e32 v34, s2, v50
	s_cbranch_scc1 .LBB694_20
; %bb.19:
	s_ashr_i32 s21, s44, 31
	v_or_b32_e32 v10, s2, v50
	s_cbranch_execz .LBB694_21
	s_branch .LBB694_77
.LBB694_20:
                                        ; implicit-def: $vgpr10
                                        ; implicit-def: $sgpr20_sgpr21
.LBB694_21:
	s_add_i32 s20, s3, s36
	s_ashr_i32 s3, s20, 31
	s_cmpk_lg_i32 s19, 0x80
	s_cselect_b64 s[30:31], -1, 0
	s_and_b64 vcc, exec, s[30:31]
	s_cbranch_vccz .LBB694_23
; %bb.22:
	s_mul_hi_i32 s0, s20, s18
	s_mul_i32 s1, s20, s18
	s_ashr_i32 s18, s54, 31
	s_add_u32 s42, s1, s54
	s_addc_u32 s43, s0, s18
	s_cbranch_execz .LBB694_24
	s_branch .LBB694_25
.LBB694_23:
                                        ; implicit-def: $sgpr42_sgpr43
.LBB694_24:
	s_mul_i32 s1, s54, s16
	s_mul_hi_i32 s0, s54, s16
	s_add_u32 s42, s1, s20
	s_addc_u32 s43, s0, s3
.LBB694_25:
	s_add_i32 s16, s50, s51
	s_ashr_i32 s21, s44, 31
	s_add_u32 s0, s53, s20
	s_addc_u32 s1, s52, s3
	s_mov_b32 s3, 0x7060302
	v_lshlrev_b32_e32 v14, 3, v50
	s_lshl_b64 s[28:29], s[0:1], 8
	v_perm_b32 v11, v5, v4, s3
	v_perm_b32 v10, v3, v2, s3
	;; [unrolled: 1-line block ×4, first 2 shown]
	v_lshlrev_b32_e32 v44, 2, v50
	v_lshl_or_b32 v14, v1, 5, v14
	s_add_u32 s0, s6, s28
	ds_write2st64_b64 v14, v[10:11], v[12:13] offset0:72 offset1:76
	v_xor_b32_e32 v14, v1, v44
	v_lshlrev_b32_e32 v15, 8, v50
	s_addc_u32 s1, s7, s29
	v_lshl_or_b32 v14, v14, 1, v15
	s_mul_hi_i32 s3, s16, s17
	s_mul_i32 s16, s16, s17
	ds_write_b64 v14, v[10:11] offset:32768
	v_xor_b32_e32 v10, v53, v44
	s_add_u32 s6, s16, s44
	v_lshl_or_b32 v10, v10, 1, v15
	s_addc_u32 s7, s3, s21
	v_lshlrev_b32_e32 v11, 1, v50
	ds_write_b64 v10, v[12:13] offset:32768
	v_lshrrev_b32_e32 v10, 4, v0
	s_ashr_i32 s3, s2, 31
	s_lshl_b64 s[6:7], s[6:7], 15
	v_or_b32_e32 v12, 1, v11
	s_add_u32 s6, s40, s6
	v_xor_b32_e32 v11, v10, v11
	v_xor_b32_e32 v12, v12, v10
	v_lshlrev_b32_e32 v14, 8, v10
	s_addc_u32 s7, s41, s7
	s_lshl_b64 s[2:3], s[2:3], 8
	v_lshl_or_b32 v10, v11, 3, v14
	v_lshl_or_b32 v12, v12, 3, v14
	s_waitcnt lgkmcnt(0)
	s_barrier
	s_add_u32 s2, s6, s2
	ds_read_b64 v[10:11], v10 offset:32768
	ds_read_b64 v[12:13], v12 offset:32768
	s_addc_u32 s3, s7, s3
	v_mov_b32_e32 v15, 0
	s_cmp_lg_u32 s49, 64
	v_lshl_add_u64 v[16:17], s[2:3], 0, v[14:15]
	v_lshlrev_b32_e32 v14, 4, v50
	s_cselect_b64 s[6:7], -1, 0
	v_lshl_or_b32 v35, v46, 3, v52
	s_mov_b32 s24, 0
	v_lshl_add_u64 v[14:15], v[16:17], 0, v[14:15]
	s_waitcnt vmcnt(1)
	v_or_b32_e32 v27, 32, v35
	v_and_b32_e32 v26, 56, v51
	s_and_b64 vcc, exec, s[6:7]
	s_waitcnt lgkmcnt(0)
	global_store_dwordx4 v[14:15], v[10:13], off
	s_cbranch_vccz .LBB694_31
; %bb.26:
	s_mov_b32 s25, s24
	s_mov_b32 s26, s24
	;; [unrolled: 1-line block ×3, first 2 shown]
	v_mov_b64_e32 v[14:15], s[24:25]
	v_mov_b64_e32 v[16:17], s[26:27]
	;; [unrolled: 1-line block ×3, first 2 shown]
	v_cmp_gt_i32_e32 vcc, s49, v35
	v_mov_b64_e32 v[12:13], v[16:17]
	s_and_saveexec_b64 s[2:3], vcc
	s_cbranch_execz .LBB694_28
; %bb.27:
	v_lshlrev_b32_e32 v10, 8, v35
	v_mov_b32_e32 v11, 0
	v_lshl_add_u64 v[12:13], s[0:1], 0, v[10:11]
	v_lshlrev_b32_e32 v10, 1, v26
	v_lshl_add_u64 v[18:19], v[12:13], 0, v[10:11]
	global_load_dwordx4 v[14:17], v[18:19], off
	global_load_dwordx4 v[10:13], v[18:19], off offset:128
.LBB694_28:
	s_or_b64 exec, exec, s[2:3]
	s_mov_b32 s25, s24
	s_mov_b32 s26, s24
	;; [unrolled: 1-line block ×3, first 2 shown]
	v_mov_b64_e32 v[22:23], s[24:25]
	v_mov_b64_e32 v[24:25], s[26:27]
	;; [unrolled: 1-line block ×3, first 2 shown]
	v_cmp_gt_i32_e32 vcc, s49, v27
	v_lshlrev_b32_e32 v28, 7, v27
	v_mov_b64_e32 v[20:21], v[24:25]
	s_and_saveexec_b64 s[2:3], vcc
	s_cbranch_execz .LBB694_30
; %bb.29:
	v_lshlrev_b32_e32 v18, 1, v28
	v_mov_b32_e32 v19, 0
	v_lshl_add_u64 v[20:21], s[0:1], 0, v[18:19]
	v_lshlrev_b32_e32 v18, 1, v26
	v_lshl_add_u64 v[30:31], v[20:21], 0, v[18:19]
	global_load_dwordx4 v[22:25], v[30:31], off
	global_load_dwordx4 v[18:21], v[30:31], off offset:128
.LBB694_30:
	s_or_b64 exec, exec, s[2:3]
	v_lshrrev_b32_e32 v29, 3, v26
	v_lshlrev_b32_e32 v30, 3, v35
	v_or_b32_e32 v29, v30, v29
	v_lshlrev_b32_e32 v29, 4, v29
	v_and_b32_e32 v30, 0x78, v30
	v_xor_b32_e32 v29, v29, v30
	s_branch .LBB694_33
.LBB694_31:
                                        ; implicit-def: $vgpr29
                                        ; implicit-def: $vgpr28
                                        ; implicit-def: $vgpr14_vgpr15_vgpr16_vgpr17
                                        ; implicit-def: $vgpr10_vgpr11_vgpr12_vgpr13
                                        ; implicit-def: $vgpr22_vgpr23_vgpr24_vgpr25
                                        ; implicit-def: $vgpr18_vgpr19_vgpr20_vgpr21
	s_cbranch_execz .LBB694_33
; %bb.32:
	s_waitcnt vmcnt(0)
	v_lshlrev_b32_e32 v10, 1, v26
	v_lshl_or_b32 v28, v35, 8, v10
	s_and_b32 s1, s1, 0xffff
	s_mov_b32 s3, 0x20000
	s_movk_i32 s2, 0x4000
	v_lshl_or_b32 v29, v27, 8, v10
	s_movk_i32 s16, 0x80
	buffer_load_dwordx4 v[14:17], v28, s[0:3], 0 offen
	buffer_load_dwordx4 v[10:13], v28, s[0:3], s16 offen
	buffer_load_dwordx4 v[22:25], v29, s[0:3], 0 offen
	buffer_load_dwordx4 v[18:21], v29, s[0:3], s16 offen
	v_lshrrev_b32_e32 v28, 3, v26
	v_lshlrev_b32_e32 v29, 3, v35
	v_or_b32_e32 v28, v29, v28
	v_lshlrev_b32_e32 v28, 4, v28
	v_and_b32_e32 v29, 0x78, v29
	v_xor_b32_e32 v29, v28, v29
	v_lshlrev_b32_e32 v28, 7, v27
.LBB694_33:
	s_lshl_b64 s[0:1], s[42:43], 8
	s_add_u32 s4, s4, s0
	s_movk_i32 s0, 0x1000
	v_and_or_b32 v27, v28, s0, v29
	s_waitcnt vmcnt(1)
	ds_write_b64 v29, v[14:15] offset:16384
	v_xor_b32_e32 v14, 8, v29
	ds_write_b64 v14, v[16:17] offset:16384
	s_waitcnt vmcnt(0)
	ds_write_b64 v29, v[10:11] offset:24576
	ds_write_b64 v14, v[12:13] offset:24576
	;; [unrolled: 1-line block ×3, first 2 shown]
	v_xor_b32_e32 v10, 8, v27
	ds_write_b64 v10, v[24:25] offset:16384
	ds_write_b64 v27, v[18:19] offset:24576
	;; [unrolled: 1-line block ×3, first 2 shown]
	v_or_b32_e32 v10, v47, v50
	v_lshlrev_b32_e32 v10, 3, v10
	v_lshrrev_b32_e32 v12, 5, v48
	s_movk_i32 s18, 0xf8
	v_and_or_b32 v12, v10, s18, v12
	v_lshlrev_b32_e32 v45, 11, v46
	v_lshlrev_b32_e32 v20, 4, v12
	v_and_b32_e32 v21, 0x78, v10
	v_and_b32_e32 v22, 0x1000, v45
	v_lshlrev_b32_e32 v11, 2, v0
	v_xor_b32_e32 v10, v20, v21
	v_lshrrev_b32_e32 v12, 1, v48
	v_and_b32_e32 v11, 60, v11
	v_or_b32_e32 v10, v10, v22
	v_and_b32_e32 v23, 8, v12
	v_xor_b32_e32 v36, v10, v23
	v_lshl_or_b32 v10, v49, 6, v11
	v_lshlrev_b32_e32 v49, 1, v10
	v_or_b32_e32 v10, 32, v20
	v_xor_b32_e32 v10, v10, v21
	s_waitcnt lgkmcnt(0)
	s_barrier
	ds_read_b64 v[18:19], v36 offset:16384
	v_or_b32_e32 v10, v10, v22
	v_xor_b32_e32 v37, v10, v23
	v_or_b32_e32 v10, 64, v20
	v_xor_b32_e32 v10, v10, v21
	v_or_b32_e32 v10, v10, v22
	v_or_b32_e32 v20, 0x60, v20
	v_xor_b32_e32 v38, v10, v23
	ds_read2st64_b64 v[10:13], v49 offset0:72 offset1:73
	ds_read2st64_b64 v[14:17], v49 offset0:74 offset1:75
	v_xor_b32_e32 v24, v20, v21
	ds_read_b64 v[20:21], v37 offset:16384
	s_waitcnt lgkmcnt(2)
	v_mfma_f32_16x16x16_bf16 a[0:3], v[18:19], v[10:11], 0
	s_addc_u32 s5, s5, s1
	s_add_i32 s2, s37, -1
	s_add_i32 s0, s47, s46
	s_add_i32 s39, s0, s48
	s_mul_i32 s0, s44, s23
	s_mul_hi_u32 s1, s44, s22
	s_ashr_i32 s3, s2, 31
	s_mul_i32 s16, s2, s15
	s_mul_hi_u32 s17, s2, s14
	s_add_i32 s0, s1, s0
	s_mul_i32 s1, s21, s22
	s_add_i32 s16, s17, s16
	s_mul_i32 s3, s3, s14
	v_or_b32_e32 v22, v24, v22
	s_add_i32 s1, s0, s1
	s_add_i32 s3, s16, s3
	s_lshl_b64 s[16:17], s[38:39], 2
	v_xor_b32_e32 v50, v22, v23
	ds_read_b64 v[22:23], v38 offset:16384
	ds_read_b64 v[24:25], v50 offset:16384
	s_waitcnt lgkmcnt(2)
	v_mfma_f32_16x16x16_bf16 a[0:3], v[20:21], v[12:13], a[0:3]
	s_mul_i32 s0, s44, s22
	s_add_u32 s10, s10, s16
	s_addc_u32 s11, s11, s17
	s_lshl_b64 s[0:1], s[0:1], 2
	s_mul_i32 s2, s2, s14
	s_add_u32 s10, s10, s0
	s_addc_u32 s11, s11, s1
	s_lshl_b64 s[0:1], s[2:3], 2
	s_waitcnt lgkmcnt(1)
	v_mfma_f32_16x16x16_bf16 a[0:3], v[22:23], v[14:15], a[0:3]
	s_add_u32 s0, s10, s0
	s_addc_u32 s1, s11, s1
	s_load_dword s16, s[0:1], 0x0
	s_waitcnt lgkmcnt(0)
	v_mfma_f32_16x16x16_bf16 a[0:3], v[24:25], v[16:17], a[0:3]
	s_and_b64 vcc, exec, s[30:31]
	s_cbranch_vccz .LBB694_44
; %bb.34:
	v_lshlrev_b32_e32 v27, 1, v35
	s_and_b64 vcc, exec, s[6:7]
	s_cbranch_vccz .LBB694_45
; %bb.35:
	v_cmp_gt_i32_e32 vcc, s49, v27
	v_mov_b32_e32 v14, 0
	v_mov_b32_e32 v10, 0
	;; [unrolled: 1-line block ×5, first 2 shown]
	s_and_saveexec_b64 s[0:1], vcc
	s_cbranch_execz .LBB694_37
; %bb.36:
	v_mad_i64_i32 v[10:11], s[2:3], s19, v27, 0
	v_lshl_add_u64 v[10:11], v[10:11], 1, s[4:5]
	v_lshlrev_b32_e32 v12, 1, v26
	v_mov_b32_e32 v13, 0
	v_lshl_add_u64 v[10:11], v[10:11], 0, v[12:13]
	global_load_dwordx4 v[10:13], v[10:11], off
.LBB694_37:
	s_or_b64 exec, exec, s[0:1]
	v_or_b32_e32 v28, 1, v27
	v_cmp_gt_i32_e64 s[0:1], s49, v28
	v_mov_b32_e32 v15, 0
	v_mov_b32_e32 v16, 0
	;; [unrolled: 1-line block ×3, first 2 shown]
	s_and_saveexec_b64 s[2:3], s[0:1]
	s_cbranch_execz .LBB694_39
; %bb.38:
	v_mad_i64_i32 v[14:15], s[22:23], s19, v28, 0
	v_lshl_add_u64 v[14:15], v[14:15], 1, s[4:5]
	v_lshlrev_b32_e32 v16, 1, v26
	v_mov_b32_e32 v17, 0
	v_lshl_add_u64 v[14:15], v[14:15], 0, v[16:17]
	global_load_dwordx4 v[14:17], v[14:15], off
.LBB694_39:
	s_or_b64 exec, exec, s[2:3]
	v_mov_b32_e32 v25, 0
	v_mov_b32_e32 v18, 0
	;; [unrolled: 1-line block ×5, first 2 shown]
	s_and_saveexec_b64 s[2:3], vcc
	s_cbranch_execz .LBB694_41
; %bb.40:
	v_mad_i64_i32 v[18:19], s[22:23], s19, v27, 0
	v_lshl_add_u64 v[18:19], v[18:19], 1, s[4:5]
	v_lshlrev_b32_e32 v20, 1, v26
	v_mov_b32_e32 v21, 0
	v_lshl_add_u64 v[18:19], v[18:19], 0, v[20:21]
	global_load_dwordx4 v[18:21], v[18:19], off offset:128
.LBB694_41:
	s_or_b64 exec, exec, s[2:3]
	v_mov_b32_e32 v24, 0
	v_mov_b32_e32 v23, 0
	;; [unrolled: 1-line block ×3, first 2 shown]
	s_and_saveexec_b64 s[2:3], s[0:1]
	s_cbranch_execz .LBB694_43
; %bb.42:
	v_mad_i64_i32 v[22:23], s[0:1], s19, v28, 0
	v_lshl_add_u64 v[22:23], v[22:23], 1, s[4:5]
	v_lshlrev_b32_e32 v24, 1, v26
	v_mov_b32_e32 v25, 0
	v_lshl_add_u64 v[22:23], v[22:23], 0, v[24:25]
	global_load_dwordx4 v[22:25], v[22:23], off offset:128
.LBB694_43:
	s_or_b64 exec, exec, s[2:3]
	s_branch .LBB694_47
.LBB694_44:
                                        ; implicit-def: $vgpr13
                                        ; implicit-def: $vgpr17
                                        ; implicit-def: $vgpr21
                                        ; implicit-def: $vgpr25
	v_lshrrev_b32_e32 v48, 2, v48
	s_branch .LBB694_48
.LBB694_45:
                                        ; implicit-def: $vgpr13
                                        ; implicit-def: $vgpr17
                                        ; implicit-def: $vgpr21
                                        ; implicit-def: $vgpr25
	s_cbranch_execz .LBB694_47
; %bb.46:
	s_waitcnt vmcnt(0)
	v_mad_u64_u32 v[10:11], s[0:1], v27, s19, v[26:27]
	v_lshlrev_b32_e32 v27, 1, v10
	s_lshl_b32 s2, s19, 7
	s_and_b32 s1, s5, 0xffff
	s_mov_b32 s3, 0x20000
	s_mov_b32 s0, s4
	v_add_lshl_u32 v28, v10, s19, 1
	s_movk_i32 s17, 0x80
	buffer_load_dwordx4 v[10:13], v27, s[0:3], 0 offen
	buffer_load_dwordx4 v[18:21], v27, s[0:3], s17 offen
	;; [unrolled: 1-line block ×4, first 2 shown]
.LBB694_47:
	v_lshrrev_b32_e32 v48, 2, v48
	s_cbranch_execnz .LBB694_60
.LBB694_48:
	s_and_b64 vcc, exec, s[6:7]
	s_cbranch_vccz .LBB694_58
; %bb.49:
	s_waitcnt vmcnt(0)
	v_lshlrev_b32_e32 v15, 1, v35
	v_cmp_gt_i32_e32 vcc, s49, v15
	v_mov_b32_e32 v14, 0
	v_lshlrev_b32_e32 v22, 9, v35
	v_mov_b32_e32 v10, 0
	v_mov_b32_e32 v11, 0
	v_mov_b32_e32 v12, 0
	v_mov_b32_e32 v13, 0
	s_and_saveexec_b64 s[0:1], vcc
	s_cbranch_execz .LBB694_51
; %bb.50:
	v_mov_b32_e32 v23, 0
	v_lshl_add_u64 v[10:11], s[4:5], 0, v[22:23]
	v_lshlrev_b32_e32 v12, 1, v26
	v_mov_b32_e32 v13, v23
	v_lshl_add_u64 v[10:11], v[10:11], 0, v[12:13]
	global_load_dwordx4 v[10:13], v[10:11], off
.LBB694_51:
	s_or_b64 exec, exec, s[0:1]
	v_or_b32_e32 v15, 1, v15
	v_cmp_gt_i32_e64 s[0:1], s49, v15
	v_lshlrev_b32_e32 v28, 8, v15
	v_mov_b32_e32 v15, 0
	v_mov_b32_e32 v16, 0
	;; [unrolled: 1-line block ×3, first 2 shown]
	s_and_saveexec_b64 s[2:3], s[0:1]
	s_cbranch_execz .LBB694_53
; %bb.52:
	v_mov_b32_e32 v29, 0
	v_lshl_add_u64 v[14:15], s[4:5], 0, v[28:29]
	v_lshlrev_b32_e32 v16, 1, v26
	v_mov_b32_e32 v17, v29
	v_lshl_add_u64 v[14:15], v[14:15], 0, v[16:17]
	global_load_dwordx4 v[14:17], v[14:15], off
.LBB694_53:
	s_or_b64 exec, exec, s[2:3]
	v_mov_b32_e32 v25, 0
	v_mov_b32_e32 v18, 0
	;; [unrolled: 1-line block ×5, first 2 shown]
	s_and_saveexec_b64 s[2:3], vcc
	s_cbranch_execz .LBB694_55
; %bb.54:
	v_mov_b32_e32 v23, 0
	v_lshl_add_u64 v[18:19], s[4:5], 0, v[22:23]
	v_lshlrev_b32_e32 v22, 1, v26
	v_lshl_add_u64 v[18:19], v[18:19], 0, v[22:23]
	global_load_dwordx4 v[18:21], v[18:19], off offset:128
.LBB694_55:
	s_or_b64 exec, exec, s[2:3]
	v_mov_b32_e32 v24, 0
	v_mov_b32_e32 v23, 0
	;; [unrolled: 1-line block ×3, first 2 shown]
	s_and_saveexec_b64 s[2:3], s[0:1]
	s_cbranch_execz .LBB694_57
; %bb.56:
	v_mov_b32_e32 v29, 0
	v_lshl_add_u64 v[22:23], s[4:5], 0, v[28:29]
	v_lshlrev_b32_e32 v28, 1, v26
	v_lshl_add_u64 v[22:23], v[22:23], 0, v[28:29]
	global_load_dwordx4 v[22:25], v[22:23], off offset:128
.LBB694_57:
	s_or_b64 exec, exec, s[2:3]
	s_branch .LBB694_60
.LBB694_58:
                                        ; implicit-def: $vgpr13
                                        ; implicit-def: $vgpr17
                                        ; implicit-def: $vgpr21
                                        ; implicit-def: $vgpr25
	s_cbranch_execz .LBB694_60
; %bb.59:
	s_waitcnt vmcnt(0)
	v_lshlrev_b32_e32 v10, 1, v26
	v_lshl_or_b32 v26, v35, 9, v10
	s_and_b32 s5, s5, 0xffff
	s_mov_b32 s7, 0x20000
	s_movk_i32 s6, 0x4000
	s_movk_i32 s0, 0x80
	buffer_load_dwordx4 v[10:13], v26, s[4:7], 0 offen
	buffer_load_dwordx4 v[14:17], v26, s[4:7], 0 offen offset:256
	buffer_load_dwordx4 v[18:21], v26, s[4:7], s0 offen
	buffer_load_dwordx4 v[22:25], v26, s[4:7], s0 offen offset:256
.LBB694_60:
	ds_read2st64_b64 v[30:33], v49 offset0:76 offset1:77
	ds_read2st64_b64 v[26:29], v49 offset0:78 offset1:79
	ds_read_b64 v[40:41], v36 offset:24576
	ds_read_b64 v[42:43], v37 offset:24576
	;; [unrolled: 1-line block ×4, first 2 shown]
	v_and_b32_e32 v50, 6, v0
	v_xor_b32_e32 v35, v35, v50
	v_lshlrev_b32_e32 v35, 2, v35
	v_and_b32_e32 v51, 1, v0
	v_xor_b32_e32 v52, 0x440, v35
	v_cmp_eq_u32_e32 vcc, 0, v51
	s_mov_b32 s0, 0x1000504
	s_waitcnt vmcnt(0)
	v_perm_b32 v51, v18, v22, s0
	v_cndmask_b32_e32 v35, v52, v35, vcc
	v_lshl_or_b32 v35, v50, 10, v35
	v_perm_b32 v50, v10, v14, s0
	ds_write2st64_b32 v35, v50, v51 offset1:32
	v_xor_b32_e32 v50, 8, v35
	s_mov_b32 s1, 0x3020706
	v_perm_b32 v10, v10, v14, s1
	v_perm_b32 v14, v18, v22, s1
	v_add_u32_e32 v18, 0x80, v50
	ds_write2st64_b32 v18, v10, v14 offset1:32
	v_xor_b32_e32 v10, 16, v35
	v_perm_b32 v14, v11, v15, s0
	v_perm_b32 v18, v19, v23, s0
	ds_write2st64_b32 v10, v14, v18 offset0:1 offset1:33
	v_xor_b32_e32 v10, 24, v35
	v_perm_b32 v11, v11, v15, s1
	v_perm_b32 v14, v19, v23, s1
	v_add_u32_e32 v10, 0x80, v10
	ds_write2st64_b32 v10, v11, v14 offset0:1 offset1:33
	v_xor_b32_e32 v10, 32, v35
	v_perm_b32 v11, v12, v16, s0
	v_perm_b32 v14, v20, v24, s0
	ds_write2st64_b32 v10, v11, v14 offset0:2 offset1:34
	v_xor_b32_e32 v10, 40, v35
	v_perm_b32 v11, v12, v16, s1
	v_perm_b32 v12, v20, v24, s1
	v_add_u32_e32 v10, 0x80, v10
	ds_write2st64_b32 v10, v11, v12 offset0:2 offset1:34
	v_xor_b32_e32 v10, 48, v35
	v_perm_b32 v11, v13, v17, s0
	v_perm_b32 v12, v21, v25, s0
	ds_write2st64_b32 v10, v11, v12 offset0:3 offset1:35
	v_xor_b32_e32 v10, 56, v35
	v_and_or_b32 v16, v48, 12, v47
	v_perm_b32 v11, v13, v17, s1
	v_perm_b32 v12, v21, v25, s1
	v_add_u32_e32 v10, 0x80, v10
	v_cmp_gt_i32_e32 vcc, s49, v16
	v_mov_b32_e32 v17, 0
	v_mov_b32_e32 v21, 0
	ds_write2st64_b32 v10, v11, v12 offset0:3 offset1:35
	s_and_saveexec_b64 s[0:1], vcc
	s_cbranch_execz .LBB694_62
; %bb.61:
	v_add_u32_e32 v10, s20, v16
	v_ashrrev_i32_e32 v11, 31, v10
	v_mul_lo_u32 v12, v11, s14
	v_mul_lo_u32 v13, v10, s15
	v_mad_u64_u32 v[10:11], s[2:3], v10, s14, 0
	v_add3_u32 v11, v11, v13, v12
	v_lshl_add_u64 v[10:11], v[10:11], 2, s[10:11]
	global_load_dword v10, v[10:11], off
	s_waitcnt vmcnt(0)
	v_sub_f32_e32 v10, s16, v10
	v_exp_f32_e32 v21, v10
.LBB694_62:
	s_or_b64 exec, exec, s[0:1]
	v_or_b32_e32 v19, 1, v16
	v_cmp_gt_i32_e64 s[0:1], s49, v19
	s_and_saveexec_b64 s[2:3], s[0:1]
	s_cbranch_execz .LBB694_64
; %bb.63:
	v_add_u32_e32 v10, s20, v19
	v_ashrrev_i32_e32 v11, 31, v10
	v_mul_lo_u32 v12, v11, s14
	v_mul_lo_u32 v13, v10, s15
	v_mad_u64_u32 v[10:11], s[4:5], v10, s14, 0
	v_add3_u32 v11, v11, v13, v12
	v_lshl_add_u64 v[10:11], v[10:11], 2, s[10:11]
	global_load_dword v10, v[10:11], off
	s_waitcnt vmcnt(0)
	v_sub_f32_e32 v10, s16, v10
	v_exp_f32_e32 v17, v10
.LBB694_64:
	s_or_b64 exec, exec, s[2:3]
	v_or_b32_e32 v20, 2, v16
	v_cmp_gt_i32_e64 s[2:3], s49, v20
	v_mov_b32_e32 v18, 0
	v_mov_b32_e32 v23, 0
	s_and_saveexec_b64 s[4:5], s[2:3]
	s_cbranch_execz .LBB694_66
; %bb.65:
	v_add_u32_e32 v10, s20, v20
	v_ashrrev_i32_e32 v11, 31, v10
	v_mul_lo_u32 v12, v11, s14
	v_mul_lo_u32 v13, v10, s15
	v_mad_u64_u32 v[10:11], s[6:7], v10, s14, 0
	v_add3_u32 v11, v11, v13, v12
	v_lshl_add_u64 v[10:11], v[10:11], 2, s[10:11]
	global_load_dword v10, v[10:11], off
	s_waitcnt vmcnt(0)
	v_sub_f32_e32 v10, s16, v10
	v_exp_f32_e32 v23, v10
.LBB694_66:
	s_or_b64 exec, exec, s[4:5]
	v_or_b32_e32 v22, 3, v16
	v_cmp_gt_i32_e64 s[4:5], s49, v22
	s_and_saveexec_b64 s[6:7], s[4:5]
	s_cbranch_execz .LBB694_68
; %bb.67:
	v_add_u32_e32 v10, s20, v22
	v_ashrrev_i32_e32 v11, 31, v10
	v_mul_lo_u32 v12, v11, s14
	v_mul_lo_u32 v13, v10, s15
	v_mad_u64_u32 v[10:11], s[14:15], v10, s14, 0
	v_add3_u32 v11, v11, v13, v12
	v_lshl_add_u64 v[10:11], v[10:11], 2, s[10:11]
	global_load_dword v10, v[10:11], off
	s_waitcnt vmcnt(0)
	v_sub_f32_e32 v10, s16, v10
	v_exp_f32_e32 v18, v10
.LBB694_68:
	s_or_b64 exec, exec, s[6:7]
	s_waitcnt lgkmcnt(11)
	v_mfma_f32_16x16x16_bf16 a[0:3], v[40:41], v[30:31], a[0:3]
	s_add_u32 s6, s8, s28
	v_ashrrev_i32_e32 v35, 31, v34
	s_addc_u32 s7, s9, s29
	s_waitcnt lgkmcnt(10)
	v_mfma_f32_16x16x16_bf16 a[0:3], v[42:43], v[32:33], a[0:3]
	v_mov_b32_e32 v24, 0
	v_lshl_add_u64 v[14:15], v[34:35], 1, s[6:7]
	v_mov_b32_e32 v25, 0
	s_waitcnt lgkmcnt(9)
	v_mfma_f32_16x16x16_bf16 a[0:3], v[38:39], v[26:27], a[0:3]
	s_waitcnt lgkmcnt(8)
	v_mfma_f32_16x16x16_bf16 a[0:3], v[36:37], v[28:29], a[0:3]
	s_nop 6
	v_accvgpr_read_b32 v13, a3
	v_accvgpr_read_b32 v12, a2
	;; [unrolled: 1-line block ×4, first 2 shown]
	s_and_saveexec_b64 s[6:7], vcc
	s_cbranch_execz .LBB694_70
; %bb.69:
	v_lshlrev_b32_e32 v26, 8, v16
	v_mov_b32_e32 v27, 0
	v_lshl_add_u64 v[26:27], v[14:15], 0, v[26:27]
	global_load_ushort v25, v[26:27], off
	s_waitcnt vmcnt(0)
	v_lshlrev_b32_e32 v25, 16, v25
	v_sub_f32_e32 v10, v25, v10
	v_mul_f32_e32 v10, v21, v10
	v_lshrrev_b32_e32 v25, 16, v10
.LBB694_70:
	s_or_b64 exec, exec, s[6:7]
	s_and_saveexec_b64 s[6:7], s[0:1]
	s_cbranch_execz .LBB694_72
; %bb.71:
	v_lshlrev_b32_e32 v26, 8, v19
	v_mov_b32_e32 v27, 0
	v_lshl_add_u64 v[26:27], v[14:15], 0, v[26:27]
	global_load_ushort v10, v[26:27], off
	s_waitcnt vmcnt(0)
	v_lshlrev_b32_e32 v10, 16, v10
	v_sub_f32_e32 v10, v10, v11
	v_mul_f32_e32 v10, v17, v10
	v_lshrrev_b32_e32 v24, 16, v10
.LBB694_72:
	s_or_b64 exec, exec, s[6:7]
	v_mov_b32_e32 v11, 0
	v_mov_b32_e32 v17, 0
	s_and_saveexec_b64 s[0:1], s[2:3]
	s_cbranch_execz .LBB694_74
; %bb.73:
	v_lshlrev_b32_e32 v20, 8, v20
	v_mov_b32_e32 v21, 0
	v_lshl_add_u64 v[20:21], v[14:15], 0, v[20:21]
	global_load_ushort v10, v[20:21], off
	s_waitcnt vmcnt(0)
	v_lshlrev_b32_e32 v10, 16, v10
	v_sub_f32_e32 v10, v10, v12
	v_mul_f32_e32 v10, v23, v10
	v_lshrrev_b32_e32 v17, 16, v10
.LBB694_74:
	s_or_b64 exec, exec, s[0:1]
	v_or_b32_e32 v10, 0x9800, v49
	s_and_saveexec_b64 s[0:1], s[4:5]
	s_cbranch_execz .LBB694_76
; %bb.75:
	v_lshlrev_b32_e32 v20, 8, v22
	v_mov_b32_e32 v21, 0
	v_lshl_add_u64 v[14:15], v[14:15], 0, v[20:21]
	global_load_ushort v11, v[14:15], off
	s_waitcnt vmcnt(0)
	v_lshlrev_b32_e32 v11, 16, v11
	v_sub_f32_e32 v11, v11, v13
	v_mul_f32_e32 v11, v18, v11
	v_lshrrev_b32_e32 v11, 16, v11
.LBB694_76:
	s_or_b64 exec, exec, s[0:1]
	s_mov_b32 s0, 0x5040100
	v_perm_b32 v13, v11, v17, s0
	v_lshlrev_b32_e32 v11, 1, v44
	v_perm_b32 v12, v24, v25, s0
	v_lshl_or_b32 v11, v16, 5, v11
	s_movk_i32 s0, 0xff
	ds_write_b64 v11, v[12:13] offset:38912
	v_and_b32_e32 v11, 7, v0
	v_and_b32_e32 v12, 8, v0
	v_cmp_lt_u32_e32 vcc, s0, v0
	v_lshrrev_b32_e32 v0, 1, v0
	v_lshlrev_b32_e32 v22, 3, v11
	v_lshlrev_b32_e32 v23, 7, v11
	v_cndmask_b32_e64 v11, 0, 1, vcc
	v_lshlrev_b32_e32 v25, 3, v46
	v_and_b32_e32 v0, 24, v0
	v_lshlrev_b32_e32 v24, 13, v11
	v_xor_b32_e32 v11, v25, v0
	v_or_b32_e32 v13, 0x440, v11
	v_cmp_eq_u32_e32 vcc, 0, v12
	s_waitcnt lgkmcnt(0)
	s_barrier
	v_cndmask_b32_e32 v11, v13, v11, vcc
	v_or_b32_e32 v11, v11, v45
	v_xad_u32 v26, v11, v22, v23
	v_add_u32_e32 v11, v24, v26
	ds_read_b64 v[20:21], v11
	ds_read2st64_b64 v[12:15], v10 offset1:1
	ds_read2st64_b64 v[16:19], v10 offset0:2 offset1:3
	v_or_b32_e32 v10, 32, v0
	v_xor_b32_e32 v10, v25, v10
	v_or_b32_e32 v11, 0x440, v10
	v_cndmask_b32_e32 v10, v11, v10, vcc
	v_or_b32_e32 v10, v10, v45
	v_xad_u32 v27, v10, v22, v23
	v_add_u32_e32 v10, v24, v27
	ds_read_b64 v[10:11], v10
	s_waitcnt lgkmcnt(2)
	v_mfma_f32_16x16x16_bf16 a[0:3], v[20:21], v[12:13], 0
	s_waitcnt lgkmcnt(0)
	v_mfma_f32_16x16x16_bf16 a[0:3], v[10:11], v[14:15], a[0:3]
	v_or_b32_e32 v10, 64, v0
	v_xor_b32_e32 v10, v25, v10
	v_xor_b32_e32 v11, 0x440, v10
	v_cndmask_b32_e32 v10, v11, v10, vcc
	v_or_b32_e32 v10, v10, v45
	v_or_b32_e32 v0, 0x60, v0
	v_xad_u32 v28, v10, v22, v23
	v_xor_b32_e32 v0, v25, v0
	v_add_u32_e32 v10, v24, v28
	v_xor_b32_e32 v20, 0x440, v0
	ds_read_b64 v[10:11], v10
	v_cndmask_b32_e32 v0, v20, v0, vcc
	v_or_b32_e32 v0, v0, v45
	v_xad_u32 v0, v0, v22, v23
	v_add_u32_e32 v20, v24, v0
	ds_read_b64 v[20:21], v20
	s_waitcnt lgkmcnt(1)
	v_mfma_f32_16x16x16_bf16 a[0:3], v[10:11], v[16:17], a[0:3]
	ds_read_b64 v[10:11], v26 offset:8192
	ds_read_b64 v[22:23], v28 offset:8192
	v_exp_f32_e32 v24, s16
	s_waitcnt lgkmcnt(2)
	v_mfma_f32_16x16x16_bf16 a[0:3], v[20:21], v[18:19], a[0:3]
	ds_read_b64 v[20:21], v27 offset:8192
	s_waitcnt lgkmcnt(2)
	v_mfma_f32_16x16x16_bf16 a[4:7], v[10:11], v[12:13], 0
	s_nop 3
	v_accvgpr_read_b32 v10, a0
	v_fma_f32 v12, v2, v24, v10
	ds_read_b64 v[10:11], v0 offset:8192
	s_waitcnt lgkmcnt(1)
	v_mfma_f32_16x16x16_bf16 a[4:7], v[20:21], v[14:15], a[4:7]
	v_accvgpr_read_b32 v0, a1
	v_fma_f32 v13, v3, v24, v0
	v_accvgpr_read_b32 v0, a2
	v_mfma_f32_16x16x16_bf16 a[4:7], v[22:23], v[16:17], a[4:7]
	v_accvgpr_read_b32 v15, a3
	v_fma_f32 v14, v4, v24, v0
	v_fmac_f32_e32 v15, v5, v24
	s_waitcnt lgkmcnt(0)
	v_mfma_f32_16x16x16_bf16 a[0:3], v[10:11], v[18:19], a[4:7]
	v_mov_b32_e32 v10, v34
	s_nop 5
	v_accvgpr_read_b32 v0, a0
	v_fma_f32 v16, v6, v24, v0
	v_accvgpr_read_b32 v0, a1
	v_fma_f32 v17, v7, v24, v0
	v_accvgpr_read_b32 v0, a2
	v_accvgpr_read_b32 v19, a3
	v_fma_f32 v18, v8, v24, v0
	v_fmac_f32_e32 v19, v9, v24
	v_mov_b64_e32 v[2:3], v[12:13]
	v_mov_b64_e32 v[4:5], v[14:15]
	;; [unrolled: 1-line block ×4, first 2 shown]
.LBB694_77:
	s_mul_i32 s0, s45, s35
	s_mul_hi_u32 s1, s45, s34
	s_add_i32 s0, s1, s0
	s_mul_i32 s1, s33, s34
	s_add_i32 s1, s0, s1
	s_mul_i32 s0, s45, s34
	s_add_u32 s0, s0, s44
	s_addc_u32 s1, s1, s21
	s_lshl_b64 s[0:1], s[0:1], 16
	s_add_u32 s0, s12, s0
	v_lshlrev_b32_e32 v10, 7, v10
	s_addc_u32 s1, s13, s1
	v_ashrrev_i32_e32 v11, 31, v10
	v_lshl_add_u64 v[10:11], v[10:11], 2, s[0:1]
	v_lshlrev_b32_e32 v0, 2, v1
	v_mov_b32_e32 v1, 0
	v_lshl_add_u64 v[0:1], v[10:11], 0, v[0:1]
	global_store_dwordx4 v[0:1], v[2:5], off
	global_store_dwordx4 v[0:1], v[6:9], off offset:256
	s_endpgm
	.section	.rodata,"a",@progbits
	.p2align	6, 0x0
	.amdhsa_kernel _ZN12_GLOBAL__N_139chunk_gated_delta_rule_fwd_h_hip_kernelILi16ELb0ELb1ELb0ELb1ELb1ELb0ELb0ELb0EEEvPK12hip_bfloat16S3_S3_PKfS5_PKvPS1_S8_PvPKiSB_iiiiilll
		.amdhsa_group_segment_fixed_size 40960
		.amdhsa_private_segment_fixed_size 0
		.amdhsa_kernarg_size 136
		.amdhsa_user_sgpr_count 2
		.amdhsa_user_sgpr_dispatch_ptr 0
		.amdhsa_user_sgpr_queue_ptr 0
		.amdhsa_user_sgpr_kernarg_segment_ptr 1
		.amdhsa_user_sgpr_dispatch_id 0
		.amdhsa_user_sgpr_kernarg_preload_length 0
		.amdhsa_user_sgpr_kernarg_preload_offset 0
		.amdhsa_user_sgpr_private_segment_size 0
		.amdhsa_uses_dynamic_stack 0
		.amdhsa_enable_private_segment 0
		.amdhsa_system_sgpr_workgroup_id_x 1
		.amdhsa_system_sgpr_workgroup_id_y 1
		.amdhsa_system_sgpr_workgroup_id_z 0
		.amdhsa_system_sgpr_workgroup_info 0
		.amdhsa_system_vgpr_workitem_id 0
		.amdhsa_next_free_vgpr 116
		.amdhsa_next_free_sgpr 63
		.amdhsa_accum_offset 108
		.amdhsa_reserve_vcc 1
		.amdhsa_float_round_mode_32 0
		.amdhsa_float_round_mode_16_64 0
		.amdhsa_float_denorm_mode_32 3
		.amdhsa_float_denorm_mode_16_64 3
		.amdhsa_dx10_clamp 1
		.amdhsa_ieee_mode 1
		.amdhsa_fp16_overflow 0
		.amdhsa_tg_split 0
		.amdhsa_exception_fp_ieee_invalid_op 0
		.amdhsa_exception_fp_denorm_src 0
		.amdhsa_exception_fp_ieee_div_zero 0
		.amdhsa_exception_fp_ieee_overflow 0
		.amdhsa_exception_fp_ieee_underflow 0
		.amdhsa_exception_fp_ieee_inexact 0
		.amdhsa_exception_int_div_zero 0
	.end_amdhsa_kernel
	.section	.text._ZN12_GLOBAL__N_139chunk_gated_delta_rule_fwd_h_hip_kernelILi16ELb0ELb1ELb0ELb1ELb1ELb0ELb0ELb0EEEvPK12hip_bfloat16S3_S3_PKfS5_PKvPS1_S8_PvPKiSB_iiiiilll,"axG",@progbits,_ZN12_GLOBAL__N_139chunk_gated_delta_rule_fwd_h_hip_kernelILi16ELb0ELb1ELb0ELb1ELb1ELb0ELb0ELb0EEEvPK12hip_bfloat16S3_S3_PKfS5_PKvPS1_S8_PvPKiSB_iiiiilll,comdat
.Lfunc_end694:
	.size	_ZN12_GLOBAL__N_139chunk_gated_delta_rule_fwd_h_hip_kernelILi16ELb0ELb1ELb0ELb1ELb1ELb0ELb0ELb0EEEvPK12hip_bfloat16S3_S3_PKfS5_PKvPS1_S8_PvPKiSB_iiiiilll, .Lfunc_end694-_ZN12_GLOBAL__N_139chunk_gated_delta_rule_fwd_h_hip_kernelILi16ELb0ELb1ELb0ELb1ELb1ELb0ELb0ELb0EEEvPK12hip_bfloat16S3_S3_PKfS5_PKvPS1_S8_PvPKiSB_iiiiilll
                                        ; -- End function
	.section	.AMDGPU.csdata,"",@progbits
; Kernel info:
; codeLenInByte = 7652
; NumSgprs: 69
; NumVgprs: 106
; NumAgprs: 8
; TotalNumVgprs: 116
; ScratchSize: 0
; MemoryBound: 0
; FloatMode: 240
; IeeeMode: 1
; LDSByteSize: 40960 bytes/workgroup (compile time only)
; SGPRBlocks: 8
; VGPRBlocks: 14
; NumSGPRsForWavesPerEU: 69
; NumVGPRsForWavesPerEU: 116
; AccumOffset: 108
; Occupancy: 1
; WaveLimiterHint : 1
; COMPUTE_PGM_RSRC2:SCRATCH_EN: 0
; COMPUTE_PGM_RSRC2:USER_SGPR: 2
; COMPUTE_PGM_RSRC2:TRAP_HANDLER: 0
; COMPUTE_PGM_RSRC2:TGID_X_EN: 1
; COMPUTE_PGM_RSRC2:TGID_Y_EN: 1
; COMPUTE_PGM_RSRC2:TGID_Z_EN: 0
; COMPUTE_PGM_RSRC2:TIDIG_COMP_CNT: 0
; COMPUTE_PGM_RSRC3_GFX90A:ACCUM_OFFSET: 26
; COMPUTE_PGM_RSRC3_GFX90A:TG_SPLIT: 0
	.section	.text._ZN12_GLOBAL__N_139chunk_gated_delta_rule_fwd_h_hip_kernelILi16ELb0ELb0ELb1ELb1ELb1ELb0ELb0ELb0EEEvPK12hip_bfloat16S3_S3_PKfS5_PKvPS1_S8_PvPKiSB_iiiiilll,"axG",@progbits,_ZN12_GLOBAL__N_139chunk_gated_delta_rule_fwd_h_hip_kernelILi16ELb0ELb0ELb1ELb1ELb1ELb0ELb0ELb0EEEvPK12hip_bfloat16S3_S3_PKfS5_PKvPS1_S8_PvPKiSB_iiiiilll,comdat
	.globl	_ZN12_GLOBAL__N_139chunk_gated_delta_rule_fwd_h_hip_kernelILi16ELb0ELb0ELb1ELb1ELb1ELb0ELb0ELb0EEEvPK12hip_bfloat16S3_S3_PKfS5_PKvPS1_S8_PvPKiSB_iiiiilll ; -- Begin function _ZN12_GLOBAL__N_139chunk_gated_delta_rule_fwd_h_hip_kernelILi16ELb0ELb0ELb1ELb1ELb1ELb0ELb0ELb0EEEvPK12hip_bfloat16S3_S3_PKfS5_PKvPS1_S8_PvPKiSB_iiiiilll
	.p2align	8
	.type	_ZN12_GLOBAL__N_139chunk_gated_delta_rule_fwd_h_hip_kernelILi16ELb0ELb0ELb1ELb1ELb1ELb0ELb0ELb0EEEvPK12hip_bfloat16S3_S3_PKfS5_PKvPS1_S8_PvPKiSB_iiiiilll,@function
_ZN12_GLOBAL__N_139chunk_gated_delta_rule_fwd_h_hip_kernelILi16ELb0ELb0ELb1ELb1ELb1ELb0ELb0ELb0EEEvPK12hip_bfloat16S3_S3_PKfS5_PKvPS1_S8_PvPKiSB_iiiiilll: ; @_ZN12_GLOBAL__N_139chunk_gated_delta_rule_fwd_h_hip_kernelILi16ELb0ELb0ELb1ELb1ELb1ELb0ELb0ELb0EEEvPK12hip_bfloat16S3_S3_PKfS5_PKvPS1_S8_PvPKiSB_iiiiilll
; %bb.0:
	s_load_dwordx4 s[16:19], s[0:1], 0x5c
	s_load_dwordx4 s[20:23], s[0:1], 0x70
	s_abs_i32 s25, s3
	s_ashr_i32 s24, s3, 31
	s_load_dwordx4 s[12:15], s[0:1], 0x30
	s_load_dwordx4 s[28:31], s[0:1], 0x48
	s_waitcnt lgkmcnt(0)
	s_abs_i32 s34, s17
	v_cvt_f32_u32_e32 v1, s34
	s_sub_i32 s26, 0, s34
	s_ashr_i32 s35, s17, 31
	s_xor_b32 s24, s24, s35
	v_rcp_iflag_f32_e32 v1, v1
	s_load_dwordx8 s[4:11], s[0:1], 0x0
	v_lshrrev_b32_e32 v44, 6, v0
	v_bfe_u32 v45, v0, 4, 2
	v_mul_f32_e32 v1, 0x4f7ffffe, v1
	v_cvt_u32_f32_e32 v1, v1
	v_lshlrev_b32_e32 v42, 4, v44
	v_lshlrev_b32_e32 v2, 2, v45
	v_and_b32_e32 v43, 63, v0
	v_readfirstlane_b32 s27, v1
	s_mul_i32 s26, s26, s27
	s_mul_hi_u32 s26, s27, s26
	s_add_i32 s27, s27, s26
	s_mul_hi_u32 s26, s25, s27
	s_mul_i32 s27, s26, s34
	s_sub_i32 s25, s25, s27
	s_add_i32 s33, s26, 1
	s_sub_i32 s27, s25, s34
	s_cmp_ge_u32 s25, s34
	s_cselect_b32 s26, s33, s26
	s_cselect_b32 s25, s27, s25
	s_add_i32 s27, s26, 1
	s_cmp_ge_u32 s25, s34
	s_cselect_b32 s25, s27, s26
	s_xor_b32 s25, s25, s24
	s_sub_i32 s24, s25, s24
	s_mul_i32 s25, s24, s17
	s_sub_i32 s33, s3, s25
	s_ashr_i32 s25, s24, 31
	s_lshl_b64 s[26:27], s[24:25], 2
	s_add_u32 s28, s28, s26
	s_addc_u32 s29, s29, s27
	s_add_u32 s26, s30, s26
	s_addc_u32 s27, s31, s27
	s_abs_i32 s3, s18
	v_cvt_f32_u32_e32 v1, s3
	s_load_dwordx2 s[38:39], s[28:29], 0x0
	s_sub_i32 s29, 0, s3
	s_load_dword s47, s[26:27], 0x0
	v_rcp_iflag_f32_e32 v1, v1
	v_or_b32_e32 v49, v2, v42
	s_waitcnt lgkmcnt(0)
	s_sub_i32 s45, s39, s38
	s_ashr_i32 s28, s45, 31
	v_mul_f32_e32 v1, 0x4f7ffffe, v1
	v_cvt_u32_f32_e32 v1, v1
	s_lshr_b32 s28, s28, 26
	s_add_i32 s28, s45, s28
	s_ashr_i32 s46, s28, 6
	v_readfirstlane_b32 s30, v1
	s_mul_i32 s29, s29, s30
	s_mul_hi_u32 s29, s30, s29
	s_add_i32 s30, s30, s29
	s_mul_hi_u32 s29, s34, s30
	s_mul_i32 s30, s29, s3
	s_ashr_i32 s28, s18, 31
	s_sub_i32 s30, s34, s30
	s_xor_b32 s28, s35, s28
	s_add_i32 s31, s29, 1
	s_sub_i32 s34, s30, s3
	s_cmp_ge_u32 s30, s3
	s_cselect_b32 s29, s31, s29
	s_cselect_b32 s30, s34, s30
	s_add_i32 s31, s29, 1
	s_cmp_ge_u32 s30, s3
	s_cselect_b32 s3, s31, s29
	s_xor_b32 s3, s3, s28
	s_sub_i32 s3, s3, s28
	s_abs_i32 s28, s3
	v_cvt_f32_u32_e32 v1, s28
	s_load_dwordx2 s[34:35], s[0:1], 0x80
	s_xor_b32 s0, s33, s3
	s_sub_i32 s3, 0, s28
	v_rcp_iflag_f32_e32 v1, v1
	s_abs_i32 s1, s33
	s_ashr_i32 s0, s0, 31
	v_or_b32_e32 v48, 64, v49
	v_mul_f32_e32 v1, 0x4f7ffffe, v1
	v_cvt_u32_f32_e32 v1, v1
	v_mov_b32_e32 v3, 0
	s_mul_hi_i32 s48, s33, s16
	s_mul_i32 s49, s33, s16
	v_readfirstlane_b32 s26, v1
	s_mul_i32 s3, s3, s26
	s_mul_hi_u32 s3, s26, s3
	s_add_i32 s26, s26, s3
	s_mul_hi_u32 s3, s1, s26
	s_mul_i32 s26, s3, s28
	s_sub_i32 s1, s1, s26
	s_add_i32 s26, s3, 1
	s_sub_i32 s27, s1, s28
	s_cmp_ge_u32 s1, s28
	s_cselect_b32 s3, s26, s3
	s_cselect_b32 s1, s27, s1
	s_add_i32 s26, s3, 1
	s_cmp_ge_u32 s1, s28
	s_cselect_b32 s1, s26, s3
	s_xor_b32 s1, s1, s0
	s_sub_i32 s51, s1, s0
	s_lshl_b32 s36, s2, 4
	v_and_b32_e32 v1, 15, v0
	s_cmp_lt_i32 s45, 64
	v_lshrrev_b32_e32 v47, 3, v43
	v_lshlrev_b32_e32 v46, 3, v0
	s_mul_i32 s42, s24, s21
	s_mul_hi_u32 s43, s24, s20
	s_mul_i32 s44, s25, s20
	s_mul_i32 s20, s24, s20
	v_mov_b32_e32 v65, 0
	v_mov_b32_e32 v34, 0
	;; [unrolled: 1-line block ×7, first 2 shown]
	s_cbranch_scc1 .LBB695_18
; %bb.1:
	s_ashr_i32 s53, s33, 31
	s_ashr_i32 s1, s38, 31
	s_add_u32 s0, s49, s38
	s_addc_u32 s1, s48, s1
	s_lshl_b64 s[0:1], s[0:1], 8
	v_and_b32_e32 v51, 56, v46
	s_add_u32 s0, s6, s0
	v_lshl_or_b32 v50, v44, 3, v47
	v_lshlrev_b32_e32 v3, 1, v51
	s_addc_u32 s1, s7, s1
	v_lshl_or_b32 v52, v50, 8, v3
	s_and_b32 s1, s1, 0xffff
	s_mov_b32 s3, 0x20000
	s_movk_i32 s2, 0x4000
	s_movk_i32 s21, 0x80
	v_or_b32_e32 v53, 0x2000, v52
	buffer_load_dwordx4 v[4:7], v52, s[0:3], 0 offen
	buffer_load_dwordx4 v[8:11], v52, s[0:3], s21 offen
	buffer_load_dwordx4 v[12:15], v53, s[0:3], 0 offen
	buffer_load_dwordx4 v[16:19], v53, s[0:3], s21 offen
	v_lshlrev_b32_e32 v20, 3, v50
	v_and_or_b32 v22, v0, 7, v20
	v_and_b32_e32 v20, 0x78, v20
	v_lshlrev_b32_e32 v22, 4, v22
	v_xor_b32_e32 v54, v22, v20
	v_mul_lo_u32 v21, v50, s19
	v_or_b32_e32 v55, 0x1000, v54
	s_cmpk_eq_i32 s19, 0x80
	s_mov_b32 s50, s17
	s_mov_b32 s52, s38
	v_xor_b32_e32 v20, 8, v54
	v_xor_b32_e32 v22, 8, v55
	s_cselect_b64 s[0:1], -1, 0
	s_cmpk_lg_i32 s19, 0x80
	s_waitcnt vmcnt(3)
	ds_write_b64 v54, v[4:5] offset:16384
	ds_write_b64 v20, v[6:7] offset:16384
	s_waitcnt vmcnt(2)
	ds_write_b64 v54, v[8:9] offset:24576
	ds_write_b64 v20, v[10:11] offset:24576
	;; [unrolled: 3-line block ×4, first 2 shown]
	v_lshl_add_u32 v4, v21, 1, v51
	s_cbranch_scc0 .LBB695_3
; %bb.2:
	v_lshlrev_b32_e32 v6, 1, v4
	v_add_lshl_u32 v5, v4, s19, 1
	s_lshl_b32 s26, s19, 7
	v_lshl_or_b32 v3, v50, 9, v3
	s_cbranch_execz .LBB695_4
	s_branch .LBB695_5
.LBB695_3:
                                        ; implicit-def: $vgpr5
                                        ; implicit-def: $vgpr6
                                        ; implicit-def: $sgpr26
	v_lshl_or_b32 v3, v50, 9, v3
.LBB695_4:
	v_or_b32_e32 v5, 0x100, v3
	s_movk_i32 s26, 0x4000
	v_mov_b32_e32 v6, v3
.LBB695_5:
	s_mul_i32 s2, s38, s18
	s_ashr_i32 s54, s51, 31
	s_mul_hi_i32 s3, s38, s18
	s_add_u32 s2, s2, s51
	s_addc_u32 s3, s3, s54
	s_lshl_b64 s[2:3], s[2:3], 8
	s_add_u32 s24, s4, s2
	s_addc_u32 s2, s5, s3
	s_and_b32 s25, s2, 0xffff
	s_mov_b32 s27, 0x20000
	s_movk_i32 s55, 0x80
	buffer_load_dwordx4 v[8:11], v6, s[24:27], 0 offen
	buffer_load_dwordx4 v[12:15], v6, s[24:27], s55 offen
	;; [unrolled: 1-line block ×4, first 2 shown]
	v_and_b32_e32 v5, 6, v0
	v_lshlrev_b32_e32 v7, 2, v1
	v_lshlrev_b32_e32 v24, 3, v1
	v_xor_b32_e32 v26, v50, v5
	v_and_b32_e32 v6, 1, v0
	v_lshl_or_b32 v24, v49, 5, v24
	v_xor_b32_e32 v27, v49, v7
	v_lshlrev_b32_e32 v26, 2, v26
	s_mul_i32 s3, s33, s23
	s_mul_hi_u32 s21, s33, s22
	v_or_b32_e32 v56, 0x9000, v24
	v_or_b32_e32 v57, 0x9800, v24
	v_lshlrev_b32_e32 v24, 1, v27
	v_xor_b32_e32 v27, 0x440, v26
	v_cmp_eq_u32_e32 vcc, 0, v6
	s_add_i32 s25, s43, s42
	s_mul_i32 s24, s53, s22
	v_cndmask_b32_e32 v6, v27, v26, vcc
	s_add_i32 s3, s21, s3
	s_add_i32 s21, s25, s44
	s_mov_b32 s56, 0x1000504
	v_lshlrev_b32_e32 v25, 8, v1
	s_mov_b32 s26, 0x8000
	v_xor_b32_e32 v7, v48, v7
	v_lshl_or_b32 v5, v5, 10, v6
	s_add_i32 s3, s3, s24
	s_lshl_b64 s[24:25], s[20:21], 2
	s_mov_b32 s57, 0x3020706
	s_mul_i32 s2, s33, s22
	v_lshlrev_b32_e32 v7, 1, v7
	v_or3_b32 v58, v24, v25, s26
	v_xor_b32_e32 v6, 8, v5
	v_xor_b32_e32 v24, 24, v5
	;; [unrolled: 1-line block ×4, first 2 shown]
	s_add_u32 s21, s10, s24
	v_or3_b32 v59, v7, v25, s26
	v_xor_b32_e32 v7, 16, v5
	v_xor_b32_e32 v25, 32, v5
	;; [unrolled: 1-line block ×3, first 2 shown]
	v_add_u32_e32 v6, 0x80, v6
	v_add_u32_e32 v24, 0x80, v24
	;; [unrolled: 1-line block ×4, first 2 shown]
	s_addc_u32 s24, s11, s25
	s_lshl_b64 s[2:3], s[2:3], 2
	s_add_u32 s2, s21, s2
	s_movk_i32 s21, 0xf8
	s_addc_u32 s3, s24, s3
	s_ashr_i32 s37, s36, 31
	s_lshl_b32 s30, s19, 7
	s_lshl_b64 s[24:25], s[36:37], 8
	s_add_u32 s24, s12, s24
	s_addc_u32 s25, s13, s25
	v_mov_b32_e32 v35, 0
	s_mov_b32 s58, 0
	v_add_u32_e32 v78, v42, v2
	v_mov_b32_e32 v68, v35
	v_mov_b32_e32 v69, v35
	;; [unrolled: 1-line block ×6, first 2 shown]
	s_waitcnt vmcnt(1)
	v_perm_b32 v29, v8, v16, s56
	s_waitcnt vmcnt(0)
	v_perm_b32 v30, v12, v20, s56
	v_perm_b32 v8, v8, v16, s57
	;; [unrolled: 1-line block ×15, first 2 shown]
	ds_write2st64_b32 v5, v29, v30 offset1:32
	ds_write2st64_b32 v6, v8, v12 offset1:32
	ds_write2st64_b32 v7, v16, v20 offset0:1 offset1:33
	ds_write2st64_b32 v24, v9, v13 offset0:1 offset1:33
	;; [unrolled: 1-line block ×6, first 2 shown]
	v_or_b32_e32 v5, v42, v1
	v_lshlrev_b32_e32 v5, 3, v5
	v_lshrrev_b32_e32 v7, 5, v43
	v_and_or_b32 v7, v5, s21, v7
	v_lshlrev_b32_e32 v7, 4, v7
	v_lshlrev_b32_e32 v10, 11, v44
	v_and_b32_e32 v5, 0x78, v5
	v_or_b32_e32 v12, 32, v7
	v_and_b32_e32 v6, 0x1000, v10
	v_lshrrev_b32_e32 v11, 1, v0
	v_xor_b32_e32 v12, v12, v5
	v_and_b32_e32 v9, 8, v11
	v_or_b32_e32 v12, v12, v6
	v_xor_b32_e32 v8, v7, v5
	v_xor_b32_e32 v62, v12, v9
	v_or_b32_e32 v12, 64, v7
	v_or_b32_e32 v7, 0x60, v7
	v_xor_b32_e32 v12, v12, v5
	v_xor_b32_e32 v5, v7, v5
	v_or_b32_e32 v5, v5, v6
	v_or_b32_e32 v12, v12, v6
	v_xor_b32_e32 v66, v5, v9
	v_lshlrev_b32_e32 v5, 1, v1
	v_xor_b32_e32 v63, v12, v9
	v_lshlrev_b32_e32 v12, 1, v4
	v_add_lshl_u32 v13, v4, s19, 1
	v_lshrrev_b32_e32 v4, 4, v0
	v_or_b32_e32 v15, 1, v5
	v_xor_b32_e32 v5, v4, v5
	v_xor_b32_e32 v15, v15, v4
	v_lshlrev_b32_e32 v5, 3, v5
	v_lshlrev_b32_e32 v34, 8, v4
	;; [unrolled: 1-line block ×3, first 2 shown]
	v_or3_b32 v70, v5, v34, s26
	v_or3_b32 v71, v4, v34, s26
	v_lshl_add_u64 v[4:5], s[24:25], 0, v[34:35]
	v_lshlrev_b32_e32 v34, 4, v1
	s_movk_i32 s21, 0xff
	v_lshlrev_b32_e32 v17, 3, v44
	v_and_b32_e32 v11, 24, v11
	v_lshl_add_u64 v[36:37], v[4:5], 0, v[34:35]
	v_and_b32_e32 v5, 8, v0
	v_cmp_lt_u32_e32 vcc, s21, v0
	v_xor_b32_e32 v18, v17, v11
	v_or_b32_e32 v19, 0x440, v18
	v_cndmask_b32_e64 v16, 0, 1, vcc
	v_cmp_eq_u32_e32 vcc, 0, v5
	v_and_b32_e32 v4, 7, v0
	v_lshlrev_b32_e32 v15, 3, v4
	v_cndmask_b32_e32 v5, v19, v18, vcc
	v_lshlrev_b32_e32 v4, 7, v4
	v_or_b32_e32 v5, v5, v10
	v_xad_u32 v72, v5, v15, v4
	v_or_b32_e32 v5, 32, v11
	v_xor_b32_e32 v5, v17, v5
	v_or_b32_e32 v18, 0x440, v5
	v_cndmask_b32_e32 v5, v18, v5, vcc
	v_or_b32_e32 v5, v5, v10
	v_xad_u32 v73, v5, v15, v4
	v_or_b32_e32 v5, 64, v11
	v_xor_b32_e32 v5, v17, v5
	v_xor_b32_e32 v18, 0x440, v5
	v_cndmask_b32_e32 v5, v18, v5, vcc
	v_or_b32_e32 v5, v5, v10
	v_xad_u32 v74, v5, v15, v4
	v_or_b32_e32 v5, 0x60, v11
	v_xor_b32_e32 v5, v17, v5
	v_or_b32_e32 v8, v8, v6
	v_or_b32_e32 v6, s36, v1
	v_xor_b32_e32 v11, 0x440, v5
	v_xor_b32_e32 v60, v8, v9
	v_and_b32_e32 v8, 0x78, v46
	v_ashrrev_i32_e32 v7, 31, v6
	v_cndmask_b32_e32 v5, v11, v5, vcc
	v_lshl_or_b32 v8, v45, 7, v8
	v_lshlrev_b64 v[6:7], 1, v[6:7]
	v_or_b32_e32 v5, v5, v10
	v_or_b32_e32 v61, 0x9000, v8
	;; [unrolled: 1-line block ×3, first 2 shown]
	v_lshl_add_u64 v[8:9], s[8:9], 0, v[6:7]
	v_lshl_add_u64 v[6:7], s[14:15], 0, v[6:7]
	v_or_b32_e32 v14, 0x100, v3
	v_lshlrev_b32_e32 v16, 13, v16
	v_xad_u32 v75, v5, v15, v4
	v_lshlrev_b32_e32 v34, 8, v49
	v_cndmask_b32_e64 v76, v12, v3, s[0:1]
	v_cndmask_b32_e64 v77, v13, v14, s[0:1]
	v_lshl_add_u64 v[38:39], v[8:9], 0, v[34:35]
	v_lshl_add_u64 v[40:41], v[6:7], 0, v[34:35]
	s_mov_b32 s21, 0x7060302
	s_movk_i32 s26, 0x4000
	v_add_u32_e32 v79, v16, v72
	v_add_u32_e32 v80, v16, v73
	;; [unrolled: 1-line block ×4, first 2 shown]
	v_mov_b32_e32 v34, v35
	s_waitcnt lgkmcnt(0)
	s_barrier
.LBB695_6:                              ; =>This Inner Loop Header: Depth=1
	s_add_i32 s37, s58, 1
	s_cmp_lt_i32 s37, s46
	s_mov_b64 s[28:29], 0
	s_cselect_b64 s[40:41], -1, 0
	s_cmp_ge_i32 s37, s46
	s_mov_b64 s[24:25], 0
	s_cbranch_scc1 .LBB695_8
; %bb.7:                                ;   in Loop: Header=BB695_6 Depth=1
	s_add_i32 s0, s52, 64
	s_ashr_i32 s1, s0, 31
	s_add_u32 s0, s49, s0
	s_addc_u32 s1, s48, s1
	s_lshl_b64 s[0:1], s[0:1], 8
	s_add_u32 s24, s6, s0
	s_addc_u32 s25, s7, s1
.LBB695_8:                              ;   in Loop: Header=BB695_6 Depth=1
	v_cndmask_b32_e64 v2, 0, 1, s[40:41]
	v_cmp_ne_u32_e64 s[0:1], 1, v2
	s_andn2_b64 vcc, exec, s[40:41]
	s_cbranch_vccnz .LBB695_10
; %bb.9:                                ;   in Loop: Header=BB695_6 Depth=1
	s_add_i32 s28, s52, 64
	s_mul_hi_i32 s29, s28, s18
	s_mul_i32 s28, s28, s18
	s_add_u32 s28, s28, s51
	s_addc_u32 s29, s29, s54
	s_lshl_b64 s[28:29], s[28:29], 8
	s_add_u32 s28, s4, s28
	s_addc_u32 s29, s5, s29
.LBB695_10:                             ;   in Loop: Header=BB695_6 Depth=1
	v_perm_b32 v3, v84, v69, s21
	v_perm_b32 v2, v68, v35, s21
	;; [unrolled: 1-line block ×4, first 2 shown]
	ds_write_b64 v56, v[2:3]
	ds_write_b64 v57, v[4:5]
	;; [unrolled: 1-line block ×4, first 2 shown]
	s_waitcnt lgkmcnt(0)
	s_barrier
	ds_read_b64 v[10:11], v60 offset:16384
	ds_read_b64 v[12:13], v62 offset:16384
	ds_read2st64_b64 v[2:5], v61 offset1:1
	s_waitcnt lgkmcnt(0)
	v_mfma_f32_16x16x16_bf16 a[0:3], v[10:11], v[2:3], 0
	ds_read2st64_b64 v[6:9], v61 offset0:2 offset1:3
	ds_read_b64 v[14:15], v63 offset:16384
	ds_read_b64 v[2:3], v66 offset:16384
	s_add_i32 s31, s52, 63
	v_mfma_f32_16x16x16_bf16 a[0:3], v[12:13], v[4:5], a[0:3]
	s_ashr_i32 s40, s31, 31
	s_mul_i32 s41, s31, s35
	s_mul_hi_u32 s59, s31, s34
	s_waitcnt lgkmcnt(1)
	v_mfma_f32_16x16x16_bf16 a[0:3], v[14:15], v[6:7], a[0:3]
	s_add_i32 s41, s59, s41
	s_mul_i32 s40, s40, s34
	s_add_i32 s41, s41, s40
	s_mul_i32 s40, s31, s34
	s_waitcnt lgkmcnt(0)
	v_mfma_f32_16x16x16_bf16 a[0:3], v[2:3], v[8:9], a[0:3]
	s_lshl_b64 s[40:41], s[40:41], 2
	s_add_u32 s40, s2, s40
	s_addc_u32 s41, s3, s41
	s_and_b64 vcc, exec, s[0:1]
	v_mov_b32_e32 v87, 0
	v_mov_b32_e32 v86, 0
	;; [unrolled: 1-line block ×19, first 2 shown]
	s_cbranch_vccnz .LBB695_12
; %bb.11:                               ;   in Loop: Header=BB695_6 Depth=1
	s_and_b32 s25, s25, 0xffff
	buffer_load_dwordx4 v[14:17], v52, s[24:27], 0 offen
	buffer_load_dwordx4 v[10:13], v52, s[24:27], s55 offen
	;; [unrolled: 1-line block ×4, first 2 shown]
	v_mov_b32_e32 v86, v54
	v_mov_b32_e32 v85, v55
.LBB695_12:                             ;   in Loop: Header=BB695_6 Depth=1
	s_waitcnt vmcnt(3)
	v_add_u32_e32 v22, s52, v78
	s_waitcnt vmcnt(1)
	v_ashrrev_i32_e32 v18, 31, v22
	v_mul_lo_u32 v20, v18, s34
	v_mul_lo_u32 v21, v22, s35
	v_mad_u64_u32 v[18:19], s[24:25], v22, s34, 0
	v_add3_u32 v19, v19, v21, v20
	v_lshl_add_u64 v[18:19], v[18:19], 2, s[2:3]
	global_load_dword v89, v[18:19], off
	v_add_u32_e32 v18, 1, v22
	v_ashrrev_i32_e32 v19, 31, v18
	v_mul_lo_u32 v20, v19, s34
	v_mul_lo_u32 v21, v18, s35
	v_mad_u64_u32 v[18:19], s[24:25], v18, s34, 0
	v_add3_u32 v19, v19, v21, v20
	v_add_u32_e32 v20, 2, v22
	v_ashrrev_i32_e32 v21, 31, v20
	v_mul_lo_u32 v23, v21, s34
	v_mul_lo_u32 v24, v20, s35
	v_mad_u64_u32 v[20:21], s[24:25], v20, s34, 0
	v_add_u32_e32 v22, 3, v22
	v_add3_u32 v21, v21, v24, v23
	v_ashrrev_i32_e32 v23, 31, v22
	v_mul_lo_u32 v26, v23, s34
	v_mul_lo_u32 v27, v22, s35
	v_mad_u64_u32 v[22:23], s[24:25], v22, s34, 0
	s_ashr_i32 s25, s52, 31
	s_add_u32 s24, s49, s52
	s_addc_u32 s25, s48, s25
	s_lshl_b64 s[60:61], s[24:25], 8
	v_lshl_add_u64 v[18:19], v[18:19], 2, s[2:3]
	v_lshl_add_u64 v[24:25], v[38:39], 0, s[60:61]
	v_add3_u32 v23, v23, v27, v26
	v_lshl_add_u64 v[20:21], v[20:21], 2, s[2:3]
	global_load_ushort v92, v[24:25], off
	global_load_ushort v93, v[24:25], off offset:256
	global_load_ushort v94, v[24:25], off offset:512
	;; [unrolled: 1-line block ×3, first 2 shown]
	v_lshl_add_u64 v[22:23], v[22:23], 2, s[2:3]
	global_load_dword v96, v[18:19], off
	global_load_dword v97, v[20:21], off
	;; [unrolled: 1-line block ×3, first 2 shown]
	s_load_dword s24, s[40:41], 0x0
	ds_read_b64 v[20:21], v60 offset:24576
	ds_read2st64_b64 v[22:25], v67 offset1:1
	ds_read2st64_b64 v[26:29], v67 offset0:2 offset1:3
	ds_read_b64 v[30:31], v62 offset:24576
	ds_read_b64 v[32:33], v63 offset:24576
	;; [unrolled: 1-line block ×3, first 2 shown]
	s_waitcnt lgkmcnt(0)
	v_mfma_f32_16x16x16_bf16 a[0:3], v[20:21], v[22:23], a[0:3]
	v_mov_b32_e32 v88, 0
	v_mov_b32_e32 v18, 0
	;; [unrolled: 1-line block ×3, first 2 shown]
	v_mfma_f32_16x16x16_bf16 a[0:3], v[30:31], v[24:25], a[0:3]
	v_lshl_add_u64 v[30:31], v[40:41], 0, s[60:61]
	v_mov_b32_e32 v20, 0
	v_mov_b32_e32 v21, 0
	v_mfma_f32_16x16x16_bf16 a[0:3], v[32:33], v[26:27], a[0:3]
	v_mov_b32_e32 v22, 0
	v_mov_b32_e32 v23, 0
	;; [unrolled: 1-line block ×3, first 2 shown]
	v_mfma_f32_16x16x16_bf16 a[0:3], v[90:91], v[28:29], a[0:3]
	v_mov_b32_e32 v25, 0
	v_mov_b32_e32 v26, 0
	s_and_b64 vcc, exec, s[0:1]
	s_waitcnt vmcnt(7)
	v_sub_f32_e32 v27, s24, v89
	s_nop 1
	v_accvgpr_read_b32 v33, a1
	v_accvgpr_read_b32 v32, a0
	;; [unrolled: 1-line block ×4, first 2 shown]
	s_waitcnt vmcnt(6)
	v_lshlrev_b32_e32 v90, 16, v92
	s_waitcnt vmcnt(5)
	v_lshlrev_b32_e32 v91, 16, v93
	;; [unrolled: 2-line block ×3, first 2 shown]
	v_exp_f32_e32 v94, v27
	s_waitcnt vmcnt(2)
	v_sub_f32_e32 v27, s24, v96
	s_waitcnt vmcnt(1)
	v_sub_f32_e32 v89, s24, v97
	;; [unrolled: 2-line block ×3, first 2 shown]
	v_lshlrev_b32_e32 v93, 16, v95
	v_pk_add_f32 v[32:33], v[90:91], v[32:33] neg_lo:[0,1] neg_hi:[0,1]
	v_exp_f32_e32 v95, v27
	v_exp_f32_e32 v90, v89
	;; [unrolled: 1-line block ×3, first 2 shown]
	v_pk_add_f32 v[28:29], v[92:93], v[28:29] neg_lo:[0,1] neg_hi:[0,1]
	global_store_short_d16_hi v[30:31], v32, off
	global_store_short_d16_hi v[30:31], v33, off offset:256
	global_store_short_d16_hi v[30:31], v28, off offset:512
	;; [unrolled: 1-line block ×3, first 2 shown]
	v_pk_mul_f32 v[30:31], v[94:95], v[32:33]
	v_pk_mul_f32 v[28:29], v[90:91], v[28:29]
	v_perm_b32 v30, v31, v30, s21
	v_perm_b32 v31, v29, v28, s21
	ds_write_b64 v57, v[30:31]
	v_mov_b32_e32 v27, 0
	v_mov_b32_e32 v28, 0
	;; [unrolled: 1-line block ×7, first 2 shown]
	s_cbranch_vccnz .LBB695_14
; %bb.13:                               ;   in Loop: Header=BB695_6 Depth=1
	s_and_b32 s29, s29, 0xffff
	s_mov_b32 s31, s27
	buffer_load_dwordx4 v[30:33], v76, s[28:31], 0 offen
	buffer_load_dwordx4 v[22:25], v76, s[28:31], s55 offen
	;; [unrolled: 1-line block ×4, first 2 shown]
	v_mov_b32_e32 v87, v51
	v_mov_b32_e32 v88, v50
.LBB695_14:                             ;   in Loop: Header=BB695_6 Depth=1
	s_waitcnt lgkmcnt(0)
	s_barrier
	ds_read_b64 v[98:99], v79
	ds_read2st64_b64 v[90:93], v67 offset1:1
	ds_read2st64_b64 v[94:97], v67 offset0:2 offset1:3
	ds_read_b64 v[100:101], v80
	ds_read_b64 v[102:103], v81
	;; [unrolled: 1-line block ×3, first 2 shown]
	s_waitcnt lgkmcnt(4)
	v_mfma_f32_16x16x16_bf16 a[0:3], v[98:99], v[90:91], 0
	ds_read_b64 v[98:99], v72 offset:8192
	ds_read_b64 v[106:107], v73 offset:8192
	s_add_i32 s25, s47, s58
	s_mul_hi_i32 s29, s25, s50
	s_waitcnt lgkmcnt(1)
	v_mfma_f32_16x16x16_bf16 a[4:7], v[98:99], v[90:91], 0
	s_mul_i32 s25, s25, s50
	s_add_u32 s28, s25, s33
	s_addc_u32 s29, s29, s53
	v_mfma_f32_16x16x16_bf16 a[0:3], v[100:101], v[92:93], a[0:3]
	ds_read_b64 v[98:99], v70
	ds_read_b64 v[100:101], v71
	ds_read_b64 v[90:91], v74 offset:8192
	s_lshl_b64 s[28:29], s[28:29], 15
	v_mfma_f32_16x16x16_bf16 a[0:3], v[102:103], v[94:95], a[0:3]
	ds_read_b64 v[102:103], v75 offset:8192
	s_and_b64 vcc, exec, s[0:1]
	s_waitcnt lgkmcnt(4)
	v_mfma_f32_16x16x16_bf16 a[4:7], v[106:107], v[92:93], a[4:7]
	s_waitcnt lgkmcnt(1)
	v_mfma_f32_16x16x16_bf16 a[4:7], v[90:91], v[94:95], a[4:7]
	v_lshl_add_u64 v[90:91], v[36:37], 0, s[28:29]
	global_store_dwordx4 v[90:91], v[98:101], off
	v_mfma_f32_16x16x16_bf16 a[0:3], v[104:105], v[96:97], a[0:3]
	s_waitcnt lgkmcnt(0)
	v_mfma_f32_16x16x16_bf16 a[4:7], v[102:103], v[96:97], a[4:7]
	s_cbranch_vccnz .LBB695_16
; %bb.15:                               ;   in Loop: Header=BB695_6 Depth=1
	v_lshrrev_b32_e32 v89, 3, v87
	v_and_b32_e32 v89, 6, v89
	v_xor_b32_e32 v88, v89, v88
	v_lshlrev_b32_e32 v88, 2, v88
	v_and_b32_e32 v87, 8, v87
	v_xor_b32_e32 v90, 0x440, v88
	v_cmp_eq_u32_e32 vcc, 0, v87
	s_barrier
	s_nop 0
	v_cndmask_b32_e32 v87, v90, v88, vcc
	v_lshl_or_b32 v87, v89, 10, v87
	s_waitcnt vmcnt(2)
	v_perm_b32 v88, v30, v26, s56
	s_waitcnt vmcnt(1)
	v_perm_b32 v89, v22, v18, s56
	ds_write2st64_b32 v87, v88, v89 offset1:32
	v_xor_b32_e32 v88, 8, v87
	v_perm_b32 v26, v30, v26, s57
	v_perm_b32 v18, v22, v18, s57
	v_add_u32_e32 v22, 0x80, v88
	ds_write2st64_b32 v22, v26, v18 offset1:32
	v_xor_b32_e32 v18, 16, v87
	v_perm_b32 v22, v31, v27, s56
	v_perm_b32 v26, v23, v19, s56
	ds_write2st64_b32 v18, v22, v26 offset0:1 offset1:33
	v_xor_b32_e32 v18, 24, v87
	v_perm_b32 v22, v31, v27, s57
	v_perm_b32 v19, v23, v19, s57
	v_add_u32_e32 v18, 0x80, v18
	ds_write2st64_b32 v18, v22, v19 offset0:1 offset1:33
	v_xor_b32_e32 v18, 32, v87
	v_perm_b32 v19, v32, v28, s56
	v_perm_b32 v22, v24, v20, s56
	ds_write2st64_b32 v18, v19, v22 offset0:2 offset1:34
	v_xor_b32_e32 v18, 40, v87
	v_perm_b32 v19, v32, v28, s57
	v_perm_b32 v20, v24, v20, s57
	v_add_u32_e32 v18, 0x80, v18
	ds_write2st64_b32 v18, v19, v20 offset0:2 offset1:34
	;; [unrolled: 9-line block ×3, first 2 shown]
	ds_write_b64 v86, v[14:15] offset:16384
	v_xor_b32_e32 v14, 8, v86
	ds_write_b64 v14, v[16:17] offset:16384
	ds_write_b64 v86, v[10:11] offset:24576
	;; [unrolled: 1-line block ×4, first 2 shown]
	v_xor_b32_e32 v6, 8, v85
	ds_write_b64 v6, v[8:9] offset:16384
	ds_write_b64 v85, v[2:3] offset:24576
	;; [unrolled: 1-line block ×3, first 2 shown]
.LBB695_16:                             ;   in Loop: Header=BB695_6 Depth=1
	v_exp_f32_e32 v2, s24
	s_nop 2
	v_accvgpr_read_b32 v3, a0
	v_accvgpr_read_b32 v4, a1
	s_add_i32 s52, s52, 64
	v_fma_f32 v35, v35, v2, v3
	v_accvgpr_read_b32 v3, a2
	v_fma_f32 v69, v69, v2, v3
	v_accvgpr_read_b32 v3, a4
	;; [unrolled: 2-line block ×6, first 2 shown]
	v_fmac_f32_e32 v4, v84, v2
	s_cmp_eq_u32 s46, s37
	v_fmac_f32_e32 v3, v83, v2
	s_cbranch_scc1 .LBB695_18
; %bb.17:                               ;   in Loop: Header=BB695_6 Depth=1
	s_mov_b32 s58, s37
	v_mov_b32_e32 v84, v4
	v_mov_b32_e32 v83, v3
	s_branch .LBB695_6
.LBB695_18:
	s_lshl_b32 s0, s46, 6
	s_sub_i32 s45, s45, s0
	s_cmp_gt_i32 s45, 0
	s_cbranch_scc0 .LBB695_75
; %bb.19:
	s_add_i32 s38, s0, s38
	s_ashr_i32 s2, s38, 31
	s_cmpk_lg_i32 s19, 0x80
	s_cselect_b64 s[30:31], -1, 0
	s_and_b64 vcc, exec, s[30:31]
	s_cbranch_vccz .LBB695_21
; %bb.20:
	s_mul_i32 s1, s38, s18
	s_ashr_i32 s3, s51, 31
	s_mul_hi_i32 s0, s38, s18
	s_add_u32 s40, s1, s51
	s_addc_u32 s41, s0, s3
	s_cbranch_execz .LBB695_22
	s_branch .LBB695_23
.LBB695_21:
                                        ; implicit-def: $sgpr40_sgpr41
.LBB695_22:
	s_mul_i32 s1, s51, s16
	s_mul_hi_i32 s0, s51, s16
	s_add_u32 s40, s1, s38
	s_addc_u32 s41, s0, s2
.LBB695_23:
	s_add_i32 s3, s46, s47
	s_ashr_i32 s16, s33, 31
	s_add_u32 s0, s49, s38
	s_addc_u32 s1, s48, s2
	s_mov_b32 s2, 0x7060302
	v_lshlrev_b32_e32 v6, 3, v1
	v_perm_b32 v5, v4, v69, s2
	v_perm_b32 v4, v68, v35, s2
	;; [unrolled: 1-line block ×4, first 2 shown]
	v_lshlrev_b32_e32 v34, 2, v1
	v_lshl_or_b32 v6, v49, 5, v6
	s_lshl_b64 s[28:29], s[0:1], 8
	ds_write2st64_b64 v6, v[4:5], v[2:3] offset0:72 offset1:76
	v_xor_b32_e32 v6, v49, v34
	v_lshlrev_b32_e32 v7, 8, v1
	s_add_u32 s0, s6, s28
	v_lshl_or_b32 v6, v6, 1, v7
	s_addc_u32 s1, s7, s29
	ds_write_b64 v6, v[4:5] offset:32768
	v_xor_b32_e32 v4, v48, v34
	s_mul_hi_i32 s6, s3, s17
	s_mul_i32 s3, s3, s17
	v_lshl_or_b32 v4, v4, 1, v7
	s_add_u32 s2, s3, s33
	ds_write_b64 v4, v[2:3] offset:32768
	s_addc_u32 s3, s6, s16
	v_lshlrev_b32_e32 v3, 1, v1
	v_lshrrev_b32_e32 v2, 4, v0
	s_ashr_i32 s37, s36, 31
	s_lshl_b64 s[2:3], s[2:3], 15
	v_or_b32_e32 v4, 1, v3
	s_add_u32 s6, s12, s2
	v_xor_b32_e32 v3, v2, v3
	v_xor_b32_e32 v4, v4, v2
	v_lshlrev_b32_e32 v6, 8, v2
	s_addc_u32 s7, s13, s3
	s_lshl_b64 s[2:3], s[36:37], 8
	v_lshl_or_b32 v2, v3, 3, v6
	v_lshl_or_b32 v4, v4, 3, v6
	s_waitcnt lgkmcnt(0)
	s_barrier
	s_add_u32 s2, s6, s2
	ds_read_b64 v[2:3], v2 offset:32768
	ds_read_b64 v[4:5], v4 offset:32768
	s_addc_u32 s3, s7, s3
	v_mov_b32_e32 v7, 0
	s_cmp_lg_u32 s45, 64
	v_lshl_add_u64 v[8:9], s[2:3], 0, v[6:7]
	v_lshlrev_b32_e32 v6, 4, v1
	s_cselect_b64 s[6:7], -1, 0
	v_lshl_or_b32 v35, v44, 3, v47
	s_mov_b32 s24, 0
	v_lshl_add_u64 v[6:7], v[8:9], 0, v[6:7]
	s_waitcnt vmcnt(1)
	v_or_b32_e32 v19, 32, v35
	v_and_b32_e32 v18, 56, v46
	s_and_b64 vcc, exec, s[6:7]
	s_waitcnt lgkmcnt(0)
	global_store_dwordx4 v[6:7], v[2:5], off
	s_cbranch_vccz .LBB695_29
; %bb.24:
	s_mov_b32 s25, s24
	s_mov_b32 s26, s24
	;; [unrolled: 1-line block ×3, first 2 shown]
	v_mov_b64_e32 v[6:7], s[24:25]
	v_mov_b64_e32 v[8:9], s[26:27]
	v_mov_b64_e32 v[2:3], v[6:7]
	v_cmp_gt_i32_e32 vcc, s45, v35
	v_mov_b64_e32 v[4:5], v[8:9]
	s_and_saveexec_b64 s[2:3], vcc
	s_cbranch_execz .LBB695_26
; %bb.25:
	v_lshlrev_b32_e32 v2, 8, v35
	v_mov_b32_e32 v3, 0
	v_lshl_add_u64 v[4:5], s[0:1], 0, v[2:3]
	v_lshlrev_b32_e32 v2, 1, v18
	v_lshl_add_u64 v[10:11], v[4:5], 0, v[2:3]
	global_load_dwordx4 v[6:9], v[10:11], off
	global_load_dwordx4 v[2:5], v[10:11], off offset:128
.LBB695_26:
	s_or_b64 exec, exec, s[2:3]
	s_mov_b32 s25, s24
	s_mov_b32 s26, s24
	;; [unrolled: 1-line block ×3, first 2 shown]
	v_mov_b64_e32 v[14:15], s[24:25]
	v_mov_b64_e32 v[16:17], s[26:27]
	;; [unrolled: 1-line block ×3, first 2 shown]
	v_cmp_gt_i32_e32 vcc, s45, v19
	v_lshlrev_b32_e32 v20, 7, v19
	v_mov_b64_e32 v[12:13], v[16:17]
	s_and_saveexec_b64 s[2:3], vcc
	s_cbranch_execz .LBB695_28
; %bb.27:
	v_lshlrev_b32_e32 v10, 1, v20
	v_mov_b32_e32 v11, 0
	v_lshl_add_u64 v[12:13], s[0:1], 0, v[10:11]
	v_lshlrev_b32_e32 v10, 1, v18
	v_lshl_add_u64 v[22:23], v[12:13], 0, v[10:11]
	global_load_dwordx4 v[14:17], v[22:23], off
	global_load_dwordx4 v[10:13], v[22:23], off offset:128
.LBB695_28:
	s_or_b64 exec, exec, s[2:3]
	v_lshrrev_b32_e32 v21, 3, v18
	v_lshlrev_b32_e32 v22, 3, v35
	v_or_b32_e32 v21, v22, v21
	v_lshlrev_b32_e32 v21, 4, v21
	v_and_b32_e32 v22, 0x78, v22
	v_xor_b32_e32 v21, v21, v22
	s_branch .LBB695_31
.LBB695_29:
                                        ; implicit-def: $vgpr21
                                        ; implicit-def: $vgpr20
                                        ; implicit-def: $vgpr6_vgpr7_vgpr8_vgpr9
                                        ; implicit-def: $vgpr2_vgpr3_vgpr4_vgpr5
                                        ; implicit-def: $vgpr14_vgpr15_vgpr16_vgpr17
                                        ; implicit-def: $vgpr10_vgpr11_vgpr12_vgpr13
	s_cbranch_execz .LBB695_31
; %bb.30:
	s_waitcnt vmcnt(0)
	v_lshlrev_b32_e32 v2, 1, v18
	v_lshl_or_b32 v20, v35, 8, v2
	s_and_b32 s1, s1, 0xffff
	s_mov_b32 s3, 0x20000
	s_movk_i32 s2, 0x4000
	v_lshl_or_b32 v21, v19, 8, v2
	s_movk_i32 s12, 0x80
	buffer_load_dwordx4 v[6:9], v20, s[0:3], 0 offen
	buffer_load_dwordx4 v[2:5], v20, s[0:3], s12 offen
	;; [unrolled: 1-line block ×4, first 2 shown]
	v_lshrrev_b32_e32 v20, 3, v18
	v_lshlrev_b32_e32 v21, 3, v35
	v_or_b32_e32 v20, v21, v20
	v_lshlrev_b32_e32 v20, 4, v20
	v_and_b32_e32 v21, 0x78, v21
	v_xor_b32_e32 v21, v20, v21
	v_lshlrev_b32_e32 v20, 7, v19
.LBB695_31:
	s_lshl_b64 s[0:1], s[40:41], 8
	s_add_u32 s4, s4, s0
	s_movk_i32 s0, 0x1000
	v_and_or_b32 v19, v20, s0, v21
	s_waitcnt vmcnt(1)
	ds_write_b64 v21, v[6:7] offset:16384
	v_xor_b32_e32 v6, 8, v21
	s_addc_u32 s5, s5, s1
	ds_write_b64 v6, v[8:9] offset:16384
	s_waitcnt vmcnt(0)
	ds_write_b64 v21, v[2:3] offset:24576
	ds_write_b64 v6, v[4:5] offset:24576
	;; [unrolled: 1-line block ×3, first 2 shown]
	v_xor_b32_e32 v2, 8, v19
	s_add_i32 s0, s43, s42
	ds_write_b64 v2, v[16:17] offset:16384
	ds_write_b64 v19, v[10:11] offset:24576
	;; [unrolled: 1-line block ×3, first 2 shown]
	s_add_i32 s21, s0, s44
	s_mul_i32 s0, s33, s23
	s_mul_hi_u32 s1, s33, s22
	v_or_b32_e32 v2, v42, v1
	s_add_i32 s0, s1, s0
	s_mul_i32 s1, s16, s22
	v_lshlrev_b32_e32 v2, 3, v2
	v_lshrrev_b32_e32 v4, 5, v43
	s_movk_i32 s16, 0xf8
	v_and_or_b32 v4, v2, s16, v4
	v_lshlrev_b32_e32 v3, 11, v44
	v_lshlrev_b32_e32 v12, 4, v4
	v_and_b32_e32 v13, 0x78, v2
	v_and_b32_e32 v14, 0x1000, v3
	v_lshlrev_b32_e32 v3, 2, v0
	v_xor_b32_e32 v2, v12, v13
	v_lshrrev_b32_e32 v4, 1, v43
	v_and_b32_e32 v3, 60, v3
	v_or_b32_e32 v2, v2, v14
	v_and_b32_e32 v15, 8, v4
	v_xor_b32_e32 v26, v2, v15
	v_lshl_or_b32 v2, v45, 6, v3
	v_lshlrev_b32_e32 v19, 1, v2
	v_or_b32_e32 v2, 32, v12
	v_xor_b32_e32 v2, v2, v13
	s_waitcnt lgkmcnt(0)
	s_barrier
	ds_read_b64 v[10:11], v26 offset:16384
	v_or_b32_e32 v2, v2, v14
	v_xor_b32_e32 v27, v2, v15
	v_or_b32_e32 v2, 64, v12
	v_xor_b32_e32 v2, v2, v13
	v_or_b32_e32 v2, v2, v14
	v_or_b32_e32 v12, 0x60, v12
	v_xor_b32_e32 v28, v2, v15
	ds_read2st64_b64 v[2:5], v19 offset0:72 offset1:73
	ds_read2st64_b64 v[6:9], v19 offset0:74 offset1:75
	v_xor_b32_e32 v16, v12, v13
	ds_read_b64 v[12:13], v27 offset:16384
	s_waitcnt lgkmcnt(2)
	v_mfma_f32_16x16x16_bf16 a[0:3], v[10:11], v[2:3], 0
	s_add_i32 s2, s39, -1
	s_ashr_i32 s3, s2, 31
	s_mul_i32 s12, s2, s35
	s_mul_hi_u32 s13, s2, s34
	s_add_i32 s12, s13, s12
	s_mul_i32 s3, s3, s34
	v_or_b32_e32 v14, v16, v14
	s_add_i32 s1, s0, s1
	s_add_i32 s3, s12, s3
	s_lshl_b64 s[12:13], s[20:21], 2
	v_xor_b32_e32 v36, v14, v15
	ds_read_b64 v[14:15], v28 offset:16384
	ds_read_b64 v[16:17], v36 offset:16384
	s_waitcnt lgkmcnt(2)
	v_mfma_f32_16x16x16_bf16 a[0:3], v[12:13], v[4:5], a[0:3]
	s_mul_i32 s0, s33, s22
	s_add_u32 s10, s10, s12
	s_addc_u32 s11, s11, s13
	s_lshl_b64 s[0:1], s[0:1], 2
	s_mul_i32 s2, s2, s34
	s_add_u32 s10, s10, s0
	s_addc_u32 s11, s11, s1
	s_lshl_b64 s[0:1], s[2:3], 2
	s_waitcnt lgkmcnt(1)
	v_mfma_f32_16x16x16_bf16 a[0:3], v[14:15], v[6:7], a[0:3]
	s_add_u32 s0, s10, s0
	s_addc_u32 s1, s11, s1
	s_load_dword s12, s[0:1], 0x0
	s_waitcnt lgkmcnt(0)
	v_mfma_f32_16x16x16_bf16 a[0:3], v[16:17], v[8:9], a[0:3]
	s_and_b64 vcc, exec, s[30:31]
	s_cbranch_vccz .LBB695_42
; %bb.32:
	v_lshlrev_b32_e32 v20, 1, v35
	s_and_b64 vcc, exec, s[6:7]
	s_cbranch_vccz .LBB695_43
; %bb.33:
	v_cmp_gt_i32_e32 vcc, s45, v20
	v_mov_b32_e32 v6, 0
	v_mov_b32_e32 v2, 0
	;; [unrolled: 1-line block ×5, first 2 shown]
	s_and_saveexec_b64 s[0:1], vcc
	s_cbranch_execz .LBB695_35
; %bb.34:
	v_mad_i64_i32 v[2:3], s[2:3], s19, v20, 0
	v_lshl_add_u64 v[2:3], v[2:3], 1, s[4:5]
	v_lshlrev_b32_e32 v4, 1, v18
	v_mov_b32_e32 v5, 0
	v_lshl_add_u64 v[2:3], v[2:3], 0, v[4:5]
	global_load_dwordx4 v[2:5], v[2:3], off
.LBB695_35:
	s_or_b64 exec, exec, s[0:1]
	v_or_b32_e32 v21, 1, v20
	v_cmp_gt_i32_e64 s[0:1], s45, v21
	v_mov_b32_e32 v7, 0
	v_mov_b32_e32 v8, 0
	;; [unrolled: 1-line block ×3, first 2 shown]
	s_and_saveexec_b64 s[2:3], s[0:1]
	s_cbranch_execz .LBB695_37
; %bb.36:
	v_mad_i64_i32 v[6:7], s[16:17], s19, v21, 0
	v_lshl_add_u64 v[6:7], v[6:7], 1, s[4:5]
	v_lshlrev_b32_e32 v8, 1, v18
	v_mov_b32_e32 v9, 0
	v_lshl_add_u64 v[6:7], v[6:7], 0, v[8:9]
	global_load_dwordx4 v[6:9], v[6:7], off
.LBB695_37:
	s_or_b64 exec, exec, s[2:3]
	v_mov_b32_e32 v17, 0
	v_mov_b32_e32 v10, 0
	;; [unrolled: 1-line block ×5, first 2 shown]
	s_and_saveexec_b64 s[2:3], vcc
	s_cbranch_execz .LBB695_39
; %bb.38:
	v_mad_i64_i32 v[10:11], s[16:17], s19, v20, 0
	v_lshl_add_u64 v[10:11], v[10:11], 1, s[4:5]
	v_lshlrev_b32_e32 v12, 1, v18
	v_mov_b32_e32 v13, 0
	v_lshl_add_u64 v[10:11], v[10:11], 0, v[12:13]
	global_load_dwordx4 v[10:13], v[10:11], off offset:128
.LBB695_39:
	s_or_b64 exec, exec, s[2:3]
	v_mov_b32_e32 v16, 0
	v_mov_b32_e32 v15, 0
	;; [unrolled: 1-line block ×3, first 2 shown]
	s_and_saveexec_b64 s[2:3], s[0:1]
	s_cbranch_execz .LBB695_41
; %bb.40:
	v_mad_i64_i32 v[14:15], s[0:1], s19, v21, 0
	v_lshl_add_u64 v[14:15], v[14:15], 1, s[4:5]
	v_lshlrev_b32_e32 v16, 1, v18
	v_mov_b32_e32 v17, 0
	v_lshl_add_u64 v[14:15], v[14:15], 0, v[16:17]
	global_load_dwordx4 v[14:17], v[14:15], off offset:128
.LBB695_41:
	s_or_b64 exec, exec, s[2:3]
	s_branch .LBB695_45
.LBB695_42:
                                        ; implicit-def: $vgpr5
                                        ; implicit-def: $vgpr9
                                        ; implicit-def: $vgpr13
                                        ; implicit-def: $vgpr17
	v_lshrrev_b32_e32 v37, 2, v43
	s_branch .LBB695_46
.LBB695_43:
                                        ; implicit-def: $vgpr5
                                        ; implicit-def: $vgpr9
                                        ; implicit-def: $vgpr13
                                        ; implicit-def: $vgpr17
	s_cbranch_execz .LBB695_45
; %bb.44:
	s_waitcnt vmcnt(0)
	v_mad_u64_u32 v[2:3], s[0:1], v20, s19, v[18:19]
	v_lshlrev_b32_e32 v20, 1, v2
	s_lshl_b32 s2, s19, 7
	s_and_b32 s1, s5, 0xffff
	s_mov_b32 s3, 0x20000
	s_mov_b32 s0, s4
	v_add_lshl_u32 v21, v2, s19, 1
	s_movk_i32 s13, 0x80
	buffer_load_dwordx4 v[2:5], v20, s[0:3], 0 offen
	buffer_load_dwordx4 v[10:13], v20, s[0:3], s13 offen
	;; [unrolled: 1-line block ×4, first 2 shown]
.LBB695_45:
	v_lshrrev_b32_e32 v37, 2, v43
	s_cbranch_execnz .LBB695_58
.LBB695_46:
	s_and_b64 vcc, exec, s[6:7]
	s_cbranch_vccz .LBB695_56
; %bb.47:
	s_waitcnt vmcnt(0)
	v_lshlrev_b32_e32 v7, 1, v35
	v_cmp_gt_i32_e32 vcc, s45, v7
	v_mov_b32_e32 v6, 0
	v_lshlrev_b32_e32 v14, 9, v35
	v_mov_b32_e32 v2, 0
	v_mov_b32_e32 v3, 0
	;; [unrolled: 1-line block ×4, first 2 shown]
	s_and_saveexec_b64 s[0:1], vcc
	s_cbranch_execz .LBB695_49
; %bb.48:
	v_mov_b32_e32 v15, 0
	v_lshl_add_u64 v[2:3], s[4:5], 0, v[14:15]
	v_lshlrev_b32_e32 v4, 1, v18
	v_mov_b32_e32 v5, v15
	v_lshl_add_u64 v[2:3], v[2:3], 0, v[4:5]
	global_load_dwordx4 v[2:5], v[2:3], off
.LBB695_49:
	s_or_b64 exec, exec, s[0:1]
	v_or_b32_e32 v7, 1, v7
	v_cmp_gt_i32_e64 s[0:1], s45, v7
	v_lshlrev_b32_e32 v20, 8, v7
	v_mov_b32_e32 v7, 0
	v_mov_b32_e32 v8, 0
	;; [unrolled: 1-line block ×3, first 2 shown]
	s_and_saveexec_b64 s[2:3], s[0:1]
	s_cbranch_execz .LBB695_51
; %bb.50:
	v_mov_b32_e32 v21, 0
	v_lshl_add_u64 v[6:7], s[4:5], 0, v[20:21]
	v_lshlrev_b32_e32 v8, 1, v18
	v_mov_b32_e32 v9, v21
	v_lshl_add_u64 v[6:7], v[6:7], 0, v[8:9]
	global_load_dwordx4 v[6:9], v[6:7], off
.LBB695_51:
	s_or_b64 exec, exec, s[2:3]
	v_mov_b32_e32 v17, 0
	v_mov_b32_e32 v10, 0
	;; [unrolled: 1-line block ×5, first 2 shown]
	s_and_saveexec_b64 s[2:3], vcc
	s_cbranch_execz .LBB695_53
; %bb.52:
	v_mov_b32_e32 v15, 0
	v_lshl_add_u64 v[10:11], s[4:5], 0, v[14:15]
	v_lshlrev_b32_e32 v14, 1, v18
	v_lshl_add_u64 v[10:11], v[10:11], 0, v[14:15]
	global_load_dwordx4 v[10:13], v[10:11], off offset:128
.LBB695_53:
	s_or_b64 exec, exec, s[2:3]
	v_mov_b32_e32 v16, 0
	v_mov_b32_e32 v15, 0
	;; [unrolled: 1-line block ×3, first 2 shown]
	s_and_saveexec_b64 s[2:3], s[0:1]
	s_cbranch_execz .LBB695_55
; %bb.54:
	v_mov_b32_e32 v21, 0
	v_lshl_add_u64 v[14:15], s[4:5], 0, v[20:21]
	v_lshlrev_b32_e32 v20, 1, v18
	v_lshl_add_u64 v[14:15], v[14:15], 0, v[20:21]
	global_load_dwordx4 v[14:17], v[14:15], off offset:128
.LBB695_55:
	s_or_b64 exec, exec, s[2:3]
	s_branch .LBB695_58
.LBB695_56:
                                        ; implicit-def: $vgpr5
                                        ; implicit-def: $vgpr9
                                        ; implicit-def: $vgpr13
                                        ; implicit-def: $vgpr17
	s_cbranch_execz .LBB695_58
; %bb.57:
	s_waitcnt vmcnt(0)
	v_lshlrev_b32_e32 v2, 1, v18
	v_lshl_or_b32 v18, v35, 9, v2
	s_and_b32 s5, s5, 0xffff
	s_mov_b32 s7, 0x20000
	s_movk_i32 s6, 0x4000
	s_movk_i32 s0, 0x80
	buffer_load_dwordx4 v[2:5], v18, s[4:7], 0 offen
	buffer_load_dwordx4 v[6:9], v18, s[4:7], 0 offen offset:256
	buffer_load_dwordx4 v[10:13], v18, s[4:7], s0 offen
	buffer_load_dwordx4 v[14:17], v18, s[4:7], s0 offen offset:256
.LBB695_58:
	ds_read2st64_b64 v[22:25], v19 offset0:76 offset1:77
	ds_read2st64_b64 v[18:21], v19 offset0:78 offset1:79
	ds_read_b64 v[32:33], v26 offset:24576
	ds_read_b64 v[30:31], v27 offset:24576
	;; [unrolled: 1-line block ×4, first 2 shown]
	v_and_b32_e32 v36, 6, v0
	v_xor_b32_e32 v35, v35, v36
	v_lshlrev_b32_e32 v35, 2, v35
	v_and_b32_e32 v0, 1, v0
	v_xor_b32_e32 v38, 0x440, v35
	v_cmp_eq_u32_e32 vcc, 0, v0
	s_mov_b32 s0, 0x1000504
	s_mov_b32 s1, 0x3020706
	v_cndmask_b32_e32 v0, v38, v35, vcc
	v_lshl_or_b32 v0, v36, 10, v0
	s_waitcnt vmcnt(0)
	v_perm_b32 v35, v2, v6, s0
	v_perm_b32 v36, v10, v14, s0
	ds_write2st64_b32 v0, v35, v36 offset1:32
	v_xor_b32_e32 v35, 8, v0
	v_perm_b32 v2, v2, v6, s1
	v_perm_b32 v6, v10, v14, s1
	v_add_u32_e32 v10, 0x80, v35
	ds_write2st64_b32 v10, v2, v6 offset1:32
	v_xor_b32_e32 v2, 16, v0
	v_perm_b32 v6, v3, v7, s0
	v_perm_b32 v10, v11, v15, s0
	ds_write2st64_b32 v2, v6, v10 offset0:1 offset1:33
	v_xor_b32_e32 v2, 24, v0
	v_perm_b32 v3, v3, v7, s1
	v_perm_b32 v6, v11, v15, s1
	v_add_u32_e32 v2, 0x80, v2
	ds_write2st64_b32 v2, v3, v6 offset0:1 offset1:33
	v_xor_b32_e32 v2, 32, v0
	v_perm_b32 v3, v4, v8, s0
	v_perm_b32 v6, v12, v16, s0
	ds_write2st64_b32 v2, v3, v6 offset0:2 offset1:34
	v_xor_b32_e32 v2, 40, v0
	v_perm_b32 v3, v4, v8, s1
	v_perm_b32 v4, v12, v16, s1
	v_add_u32_e32 v2, 0x80, v2
	ds_write2st64_b32 v2, v3, v4 offset0:2 offset1:34
	v_xor_b32_e32 v2, 48, v0
	v_perm_b32 v3, v5, v9, s0
	v_perm_b32 v4, v13, v17, s0
	v_xor_b32_e32 v0, 56, v0
	v_and_or_b32 v8, v37, 12, v42
	ds_write2st64_b32 v2, v3, v4 offset0:3 offset1:35
	v_perm_b32 v2, v5, v9, s1
	v_perm_b32 v3, v13, v17, s1
	v_add_u32_e32 v0, 0x80, v0
	v_cmp_gt_i32_e64 s[2:3], s45, v8
	v_mov_b32_e32 v10, 0
	v_mov_b32_e32 v15, 0
	ds_write2st64_b32 v0, v2, v3 offset0:3 offset1:35
	s_and_saveexec_b64 s[0:1], s[2:3]
	s_cbranch_execz .LBB695_60
; %bb.59:
	v_add_u32_e32 v0, s38, v8
	v_ashrrev_i32_e32 v2, 31, v0
	v_mul_lo_u32 v4, v2, s34
	v_mul_lo_u32 v5, v0, s35
	v_mad_u64_u32 v[2:3], s[4:5], v0, s34, 0
	v_add3_u32 v3, v3, v5, v4
	v_lshl_add_u64 v[2:3], v[2:3], 2, s[10:11]
	global_load_dword v0, v[2:3], off
	s_waitcnt vmcnt(0)
	v_sub_f32_e32 v0, s12, v0
	v_exp_f32_e32 v15, v0
.LBB695_60:
	s_or_b64 exec, exec, s[0:1]
	v_or_b32_e32 v13, 1, v8
	v_cmp_gt_i32_e64 s[4:5], s45, v13
	s_and_saveexec_b64 s[0:1], s[4:5]
	s_cbranch_execz .LBB695_62
; %bb.61:
	v_add_u32_e32 v0, s38, v13
	v_ashrrev_i32_e32 v2, 31, v0
	v_mul_lo_u32 v4, v2, s34
	v_mul_lo_u32 v5, v0, s35
	v_mad_u64_u32 v[2:3], s[6:7], v0, s34, 0
	v_add3_u32 v3, v3, v5, v4
	v_lshl_add_u64 v[2:3], v[2:3], 2, s[10:11]
	global_load_dword v0, v[2:3], off
	s_waitcnt vmcnt(0)
	v_sub_f32_e32 v0, s12, v0
	v_exp_f32_e32 v10, v0
.LBB695_62:
	s_or_b64 exec, exec, s[0:1]
	v_or_b32_e32 v11, 2, v8
	v_cmp_gt_i32_e32 vcc, s45, v11
	v_mov_b32_e32 v9, 0
	v_mov_b32_e32 v14, 0
	s_and_saveexec_b64 s[0:1], vcc
	s_cbranch_execz .LBB695_64
; %bb.63:
	v_add_u32_e32 v0, s38, v11
	v_ashrrev_i32_e32 v2, 31, v0
	v_mul_lo_u32 v4, v2, s34
	v_mul_lo_u32 v5, v0, s35
	v_mad_u64_u32 v[2:3], s[6:7], v0, s34, 0
	v_add3_u32 v3, v3, v5, v4
	v_lshl_add_u64 v[2:3], v[2:3], 2, s[10:11]
	global_load_dword v0, v[2:3], off
	s_waitcnt vmcnt(0)
	v_sub_f32_e32 v0, s12, v0
	v_exp_f32_e32 v14, v0
.LBB695_64:
	s_or_b64 exec, exec, s[0:1]
	v_or_b32_e32 v12, 3, v8
	v_cmp_gt_i32_e64 s[0:1], s45, v12
	s_and_saveexec_b64 s[6:7], s[0:1]
	s_cbranch_execz .LBB695_66
; %bb.65:
	v_add_u32_e32 v0, s38, v12
	v_ashrrev_i32_e32 v2, 31, v0
	v_mul_lo_u32 v4, v2, s34
	v_mul_lo_u32 v5, v0, s35
	v_mad_u64_u32 v[2:3], s[16:17], v0, s34, 0
	v_add3_u32 v3, v3, v5, v4
	v_lshl_add_u64 v[2:3], v[2:3], 2, s[10:11]
	global_load_dword v0, v[2:3], off
	s_waitcnt vmcnt(0)
	v_sub_f32_e32 v0, s12, v0
	v_exp_f32_e32 v9, v0
.LBB695_66:
	s_or_b64 exec, exec, s[6:7]
	s_waitcnt lgkmcnt(11)
	v_mfma_f32_16x16x16_bf16 a[0:3], v[32:33], v[22:23], a[0:3]
	v_or_b32_e32 v0, s36, v1
	s_add_u32 s6, s8, s28
	v_ashrrev_i32_e32 v1, 31, v0
	s_waitcnt lgkmcnt(10)
	v_mfma_f32_16x16x16_bf16 a[0:3], v[30:31], v[24:25], a[0:3]
	s_addc_u32 s7, s9, s29
	v_lshlrev_b64 v[0:1], 1, v[0:1]
	v_lshl_add_u64 v[4:5], s[6:7], 0, v[0:1]
	s_waitcnt lgkmcnt(9)
	v_mfma_f32_16x16x16_bf16 a[0:3], v[28:29], v[18:19], a[0:3]
	s_add_u32 s6, s14, s28
	s_addc_u32 s7, s15, s29
	v_lshl_add_u64 v[6:7], s[6:7], 0, v[0:1]
	s_waitcnt lgkmcnt(8)
	v_mfma_f32_16x16x16_bf16 a[0:3], v[26:27], v[20:21], a[0:3]
	v_mov_b32_e32 v16, 0
	v_mov_b32_e32 v17, 0
	s_nop 4
	v_accvgpr_read_b32 v0, a0
	v_accvgpr_read_b32 v1, a1
	;; [unrolled: 1-line block ×4, first 2 shown]
	s_and_saveexec_b64 s[6:7], s[2:3]
	s_cbranch_execz .LBB695_68
; %bb.67:
	v_lshlrev_b32_e32 v18, 8, v8
	v_mov_b32_e32 v19, 0
	v_lshl_add_u64 v[20:21], v[4:5], 0, v[18:19]
	global_load_ushort v17, v[20:21], off
	v_lshl_add_u64 v[18:19], v[6:7], 0, v[18:19]
	s_waitcnt vmcnt(0)
	v_lshlrev_b32_e32 v17, 16, v17
	v_sub_f32_e32 v0, v17, v0
	global_store_short_d16_hi v[18:19], v0, off
	v_mul_f32_e32 v0, v15, v0
	v_lshrrev_b32_e32 v17, 16, v0
.LBB695_68:
	s_or_b64 exec, exec, s[6:7]
	s_and_saveexec_b64 s[2:3], s[4:5]
	s_cbranch_execz .LBB695_70
; %bb.69:
	v_lshlrev_b32_e32 v18, 8, v13
	v_mov_b32_e32 v19, 0
	v_lshl_add_u64 v[20:21], v[4:5], 0, v[18:19]
	global_load_ushort v0, v[20:21], off
	v_lshl_add_u64 v[18:19], v[6:7], 0, v[18:19]
	s_waitcnt vmcnt(0)
	v_lshlrev_b32_e32 v0, 16, v0
	v_sub_f32_e32 v0, v0, v1
	global_store_short_d16_hi v[18:19], v0, off
	v_mul_f32_e32 v0, v10, v0
	v_lshrrev_b32_e32 v16, 16, v0
.LBB695_70:
	s_or_b64 exec, exec, s[2:3]
	v_mov_b32_e32 v0, 0
	v_mov_b32_e32 v1, 0
	s_and_saveexec_b64 s[2:3], vcc
	s_cbranch_execz .LBB695_72
; %bb.71:
	v_lshlrev_b32_e32 v10, 8, v11
	v_mov_b32_e32 v11, 0
	v_lshl_add_u64 v[18:19], v[4:5], 0, v[10:11]
	global_load_ushort v1, v[18:19], off
	v_lshl_add_u64 v[10:11], v[6:7], 0, v[10:11]
	s_waitcnt vmcnt(0)
	v_lshlrev_b32_e32 v1, 16, v1
	v_sub_f32_e32 v1, v1, v2
	global_store_short_d16_hi v[10:11], v1, off
	v_mul_f32_e32 v1, v14, v1
	v_lshrrev_b32_e32 v1, 16, v1
.LBB695_72:
	s_or_b64 exec, exec, s[2:3]
	s_and_saveexec_b64 s[2:3], s[0:1]
	s_cbranch_execz .LBB695_74
; %bb.73:
	v_lshlrev_b32_e32 v10, 8, v12
	v_mov_b32_e32 v11, 0
	v_lshl_add_u64 v[4:5], v[4:5], 0, v[10:11]
	global_load_ushort v0, v[4:5], off
	v_lshl_add_u64 v[4:5], v[6:7], 0, v[10:11]
	s_waitcnt vmcnt(0)
	v_lshlrev_b32_e32 v0, 16, v0
	v_sub_f32_e32 v0, v0, v3
	global_store_short_d16_hi v[4:5], v0, off
	v_mul_f32_e32 v0, v9, v0
	v_lshrrev_b32_e32 v0, 16, v0
.LBB695_74:
	s_or_b64 exec, exec, s[2:3]
	s_mov_b32 s0, 0x5040100
	v_lshlrev_b32_e32 v2, 1, v34
	v_perm_b32 v1, v0, v1, s0
	v_perm_b32 v0, v16, v17, s0
	v_lshl_or_b32 v2, v8, 5, v2
	ds_write_b64 v2, v[0:1] offset:38912
	s_waitcnt lgkmcnt(0)
	s_barrier
.LBB695_75:
	s_endpgm
	.section	.rodata,"a",@progbits
	.p2align	6, 0x0
	.amdhsa_kernel _ZN12_GLOBAL__N_139chunk_gated_delta_rule_fwd_h_hip_kernelILi16ELb0ELb0ELb1ELb1ELb1ELb0ELb0ELb0EEEvPK12hip_bfloat16S3_S3_PKfS5_PKvPS1_S8_PvPKiSB_iiiiilll
		.amdhsa_group_segment_fixed_size 40960
		.amdhsa_private_segment_fixed_size 0
		.amdhsa_kernarg_size 136
		.amdhsa_user_sgpr_count 2
		.amdhsa_user_sgpr_dispatch_ptr 0
		.amdhsa_user_sgpr_queue_ptr 0
		.amdhsa_user_sgpr_kernarg_segment_ptr 1
		.amdhsa_user_sgpr_dispatch_id 0
		.amdhsa_user_sgpr_kernarg_preload_length 0
		.amdhsa_user_sgpr_kernarg_preload_offset 0
		.amdhsa_user_sgpr_private_segment_size 0
		.amdhsa_uses_dynamic_stack 0
		.amdhsa_enable_private_segment 0
		.amdhsa_system_sgpr_workgroup_id_x 1
		.amdhsa_system_sgpr_workgroup_id_y 1
		.amdhsa_system_sgpr_workgroup_id_z 0
		.amdhsa_system_sgpr_workgroup_info 0
		.amdhsa_system_vgpr_workitem_id 0
		.amdhsa_next_free_vgpr 116
		.amdhsa_next_free_sgpr 62
		.amdhsa_accum_offset 108
		.amdhsa_reserve_vcc 1
		.amdhsa_float_round_mode_32 0
		.amdhsa_float_round_mode_16_64 0
		.amdhsa_float_denorm_mode_32 3
		.amdhsa_float_denorm_mode_16_64 3
		.amdhsa_dx10_clamp 1
		.amdhsa_ieee_mode 1
		.amdhsa_fp16_overflow 0
		.amdhsa_tg_split 0
		.amdhsa_exception_fp_ieee_invalid_op 0
		.amdhsa_exception_fp_denorm_src 0
		.amdhsa_exception_fp_ieee_div_zero 0
		.amdhsa_exception_fp_ieee_overflow 0
		.amdhsa_exception_fp_ieee_underflow 0
		.amdhsa_exception_fp_ieee_inexact 0
		.amdhsa_exception_int_div_zero 0
	.end_amdhsa_kernel
	.section	.text._ZN12_GLOBAL__N_139chunk_gated_delta_rule_fwd_h_hip_kernelILi16ELb0ELb0ELb1ELb1ELb1ELb0ELb0ELb0EEEvPK12hip_bfloat16S3_S3_PKfS5_PKvPS1_S8_PvPKiSB_iiiiilll,"axG",@progbits,_ZN12_GLOBAL__N_139chunk_gated_delta_rule_fwd_h_hip_kernelILi16ELb0ELb0ELb1ELb1ELb1ELb0ELb0ELb0EEEvPK12hip_bfloat16S3_S3_PKfS5_PKvPS1_S8_PvPKiSB_iiiiilll,comdat
.Lfunc_end695:
	.size	_ZN12_GLOBAL__N_139chunk_gated_delta_rule_fwd_h_hip_kernelILi16ELb0ELb0ELb1ELb1ELb1ELb0ELb0ELb0EEEvPK12hip_bfloat16S3_S3_PKfS5_PKvPS1_S8_PvPKiSB_iiiiilll, .Lfunc_end695-_ZN12_GLOBAL__N_139chunk_gated_delta_rule_fwd_h_hip_kernelILi16ELb0ELb0ELb1ELb1ELb1ELb0ELb0ELb0EEEvPK12hip_bfloat16S3_S3_PKfS5_PKvPS1_S8_PvPKiSB_iiiiilll
                                        ; -- End function
	.section	.AMDGPU.csdata,"",@progbits
; Kernel info:
; codeLenInByte = 7160
; NumSgprs: 68
; NumVgprs: 108
; NumAgprs: 8
; TotalNumVgprs: 116
; ScratchSize: 0
; MemoryBound: 0
; FloatMode: 240
; IeeeMode: 1
; LDSByteSize: 40960 bytes/workgroup (compile time only)
; SGPRBlocks: 8
; VGPRBlocks: 14
; NumSGPRsForWavesPerEU: 68
; NumVGPRsForWavesPerEU: 116
; AccumOffset: 108
; Occupancy: 1
; WaveLimiterHint : 1
; COMPUTE_PGM_RSRC2:SCRATCH_EN: 0
; COMPUTE_PGM_RSRC2:USER_SGPR: 2
; COMPUTE_PGM_RSRC2:TRAP_HANDLER: 0
; COMPUTE_PGM_RSRC2:TGID_X_EN: 1
; COMPUTE_PGM_RSRC2:TGID_Y_EN: 1
; COMPUTE_PGM_RSRC2:TGID_Z_EN: 0
; COMPUTE_PGM_RSRC2:TIDIG_COMP_CNT: 0
; COMPUTE_PGM_RSRC3_GFX90A:ACCUM_OFFSET: 26
; COMPUTE_PGM_RSRC3_GFX90A:TG_SPLIT: 0
	.section	.text._ZN12_GLOBAL__N_139chunk_gated_delta_rule_fwd_h_hip_kernelILi16ELb0ELb0ELb0ELb1ELb1ELb0ELb0ELb0EEEvPK12hip_bfloat16S3_S3_PKfS5_PKvPS1_S8_PvPKiSB_iiiiilll,"axG",@progbits,_ZN12_GLOBAL__N_139chunk_gated_delta_rule_fwd_h_hip_kernelILi16ELb0ELb0ELb0ELb1ELb1ELb0ELb0ELb0EEEvPK12hip_bfloat16S3_S3_PKfS5_PKvPS1_S8_PvPKiSB_iiiiilll,comdat
	.globl	_ZN12_GLOBAL__N_139chunk_gated_delta_rule_fwd_h_hip_kernelILi16ELb0ELb0ELb0ELb1ELb1ELb0ELb0ELb0EEEvPK12hip_bfloat16S3_S3_PKfS5_PKvPS1_S8_PvPKiSB_iiiiilll ; -- Begin function _ZN12_GLOBAL__N_139chunk_gated_delta_rule_fwd_h_hip_kernelILi16ELb0ELb0ELb0ELb1ELb1ELb0ELb0ELb0EEEvPK12hip_bfloat16S3_S3_PKfS5_PKvPS1_S8_PvPKiSB_iiiiilll
	.p2align	8
	.type	_ZN12_GLOBAL__N_139chunk_gated_delta_rule_fwd_h_hip_kernelILi16ELb0ELb0ELb0ELb1ELb1ELb0ELb0ELb0EEEvPK12hip_bfloat16S3_S3_PKfS5_PKvPS1_S8_PvPKiSB_iiiiilll,@function
_ZN12_GLOBAL__N_139chunk_gated_delta_rule_fwd_h_hip_kernelILi16ELb0ELb0ELb0ELb1ELb1ELb0ELb0ELb0EEEvPK12hip_bfloat16S3_S3_PKfS5_PKvPS1_S8_PvPKiSB_iiiiilll: ; @_ZN12_GLOBAL__N_139chunk_gated_delta_rule_fwd_h_hip_kernelILi16ELb0ELb0ELb0ELb1ELb1ELb0ELb0ELb0EEEvPK12hip_bfloat16S3_S3_PKfS5_PKvPS1_S8_PvPKiSB_iiiiilll
; %bb.0:
	s_load_dwordx4 s[12:15], s[0:1], 0x5c
	s_load_dwordx4 s[16:19], s[0:1], 0x70
	s_abs_i32 s21, s3
	s_ashr_i32 s20, s3, 31
	s_load_dwordx2 s[36:37], s[0:1], 0x30
	s_load_dwordx4 s[24:27], s[0:1], 0x48
	s_waitcnt lgkmcnt(0)
	s_abs_i32 s28, s13
	v_cvt_f32_u32_e32 v1, s28
	s_sub_i32 s22, 0, s28
	s_ashr_i32 s29, s13, 31
	s_xor_b32 s20, s20, s29
	v_rcp_iflag_f32_e32 v1, v1
	s_load_dwordx8 s[4:11], s[0:1], 0x0
	v_lshrrev_b32_e32 v42, 6, v0
	v_bfe_u32 v43, v0, 4, 2
	v_mul_f32_e32 v1, 0x4f7ffffe, v1
	v_cvt_u32_f32_e32 v1, v1
	v_lshlrev_b32_e32 v40, 4, v42
	v_lshlrev_b32_e32 v2, 2, v43
	v_and_b32_e32 v41, 63, v0
	v_readfirstlane_b32 s23, v1
	s_mul_i32 s22, s22, s23
	s_mul_hi_u32 s22, s23, s22
	s_add_i32 s23, s23, s22
	s_mul_hi_u32 s22, s21, s23
	s_mul_i32 s23, s22, s28
	s_sub_i32 s21, s21, s23
	s_add_i32 s30, s22, 1
	s_sub_i32 s23, s21, s28
	s_cmp_ge_u32 s21, s28
	s_cselect_b32 s22, s30, s22
	s_cselect_b32 s21, s23, s21
	s_add_i32 s23, s22, 1
	s_cmp_ge_u32 s21, s28
	s_cselect_b32 s21, s23, s22
	s_xor_b32 s21, s21, s20
	s_sub_i32 s20, s21, s20
	s_mul_i32 s21, s20, s13
	s_sub_i32 s33, s3, s21
	s_ashr_i32 s21, s20, 31
	s_lshl_b64 s[22:23], s[20:21], 2
	s_add_u32 s24, s24, s22
	s_addc_u32 s25, s25, s23
	s_add_u32 s22, s26, s22
	s_addc_u32 s23, s27, s23
	s_abs_i32 s3, s14
	v_cvt_f32_u32_e32 v1, s3
	s_load_dwordx2 s[34:35], s[24:25], 0x0
	s_sub_i32 s25, 0, s3
	s_load_dword s45, s[22:23], 0x0
	v_rcp_iflag_f32_e32 v1, v1
	v_or_b32_e32 v47, v2, v40
	s_waitcnt lgkmcnt(0)
	s_sub_i32 s43, s35, s34
	s_ashr_i32 s24, s43, 31
	v_mul_f32_e32 v1, 0x4f7ffffe, v1
	v_cvt_u32_f32_e32 v1, v1
	s_lshr_b32 s24, s24, 26
	s_add_i32 s24, s43, s24
	s_ashr_i32 s44, s24, 6
	v_readfirstlane_b32 s26, v1
	s_mul_i32 s25, s25, s26
	s_mul_hi_u32 s25, s26, s25
	s_add_i32 s26, s26, s25
	s_mul_hi_u32 s25, s28, s26
	s_mul_i32 s26, s25, s3
	s_ashr_i32 s24, s14, 31
	s_sub_i32 s26, s28, s26
	s_xor_b32 s24, s29, s24
	s_add_i32 s27, s25, 1
	s_sub_i32 s28, s26, s3
	s_cmp_ge_u32 s26, s3
	s_cselect_b32 s25, s27, s25
	s_cselect_b32 s26, s28, s26
	s_add_i32 s27, s25, 1
	s_cmp_ge_u32 s26, s3
	s_cselect_b32 s3, s27, s25
	s_xor_b32 s3, s3, s24
	s_sub_i32 s3, s3, s24
	s_abs_i32 s24, s3
	v_cvt_f32_u32_e32 v1, s24
	s_load_dwordx2 s[28:29], s[0:1], 0x80
	s_xor_b32 s0, s33, s3
	s_sub_i32 s3, 0, s24
	v_rcp_iflag_f32_e32 v1, v1
	s_abs_i32 s1, s33
	s_ashr_i32 s0, s0, 31
	v_or_b32_e32 v46, 64, v47
	v_mul_f32_e32 v1, 0x4f7ffffe, v1
	v_cvt_u32_f32_e32 v1, v1
	v_mov_b32_e32 v3, 0
	s_mul_hi_i32 s46, s33, s12
	s_mul_i32 s47, s33, s12
	v_readfirstlane_b32 s22, v1
	s_mul_i32 s3, s3, s22
	s_mul_hi_u32 s3, s22, s3
	s_add_i32 s22, s22, s3
	s_mul_hi_u32 s3, s1, s22
	s_mul_i32 s22, s3, s24
	s_sub_i32 s1, s1, s22
	s_add_i32 s22, s3, 1
	s_sub_i32 s23, s1, s24
	s_cmp_ge_u32 s1, s24
	s_cselect_b32 s3, s22, s3
	s_cselect_b32 s1, s23, s1
	s_add_i32 s22, s3, 1
	s_cmp_ge_u32 s1, s24
	s_cselect_b32 s1, s22, s3
	s_xor_b32 s1, s1, s0
	s_sub_i32 s49, s1, s0
	s_lshl_b32 s30, s2, 4
	v_and_b32_e32 v1, 15, v0
	s_cmp_lt_i32 s43, 64
	v_lshrrev_b32_e32 v45, 3, v41
	v_lshlrev_b32_e32 v44, 3, v0
	s_mul_i32 s40, s20, s17
	s_mul_hi_u32 s41, s20, s16
	s_mul_i32 s42, s21, s16
	s_mul_i32 s16, s20, s16
	v_mov_b32_e32 v63, 0
	v_mov_b32_e32 v34, 0
	;; [unrolled: 1-line block ×7, first 2 shown]
	s_cbranch_scc1 .LBB696_18
; %bb.1:
	s_ashr_i32 s51, s33, 31
	s_ashr_i32 s1, s34, 31
	s_add_u32 s0, s47, s34
	s_addc_u32 s1, s46, s1
	s_lshl_b64 s[0:1], s[0:1], 8
	v_and_b32_e32 v49, 56, v44
	s_add_u32 s0, s6, s0
	v_lshl_or_b32 v48, v42, 3, v45
	v_lshlrev_b32_e32 v3, 1, v49
	s_addc_u32 s1, s7, s1
	v_lshl_or_b32 v50, v48, 8, v3
	s_and_b32 s1, s1, 0xffff
	s_mov_b32 s3, 0x20000
	s_movk_i32 s2, 0x4000
	s_movk_i32 s17, 0x80
	v_or_b32_e32 v51, 0x2000, v50
	buffer_load_dwordx4 v[4:7], v50, s[0:3], 0 offen
	buffer_load_dwordx4 v[8:11], v50, s[0:3], s17 offen
	;; [unrolled: 1-line block ×4, first 2 shown]
	v_lshlrev_b32_e32 v20, 3, v48
	v_and_or_b32 v22, v0, 7, v20
	v_and_b32_e32 v20, 0x78, v20
	v_lshlrev_b32_e32 v22, 4, v22
	v_xor_b32_e32 v52, v22, v20
	v_mul_lo_u32 v21, v48, s15
	v_or_b32_e32 v53, 0x1000, v52
	s_cmpk_eq_i32 s15, 0x80
	s_mov_b32 s48, s13
	s_mov_b32 s50, s34
	v_xor_b32_e32 v20, 8, v52
	v_xor_b32_e32 v22, 8, v53
	s_cselect_b64 s[0:1], -1, 0
	s_cmpk_lg_i32 s15, 0x80
	s_waitcnt vmcnt(3)
	ds_write_b64 v52, v[4:5] offset:16384
	ds_write_b64 v20, v[6:7] offset:16384
	s_waitcnt vmcnt(2)
	ds_write_b64 v52, v[8:9] offset:24576
	ds_write_b64 v20, v[10:11] offset:24576
	;; [unrolled: 3-line block ×4, first 2 shown]
	v_lshl_add_u32 v4, v21, 1, v49
	s_cbranch_scc0 .LBB696_3
; %bb.2:
	v_lshlrev_b32_e32 v6, 1, v4
	v_add_lshl_u32 v5, v4, s15, 1
	s_lshl_b32 s22, s15, 7
	v_lshl_or_b32 v3, v48, 9, v3
	s_cbranch_execz .LBB696_4
	s_branch .LBB696_5
.LBB696_3:
                                        ; implicit-def: $vgpr5
                                        ; implicit-def: $vgpr6
                                        ; implicit-def: $sgpr22
	v_lshl_or_b32 v3, v48, 9, v3
.LBB696_4:
	v_or_b32_e32 v5, 0x100, v3
	s_movk_i32 s22, 0x4000
	v_mov_b32_e32 v6, v3
.LBB696_5:
	s_mul_i32 s2, s34, s14
	s_ashr_i32 s52, s49, 31
	s_mul_hi_i32 s3, s34, s14
	s_add_u32 s2, s2, s49
	s_addc_u32 s3, s3, s52
	s_lshl_b64 s[2:3], s[2:3], 8
	s_add_u32 s20, s4, s2
	s_addc_u32 s2, s5, s3
	s_and_b32 s21, s2, 0xffff
	s_mov_b32 s23, 0x20000
	s_movk_i32 s53, 0x80
	buffer_load_dwordx4 v[8:11], v6, s[20:23], 0 offen
	buffer_load_dwordx4 v[12:15], v6, s[20:23], s53 offen
	buffer_load_dwordx4 v[16:19], v5, s[20:23], 0 offen
	buffer_load_dwordx4 v[20:23], v5, s[20:23], s53 offen
	v_and_b32_e32 v5, 6, v0
	v_lshlrev_b32_e32 v7, 2, v1
	v_lshlrev_b32_e32 v24, 3, v1
	v_xor_b32_e32 v26, v48, v5
	v_and_b32_e32 v6, 1, v0
	v_lshl_or_b32 v24, v47, 5, v24
	v_xor_b32_e32 v27, v47, v7
	v_lshlrev_b32_e32 v26, 2, v26
	s_mul_i32 s3, s33, s19
	s_mul_hi_u32 s17, s33, s18
	v_or_b32_e32 v54, 0x9000, v24
	v_or_b32_e32 v55, 0x9800, v24
	v_lshlrev_b32_e32 v24, 1, v27
	v_xor_b32_e32 v27, 0x440, v26
	v_cmp_eq_u32_e32 vcc, 0, v6
	s_add_i32 s21, s41, s40
	s_mul_i32 s20, s51, s18
	v_cndmask_b32_e32 v6, v27, v26, vcc
	s_add_i32 s3, s17, s3
	s_add_i32 s17, s21, s42
	s_mov_b32 s54, 0x1000504
	v_lshlrev_b32_e32 v25, 8, v1
	s_mov_b32 s22, 0x8000
	v_xor_b32_e32 v7, v46, v7
	v_lshl_or_b32 v5, v5, 10, v6
	s_add_i32 s3, s3, s20
	s_lshl_b64 s[20:21], s[16:17], 2
	s_mov_b32 s55, 0x3020706
	s_mul_i32 s2, s33, s18
	v_lshlrev_b32_e32 v7, 1, v7
	v_or3_b32 v56, v24, v25, s22
	v_xor_b32_e32 v6, 8, v5
	v_xor_b32_e32 v24, 24, v5
	;; [unrolled: 1-line block ×4, first 2 shown]
	s_add_u32 s17, s10, s20
	v_or3_b32 v57, v7, v25, s22
	v_xor_b32_e32 v7, 16, v5
	v_xor_b32_e32 v25, 32, v5
	;; [unrolled: 1-line block ×3, first 2 shown]
	v_add_u32_e32 v6, 0x80, v6
	v_add_u32_e32 v24, 0x80, v24
	v_add_u32_e32 v26, 0x80, v26
	v_add_u32_e32 v28, 0x80, v28
	s_addc_u32 s20, s11, s21
	s_lshl_b64 s[2:3], s[2:3], 2
	s_add_u32 s2, s17, s2
	s_movk_i32 s17, 0xf8
	s_addc_u32 s3, s20, s3
	s_ashr_i32 s31, s30, 31
	s_lshl_b32 s26, s15, 7
	s_lshl_b64 s[20:21], s[30:31], 8
	s_add_u32 s20, s36, s20
	s_addc_u32 s21, s37, s21
	v_mov_b32_e32 v35, 0
	s_mov_b32 s56, 0
	v_add_u32_e32 v76, v40, v2
	v_mov_b32_e32 v64, v35
	v_mov_b32_e32 v66, v35
	;; [unrolled: 1-line block ×6, first 2 shown]
	s_waitcnt vmcnt(1)
	v_perm_b32 v29, v8, v16, s54
	s_waitcnt vmcnt(0)
	v_perm_b32 v30, v12, v20, s54
	v_perm_b32 v8, v8, v16, s55
	v_perm_b32 v12, v12, v20, s55
	v_perm_b32 v16, v9, v17, s54
	v_perm_b32 v20, v13, v21, s54
	v_perm_b32 v9, v9, v17, s55
	v_perm_b32 v13, v13, v21, s55
	v_perm_b32 v17, v10, v18, s54
	v_perm_b32 v21, v14, v22, s54
	v_perm_b32 v10, v10, v18, s55
	v_perm_b32 v14, v14, v22, s55
	v_perm_b32 v18, v11, v19, s54
	v_perm_b32 v22, v15, v23, s54
	v_perm_b32 v11, v11, v19, s55
	v_perm_b32 v15, v15, v23, s55
	ds_write2st64_b32 v5, v29, v30 offset1:32
	ds_write2st64_b32 v6, v8, v12 offset1:32
	ds_write2st64_b32 v7, v16, v20 offset0:1 offset1:33
	ds_write2st64_b32 v24, v9, v13 offset0:1 offset1:33
	;; [unrolled: 1-line block ×6, first 2 shown]
	v_or_b32_e32 v5, v40, v1
	v_lshlrev_b32_e32 v5, 3, v5
	v_lshrrev_b32_e32 v7, 5, v41
	v_and_or_b32 v7, v5, s17, v7
	v_lshlrev_b32_e32 v7, 4, v7
	v_lshlrev_b32_e32 v8, 11, v42
	v_and_b32_e32 v5, 0x78, v5
	v_or_b32_e32 v12, 32, v7
	v_and_b32_e32 v6, 0x1000, v8
	v_lshrrev_b32_e32 v10, 1, v0
	v_xor_b32_e32 v12, v12, v5
	v_and_b32_e32 v11, 8, v10
	v_or_b32_e32 v12, v12, v6
	v_xor_b32_e32 v9, v7, v5
	v_xor_b32_e32 v60, v12, v11
	v_or_b32_e32 v12, 64, v7
	v_or_b32_e32 v7, 0x60, v7
	;; [unrolled: 1-line block ×3, first 2 shown]
	v_xor_b32_e32 v12, v12, v5
	v_xor_b32_e32 v5, v7, v5
	;; [unrolled: 1-line block ×3, first 2 shown]
	v_and_b32_e32 v9, 0x78, v44
	v_or_b32_e32 v5, v5, v6
	v_lshl_or_b32 v9, v43, 7, v9
	v_or_b32_e32 v12, v12, v6
	v_xor_b32_e32 v65, v5, v11
	v_lshlrev_b32_e32 v5, 1, v1
	v_or_b32_e32 v59, 0x9000, v9
	v_xor_b32_e32 v62, v12, v11
	v_or_b32_e32 v67, 0x9800, v9
	v_lshlrev_b32_e32 v9, 1, v4
	v_add_lshl_u32 v11, v4, s15, 1
	v_lshrrev_b32_e32 v4, 4, v0
	v_or_b32_e32 v13, 1, v5
	v_xor_b32_e32 v5, v4, v5
	v_xor_b32_e32 v13, v13, v4
	v_lshlrev_b32_e32 v5, 3, v5
	v_lshlrev_b32_e32 v34, 8, v4
	;; [unrolled: 1-line block ×3, first 2 shown]
	v_or3_b32 v68, v5, v34, s22
	v_or3_b32 v69, v4, v34, s22
	v_lshl_add_u64 v[4:5], s[20:21], 0, v[34:35]
	v_lshlrev_b32_e32 v34, 4, v1
	s_movk_i32 s17, 0xff
	v_lshlrev_b32_e32 v15, 3, v42
	v_and_b32_e32 v10, 24, v10
	v_lshl_add_u64 v[36:37], v[4:5], 0, v[34:35]
	v_and_b32_e32 v5, 8, v0
	v_cmp_lt_u32_e32 vcc, s17, v0
	v_xor_b32_e32 v16, v15, v10
	v_or_b32_e32 v17, 0x440, v16
	v_cndmask_b32_e64 v14, 0, 1, vcc
	v_cmp_eq_u32_e32 vcc, 0, v5
	v_and_b32_e32 v4, 7, v0
	v_lshlrev_b32_e32 v13, 3, v4
	v_cndmask_b32_e32 v5, v17, v16, vcc
	v_lshlrev_b32_e32 v4, 7, v4
	v_or_b32_e32 v5, v5, v8
	v_xad_u32 v70, v5, v13, v4
	v_or_b32_e32 v5, 32, v10
	v_xor_b32_e32 v5, v15, v5
	v_or_b32_e32 v16, 0x440, v5
	v_cndmask_b32_e32 v5, v16, v5, vcc
	v_or_b32_e32 v5, v5, v8
	v_xad_u32 v71, v5, v13, v4
	v_or_b32_e32 v5, 64, v10
	v_xor_b32_e32 v5, v15, v5
	v_xor_b32_e32 v16, 0x440, v5
	v_cndmask_b32_e32 v5, v16, v5, vcc
	v_or_b32_e32 v5, v5, v8
	v_xad_u32 v72, v5, v13, v4
	v_or_b32_e32 v5, 0x60, v10
	v_xor_b32_e32 v5, v15, v5
	v_xor_b32_e32 v10, 0x440, v5
	v_or_b32_e32 v6, s30, v1
	v_cndmask_b32_e32 v5, v10, v5, vcc
	v_ashrrev_i32_e32 v7, 31, v6
	v_or_b32_e32 v5, v5, v8
	v_lshl_add_u64 v[6:7], v[6:7], 1, s[8:9]
	v_or_b32_e32 v12, 0x100, v3
	v_lshlrev_b32_e32 v14, 13, v14
	v_xad_u32 v73, v5, v13, v4
	v_lshlrev_b32_e32 v34, 8, v47
	v_cndmask_b32_e64 v74, v9, v3, s[0:1]
	v_cndmask_b32_e64 v75, v11, v12, s[0:1]
	v_lshl_add_u64 v[38:39], v[6:7], 0, v[34:35]
	s_mov_b32 s17, 0x7060302
	s_movk_i32 s22, 0x4000
	v_add_u32_e32 v77, v14, v70
	v_add_u32_e32 v78, v14, v71
	;; [unrolled: 1-line block ×4, first 2 shown]
	v_mov_b32_e32 v34, v35
	s_waitcnt lgkmcnt(0)
	s_barrier
.LBB696_6:                              ; =>This Inner Loop Header: Depth=1
	s_add_i32 s31, s56, 1
	s_cmp_lt_i32 s31, s44
	s_mov_b64 s[24:25], 0
	s_cselect_b64 s[38:39], -1, 0
	s_cmp_ge_i32 s31, s44
	s_mov_b64 s[20:21], 0
	s_cbranch_scc1 .LBB696_8
; %bb.7:                                ;   in Loop: Header=BB696_6 Depth=1
	s_add_i32 s0, s50, 64
	s_ashr_i32 s1, s0, 31
	s_add_u32 s0, s47, s0
	s_addc_u32 s1, s46, s1
	s_lshl_b64 s[0:1], s[0:1], 8
	s_add_u32 s20, s6, s0
	s_addc_u32 s21, s7, s1
.LBB696_8:                              ;   in Loop: Header=BB696_6 Depth=1
	v_cndmask_b32_e64 v2, 0, 1, s[38:39]
	v_cmp_ne_u32_e64 s[0:1], 1, v2
	s_andn2_b64 vcc, exec, s[38:39]
	s_cbranch_vccnz .LBB696_10
; %bb.9:                                ;   in Loop: Header=BB696_6 Depth=1
	s_add_i32 s24, s50, 64
	s_mul_hi_i32 s25, s24, s14
	s_mul_i32 s24, s24, s14
	s_add_u32 s24, s24, s49
	s_addc_u32 s25, s25, s52
	s_lshl_b64 s[24:25], s[24:25], 8
	s_add_u32 s24, s4, s24
	s_addc_u32 s25, s5, s25
.LBB696_10:                             ;   in Loop: Header=BB696_6 Depth=1
	v_perm_b32 v3, v82, v66, s17
	v_perm_b32 v2, v64, v35, s17
	;; [unrolled: 1-line block ×4, first 2 shown]
	ds_write_b64 v54, v[2:3]
	ds_write_b64 v55, v[4:5]
	ds_write_b64 v56, v[2:3]
	ds_write_b64 v57, v[4:5]
	s_waitcnt lgkmcnt(0)
	s_barrier
	ds_read_b64 v[10:11], v58 offset:16384
	ds_read_b64 v[12:13], v60 offset:16384
	ds_read2st64_b64 v[2:5], v59 offset1:1
	s_waitcnt lgkmcnt(0)
	v_mfma_f32_16x16x16_bf16 a[0:3], v[10:11], v[2:3], 0
	ds_read2st64_b64 v[6:9], v59 offset0:2 offset1:3
	ds_read_b64 v[14:15], v62 offset:16384
	ds_read_b64 v[2:3], v65 offset:16384
	s_add_i32 s27, s50, 63
	v_mfma_f32_16x16x16_bf16 a[0:3], v[12:13], v[4:5], a[0:3]
	s_ashr_i32 s38, s27, 31
	s_mul_i32 s39, s27, s29
	s_mul_hi_u32 s57, s27, s28
	s_waitcnt lgkmcnt(1)
	v_mfma_f32_16x16x16_bf16 a[0:3], v[14:15], v[6:7], a[0:3]
	s_add_i32 s39, s57, s39
	s_mul_i32 s38, s38, s28
	s_add_i32 s39, s39, s38
	s_mul_i32 s38, s27, s28
	s_waitcnt lgkmcnt(0)
	v_mfma_f32_16x16x16_bf16 a[0:3], v[2:3], v[8:9], a[0:3]
	s_lshl_b64 s[38:39], s[38:39], 2
	s_add_u32 s38, s2, s38
	s_addc_u32 s39, s3, s39
	s_and_b64 vcc, exec, s[0:1]
	v_mov_b32_e32 v85, 0
	v_mov_b32_e32 v84, 0
	;; [unrolled: 1-line block ×19, first 2 shown]
	s_cbranch_vccnz .LBB696_12
; %bb.11:                               ;   in Loop: Header=BB696_6 Depth=1
	s_and_b32 s21, s21, 0xffff
	buffer_load_dwordx4 v[14:17], v50, s[20:23], 0 offen
	buffer_load_dwordx4 v[10:13], v50, s[20:23], s53 offen
	;; [unrolled: 1-line block ×4, first 2 shown]
	v_mov_b32_e32 v84, v52
	v_mov_b32_e32 v83, v53
.LBB696_12:                             ;   in Loop: Header=BB696_6 Depth=1
	s_waitcnt vmcnt(3)
	v_add_u32_e32 v22, s50, v76
	s_waitcnt vmcnt(1)
	v_ashrrev_i32_e32 v18, 31, v22
	v_mul_lo_u32 v20, v18, s28
	v_mul_lo_u32 v21, v22, s29
	v_mad_u64_u32 v[18:19], s[20:21], v22, s28, 0
	v_add3_u32 v19, v19, v21, v20
	v_lshl_add_u64 v[18:19], v[18:19], 2, s[2:3]
	global_load_dword v87, v[18:19], off
	v_add_u32_e32 v18, 1, v22
	v_ashrrev_i32_e32 v19, 31, v18
	v_mul_lo_u32 v20, v19, s28
	v_mul_lo_u32 v21, v18, s29
	v_mad_u64_u32 v[18:19], s[20:21], v18, s28, 0
	v_add3_u32 v19, v19, v21, v20
	v_add_u32_e32 v20, 2, v22
	v_ashrrev_i32_e32 v21, 31, v20
	v_mul_lo_u32 v23, v21, s28
	v_mul_lo_u32 v24, v20, s29
	v_mad_u64_u32 v[20:21], s[20:21], v20, s28, 0
	v_add_u32_e32 v22, 3, v22
	v_add3_u32 v21, v21, v24, v23
	v_ashrrev_i32_e32 v23, 31, v22
	v_mul_lo_u32 v26, v23, s28
	v_mul_lo_u32 v27, v22, s29
	v_mad_u64_u32 v[22:23], s[20:21], v22, s28, 0
	s_ashr_i32 s21, s50, 31
	s_add_u32 s20, s47, s50
	s_addc_u32 s21, s46, s21
	s_lshl_b64 s[20:21], s[20:21], 8
	v_lshl_add_u64 v[18:19], v[18:19], 2, s[2:3]
	v_lshl_add_u64 v[24:25], v[38:39], 0, s[20:21]
	v_add3_u32 v23, v23, v27, v26
	v_lshl_add_u64 v[20:21], v[20:21], 2, s[2:3]
	global_load_ushort v94, v[24:25], off
	global_load_ushort v95, v[24:25], off offset:256
	global_load_ushort v96, v[24:25], off offset:512
	;; [unrolled: 1-line block ×3, first 2 shown]
	v_lshl_add_u64 v[22:23], v[22:23], 2, s[2:3]
	global_load_dword v98, v[18:19], off
	global_load_dword v99, v[20:21], off
	;; [unrolled: 1-line block ×3, first 2 shown]
	s_load_dword s20, s[38:39], 0x0
	ds_read2st64_b64 v[26:29], v67 offset1:1
	ds_read2st64_b64 v[30:33], v67 offset0:2 offset1:3
	ds_read_b64 v[24:25], v58 offset:24576
	ds_read_b64 v[88:89], v60 offset:24576
	;; [unrolled: 1-line block ×4, first 2 shown]
	s_waitcnt lgkmcnt(0)
	v_mfma_f32_16x16x16_bf16 a[0:3], v[24:25], v[26:27], a[0:3]
	v_mov_b32_e32 v86, 0
	v_mov_b32_e32 v18, 0
	v_mov_b32_e32 v19, 0
	v_mfma_f32_16x16x16_bf16 a[0:3], v[88:89], v[28:29], a[0:3]
	v_mov_b32_e32 v20, 0
	v_mov_b32_e32 v21, 0
	v_mov_b32_e32 v22, 0
	v_mfma_f32_16x16x16_bf16 a[0:3], v[90:91], v[30:31], a[0:3]
	v_mov_b32_e32 v23, 0
	v_mov_b32_e32 v24, 0
	v_mov_b32_e32 v25, 0
	v_mfma_f32_16x16x16_bf16 a[0:3], v[92:93], v[32:33], a[0:3]
	v_mov_b32_e32 v26, 0
	v_mov_b32_e32 v27, 0
	v_mov_b32_e32 v28, 0
	v_mov_b32_e32 v29, 0
	v_mov_b32_e32 v30, 0
	v_mov_b32_e32 v31, 0
	s_and_b64 vcc, exec, s[0:1]
	v_accvgpr_read_b32 v89, a1
	v_accvgpr_read_b32 v33, a3
	;; [unrolled: 1-line block ×4, first 2 shown]
	s_waitcnt vmcnt(7)
	v_sub_f32_e32 v87, s20, v87
	s_waitcnt vmcnt(6)
	v_lshlrev_b32_e32 v90, 16, v94
	v_exp_f32_e32 v94, v87
	s_waitcnt vmcnt(4)
	v_lshlrev_b32_e32 v92, 16, v96
	s_waitcnt vmcnt(3)
	v_lshlrev_b32_e32 v93, 16, v97
	s_waitcnt vmcnt(2)
	v_sub_f32_e32 v87, s20, v98
	s_waitcnt vmcnt(1)
	v_sub_f32_e32 v96, s20, v99
	;; [unrolled: 2-line block ×3, first 2 shown]
	v_lshlrev_b32_e32 v91, 16, v95
	v_exp_f32_e32 v95, v87
	v_exp_f32_e32 v96, v96
	;; [unrolled: 1-line block ×3, first 2 shown]
	v_pk_add_f32 v[88:89], v[90:91], v[88:89] neg_lo:[0,1] neg_hi:[0,1]
	v_pk_add_f32 v[32:33], v[92:93], v[32:33] neg_lo:[0,1] neg_hi:[0,1]
	v_pk_mul_f32 v[88:89], v[94:95], v[88:89]
	v_pk_mul_f32 v[32:33], v[96:97], v[32:33]
	s_nop 0
	v_perm_b32 v33, v33, v32, s17
	v_perm_b32 v32, v89, v88, s17
	ds_write_b64 v55, v[32:33]
	v_mov_b32_e32 v32, 0
	v_mov_b32_e32 v33, 0
	s_cbranch_vccnz .LBB696_14
; %bb.13:                               ;   in Loop: Header=BB696_6 Depth=1
	s_and_b32 s25, s25, 0xffff
	s_mov_b32 s27, s23
	buffer_load_dwordx4 v[30:33], v74, s[24:27], 0 offen
	buffer_load_dwordx4 v[22:25], v74, s[24:27], s53 offen
	;; [unrolled: 1-line block ×4, first 2 shown]
	v_mov_b32_e32 v85, v49
	v_mov_b32_e32 v86, v48
.LBB696_14:                             ;   in Loop: Header=BB696_6 Depth=1
	s_waitcnt lgkmcnt(0)
	s_barrier
	ds_read_b64 v[96:97], v77
	ds_read2st64_b64 v[88:91], v67 offset1:1
	ds_read2st64_b64 v[92:95], v67 offset0:2 offset1:3
	ds_read_b64 v[98:99], v78
	ds_read_b64 v[100:101], v79
	;; [unrolled: 1-line block ×3, first 2 shown]
	s_waitcnt lgkmcnt(4)
	v_mfma_f32_16x16x16_bf16 a[0:3], v[96:97], v[88:89], 0
	ds_read_b64 v[96:97], v70 offset:8192
	ds_read_b64 v[104:105], v71 offset:8192
	s_add_i32 s21, s45, s56
	s_mul_hi_i32 s25, s21, s48
	s_waitcnt lgkmcnt(1)
	v_mfma_f32_16x16x16_bf16 a[4:7], v[96:97], v[88:89], 0
	s_mul_i32 s21, s21, s48
	s_add_u32 s24, s21, s33
	s_addc_u32 s25, s25, s51
	v_mfma_f32_16x16x16_bf16 a[0:3], v[98:99], v[90:91], a[0:3]
	ds_read_b64 v[96:97], v68
	ds_read_b64 v[98:99], v69
	ds_read_b64 v[88:89], v72 offset:8192
	s_lshl_b64 s[24:25], s[24:25], 15
	v_mfma_f32_16x16x16_bf16 a[0:3], v[100:101], v[92:93], a[0:3]
	ds_read_b64 v[100:101], v73 offset:8192
	s_and_b64 vcc, exec, s[0:1]
	s_waitcnt lgkmcnt(4)
	v_mfma_f32_16x16x16_bf16 a[4:7], v[104:105], v[90:91], a[4:7]
	s_waitcnt lgkmcnt(1)
	v_mfma_f32_16x16x16_bf16 a[4:7], v[88:89], v[92:93], a[4:7]
	v_lshl_add_u64 v[88:89], v[36:37], 0, s[24:25]
	global_store_dwordx4 v[88:89], v[96:99], off
	v_mfma_f32_16x16x16_bf16 a[0:3], v[102:103], v[94:95], a[0:3]
	s_waitcnt lgkmcnt(0)
	v_mfma_f32_16x16x16_bf16 a[4:7], v[100:101], v[94:95], a[4:7]
	s_cbranch_vccnz .LBB696_16
; %bb.15:                               ;   in Loop: Header=BB696_6 Depth=1
	v_lshrrev_b32_e32 v87, 3, v85
	v_and_b32_e32 v87, 6, v87
	v_xor_b32_e32 v86, v87, v86
	v_lshlrev_b32_e32 v86, 2, v86
	v_and_b32_e32 v85, 8, v85
	v_xor_b32_e32 v88, 0x440, v86
	v_cmp_eq_u32_e32 vcc, 0, v85
	s_barrier
	s_nop 0
	v_cndmask_b32_e32 v85, v88, v86, vcc
	v_lshl_or_b32 v85, v87, 10, v85
	s_waitcnt vmcnt(2)
	v_perm_b32 v86, v30, v26, s54
	s_waitcnt vmcnt(1)
	v_perm_b32 v87, v22, v18, s54
	ds_write2st64_b32 v85, v86, v87 offset1:32
	v_xor_b32_e32 v86, 8, v85
	v_perm_b32 v26, v30, v26, s55
	v_perm_b32 v18, v22, v18, s55
	v_add_u32_e32 v22, 0x80, v86
	ds_write2st64_b32 v22, v26, v18 offset1:32
	v_xor_b32_e32 v18, 16, v85
	v_perm_b32 v22, v31, v27, s54
	v_perm_b32 v26, v23, v19, s54
	ds_write2st64_b32 v18, v22, v26 offset0:1 offset1:33
	v_xor_b32_e32 v18, 24, v85
	v_perm_b32 v22, v31, v27, s55
	v_perm_b32 v19, v23, v19, s55
	v_add_u32_e32 v18, 0x80, v18
	ds_write2st64_b32 v18, v22, v19 offset0:1 offset1:33
	v_xor_b32_e32 v18, 32, v85
	v_perm_b32 v19, v32, v28, s54
	v_perm_b32 v22, v24, v20, s54
	ds_write2st64_b32 v18, v19, v22 offset0:2 offset1:34
	v_xor_b32_e32 v18, 40, v85
	v_perm_b32 v19, v32, v28, s55
	v_perm_b32 v20, v24, v20, s55
	v_add_u32_e32 v18, 0x80, v18
	ds_write2st64_b32 v18, v19, v20 offset0:2 offset1:34
	;; [unrolled: 9-line block ×3, first 2 shown]
	ds_write_b64 v84, v[14:15] offset:16384
	v_xor_b32_e32 v14, 8, v84
	ds_write_b64 v14, v[16:17] offset:16384
	ds_write_b64 v84, v[10:11] offset:24576
	;; [unrolled: 1-line block ×4, first 2 shown]
	v_xor_b32_e32 v6, 8, v83
	ds_write_b64 v6, v[8:9] offset:16384
	ds_write_b64 v83, v[2:3] offset:24576
	;; [unrolled: 1-line block ×3, first 2 shown]
.LBB696_16:                             ;   in Loop: Header=BB696_6 Depth=1
	v_exp_f32_e32 v2, s20
	s_nop 2
	v_accvgpr_read_b32 v3, a0
	v_accvgpr_read_b32 v4, a1
	s_add_i32 s50, s50, 64
	v_fma_f32 v35, v35, v2, v3
	v_accvgpr_read_b32 v3, a2
	v_fma_f32 v66, v66, v2, v3
	v_accvgpr_read_b32 v3, a4
	;; [unrolled: 2-line block ×6, first 2 shown]
	v_fmac_f32_e32 v4, v82, v2
	s_cmp_eq_u32 s44, s31
	v_fmac_f32_e32 v3, v81, v2
	s_cbranch_scc1 .LBB696_18
; %bb.17:                               ;   in Loop: Header=BB696_6 Depth=1
	s_mov_b32 s56, s31
	v_mov_b32_e32 v82, v4
	v_mov_b32_e32 v81, v3
	s_branch .LBB696_6
.LBB696_18:
	s_lshl_b32 s0, s44, 6
	s_sub_i32 s43, s43, s0
	s_cmp_gt_i32 s43, 0
	s_cbranch_scc0 .LBB696_75
; %bb.19:
	s_add_i32 s34, s0, s34
	s_ashr_i32 s2, s34, 31
	s_cmpk_lg_i32 s15, 0x80
	s_cselect_b64 s[26:27], -1, 0
	s_and_b64 vcc, exec, s[26:27]
	s_cbranch_vccz .LBB696_21
; %bb.20:
	s_mul_i32 s1, s34, s14
	s_ashr_i32 s3, s49, 31
	s_mul_hi_i32 s0, s34, s14
	s_add_u32 s38, s1, s49
	s_addc_u32 s39, s0, s3
	s_cbranch_execz .LBB696_22
	s_branch .LBB696_23
.LBB696_21:
                                        ; implicit-def: $sgpr38_sgpr39
.LBB696_22:
	s_mul_i32 s1, s49, s12
	s_mul_hi_i32 s0, s49, s12
	s_add_u32 s38, s1, s34
	s_addc_u32 s39, s0, s2
.LBB696_23:
	s_add_i32 s3, s44, s45
	s_ashr_i32 s12, s33, 31
	s_add_u32 s0, s47, s34
	s_addc_u32 s1, s46, s2
	s_mov_b32 s2, 0x7060302
	v_lshlrev_b32_e32 v6, 3, v1
	v_perm_b32 v5, v4, v66, s2
	v_perm_b32 v4, v64, v35, s2
	;; [unrolled: 1-line block ×4, first 2 shown]
	v_lshlrev_b32_e32 v34, 2, v1
	v_lshl_or_b32 v6, v47, 5, v6
	s_lshl_b64 s[24:25], s[0:1], 8
	ds_write2st64_b64 v6, v[4:5], v[2:3] offset0:72 offset1:76
	v_xor_b32_e32 v6, v47, v34
	v_lshlrev_b32_e32 v7, 8, v1
	s_add_u32 s0, s6, s24
	v_lshl_or_b32 v6, v6, 1, v7
	s_addc_u32 s1, s7, s25
	ds_write_b64 v6, v[4:5] offset:32768
	v_xor_b32_e32 v4, v46, v34
	s_mul_hi_i32 s6, s3, s13
	s_mul_i32 s3, s3, s13
	v_lshl_or_b32 v4, v4, 1, v7
	s_add_u32 s2, s3, s33
	ds_write_b64 v4, v[2:3] offset:32768
	s_addc_u32 s3, s6, s12
	v_lshlrev_b32_e32 v3, 1, v1
	v_lshrrev_b32_e32 v2, 4, v0
	s_ashr_i32 s31, s30, 31
	s_lshl_b64 s[2:3], s[2:3], 15
	v_or_b32_e32 v4, 1, v3
	s_add_u32 s6, s36, s2
	v_xor_b32_e32 v3, v2, v3
	v_xor_b32_e32 v4, v4, v2
	v_lshlrev_b32_e32 v6, 8, v2
	s_addc_u32 s7, s37, s3
	s_lshl_b64 s[2:3], s[30:31], 8
	v_lshl_or_b32 v2, v3, 3, v6
	v_lshl_or_b32 v4, v4, 3, v6
	s_waitcnt lgkmcnt(0)
	s_barrier
	s_add_u32 s2, s6, s2
	ds_read_b64 v[2:3], v2 offset:32768
	ds_read_b64 v[4:5], v4 offset:32768
	s_addc_u32 s3, s7, s3
	v_mov_b32_e32 v7, 0
	s_cmp_lg_u32 s43, 64
	v_lshl_add_u64 v[8:9], s[2:3], 0, v[6:7]
	v_lshlrev_b32_e32 v6, 4, v1
	s_cselect_b64 s[6:7], -1, 0
	v_lshl_or_b32 v35, v42, 3, v45
	s_mov_b32 s20, 0
	v_lshl_add_u64 v[6:7], v[8:9], 0, v[6:7]
	s_waitcnt vmcnt(1)
	v_or_b32_e32 v19, 32, v35
	v_and_b32_e32 v18, 56, v44
	s_and_b64 vcc, exec, s[6:7]
	s_waitcnt lgkmcnt(0)
	global_store_dwordx4 v[6:7], v[2:5], off
	s_cbranch_vccz .LBB696_29
; %bb.24:
	s_mov_b32 s21, s20
	s_mov_b32 s22, s20
	;; [unrolled: 1-line block ×3, first 2 shown]
	v_mov_b64_e32 v[6:7], s[20:21]
	v_mov_b64_e32 v[8:9], s[22:23]
	;; [unrolled: 1-line block ×3, first 2 shown]
	v_cmp_gt_i32_e32 vcc, s43, v35
	v_mov_b64_e32 v[4:5], v[8:9]
	s_and_saveexec_b64 s[2:3], vcc
	s_cbranch_execz .LBB696_26
; %bb.25:
	v_lshlrev_b32_e32 v2, 8, v35
	v_mov_b32_e32 v3, 0
	v_lshl_add_u64 v[4:5], s[0:1], 0, v[2:3]
	v_lshlrev_b32_e32 v2, 1, v18
	v_lshl_add_u64 v[10:11], v[4:5], 0, v[2:3]
	global_load_dwordx4 v[6:9], v[10:11], off
	global_load_dwordx4 v[2:5], v[10:11], off offset:128
.LBB696_26:
	s_or_b64 exec, exec, s[2:3]
	s_mov_b32 s21, s20
	s_mov_b32 s22, s20
	;; [unrolled: 1-line block ×3, first 2 shown]
	v_mov_b64_e32 v[14:15], s[20:21]
	v_mov_b64_e32 v[16:17], s[22:23]
	;; [unrolled: 1-line block ×3, first 2 shown]
	v_cmp_gt_i32_e32 vcc, s43, v19
	v_lshlrev_b32_e32 v20, 7, v19
	v_mov_b64_e32 v[12:13], v[16:17]
	s_and_saveexec_b64 s[2:3], vcc
	s_cbranch_execz .LBB696_28
; %bb.27:
	v_lshlrev_b32_e32 v10, 1, v20
	v_mov_b32_e32 v11, 0
	v_lshl_add_u64 v[12:13], s[0:1], 0, v[10:11]
	v_lshlrev_b32_e32 v10, 1, v18
	v_lshl_add_u64 v[22:23], v[12:13], 0, v[10:11]
	global_load_dwordx4 v[14:17], v[22:23], off
	global_load_dwordx4 v[10:13], v[22:23], off offset:128
.LBB696_28:
	s_or_b64 exec, exec, s[2:3]
	v_lshrrev_b32_e32 v21, 3, v18
	v_lshlrev_b32_e32 v22, 3, v35
	v_or_b32_e32 v21, v22, v21
	v_lshlrev_b32_e32 v21, 4, v21
	v_and_b32_e32 v22, 0x78, v22
	v_xor_b32_e32 v21, v21, v22
	s_branch .LBB696_31
.LBB696_29:
                                        ; implicit-def: $vgpr21
                                        ; implicit-def: $vgpr20
                                        ; implicit-def: $vgpr6_vgpr7_vgpr8_vgpr9
                                        ; implicit-def: $vgpr2_vgpr3_vgpr4_vgpr5
                                        ; implicit-def: $vgpr14_vgpr15_vgpr16_vgpr17
                                        ; implicit-def: $vgpr10_vgpr11_vgpr12_vgpr13
	s_cbranch_execz .LBB696_31
; %bb.30:
	s_waitcnt vmcnt(0)
	v_lshlrev_b32_e32 v2, 1, v18
	v_lshl_or_b32 v20, v35, 8, v2
	s_and_b32 s1, s1, 0xffff
	s_mov_b32 s3, 0x20000
	s_movk_i32 s2, 0x4000
	v_lshl_or_b32 v21, v19, 8, v2
	s_movk_i32 s13, 0x80
	buffer_load_dwordx4 v[6:9], v20, s[0:3], 0 offen
	buffer_load_dwordx4 v[2:5], v20, s[0:3], s13 offen
	;; [unrolled: 1-line block ×4, first 2 shown]
	v_lshrrev_b32_e32 v20, 3, v18
	v_lshlrev_b32_e32 v21, 3, v35
	v_or_b32_e32 v20, v21, v20
	v_lshlrev_b32_e32 v20, 4, v20
	v_and_b32_e32 v21, 0x78, v21
	v_xor_b32_e32 v21, v20, v21
	v_lshlrev_b32_e32 v20, 7, v19
.LBB696_31:
	s_lshl_b64 s[0:1], s[38:39], 8
	s_add_u32 s4, s4, s0
	s_movk_i32 s0, 0x1000
	v_and_or_b32 v19, v20, s0, v21
	s_waitcnt vmcnt(1)
	ds_write_b64 v21, v[6:7] offset:16384
	v_xor_b32_e32 v6, 8, v21
	ds_write_b64 v6, v[8:9] offset:16384
	s_waitcnt vmcnt(0)
	ds_write_b64 v21, v[2:3] offset:24576
	ds_write_b64 v6, v[4:5] offset:24576
	;; [unrolled: 1-line block ×3, first 2 shown]
	v_xor_b32_e32 v2, 8, v19
	ds_write_b64 v2, v[16:17] offset:16384
	ds_write_b64 v19, v[10:11] offset:24576
	;; [unrolled: 1-line block ×3, first 2 shown]
	v_or_b32_e32 v2, v40, v1
	v_lshlrev_b32_e32 v2, 3, v2
	v_lshrrev_b32_e32 v4, 5, v41
	s_movk_i32 s14, 0xf8
	v_and_or_b32 v4, v2, s14, v4
	v_lshlrev_b32_e32 v3, 11, v42
	v_lshlrev_b32_e32 v12, 4, v4
	v_and_b32_e32 v13, 0x78, v2
	v_and_b32_e32 v14, 0x1000, v3
	v_lshlrev_b32_e32 v3, 2, v0
	v_xor_b32_e32 v2, v12, v13
	v_lshrrev_b32_e32 v4, 1, v41
	v_and_b32_e32 v3, 60, v3
	v_or_b32_e32 v2, v2, v14
	v_and_b32_e32 v15, 8, v4
	v_xor_b32_e32 v26, v2, v15
	v_lshl_or_b32 v2, v43, 6, v3
	v_lshlrev_b32_e32 v19, 1, v2
	v_or_b32_e32 v2, 32, v12
	v_xor_b32_e32 v2, v2, v13
	s_waitcnt lgkmcnt(0)
	s_barrier
	ds_read_b64 v[10:11], v26 offset:16384
	v_or_b32_e32 v2, v2, v14
	v_xor_b32_e32 v27, v2, v15
	v_or_b32_e32 v2, 64, v12
	v_xor_b32_e32 v2, v2, v13
	v_or_b32_e32 v2, v2, v14
	v_or_b32_e32 v12, 0x60, v12
	v_xor_b32_e32 v28, v2, v15
	ds_read2st64_b64 v[2:5], v19 offset0:72 offset1:73
	ds_read2st64_b64 v[6:9], v19 offset0:74 offset1:75
	v_xor_b32_e32 v16, v12, v13
	ds_read_b64 v[12:13], v27 offset:16384
	s_addc_u32 s5, s5, s1
	s_add_i32 s0, s41, s40
	s_waitcnt lgkmcnt(2)
	v_mfma_f32_16x16x16_bf16 a[0:3], v[10:11], v[2:3], 0
	s_add_i32 s2, s35, -1
	s_add_i32 s17, s0, s42
	s_mul_i32 s0, s33, s19
	s_mul_hi_u32 s1, s33, s18
	s_add_i32 s0, s1, s0
	s_mul_i32 s1, s12, s18
	s_ashr_i32 s3, s2, 31
	s_mul_i32 s12, s2, s29
	s_mul_hi_u32 s13, s2, s28
	s_add_i32 s12, s13, s12
	s_mul_i32 s3, s3, s28
	v_or_b32_e32 v14, v16, v14
	s_add_i32 s1, s0, s1
	s_add_i32 s3, s12, s3
	s_lshl_b64 s[12:13], s[16:17], 2
	v_xor_b32_e32 v36, v14, v15
	ds_read_b64 v[14:15], v28 offset:16384
	ds_read_b64 v[16:17], v36 offset:16384
	s_waitcnt lgkmcnt(2)
	v_mfma_f32_16x16x16_bf16 a[0:3], v[12:13], v[4:5], a[0:3]
	s_mul_i32 s0, s33, s18
	s_add_u32 s10, s10, s12
	s_addc_u32 s11, s11, s13
	s_lshl_b64 s[0:1], s[0:1], 2
	s_mul_i32 s2, s2, s28
	s_add_u32 s10, s10, s0
	s_addc_u32 s11, s11, s1
	s_lshl_b64 s[0:1], s[2:3], 2
	s_waitcnt lgkmcnt(1)
	v_mfma_f32_16x16x16_bf16 a[0:3], v[14:15], v[6:7], a[0:3]
	s_add_u32 s0, s10, s0
	s_addc_u32 s1, s11, s1
	s_load_dword s12, s[0:1], 0x0
	s_waitcnt lgkmcnt(0)
	v_mfma_f32_16x16x16_bf16 a[0:3], v[16:17], v[8:9], a[0:3]
	s_and_b64 vcc, exec, s[26:27]
	s_cbranch_vccz .LBB696_42
; %bb.32:
	v_lshlrev_b32_e32 v20, 1, v35
	s_and_b64 vcc, exec, s[6:7]
	s_cbranch_vccz .LBB696_43
; %bb.33:
	v_cmp_gt_i32_e32 vcc, s43, v20
	v_mov_b32_e32 v6, 0
	v_mov_b32_e32 v2, 0
	;; [unrolled: 1-line block ×5, first 2 shown]
	s_and_saveexec_b64 s[0:1], vcc
	s_cbranch_execz .LBB696_35
; %bb.34:
	v_mad_i64_i32 v[2:3], s[2:3], s15, v20, 0
	v_lshl_add_u64 v[2:3], v[2:3], 1, s[4:5]
	v_lshlrev_b32_e32 v4, 1, v18
	v_mov_b32_e32 v5, 0
	v_lshl_add_u64 v[2:3], v[2:3], 0, v[4:5]
	global_load_dwordx4 v[2:5], v[2:3], off
.LBB696_35:
	s_or_b64 exec, exec, s[0:1]
	v_or_b32_e32 v21, 1, v20
	v_cmp_gt_i32_e64 s[0:1], s43, v21
	v_mov_b32_e32 v7, 0
	v_mov_b32_e32 v8, 0
	v_mov_b32_e32 v9, 0
	s_and_saveexec_b64 s[2:3], s[0:1]
	s_cbranch_execz .LBB696_37
; %bb.36:
	v_mad_i64_i32 v[6:7], s[16:17], s15, v21, 0
	v_lshl_add_u64 v[6:7], v[6:7], 1, s[4:5]
	v_lshlrev_b32_e32 v8, 1, v18
	v_mov_b32_e32 v9, 0
	v_lshl_add_u64 v[6:7], v[6:7], 0, v[8:9]
	global_load_dwordx4 v[6:9], v[6:7], off
.LBB696_37:
	s_or_b64 exec, exec, s[2:3]
	v_mov_b32_e32 v17, 0
	v_mov_b32_e32 v10, 0
	;; [unrolled: 1-line block ×5, first 2 shown]
	s_and_saveexec_b64 s[2:3], vcc
	s_cbranch_execz .LBB696_39
; %bb.38:
	v_mad_i64_i32 v[10:11], s[16:17], s15, v20, 0
	v_lshl_add_u64 v[10:11], v[10:11], 1, s[4:5]
	v_lshlrev_b32_e32 v12, 1, v18
	v_mov_b32_e32 v13, 0
	v_lshl_add_u64 v[10:11], v[10:11], 0, v[12:13]
	global_load_dwordx4 v[10:13], v[10:11], off offset:128
.LBB696_39:
	s_or_b64 exec, exec, s[2:3]
	v_mov_b32_e32 v16, 0
	v_mov_b32_e32 v15, 0
	;; [unrolled: 1-line block ×3, first 2 shown]
	s_and_saveexec_b64 s[2:3], s[0:1]
	s_cbranch_execz .LBB696_41
; %bb.40:
	v_mad_i64_i32 v[14:15], s[0:1], s15, v21, 0
	v_lshl_add_u64 v[14:15], v[14:15], 1, s[4:5]
	v_lshlrev_b32_e32 v16, 1, v18
	v_mov_b32_e32 v17, 0
	v_lshl_add_u64 v[14:15], v[14:15], 0, v[16:17]
	global_load_dwordx4 v[14:17], v[14:15], off offset:128
.LBB696_41:
	s_or_b64 exec, exec, s[2:3]
	s_branch .LBB696_45
.LBB696_42:
                                        ; implicit-def: $vgpr5
                                        ; implicit-def: $vgpr9
                                        ; implicit-def: $vgpr13
                                        ; implicit-def: $vgpr17
	v_lshrrev_b32_e32 v37, 2, v41
	s_branch .LBB696_46
.LBB696_43:
                                        ; implicit-def: $vgpr5
                                        ; implicit-def: $vgpr9
                                        ; implicit-def: $vgpr13
                                        ; implicit-def: $vgpr17
	s_cbranch_execz .LBB696_45
; %bb.44:
	s_waitcnt vmcnt(0)
	v_mad_u64_u32 v[2:3], s[0:1], v20, s15, v[18:19]
	v_lshlrev_b32_e32 v20, 1, v2
	s_lshl_b32 s2, s15, 7
	s_and_b32 s1, s5, 0xffff
	s_mov_b32 s3, 0x20000
	s_mov_b32 s0, s4
	v_add_lshl_u32 v21, v2, s15, 1
	s_movk_i32 s13, 0x80
	buffer_load_dwordx4 v[2:5], v20, s[0:3], 0 offen
	buffer_load_dwordx4 v[10:13], v20, s[0:3], s13 offen
	;; [unrolled: 1-line block ×4, first 2 shown]
.LBB696_45:
	v_lshrrev_b32_e32 v37, 2, v41
	s_cbranch_execnz .LBB696_58
.LBB696_46:
	s_and_b64 vcc, exec, s[6:7]
	s_cbranch_vccz .LBB696_56
; %bb.47:
	s_waitcnt vmcnt(0)
	v_lshlrev_b32_e32 v7, 1, v35
	v_cmp_gt_i32_e32 vcc, s43, v7
	v_mov_b32_e32 v6, 0
	v_lshlrev_b32_e32 v14, 9, v35
	v_mov_b32_e32 v2, 0
	v_mov_b32_e32 v3, 0
	;; [unrolled: 1-line block ×4, first 2 shown]
	s_and_saveexec_b64 s[0:1], vcc
	s_cbranch_execz .LBB696_49
; %bb.48:
	v_mov_b32_e32 v15, 0
	v_lshl_add_u64 v[2:3], s[4:5], 0, v[14:15]
	v_lshlrev_b32_e32 v4, 1, v18
	v_mov_b32_e32 v5, v15
	v_lshl_add_u64 v[2:3], v[2:3], 0, v[4:5]
	global_load_dwordx4 v[2:5], v[2:3], off
.LBB696_49:
	s_or_b64 exec, exec, s[0:1]
	v_or_b32_e32 v7, 1, v7
	v_cmp_gt_i32_e64 s[0:1], s43, v7
	v_lshlrev_b32_e32 v20, 8, v7
	v_mov_b32_e32 v7, 0
	v_mov_b32_e32 v8, 0
	;; [unrolled: 1-line block ×3, first 2 shown]
	s_and_saveexec_b64 s[2:3], s[0:1]
	s_cbranch_execz .LBB696_51
; %bb.50:
	v_mov_b32_e32 v21, 0
	v_lshl_add_u64 v[6:7], s[4:5], 0, v[20:21]
	v_lshlrev_b32_e32 v8, 1, v18
	v_mov_b32_e32 v9, v21
	v_lshl_add_u64 v[6:7], v[6:7], 0, v[8:9]
	global_load_dwordx4 v[6:9], v[6:7], off
.LBB696_51:
	s_or_b64 exec, exec, s[2:3]
	v_mov_b32_e32 v17, 0
	v_mov_b32_e32 v10, 0
	;; [unrolled: 1-line block ×5, first 2 shown]
	s_and_saveexec_b64 s[2:3], vcc
	s_cbranch_execz .LBB696_53
; %bb.52:
	v_mov_b32_e32 v15, 0
	v_lshl_add_u64 v[10:11], s[4:5], 0, v[14:15]
	v_lshlrev_b32_e32 v14, 1, v18
	v_lshl_add_u64 v[10:11], v[10:11], 0, v[14:15]
	global_load_dwordx4 v[10:13], v[10:11], off offset:128
.LBB696_53:
	s_or_b64 exec, exec, s[2:3]
	v_mov_b32_e32 v16, 0
	v_mov_b32_e32 v15, 0
	;; [unrolled: 1-line block ×3, first 2 shown]
	s_and_saveexec_b64 s[2:3], s[0:1]
	s_cbranch_execz .LBB696_55
; %bb.54:
	v_mov_b32_e32 v21, 0
	v_lshl_add_u64 v[14:15], s[4:5], 0, v[20:21]
	v_lshlrev_b32_e32 v20, 1, v18
	v_lshl_add_u64 v[14:15], v[14:15], 0, v[20:21]
	global_load_dwordx4 v[14:17], v[14:15], off offset:128
.LBB696_55:
	s_or_b64 exec, exec, s[2:3]
	s_branch .LBB696_58
.LBB696_56:
                                        ; implicit-def: $vgpr5
                                        ; implicit-def: $vgpr9
                                        ; implicit-def: $vgpr13
                                        ; implicit-def: $vgpr17
	s_cbranch_execz .LBB696_58
; %bb.57:
	s_waitcnt vmcnt(0)
	v_lshlrev_b32_e32 v2, 1, v18
	v_lshl_or_b32 v18, v35, 9, v2
	s_and_b32 s5, s5, 0xffff
	s_mov_b32 s7, 0x20000
	s_movk_i32 s6, 0x4000
	s_movk_i32 s0, 0x80
	buffer_load_dwordx4 v[2:5], v18, s[4:7], 0 offen
	buffer_load_dwordx4 v[6:9], v18, s[4:7], 0 offen offset:256
	buffer_load_dwordx4 v[10:13], v18, s[4:7], s0 offen
	buffer_load_dwordx4 v[14:17], v18, s[4:7], s0 offen offset:256
.LBB696_58:
	ds_read2st64_b64 v[22:25], v19 offset0:76 offset1:77
	ds_read2st64_b64 v[18:21], v19 offset0:78 offset1:79
	ds_read_b64 v[30:31], v26 offset:24576
	ds_read_b64 v[32:33], v27 offset:24576
	;; [unrolled: 1-line block ×4, first 2 shown]
	v_and_b32_e32 v36, 6, v0
	v_xor_b32_e32 v35, v35, v36
	v_lshlrev_b32_e32 v35, 2, v35
	v_and_b32_e32 v0, 1, v0
	v_xor_b32_e32 v38, 0x440, v35
	v_cmp_eq_u32_e32 vcc, 0, v0
	s_mov_b32 s0, 0x1000504
	s_mov_b32 s1, 0x3020706
	v_cndmask_b32_e32 v0, v38, v35, vcc
	v_lshl_or_b32 v0, v36, 10, v0
	s_waitcnt vmcnt(0)
	v_perm_b32 v35, v2, v6, s0
	v_perm_b32 v36, v10, v14, s0
	ds_write2st64_b32 v0, v35, v36 offset1:32
	v_xor_b32_e32 v35, 8, v0
	v_perm_b32 v2, v2, v6, s1
	v_perm_b32 v6, v10, v14, s1
	v_add_u32_e32 v10, 0x80, v35
	ds_write2st64_b32 v10, v2, v6 offset1:32
	v_xor_b32_e32 v2, 16, v0
	v_perm_b32 v6, v3, v7, s0
	v_perm_b32 v10, v11, v15, s0
	ds_write2st64_b32 v2, v6, v10 offset0:1 offset1:33
	v_xor_b32_e32 v2, 24, v0
	v_perm_b32 v3, v3, v7, s1
	v_perm_b32 v6, v11, v15, s1
	v_add_u32_e32 v2, 0x80, v2
	ds_write2st64_b32 v2, v3, v6 offset0:1 offset1:33
	v_xor_b32_e32 v2, 32, v0
	v_perm_b32 v3, v4, v8, s0
	v_perm_b32 v6, v12, v16, s0
	ds_write2st64_b32 v2, v3, v6 offset0:2 offset1:34
	v_xor_b32_e32 v2, 40, v0
	v_perm_b32 v3, v4, v8, s1
	v_perm_b32 v4, v12, v16, s1
	v_add_u32_e32 v2, 0x80, v2
	ds_write2st64_b32 v2, v3, v4 offset0:2 offset1:34
	v_xor_b32_e32 v2, 48, v0
	v_perm_b32 v3, v5, v9, s0
	v_perm_b32 v4, v13, v17, s0
	v_xor_b32_e32 v0, 56, v0
	v_and_or_b32 v6, v37, 12, v40
	ds_write2st64_b32 v2, v3, v4 offset0:3 offset1:35
	v_perm_b32 v2, v5, v9, s1
	v_perm_b32 v3, v13, v17, s1
	v_add_u32_e32 v0, 0x80, v0
	v_cmp_gt_i32_e32 vcc, s43, v6
	v_mov_b32_e32 v7, 0
	v_mov_b32_e32 v11, 0
	ds_write2st64_b32 v0, v2, v3 offset0:3 offset1:35
	s_and_saveexec_b64 s[0:1], vcc
	s_cbranch_execz .LBB696_60
; %bb.59:
	v_add_u32_e32 v0, s34, v6
	v_ashrrev_i32_e32 v2, 31, v0
	v_mul_lo_u32 v4, v2, s28
	v_mul_lo_u32 v5, v0, s29
	v_mad_u64_u32 v[2:3], s[2:3], v0, s28, 0
	v_add3_u32 v3, v3, v5, v4
	v_lshl_add_u64 v[2:3], v[2:3], 2, s[10:11]
	global_load_dword v0, v[2:3], off
	s_waitcnt vmcnt(0)
	v_sub_f32_e32 v0, s12, v0
	v_exp_f32_e32 v11, v0
.LBB696_60:
	s_or_b64 exec, exec, s[0:1]
	v_or_b32_e32 v9, 1, v6
	v_cmp_gt_i32_e64 s[0:1], s43, v9
	s_and_saveexec_b64 s[2:3], s[0:1]
	s_cbranch_execz .LBB696_62
; %bb.61:
	v_add_u32_e32 v0, s34, v9
	v_ashrrev_i32_e32 v2, 31, v0
	v_mul_lo_u32 v4, v2, s28
	v_mul_lo_u32 v5, v0, s29
	v_mad_u64_u32 v[2:3], s[4:5], v0, s28, 0
	v_add3_u32 v3, v3, v5, v4
	v_lshl_add_u64 v[2:3], v[2:3], 2, s[10:11]
	global_load_dword v0, v[2:3], off
	s_waitcnt vmcnt(0)
	v_sub_f32_e32 v0, s12, v0
	v_exp_f32_e32 v7, v0
.LBB696_62:
	s_or_b64 exec, exec, s[2:3]
	v_or_b32_e32 v10, 2, v6
	v_cmp_gt_i32_e64 s[2:3], s43, v10
	v_mov_b32_e32 v8, 0
	v_mov_b32_e32 v13, 0
	s_and_saveexec_b64 s[4:5], s[2:3]
	s_cbranch_execz .LBB696_64
; %bb.63:
	v_add_u32_e32 v0, s34, v10
	v_ashrrev_i32_e32 v2, 31, v0
	v_mul_lo_u32 v4, v2, s28
	v_mul_lo_u32 v5, v0, s29
	v_mad_u64_u32 v[2:3], s[6:7], v0, s28, 0
	v_add3_u32 v3, v3, v5, v4
	v_lshl_add_u64 v[2:3], v[2:3], 2, s[10:11]
	global_load_dword v0, v[2:3], off
	s_waitcnt vmcnt(0)
	v_sub_f32_e32 v0, s12, v0
	v_exp_f32_e32 v13, v0
.LBB696_64:
	s_or_b64 exec, exec, s[4:5]
	v_or_b32_e32 v12, 3, v6
	v_cmp_gt_i32_e64 s[4:5], s43, v12
	s_and_saveexec_b64 s[6:7], s[4:5]
	s_cbranch_execz .LBB696_66
; %bb.65:
	v_add_u32_e32 v0, s34, v12
	v_ashrrev_i32_e32 v2, 31, v0
	v_mul_lo_u32 v4, v2, s28
	v_mul_lo_u32 v5, v0, s29
	v_mad_u64_u32 v[2:3], s[14:15], v0, s28, 0
	v_add3_u32 v3, v3, v5, v4
	v_lshl_add_u64 v[2:3], v[2:3], 2, s[10:11]
	global_load_dword v0, v[2:3], off
	s_waitcnt vmcnt(0)
	v_sub_f32_e32 v0, s12, v0
	v_exp_f32_e32 v8, v0
.LBB696_66:
	s_or_b64 exec, exec, s[6:7]
	s_waitcnt lgkmcnt(11)
	v_mfma_f32_16x16x16_bf16 a[0:3], v[30:31], v[22:23], a[0:3]
	v_or_b32_e32 v0, s30, v1
	s_add_u32 s6, s8, s24
	s_addc_u32 s7, s9, s25
	s_waitcnt lgkmcnt(10)
	v_mfma_f32_16x16x16_bf16 a[0:3], v[32:33], v[24:25], a[0:3]
	v_ashrrev_i32_e32 v1, 31, v0
	v_lshl_add_u64 v[4:5], v[0:1], 1, s[6:7]
	v_mov_b32_e32 v14, 0
	s_waitcnt lgkmcnt(9)
	v_mfma_f32_16x16x16_bf16 a[0:3], v[28:29], v[18:19], a[0:3]
	v_mov_b32_e32 v15, 0
	s_waitcnt lgkmcnt(8)
	v_mfma_f32_16x16x16_bf16 a[0:3], v[26:27], v[20:21], a[0:3]
	s_nop 6
	v_accvgpr_read_b32 v0, a0
	v_accvgpr_read_b32 v1, a1
	v_accvgpr_read_b32 v2, a2
	v_accvgpr_read_b32 v3, a3
	s_and_saveexec_b64 s[6:7], vcc
	s_cbranch_execz .LBB696_68
; %bb.67:
	v_lshlrev_b32_e32 v16, 8, v6
	v_mov_b32_e32 v17, 0
	v_lshl_add_u64 v[16:17], v[4:5], 0, v[16:17]
	global_load_ushort v15, v[16:17], off
	s_waitcnt vmcnt(0)
	v_lshlrev_b32_e32 v15, 16, v15
	v_sub_f32_e32 v0, v15, v0
	v_mul_f32_e32 v0, v11, v0
	v_lshrrev_b32_e32 v15, 16, v0
.LBB696_68:
	s_or_b64 exec, exec, s[6:7]
	s_and_saveexec_b64 s[6:7], s[0:1]
	s_cbranch_execz .LBB696_70
; %bb.69:
	v_lshlrev_b32_e32 v16, 8, v9
	v_mov_b32_e32 v17, 0
	v_lshl_add_u64 v[16:17], v[4:5], 0, v[16:17]
	global_load_ushort v0, v[16:17], off
	s_waitcnt vmcnt(0)
	v_lshlrev_b32_e32 v0, 16, v0
	v_sub_f32_e32 v0, v0, v1
	v_mul_f32_e32 v0, v7, v0
	v_lshrrev_b32_e32 v14, 16, v0
.LBB696_70:
	s_or_b64 exec, exec, s[6:7]
	v_mov_b32_e32 v0, 0
	v_mov_b32_e32 v1, 0
	s_and_saveexec_b64 s[0:1], s[2:3]
	s_cbranch_execz .LBB696_72
; %bb.71:
	v_lshlrev_b32_e32 v10, 8, v10
	v_mov_b32_e32 v11, 0
	v_lshl_add_u64 v[10:11], v[4:5], 0, v[10:11]
	global_load_ushort v1, v[10:11], off
	s_waitcnt vmcnt(0)
	v_lshlrev_b32_e32 v1, 16, v1
	v_sub_f32_e32 v1, v1, v2
	v_mul_f32_e32 v1, v13, v1
	v_lshrrev_b32_e32 v1, 16, v1
.LBB696_72:
	s_or_b64 exec, exec, s[0:1]
	s_and_saveexec_b64 s[0:1], s[4:5]
	s_cbranch_execz .LBB696_74
; %bb.73:
	v_lshlrev_b32_e32 v10, 8, v12
	v_mov_b32_e32 v11, 0
	v_lshl_add_u64 v[4:5], v[4:5], 0, v[10:11]
	global_load_ushort v0, v[4:5], off
	s_waitcnt vmcnt(0)
	v_lshlrev_b32_e32 v0, 16, v0
	v_sub_f32_e32 v0, v0, v3
	v_mul_f32_e32 v0, v8, v0
	v_lshrrev_b32_e32 v0, 16, v0
.LBB696_74:
	s_or_b64 exec, exec, s[0:1]
	s_mov_b32 s0, 0x5040100
	v_lshlrev_b32_e32 v2, 1, v34
	v_perm_b32 v1, v0, v1, s0
	v_perm_b32 v0, v14, v15, s0
	v_lshl_or_b32 v2, v6, 5, v2
	ds_write_b64 v2, v[0:1] offset:38912
	s_waitcnt lgkmcnt(0)
	s_barrier
.LBB696_75:
	s_endpgm
	.section	.rodata,"a",@progbits
	.p2align	6, 0x0
	.amdhsa_kernel _ZN12_GLOBAL__N_139chunk_gated_delta_rule_fwd_h_hip_kernelILi16ELb0ELb0ELb0ELb1ELb1ELb0ELb0ELb0EEEvPK12hip_bfloat16S3_S3_PKfS5_PKvPS1_S8_PvPKiSB_iiiiilll
		.amdhsa_group_segment_fixed_size 40960
		.amdhsa_private_segment_fixed_size 0
		.amdhsa_kernarg_size 136
		.amdhsa_user_sgpr_count 2
		.amdhsa_user_sgpr_dispatch_ptr 0
		.amdhsa_user_sgpr_queue_ptr 0
		.amdhsa_user_sgpr_kernarg_segment_ptr 1
		.amdhsa_user_sgpr_dispatch_id 0
		.amdhsa_user_sgpr_kernarg_preload_length 0
		.amdhsa_user_sgpr_kernarg_preload_offset 0
		.amdhsa_user_sgpr_private_segment_size 0
		.amdhsa_uses_dynamic_stack 0
		.amdhsa_enable_private_segment 0
		.amdhsa_system_sgpr_workgroup_id_x 1
		.amdhsa_system_sgpr_workgroup_id_y 1
		.amdhsa_system_sgpr_workgroup_id_z 0
		.amdhsa_system_sgpr_workgroup_info 0
		.amdhsa_system_vgpr_workitem_id 0
		.amdhsa_next_free_vgpr 116
		.amdhsa_next_free_sgpr 58
		.amdhsa_accum_offset 108
		.amdhsa_reserve_vcc 1
		.amdhsa_float_round_mode_32 0
		.amdhsa_float_round_mode_16_64 0
		.amdhsa_float_denorm_mode_32 3
		.amdhsa_float_denorm_mode_16_64 3
		.amdhsa_dx10_clamp 1
		.amdhsa_ieee_mode 1
		.amdhsa_fp16_overflow 0
		.amdhsa_tg_split 0
		.amdhsa_exception_fp_ieee_invalid_op 0
		.amdhsa_exception_fp_denorm_src 0
		.amdhsa_exception_fp_ieee_div_zero 0
		.amdhsa_exception_fp_ieee_overflow 0
		.amdhsa_exception_fp_ieee_underflow 0
		.amdhsa_exception_fp_ieee_inexact 0
		.amdhsa_exception_int_div_zero 0
	.end_amdhsa_kernel
	.section	.text._ZN12_GLOBAL__N_139chunk_gated_delta_rule_fwd_h_hip_kernelILi16ELb0ELb0ELb0ELb1ELb1ELb0ELb0ELb0EEEvPK12hip_bfloat16S3_S3_PKfS5_PKvPS1_S8_PvPKiSB_iiiiilll,"axG",@progbits,_ZN12_GLOBAL__N_139chunk_gated_delta_rule_fwd_h_hip_kernelILi16ELb0ELb0ELb0ELb1ELb1ELb0ELb0ELb0EEEvPK12hip_bfloat16S3_S3_PKfS5_PKvPS1_S8_PvPKiSB_iiiiilll,comdat
.Lfunc_end696:
	.size	_ZN12_GLOBAL__N_139chunk_gated_delta_rule_fwd_h_hip_kernelILi16ELb0ELb0ELb0ELb1ELb1ELb0ELb0ELb0EEEvPK12hip_bfloat16S3_S3_PKfS5_PKvPS1_S8_PvPKiSB_iiiiilll, .Lfunc_end696-_ZN12_GLOBAL__N_139chunk_gated_delta_rule_fwd_h_hip_kernelILi16ELb0ELb0ELb0ELb1ELb1ELb0ELb0ELb0EEEvPK12hip_bfloat16S3_S3_PKfS5_PKvPS1_S8_PvPKiSB_iiiiilll
                                        ; -- End function
	.section	.AMDGPU.csdata,"",@progbits
; Kernel info:
; codeLenInByte = 7008
; NumSgprs: 64
; NumVgprs: 106
; NumAgprs: 8
; TotalNumVgprs: 116
; ScratchSize: 0
; MemoryBound: 0
; FloatMode: 240
; IeeeMode: 1
; LDSByteSize: 40960 bytes/workgroup (compile time only)
; SGPRBlocks: 7
; VGPRBlocks: 14
; NumSGPRsForWavesPerEU: 64
; NumVGPRsForWavesPerEU: 116
; AccumOffset: 108
; Occupancy: 1
; WaveLimiterHint : 1
; COMPUTE_PGM_RSRC2:SCRATCH_EN: 0
; COMPUTE_PGM_RSRC2:USER_SGPR: 2
; COMPUTE_PGM_RSRC2:TRAP_HANDLER: 0
; COMPUTE_PGM_RSRC2:TGID_X_EN: 1
; COMPUTE_PGM_RSRC2:TGID_Y_EN: 1
; COMPUTE_PGM_RSRC2:TGID_Z_EN: 0
; COMPUTE_PGM_RSRC2:TIDIG_COMP_CNT: 0
; COMPUTE_PGM_RSRC3_GFX90A:ACCUM_OFFSET: 26
; COMPUTE_PGM_RSRC3_GFX90A:TG_SPLIT: 0
	.section	.text._ZN12_GLOBAL__N_139chunk_gated_delta_rule_fwd_h_hip_kernelILi16ELb1ELb1ELb1ELb0ELb1ELb0ELb0ELb0EEEvPK12hip_bfloat16S3_S3_PKfS5_PKvPS1_S8_PvPKiSB_iiiiilll,"axG",@progbits,_ZN12_GLOBAL__N_139chunk_gated_delta_rule_fwd_h_hip_kernelILi16ELb1ELb1ELb1ELb0ELb1ELb0ELb0ELb0EEEvPK12hip_bfloat16S3_S3_PKfS5_PKvPS1_S8_PvPKiSB_iiiiilll,comdat
	.globl	_ZN12_GLOBAL__N_139chunk_gated_delta_rule_fwd_h_hip_kernelILi16ELb1ELb1ELb1ELb0ELb1ELb0ELb0ELb0EEEvPK12hip_bfloat16S3_S3_PKfS5_PKvPS1_S8_PvPKiSB_iiiiilll ; -- Begin function _ZN12_GLOBAL__N_139chunk_gated_delta_rule_fwd_h_hip_kernelILi16ELb1ELb1ELb1ELb0ELb1ELb0ELb0ELb0EEEvPK12hip_bfloat16S3_S3_PKfS5_PKvPS1_S8_PvPKiSB_iiiiilll
	.p2align	8
	.type	_ZN12_GLOBAL__N_139chunk_gated_delta_rule_fwd_h_hip_kernelILi16ELb1ELb1ELb1ELb0ELb1ELb0ELb0ELb0EEEvPK12hip_bfloat16S3_S3_PKfS5_PKvPS1_S8_PvPKiSB_iiiiilll,@function
_ZN12_GLOBAL__N_139chunk_gated_delta_rule_fwd_h_hip_kernelILi16ELb1ELb1ELb1ELb0ELb1ELb0ELb0ELb0EEEvPK12hip_bfloat16S3_S3_PKfS5_PKvPS1_S8_PvPKiSB_iiiiilll: ; @_ZN12_GLOBAL__N_139chunk_gated_delta_rule_fwd_h_hip_kernelILi16ELb1ELb1ELb1ELb0ELb1ELb0ELb0ELb0EEEvPK12hip_bfloat16S3_S3_PKfS5_PKvPS1_S8_PvPKiSB_iiiiilll
; %bb.0:
	s_load_dwordx4 s[20:23], s[0:1], 0x5c
	s_load_dwordx4 s[24:27], s[0:1], 0x70
	s_abs_i32 s6, s3
	s_ashr_i32 s5, s3, 31
	v_and_b32_e32 v56, 15, v0
	s_waitcnt lgkmcnt(0)
	s_abs_i32 s4, s21
	v_cvt_f32_u32_e32 v1, s4
	s_sub_i32 s8, 0, s4
	s_ashr_i32 s7, s21, 31
	s_xor_b32 s5, s5, s7
	v_rcp_iflag_f32_e32 v1, v1
	v_bfe_u32 v55, v0, 4, 2
	v_mov_b32_e32 v45, 0
	v_lshlrev_b32_e32 v57, 3, v0
	v_mul_f32_e32 v1, 0x4f7ffffe, v1
	v_cvt_u32_f32_e32 v1, v1
	s_nop 0
	v_readfirstlane_b32 s9, v1
	s_mul_i32 s8, s8, s9
	s_mul_hi_u32 s8, s9, s8
	s_add_i32 s9, s9, s8
	s_mul_hi_u32 s8, s6, s9
	s_mul_i32 s9, s8, s4
	s_sub_i32 s6, s6, s9
	s_add_i32 s10, s8, 1
	s_sub_i32 s9, s6, s4
	s_cmp_ge_u32 s6, s4
	s_cselect_b32 s8, s10, s8
	s_cselect_b32 s6, s9, s6
	s_add_i32 s9, s8, 1
	s_cmp_ge_u32 s6, s4
	s_cselect_b32 s6, s9, s8
	s_xor_b32 s6, s6, s5
	s_add_i32 s8, s20, 63
	s_sub_i32 s55, s6, s5
	s_ashr_i32 s9, s8, 31
	s_mul_i32 s12, s55, s21
	s_sub_i32 s53, s3, s12
	s_lshr_b32 s3, s9, 26
	s_add_i32 s8, s8, s3
	s_abs_i32 s3, s22
	v_cvt_f32_u32_e32 v1, s3
	s_ashr_i32 s54, s20, 31
	s_lshr_b32 s5, s54, 26
	s_add_i32 s5, s20, s5
	v_rcp_iflag_f32_e32 v1, v1
	s_ashr_i32 s58, s22, 31
	s_ashr_i32 s56, s5, 6
	s_xor_b32 s5, s7, s58
	v_mul_f32_e32 v1, 0x4f7ffffe, v1
	v_cvt_u32_f32_e32 v1, v1
	s_sub_i32 s6, 0, s3
	s_ashr_i32 s28, s8, 6
	s_lshl_b32 s2, s2, 4
	v_readfirstlane_b32 s7, v1
	s_mul_i32 s6, s6, s7
	s_mul_hi_u32 s6, s7, s6
	s_add_i32 s7, s7, s6
	s_mul_hi_u32 s6, s4, s7
	s_mul_i32 s7, s6, s3
	s_sub_i32 s4, s4, s7
	s_add_i32 s7, s6, 1
	s_sub_i32 s8, s4, s3
	s_cmp_ge_u32 s4, s3
	s_cselect_b32 s6, s7, s6
	s_cselect_b32 s4, s8, s4
	s_add_i32 s7, s6, 1
	s_cmp_ge_u32 s4, s3
	s_cselect_b32 s3, s7, s6
	s_xor_b32 s3, s3, s5
	s_sub_i32 s3, s3, s5
	s_abs_i32 s13, s3
	v_cvt_f32_u32_e32 v1, s13
	s_sub_i32 s15, 0, s13
	s_abs_i32 s14, s53
	s_xor_b32 s3, s53, s3
	v_rcp_iflag_f32_e32 v2, v1
	s_ashr_i32 s3, s3, 31
	s_load_dwordx8 s[4:11], s[0:1], 0x28
	v_lshrrev_b32_e32 v1, 6, v0
	v_mul_f32_e32 v2, 0x4f7ffffe, v2
	v_cvt_u32_f32_e32 v2, v2
	v_or_b32_e32 v46, s2, v56
	v_lshlrev_b32_e32 v54, 4, v1
	v_lshlrev_b32_e32 v42, 7, v46
	v_readfirstlane_b32 s16, v2
	s_mul_i32 s15, s15, s16
	s_mul_hi_u32 s15, s16, s15
	s_add_i32 s16, s16, s15
	s_mul_hi_u32 s15, s14, s16
	s_mul_i32 s16, s15, s13
	s_sub_i32 s14, s14, s16
	s_add_i32 s16, s15, 1
	s_sub_i32 s17, s14, s13
	s_cmp_ge_u32 s14, s13
	s_cselect_b32 s15, s16, s15
	s_cselect_b32 s14, s17, s14
	s_add_i32 s16, s15, 1
	s_cmp_ge_u32 s14, s13
	s_cselect_b32 s13, s16, s15
	s_xor_b32 s13, s13, s3
	s_sub_i32 s59, s13, s3
	s_ashr_i32 s3, s55, 31
	s_ashr_i32 s57, s53, 31
	s_mul_hi_i32 s13, s55, s21
	s_add_u32 s42, s12, s53
	s_addc_u32 s43, s13, s57
	s_lshl_b64 s[34:35], s[42:43], 16
	s_waitcnt lgkmcnt(0)
	s_add_u32 s4, s4, s34
	v_lshl_or_b32 v59, v55, 2, v54
	s_addc_u32 s5, s5, s35
	v_ashrrev_i32_e32 v43, 31, v42
	v_lshl_add_u64 v[2:3], v[42:43], 2, s[4:5]
	v_lshlrev_b32_e32 v44, 2, v59
	v_lshl_add_u64 v[10:11], v[2:3], 0, v[44:45]
	global_load_dwordx4 v[2:5], v[10:11], off
	global_load_dwordx4 v[6:9], v[10:11], off offset:256
	s_load_dwordx8 s[12:19], s[0:1], 0x0
	s_load_dwordx2 s[36:37], s[0:1], 0x80
	v_and_b32_e32 v45, 63, v0
	v_lshrrev_b32_e32 v58, 3, v45
	v_or_b32_e32 v60, 64, v59
	s_mul_i32 s33, s55, s25
	s_mul_hi_u32 s48, s55, s24
	s_mul_i32 s40, s55, s24
	s_mul_i32 s60, s55, s28
	;; [unrolled: 1-line block ×3, first 2 shown]
	s_mul_hi_u32 s50, s53, s26
	s_mul_i32 s52, s3, s24
	s_mul_i32 s51, s57, s26
	s_mul_hi_u32 s61, s42, s20
	s_mul_i32 s4, s42, s20
	s_mul_i32 s43, s43, s20
	s_cmp_lt_i32 s20, 64
	s_mul_i32 s38, s53, s26
	s_waitcnt vmcnt(1)
	v_mov_b32_e32 v65, v5
	s_waitcnt vmcnt(0)
	v_mov_b32_e32 v62, v9
	s_cbranch_scc1 .LBB697_3
; %bb.1:
	s_add_i32 s5, s61, s43
	s_lshl_b64 s[0:1], s[4:5], 8
	v_and_b32_e32 v63, 56, v57
	s_waitcnt lgkmcnt(0)
	s_add_u32 s24, s14, s0
	v_lshl_or_b32 v61, v1, 3, v58
	v_lshlrev_b32_e32 v5, 1, v63
	s_addc_u32 s0, s15, s1
	v_lshl_or_b32 v64, v61, 8, v5
	s_and_b32 s25, s0, 0xffff
	s_mov_b32 s27, 0x20000
	s_movk_i32 s26, 0x4000
	s_movk_i32 s0, 0x80
	v_or_b32_e32 v66, 0x2000, v64
	buffer_load_dwordx4 v[10:13], v64, s[24:27], 0 offen
	buffer_load_dwordx4 v[14:17], v64, s[24:27], s0 offen
	buffer_load_dwordx4 v[18:21], v66, s[24:27], 0 offen
	buffer_load_dwordx4 v[22:25], v66, s[24:27], s0 offen
	v_lshlrev_b32_e32 v9, 3, v61
	v_and_or_b32 v27, v0, 7, v9
	v_and_b32_e32 v9, 0x78, v9
	v_lshlrev_b32_e32 v27, 4, v27
	v_xor_b32_e32 v67, v27, v9
	v_mul_lo_u32 v26, v61, s23
	v_or_b32_e32 v68, 0x1000, v67
	v_xor_b32_e32 v9, 8, v67
	s_cmpk_eq_i32 s23, 0x80
	s_mov_b32 s62, s22
	v_xor_b32_e32 v27, 8, v68
	s_cselect_b64 s[0:1], -1, 0
	s_cmpk_lg_i32 s23, 0x80
	s_waitcnt vmcnt(3)
	ds_write_b64 v67, v[10:11] offset:16384
	ds_write_b64 v9, v[12:13] offset:16384
	s_waitcnt vmcnt(2)
	ds_write_b64 v67, v[14:15] offset:24576
	ds_write_b64 v9, v[16:17] offset:24576
	;; [unrolled: 3-line block ×4, first 2 shown]
	v_lshl_add_u32 v9, v26, 1, v63
	s_cbranch_scc0 .LBB697_29
; %bb.2:
	v_lshlrev_b32_e32 v11, 1, v9
	v_add_lshl_u32 v10, v9, s23, 1
	s_lshl_b32 s26, s23, 7
	v_lshl_or_b32 v5, v61, 9, v5
	s_cbranch_execz .LBB697_30
	s_branch .LBB697_31
.LBB697_3:
	v_mov_b32_e32 v9, v62
	v_mov_b32_e32 v5, v65
.LBB697_4:
	s_lshl_b32 s30, s56, 6
	s_sub_i32 s31, s20, s30
	s_cmp_gt_i32 s31, 0
	s_cbranch_scc0 .LBB697_76
; %bb.5:
	s_ashr_i32 s3, s30, 31
	s_cmpk_lg_i32 s23, 0x80
	s_cselect_b64 s[26:27], -1, 0
	s_and_b64 vcc, exec, s[26:27]
	s_cbranch_vccz .LBB697_7
; %bb.6:
	s_mul_i32 s1, s55, s20
	s_mul_hi_i32 s0, s55, s20
	s_add_u32 s1, s1, s30
	s_addc_u32 s0, s0, s3
	s_mul_i32 s5, s1, s58
	s_mul_hi_u32 s24, s1, s22
	s_add_i32 s5, s24, s5
	s_mul_i32 s0, s0, s22
	s_add_i32 s5, s5, s0
	s_mul_i32 s1, s1, s22
	s_ashr_i32 s0, s59, 31
	s_add_u32 s28, s1, s59
	s_addc_u32 s29, s5, s0
	s_cbranch_execz .LBB697_8
	s_branch .LBB697_9
.LBB697_7:
                                        ; implicit-def: $sgpr28_sgpr29
.LBB697_8:
	s_mul_hi_i32 s0, s55, s22
	s_mul_i32 s55, s55, s22
	s_ashr_i32 s1, s59, 31
	s_add_u32 s5, s55, s59
	s_addc_u32 s0, s0, s1
	s_mul_i32 s1, s5, s54
	s_mul_hi_u32 s22, s5, s20
	s_add_i32 s1, s22, s1
	s_mul_i32 s0, s0, s20
	s_add_i32 s1, s1, s0
	s_mul_i32 s5, s5, s20
	s_add_u32 s28, s5, s30
	s_addc_u32 s29, s1, s3
.LBB697_9:
	s_mul_i32 s0, s42, s54
	s_add_i32 s0, s61, s0
	s_add_i32 s5, s60, s56
	;; [unrolled: 1-line block ×3, first 2 shown]
	s_add_u32 s0, s4, s30
	s_addc_u32 s1, s1, s3
	s_mov_b32 s3, 0x7060302
	v_lshlrev_b32_e32 v14, 3, v56
	s_lshl_b64 s[24:25], s[0:1], 8
	v_perm_b32 v11, v5, v4, s3
	v_perm_b32 v10, v3, v2, s3
	;; [unrolled: 1-line block ×4, first 2 shown]
	v_lshlrev_b32_e32 v48, 2, v56
	v_lshl_or_b32 v14, v59, 5, v14
	s_waitcnt lgkmcnt(0)
	s_add_u32 s0, s14, s24
	ds_write2st64_b64 v14, v[10:11], v[12:13] offset0:72 offset1:76
	v_xor_b32_e32 v14, v59, v48
	v_lshlrev_b32_e32 v15, 8, v56
	s_addc_u32 s1, s15, s25
	v_lshl_or_b32 v14, v14, 1, v15
	s_mul_hi_i32 s3, s5, s21
	s_mul_i32 s5, s5, s21
	ds_write_b64 v14, v[10:11] offset:32768
	v_xor_b32_e32 v10, v60, v48
	s_add_u32 s4, s5, s53
	v_lshl_or_b32 v10, v10, 1, v15
	s_addc_u32 s5, s3, s57
	v_lshlrev_b32_e32 v11, 1, v56
	ds_write_b64 v10, v[12:13] offset:32768
	v_lshrrev_b32_e32 v10, 4, v0
	s_ashr_i32 s3, s2, 31
	s_lshl_b64 s[4:5], s[4:5], 15
	v_or_b32_e32 v12, 1, v11
	s_add_u32 s4, s6, s4
	v_xor_b32_e32 v11, v10, v11
	v_xor_b32_e32 v12, v12, v10
	v_lshlrev_b32_e32 v14, 8, v10
	s_addc_u32 s5, s7, s5
	s_lshl_b64 s[2:3], s[2:3], 8
	v_lshl_or_b32 v10, v11, 3, v14
	v_lshl_or_b32 v12, v12, 3, v14
	s_waitcnt lgkmcnt(0)
	s_barrier
	s_add_u32 s2, s4, s2
	ds_read_b64 v[10:11], v10 offset:32768
	ds_read_b64 v[12:13], v12 offset:32768
	s_addc_u32 s3, s5, s3
	v_mov_b32_e32 v15, 0
	s_cmp_lg_u32 s31, 64
	v_lshl_add_u64 v[16:17], s[2:3], 0, v[14:15]
	v_lshlrev_b32_e32 v14, 4, v56
	s_cselect_b64 s[14:15], -1, 0
	v_lshl_or_b32 v47, v1, 3, v58
	s_mov_b32 s4, 0
	v_lshl_add_u64 v[14:15], v[16:17], 0, v[14:15]
	s_waitcnt vmcnt(1)
	v_or_b32_e32 v27, 32, v47
	v_and_b32_e32 v26, 56, v57
	s_and_b64 vcc, exec, s[14:15]
	s_waitcnt lgkmcnt(0)
	global_store_dwordx4 v[14:15], v[10:13], off
	s_cbranch_vccz .LBB697_15
; %bb.10:
	s_mov_b32 s6, s4
	s_mov_b32 s7, s4
	s_mov_b32 s5, s4
	v_mov_b64_e32 v[16:17], s[6:7]
	v_mov_b64_e32 v[14:15], s[4:5]
	;; [unrolled: 1-line block ×3, first 2 shown]
	v_cmp_gt_i32_e32 vcc, s31, v47
	v_mov_b64_e32 v[12:13], v[16:17]
	s_and_saveexec_b64 s[2:3], vcc
	s_cbranch_execz .LBB697_12
; %bb.11:
	v_lshlrev_b32_e32 v10, 8, v47
	v_mov_b32_e32 v11, 0
	v_lshl_add_u64 v[12:13], s[0:1], 0, v[10:11]
	v_lshlrev_b32_e32 v10, 1, v26
	v_lshl_add_u64 v[18:19], v[12:13], 0, v[10:11]
	global_load_dwordx4 v[14:17], v[18:19], off
	global_load_dwordx4 v[10:13], v[18:19], off offset:128
.LBB697_12:
	s_or_b64 exec, exec, s[2:3]
	s_mov_b32 s6, s4
	s_mov_b32 s7, s4
	;; [unrolled: 1-line block ×3, first 2 shown]
	v_mov_b64_e32 v[24:25], s[6:7]
	v_mov_b64_e32 v[22:23], s[4:5]
	;; [unrolled: 1-line block ×3, first 2 shown]
	v_cmp_gt_i32_e32 vcc, s31, v27
	v_lshlrev_b32_e32 v28, 7, v27
	v_mov_b64_e32 v[20:21], v[24:25]
	s_and_saveexec_b64 s[2:3], vcc
	s_cbranch_execz .LBB697_14
; %bb.13:
	v_lshlrev_b32_e32 v18, 1, v28
	v_mov_b32_e32 v19, 0
	v_lshl_add_u64 v[20:21], s[0:1], 0, v[18:19]
	v_lshlrev_b32_e32 v18, 1, v26
	v_lshl_add_u64 v[30:31], v[20:21], 0, v[18:19]
	global_load_dwordx4 v[22:25], v[30:31], off
	global_load_dwordx4 v[18:21], v[30:31], off offset:128
.LBB697_14:
	s_or_b64 exec, exec, s[2:3]
	v_lshrrev_b32_e32 v29, 3, v26
	v_lshlrev_b32_e32 v30, 3, v47
	v_or_b32_e32 v29, v30, v29
	v_lshlrev_b32_e32 v29, 4, v29
	v_and_b32_e32 v30, 0x78, v30
	v_xor_b32_e32 v29, v29, v30
	s_branch .LBB697_17
.LBB697_15:
                                        ; implicit-def: $vgpr29
                                        ; implicit-def: $vgpr28
                                        ; implicit-def: $vgpr14_vgpr15_vgpr16_vgpr17
                                        ; implicit-def: $vgpr10_vgpr11_vgpr12_vgpr13
                                        ; implicit-def: $vgpr22_vgpr23_vgpr24_vgpr25
                                        ; implicit-def: $vgpr18_vgpr19_vgpr20_vgpr21
	s_cbranch_execz .LBB697_17
; %bb.16:
	s_waitcnt vmcnt(0)
	v_lshlrev_b32_e32 v10, 1, v26
	v_lshl_or_b32 v28, v47, 8, v10
	s_and_b32 s1, s1, 0xffff
	s_mov_b32 s3, 0x20000
	s_movk_i32 s2, 0x4000
	v_lshl_or_b32 v29, v27, 8, v10
	s_movk_i32 s4, 0x80
	buffer_load_dwordx4 v[14:17], v28, s[0:3], 0 offen
	buffer_load_dwordx4 v[10:13], v28, s[0:3], s4 offen
	;; [unrolled: 1-line block ×4, first 2 shown]
	v_lshrrev_b32_e32 v28, 3, v26
	v_lshlrev_b32_e32 v29, 3, v47
	v_or_b32_e32 v28, v29, v28
	v_lshlrev_b32_e32 v28, 4, v28
	v_and_b32_e32 v29, 0x78, v29
	v_xor_b32_e32 v29, v28, v29
	v_lshlrev_b32_e32 v28, 7, v27
.LBB697_17:
	s_lshl_b64 s[0:1], s[28:29], 8
	s_add_u32 s4, s12, s0
	s_movk_i32 s0, 0x1000
	v_and_or_b32 v27, v28, s0, v29
	s_waitcnt vmcnt(1)
	ds_write_b64 v29, v[14:15] offset:16384
	v_xor_b32_e32 v14, 8, v29
	ds_write_b64 v14, v[16:17] offset:16384
	s_waitcnt vmcnt(0)
	ds_write_b64 v29, v[10:11] offset:24576
	ds_write_b64 v14, v[12:13] offset:24576
	;; [unrolled: 1-line block ×3, first 2 shown]
	v_xor_b32_e32 v10, 8, v27
	ds_write_b64 v10, v[24:25] offset:16384
	ds_write_b64 v27, v[18:19] offset:24576
	;; [unrolled: 1-line block ×3, first 2 shown]
	v_or_b32_e32 v10, v54, v56
	v_lshlrev_b32_e32 v10, 3, v10
	v_lshrrev_b32_e32 v12, 5, v45
	s_movk_i32 s6, 0xf8
	v_and_or_b32 v12, v10, s6, v12
	v_lshlrev_b32_e32 v49, 11, v1
	v_lshlrev_b32_e32 v20, 4, v12
	v_and_b32_e32 v21, 0x78, v10
	v_and_b32_e32 v22, 0x1000, v49
	v_lshlrev_b32_e32 v11, 2, v0
	v_xor_b32_e32 v10, v20, v21
	v_lshrrev_b32_e32 v12, 1, v45
	v_and_b32_e32 v11, 60, v11
	v_or_b32_e32 v10, v10, v22
	v_and_b32_e32 v23, 8, v12
	v_xor_b32_e32 v34, v10, v23
	v_lshl_or_b32 v10, v55, 6, v11
	v_lshlrev_b32_e32 v50, 1, v10
	v_or_b32_e32 v10, 32, v20
	v_xor_b32_e32 v10, v10, v21
	s_waitcnt lgkmcnt(0)
	s_barrier
	ds_read_b64 v[18:19], v34 offset:16384
	v_or_b32_e32 v10, v10, v22
	v_xor_b32_e32 v35, v10, v23
	v_or_b32_e32 v10, 64, v20
	v_xor_b32_e32 v10, v10, v21
	v_or_b32_e32 v10, v10, v22
	v_or_b32_e32 v20, 0x60, v20
	v_xor_b32_e32 v36, v10, v23
	ds_read2st64_b64 v[10:13], v50 offset0:72 offset1:73
	ds_read2st64_b64 v[14:17], v50 offset0:74 offset1:75
	v_xor_b32_e32 v24, v20, v21
	ds_read_b64 v[20:21], v35 offset:16384
	s_addc_u32 s5, s13, s1
	s_add_i32 s1, s48, s33
	s_waitcnt lgkmcnt(2)
	v_mfma_f32_16x16x16_bf16 a[0:3], v[18:19], v[10:11], 0
	s_add_i32 s0, s20, -1
	s_add_i32 s41, s1, s52
	s_add_i32 s1, s50, s49
	;; [unrolled: 1-line block ×3, first 2 shown]
	s_ashr_i32 s1, s0, 31
	s_mul_i32 s2, s0, s37
	s_mul_hi_u32 s3, s0, s36
	s_add_i32 s2, s3, s2
	s_mul_i32 s1, s1, s36
	v_or_b32_e32 v22, v24, v22
	s_add_i32 s1, s2, s1
	s_lshl_b64 s[2:3], s[40:41], 2
	v_xor_b32_e32 v51, v22, v23
	ds_read_b64 v[22:23], v36 offset:16384
	ds_read_b64 v[24:25], v51 offset:16384
	s_waitcnt lgkmcnt(2)
	v_mfma_f32_16x16x16_bf16 a[0:3], v[20:21], v[12:13], a[0:3]
	s_add_u32 s6, s18, s2
	s_addc_u32 s7, s19, s3
	s_lshl_b64 s[2:3], s[38:39], 2
	s_mul_i32 s0, s0, s36
	s_add_u32 s12, s6, s2
	s_addc_u32 s13, s7, s3
	s_lshl_b64 s[0:1], s[0:1], 2
	s_waitcnt lgkmcnt(1)
	v_mfma_f32_16x16x16_bf16 a[0:3], v[22:23], v[14:15], a[0:3]
	s_add_u32 s0, s12, s0
	s_addc_u32 s1, s13, s1
	s_load_dword s18, s[0:1], 0x0
	s_waitcnt lgkmcnt(0)
	v_mfma_f32_16x16x16_bf16 a[0:3], v[24:25], v[16:17], a[0:3]
	s_and_b64 vcc, exec, s[26:27]
	s_cbranch_vccz .LBB697_28
; %bb.18:
	v_lshlrev_b32_e32 v27, 1, v47
	s_and_b64 vcc, exec, s[14:15]
	s_cbranch_vccz .LBB697_44
; %bb.19:
	v_cmp_gt_i32_e32 vcc, s31, v27
	v_mov_b32_e32 v14, 0
	v_mov_b32_e32 v10, 0
	;; [unrolled: 1-line block ×5, first 2 shown]
	s_and_saveexec_b64 s[0:1], vcc
	s_cbranch_execz .LBB697_21
; %bb.20:
	v_mad_i64_i32 v[10:11], s[2:3], s23, v27, 0
	v_lshl_add_u64 v[10:11], v[10:11], 1, s[4:5]
	v_lshlrev_b32_e32 v12, 1, v26
	v_mov_b32_e32 v13, 0
	v_lshl_add_u64 v[10:11], v[10:11], 0, v[12:13]
	global_load_dwordx4 v[10:13], v[10:11], off
.LBB697_21:
	s_or_b64 exec, exec, s[0:1]
	v_or_b32_e32 v28, 1, v27
	v_cmp_gt_i32_e64 s[0:1], s31, v28
	v_mov_b32_e32 v15, 0
	v_mov_b32_e32 v16, 0
	;; [unrolled: 1-line block ×3, first 2 shown]
	s_and_saveexec_b64 s[2:3], s[0:1]
	s_cbranch_execz .LBB697_23
; %bb.22:
	v_mad_i64_i32 v[14:15], s[6:7], s23, v28, 0
	v_lshl_add_u64 v[14:15], v[14:15], 1, s[4:5]
	v_lshlrev_b32_e32 v16, 1, v26
	v_mov_b32_e32 v17, 0
	v_lshl_add_u64 v[14:15], v[14:15], 0, v[16:17]
	global_load_dwordx4 v[14:17], v[14:15], off
.LBB697_23:
	s_or_b64 exec, exec, s[2:3]
	v_mov_b32_e32 v25, 0
	v_mov_b32_e32 v18, 0
	;; [unrolled: 1-line block ×5, first 2 shown]
	s_and_saveexec_b64 s[2:3], vcc
	s_cbranch_execz .LBB697_25
; %bb.24:
	v_mad_i64_i32 v[18:19], s[6:7], s23, v27, 0
	v_lshl_add_u64 v[18:19], v[18:19], 1, s[4:5]
	v_lshlrev_b32_e32 v20, 1, v26
	v_mov_b32_e32 v21, 0
	v_lshl_add_u64 v[18:19], v[18:19], 0, v[20:21]
	global_load_dwordx4 v[18:21], v[18:19], off offset:128
.LBB697_25:
	s_or_b64 exec, exec, s[2:3]
	v_mov_b32_e32 v24, 0
	v_mov_b32_e32 v23, 0
	;; [unrolled: 1-line block ×3, first 2 shown]
	s_and_saveexec_b64 s[2:3], s[0:1]
	s_cbranch_execz .LBB697_27
; %bb.26:
	v_mad_i64_i32 v[22:23], s[0:1], s23, v28, 0
	v_lshl_add_u64 v[22:23], v[22:23], 1, s[4:5]
	v_lshlrev_b32_e32 v24, 1, v26
	v_mov_b32_e32 v25, 0
	v_lshl_add_u64 v[22:23], v[22:23], 0, v[24:25]
	global_load_dwordx4 v[22:25], v[22:23], off offset:128
.LBB697_27:
	s_or_b64 exec, exec, s[2:3]
	s_branch .LBB697_46
.LBB697_28:
                                        ; implicit-def: $vgpr13
                                        ; implicit-def: $vgpr17
                                        ; implicit-def: $vgpr21
                                        ; implicit-def: $vgpr25
	v_lshrrev_b32_e32 v45, 2, v45
	s_branch .LBB697_47
.LBB697_29:
                                        ; implicit-def: $vgpr10
                                        ; implicit-def: $vgpr11
                                        ; implicit-def: $sgpr26
	v_lshl_or_b32 v5, v61, 9, v5
.LBB697_30:
	v_or_b32_e32 v10, 0x100, v5
	s_movk_i32 s26, 0x4000
	v_mov_b32_e32 v11, v5
.LBB697_31:
	s_mul_hi_u32 s24, s22, s20
	s_mul_i32 s25, s58, s20
	s_add_i32 s24, s24, s25
	s_mul_i32 s25, s22, s20
	s_mul_i32 s27, s25, s3
	s_mul_hi_u32 s28, s25, s55
	s_add_i32 s27, s28, s27
	s_mul_i32 s24, s24, s55
	s_add_i32 s27, s27, s24
	s_mul_i32 s25, s25, s55
	s_ashr_i32 s63, s59, 31
	s_add_u32 s24, s25, s59
	s_addc_u32 s25, s27, s63
	s_lshl_b64 s[24:25], s[24:25], 8
	s_add_u32 s24, s12, s24
	s_addc_u32 s25, s13, s25
	s_and_b32 s25, s25, 0xffff
	s_mov_b32 s27, 0x20000
	s_movk_i32 s64, 0x80
	buffer_load_dwordx4 v[12:15], v11, s[24:27], 0 offen
	buffer_load_dwordx4 v[16:19], v11, s[24:27], s64 offen
	;; [unrolled: 1-line block ×4, first 2 shown]
	v_and_b32_e32 v10, 6, v0
	v_lshlrev_b32_e32 v28, 2, v56
	v_lshlrev_b32_e32 v29, 3, v56
	v_xor_b32_e32 v31, v61, v10
	v_and_b32_e32 v11, 1, v0
	s_mul_i32 s3, s3, s20
	s_mul_hi_u32 s24, s55, s20
	v_lshl_or_b32 v29, v59, 5, v29
	v_xor_b32_e32 v32, v59, v28
	v_lshlrev_b32_e32 v31, 2, v31
	v_or_b32_e32 v69, 0x9000, v29
	v_or_b32_e32 v70, 0x9800, v29
	v_lshlrev_b32_e32 v29, 1, v32
	v_xor_b32_e32 v32, 0x440, v31
	v_cmp_eq_u32_e32 vcc, 0, v11
	s_add_i32 s69, s24, s3
	s_add_i32 s3, s48, s33
	v_cndmask_b32_e32 v11, v32, v31, vcc
	s_add_i32 s24, s50, s49
	s_add_i32 s41, s3, s52
	s_mov_b32 s66, 0x1000504
	v_lshlrev_b32_e32 v30, 8, v56
	s_mov_b32 s26, 0x8000
	v_xor_b32_e32 v28, v60, v28
	v_lshl_or_b32 v10, v10, 10, v11
	s_add_i32 s39, s24, s51
	s_lshl_b64 s[24:25], s[40:41], 2
	s_mov_b32 s67, 0x3020706
	v_lshlrev_b32_e32 v28, 1, v28
	v_or3_b32 v71, v29, v30, s26
	v_xor_b32_e32 v11, 8, v10
	v_xor_b32_e32 v29, 24, v10
	;; [unrolled: 1-line block ×4, first 2 shown]
	s_add_u32 s3, s18, s24
	v_or3_b32 v72, v28, v30, s26
	v_xor_b32_e32 v28, 16, v10
	v_xor_b32_e32 v30, 32, v10
	;; [unrolled: 1-line block ×3, first 2 shown]
	v_add_u32_e32 v11, 0x80, v11
	v_add_u32_e32 v29, 0x80, v29
	;; [unrolled: 1-line block ×4, first 2 shown]
	s_addc_u32 s28, s19, s25
	s_lshl_b64 s[24:25], s[38:39], 2
	s_add_u32 s44, s3, s24
	s_movk_i32 s3, 0xf8
	s_addc_u32 s45, s28, s25
	v_ashrrev_i32_e32 v47, 31, v46
	s_lshl_b32 s30, s23, 7
	s_mov_b32 s65, 0
	s_mul_i32 s68, s55, s20
	s_mov_b32 s41, 0
	s_waitcnt vmcnt(1)
	v_perm_b32 v34, v12, v20, s66
	s_waitcnt vmcnt(0)
	v_perm_b32 v35, v16, v24, s66
	v_perm_b32 v12, v12, v20, s67
	;; [unrolled: 1-line block ×15, first 2 shown]
	ds_write2st64_b32 v10, v34, v35 offset1:32
	ds_write2st64_b32 v11, v12, v16 offset1:32
	ds_write2st64_b32 v28, v20, v24 offset0:1 offset1:33
	ds_write2st64_b32 v29, v13, v17 offset0:1 offset1:33
	;; [unrolled: 1-line block ×6, first 2 shown]
	v_or_b32_e32 v10, v54, v56
	v_lshlrev_b32_e32 v10, 3, v10
	v_lshrrev_b32_e32 v12, 5, v45
	v_and_or_b32 v12, v10, s3, v12
	v_lshlrev_b32_e32 v12, 4, v12
	v_lshlrev_b32_e32 v18, 11, v1
	v_and_b32_e32 v10, 0x78, v10
	v_or_b32_e32 v15, 32, v12
	v_and_b32_e32 v11, 0x1000, v18
	v_lshrrev_b32_e32 v19, 1, v0
	v_xor_b32_e32 v15, v15, v10
	v_and_b32_e32 v14, 8, v19
	v_or_b32_e32 v15, v15, v11
	v_xor_b32_e32 v13, v12, v10
	v_xor_b32_e32 v75, v15, v14
	v_or_b32_e32 v15, 64, v12
	v_or_b32_e32 v12, 0x60, v12
	v_xor_b32_e32 v15, v15, v10
	v_xor_b32_e32 v10, v12, v10
	v_or_b32_e32 v13, v13, v11
	v_or_b32_e32 v15, v15, v11
	;; [unrolled: 1-line block ×3, first 2 shown]
	v_xor_b32_e32 v73, v13, v14
	v_xor_b32_e32 v76, v15, v14
	;; [unrolled: 1-line block ×3, first 2 shown]
	v_lshrrev_b32_e32 v14, 4, v0
	v_lshlrev_b32_e32 v15, 1, v56
	s_ashr_i32 s3, s2, 31
	v_or_b32_e32 v16, 1, v15
	v_xor_b32_e32 v15, v14, v15
	s_lshl_b64 s[24:25], s[2:3], 8
	v_xor_b32_e32 v16, v16, v14
	v_lshlrev_b32_e32 v15, 3, v15
	v_lshlrev_b32_e32 v14, 8, v14
	v_lshlrev_b64 v[10:11], 1, v[46:47]
	s_add_u32 s24, s6, s24
	v_or3_b32 v47, v15, v14, s26
	v_lshlrev_b32_e32 v15, 3, v16
	s_addc_u32 s25, s7, s25
	v_or3_b32 v79, v15, v14, s26
	v_mov_b32_e32 v15, 0
	v_lshl_add_u64 v[16:17], s[24:25], 0, v[14:15]
	v_lshlrev_b32_e32 v14, 4, v56
	s_movk_i32 s3, 0xff
	v_lshlrev_b32_e32 v23, 3, v1
	v_and_b32_e32 v19, 24, v19
	v_lshl_add_u64 v[48:49], v[16:17], 0, v[14:15]
	v_and_b32_e32 v16, 8, v0
	v_cmp_lt_u32_e32 vcc, s3, v0
	v_xor_b32_e32 v24, v23, v19
	v_or_b32_e32 v25, 0x440, v24
	v_cndmask_b32_e64 v22, 0, 1, vcc
	v_cmp_eq_u32_e32 vcc, 0, v16
	v_and_b32_e32 v14, 7, v0
	v_lshlrev_b32_e32 v17, 3, v14
	v_cndmask_b32_e32 v16, v25, v24, vcc
	v_lshlrev_b32_e32 v14, 7, v14
	v_or_b32_e32 v16, v16, v18
	v_xad_u32 v80, v16, v17, v14
	v_or_b32_e32 v16, 32, v19
	v_xor_b32_e32 v16, v23, v16
	v_or_b32_e32 v24, 0x440, v16
	v_cndmask_b32_e32 v16, v24, v16, vcc
	v_or_b32_e32 v16, v16, v18
	v_xad_u32 v81, v16, v17, v14
	v_or_b32_e32 v16, 64, v19
	v_xor_b32_e32 v16, v23, v16
	v_xor_b32_e32 v24, 0x440, v16
	v_cndmask_b32_e32 v16, v24, v16, vcc
	v_or_b32_e32 v16, v16, v18
	v_xad_u32 v82, v16, v17, v14
	v_or_b32_e32 v16, 0x60, v19
	v_xor_b32_e32 v16, v23, v16
	v_xor_b32_e32 v19, 0x440, v16
	v_and_b32_e32 v13, 0x78, v57
	v_cndmask_b32_e32 v16, v19, v16, vcc
	v_lshl_or_b32 v13, v55, 7, v13
	v_or_b32_e32 v16, v16, v18
	v_or_b32_e32 v74, 0x9000, v13
	;; [unrolled: 1-line block ×3, first 2 shown]
	v_lshl_add_u64 v[12:13], s[16:17], 0, v[10:11]
	v_lshl_add_u64 v[10:11], s[8:9], 0, v[10:11]
	v_lshlrev_b32_e32 v20, 1, v9
	v_add_lshl_u32 v9, v9, s23, 1
	v_or_b32_e32 v21, 0x100, v5
	v_lshlrev_b32_e32 v22, 13, v22
	v_xad_u32 v83, v16, v17, v14
	v_lshlrev_b32_e32 v14, 8, v59
	v_cndmask_b32_e64 v84, v20, v5, s[0:1]
	v_cndmask_b32_e64 v85, v9, v21, s[0:1]
	v_lshl_add_u64 v[50:51], v[12:13], 0, v[14:15]
	v_lshl_add_u64 v[52:53], v[10:11], 0, v[14:15]
	s_mov_b32 s3, 0x7060302
	s_movk_i32 s26, 0x4000
	v_add_u32_e32 v86, v22, v80
	v_add_u32_e32 v87, v22, v81
	;; [unrolled: 1-line block ×4, first 2 shown]
	s_waitcnt lgkmcnt(0)
	s_barrier
.LBB697_32:                             ; =>This Inner Loop Header: Depth=1
	s_add_i32 s39, s41, 1
	s_cmp_lt_i32 s39, s56
	s_mov_b64 s[28:29], 0
	s_cselect_b64 s[46:47], -1, 0
	s_cmp_ge_i32 s39, s56
	s_mov_b64 s[24:25], 0
	s_cbranch_scc1 .LBB697_34
; %bb.33:                               ;   in Loop: Header=BB697_32 Depth=1
	s_add_i32 s0, s65, 64
	s_add_u32 s0, s4, s0
	s_addc_u32 s1, s5, 0
	s_lshl_b64 s[0:1], s[0:1], 8
	s_add_u32 s24, s14, s0
	s_addc_u32 s25, s15, s1
.LBB697_34:                             ;   in Loop: Header=BB697_32 Depth=1
	v_cndmask_b32_e64 v5, 0, 1, s[46:47]
	v_cmp_ne_u32_e64 s[0:1], 1, v5
	s_andn2_b64 vcc, exec, s[46:47]
	s_cbranch_vccnz .LBB697_36
; %bb.35:                               ;   in Loop: Header=BB697_32 Depth=1
	s_add_i32 s28, s65, 64
	s_add_u32 s28, s68, s28
	s_addc_u32 s29, s69, 0
	s_mul_i32 s31, s28, s58
	s_mul_hi_u32 s46, s28, s62
	s_add_i32 s31, s46, s31
	s_mul_i32 s29, s29, s62
	s_add_i32 s31, s31, s29
	s_mul_i32 s28, s28, s62
	s_add_u32 s28, s28, s59
	s_addc_u32 s29, s31, s63
	s_lshl_b64 s[28:29], s[28:29], 8
	s_add_u32 s28, s12, s28
	s_addc_u32 s29, s13, s29
.LBB697_36:                             ;   in Loop: Header=BB697_32 Depth=1
	v_perm_b32 v11, v65, v4, s3
	v_perm_b32 v10, v3, v2, s3
	;; [unrolled: 1-line block ×4, first 2 shown]
	ds_write_b64 v69, v[10:11]
	ds_write_b64 v70, v[12:13]
	;; [unrolled: 1-line block ×4, first 2 shown]
	s_waitcnt lgkmcnt(0)
	s_barrier
	ds_read_b64 v[18:19], v73 offset:16384
	ds_read_b64 v[20:21], v75 offset:16384
	ds_read2st64_b64 v[10:13], v74 offset1:1
	ds_read2st64_b64 v[14:17], v74 offset0:2 offset1:3
	ds_read_b64 v[22:23], v76 offset:16384
	s_waitcnt lgkmcnt(2)
	v_mfma_f32_16x16x16_bf16 a[0:3], v[18:19], v[10:11], 0
	ds_read_b64 v[10:11], v77 offset:16384
	s_add_i32 s31, s65, 63
	s_mul_i32 s46, s31, s37
	v_mfma_f32_16x16x16_bf16 a[0:3], v[20:21], v[12:13], a[0:3]
	s_mul_hi_u32 s47, s31, s36
	s_add_i32 s47, s47, s46
	s_mul_i32 s46, s31, s36
	s_waitcnt lgkmcnt(1)
	v_mfma_f32_16x16x16_bf16 a[0:3], v[22:23], v[14:15], a[0:3]
	s_lshl_b64 s[46:47], s[46:47], 2
	s_add_u32 s46, s44, s46
	s_addc_u32 s47, s45, s47
	s_waitcnt lgkmcnt(0)
	v_mfma_f32_16x16x16_bf16 a[0:3], v[10:11], v[16:17], a[0:3]
	s_and_b64 vcc, exec, s[0:1]
	v_mov_b32_e32 v90, 0
	v_mov_b32_e32 v9, 0
	v_mov_b32_e32 v5, 0
	v_mov_b32_e32 v10, 0
	v_mov_b32_e32 v11, 0
	v_mov_b32_e32 v12, 0
	v_mov_b32_e32 v13, 0
	v_mov_b32_e32 v14, 0
	v_mov_b32_e32 v15, 0
	v_mov_b32_e32 v16, 0
	v_mov_b32_e32 v17, 0
	v_mov_b32_e32 v18, 0
	v_mov_b32_e32 v19, 0
	v_mov_b32_e32 v20, 0
	v_mov_b32_e32 v21, 0
	v_mov_b32_e32 v22, 0
	v_mov_b32_e32 v23, 0
	v_mov_b32_e32 v24, 0
	v_mov_b32_e32 v25, 0
	s_cbranch_vccnz .LBB697_38
; %bb.37:                               ;   in Loop: Header=BB697_32 Depth=1
	s_and_b32 s25, s25, 0xffff
	buffer_load_dwordx4 v[22:25], v64, s[24:27], 0 offen
	buffer_load_dwordx4 v[18:21], v64, s[24:27], s64 offen
	;; [unrolled: 1-line block ×4, first 2 shown]
	v_mov_b32_e32 v9, v67
	v_mov_b32_e32 v5, v68
.LBB697_38:                             ;   in Loop: Header=BB697_32 Depth=1
	s_waitcnt vmcnt(3)
	v_add_u32_e32 v32, s65, v59
	s_waitcnt vmcnt(1)
	v_ashrrev_i32_e32 v26, 31, v32
	v_mul_lo_u32 v28, v26, s36
	v_mul_lo_u32 v29, v32, s37
	v_mad_u64_u32 v[26:27], s[24:25], v32, s36, 0
	v_add3_u32 v27, v27, v29, v28
	v_add_u32_e32 v28, 1, v32
	v_ashrrev_i32_e32 v29, 31, v28
	v_mul_lo_u32 v30, v29, s36
	v_mul_lo_u32 v31, v28, s37
	v_mad_u64_u32 v[28:29], s[24:25], v28, s36, 0
	v_add3_u32 v29, v29, v31, v30
	v_add_u32_e32 v30, 2, v32
	v_ashrrev_i32_e32 v31, 31, v30
	v_mul_lo_u32 v33, v31, s36
	v_mul_lo_u32 v34, v30, s37
	v_mad_u64_u32 v[30:31], s[24:25], v30, s36, 0
	s_add_u32 s24, s4, s65
	v_add3_u32 v31, v31, v34, v33
	v_add_u32_e32 v34, 3, v32
	s_addc_u32 s25, s5, 0
	v_ashrrev_i32_e32 v32, 31, v34
	s_lshl_b64 s[70:71], s[24:25], 8
	v_lshl_add_u64 v[26:27], v[26:27], 2, s[44:45]
	v_mul_lo_u32 v35, v32, s36
	v_lshl_add_u64 v[32:33], v[50:51], 0, s[70:71]
	v_mul_lo_u32 v36, v34, s37
	global_load_ushort v96, v[32:33], off
	global_load_ushort v97, v[32:33], off offset:256
	global_load_ushort v98, v[32:33], off offset:512
	global_load_ushort v99, v[32:33], off offset:768
	global_load_dword v100, v[26:27], off
	v_mad_u64_u32 v[26:27], s[24:25], v34, s36, 0
	v_lshl_add_u64 v[28:29], v[28:29], 2, s[44:45]
	v_add3_u32 v27, v27, v36, v35
	v_lshl_add_u64 v[30:31], v[30:31], 2, s[44:45]
	v_lshl_add_u64 v[26:27], v[26:27], 2, s[44:45]
	global_load_dword v101, v[28:29], off
	global_load_dword v102, v[30:31], off
	;; [unrolled: 1-line block ×3, first 2 shown]
	s_load_dword s24, s[46:47], 0x0
	ds_read_b64 v[34:35], v73 offset:24576
	ds_read2st64_b64 v[30:33], v78 offset1:1
	ds_read2st64_b64 v[36:39], v78 offset0:2 offset1:3
	ds_read_b64 v[40:41], v75 offset:24576
	ds_read_b64 v[92:93], v76 offset:24576
	;; [unrolled: 1-line block ×3, first 2 shown]
	s_waitcnt lgkmcnt(0)
	v_mfma_f32_16x16x16_bf16 a[0:3], v[34:35], v[30:31], a[0:3]
	v_mov_b32_e32 v91, 0
	v_mov_b32_e32 v26, 0
	;; [unrolled: 1-line block ×3, first 2 shown]
	v_mfma_f32_16x16x16_bf16 a[0:3], v[40:41], v[32:33], a[0:3]
	v_mov_b32_e32 v28, 0
	v_mov_b32_e32 v29, 0
	v_mov_b32_e32 v30, 0
	v_mfma_f32_16x16x16_bf16 a[0:3], v[92:93], v[36:37], a[0:3]
	v_lshl_add_u64 v[36:37], v[52:53], 0, s[70:71]
	v_mov_b32_e32 v31, 0
	v_mov_b32_e32 v32, 0
	v_mfma_f32_16x16x16_bf16 a[0:3], v[94:95], v[38:39], a[0:3]
	v_mov_b32_e32 v33, 0
	v_mov_b32_e32 v34, 0
	;; [unrolled: 1-line block ×3, first 2 shown]
	s_and_b64 vcc, exec, s[0:1]
	s_waitcnt vmcnt(7)
	v_lshlrev_b32_e32 v92, 16, v96
	s_nop 0
	v_accvgpr_read_b32 v41, a1
	v_accvgpr_read_b32 v39, a3
	;; [unrolled: 1-line block ×4, first 2 shown]
	s_waitcnt vmcnt(6)
	v_lshlrev_b32_e32 v93, 16, v97
	s_waitcnt vmcnt(4)
	v_lshlrev_b32_e32 v95, 16, v99
	v_lshlrev_b32_e32 v94, 16, v98
	s_waitcnt vmcnt(3)
	v_sub_f32_e32 v96, s24, v100
	v_pk_add_f32 v[40:41], v[92:93], v[40:41] neg_lo:[0,1] neg_hi:[0,1]
	v_pk_add_f32 v[38:39], v[94:95], v[38:39] neg_lo:[0,1] neg_hi:[0,1]
	s_waitcnt vmcnt(2)
	v_sub_f32_e32 v93, s24, v101
	s_waitcnt vmcnt(1)
	v_sub_f32_e32 v94, s24, v102
	;; [unrolled: 2-line block ×3, first 2 shown]
	v_exp_f32_e32 v92, v96
	v_exp_f32_e32 v93, v93
	;; [unrolled: 1-line block ×4, first 2 shown]
	global_store_short_d16_hi v[36:37], v40, off
	global_store_short_d16_hi v[36:37], v41, off offset:256
	global_store_short_d16_hi v[36:37], v38, off offset:512
	;; [unrolled: 1-line block ×3, first 2 shown]
	v_pk_mul_f32 v[36:37], v[92:93], v[40:41]
	v_pk_mul_f32 v[38:39], v[94:95], v[38:39]
	v_perm_b32 v36, v37, v36, s3
	v_perm_b32 v37, v39, v38, s3
	ds_write_b64 v70, v[36:37]
	v_mov_b32_e32 v36, 0
	v_mov_b32_e32 v37, 0
	;; [unrolled: 1-line block ×6, first 2 shown]
	s_cbranch_vccnz .LBB697_40
; %bb.39:                               ;   in Loop: Header=BB697_32 Depth=1
	s_and_b32 s29, s29, 0xffff
	s_mov_b32 s31, s27
	buffer_load_dwordx4 v[38:41], v84, s[28:31], 0 offen
	buffer_load_dwordx4 v[30:33], v84, s[28:31], s64 offen
	;; [unrolled: 1-line block ×4, first 2 shown]
	v_mov_b32_e32 v90, v63
	v_mov_b32_e32 v91, v61
.LBB697_40:                             ;   in Loop: Header=BB697_32 Depth=1
	s_waitcnt lgkmcnt(0)
	s_barrier
	ds_read_b64 v[100:101], v86
	ds_read2st64_b64 v[92:95], v78 offset1:1
	ds_read2st64_b64 v[96:99], v78 offset0:2 offset1:3
	ds_read_b64 v[102:103], v87
	ds_read_b64 v[104:105], v88
	;; [unrolled: 1-line block ×3, first 2 shown]
	s_waitcnt lgkmcnt(4)
	v_mfma_f32_16x16x16_bf16 a[0:3], v[100:101], v[92:93], 0
	ds_read_b64 v[100:101], v80 offset:8192
	ds_read_b64 v[108:109], v81 offset:8192
	s_add_i32 s25, s60, s41
	s_mul_hi_i32 s29, s25, s21
	s_waitcnt lgkmcnt(1)
	v_mfma_f32_16x16x16_bf16 a[4:7], v[100:101], v[92:93], 0
	s_mul_i32 s25, s25, s21
	s_add_u32 s28, s25, s53
	s_addc_u32 s29, s29, s57
	v_mfma_f32_16x16x16_bf16 a[0:3], v[102:103], v[94:95], a[0:3]
	ds_read_b64 v[100:101], v47
	ds_read_b64 v[102:103], v79
	ds_read_b64 v[92:93], v82 offset:8192
	s_lshl_b64 s[28:29], s[28:29], 15
	v_mfma_f32_16x16x16_bf16 a[0:3], v[104:105], v[96:97], a[0:3]
	ds_read_b64 v[104:105], v83 offset:8192
	s_and_b64 vcc, exec, s[0:1]
	s_waitcnt lgkmcnt(4)
	v_mfma_f32_16x16x16_bf16 a[4:7], v[108:109], v[94:95], a[4:7]
	s_waitcnt lgkmcnt(1)
	v_mfma_f32_16x16x16_bf16 a[4:7], v[92:93], v[96:97], a[4:7]
	v_lshl_add_u64 v[92:93], v[48:49], 0, s[28:29]
	global_store_dwordx4 v[92:93], v[100:103], off
	v_mfma_f32_16x16x16_bf16 a[0:3], v[106:107], v[98:99], a[0:3]
	s_waitcnt lgkmcnt(0)
	v_mfma_f32_16x16x16_bf16 a[4:7], v[104:105], v[98:99], a[4:7]
	s_cbranch_vccnz .LBB697_42
; %bb.41:                               ;   in Loop: Header=BB697_32 Depth=1
	v_lshrrev_b32_e32 v92, 3, v90
	v_and_b32_e32 v92, 6, v92
	v_xor_b32_e32 v91, v92, v91
	v_lshlrev_b32_e32 v91, 2, v91
	v_and_b32_e32 v90, 8, v90
	v_xor_b32_e32 v93, 0x440, v91
	v_cmp_eq_u32_e32 vcc, 0, v90
	s_barrier
	s_nop 0
	v_cndmask_b32_e32 v90, v93, v91, vcc
	v_lshl_or_b32 v90, v92, 10, v90
	s_waitcnt vmcnt(2)
	v_perm_b32 v91, v38, v34, s66
	s_waitcnt vmcnt(1)
	v_perm_b32 v92, v30, v26, s66
	ds_write2st64_b32 v90, v91, v92 offset1:32
	v_xor_b32_e32 v91, 8, v90
	v_perm_b32 v34, v38, v34, s67
	v_perm_b32 v26, v30, v26, s67
	v_add_u32_e32 v30, 0x80, v91
	ds_write2st64_b32 v30, v34, v26 offset1:32
	v_xor_b32_e32 v26, 16, v90
	v_perm_b32 v30, v39, v35, s66
	v_perm_b32 v34, v31, v27, s66
	ds_write2st64_b32 v26, v30, v34 offset0:1 offset1:33
	v_xor_b32_e32 v26, 24, v90
	v_perm_b32 v30, v39, v35, s67
	v_perm_b32 v27, v31, v27, s67
	v_add_u32_e32 v26, 0x80, v26
	ds_write2st64_b32 v26, v30, v27 offset0:1 offset1:33
	v_xor_b32_e32 v26, 32, v90
	v_perm_b32 v27, v40, v36, s66
	v_perm_b32 v30, v32, v28, s66
	ds_write2st64_b32 v26, v27, v30 offset0:2 offset1:34
	v_xor_b32_e32 v26, 40, v90
	v_perm_b32 v27, v40, v36, s67
	v_perm_b32 v28, v32, v28, s67
	v_add_u32_e32 v26, 0x80, v26
	ds_write2st64_b32 v26, v27, v28 offset0:2 offset1:34
	;; [unrolled: 9-line block ×3, first 2 shown]
	ds_write_b64 v9, v[22:23] offset:16384
	v_xor_b32_e32 v22, 8, v9
	ds_write_b64 v22, v[24:25] offset:16384
	ds_write_b64 v9, v[18:19] offset:24576
	;; [unrolled: 1-line block ×4, first 2 shown]
	v_xor_b32_e32 v9, 8, v5
	ds_write_b64 v9, v[16:17] offset:16384
	ds_write_b64 v5, v[10:11] offset:24576
	;; [unrolled: 1-line block ×3, first 2 shown]
.LBB697_42:                             ;   in Loop: Header=BB697_32 Depth=1
	v_exp_f32_e32 v10, s24
	s_nop 2
	v_accvgpr_read_b32 v9, a1
	v_accvgpr_read_b32 v5, a0
	s_add_i32 s65, s65, 64
	v_fma_f32 v3, v3, v10, v9
	v_accvgpr_read_b32 v9, a4
	v_fma_f32 v6, v6, v10, v9
	v_accvgpr_read_b32 v9, a5
	v_fma_f32 v2, v2, v10, v5
	v_accvgpr_read_b32 v5, a2
	v_fma_f32 v7, v7, v10, v9
	v_accvgpr_read_b32 v9, a6
	v_fma_f32 v4, v4, v10, v5
	v_accvgpr_read_b32 v5, a3
	v_fma_f32 v8, v8, v10, v9
	v_accvgpr_read_b32 v9, a7
	v_fmac_f32_e32 v5, v65, v10
	s_cmp_eq_u32 s56, s39
	v_fmac_f32_e32 v9, v62, v10
	s_cbranch_scc1 .LBB697_4
; %bb.43:                               ;   in Loop: Header=BB697_32 Depth=1
	s_mov_b32 s41, s39
	v_mov_b32_e32 v65, v5
	v_mov_b32_e32 v62, v9
	s_branch .LBB697_32
.LBB697_44:
                                        ; implicit-def: $vgpr13
                                        ; implicit-def: $vgpr17
                                        ; implicit-def: $vgpr21
                                        ; implicit-def: $vgpr25
	s_cbranch_execz .LBB697_46
; %bb.45:
	s_waitcnt vmcnt(0)
	v_mad_u64_u32 v[10:11], s[0:1], v27, s23, v[26:27]
	v_lshlrev_b32_e32 v27, 1, v10
	s_lshl_b32 s2, s23, 7
	s_and_b32 s1, s5, 0xffff
	s_mov_b32 s3, 0x20000
	s_mov_b32 s0, s4
	v_add_lshl_u32 v28, v10, s23, 1
	s_movk_i32 s6, 0x80
	buffer_load_dwordx4 v[10:13], v27, s[0:3], 0 offen
	buffer_load_dwordx4 v[18:21], v27, s[0:3], s6 offen
	;; [unrolled: 1-line block ×4, first 2 shown]
.LBB697_46:
	v_lshrrev_b32_e32 v45, 2, v45
	s_cbranch_execnz .LBB697_59
.LBB697_47:
	s_and_b64 vcc, exec, s[14:15]
	s_cbranch_vccz .LBB697_57
; %bb.48:
	s_waitcnt vmcnt(0)
	v_lshlrev_b32_e32 v15, 1, v47
	v_cmp_gt_i32_e32 vcc, s31, v15
	v_mov_b32_e32 v14, 0
	v_lshlrev_b32_e32 v22, 9, v47
	v_mov_b32_e32 v10, 0
	v_mov_b32_e32 v11, 0
	;; [unrolled: 1-line block ×4, first 2 shown]
	s_and_saveexec_b64 s[0:1], vcc
	s_cbranch_execz .LBB697_50
; %bb.49:
	v_mov_b32_e32 v23, 0
	v_lshl_add_u64 v[10:11], s[4:5], 0, v[22:23]
	v_lshlrev_b32_e32 v12, 1, v26
	v_mov_b32_e32 v13, v23
	v_lshl_add_u64 v[10:11], v[10:11], 0, v[12:13]
	global_load_dwordx4 v[10:13], v[10:11], off
.LBB697_50:
	s_or_b64 exec, exec, s[0:1]
	v_or_b32_e32 v15, 1, v15
	v_cmp_gt_i32_e64 s[0:1], s31, v15
	v_lshlrev_b32_e32 v28, 8, v15
	v_mov_b32_e32 v15, 0
	v_mov_b32_e32 v16, 0
	;; [unrolled: 1-line block ×3, first 2 shown]
	s_and_saveexec_b64 s[2:3], s[0:1]
	s_cbranch_execz .LBB697_52
; %bb.51:
	v_mov_b32_e32 v29, 0
	v_lshl_add_u64 v[14:15], s[4:5], 0, v[28:29]
	v_lshlrev_b32_e32 v16, 1, v26
	v_mov_b32_e32 v17, v29
	v_lshl_add_u64 v[14:15], v[14:15], 0, v[16:17]
	global_load_dwordx4 v[14:17], v[14:15], off
.LBB697_52:
	s_or_b64 exec, exec, s[2:3]
	v_mov_b32_e32 v25, 0
	v_mov_b32_e32 v18, 0
	;; [unrolled: 1-line block ×5, first 2 shown]
	s_and_saveexec_b64 s[2:3], vcc
	s_cbranch_execz .LBB697_54
; %bb.53:
	v_mov_b32_e32 v23, 0
	v_lshl_add_u64 v[18:19], s[4:5], 0, v[22:23]
	v_lshlrev_b32_e32 v22, 1, v26
	v_lshl_add_u64 v[18:19], v[18:19], 0, v[22:23]
	global_load_dwordx4 v[18:21], v[18:19], off offset:128
.LBB697_54:
	s_or_b64 exec, exec, s[2:3]
	v_mov_b32_e32 v24, 0
	v_mov_b32_e32 v23, 0
	;; [unrolled: 1-line block ×3, first 2 shown]
	s_and_saveexec_b64 s[2:3], s[0:1]
	s_cbranch_execz .LBB697_56
; %bb.55:
	v_mov_b32_e32 v29, 0
	v_lshl_add_u64 v[22:23], s[4:5], 0, v[28:29]
	v_lshlrev_b32_e32 v28, 1, v26
	v_lshl_add_u64 v[22:23], v[22:23], 0, v[28:29]
	global_load_dwordx4 v[22:25], v[22:23], off offset:128
.LBB697_56:
	s_or_b64 exec, exec, s[2:3]
	s_branch .LBB697_59
.LBB697_57:
                                        ; implicit-def: $vgpr13
                                        ; implicit-def: $vgpr17
                                        ; implicit-def: $vgpr21
                                        ; implicit-def: $vgpr25
	s_cbranch_execz .LBB697_59
; %bb.58:
	s_waitcnt vmcnt(0)
	v_lshlrev_b32_e32 v10, 1, v26
	v_lshl_or_b32 v26, v47, 9, v10
	s_and_b32 s5, s5, 0xffff
	s_mov_b32 s7, 0x20000
	s_movk_i32 s6, 0x4000
	s_movk_i32 s0, 0x80
	buffer_load_dwordx4 v[10:13], v26, s[4:7], 0 offen
	buffer_load_dwordx4 v[14:17], v26, s[4:7], 0 offen offset:256
	buffer_load_dwordx4 v[18:21], v26, s[4:7], s0 offen
	buffer_load_dwordx4 v[22:25], v26, s[4:7], s0 offen offset:256
.LBB697_59:
	ds_read2st64_b64 v[30:33], v50 offset0:76 offset1:77
	ds_read2st64_b64 v[26:29], v50 offset0:78 offset1:79
	ds_read_b64 v[40:41], v34 offset:24576
	ds_read_b64 v[38:39], v35 offset:24576
	;; [unrolled: 1-line block ×4, first 2 shown]
	v_and_b32_e32 v51, 6, v0
	v_xor_b32_e32 v47, v47, v51
	v_lshlrev_b32_e32 v47, 2, v47
	v_and_b32_e32 v52, 1, v0
	v_xor_b32_e32 v53, 0x440, v47
	v_cmp_eq_u32_e32 vcc, 0, v52
	s_mov_b32 s0, 0x1000504
	s_waitcnt vmcnt(0)
	v_perm_b32 v52, v18, v22, s0
	v_cndmask_b32_e32 v47, v53, v47, vcc
	v_lshl_or_b32 v47, v51, 10, v47
	v_perm_b32 v51, v10, v14, s0
	ds_write2st64_b32 v47, v51, v52 offset1:32
	v_xor_b32_e32 v51, 8, v47
	s_mov_b32 s1, 0x3020706
	v_perm_b32 v10, v10, v14, s1
	v_perm_b32 v14, v18, v22, s1
	v_add_u32_e32 v18, 0x80, v51
	ds_write2st64_b32 v18, v10, v14 offset1:32
	v_xor_b32_e32 v10, 16, v47
	v_perm_b32 v14, v11, v15, s0
	v_perm_b32 v18, v19, v23, s0
	ds_write2st64_b32 v10, v14, v18 offset0:1 offset1:33
	v_xor_b32_e32 v10, 24, v47
	v_perm_b32 v11, v11, v15, s1
	v_perm_b32 v14, v19, v23, s1
	v_add_u32_e32 v10, 0x80, v10
	ds_write2st64_b32 v10, v11, v14 offset0:1 offset1:33
	v_xor_b32_e32 v10, 32, v47
	v_perm_b32 v11, v12, v16, s0
	v_perm_b32 v14, v20, v24, s0
	ds_write2st64_b32 v10, v11, v14 offset0:2 offset1:34
	v_xor_b32_e32 v10, 40, v47
	v_perm_b32 v11, v12, v16, s1
	v_perm_b32 v12, v20, v24, s1
	v_add_u32_e32 v10, 0x80, v10
	ds_write2st64_b32 v10, v11, v12 offset0:2 offset1:34
	v_xor_b32_e32 v10, 48, v47
	v_perm_b32 v11, v13, v17, s0
	v_perm_b32 v12, v21, v25, s0
	ds_write2st64_b32 v10, v11, v12 offset0:3 offset1:35
	v_xor_b32_e32 v10, 56, v47
	v_and_or_b32 v18, v45, 12, v54
	v_perm_b32 v11, v13, v17, s1
	v_perm_b32 v12, v21, v25, s1
	v_add_u32_e32 v10, 0x80, v10
	v_cmp_gt_i32_e64 s[2:3], s31, v18
	v_mov_b32_e32 v20, 0
	v_mov_b32_e32 v25, 0
	ds_write2st64_b32 v10, v11, v12 offset0:3 offset1:35
	s_and_saveexec_b64 s[0:1], s[2:3]
	s_cbranch_execz .LBB697_61
; %bb.60:
	v_add_u32_e32 v10, s30, v18
	v_ashrrev_i32_e32 v11, 31, v10
	v_mul_lo_u32 v12, v11, s36
	v_mul_lo_u32 v13, v10, s37
	v_mad_u64_u32 v[10:11], s[4:5], v10, s36, 0
	v_add3_u32 v11, v11, v13, v12
	v_lshl_add_u64 v[10:11], v[10:11], 2, s[12:13]
	global_load_dword v10, v[10:11], off
	s_waitcnt vmcnt(0)
	v_sub_f32_e32 v10, s18, v10
	v_exp_f32_e32 v25, v10
.LBB697_61:
	s_or_b64 exec, exec, s[0:1]
	v_or_b32_e32 v23, 1, v18
	v_cmp_gt_i32_e64 s[4:5], s31, v23
	s_and_saveexec_b64 s[0:1], s[4:5]
	s_cbranch_execz .LBB697_63
; %bb.62:
	v_add_u32_e32 v10, s30, v23
	v_ashrrev_i32_e32 v11, 31, v10
	v_mul_lo_u32 v12, v11, s36
	v_mul_lo_u32 v13, v10, s37
	v_mad_u64_u32 v[10:11], s[6:7], v10, s36, 0
	v_add3_u32 v11, v11, v13, v12
	v_lshl_add_u64 v[10:11], v[10:11], 2, s[12:13]
	global_load_dword v10, v[10:11], off
	s_waitcnt vmcnt(0)
	v_sub_f32_e32 v10, s18, v10
	v_exp_f32_e32 v20, v10
.LBB697_63:
	s_or_b64 exec, exec, s[0:1]
	v_or_b32_e32 v22, 2, v18
	v_cmp_gt_i32_e64 s[0:1], s31, v22
	v_mov_b32_e32 v19, 0
	v_mov_b32_e32 v24, 0
	s_and_saveexec_b64 s[6:7], s[0:1]
	s_cbranch_execz .LBB697_65
; %bb.64:
	v_add_u32_e32 v10, s30, v22
	v_ashrrev_i32_e32 v11, 31, v10
	v_mul_lo_u32 v12, v11, s36
	v_mul_lo_u32 v13, v10, s37
	v_mad_u64_u32 v[10:11], s[14:15], v10, s36, 0
	v_add3_u32 v11, v11, v13, v12
	v_lshl_add_u64 v[10:11], v[10:11], 2, s[12:13]
	global_load_dword v10, v[10:11], off
	s_waitcnt vmcnt(0)
	v_sub_f32_e32 v10, s18, v10
	v_exp_f32_e32 v24, v10
.LBB697_65:
	s_or_b64 exec, exec, s[6:7]
	v_or_b32_e32 v21, 3, v18
	v_cmp_gt_i32_e32 vcc, s31, v21
	s_and_saveexec_b64 s[6:7], vcc
	s_cbranch_execz .LBB697_67
; %bb.66:
	v_add_u32_e32 v10, s30, v21
	v_ashrrev_i32_e32 v11, 31, v10
	v_mul_lo_u32 v12, v11, s36
	v_mul_lo_u32 v13, v10, s37
	v_mad_u64_u32 v[10:11], s[14:15], v10, s36, 0
	v_add3_u32 v11, v11, v13, v12
	v_lshl_add_u64 v[10:11], v[10:11], 2, s[12:13]
	global_load_dword v10, v[10:11], off
	s_waitcnt vmcnt(0)
	v_sub_f32_e32 v10, s18, v10
	v_exp_f32_e32 v19, v10
.LBB697_67:
	s_or_b64 exec, exec, s[6:7]
	s_waitcnt lgkmcnt(11)
	v_mfma_f32_16x16x16_bf16 a[0:3], v[40:41], v[30:31], a[0:3]
	s_add_u32 s6, s16, s24
	v_ashrrev_i32_e32 v47, 31, v46
	s_addc_u32 s7, s17, s25
	s_waitcnt lgkmcnt(10)
	v_mfma_f32_16x16x16_bf16 a[0:3], v[38:39], v[32:33], a[0:3]
	v_lshlrev_b64 v[10:11], 1, v[46:47]
	v_lshl_add_u64 v[14:15], s[6:7], 0, v[10:11]
	s_add_u32 s6, s8, s24
	s_waitcnt lgkmcnt(9)
	v_mfma_f32_16x16x16_bf16 a[0:3], v[36:37], v[26:27], a[0:3]
	s_addc_u32 s7, s9, s25
	v_lshl_add_u64 v[16:17], s[6:7], 0, v[10:11]
	v_mov_b32_e32 v26, 0
	s_waitcnt lgkmcnt(8)
	v_mfma_f32_16x16x16_bf16 a[0:3], v[34:35], v[28:29], a[0:3]
	v_mov_b32_e32 v27, 0
	s_nop 5
	v_accvgpr_read_b32 v13, a3
	v_accvgpr_read_b32 v12, a2
	;; [unrolled: 1-line block ×4, first 2 shown]
	s_and_saveexec_b64 s[6:7], s[2:3]
	s_cbranch_execz .LBB697_69
; %bb.68:
	v_lshlrev_b32_e32 v28, 8, v18
	v_mov_b32_e32 v29, 0
	v_lshl_add_u64 v[30:31], v[14:15], 0, v[28:29]
	global_load_ushort v27, v[30:31], off
	v_lshl_add_u64 v[28:29], v[16:17], 0, v[28:29]
	s_waitcnt vmcnt(0)
	v_lshlrev_b32_e32 v27, 16, v27
	v_sub_f32_e32 v10, v27, v10
	global_store_short_d16_hi v[28:29], v10, off
	v_mul_f32_e32 v10, v25, v10
	v_lshrrev_b32_e32 v27, 16, v10
.LBB697_69:
	s_or_b64 exec, exec, s[6:7]
	s_and_saveexec_b64 s[2:3], s[4:5]
	s_cbranch_execz .LBB697_71
; %bb.70:
	v_lshlrev_b32_e32 v28, 8, v23
	v_mov_b32_e32 v29, 0
	v_lshl_add_u64 v[30:31], v[14:15], 0, v[28:29]
	global_load_ushort v10, v[30:31], off
	v_lshl_add_u64 v[28:29], v[16:17], 0, v[28:29]
	s_waitcnt vmcnt(0)
	v_lshlrev_b32_e32 v10, 16, v10
	v_sub_f32_e32 v10, v10, v11
	global_store_short_d16_hi v[28:29], v10, off
	v_mul_f32_e32 v10, v20, v10
	v_lshrrev_b32_e32 v26, 16, v10
.LBB697_71:
	s_or_b64 exec, exec, s[2:3]
	v_mov_b32_e32 v11, 0
	v_mov_b32_e32 v20, 0
	s_and_saveexec_b64 s[2:3], s[0:1]
	s_cbranch_execz .LBB697_73
; %bb.72:
	v_lshlrev_b32_e32 v22, 8, v22
	v_mov_b32_e32 v23, 0
	v_lshl_add_u64 v[28:29], v[14:15], 0, v[22:23]
	global_load_ushort v10, v[28:29], off
	v_lshl_add_u64 v[22:23], v[16:17], 0, v[22:23]
	s_waitcnt vmcnt(0)
	v_lshlrev_b32_e32 v10, 16, v10
	v_sub_f32_e32 v10, v10, v12
	global_store_short_d16_hi v[22:23], v10, off
	v_mul_f32_e32 v10, v24, v10
	v_lshrrev_b32_e32 v20, 16, v10
.LBB697_73:
	s_or_b64 exec, exec, s[2:3]
	v_or_b32_e32 v10, 0x9800, v50
	s_and_saveexec_b64 s[0:1], vcc
	s_cbranch_execz .LBB697_75
; %bb.74:
	v_lshlrev_b32_e32 v22, 8, v21
	v_mov_b32_e32 v23, 0
	v_lshl_add_u64 v[14:15], v[14:15], 0, v[22:23]
	global_load_ushort v11, v[14:15], off
	v_lshl_add_u64 v[14:15], v[16:17], 0, v[22:23]
	s_waitcnt vmcnt(0)
	v_lshlrev_b32_e32 v11, 16, v11
	v_sub_f32_e32 v11, v11, v13
	global_store_short_d16_hi v[14:15], v11, off
	v_mul_f32_e32 v11, v19, v11
	v_lshrrev_b32_e32 v11, 16, v11
.LBB697_75:
	s_or_b64 exec, exec, s[0:1]
	s_mov_b32 s0, 0x5040100
	v_perm_b32 v13, v11, v20, s0
	v_lshlrev_b32_e32 v11, 1, v48
	v_perm_b32 v12, v26, v27, s0
	v_lshl_or_b32 v11, v18, 5, v11
	s_movk_i32 s0, 0xff
	ds_write_b64 v11, v[12:13] offset:38912
	v_and_b32_e32 v11, 7, v0
	v_and_b32_e32 v12, 8, v0
	v_cmp_lt_u32_e32 vcc, s0, v0
	v_lshrrev_b32_e32 v0, 1, v0
	v_lshlrev_b32_e32 v22, 3, v1
	v_and_b32_e32 v23, 24, v0
	v_xor_b32_e32 v0, v22, v23
	v_cndmask_b32_e64 v13, 0, 1, vcc
	v_or_b32_e32 v1, 0x440, v0
	v_cmp_eq_u32_e32 vcc, 0, v12
	v_lshlrev_b32_e32 v20, 3, v11
	v_lshlrev_b32_e32 v11, 7, v11
	v_cndmask_b32_e32 v0, v1, v0, vcc
	v_or_b32_e32 v0, v0, v49
	v_lshlrev_b32_e32 v21, 13, v13
	v_xad_u32 v24, v0, v20, v11
	v_add_u32_e32 v0, v21, v24
	s_waitcnt lgkmcnt(0)
	s_barrier
	ds_read_b64 v[0:1], v0
	ds_read2st64_b64 v[12:15], v10 offset1:1
	ds_read2st64_b64 v[16:19], v10 offset0:2 offset1:3
	s_waitcnt lgkmcnt(1)
	v_mfma_f32_16x16x16_bf16 a[0:3], v[0:1], v[12:13], 0
	v_or_b32_e32 v0, 32, v23
	v_xor_b32_e32 v0, v22, v0
	v_or_b32_e32 v1, 0x440, v0
	v_cndmask_b32_e32 v0, v1, v0, vcc
	v_or_b32_e32 v0, v0, v49
	v_xad_u32 v25, v0, v20, v11
	v_add_u32_e32 v0, v21, v25
	ds_read_b64 v[0:1], v0
	v_or_b32_e32 v10, 0x60, v23
	s_waitcnt lgkmcnt(0)
	v_mfma_f32_16x16x16_bf16 a[0:3], v[0:1], v[14:15], a[0:3]
	v_or_b32_e32 v0, 64, v23
	v_xor_b32_e32 v0, v22, v0
	v_xor_b32_e32 v1, 0x440, v0
	v_cndmask_b32_e32 v0, v1, v0, vcc
	v_or_b32_e32 v0, v0, v49
	v_xad_u32 v26, v0, v20, v11
	v_xor_b32_e32 v10, v22, v10
	v_add_u32_e32 v0, v21, v26
	v_xor_b32_e32 v22, 0x440, v10
	ds_read_b64 v[0:1], v0
	v_cndmask_b32_e32 v10, v22, v10, vcc
	v_or_b32_e32 v10, v10, v49
	v_xad_u32 v22, v10, v20, v11
	v_add_u32_e32 v10, v21, v22
	ds_read_b64 v[10:11], v10
	s_waitcnt lgkmcnt(1)
	v_mfma_f32_16x16x16_bf16 a[0:3], v[0:1], v[16:17], a[0:3]
	ds_read_b64 v[0:1], v24 offset:8192
	ds_read_b64 v[20:21], v26 offset:8192
	v_exp_f32_e32 v23, s18
	s_waitcnt lgkmcnt(2)
	v_mfma_f32_16x16x16_bf16 a[0:3], v[10:11], v[18:19], a[0:3]
	ds_read_b64 v[10:11], v25 offset:8192
	s_waitcnt lgkmcnt(2)
	v_mfma_f32_16x16x16_bf16 a[4:7], v[0:1], v[12:13], 0
	ds_read_b64 v[12:13], v22 offset:8192
	s_nop 2
	v_accvgpr_read_b32 v0, a0
	v_accvgpr_read_b32 v1, a1
	s_waitcnt lgkmcnt(1)
	v_mfma_f32_16x16x16_bf16 a[4:7], v[10:11], v[14:15], a[4:7]
	v_fma_f32 v0, v2, v23, v0
	v_fma_f32 v1, v3, v23, v1
	v_accvgpr_read_b32 v2, a2
	v_mfma_f32_16x16x16_bf16 a[4:7], v[20:21], v[16:17], a[4:7]
	v_accvgpr_read_b32 v3, a3
	v_fma_f32 v2, v4, v23, v2
	v_fmac_f32_e32 v3, v5, v23
	s_waitcnt lgkmcnt(0)
	v_mfma_f32_16x16x16_bf16 a[0:3], v[12:13], v[18:19], a[4:7]
	s_nop 6
	v_accvgpr_read_b32 v4, a0
	v_accvgpr_read_b32 v5, a1
	v_fma_f32 v4, v6, v23, v4
	v_fma_f32 v5, v7, v23, v5
	v_accvgpr_read_b32 v6, a2
	v_accvgpr_read_b32 v7, a3
	v_fma_f32 v6, v8, v23, v6
	v_fmac_f32_e32 v7, v9, v23
	v_mov_b64_e32 v[8:9], v[6:7]
	v_mov_b64_e32 v[6:7], v[4:5]
	;; [unrolled: 1-line block ×4, first 2 shown]
.LBB697_76:
	s_add_u32 s0, s10, s34
	s_addc_u32 s1, s11, s35
	v_lshl_add_u64 v[0:1], v[42:43], 2, s[0:1]
	v_mov_b32_e32 v45, 0
	v_lshl_add_u64 v[0:1], v[0:1], 0, v[44:45]
	global_store_dwordx4 v[0:1], v[2:5], off
	global_store_dwordx4 v[0:1], v[6:9], off offset:256
	s_endpgm
	.section	.rodata,"a",@progbits
	.p2align	6, 0x0
	.amdhsa_kernel _ZN12_GLOBAL__N_139chunk_gated_delta_rule_fwd_h_hip_kernelILi16ELb1ELb1ELb1ELb0ELb1ELb0ELb0ELb0EEEvPK12hip_bfloat16S3_S3_PKfS5_PKvPS1_S8_PvPKiSB_iiiiilll
		.amdhsa_group_segment_fixed_size 40960
		.amdhsa_private_segment_fixed_size 0
		.amdhsa_kernarg_size 136
		.amdhsa_user_sgpr_count 2
		.amdhsa_user_sgpr_dispatch_ptr 0
		.amdhsa_user_sgpr_queue_ptr 0
		.amdhsa_user_sgpr_kernarg_segment_ptr 1
		.amdhsa_user_sgpr_dispatch_id 0
		.amdhsa_user_sgpr_kernarg_preload_length 0
		.amdhsa_user_sgpr_kernarg_preload_offset 0
		.amdhsa_user_sgpr_private_segment_size 0
		.amdhsa_uses_dynamic_stack 0
		.amdhsa_enable_private_segment 0
		.amdhsa_system_sgpr_workgroup_id_x 1
		.amdhsa_system_sgpr_workgroup_id_y 1
		.amdhsa_system_sgpr_workgroup_id_z 0
		.amdhsa_system_sgpr_workgroup_info 0
		.amdhsa_system_vgpr_workitem_id 0
		.amdhsa_next_free_vgpr 120
		.amdhsa_next_free_sgpr 72
		.amdhsa_accum_offset 112
		.amdhsa_reserve_vcc 1
		.amdhsa_float_round_mode_32 0
		.amdhsa_float_round_mode_16_64 0
		.amdhsa_float_denorm_mode_32 3
		.amdhsa_float_denorm_mode_16_64 3
		.amdhsa_dx10_clamp 1
		.amdhsa_ieee_mode 1
		.amdhsa_fp16_overflow 0
		.amdhsa_tg_split 0
		.amdhsa_exception_fp_ieee_invalid_op 0
		.amdhsa_exception_fp_denorm_src 0
		.amdhsa_exception_fp_ieee_div_zero 0
		.amdhsa_exception_fp_ieee_overflow 0
		.amdhsa_exception_fp_ieee_underflow 0
		.amdhsa_exception_fp_ieee_inexact 0
		.amdhsa_exception_int_div_zero 0
	.end_amdhsa_kernel
	.section	.text._ZN12_GLOBAL__N_139chunk_gated_delta_rule_fwd_h_hip_kernelILi16ELb1ELb1ELb1ELb0ELb1ELb0ELb0ELb0EEEvPK12hip_bfloat16S3_S3_PKfS5_PKvPS1_S8_PvPKiSB_iiiiilll,"axG",@progbits,_ZN12_GLOBAL__N_139chunk_gated_delta_rule_fwd_h_hip_kernelILi16ELb1ELb1ELb1ELb0ELb1ELb0ELb0ELb0EEEvPK12hip_bfloat16S3_S3_PKfS5_PKvPS1_S8_PvPKiSB_iiiiilll,comdat
.Lfunc_end697:
	.size	_ZN12_GLOBAL__N_139chunk_gated_delta_rule_fwd_h_hip_kernelILi16ELb1ELb1ELb1ELb0ELb1ELb0ELb0ELb0EEEvPK12hip_bfloat16S3_S3_PKfS5_PKvPS1_S8_PvPKiSB_iiiiilll, .Lfunc_end697-_ZN12_GLOBAL__N_139chunk_gated_delta_rule_fwd_h_hip_kernelILi16ELb1ELb1ELb1ELb0ELb1ELb0ELb0ELb0EEEvPK12hip_bfloat16S3_S3_PKfS5_PKvPS1_S8_PvPKiSB_iiiiilll
                                        ; -- End function
	.section	.AMDGPU.csdata,"",@progbits
; Kernel info:
; codeLenInByte = 7848
; NumSgprs: 78
; NumVgprs: 110
; NumAgprs: 8
; TotalNumVgprs: 120
; ScratchSize: 0
; MemoryBound: 0
; FloatMode: 240
; IeeeMode: 1
; LDSByteSize: 40960 bytes/workgroup (compile time only)
; SGPRBlocks: 9
; VGPRBlocks: 14
; NumSGPRsForWavesPerEU: 78
; NumVGPRsForWavesPerEU: 120
; AccumOffset: 112
; Occupancy: 1
; WaveLimiterHint : 1
; COMPUTE_PGM_RSRC2:SCRATCH_EN: 0
; COMPUTE_PGM_RSRC2:USER_SGPR: 2
; COMPUTE_PGM_RSRC2:TRAP_HANDLER: 0
; COMPUTE_PGM_RSRC2:TGID_X_EN: 1
; COMPUTE_PGM_RSRC2:TGID_Y_EN: 1
; COMPUTE_PGM_RSRC2:TGID_Z_EN: 0
; COMPUTE_PGM_RSRC2:TIDIG_COMP_CNT: 0
; COMPUTE_PGM_RSRC3_GFX90A:ACCUM_OFFSET: 27
; COMPUTE_PGM_RSRC3_GFX90A:TG_SPLIT: 0
	.section	.text._ZN12_GLOBAL__N_139chunk_gated_delta_rule_fwd_h_hip_kernelILi16ELb1ELb1ELb0ELb0ELb1ELb0ELb0ELb0EEEvPK12hip_bfloat16S3_S3_PKfS5_PKvPS1_S8_PvPKiSB_iiiiilll,"axG",@progbits,_ZN12_GLOBAL__N_139chunk_gated_delta_rule_fwd_h_hip_kernelILi16ELb1ELb1ELb0ELb0ELb1ELb0ELb0ELb0EEEvPK12hip_bfloat16S3_S3_PKfS5_PKvPS1_S8_PvPKiSB_iiiiilll,comdat
	.globl	_ZN12_GLOBAL__N_139chunk_gated_delta_rule_fwd_h_hip_kernelILi16ELb1ELb1ELb0ELb0ELb1ELb0ELb0ELb0EEEvPK12hip_bfloat16S3_S3_PKfS5_PKvPS1_S8_PvPKiSB_iiiiilll ; -- Begin function _ZN12_GLOBAL__N_139chunk_gated_delta_rule_fwd_h_hip_kernelILi16ELb1ELb1ELb0ELb0ELb1ELb0ELb0ELb0EEEvPK12hip_bfloat16S3_S3_PKfS5_PKvPS1_S8_PvPKiSB_iiiiilll
	.p2align	8
	.type	_ZN12_GLOBAL__N_139chunk_gated_delta_rule_fwd_h_hip_kernelILi16ELb1ELb1ELb0ELb0ELb1ELb0ELb0ELb0EEEvPK12hip_bfloat16S3_S3_PKfS5_PKvPS1_S8_PvPKiSB_iiiiilll,@function
_ZN12_GLOBAL__N_139chunk_gated_delta_rule_fwd_h_hip_kernelILi16ELb1ELb1ELb0ELb0ELb1ELb0ELb0ELb0EEEvPK12hip_bfloat16S3_S3_PKfS5_PKvPS1_S8_PvPKiSB_iiiiilll: ; @_ZN12_GLOBAL__N_139chunk_gated_delta_rule_fwd_h_hip_kernelILi16ELb1ELb1ELb0ELb0ELb1ELb0ELb0ELb0EEEvPK12hip_bfloat16S3_S3_PKfS5_PKvPS1_S8_PvPKiSB_iiiiilll
; %bb.0:
	s_load_dwordx4 s[12:15], s[0:1], 0x5c
	s_load_dwordx4 s[20:23], s[0:1], 0x70
	s_abs_i32 s6, s3
	s_ashr_i32 s5, s3, 31
	s_load_dwordx4 s[16:19], s[0:1], 0x28
	s_waitcnt lgkmcnt(0)
	s_abs_i32 s4, s13
	v_cvt_f32_u32_e32 v1, s4
	s_sub_i32 s8, 0, s4
	s_ashr_i32 s7, s13, 31
	s_xor_b32 s5, s5, s7
	v_rcp_iflag_f32_e32 v1, v1
	v_and_b32_e32 v54, 15, v0
	v_bfe_u32 v53, v0, 4, 2
	v_mov_b32_e32 v45, 0
	v_mul_f32_e32 v1, 0x4f7ffffe, v1
	v_cvt_u32_f32_e32 v1, v1
	v_lshlrev_b32_e32 v55, 3, v0
	v_readfirstlane_b32 s9, v1
	s_mul_i32 s8, s8, s9
	s_mul_hi_u32 s8, s9, s8
	s_add_i32 s9, s9, s8
	s_mul_hi_u32 s8, s6, s9
	s_mul_i32 s9, s8, s4
	s_sub_i32 s6, s6, s9
	s_add_i32 s10, s8, 1
	s_sub_i32 s9, s6, s4
	s_cmp_ge_u32 s6, s4
	s_cselect_b32 s8, s10, s8
	s_cselect_b32 s6, s9, s6
	s_add_i32 s9, s8, 1
	s_cmp_ge_u32 s6, s4
	s_cselect_b32 s6, s9, s8
	s_xor_b32 s6, s6, s5
	s_add_i32 s8, s12, 63
	s_sub_i32 s53, s6, s5
	s_ashr_i32 s9, s8, 31
	s_mul_i32 s5, s53, s13
	s_sub_i32 s51, s3, s5
	s_lshr_b32 s3, s9, 26
	s_add_i32 s8, s8, s3
	s_abs_i32 s3, s14
	v_cvt_f32_u32_e32 v1, s3
	s_ashr_i32 s52, s12, 31
	s_lshr_b32 s6, s52, 26
	s_add_i32 s6, s12, s6
	v_rcp_iflag_f32_e32 v1, v1
	s_ashr_i32 s56, s14, 31
	s_ashr_i32 s24, s8, 6
	;; [unrolled: 1-line block ×3, first 2 shown]
	v_mul_f32_e32 v1, 0x4f7ffffe, v1
	v_cvt_u32_f32_e32 v1, v1
	s_xor_b32 s6, s7, s56
	s_sub_i32 s7, 0, s3
	s_lshl_b32 s2, s2, 4
	v_readfirstlane_b32 s8, v1
	s_mul_i32 s7, s7, s8
	s_mul_hi_u32 s7, s8, s7
	s_add_i32 s8, s8, s7
	s_mul_hi_u32 s7, s4, s8
	s_mul_i32 s8, s7, s3
	s_sub_i32 s4, s4, s8
	s_add_i32 s8, s7, 1
	s_sub_i32 s9, s4, s3
	s_cmp_ge_u32 s4, s3
	s_cselect_b32 s7, s8, s7
	s_cselect_b32 s4, s9, s4
	s_add_i32 s8, s7, 1
	s_cmp_ge_u32 s4, s3
	s_cselect_b32 s3, s8, s7
	s_xor_b32 s3, s3, s6
	s_sub_i32 s3, s3, s6
	s_abs_i32 s4, s3
	v_cvt_f32_u32_e32 v1, s4
	s_sub_i32 s7, 0, s4
	s_abs_i32 s6, s51
	s_xor_b32 s3, s51, s3
	v_rcp_iflag_f32_e32 v2, v1
	s_ashr_i32 s3, s3, 31
	v_lshrrev_b32_e32 v1, 6, v0
	v_or_b32_e32 v46, s2, v54
	v_mul_f32_e32 v2, 0x4f7ffffe, v2
	v_cvt_u32_f32_e32 v2, v2
	v_lshlrev_b32_e32 v52, 4, v1
	v_lshlrev_b32_e32 v42, 7, v46
	v_lshl_or_b32 v57, v53, 2, v52
	v_readfirstlane_b32 s8, v2
	s_mul_i32 s7, s7, s8
	s_mul_hi_u32 s7, s8, s7
	s_add_i32 s8, s8, s7
	s_mul_hi_u32 s7, s6, s8
	s_mul_i32 s8, s7, s4
	s_sub_i32 s6, s6, s8
	s_add_i32 s8, s7, 1
	s_sub_i32 s9, s6, s4
	s_cmp_ge_u32 s6, s4
	s_cselect_b32 s7, s8, s7
	s_cselect_b32 s6, s9, s6
	s_add_i32 s8, s7, 1
	s_cmp_ge_u32 s6, s4
	s_cselect_b32 s4, s8, s7
	s_xor_b32 s4, s4, s3
	s_sub_i32 s57, s4, s3
	s_ashr_i32 s3, s53, 31
	s_ashr_i32 s55, s51, 31
	s_mul_hi_i32 s4, s53, s13
	s_add_u32 s40, s5, s51
	s_addc_u32 s41, s4, s55
	s_lshl_b64 s[28:29], s[40:41], 16
	s_add_u32 s4, s16, s28
	s_addc_u32 s5, s17, s29
	v_ashrrev_i32_e32 v43, 31, v42
	v_lshl_add_u64 v[2:3], v[42:43], 2, s[4:5]
	v_lshlrev_b32_e32 v44, 2, v57
	v_lshl_add_u64 v[10:11], v[2:3], 0, v[44:45]
	global_load_dwordx4 v[2:5], v[10:11], off
	global_load_dwordx4 v[6:9], v[10:11], off offset:256
	s_load_dwordx2 s[30:31], s[0:1], 0x40
	s_load_dwordx8 s[4:11], s[0:1], 0x0
	s_load_dwordx2 s[34:35], s[0:1], 0x80
	v_and_b32_e32 v45, 63, v0
	v_lshrrev_b32_e32 v56, 3, v45
	v_or_b32_e32 v58, 64, v57
	s_mul_i32 s33, s53, s21
	s_mul_hi_u32 s46, s53, s20
	s_mul_i32 s38, s53, s20
	s_mul_i32 s58, s53, s24
	;; [unrolled: 1-line block ×3, first 2 shown]
	s_mul_hi_u32 s48, s51, s22
	s_mul_i32 s50, s3, s20
	s_mul_i32 s49, s55, s22
	s_mul_hi_u32 s59, s40, s12
	s_mul_i32 s16, s40, s12
	s_mul_i32 s41, s41, s12
	s_cmp_lt_i32 s12, 64
	s_mul_i32 s36, s51, s22
	s_waitcnt vmcnt(1)
	v_mov_b32_e32 v63, v5
	s_waitcnt vmcnt(0)
	v_mov_b32_e32 v60, v9
	s_cbranch_scc1 .LBB698_3
; %bb.1:
	s_add_i32 s17, s59, s41
	s_lshl_b64 s[0:1], s[16:17], 8
	v_and_b32_e32 v61, 56, v55
	s_waitcnt lgkmcnt(0)
	s_add_u32 s20, s6, s0
	v_lshl_or_b32 v59, v1, 3, v56
	v_lshlrev_b32_e32 v5, 1, v61
	s_addc_u32 s0, s7, s1
	v_lshl_or_b32 v62, v59, 8, v5
	s_and_b32 s21, s0, 0xffff
	s_mov_b32 s23, 0x20000
	s_movk_i32 s22, 0x4000
	s_movk_i32 s0, 0x80
	v_or_b32_e32 v64, 0x2000, v62
	buffer_load_dwordx4 v[10:13], v62, s[20:23], 0 offen
	buffer_load_dwordx4 v[14:17], v62, s[20:23], s0 offen
	;; [unrolled: 1-line block ×4, first 2 shown]
	v_lshlrev_b32_e32 v9, 3, v59
	v_and_or_b32 v27, v0, 7, v9
	v_and_b32_e32 v9, 0x78, v9
	v_lshlrev_b32_e32 v27, 4, v27
	v_xor_b32_e32 v65, v27, v9
	v_mul_lo_u32 v26, v59, s15
	v_or_b32_e32 v66, 0x1000, v65
	v_xor_b32_e32 v9, 8, v65
	s_cmpk_eq_i32 s15, 0x80
	s_mov_b32 s60, s14
	v_xor_b32_e32 v27, 8, v66
	s_cselect_b64 s[0:1], -1, 0
	s_cmpk_lg_i32 s15, 0x80
	s_waitcnt vmcnt(3)
	ds_write_b64 v65, v[10:11] offset:16384
	ds_write_b64 v9, v[12:13] offset:16384
	s_waitcnt vmcnt(2)
	ds_write_b64 v65, v[14:15] offset:24576
	ds_write_b64 v9, v[16:17] offset:24576
	s_waitcnt vmcnt(1)
	ds_write_b64 v65, v[18:19] offset:20480
	ds_write_b64 v27, v[20:21] offset:16384
	s_waitcnt vmcnt(0)
	ds_write_b64 v65, v[22:23] offset:28672
	ds_write_b64 v27, v[24:25] offset:24576
	v_lshl_add_u32 v9, v26, 1, v61
	s_cbranch_scc0 .LBB698_29
; %bb.2:
	v_lshlrev_b32_e32 v11, 1, v9
	v_add_lshl_u32 v10, v9, s15, 1
	s_lshl_b32 s22, s15, 7
	v_lshl_or_b32 v5, v59, 9, v5
	s_cbranch_execz .LBB698_30
	s_branch .LBB698_31
.LBB698_3:
	v_mov_b32_e32 v9, v60
	v_mov_b32_e32 v5, v63
.LBB698_4:
	s_lshl_b32 s26, s54, 6
	s_sub_i32 s27, s12, s26
	s_cmp_gt_i32 s27, 0
	s_cbranch_scc0 .LBB698_76
; %bb.5:
	s_ashr_i32 s3, s26, 31
	s_cmpk_lg_i32 s15, 0x80
	s_cselect_b64 s[22:23], -1, 0
	s_and_b64 vcc, exec, s[22:23]
	s_cbranch_vccz .LBB698_7
; %bb.6:
	s_mul_i32 s1, s53, s12
	s_mul_hi_i32 s0, s53, s12
	s_add_u32 s1, s1, s26
	s_addc_u32 s0, s0, s3
	s_mul_i32 s17, s1, s56
	s_mul_hi_u32 s20, s1, s14
	s_add_i32 s17, s20, s17
	s_mul_i32 s0, s0, s14
	s_add_i32 s17, s17, s0
	s_mul_i32 s1, s1, s14
	s_ashr_i32 s0, s57, 31
	s_add_u32 s24, s1, s57
	s_addc_u32 s25, s17, s0
	s_cbranch_execz .LBB698_8
	s_branch .LBB698_9
.LBB698_7:
                                        ; implicit-def: $sgpr24_sgpr25
.LBB698_8:
	s_mul_hi_i32 s0, s53, s14
	s_mul_i32 s53, s53, s14
	s_ashr_i32 s1, s57, 31
	s_add_u32 s14, s53, s57
	s_addc_u32 s0, s0, s1
	s_mul_i32 s1, s14, s52
	s_mul_hi_u32 s17, s14, s12
	s_add_i32 s1, s17, s1
	s_mul_i32 s0, s0, s12
	s_add_i32 s1, s1, s0
	s_mul_i32 s14, s14, s12
	s_add_u32 s24, s14, s26
	s_addc_u32 s25, s1, s3
.LBB698_9:
	s_mul_i32 s0, s40, s52
	s_add_i32 s0, s59, s0
	s_add_i32 s14, s58, s54
	;; [unrolled: 1-line block ×3, first 2 shown]
	s_add_u32 s0, s16, s26
	s_addc_u32 s1, s1, s3
	s_mov_b32 s3, 0x7060302
	v_lshlrev_b32_e32 v14, 3, v54
	s_lshl_b64 s[20:21], s[0:1], 8
	v_perm_b32 v11, v5, v4, s3
	v_perm_b32 v10, v3, v2, s3
	;; [unrolled: 1-line block ×4, first 2 shown]
	v_lshlrev_b32_e32 v48, 2, v54
	v_lshl_or_b32 v14, v57, 5, v14
	s_waitcnt lgkmcnt(0)
	s_add_u32 s0, s6, s20
	ds_write2st64_b64 v14, v[10:11], v[12:13] offset0:72 offset1:76
	v_xor_b32_e32 v14, v57, v48
	v_lshlrev_b32_e32 v15, 8, v54
	s_addc_u32 s1, s7, s21
	v_lshl_or_b32 v14, v14, 1, v15
	s_mul_hi_i32 s3, s14, s13
	s_mul_i32 s14, s14, s13
	ds_write_b64 v14, v[10:11] offset:32768
	v_xor_b32_e32 v10, v58, v48
	s_add_u32 s6, s14, s51
	v_lshl_or_b32 v10, v10, 1, v15
	s_addc_u32 s7, s3, s55
	v_lshlrev_b32_e32 v11, 1, v54
	ds_write_b64 v10, v[12:13] offset:32768
	v_lshrrev_b32_e32 v10, 4, v0
	s_ashr_i32 s3, s2, 31
	s_lshl_b64 s[6:7], s[6:7], 15
	v_or_b32_e32 v12, 1, v11
	s_add_u32 s6, s18, s6
	v_xor_b32_e32 v11, v10, v11
	v_xor_b32_e32 v12, v12, v10
	v_lshlrev_b32_e32 v14, 8, v10
	s_addc_u32 s7, s19, s7
	s_lshl_b64 s[2:3], s[2:3], 8
	v_lshl_or_b32 v10, v11, 3, v14
	v_lshl_or_b32 v12, v12, 3, v14
	s_waitcnt lgkmcnt(0)
	s_barrier
	s_add_u32 s2, s6, s2
	ds_read_b64 v[10:11], v10 offset:32768
	ds_read_b64 v[12:13], v12 offset:32768
	s_addc_u32 s3, s7, s3
	v_mov_b32_e32 v15, 0
	s_cmp_lg_u32 s27, 64
	v_lshl_add_u64 v[16:17], s[2:3], 0, v[14:15]
	v_lshlrev_b32_e32 v14, 4, v54
	s_cselect_b64 s[6:7], -1, 0
	v_lshl_or_b32 v47, v1, 3, v56
	s_mov_b32 s16, 0
	v_lshl_add_u64 v[14:15], v[16:17], 0, v[14:15]
	s_waitcnt vmcnt(1)
	v_or_b32_e32 v27, 32, v47
	v_and_b32_e32 v26, 56, v55
	s_and_b64 vcc, exec, s[6:7]
	s_waitcnt lgkmcnt(0)
	global_store_dwordx4 v[14:15], v[10:13], off
	s_cbranch_vccz .LBB698_15
; %bb.10:
	s_mov_b32 s17, s16
	s_mov_b32 s18, s16
	;; [unrolled: 1-line block ×3, first 2 shown]
	v_mov_b64_e32 v[14:15], s[16:17]
	v_mov_b64_e32 v[16:17], s[18:19]
	;; [unrolled: 1-line block ×3, first 2 shown]
	v_cmp_gt_i32_e32 vcc, s27, v47
	v_mov_b64_e32 v[12:13], v[16:17]
	s_and_saveexec_b64 s[2:3], vcc
	s_cbranch_execz .LBB698_12
; %bb.11:
	v_lshlrev_b32_e32 v10, 8, v47
	v_mov_b32_e32 v11, 0
	v_lshl_add_u64 v[12:13], s[0:1], 0, v[10:11]
	v_lshlrev_b32_e32 v10, 1, v26
	v_lshl_add_u64 v[18:19], v[12:13], 0, v[10:11]
	global_load_dwordx4 v[14:17], v[18:19], off
	global_load_dwordx4 v[10:13], v[18:19], off offset:128
.LBB698_12:
	s_or_b64 exec, exec, s[2:3]
	s_mov_b32 s18, s16
	s_mov_b32 s19, s16
	;; [unrolled: 1-line block ×3, first 2 shown]
	v_mov_b64_e32 v[24:25], s[18:19]
	v_mov_b64_e32 v[22:23], s[16:17]
	;; [unrolled: 1-line block ×3, first 2 shown]
	v_cmp_gt_i32_e32 vcc, s27, v27
	v_lshlrev_b32_e32 v28, 7, v27
	v_mov_b64_e32 v[20:21], v[24:25]
	s_and_saveexec_b64 s[2:3], vcc
	s_cbranch_execz .LBB698_14
; %bb.13:
	v_lshlrev_b32_e32 v18, 1, v28
	v_mov_b32_e32 v19, 0
	v_lshl_add_u64 v[20:21], s[0:1], 0, v[18:19]
	v_lshlrev_b32_e32 v18, 1, v26
	v_lshl_add_u64 v[30:31], v[20:21], 0, v[18:19]
	global_load_dwordx4 v[22:25], v[30:31], off
	global_load_dwordx4 v[18:21], v[30:31], off offset:128
.LBB698_14:
	s_or_b64 exec, exec, s[2:3]
	v_lshrrev_b32_e32 v29, 3, v26
	v_lshlrev_b32_e32 v30, 3, v47
	v_or_b32_e32 v29, v30, v29
	v_lshlrev_b32_e32 v29, 4, v29
	v_and_b32_e32 v30, 0x78, v30
	v_xor_b32_e32 v29, v29, v30
	s_branch .LBB698_17
.LBB698_15:
                                        ; implicit-def: $vgpr29
                                        ; implicit-def: $vgpr28
                                        ; implicit-def: $vgpr14_vgpr15_vgpr16_vgpr17
                                        ; implicit-def: $vgpr10_vgpr11_vgpr12_vgpr13
                                        ; implicit-def: $vgpr22_vgpr23_vgpr24_vgpr25
                                        ; implicit-def: $vgpr18_vgpr19_vgpr20_vgpr21
	s_cbranch_execz .LBB698_17
; %bb.16:
	s_waitcnt vmcnt(0)
	v_lshlrev_b32_e32 v10, 1, v26
	v_lshl_or_b32 v28, v47, 8, v10
	s_and_b32 s1, s1, 0xffff
	s_mov_b32 s3, 0x20000
	s_movk_i32 s2, 0x4000
	v_lshl_or_b32 v29, v27, 8, v10
	s_movk_i32 s13, 0x80
	buffer_load_dwordx4 v[14:17], v28, s[0:3], 0 offen
	buffer_load_dwordx4 v[10:13], v28, s[0:3], s13 offen
	;; [unrolled: 1-line block ×4, first 2 shown]
	v_lshrrev_b32_e32 v28, 3, v26
	v_lshlrev_b32_e32 v29, 3, v47
	v_or_b32_e32 v28, v29, v28
	v_lshlrev_b32_e32 v28, 4, v28
	v_and_b32_e32 v29, 0x78, v29
	v_xor_b32_e32 v29, v28, v29
	v_lshlrev_b32_e32 v28, 7, v27
.LBB698_17:
	s_lshl_b64 s[0:1], s[24:25], 8
	s_add_u32 s4, s4, s0
	s_movk_i32 s0, 0x1000
	v_and_or_b32 v27, v28, s0, v29
	s_waitcnt vmcnt(1)
	ds_write_b64 v29, v[14:15] offset:16384
	v_xor_b32_e32 v14, 8, v29
	ds_write_b64 v14, v[16:17] offset:16384
	s_waitcnt vmcnt(0)
	ds_write_b64 v29, v[10:11] offset:24576
	ds_write_b64 v14, v[12:13] offset:24576
	;; [unrolled: 1-line block ×3, first 2 shown]
	v_xor_b32_e32 v10, 8, v27
	ds_write_b64 v10, v[24:25] offset:16384
	ds_write_b64 v27, v[18:19] offset:24576
	;; [unrolled: 1-line block ×3, first 2 shown]
	v_or_b32_e32 v10, v52, v54
	s_addc_u32 s5, s5, s1
	s_add_i32 s0, s12, -1
	v_lshlrev_b32_e32 v10, 3, v10
	v_lshrrev_b32_e32 v12, 5, v45
	s_movk_i32 s12, 0xf8
	v_and_or_b32 v12, v10, s12, v12
	v_lshlrev_b32_e32 v49, 11, v1
	v_lshlrev_b32_e32 v20, 4, v12
	v_and_b32_e32 v21, 0x78, v10
	v_and_b32_e32 v22, 0x1000, v49
	v_lshlrev_b32_e32 v11, 2, v0
	v_xor_b32_e32 v10, v20, v21
	v_lshrrev_b32_e32 v12, 1, v45
	v_and_b32_e32 v11, 60, v11
	v_or_b32_e32 v10, v10, v22
	v_and_b32_e32 v23, 8, v12
	v_xor_b32_e32 v34, v10, v23
	v_lshl_or_b32 v10, v53, 6, v11
	v_lshlrev_b32_e32 v50, 1, v10
	v_or_b32_e32 v10, 32, v20
	v_xor_b32_e32 v10, v10, v21
	s_waitcnt lgkmcnt(0)
	s_barrier
	ds_read_b64 v[18:19], v34 offset:16384
	v_or_b32_e32 v10, v10, v22
	v_xor_b32_e32 v35, v10, v23
	v_or_b32_e32 v10, 64, v20
	v_xor_b32_e32 v10, v10, v21
	v_or_b32_e32 v10, v10, v22
	v_or_b32_e32 v20, 0x60, v20
	v_xor_b32_e32 v36, v10, v23
	ds_read2st64_b64 v[10:13], v50 offset0:72 offset1:73
	ds_read2st64_b64 v[14:17], v50 offset0:74 offset1:75
	v_xor_b32_e32 v24, v20, v21
	ds_read_b64 v[20:21], v35 offset:16384
	s_add_i32 s1, s46, s33
	s_waitcnt lgkmcnt(2)
	v_mfma_f32_16x16x16_bf16 a[0:3], v[18:19], v[10:11], 0
	s_add_i32 s39, s1, s50
	s_add_i32 s1, s48, s47
	;; [unrolled: 1-line block ×3, first 2 shown]
	s_ashr_i32 s1, s0, 31
	s_mul_i32 s2, s0, s35
	s_mul_hi_u32 s3, s0, s34
	s_add_i32 s2, s3, s2
	s_mul_i32 s1, s1, s34
	v_or_b32_e32 v22, v24, v22
	s_add_i32 s1, s2, s1
	s_lshl_b64 s[2:3], s[38:39], 2
	v_xor_b32_e32 v51, v22, v23
	ds_read_b64 v[22:23], v36 offset:16384
	ds_read_b64 v[24:25], v51 offset:16384
	s_waitcnt lgkmcnt(2)
	v_mfma_f32_16x16x16_bf16 a[0:3], v[20:21], v[12:13], a[0:3]
	s_add_u32 s10, s10, s2
	s_addc_u32 s11, s11, s3
	s_lshl_b64 s[2:3], s[36:37], 2
	s_mul_i32 s0, s0, s34
	s_add_u32 s10, s10, s2
	s_addc_u32 s11, s11, s3
	s_lshl_b64 s[0:1], s[0:1], 2
	s_waitcnt lgkmcnt(1)
	v_mfma_f32_16x16x16_bf16 a[0:3], v[22:23], v[14:15], a[0:3]
	s_add_u32 s0, s10, s0
	s_addc_u32 s1, s11, s1
	s_load_dword s12, s[0:1], 0x0
	s_waitcnt lgkmcnt(0)
	v_mfma_f32_16x16x16_bf16 a[0:3], v[24:25], v[16:17], a[0:3]
	s_and_b64 vcc, exec, s[22:23]
	s_cbranch_vccz .LBB698_28
; %bb.18:
	v_lshlrev_b32_e32 v27, 1, v47
	s_and_b64 vcc, exec, s[6:7]
	s_cbranch_vccz .LBB698_44
; %bb.19:
	v_cmp_gt_i32_e32 vcc, s27, v27
	v_mov_b32_e32 v14, 0
	v_mov_b32_e32 v10, 0
	;; [unrolled: 1-line block ×5, first 2 shown]
	s_and_saveexec_b64 s[0:1], vcc
	s_cbranch_execz .LBB698_21
; %bb.20:
	v_mad_i64_i32 v[10:11], s[2:3], s15, v27, 0
	v_lshl_add_u64 v[10:11], v[10:11], 1, s[4:5]
	v_lshlrev_b32_e32 v12, 1, v26
	v_mov_b32_e32 v13, 0
	v_lshl_add_u64 v[10:11], v[10:11], 0, v[12:13]
	global_load_dwordx4 v[10:13], v[10:11], off
.LBB698_21:
	s_or_b64 exec, exec, s[0:1]
	v_or_b32_e32 v28, 1, v27
	v_cmp_gt_i32_e64 s[0:1], s27, v28
	v_mov_b32_e32 v15, 0
	v_mov_b32_e32 v16, 0
	;; [unrolled: 1-line block ×3, first 2 shown]
	s_and_saveexec_b64 s[2:3], s[0:1]
	s_cbranch_execz .LBB698_23
; %bb.22:
	v_mad_i64_i32 v[14:15], s[16:17], s15, v28, 0
	v_lshl_add_u64 v[14:15], v[14:15], 1, s[4:5]
	v_lshlrev_b32_e32 v16, 1, v26
	v_mov_b32_e32 v17, 0
	v_lshl_add_u64 v[14:15], v[14:15], 0, v[16:17]
	global_load_dwordx4 v[14:17], v[14:15], off
.LBB698_23:
	s_or_b64 exec, exec, s[2:3]
	v_mov_b32_e32 v25, 0
	v_mov_b32_e32 v18, 0
	;; [unrolled: 1-line block ×5, first 2 shown]
	s_and_saveexec_b64 s[2:3], vcc
	s_cbranch_execz .LBB698_25
; %bb.24:
	v_mad_i64_i32 v[18:19], s[16:17], s15, v27, 0
	v_lshl_add_u64 v[18:19], v[18:19], 1, s[4:5]
	v_lshlrev_b32_e32 v20, 1, v26
	v_mov_b32_e32 v21, 0
	v_lshl_add_u64 v[18:19], v[18:19], 0, v[20:21]
	global_load_dwordx4 v[18:21], v[18:19], off offset:128
.LBB698_25:
	s_or_b64 exec, exec, s[2:3]
	v_mov_b32_e32 v24, 0
	v_mov_b32_e32 v23, 0
	;; [unrolled: 1-line block ×3, first 2 shown]
	s_and_saveexec_b64 s[2:3], s[0:1]
	s_cbranch_execz .LBB698_27
; %bb.26:
	v_mad_i64_i32 v[22:23], s[0:1], s15, v28, 0
	v_lshl_add_u64 v[22:23], v[22:23], 1, s[4:5]
	v_lshlrev_b32_e32 v24, 1, v26
	v_mov_b32_e32 v25, 0
	v_lshl_add_u64 v[22:23], v[22:23], 0, v[24:25]
	global_load_dwordx4 v[22:25], v[22:23], off offset:128
.LBB698_27:
	s_or_b64 exec, exec, s[2:3]
	s_branch .LBB698_46
.LBB698_28:
                                        ; implicit-def: $vgpr13
                                        ; implicit-def: $vgpr17
                                        ; implicit-def: $vgpr21
                                        ; implicit-def: $vgpr25
	v_lshrrev_b32_e32 v45, 2, v45
	s_branch .LBB698_47
.LBB698_29:
                                        ; implicit-def: $vgpr10
                                        ; implicit-def: $vgpr11
                                        ; implicit-def: $sgpr22
	v_lshl_or_b32 v5, v59, 9, v5
.LBB698_30:
	v_or_b32_e32 v10, 0x100, v5
	s_movk_i32 s22, 0x4000
	v_mov_b32_e32 v11, v5
.LBB698_31:
	s_mul_hi_u32 s20, s14, s12
	s_mul_i32 s21, s56, s12
	s_add_i32 s20, s20, s21
	s_mul_i32 s21, s14, s12
	s_mul_i32 s23, s21, s3
	s_mul_hi_u32 s24, s21, s53
	s_add_i32 s23, s24, s23
	s_mul_i32 s20, s20, s53
	s_add_i32 s23, s23, s20
	s_mul_i32 s21, s21, s53
	s_ashr_i32 s61, s57, 31
	s_add_u32 s20, s21, s57
	s_addc_u32 s21, s23, s61
	s_lshl_b64 s[20:21], s[20:21], 8
	s_add_u32 s20, s4, s20
	s_addc_u32 s21, s5, s21
	s_and_b32 s21, s21, 0xffff
	s_mov_b32 s23, 0x20000
	s_movk_i32 s62, 0x80
	buffer_load_dwordx4 v[12:15], v11, s[20:23], 0 offen
	buffer_load_dwordx4 v[16:19], v11, s[20:23], s62 offen
	;; [unrolled: 1-line block ×4, first 2 shown]
	v_and_b32_e32 v10, 6, v0
	v_lshlrev_b32_e32 v28, 2, v54
	v_lshlrev_b32_e32 v29, 3, v54
	v_xor_b32_e32 v31, v59, v10
	v_and_b32_e32 v11, 1, v0
	s_mul_i32 s3, s3, s12
	s_mul_hi_u32 s20, s53, s12
	v_lshl_or_b32 v29, v57, 5, v29
	v_xor_b32_e32 v32, v57, v28
	v_lshlrev_b32_e32 v31, 2, v31
	v_or_b32_e32 v67, 0x9000, v29
	v_or_b32_e32 v68, 0x9800, v29
	v_lshlrev_b32_e32 v29, 1, v32
	v_xor_b32_e32 v32, 0x440, v31
	v_cmp_eq_u32_e32 vcc, 0, v11
	s_add_i32 s67, s20, s3
	s_add_i32 s3, s46, s33
	v_cndmask_b32_e32 v11, v32, v31, vcc
	s_add_i32 s20, s48, s47
	s_add_i32 s39, s3, s50
	s_mov_b32 s64, 0x1000504
	v_lshlrev_b32_e32 v30, 8, v54
	s_mov_b32 s22, 0x8000
	v_xor_b32_e32 v28, v58, v28
	v_lshl_or_b32 v10, v10, 10, v11
	s_add_i32 s37, s20, s49
	s_lshl_b64 s[20:21], s[38:39], 2
	s_mov_b32 s65, 0x3020706
	v_lshlrev_b32_e32 v28, 1, v28
	v_or3_b32 v69, v29, v30, s22
	v_xor_b32_e32 v11, 8, v10
	v_xor_b32_e32 v29, 24, v10
	;; [unrolled: 1-line block ×4, first 2 shown]
	s_add_u32 s3, s10, s20
	v_or3_b32 v70, v28, v30, s22
	v_xor_b32_e32 v28, 16, v10
	v_xor_b32_e32 v30, 32, v10
	;; [unrolled: 1-line block ×3, first 2 shown]
	v_add_u32_e32 v11, 0x80, v11
	v_add_u32_e32 v29, 0x80, v29
	;; [unrolled: 1-line block ×4, first 2 shown]
	s_addc_u32 s24, s11, s21
	s_lshl_b64 s[20:21], s[36:37], 2
	s_add_u32 s42, s3, s20
	s_movk_i32 s3, 0xf8
	s_addc_u32 s43, s24, s21
	v_ashrrev_i32_e32 v47, 31, v46
	s_lshl_b32 s26, s15, 7
	s_mov_b32 s63, 0
	s_mul_i32 s66, s53, s12
	s_mov_b32 s39, 0
	s_waitcnt vmcnt(1)
	v_perm_b32 v34, v12, v20, s64
	s_waitcnt vmcnt(0)
	v_perm_b32 v35, v16, v24, s64
	v_perm_b32 v12, v12, v20, s65
	;; [unrolled: 1-line block ×15, first 2 shown]
	ds_write2st64_b32 v10, v34, v35 offset1:32
	ds_write2st64_b32 v11, v12, v16 offset1:32
	ds_write2st64_b32 v28, v20, v24 offset0:1 offset1:33
	ds_write2st64_b32 v29, v13, v17 offset0:1 offset1:33
	;; [unrolled: 1-line block ×6, first 2 shown]
	v_or_b32_e32 v10, v52, v54
	v_lshlrev_b32_e32 v10, 3, v10
	v_lshrrev_b32_e32 v12, 5, v45
	v_and_or_b32 v12, v10, s3, v12
	v_lshlrev_b32_e32 v12, 4, v12
	v_lshlrev_b32_e32 v16, 11, v1
	v_and_b32_e32 v10, 0x78, v10
	v_or_b32_e32 v15, 32, v12
	v_and_b32_e32 v11, 0x1000, v16
	v_xor_b32_e32 v13, v12, v10
	v_lshrrev_b32_e32 v17, 1, v0
	v_xor_b32_e32 v15, v15, v10
	v_or_b32_e32 v13, v13, v11
	v_and_b32_e32 v14, 8, v17
	v_or_b32_e32 v15, v15, v11
	v_xor_b32_e32 v71, v13, v14
	v_and_b32_e32 v13, 0x78, v55
	v_xor_b32_e32 v73, v15, v14
	v_or_b32_e32 v15, 64, v12
	v_or_b32_e32 v12, 0x60, v12
	v_lshl_or_b32 v13, v53, 7, v13
	v_xor_b32_e32 v15, v15, v10
	v_xor_b32_e32 v10, v12, v10
	v_or_b32_e32 v72, 0x9000, v13
	v_or_b32_e32 v15, v15, v11
	;; [unrolled: 1-line block ×4, first 2 shown]
	v_lshrrev_b32_e32 v12, 4, v0
	v_lshlrev_b32_e32 v13, 1, v54
	v_xor_b32_e32 v74, v15, v14
	v_xor_b32_e32 v75, v10, v14
	s_ashr_i32 s3, s2, 31
	v_or_b32_e32 v14, 1, v13
	v_xor_b32_e32 v13, v12, v13
	s_lshl_b64 s[20:21], s[2:3], 8
	v_xor_b32_e32 v14, v14, v12
	v_lshlrev_b32_e32 v13, 3, v13
	v_lshlrev_b32_e32 v12, 8, v12
	v_lshl_add_u64 v[10:11], v[46:47], 1, s[8:9]
	s_add_u32 s20, s18, s20
	v_or3_b32 v47, v13, v12, s22
	v_lshlrev_b32_e32 v13, 3, v14
	s_addc_u32 s21, s19, s21
	v_or3_b32 v77, v13, v12, s22
	v_mov_b32_e32 v13, 0
	v_lshl_add_u64 v[14:15], s[20:21], 0, v[12:13]
	v_lshlrev_b32_e32 v12, 4, v54
	s_movk_i32 s3, 0xff
	v_lshlrev_b32_e32 v21, 3, v1
	v_and_b32_e32 v17, 24, v17
	v_lshl_add_u64 v[48:49], v[14:15], 0, v[12:13]
	v_and_b32_e32 v14, 8, v0
	v_cmp_lt_u32_e32 vcc, s3, v0
	v_xor_b32_e32 v22, v21, v17
	v_or_b32_e32 v23, 0x440, v22
	v_cndmask_b32_e64 v20, 0, 1, vcc
	v_cmp_eq_u32_e32 vcc, 0, v14
	v_and_b32_e32 v12, 7, v0
	v_lshlrev_b32_e32 v15, 3, v12
	v_cndmask_b32_e32 v14, v23, v22, vcc
	v_lshlrev_b32_e32 v12, 7, v12
	v_or_b32_e32 v14, v14, v16
	v_xad_u32 v78, v14, v15, v12
	v_or_b32_e32 v14, 32, v17
	v_xor_b32_e32 v14, v21, v14
	v_or_b32_e32 v22, 0x440, v14
	v_cndmask_b32_e32 v14, v22, v14, vcc
	v_or_b32_e32 v14, v14, v16
	v_xad_u32 v79, v14, v15, v12
	v_or_b32_e32 v14, 64, v17
	v_xor_b32_e32 v14, v21, v14
	v_xor_b32_e32 v22, 0x440, v14
	v_cndmask_b32_e32 v14, v22, v14, vcc
	v_or_b32_e32 v14, v14, v16
	v_xad_u32 v80, v14, v15, v12
	v_or_b32_e32 v14, 0x60, v17
	v_xor_b32_e32 v14, v21, v14
	v_xor_b32_e32 v17, 0x440, v14
	v_cndmask_b32_e32 v14, v17, v14, vcc
	v_or_b32_e32 v14, v14, v16
	v_lshlrev_b32_e32 v18, 1, v9
	v_add_lshl_u32 v9, v9, s15, 1
	v_or_b32_e32 v19, 0x100, v5
	v_lshlrev_b32_e32 v20, 13, v20
	v_xad_u32 v81, v14, v15, v12
	v_lshlrev_b32_e32 v12, 8, v57
	v_cndmask_b32_e64 v82, v18, v5, s[0:1]
	v_cndmask_b32_e64 v83, v9, v19, s[0:1]
	v_lshl_add_u64 v[50:51], v[10:11], 0, v[12:13]
	s_mov_b32 s3, 0x7060302
	s_movk_i32 s22, 0x4000
	v_add_u32_e32 v84, v20, v78
	v_add_u32_e32 v85, v20, v79
	;; [unrolled: 1-line block ×4, first 2 shown]
	s_waitcnt lgkmcnt(0)
	s_barrier
.LBB698_32:                             ; =>This Inner Loop Header: Depth=1
	s_add_i32 s37, s39, 1
	s_cmp_lt_i32 s37, s54
	s_mov_b64 s[24:25], 0
	s_cselect_b64 s[44:45], -1, 0
	s_cmp_ge_i32 s37, s54
	s_mov_b64 s[20:21], 0
	s_cbranch_scc1 .LBB698_34
; %bb.33:                               ;   in Loop: Header=BB698_32 Depth=1
	s_add_i32 s0, s63, 64
	s_add_u32 s0, s16, s0
	s_addc_u32 s1, s17, 0
	s_lshl_b64 s[0:1], s[0:1], 8
	s_add_u32 s20, s6, s0
	s_addc_u32 s21, s7, s1
.LBB698_34:                             ;   in Loop: Header=BB698_32 Depth=1
	v_cndmask_b32_e64 v5, 0, 1, s[44:45]
	v_cmp_ne_u32_e64 s[0:1], 1, v5
	s_andn2_b64 vcc, exec, s[44:45]
	s_cbranch_vccnz .LBB698_36
; %bb.35:                               ;   in Loop: Header=BB698_32 Depth=1
	s_add_i32 s24, s63, 64
	s_add_u32 s24, s66, s24
	s_addc_u32 s25, s67, 0
	s_mul_i32 s27, s24, s56
	s_mul_hi_u32 s44, s24, s60
	s_add_i32 s27, s44, s27
	s_mul_i32 s25, s25, s60
	s_add_i32 s27, s27, s25
	s_mul_i32 s24, s24, s60
	s_add_u32 s24, s24, s57
	s_addc_u32 s25, s27, s61
	s_lshl_b64 s[24:25], s[24:25], 8
	s_add_u32 s24, s4, s24
	s_addc_u32 s25, s5, s25
.LBB698_36:                             ;   in Loop: Header=BB698_32 Depth=1
	v_perm_b32 v11, v63, v4, s3
	v_perm_b32 v10, v3, v2, s3
	;; [unrolled: 1-line block ×4, first 2 shown]
	ds_write_b64 v67, v[10:11]
	ds_write_b64 v68, v[12:13]
	;; [unrolled: 1-line block ×4, first 2 shown]
	s_waitcnt lgkmcnt(0)
	s_barrier
	ds_read_b64 v[18:19], v71 offset:16384
	ds_read_b64 v[20:21], v73 offset:16384
	ds_read2st64_b64 v[10:13], v72 offset1:1
	ds_read2st64_b64 v[14:17], v72 offset0:2 offset1:3
	ds_read_b64 v[22:23], v74 offset:16384
	s_waitcnt lgkmcnt(2)
	v_mfma_f32_16x16x16_bf16 a[0:3], v[18:19], v[10:11], 0
	ds_read_b64 v[10:11], v75 offset:16384
	s_add_i32 s27, s63, 63
	s_mul_i32 s44, s27, s35
	v_mfma_f32_16x16x16_bf16 a[0:3], v[20:21], v[12:13], a[0:3]
	s_mul_hi_u32 s45, s27, s34
	s_add_i32 s45, s45, s44
	s_mul_i32 s44, s27, s34
	s_waitcnt lgkmcnt(1)
	v_mfma_f32_16x16x16_bf16 a[0:3], v[22:23], v[14:15], a[0:3]
	s_lshl_b64 s[44:45], s[44:45], 2
	s_add_u32 s44, s42, s44
	s_addc_u32 s45, s43, s45
	s_waitcnt lgkmcnt(0)
	v_mfma_f32_16x16x16_bf16 a[0:3], v[10:11], v[16:17], a[0:3]
	s_and_b64 vcc, exec, s[0:1]
	v_mov_b32_e32 v88, 0
	v_mov_b32_e32 v9, 0
	;; [unrolled: 1-line block ×19, first 2 shown]
	s_cbranch_vccnz .LBB698_38
; %bb.37:                               ;   in Loop: Header=BB698_32 Depth=1
	s_and_b32 s21, s21, 0xffff
	buffer_load_dwordx4 v[22:25], v62, s[20:23], 0 offen
	buffer_load_dwordx4 v[18:21], v62, s[20:23], s62 offen
	;; [unrolled: 1-line block ×4, first 2 shown]
	v_mov_b32_e32 v9, v65
	v_mov_b32_e32 v5, v66
.LBB698_38:                             ;   in Loop: Header=BB698_32 Depth=1
	s_waitcnt vmcnt(3)
	v_add_u32_e32 v32, s63, v57
	s_waitcnt vmcnt(1)
	v_ashrrev_i32_e32 v26, 31, v32
	v_mul_lo_u32 v28, v26, s34
	v_mul_lo_u32 v29, v32, s35
	v_mad_u64_u32 v[26:27], s[20:21], v32, s34, 0
	v_add3_u32 v27, v27, v29, v28
	v_add_u32_e32 v28, 1, v32
	v_ashrrev_i32_e32 v29, 31, v28
	v_mul_lo_u32 v30, v29, s34
	v_mul_lo_u32 v31, v28, s35
	v_mad_u64_u32 v[28:29], s[20:21], v28, s34, 0
	v_add3_u32 v29, v29, v31, v30
	v_add_u32_e32 v30, 2, v32
	v_ashrrev_i32_e32 v31, 31, v30
	v_mul_lo_u32 v33, v31, s34
	v_mul_lo_u32 v34, v30, s35
	v_mad_u64_u32 v[30:31], s[20:21], v30, s34, 0
	v_add_u32_e32 v32, 3, v32
	v_add3_u32 v31, v31, v34, v33
	v_ashrrev_i32_e32 v33, 31, v32
	v_mul_lo_u32 v36, v33, s34
	v_mul_lo_u32 v37, v32, s35
	v_mad_u64_u32 v[32:33], s[20:21], v32, s34, 0
	s_add_u32 s20, s16, s63
	s_addc_u32 s21, s17, 0
	s_lshl_b64 s[20:21], s[20:21], 8
	v_lshl_add_u64 v[26:27], v[26:27], 2, s[42:43]
	v_lshl_add_u64 v[34:35], v[50:51], 0, s[20:21]
	;; [unrolled: 1-line block ×3, first 2 shown]
	global_load_ushort v98, v[34:35], off
	global_load_ushort v99, v[34:35], off offset:256
	global_load_ushort v100, v[34:35], off offset:512
	;; [unrolled: 1-line block ×3, first 2 shown]
	v_add3_u32 v33, v33, v37, v36
	global_load_dword v102, v[26:27], off
	v_lshl_add_u64 v[30:31], v[30:31], 2, s[42:43]
	v_lshl_add_u64 v[26:27], v[32:33], 2, s[42:43]
	global_load_dword v103, v[28:29], off
	global_load_dword v104, v[30:31], off
	;; [unrolled: 1-line block ×3, first 2 shown]
	s_load_dword s20, s[44:45], 0x0
	ds_read2st64_b64 v[34:37], v76 offset1:1
	ds_read2st64_b64 v[90:93], v76 offset0:2 offset1:3
	ds_read_b64 v[38:39], v71 offset:24576
	ds_read_b64 v[40:41], v73 offset:24576
	;; [unrolled: 1-line block ×4, first 2 shown]
	s_waitcnt lgkmcnt(0)
	v_mfma_f32_16x16x16_bf16 a[0:3], v[38:39], v[34:35], a[0:3]
	v_mov_b32_e32 v89, 0
	v_mov_b32_e32 v26, 0
	v_mov_b32_e32 v27, 0
	v_mfma_f32_16x16x16_bf16 a[0:3], v[40:41], v[36:37], a[0:3]
	v_mov_b32_e32 v28, 0
	v_mov_b32_e32 v29, 0
	v_mov_b32_e32 v30, 0
	;; [unrolled: 4-line block ×4, first 2 shown]
	v_mov_b32_e32 v37, 0
	v_mov_b32_e32 v38, 0
	;; [unrolled: 1-line block ×4, first 2 shown]
	v_accvgpr_read_b32 v93, a1
	v_accvgpr_read_b32 v91, a3
	;; [unrolled: 1-line block ×4, first 2 shown]
	s_and_b64 vcc, exec, s[0:1]
	s_waitcnt vmcnt(7)
	v_lshlrev_b32_e32 v94, 16, v98
	s_waitcnt vmcnt(6)
	v_lshlrev_b32_e32 v95, 16, v99
	;; [unrolled: 2-line block ×4, first 2 shown]
	v_pk_add_f32 v[92:93], v[94:95], v[92:93] neg_lo:[0,1] neg_hi:[0,1]
	s_waitcnt vmcnt(3)
	v_sub_f32_e32 v41, s20, v102
	v_exp_f32_e32 v98, v41
	s_waitcnt vmcnt(2)
	v_sub_f32_e32 v41, s20, v103
	s_waitcnt vmcnt(1)
	v_sub_f32_e32 v100, s20, v104
	;; [unrolled: 2-line block ×3, first 2 shown]
	v_exp_f32_e32 v99, v41
	v_exp_f32_e32 v100, v100
	;; [unrolled: 1-line block ×3, first 2 shown]
	v_pk_add_f32 v[90:91], v[96:97], v[90:91] neg_lo:[0,1] neg_hi:[0,1]
	v_pk_mul_f32 v[92:93], v[98:99], v[92:93]
	v_mov_b32_e32 v41, 0
	v_pk_mul_f32 v[90:91], v[100:101], v[90:91]
	s_nop 0
	v_perm_b32 v91, v91, v90, s3
	v_perm_b32 v90, v93, v92, s3
	ds_write_b64 v68, v[90:91]
	s_cbranch_vccnz .LBB698_40
; %bb.39:                               ;   in Loop: Header=BB698_32 Depth=1
	s_and_b32 s25, s25, 0xffff
	s_mov_b32 s27, s23
	buffer_load_dwordx4 v[38:41], v82, s[24:27], 0 offen
	buffer_load_dwordx4 v[30:33], v82, s[24:27], s62 offen
	;; [unrolled: 1-line block ×4, first 2 shown]
	v_mov_b32_e32 v88, v61
	v_mov_b32_e32 v89, v59
.LBB698_40:                             ;   in Loop: Header=BB698_32 Depth=1
	s_waitcnt lgkmcnt(0)
	s_barrier
	ds_read_b64 v[98:99], v84
	ds_read2st64_b64 v[90:93], v76 offset1:1
	ds_read2st64_b64 v[94:97], v76 offset0:2 offset1:3
	ds_read_b64 v[100:101], v85
	ds_read_b64 v[102:103], v86
	;; [unrolled: 1-line block ×3, first 2 shown]
	s_waitcnt lgkmcnt(4)
	v_mfma_f32_16x16x16_bf16 a[0:3], v[98:99], v[90:91], 0
	ds_read_b64 v[98:99], v78 offset:8192
	ds_read_b64 v[106:107], v79 offset:8192
	s_add_i32 s21, s58, s39
	s_mul_hi_i32 s25, s21, s13
	s_waitcnt lgkmcnt(1)
	v_mfma_f32_16x16x16_bf16 a[4:7], v[98:99], v[90:91], 0
	s_mul_i32 s21, s21, s13
	s_add_u32 s24, s21, s51
	s_addc_u32 s25, s25, s55
	v_mfma_f32_16x16x16_bf16 a[0:3], v[100:101], v[92:93], a[0:3]
	ds_read_b64 v[98:99], v47
	ds_read_b64 v[100:101], v77
	ds_read_b64 v[90:91], v80 offset:8192
	s_lshl_b64 s[24:25], s[24:25], 15
	v_mfma_f32_16x16x16_bf16 a[0:3], v[102:103], v[94:95], a[0:3]
	ds_read_b64 v[102:103], v81 offset:8192
	s_and_b64 vcc, exec, s[0:1]
	s_waitcnt lgkmcnt(4)
	v_mfma_f32_16x16x16_bf16 a[4:7], v[106:107], v[92:93], a[4:7]
	s_waitcnt lgkmcnt(1)
	v_mfma_f32_16x16x16_bf16 a[4:7], v[90:91], v[94:95], a[4:7]
	v_lshl_add_u64 v[90:91], v[48:49], 0, s[24:25]
	global_store_dwordx4 v[90:91], v[98:101], off
	v_mfma_f32_16x16x16_bf16 a[0:3], v[104:105], v[96:97], a[0:3]
	s_waitcnt lgkmcnt(0)
	v_mfma_f32_16x16x16_bf16 a[4:7], v[102:103], v[96:97], a[4:7]
	s_cbranch_vccnz .LBB698_42
; %bb.41:                               ;   in Loop: Header=BB698_32 Depth=1
	v_lshrrev_b32_e32 v90, 3, v88
	v_and_b32_e32 v90, 6, v90
	v_xor_b32_e32 v89, v90, v89
	v_lshlrev_b32_e32 v89, 2, v89
	v_and_b32_e32 v88, 8, v88
	v_xor_b32_e32 v91, 0x440, v89
	v_cmp_eq_u32_e32 vcc, 0, v88
	s_barrier
	s_nop 0
	v_cndmask_b32_e32 v88, v91, v89, vcc
	v_lshl_or_b32 v88, v90, 10, v88
	s_waitcnt vmcnt(2)
	v_perm_b32 v89, v38, v34, s64
	s_waitcnt vmcnt(1)
	v_perm_b32 v90, v30, v26, s64
	ds_write2st64_b32 v88, v89, v90 offset1:32
	v_xor_b32_e32 v89, 8, v88
	v_perm_b32 v34, v38, v34, s65
	v_perm_b32 v26, v30, v26, s65
	v_add_u32_e32 v30, 0x80, v89
	ds_write2st64_b32 v30, v34, v26 offset1:32
	v_xor_b32_e32 v26, 16, v88
	v_perm_b32 v30, v39, v35, s64
	v_perm_b32 v34, v31, v27, s64
	ds_write2st64_b32 v26, v30, v34 offset0:1 offset1:33
	v_xor_b32_e32 v26, 24, v88
	v_perm_b32 v30, v39, v35, s65
	v_perm_b32 v27, v31, v27, s65
	v_add_u32_e32 v26, 0x80, v26
	ds_write2st64_b32 v26, v30, v27 offset0:1 offset1:33
	v_xor_b32_e32 v26, 32, v88
	v_perm_b32 v27, v40, v36, s64
	v_perm_b32 v30, v32, v28, s64
	ds_write2st64_b32 v26, v27, v30 offset0:2 offset1:34
	v_xor_b32_e32 v26, 40, v88
	v_perm_b32 v27, v40, v36, s65
	v_perm_b32 v28, v32, v28, s65
	v_add_u32_e32 v26, 0x80, v26
	ds_write2st64_b32 v26, v27, v28 offset0:2 offset1:34
	;; [unrolled: 9-line block ×3, first 2 shown]
	ds_write_b64 v9, v[22:23] offset:16384
	v_xor_b32_e32 v22, 8, v9
	ds_write_b64 v22, v[24:25] offset:16384
	ds_write_b64 v9, v[18:19] offset:24576
	;; [unrolled: 1-line block ×4, first 2 shown]
	v_xor_b32_e32 v9, 8, v5
	ds_write_b64 v9, v[16:17] offset:16384
	ds_write_b64 v5, v[10:11] offset:24576
	ds_write_b64 v9, v[12:13] offset:24576
.LBB698_42:                             ;   in Loop: Header=BB698_32 Depth=1
	v_exp_f32_e32 v10, s20
	s_nop 2
	v_accvgpr_read_b32 v9, a1
	v_accvgpr_read_b32 v5, a0
	s_add_i32 s63, s63, 64
	v_fma_f32 v3, v3, v10, v9
	v_accvgpr_read_b32 v9, a4
	v_fma_f32 v6, v6, v10, v9
	v_accvgpr_read_b32 v9, a5
	;; [unrolled: 2-line block ×6, first 2 shown]
	v_fmac_f32_e32 v5, v63, v10
	s_cmp_eq_u32 s54, s37
	v_fmac_f32_e32 v9, v60, v10
	s_cbranch_scc1 .LBB698_4
; %bb.43:                               ;   in Loop: Header=BB698_32 Depth=1
	s_mov_b32 s39, s37
	v_mov_b32_e32 v63, v5
	v_mov_b32_e32 v60, v9
	s_branch .LBB698_32
.LBB698_44:
                                        ; implicit-def: $vgpr13
                                        ; implicit-def: $vgpr17
                                        ; implicit-def: $vgpr21
                                        ; implicit-def: $vgpr25
	s_cbranch_execz .LBB698_46
; %bb.45:
	s_waitcnt vmcnt(0)
	v_mad_u64_u32 v[10:11], s[0:1], v27, s15, v[26:27]
	v_lshlrev_b32_e32 v27, 1, v10
	s_lshl_b32 s2, s15, 7
	s_and_b32 s1, s5, 0xffff
	s_mov_b32 s3, 0x20000
	s_mov_b32 s0, s4
	v_add_lshl_u32 v28, v10, s15, 1
	s_movk_i32 s13, 0x80
	buffer_load_dwordx4 v[10:13], v27, s[0:3], 0 offen
	buffer_load_dwordx4 v[18:21], v27, s[0:3], s13 offen
	;; [unrolled: 1-line block ×4, first 2 shown]
.LBB698_46:
	v_lshrrev_b32_e32 v45, 2, v45
	s_cbranch_execnz .LBB698_59
.LBB698_47:
	s_and_b64 vcc, exec, s[6:7]
	s_cbranch_vccz .LBB698_57
; %bb.48:
	s_waitcnt vmcnt(0)
	v_lshlrev_b32_e32 v15, 1, v47
	v_cmp_gt_i32_e32 vcc, s27, v15
	v_mov_b32_e32 v14, 0
	v_lshlrev_b32_e32 v22, 9, v47
	v_mov_b32_e32 v10, 0
	v_mov_b32_e32 v11, 0
	;; [unrolled: 1-line block ×4, first 2 shown]
	s_and_saveexec_b64 s[0:1], vcc
	s_cbranch_execz .LBB698_50
; %bb.49:
	v_mov_b32_e32 v23, 0
	v_lshl_add_u64 v[10:11], s[4:5], 0, v[22:23]
	v_lshlrev_b32_e32 v12, 1, v26
	v_mov_b32_e32 v13, v23
	v_lshl_add_u64 v[10:11], v[10:11], 0, v[12:13]
	global_load_dwordx4 v[10:13], v[10:11], off
.LBB698_50:
	s_or_b64 exec, exec, s[0:1]
	v_or_b32_e32 v15, 1, v15
	v_cmp_gt_i32_e64 s[0:1], s27, v15
	v_lshlrev_b32_e32 v28, 8, v15
	v_mov_b32_e32 v15, 0
	v_mov_b32_e32 v16, 0
	;; [unrolled: 1-line block ×3, first 2 shown]
	s_and_saveexec_b64 s[2:3], s[0:1]
	s_cbranch_execz .LBB698_52
; %bb.51:
	v_mov_b32_e32 v29, 0
	v_lshl_add_u64 v[14:15], s[4:5], 0, v[28:29]
	v_lshlrev_b32_e32 v16, 1, v26
	v_mov_b32_e32 v17, v29
	v_lshl_add_u64 v[14:15], v[14:15], 0, v[16:17]
	global_load_dwordx4 v[14:17], v[14:15], off
.LBB698_52:
	s_or_b64 exec, exec, s[2:3]
	v_mov_b32_e32 v25, 0
	v_mov_b32_e32 v18, 0
	;; [unrolled: 1-line block ×5, first 2 shown]
	s_and_saveexec_b64 s[2:3], vcc
	s_cbranch_execz .LBB698_54
; %bb.53:
	v_mov_b32_e32 v23, 0
	v_lshl_add_u64 v[18:19], s[4:5], 0, v[22:23]
	v_lshlrev_b32_e32 v22, 1, v26
	v_lshl_add_u64 v[18:19], v[18:19], 0, v[22:23]
	global_load_dwordx4 v[18:21], v[18:19], off offset:128
.LBB698_54:
	s_or_b64 exec, exec, s[2:3]
	v_mov_b32_e32 v24, 0
	v_mov_b32_e32 v23, 0
	;; [unrolled: 1-line block ×3, first 2 shown]
	s_and_saveexec_b64 s[2:3], s[0:1]
	s_cbranch_execz .LBB698_56
; %bb.55:
	v_mov_b32_e32 v29, 0
	v_lshl_add_u64 v[22:23], s[4:5], 0, v[28:29]
	v_lshlrev_b32_e32 v28, 1, v26
	v_lshl_add_u64 v[22:23], v[22:23], 0, v[28:29]
	global_load_dwordx4 v[22:25], v[22:23], off offset:128
.LBB698_56:
	s_or_b64 exec, exec, s[2:3]
	s_branch .LBB698_59
.LBB698_57:
                                        ; implicit-def: $vgpr13
                                        ; implicit-def: $vgpr17
                                        ; implicit-def: $vgpr21
                                        ; implicit-def: $vgpr25
	s_cbranch_execz .LBB698_59
; %bb.58:
	s_waitcnt vmcnt(0)
	v_lshlrev_b32_e32 v10, 1, v26
	v_lshl_or_b32 v26, v47, 9, v10
	s_and_b32 s5, s5, 0xffff
	s_mov_b32 s7, 0x20000
	s_movk_i32 s6, 0x4000
	s_movk_i32 s0, 0x80
	buffer_load_dwordx4 v[10:13], v26, s[4:7], 0 offen
	buffer_load_dwordx4 v[14:17], v26, s[4:7], 0 offen offset:256
	buffer_load_dwordx4 v[18:21], v26, s[4:7], s0 offen
	buffer_load_dwordx4 v[22:25], v26, s[4:7], s0 offen offset:256
.LBB698_59:
	ds_read2st64_b64 v[30:33], v50 offset0:76 offset1:77
	ds_read2st64_b64 v[26:29], v50 offset0:78 offset1:79
	ds_read_b64 v[38:39], v34 offset:24576
	ds_read_b64 v[40:41], v35 offset:24576
	;; [unrolled: 1-line block ×4, first 2 shown]
	v_and_b32_e32 v51, 6, v0
	v_xor_b32_e32 v47, v47, v51
	v_lshlrev_b32_e32 v47, 2, v47
	v_and_b32_e32 v53, 1, v0
	v_xor_b32_e32 v54, 0x440, v47
	v_cmp_eq_u32_e32 vcc, 0, v53
	s_mov_b32 s0, 0x1000504
	s_waitcnt vmcnt(0)
	v_perm_b32 v53, v18, v22, s0
	v_cndmask_b32_e32 v47, v54, v47, vcc
	v_lshl_or_b32 v47, v51, 10, v47
	v_perm_b32 v51, v10, v14, s0
	ds_write2st64_b32 v47, v51, v53 offset1:32
	v_xor_b32_e32 v51, 8, v47
	s_mov_b32 s1, 0x3020706
	v_perm_b32 v10, v10, v14, s1
	v_perm_b32 v14, v18, v22, s1
	v_add_u32_e32 v18, 0x80, v51
	ds_write2st64_b32 v18, v10, v14 offset1:32
	v_xor_b32_e32 v10, 16, v47
	v_perm_b32 v14, v11, v15, s0
	v_perm_b32 v18, v19, v23, s0
	ds_write2st64_b32 v10, v14, v18 offset0:1 offset1:33
	v_xor_b32_e32 v10, 24, v47
	v_perm_b32 v11, v11, v15, s1
	v_perm_b32 v14, v19, v23, s1
	v_add_u32_e32 v10, 0x80, v10
	ds_write2st64_b32 v10, v11, v14 offset0:1 offset1:33
	v_xor_b32_e32 v10, 32, v47
	v_perm_b32 v11, v12, v16, s0
	v_perm_b32 v14, v20, v24, s0
	ds_write2st64_b32 v10, v11, v14 offset0:2 offset1:34
	v_xor_b32_e32 v10, 40, v47
	v_perm_b32 v11, v12, v16, s1
	v_perm_b32 v12, v20, v24, s1
	v_add_u32_e32 v10, 0x80, v10
	ds_write2st64_b32 v10, v11, v12 offset0:2 offset1:34
	v_xor_b32_e32 v10, 48, v47
	v_perm_b32 v11, v13, v17, s0
	v_perm_b32 v12, v21, v25, s0
	ds_write2st64_b32 v10, v11, v12 offset0:3 offset1:35
	v_xor_b32_e32 v10, 56, v47
	v_and_or_b32 v16, v45, 12, v52
	v_perm_b32 v11, v13, v17, s1
	v_perm_b32 v12, v21, v25, s1
	v_add_u32_e32 v10, 0x80, v10
	v_cmp_gt_i32_e32 vcc, s27, v16
	v_mov_b32_e32 v17, 0
	v_mov_b32_e32 v21, 0
	ds_write2st64_b32 v10, v11, v12 offset0:3 offset1:35
	s_and_saveexec_b64 s[0:1], vcc
	s_cbranch_execz .LBB698_61
; %bb.60:
	v_add_u32_e32 v10, s26, v16
	v_ashrrev_i32_e32 v11, 31, v10
	v_mul_lo_u32 v12, v11, s34
	v_mul_lo_u32 v13, v10, s35
	v_mad_u64_u32 v[10:11], s[2:3], v10, s34, 0
	v_add3_u32 v11, v11, v13, v12
	v_lshl_add_u64 v[10:11], v[10:11], 2, s[10:11]
	global_load_dword v10, v[10:11], off
	s_waitcnt vmcnt(0)
	v_sub_f32_e32 v10, s12, v10
	v_exp_f32_e32 v21, v10
.LBB698_61:
	s_or_b64 exec, exec, s[0:1]
	v_or_b32_e32 v19, 1, v16
	v_cmp_gt_i32_e64 s[0:1], s27, v19
	s_and_saveexec_b64 s[2:3], s[0:1]
	s_cbranch_execz .LBB698_63
; %bb.62:
	v_add_u32_e32 v10, s26, v19
	v_ashrrev_i32_e32 v11, 31, v10
	v_mul_lo_u32 v12, v11, s34
	v_mul_lo_u32 v13, v10, s35
	v_mad_u64_u32 v[10:11], s[4:5], v10, s34, 0
	v_add3_u32 v11, v11, v13, v12
	v_lshl_add_u64 v[10:11], v[10:11], 2, s[10:11]
	global_load_dword v10, v[10:11], off
	s_waitcnt vmcnt(0)
	v_sub_f32_e32 v10, s12, v10
	v_exp_f32_e32 v17, v10
.LBB698_63:
	s_or_b64 exec, exec, s[2:3]
	v_or_b32_e32 v20, 2, v16
	v_cmp_gt_i32_e64 s[2:3], s27, v20
	v_mov_b32_e32 v18, 0
	v_mov_b32_e32 v23, 0
	s_and_saveexec_b64 s[4:5], s[2:3]
	s_cbranch_execz .LBB698_65
; %bb.64:
	v_add_u32_e32 v10, s26, v20
	v_ashrrev_i32_e32 v11, 31, v10
	v_mul_lo_u32 v12, v11, s34
	v_mul_lo_u32 v13, v10, s35
	v_mad_u64_u32 v[10:11], s[6:7], v10, s34, 0
	v_add3_u32 v11, v11, v13, v12
	v_lshl_add_u64 v[10:11], v[10:11], 2, s[10:11]
	global_load_dword v10, v[10:11], off
	s_waitcnt vmcnt(0)
	v_sub_f32_e32 v10, s12, v10
	v_exp_f32_e32 v23, v10
.LBB698_65:
	s_or_b64 exec, exec, s[4:5]
	v_or_b32_e32 v22, 3, v16
	v_cmp_gt_i32_e64 s[4:5], s27, v22
	s_and_saveexec_b64 s[6:7], s[4:5]
	s_cbranch_execz .LBB698_67
; %bb.66:
	v_add_u32_e32 v10, s26, v22
	v_ashrrev_i32_e32 v11, 31, v10
	v_mul_lo_u32 v12, v11, s34
	v_mul_lo_u32 v13, v10, s35
	v_mad_u64_u32 v[10:11], s[14:15], v10, s34, 0
	v_add3_u32 v11, v11, v13, v12
	v_lshl_add_u64 v[10:11], v[10:11], 2, s[10:11]
	global_load_dword v10, v[10:11], off
	s_waitcnt vmcnt(0)
	v_sub_f32_e32 v10, s12, v10
	v_exp_f32_e32 v18, v10
.LBB698_67:
	s_or_b64 exec, exec, s[6:7]
	s_waitcnt lgkmcnt(11)
	v_mfma_f32_16x16x16_bf16 a[0:3], v[38:39], v[30:31], a[0:3]
	s_add_u32 s6, s8, s20
	v_ashrrev_i32_e32 v47, 31, v46
	s_addc_u32 s7, s9, s21
	s_waitcnt lgkmcnt(10)
	v_mfma_f32_16x16x16_bf16 a[0:3], v[40:41], v[32:33], a[0:3]
	v_mov_b32_e32 v24, 0
	v_lshl_add_u64 v[14:15], v[46:47], 1, s[6:7]
	v_mov_b32_e32 v25, 0
	s_waitcnt lgkmcnt(9)
	v_mfma_f32_16x16x16_bf16 a[0:3], v[36:37], v[26:27], a[0:3]
	s_waitcnt lgkmcnt(8)
	v_mfma_f32_16x16x16_bf16 a[0:3], v[34:35], v[28:29], a[0:3]
	s_nop 6
	v_accvgpr_read_b32 v13, a3
	v_accvgpr_read_b32 v12, a2
	;; [unrolled: 1-line block ×4, first 2 shown]
	s_and_saveexec_b64 s[6:7], vcc
	s_cbranch_execz .LBB698_69
; %bb.68:
	v_lshlrev_b32_e32 v26, 8, v16
	v_mov_b32_e32 v27, 0
	v_lshl_add_u64 v[26:27], v[14:15], 0, v[26:27]
	global_load_ushort v25, v[26:27], off
	s_waitcnt vmcnt(0)
	v_lshlrev_b32_e32 v25, 16, v25
	v_sub_f32_e32 v10, v25, v10
	v_mul_f32_e32 v10, v21, v10
	v_lshrrev_b32_e32 v25, 16, v10
.LBB698_69:
	s_or_b64 exec, exec, s[6:7]
	s_and_saveexec_b64 s[6:7], s[0:1]
	s_cbranch_execz .LBB698_71
; %bb.70:
	v_lshlrev_b32_e32 v26, 8, v19
	v_mov_b32_e32 v27, 0
	v_lshl_add_u64 v[26:27], v[14:15], 0, v[26:27]
	global_load_ushort v10, v[26:27], off
	s_waitcnt vmcnt(0)
	v_lshlrev_b32_e32 v10, 16, v10
	v_sub_f32_e32 v10, v10, v11
	v_mul_f32_e32 v10, v17, v10
	v_lshrrev_b32_e32 v24, 16, v10
.LBB698_71:
	s_or_b64 exec, exec, s[6:7]
	v_mov_b32_e32 v11, 0
	v_mov_b32_e32 v17, 0
	s_and_saveexec_b64 s[0:1], s[2:3]
	s_cbranch_execz .LBB698_73
; %bb.72:
	v_lshlrev_b32_e32 v20, 8, v20
	v_mov_b32_e32 v21, 0
	v_lshl_add_u64 v[20:21], v[14:15], 0, v[20:21]
	global_load_ushort v10, v[20:21], off
	s_waitcnt vmcnt(0)
	v_lshlrev_b32_e32 v10, 16, v10
	v_sub_f32_e32 v10, v10, v12
	v_mul_f32_e32 v10, v23, v10
	v_lshrrev_b32_e32 v17, 16, v10
.LBB698_73:
	s_or_b64 exec, exec, s[0:1]
	v_or_b32_e32 v10, 0x9800, v50
	s_and_saveexec_b64 s[0:1], s[4:5]
	s_cbranch_execz .LBB698_75
; %bb.74:
	v_lshlrev_b32_e32 v20, 8, v22
	v_mov_b32_e32 v21, 0
	v_lshl_add_u64 v[14:15], v[14:15], 0, v[20:21]
	global_load_ushort v11, v[14:15], off
	s_waitcnt vmcnt(0)
	v_lshlrev_b32_e32 v11, 16, v11
	v_sub_f32_e32 v11, v11, v13
	v_mul_f32_e32 v11, v18, v11
	v_lshrrev_b32_e32 v11, 16, v11
.LBB698_75:
	s_or_b64 exec, exec, s[0:1]
	s_mov_b32 s0, 0x5040100
	v_perm_b32 v13, v11, v17, s0
	v_lshlrev_b32_e32 v11, 1, v48
	v_perm_b32 v12, v24, v25, s0
	v_lshl_or_b32 v11, v16, 5, v11
	s_movk_i32 s0, 0xff
	ds_write_b64 v11, v[12:13] offset:38912
	v_and_b32_e32 v11, 7, v0
	v_and_b32_e32 v12, 8, v0
	v_cmp_lt_u32_e32 vcc, s0, v0
	v_lshrrev_b32_e32 v0, 1, v0
	v_lshlrev_b32_e32 v22, 3, v1
	v_and_b32_e32 v23, 24, v0
	v_xor_b32_e32 v0, v22, v23
	v_cndmask_b32_e64 v13, 0, 1, vcc
	v_or_b32_e32 v1, 0x440, v0
	v_cmp_eq_u32_e32 vcc, 0, v12
	v_lshlrev_b32_e32 v20, 3, v11
	v_lshlrev_b32_e32 v11, 7, v11
	v_cndmask_b32_e32 v0, v1, v0, vcc
	v_or_b32_e32 v0, v0, v49
	v_lshlrev_b32_e32 v21, 13, v13
	v_xad_u32 v24, v0, v20, v11
	v_add_u32_e32 v0, v21, v24
	s_waitcnt lgkmcnt(0)
	s_barrier
	ds_read_b64 v[0:1], v0
	ds_read2st64_b64 v[12:15], v10 offset1:1
	ds_read2st64_b64 v[16:19], v10 offset0:2 offset1:3
	s_waitcnt lgkmcnt(1)
	v_mfma_f32_16x16x16_bf16 a[0:3], v[0:1], v[12:13], 0
	v_or_b32_e32 v0, 32, v23
	v_xor_b32_e32 v0, v22, v0
	v_or_b32_e32 v1, 0x440, v0
	v_cndmask_b32_e32 v0, v1, v0, vcc
	v_or_b32_e32 v0, v0, v49
	v_xad_u32 v25, v0, v20, v11
	v_add_u32_e32 v0, v21, v25
	ds_read_b64 v[0:1], v0
	v_or_b32_e32 v10, 0x60, v23
	s_waitcnt lgkmcnt(0)
	v_mfma_f32_16x16x16_bf16 a[0:3], v[0:1], v[14:15], a[0:3]
	v_or_b32_e32 v0, 64, v23
	v_xor_b32_e32 v0, v22, v0
	v_xor_b32_e32 v1, 0x440, v0
	v_cndmask_b32_e32 v0, v1, v0, vcc
	v_or_b32_e32 v0, v0, v49
	v_xad_u32 v26, v0, v20, v11
	v_xor_b32_e32 v10, v22, v10
	v_add_u32_e32 v0, v21, v26
	v_xor_b32_e32 v22, 0x440, v10
	ds_read_b64 v[0:1], v0
	v_cndmask_b32_e32 v10, v22, v10, vcc
	v_or_b32_e32 v10, v10, v49
	v_xad_u32 v22, v10, v20, v11
	v_add_u32_e32 v10, v21, v22
	ds_read_b64 v[10:11], v10
	s_waitcnt lgkmcnt(1)
	v_mfma_f32_16x16x16_bf16 a[0:3], v[0:1], v[16:17], a[0:3]
	ds_read_b64 v[0:1], v24 offset:8192
	ds_read_b64 v[20:21], v26 offset:8192
	v_exp_f32_e32 v23, s12
	s_waitcnt lgkmcnt(2)
	v_mfma_f32_16x16x16_bf16 a[0:3], v[10:11], v[18:19], a[0:3]
	ds_read_b64 v[10:11], v25 offset:8192
	s_waitcnt lgkmcnt(2)
	v_mfma_f32_16x16x16_bf16 a[4:7], v[0:1], v[12:13], 0
	ds_read_b64 v[12:13], v22 offset:8192
	s_nop 2
	v_accvgpr_read_b32 v0, a0
	v_accvgpr_read_b32 v1, a1
	s_waitcnt lgkmcnt(1)
	v_mfma_f32_16x16x16_bf16 a[4:7], v[10:11], v[14:15], a[4:7]
	v_fma_f32 v0, v2, v23, v0
	v_fma_f32 v1, v3, v23, v1
	v_accvgpr_read_b32 v2, a2
	v_mfma_f32_16x16x16_bf16 a[4:7], v[20:21], v[16:17], a[4:7]
	v_accvgpr_read_b32 v3, a3
	v_fma_f32 v2, v4, v23, v2
	v_fmac_f32_e32 v3, v5, v23
	s_waitcnt lgkmcnt(0)
	v_mfma_f32_16x16x16_bf16 a[0:3], v[12:13], v[18:19], a[4:7]
	s_nop 6
	v_accvgpr_read_b32 v4, a0
	v_accvgpr_read_b32 v5, a1
	v_fma_f32 v4, v6, v23, v4
	v_fma_f32 v5, v7, v23, v5
	v_accvgpr_read_b32 v6, a2
	v_accvgpr_read_b32 v7, a3
	v_fma_f32 v6, v8, v23, v6
	v_fmac_f32_e32 v7, v9, v23
	v_mov_b64_e32 v[8:9], v[6:7]
	v_mov_b64_e32 v[6:7], v[4:5]
	;; [unrolled: 1-line block ×4, first 2 shown]
.LBB698_76:
	s_waitcnt lgkmcnt(0)
	s_add_u32 s0, s30, s28
	s_addc_u32 s1, s31, s29
	v_lshl_add_u64 v[0:1], v[42:43], 2, s[0:1]
	v_mov_b32_e32 v45, 0
	v_lshl_add_u64 v[0:1], v[0:1], 0, v[44:45]
	global_store_dwordx4 v[0:1], v[2:5], off
	global_store_dwordx4 v[0:1], v[6:9], off offset:256
	s_endpgm
	.section	.rodata,"a",@progbits
	.p2align	6, 0x0
	.amdhsa_kernel _ZN12_GLOBAL__N_139chunk_gated_delta_rule_fwd_h_hip_kernelILi16ELb1ELb1ELb0ELb0ELb1ELb0ELb0ELb0EEEvPK12hip_bfloat16S3_S3_PKfS5_PKvPS1_S8_PvPKiSB_iiiiilll
		.amdhsa_group_segment_fixed_size 40960
		.amdhsa_private_segment_fixed_size 0
		.amdhsa_kernarg_size 136
		.amdhsa_user_sgpr_count 2
		.amdhsa_user_sgpr_dispatch_ptr 0
		.amdhsa_user_sgpr_queue_ptr 0
		.amdhsa_user_sgpr_kernarg_segment_ptr 1
		.amdhsa_user_sgpr_dispatch_id 0
		.amdhsa_user_sgpr_kernarg_preload_length 0
		.amdhsa_user_sgpr_kernarg_preload_offset 0
		.amdhsa_user_sgpr_private_segment_size 0
		.amdhsa_uses_dynamic_stack 0
		.amdhsa_enable_private_segment 0
		.amdhsa_system_sgpr_workgroup_id_x 1
		.amdhsa_system_sgpr_workgroup_id_y 1
		.amdhsa_system_sgpr_workgroup_id_z 0
		.amdhsa_system_sgpr_workgroup_info 0
		.amdhsa_system_vgpr_workitem_id 0
		.amdhsa_next_free_vgpr 116
		.amdhsa_next_free_sgpr 68
		.amdhsa_accum_offset 108
		.amdhsa_reserve_vcc 1
		.amdhsa_float_round_mode_32 0
		.amdhsa_float_round_mode_16_64 0
		.amdhsa_float_denorm_mode_32 3
		.amdhsa_float_denorm_mode_16_64 3
		.amdhsa_dx10_clamp 1
		.amdhsa_ieee_mode 1
		.amdhsa_fp16_overflow 0
		.amdhsa_tg_split 0
		.amdhsa_exception_fp_ieee_invalid_op 0
		.amdhsa_exception_fp_denorm_src 0
		.amdhsa_exception_fp_ieee_div_zero 0
		.amdhsa_exception_fp_ieee_overflow 0
		.amdhsa_exception_fp_ieee_underflow 0
		.amdhsa_exception_fp_ieee_inexact 0
		.amdhsa_exception_int_div_zero 0
	.end_amdhsa_kernel
	.section	.text._ZN12_GLOBAL__N_139chunk_gated_delta_rule_fwd_h_hip_kernelILi16ELb1ELb1ELb0ELb0ELb1ELb0ELb0ELb0EEEvPK12hip_bfloat16S3_S3_PKfS5_PKvPS1_S8_PvPKiSB_iiiiilll,"axG",@progbits,_ZN12_GLOBAL__N_139chunk_gated_delta_rule_fwd_h_hip_kernelILi16ELb1ELb1ELb0ELb0ELb1ELb0ELb0ELb0EEEvPK12hip_bfloat16S3_S3_PKfS5_PKvPS1_S8_PvPKiSB_iiiiilll,comdat
.Lfunc_end698:
	.size	_ZN12_GLOBAL__N_139chunk_gated_delta_rule_fwd_h_hip_kernelILi16ELb1ELb1ELb0ELb0ELb1ELb0ELb0ELb0EEEvPK12hip_bfloat16S3_S3_PKfS5_PKvPS1_S8_PvPKiSB_iiiiilll, .Lfunc_end698-_ZN12_GLOBAL__N_139chunk_gated_delta_rule_fwd_h_hip_kernelILi16ELb1ELb1ELb0ELb0ELb1ELb0ELb0ELb0EEEvPK12hip_bfloat16S3_S3_PKfS5_PKvPS1_S8_PvPKiSB_iiiiilll
                                        ; -- End function
	.section	.AMDGPU.csdata,"",@progbits
; Kernel info:
; codeLenInByte = 7704
; NumSgprs: 74
; NumVgprs: 108
; NumAgprs: 8
; TotalNumVgprs: 116
; ScratchSize: 0
; MemoryBound: 0
; FloatMode: 240
; IeeeMode: 1
; LDSByteSize: 40960 bytes/workgroup (compile time only)
; SGPRBlocks: 9
; VGPRBlocks: 14
; NumSGPRsForWavesPerEU: 74
; NumVGPRsForWavesPerEU: 116
; AccumOffset: 108
; Occupancy: 1
; WaveLimiterHint : 1
; COMPUTE_PGM_RSRC2:SCRATCH_EN: 0
; COMPUTE_PGM_RSRC2:USER_SGPR: 2
; COMPUTE_PGM_RSRC2:TRAP_HANDLER: 0
; COMPUTE_PGM_RSRC2:TGID_X_EN: 1
; COMPUTE_PGM_RSRC2:TGID_Y_EN: 1
; COMPUTE_PGM_RSRC2:TGID_Z_EN: 0
; COMPUTE_PGM_RSRC2:TIDIG_COMP_CNT: 0
; COMPUTE_PGM_RSRC3_GFX90A:ACCUM_OFFSET: 26
; COMPUTE_PGM_RSRC3_GFX90A:TG_SPLIT: 0
	.section	.text._ZN12_GLOBAL__N_139chunk_gated_delta_rule_fwd_h_hip_kernelILi16ELb1ELb0ELb1ELb0ELb1ELb0ELb0ELb0EEEvPK12hip_bfloat16S3_S3_PKfS5_PKvPS1_S8_PvPKiSB_iiiiilll,"axG",@progbits,_ZN12_GLOBAL__N_139chunk_gated_delta_rule_fwd_h_hip_kernelILi16ELb1ELb0ELb1ELb0ELb1ELb0ELb0ELb0EEEvPK12hip_bfloat16S3_S3_PKfS5_PKvPS1_S8_PvPKiSB_iiiiilll,comdat
	.globl	_ZN12_GLOBAL__N_139chunk_gated_delta_rule_fwd_h_hip_kernelILi16ELb1ELb0ELb1ELb0ELb1ELb0ELb0ELb0EEEvPK12hip_bfloat16S3_S3_PKfS5_PKvPS1_S8_PvPKiSB_iiiiilll ; -- Begin function _ZN12_GLOBAL__N_139chunk_gated_delta_rule_fwd_h_hip_kernelILi16ELb1ELb0ELb1ELb0ELb1ELb0ELb0ELb0EEEvPK12hip_bfloat16S3_S3_PKfS5_PKvPS1_S8_PvPKiSB_iiiiilll
	.p2align	8
	.type	_ZN12_GLOBAL__N_139chunk_gated_delta_rule_fwd_h_hip_kernelILi16ELb1ELb0ELb1ELb0ELb1ELb0ELb0ELb0EEEvPK12hip_bfloat16S3_S3_PKfS5_PKvPS1_S8_PvPKiSB_iiiiilll,@function
_ZN12_GLOBAL__N_139chunk_gated_delta_rule_fwd_h_hip_kernelILi16ELb1ELb0ELb1ELb0ELb1ELb0ELb0ELb0EEEvPK12hip_bfloat16S3_S3_PKfS5_PKvPS1_S8_PvPKiSB_iiiiilll: ; @_ZN12_GLOBAL__N_139chunk_gated_delta_rule_fwd_h_hip_kernelILi16ELb1ELb0ELb1ELb0ELb1ELb0ELb0ELb0EEEvPK12hip_bfloat16S3_S3_PKfS5_PKvPS1_S8_PvPKiSB_iiiiilll
; %bb.0:
	s_load_dwordx4 s[12:15], s[0:1], 0x5c
	s_load_dwordx4 s[20:23], s[0:1], 0x70
	s_abs_i32 s6, s3
	s_ashr_i32 s5, s3, 31
	s_load_dwordx4 s[16:19], s[0:1], 0x28
	s_load_dwordx2 s[28:29], s[0:1], 0x38
	s_waitcnt lgkmcnt(0)
	s_abs_i32 s4, s13
	v_cvt_f32_u32_e32 v1, s4
	s_sub_i32 s8, 0, s4
	s_ashr_i32 s7, s13, 31
	s_xor_b32 s5, s5, s7
	v_rcp_iflag_f32_e32 v1, v1
	v_and_b32_e32 v53, 15, v0
	v_lshrrev_b32_e32 v51, 6, v0
	v_bfe_u32 v52, v0, 4, 2
	v_mul_f32_e32 v1, 0x4f7ffffe, v1
	v_cvt_u32_f32_e32 v1, v1
	v_mov_b32_e32 v5, 0
	v_and_b32_e32 v50, 63, v0
	v_lshrrev_b32_e32 v55, 3, v50
	v_readfirstlane_b32 s9, v1
	s_mul_i32 s8, s8, s9
	s_mul_hi_u32 s8, s9, s8
	s_add_i32 s9, s9, s8
	s_mul_hi_u32 s8, s6, s9
	s_mul_i32 s9, s8, s4
	s_sub_i32 s6, s6, s9
	s_add_i32 s10, s8, 1
	s_sub_i32 s9, s6, s4
	s_cmp_ge_u32 s6, s4
	s_cselect_b32 s8, s10, s8
	s_cselect_b32 s6, s9, s6
	s_add_i32 s9, s8, 1
	s_cmp_ge_u32 s6, s4
	s_cselect_b32 s6, s9, s8
	s_xor_b32 s6, s6, s5
	s_add_i32 s8, s12, 63
	s_sub_i32 s50, s6, s5
	s_ashr_i32 s9, s8, 31
	s_mul_i32 s5, s50, s13
	s_sub_i32 s48, s3, s5
	s_lshr_b32 s3, s9, 26
	s_add_i32 s8, s8, s3
	s_abs_i32 s3, s14
	v_cvt_f32_u32_e32 v1, s3
	s_ashr_i32 s49, s12, 31
	s_lshr_b32 s6, s49, 26
	s_add_i32 s6, s12, s6
	v_rcp_iflag_f32_e32 v1, v1
	s_ashr_i32 s53, s14, 31
	s_ashr_i32 s24, s8, 6
	;; [unrolled: 1-line block ×3, first 2 shown]
	v_mul_f32_e32 v1, 0x4f7ffffe, v1
	v_cvt_u32_f32_e32 v1, v1
	s_xor_b32 s6, s7, s53
	s_sub_i32 s7, 0, s3
	s_lshl_b32 s2, s2, 4
	v_readfirstlane_b32 s8, v1
	s_mul_i32 s7, s7, s8
	s_mul_hi_u32 s7, s8, s7
	s_add_i32 s8, s8, s7
	s_mul_hi_u32 s7, s4, s8
	s_mul_i32 s8, s7, s3
	s_sub_i32 s4, s4, s8
	s_add_i32 s8, s7, 1
	s_sub_i32 s9, s4, s3
	s_cmp_ge_u32 s4, s3
	s_cselect_b32 s7, s8, s7
	s_cselect_b32 s4, s9, s4
	s_add_i32 s8, s7, 1
	s_cmp_ge_u32 s4, s3
	s_cselect_b32 s3, s8, s7
	s_xor_b32 s3, s3, s6
	s_sub_i32 s3, s3, s6
	s_abs_i32 s4, s3
	v_cvt_f32_u32_e32 v1, s4
	s_sub_i32 s7, 0, s4
	s_abs_i32 s6, s48
	s_xor_b32 s3, s48, s3
	v_rcp_iflag_f32_e32 v1, v1
	s_ashr_i32 s3, s3, 31
	v_or_b32_e32 v42, s2, v53
	v_lshlrev_b32_e32 v2, 7, v42
	v_mul_f32_e32 v1, 0x4f7ffffe, v1
	v_cvt_u32_f32_e32 v1, v1
	v_ashrrev_i32_e32 v3, 31, v2
	s_mul_i32 s55, s50, s24
	v_lshlrev_b32_e32 v54, 3, v0
	v_readfirstlane_b32 s8, v1
	s_mul_i32 s7, s7, s8
	s_mul_hi_u32 s7, s8, s7
	s_add_i32 s8, s8, s7
	s_mul_hi_u32 s7, s6, s8
	s_mul_i32 s8, s7, s4
	s_sub_i32 s6, s6, s8
	s_add_i32 s8, s7, 1
	s_sub_i32 s9, s6, s4
	s_cmp_ge_u32 s6, s4
	s_cselect_b32 s7, s8, s7
	s_cselect_b32 s6, s9, s6
	s_add_i32 s8, s7, 1
	s_cmp_ge_u32 s6, s4
	s_cselect_b32 s4, s8, s7
	s_xor_b32 s4, s4, s3
	s_sub_i32 s54, s4, s3
	s_ashr_i32 s3, s50, 31
	s_ashr_i32 s52, s48, 31
	s_mul_hi_i32 s4, s50, s13
	s_add_u32 s38, s5, s48
	s_addc_u32 s39, s4, s52
	s_lshl_b64 s[4:5], s[38:39], 16
	v_lshlrev_b32_e32 v1, 4, v51
	s_add_u32 s4, s16, s4
	v_lshl_or_b32 v56, v52, 2, v1
	s_addc_u32 s5, s17, s5
	v_lshl_add_u64 v[2:3], v[2:3], 2, s[4:5]
	v_lshlrev_b32_e32 v4, 2, v56
	v_lshl_add_u64 v[10:11], v[2:3], 0, v[4:5]
	global_load_dwordx4 v[6:9], v[10:11], off
	global_load_dwordx4 v[2:5], v[10:11], off offset:256
	s_load_dwordx8 s[4:11], s[0:1], 0x0
	s_load_dwordx2 s[30:31], s[0:1], 0x80
	v_or_b32_e32 v57, 64, v56
	s_cmp_lt_i32 s12, 64
	s_mul_i32 s56, s39, s12
	s_mul_hi_u32 s57, s38, s12
	s_mul_i32 s16, s38, s12
	s_mul_i32 s33, s50, s21
	s_mul_hi_u32 s44, s50, s20
	s_mul_i32 s45, s3, s20
	s_mul_i32 s36, s50, s20
	;; [unrolled: 1-line block ×3, first 2 shown]
	s_mul_hi_u32 s46, s48, s22
	s_mul_i32 s47, s52, s22
	s_mul_i32 s34, s48, s22
	s_cbranch_scc1 .LBB699_3
; %bb.1:
	s_add_i32 s17, s57, s56
	s_lshl_b64 s[0:1], s[16:17], 8
	v_and_b32_e32 v59, 56, v54
	s_waitcnt lgkmcnt(0)
	s_add_u32 s20, s6, s0
	v_lshl_or_b32 v58, v51, 3, v55
	v_lshlrev_b32_e32 v10, 1, v59
	s_addc_u32 s0, s7, s1
	v_lshl_or_b32 v60, v58, 8, v10
	s_and_b32 s21, s0, 0xffff
	s_mov_b32 s23, 0x20000
	s_movk_i32 s22, 0x4000
	s_movk_i32 s0, 0x80
	v_or_b32_e32 v61, 0x2000, v60
	buffer_load_dwordx4 v[12:15], v60, s[20:23], 0 offen
	buffer_load_dwordx4 v[16:19], v60, s[20:23], s0 offen
	;; [unrolled: 1-line block ×4, first 2 shown]
	v_lshlrev_b32_e32 v11, 3, v58
	v_and_or_b32 v29, v0, 7, v11
	v_and_b32_e32 v11, 0x78, v11
	v_lshlrev_b32_e32 v29, 4, v29
	v_xor_b32_e32 v62, v29, v11
	v_mul_lo_u32 v28, v58, s15
	v_or_b32_e32 v63, 0x1000, v62
	v_xor_b32_e32 v11, 8, v62
	s_cmpk_eq_i32 s15, 0x80
	s_mov_b32 s58, s14
	v_xor_b32_e32 v29, 8, v63
	s_cselect_b64 s[0:1], -1, 0
	s_cmpk_lg_i32 s15, 0x80
	s_waitcnt vmcnt(3)
	ds_write_b64 v62, v[12:13] offset:16384
	ds_write_b64 v11, v[14:15] offset:16384
	s_waitcnt vmcnt(2)
	ds_write_b64 v62, v[16:17] offset:24576
	ds_write_b64 v11, v[18:19] offset:24576
	;; [unrolled: 3-line block ×4, first 2 shown]
	v_lshl_add_u32 v11, v28, 1, v59
	s_cbranch_scc0 .LBB699_29
; %bb.2:
	v_lshlrev_b32_e32 v13, 1, v11
	v_add_lshl_u32 v12, v11, s15, 1
	s_lshl_b32 s22, s15, 7
	v_lshl_or_b32 v10, v58, 9, v10
	s_cbranch_execz .LBB699_30
	s_branch .LBB699_31
.LBB699_3:
	s_waitcnt vmcnt(0)
	v_mov_b32_e32 v10, v5
	v_mov_b32_e32 v11, v9
.LBB699_4:
	s_lshl_b32 s26, s51, 6
	s_sub_i32 s27, s12, s26
	s_cmp_gt_i32 s27, 0
	s_cbranch_scc0 .LBB699_76
; %bb.5:
	s_ashr_i32 s3, s26, 31
	s_cmpk_lg_i32 s15, 0x80
	s_cselect_b64 s[22:23], -1, 0
	s_and_b64 vcc, exec, s[22:23]
	s_cbranch_vccz .LBB699_7
; %bb.6:
	s_mul_i32 s1, s50, s12
	s_mul_hi_i32 s0, s50, s12
	s_add_u32 s1, s1, s26
	s_addc_u32 s0, s0, s3
	s_mul_i32 s17, s1, s53
	s_mul_hi_u32 s20, s1, s14
	s_add_i32 s17, s20, s17
	s_mul_i32 s0, s0, s14
	s_add_i32 s17, s17, s0
	s_mul_i32 s1, s1, s14
	s_ashr_i32 s0, s54, 31
	s_add_u32 s24, s1, s54
	s_addc_u32 s25, s17, s0
	s_cbranch_execz .LBB699_8
	s_branch .LBB699_9
.LBB699_7:
                                        ; implicit-def: $sgpr24_sgpr25
.LBB699_8:
	s_mul_hi_i32 s0, s50, s14
	s_mul_i32 s50, s50, s14
	s_ashr_i32 s1, s54, 31
	s_add_u32 s14, s50, s54
	s_addc_u32 s0, s0, s1
	s_mul_i32 s1, s14, s49
	s_mul_hi_u32 s17, s14, s12
	s_add_i32 s1, s17, s1
	s_mul_i32 s0, s0, s12
	s_add_i32 s1, s1, s0
	s_mul_i32 s14, s14, s12
	s_add_u32 s24, s14, s26
	s_addc_u32 s25, s1, s3
.LBB699_9:
	s_mul_i32 s0, s38, s49
	s_add_i32 s0, s57, s0
	s_add_i32 s14, s55, s51
	s_add_i32 s1, s0, s56
	s_add_u32 s0, s16, s26
	s_addc_u32 s1, s1, s3
	s_mov_b32 s3, 0x7060302
	v_perm_b32 v5, v10, v4, s3
	v_perm_b32 v4, v3, v2, s3
	v_lshlrev_b32_e32 v2, 3, v53
	s_lshl_b64 s[20:21], s[0:1], 8
	v_perm_b32 v9, v11, v8, s3
	v_perm_b32 v8, v7, v6, s3
	s_waitcnt vmcnt(2)
	v_lshlrev_b32_e32 v34, 2, v53
	v_lshl_or_b32 v2, v56, 5, v2
	s_waitcnt lgkmcnt(0)
	s_add_u32 s0, s6, s20
	ds_write2st64_b64 v2, v[8:9], v[4:5] offset0:72 offset1:76
	v_xor_b32_e32 v2, v56, v34
	v_lshlrev_b32_e32 v3, 8, v53
	s_addc_u32 s1, s7, s21
	v_lshl_or_b32 v2, v2, 1, v3
	s_mul_hi_i32 s3, s14, s13
	s_mul_i32 s14, s14, s13
	ds_write_b64 v2, v[8:9] offset:32768
	v_xor_b32_e32 v2, v57, v34
	s_add_u32 s6, s14, s48
	v_lshl_or_b32 v2, v2, 1, v3
	s_addc_u32 s7, s3, s52
	v_lshlrev_b32_e32 v3, 1, v53
	ds_write_b64 v2, v[4:5] offset:32768
	v_lshrrev_b32_e32 v2, 4, v0
	s_ashr_i32 s3, s2, 31
	s_lshl_b64 s[6:7], s[6:7], 15
	v_or_b32_e32 v4, 1, v3
	s_add_u32 s6, s18, s6
	v_xor_b32_e32 v3, v2, v3
	v_xor_b32_e32 v4, v4, v2
	v_lshlrev_b32_e32 v6, 8, v2
	s_addc_u32 s7, s19, s7
	s_lshl_b64 s[2:3], s[2:3], 8
	v_lshl_or_b32 v2, v3, 3, v6
	v_lshl_or_b32 v4, v4, 3, v6
	s_waitcnt lgkmcnt(0)
	s_barrier
	s_add_u32 s2, s6, s2
	ds_read_b64 v[2:3], v2 offset:32768
	ds_read_b64 v[4:5], v4 offset:32768
	s_addc_u32 s3, s7, s3
	v_mov_b32_e32 v7, 0
	s_cmp_lg_u32 s27, 64
	v_lshl_add_u64 v[8:9], s[2:3], 0, v[6:7]
	v_lshlrev_b32_e32 v6, 4, v53
	s_cselect_b64 s[6:7], -1, 0
	v_lshl_or_b32 v35, v51, 3, v55
	s_mov_b32 s16, 0
	v_lshl_add_u64 v[6:7], v[8:9], 0, v[6:7]
	v_or_b32_e32 v19, 32, v35
	v_and_b32_e32 v18, 56, v54
	s_and_b64 vcc, exec, s[6:7]
	s_waitcnt lgkmcnt(0)
	global_store_dwordx4 v[6:7], v[2:5], off
	s_cbranch_vccz .LBB699_15
; %bb.10:
	s_mov_b32 s17, s16
	s_mov_b32 s18, s16
	;; [unrolled: 1-line block ×3, first 2 shown]
	v_mov_b64_e32 v[6:7], s[16:17]
	v_mov_b64_e32 v[8:9], s[18:19]
	;; [unrolled: 1-line block ×3, first 2 shown]
	v_cmp_gt_i32_e32 vcc, s27, v35
	v_mov_b64_e32 v[4:5], v[8:9]
	s_and_saveexec_b64 s[2:3], vcc
	s_cbranch_execz .LBB699_12
; %bb.11:
	v_lshlrev_b32_e32 v2, 8, v35
	v_mov_b32_e32 v3, 0
	v_lshl_add_u64 v[4:5], s[0:1], 0, v[2:3]
	v_lshlrev_b32_e32 v2, 1, v18
	v_lshl_add_u64 v[10:11], v[4:5], 0, v[2:3]
	global_load_dwordx4 v[6:9], v[10:11], off
	global_load_dwordx4 v[2:5], v[10:11], off offset:128
.LBB699_12:
	s_or_b64 exec, exec, s[2:3]
	s_mov_b32 s17, s16
	s_mov_b32 s18, s16
	;; [unrolled: 1-line block ×3, first 2 shown]
	v_mov_b64_e32 v[14:15], s[16:17]
	v_mov_b64_e32 v[16:17], s[18:19]
	;; [unrolled: 1-line block ×3, first 2 shown]
	v_cmp_gt_i32_e32 vcc, s27, v19
	v_lshlrev_b32_e32 v20, 7, v19
	v_mov_b64_e32 v[12:13], v[16:17]
	s_and_saveexec_b64 s[2:3], vcc
	s_cbranch_execz .LBB699_14
; %bb.13:
	v_lshlrev_b32_e32 v10, 1, v20
	v_mov_b32_e32 v11, 0
	v_lshl_add_u64 v[12:13], s[0:1], 0, v[10:11]
	v_lshlrev_b32_e32 v10, 1, v18
	v_lshl_add_u64 v[22:23], v[12:13], 0, v[10:11]
	global_load_dwordx4 v[14:17], v[22:23], off
	global_load_dwordx4 v[10:13], v[22:23], off offset:128
.LBB699_14:
	s_or_b64 exec, exec, s[2:3]
	v_lshrrev_b32_e32 v21, 3, v18
	v_lshlrev_b32_e32 v22, 3, v35
	v_or_b32_e32 v21, v22, v21
	v_lshlrev_b32_e32 v21, 4, v21
	v_and_b32_e32 v22, 0x78, v22
	v_xor_b32_e32 v21, v21, v22
	s_branch .LBB699_17
.LBB699_15:
                                        ; implicit-def: $vgpr21
                                        ; implicit-def: $vgpr20
                                        ; implicit-def: $vgpr6_vgpr7_vgpr8_vgpr9
                                        ; implicit-def: $vgpr2_vgpr3_vgpr4_vgpr5
                                        ; implicit-def: $vgpr14_vgpr15_vgpr16_vgpr17
                                        ; implicit-def: $vgpr10_vgpr11_vgpr12_vgpr13
	s_cbranch_execz .LBB699_17
; %bb.16:
	s_waitcnt vmcnt(0)
	v_lshlrev_b32_e32 v2, 1, v18
	v_lshl_or_b32 v20, v35, 8, v2
	s_and_b32 s1, s1, 0xffff
	s_mov_b32 s3, 0x20000
	s_movk_i32 s2, 0x4000
	v_lshl_or_b32 v21, v19, 8, v2
	s_movk_i32 s13, 0x80
	buffer_load_dwordx4 v[6:9], v20, s[0:3], 0 offen
	buffer_load_dwordx4 v[2:5], v20, s[0:3], s13 offen
	;; [unrolled: 1-line block ×4, first 2 shown]
	v_lshrrev_b32_e32 v20, 3, v18
	v_lshlrev_b32_e32 v21, 3, v35
	v_or_b32_e32 v20, v21, v20
	v_lshlrev_b32_e32 v20, 4, v20
	v_and_b32_e32 v21, 0x78, v21
	v_xor_b32_e32 v21, v20, v21
	v_lshlrev_b32_e32 v20, 7, v19
.LBB699_17:
	s_lshl_b64 s[0:1], s[24:25], 8
	s_add_u32 s4, s4, s0
	s_movk_i32 s0, 0x1000
	v_and_or_b32 v19, v20, s0, v21
	s_waitcnt vmcnt(1)
	ds_write_b64 v21, v[6:7] offset:16384
	v_xor_b32_e32 v6, 8, v21
	ds_write_b64 v6, v[8:9] offset:16384
	s_waitcnt vmcnt(0)
	ds_write_b64 v21, v[2:3] offset:24576
	ds_write_b64 v6, v[4:5] offset:24576
	;; [unrolled: 1-line block ×3, first 2 shown]
	v_xor_b32_e32 v2, 8, v19
	ds_write_b64 v2, v[16:17] offset:16384
	ds_write_b64 v19, v[10:11] offset:24576
	;; [unrolled: 1-line block ×3, first 2 shown]
	v_or_b32_e32 v2, v1, v53
	s_addc_u32 s5, s5, s1
	s_add_i32 s0, s12, -1
	v_lshlrev_b32_e32 v2, 3, v2
	v_lshrrev_b32_e32 v4, 5, v50
	s_movk_i32 s12, 0xf8
	v_and_or_b32 v4, v2, s12, v4
	v_lshlrev_b32_e32 v3, 11, v51
	v_lshlrev_b32_e32 v12, 4, v4
	v_and_b32_e32 v13, 0x78, v2
	v_and_b32_e32 v14, 0x1000, v3
	v_lshlrev_b32_e32 v3, 2, v0
	v_xor_b32_e32 v2, v12, v13
	v_lshrrev_b32_e32 v4, 1, v50
	v_and_b32_e32 v3, 60, v3
	v_or_b32_e32 v2, v2, v14
	v_and_b32_e32 v15, 8, v4
	v_xor_b32_e32 v26, v2, v15
	v_lshl_or_b32 v2, v52, 6, v3
	v_lshlrev_b32_e32 v19, 1, v2
	v_or_b32_e32 v2, 32, v12
	v_xor_b32_e32 v2, v2, v13
	s_waitcnt lgkmcnt(0)
	s_barrier
	ds_read_b64 v[10:11], v26 offset:16384
	v_or_b32_e32 v2, v2, v14
	v_xor_b32_e32 v27, v2, v15
	v_or_b32_e32 v2, 64, v12
	v_xor_b32_e32 v2, v2, v13
	v_or_b32_e32 v2, v2, v14
	v_or_b32_e32 v12, 0x60, v12
	v_xor_b32_e32 v28, v2, v15
	ds_read2st64_b64 v[2:5], v19 offset0:72 offset1:73
	ds_read2st64_b64 v[6:9], v19 offset0:74 offset1:75
	v_xor_b32_e32 v16, v12, v13
	ds_read_b64 v[12:13], v27 offset:16384
	s_add_i32 s1, s44, s33
	s_waitcnt lgkmcnt(2)
	v_mfma_f32_16x16x16_bf16 a[0:3], v[10:11], v[2:3], 0
	s_add_i32 s37, s1, s45
	s_add_i32 s1, s46, s39
	s_add_i32 s35, s1, s47
	s_ashr_i32 s1, s0, 31
	s_mul_i32 s2, s0, s31
	s_mul_hi_u32 s3, s0, s30
	s_add_i32 s2, s3, s2
	s_mul_i32 s1, s1, s30
	v_or_b32_e32 v14, v16, v14
	s_add_i32 s1, s2, s1
	s_lshl_b64 s[2:3], s[36:37], 2
	v_xor_b32_e32 v36, v14, v15
	ds_read_b64 v[14:15], v28 offset:16384
	ds_read_b64 v[16:17], v36 offset:16384
	s_waitcnt lgkmcnt(2)
	v_mfma_f32_16x16x16_bf16 a[0:3], v[12:13], v[4:5], a[0:3]
	s_add_u32 s10, s10, s2
	s_addc_u32 s11, s11, s3
	s_lshl_b64 s[2:3], s[34:35], 2
	s_mul_i32 s0, s0, s30
	s_add_u32 s10, s10, s2
	s_addc_u32 s11, s11, s3
	s_lshl_b64 s[0:1], s[0:1], 2
	s_waitcnt lgkmcnt(1)
	v_mfma_f32_16x16x16_bf16 a[0:3], v[14:15], v[6:7], a[0:3]
	s_add_u32 s0, s10, s0
	s_addc_u32 s1, s11, s1
	s_load_dword s12, s[0:1], 0x0
	s_waitcnt lgkmcnt(0)
	v_mfma_f32_16x16x16_bf16 a[0:3], v[16:17], v[8:9], a[0:3]
	s_and_b64 vcc, exec, s[22:23]
	s_cbranch_vccz .LBB699_28
; %bb.18:
	v_lshlrev_b32_e32 v20, 1, v35
	s_and_b64 vcc, exec, s[6:7]
	s_cbranch_vccz .LBB699_44
; %bb.19:
	v_cmp_gt_i32_e32 vcc, s27, v20
	v_mov_b32_e32 v6, 0
	v_mov_b32_e32 v2, 0
	;; [unrolled: 1-line block ×5, first 2 shown]
	s_and_saveexec_b64 s[0:1], vcc
	s_cbranch_execz .LBB699_21
; %bb.20:
	v_mad_i64_i32 v[2:3], s[2:3], s15, v20, 0
	v_lshl_add_u64 v[2:3], v[2:3], 1, s[4:5]
	v_lshlrev_b32_e32 v4, 1, v18
	v_mov_b32_e32 v5, 0
	v_lshl_add_u64 v[2:3], v[2:3], 0, v[4:5]
	global_load_dwordx4 v[2:5], v[2:3], off
.LBB699_21:
	s_or_b64 exec, exec, s[0:1]
	v_or_b32_e32 v21, 1, v20
	v_cmp_gt_i32_e64 s[0:1], s27, v21
	v_mov_b32_e32 v7, 0
	v_mov_b32_e32 v8, 0
	;; [unrolled: 1-line block ×3, first 2 shown]
	s_and_saveexec_b64 s[2:3], s[0:1]
	s_cbranch_execz .LBB699_23
; %bb.22:
	v_mad_i64_i32 v[6:7], s[16:17], s15, v21, 0
	v_lshl_add_u64 v[6:7], v[6:7], 1, s[4:5]
	v_lshlrev_b32_e32 v8, 1, v18
	v_mov_b32_e32 v9, 0
	v_lshl_add_u64 v[6:7], v[6:7], 0, v[8:9]
	global_load_dwordx4 v[6:9], v[6:7], off
.LBB699_23:
	s_or_b64 exec, exec, s[2:3]
	v_mov_b32_e32 v17, 0
	v_mov_b32_e32 v10, 0
	;; [unrolled: 1-line block ×5, first 2 shown]
	s_and_saveexec_b64 s[2:3], vcc
	s_cbranch_execz .LBB699_25
; %bb.24:
	v_mad_i64_i32 v[10:11], s[16:17], s15, v20, 0
	v_lshl_add_u64 v[10:11], v[10:11], 1, s[4:5]
	v_lshlrev_b32_e32 v12, 1, v18
	v_mov_b32_e32 v13, 0
	v_lshl_add_u64 v[10:11], v[10:11], 0, v[12:13]
	global_load_dwordx4 v[10:13], v[10:11], off offset:128
.LBB699_25:
	s_or_b64 exec, exec, s[2:3]
	v_mov_b32_e32 v16, 0
	v_mov_b32_e32 v15, 0
	;; [unrolled: 1-line block ×3, first 2 shown]
	s_and_saveexec_b64 s[2:3], s[0:1]
	s_cbranch_execz .LBB699_27
; %bb.26:
	v_mad_i64_i32 v[14:15], s[0:1], s15, v21, 0
	v_lshl_add_u64 v[14:15], v[14:15], 1, s[4:5]
	v_lshlrev_b32_e32 v16, 1, v18
	v_mov_b32_e32 v17, 0
	v_lshl_add_u64 v[14:15], v[14:15], 0, v[16:17]
	global_load_dwordx4 v[14:17], v[14:15], off offset:128
.LBB699_27:
	s_or_b64 exec, exec, s[2:3]
	s_branch .LBB699_46
.LBB699_28:
                                        ; implicit-def: $vgpr5
                                        ; implicit-def: $vgpr9
                                        ; implicit-def: $vgpr13
                                        ; implicit-def: $vgpr17
	v_lshrrev_b32_e32 v37, 2, v50
	s_branch .LBB699_47
.LBB699_29:
                                        ; implicit-def: $vgpr12
                                        ; implicit-def: $vgpr13
                                        ; implicit-def: $sgpr22
	v_lshl_or_b32 v10, v58, 9, v10
.LBB699_30:
	v_or_b32_e32 v12, 0x100, v10
	s_movk_i32 s22, 0x4000
	v_mov_b32_e32 v13, v10
.LBB699_31:
	s_mul_hi_u32 s20, s14, s12
	s_mul_i32 s21, s53, s12
	s_add_i32 s20, s20, s21
	s_mul_i32 s21, s14, s12
	s_mul_i32 s23, s21, s3
	s_mul_hi_u32 s24, s21, s50
	s_add_i32 s23, s24, s23
	s_mul_i32 s20, s20, s50
	s_add_i32 s23, s23, s20
	s_mul_i32 s21, s21, s50
	s_ashr_i32 s59, s54, 31
	s_add_u32 s20, s21, s54
	s_addc_u32 s21, s23, s59
	s_lshl_b64 s[20:21], s[20:21], 8
	s_add_u32 s20, s4, s20
	s_addc_u32 s21, s5, s21
	s_and_b32 s21, s21, 0xffff
	s_mov_b32 s23, 0x20000
	s_movk_i32 s60, 0x80
	buffer_load_dwordx4 v[14:17], v13, s[20:23], 0 offen
	buffer_load_dwordx4 v[18:21], v13, s[20:23], s60 offen
	;; [unrolled: 1-line block ×4, first 2 shown]
	v_and_b32_e32 v12, 6, v0
	v_lshlrev_b32_e32 v30, 2, v53
	v_lshlrev_b32_e32 v31, 3, v53
	v_xor_b32_e32 v33, v58, v12
	v_and_b32_e32 v13, 1, v0
	s_mul_i32 s3, s3, s12
	s_mul_hi_u32 s20, s50, s12
	v_lshl_or_b32 v31, v56, 5, v31
	v_xor_b32_e32 v34, v56, v30
	v_lshlrev_b32_e32 v33, 2, v33
	v_or_b32_e32 v64, 0x9000, v31
	v_or_b32_e32 v65, 0x9800, v31
	v_lshlrev_b32_e32 v31, 1, v34
	v_xor_b32_e32 v34, 0x440, v33
	v_cmp_eq_u32_e32 vcc, 0, v13
	s_add_i32 s65, s20, s3
	s_add_i32 s3, s44, s33
	v_cndmask_b32_e32 v13, v34, v33, vcc
	s_add_i32 s20, s46, s39
	s_add_i32 s37, s3, s45
	s_mov_b32 s62, 0x1000504
	v_lshlrev_b32_e32 v32, 8, v53
	s_mov_b32 s22, 0x8000
	v_xor_b32_e32 v30, v57, v30
	v_lshl_or_b32 v12, v12, 10, v13
	s_add_i32 s35, s20, s47
	s_lshl_b64 s[20:21], s[36:37], 2
	s_mov_b32 s63, 0x3020706
	v_lshlrev_b32_e32 v30, 1, v30
	v_or3_b32 v66, v31, v32, s22
	v_xor_b32_e32 v13, 8, v12
	v_xor_b32_e32 v31, 24, v12
	;; [unrolled: 1-line block ×4, first 2 shown]
	s_add_u32 s3, s10, s20
	v_or3_b32 v67, v30, v32, s22
	v_xor_b32_e32 v30, 16, v12
	v_xor_b32_e32 v32, 32, v12
	;; [unrolled: 1-line block ×3, first 2 shown]
	v_add_u32_e32 v13, 0x80, v13
	v_add_u32_e32 v31, 0x80, v31
	;; [unrolled: 1-line block ×4, first 2 shown]
	s_addc_u32 s24, s11, s21
	s_lshl_b64 s[20:21], s[34:35], 2
	s_add_u32 s40, s3, s20
	s_movk_i32 s3, 0xf8
	s_addc_u32 s41, s24, s21
	v_ashrrev_i32_e32 v43, 31, v42
	s_lshl_b32 s26, s15, 7
	s_mov_b32 s61, 0
	s_mul_i32 s64, s50, s12
	s_mov_b32 s37, 0
	s_waitcnt vmcnt(1)
	v_perm_b32 v36, v14, v22, s62
	s_waitcnt vmcnt(0)
	v_perm_b32 v37, v18, v26, s62
	v_perm_b32 v14, v14, v22, s63
	;; [unrolled: 1-line block ×15, first 2 shown]
	ds_write2st64_b32 v12, v36, v37 offset1:32
	ds_write2st64_b32 v13, v14, v18 offset1:32
	ds_write2st64_b32 v30, v22, v26 offset0:1 offset1:33
	ds_write2st64_b32 v31, v15, v19 offset0:1 offset1:33
	;; [unrolled: 1-line block ×6, first 2 shown]
	v_or_b32_e32 v12, v1, v53
	v_lshlrev_b32_e32 v12, 3, v12
	v_lshrrev_b32_e32 v14, 5, v50
	v_and_or_b32 v14, v12, s3, v14
	v_lshlrev_b32_e32 v14, 4, v14
	v_lshlrev_b32_e32 v20, 11, v51
	v_and_b32_e32 v12, 0x78, v12
	v_or_b32_e32 v17, 32, v14
	v_and_b32_e32 v13, 0x1000, v20
	v_lshrrev_b32_e32 v21, 1, v0
	v_xor_b32_e32 v17, v17, v12
	v_and_b32_e32 v16, 8, v21
	v_or_b32_e32 v17, v17, v13
	v_xor_b32_e32 v15, v14, v12
	v_xor_b32_e32 v70, v17, v16
	v_or_b32_e32 v17, 64, v14
	v_or_b32_e32 v14, 0x60, v14
	v_xor_b32_e32 v17, v17, v12
	v_xor_b32_e32 v12, v14, v12
	v_or_b32_e32 v15, v15, v13
	v_or_b32_e32 v17, v17, v13
	;; [unrolled: 1-line block ×3, first 2 shown]
	v_xor_b32_e32 v68, v15, v16
	v_xor_b32_e32 v71, v17, v16
	;; [unrolled: 1-line block ×3, first 2 shown]
	v_lshrrev_b32_e32 v16, 4, v0
	v_lshlrev_b32_e32 v17, 1, v53
	s_ashr_i32 s3, s2, 31
	v_or_b32_e32 v18, 1, v17
	v_xor_b32_e32 v17, v16, v17
	s_lshl_b64 s[20:21], s[2:3], 8
	v_xor_b32_e32 v18, v18, v16
	v_lshlrev_b32_e32 v17, 3, v17
	v_lshlrev_b32_e32 v16, 8, v16
	v_lshlrev_b64 v[12:13], 1, v[42:43]
	s_add_u32 s20, s18, s20
	v_or3_b32 v43, v17, v16, s22
	v_lshlrev_b32_e32 v17, 3, v18
	s_addc_u32 s21, s19, s21
	v_or3_b32 v74, v17, v16, s22
	v_mov_b32_e32 v17, 0
	v_lshl_add_u64 v[18:19], s[20:21], 0, v[16:17]
	v_lshlrev_b32_e32 v16, 4, v53
	s_movk_i32 s3, 0xff
	v_lshlrev_b32_e32 v25, 3, v51
	v_and_b32_e32 v21, 24, v21
	v_lshl_add_u64 v[44:45], v[18:19], 0, v[16:17]
	v_and_b32_e32 v18, 8, v0
	v_cmp_lt_u32_e32 vcc, s3, v0
	v_xor_b32_e32 v26, v25, v21
	v_or_b32_e32 v27, 0x440, v26
	v_cndmask_b32_e64 v24, 0, 1, vcc
	v_cmp_eq_u32_e32 vcc, 0, v18
	v_and_b32_e32 v16, 7, v0
	v_lshlrev_b32_e32 v19, 3, v16
	v_cndmask_b32_e32 v18, v27, v26, vcc
	v_lshlrev_b32_e32 v16, 7, v16
	v_or_b32_e32 v18, v18, v20
	v_xad_u32 v75, v18, v19, v16
	v_or_b32_e32 v18, 32, v21
	v_xor_b32_e32 v18, v25, v18
	v_or_b32_e32 v26, 0x440, v18
	v_cndmask_b32_e32 v18, v26, v18, vcc
	v_or_b32_e32 v18, v18, v20
	v_xad_u32 v76, v18, v19, v16
	v_or_b32_e32 v18, 64, v21
	v_xor_b32_e32 v18, v25, v18
	v_xor_b32_e32 v26, 0x440, v18
	v_cndmask_b32_e32 v18, v26, v18, vcc
	v_or_b32_e32 v18, v18, v20
	v_xad_u32 v77, v18, v19, v16
	v_or_b32_e32 v18, 0x60, v21
	v_xor_b32_e32 v18, v25, v18
	v_xor_b32_e32 v21, 0x440, v18
	v_and_b32_e32 v15, 0x78, v54
	v_cndmask_b32_e32 v18, v21, v18, vcc
	v_lshl_or_b32 v15, v52, 7, v15
	v_or_b32_e32 v18, v18, v20
	v_or_b32_e32 v69, 0x9000, v15
	v_or_b32_e32 v73, 0x9800, v15
	v_lshl_add_u64 v[14:15], s[8:9], 0, v[12:13]
	v_lshl_add_u64 v[12:13], s[28:29], 0, v[12:13]
	v_lshlrev_b32_e32 v22, 1, v11
	v_add_lshl_u32 v11, v11, s15, 1
	v_or_b32_e32 v23, 0x100, v10
	v_lshlrev_b32_e32 v24, 13, v24
	v_xad_u32 v78, v18, v19, v16
	v_lshlrev_b32_e32 v16, 8, v56
	v_cndmask_b32_e64 v79, v22, v10, s[0:1]
	v_cndmask_b32_e64 v80, v11, v23, s[0:1]
	v_lshl_add_u64 v[46:47], v[14:15], 0, v[16:17]
	v_lshl_add_u64 v[48:49], v[12:13], 0, v[16:17]
	s_mov_b32 s3, 0x7060302
	s_movk_i32 s22, 0x4000
	v_add_u32_e32 v81, v24, v75
	v_add_u32_e32 v82, v24, v76
	;; [unrolled: 1-line block ×4, first 2 shown]
	s_waitcnt lgkmcnt(0)
	s_barrier
.LBB699_32:                             ; =>This Inner Loop Header: Depth=1
	s_add_i32 s35, s37, 1
	s_cmp_lt_i32 s35, s51
	s_mov_b64 s[24:25], 0
	s_cselect_b64 s[42:43], -1, 0
	s_cmp_ge_i32 s35, s51
	s_mov_b64 s[20:21], 0
	s_cbranch_scc1 .LBB699_34
; %bb.33:                               ;   in Loop: Header=BB699_32 Depth=1
	s_add_i32 s0, s61, 64
	s_add_u32 s0, s16, s0
	s_addc_u32 s1, s17, 0
	s_lshl_b64 s[0:1], s[0:1], 8
	s_add_u32 s20, s6, s0
	s_addc_u32 s21, s7, s1
.LBB699_34:                             ;   in Loop: Header=BB699_32 Depth=1
	v_cndmask_b32_e64 v10, 0, 1, s[42:43]
	v_cmp_ne_u32_e64 s[0:1], 1, v10
	s_andn2_b64 vcc, exec, s[42:43]
	s_cbranch_vccnz .LBB699_36
; %bb.35:                               ;   in Loop: Header=BB699_32 Depth=1
	s_add_i32 s24, s61, 64
	s_add_u32 s24, s64, s24
	s_addc_u32 s25, s65, 0
	s_mul_i32 s27, s24, s53
	s_mul_hi_u32 s42, s24, s58
	s_add_i32 s27, s42, s27
	s_mul_i32 s25, s25, s58
	s_add_i32 s27, s27, s25
	s_mul_i32 s24, s24, s58
	s_add_u32 s24, s24, s54
	s_addc_u32 s25, s27, s59
	s_lshl_b64 s[24:25], s[24:25], 8
	s_add_u32 s24, s4, s24
	s_addc_u32 s25, s5, s25
.LBB699_36:                             ;   in Loop: Header=BB699_32 Depth=1
	v_perm_b32 v11, v9, v8, s3
	v_perm_b32 v10, v7, v6, s3
	;; [unrolled: 1-line block ×4, first 2 shown]
	ds_write_b64 v64, v[10:11]
	ds_write_b64 v65, v[12:13]
	;; [unrolled: 1-line block ×4, first 2 shown]
	s_waitcnt lgkmcnt(0)
	s_barrier
	ds_read_b64 v[18:19], v68 offset:16384
	ds_read_b64 v[20:21], v70 offset:16384
	ds_read2st64_b64 v[10:13], v69 offset1:1
	ds_read2st64_b64 v[14:17], v69 offset0:2 offset1:3
	ds_read_b64 v[22:23], v71 offset:16384
	s_waitcnt lgkmcnt(2)
	v_mfma_f32_16x16x16_bf16 a[0:3], v[18:19], v[10:11], 0
	ds_read_b64 v[10:11], v72 offset:16384
	s_add_i32 s27, s61, 63
	s_mul_i32 s42, s27, s31
	v_mfma_f32_16x16x16_bf16 a[0:3], v[20:21], v[12:13], a[0:3]
	s_mul_hi_u32 s43, s27, s30
	s_add_i32 s43, s43, s42
	s_mul_i32 s42, s27, s30
	s_waitcnt lgkmcnt(1)
	v_mfma_f32_16x16x16_bf16 a[0:3], v[22:23], v[14:15], a[0:3]
	s_lshl_b64 s[42:43], s[42:43], 2
	s_add_u32 s42, s40, s42
	s_addc_u32 s43, s41, s43
	s_waitcnt lgkmcnt(0)
	v_mfma_f32_16x16x16_bf16 a[0:3], v[10:11], v[16:17], a[0:3]
	s_and_b64 vcc, exec, s[0:1]
	v_mov_b32_e32 v87, 0
	v_mov_b32_e32 v86, 0
	;; [unrolled: 1-line block ×19, first 2 shown]
	s_cbranch_vccnz .LBB699_38
; %bb.37:                               ;   in Loop: Header=BB699_32 Depth=1
	s_and_b32 s21, s21, 0xffff
	buffer_load_dwordx4 v[22:25], v60, s[20:23], 0 offen
	buffer_load_dwordx4 v[18:21], v60, s[20:23], s60 offen
	;; [unrolled: 1-line block ×4, first 2 shown]
	v_mov_b32_e32 v86, v62
	v_mov_b32_e32 v85, v63
.LBB699_38:                             ;   in Loop: Header=BB699_32 Depth=1
	s_waitcnt vmcnt(3)
	v_add_u32_e32 v32, s61, v56
	s_waitcnt vmcnt(1)
	v_ashrrev_i32_e32 v26, 31, v32
	v_mul_lo_u32 v28, v26, s30
	v_mul_lo_u32 v29, v32, s31
	v_mad_u64_u32 v[26:27], s[20:21], v32, s30, 0
	v_add3_u32 v27, v27, v29, v28
	v_add_u32_e32 v28, 1, v32
	v_ashrrev_i32_e32 v29, 31, v28
	v_mul_lo_u32 v30, v29, s30
	v_mul_lo_u32 v31, v28, s31
	v_mad_u64_u32 v[28:29], s[20:21], v28, s30, 0
	v_add3_u32 v29, v29, v31, v30
	v_add_u32_e32 v30, 2, v32
	v_ashrrev_i32_e32 v31, 31, v30
	v_mul_lo_u32 v33, v31, s30
	v_mul_lo_u32 v34, v30, s31
	v_mad_u64_u32 v[30:31], s[20:21], v30, s30, 0
	s_add_u32 s20, s16, s61
	v_add3_u32 v31, v31, v34, v33
	v_add_u32_e32 v34, 3, v32
	s_addc_u32 s21, s17, 0
	v_ashrrev_i32_e32 v32, 31, v34
	s_lshl_b64 s[66:67], s[20:21], 8
	v_lshl_add_u64 v[26:27], v[26:27], 2, s[40:41]
	v_mul_lo_u32 v35, v32, s30
	v_lshl_add_u64 v[32:33], v[46:47], 0, s[66:67]
	v_mul_lo_u32 v36, v34, s31
	global_load_ushort v89, v[32:33], off
	global_load_ushort v94, v[32:33], off offset:256
	global_load_ushort v95, v[32:33], off offset:512
	;; [unrolled: 1-line block ×3, first 2 shown]
	global_load_dword v97, v[26:27], off
	v_mad_u64_u32 v[26:27], s[20:21], v34, s30, 0
	v_lshl_add_u64 v[28:29], v[28:29], 2, s[40:41]
	v_add3_u32 v27, v27, v36, v35
	v_lshl_add_u64 v[30:31], v[30:31], 2, s[40:41]
	v_lshl_add_u64 v[26:27], v[26:27], 2, s[40:41]
	global_load_dword v98, v[28:29], off
	global_load_dword v99, v[30:31], off
	;; [unrolled: 1-line block ×3, first 2 shown]
	s_load_dword s20, s[42:43], 0x0
	ds_read_b64 v[34:35], v68 offset:24576
	ds_read2st64_b64 v[30:33], v73 offset1:1
	ds_read2st64_b64 v[36:39], v73 offset0:2 offset1:3
	ds_read_b64 v[40:41], v70 offset:24576
	ds_read_b64 v[90:91], v71 offset:24576
	;; [unrolled: 1-line block ×3, first 2 shown]
	s_waitcnt lgkmcnt(0)
	v_mfma_f32_16x16x16_bf16 a[0:3], v[34:35], v[30:31], a[0:3]
	v_mov_b32_e32 v88, 0
	v_mov_b32_e32 v26, 0
	;; [unrolled: 1-line block ×3, first 2 shown]
	v_mfma_f32_16x16x16_bf16 a[0:3], v[40:41], v[32:33], a[0:3]
	v_mov_b32_e32 v28, 0
	v_mov_b32_e32 v29, 0
	;; [unrolled: 1-line block ×3, first 2 shown]
	v_mfma_f32_16x16x16_bf16 a[0:3], v[90:91], v[36:37], a[0:3]
	v_lshl_add_u64 v[36:37], v[48:49], 0, s[66:67]
	v_mov_b32_e32 v31, 0
	v_mov_b32_e32 v32, 0
	v_mfma_f32_16x16x16_bf16 a[0:3], v[92:93], v[38:39], a[0:3]
	v_mov_b32_e32 v33, 0
	v_mov_b32_e32 v34, 0
	;; [unrolled: 1-line block ×3, first 2 shown]
	s_and_b64 vcc, exec, s[0:1]
	s_waitcnt vmcnt(7)
	v_lshlrev_b32_e32 v90, 16, v89
	s_nop 0
	v_accvgpr_read_b32 v41, a1
	v_accvgpr_read_b32 v39, a3
	;; [unrolled: 1-line block ×4, first 2 shown]
	s_waitcnt vmcnt(6)
	v_lshlrev_b32_e32 v91, 16, v94
	s_waitcnt vmcnt(4)
	v_lshlrev_b32_e32 v93, 16, v96
	v_lshlrev_b32_e32 v92, 16, v95
	s_waitcnt vmcnt(3)
	v_sub_f32_e32 v89, s20, v97
	v_pk_add_f32 v[40:41], v[90:91], v[40:41] neg_lo:[0,1] neg_hi:[0,1]
	v_pk_add_f32 v[38:39], v[92:93], v[38:39] neg_lo:[0,1] neg_hi:[0,1]
	v_exp_f32_e32 v90, v89
	s_waitcnt vmcnt(2)
	v_sub_f32_e32 v89, s20, v98
	s_waitcnt vmcnt(1)
	v_sub_f32_e32 v92, s20, v99
	;; [unrolled: 2-line block ×3, first 2 shown]
	v_exp_f32_e32 v91, v89
	v_exp_f32_e32 v92, v92
	v_exp_f32_e32 v93, v93
	global_store_short_d16_hi v[36:37], v40, off
	global_store_short_d16_hi v[36:37], v41, off offset:256
	global_store_short_d16_hi v[36:37], v38, off offset:512
	;; [unrolled: 1-line block ×3, first 2 shown]
	v_pk_mul_f32 v[36:37], v[90:91], v[40:41]
	v_pk_mul_f32 v[38:39], v[92:93], v[38:39]
	v_perm_b32 v36, v37, v36, s3
	v_perm_b32 v37, v39, v38, s3
	ds_write_b64 v65, v[36:37]
	v_mov_b32_e32 v36, 0
	v_mov_b32_e32 v37, 0
	v_mov_b32_e32 v38, 0
	v_mov_b32_e32 v39, 0
	v_mov_b32_e32 v40, 0
	v_mov_b32_e32 v41, 0
	s_cbranch_vccnz .LBB699_40
; %bb.39:                               ;   in Loop: Header=BB699_32 Depth=1
	s_and_b32 s25, s25, 0xffff
	s_mov_b32 s27, s23
	buffer_load_dwordx4 v[38:41], v79, s[24:27], 0 offen
	buffer_load_dwordx4 v[30:33], v79, s[24:27], s60 offen
	;; [unrolled: 1-line block ×4, first 2 shown]
	v_mov_b32_e32 v87, v59
	v_mov_b32_e32 v88, v58
.LBB699_40:                             ;   in Loop: Header=BB699_32 Depth=1
	s_waitcnt lgkmcnt(0)
	s_barrier
	ds_read_b64 v[98:99], v81
	ds_read2st64_b64 v[90:93], v73 offset1:1
	ds_read2st64_b64 v[94:97], v73 offset0:2 offset1:3
	ds_read_b64 v[100:101], v82
	ds_read_b64 v[102:103], v83
	;; [unrolled: 1-line block ×3, first 2 shown]
	s_waitcnt lgkmcnt(4)
	v_mfma_f32_16x16x16_bf16 a[0:3], v[98:99], v[90:91], 0
	ds_read_b64 v[98:99], v75 offset:8192
	ds_read_b64 v[106:107], v76 offset:8192
	s_add_i32 s21, s55, s37
	s_mul_hi_i32 s25, s21, s13
	s_waitcnt lgkmcnt(1)
	v_mfma_f32_16x16x16_bf16 a[4:7], v[98:99], v[90:91], 0
	s_mul_i32 s21, s21, s13
	s_add_u32 s24, s21, s48
	s_addc_u32 s25, s25, s52
	v_mfma_f32_16x16x16_bf16 a[0:3], v[100:101], v[92:93], a[0:3]
	ds_read_b64 v[98:99], v43
	ds_read_b64 v[100:101], v74
	ds_read_b64 v[90:91], v77 offset:8192
	s_lshl_b64 s[24:25], s[24:25], 15
	v_mfma_f32_16x16x16_bf16 a[0:3], v[102:103], v[94:95], a[0:3]
	ds_read_b64 v[102:103], v78 offset:8192
	s_and_b64 vcc, exec, s[0:1]
	s_waitcnt lgkmcnt(4)
	v_mfma_f32_16x16x16_bf16 a[4:7], v[106:107], v[92:93], a[4:7]
	s_waitcnt lgkmcnt(1)
	v_mfma_f32_16x16x16_bf16 a[4:7], v[90:91], v[94:95], a[4:7]
	v_lshl_add_u64 v[90:91], v[44:45], 0, s[24:25]
	global_store_dwordx4 v[90:91], v[98:101], off
	v_mfma_f32_16x16x16_bf16 a[0:3], v[104:105], v[96:97], a[0:3]
	s_waitcnt lgkmcnt(0)
	v_mfma_f32_16x16x16_bf16 a[4:7], v[102:103], v[96:97], a[4:7]
	s_cbranch_vccnz .LBB699_42
; %bb.41:                               ;   in Loop: Header=BB699_32 Depth=1
	v_lshrrev_b32_e32 v89, 3, v87
	v_and_b32_e32 v89, 6, v89
	v_xor_b32_e32 v88, v89, v88
	v_lshlrev_b32_e32 v88, 2, v88
	v_and_b32_e32 v87, 8, v87
	v_xor_b32_e32 v90, 0x440, v88
	v_cmp_eq_u32_e32 vcc, 0, v87
	s_barrier
	s_nop 0
	v_cndmask_b32_e32 v87, v90, v88, vcc
	v_lshl_or_b32 v87, v89, 10, v87
	s_waitcnt vmcnt(2)
	v_perm_b32 v88, v38, v34, s62
	s_waitcnt vmcnt(1)
	v_perm_b32 v89, v30, v26, s62
	ds_write2st64_b32 v87, v88, v89 offset1:32
	v_xor_b32_e32 v88, 8, v87
	v_perm_b32 v34, v38, v34, s63
	v_perm_b32 v26, v30, v26, s63
	v_add_u32_e32 v30, 0x80, v88
	ds_write2st64_b32 v30, v34, v26 offset1:32
	v_xor_b32_e32 v26, 16, v87
	v_perm_b32 v30, v39, v35, s62
	v_perm_b32 v34, v31, v27, s62
	ds_write2st64_b32 v26, v30, v34 offset0:1 offset1:33
	v_xor_b32_e32 v26, 24, v87
	v_perm_b32 v30, v39, v35, s63
	v_perm_b32 v27, v31, v27, s63
	v_add_u32_e32 v26, 0x80, v26
	ds_write2st64_b32 v26, v30, v27 offset0:1 offset1:33
	v_xor_b32_e32 v26, 32, v87
	v_perm_b32 v27, v40, v36, s62
	v_perm_b32 v30, v32, v28, s62
	ds_write2st64_b32 v26, v27, v30 offset0:2 offset1:34
	v_xor_b32_e32 v26, 40, v87
	v_perm_b32 v27, v40, v36, s63
	v_perm_b32 v28, v32, v28, s63
	v_add_u32_e32 v26, 0x80, v26
	ds_write2st64_b32 v26, v27, v28 offset0:2 offset1:34
	;; [unrolled: 9-line block ×3, first 2 shown]
	ds_write_b64 v86, v[22:23] offset:16384
	v_xor_b32_e32 v22, 8, v86
	ds_write_b64 v22, v[24:25] offset:16384
	ds_write_b64 v86, v[18:19] offset:24576
	;; [unrolled: 1-line block ×4, first 2 shown]
	v_xor_b32_e32 v14, 8, v85
	ds_write_b64 v14, v[16:17] offset:16384
	ds_write_b64 v85, v[10:11] offset:24576
	;; [unrolled: 1-line block ×3, first 2 shown]
.LBB699_42:                             ;   in Loop: Header=BB699_32 Depth=1
	v_exp_f32_e32 v12, s20
	s_nop 2
	v_accvgpr_read_b32 v11, a1
	v_accvgpr_read_b32 v10, a0
	s_add_i32 s61, s61, 64
	v_fma_f32 v7, v7, v12, v11
	v_accvgpr_read_b32 v11, a3
	v_fmac_f32_e32 v11, v9, v12
	v_accvgpr_read_b32 v9, a4
	v_fma_f32 v6, v6, v12, v10
	v_accvgpr_read_b32 v10, a2
	v_fma_f32 v2, v2, v12, v9
	;; [unrolled: 2-line block ×3, first 2 shown]
	v_fma_f32 v3, v3, v12, v9
	v_accvgpr_read_b32 v9, a6
	v_accvgpr_read_b32 v10, a7
	v_fma_f32 v4, v4, v12, v9
	s_cmp_eq_u32 s51, s35
	v_fmac_f32_e32 v10, v5, v12
	s_cbranch_scc1 .LBB699_4
; %bb.43:                               ;   in Loop: Header=BB699_32 Depth=1
	s_mov_b32 s37, s35
	v_mov_b32_e32 v9, v11
	v_mov_b32_e32 v5, v10
	s_branch .LBB699_32
.LBB699_44:
                                        ; implicit-def: $vgpr5
                                        ; implicit-def: $vgpr9
                                        ; implicit-def: $vgpr13
                                        ; implicit-def: $vgpr17
	s_cbranch_execz .LBB699_46
; %bb.45:
	s_waitcnt vmcnt(0)
	v_mad_u64_u32 v[2:3], s[0:1], v20, s15, v[18:19]
	v_lshlrev_b32_e32 v20, 1, v2
	s_lshl_b32 s2, s15, 7
	s_and_b32 s1, s5, 0xffff
	s_mov_b32 s3, 0x20000
	s_mov_b32 s0, s4
	v_add_lshl_u32 v21, v2, s15, 1
	s_movk_i32 s13, 0x80
	buffer_load_dwordx4 v[2:5], v20, s[0:3], 0 offen
	buffer_load_dwordx4 v[10:13], v20, s[0:3], s13 offen
	;; [unrolled: 1-line block ×4, first 2 shown]
.LBB699_46:
	v_lshrrev_b32_e32 v37, 2, v50
	s_cbranch_execnz .LBB699_59
.LBB699_47:
	s_and_b64 vcc, exec, s[6:7]
	s_cbranch_vccz .LBB699_57
; %bb.48:
	s_waitcnt vmcnt(0)
	v_lshlrev_b32_e32 v7, 1, v35
	v_cmp_gt_i32_e32 vcc, s27, v7
	v_mov_b32_e32 v6, 0
	v_lshlrev_b32_e32 v14, 9, v35
	v_mov_b32_e32 v2, 0
	v_mov_b32_e32 v3, 0
	;; [unrolled: 1-line block ×4, first 2 shown]
	s_and_saveexec_b64 s[0:1], vcc
	s_cbranch_execz .LBB699_50
; %bb.49:
	v_mov_b32_e32 v15, 0
	v_lshl_add_u64 v[2:3], s[4:5], 0, v[14:15]
	v_lshlrev_b32_e32 v4, 1, v18
	v_mov_b32_e32 v5, v15
	v_lshl_add_u64 v[2:3], v[2:3], 0, v[4:5]
	global_load_dwordx4 v[2:5], v[2:3], off
.LBB699_50:
	s_or_b64 exec, exec, s[0:1]
	v_or_b32_e32 v7, 1, v7
	v_cmp_gt_i32_e64 s[0:1], s27, v7
	v_lshlrev_b32_e32 v20, 8, v7
	v_mov_b32_e32 v7, 0
	v_mov_b32_e32 v8, 0
	;; [unrolled: 1-line block ×3, first 2 shown]
	s_and_saveexec_b64 s[2:3], s[0:1]
	s_cbranch_execz .LBB699_52
; %bb.51:
	v_mov_b32_e32 v21, 0
	v_lshl_add_u64 v[6:7], s[4:5], 0, v[20:21]
	v_lshlrev_b32_e32 v8, 1, v18
	v_mov_b32_e32 v9, v21
	v_lshl_add_u64 v[6:7], v[6:7], 0, v[8:9]
	global_load_dwordx4 v[6:9], v[6:7], off
.LBB699_52:
	s_or_b64 exec, exec, s[2:3]
	v_mov_b32_e32 v17, 0
	v_mov_b32_e32 v10, 0
	;; [unrolled: 1-line block ×5, first 2 shown]
	s_and_saveexec_b64 s[2:3], vcc
	s_cbranch_execz .LBB699_54
; %bb.53:
	v_mov_b32_e32 v15, 0
	v_lshl_add_u64 v[10:11], s[4:5], 0, v[14:15]
	v_lshlrev_b32_e32 v14, 1, v18
	v_lshl_add_u64 v[10:11], v[10:11], 0, v[14:15]
	global_load_dwordx4 v[10:13], v[10:11], off offset:128
.LBB699_54:
	s_or_b64 exec, exec, s[2:3]
	v_mov_b32_e32 v16, 0
	v_mov_b32_e32 v15, 0
	;; [unrolled: 1-line block ×3, first 2 shown]
	s_and_saveexec_b64 s[2:3], s[0:1]
	s_cbranch_execz .LBB699_56
; %bb.55:
	v_mov_b32_e32 v21, 0
	v_lshl_add_u64 v[14:15], s[4:5], 0, v[20:21]
	v_lshlrev_b32_e32 v20, 1, v18
	v_lshl_add_u64 v[14:15], v[14:15], 0, v[20:21]
	global_load_dwordx4 v[14:17], v[14:15], off offset:128
.LBB699_56:
	s_or_b64 exec, exec, s[2:3]
	s_branch .LBB699_59
.LBB699_57:
                                        ; implicit-def: $vgpr5
                                        ; implicit-def: $vgpr9
                                        ; implicit-def: $vgpr13
                                        ; implicit-def: $vgpr17
	s_cbranch_execz .LBB699_59
; %bb.58:
	s_waitcnt vmcnt(0)
	v_lshlrev_b32_e32 v2, 1, v18
	v_lshl_or_b32 v18, v35, 9, v2
	s_and_b32 s5, s5, 0xffff
	s_mov_b32 s7, 0x20000
	s_movk_i32 s6, 0x4000
	s_movk_i32 s0, 0x80
	buffer_load_dwordx4 v[2:5], v18, s[4:7], 0 offen
	buffer_load_dwordx4 v[6:9], v18, s[4:7], 0 offen offset:256
	buffer_load_dwordx4 v[10:13], v18, s[4:7], s0 offen
	buffer_load_dwordx4 v[14:17], v18, s[4:7], s0 offen offset:256
.LBB699_59:
	ds_read2st64_b64 v[22:25], v19 offset0:76 offset1:77
	ds_read2st64_b64 v[18:21], v19 offset0:78 offset1:79
	ds_read_b64 v[32:33], v26 offset:24576
	ds_read_b64 v[30:31], v27 offset:24576
	;; [unrolled: 1-line block ×4, first 2 shown]
	v_and_b32_e32 v36, 6, v0
	v_xor_b32_e32 v35, v35, v36
	v_lshlrev_b32_e32 v35, 2, v35
	v_and_b32_e32 v0, 1, v0
	v_xor_b32_e32 v38, 0x440, v35
	v_cmp_eq_u32_e32 vcc, 0, v0
	s_mov_b32 s0, 0x1000504
	s_mov_b32 s1, 0x3020706
	v_cndmask_b32_e32 v0, v38, v35, vcc
	v_lshl_or_b32 v0, v36, 10, v0
	s_waitcnt vmcnt(0)
	v_perm_b32 v35, v2, v6, s0
	v_perm_b32 v36, v10, v14, s0
	ds_write2st64_b32 v0, v35, v36 offset1:32
	v_xor_b32_e32 v35, 8, v0
	v_perm_b32 v2, v2, v6, s1
	v_perm_b32 v6, v10, v14, s1
	v_add_u32_e32 v10, 0x80, v35
	ds_write2st64_b32 v10, v2, v6 offset1:32
	v_xor_b32_e32 v2, 16, v0
	v_perm_b32 v6, v3, v7, s0
	v_perm_b32 v10, v11, v15, s0
	ds_write2st64_b32 v2, v6, v10 offset0:1 offset1:33
	v_xor_b32_e32 v2, 24, v0
	v_perm_b32 v3, v3, v7, s1
	v_perm_b32 v6, v11, v15, s1
	v_add_u32_e32 v2, 0x80, v2
	ds_write2st64_b32 v2, v3, v6 offset0:1 offset1:33
	v_xor_b32_e32 v2, 32, v0
	v_perm_b32 v3, v4, v8, s0
	v_perm_b32 v6, v12, v16, s0
	ds_write2st64_b32 v2, v3, v6 offset0:2 offset1:34
	v_xor_b32_e32 v2, 40, v0
	v_perm_b32 v3, v4, v8, s1
	v_perm_b32 v4, v12, v16, s1
	v_add_u32_e32 v2, 0x80, v2
	ds_write2st64_b32 v2, v3, v4 offset0:2 offset1:34
	v_xor_b32_e32 v2, 48, v0
	v_perm_b32 v3, v5, v9, s0
	v_perm_b32 v4, v13, v17, s0
	v_xor_b32_e32 v0, 56, v0
	v_and_or_b32 v8, v37, 12, v1
	ds_write2st64_b32 v2, v3, v4 offset0:3 offset1:35
	v_perm_b32 v2, v5, v9, s1
	v_perm_b32 v3, v13, v17, s1
	v_add_u32_e32 v0, 0x80, v0
	v_cmp_gt_i32_e64 s[2:3], s27, v8
	v_mov_b32_e32 v10, 0
	v_mov_b32_e32 v15, 0
	ds_write2st64_b32 v0, v2, v3 offset0:3 offset1:35
	s_and_saveexec_b64 s[0:1], s[2:3]
	s_cbranch_execz .LBB699_61
; %bb.60:
	v_add_u32_e32 v0, s26, v8
	v_ashrrev_i32_e32 v1, 31, v0
	v_mul_lo_u32 v2, v1, s30
	v_mul_lo_u32 v3, v0, s31
	v_mad_u64_u32 v[0:1], s[4:5], v0, s30, 0
	v_add3_u32 v1, v1, v3, v2
	v_lshl_add_u64 v[0:1], v[0:1], 2, s[10:11]
	global_load_dword v0, v[0:1], off
	s_waitcnt vmcnt(0)
	v_sub_f32_e32 v0, s12, v0
	v_exp_f32_e32 v15, v0
.LBB699_61:
	s_or_b64 exec, exec, s[0:1]
	v_or_b32_e32 v13, 1, v8
	v_cmp_gt_i32_e64 s[4:5], s27, v13
	s_and_saveexec_b64 s[0:1], s[4:5]
	s_cbranch_execz .LBB699_63
; %bb.62:
	v_add_u32_e32 v0, s26, v13
	v_ashrrev_i32_e32 v1, 31, v0
	v_mul_lo_u32 v2, v1, s30
	v_mul_lo_u32 v3, v0, s31
	v_mad_u64_u32 v[0:1], s[6:7], v0, s30, 0
	v_add3_u32 v1, v1, v3, v2
	v_lshl_add_u64 v[0:1], v[0:1], 2, s[10:11]
	global_load_dword v0, v[0:1], off
	s_waitcnt vmcnt(0)
	v_sub_f32_e32 v0, s12, v0
	v_exp_f32_e32 v10, v0
.LBB699_63:
	s_or_b64 exec, exec, s[0:1]
	v_or_b32_e32 v11, 2, v8
	v_cmp_gt_i32_e32 vcc, s27, v11
	v_mov_b32_e32 v9, 0
	v_mov_b32_e32 v14, 0
	s_and_saveexec_b64 s[0:1], vcc
	s_cbranch_execz .LBB699_65
; %bb.64:
	v_add_u32_e32 v0, s26, v11
	v_ashrrev_i32_e32 v1, 31, v0
	v_mul_lo_u32 v2, v1, s30
	v_mul_lo_u32 v3, v0, s31
	v_mad_u64_u32 v[0:1], s[6:7], v0, s30, 0
	v_add3_u32 v1, v1, v3, v2
	v_lshl_add_u64 v[0:1], v[0:1], 2, s[10:11]
	global_load_dword v0, v[0:1], off
	s_waitcnt vmcnt(0)
	v_sub_f32_e32 v0, s12, v0
	v_exp_f32_e32 v14, v0
.LBB699_65:
	s_or_b64 exec, exec, s[0:1]
	v_or_b32_e32 v12, 3, v8
	v_cmp_gt_i32_e64 s[0:1], s27, v12
	s_and_saveexec_b64 s[6:7], s[0:1]
	s_cbranch_execz .LBB699_67
; %bb.66:
	v_add_u32_e32 v0, s26, v12
	v_ashrrev_i32_e32 v1, 31, v0
	v_mul_lo_u32 v2, v1, s30
	v_mul_lo_u32 v3, v0, s31
	v_mad_u64_u32 v[0:1], s[14:15], v0, s30, 0
	v_add3_u32 v1, v1, v3, v2
	v_lshl_add_u64 v[0:1], v[0:1], 2, s[10:11]
	global_load_dword v0, v[0:1], off
	s_waitcnt vmcnt(0)
	v_sub_f32_e32 v0, s12, v0
	v_exp_f32_e32 v9, v0
.LBB699_67:
	s_or_b64 exec, exec, s[6:7]
	s_waitcnt lgkmcnt(11)
	v_mfma_f32_16x16x16_bf16 a[0:3], v[32:33], v[22:23], a[0:3]
	s_add_u32 s6, s8, s20
	v_ashrrev_i32_e32 v43, 31, v42
	s_addc_u32 s7, s9, s21
	s_waitcnt lgkmcnt(10)
	v_mfma_f32_16x16x16_bf16 a[0:3], v[30:31], v[24:25], a[0:3]
	v_lshlrev_b64 v[0:1], 1, v[42:43]
	v_lshl_add_u64 v[4:5], s[6:7], 0, v[0:1]
	s_add_u32 s6, s28, s20
	s_waitcnt lgkmcnt(9)
	v_mfma_f32_16x16x16_bf16 a[0:3], v[28:29], v[18:19], a[0:3]
	s_addc_u32 s7, s29, s21
	v_lshl_add_u64 v[6:7], s[6:7], 0, v[0:1]
	v_mov_b32_e32 v16, 0
	s_waitcnt lgkmcnt(8)
	v_mfma_f32_16x16x16_bf16 a[0:3], v[26:27], v[20:21], a[0:3]
	v_mov_b32_e32 v17, 0
	s_nop 5
	v_accvgpr_read_b32 v0, a0
	v_accvgpr_read_b32 v1, a1
	;; [unrolled: 1-line block ×4, first 2 shown]
	s_and_saveexec_b64 s[6:7], s[2:3]
	s_cbranch_execz .LBB699_69
; %bb.68:
	v_lshlrev_b32_e32 v18, 8, v8
	v_mov_b32_e32 v19, 0
	v_lshl_add_u64 v[20:21], v[4:5], 0, v[18:19]
	global_load_ushort v17, v[20:21], off
	v_lshl_add_u64 v[18:19], v[6:7], 0, v[18:19]
	s_waitcnt vmcnt(0)
	v_lshlrev_b32_e32 v17, 16, v17
	v_sub_f32_e32 v0, v17, v0
	global_store_short_d16_hi v[18:19], v0, off
	v_mul_f32_e32 v0, v15, v0
	v_lshrrev_b32_e32 v17, 16, v0
.LBB699_69:
	s_or_b64 exec, exec, s[6:7]
	s_and_saveexec_b64 s[2:3], s[4:5]
	s_cbranch_execz .LBB699_71
; %bb.70:
	v_lshlrev_b32_e32 v18, 8, v13
	v_mov_b32_e32 v19, 0
	v_lshl_add_u64 v[20:21], v[4:5], 0, v[18:19]
	global_load_ushort v0, v[20:21], off
	v_lshl_add_u64 v[18:19], v[6:7], 0, v[18:19]
	s_waitcnt vmcnt(0)
	v_lshlrev_b32_e32 v0, 16, v0
	v_sub_f32_e32 v0, v0, v1
	global_store_short_d16_hi v[18:19], v0, off
	v_mul_f32_e32 v0, v10, v0
	v_lshrrev_b32_e32 v16, 16, v0
.LBB699_71:
	s_or_b64 exec, exec, s[2:3]
	v_mov_b32_e32 v0, 0
	v_mov_b32_e32 v1, 0
	s_and_saveexec_b64 s[2:3], vcc
	s_cbranch_execz .LBB699_73
; %bb.72:
	v_lshlrev_b32_e32 v10, 8, v11
	v_mov_b32_e32 v11, 0
	v_lshl_add_u64 v[18:19], v[4:5], 0, v[10:11]
	global_load_ushort v1, v[18:19], off
	v_lshl_add_u64 v[10:11], v[6:7], 0, v[10:11]
	s_waitcnt vmcnt(0)
	v_lshlrev_b32_e32 v1, 16, v1
	v_sub_f32_e32 v1, v1, v2
	global_store_short_d16_hi v[10:11], v1, off
	v_mul_f32_e32 v1, v14, v1
	v_lshrrev_b32_e32 v1, 16, v1
.LBB699_73:
	s_or_b64 exec, exec, s[2:3]
	s_and_saveexec_b64 s[2:3], s[0:1]
	s_cbranch_execz .LBB699_75
; %bb.74:
	v_lshlrev_b32_e32 v10, 8, v12
	v_mov_b32_e32 v11, 0
	v_lshl_add_u64 v[4:5], v[4:5], 0, v[10:11]
	global_load_ushort v0, v[4:5], off
	v_lshl_add_u64 v[4:5], v[6:7], 0, v[10:11]
	s_waitcnt vmcnt(0)
	v_lshlrev_b32_e32 v0, 16, v0
	v_sub_f32_e32 v0, v0, v3
	global_store_short_d16_hi v[4:5], v0, off
	v_mul_f32_e32 v0, v9, v0
	v_lshrrev_b32_e32 v0, 16, v0
.LBB699_75:
	s_or_b64 exec, exec, s[2:3]
	s_mov_b32 s0, 0x5040100
	v_lshlrev_b32_e32 v2, 1, v34
	v_perm_b32 v1, v0, v1, s0
	v_perm_b32 v0, v16, v17, s0
	v_lshl_or_b32 v2, v8, 5, v2
	ds_write_b64 v2, v[0:1] offset:38912
	s_waitcnt lgkmcnt(0)
	s_barrier
.LBB699_76:
	s_endpgm
	.section	.rodata,"a",@progbits
	.p2align	6, 0x0
	.amdhsa_kernel _ZN12_GLOBAL__N_139chunk_gated_delta_rule_fwd_h_hip_kernelILi16ELb1ELb0ELb1ELb0ELb1ELb0ELb0ELb0EEEvPK12hip_bfloat16S3_S3_PKfS5_PKvPS1_S8_PvPKiSB_iiiiilll
		.amdhsa_group_segment_fixed_size 40960
		.amdhsa_private_segment_fixed_size 0
		.amdhsa_kernarg_size 136
		.amdhsa_user_sgpr_count 2
		.amdhsa_user_sgpr_dispatch_ptr 0
		.amdhsa_user_sgpr_queue_ptr 0
		.amdhsa_user_sgpr_kernarg_segment_ptr 1
		.amdhsa_user_sgpr_dispatch_id 0
		.amdhsa_user_sgpr_kernarg_preload_length 0
		.amdhsa_user_sgpr_kernarg_preload_offset 0
		.amdhsa_user_sgpr_private_segment_size 0
		.amdhsa_uses_dynamic_stack 0
		.amdhsa_enable_private_segment 0
		.amdhsa_system_sgpr_workgroup_id_x 1
		.amdhsa_system_sgpr_workgroup_id_y 1
		.amdhsa_system_sgpr_workgroup_id_z 0
		.amdhsa_system_sgpr_workgroup_info 0
		.amdhsa_system_vgpr_workitem_id 0
		.amdhsa_next_free_vgpr 116
		.amdhsa_next_free_sgpr 68
		.amdhsa_accum_offset 108
		.amdhsa_reserve_vcc 1
		.amdhsa_float_round_mode_32 0
		.amdhsa_float_round_mode_16_64 0
		.amdhsa_float_denorm_mode_32 3
		.amdhsa_float_denorm_mode_16_64 3
		.amdhsa_dx10_clamp 1
		.amdhsa_ieee_mode 1
		.amdhsa_fp16_overflow 0
		.amdhsa_tg_split 0
		.amdhsa_exception_fp_ieee_invalid_op 0
		.amdhsa_exception_fp_denorm_src 0
		.amdhsa_exception_fp_ieee_div_zero 0
		.amdhsa_exception_fp_ieee_overflow 0
		.amdhsa_exception_fp_ieee_underflow 0
		.amdhsa_exception_fp_ieee_inexact 0
		.amdhsa_exception_int_div_zero 0
	.end_amdhsa_kernel
	.section	.text._ZN12_GLOBAL__N_139chunk_gated_delta_rule_fwd_h_hip_kernelILi16ELb1ELb0ELb1ELb0ELb1ELb0ELb0ELb0EEEvPK12hip_bfloat16S3_S3_PKfS5_PKvPS1_S8_PvPKiSB_iiiiilll,"axG",@progbits,_ZN12_GLOBAL__N_139chunk_gated_delta_rule_fwd_h_hip_kernelILi16ELb1ELb0ELb1ELb0ELb1ELb0ELb0ELb0EEEvPK12hip_bfloat16S3_S3_PKfS5_PKvPS1_S8_PvPKiSB_iiiiilll,comdat
.Lfunc_end699:
	.size	_ZN12_GLOBAL__N_139chunk_gated_delta_rule_fwd_h_hip_kernelILi16ELb1ELb0ELb1ELb0ELb1ELb0ELb0ELb0EEEvPK12hip_bfloat16S3_S3_PKfS5_PKvPS1_S8_PvPKiSB_iiiiilll, .Lfunc_end699-_ZN12_GLOBAL__N_139chunk_gated_delta_rule_fwd_h_hip_kernelILi16ELb1ELb0ELb1ELb0ELb1ELb0ELb0ELb0EEEvPK12hip_bfloat16S3_S3_PKfS5_PKvPS1_S8_PvPKiSB_iiiiilll
                                        ; -- End function
	.section	.AMDGPU.csdata,"",@progbits
; Kernel info:
; codeLenInByte = 7268
; NumSgprs: 74
; NumVgprs: 108
; NumAgprs: 8
; TotalNumVgprs: 116
; ScratchSize: 0
; MemoryBound: 0
; FloatMode: 240
; IeeeMode: 1
; LDSByteSize: 40960 bytes/workgroup (compile time only)
; SGPRBlocks: 9
; VGPRBlocks: 14
; NumSGPRsForWavesPerEU: 74
; NumVGPRsForWavesPerEU: 116
; AccumOffset: 108
; Occupancy: 1
; WaveLimiterHint : 1
; COMPUTE_PGM_RSRC2:SCRATCH_EN: 0
; COMPUTE_PGM_RSRC2:USER_SGPR: 2
; COMPUTE_PGM_RSRC2:TRAP_HANDLER: 0
; COMPUTE_PGM_RSRC2:TGID_X_EN: 1
; COMPUTE_PGM_RSRC2:TGID_Y_EN: 1
; COMPUTE_PGM_RSRC2:TGID_Z_EN: 0
; COMPUTE_PGM_RSRC2:TIDIG_COMP_CNT: 0
; COMPUTE_PGM_RSRC3_GFX90A:ACCUM_OFFSET: 26
; COMPUTE_PGM_RSRC3_GFX90A:TG_SPLIT: 0
	.section	.text._ZN12_GLOBAL__N_139chunk_gated_delta_rule_fwd_h_hip_kernelILi16ELb1ELb0ELb0ELb0ELb1ELb0ELb0ELb0EEEvPK12hip_bfloat16S3_S3_PKfS5_PKvPS1_S8_PvPKiSB_iiiiilll,"axG",@progbits,_ZN12_GLOBAL__N_139chunk_gated_delta_rule_fwd_h_hip_kernelILi16ELb1ELb0ELb0ELb0ELb1ELb0ELb0ELb0EEEvPK12hip_bfloat16S3_S3_PKfS5_PKvPS1_S8_PvPKiSB_iiiiilll,comdat
	.globl	_ZN12_GLOBAL__N_139chunk_gated_delta_rule_fwd_h_hip_kernelILi16ELb1ELb0ELb0ELb0ELb1ELb0ELb0ELb0EEEvPK12hip_bfloat16S3_S3_PKfS5_PKvPS1_S8_PvPKiSB_iiiiilll ; -- Begin function _ZN12_GLOBAL__N_139chunk_gated_delta_rule_fwd_h_hip_kernelILi16ELb1ELb0ELb0ELb0ELb1ELb0ELb0ELb0EEEvPK12hip_bfloat16S3_S3_PKfS5_PKvPS1_S8_PvPKiSB_iiiiilll
	.p2align	8
	.type	_ZN12_GLOBAL__N_139chunk_gated_delta_rule_fwd_h_hip_kernelILi16ELb1ELb0ELb0ELb0ELb1ELb0ELb0ELb0EEEvPK12hip_bfloat16S3_S3_PKfS5_PKvPS1_S8_PvPKiSB_iiiiilll,@function
_ZN12_GLOBAL__N_139chunk_gated_delta_rule_fwd_h_hip_kernelILi16ELb1ELb0ELb0ELb0ELb1ELb0ELb0ELb0EEEvPK12hip_bfloat16S3_S3_PKfS5_PKvPS1_S8_PvPKiSB_iiiiilll: ; @_ZN12_GLOBAL__N_139chunk_gated_delta_rule_fwd_h_hip_kernelILi16ELb1ELb0ELb0ELb0ELb1ELb0ELb0ELb0EEEvPK12hip_bfloat16S3_S3_PKfS5_PKvPS1_S8_PvPKiSB_iiiiilll
; %bb.0:
	s_load_dwordx4 s[12:15], s[0:1], 0x5c
	s_load_dwordx4 s[16:19], s[0:1], 0x28
	s_abs_i32 s6, s3
	s_ashr_i32 s5, s3, 31
	v_and_b32_e32 v51, 15, v0
	s_waitcnt lgkmcnt(0)
	s_abs_i32 s4, s13
	v_cvt_f32_u32_e32 v1, s4
	s_sub_i32 s8, 0, s4
	s_ashr_i32 s7, s13, 31
	s_xor_b32 s5, s5, s7
	v_rcp_iflag_f32_e32 v1, v1
	v_lshrrev_b32_e32 v49, 6, v0
	v_bfe_u32 v50, v0, 4, 2
	v_mov_b32_e32 v5, 0
	v_mul_f32_e32 v1, 0x4f7ffffe, v1
	v_cvt_u32_f32_e32 v1, v1
	v_and_b32_e32 v48, 63, v0
	v_lshrrev_b32_e32 v53, 3, v48
	v_lshlrev_b32_e32 v52, 3, v0
	v_readfirstlane_b32 s9, v1
	s_mul_i32 s8, s8, s9
	s_mul_hi_u32 s8, s9, s8
	s_add_i32 s9, s9, s8
	s_mul_hi_u32 s8, s6, s9
	s_mul_i32 s9, s8, s4
	s_sub_i32 s6, s6, s9
	s_add_i32 s10, s8, 1
	s_sub_i32 s9, s6, s4
	s_cmp_ge_u32 s6, s4
	s_cselect_b32 s8, s10, s8
	s_cselect_b32 s6, s9, s6
	s_add_i32 s9, s8, 1
	s_cmp_ge_u32 s6, s4
	s_cselect_b32 s6, s9, s8
	s_xor_b32 s6, s6, s5
	s_sub_i32 s48, s6, s5
	s_mul_i32 s6, s48, s13
	s_sub_i32 s46, s3, s6
	s_abs_i32 s3, s14
	v_cvt_f32_u32_e32 v1, s3
	s_add_i32 s8, s12, 63
	s_ashr_i32 s9, s8, 31
	s_lshr_b32 s5, s9, 26
	v_rcp_iflag_f32_e32 v1, v1
	s_ashr_i32 s47, s12, 31
	s_add_i32 s8, s8, s5
	s_lshr_b32 s5, s47, 26
	v_mul_f32_e32 v1, 0x4f7ffffe, v1
	v_cvt_u32_f32_e32 v1, v1
	s_add_i32 s5, s12, s5
	s_ashr_i32 s51, s14, 31
	s_ashr_i32 s24, s8, 6
	;; [unrolled: 1-line block ×3, first 2 shown]
	s_xor_b32 s5, s7, s51
	s_sub_i32 s7, 0, s3
	v_readfirstlane_b32 s8, v1
	s_mul_i32 s7, s7, s8
	s_mul_hi_u32 s7, s8, s7
	s_add_i32 s8, s8, s7
	s_mul_hi_u32 s7, s4, s8
	s_mul_i32 s8, s7, s3
	s_sub_i32 s4, s4, s8
	s_lshl_b32 s2, s2, 4
	s_add_i32 s8, s7, 1
	s_sub_i32 s9, s4, s3
	s_cmp_ge_u32 s4, s3
	s_cselect_b32 s7, s8, s7
	s_cselect_b32 s4, s9, s4
	s_add_i32 s8, s7, 1
	s_cmp_ge_u32 s4, s3
	s_cselect_b32 s3, s8, s7
	s_xor_b32 s3, s3, s5
	s_sub_i32 s3, s3, s5
	s_abs_i32 s4, s3
	v_cvt_f32_u32_e32 v1, s4
	s_sub_i32 s7, 0, s4
	s_abs_i32 s5, s46
	s_xor_b32 s3, s46, s3
	v_rcp_iflag_f32_e32 v1, v1
	s_ashr_i32 s3, s3, 31
	v_or_b32_e32 v42, s2, v51
	v_lshlrev_b32_e32 v2, 7, v42
	v_mul_f32_e32 v1, 0x4f7ffffe, v1
	v_cvt_u32_f32_e32 v1, v1
	v_ashrrev_i32_e32 v3, 31, v2
	s_mul_i32 s53, s48, s24
	v_readfirstlane_b32 s8, v1
	s_mul_i32 s7, s7, s8
	s_mul_hi_u32 s7, s8, s7
	s_add_i32 s8, s8, s7
	s_mul_hi_u32 s7, s5, s8
	s_mul_i32 s8, s7, s4
	s_sub_i32 s5, s5, s8
	s_add_i32 s8, s7, 1
	s_sub_i32 s9, s5, s4
	s_cmp_ge_u32 s5, s4
	s_cselect_b32 s7, s8, s7
	s_cselect_b32 s5, s9, s5
	s_add_i32 s8, s7, 1
	s_cmp_ge_u32 s5, s4
	s_cselect_b32 s4, s8, s7
	s_xor_b32 s4, s4, s3
	s_sub_i32 s52, s4, s3
	s_ashr_i32 s3, s48, 31
	s_ashr_i32 s50, s46, 31
	s_mul_hi_i32 s4, s48, s13
	s_add_u32 s36, s6, s46
	s_addc_u32 s37, s4, s50
	s_lshl_b64 s[4:5], s[36:37], 16
	v_lshlrev_b32_e32 v1, 4, v49
	s_add_u32 s4, s16, s4
	v_lshl_or_b32 v54, v50, 2, v1
	s_addc_u32 s5, s17, s5
	v_lshl_add_u64 v[2:3], v[2:3], 2, s[4:5]
	v_lshlrev_b32_e32 v4, 2, v54
	v_lshl_add_u64 v[10:11], v[2:3], 0, v[4:5]
	global_load_dwordx4 v[6:9], v[10:11], off
	global_load_dwordx4 v[2:5], v[10:11], off offset:256
	s_load_dwordx8 s[4:11], s[0:1], 0x0
	s_load_dwordx2 s[28:29], s[0:1], 0x80
	s_load_dwordx4 s[20:23], s[0:1], 0x70
	v_or_b32_e32 v55, 64, v54
	s_cmp_lt_i32 s12, 64
	s_mul_i32 s54, s37, s12
	s_mul_hi_u32 s55, s36, s12
	s_mul_i32 s16, s36, s12
	s_waitcnt lgkmcnt(0)
	s_mul_i32 s33, s48, s21
	s_mul_hi_u32 s42, s48, s20
	s_mul_i32 s43, s3, s20
	s_mul_i32 s34, s48, s20
	;; [unrolled: 1-line block ×3, first 2 shown]
	s_mul_hi_u32 s44, s46, s22
	s_mul_i32 s45, s50, s22
	s_mul_i32 s30, s46, s22
	s_cbranch_scc1 .LBB700_3
; %bb.1:
	s_add_i32 s17, s55, s54
	s_lshl_b64 s[0:1], s[16:17], 8
	v_and_b32_e32 v57, 56, v52
	s_add_u32 s20, s6, s0
	v_lshl_or_b32 v56, v49, 3, v53
	v_lshlrev_b32_e32 v10, 1, v57
	s_addc_u32 s0, s7, s1
	v_lshl_or_b32 v58, v56, 8, v10
	s_and_b32 s21, s0, 0xffff
	s_mov_b32 s23, 0x20000
	s_movk_i32 s22, 0x4000
	s_movk_i32 s0, 0x80
	v_or_b32_e32 v59, 0x2000, v58
	buffer_load_dwordx4 v[12:15], v58, s[20:23], 0 offen
	buffer_load_dwordx4 v[16:19], v58, s[20:23], s0 offen
	;; [unrolled: 1-line block ×4, first 2 shown]
	v_lshlrev_b32_e32 v11, 3, v56
	v_and_or_b32 v29, v0, 7, v11
	v_and_b32_e32 v11, 0x78, v11
	v_lshlrev_b32_e32 v29, 4, v29
	v_xor_b32_e32 v60, v29, v11
	v_mul_lo_u32 v28, v56, s15
	v_or_b32_e32 v61, 0x1000, v60
	v_xor_b32_e32 v11, 8, v60
	s_cmpk_eq_i32 s15, 0x80
	s_mov_b32 s56, s14
	v_xor_b32_e32 v29, 8, v61
	s_cselect_b64 s[0:1], -1, 0
	s_cmpk_lg_i32 s15, 0x80
	s_waitcnt vmcnt(3)
	ds_write_b64 v60, v[12:13] offset:16384
	ds_write_b64 v11, v[14:15] offset:16384
	s_waitcnt vmcnt(2)
	ds_write_b64 v60, v[16:17] offset:24576
	ds_write_b64 v11, v[18:19] offset:24576
	s_waitcnt vmcnt(1)
	ds_write_b64 v60, v[20:21] offset:20480
	ds_write_b64 v29, v[22:23] offset:16384
	s_waitcnt vmcnt(0)
	ds_write_b64 v60, v[24:25] offset:28672
	ds_write_b64 v29, v[26:27] offset:24576
	v_lshl_add_u32 v11, v28, 1, v57
	s_cbranch_scc0 .LBB700_29
; %bb.2:
	v_lshlrev_b32_e32 v13, 1, v11
	v_add_lshl_u32 v12, v11, s15, 1
	s_lshl_b32 s22, s15, 7
	v_lshl_or_b32 v10, v56, 9, v10
	s_cbranch_execz .LBB700_30
	s_branch .LBB700_31
.LBB700_3:
	s_waitcnt vmcnt(0)
	v_mov_b32_e32 v10, v5
	v_mov_b32_e32 v11, v9
.LBB700_4:
	s_lshl_b32 s26, s49, 6
	s_sub_i32 s27, s12, s26
	s_cmp_gt_i32 s27, 0
	s_cbranch_scc0 .LBB700_76
; %bb.5:
	s_ashr_i32 s3, s26, 31
	s_cmpk_lg_i32 s15, 0x80
	s_cselect_b64 s[22:23], -1, 0
	s_and_b64 vcc, exec, s[22:23]
	s_cbranch_vccz .LBB700_7
; %bb.6:
	s_mul_i32 s1, s48, s12
	s_mul_hi_i32 s0, s48, s12
	s_add_u32 s1, s1, s26
	s_addc_u32 s0, s0, s3
	s_mul_i32 s17, s1, s51
	s_mul_hi_u32 s20, s1, s14
	s_add_i32 s17, s20, s17
	s_mul_i32 s0, s0, s14
	s_add_i32 s17, s17, s0
	s_mul_i32 s1, s1, s14
	s_ashr_i32 s0, s52, 31
	s_add_u32 s24, s1, s52
	s_addc_u32 s25, s17, s0
	s_cbranch_execz .LBB700_8
	s_branch .LBB700_9
.LBB700_7:
                                        ; implicit-def: $sgpr24_sgpr25
.LBB700_8:
	s_mul_hi_i32 s0, s48, s14
	s_mul_i32 s48, s48, s14
	s_ashr_i32 s1, s52, 31
	s_add_u32 s14, s48, s52
	s_addc_u32 s0, s0, s1
	s_mul_i32 s1, s14, s47
	s_mul_hi_u32 s17, s14, s12
	s_add_i32 s1, s17, s1
	s_mul_i32 s0, s0, s12
	s_add_i32 s1, s1, s0
	s_mul_i32 s14, s14, s12
	s_add_u32 s24, s14, s26
	s_addc_u32 s25, s1, s3
.LBB700_9:
	s_mul_i32 s0, s36, s47
	s_add_i32 s0, s55, s0
	s_add_i32 s14, s53, s49
	;; [unrolled: 1-line block ×3, first 2 shown]
	s_add_u32 s0, s16, s26
	s_addc_u32 s1, s1, s3
	s_mov_b32 s3, 0x7060302
	v_perm_b32 v5, v10, v4, s3
	v_perm_b32 v4, v3, v2, s3
	v_lshlrev_b32_e32 v2, 3, v51
	s_lshl_b64 s[20:21], s[0:1], 8
	v_perm_b32 v9, v11, v8, s3
	v_perm_b32 v8, v7, v6, s3
	s_waitcnt vmcnt(2)
	v_lshlrev_b32_e32 v34, 2, v51
	v_lshl_or_b32 v2, v54, 5, v2
	s_add_u32 s0, s6, s20
	ds_write2st64_b64 v2, v[8:9], v[4:5] offset0:72 offset1:76
	v_xor_b32_e32 v2, v54, v34
	v_lshlrev_b32_e32 v3, 8, v51
	s_addc_u32 s1, s7, s21
	v_lshl_or_b32 v2, v2, 1, v3
	s_mul_hi_i32 s3, s14, s13
	s_mul_i32 s14, s14, s13
	ds_write_b64 v2, v[8:9] offset:32768
	v_xor_b32_e32 v2, v55, v34
	s_add_u32 s6, s14, s46
	v_lshl_or_b32 v2, v2, 1, v3
	s_addc_u32 s7, s3, s50
	v_lshlrev_b32_e32 v3, 1, v51
	ds_write_b64 v2, v[4:5] offset:32768
	v_lshrrev_b32_e32 v2, 4, v0
	s_ashr_i32 s3, s2, 31
	s_lshl_b64 s[6:7], s[6:7], 15
	v_or_b32_e32 v4, 1, v3
	s_add_u32 s6, s18, s6
	v_xor_b32_e32 v3, v2, v3
	v_xor_b32_e32 v4, v4, v2
	v_lshlrev_b32_e32 v6, 8, v2
	s_addc_u32 s7, s19, s7
	s_lshl_b64 s[2:3], s[2:3], 8
	v_lshl_or_b32 v2, v3, 3, v6
	v_lshl_or_b32 v4, v4, 3, v6
	s_waitcnt lgkmcnt(0)
	s_barrier
	s_add_u32 s2, s6, s2
	ds_read_b64 v[2:3], v2 offset:32768
	ds_read_b64 v[4:5], v4 offset:32768
	s_addc_u32 s3, s7, s3
	v_mov_b32_e32 v7, 0
	s_cmp_lg_u32 s27, 64
	v_lshl_add_u64 v[8:9], s[2:3], 0, v[6:7]
	v_lshlrev_b32_e32 v6, 4, v51
	s_cselect_b64 s[6:7], -1, 0
	v_lshl_or_b32 v35, v49, 3, v53
	s_mov_b32 s16, 0
	v_lshl_add_u64 v[6:7], v[8:9], 0, v[6:7]
	v_or_b32_e32 v19, 32, v35
	v_and_b32_e32 v18, 56, v52
	s_and_b64 vcc, exec, s[6:7]
	s_waitcnt lgkmcnt(0)
	global_store_dwordx4 v[6:7], v[2:5], off
	s_cbranch_vccz .LBB700_15
; %bb.10:
	s_mov_b32 s17, s16
	s_mov_b32 s18, s16
	;; [unrolled: 1-line block ×3, first 2 shown]
	v_mov_b64_e32 v[6:7], s[16:17]
	v_mov_b64_e32 v[8:9], s[18:19]
	;; [unrolled: 1-line block ×3, first 2 shown]
	v_cmp_gt_i32_e32 vcc, s27, v35
	v_mov_b64_e32 v[4:5], v[8:9]
	s_and_saveexec_b64 s[2:3], vcc
	s_cbranch_execz .LBB700_12
; %bb.11:
	v_lshlrev_b32_e32 v2, 8, v35
	v_mov_b32_e32 v3, 0
	v_lshl_add_u64 v[4:5], s[0:1], 0, v[2:3]
	v_lshlrev_b32_e32 v2, 1, v18
	v_lshl_add_u64 v[10:11], v[4:5], 0, v[2:3]
	global_load_dwordx4 v[6:9], v[10:11], off
	global_load_dwordx4 v[2:5], v[10:11], off offset:128
.LBB700_12:
	s_or_b64 exec, exec, s[2:3]
	s_mov_b32 s17, s16
	s_mov_b32 s18, s16
	;; [unrolled: 1-line block ×3, first 2 shown]
	v_mov_b64_e32 v[14:15], s[16:17]
	v_mov_b64_e32 v[16:17], s[18:19]
	;; [unrolled: 1-line block ×3, first 2 shown]
	v_cmp_gt_i32_e32 vcc, s27, v19
	v_lshlrev_b32_e32 v20, 7, v19
	v_mov_b64_e32 v[12:13], v[16:17]
	s_and_saveexec_b64 s[2:3], vcc
	s_cbranch_execz .LBB700_14
; %bb.13:
	v_lshlrev_b32_e32 v10, 1, v20
	v_mov_b32_e32 v11, 0
	v_lshl_add_u64 v[12:13], s[0:1], 0, v[10:11]
	v_lshlrev_b32_e32 v10, 1, v18
	v_lshl_add_u64 v[22:23], v[12:13], 0, v[10:11]
	global_load_dwordx4 v[14:17], v[22:23], off
	global_load_dwordx4 v[10:13], v[22:23], off offset:128
.LBB700_14:
	s_or_b64 exec, exec, s[2:3]
	v_lshrrev_b32_e32 v21, 3, v18
	v_lshlrev_b32_e32 v22, 3, v35
	v_or_b32_e32 v21, v22, v21
	v_lshlrev_b32_e32 v21, 4, v21
	v_and_b32_e32 v22, 0x78, v22
	v_xor_b32_e32 v21, v21, v22
	s_branch .LBB700_17
.LBB700_15:
                                        ; implicit-def: $vgpr21
                                        ; implicit-def: $vgpr20
                                        ; implicit-def: $vgpr6_vgpr7_vgpr8_vgpr9
                                        ; implicit-def: $vgpr2_vgpr3_vgpr4_vgpr5
                                        ; implicit-def: $vgpr14_vgpr15_vgpr16_vgpr17
                                        ; implicit-def: $vgpr10_vgpr11_vgpr12_vgpr13
	s_cbranch_execz .LBB700_17
; %bb.16:
	s_waitcnt vmcnt(0)
	v_lshlrev_b32_e32 v2, 1, v18
	v_lshl_or_b32 v20, v35, 8, v2
	s_and_b32 s1, s1, 0xffff
	s_mov_b32 s3, 0x20000
	s_movk_i32 s2, 0x4000
	v_lshl_or_b32 v21, v19, 8, v2
	s_movk_i32 s13, 0x80
	buffer_load_dwordx4 v[6:9], v20, s[0:3], 0 offen
	buffer_load_dwordx4 v[2:5], v20, s[0:3], s13 offen
	;; [unrolled: 1-line block ×4, first 2 shown]
	v_lshrrev_b32_e32 v20, 3, v18
	v_lshlrev_b32_e32 v21, 3, v35
	v_or_b32_e32 v20, v21, v20
	v_lshlrev_b32_e32 v20, 4, v20
	v_and_b32_e32 v21, 0x78, v21
	v_xor_b32_e32 v21, v20, v21
	v_lshlrev_b32_e32 v20, 7, v19
.LBB700_17:
	s_lshl_b64 s[0:1], s[24:25], 8
	s_add_u32 s4, s4, s0
	s_movk_i32 s0, 0x1000
	v_and_or_b32 v19, v20, s0, v21
	s_waitcnt vmcnt(1)
	ds_write_b64 v21, v[6:7] offset:16384
	v_xor_b32_e32 v6, 8, v21
	ds_write_b64 v6, v[8:9] offset:16384
	s_waitcnt vmcnt(0)
	ds_write_b64 v21, v[2:3] offset:24576
	ds_write_b64 v6, v[4:5] offset:24576
	;; [unrolled: 1-line block ×3, first 2 shown]
	v_xor_b32_e32 v2, 8, v19
	ds_write_b64 v2, v[16:17] offset:16384
	ds_write_b64 v19, v[10:11] offset:24576
	ds_write_b64 v2, v[12:13] offset:24576
	v_or_b32_e32 v2, v1, v51
	s_addc_u32 s5, s5, s1
	s_add_i32 s0, s12, -1
	v_lshlrev_b32_e32 v2, 3, v2
	v_lshrrev_b32_e32 v4, 5, v48
	s_movk_i32 s12, 0xf8
	v_and_or_b32 v4, v2, s12, v4
	v_lshlrev_b32_e32 v3, 11, v49
	v_lshlrev_b32_e32 v12, 4, v4
	v_and_b32_e32 v13, 0x78, v2
	v_and_b32_e32 v14, 0x1000, v3
	v_lshlrev_b32_e32 v3, 2, v0
	v_xor_b32_e32 v2, v12, v13
	v_lshrrev_b32_e32 v4, 1, v48
	v_and_b32_e32 v3, 60, v3
	v_or_b32_e32 v2, v2, v14
	v_and_b32_e32 v15, 8, v4
	v_xor_b32_e32 v26, v2, v15
	v_lshl_or_b32 v2, v50, 6, v3
	v_lshlrev_b32_e32 v19, 1, v2
	v_or_b32_e32 v2, 32, v12
	v_xor_b32_e32 v2, v2, v13
	s_waitcnt lgkmcnt(0)
	s_barrier
	ds_read_b64 v[10:11], v26 offset:16384
	v_or_b32_e32 v2, v2, v14
	v_xor_b32_e32 v27, v2, v15
	v_or_b32_e32 v2, 64, v12
	v_xor_b32_e32 v2, v2, v13
	v_or_b32_e32 v2, v2, v14
	v_or_b32_e32 v12, 0x60, v12
	v_xor_b32_e32 v28, v2, v15
	ds_read2st64_b64 v[2:5], v19 offset0:72 offset1:73
	ds_read2st64_b64 v[6:9], v19 offset0:74 offset1:75
	v_xor_b32_e32 v16, v12, v13
	ds_read_b64 v[12:13], v27 offset:16384
	s_add_i32 s1, s42, s33
	s_waitcnt lgkmcnt(2)
	v_mfma_f32_16x16x16_bf16 a[0:3], v[10:11], v[2:3], 0
	s_add_i32 s35, s1, s43
	s_add_i32 s1, s44, s37
	s_add_i32 s31, s1, s45
	s_ashr_i32 s1, s0, 31
	s_mul_i32 s2, s0, s29
	s_mul_hi_u32 s3, s0, s28
	s_add_i32 s2, s3, s2
	s_mul_i32 s1, s1, s28
	v_or_b32_e32 v14, v16, v14
	s_add_i32 s1, s2, s1
	s_lshl_b64 s[2:3], s[34:35], 2
	v_xor_b32_e32 v36, v14, v15
	ds_read_b64 v[14:15], v28 offset:16384
	ds_read_b64 v[16:17], v36 offset:16384
	s_waitcnt lgkmcnt(2)
	v_mfma_f32_16x16x16_bf16 a[0:3], v[12:13], v[4:5], a[0:3]
	s_add_u32 s10, s10, s2
	s_addc_u32 s11, s11, s3
	s_lshl_b64 s[2:3], s[30:31], 2
	s_mul_i32 s0, s0, s28
	s_add_u32 s10, s10, s2
	s_addc_u32 s11, s11, s3
	s_lshl_b64 s[0:1], s[0:1], 2
	s_waitcnt lgkmcnt(1)
	v_mfma_f32_16x16x16_bf16 a[0:3], v[14:15], v[6:7], a[0:3]
	s_add_u32 s0, s10, s0
	s_addc_u32 s1, s11, s1
	s_load_dword s12, s[0:1], 0x0
	s_waitcnt lgkmcnt(0)
	v_mfma_f32_16x16x16_bf16 a[0:3], v[16:17], v[8:9], a[0:3]
	s_and_b64 vcc, exec, s[22:23]
	s_cbranch_vccz .LBB700_28
; %bb.18:
	v_lshlrev_b32_e32 v20, 1, v35
	s_and_b64 vcc, exec, s[6:7]
	s_cbranch_vccz .LBB700_44
; %bb.19:
	v_cmp_gt_i32_e32 vcc, s27, v20
	v_mov_b32_e32 v6, 0
	v_mov_b32_e32 v2, 0
	;; [unrolled: 1-line block ×5, first 2 shown]
	s_and_saveexec_b64 s[0:1], vcc
	s_cbranch_execz .LBB700_21
; %bb.20:
	v_mad_i64_i32 v[2:3], s[2:3], s15, v20, 0
	v_lshl_add_u64 v[2:3], v[2:3], 1, s[4:5]
	v_lshlrev_b32_e32 v4, 1, v18
	v_mov_b32_e32 v5, 0
	v_lshl_add_u64 v[2:3], v[2:3], 0, v[4:5]
	global_load_dwordx4 v[2:5], v[2:3], off
.LBB700_21:
	s_or_b64 exec, exec, s[0:1]
	v_or_b32_e32 v21, 1, v20
	v_cmp_gt_i32_e64 s[0:1], s27, v21
	v_mov_b32_e32 v7, 0
	v_mov_b32_e32 v8, 0
	;; [unrolled: 1-line block ×3, first 2 shown]
	s_and_saveexec_b64 s[2:3], s[0:1]
	s_cbranch_execz .LBB700_23
; %bb.22:
	v_mad_i64_i32 v[6:7], s[16:17], s15, v21, 0
	v_lshl_add_u64 v[6:7], v[6:7], 1, s[4:5]
	v_lshlrev_b32_e32 v8, 1, v18
	v_mov_b32_e32 v9, 0
	v_lshl_add_u64 v[6:7], v[6:7], 0, v[8:9]
	global_load_dwordx4 v[6:9], v[6:7], off
.LBB700_23:
	s_or_b64 exec, exec, s[2:3]
	v_mov_b32_e32 v17, 0
	v_mov_b32_e32 v10, 0
	;; [unrolled: 1-line block ×5, first 2 shown]
	s_and_saveexec_b64 s[2:3], vcc
	s_cbranch_execz .LBB700_25
; %bb.24:
	v_mad_i64_i32 v[10:11], s[16:17], s15, v20, 0
	v_lshl_add_u64 v[10:11], v[10:11], 1, s[4:5]
	v_lshlrev_b32_e32 v12, 1, v18
	v_mov_b32_e32 v13, 0
	v_lshl_add_u64 v[10:11], v[10:11], 0, v[12:13]
	global_load_dwordx4 v[10:13], v[10:11], off offset:128
.LBB700_25:
	s_or_b64 exec, exec, s[2:3]
	v_mov_b32_e32 v16, 0
	v_mov_b32_e32 v15, 0
	;; [unrolled: 1-line block ×3, first 2 shown]
	s_and_saveexec_b64 s[2:3], s[0:1]
	s_cbranch_execz .LBB700_27
; %bb.26:
	v_mad_i64_i32 v[14:15], s[0:1], s15, v21, 0
	v_lshl_add_u64 v[14:15], v[14:15], 1, s[4:5]
	v_lshlrev_b32_e32 v16, 1, v18
	v_mov_b32_e32 v17, 0
	v_lshl_add_u64 v[14:15], v[14:15], 0, v[16:17]
	global_load_dwordx4 v[14:17], v[14:15], off offset:128
.LBB700_27:
	s_or_b64 exec, exec, s[2:3]
	s_branch .LBB700_46
.LBB700_28:
                                        ; implicit-def: $vgpr5
                                        ; implicit-def: $vgpr9
                                        ; implicit-def: $vgpr13
                                        ; implicit-def: $vgpr17
	v_lshrrev_b32_e32 v37, 2, v48
	s_branch .LBB700_47
.LBB700_29:
                                        ; implicit-def: $vgpr12
                                        ; implicit-def: $vgpr13
                                        ; implicit-def: $sgpr22
	v_lshl_or_b32 v10, v56, 9, v10
.LBB700_30:
	v_or_b32_e32 v12, 0x100, v10
	s_movk_i32 s22, 0x4000
	v_mov_b32_e32 v13, v10
.LBB700_31:
	s_mul_hi_u32 s20, s14, s12
	s_mul_i32 s21, s51, s12
	s_add_i32 s20, s20, s21
	s_mul_i32 s21, s14, s12
	s_mul_i32 s23, s21, s3
	s_mul_hi_u32 s24, s21, s48
	s_add_i32 s23, s24, s23
	s_mul_i32 s20, s20, s48
	s_add_i32 s23, s23, s20
	s_mul_i32 s21, s21, s48
	s_ashr_i32 s57, s52, 31
	s_add_u32 s20, s21, s52
	s_addc_u32 s21, s23, s57
	s_lshl_b64 s[20:21], s[20:21], 8
	s_add_u32 s20, s4, s20
	s_addc_u32 s21, s5, s21
	s_and_b32 s21, s21, 0xffff
	s_mov_b32 s23, 0x20000
	s_movk_i32 s58, 0x80
	buffer_load_dwordx4 v[14:17], v13, s[20:23], 0 offen
	buffer_load_dwordx4 v[18:21], v13, s[20:23], s58 offen
	;; [unrolled: 1-line block ×4, first 2 shown]
	v_and_b32_e32 v12, 6, v0
	v_lshlrev_b32_e32 v30, 2, v51
	v_lshlrev_b32_e32 v31, 3, v51
	v_xor_b32_e32 v33, v56, v12
	v_and_b32_e32 v13, 1, v0
	s_mul_i32 s3, s3, s12
	s_mul_hi_u32 s20, s48, s12
	v_lshl_or_b32 v31, v54, 5, v31
	v_xor_b32_e32 v34, v54, v30
	v_lshlrev_b32_e32 v33, 2, v33
	v_or_b32_e32 v62, 0x9000, v31
	v_or_b32_e32 v63, 0x9800, v31
	v_lshlrev_b32_e32 v31, 1, v34
	v_xor_b32_e32 v34, 0x440, v33
	v_cmp_eq_u32_e32 vcc, 0, v13
	s_add_i32 s63, s20, s3
	s_add_i32 s3, s42, s33
	v_cndmask_b32_e32 v13, v34, v33, vcc
	s_add_i32 s20, s44, s37
	s_add_i32 s35, s3, s43
	s_mov_b32 s60, 0x1000504
	v_lshlrev_b32_e32 v32, 8, v51
	s_mov_b32 s22, 0x8000
	v_xor_b32_e32 v30, v55, v30
	v_lshl_or_b32 v12, v12, 10, v13
	s_add_i32 s31, s20, s45
	s_lshl_b64 s[20:21], s[34:35], 2
	s_mov_b32 s61, 0x3020706
	v_lshlrev_b32_e32 v30, 1, v30
	v_or3_b32 v64, v31, v32, s22
	v_xor_b32_e32 v13, 8, v12
	v_xor_b32_e32 v31, 24, v12
	;; [unrolled: 1-line block ×4, first 2 shown]
	s_add_u32 s3, s10, s20
	v_or3_b32 v65, v30, v32, s22
	v_xor_b32_e32 v30, 16, v12
	v_xor_b32_e32 v32, 32, v12
	v_xor_b32_e32 v34, 48, v12
	v_add_u32_e32 v13, 0x80, v13
	v_add_u32_e32 v31, 0x80, v31
	;; [unrolled: 1-line block ×4, first 2 shown]
	s_addc_u32 s24, s11, s21
	s_lshl_b64 s[20:21], s[30:31], 2
	s_add_u32 s38, s3, s20
	s_movk_i32 s3, 0xf8
	s_addc_u32 s39, s24, s21
	v_ashrrev_i32_e32 v43, 31, v42
	s_lshl_b32 s26, s15, 7
	s_mov_b32 s59, 0
	s_mul_i32 s62, s48, s12
	s_mov_b32 s35, 0
	s_waitcnt vmcnt(1)
	v_perm_b32 v36, v14, v22, s60
	s_waitcnt vmcnt(0)
	v_perm_b32 v37, v18, v26, s60
	v_perm_b32 v14, v14, v22, s61
	;; [unrolled: 1-line block ×15, first 2 shown]
	ds_write2st64_b32 v12, v36, v37 offset1:32
	ds_write2st64_b32 v13, v14, v18 offset1:32
	ds_write2st64_b32 v30, v22, v26 offset0:1 offset1:33
	ds_write2st64_b32 v31, v15, v19 offset0:1 offset1:33
	;; [unrolled: 1-line block ×6, first 2 shown]
	v_or_b32_e32 v12, v1, v51
	v_lshlrev_b32_e32 v12, 3, v12
	v_lshrrev_b32_e32 v14, 5, v48
	v_and_or_b32 v14, v12, s3, v14
	v_lshlrev_b32_e32 v14, 4, v14
	v_lshlrev_b32_e32 v18, 11, v49
	v_and_b32_e32 v12, 0x78, v12
	v_or_b32_e32 v17, 32, v14
	v_and_b32_e32 v13, 0x1000, v18
	v_xor_b32_e32 v15, v14, v12
	v_lshrrev_b32_e32 v19, 1, v0
	v_xor_b32_e32 v17, v17, v12
	v_or_b32_e32 v15, v15, v13
	v_and_b32_e32 v16, 8, v19
	v_or_b32_e32 v17, v17, v13
	v_xor_b32_e32 v66, v15, v16
	v_and_b32_e32 v15, 0x78, v52
	v_xor_b32_e32 v68, v17, v16
	v_or_b32_e32 v17, 64, v14
	v_or_b32_e32 v14, 0x60, v14
	v_lshl_or_b32 v15, v50, 7, v15
	v_xor_b32_e32 v17, v17, v12
	v_xor_b32_e32 v12, v14, v12
	v_or_b32_e32 v67, 0x9000, v15
	v_or_b32_e32 v17, v17, v13
	;; [unrolled: 1-line block ×4, first 2 shown]
	v_lshrrev_b32_e32 v14, 4, v0
	v_lshlrev_b32_e32 v15, 1, v51
	v_xor_b32_e32 v69, v17, v16
	v_xor_b32_e32 v70, v12, v16
	s_ashr_i32 s3, s2, 31
	v_or_b32_e32 v16, 1, v15
	v_xor_b32_e32 v15, v14, v15
	s_lshl_b64 s[20:21], s[2:3], 8
	v_xor_b32_e32 v16, v16, v14
	v_lshlrev_b32_e32 v15, 3, v15
	v_lshlrev_b32_e32 v14, 8, v14
	v_lshl_add_u64 v[12:13], v[42:43], 1, s[8:9]
	s_add_u32 s20, s18, s20
	v_or3_b32 v43, v15, v14, s22
	v_lshlrev_b32_e32 v15, 3, v16
	s_addc_u32 s21, s19, s21
	v_or3_b32 v72, v15, v14, s22
	v_mov_b32_e32 v15, 0
	v_lshl_add_u64 v[16:17], s[20:21], 0, v[14:15]
	v_lshlrev_b32_e32 v14, 4, v51
	s_movk_i32 s3, 0xff
	v_lshlrev_b32_e32 v23, 3, v49
	v_and_b32_e32 v19, 24, v19
	v_lshl_add_u64 v[44:45], v[16:17], 0, v[14:15]
	v_and_b32_e32 v16, 8, v0
	v_cmp_lt_u32_e32 vcc, s3, v0
	v_xor_b32_e32 v24, v23, v19
	v_or_b32_e32 v25, 0x440, v24
	v_cndmask_b32_e64 v22, 0, 1, vcc
	v_cmp_eq_u32_e32 vcc, 0, v16
	v_and_b32_e32 v14, 7, v0
	v_lshlrev_b32_e32 v17, 3, v14
	v_cndmask_b32_e32 v16, v25, v24, vcc
	v_lshlrev_b32_e32 v14, 7, v14
	v_or_b32_e32 v16, v16, v18
	v_xad_u32 v73, v16, v17, v14
	v_or_b32_e32 v16, 32, v19
	v_xor_b32_e32 v16, v23, v16
	v_or_b32_e32 v24, 0x440, v16
	v_cndmask_b32_e32 v16, v24, v16, vcc
	v_or_b32_e32 v16, v16, v18
	v_xad_u32 v74, v16, v17, v14
	v_or_b32_e32 v16, 64, v19
	v_xor_b32_e32 v16, v23, v16
	v_xor_b32_e32 v24, 0x440, v16
	v_cndmask_b32_e32 v16, v24, v16, vcc
	v_or_b32_e32 v16, v16, v18
	v_xad_u32 v75, v16, v17, v14
	v_or_b32_e32 v16, 0x60, v19
	v_xor_b32_e32 v16, v23, v16
	v_xor_b32_e32 v19, 0x440, v16
	v_cndmask_b32_e32 v16, v19, v16, vcc
	v_or_b32_e32 v16, v16, v18
	v_lshlrev_b32_e32 v20, 1, v11
	v_add_lshl_u32 v11, v11, s15, 1
	v_or_b32_e32 v21, 0x100, v10
	v_lshlrev_b32_e32 v22, 13, v22
	v_xad_u32 v76, v16, v17, v14
	v_lshlrev_b32_e32 v14, 8, v54
	v_cndmask_b32_e64 v77, v20, v10, s[0:1]
	v_cndmask_b32_e64 v78, v11, v21, s[0:1]
	v_lshl_add_u64 v[46:47], v[12:13], 0, v[14:15]
	s_mov_b32 s3, 0x7060302
	s_movk_i32 s22, 0x4000
	v_add_u32_e32 v79, v22, v73
	v_add_u32_e32 v80, v22, v74
	;; [unrolled: 1-line block ×4, first 2 shown]
	s_waitcnt lgkmcnt(0)
	s_barrier
.LBB700_32:                             ; =>This Inner Loop Header: Depth=1
	s_add_i32 s31, s35, 1
	s_cmp_lt_i32 s31, s49
	s_mov_b64 s[24:25], 0
	s_cselect_b64 s[40:41], -1, 0
	s_cmp_ge_i32 s31, s49
	s_mov_b64 s[20:21], 0
	s_cbranch_scc1 .LBB700_34
; %bb.33:                               ;   in Loop: Header=BB700_32 Depth=1
	s_add_i32 s0, s59, 64
	s_add_u32 s0, s16, s0
	s_addc_u32 s1, s17, 0
	s_lshl_b64 s[0:1], s[0:1], 8
	s_add_u32 s20, s6, s0
	s_addc_u32 s21, s7, s1
.LBB700_34:                             ;   in Loop: Header=BB700_32 Depth=1
	v_cndmask_b32_e64 v10, 0, 1, s[40:41]
	v_cmp_ne_u32_e64 s[0:1], 1, v10
	s_andn2_b64 vcc, exec, s[40:41]
	s_cbranch_vccnz .LBB700_36
; %bb.35:                               ;   in Loop: Header=BB700_32 Depth=1
	s_add_i32 s24, s59, 64
	s_add_u32 s24, s62, s24
	s_addc_u32 s25, s63, 0
	s_mul_i32 s27, s24, s51
	s_mul_hi_u32 s40, s24, s56
	s_add_i32 s27, s40, s27
	s_mul_i32 s25, s25, s56
	s_add_i32 s27, s27, s25
	s_mul_i32 s24, s24, s56
	s_add_u32 s24, s24, s52
	s_addc_u32 s25, s27, s57
	s_lshl_b64 s[24:25], s[24:25], 8
	s_add_u32 s24, s4, s24
	s_addc_u32 s25, s5, s25
.LBB700_36:                             ;   in Loop: Header=BB700_32 Depth=1
	v_perm_b32 v11, v9, v8, s3
	v_perm_b32 v10, v7, v6, s3
	;; [unrolled: 1-line block ×4, first 2 shown]
	ds_write_b64 v62, v[10:11]
	ds_write_b64 v63, v[12:13]
	ds_write_b64 v64, v[10:11]
	ds_write_b64 v65, v[12:13]
	s_waitcnt lgkmcnt(0)
	s_barrier
	ds_read_b64 v[18:19], v66 offset:16384
	ds_read_b64 v[20:21], v68 offset:16384
	ds_read2st64_b64 v[10:13], v67 offset1:1
	ds_read2st64_b64 v[14:17], v67 offset0:2 offset1:3
	ds_read_b64 v[22:23], v69 offset:16384
	s_waitcnt lgkmcnt(2)
	v_mfma_f32_16x16x16_bf16 a[0:3], v[18:19], v[10:11], 0
	ds_read_b64 v[10:11], v70 offset:16384
	s_add_i32 s27, s59, 63
	s_mul_i32 s40, s27, s29
	v_mfma_f32_16x16x16_bf16 a[0:3], v[20:21], v[12:13], a[0:3]
	s_mul_hi_u32 s41, s27, s28
	s_add_i32 s41, s41, s40
	s_mul_i32 s40, s27, s28
	s_waitcnt lgkmcnt(1)
	v_mfma_f32_16x16x16_bf16 a[0:3], v[22:23], v[14:15], a[0:3]
	s_lshl_b64 s[40:41], s[40:41], 2
	s_add_u32 s40, s38, s40
	s_addc_u32 s41, s39, s41
	s_waitcnt lgkmcnt(0)
	v_mfma_f32_16x16x16_bf16 a[0:3], v[10:11], v[16:17], a[0:3]
	s_and_b64 vcc, exec, s[0:1]
	v_mov_b32_e32 v85, 0
	v_mov_b32_e32 v84, 0
	v_mov_b32_e32 v83, 0
	v_mov_b32_e32 v10, 0
	v_mov_b32_e32 v11, 0
	v_mov_b32_e32 v12, 0
	v_mov_b32_e32 v13, 0
	v_mov_b32_e32 v14, 0
	v_mov_b32_e32 v15, 0
	v_mov_b32_e32 v16, 0
	v_mov_b32_e32 v17, 0
	v_mov_b32_e32 v18, 0
	v_mov_b32_e32 v19, 0
	v_mov_b32_e32 v20, 0
	v_mov_b32_e32 v21, 0
	v_mov_b32_e32 v22, 0
	v_mov_b32_e32 v23, 0
	v_mov_b32_e32 v24, 0
	v_mov_b32_e32 v25, 0
	s_cbranch_vccnz .LBB700_38
; %bb.37:                               ;   in Loop: Header=BB700_32 Depth=1
	s_and_b32 s21, s21, 0xffff
	buffer_load_dwordx4 v[22:25], v58, s[20:23], 0 offen
	buffer_load_dwordx4 v[18:21], v58, s[20:23], s58 offen
	;; [unrolled: 1-line block ×4, first 2 shown]
	v_mov_b32_e32 v84, v60
	v_mov_b32_e32 v83, v61
.LBB700_38:                             ;   in Loop: Header=BB700_32 Depth=1
	s_waitcnt vmcnt(3)
	v_add_u32_e32 v32, s59, v54
	s_waitcnt vmcnt(1)
	v_ashrrev_i32_e32 v26, 31, v32
	v_mul_lo_u32 v28, v26, s28
	v_mul_lo_u32 v29, v32, s29
	v_mad_u64_u32 v[26:27], s[20:21], v32, s28, 0
	v_add3_u32 v27, v27, v29, v28
	v_add_u32_e32 v28, 1, v32
	v_ashrrev_i32_e32 v29, 31, v28
	v_mul_lo_u32 v30, v29, s28
	v_mul_lo_u32 v31, v28, s29
	v_mad_u64_u32 v[28:29], s[20:21], v28, s28, 0
	v_add3_u32 v29, v29, v31, v30
	v_add_u32_e32 v30, 2, v32
	v_ashrrev_i32_e32 v31, 31, v30
	v_mul_lo_u32 v33, v31, s28
	v_mul_lo_u32 v34, v30, s29
	v_mad_u64_u32 v[30:31], s[20:21], v30, s28, 0
	v_add_u32_e32 v32, 3, v32
	v_add3_u32 v31, v31, v34, v33
	v_ashrrev_i32_e32 v33, 31, v32
	v_mul_lo_u32 v36, v33, s28
	v_mul_lo_u32 v37, v32, s29
	v_mad_u64_u32 v[32:33], s[20:21], v32, s28, 0
	s_add_u32 s20, s16, s59
	s_addc_u32 s21, s17, 0
	s_lshl_b64 s[20:21], s[20:21], 8
	v_lshl_add_u64 v[26:27], v[26:27], 2, s[38:39]
	v_lshl_add_u64 v[34:35], v[46:47], 0, s[20:21]
	;; [unrolled: 1-line block ×3, first 2 shown]
	global_load_ushort v87, v[34:35], off
	global_load_ushort v96, v[34:35], off offset:256
	global_load_ushort v97, v[34:35], off offset:512
	;; [unrolled: 1-line block ×3, first 2 shown]
	v_add3_u32 v33, v33, v37, v36
	global_load_dword v99, v[26:27], off
	v_lshl_add_u64 v[30:31], v[30:31], 2, s[38:39]
	v_lshl_add_u64 v[26:27], v[32:33], 2, s[38:39]
	global_load_dword v100, v[28:29], off
	global_load_dword v101, v[30:31], off
	;; [unrolled: 1-line block ×3, first 2 shown]
	s_load_dword s20, s[40:41], 0x0
	ds_read2st64_b64 v[34:37], v71 offset1:1
	ds_read2st64_b64 v[88:91], v71 offset0:2 offset1:3
	ds_read_b64 v[38:39], v66 offset:24576
	ds_read_b64 v[40:41], v68 offset:24576
	;; [unrolled: 1-line block ×4, first 2 shown]
	s_waitcnt lgkmcnt(0)
	v_mfma_f32_16x16x16_bf16 a[0:3], v[38:39], v[34:35], a[0:3]
	v_mov_b32_e32 v86, 0
	v_mov_b32_e32 v26, 0
	v_mov_b32_e32 v27, 0
	v_mfma_f32_16x16x16_bf16 a[0:3], v[40:41], v[36:37], a[0:3]
	v_mov_b32_e32 v28, 0
	v_mov_b32_e32 v29, 0
	v_mov_b32_e32 v30, 0
	;; [unrolled: 4-line block ×4, first 2 shown]
	v_mov_b32_e32 v37, 0
	v_mov_b32_e32 v38, 0
	;; [unrolled: 1-line block ×4, first 2 shown]
	v_accvgpr_read_b32 v91, a1
	v_accvgpr_read_b32 v89, a3
	;; [unrolled: 1-line block ×4, first 2 shown]
	s_and_b64 vcc, exec, s[0:1]
	s_waitcnt vmcnt(7)
	v_lshlrev_b32_e32 v92, 16, v87
	s_waitcnt vmcnt(6)
	v_lshlrev_b32_e32 v93, 16, v96
	s_waitcnt vmcnt(5)
	v_lshlrev_b32_e32 v94, 16, v97
	s_waitcnt vmcnt(4)
	v_lshlrev_b32_e32 v95, 16, v98
	v_pk_add_f32 v[90:91], v[92:93], v[90:91] neg_lo:[0,1] neg_hi:[0,1]
	s_waitcnt vmcnt(3)
	v_sub_f32_e32 v41, s20, v99
	v_exp_f32_e32 v96, v41
	s_waitcnt vmcnt(2)
	v_sub_f32_e32 v41, s20, v100
	s_waitcnt vmcnt(1)
	v_sub_f32_e32 v87, s20, v101
	;; [unrolled: 2-line block ×3, first 2 shown]
	v_exp_f32_e32 v97, v41
	v_exp_f32_e32 v98, v87
	;; [unrolled: 1-line block ×3, first 2 shown]
	v_pk_add_f32 v[88:89], v[94:95], v[88:89] neg_lo:[0,1] neg_hi:[0,1]
	v_pk_mul_f32 v[90:91], v[96:97], v[90:91]
	v_mov_b32_e32 v41, 0
	v_pk_mul_f32 v[88:89], v[98:99], v[88:89]
	s_nop 0
	v_perm_b32 v89, v89, v88, s3
	v_perm_b32 v88, v91, v90, s3
	ds_write_b64 v63, v[88:89]
	s_cbranch_vccnz .LBB700_40
; %bb.39:                               ;   in Loop: Header=BB700_32 Depth=1
	s_and_b32 s25, s25, 0xffff
	s_mov_b32 s27, s23
	buffer_load_dwordx4 v[38:41], v77, s[24:27], 0 offen
	buffer_load_dwordx4 v[30:33], v77, s[24:27], s58 offen
	;; [unrolled: 1-line block ×4, first 2 shown]
	v_mov_b32_e32 v85, v57
	v_mov_b32_e32 v86, v56
.LBB700_40:                             ;   in Loop: Header=BB700_32 Depth=1
	s_waitcnt lgkmcnt(0)
	s_barrier
	ds_read_b64 v[96:97], v79
	ds_read2st64_b64 v[88:91], v71 offset1:1
	ds_read2st64_b64 v[92:95], v71 offset0:2 offset1:3
	ds_read_b64 v[98:99], v80
	ds_read_b64 v[100:101], v81
	;; [unrolled: 1-line block ×3, first 2 shown]
	s_waitcnt lgkmcnt(4)
	v_mfma_f32_16x16x16_bf16 a[0:3], v[96:97], v[88:89], 0
	ds_read_b64 v[96:97], v73 offset:8192
	ds_read_b64 v[104:105], v74 offset:8192
	s_add_i32 s21, s53, s35
	s_mul_hi_i32 s25, s21, s13
	s_waitcnt lgkmcnt(1)
	v_mfma_f32_16x16x16_bf16 a[4:7], v[96:97], v[88:89], 0
	s_mul_i32 s21, s21, s13
	s_add_u32 s24, s21, s46
	s_addc_u32 s25, s25, s50
	v_mfma_f32_16x16x16_bf16 a[0:3], v[98:99], v[90:91], a[0:3]
	ds_read_b64 v[96:97], v43
	ds_read_b64 v[98:99], v72
	ds_read_b64 v[88:89], v75 offset:8192
	s_lshl_b64 s[24:25], s[24:25], 15
	v_mfma_f32_16x16x16_bf16 a[0:3], v[100:101], v[92:93], a[0:3]
	ds_read_b64 v[100:101], v76 offset:8192
	s_and_b64 vcc, exec, s[0:1]
	s_waitcnt lgkmcnt(4)
	v_mfma_f32_16x16x16_bf16 a[4:7], v[104:105], v[90:91], a[4:7]
	s_waitcnt lgkmcnt(1)
	v_mfma_f32_16x16x16_bf16 a[4:7], v[88:89], v[92:93], a[4:7]
	v_lshl_add_u64 v[88:89], v[44:45], 0, s[24:25]
	global_store_dwordx4 v[88:89], v[96:99], off
	v_mfma_f32_16x16x16_bf16 a[0:3], v[102:103], v[94:95], a[0:3]
	s_waitcnt lgkmcnt(0)
	v_mfma_f32_16x16x16_bf16 a[4:7], v[100:101], v[94:95], a[4:7]
	s_cbranch_vccnz .LBB700_42
; %bb.41:                               ;   in Loop: Header=BB700_32 Depth=1
	v_lshrrev_b32_e32 v87, 3, v85
	v_and_b32_e32 v87, 6, v87
	v_xor_b32_e32 v86, v87, v86
	v_lshlrev_b32_e32 v86, 2, v86
	v_and_b32_e32 v85, 8, v85
	v_xor_b32_e32 v88, 0x440, v86
	v_cmp_eq_u32_e32 vcc, 0, v85
	s_barrier
	s_nop 0
	v_cndmask_b32_e32 v85, v88, v86, vcc
	v_lshl_or_b32 v85, v87, 10, v85
	s_waitcnt vmcnt(2)
	v_perm_b32 v86, v38, v34, s60
	s_waitcnt vmcnt(1)
	v_perm_b32 v87, v30, v26, s60
	ds_write2st64_b32 v85, v86, v87 offset1:32
	v_xor_b32_e32 v86, 8, v85
	v_perm_b32 v34, v38, v34, s61
	v_perm_b32 v26, v30, v26, s61
	v_add_u32_e32 v30, 0x80, v86
	ds_write2st64_b32 v30, v34, v26 offset1:32
	v_xor_b32_e32 v26, 16, v85
	v_perm_b32 v30, v39, v35, s60
	v_perm_b32 v34, v31, v27, s60
	ds_write2st64_b32 v26, v30, v34 offset0:1 offset1:33
	v_xor_b32_e32 v26, 24, v85
	v_perm_b32 v30, v39, v35, s61
	v_perm_b32 v27, v31, v27, s61
	v_add_u32_e32 v26, 0x80, v26
	ds_write2st64_b32 v26, v30, v27 offset0:1 offset1:33
	v_xor_b32_e32 v26, 32, v85
	v_perm_b32 v27, v40, v36, s60
	v_perm_b32 v30, v32, v28, s60
	ds_write2st64_b32 v26, v27, v30 offset0:2 offset1:34
	v_xor_b32_e32 v26, 40, v85
	v_perm_b32 v27, v40, v36, s61
	v_perm_b32 v28, v32, v28, s61
	v_add_u32_e32 v26, 0x80, v26
	ds_write2st64_b32 v26, v27, v28 offset0:2 offset1:34
	;; [unrolled: 9-line block ×3, first 2 shown]
	ds_write_b64 v84, v[22:23] offset:16384
	v_xor_b32_e32 v22, 8, v84
	ds_write_b64 v22, v[24:25] offset:16384
	ds_write_b64 v84, v[18:19] offset:24576
	;; [unrolled: 1-line block ×4, first 2 shown]
	v_xor_b32_e32 v14, 8, v83
	ds_write_b64 v14, v[16:17] offset:16384
	ds_write_b64 v83, v[10:11] offset:24576
	;; [unrolled: 1-line block ×3, first 2 shown]
.LBB700_42:                             ;   in Loop: Header=BB700_32 Depth=1
	v_exp_f32_e32 v12, s20
	s_nop 2
	v_accvgpr_read_b32 v11, a1
	v_accvgpr_read_b32 v10, a0
	s_add_i32 s59, s59, 64
	v_fma_f32 v7, v7, v12, v11
	v_accvgpr_read_b32 v11, a3
	v_fmac_f32_e32 v11, v9, v12
	v_accvgpr_read_b32 v9, a4
	v_fma_f32 v6, v6, v12, v10
	v_accvgpr_read_b32 v10, a2
	v_fma_f32 v2, v2, v12, v9
	;; [unrolled: 2-line block ×3, first 2 shown]
	v_fma_f32 v3, v3, v12, v9
	v_accvgpr_read_b32 v9, a6
	v_accvgpr_read_b32 v10, a7
	v_fma_f32 v4, v4, v12, v9
	s_cmp_eq_u32 s49, s31
	v_fmac_f32_e32 v10, v5, v12
	s_cbranch_scc1 .LBB700_4
; %bb.43:                               ;   in Loop: Header=BB700_32 Depth=1
	s_mov_b32 s35, s31
	v_mov_b32_e32 v9, v11
	v_mov_b32_e32 v5, v10
	s_branch .LBB700_32
.LBB700_44:
                                        ; implicit-def: $vgpr5
                                        ; implicit-def: $vgpr9
                                        ; implicit-def: $vgpr13
                                        ; implicit-def: $vgpr17
	s_cbranch_execz .LBB700_46
; %bb.45:
	s_waitcnt vmcnt(0)
	v_mad_u64_u32 v[2:3], s[0:1], v20, s15, v[18:19]
	v_lshlrev_b32_e32 v20, 1, v2
	s_lshl_b32 s2, s15, 7
	s_and_b32 s1, s5, 0xffff
	s_mov_b32 s3, 0x20000
	s_mov_b32 s0, s4
	v_add_lshl_u32 v21, v2, s15, 1
	s_movk_i32 s13, 0x80
	buffer_load_dwordx4 v[2:5], v20, s[0:3], 0 offen
	buffer_load_dwordx4 v[10:13], v20, s[0:3], s13 offen
	;; [unrolled: 1-line block ×4, first 2 shown]
.LBB700_46:
	v_lshrrev_b32_e32 v37, 2, v48
	s_cbranch_execnz .LBB700_59
.LBB700_47:
	s_and_b64 vcc, exec, s[6:7]
	s_cbranch_vccz .LBB700_57
; %bb.48:
	s_waitcnt vmcnt(0)
	v_lshlrev_b32_e32 v7, 1, v35
	v_cmp_gt_i32_e32 vcc, s27, v7
	v_mov_b32_e32 v6, 0
	v_lshlrev_b32_e32 v14, 9, v35
	v_mov_b32_e32 v2, 0
	v_mov_b32_e32 v3, 0
	;; [unrolled: 1-line block ×4, first 2 shown]
	s_and_saveexec_b64 s[0:1], vcc
	s_cbranch_execz .LBB700_50
; %bb.49:
	v_mov_b32_e32 v15, 0
	v_lshl_add_u64 v[2:3], s[4:5], 0, v[14:15]
	v_lshlrev_b32_e32 v4, 1, v18
	v_mov_b32_e32 v5, v15
	v_lshl_add_u64 v[2:3], v[2:3], 0, v[4:5]
	global_load_dwordx4 v[2:5], v[2:3], off
.LBB700_50:
	s_or_b64 exec, exec, s[0:1]
	v_or_b32_e32 v7, 1, v7
	v_cmp_gt_i32_e64 s[0:1], s27, v7
	v_lshlrev_b32_e32 v20, 8, v7
	v_mov_b32_e32 v7, 0
	v_mov_b32_e32 v8, 0
	v_mov_b32_e32 v9, 0
	s_and_saveexec_b64 s[2:3], s[0:1]
	s_cbranch_execz .LBB700_52
; %bb.51:
	v_mov_b32_e32 v21, 0
	v_lshl_add_u64 v[6:7], s[4:5], 0, v[20:21]
	v_lshlrev_b32_e32 v8, 1, v18
	v_mov_b32_e32 v9, v21
	v_lshl_add_u64 v[6:7], v[6:7], 0, v[8:9]
	global_load_dwordx4 v[6:9], v[6:7], off
.LBB700_52:
	s_or_b64 exec, exec, s[2:3]
	v_mov_b32_e32 v17, 0
	v_mov_b32_e32 v10, 0
	;; [unrolled: 1-line block ×5, first 2 shown]
	s_and_saveexec_b64 s[2:3], vcc
	s_cbranch_execz .LBB700_54
; %bb.53:
	v_mov_b32_e32 v15, 0
	v_lshl_add_u64 v[10:11], s[4:5], 0, v[14:15]
	v_lshlrev_b32_e32 v14, 1, v18
	v_lshl_add_u64 v[10:11], v[10:11], 0, v[14:15]
	global_load_dwordx4 v[10:13], v[10:11], off offset:128
.LBB700_54:
	s_or_b64 exec, exec, s[2:3]
	v_mov_b32_e32 v16, 0
	v_mov_b32_e32 v15, 0
	;; [unrolled: 1-line block ×3, first 2 shown]
	s_and_saveexec_b64 s[2:3], s[0:1]
	s_cbranch_execz .LBB700_56
; %bb.55:
	v_mov_b32_e32 v21, 0
	v_lshl_add_u64 v[14:15], s[4:5], 0, v[20:21]
	v_lshlrev_b32_e32 v20, 1, v18
	v_lshl_add_u64 v[14:15], v[14:15], 0, v[20:21]
	global_load_dwordx4 v[14:17], v[14:15], off offset:128
.LBB700_56:
	s_or_b64 exec, exec, s[2:3]
	s_branch .LBB700_59
.LBB700_57:
                                        ; implicit-def: $vgpr5
                                        ; implicit-def: $vgpr9
                                        ; implicit-def: $vgpr13
                                        ; implicit-def: $vgpr17
	s_cbranch_execz .LBB700_59
; %bb.58:
	s_waitcnt vmcnt(0)
	v_lshlrev_b32_e32 v2, 1, v18
	v_lshl_or_b32 v18, v35, 9, v2
	s_and_b32 s5, s5, 0xffff
	s_mov_b32 s7, 0x20000
	s_movk_i32 s6, 0x4000
	s_movk_i32 s0, 0x80
	buffer_load_dwordx4 v[2:5], v18, s[4:7], 0 offen
	buffer_load_dwordx4 v[6:9], v18, s[4:7], 0 offen offset:256
	buffer_load_dwordx4 v[10:13], v18, s[4:7], s0 offen
	buffer_load_dwordx4 v[14:17], v18, s[4:7], s0 offen offset:256
.LBB700_59:
	ds_read2st64_b64 v[22:25], v19 offset0:76 offset1:77
	ds_read2st64_b64 v[18:21], v19 offset0:78 offset1:79
	ds_read_b64 v[30:31], v26 offset:24576
	ds_read_b64 v[32:33], v27 offset:24576
	;; [unrolled: 1-line block ×4, first 2 shown]
	v_and_b32_e32 v36, 6, v0
	v_xor_b32_e32 v35, v35, v36
	v_lshlrev_b32_e32 v35, 2, v35
	v_and_b32_e32 v0, 1, v0
	v_xor_b32_e32 v38, 0x440, v35
	v_cmp_eq_u32_e32 vcc, 0, v0
	s_mov_b32 s0, 0x1000504
	s_mov_b32 s1, 0x3020706
	v_cndmask_b32_e32 v0, v38, v35, vcc
	v_lshl_or_b32 v0, v36, 10, v0
	s_waitcnt vmcnt(0)
	v_perm_b32 v35, v2, v6, s0
	v_perm_b32 v36, v10, v14, s0
	ds_write2st64_b32 v0, v35, v36 offset1:32
	v_xor_b32_e32 v35, 8, v0
	v_perm_b32 v2, v2, v6, s1
	v_perm_b32 v6, v10, v14, s1
	v_add_u32_e32 v10, 0x80, v35
	ds_write2st64_b32 v10, v2, v6 offset1:32
	v_xor_b32_e32 v2, 16, v0
	v_perm_b32 v6, v3, v7, s0
	v_perm_b32 v10, v11, v15, s0
	ds_write2st64_b32 v2, v6, v10 offset0:1 offset1:33
	v_xor_b32_e32 v2, 24, v0
	v_perm_b32 v3, v3, v7, s1
	v_perm_b32 v6, v11, v15, s1
	v_add_u32_e32 v2, 0x80, v2
	ds_write2st64_b32 v2, v3, v6 offset0:1 offset1:33
	v_xor_b32_e32 v2, 32, v0
	v_perm_b32 v3, v4, v8, s0
	v_perm_b32 v6, v12, v16, s0
	ds_write2st64_b32 v2, v3, v6 offset0:2 offset1:34
	v_xor_b32_e32 v2, 40, v0
	v_perm_b32 v3, v4, v8, s1
	v_perm_b32 v4, v12, v16, s1
	v_add_u32_e32 v2, 0x80, v2
	ds_write2st64_b32 v2, v3, v4 offset0:2 offset1:34
	v_xor_b32_e32 v2, 48, v0
	v_perm_b32 v3, v5, v9, s0
	v_perm_b32 v4, v13, v17, s0
	v_xor_b32_e32 v0, 56, v0
	v_and_or_b32 v6, v37, 12, v1
	ds_write2st64_b32 v2, v3, v4 offset0:3 offset1:35
	v_perm_b32 v2, v5, v9, s1
	v_perm_b32 v3, v13, v17, s1
	v_add_u32_e32 v0, 0x80, v0
	v_cmp_gt_i32_e32 vcc, s27, v6
	v_mov_b32_e32 v7, 0
	v_mov_b32_e32 v11, 0
	ds_write2st64_b32 v0, v2, v3 offset0:3 offset1:35
	s_and_saveexec_b64 s[0:1], vcc
	s_cbranch_execz .LBB700_61
; %bb.60:
	v_add_u32_e32 v0, s26, v6
	v_ashrrev_i32_e32 v1, 31, v0
	v_mul_lo_u32 v2, v1, s28
	v_mul_lo_u32 v3, v0, s29
	v_mad_u64_u32 v[0:1], s[2:3], v0, s28, 0
	v_add3_u32 v1, v1, v3, v2
	v_lshl_add_u64 v[0:1], v[0:1], 2, s[10:11]
	global_load_dword v0, v[0:1], off
	s_waitcnt vmcnt(0)
	v_sub_f32_e32 v0, s12, v0
	v_exp_f32_e32 v11, v0
.LBB700_61:
	s_or_b64 exec, exec, s[0:1]
	v_or_b32_e32 v9, 1, v6
	v_cmp_gt_i32_e64 s[0:1], s27, v9
	s_and_saveexec_b64 s[2:3], s[0:1]
	s_cbranch_execz .LBB700_63
; %bb.62:
	v_add_u32_e32 v0, s26, v9
	v_ashrrev_i32_e32 v1, 31, v0
	v_mul_lo_u32 v2, v1, s28
	v_mul_lo_u32 v3, v0, s29
	v_mad_u64_u32 v[0:1], s[4:5], v0, s28, 0
	v_add3_u32 v1, v1, v3, v2
	v_lshl_add_u64 v[0:1], v[0:1], 2, s[10:11]
	global_load_dword v0, v[0:1], off
	s_waitcnt vmcnt(0)
	v_sub_f32_e32 v0, s12, v0
	v_exp_f32_e32 v7, v0
.LBB700_63:
	s_or_b64 exec, exec, s[2:3]
	v_or_b32_e32 v10, 2, v6
	v_cmp_gt_i32_e64 s[2:3], s27, v10
	v_mov_b32_e32 v8, 0
	v_mov_b32_e32 v13, 0
	s_and_saveexec_b64 s[4:5], s[2:3]
	s_cbranch_execz .LBB700_65
; %bb.64:
	v_add_u32_e32 v0, s26, v10
	v_ashrrev_i32_e32 v1, 31, v0
	v_mul_lo_u32 v2, v1, s28
	v_mul_lo_u32 v3, v0, s29
	v_mad_u64_u32 v[0:1], s[6:7], v0, s28, 0
	v_add3_u32 v1, v1, v3, v2
	v_lshl_add_u64 v[0:1], v[0:1], 2, s[10:11]
	global_load_dword v0, v[0:1], off
	s_waitcnt vmcnt(0)
	v_sub_f32_e32 v0, s12, v0
	v_exp_f32_e32 v13, v0
.LBB700_65:
	s_or_b64 exec, exec, s[4:5]
	v_or_b32_e32 v12, 3, v6
	v_cmp_gt_i32_e64 s[4:5], s27, v12
	s_and_saveexec_b64 s[6:7], s[4:5]
	s_cbranch_execz .LBB700_67
; %bb.66:
	v_add_u32_e32 v0, s26, v12
	v_ashrrev_i32_e32 v1, 31, v0
	v_mul_lo_u32 v2, v1, s28
	v_mul_lo_u32 v3, v0, s29
	v_mad_u64_u32 v[0:1], s[14:15], v0, s28, 0
	v_add3_u32 v1, v1, v3, v2
	v_lshl_add_u64 v[0:1], v[0:1], 2, s[10:11]
	global_load_dword v0, v[0:1], off
	s_waitcnt vmcnt(0)
	v_sub_f32_e32 v0, s12, v0
	v_exp_f32_e32 v8, v0
.LBB700_67:
	s_or_b64 exec, exec, s[6:7]
	s_waitcnt lgkmcnt(11)
	v_mfma_f32_16x16x16_bf16 a[0:3], v[30:31], v[22:23], a[0:3]
	s_add_u32 s6, s8, s20
	v_ashrrev_i32_e32 v43, 31, v42
	s_addc_u32 s7, s9, s21
	s_waitcnt lgkmcnt(10)
	v_mfma_f32_16x16x16_bf16 a[0:3], v[32:33], v[24:25], a[0:3]
	v_mov_b32_e32 v14, 0
	v_lshl_add_u64 v[4:5], v[42:43], 1, s[6:7]
	v_mov_b32_e32 v15, 0
	s_waitcnt lgkmcnt(9)
	v_mfma_f32_16x16x16_bf16 a[0:3], v[28:29], v[18:19], a[0:3]
	s_waitcnt lgkmcnt(8)
	v_mfma_f32_16x16x16_bf16 a[0:3], v[26:27], v[20:21], a[0:3]
	s_nop 6
	v_accvgpr_read_b32 v0, a0
	v_accvgpr_read_b32 v1, a1
	;; [unrolled: 1-line block ×4, first 2 shown]
	s_and_saveexec_b64 s[6:7], vcc
	s_cbranch_execz .LBB700_69
; %bb.68:
	v_lshlrev_b32_e32 v16, 8, v6
	v_mov_b32_e32 v17, 0
	v_lshl_add_u64 v[16:17], v[4:5], 0, v[16:17]
	global_load_ushort v15, v[16:17], off
	s_waitcnt vmcnt(0)
	v_lshlrev_b32_e32 v15, 16, v15
	v_sub_f32_e32 v0, v15, v0
	v_mul_f32_e32 v0, v11, v0
	v_lshrrev_b32_e32 v15, 16, v0
.LBB700_69:
	s_or_b64 exec, exec, s[6:7]
	s_and_saveexec_b64 s[6:7], s[0:1]
	s_cbranch_execz .LBB700_71
; %bb.70:
	v_lshlrev_b32_e32 v16, 8, v9
	v_mov_b32_e32 v17, 0
	v_lshl_add_u64 v[16:17], v[4:5], 0, v[16:17]
	global_load_ushort v0, v[16:17], off
	s_waitcnt vmcnt(0)
	v_lshlrev_b32_e32 v0, 16, v0
	v_sub_f32_e32 v0, v0, v1
	v_mul_f32_e32 v0, v7, v0
	v_lshrrev_b32_e32 v14, 16, v0
.LBB700_71:
	s_or_b64 exec, exec, s[6:7]
	v_mov_b32_e32 v0, 0
	v_mov_b32_e32 v1, 0
	s_and_saveexec_b64 s[0:1], s[2:3]
	s_cbranch_execz .LBB700_73
; %bb.72:
	v_lshlrev_b32_e32 v10, 8, v10
	v_mov_b32_e32 v11, 0
	v_lshl_add_u64 v[10:11], v[4:5], 0, v[10:11]
	global_load_ushort v1, v[10:11], off
	s_waitcnt vmcnt(0)
	v_lshlrev_b32_e32 v1, 16, v1
	v_sub_f32_e32 v1, v1, v2
	v_mul_f32_e32 v1, v13, v1
	v_lshrrev_b32_e32 v1, 16, v1
.LBB700_73:
	s_or_b64 exec, exec, s[0:1]
	s_and_saveexec_b64 s[0:1], s[4:5]
	s_cbranch_execz .LBB700_75
; %bb.74:
	v_lshlrev_b32_e32 v10, 8, v12
	v_mov_b32_e32 v11, 0
	v_lshl_add_u64 v[4:5], v[4:5], 0, v[10:11]
	global_load_ushort v0, v[4:5], off
	s_waitcnt vmcnt(0)
	v_lshlrev_b32_e32 v0, 16, v0
	v_sub_f32_e32 v0, v0, v3
	v_mul_f32_e32 v0, v8, v0
	v_lshrrev_b32_e32 v0, 16, v0
.LBB700_75:
	s_or_b64 exec, exec, s[0:1]
	s_mov_b32 s0, 0x5040100
	v_lshlrev_b32_e32 v2, 1, v34
	v_perm_b32 v1, v0, v1, s0
	v_perm_b32 v0, v14, v15, s0
	v_lshl_or_b32 v2, v6, 5, v2
	ds_write_b64 v2, v[0:1] offset:38912
	s_waitcnt lgkmcnt(0)
	s_barrier
.LBB700_76:
	s_endpgm
	.section	.rodata,"a",@progbits
	.p2align	6, 0x0
	.amdhsa_kernel _ZN12_GLOBAL__N_139chunk_gated_delta_rule_fwd_h_hip_kernelILi16ELb1ELb0ELb0ELb0ELb1ELb0ELb0ELb0EEEvPK12hip_bfloat16S3_S3_PKfS5_PKvPS1_S8_PvPKiSB_iiiiilll
		.amdhsa_group_segment_fixed_size 40960
		.amdhsa_private_segment_fixed_size 0
		.amdhsa_kernarg_size 136
		.amdhsa_user_sgpr_count 2
		.amdhsa_user_sgpr_dispatch_ptr 0
		.amdhsa_user_sgpr_queue_ptr 0
		.amdhsa_user_sgpr_kernarg_segment_ptr 1
		.amdhsa_user_sgpr_dispatch_id 0
		.amdhsa_user_sgpr_kernarg_preload_length 0
		.amdhsa_user_sgpr_kernarg_preload_offset 0
		.amdhsa_user_sgpr_private_segment_size 0
		.amdhsa_uses_dynamic_stack 0
		.amdhsa_enable_private_segment 0
		.amdhsa_system_sgpr_workgroup_id_x 1
		.amdhsa_system_sgpr_workgroup_id_y 1
		.amdhsa_system_sgpr_workgroup_id_z 0
		.amdhsa_system_sgpr_workgroup_info 0
		.amdhsa_system_vgpr_workitem_id 0
		.amdhsa_next_free_vgpr 116
		.amdhsa_next_free_sgpr 64
		.amdhsa_accum_offset 108
		.amdhsa_reserve_vcc 1
		.amdhsa_float_round_mode_32 0
		.amdhsa_float_round_mode_16_64 0
		.amdhsa_float_denorm_mode_32 3
		.amdhsa_float_denorm_mode_16_64 3
		.amdhsa_dx10_clamp 1
		.amdhsa_ieee_mode 1
		.amdhsa_fp16_overflow 0
		.amdhsa_tg_split 0
		.amdhsa_exception_fp_ieee_invalid_op 0
		.amdhsa_exception_fp_denorm_src 0
		.amdhsa_exception_fp_ieee_div_zero 0
		.amdhsa_exception_fp_ieee_overflow 0
		.amdhsa_exception_fp_ieee_underflow 0
		.amdhsa_exception_fp_ieee_inexact 0
		.amdhsa_exception_int_div_zero 0
	.end_amdhsa_kernel
	.section	.text._ZN12_GLOBAL__N_139chunk_gated_delta_rule_fwd_h_hip_kernelILi16ELb1ELb0ELb0ELb0ELb1ELb0ELb0ELb0EEEvPK12hip_bfloat16S3_S3_PKfS5_PKvPS1_S8_PvPKiSB_iiiiilll,"axG",@progbits,_ZN12_GLOBAL__N_139chunk_gated_delta_rule_fwd_h_hip_kernelILi16ELb1ELb0ELb0ELb0ELb1ELb0ELb0ELb0EEEvPK12hip_bfloat16S3_S3_PKfS5_PKvPS1_S8_PvPKiSB_iiiiilll,comdat
.Lfunc_end700:
	.size	_ZN12_GLOBAL__N_139chunk_gated_delta_rule_fwd_h_hip_kernelILi16ELb1ELb0ELb0ELb0ELb1ELb0ELb0ELb0EEEvPK12hip_bfloat16S3_S3_PKfS5_PKvPS1_S8_PvPKiSB_iiiiilll, .Lfunc_end700-_ZN12_GLOBAL__N_139chunk_gated_delta_rule_fwd_h_hip_kernelILi16ELb1ELb0ELb0ELb0ELb1ELb0ELb0ELb0EEEvPK12hip_bfloat16S3_S3_PKfS5_PKvPS1_S8_PvPKiSB_iiiiilll
                                        ; -- End function
	.section	.AMDGPU.csdata,"",@progbits
; Kernel info:
; codeLenInByte = 7108
; NumSgprs: 70
; NumVgprs: 106
; NumAgprs: 8
; TotalNumVgprs: 116
; ScratchSize: 0
; MemoryBound: 0
; FloatMode: 240
; IeeeMode: 1
; LDSByteSize: 40960 bytes/workgroup (compile time only)
; SGPRBlocks: 8
; VGPRBlocks: 14
; NumSGPRsForWavesPerEU: 70
; NumVGPRsForWavesPerEU: 116
; AccumOffset: 108
; Occupancy: 1
; WaveLimiterHint : 1
; COMPUTE_PGM_RSRC2:SCRATCH_EN: 0
; COMPUTE_PGM_RSRC2:USER_SGPR: 2
; COMPUTE_PGM_RSRC2:TRAP_HANDLER: 0
; COMPUTE_PGM_RSRC2:TGID_X_EN: 1
; COMPUTE_PGM_RSRC2:TGID_Y_EN: 1
; COMPUTE_PGM_RSRC2:TGID_Z_EN: 0
; COMPUTE_PGM_RSRC2:TIDIG_COMP_CNT: 0
; COMPUTE_PGM_RSRC3_GFX90A:ACCUM_OFFSET: 26
; COMPUTE_PGM_RSRC3_GFX90A:TG_SPLIT: 0
	.section	.text._ZN12_GLOBAL__N_139chunk_gated_delta_rule_fwd_h_hip_kernelILi16ELb0ELb1ELb1ELb0ELb1ELb0ELb0ELb0EEEvPK12hip_bfloat16S3_S3_PKfS5_PKvPS1_S8_PvPKiSB_iiiiilll,"axG",@progbits,_ZN12_GLOBAL__N_139chunk_gated_delta_rule_fwd_h_hip_kernelILi16ELb0ELb1ELb1ELb0ELb1ELb0ELb0ELb0EEEvPK12hip_bfloat16S3_S3_PKfS5_PKvPS1_S8_PvPKiSB_iiiiilll,comdat
	.globl	_ZN12_GLOBAL__N_139chunk_gated_delta_rule_fwd_h_hip_kernelILi16ELb0ELb1ELb1ELb0ELb1ELb0ELb0ELb0EEEvPK12hip_bfloat16S3_S3_PKfS5_PKvPS1_S8_PvPKiSB_iiiiilll ; -- Begin function _ZN12_GLOBAL__N_139chunk_gated_delta_rule_fwd_h_hip_kernelILi16ELb0ELb1ELb1ELb0ELb1ELb0ELb0ELb0EEEvPK12hip_bfloat16S3_S3_PKfS5_PKvPS1_S8_PvPKiSB_iiiiilll
	.p2align	8
	.type	_ZN12_GLOBAL__N_139chunk_gated_delta_rule_fwd_h_hip_kernelILi16ELb0ELb1ELb1ELb0ELb1ELb0ELb0ELb0EEEvPK12hip_bfloat16S3_S3_PKfS5_PKvPS1_S8_PvPKiSB_iiiiilll,@function
_ZN12_GLOBAL__N_139chunk_gated_delta_rule_fwd_h_hip_kernelILi16ELb0ELb1ELb1ELb0ELb1ELb0ELb0ELb0EEEvPK12hip_bfloat16S3_S3_PKfS5_PKvPS1_S8_PvPKiSB_iiiiilll: ; @_ZN12_GLOBAL__N_139chunk_gated_delta_rule_fwd_h_hip_kernelILi16ELb0ELb1ELb1ELb0ELb1ELb0ELb0ELb0EEEvPK12hip_bfloat16S3_S3_PKfS5_PKvPS1_S8_PvPKiSB_iiiiilll
; %bb.0:
	s_load_dwordx4 s[16:19], s[0:1], 0x5c
	s_load_dwordx4 s[20:23], s[0:1], 0x70
	s_abs_i32 s14, s3
	s_ashr_i32 s13, s3, 31
	s_load_dwordx8 s[4:11], s[0:1], 0x0
	s_waitcnt lgkmcnt(0)
	s_abs_i32 s12, s17
	v_cvt_f32_u32_e32 v1, s12
	s_sub_i32 s24, 0, s12
	s_ashr_i32 s15, s17, 31
	s_xor_b32 s13, s13, s15
	v_rcp_iflag_f32_e32 v1, v1
	v_lshrrev_b32_e32 v48, 6, v0
	v_bfe_u32 v51, v0, 4, 2
	v_lshlrev_b32_e32 v49, 4, v48
	v_mul_f32_e32 v1, 0x4f7ffffe, v1
	v_cvt_u32_f32_e32 v1, v1
	v_lshlrev_b32_e32 v10, 2, v51
	v_and_b32_e32 v50, 63, v0
	v_mov_b32_e32 v9, 0
	v_readfirstlane_b32 s25, v1
	s_mul_i32 s24, s24, s25
	s_mul_hi_u32 s24, s25, s24
	s_add_i32 s25, s25, s24
	s_mul_hi_u32 s24, s14, s25
	s_mul_i32 s25, s24, s12
	s_sub_i32 s14, s14, s25
	s_add_i32 s26, s24, 1
	s_sub_i32 s25, s14, s12
	s_cmp_ge_u32 s14, s12
	s_cselect_b32 s24, s26, s24
	s_cselect_b32 s14, s25, s14
	s_add_i32 s25, s24, 1
	s_cmp_ge_u32 s14, s12
	s_cselect_b32 s14, s25, s24
	s_xor_b32 s14, s14, s13
	s_sub_i32 s49, s14, s13
	s_abs_i32 s13, s18
	v_cvt_f32_u32_e32 v1, s13
	s_add_i32 s24, s16, 63
	s_mul_i32 s47, s49, s17
	s_sub_i32 s33, s3, s47
	v_rcp_iflag_f32_e32 v1, v1
	s_ashr_i32 s3, s24, 31
	s_ashr_i32 s48, s16, 31
	s_lshr_b32 s3, s3, 26
	v_mul_f32_e32 v1, 0x4f7ffffe, v1
	v_cvt_u32_f32_e32 v1, v1
	s_lshr_b32 s14, s48, 26
	s_add_i32 s24, s24, s3
	s_add_i32 s14, s16, s14
	s_ashr_i32 s51, s18, 31
	s_ashr_i32 s3, s24, 6
	;; [unrolled: 1-line block ×3, first 2 shown]
	s_xor_b32 s14, s15, s51
	s_sub_i32 s15, 0, s13
	v_readfirstlane_b32 s24, v1
	s_mul_i32 s15, s15, s24
	s_mul_hi_u32 s15, s24, s15
	s_add_i32 s24, s24, s15
	s_mul_hi_u32 s15, s12, s24
	s_mul_i32 s24, s15, s13
	s_sub_i32 s12, s12, s24
	s_add_i32 s24, s15, 1
	s_sub_i32 s25, s12, s13
	s_cmp_ge_u32 s12, s13
	s_cselect_b32 s15, s24, s15
	s_cselect_b32 s12, s25, s12
	s_add_i32 s24, s15, 1
	s_cmp_ge_u32 s12, s13
	s_cselect_b32 s12, s24, s15
	s_xor_b32 s12, s12, s14
	s_sub_i32 s24, s12, s14
	s_abs_i32 s25, s24
	v_cvt_f32_u32_e32 v1, s25
	s_load_dwordx2 s[34:35], s[0:1], 0x40
	s_load_dwordx4 s[12:15], s[0:1], 0x30
	s_load_dwordx2 s[36:37], s[0:1], 0x80
	s_xor_b32 s0, s33, s24
	s_sub_i32 s24, 0, s25
	v_rcp_iflag_f32_e32 v1, v1
	s_abs_i32 s1, s33
	s_ashr_i32 s0, s0, 31
	s_mul_i32 s52, s49, s3
	v_mul_f32_e32 v1, 0x4f7ffffe, v1
	v_cvt_u32_f32_e32 v1, v1
	v_and_b32_e32 v52, 15, v0
	s_mul_hi_i32 s53, s49, s17
	v_lshrrev_b32_e32 v54, 3, v50
	v_readfirstlane_b32 s26, v1
	s_mul_i32 s24, s24, s26
	s_mul_hi_u32 s24, s26, s24
	s_add_i32 s26, s26, s24
	s_mul_hi_u32 s24, s1, s26
	s_mul_i32 s26, s24, s25
	s_sub_i32 s1, s1, s26
	s_add_i32 s26, s24, 1
	s_sub_i32 s27, s1, s25
	s_cmp_ge_u32 s1, s25
	s_cselect_b32 s24, s26, s24
	s_cselect_b32 s1, s27, s1
	s_add_i32 s26, s24, 1
	s_cmp_ge_u32 s1, s25
	s_cselect_b32 s1, s26, s24
	s_xor_b32 s1, s1, s0
	s_sub_i32 s54, s1, s0
	v_or_b32_e32 v1, v10, v49
	s_lshl_b32 s2, s2, 4
	v_or_b32_e32 v55, 64, v1
	s_cmp_lt_i32 s16, 64
	v_lshlrev_b32_e32 v53, 3, v0
	s_mul_i32 s21, s49, s21
	s_mul_hi_u32 s46, s49, s20
	s_mul_i32 s38, s49, s20
	v_mov_b32_e32 v8, v9
	v_mov_b32_e32 v7, v9
	v_mov_b32_e32 v6, v9
	v_mov_b32_e32 v5, v9
	v_mov_b32_e32 v4, v9
	v_mov_b32_e32 v3, v9
	v_mov_b32_e32 v2, v9
	s_cbranch_scc1 .LBB701_18
; %bb.1:
	s_ashr_i32 s3, s49, 31
	s_ashr_i32 s56, s33, 31
	s_add_u32 s0, s47, s33
	s_addc_u32 s1, s53, s56
	s_mul_i32 s1, s16, s1
	s_mul_hi_u32 s24, s16, s0
	s_add_i32 s41, s24, s1
	s_mul_i32 s40, s16, s0
	s_lshl_b64 s[0:1], s[40:41], 8
	v_and_b32_e32 v57, 56, v53
	s_add_u32 s24, s6, s0
	v_lshl_or_b32 v56, v48, 3, v54
	v_lshlrev_b32_e32 v3, 1, v57
	s_addc_u32 s0, s7, s1
	v_lshl_or_b32 v58, v56, 8, v3
	s_and_b32 s25, s0, 0xffff
	s_mov_b32 s27, 0x20000
	s_movk_i32 s26, 0x4000
	s_movk_i32 s0, 0x80
	v_or_b32_e32 v59, 0x2000, v58
	buffer_load_dwordx4 v[4:7], v58, s[24:27], 0 offen
	buffer_load_dwordx4 v[12:15], v58, s[24:27], s0 offen
	;; [unrolled: 1-line block ×4, first 2 shown]
	v_lshlrev_b32_e32 v2, 3, v56
	v_and_or_b32 v9, v0, 7, v2
	v_and_b32_e32 v2, 0x78, v2
	v_lshlrev_b32_e32 v9, 4, v9
	v_xor_b32_e32 v60, v9, v2
	v_mul_lo_u32 v8, v56, s19
	v_or_b32_e32 v61, 0x1000, v60
	v_xor_b32_e32 v2, 8, v60
	s_cmpk_eq_i32 s19, 0x80
	s_mov_b32 s55, s18
	v_xor_b32_e32 v9, 8, v61
	s_cselect_b64 s[0:1], -1, 0
	s_cmpk_lg_i32 s19, 0x80
	s_waitcnt vmcnt(3)
	ds_write_b64 v60, v[4:5] offset:16384
	ds_write_b64 v2, v[6:7] offset:16384
	s_waitcnt vmcnt(2)
	ds_write_b64 v60, v[12:13] offset:24576
	ds_write_b64 v2, v[14:15] offset:24576
	;; [unrolled: 3-line block ×4, first 2 shown]
	v_lshl_add_u32 v2, v8, 1, v57
	s_cbranch_scc0 .LBB701_3
; %bb.2:
	v_lshlrev_b32_e32 v6, 1, v2
	v_add_lshl_u32 v5, v2, s19, 1
	s_lshl_b32 s26, s19, 7
	v_lshl_or_b32 v4, v56, 9, v3
	s_cbranch_execz .LBB701_4
	s_branch .LBB701_5
.LBB701_3:
                                        ; implicit-def: $vgpr5
                                        ; implicit-def: $vgpr6
                                        ; implicit-def: $sgpr26
	v_lshl_or_b32 v4, v56, 9, v3
.LBB701_4:
	v_or_b32_e32 v5, 0x100, v4
	s_movk_i32 s26, 0x4000
	v_mov_b32_e32 v6, v4
.LBB701_5:
	s_mul_hi_u32 s24, s18, s16
	s_mul_i32 s25, s51, s16
	s_add_i32 s24, s24, s25
	s_mul_i32 s25, s18, s16
	s_mul_i32 s27, s25, s3
	s_mul_hi_u32 s28, s25, s49
	s_add_i32 s27, s28, s27
	s_mul_i32 s24, s24, s49
	s_add_i32 s27, s27, s24
	s_mul_i32 s25, s25, s49
	s_ashr_i32 s57, s54, 31
	s_add_u32 s24, s25, s54
	s_addc_u32 s25, s27, s57
	s_lshl_b64 s[24:25], s[24:25], 8
	s_add_u32 s24, s4, s24
	s_addc_u32 s25, s5, s25
	s_and_b32 s25, s25, 0xffff
	s_mov_b32 s27, 0x20000
	s_movk_i32 s58, 0x80
	buffer_load_dwordx4 v[12:15], v6, s[24:27], 0 offen
	buffer_load_dwordx4 v[16:19], v6, s[24:27], s58 offen
	buffer_load_dwordx4 v[20:23], v5, s[24:27], 0 offen
	buffer_load_dwordx4 v[24:27], v5, s[24:27], s58 offen
	v_and_b32_e32 v3, 6, v0
	s_mul_i32 s24, s3, s16
	s_mul_hi_u32 s25, s49, s16
	v_lshlrev_b32_e32 v6, 2, v52
	v_lshlrev_b32_e32 v7, 3, v52
	v_xor_b32_e32 v9, v56, v3
	v_and_b32_e32 v5, 1, v0
	s_mul_i32 s3, s3, s20
	v_lshl_or_b32 v7, v1, 5, v7
	v_xor_b32_e32 v11, v1, v6
	v_lshlrev_b32_e32 v9, 2, v9
	s_add_i32 s63, s25, s24
	s_add_i32 s24, s46, s21
	v_or_b32_e32 v62, 0x9000, v7
	v_or_b32_e32 v63, 0x9800, v7
	v_lshlrev_b32_e32 v7, 1, v11
	v_xor_b32_e32 v11, 0x440, v9
	v_cmp_eq_u32_e32 vcc, 0, v5
	s_add_i32 s39, s24, s3
	s_mul_i32 s3, s33, s23
	s_mul_hi_u32 s24, s33, s22
	v_cndmask_b32_e32 v5, v11, v9, vcc
	s_add_i32 s3, s24, s3
	s_mul_i32 s24, s56, s22
	s_mov_b32 s60, 0x1000504
	v_lshlrev_b32_e32 v8, 8, v52
	s_mov_b32 s26, 0x8000
	v_xor_b32_e32 v6, v55, v6
	v_lshl_or_b32 v3, v3, 10, v5
	s_add_i32 s25, s3, s24
	s_lshl_b64 s[28:29], s[38:39], 2
	s_mov_b32 s61, 0x3020706
	v_lshlrev_b32_e32 v6, 1, v6
	v_or3_b32 v64, v7, v8, s26
	v_xor_b32_e32 v5, 8, v3
	v_xor_b32_e32 v7, 24, v3
	;; [unrolled: 1-line block ×4, first 2 shown]
	s_mul_i32 s24, s33, s22
	s_add_u32 s3, s10, s28
	v_or3_b32 v65, v6, v8, s26
	v_xor_b32_e32 v6, 16, v3
	v_xor_b32_e32 v8, 32, v3
	;; [unrolled: 1-line block ×3, first 2 shown]
	v_add_u32_e32 v5, 0x80, v5
	v_add_u32_e32 v7, 0x80, v7
	;; [unrolled: 1-line block ×4, first 2 shown]
	s_addc_u32 s28, s11, s29
	s_lshl_b64 s[24:25], s[24:25], 2
	s_add_u32 s42, s3, s24
	s_movk_i32 s3, 0xf8
	s_addc_u32 s43, s28, s25
	s_lshl_b32 s30, s19, 7
	s_mov_b32 s59, 0
	s_mul_i32 s62, s49, s16
	v_add_u32_e32 v80, v49, v10
	s_mov_b32 s64, 0
	s_waitcnt vmcnt(1)
	v_perm_b32 v29, v12, v20, s60
	s_waitcnt vmcnt(0)
	v_perm_b32 v30, v16, v24, s60
	v_perm_b32 v12, v12, v20, s61
	;; [unrolled: 1-line block ×15, first 2 shown]
	ds_write2st64_b32 v3, v29, v30 offset1:32
	ds_write2st64_b32 v5, v12, v16 offset1:32
	ds_write2st64_b32 v6, v20, v24 offset0:1 offset1:33
	ds_write2st64_b32 v7, v13, v17 offset0:1 offset1:33
	;; [unrolled: 1-line block ×6, first 2 shown]
	v_or_b32_e32 v3, v49, v52
	v_lshlrev_b32_e32 v3, 3, v3
	v_lshrrev_b32_e32 v7, 5, v50
	v_and_or_b32 v7, v3, s3, v7
	v_lshlrev_b32_e32 v7, 4, v7
	v_lshlrev_b32_e32 v5, 11, v48
	v_and_b32_e32 v3, 0x78, v3
	v_or_b32_e32 v12, 32, v7
	v_and_b32_e32 v6, 0x1000, v5
	v_lshrrev_b32_e32 v11, 1, v0
	v_xor_b32_e32 v12, v12, v3
	v_and_b32_e32 v9, 8, v11
	v_or_b32_e32 v12, v12, v6
	v_xor_b32_e32 v8, v7, v3
	v_xor_b32_e32 v68, v12, v9
	v_or_b32_e32 v12, 64, v7
	v_or_b32_e32 v7, 0x60, v7
	v_xor_b32_e32 v12, v12, v3
	v_xor_b32_e32 v3, v7, v3
	v_or_b32_e32 v3, v3, v6
	v_or_b32_e32 v12, v12, v6
	v_xor_b32_e32 v70, v3, v9
	v_lshlrev_b32_e32 v14, 1, v2
	v_add_lshl_u32 v15, v2, s19, 1
	v_lshrrev_b32_e32 v2, 4, v0
	v_lshlrev_b32_e32 v3, 1, v52
	v_xor_b32_e32 v69, v12, v9
	s_ashr_i32 s3, s2, 31
	v_or_b32_e32 v12, 1, v3
	v_xor_b32_e32 v3, v2, v3
	s_lshl_b64 s[24:25], s[2:3], 8
	v_xor_b32_e32 v12, v12, v2
	v_lshlrev_b32_e32 v3, 3, v3
	v_lshlrev_b32_e32 v2, 8, v2
	s_waitcnt lgkmcnt(0)
	s_add_u32 s24, s12, s24
	v_or3_b32 v72, v3, v2, s26
	v_lshlrev_b32_e32 v3, 3, v12
	s_addc_u32 s25, s13, s25
	v_or3_b32 v73, v3, v2, s26
	v_mov_b32_e32 v3, 0
	v_lshl_add_u64 v[12:13], s[24:25], 0, v[2:3]
	v_lshlrev_b32_e32 v2, 4, v52
	s_movk_i32 s3, 0xff
	v_lshlrev_b32_e32 v18, 3, v48
	v_and_b32_e32 v11, 24, v11
	v_lshl_add_u64 v[42:43], v[12:13], 0, v[2:3]
	v_and_b32_e32 v12, 8, v0
	v_cmp_lt_u32_e32 vcc, s3, v0
	v_xor_b32_e32 v19, v18, v11
	v_or_b32_e32 v20, 0x440, v19
	v_cndmask_b32_e64 v17, 0, 1, vcc
	v_cmp_eq_u32_e32 vcc, 0, v12
	v_and_b32_e32 v2, 7, v0
	v_lshlrev_b32_e32 v13, 3, v2
	v_cndmask_b32_e32 v12, v20, v19, vcc
	v_lshlrev_b32_e32 v2, 7, v2
	v_or_b32_e32 v12, v12, v5
	v_xad_u32 v74, v12, v13, v2
	v_or_b32_e32 v12, 32, v11
	v_xor_b32_e32 v12, v18, v12
	v_or_b32_e32 v19, 0x440, v12
	v_cndmask_b32_e32 v12, v19, v12, vcc
	v_or_b32_e32 v12, v12, v5
	v_xad_u32 v75, v12, v13, v2
	v_or_b32_e32 v12, 64, v11
	v_xor_b32_e32 v12, v18, v12
	v_xor_b32_e32 v19, 0x440, v12
	v_cndmask_b32_e32 v12, v19, v12, vcc
	v_or_b32_e32 v11, 0x60, v11
	v_or_b32_e32 v12, v12, v5
	v_xor_b32_e32 v11, v18, v11
	v_or_b32_e32 v8, v8, v6
	v_or_b32_e32 v6, s2, v52
	v_xad_u32 v76, v12, v13, v2
	v_xor_b32_e32 v12, 0x440, v11
	v_xor_b32_e32 v66, v8, v9
	v_and_b32_e32 v8, 0x78, v53
	v_ashrrev_i32_e32 v7, 31, v6
	v_cndmask_b32_e32 v11, v12, v11, vcc
	v_lshl_or_b32 v8, v51, 7, v8
	v_lshlrev_b64 v[6:7], 1, v[6:7]
	v_or_b32_e32 v5, v11, v5
	v_or_b32_e32 v67, 0x9000, v8
	;; [unrolled: 1-line block ×3, first 2 shown]
	v_lshl_add_u64 v[8:9], s[8:9], 0, v[6:7]
	v_lshl_add_u64 v[6:7], s[14:15], 0, v[6:7]
	v_or_b32_e32 v16, 0x100, v4
	v_lshlrev_b32_e32 v17, 13, v17
	v_xad_u32 v77, v5, v13, v2
	v_lshlrev_b32_e32 v2, 8, v1
	v_cndmask_b32_e64 v78, v14, v4, s[0:1]
	v_cndmask_b32_e64 v79, v15, v16, s[0:1]
	v_lshl_add_u64 v[44:45], v[8:9], 0, v[2:3]
	v_lshl_add_u64 v[46:47], v[6:7], 0, v[2:3]
	s_mov_b32 s3, 0x7060302
	s_movk_i32 s26, 0x4000
	v_add_u32_e32 v81, v17, v74
	v_add_u32_e32 v82, v17, v75
	;; [unrolled: 1-line block ×4, first 2 shown]
	v_mov_b32_e32 v2, v3
	v_mov_b32_e32 v4, v3
	;; [unrolled: 1-line block ×7, first 2 shown]
	s_barrier
.LBB701_6:                              ; =>This Inner Loop Header: Depth=1
	s_add_i32 s39, s64, 1
	s_cmp_lt_i32 s39, s50
	s_mov_b64 s[28:29], 0
	s_cselect_b64 s[44:45], -1, 0
	s_cmp_ge_i32 s39, s50
	s_mov_b64 s[24:25], 0
	s_cbranch_scc1 .LBB701_8
; %bb.7:                                ;   in Loop: Header=BB701_6 Depth=1
	s_add_i32 s0, s59, 64
	s_add_u32 s0, s40, s0
	s_addc_u32 s1, s41, 0
	s_lshl_b64 s[0:1], s[0:1], 8
	s_add_u32 s24, s6, s0
	s_addc_u32 s25, s7, s1
.LBB701_8:                              ;   in Loop: Header=BB701_6 Depth=1
	v_cndmask_b32_e64 v5, 0, 1, s[44:45]
	v_cmp_ne_u32_e64 s[0:1], 1, v5
	s_andn2_b64 vcc, exec, s[44:45]
	s_cbranch_vccnz .LBB701_10
; %bb.9:                                ;   in Loop: Header=BB701_6 Depth=1
	s_add_i32 s28, s59, 64
	s_add_u32 s28, s62, s28
	s_addc_u32 s29, s63, 0
	s_mul_i32 s31, s28, s51
	s_mul_hi_u32 s44, s28, s55
	s_add_i32 s31, s44, s31
	s_mul_i32 s29, s29, s55
	s_add_i32 s31, s31, s29
	s_mul_i32 s28, s28, s55
	s_add_u32 s28, s28, s54
	s_addc_u32 s29, s31, s57
	s_lshl_b64 s[28:29], s[28:29], 8
	s_add_u32 s28, s4, s28
	s_addc_u32 s29, s5, s29
.LBB701_10:                             ;   in Loop: Header=BB701_6 Depth=1
	v_perm_b32 v11, v86, v4, s3
	v_perm_b32 v10, v3, v2, s3
	;; [unrolled: 1-line block ×4, first 2 shown]
	ds_write_b64 v62, v[10:11]
	ds_write_b64 v63, v[12:13]
	;; [unrolled: 1-line block ×4, first 2 shown]
	s_waitcnt lgkmcnt(0)
	s_barrier
	ds_read_b64 v[18:19], v66 offset:16384
	ds_read_b64 v[20:21], v68 offset:16384
	ds_read2st64_b64 v[10:13], v67 offset1:1
	ds_read2st64_b64 v[14:17], v67 offset0:2 offset1:3
	ds_read_b64 v[22:23], v69 offset:16384
	s_waitcnt lgkmcnt(2)
	v_mfma_f32_16x16x16_bf16 a[0:3], v[18:19], v[10:11], 0
	ds_read_b64 v[10:11], v70 offset:16384
	s_add_i32 s31, s59, 63
	s_mul_i32 s44, s31, s37
	v_mfma_f32_16x16x16_bf16 a[0:3], v[20:21], v[12:13], a[0:3]
	s_mul_hi_u32 s45, s31, s36
	s_add_i32 s45, s45, s44
	s_mul_i32 s44, s31, s36
	s_waitcnt lgkmcnt(1)
	v_mfma_f32_16x16x16_bf16 a[0:3], v[22:23], v[14:15], a[0:3]
	s_lshl_b64 s[44:45], s[44:45], 2
	s_add_u32 s44, s42, s44
	s_addc_u32 s45, s43, s45
	s_waitcnt lgkmcnt(0)
	v_mfma_f32_16x16x16_bf16 a[0:3], v[10:11], v[16:17], a[0:3]
	s_and_b64 vcc, exec, s[0:1]
	v_mov_b32_e32 v87, 0
	v_mov_b32_e32 v9, 0
	;; [unrolled: 1-line block ×19, first 2 shown]
	s_cbranch_vccnz .LBB701_12
; %bb.11:                               ;   in Loop: Header=BB701_6 Depth=1
	s_and_b32 s25, s25, 0xffff
	buffer_load_dwordx4 v[22:25], v58, s[24:27], 0 offen
	buffer_load_dwordx4 v[18:21], v58, s[24:27], s58 offen
	;; [unrolled: 1-line block ×4, first 2 shown]
	v_mov_b32_e32 v9, v60
	v_mov_b32_e32 v5, v61
.LBB701_12:                             ;   in Loop: Header=BB701_6 Depth=1
	s_waitcnt vmcnt(3)
	v_add_u32_e32 v32, s59, v80
	s_waitcnt vmcnt(1)
	v_ashrrev_i32_e32 v26, 31, v32
	v_mul_lo_u32 v28, v26, s36
	v_mul_lo_u32 v29, v32, s37
	v_mad_u64_u32 v[26:27], s[24:25], v32, s36, 0
	v_add3_u32 v27, v27, v29, v28
	v_add_u32_e32 v28, 1, v32
	v_ashrrev_i32_e32 v29, 31, v28
	v_mul_lo_u32 v30, v29, s36
	v_mul_lo_u32 v31, v28, s37
	v_mad_u64_u32 v[28:29], s[24:25], v28, s36, 0
	v_add3_u32 v29, v29, v31, v30
	v_add_u32_e32 v30, 2, v32
	v_ashrrev_i32_e32 v31, 31, v30
	v_mul_lo_u32 v33, v31, s36
	v_mul_lo_u32 v34, v30, s37
	v_mad_u64_u32 v[30:31], s[24:25], v30, s36, 0
	s_add_u32 s24, s40, s59
	v_add3_u32 v31, v31, v34, v33
	v_add_u32_e32 v34, 3, v32
	s_addc_u32 s25, s41, 0
	v_ashrrev_i32_e32 v32, 31, v34
	s_lshl_b64 s[66:67], s[24:25], 8
	v_lshl_add_u64 v[26:27], v[26:27], 2, s[42:43]
	v_mul_lo_u32 v35, v32, s36
	v_lshl_add_u64 v[32:33], v[44:45], 0, s[66:67]
	v_mul_lo_u32 v36, v34, s37
	global_load_ushort v89, v[32:33], off
	global_load_ushort v94, v[32:33], off offset:256
	global_load_ushort v95, v[32:33], off offset:512
	;; [unrolled: 1-line block ×3, first 2 shown]
	global_load_dword v97, v[26:27], off
	v_mad_u64_u32 v[26:27], s[24:25], v34, s36, 0
	v_lshl_add_u64 v[28:29], v[28:29], 2, s[42:43]
	v_add3_u32 v27, v27, v36, v35
	v_lshl_add_u64 v[30:31], v[30:31], 2, s[42:43]
	v_lshl_add_u64 v[26:27], v[26:27], 2, s[42:43]
	global_load_dword v98, v[28:29], off
	global_load_dword v99, v[30:31], off
	global_load_dword v100, v[26:27], off
	s_load_dword s24, s[44:45], 0x0
	ds_read_b64 v[34:35], v66 offset:24576
	ds_read2st64_b64 v[30:33], v71 offset1:1
	ds_read2st64_b64 v[36:39], v71 offset0:2 offset1:3
	ds_read_b64 v[40:41], v68 offset:24576
	ds_read_b64 v[90:91], v69 offset:24576
	;; [unrolled: 1-line block ×3, first 2 shown]
	s_waitcnt lgkmcnt(0)
	v_mfma_f32_16x16x16_bf16 a[0:3], v[34:35], v[30:31], a[0:3]
	v_mov_b32_e32 v88, 0
	v_mov_b32_e32 v26, 0
	;; [unrolled: 1-line block ×3, first 2 shown]
	v_mfma_f32_16x16x16_bf16 a[0:3], v[40:41], v[32:33], a[0:3]
	v_mov_b32_e32 v28, 0
	v_mov_b32_e32 v29, 0
	;; [unrolled: 1-line block ×3, first 2 shown]
	v_mfma_f32_16x16x16_bf16 a[0:3], v[90:91], v[36:37], a[0:3]
	v_lshl_add_u64 v[36:37], v[46:47], 0, s[66:67]
	v_mov_b32_e32 v31, 0
	v_mov_b32_e32 v32, 0
	v_mfma_f32_16x16x16_bf16 a[0:3], v[92:93], v[38:39], a[0:3]
	v_mov_b32_e32 v33, 0
	v_mov_b32_e32 v34, 0
	;; [unrolled: 1-line block ×3, first 2 shown]
	s_and_b64 vcc, exec, s[0:1]
	s_waitcnt vmcnt(7)
	v_lshlrev_b32_e32 v90, 16, v89
	s_nop 0
	v_accvgpr_read_b32 v41, a1
	v_accvgpr_read_b32 v39, a3
	;; [unrolled: 1-line block ×4, first 2 shown]
	s_waitcnt vmcnt(6)
	v_lshlrev_b32_e32 v91, 16, v94
	s_waitcnt vmcnt(4)
	v_lshlrev_b32_e32 v93, 16, v96
	v_lshlrev_b32_e32 v92, 16, v95
	s_waitcnt vmcnt(3)
	v_sub_f32_e32 v89, s24, v97
	v_pk_add_f32 v[40:41], v[90:91], v[40:41] neg_lo:[0,1] neg_hi:[0,1]
	v_pk_add_f32 v[38:39], v[92:93], v[38:39] neg_lo:[0,1] neg_hi:[0,1]
	v_exp_f32_e32 v90, v89
	s_waitcnt vmcnt(2)
	v_sub_f32_e32 v89, s24, v98
	s_waitcnt vmcnt(1)
	v_sub_f32_e32 v92, s24, v99
	;; [unrolled: 2-line block ×3, first 2 shown]
	v_exp_f32_e32 v91, v89
	v_exp_f32_e32 v92, v92
	v_exp_f32_e32 v93, v93
	global_store_short_d16_hi v[36:37], v40, off
	global_store_short_d16_hi v[36:37], v41, off offset:256
	global_store_short_d16_hi v[36:37], v38, off offset:512
	;; [unrolled: 1-line block ×3, first 2 shown]
	v_pk_mul_f32 v[36:37], v[90:91], v[40:41]
	v_pk_mul_f32 v[38:39], v[92:93], v[38:39]
	v_perm_b32 v36, v37, v36, s3
	v_perm_b32 v37, v39, v38, s3
	ds_write_b64 v63, v[36:37]
	v_mov_b32_e32 v36, 0
	v_mov_b32_e32 v37, 0
	;; [unrolled: 1-line block ×6, first 2 shown]
	s_cbranch_vccnz .LBB701_14
; %bb.13:                               ;   in Loop: Header=BB701_6 Depth=1
	s_and_b32 s29, s29, 0xffff
	s_mov_b32 s31, s27
	buffer_load_dwordx4 v[38:41], v78, s[28:31], 0 offen
	buffer_load_dwordx4 v[30:33], v78, s[28:31], s58 offen
	;; [unrolled: 1-line block ×4, first 2 shown]
	v_mov_b32_e32 v87, v57
	v_mov_b32_e32 v88, v56
.LBB701_14:                             ;   in Loop: Header=BB701_6 Depth=1
	s_waitcnt lgkmcnt(0)
	s_barrier
	ds_read_b64 v[98:99], v81
	ds_read2st64_b64 v[90:93], v71 offset1:1
	ds_read2st64_b64 v[94:97], v71 offset0:2 offset1:3
	ds_read_b64 v[100:101], v82
	ds_read_b64 v[102:103], v83
	;; [unrolled: 1-line block ×3, first 2 shown]
	s_waitcnt lgkmcnt(4)
	v_mfma_f32_16x16x16_bf16 a[0:3], v[98:99], v[90:91], 0
	ds_read_b64 v[98:99], v74 offset:8192
	ds_read_b64 v[106:107], v75 offset:8192
	s_add_i32 s25, s52, s64
	s_mul_hi_i32 s29, s25, s17
	s_waitcnt lgkmcnt(1)
	v_mfma_f32_16x16x16_bf16 a[4:7], v[98:99], v[90:91], 0
	s_mul_i32 s25, s25, s17
	s_add_u32 s28, s25, s33
	s_addc_u32 s29, s29, s56
	v_mfma_f32_16x16x16_bf16 a[0:3], v[100:101], v[92:93], a[0:3]
	ds_read_b64 v[98:99], v72
	ds_read_b64 v[100:101], v73
	ds_read_b64 v[90:91], v76 offset:8192
	s_lshl_b64 s[28:29], s[28:29], 15
	v_mfma_f32_16x16x16_bf16 a[0:3], v[102:103], v[94:95], a[0:3]
	ds_read_b64 v[102:103], v77 offset:8192
	s_and_b64 vcc, exec, s[0:1]
	s_waitcnt lgkmcnt(4)
	v_mfma_f32_16x16x16_bf16 a[4:7], v[106:107], v[92:93], a[4:7]
	s_waitcnt lgkmcnt(1)
	v_mfma_f32_16x16x16_bf16 a[4:7], v[90:91], v[94:95], a[4:7]
	v_lshl_add_u64 v[90:91], v[42:43], 0, s[28:29]
	global_store_dwordx4 v[90:91], v[98:101], off
	v_mfma_f32_16x16x16_bf16 a[0:3], v[104:105], v[96:97], a[0:3]
	s_waitcnt lgkmcnt(0)
	v_mfma_f32_16x16x16_bf16 a[4:7], v[102:103], v[96:97], a[4:7]
	s_cbranch_vccnz .LBB701_16
; %bb.15:                               ;   in Loop: Header=BB701_6 Depth=1
	v_lshrrev_b32_e32 v89, 3, v87
	v_and_b32_e32 v89, 6, v89
	v_xor_b32_e32 v88, v89, v88
	v_lshlrev_b32_e32 v88, 2, v88
	v_and_b32_e32 v87, 8, v87
	v_xor_b32_e32 v90, 0x440, v88
	v_cmp_eq_u32_e32 vcc, 0, v87
	s_barrier
	s_nop 0
	v_cndmask_b32_e32 v87, v90, v88, vcc
	v_lshl_or_b32 v87, v89, 10, v87
	s_waitcnt vmcnt(2)
	v_perm_b32 v88, v38, v34, s60
	s_waitcnt vmcnt(1)
	v_perm_b32 v89, v30, v26, s60
	ds_write2st64_b32 v87, v88, v89 offset1:32
	v_xor_b32_e32 v88, 8, v87
	v_perm_b32 v34, v38, v34, s61
	v_perm_b32 v26, v30, v26, s61
	v_add_u32_e32 v30, 0x80, v88
	ds_write2st64_b32 v30, v34, v26 offset1:32
	v_xor_b32_e32 v26, 16, v87
	v_perm_b32 v30, v39, v35, s60
	v_perm_b32 v34, v31, v27, s60
	ds_write2st64_b32 v26, v30, v34 offset0:1 offset1:33
	v_xor_b32_e32 v26, 24, v87
	v_perm_b32 v30, v39, v35, s61
	v_perm_b32 v27, v31, v27, s61
	v_add_u32_e32 v26, 0x80, v26
	ds_write2st64_b32 v26, v30, v27 offset0:1 offset1:33
	v_xor_b32_e32 v26, 32, v87
	v_perm_b32 v27, v40, v36, s60
	v_perm_b32 v30, v32, v28, s60
	ds_write2st64_b32 v26, v27, v30 offset0:2 offset1:34
	v_xor_b32_e32 v26, 40, v87
	v_perm_b32 v27, v40, v36, s61
	v_perm_b32 v28, v32, v28, s61
	v_add_u32_e32 v26, 0x80, v26
	ds_write2st64_b32 v26, v27, v28 offset0:2 offset1:34
	;; [unrolled: 9-line block ×3, first 2 shown]
	ds_write_b64 v9, v[22:23] offset:16384
	v_xor_b32_e32 v22, 8, v9
	ds_write_b64 v22, v[24:25] offset:16384
	ds_write_b64 v9, v[18:19] offset:24576
	;; [unrolled: 1-line block ×4, first 2 shown]
	v_xor_b32_e32 v9, 8, v5
	ds_write_b64 v9, v[16:17] offset:16384
	ds_write_b64 v5, v[10:11] offset:24576
	;; [unrolled: 1-line block ×3, first 2 shown]
.LBB701_16:                             ;   in Loop: Header=BB701_6 Depth=1
	v_exp_f32_e32 v10, s24
	s_nop 2
	v_accvgpr_read_b32 v9, a1
	v_accvgpr_read_b32 v5, a0
	s_add_i32 s59, s59, 64
	v_fma_f32 v3, v3, v10, v9
	v_accvgpr_read_b32 v9, a4
	v_fma_f32 v6, v6, v10, v9
	v_accvgpr_read_b32 v9, a5
	;; [unrolled: 2-line block ×6, first 2 shown]
	v_fmac_f32_e32 v5, v86, v10
	s_cmp_eq_u32 s50, s39
	v_fmac_f32_e32 v9, v85, v10
	s_cbranch_scc1 .LBB701_18
; %bb.17:                               ;   in Loop: Header=BB701_6 Depth=1
	s_mov_b32 s64, s39
	v_mov_b32_e32 v86, v5
	v_mov_b32_e32 v85, v9
	s_branch .LBB701_6
.LBB701_18:
	s_lshl_b32 s44, s50, 6
	s_sub_i32 s45, s16, s44
	s_cmp_gt_i32 s45, 0
	s_waitcnt vmcnt(2)
	v_or_b32_e32 v34, s2, v52
	s_cbranch_scc1 .LBB701_20
; %bb.19:
	s_ashr_i32 s0, s33, 31
	s_add_u32 s28, s47, s33
	s_addc_u32 s29, s53, s0
	v_or_b32_e32 v10, s2, v52
	s_cbranch_execz .LBB701_21
	s_branch .LBB701_77
.LBB701_20:
                                        ; implicit-def: $sgpr28_sgpr29
                                        ; implicit-def: $vgpr10
.LBB701_21:
	s_ashr_i32 s39, s49, 31
	s_ashr_i32 s3, s44, 31
	s_cmpk_lg_i32 s19, 0x80
	s_cselect_b64 s[40:41], -1, 0
	s_and_b64 vcc, exec, s[40:41]
	s_cbranch_vccz .LBB701_23
; %bb.22:
	s_mul_i32 s1, s49, s16
	s_mul_hi_i32 s0, s49, s16
	s_add_u32 s1, s1, s44
	s_addc_u32 s0, s0, s3
	s_mul_i32 s24, s1, s51
	s_mul_hi_u32 s25, s1, s18
	s_add_i32 s24, s25, s24
	s_mul_i32 s0, s0, s18
	s_add_i32 s24, s24, s0
	s_mul_i32 s1, s1, s18
	s_ashr_i32 s0, s54, 31
	s_add_u32 s42, s1, s54
	s_addc_u32 s43, s24, s0
	s_cbranch_execz .LBB701_24
	s_branch .LBB701_25
.LBB701_23:
                                        ; implicit-def: $sgpr42_sgpr43
.LBB701_24:
	s_mul_hi_i32 s0, s49, s18
	s_mul_i32 s49, s49, s18
	s_ashr_i32 s1, s54, 31
	s_add_u32 s18, s49, s54
	s_addc_u32 s0, s0, s1
	s_mul_i32 s1, s18, s48
	s_mul_hi_u32 s24, s18, s16
	s_add_i32 s1, s24, s1
	s_mul_i32 s0, s0, s16
	s_add_i32 s1, s1, s0
	s_mul_i32 s18, s18, s16
	s_add_u32 s42, s18, s44
	s_addc_u32 s43, s1, s3
.LBB701_25:
	s_add_i32 s24, s52, s50
	s_ashr_i32 s18, s33, 31
	s_add_u32 s28, s47, s33
	s_addc_u32 s29, s53, s18
	s_mul_i32 s0, s28, s48
	s_mul_hi_u32 s1, s28, s16
	s_add_i32 s0, s1, s0
	s_mul_i32 s1, s29, s16
	s_add_i32 s1, s0, s1
	s_mul_i32 s0, s28, s16
	s_add_u32 s0, s0, s44
	s_addc_u32 s1, s1, s3
	s_mov_b32 s3, 0x7060302
	v_lshlrev_b32_e32 v14, 3, v52
	s_lshl_b64 s[30:31], s[0:1], 8
	v_perm_b32 v11, v5, v4, s3
	v_perm_b32 v10, v3, v2, s3
	;; [unrolled: 1-line block ×4, first 2 shown]
	v_lshlrev_b32_e32 v44, 2, v52
	v_lshl_or_b32 v14, v1, 5, v14
	s_add_u32 s0, s6, s30
	ds_write2st64_b64 v14, v[10:11], v[12:13] offset0:72 offset1:76
	v_xor_b32_e32 v14, v1, v44
	v_lshlrev_b32_e32 v15, 8, v52
	s_addc_u32 s1, s7, s31
	v_lshl_or_b32 v14, v14, 1, v15
	s_mul_hi_i32 s3, s24, s17
	s_mul_i32 s24, s24, s17
	ds_write_b64 v14, v[10:11] offset:32768
	v_xor_b32_e32 v10, v55, v44
	s_add_u32 s6, s24, s33
	v_lshl_or_b32 v10, v10, 1, v15
	s_addc_u32 s7, s3, s18
	v_lshlrev_b32_e32 v11, 1, v52
	ds_write_b64 v10, v[12:13] offset:32768
	v_lshrrev_b32_e32 v10, 4, v0
	s_ashr_i32 s3, s2, 31
	s_lshl_b64 s[6:7], s[6:7], 15
	v_or_b32_e32 v12, 1, v11
	s_waitcnt lgkmcnt(0)
	s_add_u32 s6, s12, s6
	v_xor_b32_e32 v11, v10, v11
	v_xor_b32_e32 v12, v12, v10
	v_lshlrev_b32_e32 v14, 8, v10
	s_addc_u32 s7, s13, s7
	s_lshl_b64 s[2:3], s[2:3], 8
	v_lshl_or_b32 v10, v11, 3, v14
	v_lshl_or_b32 v12, v12, 3, v14
	s_barrier
	s_add_u32 s2, s6, s2
	ds_read_b64 v[10:11], v10 offset:32768
	ds_read_b64 v[12:13], v12 offset:32768
	s_addc_u32 s3, s7, s3
	v_mov_b32_e32 v15, 0
	s_cmp_lg_u32 s45, 64
	v_lshl_add_u64 v[16:17], s[2:3], 0, v[14:15]
	v_lshlrev_b32_e32 v14, 4, v52
	s_cselect_b64 s[6:7], -1, 0
	v_lshl_or_b32 v35, v48, 3, v54
	s_mov_b32 s24, 0
	v_lshl_add_u64 v[14:15], v[16:17], 0, v[14:15]
	s_waitcnt vmcnt(1)
	v_or_b32_e32 v27, 32, v35
	v_and_b32_e32 v26, 56, v53
	s_and_b64 vcc, exec, s[6:7]
	s_waitcnt lgkmcnt(0)
	global_store_dwordx4 v[14:15], v[10:13], off
	s_cbranch_vccz .LBB701_31
; %bb.26:
	s_mov_b32 s25, s24
	s_mov_b32 s26, s24
	;; [unrolled: 1-line block ×3, first 2 shown]
	v_mov_b64_e32 v[14:15], s[24:25]
	v_mov_b64_e32 v[16:17], s[26:27]
	;; [unrolled: 1-line block ×3, first 2 shown]
	v_cmp_gt_i32_e32 vcc, s45, v35
	v_mov_b64_e32 v[12:13], v[16:17]
	s_and_saveexec_b64 s[2:3], vcc
	s_cbranch_execz .LBB701_28
; %bb.27:
	v_lshlrev_b32_e32 v10, 8, v35
	v_mov_b32_e32 v11, 0
	v_lshl_add_u64 v[12:13], s[0:1], 0, v[10:11]
	v_lshlrev_b32_e32 v10, 1, v26
	v_lshl_add_u64 v[18:19], v[12:13], 0, v[10:11]
	global_load_dwordx4 v[14:17], v[18:19], off
	global_load_dwordx4 v[10:13], v[18:19], off offset:128
.LBB701_28:
	s_or_b64 exec, exec, s[2:3]
	s_mov_b32 s25, s24
	s_mov_b32 s26, s24
	;; [unrolled: 1-line block ×3, first 2 shown]
	v_mov_b64_e32 v[22:23], s[24:25]
	v_mov_b64_e32 v[24:25], s[26:27]
	;; [unrolled: 1-line block ×3, first 2 shown]
	v_cmp_gt_i32_e32 vcc, s45, v27
	v_lshlrev_b32_e32 v28, 7, v27
	v_mov_b64_e32 v[20:21], v[24:25]
	s_and_saveexec_b64 s[2:3], vcc
	s_cbranch_execz .LBB701_30
; %bb.29:
	v_lshlrev_b32_e32 v18, 1, v28
	v_mov_b32_e32 v19, 0
	v_lshl_add_u64 v[20:21], s[0:1], 0, v[18:19]
	v_lshlrev_b32_e32 v18, 1, v26
	v_lshl_add_u64 v[30:31], v[20:21], 0, v[18:19]
	global_load_dwordx4 v[22:25], v[30:31], off
	global_load_dwordx4 v[18:21], v[30:31], off offset:128
.LBB701_30:
	s_or_b64 exec, exec, s[2:3]
	v_lshrrev_b32_e32 v29, 3, v26
	v_lshlrev_b32_e32 v30, 3, v35
	v_or_b32_e32 v29, v30, v29
	v_lshlrev_b32_e32 v29, 4, v29
	v_and_b32_e32 v30, 0x78, v30
	v_xor_b32_e32 v29, v29, v30
	s_branch .LBB701_33
.LBB701_31:
                                        ; implicit-def: $vgpr29
                                        ; implicit-def: $vgpr28
                                        ; implicit-def: $vgpr14_vgpr15_vgpr16_vgpr17
                                        ; implicit-def: $vgpr10_vgpr11_vgpr12_vgpr13
                                        ; implicit-def: $vgpr22_vgpr23_vgpr24_vgpr25
                                        ; implicit-def: $vgpr18_vgpr19_vgpr20_vgpr21
	s_cbranch_execz .LBB701_33
; %bb.32:
	s_waitcnt vmcnt(0)
	v_lshlrev_b32_e32 v10, 1, v26
	v_lshl_or_b32 v28, v35, 8, v10
	s_and_b32 s1, s1, 0xffff
	s_mov_b32 s3, 0x20000
	s_movk_i32 s2, 0x4000
	v_lshl_or_b32 v29, v27, 8, v10
	s_movk_i32 s12, 0x80
	buffer_load_dwordx4 v[14:17], v28, s[0:3], 0 offen
	buffer_load_dwordx4 v[10:13], v28, s[0:3], s12 offen
	;; [unrolled: 1-line block ×4, first 2 shown]
	v_lshrrev_b32_e32 v28, 3, v26
	v_lshlrev_b32_e32 v29, 3, v35
	v_or_b32_e32 v28, v29, v28
	v_lshlrev_b32_e32 v28, 4, v28
	v_and_b32_e32 v29, 0x78, v29
	v_xor_b32_e32 v29, v28, v29
	v_lshlrev_b32_e32 v28, 7, v27
.LBB701_33:
	s_lshl_b64 s[0:1], s[42:43], 8
	s_add_u32 s4, s4, s0
	s_movk_i32 s0, 0x1000
	v_and_or_b32 v27, v28, s0, v29
	s_waitcnt vmcnt(1)
	ds_write_b64 v29, v[14:15] offset:16384
	v_xor_b32_e32 v14, 8, v29
	ds_write_b64 v14, v[16:17] offset:16384
	s_waitcnt vmcnt(0)
	ds_write_b64 v29, v[10:11] offset:24576
	ds_write_b64 v14, v[12:13] offset:24576
	;; [unrolled: 1-line block ×3, first 2 shown]
	v_xor_b32_e32 v10, 8, v27
	ds_write_b64 v10, v[24:25] offset:16384
	ds_write_b64 v27, v[18:19] offset:24576
	;; [unrolled: 1-line block ×3, first 2 shown]
	v_or_b32_e32 v10, v49, v52
	s_addc_u32 s5, s5, s1
	s_add_i32 s2, s16, -1
	v_lshlrev_b32_e32 v10, 3, v10
	v_lshrrev_b32_e32 v12, 5, v50
	s_movk_i32 s16, 0xf8
	v_and_or_b32 v12, v10, s16, v12
	v_lshlrev_b32_e32 v45, 11, v48
	v_lshlrev_b32_e32 v20, 4, v12
	v_and_b32_e32 v21, 0x78, v10
	v_and_b32_e32 v22, 0x1000, v45
	v_lshlrev_b32_e32 v11, 2, v0
	v_xor_b32_e32 v10, v20, v21
	v_lshrrev_b32_e32 v12, 1, v50
	v_and_b32_e32 v11, 60, v11
	v_or_b32_e32 v10, v10, v22
	v_and_b32_e32 v23, 8, v12
	v_xor_b32_e32 v36, v10, v23
	v_lshl_or_b32 v10, v51, 6, v11
	v_lshlrev_b32_e32 v46, 1, v10
	v_or_b32_e32 v10, 32, v20
	v_xor_b32_e32 v10, v10, v21
	s_waitcnt lgkmcnt(0)
	s_barrier
	ds_read_b64 v[18:19], v36 offset:16384
	v_or_b32_e32 v10, v10, v22
	v_xor_b32_e32 v37, v10, v23
	v_or_b32_e32 v10, 64, v20
	v_xor_b32_e32 v10, v10, v21
	v_or_b32_e32 v10, v10, v22
	v_or_b32_e32 v20, 0x60, v20
	v_xor_b32_e32 v38, v10, v23
	ds_read2st64_b64 v[10:13], v46 offset0:72 offset1:73
	ds_read2st64_b64 v[14:17], v46 offset0:74 offset1:75
	v_xor_b32_e32 v24, v20, v21
	ds_read_b64 v[20:21], v37 offset:16384
	s_waitcnt lgkmcnt(2)
	v_mfma_f32_16x16x16_bf16 a[0:3], v[18:19], v[10:11], 0
	s_add_i32 s0, s46, s21
	s_mul_i32 s39, s39, s20
	s_add_i32 s39, s0, s39
	s_mul_i32 s0, s33, s23
	s_mul_hi_u32 s1, s33, s22
	s_ashr_i32 s3, s2, 31
	s_mul_i32 s12, s2, s37
	s_mul_hi_u32 s13, s2, s36
	s_add_i32 s0, s1, s0
	s_mul_i32 s1, s18, s22
	s_add_i32 s12, s13, s12
	s_mul_i32 s3, s3, s36
	v_or_b32_e32 v22, v24, v22
	s_add_i32 s1, s0, s1
	s_add_i32 s3, s12, s3
	s_lshl_b64 s[12:13], s[38:39], 2
	v_xor_b32_e32 v47, v22, v23
	ds_read_b64 v[22:23], v38 offset:16384
	ds_read_b64 v[24:25], v47 offset:16384
	s_waitcnt lgkmcnt(2)
	v_mfma_f32_16x16x16_bf16 a[0:3], v[20:21], v[12:13], a[0:3]
	s_mul_i32 s0, s33, s22
	s_add_u32 s10, s10, s12
	s_addc_u32 s11, s11, s13
	s_lshl_b64 s[0:1], s[0:1], 2
	s_mul_i32 s2, s2, s36
	s_add_u32 s10, s10, s0
	s_addc_u32 s11, s11, s1
	s_lshl_b64 s[0:1], s[2:3], 2
	s_waitcnt lgkmcnt(1)
	v_mfma_f32_16x16x16_bf16 a[0:3], v[22:23], v[14:15], a[0:3]
	s_add_u32 s0, s10, s0
	s_addc_u32 s1, s11, s1
	s_load_dword s12, s[0:1], 0x0
	s_waitcnt lgkmcnt(0)
	v_mfma_f32_16x16x16_bf16 a[0:3], v[24:25], v[16:17], a[0:3]
	s_and_b64 vcc, exec, s[40:41]
	s_cbranch_vccz .LBB701_44
; %bb.34:
	v_lshlrev_b32_e32 v27, 1, v35
	s_and_b64 vcc, exec, s[6:7]
	s_cbranch_vccz .LBB701_45
; %bb.35:
	v_cmp_gt_i32_e32 vcc, s45, v27
	v_mov_b32_e32 v14, 0
	v_mov_b32_e32 v10, 0
	;; [unrolled: 1-line block ×5, first 2 shown]
	s_and_saveexec_b64 s[0:1], vcc
	s_cbranch_execz .LBB701_37
; %bb.36:
	v_mad_i64_i32 v[10:11], s[2:3], s19, v27, 0
	v_lshl_add_u64 v[10:11], v[10:11], 1, s[4:5]
	v_lshlrev_b32_e32 v12, 1, v26
	v_mov_b32_e32 v13, 0
	v_lshl_add_u64 v[10:11], v[10:11], 0, v[12:13]
	global_load_dwordx4 v[10:13], v[10:11], off
.LBB701_37:
	s_or_b64 exec, exec, s[0:1]
	v_or_b32_e32 v28, 1, v27
	v_cmp_gt_i32_e64 s[0:1], s45, v28
	v_mov_b32_e32 v15, 0
	v_mov_b32_e32 v16, 0
	;; [unrolled: 1-line block ×3, first 2 shown]
	s_and_saveexec_b64 s[2:3], s[0:1]
	s_cbranch_execz .LBB701_39
; %bb.38:
	v_mad_i64_i32 v[14:15], s[16:17], s19, v28, 0
	v_lshl_add_u64 v[14:15], v[14:15], 1, s[4:5]
	v_lshlrev_b32_e32 v16, 1, v26
	v_mov_b32_e32 v17, 0
	v_lshl_add_u64 v[14:15], v[14:15], 0, v[16:17]
	global_load_dwordx4 v[14:17], v[14:15], off
.LBB701_39:
	s_or_b64 exec, exec, s[2:3]
	v_mov_b32_e32 v25, 0
	v_mov_b32_e32 v18, 0
	;; [unrolled: 1-line block ×5, first 2 shown]
	s_and_saveexec_b64 s[2:3], vcc
	s_cbranch_execz .LBB701_41
; %bb.40:
	v_mad_i64_i32 v[18:19], s[16:17], s19, v27, 0
	v_lshl_add_u64 v[18:19], v[18:19], 1, s[4:5]
	v_lshlrev_b32_e32 v20, 1, v26
	v_mov_b32_e32 v21, 0
	v_lshl_add_u64 v[18:19], v[18:19], 0, v[20:21]
	global_load_dwordx4 v[18:21], v[18:19], off offset:128
.LBB701_41:
	s_or_b64 exec, exec, s[2:3]
	v_mov_b32_e32 v24, 0
	v_mov_b32_e32 v23, 0
	;; [unrolled: 1-line block ×3, first 2 shown]
	s_and_saveexec_b64 s[2:3], s[0:1]
	s_cbranch_execz .LBB701_43
; %bb.42:
	v_mad_i64_i32 v[22:23], s[0:1], s19, v28, 0
	v_lshl_add_u64 v[22:23], v[22:23], 1, s[4:5]
	v_lshlrev_b32_e32 v24, 1, v26
	v_mov_b32_e32 v25, 0
	v_lshl_add_u64 v[22:23], v[22:23], 0, v[24:25]
	global_load_dwordx4 v[22:25], v[22:23], off offset:128
.LBB701_43:
	s_or_b64 exec, exec, s[2:3]
	s_branch .LBB701_47
.LBB701_44:
                                        ; implicit-def: $vgpr13
                                        ; implicit-def: $vgpr17
                                        ; implicit-def: $vgpr21
                                        ; implicit-def: $vgpr25
	v_lshrrev_b32_e32 v50, 2, v50
	s_branch .LBB701_48
.LBB701_45:
                                        ; implicit-def: $vgpr13
                                        ; implicit-def: $vgpr17
                                        ; implicit-def: $vgpr21
                                        ; implicit-def: $vgpr25
	s_cbranch_execz .LBB701_47
; %bb.46:
	s_waitcnt vmcnt(0)
	v_mad_u64_u32 v[10:11], s[0:1], v27, s19, v[26:27]
	v_lshlrev_b32_e32 v27, 1, v10
	s_lshl_b32 s2, s19, 7
	s_and_b32 s1, s5, 0xffff
	s_mov_b32 s3, 0x20000
	s_mov_b32 s0, s4
	v_add_lshl_u32 v28, v10, s19, 1
	s_movk_i32 s13, 0x80
	buffer_load_dwordx4 v[10:13], v27, s[0:3], 0 offen
	buffer_load_dwordx4 v[18:21], v27, s[0:3], s13 offen
	;; [unrolled: 1-line block ×4, first 2 shown]
.LBB701_47:
	v_lshrrev_b32_e32 v50, 2, v50
	s_cbranch_execnz .LBB701_60
.LBB701_48:
	s_and_b64 vcc, exec, s[6:7]
	s_cbranch_vccz .LBB701_58
; %bb.49:
	s_waitcnt vmcnt(0)
	v_lshlrev_b32_e32 v15, 1, v35
	v_cmp_gt_i32_e32 vcc, s45, v15
	v_mov_b32_e32 v14, 0
	v_lshlrev_b32_e32 v22, 9, v35
	v_mov_b32_e32 v10, 0
	v_mov_b32_e32 v11, 0
	;; [unrolled: 1-line block ×4, first 2 shown]
	s_and_saveexec_b64 s[0:1], vcc
	s_cbranch_execz .LBB701_51
; %bb.50:
	v_mov_b32_e32 v23, 0
	v_lshl_add_u64 v[10:11], s[4:5], 0, v[22:23]
	v_lshlrev_b32_e32 v12, 1, v26
	v_mov_b32_e32 v13, v23
	v_lshl_add_u64 v[10:11], v[10:11], 0, v[12:13]
	global_load_dwordx4 v[10:13], v[10:11], off
.LBB701_51:
	s_or_b64 exec, exec, s[0:1]
	v_or_b32_e32 v15, 1, v15
	v_cmp_gt_i32_e64 s[0:1], s45, v15
	v_lshlrev_b32_e32 v28, 8, v15
	v_mov_b32_e32 v15, 0
	v_mov_b32_e32 v16, 0
	;; [unrolled: 1-line block ×3, first 2 shown]
	s_and_saveexec_b64 s[2:3], s[0:1]
	s_cbranch_execz .LBB701_53
; %bb.52:
	v_mov_b32_e32 v29, 0
	v_lshl_add_u64 v[14:15], s[4:5], 0, v[28:29]
	v_lshlrev_b32_e32 v16, 1, v26
	v_mov_b32_e32 v17, v29
	v_lshl_add_u64 v[14:15], v[14:15], 0, v[16:17]
	global_load_dwordx4 v[14:17], v[14:15], off
.LBB701_53:
	s_or_b64 exec, exec, s[2:3]
	v_mov_b32_e32 v25, 0
	v_mov_b32_e32 v18, 0
	;; [unrolled: 1-line block ×5, first 2 shown]
	s_and_saveexec_b64 s[2:3], vcc
	s_cbranch_execz .LBB701_55
; %bb.54:
	v_mov_b32_e32 v23, 0
	v_lshl_add_u64 v[18:19], s[4:5], 0, v[22:23]
	v_lshlrev_b32_e32 v22, 1, v26
	v_lshl_add_u64 v[18:19], v[18:19], 0, v[22:23]
	global_load_dwordx4 v[18:21], v[18:19], off offset:128
.LBB701_55:
	s_or_b64 exec, exec, s[2:3]
	v_mov_b32_e32 v24, 0
	v_mov_b32_e32 v23, 0
	;; [unrolled: 1-line block ×3, first 2 shown]
	s_and_saveexec_b64 s[2:3], s[0:1]
	s_cbranch_execz .LBB701_57
; %bb.56:
	v_mov_b32_e32 v29, 0
	v_lshl_add_u64 v[22:23], s[4:5], 0, v[28:29]
	v_lshlrev_b32_e32 v28, 1, v26
	v_lshl_add_u64 v[22:23], v[22:23], 0, v[28:29]
	global_load_dwordx4 v[22:25], v[22:23], off offset:128
.LBB701_57:
	s_or_b64 exec, exec, s[2:3]
	s_branch .LBB701_60
.LBB701_58:
                                        ; implicit-def: $vgpr13
                                        ; implicit-def: $vgpr17
                                        ; implicit-def: $vgpr21
                                        ; implicit-def: $vgpr25
	s_cbranch_execz .LBB701_60
; %bb.59:
	s_waitcnt vmcnt(0)
	v_lshlrev_b32_e32 v10, 1, v26
	v_lshl_or_b32 v26, v35, 9, v10
	s_and_b32 s5, s5, 0xffff
	s_mov_b32 s7, 0x20000
	s_movk_i32 s6, 0x4000
	s_movk_i32 s0, 0x80
	buffer_load_dwordx4 v[10:13], v26, s[4:7], 0 offen
	buffer_load_dwordx4 v[14:17], v26, s[4:7], 0 offen offset:256
	buffer_load_dwordx4 v[18:21], v26, s[4:7], s0 offen
	buffer_load_dwordx4 v[22:25], v26, s[4:7], s0 offen offset:256
.LBB701_60:
	ds_read2st64_b64 v[30:33], v46 offset0:76 offset1:77
	ds_read2st64_b64 v[26:29], v46 offset0:78 offset1:79
	ds_read_b64 v[42:43], v36 offset:24576
	ds_read_b64 v[40:41], v37 offset:24576
	;; [unrolled: 1-line block ×4, first 2 shown]
	v_and_b32_e32 v47, 6, v0
	v_xor_b32_e32 v35, v35, v47
	v_lshlrev_b32_e32 v35, 2, v35
	v_and_b32_e32 v51, 1, v0
	v_xor_b32_e32 v52, 0x440, v35
	v_cmp_eq_u32_e32 vcc, 0, v51
	s_mov_b32 s0, 0x1000504
	s_waitcnt vmcnt(0)
	v_perm_b32 v51, v18, v22, s0
	v_cndmask_b32_e32 v35, v52, v35, vcc
	v_lshl_or_b32 v35, v47, 10, v35
	v_perm_b32 v47, v10, v14, s0
	ds_write2st64_b32 v35, v47, v51 offset1:32
	v_xor_b32_e32 v47, 8, v35
	s_mov_b32 s1, 0x3020706
	v_perm_b32 v10, v10, v14, s1
	v_perm_b32 v14, v18, v22, s1
	v_add_u32_e32 v18, 0x80, v47
	ds_write2st64_b32 v18, v10, v14 offset1:32
	v_xor_b32_e32 v10, 16, v35
	v_perm_b32 v14, v11, v15, s0
	v_perm_b32 v18, v19, v23, s0
	ds_write2st64_b32 v10, v14, v18 offset0:1 offset1:33
	v_xor_b32_e32 v10, 24, v35
	v_perm_b32 v11, v11, v15, s1
	v_perm_b32 v14, v19, v23, s1
	v_add_u32_e32 v10, 0x80, v10
	ds_write2st64_b32 v10, v11, v14 offset0:1 offset1:33
	v_xor_b32_e32 v10, 32, v35
	v_perm_b32 v11, v12, v16, s0
	v_perm_b32 v14, v20, v24, s0
	ds_write2st64_b32 v10, v11, v14 offset0:2 offset1:34
	v_xor_b32_e32 v10, 40, v35
	v_perm_b32 v11, v12, v16, s1
	v_perm_b32 v12, v20, v24, s1
	v_add_u32_e32 v10, 0x80, v10
	ds_write2st64_b32 v10, v11, v12 offset0:2 offset1:34
	v_xor_b32_e32 v10, 48, v35
	v_perm_b32 v11, v13, v17, s0
	v_perm_b32 v12, v21, v25, s0
	ds_write2st64_b32 v10, v11, v12 offset0:3 offset1:35
	v_xor_b32_e32 v10, 56, v35
	v_and_or_b32 v18, v50, 12, v49
	v_perm_b32 v11, v13, v17, s1
	v_perm_b32 v12, v21, v25, s1
	v_add_u32_e32 v10, 0x80, v10
	v_cmp_gt_i32_e64 s[2:3], s45, v18
	v_mov_b32_e32 v20, 0
	v_mov_b32_e32 v25, 0
	ds_write2st64_b32 v10, v11, v12 offset0:3 offset1:35
	s_and_saveexec_b64 s[0:1], s[2:3]
	s_cbranch_execz .LBB701_62
; %bb.61:
	v_add_u32_e32 v10, s44, v18
	v_ashrrev_i32_e32 v11, 31, v10
	v_mul_lo_u32 v12, v11, s36
	v_mul_lo_u32 v13, v10, s37
	v_mad_u64_u32 v[10:11], s[4:5], v10, s36, 0
	v_add3_u32 v11, v11, v13, v12
	v_lshl_add_u64 v[10:11], v[10:11], 2, s[10:11]
	global_load_dword v10, v[10:11], off
	s_waitcnt vmcnt(0)
	v_sub_f32_e32 v10, s12, v10
	v_exp_f32_e32 v25, v10
.LBB701_62:
	s_or_b64 exec, exec, s[0:1]
	v_or_b32_e32 v23, 1, v18
	v_cmp_gt_i32_e64 s[4:5], s45, v23
	s_and_saveexec_b64 s[0:1], s[4:5]
	s_cbranch_execz .LBB701_64
; %bb.63:
	v_add_u32_e32 v10, s44, v23
	v_ashrrev_i32_e32 v11, 31, v10
	v_mul_lo_u32 v12, v11, s36
	v_mul_lo_u32 v13, v10, s37
	v_mad_u64_u32 v[10:11], s[6:7], v10, s36, 0
	v_add3_u32 v11, v11, v13, v12
	v_lshl_add_u64 v[10:11], v[10:11], 2, s[10:11]
	global_load_dword v10, v[10:11], off
	s_waitcnt vmcnt(0)
	v_sub_f32_e32 v10, s12, v10
	v_exp_f32_e32 v20, v10
.LBB701_64:
	s_or_b64 exec, exec, s[0:1]
	v_or_b32_e32 v22, 2, v18
	v_cmp_gt_i32_e64 s[0:1], s45, v22
	v_mov_b32_e32 v19, 0
	v_mov_b32_e32 v24, 0
	s_and_saveexec_b64 s[6:7], s[0:1]
	s_cbranch_execz .LBB701_66
; %bb.65:
	v_add_u32_e32 v10, s44, v22
	v_ashrrev_i32_e32 v11, 31, v10
	v_mul_lo_u32 v12, v11, s36
	v_mul_lo_u32 v13, v10, s37
	v_mad_u64_u32 v[10:11], s[16:17], v10, s36, 0
	v_add3_u32 v11, v11, v13, v12
	v_lshl_add_u64 v[10:11], v[10:11], 2, s[10:11]
	global_load_dword v10, v[10:11], off
	s_waitcnt vmcnt(0)
	v_sub_f32_e32 v10, s12, v10
	v_exp_f32_e32 v24, v10
.LBB701_66:
	s_or_b64 exec, exec, s[6:7]
	v_or_b32_e32 v21, 3, v18
	v_cmp_gt_i32_e32 vcc, s45, v21
	s_and_saveexec_b64 s[6:7], vcc
	s_cbranch_execz .LBB701_68
; %bb.67:
	v_add_u32_e32 v10, s44, v21
	v_ashrrev_i32_e32 v11, 31, v10
	v_mul_lo_u32 v12, v11, s36
	v_mul_lo_u32 v13, v10, s37
	v_mad_u64_u32 v[10:11], s[16:17], v10, s36, 0
	v_add3_u32 v11, v11, v13, v12
	v_lshl_add_u64 v[10:11], v[10:11], 2, s[10:11]
	global_load_dword v10, v[10:11], off
	s_waitcnt vmcnt(0)
	v_sub_f32_e32 v10, s12, v10
	v_exp_f32_e32 v19, v10
.LBB701_68:
	s_or_b64 exec, exec, s[6:7]
	s_waitcnt lgkmcnt(11)
	v_mfma_f32_16x16x16_bf16 a[0:3], v[42:43], v[30:31], a[0:3]
	s_add_u32 s6, s8, s30
	v_ashrrev_i32_e32 v35, 31, v34
	s_addc_u32 s7, s9, s31
	s_waitcnt lgkmcnt(10)
	v_mfma_f32_16x16x16_bf16 a[0:3], v[40:41], v[32:33], a[0:3]
	v_lshlrev_b64 v[10:11], 1, v[34:35]
	v_lshl_add_u64 v[14:15], s[6:7], 0, v[10:11]
	s_add_u32 s6, s14, s30
	s_waitcnt lgkmcnt(9)
	v_mfma_f32_16x16x16_bf16 a[0:3], v[38:39], v[26:27], a[0:3]
	s_addc_u32 s7, s15, s31
	v_lshl_add_u64 v[16:17], s[6:7], 0, v[10:11]
	v_mov_b32_e32 v26, 0
	s_waitcnt lgkmcnt(8)
	v_mfma_f32_16x16x16_bf16 a[0:3], v[36:37], v[28:29], a[0:3]
	v_mov_b32_e32 v27, 0
	s_nop 5
	v_accvgpr_read_b32 v13, a3
	v_accvgpr_read_b32 v12, a2
	;; [unrolled: 1-line block ×4, first 2 shown]
	s_and_saveexec_b64 s[6:7], s[2:3]
	s_cbranch_execz .LBB701_70
; %bb.69:
	v_lshlrev_b32_e32 v28, 8, v18
	v_mov_b32_e32 v29, 0
	v_lshl_add_u64 v[30:31], v[14:15], 0, v[28:29]
	global_load_ushort v27, v[30:31], off
	v_lshl_add_u64 v[28:29], v[16:17], 0, v[28:29]
	s_waitcnt vmcnt(0)
	v_lshlrev_b32_e32 v27, 16, v27
	v_sub_f32_e32 v10, v27, v10
	global_store_short_d16_hi v[28:29], v10, off
	v_mul_f32_e32 v10, v25, v10
	v_lshrrev_b32_e32 v27, 16, v10
.LBB701_70:
	s_or_b64 exec, exec, s[6:7]
	s_and_saveexec_b64 s[2:3], s[4:5]
	s_cbranch_execz .LBB701_72
; %bb.71:
	v_lshlrev_b32_e32 v28, 8, v23
	v_mov_b32_e32 v29, 0
	v_lshl_add_u64 v[30:31], v[14:15], 0, v[28:29]
	global_load_ushort v10, v[30:31], off
	v_lshl_add_u64 v[28:29], v[16:17], 0, v[28:29]
	s_waitcnt vmcnt(0)
	v_lshlrev_b32_e32 v10, 16, v10
	v_sub_f32_e32 v10, v10, v11
	global_store_short_d16_hi v[28:29], v10, off
	v_mul_f32_e32 v10, v20, v10
	v_lshrrev_b32_e32 v26, 16, v10
.LBB701_72:
	s_or_b64 exec, exec, s[2:3]
	v_mov_b32_e32 v11, 0
	v_mov_b32_e32 v20, 0
	s_and_saveexec_b64 s[2:3], s[0:1]
	s_cbranch_execz .LBB701_74
; %bb.73:
	v_lshlrev_b32_e32 v22, 8, v22
	v_mov_b32_e32 v23, 0
	v_lshl_add_u64 v[28:29], v[14:15], 0, v[22:23]
	global_load_ushort v10, v[28:29], off
	v_lshl_add_u64 v[22:23], v[16:17], 0, v[22:23]
	s_waitcnt vmcnt(0)
	v_lshlrev_b32_e32 v10, 16, v10
	v_sub_f32_e32 v10, v10, v12
	global_store_short_d16_hi v[22:23], v10, off
	v_mul_f32_e32 v10, v24, v10
	v_lshrrev_b32_e32 v20, 16, v10
.LBB701_74:
	s_or_b64 exec, exec, s[2:3]
	v_or_b32_e32 v10, 0x9800, v46
	s_and_saveexec_b64 s[0:1], vcc
	s_cbranch_execz .LBB701_76
; %bb.75:
	v_lshlrev_b32_e32 v22, 8, v21
	v_mov_b32_e32 v23, 0
	v_lshl_add_u64 v[14:15], v[14:15], 0, v[22:23]
	global_load_ushort v11, v[14:15], off
	v_lshl_add_u64 v[14:15], v[16:17], 0, v[22:23]
	s_waitcnt vmcnt(0)
	v_lshlrev_b32_e32 v11, 16, v11
	v_sub_f32_e32 v11, v11, v13
	global_store_short_d16_hi v[14:15], v11, off
	v_mul_f32_e32 v11, v19, v11
	v_lshrrev_b32_e32 v11, 16, v11
.LBB701_76:
	s_or_b64 exec, exec, s[0:1]
	s_mov_b32 s0, 0x5040100
	v_perm_b32 v13, v11, v20, s0
	v_lshlrev_b32_e32 v11, 1, v44
	v_perm_b32 v12, v26, v27, s0
	v_lshl_or_b32 v11, v18, 5, v11
	s_movk_i32 s0, 0xff
	ds_write_b64 v11, v[12:13] offset:38912
	v_and_b32_e32 v11, 7, v0
	v_and_b32_e32 v12, 8, v0
	v_cmp_lt_u32_e32 vcc, s0, v0
	v_lshrrev_b32_e32 v0, 1, v0
	v_lshlrev_b32_e32 v22, 3, v11
	v_lshlrev_b32_e32 v23, 7, v11
	v_cndmask_b32_e64 v11, 0, 1, vcc
	v_lshlrev_b32_e32 v25, 3, v48
	v_and_b32_e32 v0, 24, v0
	v_lshlrev_b32_e32 v24, 13, v11
	v_xor_b32_e32 v11, v25, v0
	v_or_b32_e32 v13, 0x440, v11
	v_cmp_eq_u32_e32 vcc, 0, v12
	s_waitcnt lgkmcnt(0)
	s_barrier
	v_cndmask_b32_e32 v11, v13, v11, vcc
	v_or_b32_e32 v11, v11, v45
	v_xad_u32 v26, v11, v22, v23
	v_add_u32_e32 v11, v24, v26
	ds_read_b64 v[20:21], v11
	ds_read2st64_b64 v[12:15], v10 offset1:1
	ds_read2st64_b64 v[16:19], v10 offset0:2 offset1:3
	v_or_b32_e32 v10, 32, v0
	v_xor_b32_e32 v10, v25, v10
	v_or_b32_e32 v11, 0x440, v10
	v_cndmask_b32_e32 v10, v11, v10, vcc
	v_or_b32_e32 v10, v10, v45
	v_xad_u32 v27, v10, v22, v23
	v_add_u32_e32 v10, v24, v27
	ds_read_b64 v[10:11], v10
	s_waitcnt lgkmcnt(2)
	v_mfma_f32_16x16x16_bf16 a[0:3], v[20:21], v[12:13], 0
	s_waitcnt lgkmcnt(0)
	v_mfma_f32_16x16x16_bf16 a[0:3], v[10:11], v[14:15], a[0:3]
	v_or_b32_e32 v10, 64, v0
	v_xor_b32_e32 v10, v25, v10
	v_xor_b32_e32 v11, 0x440, v10
	v_cndmask_b32_e32 v10, v11, v10, vcc
	v_or_b32_e32 v10, v10, v45
	v_or_b32_e32 v0, 0x60, v0
	v_xad_u32 v28, v10, v22, v23
	v_xor_b32_e32 v0, v25, v0
	v_add_u32_e32 v10, v24, v28
	v_xor_b32_e32 v20, 0x440, v0
	ds_read_b64 v[10:11], v10
	v_cndmask_b32_e32 v0, v20, v0, vcc
	v_or_b32_e32 v0, v0, v45
	v_xad_u32 v0, v0, v22, v23
	v_add_u32_e32 v20, v24, v0
	ds_read_b64 v[20:21], v20
	s_waitcnt lgkmcnt(1)
	v_mfma_f32_16x16x16_bf16 a[0:3], v[10:11], v[16:17], a[0:3]
	ds_read_b64 v[10:11], v26 offset:8192
	ds_read_b64 v[22:23], v28 offset:8192
	v_exp_f32_e32 v24, s12
	s_waitcnt lgkmcnt(2)
	v_mfma_f32_16x16x16_bf16 a[0:3], v[20:21], v[18:19], a[0:3]
	ds_read_b64 v[20:21], v27 offset:8192
	s_waitcnt lgkmcnt(2)
	v_mfma_f32_16x16x16_bf16 a[4:7], v[10:11], v[12:13], 0
	s_nop 3
	v_accvgpr_read_b32 v10, a0
	v_fma_f32 v12, v2, v24, v10
	ds_read_b64 v[10:11], v0 offset:8192
	s_waitcnt lgkmcnt(1)
	v_mfma_f32_16x16x16_bf16 a[4:7], v[20:21], v[14:15], a[4:7]
	v_accvgpr_read_b32 v0, a1
	v_fma_f32 v13, v3, v24, v0
	v_accvgpr_read_b32 v0, a2
	v_mfma_f32_16x16x16_bf16 a[4:7], v[22:23], v[16:17], a[4:7]
	v_accvgpr_read_b32 v15, a3
	v_fma_f32 v14, v4, v24, v0
	v_fmac_f32_e32 v15, v5, v24
	s_waitcnt lgkmcnt(0)
	v_mfma_f32_16x16x16_bf16 a[0:3], v[10:11], v[18:19], a[4:7]
	v_mov_b32_e32 v10, v34
	s_nop 5
	v_accvgpr_read_b32 v0, a0
	v_fma_f32 v16, v6, v24, v0
	v_accvgpr_read_b32 v0, a1
	v_fma_f32 v17, v7, v24, v0
	v_accvgpr_read_b32 v0, a2
	v_accvgpr_read_b32 v19, a3
	v_fma_f32 v18, v8, v24, v0
	v_fmac_f32_e32 v19, v9, v24
	v_mov_b64_e32 v[2:3], v[12:13]
	v_mov_b64_e32 v[4:5], v[14:15]
	;; [unrolled: 1-line block ×4, first 2 shown]
.LBB701_77:
	s_lshl_b64 s[0:1], s[28:29], 16
	s_waitcnt lgkmcnt(0)
	s_add_u32 s0, s34, s0
	v_lshlrev_b32_e32 v10, 7, v10
	s_addc_u32 s1, s35, s1
	v_ashrrev_i32_e32 v11, 31, v10
	v_lshl_add_u64 v[10:11], v[10:11], 2, s[0:1]
	v_lshlrev_b32_e32 v0, 2, v1
	v_mov_b32_e32 v1, 0
	v_lshl_add_u64 v[0:1], v[10:11], 0, v[0:1]
	global_store_dwordx4 v[0:1], v[2:5], off
	global_store_dwordx4 v[0:1], v[6:9], off offset:256
	s_endpgm
	.section	.rodata,"a",@progbits
	.p2align	6, 0x0
	.amdhsa_kernel _ZN12_GLOBAL__N_139chunk_gated_delta_rule_fwd_h_hip_kernelILi16ELb0ELb1ELb1ELb0ELb1ELb0ELb0ELb0EEEvPK12hip_bfloat16S3_S3_PKfS5_PKvPS1_S8_PvPKiSB_iiiiilll
		.amdhsa_group_segment_fixed_size 40960
		.amdhsa_private_segment_fixed_size 0
		.amdhsa_kernarg_size 136
		.amdhsa_user_sgpr_count 2
		.amdhsa_user_sgpr_dispatch_ptr 0
		.amdhsa_user_sgpr_queue_ptr 0
		.amdhsa_user_sgpr_kernarg_segment_ptr 1
		.amdhsa_user_sgpr_dispatch_id 0
		.amdhsa_user_sgpr_kernarg_preload_length 0
		.amdhsa_user_sgpr_kernarg_preload_offset 0
		.amdhsa_user_sgpr_private_segment_size 0
		.amdhsa_uses_dynamic_stack 0
		.amdhsa_enable_private_segment 0
		.amdhsa_system_sgpr_workgroup_id_x 1
		.amdhsa_system_sgpr_workgroup_id_y 1
		.amdhsa_system_sgpr_workgroup_id_z 0
		.amdhsa_system_sgpr_workgroup_info 0
		.amdhsa_system_vgpr_workitem_id 0
		.amdhsa_next_free_vgpr 116
		.amdhsa_next_free_sgpr 68
		.amdhsa_accum_offset 108
		.amdhsa_reserve_vcc 1
		.amdhsa_float_round_mode_32 0
		.amdhsa_float_round_mode_16_64 0
		.amdhsa_float_denorm_mode_32 3
		.amdhsa_float_denorm_mode_16_64 3
		.amdhsa_dx10_clamp 1
		.amdhsa_ieee_mode 1
		.amdhsa_fp16_overflow 0
		.amdhsa_tg_split 0
		.amdhsa_exception_fp_ieee_invalid_op 0
		.amdhsa_exception_fp_denorm_src 0
		.amdhsa_exception_fp_ieee_div_zero 0
		.amdhsa_exception_fp_ieee_overflow 0
		.amdhsa_exception_fp_ieee_underflow 0
		.amdhsa_exception_fp_ieee_inexact 0
		.amdhsa_exception_int_div_zero 0
	.end_amdhsa_kernel
	.section	.text._ZN12_GLOBAL__N_139chunk_gated_delta_rule_fwd_h_hip_kernelILi16ELb0ELb1ELb1ELb0ELb1ELb0ELb0ELb0EEEvPK12hip_bfloat16S3_S3_PKfS5_PKvPS1_S8_PvPKiSB_iiiiilll,"axG",@progbits,_ZN12_GLOBAL__N_139chunk_gated_delta_rule_fwd_h_hip_kernelILi16ELb0ELb1ELb1ELb0ELb1ELb0ELb0ELb0EEEvPK12hip_bfloat16S3_S3_PKfS5_PKvPS1_S8_PvPKiSB_iiiiilll,comdat
.Lfunc_end701:
	.size	_ZN12_GLOBAL__N_139chunk_gated_delta_rule_fwd_h_hip_kernelILi16ELb0ELb1ELb1ELb0ELb1ELb0ELb0ELb0EEEvPK12hip_bfloat16S3_S3_PKfS5_PKvPS1_S8_PvPKiSB_iiiiilll, .Lfunc_end701-_ZN12_GLOBAL__N_139chunk_gated_delta_rule_fwd_h_hip_kernelILi16ELb0ELb1ELb1ELb0ELb1ELb0ELb0ELb0EEEvPK12hip_bfloat16S3_S3_PKfS5_PKvPS1_S8_PvPKiSB_iiiiilll
                                        ; -- End function
	.section	.AMDGPU.csdata,"",@progbits
; Kernel info:
; codeLenInByte = 7924
; NumSgprs: 74
; NumVgprs: 108
; NumAgprs: 8
; TotalNumVgprs: 116
; ScratchSize: 0
; MemoryBound: 0
; FloatMode: 240
; IeeeMode: 1
; LDSByteSize: 40960 bytes/workgroup (compile time only)
; SGPRBlocks: 9
; VGPRBlocks: 14
; NumSGPRsForWavesPerEU: 74
; NumVGPRsForWavesPerEU: 116
; AccumOffset: 108
; Occupancy: 1
; WaveLimiterHint : 1
; COMPUTE_PGM_RSRC2:SCRATCH_EN: 0
; COMPUTE_PGM_RSRC2:USER_SGPR: 2
; COMPUTE_PGM_RSRC2:TRAP_HANDLER: 0
; COMPUTE_PGM_RSRC2:TGID_X_EN: 1
; COMPUTE_PGM_RSRC2:TGID_Y_EN: 1
; COMPUTE_PGM_RSRC2:TGID_Z_EN: 0
; COMPUTE_PGM_RSRC2:TIDIG_COMP_CNT: 0
; COMPUTE_PGM_RSRC3_GFX90A:ACCUM_OFFSET: 26
; COMPUTE_PGM_RSRC3_GFX90A:TG_SPLIT: 0
	.section	.text._ZN12_GLOBAL__N_139chunk_gated_delta_rule_fwd_h_hip_kernelILi16ELb0ELb1ELb0ELb0ELb1ELb0ELb0ELb0EEEvPK12hip_bfloat16S3_S3_PKfS5_PKvPS1_S8_PvPKiSB_iiiiilll,"axG",@progbits,_ZN12_GLOBAL__N_139chunk_gated_delta_rule_fwd_h_hip_kernelILi16ELb0ELb1ELb0ELb0ELb1ELb0ELb0ELb0EEEvPK12hip_bfloat16S3_S3_PKfS5_PKvPS1_S8_PvPKiSB_iiiiilll,comdat
	.globl	_ZN12_GLOBAL__N_139chunk_gated_delta_rule_fwd_h_hip_kernelILi16ELb0ELb1ELb0ELb0ELb1ELb0ELb0ELb0EEEvPK12hip_bfloat16S3_S3_PKfS5_PKvPS1_S8_PvPKiSB_iiiiilll ; -- Begin function _ZN12_GLOBAL__N_139chunk_gated_delta_rule_fwd_h_hip_kernelILi16ELb0ELb1ELb0ELb0ELb1ELb0ELb0ELb0EEEvPK12hip_bfloat16S3_S3_PKfS5_PKvPS1_S8_PvPKiSB_iiiiilll
	.p2align	8
	.type	_ZN12_GLOBAL__N_139chunk_gated_delta_rule_fwd_h_hip_kernelILi16ELb0ELb1ELb0ELb0ELb1ELb0ELb0ELb0EEEvPK12hip_bfloat16S3_S3_PKfS5_PKvPS1_S8_PvPKiSB_iiiiilll,@function
_ZN12_GLOBAL__N_139chunk_gated_delta_rule_fwd_h_hip_kernelILi16ELb0ELb1ELb0ELb0ELb1ELb0ELb0ELb0EEEvPK12hip_bfloat16S3_S3_PKfS5_PKvPS1_S8_PvPKiSB_iiiiilll: ; @_ZN12_GLOBAL__N_139chunk_gated_delta_rule_fwd_h_hip_kernelILi16ELb0ELb1ELb0ELb0ELb1ELb0ELb0ELb0EEEvPK12hip_bfloat16S3_S3_PKfS5_PKvPS1_S8_PvPKiSB_iiiiilll
; %bb.0:
	s_load_dwordx4 s[12:15], s[0:1], 0x5c
	s_load_dwordx4 s[16:19], s[0:1], 0x70
	s_abs_i32 s22, s3
	s_ashr_i32 s21, s3, 31
	s_load_dwordx8 s[4:11], s[0:1], 0x0
	s_waitcnt lgkmcnt(0)
	s_abs_i32 s20, s13
	v_cvt_f32_u32_e32 v1, s20
	s_sub_i32 s24, 0, s20
	s_ashr_i32 s23, s13, 31
	s_xor_b32 s21, s21, s23
	v_rcp_iflag_f32_e32 v1, v1
	s_load_dwordx2 s[28:29], s[0:1], 0x40
	s_load_dwordx2 s[36:37], s[0:1], 0x30
	;; [unrolled: 1-line block ×3, first 2 shown]
	v_lshrrev_b32_e32 v46, 6, v0
	v_bfe_u32 v49, v0, 4, 2
	v_mul_f32_e32 v1, 0x4f7ffffe, v1
	v_cvt_u32_f32_e32 v1, v1
	v_lshlrev_b32_e32 v47, 4, v46
	v_lshlrev_b32_e32 v10, 2, v49
	v_and_b32_e32 v48, 63, v0
	v_readfirstlane_b32 s25, v1
	s_mul_i32 s24, s24, s25
	s_mul_hi_u32 s24, s25, s24
	s_add_i32 s25, s25, s24
	s_mul_hi_u32 s24, s22, s25
	s_mul_i32 s25, s24, s20
	s_sub_i32 s22, s22, s25
	s_add_i32 s26, s24, 1
	s_sub_i32 s25, s22, s20
	s_cmp_ge_u32 s22, s20
	s_cselect_b32 s24, s26, s24
	s_cselect_b32 s22, s25, s22
	s_add_i32 s25, s24, 1
	s_cmp_ge_u32 s22, s20
	s_cselect_b32 s22, s25, s24
	s_xor_b32 s22, s22, s21
	s_sub_i32 s47, s22, s21
	s_abs_i32 s21, s14
	v_cvt_f32_u32_e32 v1, s21
	s_add_i32 s24, s12, 63
	s_mul_i32 s45, s47, s13
	s_sub_i32 s33, s3, s45
	v_rcp_iflag_f32_e32 v1, v1
	s_ashr_i32 s3, s24, 31
	s_ashr_i32 s46, s12, 31
	s_lshr_b32 s3, s3, 26
	v_mul_f32_e32 v1, 0x4f7ffffe, v1
	v_cvt_u32_f32_e32 v1, v1
	s_lshr_b32 s22, s46, 26
	s_add_i32 s24, s24, s3
	s_add_i32 s22, s12, s22
	s_ashr_i32 s49, s14, 31
	s_ashr_i32 s3, s24, 6
	;; [unrolled: 1-line block ×3, first 2 shown]
	s_xor_b32 s22, s23, s49
	s_sub_i32 s23, 0, s21
	v_readfirstlane_b32 s24, v1
	s_mul_i32 s23, s23, s24
	s_mul_hi_u32 s23, s24, s23
	s_add_i32 s24, s24, s23
	s_mul_hi_u32 s23, s20, s24
	s_mul_i32 s24, s23, s21
	s_sub_i32 s20, s20, s24
	s_add_i32 s24, s23, 1
	s_sub_i32 s25, s20, s21
	s_cmp_ge_u32 s20, s21
	s_cselect_b32 s23, s24, s23
	s_cselect_b32 s20, s25, s20
	s_add_i32 s24, s23, 1
	s_cmp_ge_u32 s20, s21
	s_cselect_b32 s20, s24, s23
	s_xor_b32 s20, s20, s22
	s_sub_i32 s20, s20, s22
	s_abs_i32 s21, s20
	v_cvt_f32_u32_e32 v1, s21
	s_xor_b32 s0, s33, s20
	s_sub_i32 s20, 0, s21
	s_abs_i32 s1, s33
	v_rcp_iflag_f32_e32 v1, v1
	s_ashr_i32 s0, s0, 31
	v_mov_b32_e32 v9, 0
	s_mul_i32 s50, s47, s3
	v_mul_f32_e32 v1, 0x4f7ffffe, v1
	v_cvt_u32_f32_e32 v1, v1
	v_and_b32_e32 v50, 15, v0
	s_mul_hi_i32 s51, s47, s13
	v_lshrrev_b32_e32 v52, 3, v48
	v_readfirstlane_b32 s22, v1
	s_mul_i32 s20, s20, s22
	s_mul_hi_u32 s20, s22, s20
	s_add_i32 s22, s22, s20
	s_mul_hi_u32 s20, s1, s22
	s_mul_i32 s22, s20, s21
	s_sub_i32 s1, s1, s22
	s_add_i32 s22, s20, 1
	s_sub_i32 s23, s1, s21
	s_cmp_ge_u32 s1, s21
	s_cselect_b32 s20, s22, s20
	s_cselect_b32 s1, s23, s1
	s_add_i32 s22, s20, 1
	s_cmp_ge_u32 s1, s21
	s_cselect_b32 s1, s22, s20
	s_xor_b32 s1, s1, s0
	s_sub_i32 s52, s1, s0
	v_or_b32_e32 v1, v10, v47
	s_lshl_b32 s2, s2, 4
	v_or_b32_e32 v53, 64, v1
	s_cmp_lt_i32 s12, 64
	v_lshlrev_b32_e32 v51, 3, v0
	s_mul_i32 s17, s47, s17
	s_mul_hi_u32 s44, s47, s16
	s_mul_i32 s34, s47, s16
	v_mov_b32_e32 v8, v9
	v_mov_b32_e32 v7, v9
	;; [unrolled: 1-line block ×7, first 2 shown]
	s_cbranch_scc1 .LBB702_18
; %bb.1:
	s_ashr_i32 s3, s47, 31
	s_ashr_i32 s54, s33, 31
	s_add_u32 s0, s45, s33
	s_addc_u32 s1, s51, s54
	s_mul_i32 s1, s12, s1
	s_mul_hi_u32 s20, s12, s0
	s_add_i32 s39, s20, s1
	s_mul_i32 s38, s12, s0
	s_lshl_b64 s[0:1], s[38:39], 8
	v_and_b32_e32 v55, 56, v51
	s_add_u32 s20, s6, s0
	v_lshl_or_b32 v54, v46, 3, v52
	v_lshlrev_b32_e32 v3, 1, v55
	s_addc_u32 s0, s7, s1
	v_lshl_or_b32 v56, v54, 8, v3
	s_and_b32 s21, s0, 0xffff
	s_mov_b32 s23, 0x20000
	s_movk_i32 s22, 0x4000
	s_movk_i32 s0, 0x80
	v_or_b32_e32 v57, 0x2000, v56
	buffer_load_dwordx4 v[4:7], v56, s[20:23], 0 offen
	buffer_load_dwordx4 v[12:15], v56, s[20:23], s0 offen
	;; [unrolled: 1-line block ×4, first 2 shown]
	v_lshlrev_b32_e32 v2, 3, v54
	v_and_or_b32 v9, v0, 7, v2
	v_and_b32_e32 v2, 0x78, v2
	v_lshlrev_b32_e32 v9, 4, v9
	v_xor_b32_e32 v58, v9, v2
	v_mul_lo_u32 v8, v54, s15
	v_or_b32_e32 v59, 0x1000, v58
	v_xor_b32_e32 v2, 8, v58
	s_cmpk_eq_i32 s15, 0x80
	s_mov_b32 s53, s14
	v_xor_b32_e32 v9, 8, v59
	s_cselect_b64 s[0:1], -1, 0
	s_cmpk_lg_i32 s15, 0x80
	s_waitcnt vmcnt(3)
	ds_write_b64 v58, v[4:5] offset:16384
	ds_write_b64 v2, v[6:7] offset:16384
	s_waitcnt vmcnt(2)
	ds_write_b64 v58, v[12:13] offset:24576
	ds_write_b64 v2, v[14:15] offset:24576
	;; [unrolled: 3-line block ×4, first 2 shown]
	v_lshl_add_u32 v2, v8, 1, v55
	s_cbranch_scc0 .LBB702_3
; %bb.2:
	v_lshlrev_b32_e32 v6, 1, v2
	v_add_lshl_u32 v5, v2, s15, 1
	s_lshl_b32 s22, s15, 7
	v_lshl_or_b32 v4, v54, 9, v3
	s_cbranch_execz .LBB702_4
	s_branch .LBB702_5
.LBB702_3:
                                        ; implicit-def: $vgpr5
                                        ; implicit-def: $vgpr6
                                        ; implicit-def: $sgpr22
	v_lshl_or_b32 v4, v54, 9, v3
.LBB702_4:
	v_or_b32_e32 v5, 0x100, v4
	s_movk_i32 s22, 0x4000
	v_mov_b32_e32 v6, v4
.LBB702_5:
	s_mul_hi_u32 s20, s14, s12
	s_mul_i32 s21, s49, s12
	s_add_i32 s20, s20, s21
	s_mul_i32 s21, s14, s12
	s_mul_i32 s23, s21, s3
	s_mul_hi_u32 s24, s21, s47
	s_add_i32 s23, s24, s23
	s_mul_i32 s20, s20, s47
	s_add_i32 s23, s23, s20
	s_mul_i32 s21, s21, s47
	s_ashr_i32 s55, s52, 31
	s_add_u32 s20, s21, s52
	s_addc_u32 s21, s23, s55
	s_lshl_b64 s[20:21], s[20:21], 8
	s_add_u32 s20, s4, s20
	s_addc_u32 s21, s5, s21
	s_and_b32 s21, s21, 0xffff
	s_mov_b32 s23, 0x20000
	s_movk_i32 s56, 0x80
	buffer_load_dwordx4 v[12:15], v6, s[20:23], 0 offen
	buffer_load_dwordx4 v[16:19], v6, s[20:23], s56 offen
	;; [unrolled: 1-line block ×4, first 2 shown]
	v_and_b32_e32 v3, 6, v0
	s_mul_i32 s20, s3, s12
	s_mul_hi_u32 s21, s47, s12
	v_lshlrev_b32_e32 v6, 2, v50
	v_lshlrev_b32_e32 v7, 3, v50
	v_xor_b32_e32 v9, v54, v3
	v_and_b32_e32 v5, 1, v0
	s_mul_i32 s3, s3, s16
	v_lshl_or_b32 v7, v1, 5, v7
	v_xor_b32_e32 v11, v1, v6
	v_lshlrev_b32_e32 v9, 2, v9
	s_add_i32 s61, s21, s20
	s_add_i32 s20, s44, s17
	v_or_b32_e32 v60, 0x9000, v7
	v_or_b32_e32 v61, 0x9800, v7
	v_lshlrev_b32_e32 v7, 1, v11
	v_xor_b32_e32 v11, 0x440, v9
	v_cmp_eq_u32_e32 vcc, 0, v5
	s_add_i32 s35, s20, s3
	s_mul_i32 s3, s33, s19
	s_mul_hi_u32 s20, s33, s18
	v_cndmask_b32_e32 v5, v11, v9, vcc
	s_add_i32 s3, s20, s3
	s_mul_i32 s20, s54, s18
	s_mov_b32 s58, 0x1000504
	v_lshlrev_b32_e32 v8, 8, v50
	s_mov_b32 s22, 0x8000
	v_xor_b32_e32 v6, v53, v6
	v_lshl_or_b32 v3, v3, 10, v5
	s_add_i32 s21, s3, s20
	s_lshl_b64 s[24:25], s[34:35], 2
	s_mov_b32 s59, 0x3020706
	v_lshlrev_b32_e32 v6, 1, v6
	v_or3_b32 v62, v7, v8, s22
	v_xor_b32_e32 v5, 8, v3
	v_xor_b32_e32 v7, 24, v3
	;; [unrolled: 1-line block ×4, first 2 shown]
	s_mul_i32 s20, s33, s18
	s_add_u32 s3, s10, s24
	v_or3_b32 v63, v6, v8, s22
	v_xor_b32_e32 v6, 16, v3
	v_xor_b32_e32 v8, 32, v3
	;; [unrolled: 1-line block ×3, first 2 shown]
	v_add_u32_e32 v5, 0x80, v5
	v_add_u32_e32 v7, 0x80, v7
	;; [unrolled: 1-line block ×4, first 2 shown]
	s_addc_u32 s24, s11, s25
	s_lshl_b64 s[20:21], s[20:21], 2
	s_add_u32 s40, s3, s20
	s_movk_i32 s3, 0xf8
	s_addc_u32 s41, s24, s21
	s_lshl_b32 s26, s15, 7
	s_mov_b32 s57, 0
	s_mul_i32 s60, s47, s12
	v_add_u32_e32 v78, v47, v10
	s_mov_b32 s62, 0
	s_waitcnt vmcnt(1)
	v_perm_b32 v29, v12, v20, s58
	s_waitcnt vmcnt(0)
	v_perm_b32 v30, v16, v24, s58
	v_perm_b32 v12, v12, v20, s59
	;; [unrolled: 1-line block ×15, first 2 shown]
	ds_write2st64_b32 v3, v29, v30 offset1:32
	ds_write2st64_b32 v5, v12, v16 offset1:32
	ds_write2st64_b32 v6, v20, v24 offset0:1 offset1:33
	ds_write2st64_b32 v7, v13, v17 offset0:1 offset1:33
	;; [unrolled: 1-line block ×6, first 2 shown]
	v_or_b32_e32 v3, v47, v50
	v_lshlrev_b32_e32 v3, 3, v3
	v_lshrrev_b32_e32 v7, 5, v48
	v_and_or_b32 v7, v3, s3, v7
	v_lshlrev_b32_e32 v7, 4, v7
	v_lshlrev_b32_e32 v5, 11, v46
	v_and_b32_e32 v3, 0x78, v3
	v_or_b32_e32 v12, 32, v7
	v_and_b32_e32 v6, 0x1000, v5
	v_lshrrev_b32_e32 v11, 1, v0
	v_xor_b32_e32 v12, v12, v3
	v_and_b32_e32 v9, 8, v11
	v_or_b32_e32 v12, v12, v6
	v_xor_b32_e32 v8, v7, v3
	v_xor_b32_e32 v66, v12, v9
	v_or_b32_e32 v12, 64, v7
	v_or_b32_e32 v7, 0x60, v7
	;; [unrolled: 1-line block ×3, first 2 shown]
	v_xor_b32_e32 v12, v12, v3
	v_xor_b32_e32 v3, v7, v3
	;; [unrolled: 1-line block ×3, first 2 shown]
	v_and_b32_e32 v8, 0x78, v51
	v_or_b32_e32 v12, v12, v6
	v_or_b32_e32 v3, v3, v6
	v_lshl_or_b32 v8, v49, 7, v8
	v_xor_b32_e32 v67, v12, v9
	v_xor_b32_e32 v68, v3, v9
	v_lshlrev_b32_e32 v12, 1, v2
	v_add_lshl_u32 v13, v2, s15, 1
	v_lshrrev_b32_e32 v2, 4, v0
	v_lshlrev_b32_e32 v3, 1, v50
	v_or_b32_e32 v65, 0x9000, v8
	v_or_b32_e32 v69, 0x9800, v8
	s_ashr_i32 s3, s2, 31
	v_or_b32_e32 v8, 1, v3
	v_xor_b32_e32 v3, v2, v3
	s_lshl_b64 s[20:21], s[2:3], 8
	v_xor_b32_e32 v8, v8, v2
	v_lshlrev_b32_e32 v3, 3, v3
	v_lshlrev_b32_e32 v2, 8, v2
	s_waitcnt lgkmcnt(0)
	s_add_u32 s20, s36, s20
	v_or3_b32 v70, v3, v2, s22
	v_lshlrev_b32_e32 v3, 3, v8
	s_addc_u32 s21, s37, s21
	v_or3_b32 v71, v3, v2, s22
	v_mov_b32_e32 v3, 0
	v_lshl_add_u64 v[8:9], s[20:21], 0, v[2:3]
	v_lshlrev_b32_e32 v2, 4, v50
	s_movk_i32 s3, 0xff
	v_lshlrev_b32_e32 v16, 3, v46
	v_and_b32_e32 v11, 24, v11
	v_lshl_add_u64 v[42:43], v[8:9], 0, v[2:3]
	v_and_b32_e32 v8, 8, v0
	v_cmp_lt_u32_e32 vcc, s3, v0
	v_xor_b32_e32 v17, v16, v11
	v_or_b32_e32 v18, 0x440, v17
	v_cndmask_b32_e64 v15, 0, 1, vcc
	v_cmp_eq_u32_e32 vcc, 0, v8
	v_and_b32_e32 v2, 7, v0
	v_lshlrev_b32_e32 v9, 3, v2
	v_cndmask_b32_e32 v8, v18, v17, vcc
	v_lshlrev_b32_e32 v2, 7, v2
	v_or_b32_e32 v8, v8, v5
	v_xad_u32 v72, v8, v9, v2
	v_or_b32_e32 v8, 32, v11
	v_xor_b32_e32 v8, v16, v8
	v_or_b32_e32 v17, 0x440, v8
	v_cndmask_b32_e32 v8, v17, v8, vcc
	v_or_b32_e32 v8, v8, v5
	v_xad_u32 v73, v8, v9, v2
	v_or_b32_e32 v8, 64, v11
	v_xor_b32_e32 v8, v16, v8
	v_xor_b32_e32 v17, 0x440, v8
	v_cndmask_b32_e32 v8, v17, v8, vcc
	v_or_b32_e32 v8, v8, v5
	v_xad_u32 v74, v8, v9, v2
	v_or_b32_e32 v8, 0x60, v11
	v_xor_b32_e32 v8, v16, v8
	v_xor_b32_e32 v11, 0x440, v8
	v_or_b32_e32 v6, s2, v50
	v_cndmask_b32_e32 v8, v11, v8, vcc
	v_ashrrev_i32_e32 v7, 31, v6
	v_or_b32_e32 v5, v8, v5
	v_lshl_add_u64 v[6:7], v[6:7], 1, s[8:9]
	v_or_b32_e32 v14, 0x100, v4
	v_lshlrev_b32_e32 v15, 13, v15
	v_xad_u32 v75, v5, v9, v2
	v_lshlrev_b32_e32 v2, 8, v1
	v_cndmask_b32_e64 v76, v12, v4, s[0:1]
	v_cndmask_b32_e64 v77, v13, v14, s[0:1]
	v_lshl_add_u64 v[44:45], v[6:7], 0, v[2:3]
	s_mov_b32 s3, 0x7060302
	s_movk_i32 s22, 0x4000
	v_add_u32_e32 v79, v15, v72
	v_add_u32_e32 v80, v15, v73
	;; [unrolled: 1-line block ×4, first 2 shown]
	v_mov_b32_e32 v2, v3
	v_mov_b32_e32 v4, v3
	;; [unrolled: 1-line block ×7, first 2 shown]
	s_barrier
.LBB702_6:                              ; =>This Inner Loop Header: Depth=1
	s_add_i32 s35, s62, 1
	s_cmp_lt_i32 s35, s48
	s_mov_b64 s[24:25], 0
	s_cselect_b64 s[42:43], -1, 0
	s_cmp_ge_i32 s35, s48
	s_mov_b64 s[20:21], 0
	s_cbranch_scc1 .LBB702_8
; %bb.7:                                ;   in Loop: Header=BB702_6 Depth=1
	s_add_i32 s0, s57, 64
	s_add_u32 s0, s38, s0
	s_addc_u32 s1, s39, 0
	s_lshl_b64 s[0:1], s[0:1], 8
	s_add_u32 s20, s6, s0
	s_addc_u32 s21, s7, s1
.LBB702_8:                              ;   in Loop: Header=BB702_6 Depth=1
	v_cndmask_b32_e64 v5, 0, 1, s[42:43]
	v_cmp_ne_u32_e64 s[0:1], 1, v5
	s_andn2_b64 vcc, exec, s[42:43]
	s_cbranch_vccnz .LBB702_10
; %bb.9:                                ;   in Loop: Header=BB702_6 Depth=1
	s_add_i32 s24, s57, 64
	s_add_u32 s24, s60, s24
	s_addc_u32 s25, s61, 0
	s_mul_i32 s27, s24, s49
	s_mul_hi_u32 s42, s24, s53
	s_add_i32 s27, s42, s27
	s_mul_i32 s25, s25, s53
	s_add_i32 s27, s27, s25
	s_mul_i32 s24, s24, s53
	s_add_u32 s24, s24, s52
	s_addc_u32 s25, s27, s55
	s_lshl_b64 s[24:25], s[24:25], 8
	s_add_u32 s24, s4, s24
	s_addc_u32 s25, s5, s25
.LBB702_10:                             ;   in Loop: Header=BB702_6 Depth=1
	v_perm_b32 v11, v84, v4, s3
	v_perm_b32 v10, v3, v2, s3
	;; [unrolled: 1-line block ×4, first 2 shown]
	ds_write_b64 v60, v[10:11]
	ds_write_b64 v61, v[12:13]
	;; [unrolled: 1-line block ×4, first 2 shown]
	s_waitcnt lgkmcnt(0)
	s_barrier
	ds_read_b64 v[18:19], v64 offset:16384
	ds_read_b64 v[20:21], v66 offset:16384
	ds_read2st64_b64 v[10:13], v65 offset1:1
	ds_read2st64_b64 v[14:17], v65 offset0:2 offset1:3
	ds_read_b64 v[22:23], v67 offset:16384
	s_waitcnt lgkmcnt(2)
	v_mfma_f32_16x16x16_bf16 a[0:3], v[18:19], v[10:11], 0
	ds_read_b64 v[10:11], v68 offset:16384
	s_add_i32 s27, s57, 63
	s_mul_i32 s42, s27, s31
	v_mfma_f32_16x16x16_bf16 a[0:3], v[20:21], v[12:13], a[0:3]
	s_mul_hi_u32 s43, s27, s30
	s_add_i32 s43, s43, s42
	s_mul_i32 s42, s27, s30
	s_waitcnt lgkmcnt(1)
	v_mfma_f32_16x16x16_bf16 a[0:3], v[22:23], v[14:15], a[0:3]
	s_lshl_b64 s[42:43], s[42:43], 2
	s_add_u32 s42, s40, s42
	s_addc_u32 s43, s41, s43
	s_waitcnt lgkmcnt(0)
	v_mfma_f32_16x16x16_bf16 a[0:3], v[10:11], v[16:17], a[0:3]
	s_and_b64 vcc, exec, s[0:1]
	v_mov_b32_e32 v85, 0
	v_mov_b32_e32 v9, 0
	;; [unrolled: 1-line block ×19, first 2 shown]
	s_cbranch_vccnz .LBB702_12
; %bb.11:                               ;   in Loop: Header=BB702_6 Depth=1
	s_and_b32 s21, s21, 0xffff
	buffer_load_dwordx4 v[22:25], v56, s[20:23], 0 offen
	buffer_load_dwordx4 v[18:21], v56, s[20:23], s56 offen
	buffer_load_dwordx4 v[14:17], v57, s[20:23], 0 offen
	buffer_load_dwordx4 v[10:13], v57, s[20:23], s56 offen
	v_mov_b32_e32 v9, v58
	v_mov_b32_e32 v5, v59
.LBB702_12:                             ;   in Loop: Header=BB702_6 Depth=1
	s_waitcnt vmcnt(3)
	v_add_u32_e32 v32, s57, v78
	s_waitcnt vmcnt(1)
	v_ashrrev_i32_e32 v26, 31, v32
	v_mul_lo_u32 v28, v26, s30
	v_mul_lo_u32 v29, v32, s31
	v_mad_u64_u32 v[26:27], s[20:21], v32, s30, 0
	v_add3_u32 v27, v27, v29, v28
	v_add_u32_e32 v28, 1, v32
	v_ashrrev_i32_e32 v29, 31, v28
	v_mul_lo_u32 v30, v29, s30
	v_mul_lo_u32 v31, v28, s31
	v_mad_u64_u32 v[28:29], s[20:21], v28, s30, 0
	v_add3_u32 v29, v29, v31, v30
	v_add_u32_e32 v30, 2, v32
	v_ashrrev_i32_e32 v31, 31, v30
	v_mul_lo_u32 v33, v31, s30
	v_mul_lo_u32 v34, v30, s31
	v_mad_u64_u32 v[30:31], s[20:21], v30, s30, 0
	v_add_u32_e32 v32, 3, v32
	v_add3_u32 v31, v31, v34, v33
	v_ashrrev_i32_e32 v33, 31, v32
	v_mul_lo_u32 v36, v33, s30
	v_mul_lo_u32 v37, v32, s31
	v_mad_u64_u32 v[32:33], s[20:21], v32, s30, 0
	s_add_u32 s20, s38, s57
	s_addc_u32 s21, s39, 0
	s_lshl_b64 s[20:21], s[20:21], 8
	v_lshl_add_u64 v[26:27], v[26:27], 2, s[40:41]
	v_lshl_add_u64 v[34:35], v[44:45], 0, s[20:21]
	;; [unrolled: 1-line block ×3, first 2 shown]
	global_load_ushort v87, v[34:35], off
	global_load_ushort v96, v[34:35], off offset:256
	global_load_ushort v97, v[34:35], off offset:512
	;; [unrolled: 1-line block ×3, first 2 shown]
	v_add3_u32 v33, v33, v37, v36
	global_load_dword v99, v[26:27], off
	v_lshl_add_u64 v[30:31], v[30:31], 2, s[40:41]
	v_lshl_add_u64 v[26:27], v[32:33], 2, s[40:41]
	global_load_dword v100, v[28:29], off
	global_load_dword v101, v[30:31], off
	;; [unrolled: 1-line block ×3, first 2 shown]
	s_load_dword s20, s[42:43], 0x0
	ds_read2st64_b64 v[34:37], v69 offset1:1
	ds_read2st64_b64 v[88:91], v69 offset0:2 offset1:3
	ds_read_b64 v[38:39], v64 offset:24576
	ds_read_b64 v[40:41], v66 offset:24576
	;; [unrolled: 1-line block ×4, first 2 shown]
	s_waitcnt lgkmcnt(0)
	v_mfma_f32_16x16x16_bf16 a[0:3], v[38:39], v[34:35], a[0:3]
	v_mov_b32_e32 v86, 0
	v_mov_b32_e32 v26, 0
	v_mov_b32_e32 v27, 0
	v_mfma_f32_16x16x16_bf16 a[0:3], v[40:41], v[36:37], a[0:3]
	v_mov_b32_e32 v28, 0
	v_mov_b32_e32 v29, 0
	v_mov_b32_e32 v30, 0
	;; [unrolled: 4-line block ×4, first 2 shown]
	v_mov_b32_e32 v37, 0
	v_mov_b32_e32 v38, 0
	;; [unrolled: 1-line block ×4, first 2 shown]
	v_accvgpr_read_b32 v91, a1
	v_accvgpr_read_b32 v89, a3
	;; [unrolled: 1-line block ×4, first 2 shown]
	s_and_b64 vcc, exec, s[0:1]
	s_waitcnt vmcnt(7)
	v_lshlrev_b32_e32 v92, 16, v87
	s_waitcnt vmcnt(6)
	v_lshlrev_b32_e32 v93, 16, v96
	s_waitcnt vmcnt(5)
	v_lshlrev_b32_e32 v94, 16, v97
	s_waitcnt vmcnt(4)
	v_lshlrev_b32_e32 v95, 16, v98
	v_pk_add_f32 v[90:91], v[92:93], v[90:91] neg_lo:[0,1] neg_hi:[0,1]
	s_waitcnt vmcnt(3)
	v_sub_f32_e32 v41, s20, v99
	v_exp_f32_e32 v96, v41
	s_waitcnt vmcnt(2)
	v_sub_f32_e32 v41, s20, v100
	s_waitcnt vmcnt(1)
	v_sub_f32_e32 v87, s20, v101
	;; [unrolled: 2-line block ×3, first 2 shown]
	v_exp_f32_e32 v97, v41
	v_exp_f32_e32 v98, v87
	;; [unrolled: 1-line block ×3, first 2 shown]
	v_pk_add_f32 v[88:89], v[94:95], v[88:89] neg_lo:[0,1] neg_hi:[0,1]
	v_pk_mul_f32 v[90:91], v[96:97], v[90:91]
	v_mov_b32_e32 v41, 0
	v_pk_mul_f32 v[88:89], v[98:99], v[88:89]
	s_nop 0
	v_perm_b32 v89, v89, v88, s3
	v_perm_b32 v88, v91, v90, s3
	ds_write_b64 v61, v[88:89]
	s_cbranch_vccnz .LBB702_14
; %bb.13:                               ;   in Loop: Header=BB702_6 Depth=1
	s_and_b32 s25, s25, 0xffff
	s_mov_b32 s27, s23
	buffer_load_dwordx4 v[38:41], v76, s[24:27], 0 offen
	buffer_load_dwordx4 v[30:33], v76, s[24:27], s56 offen
	;; [unrolled: 1-line block ×4, first 2 shown]
	v_mov_b32_e32 v85, v55
	v_mov_b32_e32 v86, v54
.LBB702_14:                             ;   in Loop: Header=BB702_6 Depth=1
	s_waitcnt lgkmcnt(0)
	s_barrier
	ds_read_b64 v[96:97], v79
	ds_read2st64_b64 v[88:91], v69 offset1:1
	ds_read2st64_b64 v[92:95], v69 offset0:2 offset1:3
	ds_read_b64 v[98:99], v80
	ds_read_b64 v[100:101], v81
	ds_read_b64 v[102:103], v82
	s_waitcnt lgkmcnt(4)
	v_mfma_f32_16x16x16_bf16 a[0:3], v[96:97], v[88:89], 0
	ds_read_b64 v[96:97], v72 offset:8192
	ds_read_b64 v[104:105], v73 offset:8192
	s_add_i32 s21, s50, s62
	s_mul_hi_i32 s25, s21, s13
	s_waitcnt lgkmcnt(1)
	v_mfma_f32_16x16x16_bf16 a[4:7], v[96:97], v[88:89], 0
	s_mul_i32 s21, s21, s13
	s_add_u32 s24, s21, s33
	s_addc_u32 s25, s25, s54
	v_mfma_f32_16x16x16_bf16 a[0:3], v[98:99], v[90:91], a[0:3]
	ds_read_b64 v[96:97], v70
	ds_read_b64 v[98:99], v71
	ds_read_b64 v[88:89], v74 offset:8192
	s_lshl_b64 s[24:25], s[24:25], 15
	v_mfma_f32_16x16x16_bf16 a[0:3], v[100:101], v[92:93], a[0:3]
	ds_read_b64 v[100:101], v75 offset:8192
	s_and_b64 vcc, exec, s[0:1]
	s_waitcnt lgkmcnt(4)
	v_mfma_f32_16x16x16_bf16 a[4:7], v[104:105], v[90:91], a[4:7]
	s_waitcnt lgkmcnt(1)
	v_mfma_f32_16x16x16_bf16 a[4:7], v[88:89], v[92:93], a[4:7]
	v_lshl_add_u64 v[88:89], v[42:43], 0, s[24:25]
	global_store_dwordx4 v[88:89], v[96:99], off
	v_mfma_f32_16x16x16_bf16 a[0:3], v[102:103], v[94:95], a[0:3]
	s_waitcnt lgkmcnt(0)
	v_mfma_f32_16x16x16_bf16 a[4:7], v[100:101], v[94:95], a[4:7]
	s_cbranch_vccnz .LBB702_16
; %bb.15:                               ;   in Loop: Header=BB702_6 Depth=1
	v_lshrrev_b32_e32 v87, 3, v85
	v_and_b32_e32 v87, 6, v87
	v_xor_b32_e32 v86, v87, v86
	v_lshlrev_b32_e32 v86, 2, v86
	v_and_b32_e32 v85, 8, v85
	v_xor_b32_e32 v88, 0x440, v86
	v_cmp_eq_u32_e32 vcc, 0, v85
	s_barrier
	s_nop 0
	v_cndmask_b32_e32 v85, v88, v86, vcc
	v_lshl_or_b32 v85, v87, 10, v85
	s_waitcnt vmcnt(2)
	v_perm_b32 v86, v38, v34, s58
	s_waitcnt vmcnt(1)
	v_perm_b32 v87, v30, v26, s58
	ds_write2st64_b32 v85, v86, v87 offset1:32
	v_xor_b32_e32 v86, 8, v85
	v_perm_b32 v34, v38, v34, s59
	v_perm_b32 v26, v30, v26, s59
	v_add_u32_e32 v30, 0x80, v86
	ds_write2st64_b32 v30, v34, v26 offset1:32
	v_xor_b32_e32 v26, 16, v85
	v_perm_b32 v30, v39, v35, s58
	v_perm_b32 v34, v31, v27, s58
	ds_write2st64_b32 v26, v30, v34 offset0:1 offset1:33
	v_xor_b32_e32 v26, 24, v85
	v_perm_b32 v30, v39, v35, s59
	v_perm_b32 v27, v31, v27, s59
	v_add_u32_e32 v26, 0x80, v26
	ds_write2st64_b32 v26, v30, v27 offset0:1 offset1:33
	v_xor_b32_e32 v26, 32, v85
	v_perm_b32 v27, v40, v36, s58
	v_perm_b32 v30, v32, v28, s58
	ds_write2st64_b32 v26, v27, v30 offset0:2 offset1:34
	v_xor_b32_e32 v26, 40, v85
	v_perm_b32 v27, v40, v36, s59
	v_perm_b32 v28, v32, v28, s59
	v_add_u32_e32 v26, 0x80, v26
	ds_write2st64_b32 v26, v27, v28 offset0:2 offset1:34
	;; [unrolled: 9-line block ×3, first 2 shown]
	ds_write_b64 v9, v[22:23] offset:16384
	v_xor_b32_e32 v22, 8, v9
	ds_write_b64 v22, v[24:25] offset:16384
	ds_write_b64 v9, v[18:19] offset:24576
	;; [unrolled: 1-line block ×4, first 2 shown]
	v_xor_b32_e32 v9, 8, v5
	ds_write_b64 v9, v[16:17] offset:16384
	ds_write_b64 v5, v[10:11] offset:24576
	;; [unrolled: 1-line block ×3, first 2 shown]
.LBB702_16:                             ;   in Loop: Header=BB702_6 Depth=1
	v_exp_f32_e32 v10, s20
	s_nop 2
	v_accvgpr_read_b32 v9, a1
	v_accvgpr_read_b32 v5, a0
	s_add_i32 s57, s57, 64
	v_fma_f32 v3, v3, v10, v9
	v_accvgpr_read_b32 v9, a4
	v_fma_f32 v6, v6, v10, v9
	v_accvgpr_read_b32 v9, a5
	;; [unrolled: 2-line block ×6, first 2 shown]
	v_fmac_f32_e32 v5, v84, v10
	s_cmp_eq_u32 s48, s35
	v_fmac_f32_e32 v9, v83, v10
	s_cbranch_scc1 .LBB702_18
; %bb.17:                               ;   in Loop: Header=BB702_6 Depth=1
	s_mov_b32 s62, s35
	v_mov_b32_e32 v84, v5
	v_mov_b32_e32 v83, v9
	s_branch .LBB702_6
.LBB702_18:
	s_lshl_b32 s42, s48, 6
	s_sub_i32 s43, s12, s42
	s_cmp_gt_i32 s43, 0
	s_waitcnt vmcnt(2)
	v_or_b32_e32 v34, s2, v50
	s_cbranch_scc1 .LBB702_20
; %bb.19:
	s_ashr_i32 s0, s33, 31
	s_add_u32 s24, s45, s33
	s_addc_u32 s25, s51, s0
	v_or_b32_e32 v10, s2, v50
	s_cbranch_execz .LBB702_21
	s_branch .LBB702_77
.LBB702_20:
                                        ; implicit-def: $sgpr24_sgpr25
                                        ; implicit-def: $vgpr10
.LBB702_21:
	s_ashr_i32 s35, s47, 31
	s_ashr_i32 s3, s42, 31
	s_cmpk_lg_i32 s15, 0x80
	s_cselect_b64 s[38:39], -1, 0
	s_and_b64 vcc, exec, s[38:39]
	s_cbranch_vccz .LBB702_23
; %bb.22:
	s_mul_i32 s1, s47, s12
	s_mul_hi_i32 s0, s47, s12
	s_add_u32 s1, s1, s42
	s_addc_u32 s0, s0, s3
	s_mul_i32 s20, s1, s49
	s_mul_hi_u32 s21, s1, s14
	s_add_i32 s20, s21, s20
	s_mul_i32 s0, s0, s14
	s_add_i32 s20, s20, s0
	s_mul_i32 s1, s1, s14
	s_ashr_i32 s0, s52, 31
	s_add_u32 s40, s1, s52
	s_addc_u32 s41, s20, s0
	s_cbranch_execz .LBB702_24
	s_branch .LBB702_25
.LBB702_23:
                                        ; implicit-def: $sgpr40_sgpr41
.LBB702_24:
	s_mul_hi_i32 s0, s47, s14
	s_mul_i32 s47, s47, s14
	s_ashr_i32 s1, s52, 31
	s_add_u32 s14, s47, s52
	s_addc_u32 s0, s0, s1
	s_mul_i32 s1, s14, s46
	s_mul_hi_u32 s20, s14, s12
	s_add_i32 s1, s20, s1
	s_mul_i32 s0, s0, s12
	s_add_i32 s1, s1, s0
	s_mul_i32 s14, s14, s12
	s_add_u32 s40, s14, s42
	s_addc_u32 s41, s1, s3
.LBB702_25:
	s_add_i32 s20, s50, s48
	s_ashr_i32 s14, s33, 31
	s_add_u32 s24, s45, s33
	s_addc_u32 s25, s51, s14
	s_mul_i32 s0, s24, s46
	s_mul_hi_u32 s1, s24, s12
	s_add_i32 s0, s1, s0
	s_mul_i32 s1, s25, s12
	s_add_i32 s1, s0, s1
	s_mul_i32 s0, s24, s12
	s_add_u32 s0, s0, s42
	s_addc_u32 s1, s1, s3
	s_mov_b32 s3, 0x7060302
	v_lshlrev_b32_e32 v14, 3, v50
	s_lshl_b64 s[26:27], s[0:1], 8
	v_perm_b32 v11, v5, v4, s3
	v_perm_b32 v10, v3, v2, s3
	;; [unrolled: 1-line block ×4, first 2 shown]
	v_lshlrev_b32_e32 v44, 2, v50
	v_lshl_or_b32 v14, v1, 5, v14
	s_add_u32 s0, s6, s26
	ds_write2st64_b64 v14, v[10:11], v[12:13] offset0:72 offset1:76
	v_xor_b32_e32 v14, v1, v44
	v_lshlrev_b32_e32 v15, 8, v50
	s_addc_u32 s1, s7, s27
	v_lshl_or_b32 v14, v14, 1, v15
	s_mul_hi_i32 s3, s20, s13
	s_mul_i32 s20, s20, s13
	ds_write_b64 v14, v[10:11] offset:32768
	v_xor_b32_e32 v10, v53, v44
	s_add_u32 s6, s20, s33
	v_lshl_or_b32 v10, v10, 1, v15
	s_addc_u32 s7, s3, s14
	v_lshlrev_b32_e32 v11, 1, v50
	ds_write_b64 v10, v[12:13] offset:32768
	v_lshrrev_b32_e32 v10, 4, v0
	s_ashr_i32 s3, s2, 31
	s_lshl_b64 s[6:7], s[6:7], 15
	v_or_b32_e32 v12, 1, v11
	s_waitcnt lgkmcnt(0)
	s_add_u32 s6, s36, s6
	v_xor_b32_e32 v11, v10, v11
	v_xor_b32_e32 v12, v12, v10
	v_lshlrev_b32_e32 v14, 8, v10
	s_addc_u32 s7, s37, s7
	s_lshl_b64 s[2:3], s[2:3], 8
	v_lshl_or_b32 v10, v11, 3, v14
	v_lshl_or_b32 v12, v12, 3, v14
	s_barrier
	s_add_u32 s2, s6, s2
	ds_read_b64 v[10:11], v10 offset:32768
	ds_read_b64 v[12:13], v12 offset:32768
	s_addc_u32 s3, s7, s3
	v_mov_b32_e32 v15, 0
	s_cmp_lg_u32 s43, 64
	v_lshl_add_u64 v[16:17], s[2:3], 0, v[14:15]
	v_lshlrev_b32_e32 v14, 4, v50
	s_cselect_b64 s[6:7], -1, 0
	v_lshl_or_b32 v35, v46, 3, v52
	s_mov_b32 s20, 0
	v_lshl_add_u64 v[14:15], v[16:17], 0, v[14:15]
	s_waitcnt vmcnt(1)
	v_or_b32_e32 v27, 32, v35
	v_and_b32_e32 v26, 56, v51
	s_and_b64 vcc, exec, s[6:7]
	s_waitcnt lgkmcnt(0)
	global_store_dwordx4 v[14:15], v[10:13], off
	s_cbranch_vccz .LBB702_31
; %bb.26:
	s_mov_b32 s21, s20
	s_mov_b32 s22, s20
	;; [unrolled: 1-line block ×3, first 2 shown]
	v_mov_b64_e32 v[14:15], s[20:21]
	v_mov_b64_e32 v[16:17], s[22:23]
	;; [unrolled: 1-line block ×3, first 2 shown]
	v_cmp_gt_i32_e32 vcc, s43, v35
	v_mov_b64_e32 v[12:13], v[16:17]
	s_and_saveexec_b64 s[2:3], vcc
	s_cbranch_execz .LBB702_28
; %bb.27:
	v_lshlrev_b32_e32 v10, 8, v35
	v_mov_b32_e32 v11, 0
	v_lshl_add_u64 v[12:13], s[0:1], 0, v[10:11]
	v_lshlrev_b32_e32 v10, 1, v26
	v_lshl_add_u64 v[18:19], v[12:13], 0, v[10:11]
	global_load_dwordx4 v[14:17], v[18:19], off
	global_load_dwordx4 v[10:13], v[18:19], off offset:128
.LBB702_28:
	s_or_b64 exec, exec, s[2:3]
	s_mov_b32 s22, s20
	s_mov_b32 s23, s20
	;; [unrolled: 1-line block ×3, first 2 shown]
	v_mov_b64_e32 v[24:25], s[22:23]
	v_mov_b64_e32 v[22:23], s[20:21]
	;; [unrolled: 1-line block ×3, first 2 shown]
	v_cmp_gt_i32_e32 vcc, s43, v27
	v_lshlrev_b32_e32 v28, 7, v27
	v_mov_b64_e32 v[20:21], v[24:25]
	s_and_saveexec_b64 s[2:3], vcc
	s_cbranch_execz .LBB702_30
; %bb.29:
	v_lshlrev_b32_e32 v18, 1, v28
	v_mov_b32_e32 v19, 0
	v_lshl_add_u64 v[20:21], s[0:1], 0, v[18:19]
	v_lshlrev_b32_e32 v18, 1, v26
	v_lshl_add_u64 v[30:31], v[20:21], 0, v[18:19]
	global_load_dwordx4 v[22:25], v[30:31], off
	global_load_dwordx4 v[18:21], v[30:31], off offset:128
.LBB702_30:
	s_or_b64 exec, exec, s[2:3]
	v_lshrrev_b32_e32 v29, 3, v26
	v_lshlrev_b32_e32 v30, 3, v35
	v_or_b32_e32 v29, v30, v29
	v_lshlrev_b32_e32 v29, 4, v29
	v_and_b32_e32 v30, 0x78, v30
	v_xor_b32_e32 v29, v29, v30
	s_branch .LBB702_33
.LBB702_31:
                                        ; implicit-def: $vgpr29
                                        ; implicit-def: $vgpr28
                                        ; implicit-def: $vgpr14_vgpr15_vgpr16_vgpr17
                                        ; implicit-def: $vgpr10_vgpr11_vgpr12_vgpr13
                                        ; implicit-def: $vgpr22_vgpr23_vgpr24_vgpr25
                                        ; implicit-def: $vgpr18_vgpr19_vgpr20_vgpr21
	s_cbranch_execz .LBB702_33
; %bb.32:
	s_waitcnt vmcnt(0)
	v_lshlrev_b32_e32 v10, 1, v26
	v_lshl_or_b32 v28, v35, 8, v10
	s_and_b32 s1, s1, 0xffff
	s_mov_b32 s3, 0x20000
	s_movk_i32 s2, 0x4000
	v_lshl_or_b32 v29, v27, 8, v10
	s_movk_i32 s13, 0x80
	buffer_load_dwordx4 v[14:17], v28, s[0:3], 0 offen
	buffer_load_dwordx4 v[10:13], v28, s[0:3], s13 offen
	;; [unrolled: 1-line block ×4, first 2 shown]
	v_lshrrev_b32_e32 v28, 3, v26
	v_lshlrev_b32_e32 v29, 3, v35
	v_or_b32_e32 v28, v29, v28
	v_lshlrev_b32_e32 v28, 4, v28
	v_and_b32_e32 v29, 0x78, v29
	v_xor_b32_e32 v29, v28, v29
	v_lshlrev_b32_e32 v28, 7, v27
.LBB702_33:
	s_lshl_b64 s[0:1], s[40:41], 8
	s_add_u32 s4, s4, s0
	s_movk_i32 s0, 0x1000
	v_and_or_b32 v27, v28, s0, v29
	s_waitcnt vmcnt(1)
	ds_write_b64 v29, v[14:15] offset:16384
	v_xor_b32_e32 v14, 8, v29
	s_addc_u32 s5, s5, s1
	ds_write_b64 v14, v[16:17] offset:16384
	s_waitcnt vmcnt(0)
	ds_write_b64 v29, v[10:11] offset:24576
	ds_write_b64 v14, v[12:13] offset:24576
	;; [unrolled: 1-line block ×3, first 2 shown]
	v_xor_b32_e32 v10, 8, v27
	s_add_i32 s0, s44, s17
	s_mul_i32 s35, s35, s16
	ds_write_b64 v10, v[24:25] offset:16384
	ds_write_b64 v27, v[18:19] offset:24576
	;; [unrolled: 1-line block ×3, first 2 shown]
	s_add_i32 s35, s0, s35
	s_mul_i32 s0, s33, s19
	s_mul_hi_u32 s1, s33, s18
	v_or_b32_e32 v10, v47, v50
	s_add_i32 s0, s1, s0
	s_mul_i32 s1, s14, s18
	v_lshlrev_b32_e32 v10, 3, v10
	v_lshrrev_b32_e32 v12, 5, v48
	s_movk_i32 s14, 0xf8
	v_and_or_b32 v12, v10, s14, v12
	v_lshlrev_b32_e32 v45, 11, v46
	v_lshlrev_b32_e32 v20, 4, v12
	v_and_b32_e32 v21, 0x78, v10
	v_and_b32_e32 v22, 0x1000, v45
	v_lshlrev_b32_e32 v11, 2, v0
	v_xor_b32_e32 v10, v20, v21
	v_lshrrev_b32_e32 v12, 1, v48
	v_and_b32_e32 v11, 60, v11
	v_or_b32_e32 v10, v10, v22
	v_and_b32_e32 v23, 8, v12
	v_xor_b32_e32 v36, v10, v23
	v_lshl_or_b32 v10, v49, 6, v11
	v_lshlrev_b32_e32 v49, 1, v10
	v_or_b32_e32 v10, 32, v20
	v_xor_b32_e32 v10, v10, v21
	s_waitcnt lgkmcnt(0)
	s_barrier
	ds_read_b64 v[18:19], v36 offset:16384
	v_or_b32_e32 v10, v10, v22
	v_xor_b32_e32 v37, v10, v23
	v_or_b32_e32 v10, 64, v20
	v_xor_b32_e32 v10, v10, v21
	v_or_b32_e32 v10, v10, v22
	v_or_b32_e32 v20, 0x60, v20
	v_xor_b32_e32 v38, v10, v23
	ds_read2st64_b64 v[10:13], v49 offset0:72 offset1:73
	ds_read2st64_b64 v[14:17], v49 offset0:74 offset1:75
	v_xor_b32_e32 v24, v20, v21
	ds_read_b64 v[20:21], v37 offset:16384
	s_waitcnt lgkmcnt(2)
	v_mfma_f32_16x16x16_bf16 a[0:3], v[18:19], v[10:11], 0
	s_add_i32 s2, s12, -1
	s_ashr_i32 s3, s2, 31
	s_mul_i32 s12, s2, s31
	s_mul_hi_u32 s13, s2, s30
	s_add_i32 s12, s13, s12
	s_mul_i32 s3, s3, s30
	v_or_b32_e32 v22, v24, v22
	s_add_i32 s1, s0, s1
	s_add_i32 s3, s12, s3
	s_lshl_b64 s[12:13], s[34:35], 2
	v_xor_b32_e32 v50, v22, v23
	ds_read_b64 v[22:23], v38 offset:16384
	ds_read_b64 v[24:25], v50 offset:16384
	s_waitcnt lgkmcnt(2)
	v_mfma_f32_16x16x16_bf16 a[0:3], v[20:21], v[12:13], a[0:3]
	s_mul_i32 s0, s33, s18
	s_add_u32 s10, s10, s12
	s_addc_u32 s11, s11, s13
	s_lshl_b64 s[0:1], s[0:1], 2
	s_mul_i32 s2, s2, s30
	s_add_u32 s10, s10, s0
	s_addc_u32 s11, s11, s1
	s_lshl_b64 s[0:1], s[2:3], 2
	s_waitcnt lgkmcnt(1)
	v_mfma_f32_16x16x16_bf16 a[0:3], v[22:23], v[14:15], a[0:3]
	s_add_u32 s0, s10, s0
	s_addc_u32 s1, s11, s1
	s_load_dword s12, s[0:1], 0x0
	s_waitcnt lgkmcnt(0)
	v_mfma_f32_16x16x16_bf16 a[0:3], v[24:25], v[16:17], a[0:3]
	s_and_b64 vcc, exec, s[38:39]
	s_cbranch_vccz .LBB702_44
; %bb.34:
	v_lshlrev_b32_e32 v27, 1, v35
	s_and_b64 vcc, exec, s[6:7]
	s_cbranch_vccz .LBB702_45
; %bb.35:
	v_cmp_gt_i32_e32 vcc, s43, v27
	v_mov_b32_e32 v14, 0
	v_mov_b32_e32 v10, 0
	;; [unrolled: 1-line block ×5, first 2 shown]
	s_and_saveexec_b64 s[0:1], vcc
	s_cbranch_execz .LBB702_37
; %bb.36:
	v_mad_i64_i32 v[10:11], s[2:3], s15, v27, 0
	v_lshl_add_u64 v[10:11], v[10:11], 1, s[4:5]
	v_lshlrev_b32_e32 v12, 1, v26
	v_mov_b32_e32 v13, 0
	v_lshl_add_u64 v[10:11], v[10:11], 0, v[12:13]
	global_load_dwordx4 v[10:13], v[10:11], off
.LBB702_37:
	s_or_b64 exec, exec, s[0:1]
	v_or_b32_e32 v28, 1, v27
	v_cmp_gt_i32_e64 s[0:1], s43, v28
	v_mov_b32_e32 v15, 0
	v_mov_b32_e32 v16, 0
	;; [unrolled: 1-line block ×3, first 2 shown]
	s_and_saveexec_b64 s[2:3], s[0:1]
	s_cbranch_execz .LBB702_39
; %bb.38:
	v_mad_i64_i32 v[14:15], s[16:17], s15, v28, 0
	v_lshl_add_u64 v[14:15], v[14:15], 1, s[4:5]
	v_lshlrev_b32_e32 v16, 1, v26
	v_mov_b32_e32 v17, 0
	v_lshl_add_u64 v[14:15], v[14:15], 0, v[16:17]
	global_load_dwordx4 v[14:17], v[14:15], off
.LBB702_39:
	s_or_b64 exec, exec, s[2:3]
	v_mov_b32_e32 v25, 0
	v_mov_b32_e32 v18, 0
	;; [unrolled: 1-line block ×5, first 2 shown]
	s_and_saveexec_b64 s[2:3], vcc
	s_cbranch_execz .LBB702_41
; %bb.40:
	v_mad_i64_i32 v[18:19], s[16:17], s15, v27, 0
	v_lshl_add_u64 v[18:19], v[18:19], 1, s[4:5]
	v_lshlrev_b32_e32 v20, 1, v26
	v_mov_b32_e32 v21, 0
	v_lshl_add_u64 v[18:19], v[18:19], 0, v[20:21]
	global_load_dwordx4 v[18:21], v[18:19], off offset:128
.LBB702_41:
	s_or_b64 exec, exec, s[2:3]
	v_mov_b32_e32 v24, 0
	v_mov_b32_e32 v23, 0
	;; [unrolled: 1-line block ×3, first 2 shown]
	s_and_saveexec_b64 s[2:3], s[0:1]
	s_cbranch_execz .LBB702_43
; %bb.42:
	v_mad_i64_i32 v[22:23], s[0:1], s15, v28, 0
	v_lshl_add_u64 v[22:23], v[22:23], 1, s[4:5]
	v_lshlrev_b32_e32 v24, 1, v26
	v_mov_b32_e32 v25, 0
	v_lshl_add_u64 v[22:23], v[22:23], 0, v[24:25]
	global_load_dwordx4 v[22:25], v[22:23], off offset:128
.LBB702_43:
	s_or_b64 exec, exec, s[2:3]
	s_branch .LBB702_47
.LBB702_44:
                                        ; implicit-def: $vgpr13
                                        ; implicit-def: $vgpr17
                                        ; implicit-def: $vgpr21
                                        ; implicit-def: $vgpr25
	v_lshrrev_b32_e32 v48, 2, v48
	s_branch .LBB702_48
.LBB702_45:
                                        ; implicit-def: $vgpr13
                                        ; implicit-def: $vgpr17
                                        ; implicit-def: $vgpr21
                                        ; implicit-def: $vgpr25
	s_cbranch_execz .LBB702_47
; %bb.46:
	s_waitcnt vmcnt(0)
	v_mad_u64_u32 v[10:11], s[0:1], v27, s15, v[26:27]
	v_lshlrev_b32_e32 v27, 1, v10
	s_lshl_b32 s2, s15, 7
	s_and_b32 s1, s5, 0xffff
	s_mov_b32 s3, 0x20000
	s_mov_b32 s0, s4
	v_add_lshl_u32 v28, v10, s15, 1
	s_movk_i32 s13, 0x80
	buffer_load_dwordx4 v[10:13], v27, s[0:3], 0 offen
	buffer_load_dwordx4 v[18:21], v27, s[0:3], s13 offen
	buffer_load_dwordx4 v[14:17], v28, s[0:3], 0 offen
	buffer_load_dwordx4 v[22:25], v28, s[0:3], s13 offen
.LBB702_47:
	v_lshrrev_b32_e32 v48, 2, v48
	s_cbranch_execnz .LBB702_60
.LBB702_48:
	s_and_b64 vcc, exec, s[6:7]
	s_cbranch_vccz .LBB702_58
; %bb.49:
	s_waitcnt vmcnt(0)
	v_lshlrev_b32_e32 v15, 1, v35
	v_cmp_gt_i32_e32 vcc, s43, v15
	v_mov_b32_e32 v14, 0
	v_lshlrev_b32_e32 v22, 9, v35
	v_mov_b32_e32 v10, 0
	v_mov_b32_e32 v11, 0
	;; [unrolled: 1-line block ×4, first 2 shown]
	s_and_saveexec_b64 s[0:1], vcc
	s_cbranch_execz .LBB702_51
; %bb.50:
	v_mov_b32_e32 v23, 0
	v_lshl_add_u64 v[10:11], s[4:5], 0, v[22:23]
	v_lshlrev_b32_e32 v12, 1, v26
	v_mov_b32_e32 v13, v23
	v_lshl_add_u64 v[10:11], v[10:11], 0, v[12:13]
	global_load_dwordx4 v[10:13], v[10:11], off
.LBB702_51:
	s_or_b64 exec, exec, s[0:1]
	v_or_b32_e32 v15, 1, v15
	v_cmp_gt_i32_e64 s[0:1], s43, v15
	v_lshlrev_b32_e32 v28, 8, v15
	v_mov_b32_e32 v15, 0
	v_mov_b32_e32 v16, 0
	;; [unrolled: 1-line block ×3, first 2 shown]
	s_and_saveexec_b64 s[2:3], s[0:1]
	s_cbranch_execz .LBB702_53
; %bb.52:
	v_mov_b32_e32 v29, 0
	v_lshl_add_u64 v[14:15], s[4:5], 0, v[28:29]
	v_lshlrev_b32_e32 v16, 1, v26
	v_mov_b32_e32 v17, v29
	v_lshl_add_u64 v[14:15], v[14:15], 0, v[16:17]
	global_load_dwordx4 v[14:17], v[14:15], off
.LBB702_53:
	s_or_b64 exec, exec, s[2:3]
	v_mov_b32_e32 v25, 0
	v_mov_b32_e32 v18, 0
	v_mov_b32_e32 v19, 0
	v_mov_b32_e32 v20, 0
	v_mov_b32_e32 v21, 0
	s_and_saveexec_b64 s[2:3], vcc
	s_cbranch_execz .LBB702_55
; %bb.54:
	v_mov_b32_e32 v23, 0
	v_lshl_add_u64 v[18:19], s[4:5], 0, v[22:23]
	v_lshlrev_b32_e32 v22, 1, v26
	v_lshl_add_u64 v[18:19], v[18:19], 0, v[22:23]
	global_load_dwordx4 v[18:21], v[18:19], off offset:128
.LBB702_55:
	s_or_b64 exec, exec, s[2:3]
	v_mov_b32_e32 v24, 0
	v_mov_b32_e32 v23, 0
	;; [unrolled: 1-line block ×3, first 2 shown]
	s_and_saveexec_b64 s[2:3], s[0:1]
	s_cbranch_execz .LBB702_57
; %bb.56:
	v_mov_b32_e32 v29, 0
	v_lshl_add_u64 v[22:23], s[4:5], 0, v[28:29]
	v_lshlrev_b32_e32 v28, 1, v26
	v_lshl_add_u64 v[22:23], v[22:23], 0, v[28:29]
	global_load_dwordx4 v[22:25], v[22:23], off offset:128
.LBB702_57:
	s_or_b64 exec, exec, s[2:3]
	s_branch .LBB702_60
.LBB702_58:
                                        ; implicit-def: $vgpr13
                                        ; implicit-def: $vgpr17
                                        ; implicit-def: $vgpr21
                                        ; implicit-def: $vgpr25
	s_cbranch_execz .LBB702_60
; %bb.59:
	s_waitcnt vmcnt(0)
	v_lshlrev_b32_e32 v10, 1, v26
	v_lshl_or_b32 v26, v35, 9, v10
	s_and_b32 s5, s5, 0xffff
	s_mov_b32 s7, 0x20000
	s_movk_i32 s6, 0x4000
	s_movk_i32 s0, 0x80
	buffer_load_dwordx4 v[10:13], v26, s[4:7], 0 offen
	buffer_load_dwordx4 v[14:17], v26, s[4:7], 0 offen offset:256
	buffer_load_dwordx4 v[18:21], v26, s[4:7], s0 offen
	buffer_load_dwordx4 v[22:25], v26, s[4:7], s0 offen offset:256
.LBB702_60:
	ds_read2st64_b64 v[30:33], v49 offset0:76 offset1:77
	ds_read2st64_b64 v[26:29], v49 offset0:78 offset1:79
	ds_read_b64 v[40:41], v36 offset:24576
	ds_read_b64 v[42:43], v37 offset:24576
	;; [unrolled: 1-line block ×4, first 2 shown]
	v_and_b32_e32 v50, 6, v0
	v_xor_b32_e32 v35, v35, v50
	v_lshlrev_b32_e32 v35, 2, v35
	v_and_b32_e32 v51, 1, v0
	v_xor_b32_e32 v52, 0x440, v35
	v_cmp_eq_u32_e32 vcc, 0, v51
	s_mov_b32 s0, 0x1000504
	s_waitcnt vmcnt(0)
	v_perm_b32 v51, v18, v22, s0
	v_cndmask_b32_e32 v35, v52, v35, vcc
	v_lshl_or_b32 v35, v50, 10, v35
	v_perm_b32 v50, v10, v14, s0
	ds_write2st64_b32 v35, v50, v51 offset1:32
	v_xor_b32_e32 v50, 8, v35
	s_mov_b32 s1, 0x3020706
	v_perm_b32 v10, v10, v14, s1
	v_perm_b32 v14, v18, v22, s1
	v_add_u32_e32 v18, 0x80, v50
	ds_write2st64_b32 v18, v10, v14 offset1:32
	v_xor_b32_e32 v10, 16, v35
	v_perm_b32 v14, v11, v15, s0
	v_perm_b32 v18, v19, v23, s0
	ds_write2st64_b32 v10, v14, v18 offset0:1 offset1:33
	v_xor_b32_e32 v10, 24, v35
	v_perm_b32 v11, v11, v15, s1
	v_perm_b32 v14, v19, v23, s1
	v_add_u32_e32 v10, 0x80, v10
	ds_write2st64_b32 v10, v11, v14 offset0:1 offset1:33
	v_xor_b32_e32 v10, 32, v35
	v_perm_b32 v11, v12, v16, s0
	v_perm_b32 v14, v20, v24, s0
	ds_write2st64_b32 v10, v11, v14 offset0:2 offset1:34
	v_xor_b32_e32 v10, 40, v35
	v_perm_b32 v11, v12, v16, s1
	v_perm_b32 v12, v20, v24, s1
	v_add_u32_e32 v10, 0x80, v10
	ds_write2st64_b32 v10, v11, v12 offset0:2 offset1:34
	v_xor_b32_e32 v10, 48, v35
	v_perm_b32 v11, v13, v17, s0
	v_perm_b32 v12, v21, v25, s0
	ds_write2st64_b32 v10, v11, v12 offset0:3 offset1:35
	v_xor_b32_e32 v10, 56, v35
	v_and_or_b32 v16, v48, 12, v47
	v_perm_b32 v11, v13, v17, s1
	v_perm_b32 v12, v21, v25, s1
	v_add_u32_e32 v10, 0x80, v10
	v_cmp_gt_i32_e32 vcc, s43, v16
	v_mov_b32_e32 v17, 0
	v_mov_b32_e32 v21, 0
	ds_write2st64_b32 v10, v11, v12 offset0:3 offset1:35
	s_and_saveexec_b64 s[0:1], vcc
	s_cbranch_execz .LBB702_62
; %bb.61:
	v_add_u32_e32 v10, s42, v16
	v_ashrrev_i32_e32 v11, 31, v10
	v_mul_lo_u32 v12, v11, s30
	v_mul_lo_u32 v13, v10, s31
	v_mad_u64_u32 v[10:11], s[2:3], v10, s30, 0
	v_add3_u32 v11, v11, v13, v12
	v_lshl_add_u64 v[10:11], v[10:11], 2, s[10:11]
	global_load_dword v10, v[10:11], off
	s_waitcnt vmcnt(0)
	v_sub_f32_e32 v10, s12, v10
	v_exp_f32_e32 v21, v10
.LBB702_62:
	s_or_b64 exec, exec, s[0:1]
	v_or_b32_e32 v19, 1, v16
	v_cmp_gt_i32_e64 s[0:1], s43, v19
	s_and_saveexec_b64 s[2:3], s[0:1]
	s_cbranch_execz .LBB702_64
; %bb.63:
	v_add_u32_e32 v10, s42, v19
	v_ashrrev_i32_e32 v11, 31, v10
	v_mul_lo_u32 v12, v11, s30
	v_mul_lo_u32 v13, v10, s31
	v_mad_u64_u32 v[10:11], s[4:5], v10, s30, 0
	v_add3_u32 v11, v11, v13, v12
	v_lshl_add_u64 v[10:11], v[10:11], 2, s[10:11]
	global_load_dword v10, v[10:11], off
	s_waitcnt vmcnt(0)
	v_sub_f32_e32 v10, s12, v10
	v_exp_f32_e32 v17, v10
.LBB702_64:
	s_or_b64 exec, exec, s[2:3]
	v_or_b32_e32 v20, 2, v16
	v_cmp_gt_i32_e64 s[2:3], s43, v20
	v_mov_b32_e32 v18, 0
	v_mov_b32_e32 v23, 0
	s_and_saveexec_b64 s[4:5], s[2:3]
	s_cbranch_execz .LBB702_66
; %bb.65:
	v_add_u32_e32 v10, s42, v20
	v_ashrrev_i32_e32 v11, 31, v10
	v_mul_lo_u32 v12, v11, s30
	v_mul_lo_u32 v13, v10, s31
	v_mad_u64_u32 v[10:11], s[6:7], v10, s30, 0
	v_add3_u32 v11, v11, v13, v12
	v_lshl_add_u64 v[10:11], v[10:11], 2, s[10:11]
	global_load_dword v10, v[10:11], off
	s_waitcnt vmcnt(0)
	v_sub_f32_e32 v10, s12, v10
	v_exp_f32_e32 v23, v10
.LBB702_66:
	s_or_b64 exec, exec, s[4:5]
	v_or_b32_e32 v22, 3, v16
	v_cmp_gt_i32_e64 s[4:5], s43, v22
	s_and_saveexec_b64 s[6:7], s[4:5]
	s_cbranch_execz .LBB702_68
; %bb.67:
	v_add_u32_e32 v10, s42, v22
	v_ashrrev_i32_e32 v11, 31, v10
	v_mul_lo_u32 v12, v11, s30
	v_mul_lo_u32 v13, v10, s31
	v_mad_u64_u32 v[10:11], s[14:15], v10, s30, 0
	v_add3_u32 v11, v11, v13, v12
	v_lshl_add_u64 v[10:11], v[10:11], 2, s[10:11]
	global_load_dword v10, v[10:11], off
	s_waitcnt vmcnt(0)
	v_sub_f32_e32 v10, s12, v10
	v_exp_f32_e32 v18, v10
.LBB702_68:
	s_or_b64 exec, exec, s[6:7]
	s_waitcnt lgkmcnt(11)
	v_mfma_f32_16x16x16_bf16 a[0:3], v[40:41], v[30:31], a[0:3]
	s_add_u32 s6, s8, s26
	v_ashrrev_i32_e32 v35, 31, v34
	s_addc_u32 s7, s9, s27
	s_waitcnt lgkmcnt(10)
	v_mfma_f32_16x16x16_bf16 a[0:3], v[42:43], v[32:33], a[0:3]
	v_mov_b32_e32 v24, 0
	v_lshl_add_u64 v[14:15], v[34:35], 1, s[6:7]
	v_mov_b32_e32 v25, 0
	s_waitcnt lgkmcnt(9)
	v_mfma_f32_16x16x16_bf16 a[0:3], v[38:39], v[26:27], a[0:3]
	s_waitcnt lgkmcnt(8)
	v_mfma_f32_16x16x16_bf16 a[0:3], v[36:37], v[28:29], a[0:3]
	s_nop 6
	v_accvgpr_read_b32 v13, a3
	v_accvgpr_read_b32 v12, a2
	;; [unrolled: 1-line block ×4, first 2 shown]
	s_and_saveexec_b64 s[6:7], vcc
	s_cbranch_execz .LBB702_70
; %bb.69:
	v_lshlrev_b32_e32 v26, 8, v16
	v_mov_b32_e32 v27, 0
	v_lshl_add_u64 v[26:27], v[14:15], 0, v[26:27]
	global_load_ushort v25, v[26:27], off
	s_waitcnt vmcnt(0)
	v_lshlrev_b32_e32 v25, 16, v25
	v_sub_f32_e32 v10, v25, v10
	v_mul_f32_e32 v10, v21, v10
	v_lshrrev_b32_e32 v25, 16, v10
.LBB702_70:
	s_or_b64 exec, exec, s[6:7]
	s_and_saveexec_b64 s[6:7], s[0:1]
	s_cbranch_execz .LBB702_72
; %bb.71:
	v_lshlrev_b32_e32 v26, 8, v19
	v_mov_b32_e32 v27, 0
	v_lshl_add_u64 v[26:27], v[14:15], 0, v[26:27]
	global_load_ushort v10, v[26:27], off
	s_waitcnt vmcnt(0)
	v_lshlrev_b32_e32 v10, 16, v10
	v_sub_f32_e32 v10, v10, v11
	v_mul_f32_e32 v10, v17, v10
	v_lshrrev_b32_e32 v24, 16, v10
.LBB702_72:
	s_or_b64 exec, exec, s[6:7]
	v_mov_b32_e32 v11, 0
	v_mov_b32_e32 v17, 0
	s_and_saveexec_b64 s[0:1], s[2:3]
	s_cbranch_execz .LBB702_74
; %bb.73:
	v_lshlrev_b32_e32 v20, 8, v20
	v_mov_b32_e32 v21, 0
	v_lshl_add_u64 v[20:21], v[14:15], 0, v[20:21]
	global_load_ushort v10, v[20:21], off
	s_waitcnt vmcnt(0)
	v_lshlrev_b32_e32 v10, 16, v10
	v_sub_f32_e32 v10, v10, v12
	v_mul_f32_e32 v10, v23, v10
	v_lshrrev_b32_e32 v17, 16, v10
.LBB702_74:
	s_or_b64 exec, exec, s[0:1]
	v_or_b32_e32 v10, 0x9800, v49
	s_and_saveexec_b64 s[0:1], s[4:5]
	s_cbranch_execz .LBB702_76
; %bb.75:
	v_lshlrev_b32_e32 v20, 8, v22
	v_mov_b32_e32 v21, 0
	v_lshl_add_u64 v[14:15], v[14:15], 0, v[20:21]
	global_load_ushort v11, v[14:15], off
	s_waitcnt vmcnt(0)
	v_lshlrev_b32_e32 v11, 16, v11
	v_sub_f32_e32 v11, v11, v13
	v_mul_f32_e32 v11, v18, v11
	v_lshrrev_b32_e32 v11, 16, v11
.LBB702_76:
	s_or_b64 exec, exec, s[0:1]
	s_mov_b32 s0, 0x5040100
	v_perm_b32 v13, v11, v17, s0
	v_lshlrev_b32_e32 v11, 1, v44
	v_perm_b32 v12, v24, v25, s0
	v_lshl_or_b32 v11, v16, 5, v11
	s_movk_i32 s0, 0xff
	ds_write_b64 v11, v[12:13] offset:38912
	v_and_b32_e32 v11, 7, v0
	v_and_b32_e32 v12, 8, v0
	v_cmp_lt_u32_e32 vcc, s0, v0
	v_lshrrev_b32_e32 v0, 1, v0
	v_lshlrev_b32_e32 v22, 3, v11
	v_lshlrev_b32_e32 v23, 7, v11
	v_cndmask_b32_e64 v11, 0, 1, vcc
	v_lshlrev_b32_e32 v25, 3, v46
	v_and_b32_e32 v0, 24, v0
	v_lshlrev_b32_e32 v24, 13, v11
	v_xor_b32_e32 v11, v25, v0
	v_or_b32_e32 v13, 0x440, v11
	v_cmp_eq_u32_e32 vcc, 0, v12
	s_waitcnt lgkmcnt(0)
	s_barrier
	v_cndmask_b32_e32 v11, v13, v11, vcc
	v_or_b32_e32 v11, v11, v45
	v_xad_u32 v26, v11, v22, v23
	v_add_u32_e32 v11, v24, v26
	ds_read_b64 v[20:21], v11
	ds_read2st64_b64 v[12:15], v10 offset1:1
	ds_read2st64_b64 v[16:19], v10 offset0:2 offset1:3
	v_or_b32_e32 v10, 32, v0
	v_xor_b32_e32 v10, v25, v10
	v_or_b32_e32 v11, 0x440, v10
	v_cndmask_b32_e32 v10, v11, v10, vcc
	v_or_b32_e32 v10, v10, v45
	v_xad_u32 v27, v10, v22, v23
	v_add_u32_e32 v10, v24, v27
	ds_read_b64 v[10:11], v10
	s_waitcnt lgkmcnt(2)
	v_mfma_f32_16x16x16_bf16 a[0:3], v[20:21], v[12:13], 0
	s_waitcnt lgkmcnt(0)
	v_mfma_f32_16x16x16_bf16 a[0:3], v[10:11], v[14:15], a[0:3]
	v_or_b32_e32 v10, 64, v0
	v_xor_b32_e32 v10, v25, v10
	v_xor_b32_e32 v11, 0x440, v10
	v_cndmask_b32_e32 v10, v11, v10, vcc
	v_or_b32_e32 v10, v10, v45
	v_or_b32_e32 v0, 0x60, v0
	v_xad_u32 v28, v10, v22, v23
	v_xor_b32_e32 v0, v25, v0
	v_add_u32_e32 v10, v24, v28
	v_xor_b32_e32 v20, 0x440, v0
	ds_read_b64 v[10:11], v10
	v_cndmask_b32_e32 v0, v20, v0, vcc
	v_or_b32_e32 v0, v0, v45
	v_xad_u32 v0, v0, v22, v23
	v_add_u32_e32 v20, v24, v0
	ds_read_b64 v[20:21], v20
	s_waitcnt lgkmcnt(1)
	v_mfma_f32_16x16x16_bf16 a[0:3], v[10:11], v[16:17], a[0:3]
	ds_read_b64 v[10:11], v26 offset:8192
	ds_read_b64 v[22:23], v28 offset:8192
	v_exp_f32_e32 v24, s12
	s_waitcnt lgkmcnt(2)
	v_mfma_f32_16x16x16_bf16 a[0:3], v[20:21], v[18:19], a[0:3]
	ds_read_b64 v[20:21], v27 offset:8192
	s_waitcnt lgkmcnt(2)
	v_mfma_f32_16x16x16_bf16 a[4:7], v[10:11], v[12:13], 0
	s_nop 3
	v_accvgpr_read_b32 v10, a0
	v_fma_f32 v12, v2, v24, v10
	ds_read_b64 v[10:11], v0 offset:8192
	s_waitcnt lgkmcnt(1)
	v_mfma_f32_16x16x16_bf16 a[4:7], v[20:21], v[14:15], a[4:7]
	v_accvgpr_read_b32 v0, a1
	v_fma_f32 v13, v3, v24, v0
	v_accvgpr_read_b32 v0, a2
	v_mfma_f32_16x16x16_bf16 a[4:7], v[22:23], v[16:17], a[4:7]
	v_accvgpr_read_b32 v15, a3
	v_fma_f32 v14, v4, v24, v0
	v_fmac_f32_e32 v15, v5, v24
	s_waitcnt lgkmcnt(0)
	v_mfma_f32_16x16x16_bf16 a[0:3], v[10:11], v[18:19], a[4:7]
	v_mov_b32_e32 v10, v34
	s_nop 5
	v_accvgpr_read_b32 v0, a0
	v_fma_f32 v16, v6, v24, v0
	v_accvgpr_read_b32 v0, a1
	v_fma_f32 v17, v7, v24, v0
	v_accvgpr_read_b32 v0, a2
	v_accvgpr_read_b32 v19, a3
	v_fma_f32 v18, v8, v24, v0
	v_fmac_f32_e32 v19, v9, v24
	v_mov_b64_e32 v[2:3], v[12:13]
	v_mov_b64_e32 v[4:5], v[14:15]
	;; [unrolled: 1-line block ×4, first 2 shown]
.LBB702_77:
	s_lshl_b64 s[0:1], s[24:25], 16
	s_waitcnt lgkmcnt(0)
	s_add_u32 s0, s28, s0
	v_lshlrev_b32_e32 v10, 7, v10
	s_addc_u32 s1, s29, s1
	v_ashrrev_i32_e32 v11, 31, v10
	v_lshl_add_u64 v[10:11], v[10:11], 2, s[0:1]
	v_lshlrev_b32_e32 v0, 2, v1
	v_mov_b32_e32 v1, 0
	v_lshl_add_u64 v[0:1], v[10:11], 0, v[0:1]
	global_store_dwordx4 v[0:1], v[2:5], off
	global_store_dwordx4 v[0:1], v[6:9], off offset:256
	s_endpgm
	.section	.rodata,"a",@progbits
	.p2align	6, 0x0
	.amdhsa_kernel _ZN12_GLOBAL__N_139chunk_gated_delta_rule_fwd_h_hip_kernelILi16ELb0ELb1ELb0ELb0ELb1ELb0ELb0ELb0EEEvPK12hip_bfloat16S3_S3_PKfS5_PKvPS1_S8_PvPKiSB_iiiiilll
		.amdhsa_group_segment_fixed_size 40960
		.amdhsa_private_segment_fixed_size 0
		.amdhsa_kernarg_size 136
		.amdhsa_user_sgpr_count 2
		.amdhsa_user_sgpr_dispatch_ptr 0
		.amdhsa_user_sgpr_queue_ptr 0
		.amdhsa_user_sgpr_kernarg_segment_ptr 1
		.amdhsa_user_sgpr_dispatch_id 0
		.amdhsa_user_sgpr_kernarg_preload_length 0
		.amdhsa_user_sgpr_kernarg_preload_offset 0
		.amdhsa_user_sgpr_private_segment_size 0
		.amdhsa_uses_dynamic_stack 0
		.amdhsa_enable_private_segment 0
		.amdhsa_system_sgpr_workgroup_id_x 1
		.amdhsa_system_sgpr_workgroup_id_y 1
		.amdhsa_system_sgpr_workgroup_id_z 0
		.amdhsa_system_sgpr_workgroup_info 0
		.amdhsa_system_vgpr_workitem_id 0
		.amdhsa_next_free_vgpr 116
		.amdhsa_next_free_sgpr 63
		.amdhsa_accum_offset 108
		.amdhsa_reserve_vcc 1
		.amdhsa_float_round_mode_32 0
		.amdhsa_float_round_mode_16_64 0
		.amdhsa_float_denorm_mode_32 3
		.amdhsa_float_denorm_mode_16_64 3
		.amdhsa_dx10_clamp 1
		.amdhsa_ieee_mode 1
		.amdhsa_fp16_overflow 0
		.amdhsa_tg_split 0
		.amdhsa_exception_fp_ieee_invalid_op 0
		.amdhsa_exception_fp_denorm_src 0
		.amdhsa_exception_fp_ieee_div_zero 0
		.amdhsa_exception_fp_ieee_overflow 0
		.amdhsa_exception_fp_ieee_underflow 0
		.amdhsa_exception_fp_ieee_inexact 0
		.amdhsa_exception_int_div_zero 0
	.end_amdhsa_kernel
	.section	.text._ZN12_GLOBAL__N_139chunk_gated_delta_rule_fwd_h_hip_kernelILi16ELb0ELb1ELb0ELb0ELb1ELb0ELb0ELb0EEEvPK12hip_bfloat16S3_S3_PKfS5_PKvPS1_S8_PvPKiSB_iiiiilll,"axG",@progbits,_ZN12_GLOBAL__N_139chunk_gated_delta_rule_fwd_h_hip_kernelILi16ELb0ELb1ELb0ELb0ELb1ELb0ELb0ELb0EEEvPK12hip_bfloat16S3_S3_PKfS5_PKvPS1_S8_PvPKiSB_iiiiilll,comdat
.Lfunc_end702:
	.size	_ZN12_GLOBAL__N_139chunk_gated_delta_rule_fwd_h_hip_kernelILi16ELb0ELb1ELb0ELb0ELb1ELb0ELb0ELb0EEEvPK12hip_bfloat16S3_S3_PKfS5_PKvPS1_S8_PvPKiSB_iiiiilll, .Lfunc_end702-_ZN12_GLOBAL__N_139chunk_gated_delta_rule_fwd_h_hip_kernelILi16ELb0ELb1ELb0ELb0ELb1ELb0ELb0ELb0EEEvPK12hip_bfloat16S3_S3_PKfS5_PKvPS1_S8_PvPKiSB_iiiiilll
                                        ; -- End function
	.section	.AMDGPU.csdata,"",@progbits
; Kernel info:
; codeLenInByte = 7776
; NumSgprs: 69
; NumVgprs: 106
; NumAgprs: 8
; TotalNumVgprs: 116
; ScratchSize: 0
; MemoryBound: 0
; FloatMode: 240
; IeeeMode: 1
; LDSByteSize: 40960 bytes/workgroup (compile time only)
; SGPRBlocks: 8
; VGPRBlocks: 14
; NumSGPRsForWavesPerEU: 69
; NumVGPRsForWavesPerEU: 116
; AccumOffset: 108
; Occupancy: 1
; WaveLimiterHint : 1
; COMPUTE_PGM_RSRC2:SCRATCH_EN: 0
; COMPUTE_PGM_RSRC2:USER_SGPR: 2
; COMPUTE_PGM_RSRC2:TRAP_HANDLER: 0
; COMPUTE_PGM_RSRC2:TGID_X_EN: 1
; COMPUTE_PGM_RSRC2:TGID_Y_EN: 1
; COMPUTE_PGM_RSRC2:TGID_Z_EN: 0
; COMPUTE_PGM_RSRC2:TIDIG_COMP_CNT: 0
; COMPUTE_PGM_RSRC3_GFX90A:ACCUM_OFFSET: 26
; COMPUTE_PGM_RSRC3_GFX90A:TG_SPLIT: 0
	.section	.text._ZN12_GLOBAL__N_139chunk_gated_delta_rule_fwd_h_hip_kernelILi16ELb0ELb0ELb1ELb0ELb1ELb0ELb0ELb0EEEvPK12hip_bfloat16S3_S3_PKfS5_PKvPS1_S8_PvPKiSB_iiiiilll,"axG",@progbits,_ZN12_GLOBAL__N_139chunk_gated_delta_rule_fwd_h_hip_kernelILi16ELb0ELb0ELb1ELb0ELb1ELb0ELb0ELb0EEEvPK12hip_bfloat16S3_S3_PKfS5_PKvPS1_S8_PvPKiSB_iiiiilll,comdat
	.globl	_ZN12_GLOBAL__N_139chunk_gated_delta_rule_fwd_h_hip_kernelILi16ELb0ELb0ELb1ELb0ELb1ELb0ELb0ELb0EEEvPK12hip_bfloat16S3_S3_PKfS5_PKvPS1_S8_PvPKiSB_iiiiilll ; -- Begin function _ZN12_GLOBAL__N_139chunk_gated_delta_rule_fwd_h_hip_kernelILi16ELb0ELb0ELb1ELb0ELb1ELb0ELb0ELb0EEEvPK12hip_bfloat16S3_S3_PKfS5_PKvPS1_S8_PvPKiSB_iiiiilll
	.p2align	8
	.type	_ZN12_GLOBAL__N_139chunk_gated_delta_rule_fwd_h_hip_kernelILi16ELb0ELb0ELb1ELb0ELb1ELb0ELb0ELb0EEEvPK12hip_bfloat16S3_S3_PKfS5_PKvPS1_S8_PvPKiSB_iiiiilll,@function
_ZN12_GLOBAL__N_139chunk_gated_delta_rule_fwd_h_hip_kernelILi16ELb0ELb0ELb1ELb0ELb1ELb0ELb0ELb0EEEvPK12hip_bfloat16S3_S3_PKfS5_PKvPS1_S8_PvPKiSB_iiiiilll: ; @_ZN12_GLOBAL__N_139chunk_gated_delta_rule_fwd_h_hip_kernelILi16ELb0ELb0ELb1ELb0ELb1ELb0ELb0ELb0EEEvPK12hip_bfloat16S3_S3_PKfS5_PKvPS1_S8_PvPKiSB_iiiiilll
; %bb.0:
	s_load_dwordx4 s[16:19], s[0:1], 0x5c
	s_load_dwordx4 s[12:15], s[0:1], 0x30
	s_abs_i32 s22, s3
	s_ashr_i32 s21, s3, 31
	s_load_dwordx8 s[4:11], s[0:1], 0x0
	s_waitcnt lgkmcnt(0)
	s_abs_i32 s20, s17
	v_cvt_f32_u32_e32 v1, s20
	s_sub_i32 s24, 0, s20
	s_ashr_i32 s23, s17, 31
	s_xor_b32 s21, s21, s23
	v_rcp_iflag_f32_e32 v1, v1
	v_lshrrev_b32_e32 v44, 6, v0
	v_bfe_u32 v45, v0, 4, 2
	v_lshlrev_b32_e32 v42, 4, v44
	v_mul_f32_e32 v1, 0x4f7ffffe, v1
	v_cvt_u32_f32_e32 v1, v1
	v_lshlrev_b32_e32 v2, 2, v45
	v_and_b32_e32 v43, 63, v0
	v_or_b32_e32 v48, v2, v42
	v_readfirstlane_b32 s25, v1
	s_mul_i32 s24, s24, s25
	s_mul_hi_u32 s24, s25, s24
	s_add_i32 s25, s25, s24
	s_mul_hi_u32 s24, s22, s25
	s_mul_i32 s25, s24, s20
	s_sub_i32 s22, s22, s25
	s_add_i32 s26, s24, 1
	s_sub_i32 s25, s22, s20
	s_cmp_ge_u32 s22, s20
	s_cselect_b32 s24, s26, s24
	s_cselect_b32 s22, s25, s22
	s_add_i32 s25, s24, 1
	s_cmp_ge_u32 s22, s20
	s_cselect_b32 s22, s25, s24
	s_xor_b32 s22, s22, s21
	s_sub_i32 s47, s22, s21
	s_abs_i32 s21, s18
	v_cvt_f32_u32_e32 v1, s21
	s_add_i32 s24, s16, 63
	s_mul_i32 s45, s47, s17
	s_sub_i32 s33, s3, s45
	v_rcp_iflag_f32_e32 v1, v1
	s_ashr_i32 s3, s24, 31
	s_ashr_i32 s46, s16, 31
	s_lshr_b32 s3, s3, 26
	v_mul_f32_e32 v1, 0x4f7ffffe, v1
	v_cvt_u32_f32_e32 v1, v1
	s_lshr_b32 s22, s46, 26
	s_add_i32 s24, s24, s3
	s_add_i32 s22, s16, s22
	s_ashr_i32 s49, s18, 31
	s_ashr_i32 s3, s24, 6
	;; [unrolled: 1-line block ×3, first 2 shown]
	s_xor_b32 s22, s23, s49
	s_sub_i32 s23, 0, s21
	v_readfirstlane_b32 s24, v1
	s_mul_i32 s23, s23, s24
	s_mul_hi_u32 s23, s24, s23
	s_add_i32 s24, s24, s23
	s_mul_hi_u32 s23, s20, s24
	s_mul_i32 s24, s23, s21
	s_sub_i32 s20, s20, s24
	s_add_i32 s24, s23, 1
	s_sub_i32 s25, s20, s21
	s_cmp_ge_u32 s20, s21
	s_cselect_b32 s23, s24, s23
	s_cselect_b32 s20, s25, s20
	s_add_i32 s24, s23, 1
	s_cmp_ge_u32 s20, s21
	s_cselect_b32 s20, s24, s23
	s_xor_b32 s20, s20, s22
	s_sub_i32 s24, s20, s22
	s_abs_i32 s25, s24
	v_cvt_f32_u32_e32 v1, s25
	s_load_dwordx2 s[34:35], s[0:1], 0x80
	s_load_dwordx4 s[20:23], s[0:1], 0x70
	s_xor_b32 s0, s33, s24
	s_sub_i32 s24, 0, s25
	v_rcp_iflag_f32_e32 v1, v1
	s_abs_i32 s1, s33
	s_ashr_i32 s0, s0, 31
	s_mul_i32 s50, s47, s3
	v_mul_f32_e32 v1, 0x4f7ffffe, v1
	v_cvt_u32_f32_e32 v1, v1
	v_or_b32_e32 v49, 64, v48
	v_mov_b32_e32 v3, 0
	s_mul_hi_i32 s51, s47, s17
	v_readfirstlane_b32 s26, v1
	s_mul_i32 s24, s24, s26
	s_mul_hi_u32 s24, s26, s24
	s_add_i32 s26, s26, s24
	s_mul_hi_u32 s24, s1, s26
	s_mul_i32 s26, s24, s25
	s_sub_i32 s1, s1, s26
	s_add_i32 s26, s24, 1
	s_sub_i32 s27, s1, s25
	s_cmp_ge_u32 s1, s25
	s_cselect_b32 s24, s26, s24
	s_cselect_b32 s1, s27, s1
	s_add_i32 s26, s24, 1
	s_cmp_ge_u32 s1, s25
	s_cselect_b32 s1, s26, s24
	s_xor_b32 s1, s1, s0
	s_sub_i32 s52, s1, s0
	s_lshl_b32 s36, s2, 4
	v_and_b32_e32 v1, 15, v0
	s_cmp_lt_i32 s16, 64
	v_lshrrev_b32_e32 v47, 3, v43
	v_lshlrev_b32_e32 v46, 3, v0
	s_waitcnt lgkmcnt(0)
	s_mul_i32 s21, s47, s21
	s_mul_hi_u32 s44, s47, s20
	s_mul_i32 s38, s47, s20
	v_mov_b32_e32 v61, 0
	v_mov_b32_e32 v34, 0
	;; [unrolled: 1-line block ×7, first 2 shown]
	s_cbranch_scc1 .LBB703_18
; %bb.1:
	s_ashr_i32 s28, s47, 31
	s_ashr_i32 s54, s33, 31
	s_add_u32 s0, s45, s33
	s_addc_u32 s1, s51, s54
	s_mul_i32 s1, s16, s1
	s_mul_hi_u32 s2, s16, s0
	s_add_i32 s3, s2, s1
	s_mul_i32 s2, s16, s0
	s_lshl_b64 s[0:1], s[2:3], 8
	v_and_b32_e32 v51, 56, v46
	s_add_u32 s24, s6, s0
	v_lshl_or_b32 v50, v44, 3, v47
	v_lshlrev_b32_e32 v3, 1, v51
	s_addc_u32 s0, s7, s1
	v_lshl_or_b32 v52, v50, 8, v3
	s_and_b32 s25, s0, 0xffff
	s_mov_b32 s27, 0x20000
	s_movk_i32 s26, 0x4000
	s_movk_i32 s0, 0x80
	v_or_b32_e32 v53, 0x2000, v52
	buffer_load_dwordx4 v[4:7], v52, s[24:27], 0 offen
	buffer_load_dwordx4 v[8:11], v52, s[24:27], s0 offen
	;; [unrolled: 1-line block ×4, first 2 shown]
	v_lshlrev_b32_e32 v20, 3, v50
	v_and_or_b32 v22, v0, 7, v20
	v_and_b32_e32 v20, 0x78, v20
	v_lshlrev_b32_e32 v22, 4, v22
	v_xor_b32_e32 v54, v22, v20
	v_mul_lo_u32 v21, v50, s19
	v_or_b32_e32 v55, 0x1000, v54
	s_cmpk_eq_i32 s19, 0x80
	s_mov_b32 s53, s18
	v_xor_b32_e32 v20, 8, v54
	v_xor_b32_e32 v22, 8, v55
	s_cselect_b64 s[0:1], -1, 0
	s_cmpk_lg_i32 s19, 0x80
	s_waitcnt vmcnt(3)
	ds_write_b64 v54, v[4:5] offset:16384
	ds_write_b64 v20, v[6:7] offset:16384
	s_waitcnt vmcnt(2)
	ds_write_b64 v54, v[8:9] offset:24576
	ds_write_b64 v20, v[10:11] offset:24576
	;; [unrolled: 3-line block ×4, first 2 shown]
	v_lshl_add_u32 v4, v21, 1, v51
	s_cbranch_scc0 .LBB703_3
; %bb.2:
	v_lshlrev_b32_e32 v6, 1, v4
	v_add_lshl_u32 v5, v4, s19, 1
	s_lshl_b32 s26, s19, 7
	v_lshl_or_b32 v3, v50, 9, v3
	s_cbranch_execz .LBB703_4
	s_branch .LBB703_5
.LBB703_3:
                                        ; implicit-def: $vgpr5
                                        ; implicit-def: $vgpr6
                                        ; implicit-def: $sgpr26
	v_lshl_or_b32 v3, v50, 9, v3
.LBB703_4:
	v_or_b32_e32 v5, 0x100, v3
	s_movk_i32 s26, 0x4000
	v_mov_b32_e32 v6, v3
.LBB703_5:
	s_mul_hi_u32 s24, s18, s16
	s_mul_i32 s25, s49, s16
	s_add_i32 s24, s24, s25
	s_mul_i32 s25, s18, s16
	s_mul_i32 s27, s25, s28
	s_mul_hi_u32 s29, s25, s47
	s_add_i32 s27, s29, s27
	s_mul_i32 s24, s24, s47
	s_add_i32 s27, s27, s24
	s_mul_i32 s25, s25, s47
	s_ashr_i32 s55, s52, 31
	s_add_u32 s24, s25, s52
	s_addc_u32 s25, s27, s55
	s_lshl_b64 s[24:25], s[24:25], 8
	s_add_u32 s24, s4, s24
	s_addc_u32 s25, s5, s25
	s_and_b32 s25, s25, 0xffff
	s_mov_b32 s27, 0x20000
	s_movk_i32 s56, 0x80
	buffer_load_dwordx4 v[8:11], v6, s[24:27], 0 offen
	buffer_load_dwordx4 v[12:15], v6, s[24:27], s56 offen
	;; [unrolled: 1-line block ×4, first 2 shown]
	v_and_b32_e32 v5, 6, v0
	s_mul_i32 s24, s28, s16
	s_mul_hi_u32 s25, s47, s16
	v_lshlrev_b32_e32 v7, 2, v1
	v_lshlrev_b32_e32 v24, 3, v1
	v_xor_b32_e32 v26, v50, v5
	v_and_b32_e32 v6, 1, v0
	s_mul_i32 s28, s28, s20
	v_lshl_or_b32 v24, v48, 5, v24
	v_xor_b32_e32 v27, v48, v7
	v_lshlrev_b32_e32 v26, 2, v26
	s_add_i32 s61, s25, s24
	s_add_i32 s24, s44, s21
	v_or_b32_e32 v56, 0x9000, v24
	v_or_b32_e32 v57, 0x9800, v24
	v_lshlrev_b32_e32 v24, 1, v27
	v_xor_b32_e32 v27, 0x440, v26
	v_cmp_eq_u32_e32 vcc, 0, v6
	s_add_i32 s39, s24, s28
	s_mul_i32 s24, s33, s23
	s_mul_hi_u32 s25, s33, s22
	v_cndmask_b32_e32 v6, v27, v26, vcc
	s_add_i32 s24, s25, s24
	s_mul_i32 s25, s54, s22
	s_mov_b32 s58, 0x1000504
	v_lshlrev_b32_e32 v25, 8, v1
	s_mov_b32 s26, 0x8000
	v_xor_b32_e32 v7, v49, v7
	v_lshl_or_b32 v5, v5, 10, v6
	s_add_i32 s25, s24, s25
	s_lshl_b64 s[28:29], s[38:39], 2
	s_mov_b32 s59, 0x3020706
	v_lshlrev_b32_e32 v7, 1, v7
	v_or3_b32 v58, v24, v25, s26
	v_xor_b32_e32 v6, 8, v5
	v_xor_b32_e32 v24, 24, v5
	v_xor_b32_e32 v26, 40, v5
	v_xor_b32_e32 v28, 56, v5
	s_mul_i32 s24, s33, s22
	s_add_u32 s28, s10, s28
	v_or3_b32 v59, v7, v25, s26
	v_xor_b32_e32 v7, 16, v5
	v_xor_b32_e32 v25, 32, v5
	;; [unrolled: 1-line block ×3, first 2 shown]
	v_add_u32_e32 v6, 0x80, v6
	v_add_u32_e32 v24, 0x80, v24
	;; [unrolled: 1-line block ×4, first 2 shown]
	s_addc_u32 s29, s11, s29
	s_lshl_b64 s[24:25], s[24:25], 2
	s_add_u32 s40, s28, s24
	s_movk_i32 s24, 0xf8
	s_addc_u32 s41, s29, s25
	s_ashr_i32 s37, s36, 31
	s_lshl_b32 s30, s19, 7
	v_mov_b32_e32 v35, 0
	s_mov_b32 s57, 0
	s_mul_i32 s60, s47, s16
	v_add_u32_e32 v78, v42, v2
	s_mov_b32 s62, 0
	v_mov_b32_e32 v62, v35
	v_mov_b32_e32 v63, v35
	;; [unrolled: 1-line block ×6, first 2 shown]
	s_waitcnt vmcnt(1)
	v_perm_b32 v29, v8, v16, s58
	s_waitcnt vmcnt(0)
	v_perm_b32 v30, v12, v20, s58
	v_perm_b32 v8, v8, v16, s59
	;; [unrolled: 1-line block ×15, first 2 shown]
	ds_write2st64_b32 v5, v29, v30 offset1:32
	ds_write2st64_b32 v6, v8, v12 offset1:32
	ds_write2st64_b32 v7, v16, v20 offset0:1 offset1:33
	ds_write2st64_b32 v24, v9, v13 offset0:1 offset1:33
	;; [unrolled: 1-line block ×6, first 2 shown]
	v_or_b32_e32 v5, v42, v1
	v_lshlrev_b32_e32 v5, 3, v5
	v_lshrrev_b32_e32 v7, 5, v43
	v_and_or_b32 v7, v5, s24, v7
	v_lshlrev_b32_e32 v7, 4, v7
	v_lshlrev_b32_e32 v10, 11, v44
	v_and_b32_e32 v5, 0x78, v5
	v_or_b32_e32 v12, 32, v7
	v_and_b32_e32 v6, 0x1000, v10
	v_lshrrev_b32_e32 v11, 1, v0
	v_xor_b32_e32 v12, v12, v5
	v_and_b32_e32 v9, 8, v11
	v_or_b32_e32 v12, v12, v6
	v_xor_b32_e32 v8, v7, v5
	v_xor_b32_e32 v66, v12, v9
	v_or_b32_e32 v12, 64, v7
	v_or_b32_e32 v7, 0x60, v7
	v_xor_b32_e32 v12, v12, v5
	v_xor_b32_e32 v5, v7, v5
	v_or_b32_e32 v5, v5, v6
	v_or_b32_e32 v12, v12, v6
	v_xor_b32_e32 v68, v5, v9
	v_lshlrev_b32_e32 v5, 1, v1
	v_xor_b32_e32 v67, v12, v9
	v_lshlrev_b32_e32 v12, 1, v4
	v_add_lshl_u32 v13, v4, s19, 1
	v_lshrrev_b32_e32 v4, 4, v0
	s_lshl_b64 s[24:25], s[36:37], 8
	v_or_b32_e32 v15, 1, v5
	s_add_u32 s24, s12, s24
	v_xor_b32_e32 v5, v4, v5
	v_xor_b32_e32 v15, v15, v4
	s_addc_u32 s25, s13, s25
	v_lshlrev_b32_e32 v5, 3, v5
	v_lshlrev_b32_e32 v34, 8, v4
	;; [unrolled: 1-line block ×3, first 2 shown]
	v_or3_b32 v70, v5, v34, s26
	v_or3_b32 v71, v4, v34, s26
	v_lshl_add_u64 v[4:5], s[24:25], 0, v[34:35]
	v_lshlrev_b32_e32 v34, 4, v1
	s_movk_i32 s24, 0xff
	v_lshlrev_b32_e32 v17, 3, v44
	v_and_b32_e32 v11, 24, v11
	v_lshl_add_u64 v[36:37], v[4:5], 0, v[34:35]
	v_and_b32_e32 v5, 8, v0
	v_cmp_lt_u32_e32 vcc, s24, v0
	v_xor_b32_e32 v18, v17, v11
	v_or_b32_e32 v19, 0x440, v18
	v_cndmask_b32_e64 v16, 0, 1, vcc
	v_cmp_eq_u32_e32 vcc, 0, v5
	v_and_b32_e32 v4, 7, v0
	v_lshlrev_b32_e32 v15, 3, v4
	v_cndmask_b32_e32 v5, v19, v18, vcc
	v_lshlrev_b32_e32 v4, 7, v4
	v_or_b32_e32 v5, v5, v10
	v_xad_u32 v72, v5, v15, v4
	v_or_b32_e32 v5, 32, v11
	v_xor_b32_e32 v5, v17, v5
	v_or_b32_e32 v18, 0x440, v5
	v_cndmask_b32_e32 v5, v18, v5, vcc
	v_or_b32_e32 v5, v5, v10
	v_xad_u32 v73, v5, v15, v4
	v_or_b32_e32 v5, 64, v11
	v_xor_b32_e32 v5, v17, v5
	v_xor_b32_e32 v18, 0x440, v5
	v_cndmask_b32_e32 v5, v18, v5, vcc
	v_or_b32_e32 v5, v5, v10
	v_xad_u32 v74, v5, v15, v4
	v_or_b32_e32 v5, 0x60, v11
	v_xor_b32_e32 v5, v17, v5
	v_or_b32_e32 v8, v8, v6
	v_or_b32_e32 v6, s36, v1
	v_xor_b32_e32 v11, 0x440, v5
	v_xor_b32_e32 v64, v8, v9
	v_and_b32_e32 v8, 0x78, v46
	v_ashrrev_i32_e32 v7, 31, v6
	v_cndmask_b32_e32 v5, v11, v5, vcc
	v_lshl_or_b32 v8, v45, 7, v8
	v_lshlrev_b64 v[6:7], 1, v[6:7]
	v_or_b32_e32 v5, v5, v10
	v_or_b32_e32 v65, 0x9000, v8
	;; [unrolled: 1-line block ×3, first 2 shown]
	v_lshl_add_u64 v[8:9], s[8:9], 0, v[6:7]
	v_lshl_add_u64 v[6:7], s[14:15], 0, v[6:7]
	v_or_b32_e32 v14, 0x100, v3
	v_lshlrev_b32_e32 v16, 13, v16
	v_xad_u32 v75, v5, v15, v4
	v_lshlrev_b32_e32 v34, 8, v48
	v_cndmask_b32_e64 v76, v12, v3, s[0:1]
	v_cndmask_b32_e64 v77, v13, v14, s[0:1]
	v_lshl_add_u64 v[38:39], v[8:9], 0, v[34:35]
	v_lshl_add_u64 v[40:41], v[6:7], 0, v[34:35]
	s_mov_b32 s37, 0x7060302
	s_movk_i32 s26, 0x4000
	v_add_u32_e32 v79, v16, v72
	v_add_u32_e32 v80, v16, v73
	;; [unrolled: 1-line block ×4, first 2 shown]
	v_mov_b32_e32 v34, v35
	s_waitcnt lgkmcnt(0)
	s_barrier
.LBB703_6:                              ; =>This Inner Loop Header: Depth=1
	s_add_i32 s39, s62, 1
	s_cmp_lt_i32 s39, s48
	s_mov_b64 s[28:29], 0
	s_cselect_b64 s[42:43], -1, 0
	s_cmp_ge_i32 s39, s48
	s_mov_b64 s[24:25], 0
	s_cbranch_scc1 .LBB703_8
; %bb.7:                                ;   in Loop: Header=BB703_6 Depth=1
	s_add_i32 s0, s57, 64
	s_add_u32 s0, s2, s0
	s_addc_u32 s1, s3, 0
	s_lshl_b64 s[0:1], s[0:1], 8
	s_add_u32 s24, s6, s0
	s_addc_u32 s25, s7, s1
.LBB703_8:                              ;   in Loop: Header=BB703_6 Depth=1
	v_cndmask_b32_e64 v2, 0, 1, s[42:43]
	v_cmp_ne_u32_e64 s[0:1], 1, v2
	s_andn2_b64 vcc, exec, s[42:43]
	s_cbranch_vccnz .LBB703_10
; %bb.9:                                ;   in Loop: Header=BB703_6 Depth=1
	s_add_i32 s28, s57, 64
	s_add_u32 s28, s60, s28
	s_addc_u32 s29, s61, 0
	s_mul_i32 s31, s28, s49
	s_mul_hi_u32 s42, s28, s53
	s_add_i32 s31, s42, s31
	s_mul_i32 s29, s29, s53
	s_add_i32 s31, s31, s29
	s_mul_i32 s28, s28, s53
	s_add_u32 s28, s28, s52
	s_addc_u32 s29, s31, s55
	s_lshl_b64 s[28:29], s[28:29], 8
	s_add_u32 s28, s4, s28
	s_addc_u32 s29, s5, s29
.LBB703_10:                             ;   in Loop: Header=BB703_6 Depth=1
	v_perm_b32 v3, v84, v63, s37
	v_perm_b32 v2, v62, v35, s37
	;; [unrolled: 1-line block ×4, first 2 shown]
	ds_write_b64 v56, v[2:3]
	ds_write_b64 v57, v[4:5]
	;; [unrolled: 1-line block ×4, first 2 shown]
	s_waitcnt lgkmcnt(0)
	s_barrier
	ds_read_b64 v[10:11], v64 offset:16384
	ds_read_b64 v[12:13], v66 offset:16384
	ds_read2st64_b64 v[2:5], v65 offset1:1
	ds_read2st64_b64 v[6:9], v65 offset0:2 offset1:3
	ds_read_b64 v[14:15], v67 offset:16384
	s_waitcnt lgkmcnt(2)
	v_mfma_f32_16x16x16_bf16 a[0:3], v[10:11], v[2:3], 0
	ds_read_b64 v[2:3], v68 offset:16384
	s_add_i32 s31, s57, 63
	s_mul_i32 s42, s31, s35
	v_mfma_f32_16x16x16_bf16 a[0:3], v[12:13], v[4:5], a[0:3]
	s_mul_hi_u32 s43, s31, s34
	s_add_i32 s43, s43, s42
	s_mul_i32 s42, s31, s34
	s_waitcnt lgkmcnt(1)
	v_mfma_f32_16x16x16_bf16 a[0:3], v[14:15], v[6:7], a[0:3]
	s_lshl_b64 s[42:43], s[42:43], 2
	s_add_u32 s42, s40, s42
	s_addc_u32 s43, s41, s43
	s_waitcnt lgkmcnt(0)
	v_mfma_f32_16x16x16_bf16 a[0:3], v[2:3], v[8:9], a[0:3]
	s_and_b64 vcc, exec, s[0:1]
	v_mov_b32_e32 v87, 0
	v_mov_b32_e32 v86, 0
	;; [unrolled: 1-line block ×19, first 2 shown]
	s_cbranch_vccnz .LBB703_12
; %bb.11:                               ;   in Loop: Header=BB703_6 Depth=1
	s_and_b32 s25, s25, 0xffff
	buffer_load_dwordx4 v[14:17], v52, s[24:27], 0 offen
	buffer_load_dwordx4 v[10:13], v52, s[24:27], s56 offen
	buffer_load_dwordx4 v[6:9], v53, s[24:27], 0 offen
	buffer_load_dwordx4 v[2:5], v53, s[24:27], s56 offen
	v_mov_b32_e32 v86, v54
	v_mov_b32_e32 v85, v55
.LBB703_12:                             ;   in Loop: Header=BB703_6 Depth=1
	s_waitcnt vmcnt(3)
	v_add_u32_e32 v24, s57, v78
	s_waitcnt vmcnt(1)
	v_ashrrev_i32_e32 v18, 31, v24
	v_mul_lo_u32 v20, v18, s34
	v_mul_lo_u32 v21, v24, s35
	v_mad_u64_u32 v[18:19], s[24:25], v24, s34, 0
	v_add3_u32 v19, v19, v21, v20
	v_add_u32_e32 v20, 1, v24
	v_ashrrev_i32_e32 v21, 31, v20
	v_mul_lo_u32 v22, v21, s34
	v_mul_lo_u32 v23, v20, s35
	v_mad_u64_u32 v[20:21], s[24:25], v20, s34, 0
	v_add3_u32 v21, v21, v23, v22
	v_add_u32_e32 v22, 2, v24
	v_ashrrev_i32_e32 v23, 31, v22
	v_mul_lo_u32 v25, v23, s34
	v_mul_lo_u32 v26, v22, s35
	v_mad_u64_u32 v[22:23], s[24:25], v22, s34, 0
	s_add_u32 s24, s2, s57
	v_add3_u32 v23, v23, v26, v25
	v_add_u32_e32 v26, 3, v24
	s_addc_u32 s25, s3, 0
	v_ashrrev_i32_e32 v24, 31, v26
	s_lshl_b64 s[64:65], s[24:25], 8
	v_lshl_add_u64 v[18:19], v[18:19], 2, s[40:41]
	v_mul_lo_u32 v27, v24, s34
	v_lshl_add_u64 v[24:25], v[38:39], 0, s[64:65]
	v_mul_lo_u32 v28, v26, s35
	global_load_ushort v89, v[24:25], off
	global_load_ushort v94, v[24:25], off offset:256
	global_load_ushort v95, v[24:25], off offset:512
	;; [unrolled: 1-line block ×3, first 2 shown]
	global_load_dword v97, v[18:19], off
	v_mad_u64_u32 v[18:19], s[24:25], v26, s34, 0
	v_lshl_add_u64 v[20:21], v[20:21], 2, s[40:41]
	v_add3_u32 v19, v19, v28, v27
	v_lshl_add_u64 v[22:23], v[22:23], 2, s[40:41]
	v_lshl_add_u64 v[18:19], v[18:19], 2, s[40:41]
	global_load_dword v98, v[20:21], off
	global_load_dword v99, v[22:23], off
	;; [unrolled: 1-line block ×3, first 2 shown]
	s_load_dword s24, s[42:43], 0x0
	ds_read_b64 v[26:27], v64 offset:24576
	ds_read2st64_b64 v[22:25], v69 offset1:1
	ds_read2st64_b64 v[28:31], v69 offset0:2 offset1:3
	ds_read_b64 v[32:33], v66 offset:24576
	ds_read_b64 v[90:91], v67 offset:24576
	;; [unrolled: 1-line block ×3, first 2 shown]
	s_waitcnt lgkmcnt(0)
	v_mfma_f32_16x16x16_bf16 a[0:3], v[26:27], v[22:23], a[0:3]
	v_mov_b32_e32 v88, 0
	v_mov_b32_e32 v18, 0
	;; [unrolled: 1-line block ×3, first 2 shown]
	v_mfma_f32_16x16x16_bf16 a[0:3], v[32:33], v[24:25], a[0:3]
	v_mov_b32_e32 v20, 0
	v_mov_b32_e32 v21, 0
	;; [unrolled: 1-line block ×3, first 2 shown]
	v_mfma_f32_16x16x16_bf16 a[0:3], v[90:91], v[28:29], a[0:3]
	v_lshl_add_u64 v[28:29], v[40:41], 0, s[64:65]
	v_mov_b32_e32 v23, 0
	v_mov_b32_e32 v24, 0
	v_mfma_f32_16x16x16_bf16 a[0:3], v[92:93], v[30:31], a[0:3]
	v_mov_b32_e32 v25, 0
	v_mov_b32_e32 v26, 0
	;; [unrolled: 1-line block ×3, first 2 shown]
	s_and_b64 vcc, exec, s[0:1]
	s_waitcnt vmcnt(7)
	v_lshlrev_b32_e32 v90, 16, v89
	s_nop 0
	v_accvgpr_read_b32 v33, a1
	v_accvgpr_read_b32 v31, a3
	v_accvgpr_read_b32 v30, a2
	v_accvgpr_read_b32 v32, a0
	s_waitcnt vmcnt(6)
	v_lshlrev_b32_e32 v91, 16, v94
	s_waitcnt vmcnt(4)
	v_lshlrev_b32_e32 v93, 16, v96
	v_lshlrev_b32_e32 v92, 16, v95
	s_waitcnt vmcnt(3)
	v_sub_f32_e32 v89, s24, v97
	v_pk_add_f32 v[32:33], v[90:91], v[32:33] neg_lo:[0,1] neg_hi:[0,1]
	v_pk_add_f32 v[30:31], v[92:93], v[30:31] neg_lo:[0,1] neg_hi:[0,1]
	v_exp_f32_e32 v90, v89
	s_waitcnt vmcnt(2)
	v_sub_f32_e32 v89, s24, v98
	s_waitcnt vmcnt(1)
	v_sub_f32_e32 v92, s24, v99
	s_waitcnt vmcnt(0)
	v_sub_f32_e32 v93, s24, v100
	v_exp_f32_e32 v91, v89
	v_exp_f32_e32 v92, v92
	;; [unrolled: 1-line block ×3, first 2 shown]
	global_store_short_d16_hi v[28:29], v32, off
	global_store_short_d16_hi v[28:29], v33, off offset:256
	global_store_short_d16_hi v[28:29], v30, off offset:512
	global_store_short_d16_hi v[28:29], v31, off offset:768
	v_pk_mul_f32 v[28:29], v[90:91], v[32:33]
	v_pk_mul_f32 v[30:31], v[92:93], v[30:31]
	v_perm_b32 v28, v29, v28, s37
	v_perm_b32 v29, v31, v30, s37
	ds_write_b64 v57, v[28:29]
	v_mov_b32_e32 v28, 0
	v_mov_b32_e32 v29, 0
	;; [unrolled: 1-line block ×6, first 2 shown]
	s_cbranch_vccnz .LBB703_14
; %bb.13:                               ;   in Loop: Header=BB703_6 Depth=1
	s_and_b32 s29, s29, 0xffff
	s_mov_b32 s31, s27
	buffer_load_dwordx4 v[30:33], v76, s[28:31], 0 offen
	buffer_load_dwordx4 v[22:25], v76, s[28:31], s56 offen
	;; [unrolled: 1-line block ×4, first 2 shown]
	v_mov_b32_e32 v87, v51
	v_mov_b32_e32 v88, v50
.LBB703_14:                             ;   in Loop: Header=BB703_6 Depth=1
	s_waitcnt lgkmcnt(0)
	s_barrier
	ds_read_b64 v[98:99], v79
	ds_read2st64_b64 v[90:93], v69 offset1:1
	ds_read2st64_b64 v[94:97], v69 offset0:2 offset1:3
	ds_read_b64 v[100:101], v80
	ds_read_b64 v[102:103], v81
	ds_read_b64 v[104:105], v82
	s_waitcnt lgkmcnt(4)
	v_mfma_f32_16x16x16_bf16 a[0:3], v[98:99], v[90:91], 0
	ds_read_b64 v[98:99], v72 offset:8192
	ds_read_b64 v[106:107], v73 offset:8192
	s_add_i32 s25, s50, s62
	s_mul_hi_i32 s29, s25, s17
	s_waitcnt lgkmcnt(1)
	v_mfma_f32_16x16x16_bf16 a[4:7], v[98:99], v[90:91], 0
	s_mul_i32 s25, s25, s17
	s_add_u32 s28, s25, s33
	s_addc_u32 s29, s29, s54
	v_mfma_f32_16x16x16_bf16 a[0:3], v[100:101], v[92:93], a[0:3]
	ds_read_b64 v[98:99], v70
	ds_read_b64 v[100:101], v71
	ds_read_b64 v[90:91], v74 offset:8192
	s_lshl_b64 s[28:29], s[28:29], 15
	v_mfma_f32_16x16x16_bf16 a[0:3], v[102:103], v[94:95], a[0:3]
	ds_read_b64 v[102:103], v75 offset:8192
	s_and_b64 vcc, exec, s[0:1]
	s_waitcnt lgkmcnt(4)
	v_mfma_f32_16x16x16_bf16 a[4:7], v[106:107], v[92:93], a[4:7]
	s_waitcnt lgkmcnt(1)
	v_mfma_f32_16x16x16_bf16 a[4:7], v[90:91], v[94:95], a[4:7]
	v_lshl_add_u64 v[90:91], v[36:37], 0, s[28:29]
	global_store_dwordx4 v[90:91], v[98:101], off
	v_mfma_f32_16x16x16_bf16 a[0:3], v[104:105], v[96:97], a[0:3]
	s_waitcnt lgkmcnt(0)
	v_mfma_f32_16x16x16_bf16 a[4:7], v[102:103], v[96:97], a[4:7]
	s_cbranch_vccnz .LBB703_16
; %bb.15:                               ;   in Loop: Header=BB703_6 Depth=1
	v_lshrrev_b32_e32 v89, 3, v87
	v_and_b32_e32 v89, 6, v89
	v_xor_b32_e32 v88, v89, v88
	v_lshlrev_b32_e32 v88, 2, v88
	v_and_b32_e32 v87, 8, v87
	v_xor_b32_e32 v90, 0x440, v88
	v_cmp_eq_u32_e32 vcc, 0, v87
	s_barrier
	s_nop 0
	v_cndmask_b32_e32 v87, v90, v88, vcc
	v_lshl_or_b32 v87, v89, 10, v87
	s_waitcnt vmcnt(2)
	v_perm_b32 v88, v30, v26, s58
	s_waitcnt vmcnt(1)
	v_perm_b32 v89, v22, v18, s58
	ds_write2st64_b32 v87, v88, v89 offset1:32
	v_xor_b32_e32 v88, 8, v87
	v_perm_b32 v26, v30, v26, s59
	v_perm_b32 v18, v22, v18, s59
	v_add_u32_e32 v22, 0x80, v88
	ds_write2st64_b32 v22, v26, v18 offset1:32
	v_xor_b32_e32 v18, 16, v87
	v_perm_b32 v22, v31, v27, s58
	v_perm_b32 v26, v23, v19, s58
	ds_write2st64_b32 v18, v22, v26 offset0:1 offset1:33
	v_xor_b32_e32 v18, 24, v87
	v_perm_b32 v22, v31, v27, s59
	v_perm_b32 v19, v23, v19, s59
	v_add_u32_e32 v18, 0x80, v18
	ds_write2st64_b32 v18, v22, v19 offset0:1 offset1:33
	v_xor_b32_e32 v18, 32, v87
	v_perm_b32 v19, v32, v28, s58
	v_perm_b32 v22, v24, v20, s58
	ds_write2st64_b32 v18, v19, v22 offset0:2 offset1:34
	v_xor_b32_e32 v18, 40, v87
	v_perm_b32 v19, v32, v28, s59
	v_perm_b32 v20, v24, v20, s59
	v_add_u32_e32 v18, 0x80, v18
	ds_write2st64_b32 v18, v19, v20 offset0:2 offset1:34
	;; [unrolled: 9-line block ×3, first 2 shown]
	ds_write_b64 v86, v[14:15] offset:16384
	v_xor_b32_e32 v14, 8, v86
	ds_write_b64 v14, v[16:17] offset:16384
	ds_write_b64 v86, v[10:11] offset:24576
	;; [unrolled: 1-line block ×4, first 2 shown]
	v_xor_b32_e32 v6, 8, v85
	ds_write_b64 v6, v[8:9] offset:16384
	ds_write_b64 v85, v[2:3] offset:24576
	;; [unrolled: 1-line block ×3, first 2 shown]
.LBB703_16:                             ;   in Loop: Header=BB703_6 Depth=1
	v_exp_f32_e32 v2, s24
	s_nop 2
	v_accvgpr_read_b32 v3, a0
	v_accvgpr_read_b32 v4, a1
	s_add_i32 s57, s57, 64
	v_fma_f32 v35, v35, v2, v3
	v_accvgpr_read_b32 v3, a2
	v_fma_f32 v63, v63, v2, v3
	v_accvgpr_read_b32 v3, a4
	;; [unrolled: 2-line block ×6, first 2 shown]
	v_fmac_f32_e32 v4, v84, v2
	s_cmp_eq_u32 s48, s39
	v_fmac_f32_e32 v3, v83, v2
	s_cbranch_scc1 .LBB703_18
; %bb.17:                               ;   in Loop: Header=BB703_6 Depth=1
	s_mov_b32 s62, s39
	v_mov_b32_e32 v84, v4
	v_mov_b32_e32 v83, v3
	s_branch .LBB703_6
.LBB703_18:
	s_lshl_b32 s42, s48, 6
	s_sub_i32 s43, s16, s42
	s_cmp_gt_i32 s43, 0
	s_cbranch_scc0 .LBB703_75
; %bb.19:
	s_ashr_i32 s39, s47, 31
	s_ashr_i32 s2, s42, 31
	s_cmpk_lg_i32 s19, 0x80
	s_cselect_b64 s[30:31], -1, 0
	s_and_b64 vcc, exec, s[30:31]
	s_cbranch_vccz .LBB703_21
; %bb.20:
	s_mul_i32 s1, s47, s16
	s_mul_hi_i32 s0, s47, s16
	s_add_u32 s1, s1, s42
	s_addc_u32 s0, s0, s2
	s_mul_i32 s3, s1, s49
	s_mul_hi_u32 s24, s1, s18
	s_add_i32 s3, s24, s3
	s_mul_i32 s0, s0, s18
	s_add_i32 s3, s3, s0
	s_mul_i32 s1, s1, s18
	s_ashr_i32 s0, s52, 31
	s_add_u32 s40, s1, s52
	s_addc_u32 s41, s3, s0
	s_cbranch_execz .LBB703_22
	s_branch .LBB703_23
.LBB703_21:
                                        ; implicit-def: $sgpr40_sgpr41
.LBB703_22:
	s_mul_hi_i32 s0, s47, s18
	s_mul_i32 s47, s47, s18
	s_ashr_i32 s1, s52, 31
	s_add_u32 s3, s47, s52
	s_addc_u32 s0, s0, s1
	s_mul_i32 s1, s3, s46
	s_mul_hi_u32 s18, s3, s16
	s_add_i32 s1, s18, s1
	s_mul_i32 s0, s0, s16
	s_add_i32 s1, s1, s0
	s_mul_i32 s3, s3, s16
	s_add_u32 s40, s3, s42
	s_addc_u32 s41, s1, s2
.LBB703_23:
	s_add_i32 s3, s50, s48
	s_ashr_i32 s18, s33, 31
	s_add_u32 s0, s45, s33
	s_addc_u32 s1, s51, s18
	s_mul_i32 s24, s0, s46
	s_mul_hi_u32 s25, s0, s16
	s_add_i32 s24, s25, s24
	s_mul_i32 s1, s1, s16
	s_add_i32 s24, s24, s1
	s_mul_i32 s0, s0, s16
	s_add_u32 s0, s0, s42
	s_addc_u32 s1, s24, s2
	s_mov_b32 s2, 0x7060302
	v_lshlrev_b32_e32 v6, 3, v1
	v_perm_b32 v5, v4, v63, s2
	v_perm_b32 v4, v62, v35, s2
	;; [unrolled: 1-line block ×4, first 2 shown]
	v_lshlrev_b32_e32 v34, 2, v1
	v_lshl_or_b32 v6, v48, 5, v6
	s_lshl_b64 s[28:29], s[0:1], 8
	ds_write2st64_b64 v6, v[4:5], v[2:3] offset0:72 offset1:76
	v_xor_b32_e32 v6, v48, v34
	v_lshlrev_b32_e32 v7, 8, v1
	s_add_u32 s0, s6, s28
	v_lshl_or_b32 v6, v6, 1, v7
	s_addc_u32 s1, s7, s29
	ds_write_b64 v6, v[4:5] offset:32768
	v_xor_b32_e32 v4, v49, v34
	s_mul_hi_i32 s6, s3, s17
	s_mul_i32 s3, s3, s17
	v_lshl_or_b32 v4, v4, 1, v7
	s_add_u32 s2, s3, s33
	ds_write_b64 v4, v[2:3] offset:32768
	s_addc_u32 s3, s6, s18
	v_lshlrev_b32_e32 v3, 1, v1
	v_lshrrev_b32_e32 v2, 4, v0
	s_ashr_i32 s37, s36, 31
	s_lshl_b64 s[2:3], s[2:3], 15
	v_or_b32_e32 v4, 1, v3
	s_add_u32 s6, s12, s2
	v_xor_b32_e32 v3, v2, v3
	v_xor_b32_e32 v4, v4, v2
	v_lshlrev_b32_e32 v6, 8, v2
	s_addc_u32 s7, s13, s3
	s_lshl_b64 s[2:3], s[36:37], 8
	v_lshl_or_b32 v2, v3, 3, v6
	v_lshl_or_b32 v4, v4, 3, v6
	s_waitcnt lgkmcnt(0)
	s_barrier
	s_add_u32 s2, s6, s2
	ds_read_b64 v[2:3], v2 offset:32768
	ds_read_b64 v[4:5], v4 offset:32768
	s_addc_u32 s3, s7, s3
	v_mov_b32_e32 v7, 0
	s_cmp_lg_u32 s43, 64
	v_lshl_add_u64 v[8:9], s[2:3], 0, v[6:7]
	v_lshlrev_b32_e32 v6, 4, v1
	s_cselect_b64 s[6:7], -1, 0
	v_lshl_or_b32 v35, v44, 3, v47
	s_mov_b32 s24, 0
	v_lshl_add_u64 v[6:7], v[8:9], 0, v[6:7]
	s_waitcnt vmcnt(1)
	v_or_b32_e32 v19, 32, v35
	v_and_b32_e32 v18, 56, v46
	s_and_b64 vcc, exec, s[6:7]
	s_waitcnt lgkmcnt(0)
	global_store_dwordx4 v[6:7], v[2:5], off
	s_cbranch_vccz .LBB703_29
; %bb.24:
	s_mov_b32 s25, s24
	s_mov_b32 s26, s24
	;; [unrolled: 1-line block ×3, first 2 shown]
	v_mov_b64_e32 v[6:7], s[24:25]
	v_mov_b64_e32 v[8:9], s[26:27]
	v_mov_b64_e32 v[2:3], v[6:7]
	v_cmp_gt_i32_e32 vcc, s43, v35
	v_mov_b64_e32 v[4:5], v[8:9]
	s_and_saveexec_b64 s[2:3], vcc
	s_cbranch_execz .LBB703_26
; %bb.25:
	v_lshlrev_b32_e32 v2, 8, v35
	v_mov_b32_e32 v3, 0
	v_lshl_add_u64 v[4:5], s[0:1], 0, v[2:3]
	v_lshlrev_b32_e32 v2, 1, v18
	v_lshl_add_u64 v[10:11], v[4:5], 0, v[2:3]
	global_load_dwordx4 v[6:9], v[10:11], off
	global_load_dwordx4 v[2:5], v[10:11], off offset:128
.LBB703_26:
	s_or_b64 exec, exec, s[2:3]
	s_mov_b32 s25, s24
	s_mov_b32 s26, s24
	;; [unrolled: 1-line block ×3, first 2 shown]
	v_mov_b64_e32 v[14:15], s[24:25]
	v_mov_b64_e32 v[16:17], s[26:27]
	;; [unrolled: 1-line block ×3, first 2 shown]
	v_cmp_gt_i32_e32 vcc, s43, v19
	v_lshlrev_b32_e32 v20, 7, v19
	v_mov_b64_e32 v[12:13], v[16:17]
	s_and_saveexec_b64 s[2:3], vcc
	s_cbranch_execz .LBB703_28
; %bb.27:
	v_lshlrev_b32_e32 v10, 1, v20
	v_mov_b32_e32 v11, 0
	v_lshl_add_u64 v[12:13], s[0:1], 0, v[10:11]
	v_lshlrev_b32_e32 v10, 1, v18
	v_lshl_add_u64 v[22:23], v[12:13], 0, v[10:11]
	global_load_dwordx4 v[14:17], v[22:23], off
	global_load_dwordx4 v[10:13], v[22:23], off offset:128
.LBB703_28:
	s_or_b64 exec, exec, s[2:3]
	v_lshrrev_b32_e32 v21, 3, v18
	v_lshlrev_b32_e32 v22, 3, v35
	v_or_b32_e32 v21, v22, v21
	v_lshlrev_b32_e32 v21, 4, v21
	v_and_b32_e32 v22, 0x78, v22
	v_xor_b32_e32 v21, v21, v22
	s_branch .LBB703_31
.LBB703_29:
                                        ; implicit-def: $vgpr21
                                        ; implicit-def: $vgpr20
                                        ; implicit-def: $vgpr6_vgpr7_vgpr8_vgpr9
                                        ; implicit-def: $vgpr2_vgpr3_vgpr4_vgpr5
                                        ; implicit-def: $vgpr14_vgpr15_vgpr16_vgpr17
                                        ; implicit-def: $vgpr10_vgpr11_vgpr12_vgpr13
	s_cbranch_execz .LBB703_31
; %bb.30:
	s_waitcnt vmcnt(0)
	v_lshlrev_b32_e32 v2, 1, v18
	v_lshl_or_b32 v20, v35, 8, v2
	s_and_b32 s1, s1, 0xffff
	s_mov_b32 s3, 0x20000
	s_movk_i32 s2, 0x4000
	v_lshl_or_b32 v21, v19, 8, v2
	s_movk_i32 s12, 0x80
	buffer_load_dwordx4 v[6:9], v20, s[0:3], 0 offen
	buffer_load_dwordx4 v[2:5], v20, s[0:3], s12 offen
	;; [unrolled: 1-line block ×4, first 2 shown]
	v_lshrrev_b32_e32 v20, 3, v18
	v_lshlrev_b32_e32 v21, 3, v35
	v_or_b32_e32 v20, v21, v20
	v_lshlrev_b32_e32 v20, 4, v20
	v_and_b32_e32 v21, 0x78, v21
	v_xor_b32_e32 v21, v20, v21
	v_lshlrev_b32_e32 v20, 7, v19
.LBB703_31:
	s_lshl_b64 s[0:1], s[40:41], 8
	s_add_u32 s4, s4, s0
	s_movk_i32 s0, 0x1000
	v_and_or_b32 v19, v20, s0, v21
	s_waitcnt vmcnt(1)
	ds_write_b64 v21, v[6:7] offset:16384
	v_xor_b32_e32 v6, 8, v21
	ds_write_b64 v6, v[8:9] offset:16384
	s_waitcnt vmcnt(0)
	ds_write_b64 v21, v[2:3] offset:24576
	ds_write_b64 v6, v[4:5] offset:24576
	;; [unrolled: 1-line block ×3, first 2 shown]
	v_xor_b32_e32 v2, 8, v19
	ds_write_b64 v2, v[16:17] offset:16384
	ds_write_b64 v19, v[10:11] offset:24576
	;; [unrolled: 1-line block ×3, first 2 shown]
	v_or_b32_e32 v2, v42, v1
	s_addc_u32 s5, s5, s1
	s_add_i32 s2, s16, -1
	v_lshlrev_b32_e32 v2, 3, v2
	v_lshrrev_b32_e32 v4, 5, v43
	s_movk_i32 s16, 0xf8
	v_and_or_b32 v4, v2, s16, v4
	v_lshlrev_b32_e32 v3, 11, v44
	v_lshlrev_b32_e32 v12, 4, v4
	v_and_b32_e32 v13, 0x78, v2
	v_and_b32_e32 v14, 0x1000, v3
	v_lshlrev_b32_e32 v3, 2, v0
	v_xor_b32_e32 v2, v12, v13
	v_lshrrev_b32_e32 v4, 1, v43
	v_and_b32_e32 v3, 60, v3
	v_or_b32_e32 v2, v2, v14
	v_and_b32_e32 v15, 8, v4
	v_xor_b32_e32 v26, v2, v15
	v_lshl_or_b32 v2, v45, 6, v3
	v_lshlrev_b32_e32 v19, 1, v2
	v_or_b32_e32 v2, 32, v12
	v_xor_b32_e32 v2, v2, v13
	s_waitcnt lgkmcnt(0)
	s_barrier
	ds_read_b64 v[10:11], v26 offset:16384
	v_or_b32_e32 v2, v2, v14
	v_xor_b32_e32 v27, v2, v15
	v_or_b32_e32 v2, 64, v12
	v_xor_b32_e32 v2, v2, v13
	v_or_b32_e32 v2, v2, v14
	v_or_b32_e32 v12, 0x60, v12
	v_xor_b32_e32 v28, v2, v15
	ds_read2st64_b64 v[2:5], v19 offset0:72 offset1:73
	ds_read2st64_b64 v[6:9], v19 offset0:74 offset1:75
	v_xor_b32_e32 v16, v12, v13
	ds_read_b64 v[12:13], v27 offset:16384
	s_waitcnt lgkmcnt(2)
	v_mfma_f32_16x16x16_bf16 a[0:3], v[10:11], v[2:3], 0
	s_add_i32 s0, s44, s21
	s_mul_i32 s39, s39, s20
	s_add_i32 s39, s0, s39
	s_mul_i32 s0, s33, s23
	s_mul_hi_u32 s1, s33, s22
	s_ashr_i32 s3, s2, 31
	s_mul_i32 s12, s2, s35
	s_mul_hi_u32 s13, s2, s34
	s_add_i32 s0, s1, s0
	s_mul_i32 s1, s18, s22
	s_add_i32 s12, s13, s12
	s_mul_i32 s3, s3, s34
	v_or_b32_e32 v14, v16, v14
	s_add_i32 s1, s0, s1
	s_add_i32 s3, s12, s3
	s_lshl_b64 s[12:13], s[38:39], 2
	v_xor_b32_e32 v36, v14, v15
	ds_read_b64 v[14:15], v28 offset:16384
	ds_read_b64 v[16:17], v36 offset:16384
	s_waitcnt lgkmcnt(2)
	v_mfma_f32_16x16x16_bf16 a[0:3], v[12:13], v[4:5], a[0:3]
	s_mul_i32 s0, s33, s22
	s_add_u32 s10, s10, s12
	s_addc_u32 s11, s11, s13
	s_lshl_b64 s[0:1], s[0:1], 2
	s_mul_i32 s2, s2, s34
	s_add_u32 s10, s10, s0
	s_addc_u32 s11, s11, s1
	s_lshl_b64 s[0:1], s[2:3], 2
	s_waitcnt lgkmcnt(1)
	v_mfma_f32_16x16x16_bf16 a[0:3], v[14:15], v[6:7], a[0:3]
	s_add_u32 s0, s10, s0
	s_addc_u32 s1, s11, s1
	s_load_dword s12, s[0:1], 0x0
	s_waitcnt lgkmcnt(0)
	v_mfma_f32_16x16x16_bf16 a[0:3], v[16:17], v[8:9], a[0:3]
	s_and_b64 vcc, exec, s[30:31]
	s_cbranch_vccz .LBB703_42
; %bb.32:
	v_lshlrev_b32_e32 v20, 1, v35
	s_and_b64 vcc, exec, s[6:7]
	s_cbranch_vccz .LBB703_43
; %bb.33:
	v_cmp_gt_i32_e32 vcc, s43, v20
	v_mov_b32_e32 v6, 0
	v_mov_b32_e32 v2, 0
	v_mov_b32_e32 v3, 0
	v_mov_b32_e32 v4, 0
	v_mov_b32_e32 v5, 0
	s_and_saveexec_b64 s[0:1], vcc
	s_cbranch_execz .LBB703_35
; %bb.34:
	v_mad_i64_i32 v[2:3], s[2:3], s19, v20, 0
	v_lshl_add_u64 v[2:3], v[2:3], 1, s[4:5]
	v_lshlrev_b32_e32 v4, 1, v18
	v_mov_b32_e32 v5, 0
	v_lshl_add_u64 v[2:3], v[2:3], 0, v[4:5]
	global_load_dwordx4 v[2:5], v[2:3], off
.LBB703_35:
	s_or_b64 exec, exec, s[0:1]
	v_or_b32_e32 v21, 1, v20
	v_cmp_gt_i32_e64 s[0:1], s43, v21
	v_mov_b32_e32 v7, 0
	v_mov_b32_e32 v8, 0
	v_mov_b32_e32 v9, 0
	s_and_saveexec_b64 s[2:3], s[0:1]
	s_cbranch_execz .LBB703_37
; %bb.36:
	v_mad_i64_i32 v[6:7], s[16:17], s19, v21, 0
	v_lshl_add_u64 v[6:7], v[6:7], 1, s[4:5]
	v_lshlrev_b32_e32 v8, 1, v18
	v_mov_b32_e32 v9, 0
	v_lshl_add_u64 v[6:7], v[6:7], 0, v[8:9]
	global_load_dwordx4 v[6:9], v[6:7], off
.LBB703_37:
	s_or_b64 exec, exec, s[2:3]
	v_mov_b32_e32 v17, 0
	v_mov_b32_e32 v10, 0
	v_mov_b32_e32 v11, 0
	v_mov_b32_e32 v12, 0
	v_mov_b32_e32 v13, 0
	s_and_saveexec_b64 s[2:3], vcc
	s_cbranch_execz .LBB703_39
; %bb.38:
	v_mad_i64_i32 v[10:11], s[16:17], s19, v20, 0
	v_lshl_add_u64 v[10:11], v[10:11], 1, s[4:5]
	v_lshlrev_b32_e32 v12, 1, v18
	v_mov_b32_e32 v13, 0
	v_lshl_add_u64 v[10:11], v[10:11], 0, v[12:13]
	global_load_dwordx4 v[10:13], v[10:11], off offset:128
.LBB703_39:
	s_or_b64 exec, exec, s[2:3]
	v_mov_b32_e32 v16, 0
	v_mov_b32_e32 v15, 0
	;; [unrolled: 1-line block ×3, first 2 shown]
	s_and_saveexec_b64 s[2:3], s[0:1]
	s_cbranch_execz .LBB703_41
; %bb.40:
	v_mad_i64_i32 v[14:15], s[0:1], s19, v21, 0
	v_lshl_add_u64 v[14:15], v[14:15], 1, s[4:5]
	v_lshlrev_b32_e32 v16, 1, v18
	v_mov_b32_e32 v17, 0
	v_lshl_add_u64 v[14:15], v[14:15], 0, v[16:17]
	global_load_dwordx4 v[14:17], v[14:15], off offset:128
.LBB703_41:
	s_or_b64 exec, exec, s[2:3]
	s_branch .LBB703_45
.LBB703_42:
                                        ; implicit-def: $vgpr5
                                        ; implicit-def: $vgpr9
                                        ; implicit-def: $vgpr13
                                        ; implicit-def: $vgpr17
	v_lshrrev_b32_e32 v37, 2, v43
	s_branch .LBB703_46
.LBB703_43:
                                        ; implicit-def: $vgpr5
                                        ; implicit-def: $vgpr9
                                        ; implicit-def: $vgpr13
                                        ; implicit-def: $vgpr17
	s_cbranch_execz .LBB703_45
; %bb.44:
	s_waitcnt vmcnt(0)
	v_mad_u64_u32 v[2:3], s[0:1], v20, s19, v[18:19]
	v_lshlrev_b32_e32 v20, 1, v2
	s_lshl_b32 s2, s19, 7
	s_and_b32 s1, s5, 0xffff
	s_mov_b32 s3, 0x20000
	s_mov_b32 s0, s4
	v_add_lshl_u32 v21, v2, s19, 1
	s_movk_i32 s13, 0x80
	buffer_load_dwordx4 v[2:5], v20, s[0:3], 0 offen
	buffer_load_dwordx4 v[10:13], v20, s[0:3], s13 offen
	;; [unrolled: 1-line block ×4, first 2 shown]
.LBB703_45:
	v_lshrrev_b32_e32 v37, 2, v43
	s_cbranch_execnz .LBB703_58
.LBB703_46:
	s_and_b64 vcc, exec, s[6:7]
	s_cbranch_vccz .LBB703_56
; %bb.47:
	s_waitcnt vmcnt(0)
	v_lshlrev_b32_e32 v7, 1, v35
	v_cmp_gt_i32_e32 vcc, s43, v7
	v_mov_b32_e32 v6, 0
	v_lshlrev_b32_e32 v14, 9, v35
	v_mov_b32_e32 v2, 0
	v_mov_b32_e32 v3, 0
	;; [unrolled: 1-line block ×4, first 2 shown]
	s_and_saveexec_b64 s[0:1], vcc
	s_cbranch_execz .LBB703_49
; %bb.48:
	v_mov_b32_e32 v15, 0
	v_lshl_add_u64 v[2:3], s[4:5], 0, v[14:15]
	v_lshlrev_b32_e32 v4, 1, v18
	v_mov_b32_e32 v5, v15
	v_lshl_add_u64 v[2:3], v[2:3], 0, v[4:5]
	global_load_dwordx4 v[2:5], v[2:3], off
.LBB703_49:
	s_or_b64 exec, exec, s[0:1]
	v_or_b32_e32 v7, 1, v7
	v_cmp_gt_i32_e64 s[0:1], s43, v7
	v_lshlrev_b32_e32 v20, 8, v7
	v_mov_b32_e32 v7, 0
	v_mov_b32_e32 v8, 0
	v_mov_b32_e32 v9, 0
	s_and_saveexec_b64 s[2:3], s[0:1]
	s_cbranch_execz .LBB703_51
; %bb.50:
	v_mov_b32_e32 v21, 0
	v_lshl_add_u64 v[6:7], s[4:5], 0, v[20:21]
	v_lshlrev_b32_e32 v8, 1, v18
	v_mov_b32_e32 v9, v21
	v_lshl_add_u64 v[6:7], v[6:7], 0, v[8:9]
	global_load_dwordx4 v[6:9], v[6:7], off
.LBB703_51:
	s_or_b64 exec, exec, s[2:3]
	v_mov_b32_e32 v17, 0
	v_mov_b32_e32 v10, 0
	;; [unrolled: 1-line block ×5, first 2 shown]
	s_and_saveexec_b64 s[2:3], vcc
	s_cbranch_execz .LBB703_53
; %bb.52:
	v_mov_b32_e32 v15, 0
	v_lshl_add_u64 v[10:11], s[4:5], 0, v[14:15]
	v_lshlrev_b32_e32 v14, 1, v18
	v_lshl_add_u64 v[10:11], v[10:11], 0, v[14:15]
	global_load_dwordx4 v[10:13], v[10:11], off offset:128
.LBB703_53:
	s_or_b64 exec, exec, s[2:3]
	v_mov_b32_e32 v16, 0
	v_mov_b32_e32 v15, 0
	;; [unrolled: 1-line block ×3, first 2 shown]
	s_and_saveexec_b64 s[2:3], s[0:1]
	s_cbranch_execz .LBB703_55
; %bb.54:
	v_mov_b32_e32 v21, 0
	v_lshl_add_u64 v[14:15], s[4:5], 0, v[20:21]
	v_lshlrev_b32_e32 v20, 1, v18
	v_lshl_add_u64 v[14:15], v[14:15], 0, v[20:21]
	global_load_dwordx4 v[14:17], v[14:15], off offset:128
.LBB703_55:
	s_or_b64 exec, exec, s[2:3]
	s_branch .LBB703_58
.LBB703_56:
                                        ; implicit-def: $vgpr5
                                        ; implicit-def: $vgpr9
                                        ; implicit-def: $vgpr13
                                        ; implicit-def: $vgpr17
	s_cbranch_execz .LBB703_58
; %bb.57:
	s_waitcnt vmcnt(0)
	v_lshlrev_b32_e32 v2, 1, v18
	v_lshl_or_b32 v18, v35, 9, v2
	s_and_b32 s5, s5, 0xffff
	s_mov_b32 s7, 0x20000
	s_movk_i32 s6, 0x4000
	s_movk_i32 s0, 0x80
	buffer_load_dwordx4 v[2:5], v18, s[4:7], 0 offen
	buffer_load_dwordx4 v[6:9], v18, s[4:7], 0 offen offset:256
	buffer_load_dwordx4 v[10:13], v18, s[4:7], s0 offen
	buffer_load_dwordx4 v[14:17], v18, s[4:7], s0 offen offset:256
.LBB703_58:
	ds_read2st64_b64 v[22:25], v19 offset0:76 offset1:77
	ds_read2st64_b64 v[18:21], v19 offset0:78 offset1:79
	ds_read_b64 v[32:33], v26 offset:24576
	ds_read_b64 v[30:31], v27 offset:24576
	;; [unrolled: 1-line block ×4, first 2 shown]
	v_and_b32_e32 v36, 6, v0
	v_xor_b32_e32 v35, v35, v36
	v_lshlrev_b32_e32 v35, 2, v35
	v_and_b32_e32 v0, 1, v0
	v_xor_b32_e32 v38, 0x440, v35
	v_cmp_eq_u32_e32 vcc, 0, v0
	s_mov_b32 s0, 0x1000504
	s_mov_b32 s1, 0x3020706
	v_cndmask_b32_e32 v0, v38, v35, vcc
	v_lshl_or_b32 v0, v36, 10, v0
	s_waitcnt vmcnt(0)
	v_perm_b32 v35, v2, v6, s0
	v_perm_b32 v36, v10, v14, s0
	ds_write2st64_b32 v0, v35, v36 offset1:32
	v_xor_b32_e32 v35, 8, v0
	v_perm_b32 v2, v2, v6, s1
	v_perm_b32 v6, v10, v14, s1
	v_add_u32_e32 v10, 0x80, v35
	ds_write2st64_b32 v10, v2, v6 offset1:32
	v_xor_b32_e32 v2, 16, v0
	v_perm_b32 v6, v3, v7, s0
	v_perm_b32 v10, v11, v15, s0
	ds_write2st64_b32 v2, v6, v10 offset0:1 offset1:33
	v_xor_b32_e32 v2, 24, v0
	v_perm_b32 v3, v3, v7, s1
	v_perm_b32 v6, v11, v15, s1
	v_add_u32_e32 v2, 0x80, v2
	ds_write2st64_b32 v2, v3, v6 offset0:1 offset1:33
	v_xor_b32_e32 v2, 32, v0
	v_perm_b32 v3, v4, v8, s0
	v_perm_b32 v6, v12, v16, s0
	ds_write2st64_b32 v2, v3, v6 offset0:2 offset1:34
	v_xor_b32_e32 v2, 40, v0
	v_perm_b32 v3, v4, v8, s1
	v_perm_b32 v4, v12, v16, s1
	v_add_u32_e32 v2, 0x80, v2
	ds_write2st64_b32 v2, v3, v4 offset0:2 offset1:34
	v_xor_b32_e32 v2, 48, v0
	v_perm_b32 v3, v5, v9, s0
	v_perm_b32 v4, v13, v17, s0
	v_xor_b32_e32 v0, 56, v0
	v_and_or_b32 v8, v37, 12, v42
	ds_write2st64_b32 v2, v3, v4 offset0:3 offset1:35
	v_perm_b32 v2, v5, v9, s1
	v_perm_b32 v3, v13, v17, s1
	v_add_u32_e32 v0, 0x80, v0
	v_cmp_gt_i32_e64 s[2:3], s43, v8
	v_mov_b32_e32 v10, 0
	v_mov_b32_e32 v15, 0
	ds_write2st64_b32 v0, v2, v3 offset0:3 offset1:35
	s_and_saveexec_b64 s[0:1], s[2:3]
	s_cbranch_execz .LBB703_60
; %bb.59:
	v_add_u32_e32 v0, s42, v8
	v_ashrrev_i32_e32 v2, 31, v0
	v_mul_lo_u32 v4, v2, s34
	v_mul_lo_u32 v5, v0, s35
	v_mad_u64_u32 v[2:3], s[4:5], v0, s34, 0
	v_add3_u32 v3, v3, v5, v4
	v_lshl_add_u64 v[2:3], v[2:3], 2, s[10:11]
	global_load_dword v0, v[2:3], off
	s_waitcnt vmcnt(0)
	v_sub_f32_e32 v0, s12, v0
	v_exp_f32_e32 v15, v0
.LBB703_60:
	s_or_b64 exec, exec, s[0:1]
	v_or_b32_e32 v13, 1, v8
	v_cmp_gt_i32_e64 s[4:5], s43, v13
	s_and_saveexec_b64 s[0:1], s[4:5]
	s_cbranch_execz .LBB703_62
; %bb.61:
	v_add_u32_e32 v0, s42, v13
	v_ashrrev_i32_e32 v2, 31, v0
	v_mul_lo_u32 v4, v2, s34
	v_mul_lo_u32 v5, v0, s35
	v_mad_u64_u32 v[2:3], s[6:7], v0, s34, 0
	v_add3_u32 v3, v3, v5, v4
	v_lshl_add_u64 v[2:3], v[2:3], 2, s[10:11]
	global_load_dword v0, v[2:3], off
	s_waitcnt vmcnt(0)
	v_sub_f32_e32 v0, s12, v0
	v_exp_f32_e32 v10, v0
.LBB703_62:
	s_or_b64 exec, exec, s[0:1]
	v_or_b32_e32 v11, 2, v8
	v_cmp_gt_i32_e32 vcc, s43, v11
	v_mov_b32_e32 v9, 0
	v_mov_b32_e32 v14, 0
	s_and_saveexec_b64 s[0:1], vcc
	s_cbranch_execz .LBB703_64
; %bb.63:
	v_add_u32_e32 v0, s42, v11
	v_ashrrev_i32_e32 v2, 31, v0
	v_mul_lo_u32 v4, v2, s34
	v_mul_lo_u32 v5, v0, s35
	v_mad_u64_u32 v[2:3], s[6:7], v0, s34, 0
	v_add3_u32 v3, v3, v5, v4
	v_lshl_add_u64 v[2:3], v[2:3], 2, s[10:11]
	global_load_dword v0, v[2:3], off
	s_waitcnt vmcnt(0)
	v_sub_f32_e32 v0, s12, v0
	v_exp_f32_e32 v14, v0
.LBB703_64:
	s_or_b64 exec, exec, s[0:1]
	v_or_b32_e32 v12, 3, v8
	v_cmp_gt_i32_e64 s[0:1], s43, v12
	s_and_saveexec_b64 s[6:7], s[0:1]
	s_cbranch_execz .LBB703_66
; %bb.65:
	v_add_u32_e32 v0, s42, v12
	v_ashrrev_i32_e32 v2, 31, v0
	v_mul_lo_u32 v4, v2, s34
	v_mul_lo_u32 v5, v0, s35
	v_mad_u64_u32 v[2:3], s[16:17], v0, s34, 0
	v_add3_u32 v3, v3, v5, v4
	v_lshl_add_u64 v[2:3], v[2:3], 2, s[10:11]
	global_load_dword v0, v[2:3], off
	s_waitcnt vmcnt(0)
	v_sub_f32_e32 v0, s12, v0
	v_exp_f32_e32 v9, v0
.LBB703_66:
	s_or_b64 exec, exec, s[6:7]
	s_waitcnt lgkmcnt(11)
	v_mfma_f32_16x16x16_bf16 a[0:3], v[32:33], v[22:23], a[0:3]
	v_or_b32_e32 v0, s36, v1
	s_add_u32 s6, s8, s28
	v_ashrrev_i32_e32 v1, 31, v0
	s_waitcnt lgkmcnt(10)
	v_mfma_f32_16x16x16_bf16 a[0:3], v[30:31], v[24:25], a[0:3]
	s_addc_u32 s7, s9, s29
	v_lshlrev_b64 v[0:1], 1, v[0:1]
	v_lshl_add_u64 v[4:5], s[6:7], 0, v[0:1]
	s_waitcnt lgkmcnt(9)
	v_mfma_f32_16x16x16_bf16 a[0:3], v[28:29], v[18:19], a[0:3]
	s_add_u32 s6, s14, s28
	s_addc_u32 s7, s15, s29
	v_lshl_add_u64 v[6:7], s[6:7], 0, v[0:1]
	s_waitcnt lgkmcnt(8)
	v_mfma_f32_16x16x16_bf16 a[0:3], v[26:27], v[20:21], a[0:3]
	v_mov_b32_e32 v16, 0
	v_mov_b32_e32 v17, 0
	s_nop 4
	v_accvgpr_read_b32 v0, a0
	v_accvgpr_read_b32 v1, a1
	;; [unrolled: 1-line block ×4, first 2 shown]
	s_and_saveexec_b64 s[6:7], s[2:3]
	s_cbranch_execz .LBB703_68
; %bb.67:
	v_lshlrev_b32_e32 v18, 8, v8
	v_mov_b32_e32 v19, 0
	v_lshl_add_u64 v[20:21], v[4:5], 0, v[18:19]
	global_load_ushort v17, v[20:21], off
	v_lshl_add_u64 v[18:19], v[6:7], 0, v[18:19]
	s_waitcnt vmcnt(0)
	v_lshlrev_b32_e32 v17, 16, v17
	v_sub_f32_e32 v0, v17, v0
	global_store_short_d16_hi v[18:19], v0, off
	v_mul_f32_e32 v0, v15, v0
	v_lshrrev_b32_e32 v17, 16, v0
.LBB703_68:
	s_or_b64 exec, exec, s[6:7]
	s_and_saveexec_b64 s[2:3], s[4:5]
	s_cbranch_execz .LBB703_70
; %bb.69:
	v_lshlrev_b32_e32 v18, 8, v13
	v_mov_b32_e32 v19, 0
	v_lshl_add_u64 v[20:21], v[4:5], 0, v[18:19]
	global_load_ushort v0, v[20:21], off
	v_lshl_add_u64 v[18:19], v[6:7], 0, v[18:19]
	s_waitcnt vmcnt(0)
	v_lshlrev_b32_e32 v0, 16, v0
	v_sub_f32_e32 v0, v0, v1
	global_store_short_d16_hi v[18:19], v0, off
	v_mul_f32_e32 v0, v10, v0
	v_lshrrev_b32_e32 v16, 16, v0
.LBB703_70:
	s_or_b64 exec, exec, s[2:3]
	v_mov_b32_e32 v0, 0
	v_mov_b32_e32 v1, 0
	s_and_saveexec_b64 s[2:3], vcc
	s_cbranch_execz .LBB703_72
; %bb.71:
	v_lshlrev_b32_e32 v10, 8, v11
	v_mov_b32_e32 v11, 0
	v_lshl_add_u64 v[18:19], v[4:5], 0, v[10:11]
	global_load_ushort v1, v[18:19], off
	v_lshl_add_u64 v[10:11], v[6:7], 0, v[10:11]
	s_waitcnt vmcnt(0)
	v_lshlrev_b32_e32 v1, 16, v1
	v_sub_f32_e32 v1, v1, v2
	global_store_short_d16_hi v[10:11], v1, off
	v_mul_f32_e32 v1, v14, v1
	v_lshrrev_b32_e32 v1, 16, v1
.LBB703_72:
	s_or_b64 exec, exec, s[2:3]
	s_and_saveexec_b64 s[2:3], s[0:1]
	s_cbranch_execz .LBB703_74
; %bb.73:
	v_lshlrev_b32_e32 v10, 8, v12
	v_mov_b32_e32 v11, 0
	v_lshl_add_u64 v[4:5], v[4:5], 0, v[10:11]
	global_load_ushort v0, v[4:5], off
	v_lshl_add_u64 v[4:5], v[6:7], 0, v[10:11]
	s_waitcnt vmcnt(0)
	v_lshlrev_b32_e32 v0, 16, v0
	v_sub_f32_e32 v0, v0, v3
	global_store_short_d16_hi v[4:5], v0, off
	v_mul_f32_e32 v0, v9, v0
	v_lshrrev_b32_e32 v0, 16, v0
.LBB703_74:
	s_or_b64 exec, exec, s[2:3]
	s_mov_b32 s0, 0x5040100
	v_lshlrev_b32_e32 v2, 1, v34
	v_perm_b32 v1, v0, v1, s0
	v_perm_b32 v0, v16, v17, s0
	v_lshl_or_b32 v2, v8, 5, v2
	ds_write_b64 v2, v[0:1] offset:38912
	s_waitcnt lgkmcnt(0)
	s_barrier
.LBB703_75:
	s_endpgm
	.section	.rodata,"a",@progbits
	.p2align	6, 0x0
	.amdhsa_kernel _ZN12_GLOBAL__N_139chunk_gated_delta_rule_fwd_h_hip_kernelILi16ELb0ELb0ELb1ELb0ELb1ELb0ELb0ELb0EEEvPK12hip_bfloat16S3_S3_PKfS5_PKvPS1_S8_PvPKiSB_iiiiilll
		.amdhsa_group_segment_fixed_size 40960
		.amdhsa_private_segment_fixed_size 0
		.amdhsa_kernarg_size 136
		.amdhsa_user_sgpr_count 2
		.amdhsa_user_sgpr_dispatch_ptr 0
		.amdhsa_user_sgpr_queue_ptr 0
		.amdhsa_user_sgpr_kernarg_segment_ptr 1
		.amdhsa_user_sgpr_dispatch_id 0
		.amdhsa_user_sgpr_kernarg_preload_length 0
		.amdhsa_user_sgpr_kernarg_preload_offset 0
		.amdhsa_user_sgpr_private_segment_size 0
		.amdhsa_uses_dynamic_stack 0
		.amdhsa_enable_private_segment 0
		.amdhsa_system_sgpr_workgroup_id_x 1
		.amdhsa_system_sgpr_workgroup_id_y 1
		.amdhsa_system_sgpr_workgroup_id_z 0
		.amdhsa_system_sgpr_workgroup_info 0
		.amdhsa_system_vgpr_workitem_id 0
		.amdhsa_next_free_vgpr 116
		.amdhsa_next_free_sgpr 66
		.amdhsa_accum_offset 108
		.amdhsa_reserve_vcc 1
		.amdhsa_float_round_mode_32 0
		.amdhsa_float_round_mode_16_64 0
		.amdhsa_float_denorm_mode_32 3
		.amdhsa_float_denorm_mode_16_64 3
		.amdhsa_dx10_clamp 1
		.amdhsa_ieee_mode 1
		.amdhsa_fp16_overflow 0
		.amdhsa_tg_split 0
		.amdhsa_exception_fp_ieee_invalid_op 0
		.amdhsa_exception_fp_denorm_src 0
		.amdhsa_exception_fp_ieee_div_zero 0
		.amdhsa_exception_fp_ieee_overflow 0
		.amdhsa_exception_fp_ieee_underflow 0
		.amdhsa_exception_fp_ieee_inexact 0
		.amdhsa_exception_int_div_zero 0
	.end_amdhsa_kernel
	.section	.text._ZN12_GLOBAL__N_139chunk_gated_delta_rule_fwd_h_hip_kernelILi16ELb0ELb0ELb1ELb0ELb1ELb0ELb0ELb0EEEvPK12hip_bfloat16S3_S3_PKfS5_PKvPS1_S8_PvPKiSB_iiiiilll,"axG",@progbits,_ZN12_GLOBAL__N_139chunk_gated_delta_rule_fwd_h_hip_kernelILi16ELb0ELb0ELb1ELb0ELb1ELb0ELb0ELb0EEEvPK12hip_bfloat16S3_S3_PKfS5_PKvPS1_S8_PvPKiSB_iiiiilll,comdat
.Lfunc_end703:
	.size	_ZN12_GLOBAL__N_139chunk_gated_delta_rule_fwd_h_hip_kernelILi16ELb0ELb0ELb1ELb0ELb1ELb0ELb0ELb0EEEvPK12hip_bfloat16S3_S3_PKfS5_PKvPS1_S8_PvPKiSB_iiiiilll, .Lfunc_end703-_ZN12_GLOBAL__N_139chunk_gated_delta_rule_fwd_h_hip_kernelILi16ELb0ELb0ELb1ELb0ELb1ELb0ELb0ELb0EEEvPK12hip_bfloat16S3_S3_PKfS5_PKvPS1_S8_PvPKiSB_iiiiilll
                                        ; -- End function
	.section	.AMDGPU.csdata,"",@progbits
; Kernel info:
; codeLenInByte = 7300
; NumSgprs: 72
; NumVgprs: 108
; NumAgprs: 8
; TotalNumVgprs: 116
; ScratchSize: 0
; MemoryBound: 0
; FloatMode: 240
; IeeeMode: 1
; LDSByteSize: 40960 bytes/workgroup (compile time only)
; SGPRBlocks: 8
; VGPRBlocks: 14
; NumSGPRsForWavesPerEU: 72
; NumVGPRsForWavesPerEU: 116
; AccumOffset: 108
; Occupancy: 1
; WaveLimiterHint : 1
; COMPUTE_PGM_RSRC2:SCRATCH_EN: 0
; COMPUTE_PGM_RSRC2:USER_SGPR: 2
; COMPUTE_PGM_RSRC2:TRAP_HANDLER: 0
; COMPUTE_PGM_RSRC2:TGID_X_EN: 1
; COMPUTE_PGM_RSRC2:TGID_Y_EN: 1
; COMPUTE_PGM_RSRC2:TGID_Z_EN: 0
; COMPUTE_PGM_RSRC2:TIDIG_COMP_CNT: 0
; COMPUTE_PGM_RSRC3_GFX90A:ACCUM_OFFSET: 26
; COMPUTE_PGM_RSRC3_GFX90A:TG_SPLIT: 0
	.section	.text._ZN12_GLOBAL__N_139chunk_gated_delta_rule_fwd_h_hip_kernelILi16ELb0ELb0ELb0ELb0ELb1ELb0ELb0ELb0EEEvPK12hip_bfloat16S3_S3_PKfS5_PKvPS1_S8_PvPKiSB_iiiiilll,"axG",@progbits,_ZN12_GLOBAL__N_139chunk_gated_delta_rule_fwd_h_hip_kernelILi16ELb0ELb0ELb0ELb0ELb1ELb0ELb0ELb0EEEvPK12hip_bfloat16S3_S3_PKfS5_PKvPS1_S8_PvPKiSB_iiiiilll,comdat
	.globl	_ZN12_GLOBAL__N_139chunk_gated_delta_rule_fwd_h_hip_kernelILi16ELb0ELb0ELb0ELb0ELb1ELb0ELb0ELb0EEEvPK12hip_bfloat16S3_S3_PKfS5_PKvPS1_S8_PvPKiSB_iiiiilll ; -- Begin function _ZN12_GLOBAL__N_139chunk_gated_delta_rule_fwd_h_hip_kernelILi16ELb0ELb0ELb0ELb0ELb1ELb0ELb0ELb0EEEvPK12hip_bfloat16S3_S3_PKfS5_PKvPS1_S8_PvPKiSB_iiiiilll
	.p2align	8
	.type	_ZN12_GLOBAL__N_139chunk_gated_delta_rule_fwd_h_hip_kernelILi16ELb0ELb0ELb0ELb0ELb1ELb0ELb0ELb0EEEvPK12hip_bfloat16S3_S3_PKfS5_PKvPS1_S8_PvPKiSB_iiiiilll,@function
_ZN12_GLOBAL__N_139chunk_gated_delta_rule_fwd_h_hip_kernelILi16ELb0ELb0ELb0ELb0ELb1ELb0ELb0ELb0EEEvPK12hip_bfloat16S3_S3_PKfS5_PKvPS1_S8_PvPKiSB_iiiiilll: ; @_ZN12_GLOBAL__N_139chunk_gated_delta_rule_fwd_h_hip_kernelILi16ELb0ELb0ELb0ELb0ELb1ELb0ELb0ELb0EEEvPK12hip_bfloat16S3_S3_PKfS5_PKvPS1_S8_PvPKiSB_iiiiilll
; %bb.0:
	s_load_dwordx4 s[12:15], s[0:1], 0x5c
	s_load_dwordx2 s[36:37], s[0:1], 0x30
	s_abs_i32 s18, s3
	s_ashr_i32 s17, s3, 31
	s_load_dwordx8 s[4:11], s[0:1], 0x0
	s_waitcnt lgkmcnt(0)
	s_abs_i32 s16, s13
	v_cvt_f32_u32_e32 v1, s16
	s_sub_i32 s20, 0, s16
	s_ashr_i32 s19, s13, 31
	s_xor_b32 s17, s17, s19
	v_rcp_iflag_f32_e32 v1, v1
	v_lshrrev_b32_e32 v42, 6, v0
	v_bfe_u32 v43, v0, 4, 2
	v_lshlrev_b32_e32 v40, 4, v42
	v_mul_f32_e32 v1, 0x4f7ffffe, v1
	v_cvt_u32_f32_e32 v1, v1
	v_lshlrev_b32_e32 v2, 2, v43
	v_and_b32_e32 v41, 63, v0
	v_or_b32_e32 v46, v2, v40
	v_readfirstlane_b32 s21, v1
	s_mul_i32 s20, s20, s21
	s_mul_hi_u32 s20, s21, s20
	s_add_i32 s21, s21, s20
	s_mul_hi_u32 s20, s18, s21
	s_mul_i32 s21, s20, s16
	s_sub_i32 s18, s18, s21
	s_add_i32 s22, s20, 1
	s_sub_i32 s21, s18, s16
	s_cmp_ge_u32 s18, s16
	s_cselect_b32 s20, s22, s20
	s_cselect_b32 s18, s21, s18
	s_add_i32 s21, s20, 1
	s_cmp_ge_u32 s18, s16
	s_cselect_b32 s18, s21, s20
	s_xor_b32 s18, s18, s17
	s_sub_i32 s45, s18, s17
	s_abs_i32 s17, s14
	v_cvt_f32_u32_e32 v1, s17
	s_add_i32 s20, s12, 63
	s_mul_i32 s43, s45, s13
	s_sub_i32 s33, s3, s43
	v_rcp_iflag_f32_e32 v1, v1
	s_ashr_i32 s3, s20, 31
	s_ashr_i32 s44, s12, 31
	s_lshr_b32 s3, s3, 26
	v_mul_f32_e32 v1, 0x4f7ffffe, v1
	v_cvt_u32_f32_e32 v1, v1
	s_lshr_b32 s18, s44, 26
	s_add_i32 s20, s20, s3
	s_add_i32 s18, s12, s18
	s_ashr_i32 s47, s14, 31
	s_ashr_i32 s3, s20, 6
	;; [unrolled: 1-line block ×3, first 2 shown]
	s_xor_b32 s18, s19, s47
	s_sub_i32 s19, 0, s17
	v_readfirstlane_b32 s20, v1
	s_mul_i32 s19, s19, s20
	s_mul_hi_u32 s19, s20, s19
	s_add_i32 s20, s20, s19
	s_mul_hi_u32 s19, s16, s20
	s_mul_i32 s20, s19, s17
	s_sub_i32 s16, s16, s20
	s_add_i32 s20, s19, 1
	s_sub_i32 s21, s16, s17
	s_cmp_ge_u32 s16, s17
	s_cselect_b32 s19, s20, s19
	s_cselect_b32 s16, s21, s16
	s_add_i32 s20, s19, 1
	s_cmp_ge_u32 s16, s17
	s_cselect_b32 s16, s20, s19
	s_xor_b32 s16, s16, s18
	s_sub_i32 s20, s16, s18
	s_abs_i32 s21, s20
	v_cvt_f32_u32_e32 v1, s21
	s_load_dwordx2 s[28:29], s[0:1], 0x80
	s_load_dwordx4 s[16:19], s[0:1], 0x70
	s_xor_b32 s0, s33, s20
	s_sub_i32 s20, 0, s21
	v_rcp_iflag_f32_e32 v1, v1
	s_abs_i32 s1, s33
	s_ashr_i32 s0, s0, 31
	s_mul_i32 s48, s45, s3
	v_mul_f32_e32 v1, 0x4f7ffffe, v1
	v_cvt_u32_f32_e32 v1, v1
	v_or_b32_e32 v47, 64, v46
	v_mov_b32_e32 v3, 0
	s_mul_hi_i32 s49, s45, s13
	v_readfirstlane_b32 s22, v1
	s_mul_i32 s20, s20, s22
	s_mul_hi_u32 s20, s22, s20
	s_add_i32 s22, s22, s20
	s_mul_hi_u32 s20, s1, s22
	s_mul_i32 s22, s20, s21
	s_sub_i32 s1, s1, s22
	s_add_i32 s22, s20, 1
	s_sub_i32 s23, s1, s21
	s_cmp_ge_u32 s1, s21
	s_cselect_b32 s20, s22, s20
	s_cselect_b32 s1, s23, s1
	s_add_i32 s22, s20, 1
	s_cmp_ge_u32 s1, s21
	s_cselect_b32 s1, s22, s20
	s_xor_b32 s1, s1, s0
	s_sub_i32 s50, s1, s0
	s_lshl_b32 s30, s2, 4
	v_and_b32_e32 v1, 15, v0
	s_cmp_lt_i32 s12, 64
	v_lshrrev_b32_e32 v45, 3, v41
	v_lshlrev_b32_e32 v44, 3, v0
	s_waitcnt lgkmcnt(0)
	s_mul_i32 s17, s45, s17
	s_mul_hi_u32 s42, s45, s16
	s_mul_i32 s34, s45, s16
	v_mov_b32_e32 v59, 0
	v_mov_b32_e32 v34, 0
	;; [unrolled: 1-line block ×7, first 2 shown]
	s_cbranch_scc1 .LBB704_18
; %bb.1:
	s_ashr_i32 s24, s45, 31
	s_ashr_i32 s52, s33, 31
	s_add_u32 s0, s43, s33
	s_addc_u32 s1, s49, s52
	s_mul_i32 s1, s12, s1
	s_mul_hi_u32 s2, s12, s0
	s_add_i32 s3, s2, s1
	s_mul_i32 s2, s12, s0
	s_lshl_b64 s[0:1], s[2:3], 8
	v_and_b32_e32 v49, 56, v44
	s_add_u32 s20, s6, s0
	v_lshl_or_b32 v48, v42, 3, v45
	v_lshlrev_b32_e32 v3, 1, v49
	s_addc_u32 s0, s7, s1
	v_lshl_or_b32 v50, v48, 8, v3
	s_and_b32 s21, s0, 0xffff
	s_mov_b32 s23, 0x20000
	s_movk_i32 s22, 0x4000
	s_movk_i32 s0, 0x80
	v_or_b32_e32 v51, 0x2000, v50
	buffer_load_dwordx4 v[4:7], v50, s[20:23], 0 offen
	buffer_load_dwordx4 v[8:11], v50, s[20:23], s0 offen
	;; [unrolled: 1-line block ×4, first 2 shown]
	v_lshlrev_b32_e32 v20, 3, v48
	v_and_or_b32 v22, v0, 7, v20
	v_and_b32_e32 v20, 0x78, v20
	v_lshlrev_b32_e32 v22, 4, v22
	v_xor_b32_e32 v52, v22, v20
	v_mul_lo_u32 v21, v48, s15
	v_or_b32_e32 v53, 0x1000, v52
	s_cmpk_eq_i32 s15, 0x80
	s_mov_b32 s51, s14
	v_xor_b32_e32 v20, 8, v52
	v_xor_b32_e32 v22, 8, v53
	s_cselect_b64 s[0:1], -1, 0
	s_cmpk_lg_i32 s15, 0x80
	s_waitcnt vmcnt(3)
	ds_write_b64 v52, v[4:5] offset:16384
	ds_write_b64 v20, v[6:7] offset:16384
	s_waitcnt vmcnt(2)
	ds_write_b64 v52, v[8:9] offset:24576
	ds_write_b64 v20, v[10:11] offset:24576
	;; [unrolled: 3-line block ×4, first 2 shown]
	v_lshl_add_u32 v4, v21, 1, v49
	s_cbranch_scc0 .LBB704_3
; %bb.2:
	v_lshlrev_b32_e32 v6, 1, v4
	v_add_lshl_u32 v5, v4, s15, 1
	s_lshl_b32 s22, s15, 7
	v_lshl_or_b32 v3, v48, 9, v3
	s_cbranch_execz .LBB704_4
	s_branch .LBB704_5
.LBB704_3:
                                        ; implicit-def: $vgpr5
                                        ; implicit-def: $vgpr6
                                        ; implicit-def: $sgpr22
	v_lshl_or_b32 v3, v48, 9, v3
.LBB704_4:
	v_or_b32_e32 v5, 0x100, v3
	s_movk_i32 s22, 0x4000
	v_mov_b32_e32 v6, v3
.LBB704_5:
	s_mul_hi_u32 s20, s14, s12
	s_mul_i32 s21, s47, s12
	s_add_i32 s20, s20, s21
	s_mul_i32 s21, s14, s12
	s_mul_i32 s23, s21, s24
	s_mul_hi_u32 s25, s21, s45
	s_add_i32 s23, s25, s23
	s_mul_i32 s20, s20, s45
	s_add_i32 s23, s23, s20
	s_mul_i32 s21, s21, s45
	s_ashr_i32 s53, s50, 31
	s_add_u32 s20, s21, s50
	s_addc_u32 s21, s23, s53
	s_lshl_b64 s[20:21], s[20:21], 8
	s_add_u32 s20, s4, s20
	s_addc_u32 s21, s5, s21
	s_and_b32 s21, s21, 0xffff
	s_mov_b32 s23, 0x20000
	s_movk_i32 s54, 0x80
	buffer_load_dwordx4 v[8:11], v6, s[20:23], 0 offen
	buffer_load_dwordx4 v[12:15], v6, s[20:23], s54 offen
	;; [unrolled: 1-line block ×4, first 2 shown]
	v_and_b32_e32 v5, 6, v0
	s_mul_i32 s20, s24, s12
	s_mul_hi_u32 s21, s45, s12
	v_lshlrev_b32_e32 v7, 2, v1
	v_lshlrev_b32_e32 v24, 3, v1
	v_xor_b32_e32 v26, v48, v5
	v_and_b32_e32 v6, 1, v0
	s_mul_i32 s24, s24, s16
	v_lshl_or_b32 v24, v46, 5, v24
	v_xor_b32_e32 v27, v46, v7
	v_lshlrev_b32_e32 v26, 2, v26
	s_add_i32 s59, s21, s20
	s_add_i32 s20, s42, s17
	v_or_b32_e32 v54, 0x9000, v24
	v_or_b32_e32 v55, 0x9800, v24
	v_lshlrev_b32_e32 v24, 1, v27
	v_xor_b32_e32 v27, 0x440, v26
	v_cmp_eq_u32_e32 vcc, 0, v6
	s_add_i32 s35, s20, s24
	s_mul_i32 s20, s33, s19
	s_mul_hi_u32 s21, s33, s18
	v_cndmask_b32_e32 v6, v27, v26, vcc
	s_add_i32 s20, s21, s20
	s_mul_i32 s21, s52, s18
	s_mov_b32 s56, 0x1000504
	v_lshlrev_b32_e32 v25, 8, v1
	s_mov_b32 s22, 0x8000
	v_xor_b32_e32 v7, v47, v7
	v_lshl_or_b32 v5, v5, 10, v6
	s_add_i32 s21, s20, s21
	s_lshl_b64 s[24:25], s[34:35], 2
	s_mov_b32 s57, 0x3020706
	v_lshlrev_b32_e32 v7, 1, v7
	v_or3_b32 v56, v24, v25, s22
	v_xor_b32_e32 v6, 8, v5
	v_xor_b32_e32 v24, 24, v5
	;; [unrolled: 1-line block ×4, first 2 shown]
	s_mul_i32 s20, s33, s18
	s_add_u32 s24, s10, s24
	v_or3_b32 v57, v7, v25, s22
	v_xor_b32_e32 v7, 16, v5
	v_xor_b32_e32 v25, 32, v5
	;; [unrolled: 1-line block ×3, first 2 shown]
	v_add_u32_e32 v6, 0x80, v6
	v_add_u32_e32 v24, 0x80, v24
	;; [unrolled: 1-line block ×4, first 2 shown]
	s_addc_u32 s25, s11, s25
	s_lshl_b64 s[20:21], s[20:21], 2
	s_add_u32 s38, s24, s20
	s_movk_i32 s20, 0xf8
	s_addc_u32 s39, s25, s21
	s_ashr_i32 s31, s30, 31
	s_lshl_b32 s26, s15, 7
	v_mov_b32_e32 v35, 0
	s_mov_b32 s55, 0
	s_mul_i32 s58, s45, s12
	v_add_u32_e32 v76, v40, v2
	s_mov_b32 s60, 0
	v_mov_b32_e32 v60, v35
	v_mov_b32_e32 v61, v35
	;; [unrolled: 1-line block ×6, first 2 shown]
	s_waitcnt vmcnt(1)
	v_perm_b32 v29, v8, v16, s56
	s_waitcnt vmcnt(0)
	v_perm_b32 v30, v12, v20, s56
	v_perm_b32 v8, v8, v16, s57
	;; [unrolled: 1-line block ×15, first 2 shown]
	ds_write2st64_b32 v5, v29, v30 offset1:32
	ds_write2st64_b32 v6, v8, v12 offset1:32
	ds_write2st64_b32 v7, v16, v20 offset0:1 offset1:33
	ds_write2st64_b32 v24, v9, v13 offset0:1 offset1:33
	;; [unrolled: 1-line block ×6, first 2 shown]
	v_or_b32_e32 v5, v40, v1
	v_lshlrev_b32_e32 v5, 3, v5
	v_lshrrev_b32_e32 v7, 5, v41
	v_and_or_b32 v7, v5, s20, v7
	v_lshlrev_b32_e32 v7, 4, v7
	v_lshlrev_b32_e32 v8, 11, v42
	v_and_b32_e32 v5, 0x78, v5
	v_or_b32_e32 v12, 32, v7
	v_and_b32_e32 v6, 0x1000, v8
	v_lshrrev_b32_e32 v10, 1, v0
	v_xor_b32_e32 v12, v12, v5
	v_and_b32_e32 v11, 8, v10
	v_or_b32_e32 v12, v12, v6
	v_xor_b32_e32 v9, v7, v5
	v_xor_b32_e32 v64, v12, v11
	v_or_b32_e32 v12, 64, v7
	v_or_b32_e32 v7, 0x60, v7
	;; [unrolled: 1-line block ×3, first 2 shown]
	v_xor_b32_e32 v12, v12, v5
	v_xor_b32_e32 v5, v7, v5
	;; [unrolled: 1-line block ×3, first 2 shown]
	v_and_b32_e32 v9, 0x78, v44
	v_or_b32_e32 v5, v5, v6
	v_lshl_or_b32 v9, v43, 7, v9
	v_or_b32_e32 v12, v12, v6
	v_xor_b32_e32 v66, v5, v11
	v_lshlrev_b32_e32 v5, 1, v1
	v_or_b32_e32 v63, 0x9000, v9
	v_xor_b32_e32 v65, v12, v11
	v_or_b32_e32 v67, 0x9800, v9
	v_lshlrev_b32_e32 v9, 1, v4
	v_add_lshl_u32 v11, v4, s15, 1
	v_lshrrev_b32_e32 v4, 4, v0
	s_lshl_b64 s[20:21], s[30:31], 8
	v_or_b32_e32 v13, 1, v5
	s_add_u32 s20, s36, s20
	v_xor_b32_e32 v5, v4, v5
	v_xor_b32_e32 v13, v13, v4
	s_addc_u32 s21, s37, s21
	v_lshlrev_b32_e32 v5, 3, v5
	v_lshlrev_b32_e32 v34, 8, v4
	;; [unrolled: 1-line block ×3, first 2 shown]
	v_or3_b32 v68, v5, v34, s22
	v_or3_b32 v69, v4, v34, s22
	v_lshl_add_u64 v[4:5], s[20:21], 0, v[34:35]
	v_lshlrev_b32_e32 v34, 4, v1
	s_movk_i32 s20, 0xff
	v_lshlrev_b32_e32 v15, 3, v42
	v_and_b32_e32 v10, 24, v10
	v_lshl_add_u64 v[36:37], v[4:5], 0, v[34:35]
	v_and_b32_e32 v5, 8, v0
	v_cmp_lt_u32_e32 vcc, s20, v0
	v_xor_b32_e32 v16, v15, v10
	v_or_b32_e32 v17, 0x440, v16
	v_cndmask_b32_e64 v14, 0, 1, vcc
	v_cmp_eq_u32_e32 vcc, 0, v5
	v_and_b32_e32 v4, 7, v0
	v_lshlrev_b32_e32 v13, 3, v4
	v_cndmask_b32_e32 v5, v17, v16, vcc
	v_lshlrev_b32_e32 v4, 7, v4
	v_or_b32_e32 v5, v5, v8
	v_xad_u32 v70, v5, v13, v4
	v_or_b32_e32 v5, 32, v10
	v_xor_b32_e32 v5, v15, v5
	v_or_b32_e32 v16, 0x440, v5
	v_cndmask_b32_e32 v5, v16, v5, vcc
	v_or_b32_e32 v5, v5, v8
	v_xad_u32 v71, v5, v13, v4
	v_or_b32_e32 v5, 64, v10
	v_xor_b32_e32 v5, v15, v5
	v_xor_b32_e32 v16, 0x440, v5
	v_cndmask_b32_e32 v5, v16, v5, vcc
	v_or_b32_e32 v5, v5, v8
	v_xad_u32 v72, v5, v13, v4
	v_or_b32_e32 v5, 0x60, v10
	v_xor_b32_e32 v5, v15, v5
	v_xor_b32_e32 v10, 0x440, v5
	v_or_b32_e32 v6, s30, v1
	v_cndmask_b32_e32 v5, v10, v5, vcc
	v_ashrrev_i32_e32 v7, 31, v6
	v_or_b32_e32 v5, v5, v8
	v_lshl_add_u64 v[6:7], v[6:7], 1, s[8:9]
	v_or_b32_e32 v12, 0x100, v3
	v_lshlrev_b32_e32 v14, 13, v14
	v_xad_u32 v73, v5, v13, v4
	v_lshlrev_b32_e32 v34, 8, v46
	v_cndmask_b32_e64 v74, v9, v3, s[0:1]
	v_cndmask_b32_e64 v75, v11, v12, s[0:1]
	v_lshl_add_u64 v[38:39], v[6:7], 0, v[34:35]
	s_mov_b32 s31, 0x7060302
	s_movk_i32 s22, 0x4000
	v_add_u32_e32 v77, v14, v70
	v_add_u32_e32 v78, v14, v71
	;; [unrolled: 1-line block ×4, first 2 shown]
	v_mov_b32_e32 v34, v35
	s_waitcnt lgkmcnt(0)
	s_barrier
.LBB704_6:                              ; =>This Inner Loop Header: Depth=1
	s_add_i32 s35, s60, 1
	s_cmp_lt_i32 s35, s46
	s_mov_b64 s[24:25], 0
	s_cselect_b64 s[40:41], -1, 0
	s_cmp_ge_i32 s35, s46
	s_mov_b64 s[20:21], 0
	s_cbranch_scc1 .LBB704_8
; %bb.7:                                ;   in Loop: Header=BB704_6 Depth=1
	s_add_i32 s0, s55, 64
	s_add_u32 s0, s2, s0
	s_addc_u32 s1, s3, 0
	s_lshl_b64 s[0:1], s[0:1], 8
	s_add_u32 s20, s6, s0
	s_addc_u32 s21, s7, s1
.LBB704_8:                              ;   in Loop: Header=BB704_6 Depth=1
	v_cndmask_b32_e64 v2, 0, 1, s[40:41]
	v_cmp_ne_u32_e64 s[0:1], 1, v2
	s_andn2_b64 vcc, exec, s[40:41]
	s_cbranch_vccnz .LBB704_10
; %bb.9:                                ;   in Loop: Header=BB704_6 Depth=1
	s_add_i32 s24, s55, 64
	s_add_u32 s24, s58, s24
	s_addc_u32 s25, s59, 0
	s_mul_i32 s27, s24, s47
	s_mul_hi_u32 s40, s24, s51
	s_add_i32 s27, s40, s27
	s_mul_i32 s25, s25, s51
	s_add_i32 s27, s27, s25
	s_mul_i32 s24, s24, s51
	s_add_u32 s24, s24, s50
	s_addc_u32 s25, s27, s53
	s_lshl_b64 s[24:25], s[24:25], 8
	s_add_u32 s24, s4, s24
	s_addc_u32 s25, s5, s25
.LBB704_10:                             ;   in Loop: Header=BB704_6 Depth=1
	v_perm_b32 v3, v82, v61, s31
	v_perm_b32 v2, v60, v35, s31
	;; [unrolled: 1-line block ×4, first 2 shown]
	ds_write_b64 v54, v[2:3]
	ds_write_b64 v55, v[4:5]
	;; [unrolled: 1-line block ×4, first 2 shown]
	s_waitcnt lgkmcnt(0)
	s_barrier
	ds_read_b64 v[10:11], v62 offset:16384
	ds_read_b64 v[12:13], v64 offset:16384
	ds_read2st64_b64 v[2:5], v63 offset1:1
	ds_read2st64_b64 v[6:9], v63 offset0:2 offset1:3
	ds_read_b64 v[14:15], v65 offset:16384
	s_waitcnt lgkmcnt(2)
	v_mfma_f32_16x16x16_bf16 a[0:3], v[10:11], v[2:3], 0
	ds_read_b64 v[2:3], v66 offset:16384
	s_add_i32 s27, s55, 63
	s_mul_i32 s40, s27, s29
	v_mfma_f32_16x16x16_bf16 a[0:3], v[12:13], v[4:5], a[0:3]
	s_mul_hi_u32 s41, s27, s28
	s_add_i32 s41, s41, s40
	s_mul_i32 s40, s27, s28
	s_waitcnt lgkmcnt(1)
	v_mfma_f32_16x16x16_bf16 a[0:3], v[14:15], v[6:7], a[0:3]
	s_lshl_b64 s[40:41], s[40:41], 2
	s_add_u32 s40, s38, s40
	s_addc_u32 s41, s39, s41
	s_waitcnt lgkmcnt(0)
	v_mfma_f32_16x16x16_bf16 a[0:3], v[2:3], v[8:9], a[0:3]
	s_and_b64 vcc, exec, s[0:1]
	v_mov_b32_e32 v85, 0
	v_mov_b32_e32 v84, 0
	;; [unrolled: 1-line block ×19, first 2 shown]
	s_cbranch_vccnz .LBB704_12
; %bb.11:                               ;   in Loop: Header=BB704_6 Depth=1
	s_and_b32 s21, s21, 0xffff
	buffer_load_dwordx4 v[14:17], v50, s[20:23], 0 offen
	buffer_load_dwordx4 v[10:13], v50, s[20:23], s54 offen
	;; [unrolled: 1-line block ×4, first 2 shown]
	v_mov_b32_e32 v84, v52
	v_mov_b32_e32 v83, v53
.LBB704_12:                             ;   in Loop: Header=BB704_6 Depth=1
	s_waitcnt vmcnt(3)
	v_add_u32_e32 v24, s55, v76
	s_waitcnt vmcnt(1)
	v_ashrrev_i32_e32 v18, 31, v24
	v_mul_lo_u32 v20, v18, s28
	v_mul_lo_u32 v21, v24, s29
	v_mad_u64_u32 v[18:19], s[20:21], v24, s28, 0
	v_add3_u32 v19, v19, v21, v20
	v_add_u32_e32 v20, 1, v24
	v_ashrrev_i32_e32 v21, 31, v20
	v_mul_lo_u32 v22, v21, s28
	v_mul_lo_u32 v23, v20, s29
	v_mad_u64_u32 v[20:21], s[20:21], v20, s28, 0
	v_add3_u32 v21, v21, v23, v22
	v_add_u32_e32 v22, 2, v24
	v_ashrrev_i32_e32 v23, 31, v22
	v_mul_lo_u32 v25, v23, s28
	v_mul_lo_u32 v26, v22, s29
	v_mad_u64_u32 v[22:23], s[20:21], v22, s28, 0
	v_add_u32_e32 v24, 3, v24
	v_add3_u32 v23, v23, v26, v25
	v_ashrrev_i32_e32 v25, 31, v24
	v_mul_lo_u32 v28, v25, s28
	v_mul_lo_u32 v29, v24, s29
	v_mad_u64_u32 v[24:25], s[20:21], v24, s28, 0
	s_add_u32 s20, s2, s55
	s_addc_u32 s21, s3, 0
	s_lshl_b64 s[20:21], s[20:21], 8
	v_lshl_add_u64 v[18:19], v[18:19], 2, s[38:39]
	v_lshl_add_u64 v[26:27], v[38:39], 0, s[20:21]
	;; [unrolled: 1-line block ×3, first 2 shown]
	global_load_ushort v87, v[26:27], off
	global_load_ushort v96, v[26:27], off offset:256
	global_load_ushort v97, v[26:27], off offset:512
	;; [unrolled: 1-line block ×3, first 2 shown]
	v_add3_u32 v25, v25, v29, v28
	global_load_dword v99, v[18:19], off
	v_lshl_add_u64 v[22:23], v[22:23], 2, s[38:39]
	v_lshl_add_u64 v[18:19], v[24:25], 2, s[38:39]
	global_load_dword v100, v[20:21], off
	global_load_dword v101, v[22:23], off
	;; [unrolled: 1-line block ×3, first 2 shown]
	s_load_dword s20, s[40:41], 0x0
	ds_read2st64_b64 v[26:29], v67 offset1:1
	ds_read2st64_b64 v[88:91], v67 offset0:2 offset1:3
	ds_read_b64 v[30:31], v62 offset:24576
	ds_read_b64 v[32:33], v64 offset:24576
	;; [unrolled: 1-line block ×4, first 2 shown]
	s_waitcnt lgkmcnt(0)
	v_mfma_f32_16x16x16_bf16 a[0:3], v[30:31], v[26:27], a[0:3]
	v_mov_b32_e32 v86, 0
	v_mov_b32_e32 v18, 0
	v_mov_b32_e32 v19, 0
	v_mfma_f32_16x16x16_bf16 a[0:3], v[32:33], v[28:29], a[0:3]
	v_mov_b32_e32 v20, 0
	v_mov_b32_e32 v21, 0
	v_mov_b32_e32 v22, 0
	;; [unrolled: 4-line block ×4, first 2 shown]
	v_mov_b32_e32 v29, 0
	v_mov_b32_e32 v30, 0
	;; [unrolled: 1-line block ×4, first 2 shown]
	v_accvgpr_read_b32 v91, a1
	v_accvgpr_read_b32 v89, a3
	;; [unrolled: 1-line block ×4, first 2 shown]
	s_and_b64 vcc, exec, s[0:1]
	s_waitcnt vmcnt(7)
	v_lshlrev_b32_e32 v92, 16, v87
	s_waitcnt vmcnt(6)
	v_lshlrev_b32_e32 v93, 16, v96
	;; [unrolled: 2-line block ×4, first 2 shown]
	v_pk_add_f32 v[90:91], v[92:93], v[90:91] neg_lo:[0,1] neg_hi:[0,1]
	s_waitcnt vmcnt(3)
	v_sub_f32_e32 v33, s20, v99
	v_exp_f32_e32 v96, v33
	s_waitcnt vmcnt(2)
	v_sub_f32_e32 v33, s20, v100
	s_waitcnt vmcnt(1)
	v_sub_f32_e32 v87, s20, v101
	;; [unrolled: 2-line block ×3, first 2 shown]
	v_exp_f32_e32 v97, v33
	v_exp_f32_e32 v98, v87
	;; [unrolled: 1-line block ×3, first 2 shown]
	v_pk_add_f32 v[88:89], v[94:95], v[88:89] neg_lo:[0,1] neg_hi:[0,1]
	v_pk_mul_f32 v[90:91], v[96:97], v[90:91]
	v_mov_b32_e32 v33, 0
	v_pk_mul_f32 v[88:89], v[98:99], v[88:89]
	s_nop 0
	v_perm_b32 v89, v89, v88, s31
	v_perm_b32 v88, v91, v90, s31
	ds_write_b64 v55, v[88:89]
	s_cbranch_vccnz .LBB704_14
; %bb.13:                               ;   in Loop: Header=BB704_6 Depth=1
	s_and_b32 s25, s25, 0xffff
	s_mov_b32 s27, s23
	buffer_load_dwordx4 v[30:33], v74, s[24:27], 0 offen
	buffer_load_dwordx4 v[22:25], v74, s[24:27], s54 offen
	;; [unrolled: 1-line block ×4, first 2 shown]
	v_mov_b32_e32 v85, v49
	v_mov_b32_e32 v86, v48
.LBB704_14:                             ;   in Loop: Header=BB704_6 Depth=1
	s_waitcnt lgkmcnt(0)
	s_barrier
	ds_read_b64 v[96:97], v77
	ds_read2st64_b64 v[88:91], v67 offset1:1
	ds_read2st64_b64 v[92:95], v67 offset0:2 offset1:3
	ds_read_b64 v[98:99], v78
	ds_read_b64 v[100:101], v79
	;; [unrolled: 1-line block ×3, first 2 shown]
	s_waitcnt lgkmcnt(4)
	v_mfma_f32_16x16x16_bf16 a[0:3], v[96:97], v[88:89], 0
	ds_read_b64 v[96:97], v70 offset:8192
	ds_read_b64 v[104:105], v71 offset:8192
	s_add_i32 s21, s48, s60
	s_mul_hi_i32 s25, s21, s13
	s_waitcnt lgkmcnt(1)
	v_mfma_f32_16x16x16_bf16 a[4:7], v[96:97], v[88:89], 0
	s_mul_i32 s21, s21, s13
	s_add_u32 s24, s21, s33
	s_addc_u32 s25, s25, s52
	v_mfma_f32_16x16x16_bf16 a[0:3], v[98:99], v[90:91], a[0:3]
	ds_read_b64 v[96:97], v68
	ds_read_b64 v[98:99], v69
	ds_read_b64 v[88:89], v72 offset:8192
	s_lshl_b64 s[24:25], s[24:25], 15
	v_mfma_f32_16x16x16_bf16 a[0:3], v[100:101], v[92:93], a[0:3]
	ds_read_b64 v[100:101], v73 offset:8192
	s_and_b64 vcc, exec, s[0:1]
	s_waitcnt lgkmcnt(4)
	v_mfma_f32_16x16x16_bf16 a[4:7], v[104:105], v[90:91], a[4:7]
	s_waitcnt lgkmcnt(1)
	v_mfma_f32_16x16x16_bf16 a[4:7], v[88:89], v[92:93], a[4:7]
	v_lshl_add_u64 v[88:89], v[36:37], 0, s[24:25]
	global_store_dwordx4 v[88:89], v[96:99], off
	v_mfma_f32_16x16x16_bf16 a[0:3], v[102:103], v[94:95], a[0:3]
	s_waitcnt lgkmcnt(0)
	v_mfma_f32_16x16x16_bf16 a[4:7], v[100:101], v[94:95], a[4:7]
	s_cbranch_vccnz .LBB704_16
; %bb.15:                               ;   in Loop: Header=BB704_6 Depth=1
	v_lshrrev_b32_e32 v87, 3, v85
	v_and_b32_e32 v87, 6, v87
	v_xor_b32_e32 v86, v87, v86
	v_lshlrev_b32_e32 v86, 2, v86
	v_and_b32_e32 v85, 8, v85
	v_xor_b32_e32 v88, 0x440, v86
	v_cmp_eq_u32_e32 vcc, 0, v85
	s_barrier
	s_nop 0
	v_cndmask_b32_e32 v85, v88, v86, vcc
	v_lshl_or_b32 v85, v87, 10, v85
	s_waitcnt vmcnt(2)
	v_perm_b32 v86, v30, v26, s56
	s_waitcnt vmcnt(1)
	v_perm_b32 v87, v22, v18, s56
	ds_write2st64_b32 v85, v86, v87 offset1:32
	v_xor_b32_e32 v86, 8, v85
	v_perm_b32 v26, v30, v26, s57
	v_perm_b32 v18, v22, v18, s57
	v_add_u32_e32 v22, 0x80, v86
	ds_write2st64_b32 v22, v26, v18 offset1:32
	v_xor_b32_e32 v18, 16, v85
	v_perm_b32 v22, v31, v27, s56
	v_perm_b32 v26, v23, v19, s56
	ds_write2st64_b32 v18, v22, v26 offset0:1 offset1:33
	v_xor_b32_e32 v18, 24, v85
	v_perm_b32 v22, v31, v27, s57
	v_perm_b32 v19, v23, v19, s57
	v_add_u32_e32 v18, 0x80, v18
	ds_write2st64_b32 v18, v22, v19 offset0:1 offset1:33
	v_xor_b32_e32 v18, 32, v85
	v_perm_b32 v19, v32, v28, s56
	v_perm_b32 v22, v24, v20, s56
	ds_write2st64_b32 v18, v19, v22 offset0:2 offset1:34
	v_xor_b32_e32 v18, 40, v85
	v_perm_b32 v19, v32, v28, s57
	v_perm_b32 v20, v24, v20, s57
	v_add_u32_e32 v18, 0x80, v18
	ds_write2st64_b32 v18, v19, v20 offset0:2 offset1:34
	;; [unrolled: 9-line block ×3, first 2 shown]
	ds_write_b64 v84, v[14:15] offset:16384
	v_xor_b32_e32 v14, 8, v84
	ds_write_b64 v14, v[16:17] offset:16384
	ds_write_b64 v84, v[10:11] offset:24576
	;; [unrolled: 1-line block ×4, first 2 shown]
	v_xor_b32_e32 v6, 8, v83
	ds_write_b64 v6, v[8:9] offset:16384
	ds_write_b64 v83, v[2:3] offset:24576
	;; [unrolled: 1-line block ×3, first 2 shown]
.LBB704_16:                             ;   in Loop: Header=BB704_6 Depth=1
	v_exp_f32_e32 v2, s20
	s_nop 2
	v_accvgpr_read_b32 v3, a0
	v_accvgpr_read_b32 v4, a1
	s_add_i32 s55, s55, 64
	v_fma_f32 v35, v35, v2, v3
	v_accvgpr_read_b32 v3, a2
	v_fma_f32 v61, v61, v2, v3
	v_accvgpr_read_b32 v3, a4
	;; [unrolled: 2-line block ×6, first 2 shown]
	v_fmac_f32_e32 v4, v82, v2
	s_cmp_eq_u32 s46, s35
	v_fmac_f32_e32 v3, v81, v2
	s_cbranch_scc1 .LBB704_18
; %bb.17:                               ;   in Loop: Header=BB704_6 Depth=1
	s_mov_b32 s60, s35
	v_mov_b32_e32 v82, v4
	v_mov_b32_e32 v81, v3
	s_branch .LBB704_6
.LBB704_18:
	s_lshl_b32 s40, s46, 6
	s_sub_i32 s41, s12, s40
	s_cmp_gt_i32 s41, 0
	s_cbranch_scc0 .LBB704_75
; %bb.19:
	s_ashr_i32 s35, s45, 31
	s_ashr_i32 s2, s40, 31
	s_cmpk_lg_i32 s15, 0x80
	s_cselect_b64 s[26:27], -1, 0
	s_and_b64 vcc, exec, s[26:27]
	s_cbranch_vccz .LBB704_21
; %bb.20:
	s_mul_i32 s1, s45, s12
	s_mul_hi_i32 s0, s45, s12
	s_add_u32 s1, s1, s40
	s_addc_u32 s0, s0, s2
	s_mul_i32 s3, s1, s47
	s_mul_hi_u32 s20, s1, s14
	s_add_i32 s3, s20, s3
	s_mul_i32 s0, s0, s14
	s_add_i32 s3, s3, s0
	s_mul_i32 s1, s1, s14
	s_ashr_i32 s0, s50, 31
	s_add_u32 s38, s1, s50
	s_addc_u32 s39, s3, s0
	s_cbranch_execz .LBB704_22
	s_branch .LBB704_23
.LBB704_21:
                                        ; implicit-def: $sgpr38_sgpr39
.LBB704_22:
	s_mul_hi_i32 s0, s45, s14
	s_mul_i32 s45, s45, s14
	s_ashr_i32 s1, s50, 31
	s_add_u32 s3, s45, s50
	s_addc_u32 s0, s0, s1
	s_mul_i32 s1, s3, s44
	s_mul_hi_u32 s14, s3, s12
	s_add_i32 s1, s14, s1
	s_mul_i32 s0, s0, s12
	s_add_i32 s1, s1, s0
	s_mul_i32 s3, s3, s12
	s_add_u32 s38, s3, s40
	s_addc_u32 s39, s1, s2
.LBB704_23:
	s_add_i32 s3, s48, s46
	s_ashr_i32 s14, s33, 31
	s_add_u32 s0, s43, s33
	s_addc_u32 s1, s49, s14
	s_mul_i32 s20, s0, s44
	s_mul_hi_u32 s21, s0, s12
	s_add_i32 s20, s21, s20
	s_mul_i32 s1, s1, s12
	s_add_i32 s20, s20, s1
	s_mul_i32 s0, s0, s12
	s_add_u32 s0, s0, s40
	s_addc_u32 s1, s20, s2
	s_mov_b32 s2, 0x7060302
	v_lshlrev_b32_e32 v6, 3, v1
	v_perm_b32 v5, v4, v61, s2
	v_perm_b32 v4, v60, v35, s2
	;; [unrolled: 1-line block ×4, first 2 shown]
	v_lshlrev_b32_e32 v34, 2, v1
	v_lshl_or_b32 v6, v46, 5, v6
	s_lshl_b64 s[24:25], s[0:1], 8
	ds_write2st64_b64 v6, v[4:5], v[2:3] offset0:72 offset1:76
	v_xor_b32_e32 v6, v46, v34
	v_lshlrev_b32_e32 v7, 8, v1
	s_add_u32 s0, s6, s24
	v_lshl_or_b32 v6, v6, 1, v7
	s_addc_u32 s1, s7, s25
	ds_write_b64 v6, v[4:5] offset:32768
	v_xor_b32_e32 v4, v47, v34
	s_mul_hi_i32 s6, s3, s13
	s_mul_i32 s3, s3, s13
	v_lshl_or_b32 v4, v4, 1, v7
	s_add_u32 s2, s3, s33
	ds_write_b64 v4, v[2:3] offset:32768
	s_addc_u32 s3, s6, s14
	v_lshlrev_b32_e32 v3, 1, v1
	v_lshrrev_b32_e32 v2, 4, v0
	s_ashr_i32 s31, s30, 31
	s_lshl_b64 s[2:3], s[2:3], 15
	v_or_b32_e32 v4, 1, v3
	s_add_u32 s6, s36, s2
	v_xor_b32_e32 v3, v2, v3
	v_xor_b32_e32 v4, v4, v2
	v_lshlrev_b32_e32 v6, 8, v2
	s_addc_u32 s7, s37, s3
	s_lshl_b64 s[2:3], s[30:31], 8
	v_lshl_or_b32 v2, v3, 3, v6
	v_lshl_or_b32 v4, v4, 3, v6
	s_waitcnt lgkmcnt(0)
	s_barrier
	s_add_u32 s2, s6, s2
	ds_read_b64 v[2:3], v2 offset:32768
	ds_read_b64 v[4:5], v4 offset:32768
	s_addc_u32 s3, s7, s3
	v_mov_b32_e32 v7, 0
	s_cmp_lg_u32 s41, 64
	v_lshl_add_u64 v[8:9], s[2:3], 0, v[6:7]
	v_lshlrev_b32_e32 v6, 4, v1
	s_cselect_b64 s[6:7], -1, 0
	v_lshl_or_b32 v35, v42, 3, v45
	s_mov_b32 s20, 0
	v_lshl_add_u64 v[6:7], v[8:9], 0, v[6:7]
	s_waitcnt vmcnt(1)
	v_or_b32_e32 v19, 32, v35
	v_and_b32_e32 v18, 56, v44
	s_and_b64 vcc, exec, s[6:7]
	s_waitcnt lgkmcnt(0)
	global_store_dwordx4 v[6:7], v[2:5], off
	s_cbranch_vccz .LBB704_29
; %bb.24:
	s_mov_b32 s21, s20
	s_mov_b32 s22, s20
	;; [unrolled: 1-line block ×3, first 2 shown]
	v_mov_b64_e32 v[6:7], s[20:21]
	v_mov_b64_e32 v[8:9], s[22:23]
	;; [unrolled: 1-line block ×3, first 2 shown]
	v_cmp_gt_i32_e32 vcc, s41, v35
	v_mov_b64_e32 v[4:5], v[8:9]
	s_and_saveexec_b64 s[2:3], vcc
	s_cbranch_execz .LBB704_26
; %bb.25:
	v_lshlrev_b32_e32 v2, 8, v35
	v_mov_b32_e32 v3, 0
	v_lshl_add_u64 v[4:5], s[0:1], 0, v[2:3]
	v_lshlrev_b32_e32 v2, 1, v18
	v_lshl_add_u64 v[10:11], v[4:5], 0, v[2:3]
	global_load_dwordx4 v[6:9], v[10:11], off
	global_load_dwordx4 v[2:5], v[10:11], off offset:128
.LBB704_26:
	s_or_b64 exec, exec, s[2:3]
	s_mov_b32 s21, s20
	s_mov_b32 s22, s20
	;; [unrolled: 1-line block ×3, first 2 shown]
	v_mov_b64_e32 v[14:15], s[20:21]
	v_mov_b64_e32 v[16:17], s[22:23]
	;; [unrolled: 1-line block ×3, first 2 shown]
	v_cmp_gt_i32_e32 vcc, s41, v19
	v_lshlrev_b32_e32 v20, 7, v19
	v_mov_b64_e32 v[12:13], v[16:17]
	s_and_saveexec_b64 s[2:3], vcc
	s_cbranch_execz .LBB704_28
; %bb.27:
	v_lshlrev_b32_e32 v10, 1, v20
	v_mov_b32_e32 v11, 0
	v_lshl_add_u64 v[12:13], s[0:1], 0, v[10:11]
	v_lshlrev_b32_e32 v10, 1, v18
	v_lshl_add_u64 v[22:23], v[12:13], 0, v[10:11]
	global_load_dwordx4 v[14:17], v[22:23], off
	global_load_dwordx4 v[10:13], v[22:23], off offset:128
.LBB704_28:
	s_or_b64 exec, exec, s[2:3]
	v_lshrrev_b32_e32 v21, 3, v18
	v_lshlrev_b32_e32 v22, 3, v35
	v_or_b32_e32 v21, v22, v21
	v_lshlrev_b32_e32 v21, 4, v21
	v_and_b32_e32 v22, 0x78, v22
	v_xor_b32_e32 v21, v21, v22
	s_branch .LBB704_31
.LBB704_29:
                                        ; implicit-def: $vgpr21
                                        ; implicit-def: $vgpr20
                                        ; implicit-def: $vgpr6_vgpr7_vgpr8_vgpr9
                                        ; implicit-def: $vgpr2_vgpr3_vgpr4_vgpr5
                                        ; implicit-def: $vgpr14_vgpr15_vgpr16_vgpr17
                                        ; implicit-def: $vgpr10_vgpr11_vgpr12_vgpr13
	s_cbranch_execz .LBB704_31
; %bb.30:
	s_waitcnt vmcnt(0)
	v_lshlrev_b32_e32 v2, 1, v18
	v_lshl_or_b32 v20, v35, 8, v2
	s_and_b32 s1, s1, 0xffff
	s_mov_b32 s3, 0x20000
	s_movk_i32 s2, 0x4000
	v_lshl_or_b32 v21, v19, 8, v2
	s_movk_i32 s13, 0x80
	buffer_load_dwordx4 v[6:9], v20, s[0:3], 0 offen
	buffer_load_dwordx4 v[2:5], v20, s[0:3], s13 offen
	buffer_load_dwordx4 v[14:17], v21, s[0:3], 0 offen
	buffer_load_dwordx4 v[10:13], v21, s[0:3], s13 offen
	v_lshrrev_b32_e32 v20, 3, v18
	v_lshlrev_b32_e32 v21, 3, v35
	v_or_b32_e32 v20, v21, v20
	v_lshlrev_b32_e32 v20, 4, v20
	v_and_b32_e32 v21, 0x78, v21
	v_xor_b32_e32 v21, v20, v21
	v_lshlrev_b32_e32 v20, 7, v19
.LBB704_31:
	s_lshl_b64 s[0:1], s[38:39], 8
	s_add_u32 s4, s4, s0
	s_movk_i32 s0, 0x1000
	v_and_or_b32 v19, v20, s0, v21
	s_waitcnt vmcnt(1)
	ds_write_b64 v21, v[6:7] offset:16384
	v_xor_b32_e32 v6, 8, v21
	s_addc_u32 s5, s5, s1
	ds_write_b64 v6, v[8:9] offset:16384
	s_waitcnt vmcnt(0)
	ds_write_b64 v21, v[2:3] offset:24576
	ds_write_b64 v6, v[4:5] offset:24576
	;; [unrolled: 1-line block ×3, first 2 shown]
	v_xor_b32_e32 v2, 8, v19
	s_add_i32 s0, s42, s17
	s_mul_i32 s35, s35, s16
	ds_write_b64 v2, v[16:17] offset:16384
	ds_write_b64 v19, v[10:11] offset:24576
	;; [unrolled: 1-line block ×3, first 2 shown]
	s_add_i32 s35, s0, s35
	s_mul_i32 s0, s33, s19
	s_mul_hi_u32 s1, s33, s18
	v_or_b32_e32 v2, v40, v1
	s_add_i32 s0, s1, s0
	s_mul_i32 s1, s14, s18
	v_lshlrev_b32_e32 v2, 3, v2
	v_lshrrev_b32_e32 v4, 5, v41
	s_movk_i32 s14, 0xf8
	v_and_or_b32 v4, v2, s14, v4
	v_lshlrev_b32_e32 v3, 11, v42
	v_lshlrev_b32_e32 v12, 4, v4
	v_and_b32_e32 v13, 0x78, v2
	v_and_b32_e32 v14, 0x1000, v3
	v_lshlrev_b32_e32 v3, 2, v0
	v_xor_b32_e32 v2, v12, v13
	v_lshrrev_b32_e32 v4, 1, v41
	v_and_b32_e32 v3, 60, v3
	v_or_b32_e32 v2, v2, v14
	v_and_b32_e32 v15, 8, v4
	v_xor_b32_e32 v26, v2, v15
	v_lshl_or_b32 v2, v43, 6, v3
	v_lshlrev_b32_e32 v19, 1, v2
	v_or_b32_e32 v2, 32, v12
	v_xor_b32_e32 v2, v2, v13
	s_waitcnt lgkmcnt(0)
	s_barrier
	ds_read_b64 v[10:11], v26 offset:16384
	v_or_b32_e32 v2, v2, v14
	v_xor_b32_e32 v27, v2, v15
	v_or_b32_e32 v2, 64, v12
	v_xor_b32_e32 v2, v2, v13
	v_or_b32_e32 v2, v2, v14
	v_or_b32_e32 v12, 0x60, v12
	v_xor_b32_e32 v28, v2, v15
	ds_read2st64_b64 v[2:5], v19 offset0:72 offset1:73
	ds_read2st64_b64 v[6:9], v19 offset0:74 offset1:75
	v_xor_b32_e32 v16, v12, v13
	ds_read_b64 v[12:13], v27 offset:16384
	s_waitcnt lgkmcnt(2)
	v_mfma_f32_16x16x16_bf16 a[0:3], v[10:11], v[2:3], 0
	s_add_i32 s2, s12, -1
	s_ashr_i32 s3, s2, 31
	s_mul_i32 s12, s2, s29
	s_mul_hi_u32 s13, s2, s28
	s_add_i32 s12, s13, s12
	s_mul_i32 s3, s3, s28
	v_or_b32_e32 v14, v16, v14
	s_add_i32 s1, s0, s1
	s_add_i32 s3, s12, s3
	s_lshl_b64 s[12:13], s[34:35], 2
	v_xor_b32_e32 v36, v14, v15
	ds_read_b64 v[14:15], v28 offset:16384
	ds_read_b64 v[16:17], v36 offset:16384
	s_waitcnt lgkmcnt(2)
	v_mfma_f32_16x16x16_bf16 a[0:3], v[12:13], v[4:5], a[0:3]
	s_mul_i32 s0, s33, s18
	s_add_u32 s10, s10, s12
	s_addc_u32 s11, s11, s13
	s_lshl_b64 s[0:1], s[0:1], 2
	s_mul_i32 s2, s2, s28
	s_add_u32 s10, s10, s0
	s_addc_u32 s11, s11, s1
	s_lshl_b64 s[0:1], s[2:3], 2
	s_waitcnt lgkmcnt(1)
	v_mfma_f32_16x16x16_bf16 a[0:3], v[14:15], v[6:7], a[0:3]
	s_add_u32 s0, s10, s0
	s_addc_u32 s1, s11, s1
	s_load_dword s12, s[0:1], 0x0
	s_waitcnt lgkmcnt(0)
	v_mfma_f32_16x16x16_bf16 a[0:3], v[16:17], v[8:9], a[0:3]
	s_and_b64 vcc, exec, s[26:27]
	s_cbranch_vccz .LBB704_42
; %bb.32:
	v_lshlrev_b32_e32 v20, 1, v35
	s_and_b64 vcc, exec, s[6:7]
	s_cbranch_vccz .LBB704_43
; %bb.33:
	v_cmp_gt_i32_e32 vcc, s41, v20
	v_mov_b32_e32 v6, 0
	v_mov_b32_e32 v2, 0
	;; [unrolled: 1-line block ×5, first 2 shown]
	s_and_saveexec_b64 s[0:1], vcc
	s_cbranch_execz .LBB704_35
; %bb.34:
	v_mad_i64_i32 v[2:3], s[2:3], s15, v20, 0
	v_lshl_add_u64 v[2:3], v[2:3], 1, s[4:5]
	v_lshlrev_b32_e32 v4, 1, v18
	v_mov_b32_e32 v5, 0
	v_lshl_add_u64 v[2:3], v[2:3], 0, v[4:5]
	global_load_dwordx4 v[2:5], v[2:3], off
.LBB704_35:
	s_or_b64 exec, exec, s[0:1]
	v_or_b32_e32 v21, 1, v20
	v_cmp_gt_i32_e64 s[0:1], s41, v21
	v_mov_b32_e32 v7, 0
	v_mov_b32_e32 v8, 0
	;; [unrolled: 1-line block ×3, first 2 shown]
	s_and_saveexec_b64 s[2:3], s[0:1]
	s_cbranch_execz .LBB704_37
; %bb.36:
	v_mad_i64_i32 v[6:7], s[16:17], s15, v21, 0
	v_lshl_add_u64 v[6:7], v[6:7], 1, s[4:5]
	v_lshlrev_b32_e32 v8, 1, v18
	v_mov_b32_e32 v9, 0
	v_lshl_add_u64 v[6:7], v[6:7], 0, v[8:9]
	global_load_dwordx4 v[6:9], v[6:7], off
.LBB704_37:
	s_or_b64 exec, exec, s[2:3]
	v_mov_b32_e32 v17, 0
	v_mov_b32_e32 v10, 0
	v_mov_b32_e32 v11, 0
	v_mov_b32_e32 v12, 0
	v_mov_b32_e32 v13, 0
	s_and_saveexec_b64 s[2:3], vcc
	s_cbranch_execz .LBB704_39
; %bb.38:
	v_mad_i64_i32 v[10:11], s[16:17], s15, v20, 0
	v_lshl_add_u64 v[10:11], v[10:11], 1, s[4:5]
	v_lshlrev_b32_e32 v12, 1, v18
	v_mov_b32_e32 v13, 0
	v_lshl_add_u64 v[10:11], v[10:11], 0, v[12:13]
	global_load_dwordx4 v[10:13], v[10:11], off offset:128
.LBB704_39:
	s_or_b64 exec, exec, s[2:3]
	v_mov_b32_e32 v16, 0
	v_mov_b32_e32 v15, 0
	;; [unrolled: 1-line block ×3, first 2 shown]
	s_and_saveexec_b64 s[2:3], s[0:1]
	s_cbranch_execz .LBB704_41
; %bb.40:
	v_mad_i64_i32 v[14:15], s[0:1], s15, v21, 0
	v_lshl_add_u64 v[14:15], v[14:15], 1, s[4:5]
	v_lshlrev_b32_e32 v16, 1, v18
	v_mov_b32_e32 v17, 0
	v_lshl_add_u64 v[14:15], v[14:15], 0, v[16:17]
	global_load_dwordx4 v[14:17], v[14:15], off offset:128
.LBB704_41:
	s_or_b64 exec, exec, s[2:3]
	s_branch .LBB704_45
.LBB704_42:
                                        ; implicit-def: $vgpr5
                                        ; implicit-def: $vgpr9
                                        ; implicit-def: $vgpr13
                                        ; implicit-def: $vgpr17
	v_lshrrev_b32_e32 v37, 2, v41
	s_branch .LBB704_46
.LBB704_43:
                                        ; implicit-def: $vgpr5
                                        ; implicit-def: $vgpr9
                                        ; implicit-def: $vgpr13
                                        ; implicit-def: $vgpr17
	s_cbranch_execz .LBB704_45
; %bb.44:
	s_waitcnt vmcnt(0)
	v_mad_u64_u32 v[2:3], s[0:1], v20, s15, v[18:19]
	v_lshlrev_b32_e32 v20, 1, v2
	s_lshl_b32 s2, s15, 7
	s_and_b32 s1, s5, 0xffff
	s_mov_b32 s3, 0x20000
	s_mov_b32 s0, s4
	v_add_lshl_u32 v21, v2, s15, 1
	s_movk_i32 s13, 0x80
	buffer_load_dwordx4 v[2:5], v20, s[0:3], 0 offen
	buffer_load_dwordx4 v[10:13], v20, s[0:3], s13 offen
	;; [unrolled: 1-line block ×4, first 2 shown]
.LBB704_45:
	v_lshrrev_b32_e32 v37, 2, v41
	s_cbranch_execnz .LBB704_58
.LBB704_46:
	s_and_b64 vcc, exec, s[6:7]
	s_cbranch_vccz .LBB704_56
; %bb.47:
	s_waitcnt vmcnt(0)
	v_lshlrev_b32_e32 v7, 1, v35
	v_cmp_gt_i32_e32 vcc, s41, v7
	v_mov_b32_e32 v6, 0
	v_lshlrev_b32_e32 v14, 9, v35
	v_mov_b32_e32 v2, 0
	v_mov_b32_e32 v3, 0
	;; [unrolled: 1-line block ×4, first 2 shown]
	s_and_saveexec_b64 s[0:1], vcc
	s_cbranch_execz .LBB704_49
; %bb.48:
	v_mov_b32_e32 v15, 0
	v_lshl_add_u64 v[2:3], s[4:5], 0, v[14:15]
	v_lshlrev_b32_e32 v4, 1, v18
	v_mov_b32_e32 v5, v15
	v_lshl_add_u64 v[2:3], v[2:3], 0, v[4:5]
	global_load_dwordx4 v[2:5], v[2:3], off
.LBB704_49:
	s_or_b64 exec, exec, s[0:1]
	v_or_b32_e32 v7, 1, v7
	v_cmp_gt_i32_e64 s[0:1], s41, v7
	v_lshlrev_b32_e32 v20, 8, v7
	v_mov_b32_e32 v7, 0
	v_mov_b32_e32 v8, 0
	v_mov_b32_e32 v9, 0
	s_and_saveexec_b64 s[2:3], s[0:1]
	s_cbranch_execz .LBB704_51
; %bb.50:
	v_mov_b32_e32 v21, 0
	v_lshl_add_u64 v[6:7], s[4:5], 0, v[20:21]
	v_lshlrev_b32_e32 v8, 1, v18
	v_mov_b32_e32 v9, v21
	v_lshl_add_u64 v[6:7], v[6:7], 0, v[8:9]
	global_load_dwordx4 v[6:9], v[6:7], off
.LBB704_51:
	s_or_b64 exec, exec, s[2:3]
	v_mov_b32_e32 v17, 0
	v_mov_b32_e32 v10, 0
	;; [unrolled: 1-line block ×5, first 2 shown]
	s_and_saveexec_b64 s[2:3], vcc
	s_cbranch_execz .LBB704_53
; %bb.52:
	v_mov_b32_e32 v15, 0
	v_lshl_add_u64 v[10:11], s[4:5], 0, v[14:15]
	v_lshlrev_b32_e32 v14, 1, v18
	v_lshl_add_u64 v[10:11], v[10:11], 0, v[14:15]
	global_load_dwordx4 v[10:13], v[10:11], off offset:128
.LBB704_53:
	s_or_b64 exec, exec, s[2:3]
	v_mov_b32_e32 v16, 0
	v_mov_b32_e32 v15, 0
	;; [unrolled: 1-line block ×3, first 2 shown]
	s_and_saveexec_b64 s[2:3], s[0:1]
	s_cbranch_execz .LBB704_55
; %bb.54:
	v_mov_b32_e32 v21, 0
	v_lshl_add_u64 v[14:15], s[4:5], 0, v[20:21]
	v_lshlrev_b32_e32 v20, 1, v18
	v_lshl_add_u64 v[14:15], v[14:15], 0, v[20:21]
	global_load_dwordx4 v[14:17], v[14:15], off offset:128
.LBB704_55:
	s_or_b64 exec, exec, s[2:3]
	s_branch .LBB704_58
.LBB704_56:
                                        ; implicit-def: $vgpr5
                                        ; implicit-def: $vgpr9
                                        ; implicit-def: $vgpr13
                                        ; implicit-def: $vgpr17
	s_cbranch_execz .LBB704_58
; %bb.57:
	s_waitcnt vmcnt(0)
	v_lshlrev_b32_e32 v2, 1, v18
	v_lshl_or_b32 v18, v35, 9, v2
	s_and_b32 s5, s5, 0xffff
	s_mov_b32 s7, 0x20000
	s_movk_i32 s6, 0x4000
	s_movk_i32 s0, 0x80
	buffer_load_dwordx4 v[2:5], v18, s[4:7], 0 offen
	buffer_load_dwordx4 v[6:9], v18, s[4:7], 0 offen offset:256
	buffer_load_dwordx4 v[10:13], v18, s[4:7], s0 offen
	buffer_load_dwordx4 v[14:17], v18, s[4:7], s0 offen offset:256
.LBB704_58:
	ds_read2st64_b64 v[22:25], v19 offset0:76 offset1:77
	ds_read2st64_b64 v[18:21], v19 offset0:78 offset1:79
	ds_read_b64 v[30:31], v26 offset:24576
	ds_read_b64 v[32:33], v27 offset:24576
	;; [unrolled: 1-line block ×4, first 2 shown]
	v_and_b32_e32 v36, 6, v0
	v_xor_b32_e32 v35, v35, v36
	v_lshlrev_b32_e32 v35, 2, v35
	v_and_b32_e32 v0, 1, v0
	v_xor_b32_e32 v38, 0x440, v35
	v_cmp_eq_u32_e32 vcc, 0, v0
	s_mov_b32 s0, 0x1000504
	s_mov_b32 s1, 0x3020706
	v_cndmask_b32_e32 v0, v38, v35, vcc
	v_lshl_or_b32 v0, v36, 10, v0
	s_waitcnt vmcnt(0)
	v_perm_b32 v35, v2, v6, s0
	v_perm_b32 v36, v10, v14, s0
	ds_write2st64_b32 v0, v35, v36 offset1:32
	v_xor_b32_e32 v35, 8, v0
	v_perm_b32 v2, v2, v6, s1
	v_perm_b32 v6, v10, v14, s1
	v_add_u32_e32 v10, 0x80, v35
	ds_write2st64_b32 v10, v2, v6 offset1:32
	v_xor_b32_e32 v2, 16, v0
	v_perm_b32 v6, v3, v7, s0
	v_perm_b32 v10, v11, v15, s0
	ds_write2st64_b32 v2, v6, v10 offset0:1 offset1:33
	v_xor_b32_e32 v2, 24, v0
	v_perm_b32 v3, v3, v7, s1
	v_perm_b32 v6, v11, v15, s1
	v_add_u32_e32 v2, 0x80, v2
	ds_write2st64_b32 v2, v3, v6 offset0:1 offset1:33
	v_xor_b32_e32 v2, 32, v0
	v_perm_b32 v3, v4, v8, s0
	v_perm_b32 v6, v12, v16, s0
	ds_write2st64_b32 v2, v3, v6 offset0:2 offset1:34
	v_xor_b32_e32 v2, 40, v0
	v_perm_b32 v3, v4, v8, s1
	v_perm_b32 v4, v12, v16, s1
	v_add_u32_e32 v2, 0x80, v2
	ds_write2st64_b32 v2, v3, v4 offset0:2 offset1:34
	v_xor_b32_e32 v2, 48, v0
	v_perm_b32 v3, v5, v9, s0
	v_perm_b32 v4, v13, v17, s0
	v_xor_b32_e32 v0, 56, v0
	v_and_or_b32 v6, v37, 12, v40
	ds_write2st64_b32 v2, v3, v4 offset0:3 offset1:35
	v_perm_b32 v2, v5, v9, s1
	v_perm_b32 v3, v13, v17, s1
	v_add_u32_e32 v0, 0x80, v0
	v_cmp_gt_i32_e32 vcc, s41, v6
	v_mov_b32_e32 v7, 0
	v_mov_b32_e32 v11, 0
	ds_write2st64_b32 v0, v2, v3 offset0:3 offset1:35
	s_and_saveexec_b64 s[0:1], vcc
	s_cbranch_execz .LBB704_60
; %bb.59:
	v_add_u32_e32 v0, s40, v6
	v_ashrrev_i32_e32 v2, 31, v0
	v_mul_lo_u32 v4, v2, s28
	v_mul_lo_u32 v5, v0, s29
	v_mad_u64_u32 v[2:3], s[2:3], v0, s28, 0
	v_add3_u32 v3, v3, v5, v4
	v_lshl_add_u64 v[2:3], v[2:3], 2, s[10:11]
	global_load_dword v0, v[2:3], off
	s_waitcnt vmcnt(0)
	v_sub_f32_e32 v0, s12, v0
	v_exp_f32_e32 v11, v0
.LBB704_60:
	s_or_b64 exec, exec, s[0:1]
	v_or_b32_e32 v9, 1, v6
	v_cmp_gt_i32_e64 s[0:1], s41, v9
	s_and_saveexec_b64 s[2:3], s[0:1]
	s_cbranch_execz .LBB704_62
; %bb.61:
	v_add_u32_e32 v0, s40, v9
	v_ashrrev_i32_e32 v2, 31, v0
	v_mul_lo_u32 v4, v2, s28
	v_mul_lo_u32 v5, v0, s29
	v_mad_u64_u32 v[2:3], s[4:5], v0, s28, 0
	v_add3_u32 v3, v3, v5, v4
	v_lshl_add_u64 v[2:3], v[2:3], 2, s[10:11]
	global_load_dword v0, v[2:3], off
	s_waitcnt vmcnt(0)
	v_sub_f32_e32 v0, s12, v0
	v_exp_f32_e32 v7, v0
.LBB704_62:
	s_or_b64 exec, exec, s[2:3]
	v_or_b32_e32 v10, 2, v6
	v_cmp_gt_i32_e64 s[2:3], s41, v10
	v_mov_b32_e32 v8, 0
	v_mov_b32_e32 v13, 0
	s_and_saveexec_b64 s[4:5], s[2:3]
	s_cbranch_execz .LBB704_64
; %bb.63:
	v_add_u32_e32 v0, s40, v10
	v_ashrrev_i32_e32 v2, 31, v0
	v_mul_lo_u32 v4, v2, s28
	v_mul_lo_u32 v5, v0, s29
	v_mad_u64_u32 v[2:3], s[6:7], v0, s28, 0
	v_add3_u32 v3, v3, v5, v4
	v_lshl_add_u64 v[2:3], v[2:3], 2, s[10:11]
	global_load_dword v0, v[2:3], off
	s_waitcnt vmcnt(0)
	v_sub_f32_e32 v0, s12, v0
	v_exp_f32_e32 v13, v0
.LBB704_64:
	s_or_b64 exec, exec, s[4:5]
	v_or_b32_e32 v12, 3, v6
	v_cmp_gt_i32_e64 s[4:5], s41, v12
	s_and_saveexec_b64 s[6:7], s[4:5]
	s_cbranch_execz .LBB704_66
; %bb.65:
	v_add_u32_e32 v0, s40, v12
	v_ashrrev_i32_e32 v2, 31, v0
	v_mul_lo_u32 v4, v2, s28
	v_mul_lo_u32 v5, v0, s29
	v_mad_u64_u32 v[2:3], s[14:15], v0, s28, 0
	v_add3_u32 v3, v3, v5, v4
	v_lshl_add_u64 v[2:3], v[2:3], 2, s[10:11]
	global_load_dword v0, v[2:3], off
	s_waitcnt vmcnt(0)
	v_sub_f32_e32 v0, s12, v0
	v_exp_f32_e32 v8, v0
.LBB704_66:
	s_or_b64 exec, exec, s[6:7]
	s_waitcnt lgkmcnt(11)
	v_mfma_f32_16x16x16_bf16 a[0:3], v[30:31], v[22:23], a[0:3]
	v_or_b32_e32 v0, s30, v1
	s_add_u32 s6, s8, s24
	s_addc_u32 s7, s9, s25
	s_waitcnt lgkmcnt(10)
	v_mfma_f32_16x16x16_bf16 a[0:3], v[32:33], v[24:25], a[0:3]
	v_ashrrev_i32_e32 v1, 31, v0
	v_lshl_add_u64 v[4:5], v[0:1], 1, s[6:7]
	v_mov_b32_e32 v14, 0
	s_waitcnt lgkmcnt(9)
	v_mfma_f32_16x16x16_bf16 a[0:3], v[28:29], v[18:19], a[0:3]
	v_mov_b32_e32 v15, 0
	s_waitcnt lgkmcnt(8)
	v_mfma_f32_16x16x16_bf16 a[0:3], v[26:27], v[20:21], a[0:3]
	s_nop 6
	v_accvgpr_read_b32 v0, a0
	v_accvgpr_read_b32 v1, a1
	;; [unrolled: 1-line block ×4, first 2 shown]
	s_and_saveexec_b64 s[6:7], vcc
	s_cbranch_execz .LBB704_68
; %bb.67:
	v_lshlrev_b32_e32 v16, 8, v6
	v_mov_b32_e32 v17, 0
	v_lshl_add_u64 v[16:17], v[4:5], 0, v[16:17]
	global_load_ushort v15, v[16:17], off
	s_waitcnt vmcnt(0)
	v_lshlrev_b32_e32 v15, 16, v15
	v_sub_f32_e32 v0, v15, v0
	v_mul_f32_e32 v0, v11, v0
	v_lshrrev_b32_e32 v15, 16, v0
.LBB704_68:
	s_or_b64 exec, exec, s[6:7]
	s_and_saveexec_b64 s[6:7], s[0:1]
	s_cbranch_execz .LBB704_70
; %bb.69:
	v_lshlrev_b32_e32 v16, 8, v9
	v_mov_b32_e32 v17, 0
	v_lshl_add_u64 v[16:17], v[4:5], 0, v[16:17]
	global_load_ushort v0, v[16:17], off
	s_waitcnt vmcnt(0)
	v_lshlrev_b32_e32 v0, 16, v0
	v_sub_f32_e32 v0, v0, v1
	v_mul_f32_e32 v0, v7, v0
	v_lshrrev_b32_e32 v14, 16, v0
.LBB704_70:
	s_or_b64 exec, exec, s[6:7]
	v_mov_b32_e32 v0, 0
	v_mov_b32_e32 v1, 0
	s_and_saveexec_b64 s[0:1], s[2:3]
	s_cbranch_execz .LBB704_72
; %bb.71:
	v_lshlrev_b32_e32 v10, 8, v10
	v_mov_b32_e32 v11, 0
	v_lshl_add_u64 v[10:11], v[4:5], 0, v[10:11]
	global_load_ushort v1, v[10:11], off
	s_waitcnt vmcnt(0)
	v_lshlrev_b32_e32 v1, 16, v1
	v_sub_f32_e32 v1, v1, v2
	v_mul_f32_e32 v1, v13, v1
	v_lshrrev_b32_e32 v1, 16, v1
.LBB704_72:
	s_or_b64 exec, exec, s[0:1]
	s_and_saveexec_b64 s[0:1], s[4:5]
	s_cbranch_execz .LBB704_74
; %bb.73:
	v_lshlrev_b32_e32 v10, 8, v12
	v_mov_b32_e32 v11, 0
	v_lshl_add_u64 v[4:5], v[4:5], 0, v[10:11]
	global_load_ushort v0, v[4:5], off
	s_waitcnt vmcnt(0)
	v_lshlrev_b32_e32 v0, 16, v0
	v_sub_f32_e32 v0, v0, v3
	v_mul_f32_e32 v0, v8, v0
	v_lshrrev_b32_e32 v0, 16, v0
.LBB704_74:
	s_or_b64 exec, exec, s[0:1]
	s_mov_b32 s0, 0x5040100
	v_lshlrev_b32_e32 v2, 1, v34
	v_perm_b32 v1, v0, v1, s0
	v_perm_b32 v0, v14, v15, s0
	v_lshl_or_b32 v2, v6, 5, v2
	ds_write_b64 v2, v[0:1] offset:38912
	s_waitcnt lgkmcnt(0)
	s_barrier
.LBB704_75:
	s_endpgm
	.section	.rodata,"a",@progbits
	.p2align	6, 0x0
	.amdhsa_kernel _ZN12_GLOBAL__N_139chunk_gated_delta_rule_fwd_h_hip_kernelILi16ELb0ELb0ELb0ELb0ELb1ELb0ELb0ELb0EEEvPK12hip_bfloat16S3_S3_PKfS5_PKvPS1_S8_PvPKiSB_iiiiilll
		.amdhsa_group_segment_fixed_size 40960
		.amdhsa_private_segment_fixed_size 0
		.amdhsa_kernarg_size 136
		.amdhsa_user_sgpr_count 2
		.amdhsa_user_sgpr_dispatch_ptr 0
		.amdhsa_user_sgpr_queue_ptr 0
		.amdhsa_user_sgpr_kernarg_segment_ptr 1
		.amdhsa_user_sgpr_dispatch_id 0
		.amdhsa_user_sgpr_kernarg_preload_length 0
		.amdhsa_user_sgpr_kernarg_preload_offset 0
		.amdhsa_user_sgpr_private_segment_size 0
		.amdhsa_uses_dynamic_stack 0
		.amdhsa_enable_private_segment 0
		.amdhsa_system_sgpr_workgroup_id_x 1
		.amdhsa_system_sgpr_workgroup_id_y 1
		.amdhsa_system_sgpr_workgroup_id_z 0
		.amdhsa_system_sgpr_workgroup_info 0
		.amdhsa_system_vgpr_workitem_id 0
		.amdhsa_next_free_vgpr 116
		.amdhsa_next_free_sgpr 61
		.amdhsa_accum_offset 108
		.amdhsa_reserve_vcc 1
		.amdhsa_float_round_mode_32 0
		.amdhsa_float_round_mode_16_64 0
		.amdhsa_float_denorm_mode_32 3
		.amdhsa_float_denorm_mode_16_64 3
		.amdhsa_dx10_clamp 1
		.amdhsa_ieee_mode 1
		.amdhsa_fp16_overflow 0
		.amdhsa_tg_split 0
		.amdhsa_exception_fp_ieee_invalid_op 0
		.amdhsa_exception_fp_denorm_src 0
		.amdhsa_exception_fp_ieee_div_zero 0
		.amdhsa_exception_fp_ieee_overflow 0
		.amdhsa_exception_fp_ieee_underflow 0
		.amdhsa_exception_fp_ieee_inexact 0
		.amdhsa_exception_int_div_zero 0
	.end_amdhsa_kernel
	.section	.text._ZN12_GLOBAL__N_139chunk_gated_delta_rule_fwd_h_hip_kernelILi16ELb0ELb0ELb0ELb0ELb1ELb0ELb0ELb0EEEvPK12hip_bfloat16S3_S3_PKfS5_PKvPS1_S8_PvPKiSB_iiiiilll,"axG",@progbits,_ZN12_GLOBAL__N_139chunk_gated_delta_rule_fwd_h_hip_kernelILi16ELb0ELb0ELb0ELb0ELb1ELb0ELb0ELb0EEEvPK12hip_bfloat16S3_S3_PKfS5_PKvPS1_S8_PvPKiSB_iiiiilll,comdat
.Lfunc_end704:
	.size	_ZN12_GLOBAL__N_139chunk_gated_delta_rule_fwd_h_hip_kernelILi16ELb0ELb0ELb0ELb0ELb1ELb0ELb0ELb0EEEvPK12hip_bfloat16S3_S3_PKfS5_PKvPS1_S8_PvPKiSB_iiiiilll, .Lfunc_end704-_ZN12_GLOBAL__N_139chunk_gated_delta_rule_fwd_h_hip_kernelILi16ELb0ELb0ELb0ELb0ELb1ELb0ELb0ELb0EEEvPK12hip_bfloat16S3_S3_PKfS5_PKvPS1_S8_PvPKiSB_iiiiilll
                                        ; -- End function
	.section	.AMDGPU.csdata,"",@progbits
; Kernel info:
; codeLenInByte = 7152
; NumSgprs: 67
; NumVgprs: 106
; NumAgprs: 8
; TotalNumVgprs: 116
; ScratchSize: 0
; MemoryBound: 0
; FloatMode: 240
; IeeeMode: 1
; LDSByteSize: 40960 bytes/workgroup (compile time only)
; SGPRBlocks: 8
; VGPRBlocks: 14
; NumSGPRsForWavesPerEU: 67
; NumVGPRsForWavesPerEU: 116
; AccumOffset: 108
; Occupancy: 1
; WaveLimiterHint : 1
; COMPUTE_PGM_RSRC2:SCRATCH_EN: 0
; COMPUTE_PGM_RSRC2:USER_SGPR: 2
; COMPUTE_PGM_RSRC2:TRAP_HANDLER: 0
; COMPUTE_PGM_RSRC2:TGID_X_EN: 1
; COMPUTE_PGM_RSRC2:TGID_Y_EN: 1
; COMPUTE_PGM_RSRC2:TGID_Z_EN: 0
; COMPUTE_PGM_RSRC2:TIDIG_COMP_CNT: 0
; COMPUTE_PGM_RSRC3_GFX90A:ACCUM_OFFSET: 26
; COMPUTE_PGM_RSRC3_GFX90A:TG_SPLIT: 0
	.section	.text._ZN12_GLOBAL__N_139chunk_gated_delta_rule_fwd_h_hip_kernelILi16ELb1ELb1ELb1ELb1ELb0ELb1ELb1ELb0EEEvPK12hip_bfloat16S3_S3_PKfS5_PKvPS1_S8_PvPKiSB_iiiiilll,"axG",@progbits,_ZN12_GLOBAL__N_139chunk_gated_delta_rule_fwd_h_hip_kernelILi16ELb1ELb1ELb1ELb1ELb0ELb1ELb1ELb0EEEvPK12hip_bfloat16S3_S3_PKfS5_PKvPS1_S8_PvPKiSB_iiiiilll,comdat
	.globl	_ZN12_GLOBAL__N_139chunk_gated_delta_rule_fwd_h_hip_kernelILi16ELb1ELb1ELb1ELb1ELb0ELb1ELb1ELb0EEEvPK12hip_bfloat16S3_S3_PKfS5_PKvPS1_S8_PvPKiSB_iiiiilll ; -- Begin function _ZN12_GLOBAL__N_139chunk_gated_delta_rule_fwd_h_hip_kernelILi16ELb1ELb1ELb1ELb1ELb0ELb1ELb1ELb0EEEvPK12hip_bfloat16S3_S3_PKfS5_PKvPS1_S8_PvPKiSB_iiiiilll
	.p2align	8
	.type	_ZN12_GLOBAL__N_139chunk_gated_delta_rule_fwd_h_hip_kernelILi16ELb1ELb1ELb1ELb1ELb0ELb1ELb1ELb0EEEvPK12hip_bfloat16S3_S3_PKfS5_PKvPS1_S8_PvPKiSB_iiiiilll,@function
_ZN12_GLOBAL__N_139chunk_gated_delta_rule_fwd_h_hip_kernelILi16ELb1ELb1ELb1ELb1ELb0ELb1ELb1ELb0EEEvPK12hip_bfloat16S3_S3_PKfS5_PKvPS1_S8_PvPKiSB_iiiiilll: ; @_ZN12_GLOBAL__N_139chunk_gated_delta_rule_fwd_h_hip_kernelILi16ELb1ELb1ELb1ELb1ELb0ELb1ELb1ELb0EEEvPK12hip_bfloat16S3_S3_PKfS5_PKvPS1_S8_PvPKiSB_iiiiilll
; %bb.0:
	s_load_dwordx4 s[28:31], s[0:1], 0x5c
	s_load_dwordx4 s[4:7], s[0:1], 0x70
	s_abs_i32 s11, s3
	s_ashr_i32 s10, s3, 31
	s_load_dwordx4 s[24:27], s[0:1], 0x40
	s_load_dwordx2 s[8:9], s[0:1], 0x50
	s_waitcnt lgkmcnt(0)
	s_abs_i32 s14, s29
	v_cvt_f32_u32_e32 v1, s14
	s_sub_i32 s12, 0, s14
	s_ashr_i32 s15, s29, 31
	s_xor_b32 s10, s10, s15
	v_rcp_iflag_f32_e32 v1, v1
	v_and_b32_e32 v67, 15, v0
	v_bfe_u32 v66, v0, 4, 2
	v_mov_b32_e32 v57, 0
	v_mul_f32_e32 v1, 0x4f7ffffe, v1
	v_cvt_u32_f32_e32 v1, v1
	v_lshlrev_b32_e32 v68, 3, v0
	v_readfirstlane_b32 s13, v1
	s_mul_i32 s12, s12, s13
	s_mul_hi_u32 s12, s13, s12
	s_add_i32 s13, s13, s12
	s_mul_hi_u32 s12, s11, s13
	s_mul_i32 s13, s12, s14
	s_sub_i32 s11, s11, s13
	s_add_i32 s16, s12, 1
	s_sub_i32 s13, s11, s14
	s_cmp_ge_u32 s11, s14
	s_cselect_b32 s12, s16, s12
	s_cselect_b32 s11, s13, s11
	s_add_i32 s13, s12, 1
	s_cmp_ge_u32 s11, s14
	s_cselect_b32 s11, s13, s12
	s_xor_b32 s11, s11, s10
	s_sub_i32 s36, s11, s10
	s_mul_i32 s16, s36, s29
	s_ashr_i32 s37, s36, 31
	s_sub_i32 s33, s3, s16
	s_lshl_b64 s[10:11], s[36:37], 2
	s_add_u32 s12, s26, s10
	s_addc_u32 s13, s27, s11
	s_add_u32 s38, s8, s10
	s_addc_u32 s39, s9, s11
	s_abs_i32 s3, s30
	v_cvt_f32_u32_e32 v1, s3
	s_load_dwordx2 s[34:35], s[12:13], 0x0
	s_sub_i32 s9, 0, s3
	s_lshl_b32 s2, s2, 4
	v_rcp_iflag_f32_e32 v1, v1
	v_or_b32_e32 v58, s2, v67
	s_waitcnt lgkmcnt(0)
	s_sub_i32 s56, s35, s34
	s_ashr_i32 s8, s56, 31
	v_mul_f32_e32 v1, 0x4f7ffffe, v1
	v_cvt_u32_f32_e32 v1, v1
	s_lshr_b32 s8, s8, 26
	s_add_i32 s8, s56, s8
	s_ashr_i32 s55, s8, 6
	v_readfirstlane_b32 s10, v1
	s_mul_i32 s9, s9, s10
	s_mul_hi_u32 s9, s10, s9
	s_add_i32 s10, s10, s9
	s_mul_hi_u32 s9, s14, s10
	s_mul_i32 s10, s9, s3
	s_ashr_i32 s8, s30, 31
	s_sub_i32 s10, s14, s10
	s_xor_b32 s8, s15, s8
	s_add_i32 s11, s9, 1
	s_sub_i32 s12, s10, s3
	s_cmp_ge_u32 s10, s3
	s_cselect_b32 s9, s11, s9
	s_cselect_b32 s10, s12, s10
	s_add_i32 s11, s9, 1
	s_cmp_ge_u32 s10, s3
	s_cselect_b32 s3, s11, s9
	s_xor_b32 s3, s3, s8
	s_sub_i32 s3, s3, s8
	s_abs_i32 s17, s3
	v_cvt_f32_u32_e32 v1, s17
	s_sub_i32 s19, 0, s17
	s_abs_i32 s18, s33
	s_xor_b32 s3, s33, s3
	v_rcp_iflag_f32_e32 v2, v1
	s_ashr_i32 s3, s3, 31
	s_load_dwordx8 s[8:15], s[0:1], 0x20
	v_lshrrev_b32_e32 v1, 6, v0
	v_mul_f32_e32 v2, 0x4f7ffffe, v2
	v_cvt_u32_f32_e32 v2, v2
	v_lshlrev_b32_e32 v53, 4, v1
	v_lshlrev_b32_e32 v54, 7, v58
	v_lshl_or_b32 v70, v66, 2, v53
	v_readfirstlane_b32 s20, v2
	s_mul_i32 s19, s19, s20
	s_mul_hi_u32 s19, s20, s19
	s_add_i32 s20, s20, s19
	s_mul_hi_u32 s19, s18, s20
	s_mul_i32 s20, s19, s17
	s_sub_i32 s18, s18, s20
	s_add_i32 s20, s19, 1
	s_sub_i32 s21, s18, s17
	s_cmp_ge_u32 s18, s17
	s_cselect_b32 s19, s20, s19
	s_cselect_b32 s18, s21, s18
	s_add_i32 s20, s19, 1
	s_cmp_ge_u32 s18, s17
	s_cselect_b32 s17, s20, s19
	s_xor_b32 s17, s17, s3
	s_sub_i32 s57, s17, s3
	s_ashr_i32 s48, s33, 31
	s_mul_hi_i32 s3, s36, s29
	s_add_u32 s16, s16, s33
	s_addc_u32 s17, s3, s48
	s_lshl_b64 s[26:27], s[16:17], 16
	s_waitcnt lgkmcnt(0)
	s_add_u32 s10, s10, s26
	s_addc_u32 s11, s11, s27
	v_ashrrev_i32_e32 v55, 31, v54
	v_lshl_add_u64 v[2:3], v[54:55], 2, s[10:11]
	v_lshlrev_b32_e32 v56, 2, v70
	v_lshl_add_u64 v[10:11], v[2:3], 0, v[56:57]
	global_load_dwordx4 v[6:9], v[10:11], off
	global_load_dwordx4 v[2:5], v[10:11], off offset:256
	s_load_dwordx8 s[16:23], s[0:1], 0x0
	s_load_dwordx2 s[10:11], s[0:1], 0x80
	s_load_dword s58, s[38:39], 0x0
	v_and_b32_e32 v57, 63, v0
	v_or_b32_e32 v71, 64, v70
	s_cmp_lt_i32 s56, 64
	s_mul_hi_i32 s59, s33, s28
	s_mul_i32 s60, s33, s28
	v_lshrrev_b32_e32 v69, 3, v57
	s_mul_i32 s49, s36, s5
	s_mul_hi_u32 s51, s36, s4
	s_mul_i32 s52, s37, s4
	s_mul_i32 s42, s36, s4
	;; [unrolled: 1-line block ×3, first 2 shown]
	s_mul_hi_u32 s53, s33, s6
	s_mul_i32 s54, s48, s6
	s_mul_i32 s40, s33, s6
	s_cbranch_scc1 .LBB705_18
; %bb.1:
	s_ashr_i32 s1, s34, 31
	s_add_u32 s0, s60, s34
	s_addc_u32 s1, s59, s1
	s_lshl_b64 s[0:1], s[0:1], 8
	v_and_b32_e32 v73, 56, v68
	s_waitcnt lgkmcnt(0)
	s_add_u32 s4, s18, s0
	v_lshl_or_b32 v72, v1, 3, v69
	v_lshlrev_b32_e32 v10, 1, v73
	s_addc_u32 s0, s19, s1
	v_lshl_or_b32 v74, v72, 8, v10
	s_and_b32 s5, s0, 0xffff
	s_mov_b32 s7, 0x20000
	s_movk_i32 s6, 0x4000
	s_movk_i32 s0, 0x80
	v_or_b32_e32 v75, 0x2000, v74
	buffer_load_dwordx4 v[12:15], v74, s[4:7], 0 offen
	buffer_load_dwordx4 v[16:19], v74, s[4:7], s0 offen
	;; [unrolled: 1-line block ×4, first 2 shown]
	v_lshlrev_b32_e32 v11, 3, v72
	v_and_or_b32 v29, v0, 7, v11
	v_and_b32_e32 v11, 0x78, v11
	v_lshlrev_b32_e32 v29, 4, v29
	v_xor_b32_e32 v76, v29, v11
	v_mul_lo_u32 v28, v72, s31
	v_or_b32_e32 v77, 0x1000, v76
	v_xor_b32_e32 v11, 8, v76
	s_cmpk_eq_i32 s31, 0x80
	s_mov_b32 s61, s34
	v_xor_b32_e32 v29, 8, v77
	s_cselect_b64 s[0:1], -1, 0
	s_cmpk_lg_i32 s31, 0x80
	s_waitcnt vmcnt(3)
	ds_write_b64 v76, v[12:13] offset:16384
	ds_write_b64 v11, v[14:15] offset:16384
	s_waitcnt vmcnt(2)
	ds_write_b64 v76, v[16:17] offset:24576
	ds_write_b64 v11, v[18:19] offset:24576
	;; [unrolled: 3-line block ×4, first 2 shown]
	v_lshl_add_u32 v11, v28, 1, v73
	s_cbranch_scc0 .LBB705_3
; %bb.2:
	v_lshlrev_b32_e32 v13, 1, v11
	v_add_lshl_u32 v12, v11, s31, 1
	s_lshl_b32 s6, s31, 7
	v_lshl_or_b32 v10, v72, 9, v10
	s_cbranch_execz .LBB705_4
	s_branch .LBB705_5
.LBB705_3:
                                        ; implicit-def: $vgpr12
                                        ; implicit-def: $vgpr13
                                        ; implicit-def: $sgpr6
	v_lshl_or_b32 v10, v72, 9, v10
.LBB705_4:
	v_or_b32_e32 v12, 0x100, v10
	s_movk_i32 s6, 0x4000
	v_mov_b32_e32 v13, v10
.LBB705_5:
	s_mul_i32 s4, s34, s30
	s_ashr_i32 s62, s57, 31
	s_mul_hi_i32 s3, s34, s30
	s_add_u32 s4, s4, s57
	s_addc_u32 s5, s3, s62
	s_lshl_b64 s[4:5], s[4:5], 8
	s_add_u32 s4, s16, s4
	s_addc_u32 s3, s17, s5
	s_and_b32 s5, s3, 0xffff
	s_movk_i32 s63, 0x80
	buffer_load_dwordx4 v[14:17], v13, s[4:7], 0 offen
	buffer_load_dwordx4 v[18:21], v13, s[4:7], s63 offen
	buffer_load_dwordx4 v[22:25], v12, s[4:7], 0 offen
	buffer_load_dwordx4 v[26:29], v12, s[4:7], s63 offen
	v_and_b32_e32 v12, 6, v0
	v_lshlrev_b32_e32 v30, 2, v67
	v_lshlrev_b32_e32 v31, 3, v67
	v_xor_b32_e32 v35, v72, v12
	v_and_b32_e32 v13, 1, v0
	v_lshl_or_b32 v31, v70, 5, v31
	v_xor_b32_e32 v36, v70, v30
	v_lshlrev_b32_e32 v35, 2, v35
	s_add_i32 s3, s51, s49
	v_or_b32_e32 v78, 0x9000, v31
	v_or_b32_e32 v79, 0x9800, v31
	v_lshlrev_b32_e32 v31, 1, v36
	v_xor_b32_e32 v36, 0x440, v35
	v_cmp_eq_u32_e32 vcc, 0, v13
	s_add_i32 s4, s53, s50
	s_add_i32 s43, s3, s52
	v_cndmask_b32_e32 v13, v36, v35, vcc
	s_add_i32 s41, s4, s54
	s_lshl_b64 s[4:5], s[42:43], 2
	s_mov_b32 s64, 0x1000504
	s_mov_b32 s65, 0x3020706
	v_lshlrev_b32_e32 v32, 8, v67
	s_mov_b32 s6, 0x8000
	v_xor_b32_e32 v30, v71, v30
	v_lshl_or_b32 v12, v12, 10, v13
	s_add_u32 s3, s22, s4
	v_or_b32_e32 v33, v53, v67
	v_lshlrev_b32_e32 v30, 1, v30
	v_or3_b32 v80, v31, v32, s6
	v_xor_b32_e32 v13, 8, v12
	v_xor_b32_e32 v31, 24, v12
	v_xor_b32_e32 v35, 40, v12
	v_xor_b32_e32 v37, 56, v12
	s_addc_u32 s36, s23, s5
	s_lshl_b64 s[4:5], s[40:41], 2
	v_or3_b32 v81, v30, v32, s6
	v_xor_b32_e32 v30, 16, v12
	v_xor_b32_e32 v32, 32, v12
	;; [unrolled: 1-line block ×3, first 2 shown]
	v_add_u32_e32 v13, 0x80, v13
	v_add_u32_e32 v31, 0x80, v31
	;; [unrolled: 1-line block ×4, first 2 shown]
	s_add_u32 s44, s3, s4
	s_movk_i32 s3, 0xf8
	s_addc_u32 s45, s36, s5
	v_ashrrev_i32_e32 v59, 31, v58
	s_lshl_b32 s38, s31, 7
	v_lshrrev_b32_e32 v34, 2, v57
	s_mov_b32 s66, 0
	v_mov_b32_e32 v101, 0x3fb8aa3b
	s_waitcnt vmcnt(1)
	v_perm_b32 v38, v14, v22, s64
	s_waitcnt vmcnt(0)
	v_perm_b32 v39, v18, v26, s64
	v_perm_b32 v14, v14, v22, s65
	;; [unrolled: 1-line block ×15, first 2 shown]
	ds_write2st64_b32 v12, v38, v39 offset1:32
	ds_write2st64_b32 v13, v14, v18 offset1:32
	ds_write2st64_b32 v30, v22, v26 offset0:1 offset1:33
	ds_write2st64_b32 v31, v15, v19 offset0:1 offset1:33
	;; [unrolled: 1-line block ×6, first 2 shown]
	v_lshlrev_b32_e32 v12, 3, v33
	v_lshrrev_b32_e32 v14, 5, v57
	v_and_or_b32 v14, v12, s3, v14
	v_lshlrev_b32_e32 v14, 4, v14
	v_lshlrev_b32_e32 v21, 11, v1
	v_and_b32_e32 v12, 0x78, v12
	v_or_b32_e32 v17, 32, v14
	v_and_b32_e32 v13, 0x1000, v21
	v_lshrrev_b32_e32 v16, 1, v57
	v_xor_b32_e32 v17, v17, v12
	v_and_b32_e32 v16, 8, v16
	v_or_b32_e32 v17, v17, v13
	v_xor_b32_e32 v15, v14, v12
	v_xor_b32_e32 v84, v17, v16
	v_or_b32_e32 v17, 64, v14
	v_or_b32_e32 v14, 0x60, v14
	v_xor_b32_e32 v17, v17, v12
	v_xor_b32_e32 v12, v14, v12
	v_or_b32_e32 v15, v15, v13
	v_or_b32_e32 v17, v17, v13
	;; [unrolled: 1-line block ×3, first 2 shown]
	v_xor_b32_e32 v82, v15, v16
	v_xor_b32_e32 v85, v17, v16
	;; [unrolled: 1-line block ×3, first 2 shown]
	v_lshrrev_b32_e32 v16, 4, v0
	v_lshlrev_b32_e32 v17, 1, v67
	s_ashr_i32 s3, s2, 31
	v_or_b32_e32 v18, 1, v17
	v_xor_b32_e32 v17, v16, v17
	s_lshl_b64 s[4:5], s[2:3], 8
	v_xor_b32_e32 v18, v18, v16
	v_lshlrev_b32_e32 v17, 3, v17
	v_lshlrev_b32_e32 v16, 8, v16
	v_lshlrev_b64 v[12:13], 1, v[58:59]
	s_add_u32 s4, s12, s4
	v_or3_b32 v59, v17, v16, s6
	v_lshlrev_b32_e32 v17, 3, v18
	s_addc_u32 s5, s13, s5
	v_or3_b32 v88, v17, v16, s6
	v_mov_b32_e32 v17, 0
	v_lshrrev_b32_e32 v27, 1, v0
	v_lshl_add_u64 v[18:19], s[4:5], 0, v[16:17]
	v_lshlrev_b32_e32 v16, 4, v67
	s_movk_i32 s3, 0xff
	v_lshlrev_b32_e32 v26, 3, v1
	v_and_b32_e32 v27, 24, v27
	v_lshl_add_u64 v[60:61], v[18:19], 0, v[16:17]
	v_and_b32_e32 v16, 7, v0
	v_and_b32_e32 v19, 8, v0
	v_cmp_lt_u32_e32 vcc, s3, v0
	v_xor_b32_e32 v28, v26, v27
	v_lshlrev_b32_e32 v24, 3, v16
	v_lshlrev_b32_e32 v25, 7, v16
	v_cndmask_b32_e64 v16, 0, 1, vcc
	v_or_b32_e32 v29, 0x440, v28
	v_cmp_eq_u32_e32 vcc, 0, v19
	v_or_b32_e32 v31, 64, v27
	v_xor_b32_e32 v31, v26, v31
	v_cndmask_b32_e32 v19, v29, v28, vcc
	v_or_b32_e32 v29, 32, v27
	v_or_b32_e32 v27, 0x60, v27
	v_xor_b32_e32 v29, v26, v29
	v_xor_b32_e32 v26, v26, v27
	v_or_b32_e32 v30, 0x440, v29
	v_xor_b32_e32 v32, 0x440, v31
	v_xor_b32_e32 v27, 0x440, v26
	v_cndmask_b32_e32 v29, v30, v29, vcc
	v_cndmask_b32_e32 v31, v32, v31, vcc
	;; [unrolled: 1-line block ×3, first 2 shown]
	v_and_b32_e32 v15, 0x78, v68
	v_or_b32_e32 v19, v19, v21
	v_or_b32_e32 v29, v29, v21
	v_or_b32_e32 v31, v31, v21
	v_or_b32_e32 v21, v26, v21
	v_and_b32_e32 v20, 12, v34
	v_lshl_or_b32 v15, v66, 7, v15
	v_lshlrev_b32_e32 v16, 13, v16
	v_xor_b32_e32 v19, v19, v24
	v_xor_b32_e32 v29, v29, v24
	;; [unrolled: 1-line block ×4, first 2 shown]
	v_or_b32_e32 v83, 0x9000, v15
	v_or_b32_e32 v87, 0x9800, v15
	v_lshl_add_u64 v[14:15], s[20:21], 0, v[12:13]
	v_lshl_add_u64 v[12:13], s[14:15], 0, v[12:13]
	v_lshlrev_b32_e32 v22, 1, v11
	v_add_lshl_u32 v11, v11, s31, 1
	v_or_b32_e32 v23, 0x100, v10
	v_or_b32_e32 v18, v20, v53
	v_add_u32_e32 v28, v16, v19
	v_add_u32_e32 v30, v16, v29
	;; [unrolled: 1-line block ×4, first 2 shown]
	v_or3_b32 v20, v53, v20, 64
	v_add_u32_e32 v19, 0x2000, v19
	v_add_u32_e32 v26, 0x2000, v29
	;; [unrolled: 1-line block ×4, first 2 shown]
	v_lshlrev_b32_e32 v16, 8, v70
	v_cndmask_b32_e64 v89, v22, v10, s[0:1]
	v_cndmask_b32_e64 v90, v11, v23, s[0:1]
	v_lshl_add_u64 v[62:63], v[14:15], 0, v[16:17]
	v_lshl_add_u64 v[64:65], v[12:13], 0, v[16:17]
	s_mov_b32 s3, 0x7060302
	s_movk_i32 s6, 0x4000
	v_lshlrev_b32_e32 v91, 2, v18
	v_add_u32_e32 v92, v28, v25
	v_add_u32_e32 v93, v30, v25
	;; [unrolled: 1-line block ×4, first 2 shown]
	v_lshlrev_b32_e32 v96, 2, v20
	v_add_u32_e32 v97, v19, v25
	v_add_u32_e32 v98, v26, v25
	;; [unrolled: 1-line block ×4, first 2 shown]
	s_waitcnt lgkmcnt(0)
	s_barrier
.LBB705_6:                              ; =>This Inner Loop Header: Depth=1
	s_add_i32 s41, s66, 1
	s_cmp_lt_i32 s41, s55
	s_mov_b64 s[36:37], 0
	s_cselect_b64 s[46:47], -1, 0
	s_cmp_ge_i32 s41, s55
	s_mov_b64 s[4:5], 0
	s_cbranch_scc1 .LBB705_8
; %bb.7:                                ;   in Loop: Header=BB705_6 Depth=1
	s_add_i32 s0, s61, 64
	s_ashr_i32 s1, s0, 31
	s_add_u32 s0, s60, s0
	s_addc_u32 s1, s59, s1
	s_lshl_b64 s[0:1], s[0:1], 8
	s_add_u32 s4, s18, s0
	s_addc_u32 s5, s19, s1
.LBB705_8:                              ;   in Loop: Header=BB705_6 Depth=1
	v_cndmask_b32_e64 v10, 0, 1, s[46:47]
	v_cmp_ne_u32_e64 s[0:1], 1, v10
	s_andn2_b64 vcc, exec, s[46:47]
	s_cbranch_vccnz .LBB705_10
; %bb.9:                                ;   in Loop: Header=BB705_6 Depth=1
	s_add_i32 s36, s61, 64
	s_mul_hi_i32 s37, s36, s30
	s_mul_i32 s36, s36, s30
	s_add_u32 s36, s36, s57
	s_addc_u32 s37, s37, s62
	s_lshl_b64 s[36:37], s[36:37], 8
	s_add_u32 s36, s16, s36
	s_addc_u32 s37, s17, s37
.LBB705_10:                             ;   in Loop: Header=BB705_6 Depth=1
	v_perm_b32 v11, v9, v8, s3
	v_perm_b32 v10, v7, v6, s3
	;; [unrolled: 1-line block ×4, first 2 shown]
	ds_write_b64 v78, v[10:11]
	ds_write_b64 v79, v[12:13]
	;; [unrolled: 1-line block ×4, first 2 shown]
	s_waitcnt lgkmcnt(0)
	s_barrier
	ds_read_b64 v[18:19], v82 offset:16384
	ds_read_b64 v[20:21], v84 offset:16384
	ds_read2st64_b64 v[10:13], v83 offset1:1
	s_waitcnt lgkmcnt(0)
	v_mfma_f32_16x16x16_bf16 a[0:3], v[18:19], v[10:11], 0
	ds_read2st64_b64 v[14:17], v83 offset0:2 offset1:3
	ds_read_b64 v[22:23], v85 offset:16384
	ds_read_b64 v[10:11], v86 offset:16384
	s_add_i32 s43, s61, 63
	v_mfma_f32_16x16x16_bf16 a[0:3], v[20:21], v[12:13], a[0:3]
	s_ashr_i32 s39, s43, 31
	s_mul_i32 s46, s43, s11
	s_mul_hi_u32 s47, s43, s10
	s_waitcnt lgkmcnt(1)
	v_mfma_f32_16x16x16_bf16 a[0:3], v[22:23], v[14:15], a[0:3]
	s_add_i32 s46, s47, s46
	s_mul_i32 s39, s39, s10
	s_add_i32 s47, s46, s39
	s_mul_i32 s46, s43, s10
	s_waitcnt lgkmcnt(0)
	v_mfma_f32_16x16x16_bf16 a[0:3], v[10:11], v[16:17], a[0:3]
	s_lshl_b64 s[46:47], s[46:47], 2
	s_add_u32 s46, s44, s46
	s_addc_u32 s47, s45, s47
	s_and_b64 vcc, exec, s[0:1]
	v_mov_b32_e32 v104, 0
	v_mov_b32_e32 v103, 0
	v_mov_b32_e32 v102, 0
	v_mov_b32_e32 v10, 0
	v_mov_b32_e32 v11, 0
	v_mov_b32_e32 v12, 0
	v_mov_b32_e32 v13, 0
	v_mov_b32_e32 v14, 0
	v_mov_b32_e32 v15, 0
	v_mov_b32_e32 v16, 0
	v_mov_b32_e32 v17, 0
	v_mov_b32_e32 v18, 0
	v_mov_b32_e32 v19, 0
	v_mov_b32_e32 v20, 0
	v_mov_b32_e32 v21, 0
	v_mov_b32_e32 v22, 0
	v_mov_b32_e32 v23, 0
	v_mov_b32_e32 v24, 0
	v_mov_b32_e32 v25, 0
	s_cbranch_vccnz .LBB705_12
; %bb.11:                               ;   in Loop: Header=BB705_6 Depth=1
	s_and_b32 s5, s5, 0xffff
	buffer_load_dwordx4 v[22:25], v74, s[4:7], 0 offen
	buffer_load_dwordx4 v[18:21], v74, s[4:7], s63 offen
	;; [unrolled: 1-line block ×4, first 2 shown]
	v_mov_b32_e32 v103, v76
	v_mov_b32_e32 v102, v77
.LBB705_12:                             ;   in Loop: Header=BB705_6 Depth=1
	v_add_u32_e32 v30, s61, v70
	v_ashrrev_i32_e32 v26, 31, v30
	v_mul_lo_u32 v28, v26, s10
	v_mul_lo_u32 v29, v30, s11
	v_mad_u64_u32 v[26:27], s[4:5], v30, s10, 0
	v_add3_u32 v27, v27, v29, v28
	v_lshl_add_u64 v[26:27], v[26:27], 2, s[44:45]
	global_load_dword v42, v[26:27], off
	v_add_u32_e32 v26, 1, v30
	v_ashrrev_i32_e32 v27, 31, v26
	v_mul_lo_u32 v28, v27, s10
	v_mul_lo_u32 v29, v26, s11
	v_mad_u64_u32 v[26:27], s[4:5], v26, s10, 0
	v_add3_u32 v27, v27, v29, v28
	v_add_u32_e32 v28, 2, v30
	v_ashrrev_i32_e32 v29, 31, v28
	v_mul_lo_u32 v31, v29, s10
	v_mul_lo_u32 v32, v28, s11
	v_mad_u64_u32 v[28:29], s[4:5], v28, s10, 0
	v_add_u32_e32 v30, 3, v30
	v_add3_u32 v29, v29, v32, v31
	v_ashrrev_i32_e32 v31, 31, v30
	v_mul_lo_u32 v34, v31, s10
	v_mul_lo_u32 v35, v30, s11
	v_mad_u64_u32 v[30:31], s[4:5], v30, s10, 0
	s_ashr_i32 s5, s61, 31
	s_add_u32 s4, s60, s61
	s_addc_u32 s5, s59, s5
	s_lshl_b64 s[68:69], s[4:5], 8
	v_lshl_add_u64 v[26:27], v[26:27], 2, s[44:45]
	v_lshl_add_u64 v[32:33], v[62:63], 0, s[68:69]
	v_add3_u32 v31, v31, v35, v34
	v_lshl_add_u64 v[28:29], v[28:29], 2, s[44:45]
	global_load_ushort v43, v[32:33], off
	global_load_ushort v44, v[32:33], off offset:256
	global_load_ushort v45, v[32:33], off offset:512
	;; [unrolled: 1-line block ×3, first 2 shown]
	v_lshl_add_u64 v[30:31], v[30:31], 2, s[44:45]
	global_load_dword v47, v[26:27], off
	global_load_dword v48, v[28:29], off
	;; [unrolled: 1-line block ×3, first 2 shown]
	ds_read_b64 v[30:31], v82 offset:24576
	ds_read_b64 v[36:37], v84 offset:24576
	ds_read2st64_b64 v[26:29], v87 offset1:1
	s_waitcnt lgkmcnt(0)
	v_mfma_f32_16x16x16_bf16 a[0:3], v[30:31], v[26:27], a[0:3]
	s_load_dword s4, s[46:47], 0x0
	ds_read2st64_b64 v[32:35], v87 offset0:2 offset1:3
	ds_read_b64 v[38:39], v85 offset:24576
	ds_read_b64 v[40:41], v86 offset:24576
	v_mov_b32_e32 v105, 0
	v_mfma_f32_16x16x16_bf16 a[0:3], v[36:37], v[28:29], a[0:3]
	v_mov_b32_e32 v26, 0
	v_mov_b32_e32 v27, 0
	;; [unrolled: 1-line block ×3, first 2 shown]
	s_waitcnt lgkmcnt(0)
	v_mfma_f32_16x16x16_bf16 a[0:3], v[38:39], v[32:33], a[0:3]
	v_lshl_add_u64 v[32:33], v[64:65], 0, s[68:69]
	v_mov_b32_e32 v29, 0
	v_mov_b32_e32 v30, 0
	v_mfma_f32_16x16x16_bf16 a[0:3], v[40:41], v[34:35], a[0:3]
	v_mov_b32_e32 v31, 0
	s_and_b64 vcc, exec, s[0:1]
	s_waitcnt vmcnt(7)
	v_sub_f32_e32 v42, s4, v42
	s_nop 2
	v_accvgpr_read_b32 v37, a1
	v_accvgpr_read_b32 v35, a3
	;; [unrolled: 1-line block ×4, first 2 shown]
	v_mul_f32_e32 v42, 0x3fb8aa3b, v42
	s_waitcnt vmcnt(6)
	v_lshlrev_b32_e32 v38, 16, v43
	s_waitcnt vmcnt(5)
	v_lshlrev_b32_e32 v39, 16, v44
	;; [unrolled: 2-line block ×4, first 2 shown]
	s_waitcnt vmcnt(2)
	v_sub_f32_e32 v43, s4, v47
	s_waitcnt vmcnt(1)
	v_sub_f32_e32 v44, s4, v48
	;; [unrolled: 2-line block ×3, first 2 shown]
	v_pk_add_f32 v[36:37], v[38:39], v[36:37] neg_lo:[0,1] neg_hi:[0,1]
	v_pk_add_f32 v[34:35], v[40:41], v[34:35] neg_lo:[0,1] neg_hi:[0,1]
	v_mul_f32_e32 v39, 0x3fb8aa3b, v43
	v_mul_f32_e32 v40, 0x3fb8aa3b, v44
	;; [unrolled: 1-line block ×3, first 2 shown]
	v_exp_f32_e32 v38, v42
	v_exp_f32_e32 v39, v39
	v_exp_f32_e32 v40, v40
	v_exp_f32_e32 v41, v41
	global_store_short_d16_hi v[32:33], v36, off
	global_store_short_d16_hi v[32:33], v37, off offset:256
	global_store_short_d16_hi v[32:33], v34, off offset:512
	;; [unrolled: 1-line block ×3, first 2 shown]
	v_pk_mul_f32 v[32:33], v[38:39], v[36:37]
	v_pk_mul_f32 v[34:35], v[40:41], v[34:35]
	v_mov_b32_e32 v36, 0
	v_perm_b32 v35, v35, v34, s3
	v_perm_b32 v34, v33, v32, s3
	ds_write_b64 v79, v[34:35]
	v_mov_b32_e32 v32, 0
	v_mov_b32_e32 v33, 0
	;; [unrolled: 1-line block ×9, first 2 shown]
	s_cbranch_vccnz .LBB705_14
; %bb.13:                               ;   in Loop: Header=BB705_6 Depth=1
	s_and_b32 s37, s37, 0xffff
	s_mov_b32 s39, s7
	buffer_load_dwordx4 v[38:41], v89, s[36:39], 0 offen
	buffer_load_dwordx4 v[30:33], v89, s[36:39], s63 offen
	;; [unrolled: 1-line block ×4, first 2 shown]
	v_mov_b32_e32 v104, v73
	v_mov_b32_e32 v105, v72
.LBB705_14:                             ;   in Loop: Header=BB705_6 Depth=1
	s_waitcnt lgkmcnt(0)
	s_barrier
	ds_read_b64 v[42:43], v92
	ds_read_b64 v[48:49], v93
	ds_read2st64_b64 v[44:47], v87 offset1:1
	ds_read2st64_b64 v[106:109], v87 offset0:2 offset1:3
	ds_read_b64 v[50:51], v94
	ds_read_b64 v[114:115], v95
	s_add_i32 s5, s58, s66
	s_mul_hi_i32 s37, s5, s29
	s_mul_i32 s5, s5, s29
	s_waitcnt lgkmcnt(3)
	v_mfma_f32_16x16x16_bf16 a[0:3], v[42:43], v[44:45], 0
	ds_read_b64 v[42:43], v97
	s_add_u32 s36, s5, s33
	s_addc_u32 s37, s37, s48
	v_mfma_f32_16x16x16_bf16 a[0:3], v[48:49], v[46:47], a[0:3]
	ds_read_b64 v[48:49], v98
	s_lshl_b64 s[36:37], s[36:37], 15
	s_mul_i32 s39, s43, s29
	s_mul_hi_i32 s5, s43, s29
	s_add_u32 s46, s39, s33
	s_addc_u32 s47, s5, s48
	s_lshl_b64 s[46:47], s[46:47], 9
	s_add_u32 s46, s8, s46
	s_waitcnt lgkmcnt(1)
	v_mfma_f32_16x16x16_bf16 a[4:7], v[42:43], v[44:45], 0
	s_addc_u32 s47, s9, s47
	s_and_b64 vcc, exec, s[0:1]
	v_mfma_f32_16x16x16_bf16 a[0:3], v[50:51], v[106:107], a[0:3]
	ds_read_b64 v[50:51], v99
	ds_read_b64 v[116:117], v100
	global_load_dwordx4 v[42:45], v96, s[46:47]
	s_waitcnt lgkmcnt(2)
	v_mfma_f32_16x16x16_bf16 a[4:7], v[48:49], v[46:47], a[4:7]
	global_load_dwordx4 v[46:49], v91, s[46:47]
	ds_read_b64 v[110:111], v59
	ds_read_b64 v[112:113], v88
	s_waitcnt lgkmcnt(3)
	v_mfma_f32_16x16x16_bf16 a[8:11], v[50:51], v[106:107], a[4:7]
	v_lshl_add_u64 v[50:51], v[60:61], 0, s[36:37]
	s_waitcnt lgkmcnt(0)
	global_store_dwordx4 v[50:51], v[110:113], off
	v_mfma_f32_16x16x16_bf16 a[4:7], v[114:115], v[108:109], a[0:3]
	s_waitcnt vmcnt(2)
	v_mov_b32_e32 v52, v45
	v_mfma_f32_16x16x16_bf16 a[0:3], v[116:117], v[108:109], a[8:11]
	v_mov_b32_e32 v51, v44
	v_mov_b32_e32 v50, v43
	s_cbranch_vccnz .LBB705_16
; %bb.15:                               ;   in Loop: Header=BB705_6 Depth=1
	v_lshrrev_b32_e32 v43, 3, v104
	v_and_b32_e32 v43, 6, v43
	v_xor_b32_e32 v44, v43, v105
	v_lshlrev_b32_e32 v44, 2, v44
	v_and_b32_e32 v45, 8, v104
	v_xor_b32_e32 v104, 0x440, v44
	v_cmp_eq_u32_e32 vcc, 0, v45
	v_perm_b32 v45, v30, v26, s64
	s_nop 0
	v_cndmask_b32_e32 v44, v104, v44, vcc
	v_lshl_or_b32 v43, v43, 10, v44
	v_perm_b32 v44, v38, v34, s64
	s_barrier
	ds_write2st64_b32 v43, v44, v45 offset1:32
	v_xor_b32_e32 v44, 8, v43
	v_perm_b32 v34, v38, v34, s65
	v_perm_b32 v26, v30, v26, s65
	v_add_u32_e32 v30, 0x80, v44
	ds_write2st64_b32 v30, v34, v26 offset1:32
	v_xor_b32_e32 v26, 16, v43
	v_perm_b32 v30, v39, v35, s64
	v_perm_b32 v34, v31, v27, s64
	ds_write2st64_b32 v26, v30, v34 offset0:1 offset1:33
	v_xor_b32_e32 v26, 24, v43
	v_perm_b32 v30, v39, v35, s65
	v_perm_b32 v27, v31, v27, s65
	v_add_u32_e32 v26, 0x80, v26
	ds_write2st64_b32 v26, v30, v27 offset0:1 offset1:33
	v_xor_b32_e32 v26, 32, v43
	v_perm_b32 v27, v40, v36, s64
	v_perm_b32 v30, v32, v28, s64
	ds_write2st64_b32 v26, v27, v30 offset0:2 offset1:34
	v_xor_b32_e32 v26, 40, v43
	v_perm_b32 v27, v40, v36, s65
	v_perm_b32 v28, v32, v28, s65
	v_add_u32_e32 v26, 0x80, v26
	ds_write2st64_b32 v26, v27, v28 offset0:2 offset1:34
	;; [unrolled: 9-line block ×3, first 2 shown]
	ds_write_b64 v103, v[22:23] offset:16384
	v_xor_b32_e32 v22, 8, v103
	ds_write_b64 v22, v[24:25] offset:16384
	ds_write_b64 v103, v[18:19] offset:24576
	;; [unrolled: 1-line block ×4, first 2 shown]
	v_xor_b32_e32 v14, 8, v102
	ds_write_b64 v14, v[16:17] offset:16384
	ds_write_b64 v102, v[10:11] offset:24576
	;; [unrolled: 1-line block ×3, first 2 shown]
.LBB705_16:                             ;   in Loop: Header=BB705_6 Depth=1
	v_mul_f32_e32 v14, s4, v101
	v_exp_f32_e32 v18, v14
	s_waitcnt vmcnt(1)
	v_mul_f32_e32 v14, 0x3fb8aa3b, v46
	v_exp_f32_e32 v20, v14
	v_mul_f32_e32 v14, 0x3fb8aa3b, v47
	v_exp_f32_e32 v21, v14
	;; [unrolled: 2-line block ×4, first 2 shown]
	v_accvgpr_read_b32 v13, a7
	v_accvgpr_read_b32 v11, a5
	;; [unrolled: 1-line block ×3, first 2 shown]
	v_pk_mul_f32 v[20:21], v[18:19], v[20:21] op_sel_hi:[0,1]
	v_pk_fma_f32 v[6:7], v[6:7], v[20:21], v[10:11]
	v_pk_mul_f32 v[10:11], v[18:19], v[22:23] op_sel_hi:[0,1]
	v_mul_f32_e32 v19, 0x3fb8aa3b, v42
	v_exp_f32_e32 v20, v19
	v_mul_f32_e32 v19, 0x3fb8aa3b, v50
	v_exp_f32_e32 v21, v19
	;; [unrolled: 2-line block ×4, first 2 shown]
	v_accvgpr_read_b32 v12, a6
	v_accvgpr_read_b32 v17, a3
	;; [unrolled: 1-line block ×4, first 2 shown]
	v_pk_fma_f32 v[8:9], v[8:9], v[10:11], v[12:13]
	v_pk_mul_f32 v[10:11], v[18:19], v[20:21] op_sel_hi:[0,1]
	v_accvgpr_read_b32 v16, a2
	v_pk_fma_f32 v[2:3], v[2:3], v[10:11], v[14:15]
	v_pk_mul_f32 v[10:11], v[18:19], v[22:23] op_sel_hi:[0,1]
	s_add_i32 s61, s61, 64
	s_cmp_eq_u32 s55, s41
	v_pk_fma_f32 v[4:5], v[4:5], v[10:11], v[16:17]
	s_cbranch_scc1 .LBB705_18
; %bb.17:                               ;   in Loop: Header=BB705_6 Depth=1
	s_mov_b32 s66, s41
	s_branch .LBB705_6
.LBB705_18:
	s_lshl_b32 s0, s55, 6
	s_sub_i32 s46, s56, s0
	s_cmp_gt_i32 s46, 0
	s_cbranch_scc0 .LBB705_75
; %bb.19:
	s_add_i32 s34, s0, s34
	s_ashr_i32 s3, s34, 31
	s_cmpk_lg_i32 s31, 0x80
	s_cselect_b64 s[38:39], -1, 0
	s_and_b64 vcc, exec, s[38:39]
	s_cbranch_vccz .LBB705_21
; %bb.20:
	s_mul_i32 s1, s34, s30
	s_ashr_i32 s4, s57, 31
	s_mul_hi_i32 s0, s34, s30
	s_add_u32 s44, s1, s57
	s_addc_u32 s45, s0, s4
	s_cbranch_execz .LBB705_22
	s_branch .LBB705_23
.LBB705_21:
                                        ; implicit-def: $sgpr44_sgpr45
.LBB705_22:
	s_mul_i32 s1, s57, s28
	s_mul_hi_i32 s0, s57, s28
	s_add_u32 s44, s1, s34
	s_addc_u32 s45, s0, s3
.LBB705_23:
	s_waitcnt lgkmcnt(0)
	s_add_i32 s4, s55, s58
	s_add_u32 s0, s60, s34
	s_addc_u32 s1, s59, s3
	s_mov_b32 s3, 0x7060302
	v_lshlrev_b32_e32 v14, 3, v67
	s_lshl_b64 s[36:37], s[0:1], 8
	s_waitcnt vmcnt(1)
	v_perm_b32 v11, v9, v8, s3
	v_perm_b32 v10, v7, v6, s3
	s_waitcnt vmcnt(0)
	v_perm_b32 v13, v5, v4, s3
	v_perm_b32 v12, v3, v2, s3
	v_lshlrev_b32_e32 v42, 2, v67
	v_lshl_or_b32 v14, v70, 5, v14
	s_add_u32 s0, s18, s36
	ds_write2st64_b64 v14, v[10:11], v[12:13] offset0:72 offset1:76
	v_xor_b32_e32 v14, v70, v42
	v_lshlrev_b32_e32 v15, 8, v67
	s_addc_u32 s1, s19, s37
	v_lshl_or_b32 v14, v14, 1, v15
	s_mul_hi_i32 s3, s4, s29
	s_mul_i32 s4, s4, s29
	ds_write_b64 v14, v[10:11] offset:32768
	v_xor_b32_e32 v10, v71, v42
	s_add_u32 s4, s4, s33
	v_lshl_or_b32 v10, v10, 1, v15
	s_addc_u32 s5, s3, s48
	v_lshlrev_b32_e32 v11, 1, v67
	ds_write_b64 v10, v[12:13] offset:32768
	v_lshrrev_b32_e32 v10, 4, v0
	s_ashr_i32 s3, s2, 31
	s_lshl_b64 s[4:5], s[4:5], 15
	v_or_b32_e32 v12, 1, v11
	s_add_u32 s4, s12, s4
	v_xor_b32_e32 v11, v10, v11
	v_xor_b32_e32 v12, v12, v10
	v_lshlrev_b32_e32 v14, 8, v10
	s_addc_u32 s5, s13, s5
	s_lshl_b64 s[2:3], s[2:3], 8
	v_lshl_or_b32 v10, v11, 3, v14
	v_lshl_or_b32 v12, v12, 3, v14
	s_waitcnt lgkmcnt(0)
	s_barrier
	s_add_u32 s2, s4, s2
	ds_read_b64 v[10:11], v10 offset:32768
	ds_read_b64 v[12:13], v12 offset:32768
	s_addc_u32 s3, s5, s3
	v_mov_b32_e32 v15, 0
	s_cmp_lg_u32 s46, 64
	v_lshl_add_u64 v[16:17], s[2:3], 0, v[14:15]
	v_lshlrev_b32_e32 v14, 4, v67
	s_cselect_b64 s[18:19], -1, 0
	v_lshl_or_b32 v44, v1, 3, v69
	s_mov_b32 s4, 0
	v_lshl_add_u64 v[14:15], v[16:17], 0, v[14:15]
	v_or_b32_e32 v27, 32, v44
	v_and_b32_e32 v26, 56, v68
	s_and_b64 vcc, exec, s[18:19]
	s_waitcnt lgkmcnt(0)
	global_store_dwordx4 v[14:15], v[10:13], off
	s_cbranch_vccz .LBB705_29
; %bb.24:
	s_mov_b32 s6, s4
	s_mov_b32 s7, s4
	;; [unrolled: 1-line block ×3, first 2 shown]
	v_mov_b64_e32 v[16:17], s[6:7]
	v_mov_b64_e32 v[14:15], s[4:5]
	;; [unrolled: 1-line block ×3, first 2 shown]
	v_cmp_gt_i32_e32 vcc, s46, v44
	v_mov_b64_e32 v[12:13], v[16:17]
	s_and_saveexec_b64 s[2:3], vcc
	s_cbranch_execz .LBB705_26
; %bb.25:
	v_lshlrev_b32_e32 v10, 8, v44
	v_mov_b32_e32 v11, 0
	v_lshl_add_u64 v[12:13], s[0:1], 0, v[10:11]
	v_lshlrev_b32_e32 v10, 1, v26
	v_lshl_add_u64 v[18:19], v[12:13], 0, v[10:11]
	global_load_dwordx4 v[14:17], v[18:19], off
	global_load_dwordx4 v[10:13], v[18:19], off offset:128
.LBB705_26:
	s_or_b64 exec, exec, s[2:3]
	s_mov_b32 s6, s4
	s_mov_b32 s7, s4
	;; [unrolled: 1-line block ×3, first 2 shown]
	v_mov_b64_e32 v[24:25], s[6:7]
	v_mov_b64_e32 v[22:23], s[4:5]
	;; [unrolled: 1-line block ×3, first 2 shown]
	v_cmp_gt_i32_e32 vcc, s46, v27
	v_lshlrev_b32_e32 v28, 7, v27
	v_mov_b64_e32 v[20:21], v[24:25]
	s_and_saveexec_b64 s[2:3], vcc
	s_cbranch_execz .LBB705_28
; %bb.27:
	v_lshlrev_b32_e32 v18, 1, v28
	v_mov_b32_e32 v19, 0
	v_lshl_add_u64 v[20:21], s[0:1], 0, v[18:19]
	v_lshlrev_b32_e32 v18, 1, v26
	v_lshl_add_u64 v[30:31], v[20:21], 0, v[18:19]
	global_load_dwordx4 v[22:25], v[30:31], off
	global_load_dwordx4 v[18:21], v[30:31], off offset:128
.LBB705_28:
	s_or_b64 exec, exec, s[2:3]
	v_lshrrev_b32_e32 v29, 3, v26
	v_lshlrev_b32_e32 v30, 3, v44
	v_or_b32_e32 v29, v30, v29
	v_lshlrev_b32_e32 v29, 4, v29
	v_and_b32_e32 v30, 0x78, v30
	v_xor_b32_e32 v29, v29, v30
	s_branch .LBB705_31
.LBB705_29:
                                        ; implicit-def: $vgpr29
                                        ; implicit-def: $vgpr28
                                        ; implicit-def: $vgpr14_vgpr15_vgpr16_vgpr17
                                        ; implicit-def: $vgpr10_vgpr11_vgpr12_vgpr13
                                        ; implicit-def: $vgpr22_vgpr23_vgpr24_vgpr25
                                        ; implicit-def: $vgpr18_vgpr19_vgpr20_vgpr21
	s_cbranch_execz .LBB705_31
; %bb.30:
	s_waitcnt vmcnt(0)
	v_lshlrev_b32_e32 v10, 1, v26
	v_lshl_or_b32 v28, v44, 8, v10
	s_and_b32 s1, s1, 0xffff
	s_mov_b32 s3, 0x20000
	s_movk_i32 s2, 0x4000
	v_lshl_or_b32 v29, v27, 8, v10
	s_movk_i32 s4, 0x80
	buffer_load_dwordx4 v[14:17], v28, s[0:3], 0 offen
	buffer_load_dwordx4 v[10:13], v28, s[0:3], s4 offen
	;; [unrolled: 1-line block ×4, first 2 shown]
	v_lshrrev_b32_e32 v28, 3, v26
	v_lshlrev_b32_e32 v29, 3, v44
	v_or_b32_e32 v28, v29, v28
	v_lshlrev_b32_e32 v28, 4, v28
	v_and_b32_e32 v29, 0x78, v29
	v_xor_b32_e32 v29, v28, v29
	v_lshlrev_b32_e32 v28, 7, v27
.LBB705_31:
	s_lshl_b64 s[0:1], s[44:45], 8
	s_add_u32 s4, s16, s0
	s_movk_i32 s0, 0x1000
	v_and_or_b32 v27, v28, s0, v29
	s_waitcnt vmcnt(1)
	ds_write_b64 v29, v[14:15] offset:16384
	v_xor_b32_e32 v14, 8, v29
	ds_write_b64 v14, v[16:17] offset:16384
	s_waitcnt vmcnt(0)
	ds_write_b64 v29, v[10:11] offset:24576
	ds_write_b64 v14, v[12:13] offset:24576
	;; [unrolled: 1-line block ×3, first 2 shown]
	v_xor_b32_e32 v10, 8, v27
	ds_write_b64 v10, v[24:25] offset:16384
	ds_write_b64 v27, v[18:19] offset:24576
	;; [unrolled: 1-line block ×3, first 2 shown]
	v_or_b32_e32 v10, v53, v67
	v_lshlrev_b32_e32 v10, 3, v10
	v_lshrrev_b32_e32 v12, 5, v57
	s_movk_i32 s6, 0xf8
	v_and_or_b32 v12, v10, s6, v12
	v_lshlrev_b32_e32 v43, 11, v1
	v_lshlrev_b32_e32 v20, 4, v12
	v_and_b32_e32 v21, 0x78, v10
	v_and_b32_e32 v22, 0x1000, v43
	v_lshlrev_b32_e32 v11, 2, v0
	v_xor_b32_e32 v10, v20, v21
	v_lshrrev_b32_e32 v12, 1, v57
	v_and_b32_e32 v11, 60, v11
	v_or_b32_e32 v10, v10, v22
	v_and_b32_e32 v23, 8, v12
	v_xor_b32_e32 v34, v10, v23
	v_lshl_or_b32 v10, v66, 6, v11
	v_lshlrev_b32_e32 v45, 1, v10
	v_or_b32_e32 v10, 32, v20
	v_xor_b32_e32 v10, v10, v21
	s_waitcnt lgkmcnt(0)
	s_barrier
	ds_read_b64 v[18:19], v34 offset:16384
	v_or_b32_e32 v10, v10, v22
	v_xor_b32_e32 v35, v10, v23
	v_or_b32_e32 v10, 64, v20
	v_xor_b32_e32 v10, v10, v21
	v_or_b32_e32 v10, v10, v22
	v_or_b32_e32 v20, 0x60, v20
	v_xor_b32_e32 v36, v10, v23
	ds_read2st64_b64 v[10:13], v45 offset0:72 offset1:73
	ds_read2st64_b64 v[14:17], v45 offset0:74 offset1:75
	v_xor_b32_e32 v24, v20, v21
	ds_read_b64 v[20:21], v35 offset:16384
	s_addc_u32 s5, s17, s1
	s_add_i32 s0, s51, s49
	s_waitcnt lgkmcnt(2)
	v_mfma_f32_16x16x16_bf16 a[0:3], v[18:19], v[10:11], 0
	s_add_i32 s17, s35, -1
	s_add_i32 s43, s0, s52
	s_add_i32 s0, s53, s50
	;; [unrolled: 1-line block ×3, first 2 shown]
	s_ashr_i32 s0, s17, 31
	s_mul_i32 s1, s17, s11
	s_mul_hi_u32 s2, s17, s10
	s_add_i32 s1, s2, s1
	s_mul_i32 s0, s0, s10
	v_or_b32_e32 v22, v24, v22
	s_add_i32 s1, s1, s0
	s_lshl_b64 s[2:3], s[42:43], 2
	v_xor_b32_e32 v46, v22, v23
	ds_read_b64 v[22:23], v36 offset:16384
	ds_read_b64 v[24:25], v46 offset:16384
	s_waitcnt lgkmcnt(2)
	v_mfma_f32_16x16x16_bf16 a[0:3], v[20:21], v[12:13], a[0:3]
	s_add_u32 s6, s22, s2
	s_addc_u32 s7, s23, s3
	s_lshl_b64 s[2:3], s[40:41], 2
	s_mul_i32 s0, s17, s10
	s_add_u32 s12, s6, s2
	s_addc_u32 s13, s7, s3
	s_lshl_b64 s[0:1], s[0:1], 2
	s_waitcnt lgkmcnt(1)
	v_mfma_f32_16x16x16_bf16 a[0:3], v[22:23], v[14:15], a[0:3]
	s_add_u32 s0, s12, s0
	s_addc_u32 s1, s13, s1
	s_load_dword s16, s[0:1], 0x0
	s_waitcnt lgkmcnt(0)
	v_mfma_f32_16x16x16_bf16 a[0:3], v[24:25], v[16:17], a[0:3]
	s_and_b64 vcc, exec, s[38:39]
	s_cbranch_vccz .LBB705_42
; %bb.32:
	v_lshlrev_b32_e32 v27, 1, v44
	s_and_b64 vcc, exec, s[18:19]
	s_cbranch_vccz .LBB705_43
; %bb.33:
	v_cmp_gt_i32_e32 vcc, s46, v27
	v_mov_b32_e32 v14, 0
	v_mov_b32_e32 v10, 0
	v_mov_b32_e32 v11, 0
	v_mov_b32_e32 v12, 0
	v_mov_b32_e32 v13, 0
	s_and_saveexec_b64 s[0:1], vcc
	s_cbranch_execz .LBB705_35
; %bb.34:
	v_mad_i64_i32 v[10:11], s[2:3], s31, v27, 0
	v_lshl_add_u64 v[10:11], v[10:11], 1, s[4:5]
	v_lshlrev_b32_e32 v12, 1, v26
	v_mov_b32_e32 v13, 0
	v_lshl_add_u64 v[10:11], v[10:11], 0, v[12:13]
	global_load_dwordx4 v[10:13], v[10:11], off
.LBB705_35:
	s_or_b64 exec, exec, s[0:1]
	v_or_b32_e32 v28, 1, v27
	v_cmp_gt_i32_e64 s[0:1], s46, v28
	v_mov_b32_e32 v15, 0
	v_mov_b32_e32 v16, 0
	;; [unrolled: 1-line block ×3, first 2 shown]
	s_and_saveexec_b64 s[2:3], s[0:1]
	s_cbranch_execz .LBB705_37
; %bb.36:
	v_mad_i64_i32 v[14:15], s[6:7], s31, v28, 0
	v_lshl_add_u64 v[14:15], v[14:15], 1, s[4:5]
	v_lshlrev_b32_e32 v16, 1, v26
	v_mov_b32_e32 v17, 0
	v_lshl_add_u64 v[14:15], v[14:15], 0, v[16:17]
	global_load_dwordx4 v[14:17], v[14:15], off
.LBB705_37:
	s_or_b64 exec, exec, s[2:3]
	v_mov_b32_e32 v25, 0
	v_mov_b32_e32 v18, 0
	;; [unrolled: 1-line block ×5, first 2 shown]
	s_and_saveexec_b64 s[2:3], vcc
	s_cbranch_execz .LBB705_39
; %bb.38:
	v_mad_i64_i32 v[18:19], s[6:7], s31, v27, 0
	v_lshl_add_u64 v[18:19], v[18:19], 1, s[4:5]
	v_lshlrev_b32_e32 v20, 1, v26
	v_mov_b32_e32 v21, 0
	v_lshl_add_u64 v[18:19], v[18:19], 0, v[20:21]
	global_load_dwordx4 v[18:21], v[18:19], off offset:128
.LBB705_39:
	s_or_b64 exec, exec, s[2:3]
	v_mov_b32_e32 v24, 0
	v_mov_b32_e32 v23, 0
	;; [unrolled: 1-line block ×3, first 2 shown]
	s_and_saveexec_b64 s[2:3], s[0:1]
	s_cbranch_execz .LBB705_41
; %bb.40:
	v_mad_i64_i32 v[22:23], s[0:1], s31, v28, 0
	v_lshl_add_u64 v[22:23], v[22:23], 1, s[4:5]
	v_lshlrev_b32_e32 v24, 1, v26
	v_mov_b32_e32 v25, 0
	v_lshl_add_u64 v[22:23], v[22:23], 0, v[24:25]
	global_load_dwordx4 v[22:25], v[22:23], off offset:128
.LBB705_41:
	s_or_b64 exec, exec, s[2:3]
	s_branch .LBB705_45
.LBB705_42:
                                        ; implicit-def: $vgpr13
                                        ; implicit-def: $vgpr17
                                        ; implicit-def: $vgpr21
                                        ; implicit-def: $vgpr25
	v_lshrrev_b32_e32 v27, 2, v57
	s_branch .LBB705_46
.LBB705_43:
                                        ; implicit-def: $vgpr13
                                        ; implicit-def: $vgpr17
                                        ; implicit-def: $vgpr21
                                        ; implicit-def: $vgpr25
	s_cbranch_execz .LBB705_45
; %bb.44:
	s_waitcnt vmcnt(0)
	v_mad_u64_u32 v[10:11], s[0:1], v27, s31, v[26:27]
	v_lshlrev_b32_e32 v27, 1, v10
	s_lshl_b32 s2, s31, 7
	s_and_b32 s1, s5, 0xffff
	s_mov_b32 s3, 0x20000
	s_mov_b32 s0, s4
	v_add_lshl_u32 v28, v10, s31, 1
	s_movk_i32 s6, 0x80
	buffer_load_dwordx4 v[10:13], v27, s[0:3], 0 offen
	buffer_load_dwordx4 v[18:21], v27, s[0:3], s6 offen
	;; [unrolled: 1-line block ×4, first 2 shown]
.LBB705_45:
	v_lshrrev_b32_e32 v27, 2, v57
	s_cbranch_execnz .LBB705_58
.LBB705_46:
	s_and_b64 vcc, exec, s[18:19]
	s_cbranch_vccz .LBB705_56
; %bb.47:
	s_waitcnt vmcnt(0)
	v_lshlrev_b32_e32 v15, 1, v44
	v_cmp_gt_i32_e32 vcc, s46, v15
	v_mov_b32_e32 v14, 0
	v_lshlrev_b32_e32 v22, 9, v44
	v_mov_b32_e32 v10, 0
	v_mov_b32_e32 v11, 0
	v_mov_b32_e32 v12, 0
	v_mov_b32_e32 v13, 0
	s_and_saveexec_b64 s[0:1], vcc
	s_cbranch_execz .LBB705_49
; %bb.48:
	v_mov_b32_e32 v23, 0
	v_lshl_add_u64 v[10:11], s[4:5], 0, v[22:23]
	v_lshlrev_b32_e32 v12, 1, v26
	v_mov_b32_e32 v13, v23
	v_lshl_add_u64 v[10:11], v[10:11], 0, v[12:13]
	global_load_dwordx4 v[10:13], v[10:11], off
.LBB705_49:
	s_or_b64 exec, exec, s[0:1]
	v_or_b32_e32 v15, 1, v15
	v_cmp_gt_i32_e64 s[0:1], s46, v15
	v_lshlrev_b32_e32 v28, 8, v15
	v_mov_b32_e32 v15, 0
	v_mov_b32_e32 v16, 0
	;; [unrolled: 1-line block ×3, first 2 shown]
	s_and_saveexec_b64 s[2:3], s[0:1]
	s_cbranch_execz .LBB705_51
; %bb.50:
	v_mov_b32_e32 v29, 0
	v_lshl_add_u64 v[14:15], s[4:5], 0, v[28:29]
	v_lshlrev_b32_e32 v16, 1, v26
	v_mov_b32_e32 v17, v29
	v_lshl_add_u64 v[14:15], v[14:15], 0, v[16:17]
	global_load_dwordx4 v[14:17], v[14:15], off
.LBB705_51:
	s_or_b64 exec, exec, s[2:3]
	v_mov_b32_e32 v25, 0
	v_mov_b32_e32 v18, 0
	;; [unrolled: 1-line block ×5, first 2 shown]
	s_and_saveexec_b64 s[2:3], vcc
	s_cbranch_execz .LBB705_53
; %bb.52:
	v_mov_b32_e32 v23, 0
	v_lshl_add_u64 v[18:19], s[4:5], 0, v[22:23]
	v_lshlrev_b32_e32 v22, 1, v26
	v_lshl_add_u64 v[18:19], v[18:19], 0, v[22:23]
	global_load_dwordx4 v[18:21], v[18:19], off offset:128
.LBB705_53:
	s_or_b64 exec, exec, s[2:3]
	v_mov_b32_e32 v24, 0
	v_mov_b32_e32 v23, 0
	;; [unrolled: 1-line block ×3, first 2 shown]
	s_and_saveexec_b64 s[2:3], s[0:1]
	s_cbranch_execz .LBB705_55
; %bb.54:
	v_mov_b32_e32 v29, 0
	v_lshl_add_u64 v[22:23], s[4:5], 0, v[28:29]
	v_lshlrev_b32_e32 v28, 1, v26
	v_lshl_add_u64 v[22:23], v[22:23], 0, v[28:29]
	global_load_dwordx4 v[22:25], v[22:23], off offset:128
.LBB705_55:
	s_or_b64 exec, exec, s[2:3]
	s_branch .LBB705_58
.LBB705_56:
                                        ; implicit-def: $vgpr13
                                        ; implicit-def: $vgpr17
                                        ; implicit-def: $vgpr21
                                        ; implicit-def: $vgpr25
	s_cbranch_execz .LBB705_58
; %bb.57:
	s_waitcnt vmcnt(0)
	v_lshlrev_b32_e32 v10, 1, v26
	v_lshl_or_b32 v26, v44, 9, v10
	s_and_b32 s5, s5, 0xffff
	s_mov_b32 s7, 0x20000
	s_movk_i32 s6, 0x4000
	s_movk_i32 s0, 0x80
	buffer_load_dwordx4 v[10:13], v26, s[4:7], 0 offen
	buffer_load_dwordx4 v[14:17], v26, s[4:7], 0 offen offset:256
	buffer_load_dwordx4 v[18:21], v26, s[4:7], s0 offen
	buffer_load_dwordx4 v[22:25], v26, s[4:7], s0 offen offset:256
.LBB705_58:
	v_and_b32_e32 v47, 12, v27
	ds_read2st64_b64 v[30:33], v45 offset0:76 offset1:77
	ds_read2st64_b64 v[26:29], v45 offset0:78 offset1:79
	ds_read_b64 v[40:41], v34 offset:24576
	ds_read_b64 v[38:39], v35 offset:24576
	;; [unrolled: 1-line block ×4, first 2 shown]
	v_and_b32_e32 v46, 6, v0
	v_xor_b32_e32 v44, v44, v46
	v_lshlrev_b32_e32 v44, 2, v44
	v_and_b32_e32 v48, 1, v0
	v_xor_b32_e32 v49, 0x440, v44
	v_cmp_eq_u32_e32 vcc, 0, v48
	s_mov_b32 s0, 0x1000504
	s_waitcnt vmcnt(0)
	v_perm_b32 v48, v18, v22, s0
	v_cndmask_b32_e32 v44, v49, v44, vcc
	v_lshl_or_b32 v44, v46, 10, v44
	v_perm_b32 v46, v10, v14, s0
	ds_write2st64_b32 v44, v46, v48 offset1:32
	v_xor_b32_e32 v46, 8, v44
	s_mov_b32 s1, 0x3020706
	v_perm_b32 v10, v10, v14, s1
	v_perm_b32 v14, v18, v22, s1
	v_add_u32_e32 v18, 0x80, v46
	ds_write2st64_b32 v18, v10, v14 offset1:32
	v_xor_b32_e32 v10, 16, v44
	v_perm_b32 v14, v11, v15, s0
	v_perm_b32 v18, v19, v23, s0
	ds_write2st64_b32 v10, v14, v18 offset0:1 offset1:33
	v_xor_b32_e32 v10, 24, v44
	v_perm_b32 v11, v11, v15, s1
	v_perm_b32 v14, v19, v23, s1
	v_add_u32_e32 v10, 0x80, v10
	ds_write2st64_b32 v10, v11, v14 offset0:1 offset1:33
	v_xor_b32_e32 v10, 32, v44
	v_perm_b32 v11, v12, v16, s0
	v_perm_b32 v14, v20, v24, s0
	ds_write2st64_b32 v10, v11, v14 offset0:2 offset1:34
	v_xor_b32_e32 v10, 40, v44
	v_perm_b32 v11, v12, v16, s1
	v_perm_b32 v12, v20, v24, s1
	v_add_u32_e32 v10, 0x80, v10
	ds_write2st64_b32 v10, v11, v12 offset0:2 offset1:34
	v_xor_b32_e32 v10, 48, v44
	v_perm_b32 v11, v13, v17, s0
	v_perm_b32 v12, v21, v25, s0
	ds_write2st64_b32 v10, v11, v12 offset0:3 offset1:35
	v_xor_b32_e32 v10, 56, v44
	v_or_b32_e32 v18, v47, v53
	v_perm_b32 v11, v13, v17, s1
	v_perm_b32 v12, v21, v25, s1
	v_add_u32_e32 v10, 0x80, v10
	v_cmp_gt_i32_e32 vcc, s46, v18
	v_mov_b32_e32 v20, 0
	v_mov_b32_e32 v24, 0
	ds_write2st64_b32 v10, v11, v12 offset0:3 offset1:35
	s_and_saveexec_b64 s[0:1], vcc
	s_cbranch_execz .LBB705_60
; %bb.59:
	v_add_u32_e32 v10, s34, v18
	v_ashrrev_i32_e32 v11, 31, v10
	v_mul_lo_u32 v12, v11, s10
	v_mul_lo_u32 v13, v10, s11
	v_mad_u64_u32 v[10:11], s[2:3], v10, s10, 0
	v_add3_u32 v11, v11, v13, v12
	v_lshl_add_u64 v[10:11], v[10:11], 2, s[12:13]
	global_load_dword v10, v[10:11], off
	s_waitcnt vmcnt(0)
	v_sub_f32_e32 v10, s16, v10
	v_mul_f32_e32 v10, 0x3fb8aa3b, v10
	v_exp_f32_e32 v24, v10
.LBB705_60:
	s_or_b64 exec, exec, s[0:1]
	v_or_b32_e32 v23, 1, v18
	v_cmp_gt_i32_e64 s[4:5], s46, v23
	s_and_saveexec_b64 s[0:1], s[4:5]
	s_cbranch_execz .LBB705_62
; %bb.61:
	v_add_u32_e32 v10, s34, v23
	v_ashrrev_i32_e32 v11, 31, v10
	v_mul_lo_u32 v12, v11, s10
	v_mul_lo_u32 v13, v10, s11
	v_mad_u64_u32 v[10:11], s[2:3], v10, s10, 0
	v_add3_u32 v11, v11, v13, v12
	v_lshl_add_u64 v[10:11], v[10:11], 2, s[12:13]
	global_load_dword v10, v[10:11], off
	s_waitcnt vmcnt(0)
	v_sub_f32_e32 v10, s16, v10
	v_mul_f32_e32 v10, 0x3fb8aa3b, v10
	v_exp_f32_e32 v20, v10
.LBB705_62:
	s_or_b64 exec, exec, s[0:1]
	v_or_b32_e32 v21, 2, v18
	v_cmp_gt_i32_e64 s[0:1], s46, v21
	v_mov_b32_e32 v19, 0
	v_mov_b32_e32 v25, 0
	s_and_saveexec_b64 s[2:3], s[0:1]
	s_cbranch_execz .LBB705_64
; %bb.63:
	v_add_u32_e32 v10, s34, v21
	v_ashrrev_i32_e32 v11, 31, v10
	v_mul_lo_u32 v12, v11, s10
	v_mul_lo_u32 v13, v10, s11
	v_mad_u64_u32 v[10:11], s[6:7], v10, s10, 0
	v_add3_u32 v11, v11, v13, v12
	v_lshl_add_u64 v[10:11], v[10:11], 2, s[12:13]
	global_load_dword v10, v[10:11], off
	s_waitcnt vmcnt(0)
	v_sub_f32_e32 v10, s16, v10
	v_mul_f32_e32 v10, 0x3fb8aa3b, v10
	v_exp_f32_e32 v25, v10
.LBB705_64:
	s_or_b64 exec, exec, s[2:3]
	v_or_b32_e32 v22, 3, v18
	v_cmp_gt_i32_e64 s[2:3], s46, v22
	s_and_saveexec_b64 s[6:7], s[2:3]
	s_cbranch_execz .LBB705_66
; %bb.65:
	v_add_u32_e32 v10, s34, v22
	v_ashrrev_i32_e32 v11, 31, v10
	v_mul_lo_u32 v12, v11, s10
	v_mul_lo_u32 v13, v10, s11
	v_mad_u64_u32 v[10:11], s[10:11], v10, s10, 0
	v_add3_u32 v11, v11, v13, v12
	v_lshl_add_u64 v[10:11], v[10:11], 2, s[12:13]
	global_load_dword v10, v[10:11], off
	s_waitcnt vmcnt(0)
	v_sub_f32_e32 v10, s16, v10
	v_mul_f32_e32 v10, 0x3fb8aa3b, v10
	v_exp_f32_e32 v19, v10
.LBB705_66:
	s_or_b64 exec, exec, s[6:7]
	s_waitcnt lgkmcnt(11)
	v_mfma_f32_16x16x16_bf16 a[0:3], v[40:41], v[30:31], a[0:3]
	s_add_u32 s6, s20, s36
	v_ashrrev_i32_e32 v59, 31, v58
	s_addc_u32 s7, s21, s37
	s_waitcnt lgkmcnt(10)
	v_mfma_f32_16x16x16_bf16 a[0:3], v[38:39], v[32:33], a[0:3]
	v_lshlrev_b64 v[10:11], 1, v[58:59]
	v_lshl_add_u64 v[14:15], s[6:7], 0, v[10:11]
	s_add_u32 s6, s14, s36
	s_waitcnt lgkmcnt(9)
	v_mfma_f32_16x16x16_bf16 a[0:3], v[36:37], v[26:27], a[0:3]
	s_addc_u32 s7, s15, s37
	v_lshl_add_u64 v[16:17], s[6:7], 0, v[10:11]
	v_mov_b32_e32 v26, 0
	s_waitcnt lgkmcnt(8)
	v_mfma_f32_16x16x16_bf16 a[0:3], v[34:35], v[28:29], a[0:3]
	v_mov_b32_e32 v27, 0
	s_nop 5
	v_accvgpr_read_b32 v13, a3
	v_accvgpr_read_b32 v12, a2
	;; [unrolled: 1-line block ×4, first 2 shown]
	s_and_saveexec_b64 s[6:7], vcc
	s_cbranch_execz .LBB705_68
; %bb.67:
	v_lshlrev_b32_e32 v28, 8, v18
	v_mov_b32_e32 v29, 0
	v_lshl_add_u64 v[30:31], v[14:15], 0, v[28:29]
	global_load_ushort v27, v[30:31], off
	v_lshl_add_u64 v[28:29], v[16:17], 0, v[28:29]
	s_waitcnt vmcnt(0)
	v_lshlrev_b32_e32 v27, 16, v27
	v_sub_f32_e32 v10, v27, v10
	global_store_short_d16_hi v[28:29], v10, off
	v_mul_f32_e32 v10, v24, v10
	v_lshrrev_b32_e32 v27, 16, v10
.LBB705_68:
	s_or_b64 exec, exec, s[6:7]
	s_and_saveexec_b64 s[6:7], s[4:5]
	s_cbranch_execz .LBB705_70
; %bb.69:
	v_lshlrev_b32_e32 v28, 8, v23
	v_mov_b32_e32 v29, 0
	v_lshl_add_u64 v[30:31], v[14:15], 0, v[28:29]
	global_load_ushort v10, v[30:31], off
	v_lshl_add_u64 v[28:29], v[16:17], 0, v[28:29]
	s_waitcnt vmcnt(0)
	v_lshlrev_b32_e32 v10, 16, v10
	v_sub_f32_e32 v10, v10, v11
	global_store_short_d16_hi v[28:29], v10, off
	v_mul_f32_e32 v10, v20, v10
	v_lshrrev_b32_e32 v26, 16, v10
.LBB705_70:
	s_or_b64 exec, exec, s[6:7]
	v_mov_b32_e32 v11, 0
	v_mov_b32_e32 v20, 0
	s_and_saveexec_b64 s[4:5], s[0:1]
	s_cbranch_execz .LBB705_72
; %bb.71:
	v_lshlrev_b32_e32 v20, 8, v21
	v_mov_b32_e32 v21, 0
	v_lshl_add_u64 v[28:29], v[14:15], 0, v[20:21]
	global_load_ushort v10, v[28:29], off
	v_lshl_add_u64 v[20:21], v[16:17], 0, v[20:21]
	s_waitcnt vmcnt(0)
	v_lshlrev_b32_e32 v10, 16, v10
	v_sub_f32_e32 v10, v10, v12
	global_store_short_d16_hi v[20:21], v10, off
	v_mul_f32_e32 v10, v25, v10
	v_lshrrev_b32_e32 v20, 16, v10
.LBB705_72:
	s_or_b64 exec, exec, s[4:5]
	v_or_b32_e32 v10, 0x9800, v45
	s_and_saveexec_b64 s[0:1], s[2:3]
	s_cbranch_execz .LBB705_74
; %bb.73:
	v_lshlrev_b32_e32 v22, 8, v22
	v_mov_b32_e32 v23, 0
	v_lshl_add_u64 v[14:15], v[14:15], 0, v[22:23]
	global_load_ushort v11, v[14:15], off
	v_lshl_add_u64 v[14:15], v[16:17], 0, v[22:23]
	s_waitcnt vmcnt(0)
	v_lshlrev_b32_e32 v11, 16, v11
	v_sub_f32_e32 v11, v11, v13
	global_store_short_d16_hi v[14:15], v11, off
	v_mul_f32_e32 v11, v19, v11
	v_lshrrev_b32_e32 v11, 16, v11
.LBB705_74:
	s_or_b64 exec, exec, s[0:1]
	s_mov_b32 s0, 0x5040100
	v_perm_b32 v13, v11, v20, s0
	v_lshlrev_b32_e32 v11, 1, v42
	v_perm_b32 v12, v26, v27, s0
	v_lshl_or_b32 v11, v18, 5, v11
	s_movk_i32 s2, 0xff
	ds_write_b64 v11, v[12:13] offset:38912
	v_and_b32_e32 v11, 7, v0
	v_cmp_lt_u32_e32 vcc, s2, v0
	v_and_b32_e32 v12, 8, v0
	v_lshlrev_b32_e32 v20, 3, v11
	v_lshlrev_b32_e32 v32, 7, v11
	v_cndmask_b32_e64 v11, 0, 1, vcc
	v_lshrrev_b32_e32 v0, 1, v0
	v_lshlrev_b32_e32 v22, 13, v11
	v_lshlrev_b32_e32 v11, 3, v1
	v_and_b32_e32 v0, 24, v0
	v_xor_b32_e32 v13, v11, v0
	v_or_b32_e32 v14, 0x440, v13
	v_cmp_eq_u32_e32 vcc, 0, v12
	s_mul_i32 s0, s17, s29
	s_mul_hi_i32 s1, s17, s29
	v_cndmask_b32_e32 v12, v14, v13, vcc
	v_or_b32_e32 v12, v12, v43
	v_xor_b32_e32 v33, v12, v20
	v_or_b32_e32 v12, 32, v0
	v_xor_b32_e32 v12, v11, v12
	v_or_b32_e32 v13, 0x440, v12
	v_cndmask_b32_e32 v12, v13, v12, vcc
	v_or_b32_e32 v12, v12, v43
	v_xor_b32_e32 v34, v12, v20
	v_or_b32_e32 v12, 64, v0
	v_xor_b32_e32 v12, v11, v12
	v_xor_b32_e32 v13, 0x440, v12
	v_cndmask_b32_e32 v12, v13, v12, vcc
	v_or_b32_e32 v0, 0x60, v0
	s_add_u32 s0, s0, s33
	v_add3_u32 v23, v22, v33, v32
	v_or_b32_e32 v12, v12, v43
	v_xor_b32_e32 v0, v11, v0
	s_waitcnt lgkmcnt(0)
	s_barrier
	s_addc_u32 s1, s1, s48
	v_lshlrev_b32_e32 v21, 2, v18
	v_xor_b32_e32 v35, v12, v20
	ds_read2st64_b64 v[12:15], v10 offset1:1
	ds_read2st64_b64 v[16:19], v10 offset0:2 offset1:3
	ds_read_b64 v[10:11], v23
	v_xor_b32_e32 v23, 0x440, v0
	s_lshl_b64 s[0:1], s[0:1], 9
	v_cndmask_b32_e32 v0, v23, v0, vcc
	s_add_u32 s0, s8, s0
	v_or_b32_e32 v0, v0, v43
	s_addc_u32 s1, s9, s1
	v_add3_u32 v24, v22, v34, v32
	v_xor_b32_e32 v36, v0, v20
	v_add3_u32 v26, v22, v35, v32
	v_add3_u32 v0, v22, v36, v32
	ds_read_b64 v[24:25], v24
	ds_read_b64 v[28:29], v26
	;; [unrolled: 1-line block ×3, first 2 shown]
	global_load_dwordx4 v[20:23], v21, s[0:1]
	s_waitcnt lgkmcnt(3)
	v_mfma_f32_16x16x16_bf16 a[0:3], v[10:11], v[12:13], 0
	v_lshlrev_b32_e32 v0, 6, v1
	v_lshlrev_b32_e32 v1, 2, v47
	s_movk_i32 s2, 0x100
	v_or3_b32 v0, v0, v1, s2
	s_waitcnt lgkmcnt(2)
	v_mfma_f32_16x16x16_bf16 a[0:3], v[24:25], v[14:15], a[0:3]
	global_load_dwordx4 v[24:27], v0, s[0:1]
	v_mov_b32_e32 v0, 0x3fb8aa3b
	v_mul_f32_e32 v0, s16, v0
	s_waitcnt lgkmcnt(1)
	v_mfma_f32_16x16x16_bf16 a[0:3], v[28:29], v[16:17], a[0:3]
	v_exp_f32_e32 v0, v0
	v_add_u32_e32 v1, v33, v32
	v_add_u32_e32 v33, v34, v32
	s_waitcnt lgkmcnt(0)
	v_mfma_f32_16x16x16_bf16 a[0:3], v[30:31], v[18:19], a[0:3]
	ds_read_b64 v[30:31], v1 offset:8192
	s_waitcnt vmcnt(1)
	v_mul_f32_e32 v20, 0x3fb8aa3b, v20
	v_mul_f32_e32 v21, 0x3fb8aa3b, v21
	v_exp_f32_e32 v20, v20
	v_exp_f32_e32 v21, v21
	s_nop 0
	v_accvgpr_read_b32 v29, a1
	v_accvgpr_read_b32 v28, a0
	v_mul_f32_e32 v22, 0x3fb8aa3b, v22
	v_pk_mul_f32 v[20:21], v[0:1], v[20:21] op_sel_hi:[0,1]
	v_pk_fma_f32 v[6:7], v[6:7], v[20:21], v[28:29]
	ds_read_b64 v[20:21], v33 offset:8192
	v_mul_f32_e32 v23, 0x3fb8aa3b, v23
	v_exp_f32_e32 v22, v22
	v_exp_f32_e32 v23, v23
	v_accvgpr_read_b32 v11, a3
	v_accvgpr_read_b32 v10, a2
	s_waitcnt lgkmcnt(1)
	v_mfma_f32_16x16x16_bf16 a[0:3], v[30:31], v[12:13], 0
	v_pk_mul_f32 v[22:23], v[0:1], v[22:23] op_sel_hi:[0,1]
	v_add_u32_e32 v1, v35, v32
	v_pk_fma_f32 v[8:9], v[8:9], v[22:23], v[10:11]
	v_add_u32_e32 v10, v36, v32
	ds_read_b64 v[22:23], v1 offset:8192
	ds_read_b64 v[28:29], v10 offset:8192
	s_waitcnt lgkmcnt(2)
	v_mfma_f32_16x16x16_bf16 a[0:3], v[20:21], v[14:15], a[0:3]
	s_waitcnt vmcnt(0)
	v_mov_b32_e32 v10, v25
	v_mul_f32_e32 v1, 0x3fb8aa3b, v24
	v_mov_b32_e32 v11, v26
	s_waitcnt lgkmcnt(1)
	v_mfma_f32_16x16x16_bf16 a[0:3], v[22:23], v[16:17], a[0:3]
	v_exp_f32_e32 v24, v1
	v_mul_f32_e32 v1, 0x3fb8aa3b, v10
	v_mov_b32_e32 v12, v27
	v_exp_f32_e32 v25, v1
	v_mul_f32_e32 v1, 0x3fb8aa3b, v11
	v_exp_f32_e32 v10, v1
	v_mul_f32_e32 v1, 0x3fb8aa3b, v12
	s_waitcnt lgkmcnt(0)
	v_mfma_f32_16x16x16_bf16 a[0:3], v[28:29], v[18:19], a[0:3]
	v_exp_f32_e32 v11, v1
	v_pk_mul_f32 v[14:15], v[0:1], v[24:25] op_sel_hi:[0,1]
	v_pk_mul_f32 v[0:1], v[0:1], v[10:11] op_sel_hi:[0,1]
	s_nop 3
	v_accvgpr_read_b32 v17, a1
	v_accvgpr_read_b32 v13, a3
	;; [unrolled: 1-line block ×4, first 2 shown]
	v_pk_fma_f32 v[2:3], v[2:3], v[14:15], v[16:17]
	v_pk_fma_f32 v[4:5], v[4:5], v[0:1], v[12:13]
.LBB705_75:
	s_add_u32 s0, s24, s26
	s_addc_u32 s1, s25, s27
	v_lshl_add_u64 v[0:1], v[54:55], 2, s[0:1]
	v_mov_b32_e32 v57, 0
	v_lshl_add_u64 v[0:1], v[0:1], 0, v[56:57]
	s_waitcnt vmcnt(1)
	global_store_dwordx4 v[0:1], v[6:9], off
	s_waitcnt vmcnt(1)
	global_store_dwordx4 v[0:1], v[2:5], off offset:256
	s_endpgm
	.section	.rodata,"a",@progbits
	.p2align	6, 0x0
	.amdhsa_kernel _ZN12_GLOBAL__N_139chunk_gated_delta_rule_fwd_h_hip_kernelILi16ELb1ELb1ELb1ELb1ELb0ELb1ELb1ELb0EEEvPK12hip_bfloat16S3_S3_PKfS5_PKvPS1_S8_PvPKiSB_iiiiilll
		.amdhsa_group_segment_fixed_size 40960
		.amdhsa_private_segment_fixed_size 0
		.amdhsa_kernarg_size 136
		.amdhsa_user_sgpr_count 2
		.amdhsa_user_sgpr_dispatch_ptr 0
		.amdhsa_user_sgpr_queue_ptr 0
		.amdhsa_user_sgpr_kernarg_segment_ptr 1
		.amdhsa_user_sgpr_dispatch_id 0
		.amdhsa_user_sgpr_kernarg_preload_length 0
		.amdhsa_user_sgpr_kernarg_preload_offset 0
		.amdhsa_user_sgpr_private_segment_size 0
		.amdhsa_uses_dynamic_stack 0
		.amdhsa_enable_private_segment 0
		.amdhsa_system_sgpr_workgroup_id_x 1
		.amdhsa_system_sgpr_workgroup_id_y 1
		.amdhsa_system_sgpr_workgroup_id_z 0
		.amdhsa_system_sgpr_workgroup_info 0
		.amdhsa_system_vgpr_workitem_id 0
		.amdhsa_next_free_vgpr 132
		.amdhsa_next_free_sgpr 70
		.amdhsa_accum_offset 120
		.amdhsa_reserve_vcc 1
		.amdhsa_float_round_mode_32 0
		.amdhsa_float_round_mode_16_64 0
		.amdhsa_float_denorm_mode_32 3
		.amdhsa_float_denorm_mode_16_64 3
		.amdhsa_dx10_clamp 1
		.amdhsa_ieee_mode 1
		.amdhsa_fp16_overflow 0
		.amdhsa_tg_split 0
		.amdhsa_exception_fp_ieee_invalid_op 0
		.amdhsa_exception_fp_denorm_src 0
		.amdhsa_exception_fp_ieee_div_zero 0
		.amdhsa_exception_fp_ieee_overflow 0
		.amdhsa_exception_fp_ieee_underflow 0
		.amdhsa_exception_fp_ieee_inexact 0
		.amdhsa_exception_int_div_zero 0
	.end_amdhsa_kernel
	.section	.text._ZN12_GLOBAL__N_139chunk_gated_delta_rule_fwd_h_hip_kernelILi16ELb1ELb1ELb1ELb1ELb0ELb1ELb1ELb0EEEvPK12hip_bfloat16S3_S3_PKfS5_PKvPS1_S8_PvPKiSB_iiiiilll,"axG",@progbits,_ZN12_GLOBAL__N_139chunk_gated_delta_rule_fwd_h_hip_kernelILi16ELb1ELb1ELb1ELb1ELb0ELb1ELb1ELb0EEEvPK12hip_bfloat16S3_S3_PKfS5_PKvPS1_S8_PvPKiSB_iiiiilll,comdat
.Lfunc_end705:
	.size	_ZN12_GLOBAL__N_139chunk_gated_delta_rule_fwd_h_hip_kernelILi16ELb1ELb1ELb1ELb1ELb0ELb1ELb1ELb0EEEvPK12hip_bfloat16S3_S3_PKfS5_PKvPS1_S8_PvPKiSB_iiiiilll, .Lfunc_end705-_ZN12_GLOBAL__N_139chunk_gated_delta_rule_fwd_h_hip_kernelILi16ELb1ELb1ELb1ELb1ELb0ELb1ELb1ELb0EEEvPK12hip_bfloat16S3_S3_PKfS5_PKvPS1_S8_PvPKiSB_iiiiilll
                                        ; -- End function
	.section	.AMDGPU.csdata,"",@progbits
; Kernel info:
; codeLenInByte = 8244
; NumSgprs: 76
; NumVgprs: 118
; NumAgprs: 12
; TotalNumVgprs: 132
; ScratchSize: 0
; MemoryBound: 0
; FloatMode: 240
; IeeeMode: 1
; LDSByteSize: 40960 bytes/workgroup (compile time only)
; SGPRBlocks: 9
; VGPRBlocks: 16
; NumSGPRsForWavesPerEU: 76
; NumVGPRsForWavesPerEU: 132
; AccumOffset: 120
; Occupancy: 1
; WaveLimiterHint : 1
; COMPUTE_PGM_RSRC2:SCRATCH_EN: 0
; COMPUTE_PGM_RSRC2:USER_SGPR: 2
; COMPUTE_PGM_RSRC2:TRAP_HANDLER: 0
; COMPUTE_PGM_RSRC2:TGID_X_EN: 1
; COMPUTE_PGM_RSRC2:TGID_Y_EN: 1
; COMPUTE_PGM_RSRC2:TGID_Z_EN: 0
; COMPUTE_PGM_RSRC2:TIDIG_COMP_CNT: 0
; COMPUTE_PGM_RSRC3_GFX90A:ACCUM_OFFSET: 29
; COMPUTE_PGM_RSRC3_GFX90A:TG_SPLIT: 0
	.section	.text._ZN12_GLOBAL__N_139chunk_gated_delta_rule_fwd_h_hip_kernelILi16ELb1ELb1ELb0ELb1ELb0ELb1ELb1ELb0EEEvPK12hip_bfloat16S3_S3_PKfS5_PKvPS1_S8_PvPKiSB_iiiiilll,"axG",@progbits,_ZN12_GLOBAL__N_139chunk_gated_delta_rule_fwd_h_hip_kernelILi16ELb1ELb1ELb0ELb1ELb0ELb1ELb1ELb0EEEvPK12hip_bfloat16S3_S3_PKfS5_PKvPS1_S8_PvPKiSB_iiiiilll,comdat
	.globl	_ZN12_GLOBAL__N_139chunk_gated_delta_rule_fwd_h_hip_kernelILi16ELb1ELb1ELb0ELb1ELb0ELb1ELb1ELb0EEEvPK12hip_bfloat16S3_S3_PKfS5_PKvPS1_S8_PvPKiSB_iiiiilll ; -- Begin function _ZN12_GLOBAL__N_139chunk_gated_delta_rule_fwd_h_hip_kernelILi16ELb1ELb1ELb0ELb1ELb0ELb1ELb1ELb0EEEvPK12hip_bfloat16S3_S3_PKfS5_PKvPS1_S8_PvPKiSB_iiiiilll
	.p2align	8
	.type	_ZN12_GLOBAL__N_139chunk_gated_delta_rule_fwd_h_hip_kernelILi16ELb1ELb1ELb0ELb1ELb0ELb1ELb1ELb0EEEvPK12hip_bfloat16S3_S3_PKfS5_PKvPS1_S8_PvPKiSB_iiiiilll,@function
_ZN12_GLOBAL__N_139chunk_gated_delta_rule_fwd_h_hip_kernelILi16ELb1ELb1ELb0ELb1ELb0ELb1ELb1ELb0EEEvPK12hip_bfloat16S3_S3_PKfS5_PKvPS1_S8_PvPKiSB_iiiiilll: ; @_ZN12_GLOBAL__N_139chunk_gated_delta_rule_fwd_h_hip_kernelILi16ELb1ELb1ELb0ELb1ELb0ELb1ELb1ELb0EEEvPK12hip_bfloat16S3_S3_PKfS5_PKvPS1_S8_PvPKiSB_iiiiilll
; %bb.0:
	s_load_dwordx4 s[16:19], s[0:1], 0x5c
	s_load_dwordx4 s[24:27], s[0:1], 0x70
	s_abs_i32 s7, s3
	s_ashr_i32 s6, s3, 31
	s_load_dwordx4 s[12:15], s[0:1], 0x40
	s_load_dwordx2 s[4:5], s[0:1], 0x50
	s_waitcnt lgkmcnt(0)
	s_abs_i32 s10, s17
	v_cvt_f32_u32_e32 v1, s10
	s_sub_i32 s8, 0, s10
	s_ashr_i32 s11, s17, 31
	s_xor_b32 s6, s6, s11
	v_rcp_iflag_f32_e32 v1, v1
	v_and_b32_e32 v65, 15, v0
	v_bfe_u32 v64, v0, 4, 2
	v_mov_b32_e32 v57, 0
	v_mul_f32_e32 v1, 0x4f7ffffe, v1
	v_cvt_u32_f32_e32 v1, v1
	v_lshlrev_b32_e32 v66, 3, v0
	v_readfirstlane_b32 s9, v1
	s_mul_i32 s8, s8, s9
	s_mul_hi_u32 s8, s9, s8
	s_add_i32 s9, s9, s8
	s_mul_hi_u32 s8, s7, s9
	s_mul_i32 s9, s8, s10
	s_sub_i32 s7, s7, s9
	s_add_i32 s20, s8, 1
	s_sub_i32 s9, s7, s10
	s_cmp_ge_u32 s7, s10
	s_cselect_b32 s8, s20, s8
	s_cselect_b32 s7, s9, s7
	s_add_i32 s9, s8, 1
	s_cmp_ge_u32 s7, s10
	s_cselect_b32 s7, s9, s8
	s_xor_b32 s7, s7, s6
	s_sub_i32 s28, s7, s6
	s_mul_i32 s36, s28, s17
	s_ashr_i32 s29, s28, 31
	s_sub_i32 s33, s3, s36
	s_lshl_b64 s[6:7], s[28:29], 2
	s_add_u32 s8, s14, s6
	s_addc_u32 s9, s15, s7
	s_add_u32 s30, s4, s6
	s_addc_u32 s31, s5, s7
	s_abs_i32 s3, s18
	v_cvt_f32_u32_e32 v1, s3
	s_load_dwordx2 s[34:35], s[8:9], 0x0
	s_sub_i32 s5, 0, s3
	s_lshl_b32 s2, s2, 4
	v_rcp_iflag_f32_e32 v1, v1
	s_load_dwordx4 s[20:23], s[0:1], 0x20
	s_load_dwordx2 s[40:41], s[0:1], 0x30
	s_waitcnt lgkmcnt(0)
	s_sub_i32 s54, s35, s34
	s_ashr_i32 s4, s54, 31
	v_mul_f32_e32 v1, 0x4f7ffffe, v1
	v_cvt_u32_f32_e32 v1, v1
	s_lshr_b32 s4, s4, 26
	s_add_i32 s4, s54, s4
	s_ashr_i32 s53, s4, 6
	v_readfirstlane_b32 s6, v1
	s_mul_i32 s5, s5, s6
	s_mul_hi_u32 s5, s6, s5
	s_add_i32 s6, s6, s5
	s_mul_hi_u32 s5, s10, s6
	s_mul_i32 s6, s5, s3
	s_ashr_i32 s4, s18, 31
	s_sub_i32 s6, s10, s6
	s_xor_b32 s4, s11, s4
	s_add_i32 s7, s5, 1
	s_sub_i32 s8, s6, s3
	s_cmp_ge_u32 s6, s3
	s_cselect_b32 s5, s7, s5
	s_cselect_b32 s6, s8, s6
	s_add_i32 s7, s5, 1
	s_cmp_ge_u32 s6, s3
	s_cselect_b32 s3, s7, s5
	s_xor_b32 s3, s3, s4
	s_sub_i32 s3, s3, s4
	s_abs_i32 s4, s3
	v_cvt_f32_u32_e32 v1, s4
	s_sub_i32 s6, 0, s4
	s_abs_i32 s5, s33
	s_xor_b32 s3, s33, s3
	v_rcp_iflag_f32_e32 v2, v1
	s_ashr_i32 s3, s3, 31
	v_lshrrev_b32_e32 v1, 6, v0
	v_or_b32_e32 v58, s2, v65
	v_mul_f32_e32 v2, 0x4f7ffffe, v2
	v_cvt_u32_f32_e32 v2, v2
	v_lshlrev_b32_e32 v53, 4, v1
	v_lshlrev_b32_e32 v54, 7, v58
	v_lshl_or_b32 v68, v64, 2, v53
	v_readfirstlane_b32 s7, v2
	s_mul_i32 s6, s6, s7
	s_mul_hi_u32 s6, s7, s6
	s_add_i32 s7, s7, s6
	s_mul_hi_u32 s6, s5, s7
	s_mul_i32 s7, s6, s4
	s_sub_i32 s5, s5, s7
	s_add_i32 s7, s6, 1
	s_sub_i32 s8, s5, s4
	s_cmp_ge_u32 s5, s4
	s_cselect_b32 s6, s7, s6
	s_cselect_b32 s5, s8, s5
	s_add_i32 s7, s6, 1
	s_cmp_ge_u32 s5, s4
	s_cselect_b32 s4, s7, s6
	s_xor_b32 s4, s4, s3
	s_sub_i32 s55, s4, s3
	s_ashr_i32 s46, s33, 31
	s_mul_hi_i32 s3, s28, s17
	s_add_u32 s4, s36, s33
	s_addc_u32 s5, s3, s46
	s_lshl_b64 s[14:15], s[4:5], 16
	s_add_u32 s4, s22, s14
	s_addc_u32 s5, s23, s15
	v_ashrrev_i32_e32 v55, 31, v54
	v_lshl_add_u64 v[2:3], v[54:55], 2, s[4:5]
	v_lshlrev_b32_e32 v56, 2, v68
	v_lshl_add_u64 v[10:11], v[2:3], 0, v[56:57]
	global_load_dwordx4 v[6:9], v[10:11], off
	global_load_dwordx4 v[2:5], v[10:11], off offset:256
	s_load_dwordx8 s[4:11], s[0:1], 0x0
	s_load_dwordx2 s[22:23], s[0:1], 0x80
	s_load_dword s56, s[30:31], 0x0
	v_and_b32_e32 v57, 63, v0
	v_or_b32_e32 v69, 64, v68
	s_cmp_lt_i32 s54, 64
	s_mul_hi_i32 s57, s33, s16
	s_mul_i32 s58, s33, s16
	v_lshrrev_b32_e32 v67, 3, v57
	s_mul_i32 s47, s28, s25
	s_mul_hi_u32 s49, s28, s24
	s_mul_i32 s50, s29, s24
	s_mul_i32 s38, s28, s24
	;; [unrolled: 1-line block ×3, first 2 shown]
	s_mul_hi_u32 s51, s33, s26
	s_mul_i32 s52, s46, s26
	s_mul_i32 s36, s33, s26
	s_cbranch_scc1 .LBB706_18
; %bb.1:
	s_ashr_i32 s1, s34, 31
	s_add_u32 s0, s58, s34
	s_addc_u32 s1, s57, s1
	s_lshl_b64 s[0:1], s[0:1], 8
	v_and_b32_e32 v71, 56, v66
	s_waitcnt lgkmcnt(0)
	s_add_u32 s24, s6, s0
	v_lshl_or_b32 v70, v1, 3, v67
	v_lshlrev_b32_e32 v10, 1, v71
	s_addc_u32 s0, s7, s1
	v_lshl_or_b32 v72, v70, 8, v10
	s_and_b32 s25, s0, 0xffff
	s_mov_b32 s27, 0x20000
	s_movk_i32 s26, 0x4000
	s_movk_i32 s0, 0x80
	v_or_b32_e32 v73, 0x2000, v72
	buffer_load_dwordx4 v[12:15], v72, s[24:27], 0 offen
	buffer_load_dwordx4 v[16:19], v72, s[24:27], s0 offen
	;; [unrolled: 1-line block ×4, first 2 shown]
	v_lshlrev_b32_e32 v11, 3, v70
	v_and_or_b32 v29, v0, 7, v11
	v_and_b32_e32 v11, 0x78, v11
	v_lshlrev_b32_e32 v29, 4, v29
	v_xor_b32_e32 v74, v29, v11
	v_mul_lo_u32 v28, v70, s19
	v_or_b32_e32 v75, 0x1000, v74
	v_xor_b32_e32 v11, 8, v74
	s_cmpk_eq_i32 s19, 0x80
	s_mov_b32 s59, s34
	v_xor_b32_e32 v29, 8, v75
	s_cselect_b64 s[0:1], -1, 0
	s_cmpk_lg_i32 s19, 0x80
	s_waitcnt vmcnt(3)
	ds_write_b64 v74, v[12:13] offset:16384
	ds_write_b64 v11, v[14:15] offset:16384
	s_waitcnt vmcnt(2)
	ds_write_b64 v74, v[16:17] offset:24576
	ds_write_b64 v11, v[18:19] offset:24576
	;; [unrolled: 3-line block ×4, first 2 shown]
	v_lshl_add_u32 v11, v28, 1, v71
	s_cbranch_scc0 .LBB706_3
; %bb.2:
	v_lshlrev_b32_e32 v13, 1, v11
	v_add_lshl_u32 v12, v11, s19, 1
	s_lshl_b32 s26, s19, 7
	v_lshl_or_b32 v10, v70, 9, v10
	s_cbranch_execz .LBB706_4
	s_branch .LBB706_5
.LBB706_3:
                                        ; implicit-def: $vgpr12
                                        ; implicit-def: $vgpr13
                                        ; implicit-def: $sgpr26
	v_lshl_or_b32 v10, v70, 9, v10
.LBB706_4:
	v_or_b32_e32 v12, 0x100, v10
	s_movk_i32 s26, 0x4000
	v_mov_b32_e32 v13, v10
.LBB706_5:
	s_mul_i32 s24, s34, s18
	s_ashr_i32 s60, s55, 31
	s_mul_hi_i32 s3, s34, s18
	s_add_u32 s24, s24, s55
	s_addc_u32 s25, s3, s60
	s_lshl_b64 s[24:25], s[24:25], 8
	s_add_u32 s24, s4, s24
	s_addc_u32 s3, s5, s25
	s_and_b32 s25, s3, 0xffff
	s_movk_i32 s61, 0x80
	buffer_load_dwordx4 v[14:17], v13, s[24:27], 0 offen
	buffer_load_dwordx4 v[18:21], v13, s[24:27], s61 offen
	;; [unrolled: 1-line block ×4, first 2 shown]
	v_and_b32_e32 v12, 6, v0
	v_lshlrev_b32_e32 v30, 2, v65
	v_lshlrev_b32_e32 v31, 3, v65
	v_xor_b32_e32 v35, v70, v12
	v_and_b32_e32 v13, 1, v0
	v_lshl_or_b32 v31, v68, 5, v31
	v_xor_b32_e32 v36, v68, v30
	v_lshlrev_b32_e32 v35, 2, v35
	s_add_i32 s3, s49, s47
	v_or_b32_e32 v76, 0x9000, v31
	v_or_b32_e32 v77, 0x9800, v31
	v_lshlrev_b32_e32 v31, 1, v36
	v_xor_b32_e32 v36, 0x440, v35
	v_cmp_eq_u32_e32 vcc, 0, v13
	s_add_i32 s24, s51, s48
	s_add_i32 s39, s3, s50
	v_cndmask_b32_e32 v13, v36, v35, vcc
	s_add_i32 s37, s24, s52
	s_lshl_b64 s[24:25], s[38:39], 2
	s_mov_b32 s62, 0x1000504
	s_mov_b32 s63, 0x3020706
	v_lshlrev_b32_e32 v32, 8, v65
	s_mov_b32 s26, 0x8000
	v_xor_b32_e32 v30, v69, v30
	v_lshl_or_b32 v12, v12, 10, v13
	s_add_u32 s3, s10, s24
	v_or_b32_e32 v33, v53, v65
	v_lshlrev_b32_e32 v30, 1, v30
	v_or3_b32 v78, v31, v32, s26
	v_xor_b32_e32 v13, 8, v12
	v_xor_b32_e32 v31, 24, v12
	;; [unrolled: 1-line block ×4, first 2 shown]
	s_addc_u32 s28, s11, s25
	s_lshl_b64 s[24:25], s[36:37], 2
	v_or3_b32 v79, v30, v32, s26
	v_xor_b32_e32 v30, 16, v12
	v_xor_b32_e32 v32, 32, v12
	;; [unrolled: 1-line block ×3, first 2 shown]
	v_add_u32_e32 v13, 0x80, v13
	v_add_u32_e32 v31, 0x80, v31
	;; [unrolled: 1-line block ×4, first 2 shown]
	s_add_u32 s42, s3, s24
	s_movk_i32 s3, 0xf8
	s_addc_u32 s43, s28, s25
	v_ashrrev_i32_e32 v59, 31, v58
	s_lshl_b32 s30, s19, 7
	v_lshrrev_b32_e32 v34, 2, v57
	s_mov_b32 s64, 0
	v_mov_b32_e32 v99, 0x3fb8aa3b
	s_waitcnt vmcnt(1)
	v_perm_b32 v38, v14, v22, s62
	s_waitcnt vmcnt(0)
	v_perm_b32 v39, v18, v26, s62
	v_perm_b32 v14, v14, v22, s63
	;; [unrolled: 1-line block ×15, first 2 shown]
	ds_write2st64_b32 v12, v38, v39 offset1:32
	ds_write2st64_b32 v13, v14, v18 offset1:32
	ds_write2st64_b32 v30, v22, v26 offset0:1 offset1:33
	ds_write2st64_b32 v31, v15, v19 offset0:1 offset1:33
	;; [unrolled: 1-line block ×6, first 2 shown]
	v_lshlrev_b32_e32 v12, 3, v33
	v_lshrrev_b32_e32 v14, 5, v57
	v_and_or_b32 v14, v12, s3, v14
	v_lshlrev_b32_e32 v14, 4, v14
	v_lshlrev_b32_e32 v19, 11, v1
	v_and_b32_e32 v12, 0x78, v12
	v_or_b32_e32 v17, 32, v14
	v_and_b32_e32 v13, 0x1000, v19
	v_xor_b32_e32 v15, v14, v12
	v_lshrrev_b32_e32 v16, 1, v57
	v_xor_b32_e32 v17, v17, v12
	v_or_b32_e32 v15, v15, v13
	v_and_b32_e32 v16, 8, v16
	v_or_b32_e32 v17, v17, v13
	v_xor_b32_e32 v80, v15, v16
	v_and_b32_e32 v15, 0x78, v66
	v_xor_b32_e32 v82, v17, v16
	v_or_b32_e32 v17, 64, v14
	v_or_b32_e32 v14, 0x60, v14
	v_lshl_or_b32 v15, v64, 7, v15
	v_xor_b32_e32 v17, v17, v12
	v_xor_b32_e32 v12, v14, v12
	v_or_b32_e32 v81, 0x9000, v15
	v_or_b32_e32 v17, v17, v13
	;; [unrolled: 1-line block ×4, first 2 shown]
	v_lshrrev_b32_e32 v14, 4, v0
	v_lshlrev_b32_e32 v15, 1, v65
	v_xor_b32_e32 v83, v17, v16
	v_xor_b32_e32 v84, v12, v16
	s_ashr_i32 s3, s2, 31
	v_or_b32_e32 v16, 1, v15
	v_xor_b32_e32 v15, v14, v15
	s_lshl_b64 s[24:25], s[2:3], 8
	v_xor_b32_e32 v16, v16, v14
	v_lshlrev_b32_e32 v15, 3, v15
	v_lshlrev_b32_e32 v14, 8, v14
	v_lshl_add_u64 v[12:13], v[58:59], 1, s[8:9]
	s_add_u32 s24, s40, s24
	v_or3_b32 v59, v15, v14, s26
	v_lshlrev_b32_e32 v15, 3, v16
	s_addc_u32 s25, s41, s25
	v_or3_b32 v86, v15, v14, s26
	v_mov_b32_e32 v15, 0
	v_lshrrev_b32_e32 v25, 1, v0
	v_lshl_add_u64 v[16:17], s[24:25], 0, v[14:15]
	v_lshlrev_b32_e32 v14, 4, v65
	s_movk_i32 s3, 0xff
	v_lshlrev_b32_e32 v24, 3, v1
	v_and_b32_e32 v25, 24, v25
	v_lshl_add_u64 v[60:61], v[16:17], 0, v[14:15]
	v_and_b32_e32 v14, 7, v0
	v_and_b32_e32 v17, 8, v0
	v_cmp_lt_u32_e32 vcc, s3, v0
	v_xor_b32_e32 v26, v24, v25
	v_lshlrev_b32_e32 v22, 3, v14
	v_lshlrev_b32_e32 v23, 7, v14
	v_cndmask_b32_e64 v14, 0, 1, vcc
	v_or_b32_e32 v27, 0x440, v26
	v_cmp_eq_u32_e32 vcc, 0, v17
	v_or_b32_e32 v29, 64, v25
	v_xor_b32_e32 v29, v24, v29
	v_cndmask_b32_e32 v17, v27, v26, vcc
	v_or_b32_e32 v27, 32, v25
	v_or_b32_e32 v25, 0x60, v25
	v_xor_b32_e32 v27, v24, v27
	v_xor_b32_e32 v24, v24, v25
	v_or_b32_e32 v28, 0x440, v27
	v_xor_b32_e32 v30, 0x440, v29
	v_xor_b32_e32 v25, 0x440, v24
	v_cndmask_b32_e32 v27, v28, v27, vcc
	v_cndmask_b32_e32 v29, v30, v29, vcc
	;; [unrolled: 1-line block ×3, first 2 shown]
	v_or_b32_e32 v17, v17, v19
	v_or_b32_e32 v27, v27, v19
	;; [unrolled: 1-line block ×4, first 2 shown]
	v_and_b32_e32 v18, 12, v34
	v_lshlrev_b32_e32 v14, 13, v14
	v_xor_b32_e32 v17, v17, v22
	v_xor_b32_e32 v27, v27, v22
	;; [unrolled: 1-line block ×4, first 2 shown]
	v_lshlrev_b32_e32 v20, 1, v11
	v_add_lshl_u32 v11, v11, s19, 1
	v_or_b32_e32 v21, 0x100, v10
	v_or_b32_e32 v16, v18, v53
	v_add_u32_e32 v26, v14, v17
	v_add_u32_e32 v28, v14, v27
	;; [unrolled: 1-line block ×4, first 2 shown]
	v_or3_b32 v18, v53, v18, 64
	v_add_u32_e32 v17, 0x2000, v17
	v_add_u32_e32 v24, 0x2000, v27
	;; [unrolled: 1-line block ×4, first 2 shown]
	v_lshlrev_b32_e32 v14, 8, v68
	v_cndmask_b32_e64 v87, v20, v10, s[0:1]
	v_cndmask_b32_e64 v88, v11, v21, s[0:1]
	v_lshl_add_u64 v[62:63], v[12:13], 0, v[14:15]
	s_mov_b32 s3, 0x7060302
	s_movk_i32 s26, 0x4000
	v_lshlrev_b32_e32 v89, 2, v16
	v_add_u32_e32 v90, v26, v23
	v_add_u32_e32 v91, v28, v23
	;; [unrolled: 1-line block ×4, first 2 shown]
	v_lshlrev_b32_e32 v94, 2, v18
	v_add_u32_e32 v95, v17, v23
	v_add_u32_e32 v96, v24, v23
	;; [unrolled: 1-line block ×4, first 2 shown]
	s_waitcnt lgkmcnt(0)
	s_barrier
.LBB706_6:                              ; =>This Inner Loop Header: Depth=1
	s_add_i32 s37, s64, 1
	s_cmp_lt_i32 s37, s53
	s_mov_b64 s[28:29], 0
	s_cselect_b64 s[44:45], -1, 0
	s_cmp_ge_i32 s37, s53
	s_mov_b64 s[24:25], 0
	s_cbranch_scc1 .LBB706_8
; %bb.7:                                ;   in Loop: Header=BB706_6 Depth=1
	s_add_i32 s0, s59, 64
	s_ashr_i32 s1, s0, 31
	s_add_u32 s0, s58, s0
	s_addc_u32 s1, s57, s1
	s_lshl_b64 s[0:1], s[0:1], 8
	s_add_u32 s24, s6, s0
	s_addc_u32 s25, s7, s1
.LBB706_8:                              ;   in Loop: Header=BB706_6 Depth=1
	v_cndmask_b32_e64 v10, 0, 1, s[44:45]
	v_cmp_ne_u32_e64 s[0:1], 1, v10
	s_andn2_b64 vcc, exec, s[44:45]
	s_cbranch_vccnz .LBB706_10
; %bb.9:                                ;   in Loop: Header=BB706_6 Depth=1
	s_add_i32 s28, s59, 64
	s_mul_hi_i32 s29, s28, s18
	s_mul_i32 s28, s28, s18
	s_add_u32 s28, s28, s55
	s_addc_u32 s29, s29, s60
	s_lshl_b64 s[28:29], s[28:29], 8
	s_add_u32 s28, s4, s28
	s_addc_u32 s29, s5, s29
.LBB706_10:                             ;   in Loop: Header=BB706_6 Depth=1
	v_perm_b32 v11, v9, v8, s3
	v_perm_b32 v10, v7, v6, s3
	;; [unrolled: 1-line block ×4, first 2 shown]
	ds_write_b64 v76, v[10:11]
	ds_write_b64 v77, v[12:13]
	;; [unrolled: 1-line block ×4, first 2 shown]
	s_waitcnt lgkmcnt(0)
	s_barrier
	ds_read_b64 v[18:19], v80 offset:16384
	ds_read_b64 v[20:21], v82 offset:16384
	ds_read2st64_b64 v[10:13], v81 offset1:1
	s_waitcnt lgkmcnt(0)
	v_mfma_f32_16x16x16_bf16 a[0:3], v[18:19], v[10:11], 0
	ds_read2st64_b64 v[14:17], v81 offset0:2 offset1:3
	ds_read_b64 v[22:23], v83 offset:16384
	ds_read_b64 v[10:11], v84 offset:16384
	s_add_i32 s39, s59, 63
	v_mfma_f32_16x16x16_bf16 a[0:3], v[20:21], v[12:13], a[0:3]
	s_ashr_i32 s31, s39, 31
	s_mul_i32 s44, s39, s23
	s_mul_hi_u32 s45, s39, s22
	s_waitcnt lgkmcnt(1)
	v_mfma_f32_16x16x16_bf16 a[0:3], v[22:23], v[14:15], a[0:3]
	s_add_i32 s44, s45, s44
	s_mul_i32 s31, s31, s22
	s_add_i32 s45, s44, s31
	s_mul_i32 s44, s39, s22
	s_waitcnt lgkmcnt(0)
	v_mfma_f32_16x16x16_bf16 a[0:3], v[10:11], v[16:17], a[0:3]
	s_lshl_b64 s[44:45], s[44:45], 2
	s_add_u32 s44, s42, s44
	s_addc_u32 s45, s43, s45
	s_and_b64 vcc, exec, s[0:1]
	v_mov_b32_e32 v102, 0
	v_mov_b32_e32 v101, 0
	;; [unrolled: 1-line block ×19, first 2 shown]
	s_cbranch_vccnz .LBB706_12
; %bb.11:                               ;   in Loop: Header=BB706_6 Depth=1
	s_and_b32 s25, s25, 0xffff
	buffer_load_dwordx4 v[22:25], v72, s[24:27], 0 offen
	buffer_load_dwordx4 v[18:21], v72, s[24:27], s61 offen
	;; [unrolled: 1-line block ×4, first 2 shown]
	v_mov_b32_e32 v101, v74
	v_mov_b32_e32 v100, v75
.LBB706_12:                             ;   in Loop: Header=BB706_6 Depth=1
	v_add_u32_e32 v30, s59, v68
	v_ashrrev_i32_e32 v26, 31, v30
	v_mul_lo_u32 v28, v26, s22
	v_mul_lo_u32 v29, v30, s23
	v_mad_u64_u32 v[26:27], s[24:25], v30, s22, 0
	v_add3_u32 v27, v27, v29, v28
	v_lshl_add_u64 v[26:27], v[26:27], 2, s[42:43]
	global_load_dword v46, v[26:27], off
	v_add_u32_e32 v26, 1, v30
	v_ashrrev_i32_e32 v27, 31, v26
	v_mul_lo_u32 v28, v27, s22
	v_mul_lo_u32 v29, v26, s23
	v_mad_u64_u32 v[26:27], s[24:25], v26, s22, 0
	v_add3_u32 v27, v27, v29, v28
	v_add_u32_e32 v28, 2, v30
	v_ashrrev_i32_e32 v29, 31, v28
	v_mul_lo_u32 v31, v29, s22
	v_mul_lo_u32 v32, v28, s23
	v_mad_u64_u32 v[28:29], s[24:25], v28, s22, 0
	v_add_u32_e32 v30, 3, v30
	v_add3_u32 v29, v29, v32, v31
	v_ashrrev_i32_e32 v31, 31, v30
	v_mul_lo_u32 v34, v31, s22
	v_mul_lo_u32 v35, v30, s23
	v_mad_u64_u32 v[30:31], s[24:25], v30, s22, 0
	s_ashr_i32 s25, s59, 31
	s_add_u32 s24, s58, s59
	s_addc_u32 s25, s57, s25
	s_lshl_b64 s[24:25], s[24:25], 8
	v_lshl_add_u64 v[26:27], v[26:27], 2, s[42:43]
	v_lshl_add_u64 v[32:33], v[62:63], 0, s[24:25]
	v_add3_u32 v31, v31, v35, v34
	v_lshl_add_u64 v[28:29], v[28:29], 2, s[42:43]
	global_load_ushort v47, v[32:33], off
	global_load_ushort v48, v[32:33], off offset:256
	global_load_ushort v49, v[32:33], off offset:512
	;; [unrolled: 1-line block ×3, first 2 shown]
	v_lshl_add_u64 v[30:31], v[30:31], 2, s[42:43]
	global_load_dword v51, v[26:27], off
	global_load_dword v52, v[28:29], off
	;; [unrolled: 1-line block ×3, first 2 shown]
	s_load_dword s24, s[44:45], 0x0
	ds_read_b64 v[34:35], v80 offset:24576
	ds_read2st64_b64 v[30:33], v85 offset1:1
	ds_read2st64_b64 v[36:39], v85 offset0:2 offset1:3
	ds_read_b64 v[40:41], v82 offset:24576
	ds_read_b64 v[42:43], v83 offset:24576
	;; [unrolled: 1-line block ×3, first 2 shown]
	s_waitcnt lgkmcnt(0)
	v_mfma_f32_16x16x16_bf16 a[0:3], v[34:35], v[30:31], a[0:3]
	v_mov_b32_e32 v103, 0
	v_mov_b32_e32 v26, 0
	v_mov_b32_e32 v27, 0
	v_mfma_f32_16x16x16_bf16 a[0:3], v[40:41], v[32:33], a[0:3]
	v_mov_b32_e32 v28, 0
	v_mov_b32_e32 v29, 0
	v_mov_b32_e32 v30, 0
	;; [unrolled: 4-line block ×4, first 2 shown]
	s_and_b64 vcc, exec, s[0:1]
	s_waitcnt vmcnt(7)
	v_sub_f32_e32 v37, s24, v46
	v_mul_f32_e32 v37, 0x3fb8aa3b, v37
	v_exp_f32_e32 v46, v37
	v_accvgpr_read_b32 v41, a1
	v_accvgpr_read_b32 v39, a3
	;; [unrolled: 1-line block ×4, first 2 shown]
	s_waitcnt vmcnt(6)
	v_lshlrev_b32_e32 v42, 16, v47
	s_waitcnt vmcnt(5)
	v_lshlrev_b32_e32 v43, 16, v48
	;; [unrolled: 2-line block ×3, first 2 shown]
	s_waitcnt vmcnt(2)
	v_sub_f32_e32 v47, s24, v51
	s_waitcnt vmcnt(1)
	v_sub_f32_e32 v48, s24, v52
	;; [unrolled: 2-line block ×3, first 2 shown]
	v_mul_f32_e32 v37, 0x3fb8aa3b, v47
	v_mul_f32_e32 v48, 0x3fb8aa3b, v48
	;; [unrolled: 1-line block ×3, first 2 shown]
	v_exp_f32_e32 v47, v37
	v_exp_f32_e32 v48, v48
	;; [unrolled: 1-line block ×3, first 2 shown]
	v_lshlrev_b32_e32 v45, 16, v50
	v_pk_add_f32 v[40:41], v[42:43], v[40:41] neg_lo:[0,1] neg_hi:[0,1]
	v_pk_add_f32 v[38:39], v[44:45], v[38:39] neg_lo:[0,1] neg_hi:[0,1]
	v_pk_mul_f32 v[40:41], v[46:47], v[40:41]
	v_pk_mul_f32 v[38:39], v[48:49], v[38:39]
	v_mov_b32_e32 v37, 0
	v_perm_b32 v39, v39, v38, s3
	v_perm_b32 v38, v41, v40, s3
	ds_write_b64 v77, v[38:39]
	v_mov_b32_e32 v38, 0
	v_mov_b32_e32 v39, 0
	;; [unrolled: 1-line block ×4, first 2 shown]
	s_cbranch_vccnz .LBB706_14
; %bb.13:                               ;   in Loop: Header=BB706_6 Depth=1
	s_and_b32 s29, s29, 0xffff
	s_mov_b32 s31, s27
	buffer_load_dwordx4 v[38:41], v87, s[28:31], 0 offen
	buffer_load_dwordx4 v[30:33], v87, s[28:31], s61 offen
	buffer_load_dwordx4 v[34:37], v88, s[28:31], 0 offen
	buffer_load_dwordx4 v[26:29], v88, s[28:31], s61 offen
	v_mov_b32_e32 v102, v71
	v_mov_b32_e32 v103, v70
.LBB706_14:                             ;   in Loop: Header=BB706_6 Depth=1
	s_waitcnt lgkmcnt(0)
	s_barrier
	ds_read_b64 v[42:43], v90
	ds_read_b64 v[48:49], v91
	ds_read2st64_b64 v[44:47], v85 offset1:1
	ds_read2st64_b64 v[104:107], v85 offset0:2 offset1:3
	ds_read_b64 v[50:51], v92
	ds_read_b64 v[112:113], v93
	s_add_i32 s25, s56, s64
	s_mul_hi_i32 s29, s25, s17
	s_mul_i32 s25, s25, s17
	s_waitcnt lgkmcnt(3)
	v_mfma_f32_16x16x16_bf16 a[0:3], v[42:43], v[44:45], 0
	ds_read_b64 v[42:43], v95
	s_add_u32 s28, s25, s33
	s_addc_u32 s29, s29, s46
	v_mfma_f32_16x16x16_bf16 a[0:3], v[48:49], v[46:47], a[0:3]
	ds_read_b64 v[48:49], v96
	s_lshl_b64 s[28:29], s[28:29], 15
	s_mul_i32 s31, s39, s17
	s_mul_hi_i32 s25, s39, s17
	s_add_u32 s44, s31, s33
	s_addc_u32 s45, s25, s46
	s_lshl_b64 s[44:45], s[44:45], 9
	s_add_u32 s44, s20, s44
	s_waitcnt lgkmcnt(1)
	v_mfma_f32_16x16x16_bf16 a[4:7], v[42:43], v[44:45], 0
	s_addc_u32 s45, s21, s45
	s_and_b64 vcc, exec, s[0:1]
	v_mfma_f32_16x16x16_bf16 a[0:3], v[50:51], v[104:105], a[0:3]
	ds_read_b64 v[50:51], v97
	ds_read_b64 v[114:115], v98
	global_load_dwordx4 v[42:45], v94, s[44:45]
	s_waitcnt lgkmcnt(2)
	v_mfma_f32_16x16x16_bf16 a[4:7], v[48:49], v[46:47], a[4:7]
	global_load_dwordx4 v[46:49], v89, s[44:45]
	ds_read_b64 v[108:109], v59
	ds_read_b64 v[110:111], v86
	s_waitcnt lgkmcnt(3)
	v_mfma_f32_16x16x16_bf16 a[8:11], v[50:51], v[104:105], a[4:7]
	v_lshl_add_u64 v[50:51], v[60:61], 0, s[28:29]
	s_waitcnt lgkmcnt(0)
	global_store_dwordx4 v[50:51], v[108:111], off
	v_mfma_f32_16x16x16_bf16 a[4:7], v[112:113], v[106:107], a[0:3]
	s_waitcnt vmcnt(2)
	v_mov_b32_e32 v52, v45
	v_mfma_f32_16x16x16_bf16 a[0:3], v[114:115], v[106:107], a[8:11]
	v_mov_b32_e32 v51, v44
	v_mov_b32_e32 v50, v43
	s_cbranch_vccnz .LBB706_16
; %bb.15:                               ;   in Loop: Header=BB706_6 Depth=1
	v_lshrrev_b32_e32 v43, 3, v102
	v_and_b32_e32 v43, 6, v43
	v_xor_b32_e32 v44, v43, v103
	v_lshlrev_b32_e32 v44, 2, v44
	v_and_b32_e32 v45, 8, v102
	v_xor_b32_e32 v102, 0x440, v44
	v_cmp_eq_u32_e32 vcc, 0, v45
	v_perm_b32 v45, v30, v26, s62
	s_nop 0
	v_cndmask_b32_e32 v44, v102, v44, vcc
	v_lshl_or_b32 v43, v43, 10, v44
	v_perm_b32 v44, v38, v34, s62
	s_barrier
	ds_write2st64_b32 v43, v44, v45 offset1:32
	v_xor_b32_e32 v44, 8, v43
	v_perm_b32 v34, v38, v34, s63
	v_perm_b32 v26, v30, v26, s63
	v_add_u32_e32 v30, 0x80, v44
	ds_write2st64_b32 v30, v34, v26 offset1:32
	v_xor_b32_e32 v26, 16, v43
	v_perm_b32 v30, v39, v35, s62
	v_perm_b32 v34, v31, v27, s62
	ds_write2st64_b32 v26, v30, v34 offset0:1 offset1:33
	v_xor_b32_e32 v26, 24, v43
	v_perm_b32 v30, v39, v35, s63
	v_perm_b32 v27, v31, v27, s63
	v_add_u32_e32 v26, 0x80, v26
	ds_write2st64_b32 v26, v30, v27 offset0:1 offset1:33
	v_xor_b32_e32 v26, 32, v43
	v_perm_b32 v27, v40, v36, s62
	v_perm_b32 v30, v32, v28, s62
	ds_write2st64_b32 v26, v27, v30 offset0:2 offset1:34
	v_xor_b32_e32 v26, 40, v43
	v_perm_b32 v27, v40, v36, s63
	v_perm_b32 v28, v32, v28, s63
	v_add_u32_e32 v26, 0x80, v26
	ds_write2st64_b32 v26, v27, v28 offset0:2 offset1:34
	v_xor_b32_e32 v26, 48, v43
	v_perm_b32 v27, v41, v37, s62
	v_perm_b32 v28, v33, v29, s62
	ds_write2st64_b32 v26, v27, v28 offset0:3 offset1:35
	v_xor_b32_e32 v26, 56, v43
	v_perm_b32 v27, v41, v37, s63
	v_perm_b32 v28, v33, v29, s63
	v_add_u32_e32 v26, 0x80, v26
	ds_write2st64_b32 v26, v27, v28 offset0:3 offset1:35
	ds_write_b64 v101, v[22:23] offset:16384
	v_xor_b32_e32 v22, 8, v101
	ds_write_b64 v22, v[24:25] offset:16384
	ds_write_b64 v101, v[18:19] offset:24576
	;; [unrolled: 1-line block ×4, first 2 shown]
	v_xor_b32_e32 v14, 8, v100
	ds_write_b64 v14, v[16:17] offset:16384
	ds_write_b64 v100, v[10:11] offset:24576
	;; [unrolled: 1-line block ×3, first 2 shown]
.LBB706_16:                             ;   in Loop: Header=BB706_6 Depth=1
	v_mul_f32_e32 v14, s24, v99
	v_exp_f32_e32 v18, v14
	s_waitcnt vmcnt(1)
	v_mul_f32_e32 v14, 0x3fb8aa3b, v46
	v_exp_f32_e32 v20, v14
	v_mul_f32_e32 v14, 0x3fb8aa3b, v47
	v_exp_f32_e32 v21, v14
	;; [unrolled: 2-line block ×4, first 2 shown]
	v_accvgpr_read_b32 v13, a7
	v_accvgpr_read_b32 v11, a5
	;; [unrolled: 1-line block ×3, first 2 shown]
	v_pk_mul_f32 v[20:21], v[18:19], v[20:21] op_sel_hi:[0,1]
	v_pk_fma_f32 v[6:7], v[6:7], v[20:21], v[10:11]
	v_pk_mul_f32 v[10:11], v[18:19], v[22:23] op_sel_hi:[0,1]
	v_mul_f32_e32 v19, 0x3fb8aa3b, v42
	v_exp_f32_e32 v20, v19
	v_mul_f32_e32 v19, 0x3fb8aa3b, v50
	v_exp_f32_e32 v21, v19
	v_mul_f32_e32 v19, 0x3fb8aa3b, v51
	v_exp_f32_e32 v22, v19
	v_mul_f32_e32 v19, 0x3fb8aa3b, v52
	v_exp_f32_e32 v23, v19
	v_accvgpr_read_b32 v12, a6
	v_accvgpr_read_b32 v17, a3
	;; [unrolled: 1-line block ×4, first 2 shown]
	v_pk_fma_f32 v[8:9], v[8:9], v[10:11], v[12:13]
	v_pk_mul_f32 v[10:11], v[18:19], v[20:21] op_sel_hi:[0,1]
	v_accvgpr_read_b32 v16, a2
	v_pk_fma_f32 v[2:3], v[2:3], v[10:11], v[14:15]
	v_pk_mul_f32 v[10:11], v[18:19], v[22:23] op_sel_hi:[0,1]
	s_add_i32 s59, s59, 64
	s_cmp_eq_u32 s53, s37
	v_pk_fma_f32 v[4:5], v[4:5], v[10:11], v[16:17]
	s_cbranch_scc1 .LBB706_18
; %bb.17:                               ;   in Loop: Header=BB706_6 Depth=1
	s_mov_b32 s64, s37
	s_branch .LBB706_6
.LBB706_18:
	s_lshl_b32 s0, s53, 6
	s_sub_i32 s44, s54, s0
	s_cmp_gt_i32 s44, 0
	s_cbranch_scc0 .LBB706_75
; %bb.19:
	s_add_i32 s34, s0, s34
	s_ashr_i32 s3, s34, 31
	s_cmpk_lg_i32 s19, 0x80
	s_cselect_b64 s[30:31], -1, 0
	s_and_b64 vcc, exec, s[30:31]
	s_cbranch_vccz .LBB706_21
; %bb.20:
	s_mul_hi_i32 s0, s34, s18
	s_mul_i32 s1, s34, s18
	s_ashr_i32 s18, s55, 31
	s_add_u32 s42, s1, s55
	s_addc_u32 s43, s0, s18
	s_cbranch_execz .LBB706_22
	s_branch .LBB706_23
.LBB706_21:
                                        ; implicit-def: $sgpr42_sgpr43
.LBB706_22:
	s_mul_i32 s1, s55, s16
	s_mul_hi_i32 s0, s55, s16
	s_add_u32 s42, s1, s34
	s_addc_u32 s43, s0, s3
.LBB706_23:
	s_waitcnt lgkmcnt(0)
	s_add_i32 s16, s53, s56
	s_add_u32 s0, s58, s34
	s_addc_u32 s1, s57, s3
	s_mov_b32 s3, 0x7060302
	v_lshlrev_b32_e32 v14, 3, v65
	s_lshl_b64 s[28:29], s[0:1], 8
	s_waitcnt vmcnt(1)
	v_perm_b32 v11, v9, v8, s3
	v_perm_b32 v10, v7, v6, s3
	s_waitcnt vmcnt(0)
	v_perm_b32 v13, v5, v4, s3
	v_perm_b32 v12, v3, v2, s3
	v_lshlrev_b32_e32 v42, 2, v65
	v_lshl_or_b32 v14, v68, 5, v14
	s_add_u32 s0, s6, s28
	ds_write2st64_b64 v14, v[10:11], v[12:13] offset0:72 offset1:76
	v_xor_b32_e32 v14, v68, v42
	v_lshlrev_b32_e32 v15, 8, v65
	s_addc_u32 s1, s7, s29
	v_lshl_or_b32 v14, v14, 1, v15
	s_mul_hi_i32 s3, s16, s17
	s_mul_i32 s16, s16, s17
	ds_write_b64 v14, v[10:11] offset:32768
	v_xor_b32_e32 v10, v69, v42
	s_add_u32 s6, s16, s33
	v_lshl_or_b32 v10, v10, 1, v15
	s_addc_u32 s7, s3, s46
	v_lshlrev_b32_e32 v11, 1, v65
	ds_write_b64 v10, v[12:13] offset:32768
	v_lshrrev_b32_e32 v10, 4, v0
	s_ashr_i32 s3, s2, 31
	s_lshl_b64 s[6:7], s[6:7], 15
	v_or_b32_e32 v12, 1, v11
	s_add_u32 s6, s40, s6
	v_xor_b32_e32 v11, v10, v11
	v_xor_b32_e32 v12, v12, v10
	v_lshlrev_b32_e32 v14, 8, v10
	s_addc_u32 s7, s41, s7
	s_lshl_b64 s[2:3], s[2:3], 8
	v_lshl_or_b32 v10, v11, 3, v14
	v_lshl_or_b32 v12, v12, 3, v14
	s_waitcnt lgkmcnt(0)
	s_barrier
	s_add_u32 s2, s6, s2
	ds_read_b64 v[10:11], v10 offset:32768
	ds_read_b64 v[12:13], v12 offset:32768
	s_addc_u32 s3, s7, s3
	v_mov_b32_e32 v15, 0
	s_cmp_lg_u32 s44, 64
	v_lshl_add_u64 v[16:17], s[2:3], 0, v[14:15]
	v_lshlrev_b32_e32 v14, 4, v65
	s_cselect_b64 s[6:7], -1, 0
	v_lshl_or_b32 v44, v1, 3, v67
	s_mov_b32 s24, 0
	v_lshl_add_u64 v[14:15], v[16:17], 0, v[14:15]
	v_or_b32_e32 v27, 32, v44
	v_and_b32_e32 v26, 56, v66
	s_and_b64 vcc, exec, s[6:7]
	s_waitcnt lgkmcnt(0)
	global_store_dwordx4 v[14:15], v[10:13], off
	s_cbranch_vccz .LBB706_29
; %bb.24:
	s_mov_b32 s25, s24
	s_mov_b32 s26, s24
	;; [unrolled: 1-line block ×3, first 2 shown]
	v_mov_b64_e32 v[14:15], s[24:25]
	v_mov_b64_e32 v[16:17], s[26:27]
	;; [unrolled: 1-line block ×3, first 2 shown]
	v_cmp_gt_i32_e32 vcc, s44, v44
	v_mov_b64_e32 v[12:13], v[16:17]
	s_and_saveexec_b64 s[2:3], vcc
	s_cbranch_execz .LBB706_26
; %bb.25:
	v_lshlrev_b32_e32 v10, 8, v44
	v_mov_b32_e32 v11, 0
	v_lshl_add_u64 v[12:13], s[0:1], 0, v[10:11]
	v_lshlrev_b32_e32 v10, 1, v26
	v_lshl_add_u64 v[18:19], v[12:13], 0, v[10:11]
	global_load_dwordx4 v[14:17], v[18:19], off
	global_load_dwordx4 v[10:13], v[18:19], off offset:128
.LBB706_26:
	s_or_b64 exec, exec, s[2:3]
	s_mov_b32 s25, s24
	s_mov_b32 s26, s24
	;; [unrolled: 1-line block ×3, first 2 shown]
	v_mov_b64_e32 v[22:23], s[24:25]
	v_mov_b64_e32 v[24:25], s[26:27]
	v_mov_b64_e32 v[18:19], v[22:23]
	v_cmp_gt_i32_e32 vcc, s44, v27
	v_lshlrev_b32_e32 v28, 7, v27
	v_mov_b64_e32 v[20:21], v[24:25]
	s_and_saveexec_b64 s[2:3], vcc
	s_cbranch_execz .LBB706_28
; %bb.27:
	v_lshlrev_b32_e32 v18, 1, v28
	v_mov_b32_e32 v19, 0
	v_lshl_add_u64 v[20:21], s[0:1], 0, v[18:19]
	v_lshlrev_b32_e32 v18, 1, v26
	v_lshl_add_u64 v[30:31], v[20:21], 0, v[18:19]
	global_load_dwordx4 v[22:25], v[30:31], off
	global_load_dwordx4 v[18:21], v[30:31], off offset:128
.LBB706_28:
	s_or_b64 exec, exec, s[2:3]
	v_lshrrev_b32_e32 v29, 3, v26
	v_lshlrev_b32_e32 v30, 3, v44
	v_or_b32_e32 v29, v30, v29
	v_lshlrev_b32_e32 v29, 4, v29
	v_and_b32_e32 v30, 0x78, v30
	v_xor_b32_e32 v29, v29, v30
	s_branch .LBB706_31
.LBB706_29:
                                        ; implicit-def: $vgpr29
                                        ; implicit-def: $vgpr28
                                        ; implicit-def: $vgpr14_vgpr15_vgpr16_vgpr17
                                        ; implicit-def: $vgpr10_vgpr11_vgpr12_vgpr13
                                        ; implicit-def: $vgpr22_vgpr23_vgpr24_vgpr25
                                        ; implicit-def: $vgpr18_vgpr19_vgpr20_vgpr21
	s_cbranch_execz .LBB706_31
; %bb.30:
	s_waitcnt vmcnt(0)
	v_lshlrev_b32_e32 v10, 1, v26
	v_lshl_or_b32 v28, v44, 8, v10
	s_and_b32 s1, s1, 0xffff
	s_mov_b32 s3, 0x20000
	s_movk_i32 s2, 0x4000
	v_lshl_or_b32 v29, v27, 8, v10
	s_movk_i32 s16, 0x80
	buffer_load_dwordx4 v[14:17], v28, s[0:3], 0 offen
	buffer_load_dwordx4 v[10:13], v28, s[0:3], s16 offen
	;; [unrolled: 1-line block ×4, first 2 shown]
	v_lshrrev_b32_e32 v28, 3, v26
	v_lshlrev_b32_e32 v29, 3, v44
	v_or_b32_e32 v28, v29, v28
	v_lshlrev_b32_e32 v28, 4, v28
	v_and_b32_e32 v29, 0x78, v29
	v_xor_b32_e32 v29, v28, v29
	v_lshlrev_b32_e32 v28, 7, v27
.LBB706_31:
	s_lshl_b64 s[0:1], s[42:43], 8
	s_add_u32 s4, s4, s0
	s_movk_i32 s0, 0x1000
	v_and_or_b32 v27, v28, s0, v29
	s_waitcnt vmcnt(1)
	ds_write_b64 v29, v[14:15] offset:16384
	v_xor_b32_e32 v14, 8, v29
	ds_write_b64 v14, v[16:17] offset:16384
	s_waitcnt vmcnt(0)
	ds_write_b64 v29, v[10:11] offset:24576
	ds_write_b64 v14, v[12:13] offset:24576
	;; [unrolled: 1-line block ×3, first 2 shown]
	v_xor_b32_e32 v10, 8, v27
	ds_write_b64 v10, v[24:25] offset:16384
	ds_write_b64 v27, v[18:19] offset:24576
	;; [unrolled: 1-line block ×3, first 2 shown]
	v_or_b32_e32 v10, v53, v65
	v_lshlrev_b32_e32 v10, 3, v10
	v_lshrrev_b32_e32 v12, 5, v57
	s_movk_i32 s16, 0xf8
	v_and_or_b32 v12, v10, s16, v12
	v_lshlrev_b32_e32 v43, 11, v1
	v_lshlrev_b32_e32 v20, 4, v12
	v_and_b32_e32 v21, 0x78, v10
	v_and_b32_e32 v22, 0x1000, v43
	v_lshlrev_b32_e32 v11, 2, v0
	v_xor_b32_e32 v10, v20, v21
	v_lshrrev_b32_e32 v12, 1, v57
	v_and_b32_e32 v11, 60, v11
	v_or_b32_e32 v10, v10, v22
	v_and_b32_e32 v23, 8, v12
	v_xor_b32_e32 v34, v10, v23
	v_lshl_or_b32 v10, v64, 6, v11
	v_lshlrev_b32_e32 v45, 1, v10
	v_or_b32_e32 v10, 32, v20
	v_xor_b32_e32 v10, v10, v21
	s_waitcnt lgkmcnt(0)
	s_barrier
	ds_read_b64 v[18:19], v34 offset:16384
	v_or_b32_e32 v10, v10, v22
	v_xor_b32_e32 v35, v10, v23
	v_or_b32_e32 v10, 64, v20
	v_xor_b32_e32 v10, v10, v21
	v_or_b32_e32 v10, v10, v22
	v_or_b32_e32 v20, 0x60, v20
	v_xor_b32_e32 v36, v10, v23
	ds_read2st64_b64 v[10:13], v45 offset0:72 offset1:73
	ds_read2st64_b64 v[14:17], v45 offset0:74 offset1:75
	v_xor_b32_e32 v24, v20, v21
	ds_read_b64 v[20:21], v35 offset:16384
	s_addc_u32 s5, s5, s1
	s_add_i32 s0, s49, s47
	s_waitcnt lgkmcnt(2)
	v_mfma_f32_16x16x16_bf16 a[0:3], v[18:19], v[10:11], 0
	s_add_i32 s18, s35, -1
	s_add_i32 s39, s0, s50
	s_add_i32 s0, s51, s48
	;; [unrolled: 1-line block ×3, first 2 shown]
	s_ashr_i32 s0, s18, 31
	s_mul_i32 s1, s18, s23
	s_mul_hi_u32 s2, s18, s22
	s_add_i32 s1, s2, s1
	s_mul_i32 s0, s0, s22
	v_or_b32_e32 v22, v24, v22
	s_add_i32 s1, s1, s0
	s_lshl_b64 s[2:3], s[38:39], 2
	v_xor_b32_e32 v46, v22, v23
	ds_read_b64 v[22:23], v36 offset:16384
	ds_read_b64 v[24:25], v46 offset:16384
	s_waitcnt lgkmcnt(2)
	v_mfma_f32_16x16x16_bf16 a[0:3], v[20:21], v[12:13], a[0:3]
	s_add_u32 s10, s10, s2
	s_addc_u32 s11, s11, s3
	s_lshl_b64 s[2:3], s[36:37], 2
	s_mul_i32 s0, s18, s22
	s_add_u32 s10, s10, s2
	s_addc_u32 s11, s11, s3
	s_lshl_b64 s[0:1], s[0:1], 2
	s_waitcnt lgkmcnt(1)
	v_mfma_f32_16x16x16_bf16 a[0:3], v[22:23], v[14:15], a[0:3]
	s_add_u32 s0, s10, s0
	s_addc_u32 s1, s11, s1
	s_load_dword s16, s[0:1], 0x0
	s_waitcnt lgkmcnt(0)
	v_mfma_f32_16x16x16_bf16 a[0:3], v[24:25], v[16:17], a[0:3]
	s_and_b64 vcc, exec, s[30:31]
	s_cbranch_vccz .LBB706_42
; %bb.32:
	v_lshlrev_b32_e32 v27, 1, v44
	s_and_b64 vcc, exec, s[6:7]
	s_cbranch_vccz .LBB706_43
; %bb.33:
	v_cmp_gt_i32_e32 vcc, s44, v27
	v_mov_b32_e32 v14, 0
	v_mov_b32_e32 v10, 0
	;; [unrolled: 1-line block ×5, first 2 shown]
	s_and_saveexec_b64 s[0:1], vcc
	s_cbranch_execz .LBB706_35
; %bb.34:
	v_mad_i64_i32 v[10:11], s[2:3], s19, v27, 0
	v_lshl_add_u64 v[10:11], v[10:11], 1, s[4:5]
	v_lshlrev_b32_e32 v12, 1, v26
	v_mov_b32_e32 v13, 0
	v_lshl_add_u64 v[10:11], v[10:11], 0, v[12:13]
	global_load_dwordx4 v[10:13], v[10:11], off
.LBB706_35:
	s_or_b64 exec, exec, s[0:1]
	v_or_b32_e32 v28, 1, v27
	v_cmp_gt_i32_e64 s[0:1], s44, v28
	v_mov_b32_e32 v15, 0
	v_mov_b32_e32 v16, 0
	;; [unrolled: 1-line block ×3, first 2 shown]
	s_and_saveexec_b64 s[2:3], s[0:1]
	s_cbranch_execz .LBB706_37
; %bb.36:
	v_mad_i64_i32 v[14:15], s[24:25], s19, v28, 0
	v_lshl_add_u64 v[14:15], v[14:15], 1, s[4:5]
	v_lshlrev_b32_e32 v16, 1, v26
	v_mov_b32_e32 v17, 0
	v_lshl_add_u64 v[14:15], v[14:15], 0, v[16:17]
	global_load_dwordx4 v[14:17], v[14:15], off
.LBB706_37:
	s_or_b64 exec, exec, s[2:3]
	v_mov_b32_e32 v25, 0
	v_mov_b32_e32 v18, 0
	;; [unrolled: 1-line block ×5, first 2 shown]
	s_and_saveexec_b64 s[2:3], vcc
	s_cbranch_execz .LBB706_39
; %bb.38:
	v_mad_i64_i32 v[18:19], s[24:25], s19, v27, 0
	v_lshl_add_u64 v[18:19], v[18:19], 1, s[4:5]
	v_lshlrev_b32_e32 v20, 1, v26
	v_mov_b32_e32 v21, 0
	v_lshl_add_u64 v[18:19], v[18:19], 0, v[20:21]
	global_load_dwordx4 v[18:21], v[18:19], off offset:128
.LBB706_39:
	s_or_b64 exec, exec, s[2:3]
	v_mov_b32_e32 v24, 0
	v_mov_b32_e32 v23, 0
	;; [unrolled: 1-line block ×3, first 2 shown]
	s_and_saveexec_b64 s[2:3], s[0:1]
	s_cbranch_execz .LBB706_41
; %bb.40:
	v_mad_i64_i32 v[22:23], s[0:1], s19, v28, 0
	v_lshl_add_u64 v[22:23], v[22:23], 1, s[4:5]
	v_lshlrev_b32_e32 v24, 1, v26
	v_mov_b32_e32 v25, 0
	v_lshl_add_u64 v[22:23], v[22:23], 0, v[24:25]
	global_load_dwordx4 v[22:25], v[22:23], off offset:128
.LBB706_41:
	s_or_b64 exec, exec, s[2:3]
	s_branch .LBB706_45
.LBB706_42:
                                        ; implicit-def: $vgpr13
                                        ; implicit-def: $vgpr17
                                        ; implicit-def: $vgpr21
                                        ; implicit-def: $vgpr25
	v_lshrrev_b32_e32 v27, 2, v57
	s_branch .LBB706_46
.LBB706_43:
                                        ; implicit-def: $vgpr13
                                        ; implicit-def: $vgpr17
                                        ; implicit-def: $vgpr21
                                        ; implicit-def: $vgpr25
	s_cbranch_execz .LBB706_45
; %bb.44:
	s_waitcnt vmcnt(0)
	v_mad_u64_u32 v[10:11], s[0:1], v27, s19, v[26:27]
	v_lshlrev_b32_e32 v27, 1, v10
	s_lshl_b32 s2, s19, 7
	s_and_b32 s1, s5, 0xffff
	s_mov_b32 s3, 0x20000
	s_mov_b32 s0, s4
	v_add_lshl_u32 v28, v10, s19, 1
	s_movk_i32 s19, 0x80
	buffer_load_dwordx4 v[10:13], v27, s[0:3], 0 offen
	buffer_load_dwordx4 v[18:21], v27, s[0:3], s19 offen
	;; [unrolled: 1-line block ×4, first 2 shown]
.LBB706_45:
	v_lshrrev_b32_e32 v27, 2, v57
	s_cbranch_execnz .LBB706_58
.LBB706_46:
	s_and_b64 vcc, exec, s[6:7]
	s_cbranch_vccz .LBB706_56
; %bb.47:
	s_waitcnt vmcnt(0)
	v_lshlrev_b32_e32 v15, 1, v44
	v_cmp_gt_i32_e32 vcc, s44, v15
	v_mov_b32_e32 v14, 0
	v_lshlrev_b32_e32 v22, 9, v44
	v_mov_b32_e32 v10, 0
	v_mov_b32_e32 v11, 0
	;; [unrolled: 1-line block ×4, first 2 shown]
	s_and_saveexec_b64 s[0:1], vcc
	s_cbranch_execz .LBB706_49
; %bb.48:
	v_mov_b32_e32 v23, 0
	v_lshl_add_u64 v[10:11], s[4:5], 0, v[22:23]
	v_lshlrev_b32_e32 v12, 1, v26
	v_mov_b32_e32 v13, v23
	v_lshl_add_u64 v[10:11], v[10:11], 0, v[12:13]
	global_load_dwordx4 v[10:13], v[10:11], off
.LBB706_49:
	s_or_b64 exec, exec, s[0:1]
	v_or_b32_e32 v15, 1, v15
	v_cmp_gt_i32_e64 s[0:1], s44, v15
	v_lshlrev_b32_e32 v28, 8, v15
	v_mov_b32_e32 v15, 0
	v_mov_b32_e32 v16, 0
	;; [unrolled: 1-line block ×3, first 2 shown]
	s_and_saveexec_b64 s[2:3], s[0:1]
	s_cbranch_execz .LBB706_51
; %bb.50:
	v_mov_b32_e32 v29, 0
	v_lshl_add_u64 v[14:15], s[4:5], 0, v[28:29]
	v_lshlrev_b32_e32 v16, 1, v26
	v_mov_b32_e32 v17, v29
	v_lshl_add_u64 v[14:15], v[14:15], 0, v[16:17]
	global_load_dwordx4 v[14:17], v[14:15], off
.LBB706_51:
	s_or_b64 exec, exec, s[2:3]
	v_mov_b32_e32 v25, 0
	v_mov_b32_e32 v18, 0
	;; [unrolled: 1-line block ×5, first 2 shown]
	s_and_saveexec_b64 s[2:3], vcc
	s_cbranch_execz .LBB706_53
; %bb.52:
	v_mov_b32_e32 v23, 0
	v_lshl_add_u64 v[18:19], s[4:5], 0, v[22:23]
	v_lshlrev_b32_e32 v22, 1, v26
	v_lshl_add_u64 v[18:19], v[18:19], 0, v[22:23]
	global_load_dwordx4 v[18:21], v[18:19], off offset:128
.LBB706_53:
	s_or_b64 exec, exec, s[2:3]
	v_mov_b32_e32 v24, 0
	v_mov_b32_e32 v23, 0
	;; [unrolled: 1-line block ×3, first 2 shown]
	s_and_saveexec_b64 s[2:3], s[0:1]
	s_cbranch_execz .LBB706_55
; %bb.54:
	v_mov_b32_e32 v29, 0
	v_lshl_add_u64 v[22:23], s[4:5], 0, v[28:29]
	v_lshlrev_b32_e32 v28, 1, v26
	v_lshl_add_u64 v[22:23], v[22:23], 0, v[28:29]
	global_load_dwordx4 v[22:25], v[22:23], off offset:128
.LBB706_55:
	s_or_b64 exec, exec, s[2:3]
	s_branch .LBB706_58
.LBB706_56:
                                        ; implicit-def: $vgpr13
                                        ; implicit-def: $vgpr17
                                        ; implicit-def: $vgpr21
                                        ; implicit-def: $vgpr25
	s_cbranch_execz .LBB706_58
; %bb.57:
	s_waitcnt vmcnt(0)
	v_lshlrev_b32_e32 v10, 1, v26
	v_lshl_or_b32 v26, v44, 9, v10
	s_and_b32 s5, s5, 0xffff
	s_mov_b32 s7, 0x20000
	s_movk_i32 s6, 0x4000
	s_movk_i32 s0, 0x80
	buffer_load_dwordx4 v[10:13], v26, s[4:7], 0 offen
	buffer_load_dwordx4 v[14:17], v26, s[4:7], 0 offen offset:256
	buffer_load_dwordx4 v[18:21], v26, s[4:7], s0 offen
	buffer_load_dwordx4 v[22:25], v26, s[4:7], s0 offen offset:256
.LBB706_58:
	v_and_b32_e32 v47, 12, v27
	ds_read2st64_b64 v[30:33], v45 offset0:76 offset1:77
	ds_read2st64_b64 v[26:29], v45 offset0:78 offset1:79
	ds_read_b64 v[38:39], v34 offset:24576
	ds_read_b64 v[40:41], v35 offset:24576
	;; [unrolled: 1-line block ×4, first 2 shown]
	v_and_b32_e32 v46, 6, v0
	v_xor_b32_e32 v44, v44, v46
	v_lshlrev_b32_e32 v44, 2, v44
	v_and_b32_e32 v48, 1, v0
	v_xor_b32_e32 v49, 0x440, v44
	v_cmp_eq_u32_e32 vcc, 0, v48
	s_mov_b32 s0, 0x1000504
	s_waitcnt vmcnt(0)
	v_perm_b32 v48, v18, v22, s0
	v_cndmask_b32_e32 v44, v49, v44, vcc
	v_lshl_or_b32 v44, v46, 10, v44
	v_perm_b32 v46, v10, v14, s0
	ds_write2st64_b32 v44, v46, v48 offset1:32
	v_xor_b32_e32 v46, 8, v44
	s_mov_b32 s1, 0x3020706
	v_perm_b32 v10, v10, v14, s1
	v_perm_b32 v14, v18, v22, s1
	v_add_u32_e32 v18, 0x80, v46
	ds_write2st64_b32 v18, v10, v14 offset1:32
	v_xor_b32_e32 v10, 16, v44
	v_perm_b32 v14, v11, v15, s0
	v_perm_b32 v18, v19, v23, s0
	ds_write2st64_b32 v10, v14, v18 offset0:1 offset1:33
	v_xor_b32_e32 v10, 24, v44
	v_perm_b32 v11, v11, v15, s1
	v_perm_b32 v14, v19, v23, s1
	v_add_u32_e32 v10, 0x80, v10
	ds_write2st64_b32 v10, v11, v14 offset0:1 offset1:33
	v_xor_b32_e32 v10, 32, v44
	v_perm_b32 v11, v12, v16, s0
	v_perm_b32 v14, v20, v24, s0
	ds_write2st64_b32 v10, v11, v14 offset0:2 offset1:34
	v_xor_b32_e32 v10, 40, v44
	v_perm_b32 v11, v12, v16, s1
	v_perm_b32 v12, v20, v24, s1
	v_add_u32_e32 v10, 0x80, v10
	ds_write2st64_b32 v10, v11, v12 offset0:2 offset1:34
	v_xor_b32_e32 v10, 48, v44
	v_perm_b32 v11, v13, v17, s0
	v_perm_b32 v12, v21, v25, s0
	ds_write2st64_b32 v10, v11, v12 offset0:3 offset1:35
	v_xor_b32_e32 v10, 56, v44
	v_or_b32_e32 v16, v47, v53
	v_perm_b32 v11, v13, v17, s1
	v_perm_b32 v12, v21, v25, s1
	v_add_u32_e32 v10, 0x80, v10
	v_cmp_gt_i32_e32 vcc, s44, v16
	v_mov_b32_e32 v17, 0
	v_mov_b32_e32 v21, 0
	ds_write2st64_b32 v10, v11, v12 offset0:3 offset1:35
	s_and_saveexec_b64 s[0:1], vcc
	s_cbranch_execz .LBB706_60
; %bb.59:
	v_add_u32_e32 v10, s34, v16
	v_ashrrev_i32_e32 v11, 31, v10
	v_mul_lo_u32 v12, v11, s22
	v_mul_lo_u32 v13, v10, s23
	v_mad_u64_u32 v[10:11], s[2:3], v10, s22, 0
	v_add3_u32 v11, v11, v13, v12
	v_lshl_add_u64 v[10:11], v[10:11], 2, s[10:11]
	global_load_dword v10, v[10:11], off
	s_waitcnt vmcnt(0)
	v_sub_f32_e32 v10, s16, v10
	v_mul_f32_e32 v10, 0x3fb8aa3b, v10
	v_exp_f32_e32 v21, v10
.LBB706_60:
	s_or_b64 exec, exec, s[0:1]
	v_or_b32_e32 v19, 1, v16
	v_cmp_gt_i32_e64 s[0:1], s44, v19
	s_and_saveexec_b64 s[2:3], s[0:1]
	s_cbranch_execz .LBB706_62
; %bb.61:
	v_add_u32_e32 v10, s34, v19
	v_ashrrev_i32_e32 v11, 31, v10
	v_mul_lo_u32 v12, v11, s22
	v_mul_lo_u32 v13, v10, s23
	v_mad_u64_u32 v[10:11], s[4:5], v10, s22, 0
	v_add3_u32 v11, v11, v13, v12
	v_lshl_add_u64 v[10:11], v[10:11], 2, s[10:11]
	global_load_dword v10, v[10:11], off
	s_waitcnt vmcnt(0)
	v_sub_f32_e32 v10, s16, v10
	v_mul_f32_e32 v10, 0x3fb8aa3b, v10
	v_exp_f32_e32 v17, v10
.LBB706_62:
	s_or_b64 exec, exec, s[2:3]
	v_or_b32_e32 v20, 2, v16
	v_cmp_gt_i32_e64 s[2:3], s44, v20
	v_mov_b32_e32 v18, 0
	v_mov_b32_e32 v23, 0
	s_and_saveexec_b64 s[4:5], s[2:3]
	s_cbranch_execz .LBB706_64
; %bb.63:
	v_add_u32_e32 v10, s34, v20
	v_ashrrev_i32_e32 v11, 31, v10
	v_mul_lo_u32 v12, v11, s22
	v_mul_lo_u32 v13, v10, s23
	v_mad_u64_u32 v[10:11], s[6:7], v10, s22, 0
	v_add3_u32 v11, v11, v13, v12
	v_lshl_add_u64 v[10:11], v[10:11], 2, s[10:11]
	global_load_dword v10, v[10:11], off
	s_waitcnt vmcnt(0)
	v_sub_f32_e32 v10, s16, v10
	v_mul_f32_e32 v10, 0x3fb8aa3b, v10
	v_exp_f32_e32 v23, v10
.LBB706_64:
	s_or_b64 exec, exec, s[4:5]
	v_or_b32_e32 v22, 3, v16
	v_cmp_gt_i32_e64 s[4:5], s44, v22
	s_and_saveexec_b64 s[6:7], s[4:5]
	s_cbranch_execz .LBB706_66
; %bb.65:
	v_add_u32_e32 v10, s34, v22
	v_ashrrev_i32_e32 v11, 31, v10
	v_mul_lo_u32 v12, v11, s22
	v_mul_lo_u32 v13, v10, s23
	v_mad_u64_u32 v[10:11], s[22:23], v10, s22, 0
	v_add3_u32 v11, v11, v13, v12
	v_lshl_add_u64 v[10:11], v[10:11], 2, s[10:11]
	global_load_dword v10, v[10:11], off
	s_waitcnt vmcnt(0)
	v_sub_f32_e32 v10, s16, v10
	v_mul_f32_e32 v10, 0x3fb8aa3b, v10
	v_exp_f32_e32 v18, v10
.LBB706_66:
	s_or_b64 exec, exec, s[6:7]
	s_waitcnt lgkmcnt(11)
	v_mfma_f32_16x16x16_bf16 a[0:3], v[38:39], v[30:31], a[0:3]
	s_add_u32 s6, s8, s28
	v_ashrrev_i32_e32 v59, 31, v58
	s_addc_u32 s7, s9, s29
	s_waitcnt lgkmcnt(10)
	v_mfma_f32_16x16x16_bf16 a[0:3], v[40:41], v[32:33], a[0:3]
	v_mov_b32_e32 v24, 0
	v_lshl_add_u64 v[14:15], v[58:59], 1, s[6:7]
	v_mov_b32_e32 v25, 0
	s_waitcnt lgkmcnt(9)
	v_mfma_f32_16x16x16_bf16 a[0:3], v[36:37], v[26:27], a[0:3]
	s_waitcnt lgkmcnt(8)
	v_mfma_f32_16x16x16_bf16 a[0:3], v[34:35], v[28:29], a[0:3]
	s_nop 6
	v_accvgpr_read_b32 v13, a3
	v_accvgpr_read_b32 v12, a2
	;; [unrolled: 1-line block ×4, first 2 shown]
	s_and_saveexec_b64 s[6:7], vcc
	s_cbranch_execz .LBB706_68
; %bb.67:
	v_lshlrev_b32_e32 v26, 8, v16
	v_mov_b32_e32 v27, 0
	v_lshl_add_u64 v[26:27], v[14:15], 0, v[26:27]
	global_load_ushort v25, v[26:27], off
	s_waitcnt vmcnt(0)
	v_lshlrev_b32_e32 v25, 16, v25
	v_sub_f32_e32 v10, v25, v10
	v_mul_f32_e32 v10, v21, v10
	v_lshrrev_b32_e32 v25, 16, v10
.LBB706_68:
	s_or_b64 exec, exec, s[6:7]
	s_and_saveexec_b64 s[6:7], s[0:1]
	s_cbranch_execz .LBB706_70
; %bb.69:
	v_lshlrev_b32_e32 v26, 8, v19
	v_mov_b32_e32 v27, 0
	v_lshl_add_u64 v[26:27], v[14:15], 0, v[26:27]
	global_load_ushort v10, v[26:27], off
	s_waitcnt vmcnt(0)
	v_lshlrev_b32_e32 v10, 16, v10
	v_sub_f32_e32 v10, v10, v11
	v_mul_f32_e32 v10, v17, v10
	v_lshrrev_b32_e32 v24, 16, v10
.LBB706_70:
	s_or_b64 exec, exec, s[6:7]
	v_mov_b32_e32 v11, 0
	v_mov_b32_e32 v17, 0
	s_and_saveexec_b64 s[0:1], s[2:3]
	s_cbranch_execz .LBB706_72
; %bb.71:
	v_lshlrev_b32_e32 v20, 8, v20
	v_mov_b32_e32 v21, 0
	v_lshl_add_u64 v[20:21], v[14:15], 0, v[20:21]
	global_load_ushort v10, v[20:21], off
	s_waitcnt vmcnt(0)
	v_lshlrev_b32_e32 v10, 16, v10
	v_sub_f32_e32 v10, v10, v12
	v_mul_f32_e32 v10, v23, v10
	v_lshrrev_b32_e32 v17, 16, v10
.LBB706_72:
	s_or_b64 exec, exec, s[0:1]
	v_or_b32_e32 v10, 0x9800, v45
	s_and_saveexec_b64 s[0:1], s[4:5]
	s_cbranch_execz .LBB706_74
; %bb.73:
	v_lshlrev_b32_e32 v20, 8, v22
	v_mov_b32_e32 v21, 0
	v_lshl_add_u64 v[14:15], v[14:15], 0, v[20:21]
	global_load_ushort v11, v[14:15], off
	s_waitcnt vmcnt(0)
	v_lshlrev_b32_e32 v11, 16, v11
	v_sub_f32_e32 v11, v11, v13
	v_mul_f32_e32 v11, v18, v11
	v_lshrrev_b32_e32 v11, 16, v11
.LBB706_74:
	s_or_b64 exec, exec, s[0:1]
	s_mov_b32 s0, 0x5040100
	v_perm_b32 v13, v11, v17, s0
	v_lshlrev_b32_e32 v11, 1, v42
	v_perm_b32 v12, v24, v25, s0
	v_lshl_or_b32 v11, v16, 5, v11
	s_movk_i32 s2, 0xff
	ds_write_b64 v11, v[12:13] offset:38912
	v_and_b32_e32 v11, 7, v0
	v_cmp_lt_u32_e32 vcc, s2, v0
	v_and_b32_e32 v12, 8, v0
	v_lshlrev_b32_e32 v20, 3, v11
	v_lshlrev_b32_e32 v32, 7, v11
	v_cndmask_b32_e64 v11, 0, 1, vcc
	v_lshrrev_b32_e32 v0, 1, v0
	v_lshlrev_b32_e32 v22, 13, v11
	v_lshlrev_b32_e32 v11, 3, v1
	v_and_b32_e32 v0, 24, v0
	v_xor_b32_e32 v13, v11, v0
	v_or_b32_e32 v14, 0x440, v13
	v_cmp_eq_u32_e32 vcc, 0, v12
	s_mul_i32 s0, s18, s17
	s_mul_hi_i32 s1, s18, s17
	v_cndmask_b32_e32 v12, v14, v13, vcc
	v_or_b32_e32 v12, v12, v43
	v_xor_b32_e32 v33, v12, v20
	v_or_b32_e32 v12, 32, v0
	v_xor_b32_e32 v12, v11, v12
	v_or_b32_e32 v13, 0x440, v12
	v_cndmask_b32_e32 v12, v13, v12, vcc
	v_or_b32_e32 v12, v12, v43
	v_xor_b32_e32 v34, v12, v20
	v_or_b32_e32 v12, 64, v0
	v_xor_b32_e32 v12, v11, v12
	v_xor_b32_e32 v13, 0x440, v12
	v_cndmask_b32_e32 v12, v13, v12, vcc
	v_or_b32_e32 v0, 0x60, v0
	s_add_u32 s0, s0, s33
	v_add3_u32 v23, v22, v33, v32
	v_or_b32_e32 v12, v12, v43
	v_xor_b32_e32 v0, v11, v0
	s_waitcnt lgkmcnt(0)
	s_barrier
	s_addc_u32 s1, s1, s46
	v_lshlrev_b32_e32 v21, 2, v16
	v_xor_b32_e32 v35, v12, v20
	ds_read2st64_b64 v[12:15], v10 offset1:1
	ds_read2st64_b64 v[16:19], v10 offset0:2 offset1:3
	ds_read_b64 v[10:11], v23
	v_xor_b32_e32 v23, 0x440, v0
	s_lshl_b64 s[0:1], s[0:1], 9
	v_cndmask_b32_e32 v0, v23, v0, vcc
	s_add_u32 s0, s20, s0
	v_or_b32_e32 v0, v0, v43
	s_addc_u32 s1, s21, s1
	v_add3_u32 v24, v22, v34, v32
	v_xor_b32_e32 v36, v0, v20
	v_add3_u32 v26, v22, v35, v32
	v_add3_u32 v0, v22, v36, v32
	ds_read_b64 v[24:25], v24
	ds_read_b64 v[28:29], v26
	;; [unrolled: 1-line block ×3, first 2 shown]
	global_load_dwordx4 v[20:23], v21, s[0:1]
	s_waitcnt lgkmcnt(3)
	v_mfma_f32_16x16x16_bf16 a[0:3], v[10:11], v[12:13], 0
	v_lshlrev_b32_e32 v0, 6, v1
	v_lshlrev_b32_e32 v1, 2, v47
	s_movk_i32 s2, 0x100
	v_or3_b32 v0, v0, v1, s2
	s_waitcnt lgkmcnt(2)
	v_mfma_f32_16x16x16_bf16 a[0:3], v[24:25], v[14:15], a[0:3]
	global_load_dwordx4 v[24:27], v0, s[0:1]
	v_mov_b32_e32 v0, 0x3fb8aa3b
	v_mul_f32_e32 v0, s16, v0
	s_waitcnt lgkmcnt(1)
	v_mfma_f32_16x16x16_bf16 a[0:3], v[28:29], v[16:17], a[0:3]
	v_exp_f32_e32 v0, v0
	v_add_u32_e32 v1, v33, v32
	v_add_u32_e32 v33, v34, v32
	s_waitcnt lgkmcnt(0)
	v_mfma_f32_16x16x16_bf16 a[0:3], v[30:31], v[18:19], a[0:3]
	ds_read_b64 v[30:31], v1 offset:8192
	s_waitcnt vmcnt(1)
	v_mul_f32_e32 v20, 0x3fb8aa3b, v20
	v_mul_f32_e32 v21, 0x3fb8aa3b, v21
	v_exp_f32_e32 v20, v20
	v_exp_f32_e32 v21, v21
	s_nop 0
	v_accvgpr_read_b32 v29, a1
	v_accvgpr_read_b32 v28, a0
	v_mul_f32_e32 v22, 0x3fb8aa3b, v22
	v_pk_mul_f32 v[20:21], v[0:1], v[20:21] op_sel_hi:[0,1]
	v_pk_fma_f32 v[6:7], v[6:7], v[20:21], v[28:29]
	ds_read_b64 v[20:21], v33 offset:8192
	v_mul_f32_e32 v23, 0x3fb8aa3b, v23
	v_exp_f32_e32 v22, v22
	v_exp_f32_e32 v23, v23
	v_accvgpr_read_b32 v11, a3
	v_accvgpr_read_b32 v10, a2
	s_waitcnt lgkmcnt(1)
	v_mfma_f32_16x16x16_bf16 a[0:3], v[30:31], v[12:13], 0
	v_pk_mul_f32 v[22:23], v[0:1], v[22:23] op_sel_hi:[0,1]
	v_add_u32_e32 v1, v35, v32
	v_pk_fma_f32 v[8:9], v[8:9], v[22:23], v[10:11]
	v_add_u32_e32 v10, v36, v32
	ds_read_b64 v[22:23], v1 offset:8192
	ds_read_b64 v[28:29], v10 offset:8192
	s_waitcnt lgkmcnt(2)
	v_mfma_f32_16x16x16_bf16 a[0:3], v[20:21], v[14:15], a[0:3]
	s_waitcnt vmcnt(0)
	v_mov_b32_e32 v10, v25
	v_mul_f32_e32 v1, 0x3fb8aa3b, v24
	v_mov_b32_e32 v11, v26
	s_waitcnt lgkmcnt(1)
	v_mfma_f32_16x16x16_bf16 a[0:3], v[22:23], v[16:17], a[0:3]
	v_exp_f32_e32 v24, v1
	v_mul_f32_e32 v1, 0x3fb8aa3b, v10
	v_mov_b32_e32 v12, v27
	v_exp_f32_e32 v25, v1
	v_mul_f32_e32 v1, 0x3fb8aa3b, v11
	v_exp_f32_e32 v10, v1
	v_mul_f32_e32 v1, 0x3fb8aa3b, v12
	s_waitcnt lgkmcnt(0)
	v_mfma_f32_16x16x16_bf16 a[0:3], v[28:29], v[18:19], a[0:3]
	v_exp_f32_e32 v11, v1
	v_pk_mul_f32 v[14:15], v[0:1], v[24:25] op_sel_hi:[0,1]
	v_pk_mul_f32 v[0:1], v[0:1], v[10:11] op_sel_hi:[0,1]
	s_nop 3
	v_accvgpr_read_b32 v17, a1
	v_accvgpr_read_b32 v13, a3
	;; [unrolled: 1-line block ×4, first 2 shown]
	v_pk_fma_f32 v[2:3], v[2:3], v[14:15], v[16:17]
	v_pk_fma_f32 v[4:5], v[4:5], v[0:1], v[12:13]
.LBB706_75:
	s_add_u32 s0, s12, s14
	s_addc_u32 s1, s13, s15
	v_lshl_add_u64 v[0:1], v[54:55], 2, s[0:1]
	v_mov_b32_e32 v57, 0
	v_lshl_add_u64 v[0:1], v[0:1], 0, v[56:57]
	s_waitcnt vmcnt(1)
	global_store_dwordx4 v[0:1], v[6:9], off
	s_waitcnt vmcnt(1)
	global_store_dwordx4 v[0:1], v[2:5], off offset:256
	s_endpgm
	.section	.rodata,"a",@progbits
	.p2align	6, 0x0
	.amdhsa_kernel _ZN12_GLOBAL__N_139chunk_gated_delta_rule_fwd_h_hip_kernelILi16ELb1ELb1ELb0ELb1ELb0ELb1ELb1ELb0EEEvPK12hip_bfloat16S3_S3_PKfS5_PKvPS1_S8_PvPKiSB_iiiiilll
		.amdhsa_group_segment_fixed_size 40960
		.amdhsa_private_segment_fixed_size 0
		.amdhsa_kernarg_size 136
		.amdhsa_user_sgpr_count 2
		.amdhsa_user_sgpr_dispatch_ptr 0
		.amdhsa_user_sgpr_queue_ptr 0
		.amdhsa_user_sgpr_kernarg_segment_ptr 1
		.amdhsa_user_sgpr_dispatch_id 0
		.amdhsa_user_sgpr_kernarg_preload_length 0
		.amdhsa_user_sgpr_kernarg_preload_offset 0
		.amdhsa_user_sgpr_private_segment_size 0
		.amdhsa_uses_dynamic_stack 0
		.amdhsa_enable_private_segment 0
		.amdhsa_system_sgpr_workgroup_id_x 1
		.amdhsa_system_sgpr_workgroup_id_y 1
		.amdhsa_system_sgpr_workgroup_id_z 0
		.amdhsa_system_sgpr_workgroup_info 0
		.amdhsa_system_vgpr_workitem_id 0
		.amdhsa_next_free_vgpr 128
		.amdhsa_next_free_sgpr 65
		.amdhsa_accum_offset 116
		.amdhsa_reserve_vcc 1
		.amdhsa_float_round_mode_32 0
		.amdhsa_float_round_mode_16_64 0
		.amdhsa_float_denorm_mode_32 3
		.amdhsa_float_denorm_mode_16_64 3
		.amdhsa_dx10_clamp 1
		.amdhsa_ieee_mode 1
		.amdhsa_fp16_overflow 0
		.amdhsa_tg_split 0
		.amdhsa_exception_fp_ieee_invalid_op 0
		.amdhsa_exception_fp_denorm_src 0
		.amdhsa_exception_fp_ieee_div_zero 0
		.amdhsa_exception_fp_ieee_overflow 0
		.amdhsa_exception_fp_ieee_underflow 0
		.amdhsa_exception_fp_ieee_inexact 0
		.amdhsa_exception_int_div_zero 0
	.end_amdhsa_kernel
	.section	.text._ZN12_GLOBAL__N_139chunk_gated_delta_rule_fwd_h_hip_kernelILi16ELb1ELb1ELb0ELb1ELb0ELb1ELb1ELb0EEEvPK12hip_bfloat16S3_S3_PKfS5_PKvPS1_S8_PvPKiSB_iiiiilll,"axG",@progbits,_ZN12_GLOBAL__N_139chunk_gated_delta_rule_fwd_h_hip_kernelILi16ELb1ELb1ELb0ELb1ELb0ELb1ELb1ELb0EEEvPK12hip_bfloat16S3_S3_PKfS5_PKvPS1_S8_PvPKiSB_iiiiilll,comdat
.Lfunc_end706:
	.size	_ZN12_GLOBAL__N_139chunk_gated_delta_rule_fwd_h_hip_kernelILi16ELb1ELb1ELb0ELb1ELb0ELb1ELb1ELb0EEEvPK12hip_bfloat16S3_S3_PKfS5_PKvPS1_S8_PvPKiSB_iiiiilll, .Lfunc_end706-_ZN12_GLOBAL__N_139chunk_gated_delta_rule_fwd_h_hip_kernelILi16ELb1ELb1ELb0ELb1ELb0ELb1ELb1ELb0EEEvPK12hip_bfloat16S3_S3_PKfS5_PKvPS1_S8_PvPKiSB_iiiiilll
                                        ; -- End function
	.section	.AMDGPU.csdata,"",@progbits
; Kernel info:
; codeLenInByte = 8084
; NumSgprs: 71
; NumVgprs: 116
; NumAgprs: 12
; TotalNumVgprs: 128
; ScratchSize: 0
; MemoryBound: 0
; FloatMode: 240
; IeeeMode: 1
; LDSByteSize: 40960 bytes/workgroup (compile time only)
; SGPRBlocks: 8
; VGPRBlocks: 15
; NumSGPRsForWavesPerEU: 71
; NumVGPRsForWavesPerEU: 128
; AccumOffset: 116
; Occupancy: 1
; WaveLimiterHint : 1
; COMPUTE_PGM_RSRC2:SCRATCH_EN: 0
; COMPUTE_PGM_RSRC2:USER_SGPR: 2
; COMPUTE_PGM_RSRC2:TRAP_HANDLER: 0
; COMPUTE_PGM_RSRC2:TGID_X_EN: 1
; COMPUTE_PGM_RSRC2:TGID_Y_EN: 1
; COMPUTE_PGM_RSRC2:TGID_Z_EN: 0
; COMPUTE_PGM_RSRC2:TIDIG_COMP_CNT: 0
; COMPUTE_PGM_RSRC3_GFX90A:ACCUM_OFFSET: 28
; COMPUTE_PGM_RSRC3_GFX90A:TG_SPLIT: 0
	.section	.text._ZN12_GLOBAL__N_139chunk_gated_delta_rule_fwd_h_hip_kernelILi16ELb1ELb0ELb1ELb1ELb0ELb1ELb1ELb0EEEvPK12hip_bfloat16S3_S3_PKfS5_PKvPS1_S8_PvPKiSB_iiiiilll,"axG",@progbits,_ZN12_GLOBAL__N_139chunk_gated_delta_rule_fwd_h_hip_kernelILi16ELb1ELb0ELb1ELb1ELb0ELb1ELb1ELb0EEEvPK12hip_bfloat16S3_S3_PKfS5_PKvPS1_S8_PvPKiSB_iiiiilll,comdat
	.globl	_ZN12_GLOBAL__N_139chunk_gated_delta_rule_fwd_h_hip_kernelILi16ELb1ELb0ELb1ELb1ELb0ELb1ELb1ELb0EEEvPK12hip_bfloat16S3_S3_PKfS5_PKvPS1_S8_PvPKiSB_iiiiilll ; -- Begin function _ZN12_GLOBAL__N_139chunk_gated_delta_rule_fwd_h_hip_kernelILi16ELb1ELb0ELb1ELb1ELb0ELb1ELb1ELb0EEEvPK12hip_bfloat16S3_S3_PKfS5_PKvPS1_S8_PvPKiSB_iiiiilll
	.p2align	8
	.type	_ZN12_GLOBAL__N_139chunk_gated_delta_rule_fwd_h_hip_kernelILi16ELb1ELb0ELb1ELb1ELb0ELb1ELb1ELb0EEEvPK12hip_bfloat16S3_S3_PKfS5_PKvPS1_S8_PvPKiSB_iiiiilll,@function
_ZN12_GLOBAL__N_139chunk_gated_delta_rule_fwd_h_hip_kernelILi16ELb1ELb0ELb1ELb1ELb0ELb1ELb1ELb0EEEvPK12hip_bfloat16S3_S3_PKfS5_PKvPS1_S8_PvPKiSB_iiiiilll: ; @_ZN12_GLOBAL__N_139chunk_gated_delta_rule_fwd_h_hip_kernelILi16ELb1ELb0ELb1ELb1ELb0ELb1ELb1ELb0EEEvPK12hip_bfloat16S3_S3_PKfS5_PKvPS1_S8_PvPKiSB_iiiiilll
; %bb.0:
	s_load_dwordx4 s[12:15], s[0:1], 0x5c
	s_load_dwordx4 s[4:7], s[0:1], 0x48
	s_abs_i32 s9, s3
	s_ashr_i32 s8, s3, 31
	v_and_b32_e32 v64, 15, v0
	s_waitcnt lgkmcnt(0)
	s_abs_i32 s10, s13
	v_cvt_f32_u32_e32 v1, s10
	s_sub_i32 s16, 0, s10
	s_ashr_i32 s11, s13, 31
	s_xor_b32 s8, s8, s11
	v_rcp_iflag_f32_e32 v1, v1
	v_lshrrev_b32_e32 v62, 6, v0
	v_bfe_u32 v63, v0, 4, 2
	v_mov_b32_e32 v5, 0
	v_mul_f32_e32 v1, 0x4f7ffffe, v1
	v_cvt_u32_f32_e32 v1, v1
	v_and_b32_e32 v53, 63, v0
	v_lshrrev_b32_e32 v66, 3, v53
	v_lshlrev_b32_e32 v65, 3, v0
	v_readfirstlane_b32 s17, v1
	s_mul_i32 s16, s16, s17
	s_mul_hi_u32 s16, s17, s16
	s_add_i32 s17, s17, s16
	s_mul_hi_u32 s16, s9, s17
	s_mul_i32 s17, s16, s10
	s_sub_i32 s9, s9, s17
	s_add_i32 s18, s16, 1
	s_sub_i32 s17, s9, s10
	s_cmp_ge_u32 s9, s10
	s_cselect_b32 s16, s18, s16
	s_cselect_b32 s9, s17, s9
	s_add_i32 s17, s16, 1
	s_cmp_ge_u32 s9, s10
	s_cselect_b32 s9, s17, s16
	s_xor_b32 s9, s9, s8
	s_sub_i32 s20, s9, s8
	s_mul_i32 s24, s20, s13
	s_ashr_i32 s21, s20, 31
	s_sub_i32 s49, s3, s24
	s_lshl_b64 s[8:9], s[20:21], 2
	s_add_u32 s4, s4, s8
	s_addc_u32 s5, s5, s9
	s_add_u32 s22, s6, s8
	s_addc_u32 s23, s7, s9
	s_abs_i32 s3, s14
	v_cvt_f32_u32_e32 v1, s3
	s_load_dwordx2 s[34:35], s[4:5], 0x0
	s_lshl_b32 s40, s2, 4
	s_ashr_i32 s2, s14, 31
	v_rcp_iflag_f32_e32 v1, v1
	s_xor_b32 s2, s11, s2
	s_waitcnt lgkmcnt(0)
	s_sub_i32 s52, s35, s34
	s_ashr_i32 s4, s52, 31
	v_mul_f32_e32 v1, 0x4f7ffffe, v1
	v_cvt_u32_f32_e32 v1, v1
	s_lshr_b32 s4, s4, 26
	s_add_i32 s4, s52, s4
	s_ashr_i32 s50, s4, 6
	s_sub_i32 s4, 0, s3
	v_readfirstlane_b32 s5, v1
	s_mul_i32 s4, s4, s5
	s_mul_hi_u32 s4, s5, s4
	s_add_i32 s5, s5, s4
	s_mul_hi_u32 s4, s10, s5
	s_mul_i32 s5, s4, s3
	s_sub_i32 s5, s10, s5
	s_add_i32 s6, s4, 1
	s_sub_i32 s7, s5, s3
	s_cmp_ge_u32 s5, s3
	s_cselect_b32 s4, s6, s4
	s_cselect_b32 s5, s7, s5
	s_add_i32 s6, s4, 1
	s_cmp_ge_u32 s5, s3
	s_cselect_b32 s3, s6, s4
	s_xor_b32 s3, s3, s2
	s_sub_i32 s2, s3, s2
	s_abs_i32 s3, s2
	v_cvt_f32_u32_e32 v1, s3
	s_sub_i32 s5, 0, s3
	s_abs_i32 s4, s49
	s_xor_b32 s2, s49, s2
	v_rcp_iflag_f32_e32 v1, v1
	s_ashr_i32 s2, s2, 31
	s_load_dwordx4 s[16:19], s[0:1], 0x28
	s_load_dwordx2 s[28:29], s[0:1], 0x38
	v_or_b32_e32 v54, s40, v64
	v_mul_f32_e32 v1, 0x4f7ffffe, v1
	v_cvt_u32_f32_e32 v1, v1
	v_lshlrev_b32_e32 v2, 7, v54
	v_ashrrev_i32_e32 v3, 31, v2
	s_mul_hi_i32 s55, s49, s12
	v_readfirstlane_b32 s6, v1
	s_mul_i32 s5, s5, s6
	s_mul_hi_u32 s5, s6, s5
	s_add_i32 s6, s6, s5
	s_mul_hi_u32 s5, s4, s6
	s_mul_i32 s6, s5, s3
	s_sub_i32 s4, s4, s6
	s_add_i32 s6, s5, 1
	s_sub_i32 s7, s4, s3
	s_cmp_ge_u32 s4, s3
	s_cselect_b32 s5, s6, s5
	s_cselect_b32 s4, s7, s4
	s_add_i32 s6, s5, 1
	s_cmp_ge_u32 s4, s3
	s_cselect_b32 s3, s6, s5
	s_xor_b32 s3, s3, s2
	s_sub_i32 s53, s3, s2
	s_ashr_i32 s51, s49, 31
	s_mul_hi_i32 s3, s20, s13
	s_add_u32 s2, s24, s49
	s_addc_u32 s3, s3, s51
	s_lshl_b64 s[2:3], s[2:3], 16
	v_lshlrev_b32_e32 v1, 4, v62
	s_waitcnt lgkmcnt(0)
	s_add_u32 s2, s16, s2
	v_lshl_or_b32 v67, v63, 2, v1
	s_addc_u32 s3, s17, s3
	v_lshl_add_u64 v[2:3], v[2:3], 2, s[2:3]
	v_lshlrev_b32_e32 v4, 2, v67
	v_lshl_add_u64 v[10:11], v[2:3], 0, v[4:5]
	global_load_dwordx4 v[6:9], v[10:11], off
	global_load_dwordx4 v[2:5], v[10:11], off offset:256
	s_load_dwordx8 s[4:11], s[0:1], 0x0
	s_load_dwordx2 s[30:31], s[0:1], 0x80
	s_load_dwordx4 s[24:27], s[0:1], 0x70
	s_load_dword s54, s[22:23], 0x0
	v_or_b32_e32 v68, 64, v67
	s_cmp_lt_i32 s52, 64
	s_mul_i32 s56, s49, s12
	s_waitcnt lgkmcnt(0)
	s_mul_i32 s33, s20, s25
	s_mul_hi_u32 s45, s20, s24
	s_mul_i32 s46, s21, s24
	s_mul_i32 s38, s20, s24
	;; [unrolled: 1-line block ×3, first 2 shown]
	s_mul_hi_u32 s47, s49, s26
	s_mul_i32 s48, s51, s26
	s_mul_i32 s36, s49, s26
	s_cbranch_scc1 .LBB707_18
; %bb.1:
	s_ashr_i32 s3, s34, 31
	s_add_u32 s2, s56, s34
	s_addc_u32 s3, s55, s3
	s_lshl_b64 s[2:3], s[2:3], 8
	v_and_b32_e32 v70, 56, v65
	s_add_u32 s20, s6, s2
	v_lshl_or_b32 v69, v62, 3, v66
	v_lshlrev_b32_e32 v10, 1, v70
	s_addc_u32 s2, s7, s3
	v_lshl_or_b32 v71, v69, 8, v10
	s_and_b32 s21, s2, 0xffff
	s_mov_b32 s23, 0x20000
	s_movk_i32 s22, 0x4000
	s_movk_i32 s2, 0x80
	v_or_b32_e32 v72, 0x2000, v71
	buffer_load_dwordx4 v[12:15], v71, s[20:23], 0 offen
	buffer_load_dwordx4 v[16:19], v71, s[20:23], s2 offen
	buffer_load_dwordx4 v[20:23], v72, s[20:23], 0 offen
	buffer_load_dwordx4 v[24:27], v72, s[20:23], s2 offen
	v_lshlrev_b32_e32 v11, 3, v69
	v_and_or_b32 v29, v0, 7, v11
	v_and_b32_e32 v11, 0x78, v11
	v_lshlrev_b32_e32 v29, 4, v29
	v_xor_b32_e32 v73, v29, v11
	v_mul_lo_u32 v28, v69, s15
	v_or_b32_e32 v74, 0x1000, v73
	v_xor_b32_e32 v11, 8, v73
	s_cmpk_eq_i32 s15, 0x80
	s_mov_b32 s57, s34
	v_xor_b32_e32 v29, 8, v74
	s_cselect_b64 s[2:3], -1, 0
	s_cmpk_lg_i32 s15, 0x80
	s_waitcnt vmcnt(3)
	ds_write_b64 v73, v[12:13] offset:16384
	ds_write_b64 v11, v[14:15] offset:16384
	s_waitcnt vmcnt(2)
	ds_write_b64 v73, v[16:17] offset:24576
	ds_write_b64 v11, v[18:19] offset:24576
	;; [unrolled: 3-line block ×4, first 2 shown]
	v_lshl_add_u32 v11, v28, 1, v70
	s_cbranch_scc0 .LBB707_3
; %bb.2:
	v_lshlrev_b32_e32 v13, 1, v11
	v_add_lshl_u32 v12, v11, s15, 1
	s_lshl_b32 s22, s15, 7
	s_load_dwordx2 s[16:17], s[0:1], 0x20
	v_lshl_or_b32 v10, v69, 9, v10
	s_cbranch_execz .LBB707_4
	s_branch .LBB707_5
.LBB707_3:
                                        ; implicit-def: $vgpr12
                                        ; implicit-def: $vgpr13
                                        ; implicit-def: $sgpr22
	s_load_dwordx2 s[16:17], s[0:1], 0x20
	v_lshl_or_b32 v10, v69, 9, v10
.LBB707_4:
	v_or_b32_e32 v12, 0x100, v10
	s_movk_i32 s22, 0x4000
	v_mov_b32_e32 v13, v10
.LBB707_5:
	s_mul_i32 s0, s34, s14
	s_ashr_i32 s58, s53, 31
	s_mul_hi_i32 s1, s34, s14
	s_add_u32 s0, s0, s53
	s_addc_u32 s1, s1, s58
	s_lshl_b64 s[0:1], s[0:1], 8
	s_add_u32 s20, s4, s0
	s_addc_u32 s0, s5, s1
	s_and_b32 s21, s0, 0xffff
	s_movk_i32 s59, 0x80
	buffer_load_dwordx4 v[14:17], v13, s[20:23], 0 offen
	buffer_load_dwordx4 v[18:21], v13, s[20:23], s59 offen
	;; [unrolled: 1-line block ×4, first 2 shown]
	v_and_b32_e32 v12, 6, v0
	v_lshlrev_b32_e32 v30, 2, v64
	v_lshlrev_b32_e32 v31, 3, v64
	v_xor_b32_e32 v35, v69, v12
	v_and_b32_e32 v13, 1, v0
	v_lshl_or_b32 v31, v67, 5, v31
	v_xor_b32_e32 v36, v67, v30
	v_lshlrev_b32_e32 v35, 2, v35
	s_add_i32 s0, s45, s33
	v_or_b32_e32 v75, 0x9000, v31
	v_or_b32_e32 v76, 0x9800, v31
	v_lshlrev_b32_e32 v31, 1, v36
	v_xor_b32_e32 v36, 0x440, v35
	v_cmp_eq_u32_e32 vcc, 0, v13
	s_add_i32 s1, s47, s44
	s_add_i32 s39, s0, s46
	v_cndmask_b32_e32 v13, v36, v35, vcc
	s_add_i32 s37, s1, s48
	s_lshl_b64 s[0:1], s[38:39], 2
	s_mov_b32 s60, 0x1000504
	s_mov_b32 s61, 0x3020706
	v_lshlrev_b32_e32 v32, 8, v64
	s_mov_b32 s20, 0x8000
	v_xor_b32_e32 v30, v68, v30
	v_lshl_or_b32 v12, v12, 10, v13
	s_add_u32 s21, s10, s0
	v_or_b32_e32 v33, v1, v64
	v_lshlrev_b32_e32 v30, 1, v30
	v_or3_b32 v77, v31, v32, s20
	v_xor_b32_e32 v13, 8, v12
	v_xor_b32_e32 v31, 24, v12
	;; [unrolled: 1-line block ×4, first 2 shown]
	s_addc_u32 s22, s11, s1
	s_lshl_b64 s[0:1], s[36:37], 2
	v_or3_b32 v78, v30, v32, s20
	v_xor_b32_e32 v30, 16, v12
	v_xor_b32_e32 v32, 32, v12
	;; [unrolled: 1-line block ×3, first 2 shown]
	v_add_u32_e32 v13, 0x80, v13
	v_add_u32_e32 v31, 0x80, v31
	;; [unrolled: 1-line block ×4, first 2 shown]
	s_add_u32 s42, s21, s0
	s_movk_i32 s0, 0xf8
	s_addc_u32 s43, s22, s1
	s_ashr_i32 s41, s40, 31
	v_ashrrev_i32_e32 v55, 31, v54
	s_lshl_b32 s26, s15, 7
	v_lshrrev_b32_e32 v34, 2, v53
	s_mov_b32 s62, 0
	s_mov_b32 s37, 0x7060302
	s_movk_i32 s22, 0x4000
	v_mov_b32_e32 v98, 0x3fb8aa3b
	s_waitcnt vmcnt(1)
	v_perm_b32 v38, v14, v22, s60
	s_waitcnt vmcnt(0)
	v_perm_b32 v39, v18, v26, s60
	v_perm_b32 v14, v14, v22, s61
	;; [unrolled: 1-line block ×15, first 2 shown]
	ds_write2st64_b32 v12, v38, v39 offset1:32
	ds_write2st64_b32 v13, v14, v18 offset1:32
	ds_write2st64_b32 v30, v22, v26 offset0:1 offset1:33
	ds_write2st64_b32 v31, v15, v19 offset0:1 offset1:33
	ds_write2st64_b32 v32, v23, v27 offset0:2 offset1:34
	ds_write2st64_b32 v35, v16, v20 offset0:2 offset1:34
	ds_write2st64_b32 v36, v24, v28 offset0:3 offset1:35
	ds_write2st64_b32 v37, v17, v21 offset0:3 offset1:35
	v_lshlrev_b32_e32 v12, 3, v33
	v_lshrrev_b32_e32 v14, 5, v53
	v_and_or_b32 v14, v12, s0, v14
	v_lshlrev_b32_e32 v14, 4, v14
	v_lshlrev_b32_e32 v21, 11, v62
	v_and_b32_e32 v12, 0x78, v12
	v_or_b32_e32 v17, 32, v14
	v_and_b32_e32 v13, 0x1000, v21
	v_lshrrev_b32_e32 v16, 1, v53
	v_xor_b32_e32 v17, v17, v12
	v_and_b32_e32 v16, 8, v16
	v_or_b32_e32 v17, v17, v13
	v_xor_b32_e32 v15, v14, v12
	v_xor_b32_e32 v81, v17, v16
	v_or_b32_e32 v17, 64, v14
	v_or_b32_e32 v14, 0x60, v14
	v_xor_b32_e32 v17, v17, v12
	v_xor_b32_e32 v12, v14, v12
	v_or_b32_e32 v15, v15, v13
	v_or_b32_e32 v17, v17, v13
	;; [unrolled: 1-line block ×3, first 2 shown]
	v_xor_b32_e32 v79, v15, v16
	v_xor_b32_e32 v82, v17, v16
	;; [unrolled: 1-line block ×3, first 2 shown]
	v_lshrrev_b32_e32 v16, 4, v0
	v_lshlrev_b32_e32 v17, 1, v64
	v_or_b32_e32 v18, 1, v17
	v_xor_b32_e32 v17, v16, v17
	s_lshl_b64 s[0:1], s[40:41], 8
	v_xor_b32_e32 v18, v18, v16
	v_lshlrev_b32_e32 v17, 3, v17
	v_lshlrev_b32_e32 v16, 8, v16
	v_lshlrev_b64 v[12:13], 1, v[54:55]
	s_add_u32 s0, s18, s0
	v_or3_b32 v55, v17, v16, s20
	v_lshlrev_b32_e32 v17, 3, v18
	s_addc_u32 s1, s19, s1
	v_or3_b32 v85, v17, v16, s20
	v_mov_b32_e32 v17, 0
	v_lshrrev_b32_e32 v27, 1, v0
	v_lshl_add_u64 v[18:19], s[0:1], 0, v[16:17]
	v_lshlrev_b32_e32 v16, 4, v64
	s_movk_i32 s0, 0xff
	v_lshlrev_b32_e32 v26, 3, v62
	v_and_b32_e32 v27, 24, v27
	v_lshl_add_u64 v[56:57], v[18:19], 0, v[16:17]
	v_and_b32_e32 v16, 7, v0
	v_and_b32_e32 v19, 8, v0
	v_cmp_lt_u32_e32 vcc, s0, v0
	v_xor_b32_e32 v28, v26, v27
	v_lshlrev_b32_e32 v24, 3, v16
	v_lshlrev_b32_e32 v25, 7, v16
	v_cndmask_b32_e64 v16, 0, 1, vcc
	v_or_b32_e32 v29, 0x440, v28
	v_cmp_eq_u32_e32 vcc, 0, v19
	v_or_b32_e32 v31, 64, v27
	v_xor_b32_e32 v31, v26, v31
	v_cndmask_b32_e32 v19, v29, v28, vcc
	v_or_b32_e32 v29, 32, v27
	v_or_b32_e32 v27, 0x60, v27
	v_xor_b32_e32 v29, v26, v29
	v_xor_b32_e32 v26, v26, v27
	v_or_b32_e32 v30, 0x440, v29
	v_xor_b32_e32 v32, 0x440, v31
	v_xor_b32_e32 v27, 0x440, v26
	v_cndmask_b32_e32 v29, v30, v29, vcc
	v_cndmask_b32_e32 v31, v32, v31, vcc
	;; [unrolled: 1-line block ×3, first 2 shown]
	v_and_b32_e32 v15, 0x78, v65
	v_or_b32_e32 v19, v19, v21
	v_or_b32_e32 v29, v29, v21
	;; [unrolled: 1-line block ×4, first 2 shown]
	v_and_b32_e32 v20, 12, v34
	v_lshl_or_b32 v15, v63, 7, v15
	v_lshlrev_b32_e32 v16, 13, v16
	v_xor_b32_e32 v19, v19, v24
	v_xor_b32_e32 v29, v29, v24
	;; [unrolled: 1-line block ×4, first 2 shown]
	v_or_b32_e32 v80, 0x9000, v15
	v_or_b32_e32 v84, 0x9800, v15
	v_lshl_add_u64 v[14:15], s[8:9], 0, v[12:13]
	v_lshl_add_u64 v[12:13], s[28:29], 0, v[12:13]
	v_lshlrev_b32_e32 v22, 1, v11
	v_add_lshl_u32 v11, v11, s15, 1
	v_or_b32_e32 v23, 0x100, v10
	v_or_b32_e32 v18, v20, v1
	v_add_u32_e32 v28, v16, v19
	v_add_u32_e32 v30, v16, v29
	;; [unrolled: 1-line block ×4, first 2 shown]
	v_or3_b32 v20, v1, v20, 64
	v_add_u32_e32 v19, 0x2000, v19
	v_add_u32_e32 v26, 0x2000, v29
	v_add_u32_e32 v27, 0x2000, v31
	v_add_u32_e32 v21, 0x2000, v21
	v_lshlrev_b32_e32 v16, 8, v67
	v_cndmask_b32_e64 v86, v22, v10, s[2:3]
	v_cndmask_b32_e64 v87, v11, v23, s[2:3]
	v_lshl_add_u64 v[58:59], v[14:15], 0, v[16:17]
	v_lshl_add_u64 v[60:61], v[12:13], 0, v[16:17]
	v_lshlrev_b32_e32 v88, 2, v18
	v_add_u32_e32 v89, v28, v25
	v_add_u32_e32 v90, v30, v25
	;; [unrolled: 1-line block ×4, first 2 shown]
	v_lshlrev_b32_e32 v93, 2, v20
	v_add_u32_e32 v94, v19, v25
	v_add_u32_e32 v95, v26, v25
	;; [unrolled: 1-line block ×4, first 2 shown]
	s_waitcnt lgkmcnt(0)
	s_barrier
.LBB707_6:                              ; =>This Inner Loop Header: Depth=1
	s_add_i32 s39, s62, 1
	s_cmp_lt_i32 s39, s50
	s_mov_b64 s[24:25], 0
	s_cselect_b64 s[2:3], -1, 0
	s_cmp_ge_i32 s39, s50
	s_mov_b64 s[20:21], 0
	s_cbranch_scc1 .LBB707_8
; %bb.7:                                ;   in Loop: Header=BB707_6 Depth=1
	s_add_i32 s0, s57, 64
	s_ashr_i32 s1, s0, 31
	s_add_u32 s0, s56, s0
	s_addc_u32 s1, s55, s1
	s_lshl_b64 s[0:1], s[0:1], 8
	s_add_u32 s20, s6, s0
	s_addc_u32 s21, s7, s1
.LBB707_8:                              ;   in Loop: Header=BB707_6 Depth=1
	v_cndmask_b32_e64 v10, 0, 1, s[2:3]
	v_cmp_ne_u32_e64 s[0:1], 1, v10
	s_andn2_b64 vcc, exec, s[2:3]
	s_cbranch_vccnz .LBB707_10
; %bb.9:                                ;   in Loop: Header=BB707_6 Depth=1
	s_add_i32 s2, s57, 64
	s_mul_hi_i32 s3, s2, s14
	s_mul_i32 s2, s2, s14
	s_add_u32 s2, s2, s53
	s_addc_u32 s3, s3, s58
	s_lshl_b64 s[2:3], s[2:3], 8
	s_add_u32 s24, s4, s2
	s_addc_u32 s25, s5, s3
.LBB707_10:                             ;   in Loop: Header=BB707_6 Depth=1
	v_perm_b32 v11, v9, v8, s37
	v_perm_b32 v10, v7, v6, s37
	;; [unrolled: 1-line block ×4, first 2 shown]
	ds_write_b64 v75, v[10:11]
	ds_write_b64 v76, v[12:13]
	;; [unrolled: 1-line block ×4, first 2 shown]
	s_waitcnt lgkmcnt(0)
	s_barrier
	ds_read_b64 v[18:19], v79 offset:16384
	ds_read_b64 v[20:21], v81 offset:16384
	ds_read2st64_b64 v[10:13], v80 offset1:1
	s_waitcnt lgkmcnt(0)
	v_mfma_f32_16x16x16_bf16 a[0:3], v[18:19], v[10:11], 0
	ds_read2st64_b64 v[14:17], v80 offset0:2 offset1:3
	ds_read_b64 v[22:23], v82 offset:16384
	ds_read_b64 v[10:11], v83 offset:16384
	s_add_i32 s41, s57, 63
	v_mfma_f32_16x16x16_bf16 a[0:3], v[20:21], v[12:13], a[0:3]
	s_ashr_i32 s2, s41, 31
	s_mul_i32 s3, s41, s31
	s_mul_hi_u32 s27, s41, s30
	s_waitcnt lgkmcnt(1)
	v_mfma_f32_16x16x16_bf16 a[0:3], v[22:23], v[14:15], a[0:3]
	s_add_i32 s3, s27, s3
	s_mul_i32 s2, s2, s30
	s_add_i32 s3, s3, s2
	s_mul_i32 s2, s41, s30
	s_waitcnt lgkmcnt(0)
	v_mfma_f32_16x16x16_bf16 a[0:3], v[10:11], v[16:17], a[0:3]
	s_lshl_b64 s[2:3], s[2:3], 2
	s_add_u32 s2, s42, s2
	s_addc_u32 s3, s43, s3
	s_and_b64 vcc, exec, s[0:1]
	v_mov_b32_e32 v101, 0
	v_mov_b32_e32 v100, 0
	;; [unrolled: 1-line block ×19, first 2 shown]
	s_cbranch_vccnz .LBB707_12
; %bb.11:                               ;   in Loop: Header=BB707_6 Depth=1
	s_and_b32 s21, s21, 0xffff
	buffer_load_dwordx4 v[22:25], v71, s[20:23], 0 offen
	buffer_load_dwordx4 v[18:21], v71, s[20:23], s59 offen
	;; [unrolled: 1-line block ×4, first 2 shown]
	v_mov_b32_e32 v100, v73
	v_mov_b32_e32 v99, v74
.LBB707_12:                             ;   in Loop: Header=BB707_6 Depth=1
	v_add_u32_e32 v30, s57, v67
	v_ashrrev_i32_e32 v26, 31, v30
	v_mul_lo_u32 v28, v26, s30
	v_mul_lo_u32 v29, v30, s31
	v_mad_u64_u32 v[26:27], s[20:21], v30, s30, 0
	v_add3_u32 v27, v27, v29, v28
	v_lshl_add_u64 v[26:27], v[26:27], 2, s[42:43]
	global_load_dword v42, v[26:27], off
	v_add_u32_e32 v26, 1, v30
	v_ashrrev_i32_e32 v27, 31, v26
	v_mul_lo_u32 v28, v27, s30
	v_mul_lo_u32 v29, v26, s31
	v_mad_u64_u32 v[26:27], s[20:21], v26, s30, 0
	v_add3_u32 v27, v27, v29, v28
	v_add_u32_e32 v28, 2, v30
	v_ashrrev_i32_e32 v29, 31, v28
	v_mul_lo_u32 v31, v29, s30
	v_mul_lo_u32 v32, v28, s31
	v_mad_u64_u32 v[28:29], s[20:21], v28, s30, 0
	v_add_u32_e32 v30, 3, v30
	v_add3_u32 v29, v29, v32, v31
	v_ashrrev_i32_e32 v31, 31, v30
	v_mul_lo_u32 v34, v31, s30
	v_mul_lo_u32 v35, v30, s31
	v_mad_u64_u32 v[30:31], s[20:21], v30, s30, 0
	s_ashr_i32 s21, s57, 31
	s_add_u32 s20, s56, s57
	s_addc_u32 s21, s55, s21
	s_lshl_b64 s[20:21], s[20:21], 8
	v_lshl_add_u64 v[26:27], v[26:27], 2, s[42:43]
	v_lshl_add_u64 v[32:33], v[58:59], 0, s[20:21]
	v_add3_u32 v31, v31, v35, v34
	v_lshl_add_u64 v[28:29], v[28:29], 2, s[42:43]
	global_load_ushort v43, v[32:33], off
	global_load_ushort v44, v[32:33], off offset:256
	global_load_ushort v45, v[32:33], off offset:512
	;; [unrolled: 1-line block ×3, first 2 shown]
	v_lshl_add_u64 v[30:31], v[30:31], 2, s[42:43]
	global_load_dword v47, v[26:27], off
	global_load_dword v48, v[28:29], off
	;; [unrolled: 1-line block ×3, first 2 shown]
	ds_read_b64 v[30:31], v79 offset:24576
	ds_read_b64 v[36:37], v81 offset:24576
	ds_read2st64_b64 v[26:29], v84 offset1:1
	s_waitcnt lgkmcnt(0)
	v_mfma_f32_16x16x16_bf16 a[0:3], v[30:31], v[26:27], a[0:3]
	s_load_dword s2, s[2:3], 0x0
	ds_read2st64_b64 v[32:35], v84 offset0:2 offset1:3
	ds_read_b64 v[38:39], v82 offset:24576
	ds_read_b64 v[40:41], v83 offset:24576
	v_mov_b32_e32 v102, 0
	v_mfma_f32_16x16x16_bf16 a[0:3], v[36:37], v[28:29], a[0:3]
	v_mov_b32_e32 v26, 0
	v_mov_b32_e32 v27, 0
	;; [unrolled: 1-line block ×3, first 2 shown]
	s_waitcnt lgkmcnt(0)
	v_mfma_f32_16x16x16_bf16 a[0:3], v[38:39], v[32:33], a[0:3]
	v_lshl_add_u64 v[32:33], v[60:61], 0, s[20:21]
	v_mov_b32_e32 v29, 0
	v_mov_b32_e32 v30, 0
	v_mfma_f32_16x16x16_bf16 a[0:3], v[40:41], v[34:35], a[0:3]
	v_mov_b32_e32 v31, 0
	s_and_b64 vcc, exec, s[0:1]
	s_waitcnt vmcnt(7)
	v_sub_f32_e32 v42, s2, v42
	s_nop 2
	v_accvgpr_read_b32 v37, a1
	v_accvgpr_read_b32 v35, a3
	;; [unrolled: 1-line block ×4, first 2 shown]
	v_mul_f32_e32 v42, 0x3fb8aa3b, v42
	s_waitcnt vmcnt(6)
	v_lshlrev_b32_e32 v38, 16, v43
	s_waitcnt vmcnt(5)
	v_lshlrev_b32_e32 v39, 16, v44
	;; [unrolled: 2-line block ×4, first 2 shown]
	s_waitcnt vmcnt(2)
	v_sub_f32_e32 v43, s2, v47
	s_waitcnt vmcnt(1)
	v_sub_f32_e32 v44, s2, v48
	;; [unrolled: 2-line block ×3, first 2 shown]
	v_pk_add_f32 v[36:37], v[38:39], v[36:37] neg_lo:[0,1] neg_hi:[0,1]
	v_pk_add_f32 v[34:35], v[40:41], v[34:35] neg_lo:[0,1] neg_hi:[0,1]
	v_mul_f32_e32 v39, 0x3fb8aa3b, v43
	v_mul_f32_e32 v40, 0x3fb8aa3b, v44
	;; [unrolled: 1-line block ×3, first 2 shown]
	v_exp_f32_e32 v38, v42
	v_exp_f32_e32 v39, v39
	v_exp_f32_e32 v40, v40
	v_exp_f32_e32 v41, v41
	global_store_short_d16_hi v[32:33], v36, off
	global_store_short_d16_hi v[32:33], v37, off offset:256
	global_store_short_d16_hi v[32:33], v34, off offset:512
	global_store_short_d16_hi v[32:33], v35, off offset:768
	v_pk_mul_f32 v[32:33], v[38:39], v[36:37]
	v_pk_mul_f32 v[34:35], v[40:41], v[34:35]
	v_perm_b32 v32, v33, v32, s37
	v_perm_b32 v33, v35, v34, s37
	ds_write_b64 v76, v[32:33]
	v_mov_b32_e32 v32, 0
	v_mov_b32_e32 v33, 0
	;; [unrolled: 1-line block ×10, first 2 shown]
	s_cbranch_vccnz .LBB707_14
; %bb.13:                               ;   in Loop: Header=BB707_6 Depth=1
	s_and_b32 s25, s25, 0xffff
	s_mov_b32 s27, s23
	buffer_load_dwordx4 v[38:41], v86, s[24:27], 0 offen
	buffer_load_dwordx4 v[30:33], v86, s[24:27], s59 offen
	buffer_load_dwordx4 v[34:37], v87, s[24:27], 0 offen
	buffer_load_dwordx4 v[26:29], v87, s[24:27], s59 offen
	v_mov_b32_e32 v101, v70
	v_mov_b32_e32 v102, v69
.LBB707_14:                             ;   in Loop: Header=BB707_6 Depth=1
	s_waitcnt lgkmcnt(0)
	s_barrier
	ds_read_b64 v[42:43], v89
	ds_read_b64 v[48:49], v90
	ds_read2st64_b64 v[44:47], v84 offset1:1
	ds_read2st64_b64 v[104:107], v84 offset0:2 offset1:3
	ds_read_b64 v[50:51], v91
	ds_read_b64 v[112:113], v92
	s_add_i32 s3, s54, s62
	s_mul_hi_i32 s21, s3, s13
	s_mul_i32 s3, s3, s13
	s_waitcnt lgkmcnt(3)
	v_mfma_f32_16x16x16_bf16 a[0:3], v[42:43], v[44:45], 0
	ds_read_b64 v[42:43], v94
	s_add_u32 s20, s3, s49
	s_addc_u32 s21, s21, s51
	v_mfma_f32_16x16x16_bf16 a[0:3], v[48:49], v[46:47], a[0:3]
	ds_read_b64 v[48:49], v95
	s_lshl_b64 s[20:21], s[20:21], 15
	s_mul_i32 s24, s41, s13
	s_mul_hi_i32 s3, s41, s13
	s_add_u32 s24, s24, s49
	s_addc_u32 s25, s3, s51
	s_lshl_b64 s[24:25], s[24:25], 9
	s_add_u32 s24, s16, s24
	s_waitcnt lgkmcnt(1)
	v_mfma_f32_16x16x16_bf16 a[4:7], v[42:43], v[44:45], 0
	s_addc_u32 s25, s17, s25
	s_and_b64 vcc, exec, s[0:1]
	v_mfma_f32_16x16x16_bf16 a[0:3], v[50:51], v[104:105], a[0:3]
	ds_read_b64 v[50:51], v96
	ds_read_b64 v[114:115], v97
	global_load_dwordx4 v[42:45], v93, s[24:25]
	s_waitcnt lgkmcnt(2)
	v_mfma_f32_16x16x16_bf16 a[4:7], v[48:49], v[46:47], a[4:7]
	global_load_dwordx4 v[46:49], v88, s[24:25]
	ds_read_b64 v[108:109], v55
	ds_read_b64 v[110:111], v85
	s_waitcnt lgkmcnt(3)
	v_mfma_f32_16x16x16_bf16 a[8:11], v[50:51], v[104:105], a[4:7]
	v_lshl_add_u64 v[50:51], v[56:57], 0, s[20:21]
	s_waitcnt lgkmcnt(0)
	global_store_dwordx4 v[50:51], v[108:111], off
	v_mfma_f32_16x16x16_bf16 a[4:7], v[112:113], v[106:107], a[0:3]
	s_waitcnt vmcnt(2)
	v_mov_b32_e32 v52, v45
	v_mfma_f32_16x16x16_bf16 a[0:3], v[114:115], v[106:107], a[8:11]
	v_mov_b32_e32 v51, v44
	v_mov_b32_e32 v50, v43
	s_cbranch_vccnz .LBB707_16
; %bb.15:                               ;   in Loop: Header=BB707_6 Depth=1
	v_lshrrev_b32_e32 v43, 3, v101
	v_and_b32_e32 v43, 6, v43
	v_xor_b32_e32 v44, v43, v102
	v_lshlrev_b32_e32 v44, 2, v44
	v_and_b32_e32 v45, 8, v101
	v_xor_b32_e32 v101, 0x440, v44
	v_cmp_eq_u32_e32 vcc, 0, v45
	v_perm_b32 v45, v30, v26, s60
	s_nop 0
	v_cndmask_b32_e32 v44, v101, v44, vcc
	v_lshl_or_b32 v43, v43, 10, v44
	v_perm_b32 v44, v38, v34, s60
	s_barrier
	ds_write2st64_b32 v43, v44, v45 offset1:32
	v_xor_b32_e32 v44, 8, v43
	v_perm_b32 v34, v38, v34, s61
	v_perm_b32 v26, v30, v26, s61
	v_add_u32_e32 v30, 0x80, v44
	ds_write2st64_b32 v30, v34, v26 offset1:32
	v_xor_b32_e32 v26, 16, v43
	v_perm_b32 v30, v39, v35, s60
	v_perm_b32 v34, v31, v27, s60
	ds_write2st64_b32 v26, v30, v34 offset0:1 offset1:33
	v_xor_b32_e32 v26, 24, v43
	v_perm_b32 v30, v39, v35, s61
	v_perm_b32 v27, v31, v27, s61
	v_add_u32_e32 v26, 0x80, v26
	ds_write2st64_b32 v26, v30, v27 offset0:1 offset1:33
	v_xor_b32_e32 v26, 32, v43
	v_perm_b32 v27, v40, v36, s60
	v_perm_b32 v30, v32, v28, s60
	ds_write2st64_b32 v26, v27, v30 offset0:2 offset1:34
	v_xor_b32_e32 v26, 40, v43
	v_perm_b32 v27, v40, v36, s61
	v_perm_b32 v28, v32, v28, s61
	v_add_u32_e32 v26, 0x80, v26
	ds_write2st64_b32 v26, v27, v28 offset0:2 offset1:34
	v_xor_b32_e32 v26, 48, v43
	v_perm_b32 v27, v41, v37, s60
	v_perm_b32 v28, v33, v29, s60
	ds_write2st64_b32 v26, v27, v28 offset0:3 offset1:35
	v_xor_b32_e32 v26, 56, v43
	v_perm_b32 v27, v41, v37, s61
	v_perm_b32 v28, v33, v29, s61
	v_add_u32_e32 v26, 0x80, v26
	ds_write2st64_b32 v26, v27, v28 offset0:3 offset1:35
	ds_write_b64 v100, v[22:23] offset:16384
	v_xor_b32_e32 v22, 8, v100
	ds_write_b64 v22, v[24:25] offset:16384
	ds_write_b64 v100, v[18:19] offset:24576
	;; [unrolled: 1-line block ×4, first 2 shown]
	v_xor_b32_e32 v14, 8, v99
	ds_write_b64 v14, v[16:17] offset:16384
	ds_write_b64 v99, v[10:11] offset:24576
	;; [unrolled: 1-line block ×3, first 2 shown]
.LBB707_16:                             ;   in Loop: Header=BB707_6 Depth=1
	v_mul_f32_e32 v14, s2, v98
	v_exp_f32_e32 v18, v14
	s_waitcnt vmcnt(1)
	v_mul_f32_e32 v14, 0x3fb8aa3b, v46
	v_exp_f32_e32 v20, v14
	v_mul_f32_e32 v14, 0x3fb8aa3b, v47
	v_exp_f32_e32 v21, v14
	;; [unrolled: 2-line block ×4, first 2 shown]
	v_accvgpr_read_b32 v13, a7
	v_accvgpr_read_b32 v11, a5
	;; [unrolled: 1-line block ×3, first 2 shown]
	v_pk_mul_f32 v[20:21], v[18:19], v[20:21] op_sel_hi:[0,1]
	v_pk_fma_f32 v[6:7], v[6:7], v[20:21], v[10:11]
	v_pk_mul_f32 v[10:11], v[18:19], v[22:23] op_sel_hi:[0,1]
	v_mul_f32_e32 v19, 0x3fb8aa3b, v42
	v_exp_f32_e32 v20, v19
	v_mul_f32_e32 v19, 0x3fb8aa3b, v50
	v_exp_f32_e32 v21, v19
	;; [unrolled: 2-line block ×4, first 2 shown]
	v_accvgpr_read_b32 v12, a6
	v_accvgpr_read_b32 v17, a3
	;; [unrolled: 1-line block ×4, first 2 shown]
	v_pk_fma_f32 v[8:9], v[8:9], v[10:11], v[12:13]
	v_pk_mul_f32 v[10:11], v[18:19], v[20:21] op_sel_hi:[0,1]
	v_accvgpr_read_b32 v16, a2
	v_pk_fma_f32 v[2:3], v[2:3], v[10:11], v[14:15]
	v_pk_mul_f32 v[10:11], v[18:19], v[22:23] op_sel_hi:[0,1]
	s_add_i32 s57, s57, 64
	s_cmp_eq_u32 s50, s39
	v_pk_fma_f32 v[4:5], v[4:5], v[10:11], v[16:17]
	s_cbranch_scc1 .LBB707_18
; %bb.17:                               ;   in Loop: Header=BB707_6 Depth=1
	s_mov_b32 s62, s39
	s_branch .LBB707_6
.LBB707_18:
	s_lshl_b32 s26, s50, 6
	s_sub_i32 s27, s52, s26
	s_cmp_gt_i32 s27, 0
	s_cbranch_scc0 .LBB707_75
; %bb.19:
	s_add_i32 s26, s26, s34
	s_ashr_i32 s2, s26, 31
	s_cmpk_lg_i32 s15, 0x80
	s_cselect_b64 s[22:23], -1, 0
	s_and_b64 vcc, exec, s[22:23]
	s_cbranch_vccz .LBB707_21
; %bb.20:
	s_mul_i32 s1, s26, s14
	s_ashr_i32 s3, s53, 31
	s_mul_hi_i32 s0, s26, s14
	s_add_u32 s24, s1, s53
	s_addc_u32 s25, s0, s3
	s_cbranch_execz .LBB707_22
	s_branch .LBB707_23
.LBB707_21:
                                        ; implicit-def: $sgpr24_sgpr25
.LBB707_22:
	s_mul_i32 s1, s53, s12
	s_mul_hi_i32 s0, s53, s12
	s_add_u32 s24, s1, s26
	s_addc_u32 s25, s0, s2
.LBB707_23:
	s_add_i32 s3, s50, s54
	s_add_u32 s0, s56, s26
	s_addc_u32 s1, s55, s2
	s_mov_b32 s2, 0x7060302
	s_waitcnt vmcnt(0)
	v_perm_b32 v5, v5, v4, s2
	v_perm_b32 v4, v3, v2, s2
	v_lshlrev_b32_e32 v2, 3, v64
	s_lshl_b64 s[20:21], s[0:1], 8
	v_perm_b32 v9, v9, v8, s2
	v_perm_b32 v8, v7, v6, s2
	v_lshlrev_b32_e32 v34, 2, v64
	v_lshl_or_b32 v2, v67, 5, v2
	s_add_u32 s0, s6, s20
	ds_write2st64_b64 v2, v[8:9], v[4:5] offset0:72 offset1:76
	v_xor_b32_e32 v2, v67, v34
	v_lshlrev_b32_e32 v3, 8, v64
	s_addc_u32 s1, s7, s21
	v_lshl_or_b32 v2, v2, 1, v3
	s_mul_hi_i32 s6, s3, s13
	s_mul_i32 s3, s3, s13
	ds_write_b64 v2, v[8:9] offset:32768
	v_xor_b32_e32 v2, v68, v34
	s_add_u32 s2, s3, s49
	v_lshl_or_b32 v2, v2, 1, v3
	s_addc_u32 s3, s6, s51
	v_lshlrev_b32_e32 v3, 1, v64
	ds_write_b64 v2, v[4:5] offset:32768
	v_lshrrev_b32_e32 v2, 4, v0
	s_ashr_i32 s41, s40, 31
	s_lshl_b64 s[2:3], s[2:3], 15
	v_or_b32_e32 v4, 1, v3
	s_add_u32 s6, s18, s2
	v_xor_b32_e32 v3, v2, v3
	v_xor_b32_e32 v4, v4, v2
	v_lshlrev_b32_e32 v6, 8, v2
	s_addc_u32 s7, s19, s3
	s_lshl_b64 s[2:3], s[40:41], 8
	v_lshl_or_b32 v2, v3, 3, v6
	v_lshl_or_b32 v4, v4, 3, v6
	s_waitcnt lgkmcnt(0)
	s_barrier
	s_add_u32 s2, s6, s2
	ds_read_b64 v[2:3], v2 offset:32768
	ds_read_b64 v[4:5], v4 offset:32768
	s_addc_u32 s3, s7, s3
	v_mov_b32_e32 v7, 0
	s_cmp_lg_u32 s27, 64
	v_lshl_add_u64 v[8:9], s[2:3], 0, v[6:7]
	v_lshlrev_b32_e32 v6, 4, v64
	s_cselect_b64 s[6:7], -1, 0
	v_lshl_or_b32 v35, v62, 3, v66
	s_mov_b32 s16, 0
	v_lshl_add_u64 v[6:7], v[8:9], 0, v[6:7]
	v_or_b32_e32 v19, 32, v35
	v_and_b32_e32 v18, 56, v65
	s_and_b64 vcc, exec, s[6:7]
	s_waitcnt lgkmcnt(0)
	global_store_dwordx4 v[6:7], v[2:5], off
	s_cbranch_vccz .LBB707_29
; %bb.24:
	s_mov_b32 s17, s16
	s_mov_b32 s18, s16
	;; [unrolled: 1-line block ×3, first 2 shown]
	v_mov_b64_e32 v[6:7], s[16:17]
	v_mov_b64_e32 v[8:9], s[18:19]
	;; [unrolled: 1-line block ×3, first 2 shown]
	v_cmp_gt_i32_e32 vcc, s27, v35
	v_mov_b64_e32 v[4:5], v[8:9]
	s_and_saveexec_b64 s[2:3], vcc
	s_cbranch_execz .LBB707_26
; %bb.25:
	v_lshlrev_b32_e32 v2, 8, v35
	v_mov_b32_e32 v3, 0
	v_lshl_add_u64 v[4:5], s[0:1], 0, v[2:3]
	v_lshlrev_b32_e32 v2, 1, v18
	v_lshl_add_u64 v[10:11], v[4:5], 0, v[2:3]
	global_load_dwordx4 v[6:9], v[10:11], off
	global_load_dwordx4 v[2:5], v[10:11], off offset:128
.LBB707_26:
	s_or_b64 exec, exec, s[2:3]
	s_mov_b32 s17, s16
	s_mov_b32 s18, s16
	;; [unrolled: 1-line block ×3, first 2 shown]
	v_mov_b64_e32 v[14:15], s[16:17]
	v_mov_b64_e32 v[16:17], s[18:19]
	;; [unrolled: 1-line block ×3, first 2 shown]
	v_cmp_gt_i32_e32 vcc, s27, v19
	v_lshlrev_b32_e32 v20, 7, v19
	v_mov_b64_e32 v[12:13], v[16:17]
	s_and_saveexec_b64 s[2:3], vcc
	s_cbranch_execz .LBB707_28
; %bb.27:
	v_lshlrev_b32_e32 v10, 1, v20
	v_mov_b32_e32 v11, 0
	v_lshl_add_u64 v[12:13], s[0:1], 0, v[10:11]
	v_lshlrev_b32_e32 v10, 1, v18
	v_lshl_add_u64 v[22:23], v[12:13], 0, v[10:11]
	global_load_dwordx4 v[14:17], v[22:23], off
	global_load_dwordx4 v[10:13], v[22:23], off offset:128
.LBB707_28:
	s_or_b64 exec, exec, s[2:3]
	v_lshrrev_b32_e32 v21, 3, v18
	v_lshlrev_b32_e32 v22, 3, v35
	v_or_b32_e32 v21, v22, v21
	v_lshlrev_b32_e32 v21, 4, v21
	v_and_b32_e32 v22, 0x78, v22
	v_xor_b32_e32 v21, v21, v22
	s_branch .LBB707_31
.LBB707_29:
                                        ; implicit-def: $vgpr21
                                        ; implicit-def: $vgpr20
                                        ; implicit-def: $vgpr6_vgpr7_vgpr8_vgpr9
                                        ; implicit-def: $vgpr2_vgpr3_vgpr4_vgpr5
                                        ; implicit-def: $vgpr14_vgpr15_vgpr16_vgpr17
                                        ; implicit-def: $vgpr10_vgpr11_vgpr12_vgpr13
	s_cbranch_execz .LBB707_31
; %bb.30:
	s_waitcnt vmcnt(0)
	v_lshlrev_b32_e32 v2, 1, v18
	v_lshl_or_b32 v20, v35, 8, v2
	s_and_b32 s1, s1, 0xffff
	s_mov_b32 s3, 0x20000
	s_movk_i32 s2, 0x4000
	v_lshl_or_b32 v21, v19, 8, v2
	s_movk_i32 s12, 0x80
	buffer_load_dwordx4 v[6:9], v20, s[0:3], 0 offen
	buffer_load_dwordx4 v[2:5], v20, s[0:3], s12 offen
	;; [unrolled: 1-line block ×4, first 2 shown]
	v_lshrrev_b32_e32 v20, 3, v18
	v_lshlrev_b32_e32 v21, 3, v35
	v_or_b32_e32 v20, v21, v20
	v_lshlrev_b32_e32 v20, 4, v20
	v_and_b32_e32 v21, 0x78, v21
	v_xor_b32_e32 v21, v20, v21
	v_lshlrev_b32_e32 v20, 7, v19
.LBB707_31:
	s_lshl_b64 s[0:1], s[24:25], 8
	s_add_u32 s4, s4, s0
	s_movk_i32 s0, 0x1000
	v_and_or_b32 v19, v20, s0, v21
	s_waitcnt vmcnt(1)
	ds_write_b64 v21, v[6:7] offset:16384
	v_xor_b32_e32 v6, 8, v21
	ds_write_b64 v6, v[8:9] offset:16384
	s_waitcnt vmcnt(0)
	ds_write_b64 v21, v[2:3] offset:24576
	ds_write_b64 v6, v[4:5] offset:24576
	;; [unrolled: 1-line block ×3, first 2 shown]
	v_xor_b32_e32 v2, 8, v19
	ds_write_b64 v2, v[16:17] offset:16384
	ds_write_b64 v19, v[10:11] offset:24576
	ds_write_b64 v2, v[12:13] offset:24576
	v_or_b32_e32 v2, v1, v64
	v_lshlrev_b32_e32 v2, 3, v2
	v_lshrrev_b32_e32 v4, 5, v53
	s_movk_i32 s12, 0xf8
	v_and_or_b32 v4, v2, s12, v4
	v_lshlrev_b32_e32 v3, 11, v62
	v_lshlrev_b32_e32 v12, 4, v4
	v_and_b32_e32 v13, 0x78, v2
	v_and_b32_e32 v14, 0x1000, v3
	v_lshlrev_b32_e32 v3, 2, v0
	v_xor_b32_e32 v2, v12, v13
	v_lshrrev_b32_e32 v4, 1, v53
	v_and_b32_e32 v3, 60, v3
	v_or_b32_e32 v2, v2, v14
	v_and_b32_e32 v15, 8, v4
	v_xor_b32_e32 v26, v2, v15
	v_lshl_or_b32 v2, v63, 6, v3
	v_lshlrev_b32_e32 v19, 1, v2
	v_or_b32_e32 v2, 32, v12
	v_xor_b32_e32 v2, v2, v13
	s_waitcnt lgkmcnt(0)
	s_barrier
	ds_read_b64 v[10:11], v26 offset:16384
	v_or_b32_e32 v2, v2, v14
	v_xor_b32_e32 v27, v2, v15
	v_or_b32_e32 v2, 64, v12
	v_xor_b32_e32 v2, v2, v13
	v_or_b32_e32 v2, v2, v14
	v_or_b32_e32 v12, 0x60, v12
	v_xor_b32_e32 v28, v2, v15
	ds_read2st64_b64 v[2:5], v19 offset0:72 offset1:73
	ds_read2st64_b64 v[6:9], v19 offset0:74 offset1:75
	v_xor_b32_e32 v16, v12, v13
	ds_read_b64 v[12:13], v27 offset:16384
	s_addc_u32 s5, s5, s1
	s_add_i32 s1, s45, s33
	s_waitcnt lgkmcnt(2)
	v_mfma_f32_16x16x16_bf16 a[0:3], v[10:11], v[2:3], 0
	s_add_i32 s0, s35, -1
	s_add_i32 s39, s1, s46
	s_add_i32 s1, s47, s44
	;; [unrolled: 1-line block ×3, first 2 shown]
	s_ashr_i32 s1, s0, 31
	s_mul_i32 s2, s0, s31
	s_mul_hi_u32 s3, s0, s30
	s_add_i32 s2, s3, s2
	s_mul_i32 s1, s1, s30
	v_or_b32_e32 v14, v16, v14
	s_add_i32 s1, s2, s1
	s_lshl_b64 s[2:3], s[38:39], 2
	v_xor_b32_e32 v36, v14, v15
	ds_read_b64 v[14:15], v28 offset:16384
	ds_read_b64 v[16:17], v36 offset:16384
	s_waitcnt lgkmcnt(2)
	v_mfma_f32_16x16x16_bf16 a[0:3], v[12:13], v[4:5], a[0:3]
	s_add_u32 s10, s10, s2
	s_addc_u32 s11, s11, s3
	s_lshl_b64 s[2:3], s[36:37], 2
	s_mul_i32 s0, s0, s30
	s_add_u32 s10, s10, s2
	s_addc_u32 s11, s11, s3
	s_lshl_b64 s[0:1], s[0:1], 2
	s_waitcnt lgkmcnt(1)
	v_mfma_f32_16x16x16_bf16 a[0:3], v[14:15], v[6:7], a[0:3]
	s_add_u32 s0, s10, s0
	s_addc_u32 s1, s11, s1
	s_load_dword s12, s[0:1], 0x0
	s_waitcnt lgkmcnt(0)
	v_mfma_f32_16x16x16_bf16 a[0:3], v[16:17], v[8:9], a[0:3]
	s_and_b64 vcc, exec, s[22:23]
	s_cbranch_vccz .LBB707_42
; %bb.32:
	v_lshlrev_b32_e32 v20, 1, v35
	s_and_b64 vcc, exec, s[6:7]
	s_cbranch_vccz .LBB707_43
; %bb.33:
	v_cmp_gt_i32_e32 vcc, s27, v20
	v_mov_b32_e32 v6, 0
	v_mov_b32_e32 v2, 0
	v_mov_b32_e32 v3, 0
	v_mov_b32_e32 v4, 0
	v_mov_b32_e32 v5, 0
	s_and_saveexec_b64 s[0:1], vcc
	s_cbranch_execz .LBB707_35
; %bb.34:
	v_mad_i64_i32 v[2:3], s[2:3], s15, v20, 0
	v_lshl_add_u64 v[2:3], v[2:3], 1, s[4:5]
	v_lshlrev_b32_e32 v4, 1, v18
	v_mov_b32_e32 v5, 0
	v_lshl_add_u64 v[2:3], v[2:3], 0, v[4:5]
	global_load_dwordx4 v[2:5], v[2:3], off
.LBB707_35:
	s_or_b64 exec, exec, s[0:1]
	v_or_b32_e32 v21, 1, v20
	v_cmp_gt_i32_e64 s[0:1], s27, v21
	v_mov_b32_e32 v7, 0
	v_mov_b32_e32 v8, 0
	;; [unrolled: 1-line block ×3, first 2 shown]
	s_and_saveexec_b64 s[2:3], s[0:1]
	s_cbranch_execz .LBB707_37
; %bb.36:
	v_mad_i64_i32 v[6:7], s[16:17], s15, v21, 0
	v_lshl_add_u64 v[6:7], v[6:7], 1, s[4:5]
	v_lshlrev_b32_e32 v8, 1, v18
	v_mov_b32_e32 v9, 0
	v_lshl_add_u64 v[6:7], v[6:7], 0, v[8:9]
	global_load_dwordx4 v[6:9], v[6:7], off
.LBB707_37:
	s_or_b64 exec, exec, s[2:3]
	v_mov_b32_e32 v17, 0
	v_mov_b32_e32 v10, 0
	;; [unrolled: 1-line block ×5, first 2 shown]
	s_and_saveexec_b64 s[2:3], vcc
	s_cbranch_execz .LBB707_39
; %bb.38:
	v_mad_i64_i32 v[10:11], s[16:17], s15, v20, 0
	v_lshl_add_u64 v[10:11], v[10:11], 1, s[4:5]
	v_lshlrev_b32_e32 v12, 1, v18
	v_mov_b32_e32 v13, 0
	v_lshl_add_u64 v[10:11], v[10:11], 0, v[12:13]
	global_load_dwordx4 v[10:13], v[10:11], off offset:128
.LBB707_39:
	s_or_b64 exec, exec, s[2:3]
	v_mov_b32_e32 v16, 0
	v_mov_b32_e32 v15, 0
	v_mov_b32_e32 v14, 0
	s_and_saveexec_b64 s[2:3], s[0:1]
	s_cbranch_execz .LBB707_41
; %bb.40:
	v_mad_i64_i32 v[14:15], s[0:1], s15, v21, 0
	v_lshl_add_u64 v[14:15], v[14:15], 1, s[4:5]
	v_lshlrev_b32_e32 v16, 1, v18
	v_mov_b32_e32 v17, 0
	v_lshl_add_u64 v[14:15], v[14:15], 0, v[16:17]
	global_load_dwordx4 v[14:17], v[14:15], off offset:128
.LBB707_41:
	s_or_b64 exec, exec, s[2:3]
	s_branch .LBB707_45
.LBB707_42:
                                        ; implicit-def: $vgpr5
                                        ; implicit-def: $vgpr9
                                        ; implicit-def: $vgpr13
                                        ; implicit-def: $vgpr17
	v_lshrrev_b32_e32 v37, 2, v53
	s_branch .LBB707_46
.LBB707_43:
                                        ; implicit-def: $vgpr5
                                        ; implicit-def: $vgpr9
                                        ; implicit-def: $vgpr13
                                        ; implicit-def: $vgpr17
	s_cbranch_execz .LBB707_45
; %bb.44:
	s_waitcnt vmcnt(0)
	v_mad_u64_u32 v[2:3], s[0:1], v20, s15, v[18:19]
	v_lshlrev_b32_e32 v20, 1, v2
	s_lshl_b32 s2, s15, 7
	s_and_b32 s1, s5, 0xffff
	s_mov_b32 s3, 0x20000
	s_mov_b32 s0, s4
	v_add_lshl_u32 v21, v2, s15, 1
	s_movk_i32 s13, 0x80
	buffer_load_dwordx4 v[2:5], v20, s[0:3], 0 offen
	buffer_load_dwordx4 v[10:13], v20, s[0:3], s13 offen
	;; [unrolled: 1-line block ×4, first 2 shown]
.LBB707_45:
	v_lshrrev_b32_e32 v37, 2, v53
	s_cbranch_execnz .LBB707_58
.LBB707_46:
	s_and_b64 vcc, exec, s[6:7]
	s_cbranch_vccz .LBB707_56
; %bb.47:
	s_waitcnt vmcnt(0)
	v_lshlrev_b32_e32 v7, 1, v35
	v_cmp_gt_i32_e32 vcc, s27, v7
	v_mov_b32_e32 v6, 0
	v_lshlrev_b32_e32 v14, 9, v35
	v_mov_b32_e32 v2, 0
	v_mov_b32_e32 v3, 0
	;; [unrolled: 1-line block ×4, first 2 shown]
	s_and_saveexec_b64 s[0:1], vcc
	s_cbranch_execz .LBB707_49
; %bb.48:
	v_mov_b32_e32 v15, 0
	v_lshl_add_u64 v[2:3], s[4:5], 0, v[14:15]
	v_lshlrev_b32_e32 v4, 1, v18
	v_mov_b32_e32 v5, v15
	v_lshl_add_u64 v[2:3], v[2:3], 0, v[4:5]
	global_load_dwordx4 v[2:5], v[2:3], off
.LBB707_49:
	s_or_b64 exec, exec, s[0:1]
	v_or_b32_e32 v7, 1, v7
	v_cmp_gt_i32_e64 s[0:1], s27, v7
	v_lshlrev_b32_e32 v20, 8, v7
	v_mov_b32_e32 v7, 0
	v_mov_b32_e32 v8, 0
	;; [unrolled: 1-line block ×3, first 2 shown]
	s_and_saveexec_b64 s[2:3], s[0:1]
	s_cbranch_execz .LBB707_51
; %bb.50:
	v_mov_b32_e32 v21, 0
	v_lshl_add_u64 v[6:7], s[4:5], 0, v[20:21]
	v_lshlrev_b32_e32 v8, 1, v18
	v_mov_b32_e32 v9, v21
	v_lshl_add_u64 v[6:7], v[6:7], 0, v[8:9]
	global_load_dwordx4 v[6:9], v[6:7], off
.LBB707_51:
	s_or_b64 exec, exec, s[2:3]
	v_mov_b32_e32 v17, 0
	v_mov_b32_e32 v10, 0
	;; [unrolled: 1-line block ×5, first 2 shown]
	s_and_saveexec_b64 s[2:3], vcc
	s_cbranch_execz .LBB707_53
; %bb.52:
	v_mov_b32_e32 v15, 0
	v_lshl_add_u64 v[10:11], s[4:5], 0, v[14:15]
	v_lshlrev_b32_e32 v14, 1, v18
	v_lshl_add_u64 v[10:11], v[10:11], 0, v[14:15]
	global_load_dwordx4 v[10:13], v[10:11], off offset:128
.LBB707_53:
	s_or_b64 exec, exec, s[2:3]
	v_mov_b32_e32 v16, 0
	v_mov_b32_e32 v15, 0
	;; [unrolled: 1-line block ×3, first 2 shown]
	s_and_saveexec_b64 s[2:3], s[0:1]
	s_cbranch_execz .LBB707_55
; %bb.54:
	v_mov_b32_e32 v21, 0
	v_lshl_add_u64 v[14:15], s[4:5], 0, v[20:21]
	v_lshlrev_b32_e32 v20, 1, v18
	v_lshl_add_u64 v[14:15], v[14:15], 0, v[20:21]
	global_load_dwordx4 v[14:17], v[14:15], off offset:128
.LBB707_55:
	s_or_b64 exec, exec, s[2:3]
	s_branch .LBB707_58
.LBB707_56:
                                        ; implicit-def: $vgpr5
                                        ; implicit-def: $vgpr9
                                        ; implicit-def: $vgpr13
                                        ; implicit-def: $vgpr17
	s_cbranch_execz .LBB707_58
; %bb.57:
	s_waitcnt vmcnt(0)
	v_lshlrev_b32_e32 v2, 1, v18
	v_lshl_or_b32 v18, v35, 9, v2
	s_and_b32 s5, s5, 0xffff
	s_mov_b32 s7, 0x20000
	s_movk_i32 s6, 0x4000
	s_movk_i32 s0, 0x80
	buffer_load_dwordx4 v[2:5], v18, s[4:7], 0 offen
	buffer_load_dwordx4 v[6:9], v18, s[4:7], 0 offen offset:256
	buffer_load_dwordx4 v[10:13], v18, s[4:7], s0 offen
	buffer_load_dwordx4 v[14:17], v18, s[4:7], s0 offen offset:256
.LBB707_58:
	ds_read2st64_b64 v[22:25], v19 offset0:76 offset1:77
	ds_read2st64_b64 v[18:21], v19 offset0:78 offset1:79
	ds_read_b64 v[32:33], v26 offset:24576
	ds_read_b64 v[30:31], v27 offset:24576
	;; [unrolled: 1-line block ×4, first 2 shown]
	v_and_b32_e32 v36, 6, v0
	v_xor_b32_e32 v35, v35, v36
	v_lshlrev_b32_e32 v35, 2, v35
	v_and_b32_e32 v0, 1, v0
	v_xor_b32_e32 v38, 0x440, v35
	v_cmp_eq_u32_e32 vcc, 0, v0
	s_mov_b32 s0, 0x1000504
	s_mov_b32 s1, 0x3020706
	v_cndmask_b32_e32 v0, v38, v35, vcc
	v_lshl_or_b32 v0, v36, 10, v0
	s_waitcnt vmcnt(0)
	v_perm_b32 v35, v2, v6, s0
	v_perm_b32 v36, v10, v14, s0
	ds_write2st64_b32 v0, v35, v36 offset1:32
	v_xor_b32_e32 v35, 8, v0
	v_perm_b32 v2, v2, v6, s1
	v_perm_b32 v6, v10, v14, s1
	v_add_u32_e32 v10, 0x80, v35
	ds_write2st64_b32 v10, v2, v6 offset1:32
	v_xor_b32_e32 v2, 16, v0
	v_perm_b32 v6, v3, v7, s0
	v_perm_b32 v10, v11, v15, s0
	ds_write2st64_b32 v2, v6, v10 offset0:1 offset1:33
	v_xor_b32_e32 v2, 24, v0
	v_perm_b32 v3, v3, v7, s1
	v_perm_b32 v6, v11, v15, s1
	v_add_u32_e32 v2, 0x80, v2
	ds_write2st64_b32 v2, v3, v6 offset0:1 offset1:33
	v_xor_b32_e32 v2, 32, v0
	v_perm_b32 v3, v4, v8, s0
	v_perm_b32 v6, v12, v16, s0
	ds_write2st64_b32 v2, v3, v6 offset0:2 offset1:34
	v_xor_b32_e32 v2, 40, v0
	v_perm_b32 v3, v4, v8, s1
	v_perm_b32 v4, v12, v16, s1
	v_add_u32_e32 v2, 0x80, v2
	ds_write2st64_b32 v2, v3, v4 offset0:2 offset1:34
	v_xor_b32_e32 v2, 48, v0
	v_perm_b32 v3, v5, v9, s0
	v_perm_b32 v4, v13, v17, s0
	v_xor_b32_e32 v0, 56, v0
	v_and_or_b32 v8, v37, 12, v1
	ds_write2st64_b32 v2, v3, v4 offset0:3 offset1:35
	v_perm_b32 v2, v5, v9, s1
	v_perm_b32 v3, v13, v17, s1
	v_add_u32_e32 v0, 0x80, v0
	v_cmp_gt_i32_e32 vcc, s27, v8
	v_mov_b32_e32 v9, 0
	v_mov_b32_e32 v14, 0
	ds_write2st64_b32 v0, v2, v3 offset0:3 offset1:35
	s_and_saveexec_b64 s[0:1], vcc
	s_cbranch_execz .LBB707_60
; %bb.59:
	v_add_u32_e32 v0, s26, v8
	v_ashrrev_i32_e32 v1, 31, v0
	v_mul_lo_u32 v2, v1, s30
	v_mul_lo_u32 v3, v0, s31
	v_mad_u64_u32 v[0:1], s[2:3], v0, s30, 0
	v_add3_u32 v1, v1, v3, v2
	v_lshl_add_u64 v[0:1], v[0:1], 2, s[10:11]
	global_load_dword v0, v[0:1], off
	s_waitcnt vmcnt(0)
	v_sub_f32_e32 v0, s12, v0
	v_mul_f32_e32 v0, 0x3fb8aa3b, v0
	v_exp_f32_e32 v14, v0
.LBB707_60:
	s_or_b64 exec, exec, s[0:1]
	v_or_b32_e32 v12, 1, v8
	v_cmp_gt_i32_e64 s[2:3], s27, v12
	s_and_saveexec_b64 s[0:1], s[2:3]
	s_cbranch_execz .LBB707_62
; %bb.61:
	v_add_u32_e32 v0, s26, v12
	v_ashrrev_i32_e32 v1, 31, v0
	v_mul_lo_u32 v2, v1, s30
	v_mul_lo_u32 v3, v0, s31
	v_mad_u64_u32 v[0:1], s[4:5], v0, s30, 0
	v_add3_u32 v1, v1, v3, v2
	v_lshl_add_u64 v[0:1], v[0:1], 2, s[10:11]
	global_load_dword v0, v[0:1], off
	s_waitcnt vmcnt(0)
	v_sub_f32_e32 v0, s12, v0
	v_mul_f32_e32 v0, 0x3fb8aa3b, v0
	v_exp_f32_e32 v9, v0
.LBB707_62:
	s_or_b64 exec, exec, s[0:1]
	v_or_b32_e32 v11, 2, v8
	v_cmp_gt_i32_e64 s[0:1], s27, v11
	v_mov_b32_e32 v10, 0
	v_mov_b32_e32 v15, 0
	s_and_saveexec_b64 s[4:5], s[0:1]
	s_cbranch_execz .LBB707_64
; %bb.63:
	v_add_u32_e32 v0, s26, v11
	v_ashrrev_i32_e32 v1, 31, v0
	v_mul_lo_u32 v2, v1, s30
	v_mul_lo_u32 v3, v0, s31
	v_mad_u64_u32 v[0:1], s[6:7], v0, s30, 0
	v_add3_u32 v1, v1, v3, v2
	v_lshl_add_u64 v[0:1], v[0:1], 2, s[10:11]
	global_load_dword v0, v[0:1], off
	s_waitcnt vmcnt(0)
	v_sub_f32_e32 v0, s12, v0
	v_mul_f32_e32 v0, 0x3fb8aa3b, v0
	v_exp_f32_e32 v15, v0
.LBB707_64:
	s_or_b64 exec, exec, s[4:5]
	v_or_b32_e32 v13, 3, v8
	v_cmp_gt_i32_e64 s[4:5], s27, v13
	s_and_saveexec_b64 s[6:7], s[4:5]
	s_cbranch_execz .LBB707_66
; %bb.65:
	v_add_u32_e32 v0, s26, v13
	v_ashrrev_i32_e32 v1, 31, v0
	v_mul_lo_u32 v2, v1, s30
	v_mul_lo_u32 v3, v0, s31
	v_mad_u64_u32 v[0:1], s[14:15], v0, s30, 0
	v_add3_u32 v1, v1, v3, v2
	v_lshl_add_u64 v[0:1], v[0:1], 2, s[10:11]
	global_load_dword v0, v[0:1], off
	s_waitcnt vmcnt(0)
	v_sub_f32_e32 v0, s12, v0
	v_mul_f32_e32 v0, 0x3fb8aa3b, v0
	v_exp_f32_e32 v10, v0
.LBB707_66:
	s_or_b64 exec, exec, s[6:7]
	s_waitcnt lgkmcnt(11)
	v_mfma_f32_16x16x16_bf16 a[0:3], v[32:33], v[22:23], a[0:3]
	s_add_u32 s6, s8, s20
	v_ashrrev_i32_e32 v55, 31, v54
	s_addc_u32 s7, s9, s21
	s_waitcnt lgkmcnt(10)
	v_mfma_f32_16x16x16_bf16 a[0:3], v[30:31], v[24:25], a[0:3]
	v_lshlrev_b64 v[0:1], 1, v[54:55]
	v_lshl_add_u64 v[4:5], s[6:7], 0, v[0:1]
	s_add_u32 s6, s28, s20
	s_waitcnt lgkmcnt(9)
	v_mfma_f32_16x16x16_bf16 a[0:3], v[28:29], v[18:19], a[0:3]
	s_addc_u32 s7, s29, s21
	v_lshl_add_u64 v[6:7], s[6:7], 0, v[0:1]
	v_mov_b32_e32 v16, 0
	s_waitcnt lgkmcnt(8)
	v_mfma_f32_16x16x16_bf16 a[0:3], v[26:27], v[20:21], a[0:3]
	v_mov_b32_e32 v17, 0
	s_nop 5
	v_accvgpr_read_b32 v0, a0
	v_accvgpr_read_b32 v1, a1
	;; [unrolled: 1-line block ×4, first 2 shown]
	s_and_saveexec_b64 s[6:7], vcc
	s_cbranch_execz .LBB707_68
; %bb.67:
	v_lshlrev_b32_e32 v18, 8, v8
	v_mov_b32_e32 v19, 0
	v_lshl_add_u64 v[20:21], v[4:5], 0, v[18:19]
	global_load_ushort v17, v[20:21], off
	v_lshl_add_u64 v[18:19], v[6:7], 0, v[18:19]
	s_waitcnt vmcnt(0)
	v_lshlrev_b32_e32 v17, 16, v17
	v_sub_f32_e32 v0, v17, v0
	global_store_short_d16_hi v[18:19], v0, off
	v_mul_f32_e32 v0, v14, v0
	v_lshrrev_b32_e32 v17, 16, v0
.LBB707_68:
	s_or_b64 exec, exec, s[6:7]
	s_and_saveexec_b64 s[6:7], s[2:3]
	s_cbranch_execz .LBB707_70
; %bb.69:
	v_lshlrev_b32_e32 v18, 8, v12
	v_mov_b32_e32 v19, 0
	v_lshl_add_u64 v[20:21], v[4:5], 0, v[18:19]
	global_load_ushort v0, v[20:21], off
	v_lshl_add_u64 v[18:19], v[6:7], 0, v[18:19]
	s_waitcnt vmcnt(0)
	v_lshlrev_b32_e32 v0, 16, v0
	v_sub_f32_e32 v0, v0, v1
	global_store_short_d16_hi v[18:19], v0, off
	v_mul_f32_e32 v0, v9, v0
	v_lshrrev_b32_e32 v16, 16, v0
.LBB707_70:
	s_or_b64 exec, exec, s[6:7]
	v_mov_b32_e32 v0, 0
	v_mov_b32_e32 v1, 0
	s_and_saveexec_b64 s[2:3], s[0:1]
	s_cbranch_execz .LBB707_72
; %bb.71:
	v_lshlrev_b32_e32 v18, 8, v11
	v_mov_b32_e32 v19, 0
	v_lshl_add_u64 v[20:21], v[4:5], 0, v[18:19]
	global_load_ushort v1, v[20:21], off
	v_lshl_add_u64 v[18:19], v[6:7], 0, v[18:19]
	s_waitcnt vmcnt(0)
	v_lshlrev_b32_e32 v1, 16, v1
	v_sub_f32_e32 v1, v1, v2
	global_store_short_d16_hi v[18:19], v1, off
	v_mul_f32_e32 v1, v15, v1
	v_lshrrev_b32_e32 v1, 16, v1
.LBB707_72:
	s_or_b64 exec, exec, s[2:3]
	s_and_saveexec_b64 s[0:1], s[4:5]
	s_cbranch_execz .LBB707_74
; %bb.73:
	v_lshlrev_b32_e32 v12, 8, v13
	v_mov_b32_e32 v13, 0
	v_lshl_add_u64 v[4:5], v[4:5], 0, v[12:13]
	global_load_ushort v0, v[4:5], off
	v_lshl_add_u64 v[4:5], v[6:7], 0, v[12:13]
	s_waitcnt vmcnt(0)
	v_lshlrev_b32_e32 v0, 16, v0
	v_sub_f32_e32 v0, v0, v3
	global_store_short_d16_hi v[4:5], v0, off
	v_mul_f32_e32 v0, v10, v0
	v_lshrrev_b32_e32 v0, 16, v0
.LBB707_74:
	s_or_b64 exec, exec, s[0:1]
	s_mov_b32 s0, 0x5040100
	v_lshlrev_b32_e32 v2, 1, v34
	v_perm_b32 v1, v0, v1, s0
	v_perm_b32 v0, v16, v17, s0
	v_lshl_or_b32 v2, v8, 5, v2
	ds_write_b64 v2, v[0:1] offset:38912
	s_waitcnt lgkmcnt(0)
	s_barrier
.LBB707_75:
	s_endpgm
	.section	.rodata,"a",@progbits
	.p2align	6, 0x0
	.amdhsa_kernel _ZN12_GLOBAL__N_139chunk_gated_delta_rule_fwd_h_hip_kernelILi16ELb1ELb0ELb1ELb1ELb0ELb1ELb1ELb0EEEvPK12hip_bfloat16S3_S3_PKfS5_PKvPS1_S8_PvPKiSB_iiiiilll
		.amdhsa_group_segment_fixed_size 40960
		.amdhsa_private_segment_fixed_size 0
		.amdhsa_kernarg_size 136
		.amdhsa_user_sgpr_count 2
		.amdhsa_user_sgpr_dispatch_ptr 0
		.amdhsa_user_sgpr_queue_ptr 0
		.amdhsa_user_sgpr_kernarg_segment_ptr 1
		.amdhsa_user_sgpr_dispatch_id 0
		.amdhsa_user_sgpr_kernarg_preload_length 0
		.amdhsa_user_sgpr_kernarg_preload_offset 0
		.amdhsa_user_sgpr_private_segment_size 0
		.amdhsa_uses_dynamic_stack 0
		.amdhsa_enable_private_segment 0
		.amdhsa_system_sgpr_workgroup_id_x 1
		.amdhsa_system_sgpr_workgroup_id_y 1
		.amdhsa_system_sgpr_workgroup_id_z 0
		.amdhsa_system_sgpr_workgroup_info 0
		.amdhsa_system_vgpr_workitem_id 0
		.amdhsa_next_free_vgpr 128
		.amdhsa_next_free_sgpr 63
		.amdhsa_accum_offset 116
		.amdhsa_reserve_vcc 1
		.amdhsa_float_round_mode_32 0
		.amdhsa_float_round_mode_16_64 0
		.amdhsa_float_denorm_mode_32 3
		.amdhsa_float_denorm_mode_16_64 3
		.amdhsa_dx10_clamp 1
		.amdhsa_ieee_mode 1
		.amdhsa_fp16_overflow 0
		.amdhsa_tg_split 0
		.amdhsa_exception_fp_ieee_invalid_op 0
		.amdhsa_exception_fp_denorm_src 0
		.amdhsa_exception_fp_ieee_div_zero 0
		.amdhsa_exception_fp_ieee_overflow 0
		.amdhsa_exception_fp_ieee_underflow 0
		.amdhsa_exception_fp_ieee_inexact 0
		.amdhsa_exception_int_div_zero 0
	.end_amdhsa_kernel
	.section	.text._ZN12_GLOBAL__N_139chunk_gated_delta_rule_fwd_h_hip_kernelILi16ELb1ELb0ELb1ELb1ELb0ELb1ELb1ELb0EEEvPK12hip_bfloat16S3_S3_PKfS5_PKvPS1_S8_PvPKiSB_iiiiilll,"axG",@progbits,_ZN12_GLOBAL__N_139chunk_gated_delta_rule_fwd_h_hip_kernelILi16ELb1ELb0ELb1ELb1ELb0ELb1ELb1ELb0EEEvPK12hip_bfloat16S3_S3_PKfS5_PKvPS1_S8_PvPKiSB_iiiiilll,comdat
.Lfunc_end707:
	.size	_ZN12_GLOBAL__N_139chunk_gated_delta_rule_fwd_h_hip_kernelILi16ELb1ELb0ELb1ELb1ELb0ELb1ELb1ELb0EEEvPK12hip_bfloat16S3_S3_PKfS5_PKvPS1_S8_PvPKiSB_iiiiilll, .Lfunc_end707-_ZN12_GLOBAL__N_139chunk_gated_delta_rule_fwd_h_hip_kernelILi16ELb1ELb0ELb1ELb1ELb0ELb1ELb1ELb0EEEvPK12hip_bfloat16S3_S3_PKfS5_PKvPS1_S8_PvPKiSB_iiiiilll
                                        ; -- End function
	.section	.AMDGPU.csdata,"",@progbits
; Kernel info:
; codeLenInByte = 7468
; NumSgprs: 69
; NumVgprs: 116
; NumAgprs: 12
; TotalNumVgprs: 128
; ScratchSize: 0
; MemoryBound: 0
; FloatMode: 240
; IeeeMode: 1
; LDSByteSize: 40960 bytes/workgroup (compile time only)
; SGPRBlocks: 8
; VGPRBlocks: 15
; NumSGPRsForWavesPerEU: 69
; NumVGPRsForWavesPerEU: 128
; AccumOffset: 116
; Occupancy: 1
; WaveLimiterHint : 1
; COMPUTE_PGM_RSRC2:SCRATCH_EN: 0
; COMPUTE_PGM_RSRC2:USER_SGPR: 2
; COMPUTE_PGM_RSRC2:TRAP_HANDLER: 0
; COMPUTE_PGM_RSRC2:TGID_X_EN: 1
; COMPUTE_PGM_RSRC2:TGID_Y_EN: 1
; COMPUTE_PGM_RSRC2:TGID_Z_EN: 0
; COMPUTE_PGM_RSRC2:TIDIG_COMP_CNT: 0
; COMPUTE_PGM_RSRC3_GFX90A:ACCUM_OFFSET: 28
; COMPUTE_PGM_RSRC3_GFX90A:TG_SPLIT: 0
	.section	.text._ZN12_GLOBAL__N_139chunk_gated_delta_rule_fwd_h_hip_kernelILi16ELb1ELb0ELb0ELb1ELb0ELb1ELb1ELb0EEEvPK12hip_bfloat16S3_S3_PKfS5_PKvPS1_S8_PvPKiSB_iiiiilll,"axG",@progbits,_ZN12_GLOBAL__N_139chunk_gated_delta_rule_fwd_h_hip_kernelILi16ELb1ELb0ELb0ELb1ELb0ELb1ELb1ELb0EEEvPK12hip_bfloat16S3_S3_PKfS5_PKvPS1_S8_PvPKiSB_iiiiilll,comdat
	.globl	_ZN12_GLOBAL__N_139chunk_gated_delta_rule_fwd_h_hip_kernelILi16ELb1ELb0ELb0ELb1ELb0ELb1ELb1ELb0EEEvPK12hip_bfloat16S3_S3_PKfS5_PKvPS1_S8_PvPKiSB_iiiiilll ; -- Begin function _ZN12_GLOBAL__N_139chunk_gated_delta_rule_fwd_h_hip_kernelILi16ELb1ELb0ELb0ELb1ELb0ELb1ELb1ELb0EEEvPK12hip_bfloat16S3_S3_PKfS5_PKvPS1_S8_PvPKiSB_iiiiilll
	.p2align	8
	.type	_ZN12_GLOBAL__N_139chunk_gated_delta_rule_fwd_h_hip_kernelILi16ELb1ELb0ELb0ELb1ELb0ELb1ELb1ELb0EEEvPK12hip_bfloat16S3_S3_PKfS5_PKvPS1_S8_PvPKiSB_iiiiilll,@function
_ZN12_GLOBAL__N_139chunk_gated_delta_rule_fwd_h_hip_kernelILi16ELb1ELb0ELb0ELb1ELb0ELb1ELb1ELb0EEEvPK12hip_bfloat16S3_S3_PKfS5_PKvPS1_S8_PvPKiSB_iiiiilll: ; @_ZN12_GLOBAL__N_139chunk_gated_delta_rule_fwd_h_hip_kernelILi16ELb1ELb0ELb0ELb1ELb0ELb1ELb1ELb0EEEvPK12hip_bfloat16S3_S3_PKfS5_PKvPS1_S8_PvPKiSB_iiiiilll
; %bb.0:
	s_load_dwordx4 s[12:15], s[0:1], 0x5c
	s_load_dwordx4 s[20:23], s[0:1], 0x70
	s_abs_i32 s9, s3
	s_ashr_i32 s8, s3, 31
	s_load_dwordx4 s[4:7], s[0:1], 0x48
	s_waitcnt lgkmcnt(0)
	s_abs_i32 s10, s13
	v_cvt_f32_u32_e32 v1, s10
	s_sub_i32 s16, 0, s10
	s_ashr_i32 s11, s13, 31
	s_xor_b32 s8, s8, s11
	v_rcp_iflag_f32_e32 v1, v1
	v_and_b32_e32 v62, 15, v0
	v_lshrrev_b32_e32 v60, 6, v0
	v_bfe_u32 v61, v0, 4, 2
	v_mul_f32_e32 v1, 0x4f7ffffe, v1
	v_cvt_u32_f32_e32 v1, v1
	v_mov_b32_e32 v5, 0
	v_and_b32_e32 v53, 63, v0
	v_lshrrev_b32_e32 v64, 3, v53
	v_readfirstlane_b32 s17, v1
	s_mul_i32 s16, s16, s17
	s_mul_hi_u32 s16, s17, s16
	s_add_i32 s17, s17, s16
	s_mul_hi_u32 s16, s9, s17
	s_mul_i32 s17, s16, s10
	s_sub_i32 s9, s9, s17
	s_add_i32 s18, s16, 1
	s_sub_i32 s17, s9, s10
	s_cmp_ge_u32 s9, s10
	s_cselect_b32 s16, s18, s16
	s_cselect_b32 s9, s17, s9
	s_add_i32 s17, s16, 1
	s_cmp_ge_u32 s9, s10
	s_cselect_b32 s9, s17, s16
	s_load_dwordx4 s[16:19], s[0:1], 0x28
	s_xor_b32 s9, s9, s8
	s_sub_i32 s24, s9, s8
	s_mul_i32 s28, s24, s13
	s_ashr_i32 s25, s24, 31
	s_sub_i32 s47, s3, s28
	s_lshl_b64 s[8:9], s[24:25], 2
	s_add_u32 s4, s4, s8
	s_addc_u32 s5, s5, s9
	s_add_u32 s26, s6, s8
	s_addc_u32 s27, s7, s9
	s_abs_i32 s3, s14
	v_cvt_f32_u32_e32 v1, s3
	s_load_dwordx2 s[30:31], s[4:5], 0x0
	s_lshl_b32 s38, s2, 4
	s_ashr_i32 s2, s14, 31
	v_rcp_iflag_f32_e32 v1, v1
	s_xor_b32 s2, s11, s2
	s_waitcnt lgkmcnt(0)
	s_sub_i32 s50, s31, s30
	s_ashr_i32 s4, s50, 31
	v_mul_f32_e32 v1, 0x4f7ffffe, v1
	v_cvt_u32_f32_e32 v1, v1
	s_lshr_b32 s4, s4, 26
	s_add_i32 s4, s50, s4
	s_ashr_i32 s48, s4, 6
	s_sub_i32 s4, 0, s3
	v_readfirstlane_b32 s5, v1
	s_mul_i32 s4, s4, s5
	s_mul_hi_u32 s4, s5, s4
	s_add_i32 s5, s5, s4
	s_mul_hi_u32 s4, s10, s5
	s_mul_i32 s5, s4, s3
	s_sub_i32 s5, s10, s5
	s_add_i32 s6, s4, 1
	s_sub_i32 s7, s5, s3
	s_cmp_ge_u32 s5, s3
	s_cselect_b32 s4, s6, s4
	s_cselect_b32 s5, s7, s5
	s_add_i32 s6, s4, 1
	s_cmp_ge_u32 s5, s3
	s_cselect_b32 s3, s6, s4
	s_xor_b32 s3, s3, s2
	s_sub_i32 s2, s3, s2
	s_abs_i32 s3, s2
	v_cvt_f32_u32_e32 v1, s3
	s_sub_i32 s5, 0, s3
	s_abs_i32 s4, s47
	s_xor_b32 s2, s47, s2
	v_rcp_iflag_f32_e32 v1, v1
	s_ashr_i32 s2, s2, 31
	v_or_b32_e32 v54, s38, v62
	v_lshlrev_b32_e32 v2, 7, v54
	v_mul_f32_e32 v1, 0x4f7ffffe, v1
	v_cvt_u32_f32_e32 v1, v1
	v_ashrrev_i32_e32 v3, 31, v2
	s_mul_hi_i32 s53, s47, s12
	s_mul_i32 s54, s47, s12
	v_readfirstlane_b32 s6, v1
	s_mul_i32 s5, s5, s6
	s_mul_hi_u32 s5, s6, s5
	s_add_i32 s6, s6, s5
	s_mul_hi_u32 s5, s4, s6
	s_mul_i32 s6, s5, s3
	s_sub_i32 s4, s4, s6
	s_add_i32 s6, s5, 1
	s_sub_i32 s7, s4, s3
	s_cmp_ge_u32 s4, s3
	s_cselect_b32 s5, s6, s5
	s_cselect_b32 s4, s7, s4
	s_add_i32 s6, s5, 1
	s_cmp_ge_u32 s4, s3
	s_cselect_b32 s3, s6, s5
	s_xor_b32 s3, s3, s2
	s_sub_i32 s51, s3, s2
	s_ashr_i32 s49, s47, 31
	s_mul_hi_i32 s3, s24, s13
	s_add_u32 s2, s28, s47
	s_addc_u32 s3, s3, s49
	s_lshl_b64 s[2:3], s[2:3], 16
	v_lshlrev_b32_e32 v1, 4, v60
	s_add_u32 s2, s16, s2
	v_lshl_or_b32 v65, v61, 2, v1
	s_addc_u32 s3, s17, s3
	v_lshl_add_u64 v[2:3], v[2:3], 2, s[2:3]
	v_lshlrev_b32_e32 v4, 2, v65
	v_lshl_add_u64 v[10:11], v[2:3], 0, v[4:5]
	global_load_dwordx4 v[6:9], v[10:11], off
	global_load_dwordx4 v[2:5], v[10:11], off offset:256
	s_load_dwordx8 s[4:11], s[0:1], 0x0
	s_load_dwordx2 s[28:29], s[0:1], 0x80
	s_load_dword s52, s[26:27], 0x0
	v_or_b32_e32 v66, 64, v65
	s_cmp_lt_i32 s50, 64
	v_lshlrev_b32_e32 v63, 3, v0
	s_mul_i32 s33, s24, s21
	s_mul_hi_u32 s43, s24, s20
	s_mul_i32 s44, s25, s20
	s_mul_i32 s36, s24, s20
	;; [unrolled: 1-line block ×3, first 2 shown]
	s_mul_hi_u32 s45, s47, s22
	s_mul_i32 s46, s49, s22
	s_mul_i32 s34, s47, s22
	s_cbranch_scc1 .LBB708_18
; %bb.1:
	s_ashr_i32 s3, s30, 31
	s_add_u32 s2, s54, s30
	s_addc_u32 s3, s53, s3
	s_lshl_b64 s[2:3], s[2:3], 8
	v_and_b32_e32 v68, 56, v63
	s_waitcnt lgkmcnt(0)
	s_add_u32 s20, s6, s2
	v_lshl_or_b32 v67, v60, 3, v64
	v_lshlrev_b32_e32 v10, 1, v68
	s_addc_u32 s2, s7, s3
	v_lshl_or_b32 v69, v67, 8, v10
	s_and_b32 s21, s2, 0xffff
	s_mov_b32 s23, 0x20000
	s_movk_i32 s22, 0x4000
	s_movk_i32 s2, 0x80
	v_or_b32_e32 v70, 0x2000, v69
	buffer_load_dwordx4 v[12:15], v69, s[20:23], 0 offen
	buffer_load_dwordx4 v[16:19], v69, s[20:23], s2 offen
	;; [unrolled: 1-line block ×4, first 2 shown]
	v_lshlrev_b32_e32 v11, 3, v67
	v_and_or_b32 v29, v0, 7, v11
	v_and_b32_e32 v11, 0x78, v11
	v_lshlrev_b32_e32 v29, 4, v29
	v_xor_b32_e32 v71, v29, v11
	v_mul_lo_u32 v28, v67, s15
	v_or_b32_e32 v72, 0x1000, v71
	v_xor_b32_e32 v11, 8, v71
	s_cmpk_eq_i32 s15, 0x80
	s_mov_b32 s55, s30
	v_xor_b32_e32 v29, 8, v72
	s_cselect_b64 s[2:3], -1, 0
	s_cmpk_lg_i32 s15, 0x80
	s_waitcnt vmcnt(3)
	ds_write_b64 v71, v[12:13] offset:16384
	ds_write_b64 v11, v[14:15] offset:16384
	s_waitcnt vmcnt(2)
	ds_write_b64 v71, v[16:17] offset:24576
	ds_write_b64 v11, v[18:19] offset:24576
	;; [unrolled: 3-line block ×4, first 2 shown]
	v_lshl_add_u32 v11, v28, 1, v68
	s_cbranch_scc0 .LBB708_3
; %bb.2:
	v_lshlrev_b32_e32 v13, 1, v11
	v_add_lshl_u32 v12, v11, s15, 1
	s_lshl_b32 s22, s15, 7
	s_load_dwordx2 s[16:17], s[0:1], 0x20
	v_lshl_or_b32 v10, v67, 9, v10
	s_cbranch_execz .LBB708_4
	s_branch .LBB708_5
.LBB708_3:
                                        ; implicit-def: $vgpr12
                                        ; implicit-def: $vgpr13
                                        ; implicit-def: $sgpr22
	s_load_dwordx2 s[16:17], s[0:1], 0x20
	v_lshl_or_b32 v10, v67, 9, v10
.LBB708_4:
	v_or_b32_e32 v12, 0x100, v10
	s_movk_i32 s22, 0x4000
	v_mov_b32_e32 v13, v10
.LBB708_5:
	s_mul_i32 s0, s30, s14
	s_ashr_i32 s56, s51, 31
	s_mul_hi_i32 s1, s30, s14
	s_add_u32 s0, s0, s51
	s_addc_u32 s1, s1, s56
	s_lshl_b64 s[0:1], s[0:1], 8
	s_add_u32 s20, s4, s0
	s_addc_u32 s0, s5, s1
	s_and_b32 s21, s0, 0xffff
	s_movk_i32 s57, 0x80
	buffer_load_dwordx4 v[14:17], v13, s[20:23], 0 offen
	buffer_load_dwordx4 v[18:21], v13, s[20:23], s57 offen
	;; [unrolled: 1-line block ×4, first 2 shown]
	v_and_b32_e32 v12, 6, v0
	v_lshlrev_b32_e32 v30, 2, v62
	v_lshlrev_b32_e32 v31, 3, v62
	v_xor_b32_e32 v35, v67, v12
	v_and_b32_e32 v13, 1, v0
	v_lshl_or_b32 v31, v65, 5, v31
	v_xor_b32_e32 v36, v65, v30
	v_lshlrev_b32_e32 v35, 2, v35
	s_add_i32 s0, s43, s33
	v_or_b32_e32 v73, 0x9000, v31
	v_or_b32_e32 v74, 0x9800, v31
	v_lshlrev_b32_e32 v31, 1, v36
	v_xor_b32_e32 v36, 0x440, v35
	v_cmp_eq_u32_e32 vcc, 0, v13
	s_add_i32 s1, s45, s42
	s_add_i32 s37, s0, s44
	v_cndmask_b32_e32 v13, v36, v35, vcc
	s_add_i32 s35, s1, s46
	s_lshl_b64 s[0:1], s[36:37], 2
	s_mov_b32 s58, 0x1000504
	s_mov_b32 s59, 0x3020706
	v_lshlrev_b32_e32 v32, 8, v62
	s_mov_b32 s20, 0x8000
	v_xor_b32_e32 v30, v66, v30
	v_lshl_or_b32 v12, v12, 10, v13
	s_add_u32 s21, s10, s0
	v_or_b32_e32 v33, v1, v62
	v_lshlrev_b32_e32 v30, 1, v30
	v_or3_b32 v75, v31, v32, s20
	v_xor_b32_e32 v13, 8, v12
	v_xor_b32_e32 v31, 24, v12
	;; [unrolled: 1-line block ×4, first 2 shown]
	s_addc_u32 s22, s11, s1
	s_lshl_b64 s[0:1], s[34:35], 2
	v_or3_b32 v76, v30, v32, s20
	v_xor_b32_e32 v30, 16, v12
	v_xor_b32_e32 v32, 32, v12
	;; [unrolled: 1-line block ×3, first 2 shown]
	v_add_u32_e32 v13, 0x80, v13
	v_add_u32_e32 v31, 0x80, v31
	;; [unrolled: 1-line block ×4, first 2 shown]
	s_add_u32 s40, s21, s0
	s_movk_i32 s0, 0xf8
	s_addc_u32 s41, s22, s1
	s_ashr_i32 s39, s38, 31
	v_ashrrev_i32_e32 v55, 31, v54
	s_lshl_b32 s26, s15, 7
	v_lshrrev_b32_e32 v34, 2, v53
	s_mov_b32 s60, 0
	s_mov_b32 s35, 0x7060302
	s_movk_i32 s22, 0x4000
	v_mov_b32_e32 v96, 0x3fb8aa3b
	s_waitcnt vmcnt(1)
	v_perm_b32 v38, v14, v22, s58
	s_waitcnt vmcnt(0)
	v_perm_b32 v39, v18, v26, s58
	v_perm_b32 v14, v14, v22, s59
	;; [unrolled: 1-line block ×15, first 2 shown]
	ds_write2st64_b32 v12, v38, v39 offset1:32
	ds_write2st64_b32 v13, v14, v18 offset1:32
	ds_write2st64_b32 v30, v22, v26 offset0:1 offset1:33
	ds_write2st64_b32 v31, v15, v19 offset0:1 offset1:33
	;; [unrolled: 1-line block ×6, first 2 shown]
	v_lshlrev_b32_e32 v12, 3, v33
	v_lshrrev_b32_e32 v14, 5, v53
	v_and_or_b32 v14, v12, s0, v14
	v_lshlrev_b32_e32 v14, 4, v14
	v_lshlrev_b32_e32 v19, 11, v60
	v_and_b32_e32 v12, 0x78, v12
	v_or_b32_e32 v17, 32, v14
	v_and_b32_e32 v13, 0x1000, v19
	v_xor_b32_e32 v15, v14, v12
	v_lshrrev_b32_e32 v16, 1, v53
	v_xor_b32_e32 v17, v17, v12
	v_or_b32_e32 v15, v15, v13
	v_and_b32_e32 v16, 8, v16
	v_or_b32_e32 v17, v17, v13
	v_xor_b32_e32 v77, v15, v16
	v_and_b32_e32 v15, 0x78, v63
	v_xor_b32_e32 v79, v17, v16
	v_or_b32_e32 v17, 64, v14
	v_or_b32_e32 v14, 0x60, v14
	v_lshl_or_b32 v15, v61, 7, v15
	v_xor_b32_e32 v17, v17, v12
	v_xor_b32_e32 v12, v14, v12
	v_or_b32_e32 v78, 0x9000, v15
	v_or_b32_e32 v17, v17, v13
	;; [unrolled: 1-line block ×4, first 2 shown]
	v_lshrrev_b32_e32 v14, 4, v0
	v_lshlrev_b32_e32 v15, 1, v62
	v_xor_b32_e32 v80, v17, v16
	v_xor_b32_e32 v81, v12, v16
	v_or_b32_e32 v16, 1, v15
	v_xor_b32_e32 v15, v14, v15
	s_lshl_b64 s[0:1], s[38:39], 8
	v_xor_b32_e32 v16, v16, v14
	v_lshlrev_b32_e32 v15, 3, v15
	v_lshlrev_b32_e32 v14, 8, v14
	v_lshl_add_u64 v[12:13], v[54:55], 1, s[8:9]
	s_add_u32 s0, s18, s0
	v_or3_b32 v55, v15, v14, s20
	v_lshlrev_b32_e32 v15, 3, v16
	s_addc_u32 s1, s19, s1
	v_or3_b32 v83, v15, v14, s20
	v_mov_b32_e32 v15, 0
	v_lshrrev_b32_e32 v25, 1, v0
	v_lshl_add_u64 v[16:17], s[0:1], 0, v[14:15]
	v_lshlrev_b32_e32 v14, 4, v62
	s_movk_i32 s0, 0xff
	v_lshlrev_b32_e32 v24, 3, v60
	v_and_b32_e32 v25, 24, v25
	v_lshl_add_u64 v[56:57], v[16:17], 0, v[14:15]
	v_and_b32_e32 v14, 7, v0
	v_and_b32_e32 v17, 8, v0
	v_cmp_lt_u32_e32 vcc, s0, v0
	v_xor_b32_e32 v26, v24, v25
	v_lshlrev_b32_e32 v22, 3, v14
	v_lshlrev_b32_e32 v23, 7, v14
	v_cndmask_b32_e64 v14, 0, 1, vcc
	v_or_b32_e32 v27, 0x440, v26
	v_cmp_eq_u32_e32 vcc, 0, v17
	v_or_b32_e32 v29, 64, v25
	v_xor_b32_e32 v29, v24, v29
	v_cndmask_b32_e32 v17, v27, v26, vcc
	v_or_b32_e32 v27, 32, v25
	v_or_b32_e32 v25, 0x60, v25
	v_xor_b32_e32 v27, v24, v27
	v_xor_b32_e32 v24, v24, v25
	v_or_b32_e32 v28, 0x440, v27
	v_xor_b32_e32 v30, 0x440, v29
	v_xor_b32_e32 v25, 0x440, v24
	v_cndmask_b32_e32 v27, v28, v27, vcc
	v_cndmask_b32_e32 v29, v30, v29, vcc
	;; [unrolled: 1-line block ×3, first 2 shown]
	v_or_b32_e32 v17, v17, v19
	v_or_b32_e32 v27, v27, v19
	;; [unrolled: 1-line block ×4, first 2 shown]
	v_and_b32_e32 v18, 12, v34
	v_lshlrev_b32_e32 v14, 13, v14
	v_xor_b32_e32 v17, v17, v22
	v_xor_b32_e32 v27, v27, v22
	v_xor_b32_e32 v29, v29, v22
	v_xor_b32_e32 v19, v19, v22
	v_lshlrev_b32_e32 v20, 1, v11
	v_add_lshl_u32 v11, v11, s15, 1
	v_or_b32_e32 v21, 0x100, v10
	v_or_b32_e32 v16, v18, v1
	v_add_u32_e32 v26, v14, v17
	v_add_u32_e32 v28, v14, v27
	;; [unrolled: 1-line block ×4, first 2 shown]
	v_or3_b32 v18, v1, v18, 64
	v_add_u32_e32 v17, 0x2000, v17
	v_add_u32_e32 v24, 0x2000, v27
	;; [unrolled: 1-line block ×4, first 2 shown]
	v_lshlrev_b32_e32 v14, 8, v65
	v_cndmask_b32_e64 v84, v20, v10, s[2:3]
	v_cndmask_b32_e64 v85, v11, v21, s[2:3]
	v_lshl_add_u64 v[58:59], v[12:13], 0, v[14:15]
	v_lshlrev_b32_e32 v86, 2, v16
	v_add_u32_e32 v87, v26, v23
	v_add_u32_e32 v88, v28, v23
	;; [unrolled: 1-line block ×4, first 2 shown]
	v_lshlrev_b32_e32 v91, 2, v18
	v_add_u32_e32 v92, v17, v23
	v_add_u32_e32 v93, v24, v23
	;; [unrolled: 1-line block ×4, first 2 shown]
	s_waitcnt lgkmcnt(0)
	s_barrier
.LBB708_6:                              ; =>This Inner Loop Header: Depth=1
	s_add_i32 s37, s60, 1
	s_cmp_lt_i32 s37, s48
	s_mov_b64 s[24:25], 0
	s_cselect_b64 s[2:3], -1, 0
	s_cmp_ge_i32 s37, s48
	s_mov_b64 s[20:21], 0
	s_cbranch_scc1 .LBB708_8
; %bb.7:                                ;   in Loop: Header=BB708_6 Depth=1
	s_add_i32 s0, s55, 64
	s_ashr_i32 s1, s0, 31
	s_add_u32 s0, s54, s0
	s_addc_u32 s1, s53, s1
	s_lshl_b64 s[0:1], s[0:1], 8
	s_add_u32 s20, s6, s0
	s_addc_u32 s21, s7, s1
.LBB708_8:                              ;   in Loop: Header=BB708_6 Depth=1
	v_cndmask_b32_e64 v10, 0, 1, s[2:3]
	v_cmp_ne_u32_e64 s[0:1], 1, v10
	s_andn2_b64 vcc, exec, s[2:3]
	s_cbranch_vccnz .LBB708_10
; %bb.9:                                ;   in Loop: Header=BB708_6 Depth=1
	s_add_i32 s2, s55, 64
	s_mul_hi_i32 s3, s2, s14
	s_mul_i32 s2, s2, s14
	s_add_u32 s2, s2, s51
	s_addc_u32 s3, s3, s56
	s_lshl_b64 s[2:3], s[2:3], 8
	s_add_u32 s24, s4, s2
	s_addc_u32 s25, s5, s3
.LBB708_10:                             ;   in Loop: Header=BB708_6 Depth=1
	v_perm_b32 v11, v9, v8, s35
	v_perm_b32 v10, v7, v6, s35
	;; [unrolled: 1-line block ×4, first 2 shown]
	ds_write_b64 v73, v[10:11]
	ds_write_b64 v74, v[12:13]
	;; [unrolled: 1-line block ×4, first 2 shown]
	s_waitcnt lgkmcnt(0)
	s_barrier
	ds_read_b64 v[18:19], v77 offset:16384
	ds_read_b64 v[20:21], v79 offset:16384
	ds_read2st64_b64 v[10:13], v78 offset1:1
	s_waitcnt lgkmcnt(0)
	v_mfma_f32_16x16x16_bf16 a[0:3], v[18:19], v[10:11], 0
	ds_read2st64_b64 v[14:17], v78 offset0:2 offset1:3
	ds_read_b64 v[22:23], v80 offset:16384
	ds_read_b64 v[10:11], v81 offset:16384
	s_add_i32 s39, s55, 63
	v_mfma_f32_16x16x16_bf16 a[0:3], v[20:21], v[12:13], a[0:3]
	s_ashr_i32 s2, s39, 31
	s_mul_i32 s3, s39, s29
	s_mul_hi_u32 s27, s39, s28
	s_waitcnt lgkmcnt(1)
	v_mfma_f32_16x16x16_bf16 a[0:3], v[22:23], v[14:15], a[0:3]
	s_add_i32 s3, s27, s3
	s_mul_i32 s2, s2, s28
	s_add_i32 s3, s3, s2
	s_mul_i32 s2, s39, s28
	s_waitcnt lgkmcnt(0)
	v_mfma_f32_16x16x16_bf16 a[0:3], v[10:11], v[16:17], a[0:3]
	s_lshl_b64 s[2:3], s[2:3], 2
	s_add_u32 s2, s40, s2
	s_addc_u32 s3, s41, s3
	s_and_b64 vcc, exec, s[0:1]
	v_mov_b32_e32 v99, 0
	v_mov_b32_e32 v98, 0
	;; [unrolled: 1-line block ×19, first 2 shown]
	s_cbranch_vccnz .LBB708_12
; %bb.11:                               ;   in Loop: Header=BB708_6 Depth=1
	s_and_b32 s21, s21, 0xffff
	buffer_load_dwordx4 v[22:25], v69, s[20:23], 0 offen
	buffer_load_dwordx4 v[18:21], v69, s[20:23], s57 offen
	;; [unrolled: 1-line block ×4, first 2 shown]
	v_mov_b32_e32 v98, v71
	v_mov_b32_e32 v97, v72
.LBB708_12:                             ;   in Loop: Header=BB708_6 Depth=1
	v_add_u32_e32 v30, s55, v65
	v_ashrrev_i32_e32 v26, 31, v30
	v_mul_lo_u32 v28, v26, s28
	v_mul_lo_u32 v29, v30, s29
	v_mad_u64_u32 v[26:27], s[20:21], v30, s28, 0
	v_add3_u32 v27, v27, v29, v28
	v_lshl_add_u64 v[26:27], v[26:27], 2, s[40:41]
	global_load_dword v46, v[26:27], off
	v_add_u32_e32 v26, 1, v30
	v_ashrrev_i32_e32 v27, 31, v26
	v_mul_lo_u32 v28, v27, s28
	v_mul_lo_u32 v29, v26, s29
	v_mad_u64_u32 v[26:27], s[20:21], v26, s28, 0
	v_add3_u32 v27, v27, v29, v28
	v_add_u32_e32 v28, 2, v30
	v_ashrrev_i32_e32 v29, 31, v28
	v_mul_lo_u32 v31, v29, s28
	v_mul_lo_u32 v32, v28, s29
	v_mad_u64_u32 v[28:29], s[20:21], v28, s28, 0
	v_add_u32_e32 v30, 3, v30
	v_add3_u32 v29, v29, v32, v31
	v_ashrrev_i32_e32 v31, 31, v30
	v_mul_lo_u32 v34, v31, s28
	v_mul_lo_u32 v35, v30, s29
	v_mad_u64_u32 v[30:31], s[20:21], v30, s28, 0
	s_ashr_i32 s21, s55, 31
	s_add_u32 s20, s54, s55
	s_addc_u32 s21, s53, s21
	s_lshl_b64 s[20:21], s[20:21], 8
	v_lshl_add_u64 v[26:27], v[26:27], 2, s[40:41]
	v_lshl_add_u64 v[32:33], v[58:59], 0, s[20:21]
	v_add3_u32 v31, v31, v35, v34
	v_lshl_add_u64 v[28:29], v[28:29], 2, s[40:41]
	global_load_ushort v47, v[32:33], off
	global_load_ushort v48, v[32:33], off offset:256
	global_load_ushort v49, v[32:33], off offset:512
	;; [unrolled: 1-line block ×3, first 2 shown]
	v_lshl_add_u64 v[30:31], v[30:31], 2, s[40:41]
	global_load_dword v51, v[26:27], off
	global_load_dword v52, v[28:29], off
	;; [unrolled: 1-line block ×3, first 2 shown]
	s_load_dword s2, s[2:3], 0x0
	ds_read_b64 v[34:35], v77 offset:24576
	ds_read2st64_b64 v[30:33], v82 offset1:1
	ds_read2st64_b64 v[36:39], v82 offset0:2 offset1:3
	ds_read_b64 v[40:41], v79 offset:24576
	ds_read_b64 v[42:43], v80 offset:24576
	;; [unrolled: 1-line block ×3, first 2 shown]
	s_waitcnt lgkmcnt(0)
	v_mfma_f32_16x16x16_bf16 a[0:3], v[34:35], v[30:31], a[0:3]
	v_mov_b32_e32 v100, 0
	v_mov_b32_e32 v26, 0
	v_mov_b32_e32 v27, 0
	v_mfma_f32_16x16x16_bf16 a[0:3], v[40:41], v[32:33], a[0:3]
	v_mov_b32_e32 v28, 0
	v_mov_b32_e32 v29, 0
	v_mov_b32_e32 v30, 0
	;; [unrolled: 4-line block ×4, first 2 shown]
	s_and_b64 vcc, exec, s[0:1]
	s_waitcnt vmcnt(7)
	v_sub_f32_e32 v37, s2, v46
	v_mul_f32_e32 v37, 0x3fb8aa3b, v37
	v_exp_f32_e32 v46, v37
	v_accvgpr_read_b32 v41, a1
	v_accvgpr_read_b32 v39, a3
	;; [unrolled: 1-line block ×4, first 2 shown]
	s_waitcnt vmcnt(6)
	v_lshlrev_b32_e32 v42, 16, v47
	s_waitcnt vmcnt(5)
	v_lshlrev_b32_e32 v43, 16, v48
	;; [unrolled: 2-line block ×3, first 2 shown]
	s_waitcnt vmcnt(2)
	v_sub_f32_e32 v47, s2, v51
	s_waitcnt vmcnt(1)
	v_sub_f32_e32 v48, s2, v52
	;; [unrolled: 2-line block ×3, first 2 shown]
	v_mul_f32_e32 v37, 0x3fb8aa3b, v47
	v_mul_f32_e32 v48, 0x3fb8aa3b, v48
	;; [unrolled: 1-line block ×3, first 2 shown]
	v_exp_f32_e32 v47, v37
	v_exp_f32_e32 v48, v48
	;; [unrolled: 1-line block ×3, first 2 shown]
	v_lshlrev_b32_e32 v45, 16, v50
	v_pk_add_f32 v[40:41], v[42:43], v[40:41] neg_lo:[0,1] neg_hi:[0,1]
	v_pk_add_f32 v[38:39], v[44:45], v[38:39] neg_lo:[0,1] neg_hi:[0,1]
	v_pk_mul_f32 v[40:41], v[46:47], v[40:41]
	v_pk_mul_f32 v[38:39], v[48:49], v[38:39]
	v_mov_b32_e32 v37, 0
	v_perm_b32 v39, v39, v38, s35
	v_perm_b32 v38, v41, v40, s35
	ds_write_b64 v74, v[38:39]
	v_mov_b32_e32 v38, 0
	v_mov_b32_e32 v39, 0
	;; [unrolled: 1-line block ×4, first 2 shown]
	s_cbranch_vccnz .LBB708_14
; %bb.13:                               ;   in Loop: Header=BB708_6 Depth=1
	s_and_b32 s25, s25, 0xffff
	s_mov_b32 s27, s23
	buffer_load_dwordx4 v[38:41], v84, s[24:27], 0 offen
	buffer_load_dwordx4 v[30:33], v84, s[24:27], s57 offen
	;; [unrolled: 1-line block ×4, first 2 shown]
	v_mov_b32_e32 v99, v68
	v_mov_b32_e32 v100, v67
.LBB708_14:                             ;   in Loop: Header=BB708_6 Depth=1
	s_waitcnt lgkmcnt(0)
	s_barrier
	ds_read_b64 v[42:43], v87
	ds_read_b64 v[48:49], v88
	ds_read2st64_b64 v[44:47], v82 offset1:1
	ds_read2st64_b64 v[102:105], v82 offset0:2 offset1:3
	ds_read_b64 v[50:51], v89
	ds_read_b64 v[110:111], v90
	s_add_i32 s3, s52, s60
	s_mul_hi_i32 s21, s3, s13
	s_mul_i32 s3, s3, s13
	s_waitcnt lgkmcnt(3)
	v_mfma_f32_16x16x16_bf16 a[0:3], v[42:43], v[44:45], 0
	ds_read_b64 v[42:43], v92
	s_add_u32 s20, s3, s47
	s_addc_u32 s21, s21, s49
	v_mfma_f32_16x16x16_bf16 a[0:3], v[48:49], v[46:47], a[0:3]
	ds_read_b64 v[48:49], v93
	s_lshl_b64 s[20:21], s[20:21], 15
	s_mul_i32 s24, s39, s13
	s_mul_hi_i32 s3, s39, s13
	s_add_u32 s24, s24, s47
	s_addc_u32 s25, s3, s49
	s_lshl_b64 s[24:25], s[24:25], 9
	s_add_u32 s24, s16, s24
	s_waitcnt lgkmcnt(1)
	v_mfma_f32_16x16x16_bf16 a[4:7], v[42:43], v[44:45], 0
	s_addc_u32 s25, s17, s25
	s_and_b64 vcc, exec, s[0:1]
	v_mfma_f32_16x16x16_bf16 a[0:3], v[50:51], v[102:103], a[0:3]
	ds_read_b64 v[50:51], v94
	ds_read_b64 v[112:113], v95
	global_load_dwordx4 v[42:45], v91, s[24:25]
	s_waitcnt lgkmcnt(2)
	v_mfma_f32_16x16x16_bf16 a[4:7], v[48:49], v[46:47], a[4:7]
	global_load_dwordx4 v[46:49], v86, s[24:25]
	ds_read_b64 v[106:107], v55
	ds_read_b64 v[108:109], v83
	s_waitcnt lgkmcnt(3)
	v_mfma_f32_16x16x16_bf16 a[8:11], v[50:51], v[102:103], a[4:7]
	v_lshl_add_u64 v[50:51], v[56:57], 0, s[20:21]
	s_waitcnt lgkmcnt(0)
	global_store_dwordx4 v[50:51], v[106:109], off
	v_mfma_f32_16x16x16_bf16 a[4:7], v[110:111], v[104:105], a[0:3]
	s_waitcnt vmcnt(2)
	v_mov_b32_e32 v52, v45
	v_mfma_f32_16x16x16_bf16 a[0:3], v[112:113], v[104:105], a[8:11]
	v_mov_b32_e32 v51, v44
	v_mov_b32_e32 v50, v43
	s_cbranch_vccnz .LBB708_16
; %bb.15:                               ;   in Loop: Header=BB708_6 Depth=1
	v_lshrrev_b32_e32 v43, 3, v99
	v_and_b32_e32 v43, 6, v43
	v_xor_b32_e32 v44, v43, v100
	v_lshlrev_b32_e32 v44, 2, v44
	v_and_b32_e32 v45, 8, v99
	v_xor_b32_e32 v99, 0x440, v44
	v_cmp_eq_u32_e32 vcc, 0, v45
	v_perm_b32 v45, v30, v26, s58
	s_nop 0
	v_cndmask_b32_e32 v44, v99, v44, vcc
	v_lshl_or_b32 v43, v43, 10, v44
	v_perm_b32 v44, v38, v34, s58
	s_barrier
	ds_write2st64_b32 v43, v44, v45 offset1:32
	v_xor_b32_e32 v44, 8, v43
	v_perm_b32 v34, v38, v34, s59
	v_perm_b32 v26, v30, v26, s59
	v_add_u32_e32 v30, 0x80, v44
	ds_write2st64_b32 v30, v34, v26 offset1:32
	v_xor_b32_e32 v26, 16, v43
	v_perm_b32 v30, v39, v35, s58
	v_perm_b32 v34, v31, v27, s58
	ds_write2st64_b32 v26, v30, v34 offset0:1 offset1:33
	v_xor_b32_e32 v26, 24, v43
	v_perm_b32 v30, v39, v35, s59
	v_perm_b32 v27, v31, v27, s59
	v_add_u32_e32 v26, 0x80, v26
	ds_write2st64_b32 v26, v30, v27 offset0:1 offset1:33
	v_xor_b32_e32 v26, 32, v43
	v_perm_b32 v27, v40, v36, s58
	v_perm_b32 v30, v32, v28, s58
	ds_write2st64_b32 v26, v27, v30 offset0:2 offset1:34
	v_xor_b32_e32 v26, 40, v43
	v_perm_b32 v27, v40, v36, s59
	v_perm_b32 v28, v32, v28, s59
	v_add_u32_e32 v26, 0x80, v26
	ds_write2st64_b32 v26, v27, v28 offset0:2 offset1:34
	;; [unrolled: 9-line block ×3, first 2 shown]
	ds_write_b64 v98, v[22:23] offset:16384
	v_xor_b32_e32 v22, 8, v98
	ds_write_b64 v22, v[24:25] offset:16384
	ds_write_b64 v98, v[18:19] offset:24576
	ds_write_b64 v22, v[20:21] offset:24576
	ds_write_b64 v97, v[14:15] offset:16384
	v_xor_b32_e32 v14, 8, v97
	ds_write_b64 v14, v[16:17] offset:16384
	ds_write_b64 v97, v[10:11] offset:24576
	;; [unrolled: 1-line block ×3, first 2 shown]
.LBB708_16:                             ;   in Loop: Header=BB708_6 Depth=1
	v_mul_f32_e32 v14, s2, v96
	v_exp_f32_e32 v18, v14
	s_waitcnt vmcnt(1)
	v_mul_f32_e32 v14, 0x3fb8aa3b, v46
	v_exp_f32_e32 v20, v14
	v_mul_f32_e32 v14, 0x3fb8aa3b, v47
	v_exp_f32_e32 v21, v14
	;; [unrolled: 2-line block ×4, first 2 shown]
	v_accvgpr_read_b32 v13, a7
	v_accvgpr_read_b32 v11, a5
	;; [unrolled: 1-line block ×3, first 2 shown]
	v_pk_mul_f32 v[20:21], v[18:19], v[20:21] op_sel_hi:[0,1]
	v_pk_fma_f32 v[6:7], v[6:7], v[20:21], v[10:11]
	v_pk_mul_f32 v[10:11], v[18:19], v[22:23] op_sel_hi:[0,1]
	v_mul_f32_e32 v19, 0x3fb8aa3b, v42
	v_exp_f32_e32 v20, v19
	v_mul_f32_e32 v19, 0x3fb8aa3b, v50
	v_exp_f32_e32 v21, v19
	;; [unrolled: 2-line block ×4, first 2 shown]
	v_accvgpr_read_b32 v12, a6
	v_accvgpr_read_b32 v17, a3
	;; [unrolled: 1-line block ×4, first 2 shown]
	v_pk_fma_f32 v[8:9], v[8:9], v[10:11], v[12:13]
	v_pk_mul_f32 v[10:11], v[18:19], v[20:21] op_sel_hi:[0,1]
	v_accvgpr_read_b32 v16, a2
	v_pk_fma_f32 v[2:3], v[2:3], v[10:11], v[14:15]
	v_pk_mul_f32 v[10:11], v[18:19], v[22:23] op_sel_hi:[0,1]
	s_add_i32 s55, s55, 64
	s_cmp_eq_u32 s48, s37
	v_pk_fma_f32 v[4:5], v[4:5], v[10:11], v[16:17]
	s_cbranch_scc1 .LBB708_18
; %bb.17:                               ;   in Loop: Header=BB708_6 Depth=1
	s_mov_b32 s60, s37
	s_branch .LBB708_6
.LBB708_18:
	s_lshl_b32 s26, s48, 6
	s_sub_i32 s27, s50, s26
	s_cmp_gt_i32 s27, 0
	s_cbranch_scc0 .LBB708_75
; %bb.19:
	s_add_i32 s26, s26, s30
	s_ashr_i32 s2, s26, 31
	s_cmpk_lg_i32 s15, 0x80
	s_cselect_b64 s[22:23], -1, 0
	s_and_b64 vcc, exec, s[22:23]
	s_cbranch_vccz .LBB708_21
; %bb.20:
	s_mul_i32 s1, s26, s14
	s_ashr_i32 s3, s51, 31
	s_mul_hi_i32 s0, s26, s14
	s_add_u32 s24, s1, s51
	s_addc_u32 s25, s0, s3
	s_cbranch_execz .LBB708_22
	s_branch .LBB708_23
.LBB708_21:
                                        ; implicit-def: $sgpr24_sgpr25
.LBB708_22:
	s_mul_i32 s1, s51, s12
	s_mul_hi_i32 s0, s51, s12
	s_add_u32 s24, s1, s26
	s_addc_u32 s25, s0, s2
.LBB708_23:
	s_waitcnt lgkmcnt(0)
	s_add_i32 s3, s48, s52
	s_add_u32 s0, s54, s26
	s_addc_u32 s1, s53, s2
	s_mov_b32 s2, 0x7060302
	s_waitcnt vmcnt(0)
	v_perm_b32 v5, v5, v4, s2
	v_perm_b32 v4, v3, v2, s2
	v_lshlrev_b32_e32 v2, 3, v62
	s_lshl_b64 s[20:21], s[0:1], 8
	v_perm_b32 v9, v9, v8, s2
	v_perm_b32 v8, v7, v6, s2
	v_lshlrev_b32_e32 v34, 2, v62
	v_lshl_or_b32 v2, v65, 5, v2
	s_add_u32 s0, s6, s20
	ds_write2st64_b64 v2, v[8:9], v[4:5] offset0:72 offset1:76
	v_xor_b32_e32 v2, v65, v34
	v_lshlrev_b32_e32 v3, 8, v62
	s_addc_u32 s1, s7, s21
	v_lshl_or_b32 v2, v2, 1, v3
	s_mul_hi_i32 s6, s3, s13
	s_mul_i32 s3, s3, s13
	ds_write_b64 v2, v[8:9] offset:32768
	v_xor_b32_e32 v2, v66, v34
	s_add_u32 s2, s3, s47
	v_lshl_or_b32 v2, v2, 1, v3
	s_addc_u32 s3, s6, s49
	v_lshlrev_b32_e32 v3, 1, v62
	ds_write_b64 v2, v[4:5] offset:32768
	v_lshrrev_b32_e32 v2, 4, v0
	s_ashr_i32 s39, s38, 31
	s_lshl_b64 s[2:3], s[2:3], 15
	v_or_b32_e32 v4, 1, v3
	s_add_u32 s6, s18, s2
	v_xor_b32_e32 v3, v2, v3
	v_xor_b32_e32 v4, v4, v2
	v_lshlrev_b32_e32 v6, 8, v2
	s_addc_u32 s7, s19, s3
	s_lshl_b64 s[2:3], s[38:39], 8
	v_lshl_or_b32 v2, v3, 3, v6
	v_lshl_or_b32 v4, v4, 3, v6
	s_waitcnt lgkmcnt(0)
	s_barrier
	s_add_u32 s2, s6, s2
	ds_read_b64 v[2:3], v2 offset:32768
	ds_read_b64 v[4:5], v4 offset:32768
	s_addc_u32 s3, s7, s3
	v_mov_b32_e32 v7, 0
	s_cmp_lg_u32 s27, 64
	v_lshl_add_u64 v[8:9], s[2:3], 0, v[6:7]
	v_lshlrev_b32_e32 v6, 4, v62
	s_cselect_b64 s[6:7], -1, 0
	v_lshl_or_b32 v35, v60, 3, v64
	s_mov_b32 s16, 0
	v_lshl_add_u64 v[6:7], v[8:9], 0, v[6:7]
	v_or_b32_e32 v19, 32, v35
	v_and_b32_e32 v18, 56, v63
	s_and_b64 vcc, exec, s[6:7]
	s_waitcnt lgkmcnt(0)
	global_store_dwordx4 v[6:7], v[2:5], off
	s_cbranch_vccz .LBB708_29
; %bb.24:
	s_mov_b32 s17, s16
	s_mov_b32 s18, s16
	;; [unrolled: 1-line block ×3, first 2 shown]
	v_mov_b64_e32 v[6:7], s[16:17]
	v_mov_b64_e32 v[8:9], s[18:19]
	;; [unrolled: 1-line block ×3, first 2 shown]
	v_cmp_gt_i32_e32 vcc, s27, v35
	v_mov_b64_e32 v[4:5], v[8:9]
	s_and_saveexec_b64 s[2:3], vcc
	s_cbranch_execz .LBB708_26
; %bb.25:
	v_lshlrev_b32_e32 v2, 8, v35
	v_mov_b32_e32 v3, 0
	v_lshl_add_u64 v[4:5], s[0:1], 0, v[2:3]
	v_lshlrev_b32_e32 v2, 1, v18
	v_lshl_add_u64 v[10:11], v[4:5], 0, v[2:3]
	global_load_dwordx4 v[6:9], v[10:11], off
	global_load_dwordx4 v[2:5], v[10:11], off offset:128
.LBB708_26:
	s_or_b64 exec, exec, s[2:3]
	s_mov_b32 s17, s16
	s_mov_b32 s18, s16
	;; [unrolled: 1-line block ×3, first 2 shown]
	v_mov_b64_e32 v[14:15], s[16:17]
	v_mov_b64_e32 v[16:17], s[18:19]
	;; [unrolled: 1-line block ×3, first 2 shown]
	v_cmp_gt_i32_e32 vcc, s27, v19
	v_lshlrev_b32_e32 v20, 7, v19
	v_mov_b64_e32 v[12:13], v[16:17]
	s_and_saveexec_b64 s[2:3], vcc
	s_cbranch_execz .LBB708_28
; %bb.27:
	v_lshlrev_b32_e32 v10, 1, v20
	v_mov_b32_e32 v11, 0
	v_lshl_add_u64 v[12:13], s[0:1], 0, v[10:11]
	v_lshlrev_b32_e32 v10, 1, v18
	v_lshl_add_u64 v[22:23], v[12:13], 0, v[10:11]
	global_load_dwordx4 v[14:17], v[22:23], off
	global_load_dwordx4 v[10:13], v[22:23], off offset:128
.LBB708_28:
	s_or_b64 exec, exec, s[2:3]
	v_lshrrev_b32_e32 v21, 3, v18
	v_lshlrev_b32_e32 v22, 3, v35
	v_or_b32_e32 v21, v22, v21
	v_lshlrev_b32_e32 v21, 4, v21
	v_and_b32_e32 v22, 0x78, v22
	v_xor_b32_e32 v21, v21, v22
	s_branch .LBB708_31
.LBB708_29:
                                        ; implicit-def: $vgpr21
                                        ; implicit-def: $vgpr20
                                        ; implicit-def: $vgpr6_vgpr7_vgpr8_vgpr9
                                        ; implicit-def: $vgpr2_vgpr3_vgpr4_vgpr5
                                        ; implicit-def: $vgpr14_vgpr15_vgpr16_vgpr17
                                        ; implicit-def: $vgpr10_vgpr11_vgpr12_vgpr13
	s_cbranch_execz .LBB708_31
; %bb.30:
	s_waitcnt vmcnt(0)
	v_lshlrev_b32_e32 v2, 1, v18
	v_lshl_or_b32 v20, v35, 8, v2
	s_and_b32 s1, s1, 0xffff
	s_mov_b32 s3, 0x20000
	s_movk_i32 s2, 0x4000
	v_lshl_or_b32 v21, v19, 8, v2
	s_movk_i32 s12, 0x80
	buffer_load_dwordx4 v[6:9], v20, s[0:3], 0 offen
	buffer_load_dwordx4 v[2:5], v20, s[0:3], s12 offen
	;; [unrolled: 1-line block ×4, first 2 shown]
	v_lshrrev_b32_e32 v20, 3, v18
	v_lshlrev_b32_e32 v21, 3, v35
	v_or_b32_e32 v20, v21, v20
	v_lshlrev_b32_e32 v20, 4, v20
	v_and_b32_e32 v21, 0x78, v21
	v_xor_b32_e32 v21, v20, v21
	v_lshlrev_b32_e32 v20, 7, v19
.LBB708_31:
	s_lshl_b64 s[0:1], s[24:25], 8
	s_add_u32 s4, s4, s0
	s_movk_i32 s0, 0x1000
	v_and_or_b32 v19, v20, s0, v21
	s_waitcnt vmcnt(1)
	ds_write_b64 v21, v[6:7] offset:16384
	v_xor_b32_e32 v6, 8, v21
	ds_write_b64 v6, v[8:9] offset:16384
	s_waitcnt vmcnt(0)
	ds_write_b64 v21, v[2:3] offset:24576
	ds_write_b64 v6, v[4:5] offset:24576
	;; [unrolled: 1-line block ×3, first 2 shown]
	v_xor_b32_e32 v2, 8, v19
	ds_write_b64 v2, v[16:17] offset:16384
	ds_write_b64 v19, v[10:11] offset:24576
	;; [unrolled: 1-line block ×3, first 2 shown]
	v_or_b32_e32 v2, v1, v62
	v_lshlrev_b32_e32 v2, 3, v2
	v_lshrrev_b32_e32 v4, 5, v53
	s_movk_i32 s12, 0xf8
	v_and_or_b32 v4, v2, s12, v4
	v_lshlrev_b32_e32 v3, 11, v60
	v_lshlrev_b32_e32 v12, 4, v4
	v_and_b32_e32 v13, 0x78, v2
	v_and_b32_e32 v14, 0x1000, v3
	v_lshlrev_b32_e32 v3, 2, v0
	v_xor_b32_e32 v2, v12, v13
	v_lshrrev_b32_e32 v4, 1, v53
	v_and_b32_e32 v3, 60, v3
	v_or_b32_e32 v2, v2, v14
	v_and_b32_e32 v15, 8, v4
	v_xor_b32_e32 v26, v2, v15
	v_lshl_or_b32 v2, v61, 6, v3
	v_lshlrev_b32_e32 v19, 1, v2
	v_or_b32_e32 v2, 32, v12
	v_xor_b32_e32 v2, v2, v13
	s_waitcnt lgkmcnt(0)
	s_barrier
	ds_read_b64 v[10:11], v26 offset:16384
	v_or_b32_e32 v2, v2, v14
	v_xor_b32_e32 v27, v2, v15
	v_or_b32_e32 v2, 64, v12
	v_xor_b32_e32 v2, v2, v13
	v_or_b32_e32 v2, v2, v14
	v_or_b32_e32 v12, 0x60, v12
	v_xor_b32_e32 v28, v2, v15
	ds_read2st64_b64 v[2:5], v19 offset0:72 offset1:73
	ds_read2st64_b64 v[6:9], v19 offset0:74 offset1:75
	v_xor_b32_e32 v16, v12, v13
	ds_read_b64 v[12:13], v27 offset:16384
	s_addc_u32 s5, s5, s1
	s_add_i32 s1, s43, s33
	s_waitcnt lgkmcnt(2)
	v_mfma_f32_16x16x16_bf16 a[0:3], v[10:11], v[2:3], 0
	s_add_i32 s0, s31, -1
	s_add_i32 s37, s1, s44
	s_add_i32 s1, s45, s42
	;; [unrolled: 1-line block ×3, first 2 shown]
	s_ashr_i32 s1, s0, 31
	s_mul_i32 s2, s0, s29
	s_mul_hi_u32 s3, s0, s28
	s_add_i32 s2, s3, s2
	s_mul_i32 s1, s1, s28
	v_or_b32_e32 v14, v16, v14
	s_add_i32 s1, s2, s1
	s_lshl_b64 s[2:3], s[36:37], 2
	v_xor_b32_e32 v36, v14, v15
	ds_read_b64 v[14:15], v28 offset:16384
	ds_read_b64 v[16:17], v36 offset:16384
	s_waitcnt lgkmcnt(2)
	v_mfma_f32_16x16x16_bf16 a[0:3], v[12:13], v[4:5], a[0:3]
	s_add_u32 s10, s10, s2
	s_addc_u32 s11, s11, s3
	s_lshl_b64 s[2:3], s[34:35], 2
	s_mul_i32 s0, s0, s28
	s_add_u32 s10, s10, s2
	s_addc_u32 s11, s11, s3
	s_lshl_b64 s[0:1], s[0:1], 2
	s_waitcnt lgkmcnt(1)
	v_mfma_f32_16x16x16_bf16 a[0:3], v[14:15], v[6:7], a[0:3]
	s_add_u32 s0, s10, s0
	s_addc_u32 s1, s11, s1
	s_load_dword s12, s[0:1], 0x0
	s_waitcnt lgkmcnt(0)
	v_mfma_f32_16x16x16_bf16 a[0:3], v[16:17], v[8:9], a[0:3]
	s_and_b64 vcc, exec, s[22:23]
	s_cbranch_vccz .LBB708_42
; %bb.32:
	v_lshlrev_b32_e32 v20, 1, v35
	s_and_b64 vcc, exec, s[6:7]
	s_cbranch_vccz .LBB708_43
; %bb.33:
	v_cmp_gt_i32_e32 vcc, s27, v20
	v_mov_b32_e32 v6, 0
	v_mov_b32_e32 v2, 0
	;; [unrolled: 1-line block ×5, first 2 shown]
	s_and_saveexec_b64 s[0:1], vcc
	s_cbranch_execz .LBB708_35
; %bb.34:
	v_mad_i64_i32 v[2:3], s[2:3], s15, v20, 0
	v_lshl_add_u64 v[2:3], v[2:3], 1, s[4:5]
	v_lshlrev_b32_e32 v4, 1, v18
	v_mov_b32_e32 v5, 0
	v_lshl_add_u64 v[2:3], v[2:3], 0, v[4:5]
	global_load_dwordx4 v[2:5], v[2:3], off
.LBB708_35:
	s_or_b64 exec, exec, s[0:1]
	v_or_b32_e32 v21, 1, v20
	v_cmp_gt_i32_e64 s[0:1], s27, v21
	v_mov_b32_e32 v7, 0
	v_mov_b32_e32 v8, 0
	;; [unrolled: 1-line block ×3, first 2 shown]
	s_and_saveexec_b64 s[2:3], s[0:1]
	s_cbranch_execz .LBB708_37
; %bb.36:
	v_mad_i64_i32 v[6:7], s[16:17], s15, v21, 0
	v_lshl_add_u64 v[6:7], v[6:7], 1, s[4:5]
	v_lshlrev_b32_e32 v8, 1, v18
	v_mov_b32_e32 v9, 0
	v_lshl_add_u64 v[6:7], v[6:7], 0, v[8:9]
	global_load_dwordx4 v[6:9], v[6:7], off
.LBB708_37:
	s_or_b64 exec, exec, s[2:3]
	v_mov_b32_e32 v17, 0
	v_mov_b32_e32 v10, 0
	;; [unrolled: 1-line block ×5, first 2 shown]
	s_and_saveexec_b64 s[2:3], vcc
	s_cbranch_execz .LBB708_39
; %bb.38:
	v_mad_i64_i32 v[10:11], s[16:17], s15, v20, 0
	v_lshl_add_u64 v[10:11], v[10:11], 1, s[4:5]
	v_lshlrev_b32_e32 v12, 1, v18
	v_mov_b32_e32 v13, 0
	v_lshl_add_u64 v[10:11], v[10:11], 0, v[12:13]
	global_load_dwordx4 v[10:13], v[10:11], off offset:128
.LBB708_39:
	s_or_b64 exec, exec, s[2:3]
	v_mov_b32_e32 v16, 0
	v_mov_b32_e32 v15, 0
	;; [unrolled: 1-line block ×3, first 2 shown]
	s_and_saveexec_b64 s[2:3], s[0:1]
	s_cbranch_execz .LBB708_41
; %bb.40:
	v_mad_i64_i32 v[14:15], s[0:1], s15, v21, 0
	v_lshl_add_u64 v[14:15], v[14:15], 1, s[4:5]
	v_lshlrev_b32_e32 v16, 1, v18
	v_mov_b32_e32 v17, 0
	v_lshl_add_u64 v[14:15], v[14:15], 0, v[16:17]
	global_load_dwordx4 v[14:17], v[14:15], off offset:128
.LBB708_41:
	s_or_b64 exec, exec, s[2:3]
	s_branch .LBB708_45
.LBB708_42:
                                        ; implicit-def: $vgpr5
                                        ; implicit-def: $vgpr9
                                        ; implicit-def: $vgpr13
                                        ; implicit-def: $vgpr17
	v_lshrrev_b32_e32 v37, 2, v53
	s_branch .LBB708_46
.LBB708_43:
                                        ; implicit-def: $vgpr5
                                        ; implicit-def: $vgpr9
                                        ; implicit-def: $vgpr13
                                        ; implicit-def: $vgpr17
	s_cbranch_execz .LBB708_45
; %bb.44:
	s_waitcnt vmcnt(0)
	v_mad_u64_u32 v[2:3], s[0:1], v20, s15, v[18:19]
	v_lshlrev_b32_e32 v20, 1, v2
	s_lshl_b32 s2, s15, 7
	s_and_b32 s1, s5, 0xffff
	s_mov_b32 s3, 0x20000
	s_mov_b32 s0, s4
	v_add_lshl_u32 v21, v2, s15, 1
	s_movk_i32 s13, 0x80
	buffer_load_dwordx4 v[2:5], v20, s[0:3], 0 offen
	buffer_load_dwordx4 v[10:13], v20, s[0:3], s13 offen
	;; [unrolled: 1-line block ×4, first 2 shown]
.LBB708_45:
	v_lshrrev_b32_e32 v37, 2, v53
	s_cbranch_execnz .LBB708_58
.LBB708_46:
	s_and_b64 vcc, exec, s[6:7]
	s_cbranch_vccz .LBB708_56
; %bb.47:
	s_waitcnt vmcnt(0)
	v_lshlrev_b32_e32 v7, 1, v35
	v_cmp_gt_i32_e32 vcc, s27, v7
	v_mov_b32_e32 v6, 0
	v_lshlrev_b32_e32 v14, 9, v35
	v_mov_b32_e32 v2, 0
	v_mov_b32_e32 v3, 0
	;; [unrolled: 1-line block ×4, first 2 shown]
	s_and_saveexec_b64 s[0:1], vcc
	s_cbranch_execz .LBB708_49
; %bb.48:
	v_mov_b32_e32 v15, 0
	v_lshl_add_u64 v[2:3], s[4:5], 0, v[14:15]
	v_lshlrev_b32_e32 v4, 1, v18
	v_mov_b32_e32 v5, v15
	v_lshl_add_u64 v[2:3], v[2:3], 0, v[4:5]
	global_load_dwordx4 v[2:5], v[2:3], off
.LBB708_49:
	s_or_b64 exec, exec, s[0:1]
	v_or_b32_e32 v7, 1, v7
	v_cmp_gt_i32_e64 s[0:1], s27, v7
	v_lshlrev_b32_e32 v20, 8, v7
	v_mov_b32_e32 v7, 0
	v_mov_b32_e32 v8, 0
	;; [unrolled: 1-line block ×3, first 2 shown]
	s_and_saveexec_b64 s[2:3], s[0:1]
	s_cbranch_execz .LBB708_51
; %bb.50:
	v_mov_b32_e32 v21, 0
	v_lshl_add_u64 v[6:7], s[4:5], 0, v[20:21]
	v_lshlrev_b32_e32 v8, 1, v18
	v_mov_b32_e32 v9, v21
	v_lshl_add_u64 v[6:7], v[6:7], 0, v[8:9]
	global_load_dwordx4 v[6:9], v[6:7], off
.LBB708_51:
	s_or_b64 exec, exec, s[2:3]
	v_mov_b32_e32 v17, 0
	v_mov_b32_e32 v10, 0
	;; [unrolled: 1-line block ×5, first 2 shown]
	s_and_saveexec_b64 s[2:3], vcc
	s_cbranch_execz .LBB708_53
; %bb.52:
	v_mov_b32_e32 v15, 0
	v_lshl_add_u64 v[10:11], s[4:5], 0, v[14:15]
	v_lshlrev_b32_e32 v14, 1, v18
	v_lshl_add_u64 v[10:11], v[10:11], 0, v[14:15]
	global_load_dwordx4 v[10:13], v[10:11], off offset:128
.LBB708_53:
	s_or_b64 exec, exec, s[2:3]
	v_mov_b32_e32 v16, 0
	v_mov_b32_e32 v15, 0
	;; [unrolled: 1-line block ×3, first 2 shown]
	s_and_saveexec_b64 s[2:3], s[0:1]
	s_cbranch_execz .LBB708_55
; %bb.54:
	v_mov_b32_e32 v21, 0
	v_lshl_add_u64 v[14:15], s[4:5], 0, v[20:21]
	v_lshlrev_b32_e32 v20, 1, v18
	v_lshl_add_u64 v[14:15], v[14:15], 0, v[20:21]
	global_load_dwordx4 v[14:17], v[14:15], off offset:128
.LBB708_55:
	s_or_b64 exec, exec, s[2:3]
	s_branch .LBB708_58
.LBB708_56:
                                        ; implicit-def: $vgpr5
                                        ; implicit-def: $vgpr9
                                        ; implicit-def: $vgpr13
                                        ; implicit-def: $vgpr17
	s_cbranch_execz .LBB708_58
; %bb.57:
	s_waitcnt vmcnt(0)
	v_lshlrev_b32_e32 v2, 1, v18
	v_lshl_or_b32 v18, v35, 9, v2
	s_and_b32 s5, s5, 0xffff
	s_mov_b32 s7, 0x20000
	s_movk_i32 s6, 0x4000
	s_movk_i32 s0, 0x80
	buffer_load_dwordx4 v[2:5], v18, s[4:7], 0 offen
	buffer_load_dwordx4 v[6:9], v18, s[4:7], 0 offen offset:256
	buffer_load_dwordx4 v[10:13], v18, s[4:7], s0 offen
	buffer_load_dwordx4 v[14:17], v18, s[4:7], s0 offen offset:256
.LBB708_58:
	ds_read2st64_b64 v[22:25], v19 offset0:76 offset1:77
	ds_read2st64_b64 v[18:21], v19 offset0:78 offset1:79
	ds_read_b64 v[30:31], v26 offset:24576
	ds_read_b64 v[32:33], v27 offset:24576
	;; [unrolled: 1-line block ×4, first 2 shown]
	v_and_b32_e32 v36, 6, v0
	v_xor_b32_e32 v35, v35, v36
	v_lshlrev_b32_e32 v35, 2, v35
	v_and_b32_e32 v0, 1, v0
	v_xor_b32_e32 v38, 0x440, v35
	v_cmp_eq_u32_e32 vcc, 0, v0
	s_mov_b32 s0, 0x1000504
	s_mov_b32 s1, 0x3020706
	v_cndmask_b32_e32 v0, v38, v35, vcc
	v_lshl_or_b32 v0, v36, 10, v0
	s_waitcnt vmcnt(0)
	v_perm_b32 v35, v2, v6, s0
	v_perm_b32 v36, v10, v14, s0
	ds_write2st64_b32 v0, v35, v36 offset1:32
	v_xor_b32_e32 v35, 8, v0
	v_perm_b32 v2, v2, v6, s1
	v_perm_b32 v6, v10, v14, s1
	v_add_u32_e32 v10, 0x80, v35
	ds_write2st64_b32 v10, v2, v6 offset1:32
	v_xor_b32_e32 v2, 16, v0
	v_perm_b32 v6, v3, v7, s0
	v_perm_b32 v10, v11, v15, s0
	ds_write2st64_b32 v2, v6, v10 offset0:1 offset1:33
	v_xor_b32_e32 v2, 24, v0
	v_perm_b32 v3, v3, v7, s1
	v_perm_b32 v6, v11, v15, s1
	v_add_u32_e32 v2, 0x80, v2
	ds_write2st64_b32 v2, v3, v6 offset0:1 offset1:33
	v_xor_b32_e32 v2, 32, v0
	v_perm_b32 v3, v4, v8, s0
	v_perm_b32 v6, v12, v16, s0
	ds_write2st64_b32 v2, v3, v6 offset0:2 offset1:34
	v_xor_b32_e32 v2, 40, v0
	v_perm_b32 v3, v4, v8, s1
	v_perm_b32 v4, v12, v16, s1
	v_add_u32_e32 v2, 0x80, v2
	ds_write2st64_b32 v2, v3, v4 offset0:2 offset1:34
	v_xor_b32_e32 v2, 48, v0
	v_perm_b32 v3, v5, v9, s0
	v_perm_b32 v4, v13, v17, s0
	v_xor_b32_e32 v0, 56, v0
	v_and_or_b32 v6, v37, 12, v1
	ds_write2st64_b32 v2, v3, v4 offset0:3 offset1:35
	v_perm_b32 v2, v5, v9, s1
	v_perm_b32 v3, v13, v17, s1
	v_add_u32_e32 v0, 0x80, v0
	v_cmp_gt_i32_e32 vcc, s27, v6
	v_mov_b32_e32 v7, 0
	v_mov_b32_e32 v11, 0
	ds_write2st64_b32 v0, v2, v3 offset0:3 offset1:35
	s_and_saveexec_b64 s[0:1], vcc
	s_cbranch_execz .LBB708_60
; %bb.59:
	v_add_u32_e32 v0, s26, v6
	v_ashrrev_i32_e32 v1, 31, v0
	v_mul_lo_u32 v2, v1, s28
	v_mul_lo_u32 v3, v0, s29
	v_mad_u64_u32 v[0:1], s[2:3], v0, s28, 0
	v_add3_u32 v1, v1, v3, v2
	v_lshl_add_u64 v[0:1], v[0:1], 2, s[10:11]
	global_load_dword v0, v[0:1], off
	s_waitcnt vmcnt(0)
	v_sub_f32_e32 v0, s12, v0
	v_mul_f32_e32 v0, 0x3fb8aa3b, v0
	v_exp_f32_e32 v11, v0
.LBB708_60:
	s_or_b64 exec, exec, s[0:1]
	v_or_b32_e32 v9, 1, v6
	v_cmp_gt_i32_e64 s[0:1], s27, v9
	s_and_saveexec_b64 s[2:3], s[0:1]
	s_cbranch_execz .LBB708_62
; %bb.61:
	v_add_u32_e32 v0, s26, v9
	v_ashrrev_i32_e32 v1, 31, v0
	v_mul_lo_u32 v2, v1, s28
	v_mul_lo_u32 v3, v0, s29
	v_mad_u64_u32 v[0:1], s[4:5], v0, s28, 0
	v_add3_u32 v1, v1, v3, v2
	v_lshl_add_u64 v[0:1], v[0:1], 2, s[10:11]
	global_load_dword v0, v[0:1], off
	s_waitcnt vmcnt(0)
	v_sub_f32_e32 v0, s12, v0
	v_mul_f32_e32 v0, 0x3fb8aa3b, v0
	v_exp_f32_e32 v7, v0
.LBB708_62:
	s_or_b64 exec, exec, s[2:3]
	v_or_b32_e32 v10, 2, v6
	v_cmp_gt_i32_e64 s[2:3], s27, v10
	v_mov_b32_e32 v8, 0
	v_mov_b32_e32 v13, 0
	s_and_saveexec_b64 s[4:5], s[2:3]
	s_cbranch_execz .LBB708_64
; %bb.63:
	v_add_u32_e32 v0, s26, v10
	v_ashrrev_i32_e32 v1, 31, v0
	v_mul_lo_u32 v2, v1, s28
	v_mul_lo_u32 v3, v0, s29
	v_mad_u64_u32 v[0:1], s[6:7], v0, s28, 0
	v_add3_u32 v1, v1, v3, v2
	v_lshl_add_u64 v[0:1], v[0:1], 2, s[10:11]
	global_load_dword v0, v[0:1], off
	s_waitcnt vmcnt(0)
	v_sub_f32_e32 v0, s12, v0
	v_mul_f32_e32 v0, 0x3fb8aa3b, v0
	v_exp_f32_e32 v13, v0
.LBB708_64:
	s_or_b64 exec, exec, s[4:5]
	v_or_b32_e32 v12, 3, v6
	v_cmp_gt_i32_e64 s[4:5], s27, v12
	s_and_saveexec_b64 s[6:7], s[4:5]
	s_cbranch_execz .LBB708_66
; %bb.65:
	v_add_u32_e32 v0, s26, v12
	v_ashrrev_i32_e32 v1, 31, v0
	v_mul_lo_u32 v2, v1, s28
	v_mul_lo_u32 v3, v0, s29
	v_mad_u64_u32 v[0:1], s[14:15], v0, s28, 0
	v_add3_u32 v1, v1, v3, v2
	v_lshl_add_u64 v[0:1], v[0:1], 2, s[10:11]
	global_load_dword v0, v[0:1], off
	s_waitcnt vmcnt(0)
	v_sub_f32_e32 v0, s12, v0
	v_mul_f32_e32 v0, 0x3fb8aa3b, v0
	v_exp_f32_e32 v8, v0
.LBB708_66:
	s_or_b64 exec, exec, s[6:7]
	s_waitcnt lgkmcnt(11)
	v_mfma_f32_16x16x16_bf16 a[0:3], v[30:31], v[22:23], a[0:3]
	s_add_u32 s6, s8, s20
	v_ashrrev_i32_e32 v55, 31, v54
	s_addc_u32 s7, s9, s21
	s_waitcnt lgkmcnt(10)
	v_mfma_f32_16x16x16_bf16 a[0:3], v[32:33], v[24:25], a[0:3]
	v_mov_b32_e32 v14, 0
	v_lshl_add_u64 v[4:5], v[54:55], 1, s[6:7]
	v_mov_b32_e32 v15, 0
	s_waitcnt lgkmcnt(9)
	v_mfma_f32_16x16x16_bf16 a[0:3], v[28:29], v[18:19], a[0:3]
	s_waitcnt lgkmcnt(8)
	v_mfma_f32_16x16x16_bf16 a[0:3], v[26:27], v[20:21], a[0:3]
	s_nop 6
	v_accvgpr_read_b32 v0, a0
	v_accvgpr_read_b32 v1, a1
	;; [unrolled: 1-line block ×4, first 2 shown]
	s_and_saveexec_b64 s[6:7], vcc
	s_cbranch_execz .LBB708_68
; %bb.67:
	v_lshlrev_b32_e32 v16, 8, v6
	v_mov_b32_e32 v17, 0
	v_lshl_add_u64 v[16:17], v[4:5], 0, v[16:17]
	global_load_ushort v15, v[16:17], off
	s_waitcnt vmcnt(0)
	v_lshlrev_b32_e32 v15, 16, v15
	v_sub_f32_e32 v0, v15, v0
	v_mul_f32_e32 v0, v11, v0
	v_lshrrev_b32_e32 v15, 16, v0
.LBB708_68:
	s_or_b64 exec, exec, s[6:7]
	s_and_saveexec_b64 s[6:7], s[0:1]
	s_cbranch_execz .LBB708_70
; %bb.69:
	v_lshlrev_b32_e32 v16, 8, v9
	v_mov_b32_e32 v17, 0
	v_lshl_add_u64 v[16:17], v[4:5], 0, v[16:17]
	global_load_ushort v0, v[16:17], off
	s_waitcnt vmcnt(0)
	v_lshlrev_b32_e32 v0, 16, v0
	v_sub_f32_e32 v0, v0, v1
	v_mul_f32_e32 v0, v7, v0
	v_lshrrev_b32_e32 v14, 16, v0
.LBB708_70:
	s_or_b64 exec, exec, s[6:7]
	v_mov_b32_e32 v0, 0
	v_mov_b32_e32 v1, 0
	s_and_saveexec_b64 s[0:1], s[2:3]
	s_cbranch_execz .LBB708_72
; %bb.71:
	v_lshlrev_b32_e32 v10, 8, v10
	v_mov_b32_e32 v11, 0
	v_lshl_add_u64 v[10:11], v[4:5], 0, v[10:11]
	global_load_ushort v1, v[10:11], off
	s_waitcnt vmcnt(0)
	v_lshlrev_b32_e32 v1, 16, v1
	v_sub_f32_e32 v1, v1, v2
	v_mul_f32_e32 v1, v13, v1
	v_lshrrev_b32_e32 v1, 16, v1
.LBB708_72:
	s_or_b64 exec, exec, s[0:1]
	s_and_saveexec_b64 s[0:1], s[4:5]
	s_cbranch_execz .LBB708_74
; %bb.73:
	v_lshlrev_b32_e32 v10, 8, v12
	v_mov_b32_e32 v11, 0
	v_lshl_add_u64 v[4:5], v[4:5], 0, v[10:11]
	global_load_ushort v0, v[4:5], off
	s_waitcnt vmcnt(0)
	v_lshlrev_b32_e32 v0, 16, v0
	v_sub_f32_e32 v0, v0, v3
	v_mul_f32_e32 v0, v8, v0
	v_lshrrev_b32_e32 v0, 16, v0
.LBB708_74:
	s_or_b64 exec, exec, s[0:1]
	s_mov_b32 s0, 0x5040100
	v_lshlrev_b32_e32 v2, 1, v34
	v_perm_b32 v1, v0, v1, s0
	v_perm_b32 v0, v14, v15, s0
	v_lshl_or_b32 v2, v6, 5, v2
	ds_write_b64 v2, v[0:1] offset:38912
	s_waitcnt lgkmcnt(0)
	s_barrier
.LBB708_75:
	s_endpgm
	.section	.rodata,"a",@progbits
	.p2align	6, 0x0
	.amdhsa_kernel _ZN12_GLOBAL__N_139chunk_gated_delta_rule_fwd_h_hip_kernelILi16ELb1ELb0ELb0ELb1ELb0ELb1ELb1ELb0EEEvPK12hip_bfloat16S3_S3_PKfS5_PKvPS1_S8_PvPKiSB_iiiiilll
		.amdhsa_group_segment_fixed_size 40960
		.amdhsa_private_segment_fixed_size 0
		.amdhsa_kernarg_size 136
		.amdhsa_user_sgpr_count 2
		.amdhsa_user_sgpr_dispatch_ptr 0
		.amdhsa_user_sgpr_queue_ptr 0
		.amdhsa_user_sgpr_kernarg_segment_ptr 1
		.amdhsa_user_sgpr_dispatch_id 0
		.amdhsa_user_sgpr_kernarg_preload_length 0
		.amdhsa_user_sgpr_kernarg_preload_offset 0
		.amdhsa_user_sgpr_private_segment_size 0
		.amdhsa_uses_dynamic_stack 0
		.amdhsa_enable_private_segment 0
		.amdhsa_system_sgpr_workgroup_id_x 1
		.amdhsa_system_sgpr_workgroup_id_y 1
		.amdhsa_system_sgpr_workgroup_id_z 0
		.amdhsa_system_sgpr_workgroup_info 0
		.amdhsa_system_vgpr_workitem_id 0
		.amdhsa_next_free_vgpr 128
		.amdhsa_next_free_sgpr 61
		.amdhsa_accum_offset 116
		.amdhsa_reserve_vcc 1
		.amdhsa_float_round_mode_32 0
		.amdhsa_float_round_mode_16_64 0
		.amdhsa_float_denorm_mode_32 3
		.amdhsa_float_denorm_mode_16_64 3
		.amdhsa_dx10_clamp 1
		.amdhsa_ieee_mode 1
		.amdhsa_fp16_overflow 0
		.amdhsa_tg_split 0
		.amdhsa_exception_fp_ieee_invalid_op 0
		.amdhsa_exception_fp_denorm_src 0
		.amdhsa_exception_fp_ieee_div_zero 0
		.amdhsa_exception_fp_ieee_overflow 0
		.amdhsa_exception_fp_ieee_underflow 0
		.amdhsa_exception_fp_ieee_inexact 0
		.amdhsa_exception_int_div_zero 0
	.end_amdhsa_kernel
	.section	.text._ZN12_GLOBAL__N_139chunk_gated_delta_rule_fwd_h_hip_kernelILi16ELb1ELb0ELb0ELb1ELb0ELb1ELb1ELb0EEEvPK12hip_bfloat16S3_S3_PKfS5_PKvPS1_S8_PvPKiSB_iiiiilll,"axG",@progbits,_ZN12_GLOBAL__N_139chunk_gated_delta_rule_fwd_h_hip_kernelILi16ELb1ELb0ELb0ELb1ELb0ELb1ELb1ELb0EEEvPK12hip_bfloat16S3_S3_PKfS5_PKvPS1_S8_PvPKiSB_iiiiilll,comdat
.Lfunc_end708:
	.size	_ZN12_GLOBAL__N_139chunk_gated_delta_rule_fwd_h_hip_kernelILi16ELb1ELb0ELb0ELb1ELb0ELb1ELb1ELb0EEEvPK12hip_bfloat16S3_S3_PKfS5_PKvPS1_S8_PvPKiSB_iiiiilll, .Lfunc_end708-_ZN12_GLOBAL__N_139chunk_gated_delta_rule_fwd_h_hip_kernelILi16ELb1ELb0ELb0ELb1ELb0ELb1ELb1ELb0EEEvPK12hip_bfloat16S3_S3_PKfS5_PKvPS1_S8_PvPKiSB_iiiiilll
                                        ; -- End function
	.section	.AMDGPU.csdata,"",@progbits
; Kernel info:
; codeLenInByte = 7296
; NumSgprs: 67
; NumVgprs: 114
; NumAgprs: 12
; TotalNumVgprs: 128
; ScratchSize: 0
; MemoryBound: 0
; FloatMode: 240
; IeeeMode: 1
; LDSByteSize: 40960 bytes/workgroup (compile time only)
; SGPRBlocks: 8
; VGPRBlocks: 15
; NumSGPRsForWavesPerEU: 67
; NumVGPRsForWavesPerEU: 128
; AccumOffset: 116
; Occupancy: 1
; WaveLimiterHint : 1
; COMPUTE_PGM_RSRC2:SCRATCH_EN: 0
; COMPUTE_PGM_RSRC2:USER_SGPR: 2
; COMPUTE_PGM_RSRC2:TRAP_HANDLER: 0
; COMPUTE_PGM_RSRC2:TGID_X_EN: 1
; COMPUTE_PGM_RSRC2:TGID_Y_EN: 1
; COMPUTE_PGM_RSRC2:TGID_Z_EN: 0
; COMPUTE_PGM_RSRC2:TIDIG_COMP_CNT: 0
; COMPUTE_PGM_RSRC3_GFX90A:ACCUM_OFFSET: 28
; COMPUTE_PGM_RSRC3_GFX90A:TG_SPLIT: 0
	.section	.text._ZN12_GLOBAL__N_139chunk_gated_delta_rule_fwd_h_hip_kernelILi16ELb0ELb1ELb1ELb1ELb0ELb1ELb1ELb0EEEvPK12hip_bfloat16S3_S3_PKfS5_PKvPS1_S8_PvPKiSB_iiiiilll,"axG",@progbits,_ZN12_GLOBAL__N_139chunk_gated_delta_rule_fwd_h_hip_kernelILi16ELb0ELb1ELb1ELb1ELb0ELb1ELb1ELb0EEEvPK12hip_bfloat16S3_S3_PKfS5_PKvPS1_S8_PvPKiSB_iiiiilll,comdat
	.globl	_ZN12_GLOBAL__N_139chunk_gated_delta_rule_fwd_h_hip_kernelILi16ELb0ELb1ELb1ELb1ELb0ELb1ELb1ELb0EEEvPK12hip_bfloat16S3_S3_PKfS5_PKvPS1_S8_PvPKiSB_iiiiilll ; -- Begin function _ZN12_GLOBAL__N_139chunk_gated_delta_rule_fwd_h_hip_kernelILi16ELb0ELb1ELb1ELb1ELb0ELb1ELb1ELb0EEEvPK12hip_bfloat16S3_S3_PKfS5_PKvPS1_S8_PvPKiSB_iiiiilll
	.p2align	8
	.type	_ZN12_GLOBAL__N_139chunk_gated_delta_rule_fwd_h_hip_kernelILi16ELb0ELb1ELb1ELb1ELb0ELb1ELb1ELb0EEEvPK12hip_bfloat16S3_S3_PKfS5_PKvPS1_S8_PvPKiSB_iiiiilll,@function
_ZN12_GLOBAL__N_139chunk_gated_delta_rule_fwd_h_hip_kernelILi16ELb0ELb1ELb1ELb1ELb0ELb1ELb1ELb0EEEvPK12hip_bfloat16S3_S3_PKfS5_PKvPS1_S8_PvPKiSB_iiiiilll: ; @_ZN12_GLOBAL__N_139chunk_gated_delta_rule_fwd_h_hip_kernelILi16ELb0ELb1ELb1ELb1ELb0ELb1ELb1ELb0EEEvPK12hip_bfloat16S3_S3_PKfS5_PKvPS1_S8_PvPKiSB_iiiiilll
; %bb.0:
	s_load_dwordx4 s[20:23], s[0:1], 0x5c
	s_load_dwordx2 s[40:41], s[0:1], 0x20
	s_abs_i32 s27, s3
	s_ashr_i32 s26, s3, 31
	s_load_dwordx2 s[24:25], s[0:1], 0x50
	s_load_dwordx8 s[4:11], s[0:1], 0x30
	s_load_dwordx8 s[12:19], s[0:1], 0x0
	s_waitcnt lgkmcnt(0)
	s_abs_i32 s30, s21
	v_cvt_f32_u32_e32 v1, s30
	s_sub_i32 s28, 0, s30
	s_ashr_i32 s33, s21, 31
	s_xor_b32 s26, s26, s33
	v_rcp_iflag_f32_e32 v1, v1
	v_lshrrev_b32_e32 v53, 6, v0
	v_bfe_u32 v62, v0, 4, 2
	v_lshlrev_b32_e32 v60, 4, v53
	v_mul_f32_e32 v1, 0x4f7ffffe, v1
	v_cvt_u32_f32_e32 v1, v1
	v_lshlrev_b32_e32 v10, 2, v62
	v_and_b32_e32 v61, 63, v0
	v_mov_b32_e32 v9, 0
	v_readfirstlane_b32 s29, v1
	s_mul_i32 s28, s28, s29
	s_mul_hi_u32 s28, s29, s28
	s_add_i32 s29, s29, s28
	s_mul_hi_u32 s28, s27, s29
	s_mul_i32 s29, s28, s30
	s_sub_i32 s27, s27, s29
	s_add_i32 s31, s28, 1
	s_sub_i32 s29, s27, s30
	s_cmp_ge_u32 s27, s30
	s_cselect_b32 s28, s31, s28
	s_cselect_b32 s27, s29, s27
	s_add_i32 s29, s28, 1
	s_cmp_ge_u32 s27, s30
	s_cselect_b32 s27, s29, s28
	s_xor_b32 s27, s27, s26
	s_sub_i32 s34, s27, s26
	s_mul_i32 s26, s34, s21
	s_ashr_i32 s35, s34, 31
	s_sub_i32 s48, s3, s26
	s_lshl_b64 s[26:27], s[34:35], 2
	s_add_u32 s10, s10, s26
	s_addc_u32 s11, s11, s27
	s_add_u32 s28, s24, s26
	s_addc_u32 s29, s25, s27
	s_abs_i32 s3, s22
	v_cvt_f32_u32_e32 v1, s3
	s_load_dwordx2 s[42:43], s[10:11], 0x0
	s_sub_i32 s11, 0, s3
	s_mov_b32 s49, s21
	v_rcp_iflag_f32_e32 v1, v1
	v_and_b32_e32 v63, 15, v0
	s_waitcnt lgkmcnt(0)
	s_sub_i32 s54, s43, s42
	s_ashr_i32 s10, s54, 31
	v_mul_f32_e32 v1, 0x4f7ffffe, v1
	v_cvt_u32_f32_e32 v1, v1
	s_lshr_b32 s10, s10, 26
	s_add_i32 s10, s54, s10
	s_ashr_i32 s53, s10, 6
	v_readfirstlane_b32 s24, v1
	s_mul_i32 s11, s11, s24
	s_mul_hi_u32 s11, s24, s11
	s_add_i32 s24, s24, s11
	s_mul_hi_u32 s11, s30, s24
	s_mul_i32 s24, s11, s3
	s_ashr_i32 s10, s22, 31
	s_sub_i32 s24, s30, s24
	s_xor_b32 s10, s33, s10
	s_add_i32 s25, s11, 1
	s_sub_i32 s26, s24, s3
	s_cmp_ge_u32 s24, s3
	s_cselect_b32 s11, s25, s11
	s_cselect_b32 s24, s26, s24
	s_add_i32 s25, s11, 1
	s_cmp_ge_u32 s24, s3
	s_cselect_b32 s3, s25, s11
	s_xor_b32 s3, s3, s10
	s_sub_i32 s3, s3, s10
	s_abs_i32 s30, s3
	v_cvt_f32_u32_e32 v1, s30
	s_load_dwordx2 s[10:11], s[0:1], 0x80
	s_load_dwordx4 s[24:27], s[0:1], 0x70
	s_load_dword s55, s[28:29], 0x0
	s_xor_b32 s0, s48, s3
	v_rcp_iflag_f32_e32 v1, v1
	s_sub_i32 s3, 0, s30
	s_abs_i32 s1, s48
	s_ashr_i32 s0, s0, 31
	v_mul_f32_e32 v1, 0x4f7ffffe, v1
	v_cvt_u32_f32_e32 v1, v1
	s_mul_hi_i32 s56, s48, s20
	s_mul_i32 s57, s48, s20
	v_lshrrev_b32_e32 v65, 3, v61
	v_readfirstlane_b32 s28, v1
	s_mul_i32 s3, s3, s28
	s_mul_hi_u32 s3, s28, s3
	s_add_i32 s28, s28, s3
	s_mul_hi_u32 s3, s1, s28
	s_mul_i32 s28, s3, s30
	s_sub_i32 s1, s1, s28
	s_add_i32 s28, s3, 1
	s_sub_i32 s29, s1, s30
	s_cmp_ge_u32 s1, s30
	s_cselect_b32 s3, s28, s3
	s_cselect_b32 s1, s29, s1
	s_add_i32 s28, s3, 1
	s_cmp_ge_u32 s1, s30
	s_cselect_b32 s1, s28, s3
	s_xor_b32 s1, s1, s0
	s_sub_i32 s58, s1, s0
	v_or_b32_e32 v1, v10, v60
	s_lshl_b32 s2, s2, 4
	v_or_b32_e32 v66, 64, v1
	s_cmp_lt_i32 s54, 64
	v_lshlrev_b32_e32 v64, 3, v0
	s_waitcnt lgkmcnt(0)
	s_mul_i32 s50, s34, s25
	s_mul_hi_u32 s51, s34, s24
	s_mul_i32 s52, s35, s24
	s_mul_i32 s44, s34, s24
	v_mov_b32_e32 v8, v9
	v_mov_b32_e32 v7, v9
	;; [unrolled: 1-line block ×7, first 2 shown]
	s_cbranch_scc1 .LBB709_18
; %bb.1:
	s_ashr_i32 s60, s48, 31
	s_ashr_i32 s1, s42, 31
	s_add_u32 s0, s57, s42
	s_addc_u32 s1, s56, s1
	s_lshl_b64 s[0:1], s[0:1], 8
	v_and_b32_e32 v68, 56, v64
	s_add_u32 s28, s14, s0
	v_lshl_or_b32 v67, v53, 3, v65
	v_lshlrev_b32_e32 v3, 1, v68
	s_addc_u32 s0, s15, s1
	v_lshl_or_b32 v69, v67, 8, v3
	s_and_b32 s29, s0, 0xffff
	s_mov_b32 s31, 0x20000
	s_movk_i32 s30, 0x4000
	s_movk_i32 s0, 0x80
	v_or_b32_e32 v70, 0x2000, v69
	buffer_load_dwordx4 v[4:7], v69, s[28:31], 0 offen
	buffer_load_dwordx4 v[12:15], v69, s[28:31], s0 offen
	;; [unrolled: 1-line block ×4, first 2 shown]
	v_lshlrev_b32_e32 v2, 3, v67
	v_and_or_b32 v9, v0, 7, v2
	v_and_b32_e32 v2, 0x78, v2
	v_lshlrev_b32_e32 v9, 4, v9
	v_xor_b32_e32 v71, v9, v2
	v_mul_lo_u32 v8, v67, s23
	v_or_b32_e32 v72, 0x1000, v71
	v_xor_b32_e32 v2, 8, v71
	s_cmpk_eq_i32 s23, 0x80
	s_mov_b32 s59, s42
	v_xor_b32_e32 v9, 8, v72
	s_cselect_b64 s[0:1], -1, 0
	s_cmpk_lg_i32 s23, 0x80
	s_waitcnt vmcnt(3)
	ds_write_b64 v71, v[4:5] offset:16384
	ds_write_b64 v2, v[6:7] offset:16384
	s_waitcnt vmcnt(2)
	ds_write_b64 v71, v[12:13] offset:24576
	ds_write_b64 v2, v[14:15] offset:24576
	;; [unrolled: 3-line block ×4, first 2 shown]
	v_lshl_add_u32 v2, v8, 1, v68
	s_cbranch_scc0 .LBB709_3
; %bb.2:
	v_lshlrev_b32_e32 v6, 1, v2
	v_add_lshl_u32 v5, v2, s23, 1
	s_lshl_b32 s30, s23, 7
	v_lshl_or_b32 v4, v67, 9, v3
	s_cbranch_execz .LBB709_4
	s_branch .LBB709_5
.LBB709_3:
                                        ; implicit-def: $vgpr5
                                        ; implicit-def: $vgpr6
                                        ; implicit-def: $sgpr30
	v_lshl_or_b32 v4, v67, 9, v3
.LBB709_4:
	v_or_b32_e32 v5, 0x100, v4
	s_movk_i32 s30, 0x4000
	v_mov_b32_e32 v6, v4
.LBB709_5:
	s_mul_i32 s24, s42, s22
	s_ashr_i32 s61, s58, 31
	s_mul_hi_i32 s3, s42, s22
	s_add_u32 s24, s24, s58
	s_addc_u32 s25, s3, s61
	s_lshl_b64 s[24:25], s[24:25], 8
	s_add_u32 s28, s12, s24
	s_addc_u32 s3, s13, s25
	s_and_b32 s29, s3, 0xffff
	s_movk_i32 s62, 0x80
	buffer_load_dwordx4 v[12:15], v6, s[28:31], 0 offen
	s_nop 0
	buffer_load_dwordx4 v[6:9], v6, s[28:31], s62 offen
	s_nop 0
	buffer_load_dwordx4 v[16:19], v5, s[28:31], 0 offen
	buffer_load_dwordx4 v[20:23], v5, s[28:31], s62 offen
	v_and_b32_e32 v3, 6, v0
	v_lshlrev_b32_e32 v11, 2, v63
	v_lshlrev_b32_e32 v24, 3, v63
	v_xor_b32_e32 v26, v67, v3
	v_and_b32_e32 v5, 1, v0
	v_lshl_or_b32 v24, v1, 5, v24
	v_xor_b32_e32 v27, v1, v11
	v_lshlrev_b32_e32 v26, 2, v26
	s_mul_i32 s3, s48, s27
	s_mul_hi_u32 s25, s48, s26
	v_or_b32_e32 v73, 0x9000, v24
	v_or_b32_e32 v74, 0x9800, v24
	v_lshlrev_b32_e32 v24, 1, v27
	v_xor_b32_e32 v27, 0x440, v26
	v_cmp_eq_u32_e32 vcc, 0, v5
	s_add_i32 s29, s51, s50
	s_mul_i32 s28, s60, s26
	v_cndmask_b32_e32 v5, v27, v26, vcc
	s_add_i32 s3, s25, s3
	s_add_i32 s45, s29, s52
	s_mov_b32 s63, 0x1000504
	v_lshlrev_b32_e32 v25, 8, v63
	s_mov_b32 s30, 0x8000
	v_xor_b32_e32 v11, v66, v11
	v_lshl_or_b32 v3, v3, 10, v5
	s_add_i32 s25, s3, s28
	s_lshl_b64 s[28:29], s[44:45], 2
	s_mov_b32 s64, 0x3020706
	s_mul_i32 s24, s48, s26
	v_lshlrev_b32_e32 v11, 1, v11
	v_or3_b32 v75, v24, v25, s30
	v_xor_b32_e32 v5, 8, v3
	v_xor_b32_e32 v24, 24, v3
	;; [unrolled: 1-line block ×4, first 2 shown]
	s_add_u32 s3, s18, s28
	v_or3_b32 v76, v11, v25, s30
	v_xor_b32_e32 v11, 16, v3
	v_xor_b32_e32 v25, 32, v3
	;; [unrolled: 1-line block ×3, first 2 shown]
	v_add_u32_e32 v5, 0x80, v5
	v_add_u32_e32 v24, 0x80, v24
	;; [unrolled: 1-line block ×4, first 2 shown]
	s_addc_u32 s28, s19, s29
	s_lshl_b64 s[24:25], s[24:25], 2
	s_add_u32 s24, s3, s24
	s_movk_i32 s3, 0xf8
	s_addc_u32 s25, s28, s25
	s_lshl_b32 s38, s23, 7
	s_mov_b32 s65, 0
	v_add_u32_e32 v87, v60, v10
	v_mov_b32_e32 v98, 0x3fb8aa3b
	s_waitcnt vmcnt(1)
	v_perm_b32 v29, v12, v16, s63
	s_waitcnt vmcnt(0)
	v_perm_b32 v30, v6, v20, s63
	v_perm_b32 v12, v12, v16, s64
	;; [unrolled: 1-line block ×15, first 2 shown]
	ds_write2st64_b32 v3, v29, v30 offset1:32
	ds_write2st64_b32 v5, v12, v6 offset1:32
	ds_write2st64_b32 v11, v16, v20 offset0:1 offset1:33
	ds_write2st64_b32 v24, v13, v7 offset0:1 offset1:33
	;; [unrolled: 1-line block ×6, first 2 shown]
	v_or_b32_e32 v3, v60, v63
	v_lshlrev_b32_e32 v3, 3, v3
	v_lshrrev_b32_e32 v7, 5, v61
	v_and_or_b32 v7, v3, s3, v7
	v_lshlrev_b32_e32 v7, 4, v7
	v_lshlrev_b32_e32 v11, 11, v53
	v_and_b32_e32 v3, 0x78, v3
	v_or_b32_e32 v12, 32, v7
	v_and_b32_e32 v6, 0x1000, v11
	v_lshrrev_b32_e32 v9, 1, v61
	v_xor_b32_e32 v12, v12, v3
	v_and_b32_e32 v9, 8, v9
	v_or_b32_e32 v12, v12, v6
	v_xor_b32_e32 v8, v7, v3
	v_xor_b32_e32 v79, v12, v9
	v_or_b32_e32 v12, 64, v7
	v_or_b32_e32 v7, 0x60, v7
	v_xor_b32_e32 v12, v12, v3
	v_xor_b32_e32 v3, v7, v3
	v_or_b32_e32 v3, v3, v6
	v_or_b32_e32 v12, v12, v6
	v_xor_b32_e32 v81, v3, v9
	v_lshlrev_b32_e32 v15, 1, v2
	v_add_lshl_u32 v16, v2, s23, 1
	v_lshrrev_b32_e32 v2, 4, v0
	v_lshlrev_b32_e32 v3, 1, v63
	v_xor_b32_e32 v80, v12, v9
	s_ashr_i32 s3, s2, 31
	v_or_b32_e32 v12, 1, v3
	v_xor_b32_e32 v3, v2, v3
	s_lshl_b64 s[28:29], s[2:3], 8
	v_xor_b32_e32 v12, v12, v2
	v_lshlrev_b32_e32 v3, 3, v3
	v_lshlrev_b32_e32 v2, 8, v2
	s_add_u32 s28, s4, s28
	v_or3_b32 v83, v3, v2, s30
	v_lshlrev_b32_e32 v3, 3, v12
	s_addc_u32 s29, s5, s29
	v_or3_b32 v84, v3, v2, s30
	v_mov_b32_e32 v3, 0
	v_lshrrev_b32_e32 v20, 1, v0
	v_lshl_add_u64 v[12:13], s[28:29], 0, v[2:3]
	v_lshlrev_b32_e32 v2, 4, v63
	s_movk_i32 s3, 0xff
	v_lshlrev_b32_e32 v19, 3, v53
	v_and_b32_e32 v20, 24, v20
	v_lshl_add_u64 v[54:55], v[12:13], 0, v[2:3]
	v_and_b32_e32 v2, 7, v0
	v_and_b32_e32 v13, 8, v0
	v_cmp_lt_u32_e32 vcc, s3, v0
	v_xor_b32_e32 v21, v19, v20
	v_lshlrev_b32_e32 v14, 3, v2
	v_lshlrev_b32_e32 v18, 7, v2
	v_cndmask_b32_e64 v2, 0, 1, vcc
	v_or_b32_e32 v22, 0x440, v21
	v_cmp_eq_u32_e32 vcc, 0, v13
	v_or_b32_e32 v24, 64, v20
	v_xor_b32_e32 v24, v19, v24
	v_cndmask_b32_e32 v13, v22, v21, vcc
	v_or_b32_e32 v22, 32, v20
	v_or_b32_e32 v20, 0x60, v20
	v_xor_b32_e32 v22, v19, v22
	v_xor_b32_e32 v19, v19, v20
	v_or_b32_e32 v23, 0x440, v22
	v_xor_b32_e32 v25, 0x440, v24
	v_xor_b32_e32 v20, 0x440, v19
	v_or_b32_e32 v8, v8, v6
	v_or_b32_e32 v6, s2, v63
	v_cndmask_b32_e32 v22, v23, v22, vcc
	v_cndmask_b32_e32 v24, v25, v24, vcc
	;; [unrolled: 1-line block ×3, first 2 shown]
	v_lshrrev_b32_e32 v5, 2, v61
	v_xor_b32_e32 v77, v8, v9
	v_and_b32_e32 v8, 0x78, v64
	v_ashrrev_i32_e32 v7, 31, v6
	v_or_b32_e32 v13, v13, v11
	v_or_b32_e32 v22, v22, v11
	;; [unrolled: 1-line block ×4, first 2 shown]
	v_and_b32_e32 v5, 12, v5
	v_lshl_or_b32 v8, v62, 7, v8
	v_lshlrev_b64 v[6:7], 1, v[6:7]
	v_lshlrev_b32_e32 v2, 13, v2
	v_xor_b32_e32 v13, v13, v14
	v_xor_b32_e32 v22, v22, v14
	;; [unrolled: 1-line block ×4, first 2 shown]
	v_or_b32_e32 v78, 0x9000, v8
	v_or_b32_e32 v82, 0x9800, v8
	v_lshl_add_u64 v[8:9], s[16:17], 0, v[6:7]
	v_lshl_add_u64 v[6:7], s[6:7], 0, v[6:7]
	v_or_b32_e32 v17, 0x100, v4
	v_or_b32_e32 v12, v5, v60
	v_add_u32_e32 v21, v2, v13
	v_add_u32_e32 v23, v2, v22
	;; [unrolled: 1-line block ×4, first 2 shown]
	v_or3_b32 v14, v60, v5, 64
	v_add_u32_e32 v5, 0x2000, v13
	v_add_u32_e32 v13, 0x2000, v22
	;; [unrolled: 1-line block ×4, first 2 shown]
	v_lshlrev_b32_e32 v2, 8, v1
	v_cndmask_b32_e64 v85, v15, v4, s[0:1]
	v_cndmask_b32_e64 v86, v16, v17, s[0:1]
	v_lshl_add_u64 v[56:57], v[8:9], 0, v[2:3]
	v_lshl_add_u64 v[58:59], v[6:7], 0, v[2:3]
	s_mov_b32 s3, 0x7060302
	s_movk_i32 s30, 0x4000
	v_lshlrev_b32_e32 v88, 2, v12
	v_add_u32_e32 v89, v21, v18
	v_add_u32_e32 v90, v23, v18
	;; [unrolled: 1-line block ×4, first 2 shown]
	v_lshlrev_b32_e32 v93, 2, v14
	v_add_u32_e32 v94, v5, v18
	v_add_u32_e32 v95, v13, v18
	;; [unrolled: 1-line block ×4, first 2 shown]
	v_mov_b32_e32 v2, v3
	v_mov_b32_e32 v4, v3
	;; [unrolled: 1-line block ×7, first 2 shown]
	s_waitcnt lgkmcnt(0)
	s_barrier
.LBB709_6:                              ; =>This Inner Loop Header: Depth=1
	s_add_i32 s45, s65, 1
	s_cmp_lt_i32 s45, s53
	s_mov_b64 s[36:37], 0
	s_cselect_b64 s[46:47], -1, 0
	s_cmp_ge_i32 s45, s53
	s_mov_b64 s[28:29], 0
	s_cbranch_scc1 .LBB709_8
; %bb.7:                                ;   in Loop: Header=BB709_6 Depth=1
	s_add_i32 s0, s59, 64
	s_ashr_i32 s1, s0, 31
	s_add_u32 s0, s57, s0
	s_addc_u32 s1, s56, s1
	s_lshl_b64 s[0:1], s[0:1], 8
	s_add_u32 s28, s14, s0
	s_addc_u32 s29, s15, s1
.LBB709_8:                              ;   in Loop: Header=BB709_6 Depth=1
	v_cndmask_b32_e64 v10, 0, 1, s[46:47]
	v_cmp_ne_u32_e64 s[0:1], 1, v10
	s_andn2_b64 vcc, exec, s[46:47]
	s_cbranch_vccnz .LBB709_10
; %bb.9:                                ;   in Loop: Header=BB709_6 Depth=1
	s_add_i32 s36, s59, 64
	s_mul_hi_i32 s37, s36, s22
	s_mul_i32 s36, s36, s22
	s_add_u32 s36, s36, s58
	s_addc_u32 s37, s37, s61
	s_lshl_b64 s[36:37], s[36:37], 8
	s_add_u32 s36, s12, s36
	s_addc_u32 s37, s13, s37
.LBB709_10:                             ;   in Loop: Header=BB709_6 Depth=1
	v_perm_b32 v11, v5, v4, s3
	v_perm_b32 v10, v3, v2, s3
	v_perm_b32 v13, v9, v8, s3
	v_perm_b32 v12, v7, v6, s3
	ds_write_b64 v73, v[10:11]
	ds_write_b64 v74, v[12:13]
	;; [unrolled: 1-line block ×4, first 2 shown]
	s_waitcnt lgkmcnt(0)
	s_barrier
	ds_read_b64 v[18:19], v77 offset:16384
	ds_read_b64 v[20:21], v79 offset:16384
	ds_read2st64_b64 v[10:13], v78 offset1:1
	s_waitcnt lgkmcnt(0)
	v_mfma_f32_16x16x16_bf16 a[0:3], v[18:19], v[10:11], 0
	ds_read2st64_b64 v[14:17], v78 offset0:2 offset1:3
	ds_read_b64 v[22:23], v80 offset:16384
	ds_read_b64 v[10:11], v81 offset:16384
	s_add_i32 s66, s59, 63
	v_mfma_f32_16x16x16_bf16 a[0:3], v[20:21], v[12:13], a[0:3]
	s_ashr_i32 s39, s66, 31
	s_mul_i32 s46, s66, s11
	s_mul_hi_u32 s47, s66, s10
	s_waitcnt lgkmcnt(1)
	v_mfma_f32_16x16x16_bf16 a[0:3], v[22:23], v[14:15], a[0:3]
	s_add_i32 s46, s47, s46
	s_mul_i32 s39, s39, s10
	s_add_i32 s47, s46, s39
	s_mul_i32 s46, s66, s10
	s_waitcnt lgkmcnt(0)
	v_mfma_f32_16x16x16_bf16 a[0:3], v[10:11], v[16:17], a[0:3]
	s_lshl_b64 s[46:47], s[46:47], 2
	s_add_u32 s46, s24, s46
	s_addc_u32 s47, s25, s47
	s_and_b64 vcc, exec, s[0:1]
	v_mov_b32_e32 v101, 0
	v_mov_b32_e32 v100, 0
	;; [unrolled: 1-line block ×19, first 2 shown]
	s_cbranch_vccnz .LBB709_12
; %bb.11:                               ;   in Loop: Header=BB709_6 Depth=1
	s_and_b32 s29, s29, 0xffff
	buffer_load_dwordx4 v[22:25], v69, s[28:31], 0 offen
	buffer_load_dwordx4 v[18:21], v69, s[28:31], s62 offen
	;; [unrolled: 1-line block ×4, first 2 shown]
	v_mov_b32_e32 v100, v71
	v_mov_b32_e32 v99, v72
.LBB709_12:                             ;   in Loop: Header=BB709_6 Depth=1
	v_add_u32_e32 v30, s59, v87
	v_ashrrev_i32_e32 v26, 31, v30
	v_mul_lo_u32 v28, v26, s10
	v_mul_lo_u32 v29, v30, s11
	v_mad_u64_u32 v[26:27], s[28:29], v30, s10, 0
	v_add3_u32 v27, v27, v29, v28
	v_lshl_add_u64 v[26:27], v[26:27], 2, s[24:25]
	global_load_dword v42, v[26:27], off
	v_add_u32_e32 v26, 1, v30
	v_ashrrev_i32_e32 v27, 31, v26
	v_mul_lo_u32 v28, v27, s10
	v_mul_lo_u32 v29, v26, s11
	v_mad_u64_u32 v[26:27], s[28:29], v26, s10, 0
	v_add3_u32 v27, v27, v29, v28
	v_add_u32_e32 v28, 2, v30
	v_ashrrev_i32_e32 v29, 31, v28
	v_mul_lo_u32 v31, v29, s10
	v_mul_lo_u32 v32, v28, s11
	v_mad_u64_u32 v[28:29], s[28:29], v28, s10, 0
	v_add_u32_e32 v30, 3, v30
	v_add3_u32 v29, v29, v32, v31
	v_ashrrev_i32_e32 v31, 31, v30
	v_mul_lo_u32 v34, v31, s10
	v_mul_lo_u32 v35, v30, s11
	v_mad_u64_u32 v[30:31], s[28:29], v30, s10, 0
	s_ashr_i32 s29, s59, 31
	s_add_u32 s28, s57, s59
	s_addc_u32 s29, s56, s29
	s_lshl_b64 s[68:69], s[28:29], 8
	v_lshl_add_u64 v[26:27], v[26:27], 2, s[24:25]
	v_lshl_add_u64 v[32:33], v[56:57], 0, s[68:69]
	v_add3_u32 v31, v31, v35, v34
	v_lshl_add_u64 v[28:29], v[28:29], 2, s[24:25]
	global_load_ushort v43, v[32:33], off
	global_load_ushort v44, v[32:33], off offset:256
	global_load_ushort v45, v[32:33], off offset:512
	;; [unrolled: 1-line block ×3, first 2 shown]
	v_lshl_add_u64 v[30:31], v[30:31], 2, s[24:25]
	global_load_dword v47, v[26:27], off
	global_load_dword v48, v[28:29], off
	;; [unrolled: 1-line block ×3, first 2 shown]
	ds_read_b64 v[30:31], v77 offset:24576
	ds_read_b64 v[36:37], v79 offset:24576
	ds_read2st64_b64 v[26:29], v82 offset1:1
	s_waitcnt lgkmcnt(0)
	v_mfma_f32_16x16x16_bf16 a[0:3], v[30:31], v[26:27], a[0:3]
	s_load_dword s28, s[46:47], 0x0
	ds_read2st64_b64 v[32:35], v82 offset0:2 offset1:3
	ds_read_b64 v[38:39], v80 offset:24576
	ds_read_b64 v[40:41], v81 offset:24576
	v_mov_b32_e32 v102, 0
	v_mfma_f32_16x16x16_bf16 a[0:3], v[36:37], v[28:29], a[0:3]
	v_mov_b32_e32 v26, 0
	v_mov_b32_e32 v27, 0
	;; [unrolled: 1-line block ×3, first 2 shown]
	s_waitcnt lgkmcnt(0)
	v_mfma_f32_16x16x16_bf16 a[0:3], v[38:39], v[32:33], a[0:3]
	v_lshl_add_u64 v[32:33], v[58:59], 0, s[68:69]
	v_mov_b32_e32 v29, 0
	v_mov_b32_e32 v30, 0
	v_mfma_f32_16x16x16_bf16 a[0:3], v[40:41], v[34:35], a[0:3]
	v_mov_b32_e32 v31, 0
	s_and_b64 vcc, exec, s[0:1]
	s_waitcnt vmcnt(7)
	v_sub_f32_e32 v42, s28, v42
	s_nop 2
	v_accvgpr_read_b32 v37, a1
	v_accvgpr_read_b32 v35, a3
	;; [unrolled: 1-line block ×4, first 2 shown]
	v_mul_f32_e32 v42, 0x3fb8aa3b, v42
	s_waitcnt vmcnt(6)
	v_lshlrev_b32_e32 v38, 16, v43
	s_waitcnt vmcnt(5)
	v_lshlrev_b32_e32 v39, 16, v44
	;; [unrolled: 2-line block ×4, first 2 shown]
	s_waitcnt vmcnt(2)
	v_sub_f32_e32 v43, s28, v47
	s_waitcnt vmcnt(1)
	v_sub_f32_e32 v44, s28, v48
	;; [unrolled: 2-line block ×3, first 2 shown]
	v_pk_add_f32 v[36:37], v[38:39], v[36:37] neg_lo:[0,1] neg_hi:[0,1]
	v_pk_add_f32 v[34:35], v[40:41], v[34:35] neg_lo:[0,1] neg_hi:[0,1]
	v_mul_f32_e32 v39, 0x3fb8aa3b, v43
	v_mul_f32_e32 v40, 0x3fb8aa3b, v44
	;; [unrolled: 1-line block ×3, first 2 shown]
	v_exp_f32_e32 v38, v42
	v_exp_f32_e32 v39, v39
	;; [unrolled: 1-line block ×4, first 2 shown]
	global_store_short_d16_hi v[32:33], v36, off
	global_store_short_d16_hi v[32:33], v37, off offset:256
	global_store_short_d16_hi v[32:33], v34, off offset:512
	;; [unrolled: 1-line block ×3, first 2 shown]
	v_pk_mul_f32 v[32:33], v[38:39], v[36:37]
	v_pk_mul_f32 v[34:35], v[40:41], v[34:35]
	v_perm_b32 v32, v33, v32, s3
	v_perm_b32 v33, v35, v34, s3
	ds_write_b64 v74, v[32:33]
	v_mov_b32_e32 v32, 0
	v_mov_b32_e32 v33, 0
	;; [unrolled: 1-line block ×10, first 2 shown]
	s_cbranch_vccnz .LBB709_14
; %bb.13:                               ;   in Loop: Header=BB709_6 Depth=1
	s_and_b32 s37, s37, 0xffff
	s_mov_b32 s39, s31
	buffer_load_dwordx4 v[38:41], v85, s[36:39], 0 offen
	buffer_load_dwordx4 v[30:33], v85, s[36:39], s62 offen
	;; [unrolled: 1-line block ×4, first 2 shown]
	v_mov_b32_e32 v101, v68
	v_mov_b32_e32 v102, v67
.LBB709_14:                             ;   in Loop: Header=BB709_6 Depth=1
	s_waitcnt lgkmcnt(0)
	s_barrier
	ds_read_b64 v[42:43], v89
	ds_read_b64 v[48:49], v90
	ds_read2st64_b64 v[44:47], v82 offset1:1
	ds_read2st64_b64 v[104:107], v82 offset0:2 offset1:3
	ds_read_b64 v[50:51], v91
	ds_read_b64 v[112:113], v92
	s_add_i32 s29, s55, s65
	s_mul_hi_i32 s37, s29, s49
	s_mul_i32 s29, s29, s49
	s_waitcnt lgkmcnt(3)
	v_mfma_f32_16x16x16_bf16 a[0:3], v[42:43], v[44:45], 0
	ds_read_b64 v[42:43], v94
	s_add_u32 s36, s29, s48
	s_addc_u32 s37, s37, s60
	v_mfma_f32_16x16x16_bf16 a[0:3], v[48:49], v[46:47], a[0:3]
	ds_read_b64 v[48:49], v95
	s_lshl_b64 s[36:37], s[36:37], 15
	s_mul_i32 s39, s66, s49
	s_mul_hi_i32 s29, s66, s49
	s_add_u32 s46, s39, s48
	s_addc_u32 s47, s29, s60
	s_lshl_b64 s[46:47], s[46:47], 9
	s_add_u32 s46, s40, s46
	s_waitcnt lgkmcnt(1)
	v_mfma_f32_16x16x16_bf16 a[4:7], v[42:43], v[44:45], 0
	s_addc_u32 s47, s41, s47
	s_and_b64 vcc, exec, s[0:1]
	v_mfma_f32_16x16x16_bf16 a[0:3], v[50:51], v[104:105], a[0:3]
	ds_read_b64 v[50:51], v96
	ds_read_b64 v[114:115], v97
	global_load_dwordx4 v[42:45], v93, s[46:47]
	s_waitcnt lgkmcnt(2)
	v_mfma_f32_16x16x16_bf16 a[4:7], v[48:49], v[46:47], a[4:7]
	global_load_dwordx4 v[46:49], v88, s[46:47]
	ds_read_b64 v[108:109], v83
	ds_read_b64 v[110:111], v84
	s_waitcnt lgkmcnt(3)
	v_mfma_f32_16x16x16_bf16 a[8:11], v[50:51], v[104:105], a[4:7]
	v_lshl_add_u64 v[50:51], v[54:55], 0, s[36:37]
	s_waitcnt lgkmcnt(0)
	global_store_dwordx4 v[50:51], v[108:111], off
	v_mfma_f32_16x16x16_bf16 a[4:7], v[112:113], v[106:107], a[0:3]
	s_waitcnt vmcnt(2)
	v_mov_b32_e32 v52, v45
	v_mfma_f32_16x16x16_bf16 a[0:3], v[114:115], v[106:107], a[8:11]
	v_mov_b32_e32 v51, v44
	v_mov_b32_e32 v50, v43
	s_cbranch_vccnz .LBB709_16
; %bb.15:                               ;   in Loop: Header=BB709_6 Depth=1
	v_lshrrev_b32_e32 v43, 3, v101
	v_and_b32_e32 v43, 6, v43
	v_xor_b32_e32 v44, v43, v102
	v_lshlrev_b32_e32 v44, 2, v44
	v_and_b32_e32 v45, 8, v101
	v_xor_b32_e32 v101, 0x440, v44
	v_cmp_eq_u32_e32 vcc, 0, v45
	v_perm_b32 v45, v30, v26, s63
	s_nop 0
	v_cndmask_b32_e32 v44, v101, v44, vcc
	v_lshl_or_b32 v43, v43, 10, v44
	v_perm_b32 v44, v38, v34, s63
	s_barrier
	ds_write2st64_b32 v43, v44, v45 offset1:32
	v_xor_b32_e32 v44, 8, v43
	v_perm_b32 v34, v38, v34, s64
	v_perm_b32 v26, v30, v26, s64
	v_add_u32_e32 v30, 0x80, v44
	ds_write2st64_b32 v30, v34, v26 offset1:32
	v_xor_b32_e32 v26, 16, v43
	v_perm_b32 v30, v39, v35, s63
	v_perm_b32 v34, v31, v27, s63
	ds_write2st64_b32 v26, v30, v34 offset0:1 offset1:33
	v_xor_b32_e32 v26, 24, v43
	v_perm_b32 v30, v39, v35, s64
	v_perm_b32 v27, v31, v27, s64
	v_add_u32_e32 v26, 0x80, v26
	ds_write2st64_b32 v26, v30, v27 offset0:1 offset1:33
	v_xor_b32_e32 v26, 32, v43
	v_perm_b32 v27, v40, v36, s63
	v_perm_b32 v30, v32, v28, s63
	ds_write2st64_b32 v26, v27, v30 offset0:2 offset1:34
	v_xor_b32_e32 v26, 40, v43
	v_perm_b32 v27, v40, v36, s64
	v_perm_b32 v28, v32, v28, s64
	v_add_u32_e32 v26, 0x80, v26
	ds_write2st64_b32 v26, v27, v28 offset0:2 offset1:34
	;; [unrolled: 9-line block ×3, first 2 shown]
	ds_write_b64 v100, v[22:23] offset:16384
	v_xor_b32_e32 v22, 8, v100
	ds_write_b64 v22, v[24:25] offset:16384
	ds_write_b64 v100, v[18:19] offset:24576
	;; [unrolled: 1-line block ×4, first 2 shown]
	v_xor_b32_e32 v14, 8, v99
	ds_write_b64 v14, v[16:17] offset:16384
	ds_write_b64 v99, v[10:11] offset:24576
	;; [unrolled: 1-line block ×3, first 2 shown]
.LBB709_16:                             ;   in Loop: Header=BB709_6 Depth=1
	v_mul_f32_e32 v14, s28, v98
	v_exp_f32_e32 v18, v14
	s_waitcnt vmcnt(1)
	v_mul_f32_e32 v14, 0x3fb8aa3b, v46
	v_exp_f32_e32 v20, v14
	v_mul_f32_e32 v14, 0x3fb8aa3b, v47
	v_exp_f32_e32 v21, v14
	;; [unrolled: 2-line block ×4, first 2 shown]
	v_accvgpr_read_b32 v13, a7
	v_accvgpr_read_b32 v11, a5
	;; [unrolled: 1-line block ×3, first 2 shown]
	v_pk_mul_f32 v[20:21], v[18:19], v[20:21] op_sel_hi:[0,1]
	v_pk_fma_f32 v[2:3], v[2:3], v[20:21], v[10:11]
	v_pk_mul_f32 v[10:11], v[18:19], v[22:23] op_sel_hi:[0,1]
	v_mul_f32_e32 v19, 0x3fb8aa3b, v42
	v_exp_f32_e32 v20, v19
	v_mul_f32_e32 v19, 0x3fb8aa3b, v50
	v_exp_f32_e32 v21, v19
	;; [unrolled: 2-line block ×4, first 2 shown]
	v_accvgpr_read_b32 v12, a6
	v_accvgpr_read_b32 v17, a3
	;; [unrolled: 1-line block ×4, first 2 shown]
	v_pk_fma_f32 v[4:5], v[4:5], v[10:11], v[12:13]
	v_pk_mul_f32 v[10:11], v[18:19], v[20:21] op_sel_hi:[0,1]
	v_accvgpr_read_b32 v16, a2
	v_pk_fma_f32 v[6:7], v[6:7], v[10:11], v[14:15]
	v_pk_mul_f32 v[10:11], v[18:19], v[22:23] op_sel_hi:[0,1]
	s_add_i32 s59, s59, 64
	s_cmp_eq_u32 s53, s45
	v_pk_fma_f32 v[8:9], v[8:9], v[10:11], v[16:17]
	s_cbranch_scc1 .LBB709_18
; %bb.17:                               ;   in Loop: Header=BB709_6 Depth=1
	s_mov_b32 s65, s45
	s_branch .LBB709_6
.LBB709_18:
	s_lshl_b32 s3, s53, 6
	s_sub_i32 s54, s54, s3
	s_cmp_gt_i32 s54, 0
	v_or_b32_e32 v34, s2, v63
	s_cbranch_scc1 .LBB709_20
; %bb.19:
	s_ashr_i32 s25, s48, 31
	v_or_b32_e32 v10, s2, v63
	s_cbranch_execz .LBB709_21
	s_branch .LBB709_77
.LBB709_20:
                                        ; implicit-def: $vgpr10
                                        ; implicit-def: $sgpr24_sgpr25
.LBB709_21:
	s_add_i32 s24, s3, s42
	s_ashr_i32 s3, s24, 31
	s_cmpk_lg_i32 s23, 0x80
	s_cselect_b64 s[38:39], -1, 0
	s_and_b64 vcc, exec, s[38:39]
	s_cbranch_vccz .LBB709_23
; %bb.22:
	s_mul_hi_i32 s0, s24, s22
	s_mul_i32 s1, s24, s22
	s_ashr_i32 s22, s58, 31
	s_add_u32 s46, s1, s58
	s_addc_u32 s47, s0, s22
	s_cbranch_execz .LBB709_24
	s_branch .LBB709_25
.LBB709_23:
                                        ; implicit-def: $sgpr46_sgpr47
.LBB709_24:
	s_mul_i32 s1, s58, s20
	s_mul_hi_i32 s0, s58, s20
	s_add_u32 s46, s1, s24
	s_addc_u32 s47, s0, s3
.LBB709_25:
	s_add_i32 s20, s53, s55
	s_ashr_i32 s25, s48, 31
	s_add_u32 s0, s57, s24
	s_addc_u32 s1, s56, s3
	s_mov_b32 s3, 0x7060302
	v_lshlrev_b32_e32 v14, 3, v63
	s_lshl_b64 s[36:37], s[0:1], 8
	v_perm_b32 v11, v5, v4, s3
	v_perm_b32 v10, v3, v2, s3
	;; [unrolled: 1-line block ×4, first 2 shown]
	v_lshlrev_b32_e32 v44, 2, v63
	v_lshl_or_b32 v14, v1, 5, v14
	s_add_u32 s0, s14, s36
	ds_write2st64_b64 v14, v[10:11], v[12:13] offset0:72 offset1:76
	v_xor_b32_e32 v14, v1, v44
	v_lshlrev_b32_e32 v15, 8, v63
	s_addc_u32 s1, s15, s37
	v_lshl_or_b32 v14, v14, 1, v15
	s_mul_hi_i32 s3, s20, s21
	s_mul_i32 s20, s20, s21
	ds_write_b64 v14, v[10:11] offset:32768
	v_xor_b32_e32 v10, v66, v44
	s_add_u32 s14, s20, s48
	v_lshl_or_b32 v10, v10, 1, v15
	s_addc_u32 s15, s3, s25
	v_lshlrev_b32_e32 v11, 1, v63
	ds_write_b64 v10, v[12:13] offset:32768
	v_lshrrev_b32_e32 v10, 4, v0
	s_ashr_i32 s3, s2, 31
	s_lshl_b64 s[14:15], s[14:15], 15
	v_or_b32_e32 v12, 1, v11
	s_add_u32 s4, s4, s14
	v_xor_b32_e32 v11, v10, v11
	v_xor_b32_e32 v12, v12, v10
	v_lshlrev_b32_e32 v14, 8, v10
	s_addc_u32 s5, s5, s15
	s_lshl_b64 s[2:3], s[2:3], 8
	v_lshl_or_b32 v10, v11, 3, v14
	v_lshl_or_b32 v12, v12, 3, v14
	s_waitcnt lgkmcnt(0)
	s_barrier
	s_add_u32 s2, s4, s2
	ds_read_b64 v[10:11], v10 offset:32768
	ds_read_b64 v[12:13], v12 offset:32768
	s_addc_u32 s3, s5, s3
	v_mov_b32_e32 v15, 0
	s_cmp_lg_u32 s54, 64
	v_lshl_add_u64 v[16:17], s[2:3], 0, v[14:15]
	v_lshlrev_b32_e32 v14, 4, v63
	s_cselect_b64 s[4:5], -1, 0
	v_lshl_or_b32 v35, v53, 3, v65
	s_mov_b32 s28, 0
	v_lshl_add_u64 v[14:15], v[16:17], 0, v[14:15]
	v_or_b32_e32 v27, 32, v35
	v_and_b32_e32 v26, 56, v64
	s_and_b64 vcc, exec, s[4:5]
	s_waitcnt lgkmcnt(0)
	global_store_dwordx4 v[14:15], v[10:13], off
	s_cbranch_vccz .LBB709_31
; %bb.26:
	s_mov_b32 s29, s28
	s_mov_b32 s30, s28
	;; [unrolled: 1-line block ×3, first 2 shown]
	v_mov_b64_e32 v[14:15], s[28:29]
	v_mov_b64_e32 v[16:17], s[30:31]
	;; [unrolled: 1-line block ×3, first 2 shown]
	v_cmp_gt_i32_e32 vcc, s54, v35
	v_mov_b64_e32 v[12:13], v[16:17]
	s_and_saveexec_b64 s[2:3], vcc
	s_cbranch_execz .LBB709_28
; %bb.27:
	v_lshlrev_b32_e32 v10, 8, v35
	v_mov_b32_e32 v11, 0
	v_lshl_add_u64 v[12:13], s[0:1], 0, v[10:11]
	v_lshlrev_b32_e32 v10, 1, v26
	v_lshl_add_u64 v[18:19], v[12:13], 0, v[10:11]
	global_load_dwordx4 v[14:17], v[18:19], off
	global_load_dwordx4 v[10:13], v[18:19], off offset:128
.LBB709_28:
	s_or_b64 exec, exec, s[2:3]
	s_mov_b32 s29, s28
	s_mov_b32 s30, s28
	;; [unrolled: 1-line block ×3, first 2 shown]
	v_mov_b64_e32 v[22:23], s[28:29]
	v_mov_b64_e32 v[24:25], s[30:31]
	;; [unrolled: 1-line block ×3, first 2 shown]
	v_cmp_gt_i32_e32 vcc, s54, v27
	v_lshlrev_b32_e32 v28, 7, v27
	v_mov_b64_e32 v[20:21], v[24:25]
	s_and_saveexec_b64 s[2:3], vcc
	s_cbranch_execz .LBB709_30
; %bb.29:
	v_lshlrev_b32_e32 v18, 1, v28
	v_mov_b32_e32 v19, 0
	v_lshl_add_u64 v[20:21], s[0:1], 0, v[18:19]
	v_lshlrev_b32_e32 v18, 1, v26
	v_lshl_add_u64 v[30:31], v[20:21], 0, v[18:19]
	global_load_dwordx4 v[22:25], v[30:31], off
	global_load_dwordx4 v[18:21], v[30:31], off offset:128
.LBB709_30:
	s_or_b64 exec, exec, s[2:3]
	v_lshrrev_b32_e32 v29, 3, v26
	v_lshlrev_b32_e32 v30, 3, v35
	v_or_b32_e32 v29, v30, v29
	v_lshlrev_b32_e32 v29, 4, v29
	v_and_b32_e32 v30, 0x78, v30
	v_xor_b32_e32 v29, v29, v30
	s_branch .LBB709_33
.LBB709_31:
                                        ; implicit-def: $vgpr29
                                        ; implicit-def: $vgpr28
                                        ; implicit-def: $vgpr14_vgpr15_vgpr16_vgpr17
                                        ; implicit-def: $vgpr10_vgpr11_vgpr12_vgpr13
                                        ; implicit-def: $vgpr22_vgpr23_vgpr24_vgpr25
                                        ; implicit-def: $vgpr18_vgpr19_vgpr20_vgpr21
	s_cbranch_execz .LBB709_33
; %bb.32:
	s_waitcnt vmcnt(0)
	v_lshlrev_b32_e32 v10, 1, v26
	v_lshl_or_b32 v28, v35, 8, v10
	s_and_b32 s1, s1, 0xffff
	s_mov_b32 s3, 0x20000
	s_movk_i32 s2, 0x4000
	v_lshl_or_b32 v29, v27, 8, v10
	s_movk_i32 s14, 0x80
	buffer_load_dwordx4 v[14:17], v28, s[0:3], 0 offen
	buffer_load_dwordx4 v[10:13], v28, s[0:3], s14 offen
	;; [unrolled: 1-line block ×4, first 2 shown]
	v_lshrrev_b32_e32 v28, 3, v26
	v_lshlrev_b32_e32 v29, 3, v35
	v_or_b32_e32 v28, v29, v28
	v_lshlrev_b32_e32 v28, 4, v28
	v_and_b32_e32 v29, 0x78, v29
	v_xor_b32_e32 v29, v28, v29
	v_lshlrev_b32_e32 v28, 7, v27
.LBB709_33:
	s_lshl_b64 s[0:1], s[46:47], 8
	s_add_u32 s12, s12, s0
	s_movk_i32 s0, 0x1000
	v_and_or_b32 v27, v28, s0, v29
	s_waitcnt vmcnt(1)
	ds_write_b64 v29, v[14:15] offset:16384
	v_xor_b32_e32 v14, 8, v29
	ds_write_b64 v14, v[16:17] offset:16384
	s_waitcnt vmcnt(0)
	ds_write_b64 v29, v[10:11] offset:24576
	ds_write_b64 v14, v[12:13] offset:24576
	;; [unrolled: 1-line block ×3, first 2 shown]
	v_xor_b32_e32 v10, 8, v27
	ds_write_b64 v10, v[24:25] offset:16384
	ds_write_b64 v27, v[18:19] offset:24576
	;; [unrolled: 1-line block ×3, first 2 shown]
	v_or_b32_e32 v10, v60, v63
	v_lshlrev_b32_e32 v10, 3, v10
	v_lshrrev_b32_e32 v12, 5, v61
	s_movk_i32 s20, 0xf8
	v_and_or_b32 v12, v10, s20, v12
	v_lshlrev_b32_e32 v45, 11, v53
	v_lshlrev_b32_e32 v20, 4, v12
	v_and_b32_e32 v21, 0x78, v10
	v_and_b32_e32 v22, 0x1000, v45
	v_lshlrev_b32_e32 v11, 2, v0
	v_xor_b32_e32 v10, v20, v21
	v_lshrrev_b32_e32 v12, 1, v61
	v_and_b32_e32 v11, 60, v11
	v_or_b32_e32 v10, v10, v22
	v_and_b32_e32 v23, 8, v12
	v_xor_b32_e32 v36, v10, v23
	v_lshl_or_b32 v10, v62, 6, v11
	v_lshlrev_b32_e32 v46, 1, v10
	v_or_b32_e32 v10, 32, v20
	v_xor_b32_e32 v10, v10, v21
	s_waitcnt lgkmcnt(0)
	s_barrier
	ds_read_b64 v[18:19], v36 offset:16384
	v_or_b32_e32 v10, v10, v22
	v_xor_b32_e32 v37, v10, v23
	v_or_b32_e32 v10, 64, v20
	v_xor_b32_e32 v10, v10, v21
	v_or_b32_e32 v10, v10, v22
	v_or_b32_e32 v20, 0x60, v20
	v_xor_b32_e32 v38, v10, v23
	ds_read2st64_b64 v[10:13], v46 offset0:72 offset1:73
	ds_read2st64_b64 v[14:17], v46 offset0:74 offset1:75
	v_xor_b32_e32 v24, v20, v21
	ds_read_b64 v[20:21], v37 offset:16384
	s_waitcnt lgkmcnt(2)
	v_mfma_f32_16x16x16_bf16 a[0:3], v[18:19], v[10:11], 0
	s_addc_u32 s13, s13, s1
	s_add_i32 s22, s43, -1
	s_add_i32 s0, s51, s50
	s_add_i32 s45, s0, s52
	s_mul_i32 s0, s48, s27
	s_mul_hi_u32 s1, s48, s26
	s_ashr_i32 s2, s22, 31
	s_mul_i32 s3, s22, s11
	s_mul_hi_u32 s14, s22, s10
	s_add_i32 s0, s1, s0
	s_mul_i32 s1, s25, s26
	s_add_i32 s3, s14, s3
	s_mul_i32 s2, s2, s10
	v_or_b32_e32 v22, v24, v22
	s_add_i32 s1, s0, s1
	s_add_i32 s3, s3, s2
	s_lshl_b64 s[14:15], s[44:45], 2
	v_xor_b32_e32 v47, v22, v23
	ds_read_b64 v[22:23], v38 offset:16384
	ds_read_b64 v[24:25], v47 offset:16384
	s_waitcnt lgkmcnt(2)
	v_mfma_f32_16x16x16_bf16 a[0:3], v[20:21], v[12:13], a[0:3]
	s_mul_i32 s0, s48, s26
	s_add_u32 s14, s18, s14
	s_addc_u32 s15, s19, s15
	s_lshl_b64 s[0:1], s[0:1], 2
	s_mul_i32 s2, s22, s10
	s_add_u32 s18, s14, s0
	s_addc_u32 s19, s15, s1
	s_lshl_b64 s[0:1], s[2:3], 2
	s_waitcnt lgkmcnt(1)
	v_mfma_f32_16x16x16_bf16 a[0:3], v[22:23], v[14:15], a[0:3]
	s_add_u32 s0, s18, s0
	s_addc_u32 s1, s19, s1
	s_load_dword s20, s[0:1], 0x0
	s_waitcnt lgkmcnt(0)
	v_mfma_f32_16x16x16_bf16 a[0:3], v[24:25], v[16:17], a[0:3]
	s_and_b64 vcc, exec, s[38:39]
	s_cbranch_vccz .LBB709_44
; %bb.34:
	v_lshlrev_b32_e32 v27, 1, v35
	s_and_b64 vcc, exec, s[4:5]
	s_cbranch_vccz .LBB709_45
; %bb.35:
	v_cmp_gt_i32_e32 vcc, s54, v27
	v_mov_b32_e32 v14, 0
	v_mov_b32_e32 v10, 0
	v_mov_b32_e32 v11, 0
	v_mov_b32_e32 v12, 0
	v_mov_b32_e32 v13, 0
	s_and_saveexec_b64 s[0:1], vcc
	s_cbranch_execz .LBB709_37
; %bb.36:
	v_mad_i64_i32 v[10:11], s[2:3], s23, v27, 0
	v_lshl_add_u64 v[10:11], v[10:11], 1, s[12:13]
	v_lshlrev_b32_e32 v12, 1, v26
	v_mov_b32_e32 v13, 0
	v_lshl_add_u64 v[10:11], v[10:11], 0, v[12:13]
	global_load_dwordx4 v[10:13], v[10:11], off
.LBB709_37:
	s_or_b64 exec, exec, s[0:1]
	v_or_b32_e32 v28, 1, v27
	v_cmp_gt_i32_e64 s[0:1], s54, v28
	v_mov_b32_e32 v15, 0
	v_mov_b32_e32 v16, 0
	;; [unrolled: 1-line block ×3, first 2 shown]
	s_and_saveexec_b64 s[2:3], s[0:1]
	s_cbranch_execz .LBB709_39
; %bb.38:
	v_mad_i64_i32 v[14:15], s[14:15], s23, v28, 0
	v_lshl_add_u64 v[14:15], v[14:15], 1, s[12:13]
	v_lshlrev_b32_e32 v16, 1, v26
	v_mov_b32_e32 v17, 0
	v_lshl_add_u64 v[14:15], v[14:15], 0, v[16:17]
	global_load_dwordx4 v[14:17], v[14:15], off
.LBB709_39:
	s_or_b64 exec, exec, s[2:3]
	v_mov_b32_e32 v25, 0
	v_mov_b32_e32 v18, 0
	;; [unrolled: 1-line block ×5, first 2 shown]
	s_and_saveexec_b64 s[2:3], vcc
	s_cbranch_execz .LBB709_41
; %bb.40:
	v_mad_i64_i32 v[18:19], s[14:15], s23, v27, 0
	v_lshl_add_u64 v[18:19], v[18:19], 1, s[12:13]
	v_lshlrev_b32_e32 v20, 1, v26
	v_mov_b32_e32 v21, 0
	v_lshl_add_u64 v[18:19], v[18:19], 0, v[20:21]
	global_load_dwordx4 v[18:21], v[18:19], off offset:128
.LBB709_41:
	s_or_b64 exec, exec, s[2:3]
	v_mov_b32_e32 v24, 0
	v_mov_b32_e32 v23, 0
	;; [unrolled: 1-line block ×3, first 2 shown]
	s_and_saveexec_b64 s[2:3], s[0:1]
	s_cbranch_execz .LBB709_43
; %bb.42:
	v_mad_i64_i32 v[22:23], s[0:1], s23, v28, 0
	v_lshl_add_u64 v[22:23], v[22:23], 1, s[12:13]
	v_lshlrev_b32_e32 v24, 1, v26
	v_mov_b32_e32 v25, 0
	v_lshl_add_u64 v[22:23], v[22:23], 0, v[24:25]
	global_load_dwordx4 v[22:25], v[22:23], off offset:128
.LBB709_43:
	s_or_b64 exec, exec, s[2:3]
	s_branch .LBB709_47
.LBB709_44:
                                        ; implicit-def: $vgpr13
                                        ; implicit-def: $vgpr17
                                        ; implicit-def: $vgpr21
                                        ; implicit-def: $vgpr25
	v_lshrrev_b32_e32 v27, 2, v61
	s_branch .LBB709_48
.LBB709_45:
                                        ; implicit-def: $vgpr13
                                        ; implicit-def: $vgpr17
                                        ; implicit-def: $vgpr21
                                        ; implicit-def: $vgpr25
	s_cbranch_execz .LBB709_47
; %bb.46:
	s_waitcnt vmcnt(0)
	v_mad_u64_u32 v[10:11], s[0:1], v27, s23, v[26:27]
	v_lshlrev_b32_e32 v27, 1, v10
	s_lshl_b32 s2, s23, 7
	s_and_b32 s1, s13, 0xffff
	s_mov_b32 s3, 0x20000
	s_mov_b32 s0, s12
	v_add_lshl_u32 v28, v10, s23, 1
	s_movk_i32 s14, 0x80
	buffer_load_dwordx4 v[10:13], v27, s[0:3], 0 offen
	buffer_load_dwordx4 v[18:21], v27, s[0:3], s14 offen
	;; [unrolled: 1-line block ×4, first 2 shown]
.LBB709_47:
	v_lshrrev_b32_e32 v27, 2, v61
	s_cbranch_execnz .LBB709_60
.LBB709_48:
	s_and_b64 vcc, exec, s[4:5]
	s_cbranch_vccz .LBB709_58
; %bb.49:
	s_waitcnt vmcnt(0)
	v_lshlrev_b32_e32 v15, 1, v35
	v_cmp_gt_i32_e32 vcc, s54, v15
	v_mov_b32_e32 v14, 0
	v_lshlrev_b32_e32 v22, 9, v35
	v_mov_b32_e32 v10, 0
	v_mov_b32_e32 v11, 0
	;; [unrolled: 1-line block ×4, first 2 shown]
	s_and_saveexec_b64 s[0:1], vcc
	s_cbranch_execz .LBB709_51
; %bb.50:
	v_mov_b32_e32 v23, 0
	v_lshl_add_u64 v[10:11], s[12:13], 0, v[22:23]
	v_lshlrev_b32_e32 v12, 1, v26
	v_mov_b32_e32 v13, v23
	v_lshl_add_u64 v[10:11], v[10:11], 0, v[12:13]
	global_load_dwordx4 v[10:13], v[10:11], off
.LBB709_51:
	s_or_b64 exec, exec, s[0:1]
	v_or_b32_e32 v15, 1, v15
	v_cmp_gt_i32_e64 s[0:1], s54, v15
	v_lshlrev_b32_e32 v28, 8, v15
	v_mov_b32_e32 v15, 0
	v_mov_b32_e32 v16, 0
	;; [unrolled: 1-line block ×3, first 2 shown]
	s_and_saveexec_b64 s[2:3], s[0:1]
	s_cbranch_execz .LBB709_53
; %bb.52:
	v_mov_b32_e32 v29, 0
	v_lshl_add_u64 v[14:15], s[12:13], 0, v[28:29]
	v_lshlrev_b32_e32 v16, 1, v26
	v_mov_b32_e32 v17, v29
	v_lshl_add_u64 v[14:15], v[14:15], 0, v[16:17]
	global_load_dwordx4 v[14:17], v[14:15], off
.LBB709_53:
	s_or_b64 exec, exec, s[2:3]
	v_mov_b32_e32 v25, 0
	v_mov_b32_e32 v18, 0
	;; [unrolled: 1-line block ×5, first 2 shown]
	s_and_saveexec_b64 s[2:3], vcc
	s_cbranch_execz .LBB709_55
; %bb.54:
	v_mov_b32_e32 v23, 0
	v_lshl_add_u64 v[18:19], s[12:13], 0, v[22:23]
	v_lshlrev_b32_e32 v22, 1, v26
	v_lshl_add_u64 v[18:19], v[18:19], 0, v[22:23]
	global_load_dwordx4 v[18:21], v[18:19], off offset:128
.LBB709_55:
	s_or_b64 exec, exec, s[2:3]
	v_mov_b32_e32 v24, 0
	v_mov_b32_e32 v23, 0
	;; [unrolled: 1-line block ×3, first 2 shown]
	s_and_saveexec_b64 s[2:3], s[0:1]
	s_cbranch_execz .LBB709_57
; %bb.56:
	v_mov_b32_e32 v29, 0
	v_lshl_add_u64 v[22:23], s[12:13], 0, v[28:29]
	v_lshlrev_b32_e32 v28, 1, v26
	v_lshl_add_u64 v[22:23], v[22:23], 0, v[28:29]
	global_load_dwordx4 v[22:25], v[22:23], off offset:128
.LBB709_57:
	s_or_b64 exec, exec, s[2:3]
	s_branch .LBB709_60
.LBB709_58:
                                        ; implicit-def: $vgpr13
                                        ; implicit-def: $vgpr17
                                        ; implicit-def: $vgpr21
                                        ; implicit-def: $vgpr25
	s_cbranch_execz .LBB709_60
; %bb.59:
	s_waitcnt vmcnt(0)
	v_lshlrev_b32_e32 v10, 1, v26
	v_lshl_or_b32 v26, v35, 9, v10
	s_and_b32 s13, s13, 0xffff
	s_mov_b32 s15, 0x20000
	s_movk_i32 s14, 0x4000
	s_movk_i32 s0, 0x80
	buffer_load_dwordx4 v[10:13], v26, s[12:15], 0 offen
	buffer_load_dwordx4 v[14:17], v26, s[12:15], 0 offen offset:256
	buffer_load_dwordx4 v[18:21], v26, s[12:15], s0 offen
	buffer_load_dwordx4 v[22:25], v26, s[12:15], s0 offen offset:256
.LBB709_60:
	v_and_b32_e32 v48, 12, v27
	ds_read2st64_b64 v[30:33], v46 offset0:76 offset1:77
	ds_read2st64_b64 v[26:29], v46 offset0:78 offset1:79
	ds_read_b64 v[42:43], v36 offset:24576
	ds_read_b64 v[40:41], v37 offset:24576
	;; [unrolled: 1-line block ×4, first 2 shown]
	v_and_b32_e32 v47, 6, v0
	v_xor_b32_e32 v35, v35, v47
	v_lshlrev_b32_e32 v35, 2, v35
	v_and_b32_e32 v49, 1, v0
	v_xor_b32_e32 v50, 0x440, v35
	v_cmp_eq_u32_e32 vcc, 0, v49
	s_mov_b32 s0, 0x1000504
	s_waitcnt vmcnt(0)
	v_perm_b32 v49, v18, v22, s0
	v_cndmask_b32_e32 v35, v50, v35, vcc
	v_lshl_or_b32 v35, v47, 10, v35
	v_perm_b32 v47, v10, v14, s0
	ds_write2st64_b32 v35, v47, v49 offset1:32
	v_xor_b32_e32 v47, 8, v35
	s_mov_b32 s1, 0x3020706
	v_perm_b32 v10, v10, v14, s1
	v_perm_b32 v14, v18, v22, s1
	v_add_u32_e32 v18, 0x80, v47
	ds_write2st64_b32 v18, v10, v14 offset1:32
	v_xor_b32_e32 v10, 16, v35
	v_perm_b32 v14, v11, v15, s0
	v_perm_b32 v18, v19, v23, s0
	ds_write2st64_b32 v10, v14, v18 offset0:1 offset1:33
	v_xor_b32_e32 v10, 24, v35
	v_perm_b32 v11, v11, v15, s1
	v_perm_b32 v14, v19, v23, s1
	v_add_u32_e32 v10, 0x80, v10
	ds_write2st64_b32 v10, v11, v14 offset0:1 offset1:33
	v_xor_b32_e32 v10, 32, v35
	v_perm_b32 v11, v12, v16, s0
	v_perm_b32 v14, v20, v24, s0
	ds_write2st64_b32 v10, v11, v14 offset0:2 offset1:34
	v_xor_b32_e32 v10, 40, v35
	v_perm_b32 v11, v12, v16, s1
	v_perm_b32 v12, v20, v24, s1
	v_add_u32_e32 v10, 0x80, v10
	ds_write2st64_b32 v10, v11, v12 offset0:2 offset1:34
	v_xor_b32_e32 v10, 48, v35
	v_perm_b32 v11, v13, v17, s0
	v_perm_b32 v12, v21, v25, s0
	ds_write2st64_b32 v10, v11, v12 offset0:3 offset1:35
	v_xor_b32_e32 v10, 56, v35
	v_or_b32_e32 v18, v48, v60
	v_perm_b32 v11, v13, v17, s1
	v_perm_b32 v12, v21, v25, s1
	v_add_u32_e32 v10, 0x80, v10
	v_cmp_gt_i32_e64 s[0:1], s54, v18
	v_mov_b32_e32 v20, 0
	v_mov_b32_e32 v24, 0
	ds_write2st64_b32 v10, v11, v12 offset0:3 offset1:35
	s_and_saveexec_b64 s[2:3], s[0:1]
	s_cbranch_execz .LBB709_62
; %bb.61:
	v_add_u32_e32 v10, s24, v18
	v_ashrrev_i32_e32 v11, 31, v10
	v_mul_lo_u32 v12, v11, s10
	v_mul_lo_u32 v13, v10, s11
	v_mad_u64_u32 v[10:11], s[4:5], v10, s10, 0
	v_add3_u32 v11, v11, v13, v12
	v_lshl_add_u64 v[10:11], v[10:11], 2, s[18:19]
	global_load_dword v10, v[10:11], off
	s_waitcnt vmcnt(0)
	v_sub_f32_e32 v10, s20, v10
	v_mul_f32_e32 v10, 0x3fb8aa3b, v10
	v_exp_f32_e32 v24, v10
.LBB709_62:
	s_or_b64 exec, exec, s[2:3]
	v_or_b32_e32 v23, 1, v18
	v_cmp_gt_i32_e64 s[4:5], s54, v23
	s_and_saveexec_b64 s[2:3], s[4:5]
	s_cbranch_execz .LBB709_64
; %bb.63:
	v_add_u32_e32 v10, s24, v23
	v_ashrrev_i32_e32 v11, 31, v10
	v_mul_lo_u32 v12, v11, s10
	v_mul_lo_u32 v13, v10, s11
	v_mad_u64_u32 v[10:11], s[12:13], v10, s10, 0
	v_add3_u32 v11, v11, v13, v12
	v_lshl_add_u64 v[10:11], v[10:11], 2, s[18:19]
	global_load_dword v10, v[10:11], off
	s_waitcnt vmcnt(0)
	v_sub_f32_e32 v10, s20, v10
	v_mul_f32_e32 v10, 0x3fb8aa3b, v10
	v_exp_f32_e32 v20, v10
.LBB709_64:
	s_or_b64 exec, exec, s[2:3]
	v_or_b32_e32 v22, 2, v18
	v_cmp_gt_i32_e64 s[2:3], s54, v22
	v_mov_b32_e32 v19, 0
	v_mov_b32_e32 v25, 0
	s_and_saveexec_b64 s[12:13], s[2:3]
	s_cbranch_execz .LBB709_66
; %bb.65:
	v_add_u32_e32 v10, s24, v22
	v_ashrrev_i32_e32 v11, 31, v10
	v_mul_lo_u32 v12, v11, s10
	v_mul_lo_u32 v13, v10, s11
	v_mad_u64_u32 v[10:11], s[14:15], v10, s10, 0
	v_add3_u32 v11, v11, v13, v12
	v_lshl_add_u64 v[10:11], v[10:11], 2, s[18:19]
	global_load_dword v10, v[10:11], off
	s_waitcnt vmcnt(0)
	v_sub_f32_e32 v10, s20, v10
	v_mul_f32_e32 v10, 0x3fb8aa3b, v10
	v_exp_f32_e32 v25, v10
.LBB709_66:
	s_or_b64 exec, exec, s[12:13]
	v_or_b32_e32 v21, 3, v18
	v_cmp_gt_i32_e32 vcc, s54, v21
	s_and_saveexec_b64 s[12:13], vcc
	s_cbranch_execz .LBB709_68
; %bb.67:
	v_add_u32_e32 v10, s24, v21
	v_ashrrev_i32_e32 v11, 31, v10
	v_mul_lo_u32 v12, v11, s10
	v_mul_lo_u32 v13, v10, s11
	v_mad_u64_u32 v[10:11], s[10:11], v10, s10, 0
	v_add3_u32 v11, v11, v13, v12
	v_lshl_add_u64 v[10:11], v[10:11], 2, s[18:19]
	global_load_dword v10, v[10:11], off
	s_waitcnt vmcnt(0)
	v_sub_f32_e32 v10, s20, v10
	v_mul_f32_e32 v10, 0x3fb8aa3b, v10
	v_exp_f32_e32 v19, v10
.LBB709_68:
	s_or_b64 exec, exec, s[12:13]
	s_waitcnt lgkmcnt(11)
	v_mfma_f32_16x16x16_bf16 a[0:3], v[42:43], v[30:31], a[0:3]
	s_add_u32 s10, s16, s36
	s_addc_u32 s11, s17, s37
	v_ashrrev_i32_e32 v35, 31, v34
	s_waitcnt lgkmcnt(10)
	v_mfma_f32_16x16x16_bf16 a[0:3], v[40:41], v[32:33], a[0:3]
	s_add_u32 s6, s6, s36
	v_lshlrev_b64 v[10:11], 1, v[34:35]
	s_addc_u32 s7, s7, s37
	s_waitcnt lgkmcnt(9)
	v_mfma_f32_16x16x16_bf16 a[0:3], v[38:39], v[26:27], a[0:3]
	v_lshl_add_u64 v[14:15], s[10:11], 0, v[10:11]
	v_lshl_add_u64 v[16:17], s[6:7], 0, v[10:11]
	v_mov_b32_e32 v26, 0
	s_waitcnt lgkmcnt(8)
	v_mfma_f32_16x16x16_bf16 a[0:3], v[36:37], v[28:29], a[0:3]
	v_mov_b32_e32 v27, 0
	s_nop 5
	v_accvgpr_read_b32 v13, a3
	v_accvgpr_read_b32 v12, a2
	;; [unrolled: 1-line block ×4, first 2 shown]
	s_and_saveexec_b64 s[6:7], s[0:1]
	s_cbranch_execz .LBB709_70
; %bb.69:
	v_lshlrev_b32_e32 v28, 8, v18
	v_mov_b32_e32 v29, 0
	v_lshl_add_u64 v[30:31], v[14:15], 0, v[28:29]
	global_load_ushort v27, v[30:31], off
	v_lshl_add_u64 v[28:29], v[16:17], 0, v[28:29]
	s_waitcnt vmcnt(0)
	v_lshlrev_b32_e32 v27, 16, v27
	v_sub_f32_e32 v10, v27, v10
	global_store_short_d16_hi v[28:29], v10, off
	v_mul_f32_e32 v10, v24, v10
	v_lshrrev_b32_e32 v27, 16, v10
.LBB709_70:
	s_or_b64 exec, exec, s[6:7]
	s_and_saveexec_b64 s[0:1], s[4:5]
	s_cbranch_execz .LBB709_72
; %bb.71:
	v_lshlrev_b32_e32 v28, 8, v23
	v_mov_b32_e32 v29, 0
	v_lshl_add_u64 v[30:31], v[14:15], 0, v[28:29]
	global_load_ushort v10, v[30:31], off
	v_lshl_add_u64 v[28:29], v[16:17], 0, v[28:29]
	s_waitcnt vmcnt(0)
	v_lshlrev_b32_e32 v10, 16, v10
	v_sub_f32_e32 v10, v10, v11
	global_store_short_d16_hi v[28:29], v10, off
	v_mul_f32_e32 v10, v20, v10
	v_lshrrev_b32_e32 v26, 16, v10
.LBB709_72:
	s_or_b64 exec, exec, s[0:1]
	v_mov_b32_e32 v11, 0
	v_mov_b32_e32 v20, 0
	s_and_saveexec_b64 s[0:1], s[2:3]
	s_cbranch_execz .LBB709_74
; %bb.73:
	v_lshlrev_b32_e32 v22, 8, v22
	v_mov_b32_e32 v23, 0
	v_lshl_add_u64 v[28:29], v[14:15], 0, v[22:23]
	global_load_ushort v10, v[28:29], off
	v_lshl_add_u64 v[22:23], v[16:17], 0, v[22:23]
	s_waitcnt vmcnt(0)
	v_lshlrev_b32_e32 v10, 16, v10
	v_sub_f32_e32 v10, v10, v12
	global_store_short_d16_hi v[22:23], v10, off
	v_mul_f32_e32 v10, v25, v10
	v_lshrrev_b32_e32 v20, 16, v10
.LBB709_74:
	s_or_b64 exec, exec, s[0:1]
	v_or_b32_e32 v10, 0x9800, v46
	s_and_saveexec_b64 s[0:1], vcc
	s_cbranch_execz .LBB709_76
; %bb.75:
	v_lshlrev_b32_e32 v22, 8, v21
	v_mov_b32_e32 v23, 0
	v_lshl_add_u64 v[14:15], v[14:15], 0, v[22:23]
	global_load_ushort v11, v[14:15], off
	v_lshl_add_u64 v[14:15], v[16:17], 0, v[22:23]
	s_waitcnt vmcnt(0)
	v_lshlrev_b32_e32 v11, 16, v11
	v_sub_f32_e32 v11, v11, v13
	global_store_short_d16_hi v[14:15], v11, off
	v_mul_f32_e32 v11, v19, v11
	v_lshrrev_b32_e32 v11, 16, v11
.LBB709_76:
	s_or_b64 exec, exec, s[0:1]
	s_mov_b32 s0, 0x5040100
	v_perm_b32 v13, v11, v20, s0
	v_lshlrev_b32_e32 v11, 1, v44
	v_perm_b32 v12, v26, v27, s0
	v_lshl_or_b32 v11, v18, 5, v11
	s_movk_i32 s2, 0xff
	ds_write_b64 v11, v[12:13] offset:38912
	v_and_b32_e32 v11, 7, v0
	v_cmp_lt_u32_e32 vcc, s2, v0
	v_and_b32_e32 v12, 8, v0
	v_lshlrev_b32_e32 v20, 3, v11
	v_lshlrev_b32_e32 v32, 7, v11
	v_cndmask_b32_e64 v11, 0, 1, vcc
	v_lshrrev_b32_e32 v0, 1, v0
	v_lshlrev_b32_e32 v22, 13, v11
	v_lshlrev_b32_e32 v11, 3, v53
	v_and_b32_e32 v0, 24, v0
	v_xor_b32_e32 v13, v11, v0
	v_or_b32_e32 v14, 0x440, v13
	v_cmp_eq_u32_e32 vcc, 0, v12
	s_mul_i32 s0, s22, s21
	s_mul_hi_i32 s1, s22, s21
	v_cndmask_b32_e32 v12, v14, v13, vcc
	v_or_b32_e32 v12, v12, v45
	v_xor_b32_e32 v33, v12, v20
	v_or_b32_e32 v12, 32, v0
	v_xor_b32_e32 v12, v11, v12
	v_or_b32_e32 v13, 0x440, v12
	v_cndmask_b32_e32 v12, v13, v12, vcc
	v_or_b32_e32 v12, v12, v45
	v_xor_b32_e32 v35, v12, v20
	v_or_b32_e32 v12, 64, v0
	v_xor_b32_e32 v12, v11, v12
	v_xor_b32_e32 v13, 0x440, v12
	v_cndmask_b32_e32 v12, v13, v12, vcc
	v_or_b32_e32 v0, 0x60, v0
	s_add_u32 s0, s0, s48
	v_add3_u32 v23, v22, v33, v32
	v_or_b32_e32 v12, v12, v45
	v_xor_b32_e32 v0, v11, v0
	s_waitcnt lgkmcnt(0)
	s_barrier
	s_addc_u32 s1, s1, s25
	v_lshlrev_b32_e32 v21, 2, v18
	v_xor_b32_e32 v36, v12, v20
	ds_read2st64_b64 v[12:15], v10 offset1:1
	ds_read2st64_b64 v[16:19], v10 offset0:2 offset1:3
	ds_read_b64 v[10:11], v23
	v_xor_b32_e32 v23, 0x440, v0
	s_lshl_b64 s[0:1], s[0:1], 9
	v_cndmask_b32_e32 v0, v23, v0, vcc
	s_add_u32 s0, s40, s0
	v_or_b32_e32 v0, v0, v45
	s_addc_u32 s1, s41, s1
	v_add3_u32 v24, v22, v35, v32
	v_xor_b32_e32 v37, v0, v20
	v_add3_u32 v26, v22, v36, v32
	v_add3_u32 v0, v22, v37, v32
	ds_read_b64 v[24:25], v24
	ds_read_b64 v[28:29], v26
	;; [unrolled: 1-line block ×3, first 2 shown]
	global_load_dwordx4 v[20:23], v21, s[0:1]
	s_waitcnt lgkmcnt(3)
	v_mfma_f32_16x16x16_bf16 a[0:3], v[10:11], v[12:13], 0
	v_lshlrev_b32_e32 v0, 6, v53
	v_lshlrev_b32_e32 v10, 2, v48
	s_movk_i32 s2, 0x100
	v_or3_b32 v0, v0, v10, s2
	s_waitcnt lgkmcnt(2)
	v_mfma_f32_16x16x16_bf16 a[0:3], v[24:25], v[14:15], a[0:3]
	global_load_dwordx4 v[24:27], v0, s[0:1]
	v_mov_b32_e32 v0, 0x3fb8aa3b
	v_mul_f32_e32 v0, s20, v0
	s_waitcnt lgkmcnt(1)
	v_mfma_f32_16x16x16_bf16 a[0:3], v[28:29], v[16:17], a[0:3]
	v_exp_f32_e32 v0, v0
	v_add_u32_e32 v33, v33, v32
	v_add_u32_e32 v35, v35, v32
	s_waitcnt lgkmcnt(0)
	v_mfma_f32_16x16x16_bf16 a[0:3], v[30:31], v[18:19], a[0:3]
	ds_read_b64 v[30:31], v33 offset:8192
	s_waitcnt vmcnt(1)
	v_mul_f32_e32 v20, 0x3fb8aa3b, v20
	v_mul_f32_e32 v21, 0x3fb8aa3b, v21
	v_exp_f32_e32 v20, v20
	v_exp_f32_e32 v21, v21
	s_nop 0
	v_accvgpr_read_b32 v29, a1
	v_accvgpr_read_b32 v28, a0
	v_mul_f32_e32 v22, 0x3fb8aa3b, v22
	v_pk_mul_f32 v[20:21], v[0:1], v[20:21] op_sel_hi:[0,1]
	v_pk_fma_f32 v[2:3], v[2:3], v[20:21], v[28:29]
	ds_read_b64 v[20:21], v35 offset:8192
	v_mul_f32_e32 v23, 0x3fb8aa3b, v23
	v_exp_f32_e32 v22, v22
	v_exp_f32_e32 v23, v23
	v_accvgpr_read_b32 v11, a3
	v_accvgpr_read_b32 v10, a2
	s_waitcnt lgkmcnt(1)
	v_mfma_f32_16x16x16_bf16 a[0:3], v[30:31], v[12:13], 0
	v_pk_mul_f32 v[22:23], v[0:1], v[22:23] op_sel_hi:[0,1]
	v_pk_fma_f32 v[4:5], v[4:5], v[22:23], v[10:11]
	v_add_u32_e32 v10, v36, v32
	v_add_u32_e32 v11, v37, v32
	ds_read_b64 v[22:23], v10 offset:8192
	ds_read_b64 v[28:29], v11 offset:8192
	s_waitcnt lgkmcnt(2)
	v_mfma_f32_16x16x16_bf16 a[0:3], v[20:21], v[14:15], a[0:3]
	s_waitcnt vmcnt(0)
	v_mov_b32_e32 v10, v25
	v_mov_b32_e32 v11, v26
	;; [unrolled: 1-line block ×3, first 2 shown]
	s_waitcnt lgkmcnt(1)
	v_mfma_f32_16x16x16_bf16 a[0:3], v[22:23], v[16:17], a[0:3]
	v_mul_f32_e32 v10, 0x3fb8aa3b, v10
	v_mul_f32_e32 v13, 0x3fb8aa3b, v24
	v_exp_f32_e32 v25, v10
	v_mul_f32_e32 v10, 0x3fb8aa3b, v11
	v_mul_f32_e32 v11, 0x3fb8aa3b, v12
	s_waitcnt lgkmcnt(0)
	v_mfma_f32_16x16x16_bf16 a[0:3], v[28:29], v[18:19], a[0:3]
	v_exp_f32_e32 v24, v13
	v_exp_f32_e32 v10, v10
	;; [unrolled: 1-line block ×3, first 2 shown]
	v_pk_mul_f32 v[14:15], v[0:1], v[24:25] op_sel_hi:[0,1]
	v_pk_mul_f32 v[10:11], v[0:1], v[10:11] op_sel_hi:[0,1]
	s_nop 1
	v_accvgpr_read_b32 v17, a1
	v_accvgpr_read_b32 v13, a3
	;; [unrolled: 1-line block ×4, first 2 shown]
	v_pk_fma_f32 v[6:7], v[6:7], v[14:15], v[16:17]
	v_pk_fma_f32 v[8:9], v[8:9], v[10:11], v[12:13]
	v_mov_b32_e32 v10, v34
.LBB709_77:
	s_mul_i32 s0, s49, s35
	s_mul_hi_u32 s1, s49, s34
	s_add_i32 s0, s1, s0
	s_mul_i32 s1, s33, s34
	s_add_i32 s1, s0, s1
	s_mul_i32 s0, s49, s34
	s_add_u32 s0, s0, s48
	s_addc_u32 s1, s1, s25
	s_lshl_b64 s[0:1], s[0:1], 16
	s_add_u32 s0, s8, s0
	v_lshlrev_b32_e32 v10, 7, v10
	s_addc_u32 s1, s9, s1
	v_ashrrev_i32_e32 v11, 31, v10
	v_lshl_add_u64 v[10:11], v[10:11], 2, s[0:1]
	v_lshlrev_b32_e32 v0, 2, v1
	v_mov_b32_e32 v1, 0
	v_lshl_add_u64 v[0:1], v[10:11], 0, v[0:1]
	global_store_dwordx4 v[0:1], v[2:5], off
	global_store_dwordx4 v[0:1], v[6:9], off offset:256
	s_endpgm
	.section	.rodata,"a",@progbits
	.p2align	6, 0x0
	.amdhsa_kernel _ZN12_GLOBAL__N_139chunk_gated_delta_rule_fwd_h_hip_kernelILi16ELb0ELb1ELb1ELb1ELb0ELb1ELb1ELb0EEEvPK12hip_bfloat16S3_S3_PKfS5_PKvPS1_S8_PvPKiSB_iiiiilll
		.amdhsa_group_segment_fixed_size 40960
		.amdhsa_private_segment_fixed_size 0
		.amdhsa_kernarg_size 136
		.amdhsa_user_sgpr_count 2
		.amdhsa_user_sgpr_dispatch_ptr 0
		.amdhsa_user_sgpr_queue_ptr 0
		.amdhsa_user_sgpr_kernarg_segment_ptr 1
		.amdhsa_user_sgpr_dispatch_id 0
		.amdhsa_user_sgpr_kernarg_preload_length 0
		.amdhsa_user_sgpr_kernarg_preload_offset 0
		.amdhsa_user_sgpr_private_segment_size 0
		.amdhsa_uses_dynamic_stack 0
		.amdhsa_enable_private_segment 0
		.amdhsa_system_sgpr_workgroup_id_x 1
		.amdhsa_system_sgpr_workgroup_id_y 1
		.amdhsa_system_sgpr_workgroup_id_z 0
		.amdhsa_system_sgpr_workgroup_info 0
		.amdhsa_system_vgpr_workitem_id 0
		.amdhsa_next_free_vgpr 128
		.amdhsa_next_free_sgpr 70
		.amdhsa_accum_offset 116
		.amdhsa_reserve_vcc 1
		.amdhsa_float_round_mode_32 0
		.amdhsa_float_round_mode_16_64 0
		.amdhsa_float_denorm_mode_32 3
		.amdhsa_float_denorm_mode_16_64 3
		.amdhsa_dx10_clamp 1
		.amdhsa_ieee_mode 1
		.amdhsa_fp16_overflow 0
		.amdhsa_tg_split 0
		.amdhsa_exception_fp_ieee_invalid_op 0
		.amdhsa_exception_fp_denorm_src 0
		.amdhsa_exception_fp_ieee_div_zero 0
		.amdhsa_exception_fp_ieee_overflow 0
		.amdhsa_exception_fp_ieee_underflow 0
		.amdhsa_exception_fp_ieee_inexact 0
		.amdhsa_exception_int_div_zero 0
	.end_amdhsa_kernel
	.section	.text._ZN12_GLOBAL__N_139chunk_gated_delta_rule_fwd_h_hip_kernelILi16ELb0ELb1ELb1ELb1ELb0ELb1ELb1ELb0EEEvPK12hip_bfloat16S3_S3_PKfS5_PKvPS1_S8_PvPKiSB_iiiiilll,"axG",@progbits,_ZN12_GLOBAL__N_139chunk_gated_delta_rule_fwd_h_hip_kernelILi16ELb0ELb1ELb1ELb1ELb0ELb1ELb1ELb0EEEvPK12hip_bfloat16S3_S3_PKfS5_PKvPS1_S8_PvPKiSB_iiiiilll,comdat
.Lfunc_end709:
	.size	_ZN12_GLOBAL__N_139chunk_gated_delta_rule_fwd_h_hip_kernelILi16ELb0ELb1ELb1ELb1ELb0ELb1ELb1ELb0EEEvPK12hip_bfloat16S3_S3_PKfS5_PKvPS1_S8_PvPKiSB_iiiiilll, .Lfunc_end709-_ZN12_GLOBAL__N_139chunk_gated_delta_rule_fwd_h_hip_kernelILi16ELb0ELb1ELb1ELb1ELb0ELb1ELb1ELb0EEEvPK12hip_bfloat16S3_S3_PKfS5_PKvPS1_S8_PvPKiSB_iiiiilll
                                        ; -- End function
	.section	.AMDGPU.csdata,"",@progbits
; Kernel info:
; codeLenInByte = 8316
; NumSgprs: 76
; NumVgprs: 116
; NumAgprs: 12
; TotalNumVgprs: 128
; ScratchSize: 0
; MemoryBound: 0
; FloatMode: 240
; IeeeMode: 1
; LDSByteSize: 40960 bytes/workgroup (compile time only)
; SGPRBlocks: 9
; VGPRBlocks: 15
; NumSGPRsForWavesPerEU: 76
; NumVGPRsForWavesPerEU: 128
; AccumOffset: 116
; Occupancy: 1
; WaveLimiterHint : 1
; COMPUTE_PGM_RSRC2:SCRATCH_EN: 0
; COMPUTE_PGM_RSRC2:USER_SGPR: 2
; COMPUTE_PGM_RSRC2:TRAP_HANDLER: 0
; COMPUTE_PGM_RSRC2:TGID_X_EN: 1
; COMPUTE_PGM_RSRC2:TGID_Y_EN: 1
; COMPUTE_PGM_RSRC2:TGID_Z_EN: 0
; COMPUTE_PGM_RSRC2:TIDIG_COMP_CNT: 0
; COMPUTE_PGM_RSRC3_GFX90A:ACCUM_OFFSET: 28
; COMPUTE_PGM_RSRC3_GFX90A:TG_SPLIT: 0
	.section	.text._ZN12_GLOBAL__N_139chunk_gated_delta_rule_fwd_h_hip_kernelILi16ELb0ELb1ELb0ELb1ELb0ELb1ELb1ELb0EEEvPK12hip_bfloat16S3_S3_PKfS5_PKvPS1_S8_PvPKiSB_iiiiilll,"axG",@progbits,_ZN12_GLOBAL__N_139chunk_gated_delta_rule_fwd_h_hip_kernelILi16ELb0ELb1ELb0ELb1ELb0ELb1ELb1ELb0EEEvPK12hip_bfloat16S3_S3_PKfS5_PKvPS1_S8_PvPKiSB_iiiiilll,comdat
	.globl	_ZN12_GLOBAL__N_139chunk_gated_delta_rule_fwd_h_hip_kernelILi16ELb0ELb1ELb0ELb1ELb0ELb1ELb1ELb0EEEvPK12hip_bfloat16S3_S3_PKfS5_PKvPS1_S8_PvPKiSB_iiiiilll ; -- Begin function _ZN12_GLOBAL__N_139chunk_gated_delta_rule_fwd_h_hip_kernelILi16ELb0ELb1ELb0ELb1ELb0ELb1ELb1ELb0EEEvPK12hip_bfloat16S3_S3_PKfS5_PKvPS1_S8_PvPKiSB_iiiiilll
	.p2align	8
	.type	_ZN12_GLOBAL__N_139chunk_gated_delta_rule_fwd_h_hip_kernelILi16ELb0ELb1ELb0ELb1ELb0ELb1ELb1ELb0EEEvPK12hip_bfloat16S3_S3_PKfS5_PKvPS1_S8_PvPKiSB_iiiiilll,@function
_ZN12_GLOBAL__N_139chunk_gated_delta_rule_fwd_h_hip_kernelILi16ELb0ELb1ELb0ELb1ELb0ELb1ELb1ELb0EEEvPK12hip_bfloat16S3_S3_PKfS5_PKvPS1_S8_PvPKiSB_iiiiilll: ; @_ZN12_GLOBAL__N_139chunk_gated_delta_rule_fwd_h_hip_kernelILi16ELb0ELb1ELb0ELb1ELb0ELb1ELb1ELb0EEEvPK12hip_bfloat16S3_S3_PKfS5_PKvPS1_S8_PvPKiSB_iiiiilll
; %bb.0:
	s_load_dwordx4 s[16:19], s[0:1], 0x5c
	s_load_dwordx4 s[20:23], s[0:1], 0x70
	s_abs_i32 s27, s3
	s_ashr_i32 s26, s3, 31
	s_load_dwordx8 s[4:11], s[0:1], 0x0
	s_load_dwordx2 s[36:37], s[0:1], 0x20
	s_load_dwordx2 s[42:43], s[0:1], 0x30
	s_waitcnt lgkmcnt(0)
	s_abs_i32 s28, s17
	v_cvt_f32_u32_e32 v1, s28
	s_sub_i32 s29, 0, s28
	s_ashr_i32 s33, s17, 31
	s_xor_b32 s26, s26, s33
	v_rcp_iflag_f32_e32 v1, v1
	s_load_dwordx4 s[12:15], s[0:1], 0x40
	s_load_dwordx2 s[24:25], s[0:1], 0x50
	v_lshrrev_b32_e32 v53, 6, v0
	v_bfe_u32 v60, v0, 4, 2
	v_mul_f32_e32 v1, 0x4f7ffffe, v1
	v_cvt_u32_f32_e32 v1, v1
	v_lshlrev_b32_e32 v58, 4, v53
	v_lshlrev_b32_e32 v10, 2, v60
	v_and_b32_e32 v59, 63, v0
	v_readfirstlane_b32 s30, v1
	s_mul_i32 s29, s29, s30
	s_mul_hi_u32 s29, s30, s29
	s_add_i32 s30, s30, s29
	s_mul_hi_u32 s29, s27, s30
	s_mul_i32 s30, s29, s28
	s_sub_i32 s27, s27, s30
	s_add_i32 s30, s29, 1
	s_sub_i32 s31, s27, s28
	s_cmp_ge_u32 s27, s28
	s_cselect_b32 s29, s30, s29
	s_cselect_b32 s27, s31, s27
	s_add_i32 s30, s29, 1
	s_cmp_ge_u32 s27, s28
	s_cselect_b32 s27, s30, s29
	s_xor_b32 s27, s27, s26
	s_sub_i32 s34, s27, s26
	s_mul_i32 s26, s34, s17
	s_ashr_i32 s35, s34, 31
	s_sub_i32 s46, s3, s26
	s_lshl_b64 s[26:27], s[34:35], 2
	s_waitcnt lgkmcnt(0)
	s_add_u32 s14, s14, s26
	s_addc_u32 s15, s15, s27
	s_add_u32 s24, s24, s26
	s_addc_u32 s25, s25, s27
	s_abs_i32 s3, s18
	v_cvt_f32_u32_e32 v1, s3
	s_load_dwordx2 s[38:39], s[14:15], 0x0
	s_sub_i32 s15, 0, s3
	s_load_dword s53, s[24:25], 0x0
	v_rcp_iflag_f32_e32 v1, v1
	v_mov_b32_e32 v9, 0
	s_waitcnt lgkmcnt(0)
	s_sub_i32 s51, s39, s38
	s_ashr_i32 s14, s51, 31
	v_mul_f32_e32 v1, 0x4f7ffffe, v1
	v_cvt_u32_f32_e32 v1, v1
	s_lshr_b32 s14, s14, 26
	s_add_i32 s14, s51, s14
	s_ashr_i32 s52, s14, 6
	v_readfirstlane_b32 s26, v1
	s_mul_i32 s15, s15, s26
	s_mul_hi_u32 s15, s26, s15
	s_add_i32 s26, s26, s15
	s_mul_hi_u32 s15, s28, s26
	s_mul_i32 s26, s15, s3
	s_ashr_i32 s14, s18, 31
	s_sub_i32 s26, s28, s26
	s_xor_b32 s14, s33, s14
	s_add_i32 s27, s15, 1
	s_sub_i32 s28, s26, s3
	s_cmp_ge_u32 s26, s3
	s_cselect_b32 s15, s27, s15
	s_cselect_b32 s26, s28, s26
	s_add_i32 s27, s15, 1
	s_cmp_ge_u32 s26, s3
	s_cselect_b32 s3, s27, s15
	s_xor_b32 s3, s3, s14
	s_sub_i32 s3, s3, s14
	s_abs_i32 s26, s3
	v_cvt_f32_u32_e32 v1, s26
	s_load_dwordx2 s[14:15], s[0:1], 0x80
	s_xor_b32 s0, s46, s3
	s_sub_i32 s3, 0, s26
	v_rcp_iflag_f32_e32 v1, v1
	s_abs_i32 s1, s46
	s_ashr_i32 s0, s0, 31
	s_mov_b32 s47, s17
	v_mul_f32_e32 v1, 0x4f7ffffe, v1
	v_cvt_u32_f32_e32 v1, v1
	v_and_b32_e32 v61, 15, v0
	s_mul_hi_i32 s54, s46, s16
	s_mul_i32 s55, s46, s16
	v_readfirstlane_b32 s24, v1
	s_mul_i32 s3, s3, s24
	s_mul_hi_u32 s3, s24, s3
	s_add_i32 s24, s24, s3
	s_mul_hi_u32 s3, s1, s24
	s_mul_i32 s24, s3, s26
	s_sub_i32 s1, s1, s24
	s_add_i32 s24, s3, 1
	s_sub_i32 s25, s1, s26
	s_cmp_ge_u32 s1, s26
	s_cselect_b32 s3, s24, s3
	s_cselect_b32 s1, s25, s1
	s_add_i32 s24, s3, 1
	s_cmp_ge_u32 s1, s26
	s_cselect_b32 s1, s24, s3
	s_xor_b32 s1, s1, s0
	s_sub_i32 s56, s1, s0
	v_or_b32_e32 v1, v10, v58
	s_lshl_b32 s2, s2, 4
	v_or_b32_e32 v64, 64, v1
	s_cmp_lt_i32 s51, 64
	v_lshrrev_b32_e32 v63, 3, v59
	v_lshlrev_b32_e32 v62, 3, v0
	s_mul_i32 s48, s34, s21
	s_mul_hi_u32 s49, s34, s20
	s_mul_i32 s50, s35, s20
	s_mul_i32 s40, s34, s20
	v_mov_b32_e32 v8, v9
	v_mov_b32_e32 v7, v9
	;; [unrolled: 1-line block ×7, first 2 shown]
	s_cbranch_scc1 .LBB710_18
; %bb.1:
	s_ashr_i32 s58, s46, 31
	s_ashr_i32 s1, s38, 31
	s_add_u32 s0, s55, s38
	s_addc_u32 s1, s54, s1
	s_lshl_b64 s[0:1], s[0:1], 8
	v_and_b32_e32 v66, 56, v62
	s_add_u32 s24, s6, s0
	v_lshl_or_b32 v65, v53, 3, v63
	v_lshlrev_b32_e32 v3, 1, v66
	s_addc_u32 s0, s7, s1
	v_lshl_or_b32 v67, v65, 8, v3
	s_and_b32 s25, s0, 0xffff
	s_mov_b32 s27, 0x20000
	s_movk_i32 s26, 0x4000
	s_movk_i32 s0, 0x80
	v_or_b32_e32 v68, 0x2000, v67
	buffer_load_dwordx4 v[4:7], v67, s[24:27], 0 offen
	buffer_load_dwordx4 v[12:15], v67, s[24:27], s0 offen
	buffer_load_dwordx4 v[16:19], v68, s[24:27], 0 offen
	buffer_load_dwordx4 v[20:23], v68, s[24:27], s0 offen
	v_lshlrev_b32_e32 v2, 3, v65
	v_and_or_b32 v9, v0, 7, v2
	v_and_b32_e32 v2, 0x78, v2
	v_lshlrev_b32_e32 v9, 4, v9
	v_xor_b32_e32 v69, v9, v2
	v_mul_lo_u32 v8, v65, s19
	v_or_b32_e32 v70, 0x1000, v69
	v_xor_b32_e32 v2, 8, v69
	s_cmpk_eq_i32 s19, 0x80
	s_mov_b32 s57, s38
	v_xor_b32_e32 v9, 8, v70
	s_cselect_b64 s[0:1], -1, 0
	s_cmpk_lg_i32 s19, 0x80
	s_waitcnt vmcnt(3)
	ds_write_b64 v69, v[4:5] offset:16384
	ds_write_b64 v2, v[6:7] offset:16384
	s_waitcnt vmcnt(2)
	ds_write_b64 v69, v[12:13] offset:24576
	ds_write_b64 v2, v[14:15] offset:24576
	;; [unrolled: 3-line block ×4, first 2 shown]
	v_lshl_add_u32 v2, v8, 1, v66
	s_cbranch_scc0 .LBB710_3
; %bb.2:
	v_lshlrev_b32_e32 v6, 1, v2
	v_add_lshl_u32 v5, v2, s19, 1
	s_lshl_b32 s26, s19, 7
	v_lshl_or_b32 v4, v65, 9, v3
	s_cbranch_execz .LBB710_4
	s_branch .LBB710_5
.LBB710_3:
                                        ; implicit-def: $vgpr5
                                        ; implicit-def: $vgpr6
                                        ; implicit-def: $sgpr26
	v_lshl_or_b32 v4, v65, 9, v3
.LBB710_4:
	v_or_b32_e32 v5, 0x100, v4
	s_movk_i32 s26, 0x4000
	v_mov_b32_e32 v6, v4
.LBB710_5:
	s_mul_i32 s20, s38, s18
	s_ashr_i32 s59, s56, 31
	s_mul_hi_i32 s3, s38, s18
	s_add_u32 s20, s20, s56
	s_addc_u32 s21, s3, s59
	s_lshl_b64 s[20:21], s[20:21], 8
	s_add_u32 s24, s4, s20
	s_addc_u32 s3, s5, s21
	s_and_b32 s25, s3, 0xffff
	s_movk_i32 s60, 0x80
	buffer_load_dwordx4 v[12:15], v6, s[24:27], 0 offen
	s_nop 0
	buffer_load_dwordx4 v[6:9], v6, s[24:27], s60 offen
	s_nop 0
	buffer_load_dwordx4 v[16:19], v5, s[24:27], 0 offen
	buffer_load_dwordx4 v[20:23], v5, s[24:27], s60 offen
	v_and_b32_e32 v3, 6, v0
	v_lshlrev_b32_e32 v11, 2, v61
	v_lshlrev_b32_e32 v24, 3, v61
	v_xor_b32_e32 v26, v65, v3
	v_and_b32_e32 v5, 1, v0
	v_lshl_or_b32 v24, v1, 5, v24
	v_xor_b32_e32 v27, v1, v11
	v_lshlrev_b32_e32 v26, 2, v26
	s_mul_i32 s3, s46, s23
	s_mul_hi_u32 s21, s46, s22
	v_or_b32_e32 v71, 0x9000, v24
	v_or_b32_e32 v72, 0x9800, v24
	v_lshlrev_b32_e32 v24, 1, v27
	v_xor_b32_e32 v27, 0x440, v26
	v_cmp_eq_u32_e32 vcc, 0, v5
	s_add_i32 s25, s49, s48
	s_mul_i32 s24, s58, s22
	v_cndmask_b32_e32 v5, v27, v26, vcc
	s_add_i32 s3, s21, s3
	s_add_i32 s41, s25, s50
	s_mov_b32 s61, 0x1000504
	v_lshlrev_b32_e32 v25, 8, v61
	s_mov_b32 s26, 0x8000
	v_xor_b32_e32 v11, v64, v11
	v_lshl_or_b32 v3, v3, 10, v5
	s_add_i32 s21, s3, s24
	s_lshl_b64 s[24:25], s[40:41], 2
	s_mov_b32 s62, 0x3020706
	s_mul_i32 s20, s46, s22
	v_lshlrev_b32_e32 v11, 1, v11
	v_or3_b32 v73, v24, v25, s26
	v_xor_b32_e32 v5, 8, v3
	v_xor_b32_e32 v24, 24, v3
	;; [unrolled: 1-line block ×4, first 2 shown]
	s_add_u32 s3, s10, s24
	v_or3_b32 v74, v11, v25, s26
	v_xor_b32_e32 v11, 16, v3
	v_xor_b32_e32 v25, 32, v3
	;; [unrolled: 1-line block ×3, first 2 shown]
	v_add_u32_e32 v5, 0x80, v5
	v_add_u32_e32 v24, 0x80, v24
	;; [unrolled: 1-line block ×4, first 2 shown]
	s_addc_u32 s24, s11, s25
	s_lshl_b64 s[20:21], s[20:21], 2
	s_add_u32 s20, s3, s20
	s_movk_i32 s3, 0xf8
	s_addc_u32 s21, s24, s21
	s_lshl_b32 s30, s19, 7
	s_mov_b32 s63, 0
	v_add_u32_e32 v85, v58, v10
	v_mov_b32_e32 v96, 0x3fb8aa3b
	s_waitcnt vmcnt(1)
	v_perm_b32 v29, v12, v16, s61
	s_waitcnt vmcnt(0)
	v_perm_b32 v30, v6, v20, s61
	v_perm_b32 v12, v12, v16, s62
	;; [unrolled: 1-line block ×15, first 2 shown]
	ds_write2st64_b32 v3, v29, v30 offset1:32
	ds_write2st64_b32 v5, v12, v6 offset1:32
	ds_write2st64_b32 v11, v16, v20 offset0:1 offset1:33
	ds_write2st64_b32 v24, v13, v7 offset0:1 offset1:33
	;; [unrolled: 1-line block ×6, first 2 shown]
	v_or_b32_e32 v3, v58, v61
	v_lshlrev_b32_e32 v3, 3, v3
	v_lshrrev_b32_e32 v7, 5, v59
	v_and_or_b32 v7, v3, s3, v7
	v_lshlrev_b32_e32 v7, 4, v7
	v_lshlrev_b32_e32 v11, 11, v53
	v_and_b32_e32 v3, 0x78, v3
	v_or_b32_e32 v12, 32, v7
	v_and_b32_e32 v6, 0x1000, v11
	v_lshrrev_b32_e32 v9, 1, v59
	v_xor_b32_e32 v12, v12, v3
	v_and_b32_e32 v9, 8, v9
	v_or_b32_e32 v12, v12, v6
	v_xor_b32_e32 v8, v7, v3
	v_xor_b32_e32 v77, v12, v9
	v_or_b32_e32 v12, 64, v7
	v_or_b32_e32 v7, 0x60, v7
	;; [unrolled: 1-line block ×3, first 2 shown]
	v_xor_b32_e32 v12, v12, v3
	v_xor_b32_e32 v3, v7, v3
	;; [unrolled: 1-line block ×3, first 2 shown]
	v_and_b32_e32 v8, 0x78, v62
	v_or_b32_e32 v3, v3, v6
	v_lshl_or_b32 v8, v60, 7, v8
	v_xor_b32_e32 v79, v3, v9
	v_lshlrev_b32_e32 v13, 1, v2
	v_add_lshl_u32 v14, v2, s19, 1
	v_lshrrev_b32_e32 v2, 4, v0
	v_lshlrev_b32_e32 v3, 1, v61
	v_or_b32_e32 v76, 0x9000, v8
	v_or_b32_e32 v80, 0x9800, v8
	s_ashr_i32 s3, s2, 31
	v_or_b32_e32 v8, 1, v3
	v_xor_b32_e32 v3, v2, v3
	s_lshl_b64 s[24:25], s[2:3], 8
	v_xor_b32_e32 v8, v8, v2
	v_lshlrev_b32_e32 v3, 3, v3
	v_lshlrev_b32_e32 v2, 8, v2
	s_add_u32 s24, s42, s24
	v_or3_b32 v81, v3, v2, s26
	v_lshlrev_b32_e32 v3, 3, v8
	v_or_b32_e32 v12, v12, v6
	s_addc_u32 s25, s43, s25
	v_or3_b32 v82, v3, v2, s26
	v_mov_b32_e32 v3, 0
	v_lshrrev_b32_e32 v18, 1, v0
	v_xor_b32_e32 v78, v12, v9
	v_lshl_add_u64 v[8:9], s[24:25], 0, v[2:3]
	v_lshlrev_b32_e32 v2, 4, v61
	s_movk_i32 s3, 0xff
	v_lshlrev_b32_e32 v17, 3, v53
	v_and_b32_e32 v18, 24, v18
	v_lshl_add_u64 v[54:55], v[8:9], 0, v[2:3]
	v_and_b32_e32 v2, 7, v0
	v_and_b32_e32 v9, 8, v0
	v_cmp_lt_u32_e32 vcc, s3, v0
	v_xor_b32_e32 v19, v17, v18
	v_lshlrev_b32_e32 v12, 3, v2
	v_lshlrev_b32_e32 v16, 7, v2
	v_cndmask_b32_e64 v2, 0, 1, vcc
	v_or_b32_e32 v20, 0x440, v19
	v_cmp_eq_u32_e32 vcc, 0, v9
	v_or_b32_e32 v22, 64, v18
	v_xor_b32_e32 v22, v17, v22
	v_cndmask_b32_e32 v9, v20, v19, vcc
	v_or_b32_e32 v20, 32, v18
	v_or_b32_e32 v18, 0x60, v18
	v_xor_b32_e32 v20, v17, v20
	v_xor_b32_e32 v17, v17, v18
	v_or_b32_e32 v21, 0x440, v20
	v_xor_b32_e32 v23, 0x440, v22
	v_xor_b32_e32 v18, 0x440, v17
	v_cndmask_b32_e32 v20, v21, v20, vcc
	v_cndmask_b32_e32 v22, v23, v22, vcc
	;; [unrolled: 1-line block ×3, first 2 shown]
	v_lshrrev_b32_e32 v5, 2, v59
	v_or_b32_e32 v6, s2, v61
	v_or_b32_e32 v9, v9, v11
	;; [unrolled: 1-line block ×5, first 2 shown]
	v_and_b32_e32 v5, 12, v5
	v_ashrrev_i32_e32 v7, 31, v6
	v_lshlrev_b32_e32 v2, 13, v2
	v_xor_b32_e32 v9, v9, v12
	v_xor_b32_e32 v20, v20, v12
	;; [unrolled: 1-line block ×4, first 2 shown]
	v_lshl_add_u64 v[6:7], v[6:7], 1, s[8:9]
	v_or_b32_e32 v15, 0x100, v4
	v_or_b32_e32 v8, v5, v58
	v_add_u32_e32 v19, v2, v9
	v_add_u32_e32 v21, v2, v20
	;; [unrolled: 1-line block ×4, first 2 shown]
	v_or3_b32 v12, v58, v5, 64
	v_add_u32_e32 v5, 0x2000, v9
	v_add_u32_e32 v9, 0x2000, v20
	;; [unrolled: 1-line block ×4, first 2 shown]
	v_lshlrev_b32_e32 v2, 8, v1
	v_cndmask_b32_e64 v83, v13, v4, s[0:1]
	v_cndmask_b32_e64 v84, v14, v15, s[0:1]
	v_lshl_add_u64 v[56:57], v[6:7], 0, v[2:3]
	s_mov_b32 s3, 0x7060302
	s_movk_i32 s26, 0x4000
	v_lshlrev_b32_e32 v86, 2, v8
	v_add_u32_e32 v87, v19, v16
	v_add_u32_e32 v88, v21, v16
	;; [unrolled: 1-line block ×4, first 2 shown]
	v_lshlrev_b32_e32 v91, 2, v12
	v_add_u32_e32 v92, v5, v16
	v_add_u32_e32 v93, v9, v16
	;; [unrolled: 1-line block ×4, first 2 shown]
	v_mov_b32_e32 v2, v3
	v_mov_b32_e32 v4, v3
	;; [unrolled: 1-line block ×7, first 2 shown]
	s_waitcnt lgkmcnt(0)
	s_barrier
.LBB710_6:                              ; =>This Inner Loop Header: Depth=1
	s_add_i32 s41, s63, 1
	s_cmp_lt_i32 s41, s52
	s_mov_b64 s[28:29], 0
	s_cselect_b64 s[44:45], -1, 0
	s_cmp_ge_i32 s41, s52
	s_mov_b64 s[24:25], 0
	s_cbranch_scc1 .LBB710_8
; %bb.7:                                ;   in Loop: Header=BB710_6 Depth=1
	s_add_i32 s0, s57, 64
	s_ashr_i32 s1, s0, 31
	s_add_u32 s0, s55, s0
	s_addc_u32 s1, s54, s1
	s_lshl_b64 s[0:1], s[0:1], 8
	s_add_u32 s24, s6, s0
	s_addc_u32 s25, s7, s1
.LBB710_8:                              ;   in Loop: Header=BB710_6 Depth=1
	v_cndmask_b32_e64 v10, 0, 1, s[44:45]
	v_cmp_ne_u32_e64 s[0:1], 1, v10
	s_andn2_b64 vcc, exec, s[44:45]
	s_cbranch_vccnz .LBB710_10
; %bb.9:                                ;   in Loop: Header=BB710_6 Depth=1
	s_add_i32 s28, s57, 64
	s_mul_hi_i32 s29, s28, s18
	s_mul_i32 s28, s28, s18
	s_add_u32 s28, s28, s56
	s_addc_u32 s29, s29, s59
	s_lshl_b64 s[28:29], s[28:29], 8
	s_add_u32 s28, s4, s28
	s_addc_u32 s29, s5, s29
.LBB710_10:                             ;   in Loop: Header=BB710_6 Depth=1
	v_perm_b32 v11, v5, v4, s3
	v_perm_b32 v10, v3, v2, s3
	;; [unrolled: 1-line block ×4, first 2 shown]
	ds_write_b64 v71, v[10:11]
	ds_write_b64 v72, v[12:13]
	;; [unrolled: 1-line block ×4, first 2 shown]
	s_waitcnt lgkmcnt(0)
	s_barrier
	ds_read_b64 v[18:19], v75 offset:16384
	ds_read_b64 v[20:21], v77 offset:16384
	ds_read2st64_b64 v[10:13], v76 offset1:1
	s_waitcnt lgkmcnt(0)
	v_mfma_f32_16x16x16_bf16 a[0:3], v[18:19], v[10:11], 0
	ds_read2st64_b64 v[14:17], v76 offset0:2 offset1:3
	ds_read_b64 v[22:23], v78 offset:16384
	ds_read_b64 v[10:11], v79 offset:16384
	s_add_i32 s64, s57, 63
	v_mfma_f32_16x16x16_bf16 a[0:3], v[20:21], v[12:13], a[0:3]
	s_ashr_i32 s31, s64, 31
	s_mul_i32 s44, s64, s15
	s_mul_hi_u32 s45, s64, s14
	s_waitcnt lgkmcnt(1)
	v_mfma_f32_16x16x16_bf16 a[0:3], v[22:23], v[14:15], a[0:3]
	s_add_i32 s44, s45, s44
	s_mul_i32 s31, s31, s14
	s_add_i32 s45, s44, s31
	s_mul_i32 s44, s64, s14
	s_waitcnt lgkmcnt(0)
	v_mfma_f32_16x16x16_bf16 a[0:3], v[10:11], v[16:17], a[0:3]
	s_lshl_b64 s[44:45], s[44:45], 2
	s_add_u32 s44, s20, s44
	s_addc_u32 s45, s21, s45
	s_and_b64 vcc, exec, s[0:1]
	v_mov_b32_e32 v99, 0
	v_mov_b32_e32 v98, 0
	;; [unrolled: 1-line block ×19, first 2 shown]
	s_cbranch_vccnz .LBB710_12
; %bb.11:                               ;   in Loop: Header=BB710_6 Depth=1
	s_and_b32 s25, s25, 0xffff
	buffer_load_dwordx4 v[22:25], v67, s[24:27], 0 offen
	buffer_load_dwordx4 v[18:21], v67, s[24:27], s60 offen
	;; [unrolled: 1-line block ×4, first 2 shown]
	v_mov_b32_e32 v98, v69
	v_mov_b32_e32 v97, v70
.LBB710_12:                             ;   in Loop: Header=BB710_6 Depth=1
	v_add_u32_e32 v30, s57, v85
	v_ashrrev_i32_e32 v26, 31, v30
	v_mul_lo_u32 v28, v26, s14
	v_mul_lo_u32 v29, v30, s15
	v_mad_u64_u32 v[26:27], s[24:25], v30, s14, 0
	v_add3_u32 v27, v27, v29, v28
	v_lshl_add_u64 v[26:27], v[26:27], 2, s[20:21]
	global_load_dword v46, v[26:27], off
	v_add_u32_e32 v26, 1, v30
	v_ashrrev_i32_e32 v27, 31, v26
	v_mul_lo_u32 v28, v27, s14
	v_mul_lo_u32 v29, v26, s15
	v_mad_u64_u32 v[26:27], s[24:25], v26, s14, 0
	v_add3_u32 v27, v27, v29, v28
	v_add_u32_e32 v28, 2, v30
	v_ashrrev_i32_e32 v29, 31, v28
	v_mul_lo_u32 v31, v29, s14
	v_mul_lo_u32 v32, v28, s15
	v_mad_u64_u32 v[28:29], s[24:25], v28, s14, 0
	v_add_u32_e32 v30, 3, v30
	v_add3_u32 v29, v29, v32, v31
	v_ashrrev_i32_e32 v31, 31, v30
	v_mul_lo_u32 v34, v31, s14
	v_mul_lo_u32 v35, v30, s15
	v_mad_u64_u32 v[30:31], s[24:25], v30, s14, 0
	s_ashr_i32 s25, s57, 31
	s_add_u32 s24, s55, s57
	s_addc_u32 s25, s54, s25
	s_lshl_b64 s[24:25], s[24:25], 8
	v_lshl_add_u64 v[26:27], v[26:27], 2, s[20:21]
	v_lshl_add_u64 v[32:33], v[56:57], 0, s[24:25]
	v_add3_u32 v31, v31, v35, v34
	v_lshl_add_u64 v[28:29], v[28:29], 2, s[20:21]
	global_load_ushort v47, v[32:33], off
	global_load_ushort v48, v[32:33], off offset:256
	global_load_ushort v49, v[32:33], off offset:512
	;; [unrolled: 1-line block ×3, first 2 shown]
	v_lshl_add_u64 v[30:31], v[30:31], 2, s[20:21]
	global_load_dword v51, v[26:27], off
	global_load_dword v52, v[28:29], off
	;; [unrolled: 1-line block ×3, first 2 shown]
	s_load_dword s24, s[44:45], 0x0
	ds_read_b64 v[34:35], v75 offset:24576
	ds_read2st64_b64 v[30:33], v80 offset1:1
	ds_read2st64_b64 v[36:39], v80 offset0:2 offset1:3
	ds_read_b64 v[40:41], v77 offset:24576
	ds_read_b64 v[42:43], v78 offset:24576
	;; [unrolled: 1-line block ×3, first 2 shown]
	s_waitcnt lgkmcnt(0)
	v_mfma_f32_16x16x16_bf16 a[0:3], v[34:35], v[30:31], a[0:3]
	v_mov_b32_e32 v100, 0
	v_mov_b32_e32 v26, 0
	v_mov_b32_e32 v27, 0
	v_mfma_f32_16x16x16_bf16 a[0:3], v[40:41], v[32:33], a[0:3]
	v_mov_b32_e32 v28, 0
	v_mov_b32_e32 v29, 0
	v_mov_b32_e32 v30, 0
	;; [unrolled: 4-line block ×4, first 2 shown]
	s_and_b64 vcc, exec, s[0:1]
	s_waitcnt vmcnt(7)
	v_sub_f32_e32 v37, s24, v46
	v_mul_f32_e32 v37, 0x3fb8aa3b, v37
	v_exp_f32_e32 v46, v37
	v_accvgpr_read_b32 v41, a1
	v_accvgpr_read_b32 v39, a3
	;; [unrolled: 1-line block ×4, first 2 shown]
	s_waitcnt vmcnt(6)
	v_lshlrev_b32_e32 v42, 16, v47
	s_waitcnt vmcnt(5)
	v_lshlrev_b32_e32 v43, 16, v48
	;; [unrolled: 2-line block ×3, first 2 shown]
	s_waitcnt vmcnt(2)
	v_sub_f32_e32 v47, s24, v51
	s_waitcnt vmcnt(1)
	v_sub_f32_e32 v48, s24, v52
	;; [unrolled: 2-line block ×3, first 2 shown]
	v_mul_f32_e32 v37, 0x3fb8aa3b, v47
	v_mul_f32_e32 v48, 0x3fb8aa3b, v48
	;; [unrolled: 1-line block ×3, first 2 shown]
	v_exp_f32_e32 v47, v37
	v_exp_f32_e32 v48, v48
	;; [unrolled: 1-line block ×3, first 2 shown]
	v_lshlrev_b32_e32 v45, 16, v50
	v_pk_add_f32 v[40:41], v[42:43], v[40:41] neg_lo:[0,1] neg_hi:[0,1]
	v_pk_add_f32 v[38:39], v[44:45], v[38:39] neg_lo:[0,1] neg_hi:[0,1]
	v_pk_mul_f32 v[40:41], v[46:47], v[40:41]
	v_pk_mul_f32 v[38:39], v[48:49], v[38:39]
	v_mov_b32_e32 v37, 0
	v_perm_b32 v39, v39, v38, s3
	v_perm_b32 v38, v41, v40, s3
	ds_write_b64 v72, v[38:39]
	v_mov_b32_e32 v38, 0
	v_mov_b32_e32 v39, 0
	;; [unrolled: 1-line block ×4, first 2 shown]
	s_cbranch_vccnz .LBB710_14
; %bb.13:                               ;   in Loop: Header=BB710_6 Depth=1
	s_and_b32 s29, s29, 0xffff
	s_mov_b32 s31, s27
	buffer_load_dwordx4 v[38:41], v83, s[28:31], 0 offen
	buffer_load_dwordx4 v[30:33], v83, s[28:31], s60 offen
	;; [unrolled: 1-line block ×4, first 2 shown]
	v_mov_b32_e32 v99, v66
	v_mov_b32_e32 v100, v65
.LBB710_14:                             ;   in Loop: Header=BB710_6 Depth=1
	s_waitcnt lgkmcnt(0)
	s_barrier
	ds_read_b64 v[42:43], v87
	ds_read_b64 v[48:49], v88
	ds_read2st64_b64 v[44:47], v80 offset1:1
	ds_read2st64_b64 v[102:105], v80 offset0:2 offset1:3
	ds_read_b64 v[50:51], v89
	ds_read_b64 v[110:111], v90
	s_add_i32 s25, s53, s63
	s_mul_hi_i32 s29, s25, s47
	s_mul_i32 s25, s25, s47
	s_waitcnt lgkmcnt(3)
	v_mfma_f32_16x16x16_bf16 a[0:3], v[42:43], v[44:45], 0
	ds_read_b64 v[42:43], v92
	s_add_u32 s28, s25, s46
	s_addc_u32 s29, s29, s58
	v_mfma_f32_16x16x16_bf16 a[0:3], v[48:49], v[46:47], a[0:3]
	ds_read_b64 v[48:49], v93
	s_lshl_b64 s[28:29], s[28:29], 15
	s_mul_i32 s31, s64, s47
	s_mul_hi_i32 s25, s64, s47
	s_add_u32 s44, s31, s46
	s_addc_u32 s45, s25, s58
	s_lshl_b64 s[44:45], s[44:45], 9
	s_add_u32 s44, s36, s44
	s_waitcnt lgkmcnt(1)
	v_mfma_f32_16x16x16_bf16 a[4:7], v[42:43], v[44:45], 0
	s_addc_u32 s45, s37, s45
	s_and_b64 vcc, exec, s[0:1]
	v_mfma_f32_16x16x16_bf16 a[0:3], v[50:51], v[102:103], a[0:3]
	ds_read_b64 v[50:51], v94
	ds_read_b64 v[112:113], v95
	global_load_dwordx4 v[42:45], v91, s[44:45]
	s_waitcnt lgkmcnt(2)
	v_mfma_f32_16x16x16_bf16 a[4:7], v[48:49], v[46:47], a[4:7]
	global_load_dwordx4 v[46:49], v86, s[44:45]
	ds_read_b64 v[106:107], v81
	ds_read_b64 v[108:109], v82
	s_waitcnt lgkmcnt(3)
	v_mfma_f32_16x16x16_bf16 a[8:11], v[50:51], v[102:103], a[4:7]
	v_lshl_add_u64 v[50:51], v[54:55], 0, s[28:29]
	s_waitcnt lgkmcnt(0)
	global_store_dwordx4 v[50:51], v[106:109], off
	v_mfma_f32_16x16x16_bf16 a[4:7], v[110:111], v[104:105], a[0:3]
	s_waitcnt vmcnt(2)
	v_mov_b32_e32 v52, v45
	v_mfma_f32_16x16x16_bf16 a[0:3], v[112:113], v[104:105], a[8:11]
	v_mov_b32_e32 v51, v44
	v_mov_b32_e32 v50, v43
	s_cbranch_vccnz .LBB710_16
; %bb.15:                               ;   in Loop: Header=BB710_6 Depth=1
	v_lshrrev_b32_e32 v43, 3, v99
	v_and_b32_e32 v43, 6, v43
	v_xor_b32_e32 v44, v43, v100
	v_lshlrev_b32_e32 v44, 2, v44
	v_and_b32_e32 v45, 8, v99
	v_xor_b32_e32 v99, 0x440, v44
	v_cmp_eq_u32_e32 vcc, 0, v45
	v_perm_b32 v45, v30, v26, s61
	s_nop 0
	v_cndmask_b32_e32 v44, v99, v44, vcc
	v_lshl_or_b32 v43, v43, 10, v44
	v_perm_b32 v44, v38, v34, s61
	s_barrier
	ds_write2st64_b32 v43, v44, v45 offset1:32
	v_xor_b32_e32 v44, 8, v43
	v_perm_b32 v34, v38, v34, s62
	v_perm_b32 v26, v30, v26, s62
	v_add_u32_e32 v30, 0x80, v44
	ds_write2st64_b32 v30, v34, v26 offset1:32
	v_xor_b32_e32 v26, 16, v43
	v_perm_b32 v30, v39, v35, s61
	v_perm_b32 v34, v31, v27, s61
	ds_write2st64_b32 v26, v30, v34 offset0:1 offset1:33
	v_xor_b32_e32 v26, 24, v43
	v_perm_b32 v30, v39, v35, s62
	v_perm_b32 v27, v31, v27, s62
	v_add_u32_e32 v26, 0x80, v26
	ds_write2st64_b32 v26, v30, v27 offset0:1 offset1:33
	v_xor_b32_e32 v26, 32, v43
	v_perm_b32 v27, v40, v36, s61
	v_perm_b32 v30, v32, v28, s61
	ds_write2st64_b32 v26, v27, v30 offset0:2 offset1:34
	v_xor_b32_e32 v26, 40, v43
	v_perm_b32 v27, v40, v36, s62
	v_perm_b32 v28, v32, v28, s62
	v_add_u32_e32 v26, 0x80, v26
	ds_write2st64_b32 v26, v27, v28 offset0:2 offset1:34
	;; [unrolled: 9-line block ×3, first 2 shown]
	ds_write_b64 v98, v[22:23] offset:16384
	v_xor_b32_e32 v22, 8, v98
	ds_write_b64 v22, v[24:25] offset:16384
	ds_write_b64 v98, v[18:19] offset:24576
	;; [unrolled: 1-line block ×4, first 2 shown]
	v_xor_b32_e32 v14, 8, v97
	ds_write_b64 v14, v[16:17] offset:16384
	ds_write_b64 v97, v[10:11] offset:24576
	;; [unrolled: 1-line block ×3, first 2 shown]
.LBB710_16:                             ;   in Loop: Header=BB710_6 Depth=1
	v_mul_f32_e32 v14, s24, v96
	v_exp_f32_e32 v18, v14
	s_waitcnt vmcnt(1)
	v_mul_f32_e32 v14, 0x3fb8aa3b, v46
	v_exp_f32_e32 v20, v14
	v_mul_f32_e32 v14, 0x3fb8aa3b, v47
	v_exp_f32_e32 v21, v14
	v_mul_f32_e32 v14, 0x3fb8aa3b, v48
	v_exp_f32_e32 v22, v14
	v_mul_f32_e32 v14, 0x3fb8aa3b, v49
	v_exp_f32_e32 v23, v14
	v_accvgpr_read_b32 v13, a7
	v_accvgpr_read_b32 v11, a5
	;; [unrolled: 1-line block ×3, first 2 shown]
	v_pk_mul_f32 v[20:21], v[18:19], v[20:21] op_sel_hi:[0,1]
	v_pk_fma_f32 v[2:3], v[2:3], v[20:21], v[10:11]
	v_pk_mul_f32 v[10:11], v[18:19], v[22:23] op_sel_hi:[0,1]
	v_mul_f32_e32 v19, 0x3fb8aa3b, v42
	v_exp_f32_e32 v20, v19
	v_mul_f32_e32 v19, 0x3fb8aa3b, v50
	v_exp_f32_e32 v21, v19
	v_mul_f32_e32 v19, 0x3fb8aa3b, v51
	v_exp_f32_e32 v22, v19
	v_mul_f32_e32 v19, 0x3fb8aa3b, v52
	v_exp_f32_e32 v23, v19
	v_accvgpr_read_b32 v12, a6
	v_accvgpr_read_b32 v17, a3
	;; [unrolled: 1-line block ×4, first 2 shown]
	v_pk_fma_f32 v[4:5], v[4:5], v[10:11], v[12:13]
	v_pk_mul_f32 v[10:11], v[18:19], v[20:21] op_sel_hi:[0,1]
	v_accvgpr_read_b32 v16, a2
	v_pk_fma_f32 v[6:7], v[6:7], v[10:11], v[14:15]
	v_pk_mul_f32 v[10:11], v[18:19], v[22:23] op_sel_hi:[0,1]
	s_add_i32 s57, s57, 64
	s_cmp_eq_u32 s52, s41
	v_pk_fma_f32 v[8:9], v[8:9], v[10:11], v[16:17]
	s_cbranch_scc1 .LBB710_18
; %bb.17:                               ;   in Loop: Header=BB710_6 Depth=1
	s_mov_b32 s63, s41
	s_branch .LBB710_6
.LBB710_18:
	s_lshl_b32 s3, s52, 6
	s_sub_i32 s51, s51, s3
	s_cmp_gt_i32 s51, 0
	v_or_b32_e32 v34, s2, v61
	s_cbranch_scc1 .LBB710_20
; %bb.19:
	s_ashr_i32 s21, s46, 31
	v_or_b32_e32 v10, s2, v61
	s_cbranch_execz .LBB710_21
	s_branch .LBB710_77
.LBB710_20:
                                        ; implicit-def: $vgpr10
                                        ; implicit-def: $sgpr20_sgpr21
.LBB710_21:
	s_add_i32 s20, s3, s38
	s_ashr_i32 s3, s20, 31
	s_cmpk_lg_i32 s19, 0x80
	s_cselect_b64 s[30:31], -1, 0
	s_and_b64 vcc, exec, s[30:31]
	s_cbranch_vccz .LBB710_23
; %bb.22:
	s_mul_hi_i32 s0, s20, s18
	s_mul_i32 s1, s20, s18
	s_ashr_i32 s18, s56, 31
	s_add_u32 s44, s1, s56
	s_addc_u32 s45, s0, s18
	s_cbranch_execz .LBB710_24
	s_branch .LBB710_25
.LBB710_23:
                                        ; implicit-def: $sgpr44_sgpr45
.LBB710_24:
	s_mul_i32 s1, s56, s16
	s_mul_hi_i32 s0, s56, s16
	s_add_u32 s44, s1, s20
	s_addc_u32 s45, s0, s3
.LBB710_25:
	s_add_i32 s16, s52, s53
	s_ashr_i32 s21, s46, 31
	s_add_u32 s0, s55, s20
	s_addc_u32 s1, s54, s3
	s_mov_b32 s3, 0x7060302
	v_lshlrev_b32_e32 v14, 3, v61
	s_lshl_b64 s[28:29], s[0:1], 8
	v_perm_b32 v11, v5, v4, s3
	v_perm_b32 v10, v3, v2, s3
	;; [unrolled: 1-line block ×4, first 2 shown]
	v_lshlrev_b32_e32 v44, 2, v61
	v_lshl_or_b32 v14, v1, 5, v14
	s_add_u32 s0, s6, s28
	ds_write2st64_b64 v14, v[10:11], v[12:13] offset0:72 offset1:76
	v_xor_b32_e32 v14, v1, v44
	v_lshlrev_b32_e32 v15, 8, v61
	s_addc_u32 s1, s7, s29
	v_lshl_or_b32 v14, v14, 1, v15
	s_mul_hi_i32 s3, s16, s17
	s_mul_i32 s16, s16, s17
	ds_write_b64 v14, v[10:11] offset:32768
	v_xor_b32_e32 v10, v64, v44
	s_add_u32 s6, s16, s46
	v_lshl_or_b32 v10, v10, 1, v15
	s_addc_u32 s7, s3, s21
	v_lshlrev_b32_e32 v11, 1, v61
	ds_write_b64 v10, v[12:13] offset:32768
	v_lshrrev_b32_e32 v10, 4, v0
	s_ashr_i32 s3, s2, 31
	s_lshl_b64 s[6:7], s[6:7], 15
	v_or_b32_e32 v12, 1, v11
	s_add_u32 s6, s42, s6
	v_xor_b32_e32 v11, v10, v11
	v_xor_b32_e32 v12, v12, v10
	v_lshlrev_b32_e32 v14, 8, v10
	s_addc_u32 s7, s43, s7
	s_lshl_b64 s[2:3], s[2:3], 8
	v_lshl_or_b32 v10, v11, 3, v14
	v_lshl_or_b32 v12, v12, 3, v14
	s_waitcnt lgkmcnt(0)
	s_barrier
	s_add_u32 s2, s6, s2
	ds_read_b64 v[10:11], v10 offset:32768
	ds_read_b64 v[12:13], v12 offset:32768
	s_addc_u32 s3, s7, s3
	v_mov_b32_e32 v15, 0
	s_cmp_lg_u32 s51, 64
	v_lshl_add_u64 v[16:17], s[2:3], 0, v[14:15]
	v_lshlrev_b32_e32 v14, 4, v61
	s_cselect_b64 s[6:7], -1, 0
	v_lshl_or_b32 v35, v53, 3, v63
	s_mov_b32 s24, 0
	v_lshl_add_u64 v[14:15], v[16:17], 0, v[14:15]
	v_or_b32_e32 v27, 32, v35
	v_and_b32_e32 v26, 56, v62
	s_and_b64 vcc, exec, s[6:7]
	s_waitcnt lgkmcnt(0)
	global_store_dwordx4 v[14:15], v[10:13], off
	s_cbranch_vccz .LBB710_31
; %bb.26:
	s_mov_b32 s25, s24
	s_mov_b32 s26, s24
	;; [unrolled: 1-line block ×3, first 2 shown]
	v_mov_b64_e32 v[14:15], s[24:25]
	v_mov_b64_e32 v[16:17], s[26:27]
	;; [unrolled: 1-line block ×3, first 2 shown]
	v_cmp_gt_i32_e32 vcc, s51, v35
	v_mov_b64_e32 v[12:13], v[16:17]
	s_and_saveexec_b64 s[2:3], vcc
	s_cbranch_execz .LBB710_28
; %bb.27:
	v_lshlrev_b32_e32 v10, 8, v35
	v_mov_b32_e32 v11, 0
	v_lshl_add_u64 v[12:13], s[0:1], 0, v[10:11]
	v_lshlrev_b32_e32 v10, 1, v26
	v_lshl_add_u64 v[18:19], v[12:13], 0, v[10:11]
	global_load_dwordx4 v[14:17], v[18:19], off
	global_load_dwordx4 v[10:13], v[18:19], off offset:128
.LBB710_28:
	s_or_b64 exec, exec, s[2:3]
	s_mov_b32 s25, s24
	s_mov_b32 s26, s24
	;; [unrolled: 1-line block ×3, first 2 shown]
	v_mov_b64_e32 v[22:23], s[24:25]
	v_mov_b64_e32 v[24:25], s[26:27]
	;; [unrolled: 1-line block ×3, first 2 shown]
	v_cmp_gt_i32_e32 vcc, s51, v27
	v_lshlrev_b32_e32 v28, 7, v27
	v_mov_b64_e32 v[20:21], v[24:25]
	s_and_saveexec_b64 s[2:3], vcc
	s_cbranch_execz .LBB710_30
; %bb.29:
	v_lshlrev_b32_e32 v18, 1, v28
	v_mov_b32_e32 v19, 0
	v_lshl_add_u64 v[20:21], s[0:1], 0, v[18:19]
	v_lshlrev_b32_e32 v18, 1, v26
	v_lshl_add_u64 v[30:31], v[20:21], 0, v[18:19]
	global_load_dwordx4 v[22:25], v[30:31], off
	global_load_dwordx4 v[18:21], v[30:31], off offset:128
.LBB710_30:
	s_or_b64 exec, exec, s[2:3]
	v_lshrrev_b32_e32 v29, 3, v26
	v_lshlrev_b32_e32 v30, 3, v35
	v_or_b32_e32 v29, v30, v29
	v_lshlrev_b32_e32 v29, 4, v29
	v_and_b32_e32 v30, 0x78, v30
	v_xor_b32_e32 v29, v29, v30
	s_branch .LBB710_33
.LBB710_31:
                                        ; implicit-def: $vgpr29
                                        ; implicit-def: $vgpr28
                                        ; implicit-def: $vgpr14_vgpr15_vgpr16_vgpr17
                                        ; implicit-def: $vgpr10_vgpr11_vgpr12_vgpr13
                                        ; implicit-def: $vgpr22_vgpr23_vgpr24_vgpr25
                                        ; implicit-def: $vgpr18_vgpr19_vgpr20_vgpr21
	s_cbranch_execz .LBB710_33
; %bb.32:
	s_waitcnt vmcnt(0)
	v_lshlrev_b32_e32 v10, 1, v26
	v_lshl_or_b32 v28, v35, 8, v10
	s_and_b32 s1, s1, 0xffff
	s_mov_b32 s3, 0x20000
	s_movk_i32 s2, 0x4000
	v_lshl_or_b32 v29, v27, 8, v10
	s_movk_i32 s16, 0x80
	buffer_load_dwordx4 v[14:17], v28, s[0:3], 0 offen
	buffer_load_dwordx4 v[10:13], v28, s[0:3], s16 offen
	;; [unrolled: 1-line block ×4, first 2 shown]
	v_lshrrev_b32_e32 v28, 3, v26
	v_lshlrev_b32_e32 v29, 3, v35
	v_or_b32_e32 v28, v29, v28
	v_lshlrev_b32_e32 v28, 4, v28
	v_and_b32_e32 v29, 0x78, v29
	v_xor_b32_e32 v29, v28, v29
	v_lshlrev_b32_e32 v28, 7, v27
.LBB710_33:
	s_lshl_b64 s[0:1], s[44:45], 8
	s_add_u32 s4, s4, s0
	s_movk_i32 s0, 0x1000
	v_and_or_b32 v27, v28, s0, v29
	s_waitcnt vmcnt(1)
	ds_write_b64 v29, v[14:15] offset:16384
	v_xor_b32_e32 v14, 8, v29
	s_addc_u32 s5, s5, s1
	ds_write_b64 v14, v[16:17] offset:16384
	s_waitcnt vmcnt(0)
	ds_write_b64 v29, v[10:11] offset:24576
	ds_write_b64 v14, v[12:13] offset:24576
	;; [unrolled: 1-line block ×3, first 2 shown]
	v_xor_b32_e32 v10, 8, v27
	s_add_i32 s18, s39, -1
	ds_write_b64 v10, v[24:25] offset:16384
	ds_write_b64 v27, v[18:19] offset:24576
	;; [unrolled: 1-line block ×3, first 2 shown]
	s_mul_i32 s3, s18, s15
	s_mul_hi_u32 s16, s18, s14
	v_or_b32_e32 v10, v58, v61
	s_add_i32 s3, s16, s3
	v_lshlrev_b32_e32 v10, 3, v10
	v_lshrrev_b32_e32 v12, 5, v59
	s_movk_i32 s16, 0xf8
	v_and_or_b32 v12, v10, s16, v12
	v_lshlrev_b32_e32 v45, 11, v53
	v_lshlrev_b32_e32 v20, 4, v12
	v_and_b32_e32 v21, 0x78, v10
	v_and_b32_e32 v22, 0x1000, v45
	v_lshlrev_b32_e32 v11, 2, v0
	v_xor_b32_e32 v10, v20, v21
	v_lshrrev_b32_e32 v12, 1, v59
	v_and_b32_e32 v11, 60, v11
	v_or_b32_e32 v10, v10, v22
	v_and_b32_e32 v23, 8, v12
	v_xor_b32_e32 v36, v10, v23
	v_lshl_or_b32 v10, v60, 6, v11
	v_lshlrev_b32_e32 v46, 1, v10
	v_or_b32_e32 v10, 32, v20
	v_xor_b32_e32 v10, v10, v21
	s_waitcnt lgkmcnt(0)
	s_barrier
	ds_read_b64 v[18:19], v36 offset:16384
	v_or_b32_e32 v10, v10, v22
	v_xor_b32_e32 v37, v10, v23
	v_or_b32_e32 v10, 64, v20
	v_xor_b32_e32 v10, v10, v21
	v_or_b32_e32 v10, v10, v22
	v_or_b32_e32 v20, 0x60, v20
	v_xor_b32_e32 v38, v10, v23
	ds_read2st64_b64 v[10:13], v46 offset0:72 offset1:73
	ds_read2st64_b64 v[14:17], v46 offset0:74 offset1:75
	v_xor_b32_e32 v24, v20, v21
	ds_read_b64 v[20:21], v37 offset:16384
	s_waitcnt lgkmcnt(2)
	v_mfma_f32_16x16x16_bf16 a[0:3], v[18:19], v[10:11], 0
	s_add_i32 s0, s49, s48
	s_add_i32 s41, s0, s50
	s_mul_i32 s0, s46, s23
	s_mul_hi_u32 s1, s46, s22
	s_ashr_i32 s2, s18, 31
	s_add_i32 s0, s1, s0
	s_mul_i32 s1, s21, s22
	s_mul_i32 s2, s2, s14
	v_or_b32_e32 v22, v24, v22
	s_add_i32 s1, s0, s1
	s_mul_i32 s0, s46, s22
	s_add_i32 s3, s3, s2
	s_lshl_b64 s[22:23], s[40:41], 2
	v_xor_b32_e32 v47, v22, v23
	ds_read_b64 v[22:23], v38 offset:16384
	ds_read_b64 v[24:25], v47 offset:16384
	s_waitcnt lgkmcnt(2)
	v_mfma_f32_16x16x16_bf16 a[0:3], v[20:21], v[12:13], a[0:3]
	s_add_u32 s10, s10, s22
	s_addc_u32 s11, s11, s23
	s_lshl_b64 s[0:1], s[0:1], 2
	s_mul_i32 s2, s18, s14
	s_add_u32 s10, s10, s0
	s_addc_u32 s11, s11, s1
	s_lshl_b64 s[0:1], s[2:3], 2
	s_waitcnt lgkmcnt(1)
	v_mfma_f32_16x16x16_bf16 a[0:3], v[22:23], v[14:15], a[0:3]
	s_add_u32 s0, s10, s0
	s_addc_u32 s1, s11, s1
	s_load_dword s16, s[0:1], 0x0
	s_waitcnt lgkmcnt(0)
	v_mfma_f32_16x16x16_bf16 a[0:3], v[24:25], v[16:17], a[0:3]
	s_and_b64 vcc, exec, s[30:31]
	s_cbranch_vccz .LBB710_44
; %bb.34:
	v_lshlrev_b32_e32 v27, 1, v35
	s_and_b64 vcc, exec, s[6:7]
	s_cbranch_vccz .LBB710_45
; %bb.35:
	v_cmp_gt_i32_e32 vcc, s51, v27
	v_mov_b32_e32 v14, 0
	v_mov_b32_e32 v10, 0
	;; [unrolled: 1-line block ×5, first 2 shown]
	s_and_saveexec_b64 s[0:1], vcc
	s_cbranch_execz .LBB710_37
; %bb.36:
	v_mad_i64_i32 v[10:11], s[2:3], s19, v27, 0
	v_lshl_add_u64 v[10:11], v[10:11], 1, s[4:5]
	v_lshlrev_b32_e32 v12, 1, v26
	v_mov_b32_e32 v13, 0
	v_lshl_add_u64 v[10:11], v[10:11], 0, v[12:13]
	global_load_dwordx4 v[10:13], v[10:11], off
.LBB710_37:
	s_or_b64 exec, exec, s[0:1]
	v_or_b32_e32 v28, 1, v27
	v_cmp_gt_i32_e64 s[0:1], s51, v28
	v_mov_b32_e32 v15, 0
	v_mov_b32_e32 v16, 0
	;; [unrolled: 1-line block ×3, first 2 shown]
	s_and_saveexec_b64 s[2:3], s[0:1]
	s_cbranch_execz .LBB710_39
; %bb.38:
	v_mad_i64_i32 v[14:15], s[22:23], s19, v28, 0
	v_lshl_add_u64 v[14:15], v[14:15], 1, s[4:5]
	v_lshlrev_b32_e32 v16, 1, v26
	v_mov_b32_e32 v17, 0
	v_lshl_add_u64 v[14:15], v[14:15], 0, v[16:17]
	global_load_dwordx4 v[14:17], v[14:15], off
.LBB710_39:
	s_or_b64 exec, exec, s[2:3]
	v_mov_b32_e32 v25, 0
	v_mov_b32_e32 v18, 0
	;; [unrolled: 1-line block ×5, first 2 shown]
	s_and_saveexec_b64 s[2:3], vcc
	s_cbranch_execz .LBB710_41
; %bb.40:
	v_mad_i64_i32 v[18:19], s[22:23], s19, v27, 0
	v_lshl_add_u64 v[18:19], v[18:19], 1, s[4:5]
	v_lshlrev_b32_e32 v20, 1, v26
	v_mov_b32_e32 v21, 0
	v_lshl_add_u64 v[18:19], v[18:19], 0, v[20:21]
	global_load_dwordx4 v[18:21], v[18:19], off offset:128
.LBB710_41:
	s_or_b64 exec, exec, s[2:3]
	v_mov_b32_e32 v24, 0
	v_mov_b32_e32 v23, 0
	;; [unrolled: 1-line block ×3, first 2 shown]
	s_and_saveexec_b64 s[2:3], s[0:1]
	s_cbranch_execz .LBB710_43
; %bb.42:
	v_mad_i64_i32 v[22:23], s[0:1], s19, v28, 0
	v_lshl_add_u64 v[22:23], v[22:23], 1, s[4:5]
	v_lshlrev_b32_e32 v24, 1, v26
	v_mov_b32_e32 v25, 0
	v_lshl_add_u64 v[22:23], v[22:23], 0, v[24:25]
	global_load_dwordx4 v[22:25], v[22:23], off offset:128
.LBB710_43:
	s_or_b64 exec, exec, s[2:3]
	s_branch .LBB710_47
.LBB710_44:
                                        ; implicit-def: $vgpr13
                                        ; implicit-def: $vgpr17
                                        ; implicit-def: $vgpr21
                                        ; implicit-def: $vgpr25
	v_lshrrev_b32_e32 v27, 2, v59
	s_branch .LBB710_48
.LBB710_45:
                                        ; implicit-def: $vgpr13
                                        ; implicit-def: $vgpr17
                                        ; implicit-def: $vgpr21
                                        ; implicit-def: $vgpr25
	s_cbranch_execz .LBB710_47
; %bb.46:
	s_waitcnt vmcnt(0)
	v_mad_u64_u32 v[10:11], s[0:1], v27, s19, v[26:27]
	v_lshlrev_b32_e32 v27, 1, v10
	s_lshl_b32 s2, s19, 7
	s_and_b32 s1, s5, 0xffff
	s_mov_b32 s3, 0x20000
	s_mov_b32 s0, s4
	v_add_lshl_u32 v28, v10, s19, 1
	s_movk_i32 s19, 0x80
	buffer_load_dwordx4 v[10:13], v27, s[0:3], 0 offen
	buffer_load_dwordx4 v[18:21], v27, s[0:3], s19 offen
	;; [unrolled: 1-line block ×4, first 2 shown]
.LBB710_47:
	v_lshrrev_b32_e32 v27, 2, v59
	s_cbranch_execnz .LBB710_60
.LBB710_48:
	s_and_b64 vcc, exec, s[6:7]
	s_cbranch_vccz .LBB710_58
; %bb.49:
	s_waitcnt vmcnt(0)
	v_lshlrev_b32_e32 v15, 1, v35
	v_cmp_gt_i32_e32 vcc, s51, v15
	v_mov_b32_e32 v14, 0
	v_lshlrev_b32_e32 v22, 9, v35
	v_mov_b32_e32 v10, 0
	v_mov_b32_e32 v11, 0
	;; [unrolled: 1-line block ×4, first 2 shown]
	s_and_saveexec_b64 s[0:1], vcc
	s_cbranch_execz .LBB710_51
; %bb.50:
	v_mov_b32_e32 v23, 0
	v_lshl_add_u64 v[10:11], s[4:5], 0, v[22:23]
	v_lshlrev_b32_e32 v12, 1, v26
	v_mov_b32_e32 v13, v23
	v_lshl_add_u64 v[10:11], v[10:11], 0, v[12:13]
	global_load_dwordx4 v[10:13], v[10:11], off
.LBB710_51:
	s_or_b64 exec, exec, s[0:1]
	v_or_b32_e32 v15, 1, v15
	v_cmp_gt_i32_e64 s[0:1], s51, v15
	v_lshlrev_b32_e32 v28, 8, v15
	v_mov_b32_e32 v15, 0
	v_mov_b32_e32 v16, 0
	;; [unrolled: 1-line block ×3, first 2 shown]
	s_and_saveexec_b64 s[2:3], s[0:1]
	s_cbranch_execz .LBB710_53
; %bb.52:
	v_mov_b32_e32 v29, 0
	v_lshl_add_u64 v[14:15], s[4:5], 0, v[28:29]
	v_lshlrev_b32_e32 v16, 1, v26
	v_mov_b32_e32 v17, v29
	v_lshl_add_u64 v[14:15], v[14:15], 0, v[16:17]
	global_load_dwordx4 v[14:17], v[14:15], off
.LBB710_53:
	s_or_b64 exec, exec, s[2:3]
	v_mov_b32_e32 v25, 0
	v_mov_b32_e32 v18, 0
	;; [unrolled: 1-line block ×5, first 2 shown]
	s_and_saveexec_b64 s[2:3], vcc
	s_cbranch_execz .LBB710_55
; %bb.54:
	v_mov_b32_e32 v23, 0
	v_lshl_add_u64 v[18:19], s[4:5], 0, v[22:23]
	v_lshlrev_b32_e32 v22, 1, v26
	v_lshl_add_u64 v[18:19], v[18:19], 0, v[22:23]
	global_load_dwordx4 v[18:21], v[18:19], off offset:128
.LBB710_55:
	s_or_b64 exec, exec, s[2:3]
	v_mov_b32_e32 v24, 0
	v_mov_b32_e32 v23, 0
	;; [unrolled: 1-line block ×3, first 2 shown]
	s_and_saveexec_b64 s[2:3], s[0:1]
	s_cbranch_execz .LBB710_57
; %bb.56:
	v_mov_b32_e32 v29, 0
	v_lshl_add_u64 v[22:23], s[4:5], 0, v[28:29]
	v_lshlrev_b32_e32 v28, 1, v26
	v_lshl_add_u64 v[22:23], v[22:23], 0, v[28:29]
	global_load_dwordx4 v[22:25], v[22:23], off offset:128
.LBB710_57:
	s_or_b64 exec, exec, s[2:3]
	s_branch .LBB710_60
.LBB710_58:
                                        ; implicit-def: $vgpr13
                                        ; implicit-def: $vgpr17
                                        ; implicit-def: $vgpr21
                                        ; implicit-def: $vgpr25
	s_cbranch_execz .LBB710_60
; %bb.59:
	s_waitcnt vmcnt(0)
	v_lshlrev_b32_e32 v10, 1, v26
	v_lshl_or_b32 v26, v35, 9, v10
	s_and_b32 s5, s5, 0xffff
	s_mov_b32 s7, 0x20000
	s_movk_i32 s6, 0x4000
	s_movk_i32 s0, 0x80
	buffer_load_dwordx4 v[10:13], v26, s[4:7], 0 offen
	buffer_load_dwordx4 v[14:17], v26, s[4:7], 0 offen offset:256
	buffer_load_dwordx4 v[18:21], v26, s[4:7], s0 offen
	buffer_load_dwordx4 v[22:25], v26, s[4:7], s0 offen offset:256
.LBB710_60:
	v_and_b32_e32 v48, 12, v27
	ds_read2st64_b64 v[30:33], v46 offset0:76 offset1:77
	ds_read2st64_b64 v[26:29], v46 offset0:78 offset1:79
	ds_read_b64 v[40:41], v36 offset:24576
	ds_read_b64 v[42:43], v37 offset:24576
	;; [unrolled: 1-line block ×4, first 2 shown]
	v_and_b32_e32 v47, 6, v0
	v_xor_b32_e32 v35, v35, v47
	v_lshlrev_b32_e32 v35, 2, v35
	v_and_b32_e32 v49, 1, v0
	v_xor_b32_e32 v50, 0x440, v35
	v_cmp_eq_u32_e32 vcc, 0, v49
	s_mov_b32 s0, 0x1000504
	s_waitcnt vmcnt(0)
	v_perm_b32 v49, v18, v22, s0
	v_cndmask_b32_e32 v35, v50, v35, vcc
	v_lshl_or_b32 v35, v47, 10, v35
	v_perm_b32 v47, v10, v14, s0
	ds_write2st64_b32 v35, v47, v49 offset1:32
	v_xor_b32_e32 v47, 8, v35
	s_mov_b32 s1, 0x3020706
	v_perm_b32 v10, v10, v14, s1
	v_perm_b32 v14, v18, v22, s1
	v_add_u32_e32 v18, 0x80, v47
	ds_write2st64_b32 v18, v10, v14 offset1:32
	v_xor_b32_e32 v10, 16, v35
	v_perm_b32 v14, v11, v15, s0
	v_perm_b32 v18, v19, v23, s0
	ds_write2st64_b32 v10, v14, v18 offset0:1 offset1:33
	v_xor_b32_e32 v10, 24, v35
	v_perm_b32 v11, v11, v15, s1
	v_perm_b32 v14, v19, v23, s1
	v_add_u32_e32 v10, 0x80, v10
	ds_write2st64_b32 v10, v11, v14 offset0:1 offset1:33
	v_xor_b32_e32 v10, 32, v35
	v_perm_b32 v11, v12, v16, s0
	v_perm_b32 v14, v20, v24, s0
	ds_write2st64_b32 v10, v11, v14 offset0:2 offset1:34
	v_xor_b32_e32 v10, 40, v35
	v_perm_b32 v11, v12, v16, s1
	v_perm_b32 v12, v20, v24, s1
	v_add_u32_e32 v10, 0x80, v10
	ds_write2st64_b32 v10, v11, v12 offset0:2 offset1:34
	v_xor_b32_e32 v10, 48, v35
	v_perm_b32 v11, v13, v17, s0
	v_perm_b32 v12, v21, v25, s0
	ds_write2st64_b32 v10, v11, v12 offset0:3 offset1:35
	v_xor_b32_e32 v10, 56, v35
	v_or_b32_e32 v16, v48, v58
	v_perm_b32 v11, v13, v17, s1
	v_perm_b32 v12, v21, v25, s1
	v_add_u32_e32 v10, 0x80, v10
	v_cmp_gt_i32_e32 vcc, s51, v16
	v_mov_b32_e32 v17, 0
	v_mov_b32_e32 v21, 0
	ds_write2st64_b32 v10, v11, v12 offset0:3 offset1:35
	s_and_saveexec_b64 s[0:1], vcc
	s_cbranch_execz .LBB710_62
; %bb.61:
	v_add_u32_e32 v10, s20, v16
	v_ashrrev_i32_e32 v11, 31, v10
	v_mul_lo_u32 v12, v11, s14
	v_mul_lo_u32 v13, v10, s15
	v_mad_u64_u32 v[10:11], s[2:3], v10, s14, 0
	v_add3_u32 v11, v11, v13, v12
	v_lshl_add_u64 v[10:11], v[10:11], 2, s[10:11]
	global_load_dword v10, v[10:11], off
	s_waitcnt vmcnt(0)
	v_sub_f32_e32 v10, s16, v10
	v_mul_f32_e32 v10, 0x3fb8aa3b, v10
	v_exp_f32_e32 v21, v10
.LBB710_62:
	s_or_b64 exec, exec, s[0:1]
	v_or_b32_e32 v19, 1, v16
	v_cmp_gt_i32_e64 s[0:1], s51, v19
	s_and_saveexec_b64 s[2:3], s[0:1]
	s_cbranch_execz .LBB710_64
; %bb.63:
	v_add_u32_e32 v10, s20, v19
	v_ashrrev_i32_e32 v11, 31, v10
	v_mul_lo_u32 v12, v11, s14
	v_mul_lo_u32 v13, v10, s15
	v_mad_u64_u32 v[10:11], s[4:5], v10, s14, 0
	v_add3_u32 v11, v11, v13, v12
	v_lshl_add_u64 v[10:11], v[10:11], 2, s[10:11]
	global_load_dword v10, v[10:11], off
	s_waitcnt vmcnt(0)
	v_sub_f32_e32 v10, s16, v10
	v_mul_f32_e32 v10, 0x3fb8aa3b, v10
	v_exp_f32_e32 v17, v10
.LBB710_64:
	s_or_b64 exec, exec, s[2:3]
	v_or_b32_e32 v20, 2, v16
	v_cmp_gt_i32_e64 s[2:3], s51, v20
	v_mov_b32_e32 v18, 0
	v_mov_b32_e32 v23, 0
	s_and_saveexec_b64 s[4:5], s[2:3]
	s_cbranch_execz .LBB710_66
; %bb.65:
	v_add_u32_e32 v10, s20, v20
	v_ashrrev_i32_e32 v11, 31, v10
	v_mul_lo_u32 v12, v11, s14
	v_mul_lo_u32 v13, v10, s15
	v_mad_u64_u32 v[10:11], s[6:7], v10, s14, 0
	v_add3_u32 v11, v11, v13, v12
	v_lshl_add_u64 v[10:11], v[10:11], 2, s[10:11]
	global_load_dword v10, v[10:11], off
	s_waitcnt vmcnt(0)
	v_sub_f32_e32 v10, s16, v10
	v_mul_f32_e32 v10, 0x3fb8aa3b, v10
	v_exp_f32_e32 v23, v10
.LBB710_66:
	s_or_b64 exec, exec, s[4:5]
	v_or_b32_e32 v22, 3, v16
	v_cmp_gt_i32_e64 s[4:5], s51, v22
	s_and_saveexec_b64 s[6:7], s[4:5]
	s_cbranch_execz .LBB710_68
; %bb.67:
	v_add_u32_e32 v10, s20, v22
	v_ashrrev_i32_e32 v11, 31, v10
	v_mul_lo_u32 v12, v11, s14
	v_mul_lo_u32 v13, v10, s15
	v_mad_u64_u32 v[10:11], s[14:15], v10, s14, 0
	v_add3_u32 v11, v11, v13, v12
	v_lshl_add_u64 v[10:11], v[10:11], 2, s[10:11]
	global_load_dword v10, v[10:11], off
	s_waitcnt vmcnt(0)
	v_sub_f32_e32 v10, s16, v10
	v_mul_f32_e32 v10, 0x3fb8aa3b, v10
	v_exp_f32_e32 v18, v10
.LBB710_68:
	s_or_b64 exec, exec, s[6:7]
	s_waitcnt lgkmcnt(11)
	v_mfma_f32_16x16x16_bf16 a[0:3], v[40:41], v[30:31], a[0:3]
	s_add_u32 s6, s8, s28
	v_ashrrev_i32_e32 v35, 31, v34
	s_addc_u32 s7, s9, s29
	s_waitcnt lgkmcnt(10)
	v_mfma_f32_16x16x16_bf16 a[0:3], v[42:43], v[32:33], a[0:3]
	v_mov_b32_e32 v24, 0
	v_lshl_add_u64 v[14:15], v[34:35], 1, s[6:7]
	v_mov_b32_e32 v25, 0
	s_waitcnt lgkmcnt(9)
	v_mfma_f32_16x16x16_bf16 a[0:3], v[38:39], v[26:27], a[0:3]
	s_waitcnt lgkmcnt(8)
	v_mfma_f32_16x16x16_bf16 a[0:3], v[36:37], v[28:29], a[0:3]
	s_nop 6
	v_accvgpr_read_b32 v13, a3
	v_accvgpr_read_b32 v12, a2
	;; [unrolled: 1-line block ×4, first 2 shown]
	s_and_saveexec_b64 s[6:7], vcc
	s_cbranch_execz .LBB710_70
; %bb.69:
	v_lshlrev_b32_e32 v26, 8, v16
	v_mov_b32_e32 v27, 0
	v_lshl_add_u64 v[26:27], v[14:15], 0, v[26:27]
	global_load_ushort v25, v[26:27], off
	s_waitcnt vmcnt(0)
	v_lshlrev_b32_e32 v25, 16, v25
	v_sub_f32_e32 v10, v25, v10
	v_mul_f32_e32 v10, v21, v10
	v_lshrrev_b32_e32 v25, 16, v10
.LBB710_70:
	s_or_b64 exec, exec, s[6:7]
	s_and_saveexec_b64 s[6:7], s[0:1]
	s_cbranch_execz .LBB710_72
; %bb.71:
	v_lshlrev_b32_e32 v26, 8, v19
	v_mov_b32_e32 v27, 0
	v_lshl_add_u64 v[26:27], v[14:15], 0, v[26:27]
	global_load_ushort v10, v[26:27], off
	s_waitcnt vmcnt(0)
	v_lshlrev_b32_e32 v10, 16, v10
	v_sub_f32_e32 v10, v10, v11
	v_mul_f32_e32 v10, v17, v10
	v_lshrrev_b32_e32 v24, 16, v10
.LBB710_72:
	s_or_b64 exec, exec, s[6:7]
	v_mov_b32_e32 v11, 0
	v_mov_b32_e32 v17, 0
	s_and_saveexec_b64 s[0:1], s[2:3]
	s_cbranch_execz .LBB710_74
; %bb.73:
	v_lshlrev_b32_e32 v20, 8, v20
	v_mov_b32_e32 v21, 0
	v_lshl_add_u64 v[20:21], v[14:15], 0, v[20:21]
	global_load_ushort v10, v[20:21], off
	s_waitcnt vmcnt(0)
	v_lshlrev_b32_e32 v10, 16, v10
	v_sub_f32_e32 v10, v10, v12
	v_mul_f32_e32 v10, v23, v10
	v_lshrrev_b32_e32 v17, 16, v10
.LBB710_74:
	s_or_b64 exec, exec, s[0:1]
	v_or_b32_e32 v10, 0x9800, v46
	s_and_saveexec_b64 s[0:1], s[4:5]
	s_cbranch_execz .LBB710_76
; %bb.75:
	v_lshlrev_b32_e32 v20, 8, v22
	v_mov_b32_e32 v21, 0
	v_lshl_add_u64 v[14:15], v[14:15], 0, v[20:21]
	global_load_ushort v11, v[14:15], off
	s_waitcnt vmcnt(0)
	v_lshlrev_b32_e32 v11, 16, v11
	v_sub_f32_e32 v11, v11, v13
	v_mul_f32_e32 v11, v18, v11
	v_lshrrev_b32_e32 v11, 16, v11
.LBB710_76:
	s_or_b64 exec, exec, s[0:1]
	s_mov_b32 s0, 0x5040100
	v_perm_b32 v13, v11, v17, s0
	v_lshlrev_b32_e32 v11, 1, v44
	v_perm_b32 v12, v24, v25, s0
	v_lshl_or_b32 v11, v16, 5, v11
	s_movk_i32 s2, 0xff
	ds_write_b64 v11, v[12:13] offset:38912
	v_and_b32_e32 v11, 7, v0
	v_cmp_lt_u32_e32 vcc, s2, v0
	v_and_b32_e32 v12, 8, v0
	v_lshlrev_b32_e32 v20, 3, v11
	v_lshlrev_b32_e32 v32, 7, v11
	v_cndmask_b32_e64 v11, 0, 1, vcc
	v_lshrrev_b32_e32 v0, 1, v0
	v_lshlrev_b32_e32 v22, 13, v11
	v_lshlrev_b32_e32 v11, 3, v53
	v_and_b32_e32 v0, 24, v0
	v_xor_b32_e32 v13, v11, v0
	v_or_b32_e32 v14, 0x440, v13
	v_cmp_eq_u32_e32 vcc, 0, v12
	s_mul_i32 s0, s18, s17
	s_mul_hi_i32 s1, s18, s17
	v_cndmask_b32_e32 v12, v14, v13, vcc
	v_or_b32_e32 v12, v12, v45
	v_xor_b32_e32 v33, v12, v20
	v_or_b32_e32 v12, 32, v0
	v_xor_b32_e32 v12, v11, v12
	v_or_b32_e32 v13, 0x440, v12
	v_cndmask_b32_e32 v12, v13, v12, vcc
	v_or_b32_e32 v12, v12, v45
	v_xor_b32_e32 v35, v12, v20
	v_or_b32_e32 v12, 64, v0
	v_xor_b32_e32 v12, v11, v12
	v_xor_b32_e32 v13, 0x440, v12
	v_cndmask_b32_e32 v12, v13, v12, vcc
	v_or_b32_e32 v0, 0x60, v0
	s_add_u32 s0, s0, s46
	v_add3_u32 v23, v22, v33, v32
	v_or_b32_e32 v12, v12, v45
	v_xor_b32_e32 v0, v11, v0
	s_waitcnt lgkmcnt(0)
	s_barrier
	s_addc_u32 s1, s1, s21
	v_lshlrev_b32_e32 v21, 2, v16
	v_xor_b32_e32 v36, v12, v20
	ds_read2st64_b64 v[12:15], v10 offset1:1
	ds_read2st64_b64 v[16:19], v10 offset0:2 offset1:3
	ds_read_b64 v[10:11], v23
	v_xor_b32_e32 v23, 0x440, v0
	s_lshl_b64 s[0:1], s[0:1], 9
	v_cndmask_b32_e32 v0, v23, v0, vcc
	s_add_u32 s0, s36, s0
	v_or_b32_e32 v0, v0, v45
	s_addc_u32 s1, s37, s1
	v_add3_u32 v24, v22, v35, v32
	v_xor_b32_e32 v37, v0, v20
	v_add3_u32 v26, v22, v36, v32
	v_add3_u32 v0, v22, v37, v32
	ds_read_b64 v[24:25], v24
	ds_read_b64 v[28:29], v26
	;; [unrolled: 1-line block ×3, first 2 shown]
	global_load_dwordx4 v[20:23], v21, s[0:1]
	s_waitcnt lgkmcnt(3)
	v_mfma_f32_16x16x16_bf16 a[0:3], v[10:11], v[12:13], 0
	v_lshlrev_b32_e32 v0, 6, v53
	v_lshlrev_b32_e32 v10, 2, v48
	s_movk_i32 s2, 0x100
	v_or3_b32 v0, v0, v10, s2
	s_waitcnt lgkmcnt(2)
	v_mfma_f32_16x16x16_bf16 a[0:3], v[24:25], v[14:15], a[0:3]
	global_load_dwordx4 v[24:27], v0, s[0:1]
	v_mov_b32_e32 v0, 0x3fb8aa3b
	v_mul_f32_e32 v0, s16, v0
	s_waitcnt lgkmcnt(1)
	v_mfma_f32_16x16x16_bf16 a[0:3], v[28:29], v[16:17], a[0:3]
	v_exp_f32_e32 v0, v0
	v_add_u32_e32 v33, v33, v32
	v_add_u32_e32 v35, v35, v32
	s_waitcnt lgkmcnt(0)
	v_mfma_f32_16x16x16_bf16 a[0:3], v[30:31], v[18:19], a[0:3]
	ds_read_b64 v[30:31], v33 offset:8192
	s_waitcnt vmcnt(1)
	v_mul_f32_e32 v20, 0x3fb8aa3b, v20
	v_mul_f32_e32 v21, 0x3fb8aa3b, v21
	v_exp_f32_e32 v20, v20
	v_exp_f32_e32 v21, v21
	s_nop 0
	v_accvgpr_read_b32 v29, a1
	v_accvgpr_read_b32 v28, a0
	v_mul_f32_e32 v22, 0x3fb8aa3b, v22
	v_pk_mul_f32 v[20:21], v[0:1], v[20:21] op_sel_hi:[0,1]
	v_pk_fma_f32 v[2:3], v[2:3], v[20:21], v[28:29]
	ds_read_b64 v[20:21], v35 offset:8192
	v_mul_f32_e32 v23, 0x3fb8aa3b, v23
	v_exp_f32_e32 v22, v22
	v_exp_f32_e32 v23, v23
	v_accvgpr_read_b32 v11, a3
	v_accvgpr_read_b32 v10, a2
	s_waitcnt lgkmcnt(1)
	v_mfma_f32_16x16x16_bf16 a[0:3], v[30:31], v[12:13], 0
	v_pk_mul_f32 v[22:23], v[0:1], v[22:23] op_sel_hi:[0,1]
	v_pk_fma_f32 v[4:5], v[4:5], v[22:23], v[10:11]
	v_add_u32_e32 v10, v36, v32
	v_add_u32_e32 v11, v37, v32
	ds_read_b64 v[22:23], v10 offset:8192
	ds_read_b64 v[28:29], v11 offset:8192
	s_waitcnt lgkmcnt(2)
	v_mfma_f32_16x16x16_bf16 a[0:3], v[20:21], v[14:15], a[0:3]
	s_waitcnt vmcnt(0)
	v_mov_b32_e32 v10, v25
	v_mov_b32_e32 v11, v26
	;; [unrolled: 1-line block ×3, first 2 shown]
	s_waitcnt lgkmcnt(1)
	v_mfma_f32_16x16x16_bf16 a[0:3], v[22:23], v[16:17], a[0:3]
	v_mul_f32_e32 v10, 0x3fb8aa3b, v10
	v_mul_f32_e32 v13, 0x3fb8aa3b, v24
	v_exp_f32_e32 v25, v10
	v_mul_f32_e32 v10, 0x3fb8aa3b, v11
	v_mul_f32_e32 v11, 0x3fb8aa3b, v12
	s_waitcnt lgkmcnt(0)
	v_mfma_f32_16x16x16_bf16 a[0:3], v[28:29], v[18:19], a[0:3]
	v_exp_f32_e32 v24, v13
	v_exp_f32_e32 v10, v10
	;; [unrolled: 1-line block ×3, first 2 shown]
	v_pk_mul_f32 v[14:15], v[0:1], v[24:25] op_sel_hi:[0,1]
	v_pk_mul_f32 v[10:11], v[0:1], v[10:11] op_sel_hi:[0,1]
	s_nop 1
	v_accvgpr_read_b32 v17, a1
	v_accvgpr_read_b32 v13, a3
	;; [unrolled: 1-line block ×4, first 2 shown]
	v_pk_fma_f32 v[6:7], v[6:7], v[14:15], v[16:17]
	v_pk_fma_f32 v[8:9], v[8:9], v[10:11], v[12:13]
	v_mov_b32_e32 v10, v34
.LBB710_77:
	s_mul_i32 s0, s47, s35
	s_mul_hi_u32 s1, s47, s34
	s_add_i32 s0, s1, s0
	s_mul_i32 s1, s33, s34
	s_add_i32 s1, s0, s1
	s_mul_i32 s0, s47, s34
	s_add_u32 s0, s0, s46
	s_addc_u32 s1, s1, s21
	s_lshl_b64 s[0:1], s[0:1], 16
	s_add_u32 s0, s12, s0
	v_lshlrev_b32_e32 v10, 7, v10
	s_addc_u32 s1, s13, s1
	v_ashrrev_i32_e32 v11, 31, v10
	v_lshl_add_u64 v[10:11], v[10:11], 2, s[0:1]
	v_lshlrev_b32_e32 v0, 2, v1
	v_mov_b32_e32 v1, 0
	v_lshl_add_u64 v[0:1], v[10:11], 0, v[0:1]
	global_store_dwordx4 v[0:1], v[2:5], off
	global_store_dwordx4 v[0:1], v[6:9], off offset:256
	s_endpgm
	.section	.rodata,"a",@progbits
	.p2align	6, 0x0
	.amdhsa_kernel _ZN12_GLOBAL__N_139chunk_gated_delta_rule_fwd_h_hip_kernelILi16ELb0ELb1ELb0ELb1ELb0ELb1ELb1ELb0EEEvPK12hip_bfloat16S3_S3_PKfS5_PKvPS1_S8_PvPKiSB_iiiiilll
		.amdhsa_group_segment_fixed_size 40960
		.amdhsa_private_segment_fixed_size 0
		.amdhsa_kernarg_size 136
		.amdhsa_user_sgpr_count 2
		.amdhsa_user_sgpr_dispatch_ptr 0
		.amdhsa_user_sgpr_queue_ptr 0
		.amdhsa_user_sgpr_kernarg_segment_ptr 1
		.amdhsa_user_sgpr_dispatch_id 0
		.amdhsa_user_sgpr_kernarg_preload_length 0
		.amdhsa_user_sgpr_kernarg_preload_offset 0
		.amdhsa_user_sgpr_private_segment_size 0
		.amdhsa_uses_dynamic_stack 0
		.amdhsa_enable_private_segment 0
		.amdhsa_system_sgpr_workgroup_id_x 1
		.amdhsa_system_sgpr_workgroup_id_y 1
		.amdhsa_system_sgpr_workgroup_id_z 0
		.amdhsa_system_sgpr_workgroup_info 0
		.amdhsa_system_vgpr_workitem_id 0
		.amdhsa_next_free_vgpr 128
		.amdhsa_next_free_sgpr 65
		.amdhsa_accum_offset 116
		.amdhsa_reserve_vcc 1
		.amdhsa_float_round_mode_32 0
		.amdhsa_float_round_mode_16_64 0
		.amdhsa_float_denorm_mode_32 3
		.amdhsa_float_denorm_mode_16_64 3
		.amdhsa_dx10_clamp 1
		.amdhsa_ieee_mode 1
		.amdhsa_fp16_overflow 0
		.amdhsa_tg_split 0
		.amdhsa_exception_fp_ieee_invalid_op 0
		.amdhsa_exception_fp_denorm_src 0
		.amdhsa_exception_fp_ieee_div_zero 0
		.amdhsa_exception_fp_ieee_overflow 0
		.amdhsa_exception_fp_ieee_underflow 0
		.amdhsa_exception_fp_ieee_inexact 0
		.amdhsa_exception_int_div_zero 0
	.end_amdhsa_kernel
	.section	.text._ZN12_GLOBAL__N_139chunk_gated_delta_rule_fwd_h_hip_kernelILi16ELb0ELb1ELb0ELb1ELb0ELb1ELb1ELb0EEEvPK12hip_bfloat16S3_S3_PKfS5_PKvPS1_S8_PvPKiSB_iiiiilll,"axG",@progbits,_ZN12_GLOBAL__N_139chunk_gated_delta_rule_fwd_h_hip_kernelILi16ELb0ELb1ELb0ELb1ELb0ELb1ELb1ELb0EEEvPK12hip_bfloat16S3_S3_PKfS5_PKvPS1_S8_PvPKiSB_iiiiilll,comdat
.Lfunc_end710:
	.size	_ZN12_GLOBAL__N_139chunk_gated_delta_rule_fwd_h_hip_kernelILi16ELb0ELb1ELb0ELb1ELb0ELb1ELb1ELb0EEEvPK12hip_bfloat16S3_S3_PKfS5_PKvPS1_S8_PvPKiSB_iiiiilll, .Lfunc_end710-_ZN12_GLOBAL__N_139chunk_gated_delta_rule_fwd_h_hip_kernelILi16ELb0ELb1ELb0ELb1ELb0ELb1ELb1ELb0EEEvPK12hip_bfloat16S3_S3_PKfS5_PKvPS1_S8_PvPKiSB_iiiiilll
                                        ; -- End function
	.section	.AMDGPU.csdata,"",@progbits
; Kernel info:
; codeLenInByte = 8160
; NumSgprs: 71
; NumVgprs: 114
; NumAgprs: 12
; TotalNumVgprs: 128
; ScratchSize: 0
; MemoryBound: 0
; FloatMode: 240
; IeeeMode: 1
; LDSByteSize: 40960 bytes/workgroup (compile time only)
; SGPRBlocks: 8
; VGPRBlocks: 15
; NumSGPRsForWavesPerEU: 71
; NumVGPRsForWavesPerEU: 128
; AccumOffset: 116
; Occupancy: 1
; WaveLimiterHint : 1
; COMPUTE_PGM_RSRC2:SCRATCH_EN: 0
; COMPUTE_PGM_RSRC2:USER_SGPR: 2
; COMPUTE_PGM_RSRC2:TRAP_HANDLER: 0
; COMPUTE_PGM_RSRC2:TGID_X_EN: 1
; COMPUTE_PGM_RSRC2:TGID_Y_EN: 1
; COMPUTE_PGM_RSRC2:TGID_Z_EN: 0
; COMPUTE_PGM_RSRC2:TIDIG_COMP_CNT: 0
; COMPUTE_PGM_RSRC3_GFX90A:ACCUM_OFFSET: 28
; COMPUTE_PGM_RSRC3_GFX90A:TG_SPLIT: 0
	.section	.text._ZN12_GLOBAL__N_139chunk_gated_delta_rule_fwd_h_hip_kernelILi16ELb0ELb0ELb1ELb1ELb0ELb1ELb1ELb0EEEvPK12hip_bfloat16S3_S3_PKfS5_PKvPS1_S8_PvPKiSB_iiiiilll,"axG",@progbits,_ZN12_GLOBAL__N_139chunk_gated_delta_rule_fwd_h_hip_kernelILi16ELb0ELb0ELb1ELb1ELb0ELb1ELb1ELb0EEEvPK12hip_bfloat16S3_S3_PKfS5_PKvPS1_S8_PvPKiSB_iiiiilll,comdat
	.globl	_ZN12_GLOBAL__N_139chunk_gated_delta_rule_fwd_h_hip_kernelILi16ELb0ELb0ELb1ELb1ELb0ELb1ELb1ELb0EEEvPK12hip_bfloat16S3_S3_PKfS5_PKvPS1_S8_PvPKiSB_iiiiilll ; -- Begin function _ZN12_GLOBAL__N_139chunk_gated_delta_rule_fwd_h_hip_kernelILi16ELb0ELb0ELb1ELb1ELb0ELb1ELb1ELb0EEEvPK12hip_bfloat16S3_S3_PKfS5_PKvPS1_S8_PvPKiSB_iiiiilll
	.p2align	8
	.type	_ZN12_GLOBAL__N_139chunk_gated_delta_rule_fwd_h_hip_kernelILi16ELb0ELb0ELb1ELb1ELb0ELb1ELb1ELb0EEEvPK12hip_bfloat16S3_S3_PKfS5_PKvPS1_S8_PvPKiSB_iiiiilll,@function
_ZN12_GLOBAL__N_139chunk_gated_delta_rule_fwd_h_hip_kernelILi16ELb0ELb0ELb1ELb1ELb0ELb1ELb1ELb0EEEvPK12hip_bfloat16S3_S3_PKfS5_PKvPS1_S8_PvPKiSB_iiiiilll: ; @_ZN12_GLOBAL__N_139chunk_gated_delta_rule_fwd_h_hip_kernelILi16ELb0ELb0ELb1ELb1ELb0ELb1ELb1ELb0EEEvPK12hip_bfloat16S3_S3_PKfS5_PKvPS1_S8_PvPKiSB_iiiiilll
; %bb.0:
	s_load_dwordx4 s[16:19], s[0:1], 0x5c
	s_load_dwordx4 s[20:23], s[0:1], 0x70
	s_abs_i32 s25, s3
	s_ashr_i32 s24, s3, 31
	s_load_dwordx4 s[12:15], s[0:1], 0x30
	s_load_dwordx4 s[28:31], s[0:1], 0x48
	s_waitcnt lgkmcnt(0)
	s_abs_i32 s34, s17
	v_cvt_f32_u32_e32 v1, s34
	s_sub_i32 s26, 0, s34
	s_ashr_i32 s35, s17, 31
	s_xor_b32 s24, s24, s35
	v_rcp_iflag_f32_e32 v1, v1
	s_load_dwordx8 s[4:11], s[0:1], 0x0
	v_lshrrev_b32_e32 v61, 6, v0
	v_bfe_u32 v62, v0, 4, 2
	v_mul_f32_e32 v1, 0x4f7ffffe, v1
	v_cvt_u32_f32_e32 v1, v1
	v_lshlrev_b32_e32 v45, 4, v61
	v_lshlrev_b32_e32 v2, 2, v62
	v_and_b32_e32 v60, 63, v0
	v_readfirstlane_b32 s27, v1
	s_mul_i32 s26, s26, s27
	s_mul_hi_u32 s26, s27, s26
	s_add_i32 s27, s27, s26
	s_mul_hi_u32 s26, s25, s27
	s_mul_i32 s27, s26, s34
	s_sub_i32 s25, s25, s27
	s_add_i32 s33, s26, 1
	s_sub_i32 s27, s25, s34
	s_cmp_ge_u32 s25, s34
	s_cselect_b32 s26, s33, s26
	s_cselect_b32 s25, s27, s25
	s_add_i32 s27, s26, 1
	s_cmp_ge_u32 s25, s34
	s_cselect_b32 s25, s27, s26
	s_xor_b32 s25, s25, s24
	s_sub_i32 s24, s25, s24
	s_mul_i32 s25, s24, s17
	s_sub_i32 s33, s3, s25
	s_ashr_i32 s25, s24, 31
	s_lshl_b64 s[26:27], s[24:25], 2
	s_add_u32 s28, s28, s26
	s_addc_u32 s29, s29, s27
	s_add_u32 s26, s30, s26
	s_addc_u32 s27, s31, s27
	s_abs_i32 s3, s18
	v_cvt_f32_u32_e32 v1, s3
	s_load_dwordx2 s[38:39], s[28:29], 0x0
	s_sub_i32 s29, 0, s3
	s_load_dword s48, s[26:27], 0x0
	v_rcp_iflag_f32_e32 v1, v1
	v_or_b32_e32 v66, v2, v45
	s_waitcnt lgkmcnt(0)
	s_sub_i32 s49, s39, s38
	s_ashr_i32 s28, s49, 31
	v_mul_f32_e32 v1, 0x4f7ffffe, v1
	v_cvt_u32_f32_e32 v1, v1
	s_lshr_b32 s28, s28, 26
	s_add_i32 s28, s49, s28
	s_ashr_i32 s47, s28, 6
	v_readfirstlane_b32 s30, v1
	s_mul_i32 s29, s29, s30
	s_mul_hi_u32 s29, s30, s29
	s_add_i32 s30, s30, s29
	s_mul_hi_u32 s29, s34, s30
	s_mul_i32 s30, s29, s3
	s_ashr_i32 s28, s18, 31
	s_sub_i32 s30, s34, s30
	s_xor_b32 s28, s35, s28
	s_add_i32 s31, s29, 1
	s_sub_i32 s34, s30, s3
	s_cmp_ge_u32 s30, s3
	s_cselect_b32 s29, s31, s29
	s_cselect_b32 s30, s34, s30
	s_add_i32 s31, s29, 1
	s_cmp_ge_u32 s30, s3
	s_cselect_b32 s3, s31, s29
	s_xor_b32 s3, s3, s28
	s_sub_i32 s3, s3, s28
	s_abs_i32 s28, s3
	v_cvt_f32_u32_e32 v1, s28
	s_sub_i32 s27, 0, s28
	s_abs_i32 s26, s33
	s_xor_b32 s3, s33, s3
	v_rcp_iflag_f32_e32 v1, v1
	s_ashr_i32 s3, s3, 31
	s_load_dwordx2 s[34:35], s[0:1], 0x80
	v_mov_b32_e32 v49, 0
	v_mul_f32_e32 v1, 0x4f7ffffe, v1
	v_cvt_u32_f32_e32 v1, v1
	v_or_b32_e32 v65, 64, v66
	s_mul_hi_i32 s50, s33, s16
	s_mul_i32 s51, s33, s16
	v_readfirstlane_b32 s29, v1
	s_mul_i32 s27, s27, s29
	s_mul_hi_u32 s27, s29, s27
	s_add_i32 s29, s29, s27
	s_mul_hi_u32 s27, s26, s29
	s_mul_i32 s29, s27, s28
	s_sub_i32 s26, s26, s29
	s_add_i32 s29, s27, 1
	s_sub_i32 s30, s26, s28
	s_cmp_ge_u32 s26, s28
	s_cselect_b32 s27, s29, s27
	s_cselect_b32 s26, s30, s26
	s_add_i32 s29, s27, 1
	s_cmp_ge_u32 s26, s28
	s_cselect_b32 s26, s29, s27
	s_xor_b32 s26, s26, s3
	s_sub_i32 s53, s26, s3
	s_lshl_b32 s36, s2, 4
	v_and_b32_e32 v1, 15, v0
	s_cmp_lt_i32 s49, 64
	v_lshrrev_b32_e32 v64, 3, v60
	v_lshlrev_b32_e32 v63, 3, v0
	s_mul_i32 s44, s24, s21
	s_mul_hi_u32 s45, s24, s20
	s_mul_i32 s46, s25, s20
	s_mul_i32 s20, s24, s20
	v_mov_b32_e32 v48, v49
	v_mov_b32_e32 v51, v49
	;; [unrolled: 1-line block ×7, first 2 shown]
	s_cbranch_scc1 .LBB711_18
; %bb.1:
	s_ashr_i32 s55, s33, 31
	s_ashr_i32 s3, s38, 31
	s_add_u32 s2, s51, s38
	s_addc_u32 s3, s50, s3
	s_lshl_b64 s[2:3], s[2:3], 8
	v_and_b32_e32 v68, 56, v63
	s_add_u32 s24, s6, s2
	v_lshl_or_b32 v67, v61, 3, v64
	v_lshlrev_b32_e32 v3, 1, v68
	s_addc_u32 s2, s7, s3
	v_lshl_or_b32 v69, v67, 8, v3
	s_and_b32 s25, s2, 0xffff
	s_mov_b32 s27, 0x20000
	s_movk_i32 s26, 0x4000
	s_movk_i32 s2, 0x80
	v_or_b32_e32 v70, 0x2000, v69
	buffer_load_dwordx4 v[4:7], v69, s[24:27], 0 offen
	buffer_load_dwordx4 v[8:11], v69, s[24:27], s2 offen
	;; [unrolled: 1-line block ×4, first 2 shown]
	v_lshlrev_b32_e32 v20, 3, v67
	v_and_or_b32 v22, v0, 7, v20
	v_and_b32_e32 v20, 0x78, v20
	v_lshlrev_b32_e32 v22, 4, v22
	v_xor_b32_e32 v71, v22, v20
	v_mul_lo_u32 v21, v67, s19
	v_or_b32_e32 v72, 0x1000, v71
	s_cmpk_eq_i32 s19, 0x80
	s_mov_b32 s52, s17
	s_mov_b32 s54, s38
	v_xor_b32_e32 v20, 8, v71
	v_xor_b32_e32 v22, 8, v72
	s_cselect_b64 s[2:3], -1, 0
	s_cmpk_lg_i32 s19, 0x80
	s_waitcnt vmcnt(3)
	ds_write_b64 v71, v[4:5] offset:16384
	ds_write_b64 v20, v[6:7] offset:16384
	s_waitcnt vmcnt(2)
	ds_write_b64 v71, v[8:9] offset:24576
	ds_write_b64 v20, v[10:11] offset:24576
	;; [unrolled: 3-line block ×4, first 2 shown]
	v_lshl_add_u32 v4, v21, 1, v68
	s_cbranch_scc0 .LBB711_3
; %bb.2:
	v_lshlrev_b32_e32 v6, 1, v4
	v_add_lshl_u32 v5, v4, s19, 1
	s_lshl_b32 s26, s19, 7
	s_load_dwordx2 s[40:41], s[0:1], 0x20
	v_lshl_or_b32 v3, v67, 9, v3
	s_cbranch_execz .LBB711_4
	s_branch .LBB711_5
.LBB711_3:
                                        ; implicit-def: $vgpr5
                                        ; implicit-def: $vgpr6
                                        ; implicit-def: $sgpr26
	s_load_dwordx2 s[40:41], s[0:1], 0x20
	v_lshl_or_b32 v3, v67, 9, v3
.LBB711_4:
	v_or_b32_e32 v5, 0x100, v3
	s_movk_i32 s26, 0x4000
	v_mov_b32_e32 v6, v3
.LBB711_5:
	s_mul_i32 s0, s38, s18
	s_ashr_i32 s56, s53, 31
	s_mul_hi_i32 s1, s38, s18
	s_add_u32 s0, s0, s53
	s_addc_u32 s1, s1, s56
	s_lshl_b64 s[0:1], s[0:1], 8
	s_add_u32 s24, s4, s0
	s_addc_u32 s0, s5, s1
	s_and_b32 s25, s0, 0xffff
	s_movk_i32 s57, 0x80
	buffer_load_dwordx4 v[8:11], v6, s[24:27], 0 offen
	buffer_load_dwordx4 v[12:15], v6, s[24:27], s57 offen
	;; [unrolled: 1-line block ×4, first 2 shown]
	v_and_b32_e32 v5, 6, v0
	v_lshlrev_b32_e32 v7, 2, v1
	v_lshlrev_b32_e32 v24, 3, v1
	v_xor_b32_e32 v26, v67, v5
	v_and_b32_e32 v6, 1, v0
	v_lshl_or_b32 v24, v66, 5, v24
	v_xor_b32_e32 v27, v66, v7
	v_lshlrev_b32_e32 v26, 2, v26
	s_mul_i32 s1, s33, s23
	s_mul_hi_u32 s21, s33, s22
	v_or_b32_e32 v73, 0x9000, v24
	v_or_b32_e32 v74, 0x9800, v24
	v_lshlrev_b32_e32 v24, 1, v27
	v_xor_b32_e32 v27, 0x440, v26
	v_cmp_eq_u32_e32 vcc, 0, v6
	s_add_i32 s25, s45, s44
	s_mul_i32 s24, s55, s22
	v_cndmask_b32_e32 v6, v27, v26, vcc
	s_add_i32 s1, s21, s1
	s_add_i32 s21, s25, s46
	s_mov_b32 s58, 0x1000504
	v_lshlrev_b32_e32 v25, 8, v1
	s_mov_b32 s26, 0x8000
	v_xor_b32_e32 v7, v65, v7
	v_lshl_or_b32 v5, v5, 10, v6
	s_add_i32 s1, s1, s24
	s_lshl_b64 s[24:25], s[20:21], 2
	s_mov_b32 s59, 0x3020706
	s_mul_i32 s0, s33, s22
	v_lshlrev_b32_e32 v7, 1, v7
	v_or3_b32 v75, v24, v25, s26
	v_xor_b32_e32 v6, 8, v5
	v_xor_b32_e32 v24, 24, v5
	;; [unrolled: 1-line block ×4, first 2 shown]
	s_add_u32 s21, s10, s24
	v_or3_b32 v76, v7, v25, s26
	v_xor_b32_e32 v7, 16, v5
	v_xor_b32_e32 v25, 32, v5
	v_xor_b32_e32 v27, 48, v5
	v_add_u32_e32 v6, 0x80, v6
	v_add_u32_e32 v24, 0x80, v24
	;; [unrolled: 1-line block ×4, first 2 shown]
	s_addc_u32 s24, s11, s25
	s_lshl_b64 s[0:1], s[0:1], 2
	s_add_u32 s42, s21, s0
	s_movk_i32 s0, 0xf8
	s_addc_u32 s43, s24, s1
	s_ashr_i32 s37, s36, 31
	s_lshl_b32 s30, s19, 7
	v_mov_b32_e32 v47, 0
	s_mov_b32 s60, 0
	v_add_u32_e32 v87, v45, v2
	s_mov_b32 s21, 0x7060302
	v_mov_b32_e32 v98, 0x3fb8aa3b
	v_mov_b32_e32 v52, v47
	;; [unrolled: 1-line block ×7, first 2 shown]
	s_waitcnt vmcnt(1)
	v_perm_b32 v29, v8, v16, s58
	s_waitcnt vmcnt(0)
	v_perm_b32 v30, v12, v20, s58
	v_perm_b32 v8, v8, v16, s59
	;; [unrolled: 1-line block ×15, first 2 shown]
	ds_write2st64_b32 v5, v29, v30 offset1:32
	ds_write2st64_b32 v6, v8, v12 offset1:32
	ds_write2st64_b32 v7, v16, v20 offset0:1 offset1:33
	ds_write2st64_b32 v24, v9, v13 offset0:1 offset1:33
	;; [unrolled: 1-line block ×6, first 2 shown]
	v_or_b32_e32 v5, v45, v1
	v_lshlrev_b32_e32 v5, 3, v5
	v_lshrrev_b32_e32 v7, 5, v60
	v_and_or_b32 v7, v5, s0, v7
	v_lshlrev_b32_e32 v7, 4, v7
	v_lshrrev_b32_e32 v6, 2, v60
	v_lshlrev_b32_e32 v11, 11, v61
	v_and_b32_e32 v5, 0x78, v5
	v_or_b32_e32 v12, 32, v7
	v_and_b32_e32 v10, 12, v6
	v_and_b32_e32 v6, 0x1000, v11
	v_lshrrev_b32_e32 v9, 1, v60
	v_xor_b32_e32 v12, v12, v5
	v_and_b32_e32 v9, 8, v9
	v_or_b32_e32 v12, v12, v6
	v_xor_b32_e32 v8, v7, v5
	v_xor_b32_e32 v79, v12, v9
	v_or_b32_e32 v12, 64, v7
	v_or_b32_e32 v7, 0x60, v7
	v_xor_b32_e32 v12, v12, v5
	v_xor_b32_e32 v5, v7, v5
	v_or_b32_e32 v5, v5, v6
	v_or_b32_e32 v12, v12, v6
	v_xor_b32_e32 v81, v5, v9
	v_lshlrev_b32_e32 v5, 1, v1
	v_xor_b32_e32 v80, v12, v9
	v_lshlrev_b32_e32 v12, 1, v4
	v_add_lshl_u32 v13, v4, s19, 1
	v_lshrrev_b32_e32 v4, 4, v0
	s_lshl_b64 s[0:1], s[36:37], 8
	v_or_b32_e32 v15, 1, v5
	s_add_u32 s0, s12, s0
	v_xor_b32_e32 v5, v4, v5
	v_xor_b32_e32 v15, v15, v4
	s_addc_u32 s1, s13, s1
	v_lshlrev_b32_e32 v5, 3, v5
	v_lshlrev_b32_e32 v46, 8, v4
	;; [unrolled: 1-line block ×3, first 2 shown]
	v_lshrrev_b32_e32 v19, 1, v0
	v_or3_b32 v83, v5, v46, s26
	v_or3_b32 v84, v4, v46, s26
	v_lshl_add_u64 v[4:5], s[0:1], 0, v[46:47]
	v_lshlrev_b32_e32 v46, 4, v1
	s_movk_i32 s0, 0xff
	v_lshlrev_b32_e32 v18, 3, v61
	v_and_b32_e32 v19, 24, v19
	v_lshl_add_u64 v[54:55], v[4:5], 0, v[46:47]
	v_and_b32_e32 v5, 8, v0
	v_cmp_lt_u32_e32 vcc, s0, v0
	v_xor_b32_e32 v20, v18, v19
	v_or_b32_e32 v21, 0x440, v20
	v_cndmask_b32_e64 v17, 0, 1, vcc
	v_cmp_eq_u32_e32 vcc, 0, v5
	v_or_b32_e32 v23, 64, v19
	v_xor_b32_e32 v23, v18, v23
	v_cndmask_b32_e32 v5, v21, v20, vcc
	v_or_b32_e32 v21, 32, v19
	v_or_b32_e32 v19, 0x60, v19
	v_xor_b32_e32 v21, v18, v21
	v_xor_b32_e32 v18, v18, v19
	v_or_b32_e32 v22, 0x440, v21
	v_xor_b32_e32 v24, 0x440, v23
	v_xor_b32_e32 v19, 0x440, v18
	v_or_b32_e32 v8, v8, v6
	v_or_b32_e32 v6, s36, v1
	v_and_b32_e32 v4, 7, v0
	v_cndmask_b32_e32 v21, v22, v21, vcc
	v_cndmask_b32_e32 v23, v24, v23, vcc
	;; [unrolled: 1-line block ×3, first 2 shown]
	v_xor_b32_e32 v77, v8, v9
	v_and_b32_e32 v8, 0x78, v63
	v_ashrrev_i32_e32 v7, 31, v6
	v_lshlrev_b32_e32 v15, 3, v4
	v_or_b32_e32 v5, v5, v11
	v_or_b32_e32 v21, v21, v11
	;; [unrolled: 1-line block ×4, first 2 shown]
	v_lshl_or_b32 v8, v62, 7, v8
	v_lshlrev_b64 v[6:7], 1, v[6:7]
	v_lshlrev_b32_e32 v17, 13, v17
	v_xor_b32_e32 v5, v5, v15
	v_xor_b32_e32 v21, v21, v15
	;; [unrolled: 1-line block ×4, first 2 shown]
	v_or_b32_e32 v78, 0x9000, v8
	v_or_b32_e32 v82, 0x9800, v8
	v_lshl_add_u64 v[8:9], s[8:9], 0, v[6:7]
	v_lshl_add_u64 v[6:7], s[14:15], 0, v[6:7]
	v_or_b32_e32 v14, 0x100, v3
	v_lshlrev_b32_e32 v16, 7, v4
	v_or_b32_e32 v4, v10, v45
	v_add_u32_e32 v20, v17, v5
	v_add_u32_e32 v22, v17, v21
	;; [unrolled: 1-line block ×4, first 2 shown]
	v_or3_b32 v10, v45, v10, 64
	v_add_u32_e32 v5, 0x2000, v5
	v_add_u32_e32 v17, 0x2000, v21
	;; [unrolled: 1-line block ×4, first 2 shown]
	v_lshlrev_b32_e32 v46, 8, v66
	v_cndmask_b32_e64 v85, v12, v3, s[2:3]
	v_cndmask_b32_e64 v86, v13, v14, s[2:3]
	v_lshl_add_u64 v[56:57], v[8:9], 0, v[46:47]
	v_lshl_add_u64 v[58:59], v[6:7], 0, v[46:47]
	s_movk_i32 s26, 0x4000
	v_lshlrev_b32_e32 v88, 2, v4
	v_add_u32_e32 v89, v20, v16
	v_add_u32_e32 v90, v22, v16
	v_add_u32_e32 v91, v24, v16
	v_add_u32_e32 v92, v15, v16
	v_lshlrev_b32_e32 v93, 2, v10
	v_add_u32_e32 v94, v5, v16
	v_add_u32_e32 v95, v17, v16
	;; [unrolled: 1-line block ×4, first 2 shown]
	v_mov_b32_e32 v46, v47
	s_waitcnt lgkmcnt(0)
	s_barrier
.LBB711_6:                              ; =>This Inner Loop Header: Depth=1
	s_add_i32 s37, s60, 1
	s_cmp_lt_i32 s37, s47
	s_mov_b64 s[28:29], 0
	s_cselect_b64 s[2:3], -1, 0
	s_cmp_ge_i32 s37, s47
	s_mov_b64 s[24:25], 0
	s_cbranch_scc1 .LBB711_8
; %bb.7:                                ;   in Loop: Header=BB711_6 Depth=1
	s_add_i32 s0, s54, 64
	s_ashr_i32 s1, s0, 31
	s_add_u32 s0, s51, s0
	s_addc_u32 s1, s50, s1
	s_lshl_b64 s[0:1], s[0:1], 8
	s_add_u32 s24, s6, s0
	s_addc_u32 s25, s7, s1
.LBB711_8:                              ;   in Loop: Header=BB711_6 Depth=1
	v_cndmask_b32_e64 v2, 0, 1, s[2:3]
	v_cmp_ne_u32_e64 s[0:1], 1, v2
	s_andn2_b64 vcc, exec, s[2:3]
	s_cbranch_vccnz .LBB711_10
; %bb.9:                                ;   in Loop: Header=BB711_6 Depth=1
	s_add_i32 s2, s54, 64
	s_mul_hi_i32 s3, s2, s18
	s_mul_i32 s2, s2, s18
	s_add_u32 s2, s2, s53
	s_addc_u32 s3, s3, s56
	s_lshl_b64 s[2:3], s[2:3], 8
	s_add_u32 s28, s4, s2
	s_addc_u32 s29, s5, s3
.LBB711_10:                             ;   in Loop: Header=BB711_6 Depth=1
	v_perm_b32 v3, v53, v52, s21
	v_perm_b32 v2, v47, v46, s21
	;; [unrolled: 1-line block ×4, first 2 shown]
	ds_write_b64 v73, v[2:3]
	ds_write_b64 v74, v[4:5]
	;; [unrolled: 1-line block ×4, first 2 shown]
	s_waitcnt lgkmcnt(0)
	s_barrier
	ds_read_b64 v[10:11], v77 offset:16384
	ds_read_b64 v[12:13], v79 offset:16384
	ds_read2st64_b64 v[2:5], v78 offset1:1
	s_waitcnt lgkmcnt(0)
	v_mfma_f32_16x16x16_bf16 a[0:3], v[10:11], v[2:3], 0
	ds_read2st64_b64 v[6:9], v78 offset0:2 offset1:3
	ds_read_b64 v[14:15], v80 offset:16384
	ds_read_b64 v[2:3], v81 offset:16384
	s_add_i32 s61, s54, 63
	v_mfma_f32_16x16x16_bf16 a[0:3], v[12:13], v[4:5], a[0:3]
	s_ashr_i32 s2, s61, 31
	s_mul_i32 s3, s61, s35
	s_mul_hi_u32 s31, s61, s34
	s_waitcnt lgkmcnt(1)
	v_mfma_f32_16x16x16_bf16 a[0:3], v[14:15], v[6:7], a[0:3]
	s_add_i32 s3, s31, s3
	s_mul_i32 s2, s2, s34
	s_add_i32 s3, s3, s2
	s_mul_i32 s2, s61, s34
	s_waitcnt lgkmcnt(0)
	v_mfma_f32_16x16x16_bf16 a[0:3], v[2:3], v[8:9], a[0:3]
	s_lshl_b64 s[2:3], s[2:3], 2
	s_add_u32 s2, s42, s2
	s_addc_u32 s3, s43, s3
	s_and_b64 vcc, exec, s[0:1]
	v_mov_b32_e32 v101, 0
	v_mov_b32_e32 v100, 0
	;; [unrolled: 1-line block ×19, first 2 shown]
	s_cbranch_vccnz .LBB711_12
; %bb.11:                               ;   in Loop: Header=BB711_6 Depth=1
	s_and_b32 s25, s25, 0xffff
	buffer_load_dwordx4 v[14:17], v69, s[24:27], 0 offen
	buffer_load_dwordx4 v[10:13], v69, s[24:27], s57 offen
	;; [unrolled: 1-line block ×4, first 2 shown]
	v_mov_b32_e32 v100, v71
	v_mov_b32_e32 v99, v72
.LBB711_12:                             ;   in Loop: Header=BB711_6 Depth=1
	v_add_u32_e32 v22, s54, v87
	v_ashrrev_i32_e32 v18, 31, v22
	v_mul_lo_u32 v20, v18, s34
	v_mul_lo_u32 v21, v22, s35
	v_mad_u64_u32 v[18:19], s[24:25], v22, s34, 0
	v_add3_u32 v19, v19, v21, v20
	v_lshl_add_u64 v[18:19], v[18:19], 2, s[42:43]
	global_load_dword v34, v[18:19], off
	v_add_u32_e32 v18, 1, v22
	v_ashrrev_i32_e32 v19, 31, v18
	v_mul_lo_u32 v20, v19, s34
	v_mul_lo_u32 v21, v18, s35
	v_mad_u64_u32 v[18:19], s[24:25], v18, s34, 0
	v_add3_u32 v19, v19, v21, v20
	v_add_u32_e32 v20, 2, v22
	v_ashrrev_i32_e32 v21, 31, v20
	v_mul_lo_u32 v23, v21, s34
	v_mul_lo_u32 v24, v20, s35
	v_mad_u64_u32 v[20:21], s[24:25], v20, s34, 0
	v_add_u32_e32 v22, 3, v22
	v_add3_u32 v21, v21, v24, v23
	v_ashrrev_i32_e32 v23, 31, v22
	v_mul_lo_u32 v26, v23, s34
	v_mul_lo_u32 v27, v22, s35
	v_mad_u64_u32 v[22:23], s[24:25], v22, s34, 0
	s_ashr_i32 s25, s54, 31
	s_add_u32 s24, s51, s54
	s_addc_u32 s25, s50, s25
	s_lshl_b64 s[24:25], s[24:25], 8
	v_lshl_add_u64 v[18:19], v[18:19], 2, s[42:43]
	v_lshl_add_u64 v[24:25], v[56:57], 0, s[24:25]
	v_add3_u32 v23, v23, v27, v26
	v_lshl_add_u64 v[20:21], v[20:21], 2, s[42:43]
	global_load_ushort v35, v[24:25], off
	global_load_ushort v36, v[24:25], off offset:256
	global_load_ushort v37, v[24:25], off offset:512
	;; [unrolled: 1-line block ×3, first 2 shown]
	v_lshl_add_u64 v[22:23], v[22:23], 2, s[42:43]
	global_load_dword v39, v[18:19], off
	global_load_dword v40, v[20:21], off
	;; [unrolled: 1-line block ×3, first 2 shown]
	ds_read_b64 v[22:23], v77 offset:24576
	ds_read_b64 v[28:29], v79 offset:24576
	ds_read2st64_b64 v[18:21], v82 offset1:1
	s_waitcnt lgkmcnt(0)
	v_mfma_f32_16x16x16_bf16 a[0:3], v[22:23], v[18:19], a[0:3]
	s_load_dword s2, s[2:3], 0x0
	ds_read2st64_b64 v[24:27], v82 offset0:2 offset1:3
	ds_read_b64 v[30:31], v80 offset:24576
	ds_read_b64 v[32:33], v81 offset:24576
	v_mov_b32_e32 v102, 0
	v_mfma_f32_16x16x16_bf16 a[0:3], v[28:29], v[20:21], a[0:3]
	v_mov_b32_e32 v18, 0
	v_mov_b32_e32 v19, 0
	;; [unrolled: 1-line block ×3, first 2 shown]
	s_waitcnt lgkmcnt(0)
	v_mfma_f32_16x16x16_bf16 a[0:3], v[30:31], v[24:25], a[0:3]
	v_lshl_add_u64 v[24:25], v[58:59], 0, s[24:25]
	v_mov_b32_e32 v21, 0
	v_mov_b32_e32 v22, 0
	v_mfma_f32_16x16x16_bf16 a[0:3], v[32:33], v[26:27], a[0:3]
	v_mov_b32_e32 v23, 0
	s_and_b64 vcc, exec, s[0:1]
	s_waitcnt vmcnt(7)
	v_sub_f32_e32 v34, s2, v34
	s_nop 2
	v_accvgpr_read_b32 v29, a1
	v_accvgpr_read_b32 v27, a3
	;; [unrolled: 1-line block ×4, first 2 shown]
	v_mul_f32_e32 v34, 0x3fb8aa3b, v34
	s_waitcnt vmcnt(6)
	v_lshlrev_b32_e32 v30, 16, v35
	s_waitcnt vmcnt(5)
	v_lshlrev_b32_e32 v31, 16, v36
	;; [unrolled: 2-line block ×4, first 2 shown]
	s_waitcnt vmcnt(2)
	v_sub_f32_e32 v35, s2, v39
	s_waitcnt vmcnt(1)
	v_sub_f32_e32 v36, s2, v40
	;; [unrolled: 2-line block ×3, first 2 shown]
	v_pk_add_f32 v[28:29], v[30:31], v[28:29] neg_lo:[0,1] neg_hi:[0,1]
	v_pk_add_f32 v[26:27], v[32:33], v[26:27] neg_lo:[0,1] neg_hi:[0,1]
	v_mul_f32_e32 v31, 0x3fb8aa3b, v35
	v_mul_f32_e32 v32, 0x3fb8aa3b, v36
	;; [unrolled: 1-line block ×3, first 2 shown]
	v_exp_f32_e32 v30, v34
	v_exp_f32_e32 v31, v31
	;; [unrolled: 1-line block ×4, first 2 shown]
	global_store_short_d16_hi v[24:25], v28, off
	global_store_short_d16_hi v[24:25], v29, off offset:256
	global_store_short_d16_hi v[24:25], v26, off offset:512
	;; [unrolled: 1-line block ×3, first 2 shown]
	v_pk_mul_f32 v[24:25], v[30:31], v[28:29]
	v_pk_mul_f32 v[26:27], v[32:33], v[26:27]
	v_perm_b32 v24, v25, v24, s21
	v_perm_b32 v25, v27, v26, s21
	ds_write_b64 v74, v[24:25]
	v_mov_b32_e32 v24, 0
	v_mov_b32_e32 v25, 0
	;; [unrolled: 1-line block ×10, first 2 shown]
	s_cbranch_vccnz .LBB711_14
; %bb.13:                               ;   in Loop: Header=BB711_6 Depth=1
	s_and_b32 s29, s29, 0xffff
	s_mov_b32 s31, s27
	buffer_load_dwordx4 v[30:33], v85, s[28:31], 0 offen
	buffer_load_dwordx4 v[22:25], v85, s[28:31], s57 offen
	;; [unrolled: 1-line block ×4, first 2 shown]
	v_mov_b32_e32 v101, v68
	v_mov_b32_e32 v102, v67
.LBB711_14:                             ;   in Loop: Header=BB711_6 Depth=1
	s_waitcnt lgkmcnt(0)
	s_barrier
	ds_read_b64 v[34:35], v89
	ds_read_b64 v[40:41], v90
	ds_read2st64_b64 v[36:39], v82 offset1:1
	ds_read2st64_b64 v[104:107], v82 offset0:2 offset1:3
	ds_read_b64 v[42:43], v91
	ds_read_b64 v[112:113], v92
	s_add_i32 s3, s48, s60
	s_mul_hi_i32 s25, s3, s52
	s_mul_i32 s3, s3, s52
	s_waitcnt lgkmcnt(3)
	v_mfma_f32_16x16x16_bf16 a[0:3], v[34:35], v[36:37], 0
	ds_read_b64 v[34:35], v94
	s_add_u32 s24, s3, s33
	s_addc_u32 s25, s25, s55
	v_mfma_f32_16x16x16_bf16 a[0:3], v[40:41], v[38:39], a[0:3]
	ds_read_b64 v[40:41], v95
	s_lshl_b64 s[24:25], s[24:25], 15
	s_mul_i32 s28, s61, s52
	s_mul_hi_i32 s3, s61, s52
	s_add_u32 s28, s28, s33
	s_addc_u32 s29, s3, s55
	s_lshl_b64 s[28:29], s[28:29], 9
	s_add_u32 s28, s40, s28
	s_waitcnt lgkmcnt(1)
	v_mfma_f32_16x16x16_bf16 a[4:7], v[34:35], v[36:37], 0
	s_addc_u32 s29, s41, s29
	s_and_b64 vcc, exec, s[0:1]
	v_mfma_f32_16x16x16_bf16 a[0:3], v[42:43], v[104:105], a[0:3]
	ds_read_b64 v[42:43], v96
	ds_read_b64 v[114:115], v97
	global_load_dwordx4 v[34:37], v93, s[28:29]
	s_waitcnt lgkmcnt(2)
	v_mfma_f32_16x16x16_bf16 a[4:7], v[40:41], v[38:39], a[4:7]
	global_load_dwordx4 v[38:41], v88, s[28:29]
	ds_read_b64 v[108:109], v83
	ds_read_b64 v[110:111], v84
	s_waitcnt lgkmcnt(3)
	v_mfma_f32_16x16x16_bf16 a[8:11], v[42:43], v[104:105], a[4:7]
	v_lshl_add_u64 v[42:43], v[54:55], 0, s[24:25]
	s_waitcnt lgkmcnt(0)
	global_store_dwordx4 v[42:43], v[108:111], off
	v_mfma_f32_16x16x16_bf16 a[4:7], v[112:113], v[106:107], a[0:3]
	s_waitcnt vmcnt(2)
	v_mov_b32_e32 v44, v37
	v_mfma_f32_16x16x16_bf16 a[0:3], v[114:115], v[106:107], a[8:11]
	v_mov_b32_e32 v43, v36
	v_mov_b32_e32 v42, v35
	s_cbranch_vccnz .LBB711_16
; %bb.15:                               ;   in Loop: Header=BB711_6 Depth=1
	v_lshrrev_b32_e32 v35, 3, v101
	v_and_b32_e32 v35, 6, v35
	v_xor_b32_e32 v36, v35, v102
	v_lshlrev_b32_e32 v36, 2, v36
	v_and_b32_e32 v37, 8, v101
	v_xor_b32_e32 v101, 0x440, v36
	v_cmp_eq_u32_e32 vcc, 0, v37
	v_perm_b32 v37, v22, v18, s58
	s_nop 0
	v_cndmask_b32_e32 v36, v101, v36, vcc
	v_lshl_or_b32 v35, v35, 10, v36
	v_perm_b32 v36, v30, v26, s58
	s_barrier
	ds_write2st64_b32 v35, v36, v37 offset1:32
	v_xor_b32_e32 v36, 8, v35
	v_perm_b32 v26, v30, v26, s59
	v_perm_b32 v18, v22, v18, s59
	v_add_u32_e32 v22, 0x80, v36
	ds_write2st64_b32 v22, v26, v18 offset1:32
	v_xor_b32_e32 v18, 16, v35
	v_perm_b32 v22, v31, v27, s58
	v_perm_b32 v26, v23, v19, s58
	ds_write2st64_b32 v18, v22, v26 offset0:1 offset1:33
	v_xor_b32_e32 v18, 24, v35
	v_perm_b32 v22, v31, v27, s59
	v_perm_b32 v19, v23, v19, s59
	v_add_u32_e32 v18, 0x80, v18
	ds_write2st64_b32 v18, v22, v19 offset0:1 offset1:33
	v_xor_b32_e32 v18, 32, v35
	v_perm_b32 v19, v32, v28, s58
	v_perm_b32 v22, v24, v20, s58
	ds_write2st64_b32 v18, v19, v22 offset0:2 offset1:34
	v_xor_b32_e32 v18, 40, v35
	v_perm_b32 v19, v32, v28, s59
	v_perm_b32 v20, v24, v20, s59
	v_add_u32_e32 v18, 0x80, v18
	ds_write2st64_b32 v18, v19, v20 offset0:2 offset1:34
	;; [unrolled: 9-line block ×3, first 2 shown]
	ds_write_b64 v100, v[14:15] offset:16384
	v_xor_b32_e32 v14, 8, v100
	ds_write_b64 v14, v[16:17] offset:16384
	ds_write_b64 v100, v[10:11] offset:24576
	;; [unrolled: 1-line block ×4, first 2 shown]
	v_xor_b32_e32 v6, 8, v99
	ds_write_b64 v6, v[8:9] offset:16384
	ds_write_b64 v99, v[2:3] offset:24576
	;; [unrolled: 1-line block ×3, first 2 shown]
.LBB711_16:                             ;   in Loop: Header=BB711_6 Depth=1
	v_mul_f32_e32 v6, s2, v98
	v_exp_f32_e32 v10, v6
	s_waitcnt vmcnt(1)
	v_mul_f32_e32 v6, 0x3fb8aa3b, v38
	v_exp_f32_e32 v12, v6
	v_mul_f32_e32 v6, 0x3fb8aa3b, v39
	v_exp_f32_e32 v13, v6
	;; [unrolled: 2-line block ×4, first 2 shown]
	v_accvgpr_read_b32 v2, a4
	v_accvgpr_read_b32 v3, a5
	v_pk_mul_f32 v[12:13], v[10:11], v[12:13] op_sel_hi:[0,1]
	v_pk_fma_f32 v[46:47], v[46:47], v[12:13], v[2:3]
	v_pk_mul_f32 v[2:3], v[10:11], v[14:15] op_sel_hi:[0,1]
	v_mul_f32_e32 v11, 0x3fb8aa3b, v34
	v_exp_f32_e32 v12, v11
	v_mul_f32_e32 v11, 0x3fb8aa3b, v42
	v_exp_f32_e32 v13, v11
	;; [unrolled: 2-line block ×4, first 2 shown]
	v_accvgpr_read_b32 v4, a6
	v_accvgpr_read_b32 v5, a7
	;; [unrolled: 1-line block ×5, first 2 shown]
	v_pk_fma_f32 v[52:53], v[52:53], v[2:3], v[4:5]
	v_pk_mul_f32 v[2:3], v[10:11], v[12:13] op_sel_hi:[0,1]
	v_accvgpr_read_b32 v8, a2
	v_pk_fma_f32 v[50:51], v[50:51], v[2:3], v[6:7]
	v_pk_mul_f32 v[2:3], v[10:11], v[14:15] op_sel_hi:[0,1]
	s_add_i32 s54, s54, 64
	s_cmp_eq_u32 s47, s37
	v_pk_fma_f32 v[48:49], v[48:49], v[2:3], v[8:9]
	s_cbranch_scc1 .LBB711_18
; %bb.17:                               ;   in Loop: Header=BB711_6 Depth=1
	s_mov_b32 s60, s37
	s_branch .LBB711_6
.LBB711_18:
	s_lshl_b32 s0, s47, 6
	s_sub_i32 s42, s49, s0
	s_cmp_gt_i32 s42, 0
	s_cbranch_scc0 .LBB711_75
; %bb.19:
	s_add_i32 s38, s0, s38
	s_ashr_i32 s2, s38, 31
	s_cmpk_lg_i32 s19, 0x80
	s_cselect_b64 s[30:31], -1, 0
	s_and_b64 vcc, exec, s[30:31]
	s_cbranch_vccz .LBB711_21
; %bb.20:
	s_mul_i32 s1, s38, s18
	s_ashr_i32 s3, s53, 31
	s_mul_hi_i32 s0, s38, s18
	s_add_u32 s40, s1, s53
	s_addc_u32 s41, s0, s3
	s_cbranch_execz .LBB711_22
	s_branch .LBB711_23
.LBB711_21:
                                        ; implicit-def: $sgpr40_sgpr41
.LBB711_22:
	s_mul_i32 s1, s53, s16
	s_mul_hi_i32 s0, s53, s16
	s_add_u32 s40, s1, s38
	s_addc_u32 s41, s0, s2
.LBB711_23:
	s_add_i32 s3, s47, s48
	s_ashr_i32 s16, s33, 31
	s_add_u32 s0, s51, s38
	s_addc_u32 s1, s50, s2
	s_mov_b32 s2, 0x7060302
	v_lshlrev_b32_e32 v6, 3, v1
	s_lshl_b64 s[28:29], s[0:1], 8
	v_perm_b32 v3, v53, v52, s2
	v_perm_b32 v2, v47, v46, s2
	;; [unrolled: 1-line block ×4, first 2 shown]
	v_lshlrev_b32_e32 v34, 2, v1
	v_lshl_or_b32 v6, v66, 5, v6
	s_add_u32 s0, s6, s28
	ds_write2st64_b64 v6, v[2:3], v[4:5] offset0:72 offset1:76
	v_xor_b32_e32 v6, v66, v34
	v_lshlrev_b32_e32 v7, 8, v1
	s_addc_u32 s1, s7, s29
	v_lshl_or_b32 v6, v6, 1, v7
	s_mul_hi_i32 s6, s3, s17
	s_mul_i32 s3, s3, s17
	ds_write_b64 v6, v[2:3] offset:32768
	v_xor_b32_e32 v2, v65, v34
	s_add_u32 s2, s3, s33
	v_lshl_or_b32 v2, v2, 1, v7
	s_addc_u32 s3, s6, s16
	v_lshlrev_b32_e32 v3, 1, v1
	ds_write_b64 v2, v[4:5] offset:32768
	v_lshrrev_b32_e32 v2, 4, v0
	s_ashr_i32 s37, s36, 31
	s_lshl_b64 s[2:3], s[2:3], 15
	v_or_b32_e32 v4, 1, v3
	s_add_u32 s6, s12, s2
	v_xor_b32_e32 v3, v2, v3
	v_xor_b32_e32 v4, v4, v2
	v_lshlrev_b32_e32 v6, 8, v2
	s_addc_u32 s7, s13, s3
	s_lshl_b64 s[2:3], s[36:37], 8
	v_lshl_or_b32 v2, v3, 3, v6
	v_lshl_or_b32 v4, v4, 3, v6
	s_waitcnt lgkmcnt(0)
	s_barrier
	s_add_u32 s2, s6, s2
	ds_read_b64 v[2:3], v2 offset:32768
	ds_read_b64 v[4:5], v4 offset:32768
	s_addc_u32 s3, s7, s3
	v_mov_b32_e32 v7, 0
	s_cmp_lg_u32 s42, 64
	v_lshl_add_u64 v[8:9], s[2:3], 0, v[6:7]
	v_lshlrev_b32_e32 v6, 4, v1
	s_cselect_b64 s[6:7], -1, 0
	v_lshl_or_b32 v35, v61, 3, v64
	s_mov_b32 s24, 0
	v_lshl_add_u64 v[6:7], v[8:9], 0, v[6:7]
	v_or_b32_e32 v19, 32, v35
	v_and_b32_e32 v18, 56, v63
	s_and_b64 vcc, exec, s[6:7]
	s_waitcnt lgkmcnt(0)
	global_store_dwordx4 v[6:7], v[2:5], off
	s_cbranch_vccz .LBB711_29
; %bb.24:
	s_mov_b32 s25, s24
	s_mov_b32 s26, s24
	;; [unrolled: 1-line block ×3, first 2 shown]
	v_mov_b64_e32 v[6:7], s[24:25]
	v_mov_b64_e32 v[8:9], s[26:27]
	;; [unrolled: 1-line block ×3, first 2 shown]
	v_cmp_gt_i32_e32 vcc, s42, v35
	v_mov_b64_e32 v[4:5], v[8:9]
	s_and_saveexec_b64 s[2:3], vcc
	s_cbranch_execz .LBB711_26
; %bb.25:
	v_lshlrev_b32_e32 v2, 8, v35
	v_mov_b32_e32 v3, 0
	v_lshl_add_u64 v[4:5], s[0:1], 0, v[2:3]
	v_lshlrev_b32_e32 v2, 1, v18
	v_lshl_add_u64 v[10:11], v[4:5], 0, v[2:3]
	global_load_dwordx4 v[6:9], v[10:11], off
	global_load_dwordx4 v[2:5], v[10:11], off offset:128
.LBB711_26:
	s_or_b64 exec, exec, s[2:3]
	s_mov_b32 s25, s24
	s_mov_b32 s26, s24
	;; [unrolled: 1-line block ×3, first 2 shown]
	v_mov_b64_e32 v[14:15], s[24:25]
	v_mov_b64_e32 v[16:17], s[26:27]
	;; [unrolled: 1-line block ×3, first 2 shown]
	v_cmp_gt_i32_e32 vcc, s42, v19
	v_lshlrev_b32_e32 v20, 7, v19
	v_mov_b64_e32 v[12:13], v[16:17]
	s_and_saveexec_b64 s[2:3], vcc
	s_cbranch_execz .LBB711_28
; %bb.27:
	v_lshlrev_b32_e32 v10, 1, v20
	v_mov_b32_e32 v11, 0
	v_lshl_add_u64 v[12:13], s[0:1], 0, v[10:11]
	v_lshlrev_b32_e32 v10, 1, v18
	v_lshl_add_u64 v[22:23], v[12:13], 0, v[10:11]
	global_load_dwordx4 v[14:17], v[22:23], off
	global_load_dwordx4 v[10:13], v[22:23], off offset:128
.LBB711_28:
	s_or_b64 exec, exec, s[2:3]
	v_lshrrev_b32_e32 v21, 3, v18
	v_lshlrev_b32_e32 v22, 3, v35
	v_or_b32_e32 v21, v22, v21
	v_lshlrev_b32_e32 v21, 4, v21
	v_and_b32_e32 v22, 0x78, v22
	v_xor_b32_e32 v21, v21, v22
	s_branch .LBB711_31
.LBB711_29:
                                        ; implicit-def: $vgpr21
                                        ; implicit-def: $vgpr20
                                        ; implicit-def: $vgpr6_vgpr7_vgpr8_vgpr9
                                        ; implicit-def: $vgpr2_vgpr3_vgpr4_vgpr5
                                        ; implicit-def: $vgpr14_vgpr15_vgpr16_vgpr17
                                        ; implicit-def: $vgpr10_vgpr11_vgpr12_vgpr13
	s_cbranch_execz .LBB711_31
; %bb.30:
	s_waitcnt vmcnt(0)
	v_lshlrev_b32_e32 v2, 1, v18
	v_lshl_or_b32 v20, v35, 8, v2
	s_and_b32 s1, s1, 0xffff
	s_mov_b32 s3, 0x20000
	s_movk_i32 s2, 0x4000
	v_lshl_or_b32 v21, v19, 8, v2
	s_movk_i32 s12, 0x80
	buffer_load_dwordx4 v[6:9], v20, s[0:3], 0 offen
	buffer_load_dwordx4 v[2:5], v20, s[0:3], s12 offen
	;; [unrolled: 1-line block ×4, first 2 shown]
	v_lshrrev_b32_e32 v20, 3, v18
	v_lshlrev_b32_e32 v21, 3, v35
	v_or_b32_e32 v20, v21, v20
	v_lshlrev_b32_e32 v20, 4, v20
	v_and_b32_e32 v21, 0x78, v21
	v_xor_b32_e32 v21, v20, v21
	v_lshlrev_b32_e32 v20, 7, v19
.LBB711_31:
	s_lshl_b64 s[0:1], s[40:41], 8
	s_add_u32 s4, s4, s0
	s_movk_i32 s0, 0x1000
	v_and_or_b32 v19, v20, s0, v21
	s_waitcnt vmcnt(1)
	ds_write_b64 v21, v[6:7] offset:16384
	v_xor_b32_e32 v6, 8, v21
	s_addc_u32 s5, s5, s1
	ds_write_b64 v6, v[8:9] offset:16384
	s_waitcnt vmcnt(0)
	ds_write_b64 v21, v[2:3] offset:24576
	ds_write_b64 v6, v[4:5] offset:24576
	;; [unrolled: 1-line block ×3, first 2 shown]
	v_xor_b32_e32 v2, 8, v19
	s_add_i32 s0, s45, s44
	ds_write_b64 v2, v[16:17] offset:16384
	ds_write_b64 v19, v[10:11] offset:24576
	;; [unrolled: 1-line block ×3, first 2 shown]
	s_add_i32 s21, s0, s46
	s_mul_i32 s0, s33, s23
	s_mul_hi_u32 s1, s33, s22
	v_or_b32_e32 v2, v45, v1
	s_add_i32 s0, s1, s0
	s_mul_i32 s1, s16, s22
	v_lshlrev_b32_e32 v2, 3, v2
	v_lshrrev_b32_e32 v4, 5, v60
	s_movk_i32 s16, 0xf8
	v_and_or_b32 v4, v2, s16, v4
	v_lshlrev_b32_e32 v3, 11, v61
	v_lshlrev_b32_e32 v12, 4, v4
	v_and_b32_e32 v13, 0x78, v2
	v_and_b32_e32 v14, 0x1000, v3
	v_lshlrev_b32_e32 v3, 2, v0
	v_xor_b32_e32 v2, v12, v13
	v_lshrrev_b32_e32 v4, 1, v60
	v_and_b32_e32 v3, 60, v3
	v_or_b32_e32 v2, v2, v14
	v_and_b32_e32 v15, 8, v4
	v_xor_b32_e32 v26, v2, v15
	v_lshl_or_b32 v2, v62, 6, v3
	v_lshlrev_b32_e32 v19, 1, v2
	v_or_b32_e32 v2, 32, v12
	v_xor_b32_e32 v2, v2, v13
	s_waitcnt lgkmcnt(0)
	s_barrier
	ds_read_b64 v[10:11], v26 offset:16384
	v_or_b32_e32 v2, v2, v14
	v_xor_b32_e32 v27, v2, v15
	v_or_b32_e32 v2, 64, v12
	v_xor_b32_e32 v2, v2, v13
	v_or_b32_e32 v2, v2, v14
	v_or_b32_e32 v12, 0x60, v12
	v_xor_b32_e32 v28, v2, v15
	ds_read2st64_b64 v[2:5], v19 offset0:72 offset1:73
	ds_read2st64_b64 v[6:9], v19 offset0:74 offset1:75
	v_xor_b32_e32 v16, v12, v13
	ds_read_b64 v[12:13], v27 offset:16384
	s_waitcnt lgkmcnt(2)
	v_mfma_f32_16x16x16_bf16 a[0:3], v[10:11], v[2:3], 0
	s_add_i32 s2, s39, -1
	s_ashr_i32 s3, s2, 31
	s_mul_i32 s12, s2, s35
	s_mul_hi_u32 s13, s2, s34
	s_add_i32 s12, s13, s12
	s_mul_i32 s3, s3, s34
	v_or_b32_e32 v14, v16, v14
	s_add_i32 s1, s0, s1
	s_add_i32 s3, s12, s3
	s_lshl_b64 s[12:13], s[20:21], 2
	v_xor_b32_e32 v36, v14, v15
	ds_read_b64 v[14:15], v28 offset:16384
	ds_read_b64 v[16:17], v36 offset:16384
	s_waitcnt lgkmcnt(2)
	v_mfma_f32_16x16x16_bf16 a[0:3], v[12:13], v[4:5], a[0:3]
	s_mul_i32 s0, s33, s22
	s_add_u32 s10, s10, s12
	s_addc_u32 s11, s11, s13
	s_lshl_b64 s[0:1], s[0:1], 2
	s_mul_i32 s2, s2, s34
	s_add_u32 s10, s10, s0
	s_addc_u32 s11, s11, s1
	s_lshl_b64 s[0:1], s[2:3], 2
	s_waitcnt lgkmcnt(1)
	v_mfma_f32_16x16x16_bf16 a[0:3], v[14:15], v[6:7], a[0:3]
	s_add_u32 s0, s10, s0
	s_addc_u32 s1, s11, s1
	s_load_dword s12, s[0:1], 0x0
	s_waitcnt lgkmcnt(0)
	v_mfma_f32_16x16x16_bf16 a[0:3], v[16:17], v[8:9], a[0:3]
	s_and_b64 vcc, exec, s[30:31]
	s_cbranch_vccz .LBB711_42
; %bb.32:
	v_lshlrev_b32_e32 v20, 1, v35
	s_and_b64 vcc, exec, s[6:7]
	s_cbranch_vccz .LBB711_43
; %bb.33:
	v_cmp_gt_i32_e32 vcc, s42, v20
	v_mov_b32_e32 v6, 0
	v_mov_b32_e32 v2, 0
	;; [unrolled: 1-line block ×5, first 2 shown]
	s_and_saveexec_b64 s[0:1], vcc
	s_cbranch_execz .LBB711_35
; %bb.34:
	v_mad_i64_i32 v[2:3], s[2:3], s19, v20, 0
	v_lshl_add_u64 v[2:3], v[2:3], 1, s[4:5]
	v_lshlrev_b32_e32 v4, 1, v18
	v_mov_b32_e32 v5, 0
	v_lshl_add_u64 v[2:3], v[2:3], 0, v[4:5]
	global_load_dwordx4 v[2:5], v[2:3], off
.LBB711_35:
	s_or_b64 exec, exec, s[0:1]
	v_or_b32_e32 v21, 1, v20
	v_cmp_gt_i32_e64 s[0:1], s42, v21
	v_mov_b32_e32 v7, 0
	v_mov_b32_e32 v8, 0
	;; [unrolled: 1-line block ×3, first 2 shown]
	s_and_saveexec_b64 s[2:3], s[0:1]
	s_cbranch_execz .LBB711_37
; %bb.36:
	v_mad_i64_i32 v[6:7], s[16:17], s19, v21, 0
	v_lshl_add_u64 v[6:7], v[6:7], 1, s[4:5]
	v_lshlrev_b32_e32 v8, 1, v18
	v_mov_b32_e32 v9, 0
	v_lshl_add_u64 v[6:7], v[6:7], 0, v[8:9]
	global_load_dwordx4 v[6:9], v[6:7], off
.LBB711_37:
	s_or_b64 exec, exec, s[2:3]
	v_mov_b32_e32 v17, 0
	v_mov_b32_e32 v10, 0
	;; [unrolled: 1-line block ×5, first 2 shown]
	s_and_saveexec_b64 s[2:3], vcc
	s_cbranch_execz .LBB711_39
; %bb.38:
	v_mad_i64_i32 v[10:11], s[16:17], s19, v20, 0
	v_lshl_add_u64 v[10:11], v[10:11], 1, s[4:5]
	v_lshlrev_b32_e32 v12, 1, v18
	v_mov_b32_e32 v13, 0
	v_lshl_add_u64 v[10:11], v[10:11], 0, v[12:13]
	global_load_dwordx4 v[10:13], v[10:11], off offset:128
.LBB711_39:
	s_or_b64 exec, exec, s[2:3]
	v_mov_b32_e32 v16, 0
	v_mov_b32_e32 v15, 0
	;; [unrolled: 1-line block ×3, first 2 shown]
	s_and_saveexec_b64 s[2:3], s[0:1]
	s_cbranch_execz .LBB711_41
; %bb.40:
	v_mad_i64_i32 v[14:15], s[0:1], s19, v21, 0
	v_lshl_add_u64 v[14:15], v[14:15], 1, s[4:5]
	v_lshlrev_b32_e32 v16, 1, v18
	v_mov_b32_e32 v17, 0
	v_lshl_add_u64 v[14:15], v[14:15], 0, v[16:17]
	global_load_dwordx4 v[14:17], v[14:15], off offset:128
.LBB711_41:
	s_or_b64 exec, exec, s[2:3]
	s_branch .LBB711_45
.LBB711_42:
                                        ; implicit-def: $vgpr5
                                        ; implicit-def: $vgpr9
                                        ; implicit-def: $vgpr13
                                        ; implicit-def: $vgpr17
	v_lshrrev_b32_e32 v37, 2, v60
	s_branch .LBB711_46
.LBB711_43:
                                        ; implicit-def: $vgpr5
                                        ; implicit-def: $vgpr9
                                        ; implicit-def: $vgpr13
                                        ; implicit-def: $vgpr17
	s_cbranch_execz .LBB711_45
; %bb.44:
	s_waitcnt vmcnt(0)
	v_mad_u64_u32 v[2:3], s[0:1], v20, s19, v[18:19]
	v_lshlrev_b32_e32 v20, 1, v2
	s_lshl_b32 s2, s19, 7
	s_and_b32 s1, s5, 0xffff
	s_mov_b32 s3, 0x20000
	s_mov_b32 s0, s4
	v_add_lshl_u32 v21, v2, s19, 1
	s_movk_i32 s13, 0x80
	buffer_load_dwordx4 v[2:5], v20, s[0:3], 0 offen
	buffer_load_dwordx4 v[10:13], v20, s[0:3], s13 offen
	;; [unrolled: 1-line block ×4, first 2 shown]
.LBB711_45:
	v_lshrrev_b32_e32 v37, 2, v60
	s_cbranch_execnz .LBB711_58
.LBB711_46:
	s_and_b64 vcc, exec, s[6:7]
	s_cbranch_vccz .LBB711_56
; %bb.47:
	s_waitcnt vmcnt(0)
	v_lshlrev_b32_e32 v7, 1, v35
	v_cmp_gt_i32_e32 vcc, s42, v7
	v_mov_b32_e32 v6, 0
	v_lshlrev_b32_e32 v14, 9, v35
	v_mov_b32_e32 v2, 0
	v_mov_b32_e32 v3, 0
	v_mov_b32_e32 v4, 0
	v_mov_b32_e32 v5, 0
	s_and_saveexec_b64 s[0:1], vcc
	s_cbranch_execz .LBB711_49
; %bb.48:
	v_mov_b32_e32 v15, 0
	v_lshl_add_u64 v[2:3], s[4:5], 0, v[14:15]
	v_lshlrev_b32_e32 v4, 1, v18
	v_mov_b32_e32 v5, v15
	v_lshl_add_u64 v[2:3], v[2:3], 0, v[4:5]
	global_load_dwordx4 v[2:5], v[2:3], off
.LBB711_49:
	s_or_b64 exec, exec, s[0:1]
	v_or_b32_e32 v7, 1, v7
	v_cmp_gt_i32_e64 s[0:1], s42, v7
	v_lshlrev_b32_e32 v20, 8, v7
	v_mov_b32_e32 v7, 0
	v_mov_b32_e32 v8, 0
	;; [unrolled: 1-line block ×3, first 2 shown]
	s_and_saveexec_b64 s[2:3], s[0:1]
	s_cbranch_execz .LBB711_51
; %bb.50:
	v_mov_b32_e32 v21, 0
	v_lshl_add_u64 v[6:7], s[4:5], 0, v[20:21]
	v_lshlrev_b32_e32 v8, 1, v18
	v_mov_b32_e32 v9, v21
	v_lshl_add_u64 v[6:7], v[6:7], 0, v[8:9]
	global_load_dwordx4 v[6:9], v[6:7], off
.LBB711_51:
	s_or_b64 exec, exec, s[2:3]
	v_mov_b32_e32 v17, 0
	v_mov_b32_e32 v10, 0
	;; [unrolled: 1-line block ×5, first 2 shown]
	s_and_saveexec_b64 s[2:3], vcc
	s_cbranch_execz .LBB711_53
; %bb.52:
	v_mov_b32_e32 v15, 0
	v_lshl_add_u64 v[10:11], s[4:5], 0, v[14:15]
	v_lshlrev_b32_e32 v14, 1, v18
	v_lshl_add_u64 v[10:11], v[10:11], 0, v[14:15]
	global_load_dwordx4 v[10:13], v[10:11], off offset:128
.LBB711_53:
	s_or_b64 exec, exec, s[2:3]
	v_mov_b32_e32 v16, 0
	v_mov_b32_e32 v15, 0
	;; [unrolled: 1-line block ×3, first 2 shown]
	s_and_saveexec_b64 s[2:3], s[0:1]
	s_cbranch_execz .LBB711_55
; %bb.54:
	v_mov_b32_e32 v21, 0
	v_lshl_add_u64 v[14:15], s[4:5], 0, v[20:21]
	v_lshlrev_b32_e32 v20, 1, v18
	v_lshl_add_u64 v[14:15], v[14:15], 0, v[20:21]
	global_load_dwordx4 v[14:17], v[14:15], off offset:128
.LBB711_55:
	s_or_b64 exec, exec, s[2:3]
	s_branch .LBB711_58
.LBB711_56:
                                        ; implicit-def: $vgpr5
                                        ; implicit-def: $vgpr9
                                        ; implicit-def: $vgpr13
                                        ; implicit-def: $vgpr17
	s_cbranch_execz .LBB711_58
; %bb.57:
	s_waitcnt vmcnt(0)
	v_lshlrev_b32_e32 v2, 1, v18
	v_lshl_or_b32 v18, v35, 9, v2
	s_and_b32 s5, s5, 0xffff
	s_mov_b32 s7, 0x20000
	s_movk_i32 s6, 0x4000
	s_movk_i32 s0, 0x80
	buffer_load_dwordx4 v[2:5], v18, s[4:7], 0 offen
	buffer_load_dwordx4 v[6:9], v18, s[4:7], 0 offen offset:256
	buffer_load_dwordx4 v[10:13], v18, s[4:7], s0 offen
	buffer_load_dwordx4 v[14:17], v18, s[4:7], s0 offen offset:256
.LBB711_58:
	ds_read2st64_b64 v[22:25], v19 offset0:76 offset1:77
	ds_read2st64_b64 v[18:21], v19 offset0:78 offset1:79
	ds_read_b64 v[32:33], v26 offset:24576
	ds_read_b64 v[30:31], v27 offset:24576
	;; [unrolled: 1-line block ×4, first 2 shown]
	v_and_b32_e32 v36, 6, v0
	v_xor_b32_e32 v35, v35, v36
	v_lshlrev_b32_e32 v35, 2, v35
	v_and_b32_e32 v0, 1, v0
	v_xor_b32_e32 v38, 0x440, v35
	v_cmp_eq_u32_e32 vcc, 0, v0
	s_mov_b32 s0, 0x1000504
	s_mov_b32 s1, 0x3020706
	v_cndmask_b32_e32 v0, v38, v35, vcc
	v_lshl_or_b32 v0, v36, 10, v0
	s_waitcnt vmcnt(0)
	v_perm_b32 v35, v2, v6, s0
	v_perm_b32 v36, v10, v14, s0
	ds_write2st64_b32 v0, v35, v36 offset1:32
	v_xor_b32_e32 v35, 8, v0
	v_perm_b32 v2, v2, v6, s1
	v_perm_b32 v6, v10, v14, s1
	v_add_u32_e32 v10, 0x80, v35
	ds_write2st64_b32 v10, v2, v6 offset1:32
	v_xor_b32_e32 v2, 16, v0
	v_perm_b32 v6, v3, v7, s0
	v_perm_b32 v10, v11, v15, s0
	ds_write2st64_b32 v2, v6, v10 offset0:1 offset1:33
	v_xor_b32_e32 v2, 24, v0
	v_perm_b32 v3, v3, v7, s1
	v_perm_b32 v6, v11, v15, s1
	v_add_u32_e32 v2, 0x80, v2
	ds_write2st64_b32 v2, v3, v6 offset0:1 offset1:33
	v_xor_b32_e32 v2, 32, v0
	v_perm_b32 v3, v4, v8, s0
	v_perm_b32 v6, v12, v16, s0
	ds_write2st64_b32 v2, v3, v6 offset0:2 offset1:34
	v_xor_b32_e32 v2, 40, v0
	v_perm_b32 v3, v4, v8, s1
	v_perm_b32 v4, v12, v16, s1
	v_add_u32_e32 v2, 0x80, v2
	ds_write2st64_b32 v2, v3, v4 offset0:2 offset1:34
	v_xor_b32_e32 v2, 48, v0
	v_perm_b32 v3, v5, v9, s0
	v_perm_b32 v4, v13, v17, s0
	v_xor_b32_e32 v0, 56, v0
	v_and_or_b32 v8, v37, 12, v45
	ds_write2st64_b32 v2, v3, v4 offset0:3 offset1:35
	v_perm_b32 v2, v5, v9, s1
	v_perm_b32 v3, v13, v17, s1
	v_add_u32_e32 v0, 0x80, v0
	v_cmp_gt_i32_e32 vcc, s42, v8
	v_mov_b32_e32 v9, 0
	v_mov_b32_e32 v14, 0
	ds_write2st64_b32 v0, v2, v3 offset0:3 offset1:35
	s_and_saveexec_b64 s[0:1], vcc
	s_cbranch_execz .LBB711_60
; %bb.59:
	v_add_u32_e32 v0, s38, v8
	v_ashrrev_i32_e32 v2, 31, v0
	v_mul_lo_u32 v4, v2, s34
	v_mul_lo_u32 v5, v0, s35
	v_mad_u64_u32 v[2:3], s[2:3], v0, s34, 0
	v_add3_u32 v3, v3, v5, v4
	v_lshl_add_u64 v[2:3], v[2:3], 2, s[10:11]
	global_load_dword v0, v[2:3], off
	s_waitcnt vmcnt(0)
	v_sub_f32_e32 v0, s12, v0
	v_mul_f32_e32 v0, 0x3fb8aa3b, v0
	v_exp_f32_e32 v14, v0
.LBB711_60:
	s_or_b64 exec, exec, s[0:1]
	v_or_b32_e32 v12, 1, v8
	v_cmp_gt_i32_e64 s[2:3], s42, v12
	s_and_saveexec_b64 s[0:1], s[2:3]
	s_cbranch_execz .LBB711_62
; %bb.61:
	v_add_u32_e32 v0, s38, v12
	v_ashrrev_i32_e32 v2, 31, v0
	v_mul_lo_u32 v4, v2, s34
	v_mul_lo_u32 v5, v0, s35
	v_mad_u64_u32 v[2:3], s[4:5], v0, s34, 0
	v_add3_u32 v3, v3, v5, v4
	v_lshl_add_u64 v[2:3], v[2:3], 2, s[10:11]
	global_load_dword v0, v[2:3], off
	s_waitcnt vmcnt(0)
	v_sub_f32_e32 v0, s12, v0
	v_mul_f32_e32 v0, 0x3fb8aa3b, v0
	v_exp_f32_e32 v9, v0
.LBB711_62:
	s_or_b64 exec, exec, s[0:1]
	v_or_b32_e32 v11, 2, v8
	v_cmp_gt_i32_e64 s[0:1], s42, v11
	v_mov_b32_e32 v10, 0
	v_mov_b32_e32 v15, 0
	s_and_saveexec_b64 s[4:5], s[0:1]
	s_cbranch_execz .LBB711_64
; %bb.63:
	v_add_u32_e32 v0, s38, v11
	v_ashrrev_i32_e32 v2, 31, v0
	v_mul_lo_u32 v4, v2, s34
	v_mul_lo_u32 v5, v0, s35
	v_mad_u64_u32 v[2:3], s[6:7], v0, s34, 0
	v_add3_u32 v3, v3, v5, v4
	v_lshl_add_u64 v[2:3], v[2:3], 2, s[10:11]
	global_load_dword v0, v[2:3], off
	s_waitcnt vmcnt(0)
	v_sub_f32_e32 v0, s12, v0
	v_mul_f32_e32 v0, 0x3fb8aa3b, v0
	v_exp_f32_e32 v15, v0
.LBB711_64:
	s_or_b64 exec, exec, s[4:5]
	v_or_b32_e32 v13, 3, v8
	v_cmp_gt_i32_e64 s[4:5], s42, v13
	s_and_saveexec_b64 s[6:7], s[4:5]
	s_cbranch_execz .LBB711_66
; %bb.65:
	v_add_u32_e32 v0, s38, v13
	v_ashrrev_i32_e32 v2, 31, v0
	v_mul_lo_u32 v4, v2, s34
	v_mul_lo_u32 v5, v0, s35
	v_mad_u64_u32 v[2:3], s[16:17], v0, s34, 0
	v_add3_u32 v3, v3, v5, v4
	v_lshl_add_u64 v[2:3], v[2:3], 2, s[10:11]
	global_load_dword v0, v[2:3], off
	s_waitcnt vmcnt(0)
	v_sub_f32_e32 v0, s12, v0
	v_mul_f32_e32 v0, 0x3fb8aa3b, v0
	v_exp_f32_e32 v10, v0
.LBB711_66:
	s_or_b64 exec, exec, s[6:7]
	s_waitcnt lgkmcnt(11)
	v_mfma_f32_16x16x16_bf16 a[0:3], v[32:33], v[22:23], a[0:3]
	v_or_b32_e32 v0, s36, v1
	s_add_u32 s6, s8, s28
	v_ashrrev_i32_e32 v1, 31, v0
	s_waitcnt lgkmcnt(10)
	v_mfma_f32_16x16x16_bf16 a[0:3], v[30:31], v[24:25], a[0:3]
	s_addc_u32 s7, s9, s29
	v_lshlrev_b64 v[0:1], 1, v[0:1]
	v_lshl_add_u64 v[4:5], s[6:7], 0, v[0:1]
	s_waitcnt lgkmcnt(9)
	v_mfma_f32_16x16x16_bf16 a[0:3], v[28:29], v[18:19], a[0:3]
	s_add_u32 s6, s14, s28
	s_addc_u32 s7, s15, s29
	v_lshl_add_u64 v[6:7], s[6:7], 0, v[0:1]
	s_waitcnt lgkmcnt(8)
	v_mfma_f32_16x16x16_bf16 a[0:3], v[26:27], v[20:21], a[0:3]
	v_mov_b32_e32 v16, 0
	v_mov_b32_e32 v17, 0
	s_nop 4
	v_accvgpr_read_b32 v0, a0
	v_accvgpr_read_b32 v1, a1
	;; [unrolled: 1-line block ×4, first 2 shown]
	s_and_saveexec_b64 s[6:7], vcc
	s_cbranch_execz .LBB711_68
; %bb.67:
	v_lshlrev_b32_e32 v18, 8, v8
	v_mov_b32_e32 v19, 0
	v_lshl_add_u64 v[20:21], v[4:5], 0, v[18:19]
	global_load_ushort v17, v[20:21], off
	v_lshl_add_u64 v[18:19], v[6:7], 0, v[18:19]
	s_waitcnt vmcnt(0)
	v_lshlrev_b32_e32 v17, 16, v17
	v_sub_f32_e32 v0, v17, v0
	global_store_short_d16_hi v[18:19], v0, off
	v_mul_f32_e32 v0, v14, v0
	v_lshrrev_b32_e32 v17, 16, v0
.LBB711_68:
	s_or_b64 exec, exec, s[6:7]
	s_and_saveexec_b64 s[6:7], s[2:3]
	s_cbranch_execz .LBB711_70
; %bb.69:
	v_lshlrev_b32_e32 v18, 8, v12
	v_mov_b32_e32 v19, 0
	v_lshl_add_u64 v[20:21], v[4:5], 0, v[18:19]
	global_load_ushort v0, v[20:21], off
	v_lshl_add_u64 v[18:19], v[6:7], 0, v[18:19]
	s_waitcnt vmcnt(0)
	v_lshlrev_b32_e32 v0, 16, v0
	v_sub_f32_e32 v0, v0, v1
	global_store_short_d16_hi v[18:19], v0, off
	v_mul_f32_e32 v0, v9, v0
	v_lshrrev_b32_e32 v16, 16, v0
.LBB711_70:
	s_or_b64 exec, exec, s[6:7]
	v_mov_b32_e32 v0, 0
	v_mov_b32_e32 v1, 0
	s_and_saveexec_b64 s[2:3], s[0:1]
	s_cbranch_execz .LBB711_72
; %bb.71:
	v_lshlrev_b32_e32 v18, 8, v11
	v_mov_b32_e32 v19, 0
	v_lshl_add_u64 v[20:21], v[4:5], 0, v[18:19]
	global_load_ushort v1, v[20:21], off
	v_lshl_add_u64 v[18:19], v[6:7], 0, v[18:19]
	s_waitcnt vmcnt(0)
	v_lshlrev_b32_e32 v1, 16, v1
	v_sub_f32_e32 v1, v1, v2
	global_store_short_d16_hi v[18:19], v1, off
	v_mul_f32_e32 v1, v15, v1
	v_lshrrev_b32_e32 v1, 16, v1
.LBB711_72:
	s_or_b64 exec, exec, s[2:3]
	s_and_saveexec_b64 s[0:1], s[4:5]
	s_cbranch_execz .LBB711_74
; %bb.73:
	v_lshlrev_b32_e32 v12, 8, v13
	v_mov_b32_e32 v13, 0
	v_lshl_add_u64 v[4:5], v[4:5], 0, v[12:13]
	global_load_ushort v0, v[4:5], off
	v_lshl_add_u64 v[4:5], v[6:7], 0, v[12:13]
	s_waitcnt vmcnt(0)
	v_lshlrev_b32_e32 v0, 16, v0
	v_sub_f32_e32 v0, v0, v3
	global_store_short_d16_hi v[4:5], v0, off
	v_mul_f32_e32 v0, v10, v0
	v_lshrrev_b32_e32 v0, 16, v0
.LBB711_74:
	s_or_b64 exec, exec, s[0:1]
	s_mov_b32 s0, 0x5040100
	v_lshlrev_b32_e32 v2, 1, v34
	v_perm_b32 v1, v0, v1, s0
	v_perm_b32 v0, v16, v17, s0
	v_lshl_or_b32 v2, v8, 5, v2
	ds_write_b64 v2, v[0:1] offset:38912
	s_waitcnt lgkmcnt(0)
	s_barrier
.LBB711_75:
	s_endpgm
	.section	.rodata,"a",@progbits
	.p2align	6, 0x0
	.amdhsa_kernel _ZN12_GLOBAL__N_139chunk_gated_delta_rule_fwd_h_hip_kernelILi16ELb0ELb0ELb1ELb1ELb0ELb1ELb1ELb0EEEvPK12hip_bfloat16S3_S3_PKfS5_PKvPS1_S8_PvPKiSB_iiiiilll
		.amdhsa_group_segment_fixed_size 40960
		.amdhsa_private_segment_fixed_size 0
		.amdhsa_kernarg_size 136
		.amdhsa_user_sgpr_count 2
		.amdhsa_user_sgpr_dispatch_ptr 0
		.amdhsa_user_sgpr_queue_ptr 0
		.amdhsa_user_sgpr_kernarg_segment_ptr 1
		.amdhsa_user_sgpr_dispatch_id 0
		.amdhsa_user_sgpr_kernarg_preload_length 0
		.amdhsa_user_sgpr_kernarg_preload_offset 0
		.amdhsa_user_sgpr_private_segment_size 0
		.amdhsa_uses_dynamic_stack 0
		.amdhsa_enable_private_segment 0
		.amdhsa_system_sgpr_workgroup_id_x 1
		.amdhsa_system_sgpr_workgroup_id_y 1
		.amdhsa_system_sgpr_workgroup_id_z 0
		.amdhsa_system_sgpr_workgroup_info 0
		.amdhsa_system_vgpr_workitem_id 0
		.amdhsa_next_free_vgpr 128
		.amdhsa_next_free_sgpr 62
		.amdhsa_accum_offset 116
		.amdhsa_reserve_vcc 1
		.amdhsa_float_round_mode_32 0
		.amdhsa_float_round_mode_16_64 0
		.amdhsa_float_denorm_mode_32 3
		.amdhsa_float_denorm_mode_16_64 3
		.amdhsa_dx10_clamp 1
		.amdhsa_ieee_mode 1
		.amdhsa_fp16_overflow 0
		.amdhsa_tg_split 0
		.amdhsa_exception_fp_ieee_invalid_op 0
		.amdhsa_exception_fp_denorm_src 0
		.amdhsa_exception_fp_ieee_div_zero 0
		.amdhsa_exception_fp_ieee_overflow 0
		.amdhsa_exception_fp_ieee_underflow 0
		.amdhsa_exception_fp_ieee_inexact 0
		.amdhsa_exception_int_div_zero 0
	.end_amdhsa_kernel
	.section	.text._ZN12_GLOBAL__N_139chunk_gated_delta_rule_fwd_h_hip_kernelILi16ELb0ELb0ELb1ELb1ELb0ELb1ELb1ELb0EEEvPK12hip_bfloat16S3_S3_PKfS5_PKvPS1_S8_PvPKiSB_iiiiilll,"axG",@progbits,_ZN12_GLOBAL__N_139chunk_gated_delta_rule_fwd_h_hip_kernelILi16ELb0ELb0ELb1ELb1ELb0ELb1ELb1ELb0EEEvPK12hip_bfloat16S3_S3_PKfS5_PKvPS1_S8_PvPKiSB_iiiiilll,comdat
.Lfunc_end711:
	.size	_ZN12_GLOBAL__N_139chunk_gated_delta_rule_fwd_h_hip_kernelILi16ELb0ELb0ELb1ELb1ELb0ELb1ELb1ELb0EEEvPK12hip_bfloat16S3_S3_PKfS5_PKvPS1_S8_PvPKiSB_iiiiilll, .Lfunc_end711-_ZN12_GLOBAL__N_139chunk_gated_delta_rule_fwd_h_hip_kernelILi16ELb0ELb0ELb1ELb1ELb0ELb1ELb1ELb0EEEvPK12hip_bfloat16S3_S3_PKfS5_PKvPS1_S8_PvPKiSB_iiiiilll
                                        ; -- End function
	.section	.AMDGPU.csdata,"",@progbits
; Kernel info:
; codeLenInByte = 7468
; NumSgprs: 68
; NumVgprs: 116
; NumAgprs: 12
; TotalNumVgprs: 128
; ScratchSize: 0
; MemoryBound: 0
; FloatMode: 240
; IeeeMode: 1
; LDSByteSize: 40960 bytes/workgroup (compile time only)
; SGPRBlocks: 8
; VGPRBlocks: 15
; NumSGPRsForWavesPerEU: 68
; NumVGPRsForWavesPerEU: 128
; AccumOffset: 116
; Occupancy: 1
; WaveLimiterHint : 1
; COMPUTE_PGM_RSRC2:SCRATCH_EN: 0
; COMPUTE_PGM_RSRC2:USER_SGPR: 2
; COMPUTE_PGM_RSRC2:TRAP_HANDLER: 0
; COMPUTE_PGM_RSRC2:TGID_X_EN: 1
; COMPUTE_PGM_RSRC2:TGID_Y_EN: 1
; COMPUTE_PGM_RSRC2:TGID_Z_EN: 0
; COMPUTE_PGM_RSRC2:TIDIG_COMP_CNT: 0
; COMPUTE_PGM_RSRC3_GFX90A:ACCUM_OFFSET: 28
; COMPUTE_PGM_RSRC3_GFX90A:TG_SPLIT: 0
	.section	.text._ZN12_GLOBAL__N_139chunk_gated_delta_rule_fwd_h_hip_kernelILi16ELb0ELb0ELb0ELb1ELb0ELb1ELb1ELb0EEEvPK12hip_bfloat16S3_S3_PKfS5_PKvPS1_S8_PvPKiSB_iiiiilll,"axG",@progbits,_ZN12_GLOBAL__N_139chunk_gated_delta_rule_fwd_h_hip_kernelILi16ELb0ELb0ELb0ELb1ELb0ELb1ELb1ELb0EEEvPK12hip_bfloat16S3_S3_PKfS5_PKvPS1_S8_PvPKiSB_iiiiilll,comdat
	.globl	_ZN12_GLOBAL__N_139chunk_gated_delta_rule_fwd_h_hip_kernelILi16ELb0ELb0ELb0ELb1ELb0ELb1ELb1ELb0EEEvPK12hip_bfloat16S3_S3_PKfS5_PKvPS1_S8_PvPKiSB_iiiiilll ; -- Begin function _ZN12_GLOBAL__N_139chunk_gated_delta_rule_fwd_h_hip_kernelILi16ELb0ELb0ELb0ELb1ELb0ELb1ELb1ELb0EEEvPK12hip_bfloat16S3_S3_PKfS5_PKvPS1_S8_PvPKiSB_iiiiilll
	.p2align	8
	.type	_ZN12_GLOBAL__N_139chunk_gated_delta_rule_fwd_h_hip_kernelILi16ELb0ELb0ELb0ELb1ELb0ELb1ELb1ELb0EEEvPK12hip_bfloat16S3_S3_PKfS5_PKvPS1_S8_PvPKiSB_iiiiilll,@function
_ZN12_GLOBAL__N_139chunk_gated_delta_rule_fwd_h_hip_kernelILi16ELb0ELb0ELb0ELb1ELb0ELb1ELb1ELb0EEEvPK12hip_bfloat16S3_S3_PKfS5_PKvPS1_S8_PvPKiSB_iiiiilll: ; @_ZN12_GLOBAL__N_139chunk_gated_delta_rule_fwd_h_hip_kernelILi16ELb0ELb0ELb0ELb1ELb0ELb1ELb1ELb0EEEvPK12hip_bfloat16S3_S3_PKfS5_PKvPS1_S8_PvPKiSB_iiiiilll
; %bb.0:
	s_load_dwordx4 s[12:15], s[0:1], 0x5c
	s_load_dwordx4 s[16:19], s[0:1], 0x70
	s_abs_i32 s21, s3
	s_ashr_i32 s20, s3, 31
	s_load_dwordx2 s[36:37], s[0:1], 0x30
	s_load_dwordx4 s[24:27], s[0:1], 0x48
	s_waitcnt lgkmcnt(0)
	s_abs_i32 s28, s13
	v_cvt_f32_u32_e32 v1, s28
	s_sub_i32 s22, 0, s28
	s_ashr_i32 s29, s13, 31
	s_xor_b32 s20, s20, s29
	v_rcp_iflag_f32_e32 v1, v1
	s_load_dwordx8 s[4:11], s[0:1], 0x0
	v_lshrrev_b32_e32 v59, 6, v0
	v_bfe_u32 v60, v0, 4, 2
	v_mul_f32_e32 v1, 0x4f7ffffe, v1
	v_cvt_u32_f32_e32 v1, v1
	v_lshlrev_b32_e32 v45, 4, v59
	v_lshlrev_b32_e32 v2, 2, v60
	v_and_b32_e32 v58, 63, v0
	v_readfirstlane_b32 s23, v1
	s_mul_i32 s22, s22, s23
	s_mul_hi_u32 s22, s23, s22
	s_add_i32 s23, s23, s22
	s_mul_hi_u32 s22, s21, s23
	s_mul_i32 s23, s22, s28
	s_sub_i32 s21, s21, s23
	s_add_i32 s30, s22, 1
	s_sub_i32 s23, s21, s28
	s_cmp_ge_u32 s21, s28
	s_cselect_b32 s22, s30, s22
	s_cselect_b32 s21, s23, s21
	s_add_i32 s23, s22, 1
	s_cmp_ge_u32 s21, s28
	s_cselect_b32 s21, s23, s22
	s_xor_b32 s21, s21, s20
	s_sub_i32 s20, s21, s20
	s_mul_i32 s21, s20, s13
	s_sub_i32 s33, s3, s21
	s_ashr_i32 s21, s20, 31
	s_lshl_b64 s[22:23], s[20:21], 2
	s_add_u32 s24, s24, s22
	s_addc_u32 s25, s25, s23
	s_add_u32 s22, s26, s22
	s_addc_u32 s23, s27, s23
	s_abs_i32 s3, s14
	v_cvt_f32_u32_e32 v1, s3
	s_load_dwordx2 s[34:35], s[24:25], 0x0
	s_sub_i32 s25, 0, s3
	s_load_dword s46, s[22:23], 0x0
	v_rcp_iflag_f32_e32 v1, v1
	v_or_b32_e32 v64, v2, v45
	s_waitcnt lgkmcnt(0)
	s_sub_i32 s47, s35, s34
	s_ashr_i32 s24, s47, 31
	v_mul_f32_e32 v1, 0x4f7ffffe, v1
	v_cvt_u32_f32_e32 v1, v1
	s_lshr_b32 s24, s24, 26
	s_add_i32 s24, s47, s24
	s_ashr_i32 s45, s24, 6
	v_readfirstlane_b32 s26, v1
	s_mul_i32 s25, s25, s26
	s_mul_hi_u32 s25, s26, s25
	s_add_i32 s26, s26, s25
	s_mul_hi_u32 s25, s28, s26
	s_mul_i32 s26, s25, s3
	s_ashr_i32 s24, s14, 31
	s_sub_i32 s26, s28, s26
	s_xor_b32 s24, s29, s24
	s_add_i32 s27, s25, 1
	s_sub_i32 s28, s26, s3
	s_cmp_ge_u32 s26, s3
	s_cselect_b32 s25, s27, s25
	s_cselect_b32 s26, s28, s26
	s_add_i32 s27, s25, 1
	s_cmp_ge_u32 s26, s3
	s_cselect_b32 s3, s27, s25
	s_xor_b32 s3, s3, s24
	s_sub_i32 s3, s3, s24
	s_abs_i32 s24, s3
	v_cvt_f32_u32_e32 v1, s24
	s_sub_i32 s23, 0, s24
	s_abs_i32 s22, s33
	s_xor_b32 s3, s33, s3
	v_rcp_iflag_f32_e32 v1, v1
	s_ashr_i32 s3, s3, 31
	s_load_dwordx2 s[28:29], s[0:1], 0x80
	v_mov_b32_e32 v49, 0
	v_mul_f32_e32 v1, 0x4f7ffffe, v1
	v_cvt_u32_f32_e32 v1, v1
	v_or_b32_e32 v63, 64, v64
	s_mul_hi_i32 s48, s33, s12
	s_mul_i32 s49, s33, s12
	v_readfirstlane_b32 s25, v1
	s_mul_i32 s23, s23, s25
	s_mul_hi_u32 s23, s25, s23
	s_add_i32 s25, s25, s23
	s_mul_hi_u32 s23, s22, s25
	s_mul_i32 s25, s23, s24
	s_sub_i32 s22, s22, s25
	s_add_i32 s25, s23, 1
	s_sub_i32 s26, s22, s24
	s_cmp_ge_u32 s22, s24
	s_cselect_b32 s23, s25, s23
	s_cselect_b32 s22, s26, s22
	s_add_i32 s25, s23, 1
	s_cmp_ge_u32 s22, s24
	s_cselect_b32 s22, s25, s23
	s_xor_b32 s22, s22, s3
	s_sub_i32 s51, s22, s3
	s_lshl_b32 s30, s2, 4
	v_and_b32_e32 v1, 15, v0
	s_cmp_lt_i32 s47, 64
	v_lshrrev_b32_e32 v62, 3, v58
	v_lshlrev_b32_e32 v61, 3, v0
	s_mul_i32 s42, s20, s17
	s_mul_hi_u32 s43, s20, s16
	s_mul_i32 s44, s21, s16
	s_mul_i32 s16, s20, s16
	v_mov_b32_e32 v48, v49
	v_mov_b32_e32 v51, v49
	v_mov_b32_e32 v50, v49
	v_mov_b32_e32 v53, v49
	v_mov_b32_e32 v52, v49
	v_mov_b32_e32 v47, v49
	v_mov_b32_e32 v46, v49
	s_cbranch_scc1 .LBB712_18
; %bb.1:
	s_ashr_i32 s53, s33, 31
	s_ashr_i32 s3, s34, 31
	s_add_u32 s2, s49, s34
	s_addc_u32 s3, s48, s3
	s_lshl_b64 s[2:3], s[2:3], 8
	v_and_b32_e32 v66, 56, v61
	s_add_u32 s20, s6, s2
	v_lshl_or_b32 v65, v59, 3, v62
	v_lshlrev_b32_e32 v3, 1, v66
	s_addc_u32 s2, s7, s3
	v_lshl_or_b32 v67, v65, 8, v3
	s_and_b32 s21, s2, 0xffff
	s_mov_b32 s23, 0x20000
	s_movk_i32 s22, 0x4000
	s_movk_i32 s2, 0x80
	v_or_b32_e32 v68, 0x2000, v67
	buffer_load_dwordx4 v[4:7], v67, s[20:23], 0 offen
	buffer_load_dwordx4 v[8:11], v67, s[20:23], s2 offen
	buffer_load_dwordx4 v[12:15], v68, s[20:23], 0 offen
	buffer_load_dwordx4 v[16:19], v68, s[20:23], s2 offen
	v_lshlrev_b32_e32 v20, 3, v65
	v_and_or_b32 v22, v0, 7, v20
	v_and_b32_e32 v20, 0x78, v20
	v_lshlrev_b32_e32 v22, 4, v22
	v_xor_b32_e32 v69, v22, v20
	v_mul_lo_u32 v21, v65, s15
	v_or_b32_e32 v70, 0x1000, v69
	s_cmpk_eq_i32 s15, 0x80
	s_mov_b32 s50, s13
	s_mov_b32 s52, s34
	v_xor_b32_e32 v20, 8, v69
	v_xor_b32_e32 v22, 8, v70
	s_cselect_b64 s[2:3], -1, 0
	s_cmpk_lg_i32 s15, 0x80
	s_waitcnt vmcnt(3)
	ds_write_b64 v69, v[4:5] offset:16384
	ds_write_b64 v20, v[6:7] offset:16384
	s_waitcnt vmcnt(2)
	ds_write_b64 v69, v[8:9] offset:24576
	ds_write_b64 v20, v[10:11] offset:24576
	;; [unrolled: 3-line block ×4, first 2 shown]
	v_lshl_add_u32 v4, v21, 1, v66
	s_cbranch_scc0 .LBB712_3
; %bb.2:
	v_lshlrev_b32_e32 v6, 1, v4
	v_add_lshl_u32 v5, v4, s15, 1
	s_lshl_b32 s22, s15, 7
	s_load_dwordx2 s[38:39], s[0:1], 0x20
	v_lshl_or_b32 v3, v65, 9, v3
	s_cbranch_execz .LBB712_4
	s_branch .LBB712_5
.LBB712_3:
                                        ; implicit-def: $vgpr5
                                        ; implicit-def: $vgpr6
                                        ; implicit-def: $sgpr22
	s_load_dwordx2 s[38:39], s[0:1], 0x20
	v_lshl_or_b32 v3, v65, 9, v3
.LBB712_4:
	v_or_b32_e32 v5, 0x100, v3
	s_movk_i32 s22, 0x4000
	v_mov_b32_e32 v6, v3
.LBB712_5:
	s_mul_i32 s0, s34, s14
	s_ashr_i32 s54, s51, 31
	s_mul_hi_i32 s1, s34, s14
	s_add_u32 s0, s0, s51
	s_addc_u32 s1, s1, s54
	s_lshl_b64 s[0:1], s[0:1], 8
	s_add_u32 s20, s4, s0
	s_addc_u32 s0, s5, s1
	s_and_b32 s21, s0, 0xffff
	s_movk_i32 s55, 0x80
	buffer_load_dwordx4 v[8:11], v6, s[20:23], 0 offen
	buffer_load_dwordx4 v[12:15], v6, s[20:23], s55 offen
	;; [unrolled: 1-line block ×4, first 2 shown]
	v_and_b32_e32 v5, 6, v0
	v_lshlrev_b32_e32 v7, 2, v1
	v_lshlrev_b32_e32 v24, 3, v1
	v_xor_b32_e32 v26, v65, v5
	v_and_b32_e32 v6, 1, v0
	v_lshl_or_b32 v24, v64, 5, v24
	v_xor_b32_e32 v27, v64, v7
	v_lshlrev_b32_e32 v26, 2, v26
	s_mul_i32 s1, s33, s19
	s_mul_hi_u32 s17, s33, s18
	v_or_b32_e32 v71, 0x9000, v24
	v_or_b32_e32 v72, 0x9800, v24
	v_lshlrev_b32_e32 v24, 1, v27
	v_xor_b32_e32 v27, 0x440, v26
	v_cmp_eq_u32_e32 vcc, 0, v6
	s_add_i32 s21, s43, s42
	s_mul_i32 s20, s53, s18
	v_cndmask_b32_e32 v6, v27, v26, vcc
	s_add_i32 s1, s17, s1
	s_add_i32 s17, s21, s44
	s_mov_b32 s56, 0x1000504
	v_lshlrev_b32_e32 v25, 8, v1
	s_mov_b32 s22, 0x8000
	v_xor_b32_e32 v7, v63, v7
	v_lshl_or_b32 v5, v5, 10, v6
	s_add_i32 s1, s1, s20
	s_lshl_b64 s[20:21], s[16:17], 2
	s_mov_b32 s57, 0x3020706
	s_mul_i32 s0, s33, s18
	v_lshlrev_b32_e32 v7, 1, v7
	v_or3_b32 v73, v24, v25, s22
	v_xor_b32_e32 v6, 8, v5
	v_xor_b32_e32 v24, 24, v5
	;; [unrolled: 1-line block ×4, first 2 shown]
	s_add_u32 s17, s10, s20
	v_or3_b32 v74, v7, v25, s22
	v_xor_b32_e32 v7, 16, v5
	v_xor_b32_e32 v25, 32, v5
	;; [unrolled: 1-line block ×3, first 2 shown]
	v_add_u32_e32 v6, 0x80, v6
	v_add_u32_e32 v24, 0x80, v24
	;; [unrolled: 1-line block ×4, first 2 shown]
	s_addc_u32 s20, s11, s21
	s_lshl_b64 s[0:1], s[0:1], 2
	s_add_u32 s40, s17, s0
	s_movk_i32 s0, 0xf8
	s_addc_u32 s41, s20, s1
	s_ashr_i32 s31, s30, 31
	s_lshl_b32 s26, s15, 7
	v_mov_b32_e32 v47, 0
	s_mov_b32 s58, 0
	v_add_u32_e32 v85, v45, v2
	s_mov_b32 s17, 0x7060302
	v_mov_b32_e32 v96, 0x3fb8aa3b
	v_mov_b32_e32 v52, v47
	;; [unrolled: 1-line block ×7, first 2 shown]
	s_waitcnt vmcnt(1)
	v_perm_b32 v29, v8, v16, s56
	s_waitcnt vmcnt(0)
	v_perm_b32 v30, v12, v20, s56
	v_perm_b32 v8, v8, v16, s57
	;; [unrolled: 1-line block ×15, first 2 shown]
	ds_write2st64_b32 v5, v29, v30 offset1:32
	ds_write2st64_b32 v6, v8, v12 offset1:32
	ds_write2st64_b32 v7, v16, v20 offset0:1 offset1:33
	ds_write2st64_b32 v24, v9, v13 offset0:1 offset1:33
	ds_write2st64_b32 v25, v17, v21 offset0:2 offset1:34
	ds_write2st64_b32 v26, v10, v14 offset0:2 offset1:34
	ds_write2st64_b32 v27, v18, v22 offset0:3 offset1:35
	ds_write2st64_b32 v28, v11, v15 offset0:3 offset1:35
	v_or_b32_e32 v5, v45, v1
	v_lshlrev_b32_e32 v5, 3, v5
	v_lshrrev_b32_e32 v7, 5, v58
	v_and_or_b32 v7, v5, s0, v7
	v_lshlrev_b32_e32 v7, 4, v7
	v_lshrrev_b32_e32 v6, 2, v58
	v_lshlrev_b32_e32 v9, 11, v59
	v_and_b32_e32 v5, 0x78, v5
	v_or_b32_e32 v12, 32, v7
	v_and_b32_e32 v8, 12, v6
	v_and_b32_e32 v6, 0x1000, v9
	v_lshrrev_b32_e32 v11, 1, v58
	v_xor_b32_e32 v12, v12, v5
	v_and_b32_e32 v11, 8, v11
	v_or_b32_e32 v12, v12, v6
	v_xor_b32_e32 v10, v7, v5
	v_xor_b32_e32 v77, v12, v11
	v_or_b32_e32 v12, 64, v7
	v_or_b32_e32 v7, 0x60, v7
	;; [unrolled: 1-line block ×3, first 2 shown]
	v_xor_b32_e32 v12, v12, v5
	v_xor_b32_e32 v5, v7, v5
	;; [unrolled: 1-line block ×3, first 2 shown]
	v_and_b32_e32 v10, 0x78, v61
	v_or_b32_e32 v5, v5, v6
	v_lshl_or_b32 v10, v60, 7, v10
	v_or_b32_e32 v12, v12, v6
	v_xor_b32_e32 v79, v5, v11
	v_lshlrev_b32_e32 v5, 1, v1
	v_or_b32_e32 v76, 0x9000, v10
	v_xor_b32_e32 v78, v12, v11
	v_or_b32_e32 v80, 0x9800, v10
	v_lshlrev_b32_e32 v10, 1, v4
	v_add_lshl_u32 v11, v4, s15, 1
	v_lshrrev_b32_e32 v4, 4, v0
	s_lshl_b64 s[0:1], s[30:31], 8
	v_or_b32_e32 v13, 1, v5
	s_add_u32 s0, s36, s0
	v_xor_b32_e32 v5, v4, v5
	v_xor_b32_e32 v13, v13, v4
	s_addc_u32 s1, s37, s1
	v_lshlrev_b32_e32 v5, 3, v5
	v_lshlrev_b32_e32 v46, 8, v4
	;; [unrolled: 1-line block ×3, first 2 shown]
	v_lshrrev_b32_e32 v17, 1, v0
	v_or3_b32 v81, v5, v46, s22
	v_or3_b32 v82, v4, v46, s22
	v_lshl_add_u64 v[4:5], s[0:1], 0, v[46:47]
	v_lshlrev_b32_e32 v46, 4, v1
	s_movk_i32 s0, 0xff
	v_lshlrev_b32_e32 v16, 3, v59
	v_and_b32_e32 v17, 24, v17
	v_lshl_add_u64 v[54:55], v[4:5], 0, v[46:47]
	v_and_b32_e32 v5, 8, v0
	v_cmp_lt_u32_e32 vcc, s0, v0
	v_xor_b32_e32 v18, v16, v17
	v_or_b32_e32 v19, 0x440, v18
	v_cndmask_b32_e64 v15, 0, 1, vcc
	v_cmp_eq_u32_e32 vcc, 0, v5
	v_or_b32_e32 v21, 64, v17
	v_xor_b32_e32 v21, v16, v21
	v_cndmask_b32_e32 v5, v19, v18, vcc
	v_or_b32_e32 v19, 32, v17
	v_or_b32_e32 v17, 0x60, v17
	v_xor_b32_e32 v19, v16, v19
	v_xor_b32_e32 v16, v16, v17
	v_or_b32_e32 v20, 0x440, v19
	v_xor_b32_e32 v22, 0x440, v21
	v_xor_b32_e32 v17, 0x440, v16
	v_and_b32_e32 v4, 7, v0
	v_cndmask_b32_e32 v19, v20, v19, vcc
	v_cndmask_b32_e32 v21, v22, v21, vcc
	;; [unrolled: 1-line block ×3, first 2 shown]
	v_or_b32_e32 v6, s30, v1
	v_lshlrev_b32_e32 v13, 3, v4
	v_or_b32_e32 v5, v5, v9
	v_or_b32_e32 v19, v19, v9
	;; [unrolled: 1-line block ×4, first 2 shown]
	v_ashrrev_i32_e32 v7, 31, v6
	v_lshlrev_b32_e32 v15, 13, v15
	v_xor_b32_e32 v5, v5, v13
	v_xor_b32_e32 v19, v19, v13
	;; [unrolled: 1-line block ×4, first 2 shown]
	v_lshl_add_u64 v[6:7], v[6:7], 1, s[8:9]
	v_or_b32_e32 v12, 0x100, v3
	v_lshlrev_b32_e32 v14, 7, v4
	v_or_b32_e32 v4, v8, v45
	v_add_u32_e32 v18, v15, v5
	v_add_u32_e32 v20, v15, v19
	;; [unrolled: 1-line block ×4, first 2 shown]
	v_or3_b32 v8, v45, v8, 64
	v_add_u32_e32 v5, 0x2000, v5
	v_add_u32_e32 v15, 0x2000, v19
	;; [unrolled: 1-line block ×4, first 2 shown]
	v_lshlrev_b32_e32 v46, 8, v64
	v_cndmask_b32_e64 v83, v10, v3, s[2:3]
	v_cndmask_b32_e64 v84, v11, v12, s[2:3]
	v_lshl_add_u64 v[56:57], v[6:7], 0, v[46:47]
	s_movk_i32 s22, 0x4000
	v_lshlrev_b32_e32 v86, 2, v4
	v_add_u32_e32 v87, v18, v14
	v_add_u32_e32 v88, v20, v14
	;; [unrolled: 1-line block ×4, first 2 shown]
	v_lshlrev_b32_e32 v91, 2, v8
	v_add_u32_e32 v92, v5, v14
	v_add_u32_e32 v93, v15, v14
	;; [unrolled: 1-line block ×4, first 2 shown]
	v_mov_b32_e32 v46, v47
	s_waitcnt lgkmcnt(0)
	s_barrier
.LBB712_6:                              ; =>This Inner Loop Header: Depth=1
	s_add_i32 s31, s58, 1
	s_cmp_lt_i32 s31, s45
	s_mov_b64 s[24:25], 0
	s_cselect_b64 s[2:3], -1, 0
	s_cmp_ge_i32 s31, s45
	s_mov_b64 s[20:21], 0
	s_cbranch_scc1 .LBB712_8
; %bb.7:                                ;   in Loop: Header=BB712_6 Depth=1
	s_add_i32 s0, s52, 64
	s_ashr_i32 s1, s0, 31
	s_add_u32 s0, s49, s0
	s_addc_u32 s1, s48, s1
	s_lshl_b64 s[0:1], s[0:1], 8
	s_add_u32 s20, s6, s0
	s_addc_u32 s21, s7, s1
.LBB712_8:                              ;   in Loop: Header=BB712_6 Depth=1
	v_cndmask_b32_e64 v2, 0, 1, s[2:3]
	v_cmp_ne_u32_e64 s[0:1], 1, v2
	s_andn2_b64 vcc, exec, s[2:3]
	s_cbranch_vccnz .LBB712_10
; %bb.9:                                ;   in Loop: Header=BB712_6 Depth=1
	s_add_i32 s2, s52, 64
	s_mul_hi_i32 s3, s2, s14
	s_mul_i32 s2, s2, s14
	s_add_u32 s2, s2, s51
	s_addc_u32 s3, s3, s54
	s_lshl_b64 s[2:3], s[2:3], 8
	s_add_u32 s24, s4, s2
	s_addc_u32 s25, s5, s3
.LBB712_10:                             ;   in Loop: Header=BB712_6 Depth=1
	v_perm_b32 v3, v53, v52, s17
	v_perm_b32 v2, v47, v46, s17
	;; [unrolled: 1-line block ×4, first 2 shown]
	ds_write_b64 v71, v[2:3]
	ds_write_b64 v72, v[4:5]
	;; [unrolled: 1-line block ×4, first 2 shown]
	s_waitcnt lgkmcnt(0)
	s_barrier
	ds_read_b64 v[10:11], v75 offset:16384
	ds_read_b64 v[12:13], v77 offset:16384
	ds_read2st64_b64 v[2:5], v76 offset1:1
	s_waitcnt lgkmcnt(0)
	v_mfma_f32_16x16x16_bf16 a[0:3], v[10:11], v[2:3], 0
	ds_read2st64_b64 v[6:9], v76 offset0:2 offset1:3
	ds_read_b64 v[14:15], v78 offset:16384
	ds_read_b64 v[2:3], v79 offset:16384
	s_add_i32 s59, s52, 63
	v_mfma_f32_16x16x16_bf16 a[0:3], v[12:13], v[4:5], a[0:3]
	s_ashr_i32 s2, s59, 31
	s_mul_i32 s3, s59, s29
	s_mul_hi_u32 s27, s59, s28
	s_waitcnt lgkmcnt(1)
	v_mfma_f32_16x16x16_bf16 a[0:3], v[14:15], v[6:7], a[0:3]
	s_add_i32 s3, s27, s3
	s_mul_i32 s2, s2, s28
	s_add_i32 s3, s3, s2
	s_mul_i32 s2, s59, s28
	s_waitcnt lgkmcnt(0)
	v_mfma_f32_16x16x16_bf16 a[0:3], v[2:3], v[8:9], a[0:3]
	s_lshl_b64 s[2:3], s[2:3], 2
	s_add_u32 s2, s40, s2
	s_addc_u32 s3, s41, s3
	s_and_b64 vcc, exec, s[0:1]
	v_mov_b32_e32 v99, 0
	v_mov_b32_e32 v98, 0
	;; [unrolled: 1-line block ×19, first 2 shown]
	s_cbranch_vccnz .LBB712_12
; %bb.11:                               ;   in Loop: Header=BB712_6 Depth=1
	s_and_b32 s21, s21, 0xffff
	buffer_load_dwordx4 v[14:17], v67, s[20:23], 0 offen
	buffer_load_dwordx4 v[10:13], v67, s[20:23], s55 offen
	;; [unrolled: 1-line block ×4, first 2 shown]
	v_mov_b32_e32 v98, v69
	v_mov_b32_e32 v97, v70
.LBB712_12:                             ;   in Loop: Header=BB712_6 Depth=1
	v_add_u32_e32 v22, s52, v85
	v_ashrrev_i32_e32 v18, 31, v22
	v_mul_lo_u32 v20, v18, s28
	v_mul_lo_u32 v21, v22, s29
	v_mad_u64_u32 v[18:19], s[20:21], v22, s28, 0
	v_add3_u32 v19, v19, v21, v20
	v_lshl_add_u64 v[18:19], v[18:19], 2, s[40:41]
	global_load_dword v38, v[18:19], off
	v_add_u32_e32 v18, 1, v22
	v_ashrrev_i32_e32 v19, 31, v18
	v_mul_lo_u32 v20, v19, s28
	v_mul_lo_u32 v21, v18, s29
	v_mad_u64_u32 v[18:19], s[20:21], v18, s28, 0
	v_add3_u32 v19, v19, v21, v20
	v_add_u32_e32 v20, 2, v22
	v_ashrrev_i32_e32 v21, 31, v20
	v_mul_lo_u32 v23, v21, s28
	v_mul_lo_u32 v24, v20, s29
	v_mad_u64_u32 v[20:21], s[20:21], v20, s28, 0
	v_add_u32_e32 v22, 3, v22
	v_add3_u32 v21, v21, v24, v23
	v_ashrrev_i32_e32 v23, 31, v22
	v_mul_lo_u32 v26, v23, s28
	v_mul_lo_u32 v27, v22, s29
	v_mad_u64_u32 v[22:23], s[20:21], v22, s28, 0
	s_ashr_i32 s21, s52, 31
	s_add_u32 s20, s49, s52
	s_addc_u32 s21, s48, s21
	s_lshl_b64 s[20:21], s[20:21], 8
	v_lshl_add_u64 v[18:19], v[18:19], 2, s[40:41]
	v_lshl_add_u64 v[24:25], v[56:57], 0, s[20:21]
	v_add3_u32 v23, v23, v27, v26
	v_lshl_add_u64 v[20:21], v[20:21], 2, s[40:41]
	global_load_ushort v39, v[24:25], off
	global_load_ushort v40, v[24:25], off offset:256
	global_load_ushort v41, v[24:25], off offset:512
	;; [unrolled: 1-line block ×3, first 2 shown]
	v_lshl_add_u64 v[22:23], v[22:23], 2, s[40:41]
	global_load_dword v43, v[18:19], off
	global_load_dword v44, v[20:21], off
	;; [unrolled: 1-line block ×3, first 2 shown]
	s_load_dword s2, s[2:3], 0x0
	ds_read_b64 v[26:27], v75 offset:24576
	ds_read2st64_b64 v[22:25], v80 offset1:1
	ds_read2st64_b64 v[28:31], v80 offset0:2 offset1:3
	ds_read_b64 v[32:33], v77 offset:24576
	ds_read_b64 v[34:35], v78 offset:24576
	;; [unrolled: 1-line block ×3, first 2 shown]
	s_waitcnt lgkmcnt(0)
	v_mfma_f32_16x16x16_bf16 a[0:3], v[26:27], v[22:23], a[0:3]
	v_mov_b32_e32 v100, 0
	v_mov_b32_e32 v18, 0
	v_mov_b32_e32 v19, 0
	v_mfma_f32_16x16x16_bf16 a[0:3], v[32:33], v[24:25], a[0:3]
	v_mov_b32_e32 v20, 0
	v_mov_b32_e32 v21, 0
	v_mov_b32_e32 v22, 0
	;; [unrolled: 4-line block ×4, first 2 shown]
	s_and_b64 vcc, exec, s[0:1]
	s_waitcnt vmcnt(7)
	v_sub_f32_e32 v29, s2, v38
	v_mul_f32_e32 v29, 0x3fb8aa3b, v29
	v_exp_f32_e32 v38, v29
	v_accvgpr_read_b32 v33, a1
	v_accvgpr_read_b32 v31, a3
	;; [unrolled: 1-line block ×4, first 2 shown]
	s_waitcnt vmcnt(6)
	v_lshlrev_b32_e32 v34, 16, v39
	s_waitcnt vmcnt(5)
	v_lshlrev_b32_e32 v35, 16, v40
	;; [unrolled: 2-line block ×3, first 2 shown]
	s_waitcnt vmcnt(2)
	v_sub_f32_e32 v39, s2, v43
	s_waitcnt vmcnt(1)
	v_sub_f32_e32 v40, s2, v44
	;; [unrolled: 2-line block ×3, first 2 shown]
	v_mul_f32_e32 v29, 0x3fb8aa3b, v39
	v_mul_f32_e32 v40, 0x3fb8aa3b, v40
	v_mul_f32_e32 v41, 0x3fb8aa3b, v41
	v_exp_f32_e32 v39, v29
	v_exp_f32_e32 v40, v40
	v_exp_f32_e32 v41, v41
	v_lshlrev_b32_e32 v37, 16, v42
	v_pk_add_f32 v[32:33], v[34:35], v[32:33] neg_lo:[0,1] neg_hi:[0,1]
	v_pk_add_f32 v[30:31], v[36:37], v[30:31] neg_lo:[0,1] neg_hi:[0,1]
	v_pk_mul_f32 v[32:33], v[38:39], v[32:33]
	v_pk_mul_f32 v[30:31], v[40:41], v[30:31]
	v_mov_b32_e32 v29, 0
	v_perm_b32 v31, v31, v30, s17
	v_perm_b32 v30, v33, v32, s17
	ds_write_b64 v72, v[30:31]
	v_mov_b32_e32 v30, 0
	v_mov_b32_e32 v31, 0
	;; [unrolled: 1-line block ×4, first 2 shown]
	s_cbranch_vccnz .LBB712_14
; %bb.13:                               ;   in Loop: Header=BB712_6 Depth=1
	s_and_b32 s25, s25, 0xffff
	s_mov_b32 s27, s23
	buffer_load_dwordx4 v[30:33], v83, s[24:27], 0 offen
	buffer_load_dwordx4 v[22:25], v83, s[24:27], s55 offen
	;; [unrolled: 1-line block ×4, first 2 shown]
	v_mov_b32_e32 v99, v66
	v_mov_b32_e32 v100, v65
.LBB712_14:                             ;   in Loop: Header=BB712_6 Depth=1
	s_waitcnt lgkmcnt(0)
	s_barrier
	ds_read_b64 v[34:35], v87
	ds_read_b64 v[40:41], v88
	ds_read2st64_b64 v[36:39], v80 offset1:1
	ds_read2st64_b64 v[102:105], v80 offset0:2 offset1:3
	ds_read_b64 v[42:43], v89
	ds_read_b64 v[110:111], v90
	s_add_i32 s3, s46, s58
	s_mul_hi_i32 s21, s3, s50
	s_mul_i32 s3, s3, s50
	s_waitcnt lgkmcnt(3)
	v_mfma_f32_16x16x16_bf16 a[0:3], v[34:35], v[36:37], 0
	ds_read_b64 v[34:35], v92
	s_add_u32 s20, s3, s33
	s_addc_u32 s21, s21, s53
	v_mfma_f32_16x16x16_bf16 a[0:3], v[40:41], v[38:39], a[0:3]
	ds_read_b64 v[40:41], v93
	s_lshl_b64 s[20:21], s[20:21], 15
	s_mul_i32 s24, s59, s50
	s_mul_hi_i32 s3, s59, s50
	s_add_u32 s24, s24, s33
	s_addc_u32 s25, s3, s53
	s_lshl_b64 s[24:25], s[24:25], 9
	s_add_u32 s24, s38, s24
	s_waitcnt lgkmcnt(1)
	v_mfma_f32_16x16x16_bf16 a[4:7], v[34:35], v[36:37], 0
	s_addc_u32 s25, s39, s25
	s_and_b64 vcc, exec, s[0:1]
	v_mfma_f32_16x16x16_bf16 a[0:3], v[42:43], v[102:103], a[0:3]
	ds_read_b64 v[42:43], v94
	ds_read_b64 v[112:113], v95
	global_load_dwordx4 v[34:37], v91, s[24:25]
	s_waitcnt lgkmcnt(2)
	v_mfma_f32_16x16x16_bf16 a[4:7], v[40:41], v[38:39], a[4:7]
	global_load_dwordx4 v[38:41], v86, s[24:25]
	ds_read_b64 v[106:107], v81
	ds_read_b64 v[108:109], v82
	s_waitcnt lgkmcnt(3)
	v_mfma_f32_16x16x16_bf16 a[8:11], v[42:43], v[102:103], a[4:7]
	v_lshl_add_u64 v[42:43], v[54:55], 0, s[20:21]
	s_waitcnt lgkmcnt(0)
	global_store_dwordx4 v[42:43], v[106:109], off
	v_mfma_f32_16x16x16_bf16 a[4:7], v[110:111], v[104:105], a[0:3]
	s_waitcnt vmcnt(2)
	v_mov_b32_e32 v44, v37
	v_mfma_f32_16x16x16_bf16 a[0:3], v[112:113], v[104:105], a[8:11]
	v_mov_b32_e32 v43, v36
	v_mov_b32_e32 v42, v35
	s_cbranch_vccnz .LBB712_16
; %bb.15:                               ;   in Loop: Header=BB712_6 Depth=1
	v_lshrrev_b32_e32 v35, 3, v99
	v_and_b32_e32 v35, 6, v35
	v_xor_b32_e32 v36, v35, v100
	v_lshlrev_b32_e32 v36, 2, v36
	v_and_b32_e32 v37, 8, v99
	v_xor_b32_e32 v99, 0x440, v36
	v_cmp_eq_u32_e32 vcc, 0, v37
	v_perm_b32 v37, v22, v18, s56
	s_nop 0
	v_cndmask_b32_e32 v36, v99, v36, vcc
	v_lshl_or_b32 v35, v35, 10, v36
	v_perm_b32 v36, v30, v26, s56
	s_barrier
	ds_write2st64_b32 v35, v36, v37 offset1:32
	v_xor_b32_e32 v36, 8, v35
	v_perm_b32 v26, v30, v26, s57
	v_perm_b32 v18, v22, v18, s57
	v_add_u32_e32 v22, 0x80, v36
	ds_write2st64_b32 v22, v26, v18 offset1:32
	v_xor_b32_e32 v18, 16, v35
	v_perm_b32 v22, v31, v27, s56
	v_perm_b32 v26, v23, v19, s56
	ds_write2st64_b32 v18, v22, v26 offset0:1 offset1:33
	v_xor_b32_e32 v18, 24, v35
	v_perm_b32 v22, v31, v27, s57
	v_perm_b32 v19, v23, v19, s57
	v_add_u32_e32 v18, 0x80, v18
	ds_write2st64_b32 v18, v22, v19 offset0:1 offset1:33
	v_xor_b32_e32 v18, 32, v35
	v_perm_b32 v19, v32, v28, s56
	v_perm_b32 v22, v24, v20, s56
	ds_write2st64_b32 v18, v19, v22 offset0:2 offset1:34
	v_xor_b32_e32 v18, 40, v35
	v_perm_b32 v19, v32, v28, s57
	v_perm_b32 v20, v24, v20, s57
	v_add_u32_e32 v18, 0x80, v18
	ds_write2st64_b32 v18, v19, v20 offset0:2 offset1:34
	;; [unrolled: 9-line block ×3, first 2 shown]
	ds_write_b64 v98, v[14:15] offset:16384
	v_xor_b32_e32 v14, 8, v98
	ds_write_b64 v14, v[16:17] offset:16384
	ds_write_b64 v98, v[10:11] offset:24576
	;; [unrolled: 1-line block ×4, first 2 shown]
	v_xor_b32_e32 v6, 8, v97
	ds_write_b64 v6, v[8:9] offset:16384
	ds_write_b64 v97, v[2:3] offset:24576
	;; [unrolled: 1-line block ×3, first 2 shown]
.LBB712_16:                             ;   in Loop: Header=BB712_6 Depth=1
	v_mul_f32_e32 v6, s2, v96
	v_exp_f32_e32 v10, v6
	s_waitcnt vmcnt(1)
	v_mul_f32_e32 v6, 0x3fb8aa3b, v38
	v_exp_f32_e32 v12, v6
	v_mul_f32_e32 v6, 0x3fb8aa3b, v39
	v_exp_f32_e32 v13, v6
	;; [unrolled: 2-line block ×4, first 2 shown]
	v_accvgpr_read_b32 v2, a4
	v_accvgpr_read_b32 v3, a5
	v_pk_mul_f32 v[12:13], v[10:11], v[12:13] op_sel_hi:[0,1]
	v_pk_fma_f32 v[46:47], v[46:47], v[12:13], v[2:3]
	v_pk_mul_f32 v[2:3], v[10:11], v[14:15] op_sel_hi:[0,1]
	v_mul_f32_e32 v11, 0x3fb8aa3b, v34
	v_exp_f32_e32 v12, v11
	v_mul_f32_e32 v11, 0x3fb8aa3b, v42
	v_exp_f32_e32 v13, v11
	;; [unrolled: 2-line block ×4, first 2 shown]
	v_accvgpr_read_b32 v4, a6
	v_accvgpr_read_b32 v5, a7
	;; [unrolled: 1-line block ×5, first 2 shown]
	v_pk_fma_f32 v[52:53], v[52:53], v[2:3], v[4:5]
	v_pk_mul_f32 v[2:3], v[10:11], v[12:13] op_sel_hi:[0,1]
	v_accvgpr_read_b32 v8, a2
	v_pk_fma_f32 v[50:51], v[50:51], v[2:3], v[6:7]
	v_pk_mul_f32 v[2:3], v[10:11], v[14:15] op_sel_hi:[0,1]
	s_add_i32 s52, s52, 64
	s_cmp_eq_u32 s45, s31
	v_pk_fma_f32 v[48:49], v[48:49], v[2:3], v[8:9]
	s_cbranch_scc1 .LBB712_18
; %bb.17:                               ;   in Loop: Header=BB712_6 Depth=1
	s_mov_b32 s58, s31
	s_branch .LBB712_6
.LBB712_18:
	s_lshl_b32 s0, s45, 6
	s_sub_i32 s40, s47, s0
	s_cmp_gt_i32 s40, 0
	s_cbranch_scc0 .LBB712_75
; %bb.19:
	s_add_i32 s34, s0, s34
	s_ashr_i32 s2, s34, 31
	s_cmpk_lg_i32 s15, 0x80
	s_cselect_b64 s[26:27], -1, 0
	s_and_b64 vcc, exec, s[26:27]
	s_cbranch_vccz .LBB712_21
; %bb.20:
	s_mul_i32 s1, s34, s14
	s_ashr_i32 s3, s51, 31
	s_mul_hi_i32 s0, s34, s14
	s_add_u32 s38, s1, s51
	s_addc_u32 s39, s0, s3
	s_cbranch_execz .LBB712_22
	s_branch .LBB712_23
.LBB712_21:
                                        ; implicit-def: $sgpr38_sgpr39
.LBB712_22:
	s_mul_i32 s1, s51, s12
	s_mul_hi_i32 s0, s51, s12
	s_add_u32 s38, s1, s34
	s_addc_u32 s39, s0, s2
.LBB712_23:
	s_add_i32 s3, s45, s46
	s_ashr_i32 s12, s33, 31
	s_add_u32 s0, s49, s34
	s_addc_u32 s1, s48, s2
	s_mov_b32 s2, 0x7060302
	v_lshlrev_b32_e32 v6, 3, v1
	s_lshl_b64 s[24:25], s[0:1], 8
	v_perm_b32 v3, v53, v52, s2
	v_perm_b32 v2, v47, v46, s2
	;; [unrolled: 1-line block ×4, first 2 shown]
	v_lshlrev_b32_e32 v34, 2, v1
	v_lshl_or_b32 v6, v64, 5, v6
	s_add_u32 s0, s6, s24
	ds_write2st64_b64 v6, v[2:3], v[4:5] offset0:72 offset1:76
	v_xor_b32_e32 v6, v64, v34
	v_lshlrev_b32_e32 v7, 8, v1
	s_addc_u32 s1, s7, s25
	v_lshl_or_b32 v6, v6, 1, v7
	s_mul_hi_i32 s6, s3, s13
	s_mul_i32 s3, s3, s13
	ds_write_b64 v6, v[2:3] offset:32768
	v_xor_b32_e32 v2, v63, v34
	s_add_u32 s2, s3, s33
	v_lshl_or_b32 v2, v2, 1, v7
	s_addc_u32 s3, s6, s12
	v_lshlrev_b32_e32 v3, 1, v1
	ds_write_b64 v2, v[4:5] offset:32768
	v_lshrrev_b32_e32 v2, 4, v0
	s_ashr_i32 s31, s30, 31
	s_lshl_b64 s[2:3], s[2:3], 15
	v_or_b32_e32 v4, 1, v3
	s_add_u32 s6, s36, s2
	v_xor_b32_e32 v3, v2, v3
	v_xor_b32_e32 v4, v4, v2
	v_lshlrev_b32_e32 v6, 8, v2
	s_addc_u32 s7, s37, s3
	s_lshl_b64 s[2:3], s[30:31], 8
	v_lshl_or_b32 v2, v3, 3, v6
	v_lshl_or_b32 v4, v4, 3, v6
	s_waitcnt lgkmcnt(0)
	s_barrier
	s_add_u32 s2, s6, s2
	ds_read_b64 v[2:3], v2 offset:32768
	ds_read_b64 v[4:5], v4 offset:32768
	s_addc_u32 s3, s7, s3
	v_mov_b32_e32 v7, 0
	s_cmp_lg_u32 s40, 64
	v_lshl_add_u64 v[8:9], s[2:3], 0, v[6:7]
	v_lshlrev_b32_e32 v6, 4, v1
	s_cselect_b64 s[6:7], -1, 0
	v_lshl_or_b32 v35, v59, 3, v62
	s_mov_b32 s20, 0
	v_lshl_add_u64 v[6:7], v[8:9], 0, v[6:7]
	v_or_b32_e32 v19, 32, v35
	v_and_b32_e32 v18, 56, v61
	s_and_b64 vcc, exec, s[6:7]
	s_waitcnt lgkmcnt(0)
	global_store_dwordx4 v[6:7], v[2:5], off
	s_cbranch_vccz .LBB712_29
; %bb.24:
	s_mov_b32 s21, s20
	s_mov_b32 s22, s20
	;; [unrolled: 1-line block ×3, first 2 shown]
	v_mov_b64_e32 v[6:7], s[20:21]
	v_mov_b64_e32 v[8:9], s[22:23]
	;; [unrolled: 1-line block ×3, first 2 shown]
	v_cmp_gt_i32_e32 vcc, s40, v35
	v_mov_b64_e32 v[4:5], v[8:9]
	s_and_saveexec_b64 s[2:3], vcc
	s_cbranch_execz .LBB712_26
; %bb.25:
	v_lshlrev_b32_e32 v2, 8, v35
	v_mov_b32_e32 v3, 0
	v_lshl_add_u64 v[4:5], s[0:1], 0, v[2:3]
	v_lshlrev_b32_e32 v2, 1, v18
	v_lshl_add_u64 v[10:11], v[4:5], 0, v[2:3]
	global_load_dwordx4 v[6:9], v[10:11], off
	global_load_dwordx4 v[2:5], v[10:11], off offset:128
.LBB712_26:
	s_or_b64 exec, exec, s[2:3]
	s_mov_b32 s21, s20
	s_mov_b32 s22, s20
	;; [unrolled: 1-line block ×3, first 2 shown]
	v_mov_b64_e32 v[14:15], s[20:21]
	v_mov_b64_e32 v[16:17], s[22:23]
	;; [unrolled: 1-line block ×3, first 2 shown]
	v_cmp_gt_i32_e32 vcc, s40, v19
	v_lshlrev_b32_e32 v20, 7, v19
	v_mov_b64_e32 v[12:13], v[16:17]
	s_and_saveexec_b64 s[2:3], vcc
	s_cbranch_execz .LBB712_28
; %bb.27:
	v_lshlrev_b32_e32 v10, 1, v20
	v_mov_b32_e32 v11, 0
	v_lshl_add_u64 v[12:13], s[0:1], 0, v[10:11]
	v_lshlrev_b32_e32 v10, 1, v18
	v_lshl_add_u64 v[22:23], v[12:13], 0, v[10:11]
	global_load_dwordx4 v[14:17], v[22:23], off
	global_load_dwordx4 v[10:13], v[22:23], off offset:128
.LBB712_28:
	s_or_b64 exec, exec, s[2:3]
	v_lshrrev_b32_e32 v21, 3, v18
	v_lshlrev_b32_e32 v22, 3, v35
	v_or_b32_e32 v21, v22, v21
	v_lshlrev_b32_e32 v21, 4, v21
	v_and_b32_e32 v22, 0x78, v22
	v_xor_b32_e32 v21, v21, v22
	s_branch .LBB712_31
.LBB712_29:
                                        ; implicit-def: $vgpr21
                                        ; implicit-def: $vgpr20
                                        ; implicit-def: $vgpr6_vgpr7_vgpr8_vgpr9
                                        ; implicit-def: $vgpr2_vgpr3_vgpr4_vgpr5
                                        ; implicit-def: $vgpr14_vgpr15_vgpr16_vgpr17
                                        ; implicit-def: $vgpr10_vgpr11_vgpr12_vgpr13
	s_cbranch_execz .LBB712_31
; %bb.30:
	s_waitcnt vmcnt(0)
	v_lshlrev_b32_e32 v2, 1, v18
	v_lshl_or_b32 v20, v35, 8, v2
	s_and_b32 s1, s1, 0xffff
	s_mov_b32 s3, 0x20000
	s_movk_i32 s2, 0x4000
	v_lshl_or_b32 v21, v19, 8, v2
	s_movk_i32 s13, 0x80
	buffer_load_dwordx4 v[6:9], v20, s[0:3], 0 offen
	buffer_load_dwordx4 v[2:5], v20, s[0:3], s13 offen
	;; [unrolled: 1-line block ×4, first 2 shown]
	v_lshrrev_b32_e32 v20, 3, v18
	v_lshlrev_b32_e32 v21, 3, v35
	v_or_b32_e32 v20, v21, v20
	v_lshlrev_b32_e32 v20, 4, v20
	v_and_b32_e32 v21, 0x78, v21
	v_xor_b32_e32 v21, v20, v21
	v_lshlrev_b32_e32 v20, 7, v19
.LBB712_31:
	s_lshl_b64 s[0:1], s[38:39], 8
	s_add_u32 s4, s4, s0
	s_movk_i32 s0, 0x1000
	v_and_or_b32 v19, v20, s0, v21
	s_waitcnt vmcnt(1)
	ds_write_b64 v21, v[6:7] offset:16384
	v_xor_b32_e32 v6, 8, v21
	ds_write_b64 v6, v[8:9] offset:16384
	s_waitcnt vmcnt(0)
	ds_write_b64 v21, v[2:3] offset:24576
	ds_write_b64 v6, v[4:5] offset:24576
	;; [unrolled: 1-line block ×3, first 2 shown]
	v_xor_b32_e32 v2, 8, v19
	ds_write_b64 v2, v[16:17] offset:16384
	ds_write_b64 v19, v[10:11] offset:24576
	;; [unrolled: 1-line block ×3, first 2 shown]
	v_or_b32_e32 v2, v45, v1
	v_lshlrev_b32_e32 v2, 3, v2
	v_lshrrev_b32_e32 v4, 5, v58
	s_movk_i32 s14, 0xf8
	v_and_or_b32 v4, v2, s14, v4
	v_lshlrev_b32_e32 v3, 11, v59
	v_lshlrev_b32_e32 v12, 4, v4
	v_and_b32_e32 v13, 0x78, v2
	v_and_b32_e32 v14, 0x1000, v3
	v_lshlrev_b32_e32 v3, 2, v0
	v_xor_b32_e32 v2, v12, v13
	v_lshrrev_b32_e32 v4, 1, v58
	v_and_b32_e32 v3, 60, v3
	v_or_b32_e32 v2, v2, v14
	v_and_b32_e32 v15, 8, v4
	v_xor_b32_e32 v26, v2, v15
	v_lshl_or_b32 v2, v60, 6, v3
	v_lshlrev_b32_e32 v19, 1, v2
	v_or_b32_e32 v2, 32, v12
	v_xor_b32_e32 v2, v2, v13
	s_waitcnt lgkmcnt(0)
	s_barrier
	ds_read_b64 v[10:11], v26 offset:16384
	v_or_b32_e32 v2, v2, v14
	v_xor_b32_e32 v27, v2, v15
	v_or_b32_e32 v2, 64, v12
	v_xor_b32_e32 v2, v2, v13
	v_or_b32_e32 v2, v2, v14
	v_or_b32_e32 v12, 0x60, v12
	v_xor_b32_e32 v28, v2, v15
	ds_read2st64_b64 v[2:5], v19 offset0:72 offset1:73
	ds_read2st64_b64 v[6:9], v19 offset0:74 offset1:75
	v_xor_b32_e32 v16, v12, v13
	ds_read_b64 v[12:13], v27 offset:16384
	s_addc_u32 s5, s5, s1
	s_add_i32 s0, s43, s42
	s_waitcnt lgkmcnt(2)
	v_mfma_f32_16x16x16_bf16 a[0:3], v[10:11], v[2:3], 0
	s_add_i32 s2, s35, -1
	s_add_i32 s17, s0, s44
	s_mul_i32 s0, s33, s19
	s_mul_hi_u32 s1, s33, s18
	s_add_i32 s0, s1, s0
	s_mul_i32 s1, s12, s18
	s_ashr_i32 s3, s2, 31
	s_mul_i32 s12, s2, s29
	s_mul_hi_u32 s13, s2, s28
	s_add_i32 s12, s13, s12
	s_mul_i32 s3, s3, s28
	v_or_b32_e32 v14, v16, v14
	s_add_i32 s1, s0, s1
	s_add_i32 s3, s12, s3
	s_lshl_b64 s[12:13], s[16:17], 2
	v_xor_b32_e32 v36, v14, v15
	ds_read_b64 v[14:15], v28 offset:16384
	ds_read_b64 v[16:17], v36 offset:16384
	s_waitcnt lgkmcnt(2)
	v_mfma_f32_16x16x16_bf16 a[0:3], v[12:13], v[4:5], a[0:3]
	s_mul_i32 s0, s33, s18
	s_add_u32 s10, s10, s12
	s_addc_u32 s11, s11, s13
	s_lshl_b64 s[0:1], s[0:1], 2
	s_mul_i32 s2, s2, s28
	s_add_u32 s10, s10, s0
	s_addc_u32 s11, s11, s1
	s_lshl_b64 s[0:1], s[2:3], 2
	s_waitcnt lgkmcnt(1)
	v_mfma_f32_16x16x16_bf16 a[0:3], v[14:15], v[6:7], a[0:3]
	s_add_u32 s0, s10, s0
	s_addc_u32 s1, s11, s1
	s_load_dword s12, s[0:1], 0x0
	s_waitcnt lgkmcnt(0)
	v_mfma_f32_16x16x16_bf16 a[0:3], v[16:17], v[8:9], a[0:3]
	s_and_b64 vcc, exec, s[26:27]
	s_cbranch_vccz .LBB712_42
; %bb.32:
	v_lshlrev_b32_e32 v20, 1, v35
	s_and_b64 vcc, exec, s[6:7]
	s_cbranch_vccz .LBB712_43
; %bb.33:
	v_cmp_gt_i32_e32 vcc, s40, v20
	v_mov_b32_e32 v6, 0
	v_mov_b32_e32 v2, 0
	v_mov_b32_e32 v3, 0
	v_mov_b32_e32 v4, 0
	v_mov_b32_e32 v5, 0
	s_and_saveexec_b64 s[0:1], vcc
	s_cbranch_execz .LBB712_35
; %bb.34:
	v_mad_i64_i32 v[2:3], s[2:3], s15, v20, 0
	v_lshl_add_u64 v[2:3], v[2:3], 1, s[4:5]
	v_lshlrev_b32_e32 v4, 1, v18
	v_mov_b32_e32 v5, 0
	v_lshl_add_u64 v[2:3], v[2:3], 0, v[4:5]
	global_load_dwordx4 v[2:5], v[2:3], off
.LBB712_35:
	s_or_b64 exec, exec, s[0:1]
	v_or_b32_e32 v21, 1, v20
	v_cmp_gt_i32_e64 s[0:1], s40, v21
	v_mov_b32_e32 v7, 0
	v_mov_b32_e32 v8, 0
	;; [unrolled: 1-line block ×3, first 2 shown]
	s_and_saveexec_b64 s[2:3], s[0:1]
	s_cbranch_execz .LBB712_37
; %bb.36:
	v_mad_i64_i32 v[6:7], s[16:17], s15, v21, 0
	v_lshl_add_u64 v[6:7], v[6:7], 1, s[4:5]
	v_lshlrev_b32_e32 v8, 1, v18
	v_mov_b32_e32 v9, 0
	v_lshl_add_u64 v[6:7], v[6:7], 0, v[8:9]
	global_load_dwordx4 v[6:9], v[6:7], off
.LBB712_37:
	s_or_b64 exec, exec, s[2:3]
	v_mov_b32_e32 v17, 0
	v_mov_b32_e32 v10, 0
	;; [unrolled: 1-line block ×5, first 2 shown]
	s_and_saveexec_b64 s[2:3], vcc
	s_cbranch_execz .LBB712_39
; %bb.38:
	v_mad_i64_i32 v[10:11], s[16:17], s15, v20, 0
	v_lshl_add_u64 v[10:11], v[10:11], 1, s[4:5]
	v_lshlrev_b32_e32 v12, 1, v18
	v_mov_b32_e32 v13, 0
	v_lshl_add_u64 v[10:11], v[10:11], 0, v[12:13]
	global_load_dwordx4 v[10:13], v[10:11], off offset:128
.LBB712_39:
	s_or_b64 exec, exec, s[2:3]
	v_mov_b32_e32 v16, 0
	v_mov_b32_e32 v15, 0
	;; [unrolled: 1-line block ×3, first 2 shown]
	s_and_saveexec_b64 s[2:3], s[0:1]
	s_cbranch_execz .LBB712_41
; %bb.40:
	v_mad_i64_i32 v[14:15], s[0:1], s15, v21, 0
	v_lshl_add_u64 v[14:15], v[14:15], 1, s[4:5]
	v_lshlrev_b32_e32 v16, 1, v18
	v_mov_b32_e32 v17, 0
	v_lshl_add_u64 v[14:15], v[14:15], 0, v[16:17]
	global_load_dwordx4 v[14:17], v[14:15], off offset:128
.LBB712_41:
	s_or_b64 exec, exec, s[2:3]
	s_branch .LBB712_45
.LBB712_42:
                                        ; implicit-def: $vgpr5
                                        ; implicit-def: $vgpr9
                                        ; implicit-def: $vgpr13
                                        ; implicit-def: $vgpr17
	v_lshrrev_b32_e32 v37, 2, v58
	s_branch .LBB712_46
.LBB712_43:
                                        ; implicit-def: $vgpr5
                                        ; implicit-def: $vgpr9
                                        ; implicit-def: $vgpr13
                                        ; implicit-def: $vgpr17
	s_cbranch_execz .LBB712_45
; %bb.44:
	s_waitcnt vmcnt(0)
	v_mad_u64_u32 v[2:3], s[0:1], v20, s15, v[18:19]
	v_lshlrev_b32_e32 v20, 1, v2
	s_lshl_b32 s2, s15, 7
	s_and_b32 s1, s5, 0xffff
	s_mov_b32 s3, 0x20000
	s_mov_b32 s0, s4
	v_add_lshl_u32 v21, v2, s15, 1
	s_movk_i32 s13, 0x80
	buffer_load_dwordx4 v[2:5], v20, s[0:3], 0 offen
	buffer_load_dwordx4 v[10:13], v20, s[0:3], s13 offen
	;; [unrolled: 1-line block ×4, first 2 shown]
.LBB712_45:
	v_lshrrev_b32_e32 v37, 2, v58
	s_cbranch_execnz .LBB712_58
.LBB712_46:
	s_and_b64 vcc, exec, s[6:7]
	s_cbranch_vccz .LBB712_56
; %bb.47:
	s_waitcnt vmcnt(0)
	v_lshlrev_b32_e32 v7, 1, v35
	v_cmp_gt_i32_e32 vcc, s40, v7
	v_mov_b32_e32 v6, 0
	v_lshlrev_b32_e32 v14, 9, v35
	v_mov_b32_e32 v2, 0
	v_mov_b32_e32 v3, 0
	;; [unrolled: 1-line block ×4, first 2 shown]
	s_and_saveexec_b64 s[0:1], vcc
	s_cbranch_execz .LBB712_49
; %bb.48:
	v_mov_b32_e32 v15, 0
	v_lshl_add_u64 v[2:3], s[4:5], 0, v[14:15]
	v_lshlrev_b32_e32 v4, 1, v18
	v_mov_b32_e32 v5, v15
	v_lshl_add_u64 v[2:3], v[2:3], 0, v[4:5]
	global_load_dwordx4 v[2:5], v[2:3], off
.LBB712_49:
	s_or_b64 exec, exec, s[0:1]
	v_or_b32_e32 v7, 1, v7
	v_cmp_gt_i32_e64 s[0:1], s40, v7
	v_lshlrev_b32_e32 v20, 8, v7
	v_mov_b32_e32 v7, 0
	v_mov_b32_e32 v8, 0
	;; [unrolled: 1-line block ×3, first 2 shown]
	s_and_saveexec_b64 s[2:3], s[0:1]
	s_cbranch_execz .LBB712_51
; %bb.50:
	v_mov_b32_e32 v21, 0
	v_lshl_add_u64 v[6:7], s[4:5], 0, v[20:21]
	v_lshlrev_b32_e32 v8, 1, v18
	v_mov_b32_e32 v9, v21
	v_lshl_add_u64 v[6:7], v[6:7], 0, v[8:9]
	global_load_dwordx4 v[6:9], v[6:7], off
.LBB712_51:
	s_or_b64 exec, exec, s[2:3]
	v_mov_b32_e32 v17, 0
	v_mov_b32_e32 v10, 0
	;; [unrolled: 1-line block ×5, first 2 shown]
	s_and_saveexec_b64 s[2:3], vcc
	s_cbranch_execz .LBB712_53
; %bb.52:
	v_mov_b32_e32 v15, 0
	v_lshl_add_u64 v[10:11], s[4:5], 0, v[14:15]
	v_lshlrev_b32_e32 v14, 1, v18
	v_lshl_add_u64 v[10:11], v[10:11], 0, v[14:15]
	global_load_dwordx4 v[10:13], v[10:11], off offset:128
.LBB712_53:
	s_or_b64 exec, exec, s[2:3]
	v_mov_b32_e32 v16, 0
	v_mov_b32_e32 v15, 0
	;; [unrolled: 1-line block ×3, first 2 shown]
	s_and_saveexec_b64 s[2:3], s[0:1]
	s_cbranch_execz .LBB712_55
; %bb.54:
	v_mov_b32_e32 v21, 0
	v_lshl_add_u64 v[14:15], s[4:5], 0, v[20:21]
	v_lshlrev_b32_e32 v20, 1, v18
	v_lshl_add_u64 v[14:15], v[14:15], 0, v[20:21]
	global_load_dwordx4 v[14:17], v[14:15], off offset:128
.LBB712_55:
	s_or_b64 exec, exec, s[2:3]
	s_branch .LBB712_58
.LBB712_56:
                                        ; implicit-def: $vgpr5
                                        ; implicit-def: $vgpr9
                                        ; implicit-def: $vgpr13
                                        ; implicit-def: $vgpr17
	s_cbranch_execz .LBB712_58
; %bb.57:
	s_waitcnt vmcnt(0)
	v_lshlrev_b32_e32 v2, 1, v18
	v_lshl_or_b32 v18, v35, 9, v2
	s_and_b32 s5, s5, 0xffff
	s_mov_b32 s7, 0x20000
	s_movk_i32 s6, 0x4000
	s_movk_i32 s0, 0x80
	buffer_load_dwordx4 v[2:5], v18, s[4:7], 0 offen
	buffer_load_dwordx4 v[6:9], v18, s[4:7], 0 offen offset:256
	buffer_load_dwordx4 v[10:13], v18, s[4:7], s0 offen
	buffer_load_dwordx4 v[14:17], v18, s[4:7], s0 offen offset:256
.LBB712_58:
	ds_read2st64_b64 v[22:25], v19 offset0:76 offset1:77
	ds_read2st64_b64 v[18:21], v19 offset0:78 offset1:79
	ds_read_b64 v[30:31], v26 offset:24576
	ds_read_b64 v[32:33], v27 offset:24576
	;; [unrolled: 1-line block ×4, first 2 shown]
	v_and_b32_e32 v36, 6, v0
	v_xor_b32_e32 v35, v35, v36
	v_lshlrev_b32_e32 v35, 2, v35
	v_and_b32_e32 v0, 1, v0
	v_xor_b32_e32 v38, 0x440, v35
	v_cmp_eq_u32_e32 vcc, 0, v0
	s_mov_b32 s0, 0x1000504
	s_mov_b32 s1, 0x3020706
	v_cndmask_b32_e32 v0, v38, v35, vcc
	v_lshl_or_b32 v0, v36, 10, v0
	s_waitcnt vmcnt(0)
	v_perm_b32 v35, v2, v6, s0
	v_perm_b32 v36, v10, v14, s0
	ds_write2st64_b32 v0, v35, v36 offset1:32
	v_xor_b32_e32 v35, 8, v0
	v_perm_b32 v2, v2, v6, s1
	v_perm_b32 v6, v10, v14, s1
	v_add_u32_e32 v10, 0x80, v35
	ds_write2st64_b32 v10, v2, v6 offset1:32
	v_xor_b32_e32 v2, 16, v0
	v_perm_b32 v6, v3, v7, s0
	v_perm_b32 v10, v11, v15, s0
	ds_write2st64_b32 v2, v6, v10 offset0:1 offset1:33
	v_xor_b32_e32 v2, 24, v0
	v_perm_b32 v3, v3, v7, s1
	v_perm_b32 v6, v11, v15, s1
	v_add_u32_e32 v2, 0x80, v2
	ds_write2st64_b32 v2, v3, v6 offset0:1 offset1:33
	v_xor_b32_e32 v2, 32, v0
	v_perm_b32 v3, v4, v8, s0
	v_perm_b32 v6, v12, v16, s0
	ds_write2st64_b32 v2, v3, v6 offset0:2 offset1:34
	v_xor_b32_e32 v2, 40, v0
	v_perm_b32 v3, v4, v8, s1
	v_perm_b32 v4, v12, v16, s1
	v_add_u32_e32 v2, 0x80, v2
	ds_write2st64_b32 v2, v3, v4 offset0:2 offset1:34
	v_xor_b32_e32 v2, 48, v0
	v_perm_b32 v3, v5, v9, s0
	v_perm_b32 v4, v13, v17, s0
	v_xor_b32_e32 v0, 56, v0
	v_and_or_b32 v6, v37, 12, v45
	ds_write2st64_b32 v2, v3, v4 offset0:3 offset1:35
	v_perm_b32 v2, v5, v9, s1
	v_perm_b32 v3, v13, v17, s1
	v_add_u32_e32 v0, 0x80, v0
	v_cmp_gt_i32_e32 vcc, s40, v6
	v_mov_b32_e32 v7, 0
	v_mov_b32_e32 v11, 0
	ds_write2st64_b32 v0, v2, v3 offset0:3 offset1:35
	s_and_saveexec_b64 s[0:1], vcc
	s_cbranch_execz .LBB712_60
; %bb.59:
	v_add_u32_e32 v0, s34, v6
	v_ashrrev_i32_e32 v2, 31, v0
	v_mul_lo_u32 v4, v2, s28
	v_mul_lo_u32 v5, v0, s29
	v_mad_u64_u32 v[2:3], s[2:3], v0, s28, 0
	v_add3_u32 v3, v3, v5, v4
	v_lshl_add_u64 v[2:3], v[2:3], 2, s[10:11]
	global_load_dword v0, v[2:3], off
	s_waitcnt vmcnt(0)
	v_sub_f32_e32 v0, s12, v0
	v_mul_f32_e32 v0, 0x3fb8aa3b, v0
	v_exp_f32_e32 v11, v0
.LBB712_60:
	s_or_b64 exec, exec, s[0:1]
	v_or_b32_e32 v9, 1, v6
	v_cmp_gt_i32_e64 s[0:1], s40, v9
	s_and_saveexec_b64 s[2:3], s[0:1]
	s_cbranch_execz .LBB712_62
; %bb.61:
	v_add_u32_e32 v0, s34, v9
	v_ashrrev_i32_e32 v2, 31, v0
	v_mul_lo_u32 v4, v2, s28
	v_mul_lo_u32 v5, v0, s29
	v_mad_u64_u32 v[2:3], s[4:5], v0, s28, 0
	v_add3_u32 v3, v3, v5, v4
	v_lshl_add_u64 v[2:3], v[2:3], 2, s[10:11]
	global_load_dword v0, v[2:3], off
	s_waitcnt vmcnt(0)
	v_sub_f32_e32 v0, s12, v0
	v_mul_f32_e32 v0, 0x3fb8aa3b, v0
	v_exp_f32_e32 v7, v0
.LBB712_62:
	s_or_b64 exec, exec, s[2:3]
	v_or_b32_e32 v10, 2, v6
	v_cmp_gt_i32_e64 s[2:3], s40, v10
	v_mov_b32_e32 v8, 0
	v_mov_b32_e32 v13, 0
	s_and_saveexec_b64 s[4:5], s[2:3]
	s_cbranch_execz .LBB712_64
; %bb.63:
	v_add_u32_e32 v0, s34, v10
	v_ashrrev_i32_e32 v2, 31, v0
	v_mul_lo_u32 v4, v2, s28
	v_mul_lo_u32 v5, v0, s29
	v_mad_u64_u32 v[2:3], s[6:7], v0, s28, 0
	v_add3_u32 v3, v3, v5, v4
	v_lshl_add_u64 v[2:3], v[2:3], 2, s[10:11]
	global_load_dword v0, v[2:3], off
	s_waitcnt vmcnt(0)
	v_sub_f32_e32 v0, s12, v0
	v_mul_f32_e32 v0, 0x3fb8aa3b, v0
	v_exp_f32_e32 v13, v0
.LBB712_64:
	s_or_b64 exec, exec, s[4:5]
	v_or_b32_e32 v12, 3, v6
	v_cmp_gt_i32_e64 s[4:5], s40, v12
	s_and_saveexec_b64 s[6:7], s[4:5]
	s_cbranch_execz .LBB712_66
; %bb.65:
	v_add_u32_e32 v0, s34, v12
	v_ashrrev_i32_e32 v2, 31, v0
	v_mul_lo_u32 v4, v2, s28
	v_mul_lo_u32 v5, v0, s29
	v_mad_u64_u32 v[2:3], s[14:15], v0, s28, 0
	v_add3_u32 v3, v3, v5, v4
	v_lshl_add_u64 v[2:3], v[2:3], 2, s[10:11]
	global_load_dword v0, v[2:3], off
	s_waitcnt vmcnt(0)
	v_sub_f32_e32 v0, s12, v0
	v_mul_f32_e32 v0, 0x3fb8aa3b, v0
	v_exp_f32_e32 v8, v0
.LBB712_66:
	s_or_b64 exec, exec, s[6:7]
	s_waitcnt lgkmcnt(11)
	v_mfma_f32_16x16x16_bf16 a[0:3], v[30:31], v[22:23], a[0:3]
	v_or_b32_e32 v0, s30, v1
	s_add_u32 s6, s8, s24
	s_addc_u32 s7, s9, s25
	s_waitcnt lgkmcnt(10)
	v_mfma_f32_16x16x16_bf16 a[0:3], v[32:33], v[24:25], a[0:3]
	v_ashrrev_i32_e32 v1, 31, v0
	v_lshl_add_u64 v[4:5], v[0:1], 1, s[6:7]
	v_mov_b32_e32 v14, 0
	s_waitcnt lgkmcnt(9)
	v_mfma_f32_16x16x16_bf16 a[0:3], v[28:29], v[18:19], a[0:3]
	v_mov_b32_e32 v15, 0
	s_waitcnt lgkmcnt(8)
	v_mfma_f32_16x16x16_bf16 a[0:3], v[26:27], v[20:21], a[0:3]
	s_nop 6
	v_accvgpr_read_b32 v0, a0
	v_accvgpr_read_b32 v1, a1
	;; [unrolled: 1-line block ×4, first 2 shown]
	s_and_saveexec_b64 s[6:7], vcc
	s_cbranch_execz .LBB712_68
; %bb.67:
	v_lshlrev_b32_e32 v16, 8, v6
	v_mov_b32_e32 v17, 0
	v_lshl_add_u64 v[16:17], v[4:5], 0, v[16:17]
	global_load_ushort v15, v[16:17], off
	s_waitcnt vmcnt(0)
	v_lshlrev_b32_e32 v15, 16, v15
	v_sub_f32_e32 v0, v15, v0
	v_mul_f32_e32 v0, v11, v0
	v_lshrrev_b32_e32 v15, 16, v0
.LBB712_68:
	s_or_b64 exec, exec, s[6:7]
	s_and_saveexec_b64 s[6:7], s[0:1]
	s_cbranch_execz .LBB712_70
; %bb.69:
	v_lshlrev_b32_e32 v16, 8, v9
	v_mov_b32_e32 v17, 0
	v_lshl_add_u64 v[16:17], v[4:5], 0, v[16:17]
	global_load_ushort v0, v[16:17], off
	s_waitcnt vmcnt(0)
	v_lshlrev_b32_e32 v0, 16, v0
	v_sub_f32_e32 v0, v0, v1
	v_mul_f32_e32 v0, v7, v0
	v_lshrrev_b32_e32 v14, 16, v0
.LBB712_70:
	s_or_b64 exec, exec, s[6:7]
	v_mov_b32_e32 v0, 0
	v_mov_b32_e32 v1, 0
	s_and_saveexec_b64 s[0:1], s[2:3]
	s_cbranch_execz .LBB712_72
; %bb.71:
	v_lshlrev_b32_e32 v10, 8, v10
	v_mov_b32_e32 v11, 0
	v_lshl_add_u64 v[10:11], v[4:5], 0, v[10:11]
	global_load_ushort v1, v[10:11], off
	s_waitcnt vmcnt(0)
	v_lshlrev_b32_e32 v1, 16, v1
	v_sub_f32_e32 v1, v1, v2
	v_mul_f32_e32 v1, v13, v1
	v_lshrrev_b32_e32 v1, 16, v1
.LBB712_72:
	s_or_b64 exec, exec, s[0:1]
	s_and_saveexec_b64 s[0:1], s[4:5]
	s_cbranch_execz .LBB712_74
; %bb.73:
	v_lshlrev_b32_e32 v10, 8, v12
	v_mov_b32_e32 v11, 0
	v_lshl_add_u64 v[4:5], v[4:5], 0, v[10:11]
	global_load_ushort v0, v[4:5], off
	s_waitcnt vmcnt(0)
	v_lshlrev_b32_e32 v0, 16, v0
	v_sub_f32_e32 v0, v0, v3
	v_mul_f32_e32 v0, v8, v0
	v_lshrrev_b32_e32 v0, 16, v0
.LBB712_74:
	s_or_b64 exec, exec, s[0:1]
	s_mov_b32 s0, 0x5040100
	v_lshlrev_b32_e32 v2, 1, v34
	v_perm_b32 v1, v0, v1, s0
	v_perm_b32 v0, v14, v15, s0
	v_lshl_or_b32 v2, v6, 5, v2
	ds_write_b64 v2, v[0:1] offset:38912
	s_waitcnt lgkmcnt(0)
	s_barrier
.LBB712_75:
	s_endpgm
	.section	.rodata,"a",@progbits
	.p2align	6, 0x0
	.amdhsa_kernel _ZN12_GLOBAL__N_139chunk_gated_delta_rule_fwd_h_hip_kernelILi16ELb0ELb0ELb0ELb1ELb0ELb1ELb1ELb0EEEvPK12hip_bfloat16S3_S3_PKfS5_PKvPS1_S8_PvPKiSB_iiiiilll
		.amdhsa_group_segment_fixed_size 40960
		.amdhsa_private_segment_fixed_size 0
		.amdhsa_kernarg_size 136
		.amdhsa_user_sgpr_count 2
		.amdhsa_user_sgpr_dispatch_ptr 0
		.amdhsa_user_sgpr_queue_ptr 0
		.amdhsa_user_sgpr_kernarg_segment_ptr 1
		.amdhsa_user_sgpr_dispatch_id 0
		.amdhsa_user_sgpr_kernarg_preload_length 0
		.amdhsa_user_sgpr_kernarg_preload_offset 0
		.amdhsa_user_sgpr_private_segment_size 0
		.amdhsa_uses_dynamic_stack 0
		.amdhsa_enable_private_segment 0
		.amdhsa_system_sgpr_workgroup_id_x 1
		.amdhsa_system_sgpr_workgroup_id_y 1
		.amdhsa_system_sgpr_workgroup_id_z 0
		.amdhsa_system_sgpr_workgroup_info 0
		.amdhsa_system_vgpr_workitem_id 0
		.amdhsa_next_free_vgpr 128
		.amdhsa_next_free_sgpr 60
		.amdhsa_accum_offset 116
		.amdhsa_reserve_vcc 1
		.amdhsa_float_round_mode_32 0
		.amdhsa_float_round_mode_16_64 0
		.amdhsa_float_denorm_mode_32 3
		.amdhsa_float_denorm_mode_16_64 3
		.amdhsa_dx10_clamp 1
		.amdhsa_ieee_mode 1
		.amdhsa_fp16_overflow 0
		.amdhsa_tg_split 0
		.amdhsa_exception_fp_ieee_invalid_op 0
		.amdhsa_exception_fp_denorm_src 0
		.amdhsa_exception_fp_ieee_div_zero 0
		.amdhsa_exception_fp_ieee_overflow 0
		.amdhsa_exception_fp_ieee_underflow 0
		.amdhsa_exception_fp_ieee_inexact 0
		.amdhsa_exception_int_div_zero 0
	.end_amdhsa_kernel
	.section	.text._ZN12_GLOBAL__N_139chunk_gated_delta_rule_fwd_h_hip_kernelILi16ELb0ELb0ELb0ELb1ELb0ELb1ELb1ELb0EEEvPK12hip_bfloat16S3_S3_PKfS5_PKvPS1_S8_PvPKiSB_iiiiilll,"axG",@progbits,_ZN12_GLOBAL__N_139chunk_gated_delta_rule_fwd_h_hip_kernelILi16ELb0ELb0ELb0ELb1ELb0ELb1ELb1ELb0EEEvPK12hip_bfloat16S3_S3_PKfS5_PKvPS1_S8_PvPKiSB_iiiiilll,comdat
.Lfunc_end712:
	.size	_ZN12_GLOBAL__N_139chunk_gated_delta_rule_fwd_h_hip_kernelILi16ELb0ELb0ELb0ELb1ELb0ELb1ELb1ELb0EEEvPK12hip_bfloat16S3_S3_PKfS5_PKvPS1_S8_PvPKiSB_iiiiilll, .Lfunc_end712-_ZN12_GLOBAL__N_139chunk_gated_delta_rule_fwd_h_hip_kernelILi16ELb0ELb0ELb0ELb1ELb0ELb1ELb1ELb0EEEvPK12hip_bfloat16S3_S3_PKfS5_PKvPS1_S8_PvPKiSB_iiiiilll
                                        ; -- End function
	.section	.AMDGPU.csdata,"",@progbits
; Kernel info:
; codeLenInByte = 7304
; NumSgprs: 66
; NumVgprs: 114
; NumAgprs: 12
; TotalNumVgprs: 128
; ScratchSize: 0
; MemoryBound: 0
; FloatMode: 240
; IeeeMode: 1
; LDSByteSize: 40960 bytes/workgroup (compile time only)
; SGPRBlocks: 8
; VGPRBlocks: 15
; NumSGPRsForWavesPerEU: 66
; NumVGPRsForWavesPerEU: 128
; AccumOffset: 116
; Occupancy: 1
; WaveLimiterHint : 1
; COMPUTE_PGM_RSRC2:SCRATCH_EN: 0
; COMPUTE_PGM_RSRC2:USER_SGPR: 2
; COMPUTE_PGM_RSRC2:TRAP_HANDLER: 0
; COMPUTE_PGM_RSRC2:TGID_X_EN: 1
; COMPUTE_PGM_RSRC2:TGID_Y_EN: 1
; COMPUTE_PGM_RSRC2:TGID_Z_EN: 0
; COMPUTE_PGM_RSRC2:TIDIG_COMP_CNT: 0
; COMPUTE_PGM_RSRC3_GFX90A:ACCUM_OFFSET: 28
; COMPUTE_PGM_RSRC3_GFX90A:TG_SPLIT: 0
	.section	.text._ZN12_GLOBAL__N_139chunk_gated_delta_rule_fwd_h_hip_kernelILi16ELb1ELb1ELb1ELb0ELb0ELb1ELb1ELb0EEEvPK12hip_bfloat16S3_S3_PKfS5_PKvPS1_S8_PvPKiSB_iiiiilll,"axG",@progbits,_ZN12_GLOBAL__N_139chunk_gated_delta_rule_fwd_h_hip_kernelILi16ELb1ELb1ELb1ELb0ELb0ELb1ELb1ELb0EEEvPK12hip_bfloat16S3_S3_PKfS5_PKvPS1_S8_PvPKiSB_iiiiilll,comdat
	.globl	_ZN12_GLOBAL__N_139chunk_gated_delta_rule_fwd_h_hip_kernelILi16ELb1ELb1ELb1ELb0ELb0ELb1ELb1ELb0EEEvPK12hip_bfloat16S3_S3_PKfS5_PKvPS1_S8_PvPKiSB_iiiiilll ; -- Begin function _ZN12_GLOBAL__N_139chunk_gated_delta_rule_fwd_h_hip_kernelILi16ELb1ELb1ELb1ELb0ELb0ELb1ELb1ELb0EEEvPK12hip_bfloat16S3_S3_PKfS5_PKvPS1_S8_PvPKiSB_iiiiilll
	.p2align	8
	.type	_ZN12_GLOBAL__N_139chunk_gated_delta_rule_fwd_h_hip_kernelILi16ELb1ELb1ELb1ELb0ELb0ELb1ELb1ELb0EEEvPK12hip_bfloat16S3_S3_PKfS5_PKvPS1_S8_PvPKiSB_iiiiilll,@function
_ZN12_GLOBAL__N_139chunk_gated_delta_rule_fwd_h_hip_kernelILi16ELb1ELb1ELb1ELb0ELb0ELb1ELb1ELb0EEEvPK12hip_bfloat16S3_S3_PKfS5_PKvPS1_S8_PvPKiSB_iiiiilll: ; @_ZN12_GLOBAL__N_139chunk_gated_delta_rule_fwd_h_hip_kernelILi16ELb1ELb1ELb1ELb0ELb0ELb1ELb1ELb0EEEvPK12hip_bfloat16S3_S3_PKfS5_PKvPS1_S8_PvPKiSB_iiiiilll
; %bb.0:
	s_load_dwordx4 s[24:27], s[0:1], 0x5c
	s_abs_i32 s6, s3
	s_ashr_i32 s5, s3, 31
	v_and_b32_e32 v67, 15, v0
	v_bfe_u32 v66, v0, 4, 2
	s_waitcnt lgkmcnt(0)
	s_abs_i32 s4, s25
	v_cvt_f32_u32_e32 v1, s4
	s_sub_i32 s8, 0, s4
	s_ashr_i32 s7, s25, 31
	s_xor_b32 s5, s5, s7
	v_rcp_iflag_f32_e32 v1, v1
	v_mov_b32_e32 v57, 0
	v_lshlrev_b32_e32 v68, 3, v0
	v_mul_f32_e32 v1, 0x4f7ffffe, v1
	v_cvt_u32_f32_e32 v1, v1
	s_nop 0
	v_readfirstlane_b32 s9, v1
	s_mul_i32 s8, s8, s9
	s_mul_hi_u32 s8, s9, s8
	s_add_i32 s9, s9, s8
	s_mul_hi_u32 s8, s6, s9
	s_mul_i32 s9, s8, s4
	s_sub_i32 s6, s6, s9
	s_add_i32 s10, s8, 1
	s_sub_i32 s9, s6, s4
	s_cmp_ge_u32 s6, s4
	s_cselect_b32 s8, s10, s8
	s_cselect_b32 s6, s9, s6
	s_add_i32 s9, s8, 1
	s_cmp_ge_u32 s6, s4
	s_cselect_b32 s6, s9, s8
	s_xor_b32 s6, s6, s5
	s_sub_i32 s58, s6, s5
	s_mul_i32 s6, s58, s25
	s_sub_i32 s33, s3, s6
	s_abs_i32 s3, s26
	v_cvt_f32_u32_e32 v1, s3
	s_add_i32 s8, s24, 63
	s_ashr_i32 s9, s8, 31
	s_lshr_b32 s5, s9, 26
	v_rcp_iflag_f32_e32 v1, v1
	s_ashr_i32 s57, s24, 31
	s_add_i32 s8, s8, s5
	s_lshr_b32 s5, s57, 26
	v_mul_f32_e32 v1, 0x4f7ffffe, v1
	v_cvt_u32_f32_e32 v1, v1
	s_add_i32 s5, s24, s5
	s_ashr_i32 s60, s26, 31
	s_ashr_i32 s28, s8, 6
	s_ashr_i32 s59, s5, 6
	s_xor_b32 s5, s7, s60
	s_sub_i32 s7, 0, s3
	v_readfirstlane_b32 s8, v1
	s_mul_i32 s7, s7, s8
	s_mul_hi_u32 s7, s8, s7
	s_add_i32 s8, s8, s7
	s_mul_hi_u32 s7, s4, s8
	s_mul_i32 s8, s7, s3
	s_sub_i32 s4, s4, s8
	s_lshl_b32 s2, s2, 4
	s_add_i32 s8, s7, 1
	s_sub_i32 s9, s4, s3
	s_cmp_ge_u32 s4, s3
	s_cselect_b32 s7, s8, s7
	s_cselect_b32 s4, s9, s4
	s_add_i32 s8, s7, 1
	s_cmp_ge_u32 s4, s3
	s_cselect_b32 s3, s8, s7
	s_xor_b32 s3, s3, s5
	s_sub_i32 s3, s3, s5
	s_abs_i32 s4, s3
	v_cvt_f32_u32_e32 v1, s4
	s_sub_i32 s7, 0, s4
	s_abs_i32 s5, s33
	s_xor_b32 s3, s33, s3
	v_rcp_iflag_f32_e32 v2, v1
	s_ashr_i32 s3, s3, 31
	s_load_dwordx8 s[8:15], s[0:1], 0x20
	v_lshrrev_b32_e32 v1, 6, v0
	v_mul_f32_e32 v2, 0x4f7ffffe, v2
	v_cvt_u32_f32_e32 v2, v2
	v_or_b32_e32 v58, s2, v67
	v_lshlrev_b32_e32 v53, 4, v1
	v_lshlrev_b32_e32 v54, 7, v58
	v_readfirstlane_b32 s16, v2
	s_mul_i32 s7, s7, s16
	s_mul_hi_u32 s7, s16, s7
	s_add_i32 s16, s16, s7
	s_mul_hi_u32 s7, s5, s16
	s_mul_i32 s16, s7, s4
	s_sub_i32 s5, s5, s16
	s_add_i32 s16, s7, 1
	s_sub_i32 s17, s5, s4
	s_cmp_ge_u32 s5, s4
	s_cselect_b32 s7, s16, s7
	s_cselect_b32 s5, s17, s5
	s_add_i32 s16, s7, 1
	s_cmp_ge_u32 s5, s4
	s_cselect_b32 s4, s16, s7
	s_xor_b32 s4, s4, s3
	s_sub_i32 s61, s4, s3
	s_ashr_i32 s3, s58, 31
	s_ashr_i32 s50, s33, 31
	s_mul_hi_i32 s4, s58, s25
	s_add_u32 s42, s6, s33
	s_addc_u32 s43, s4, s50
	s_lshl_b64 s[34:35], s[42:43], 16
	s_waitcnt lgkmcnt(0)
	s_add_u32 s4, s10, s34
	v_lshl_or_b32 v70, v66, 2, v53
	s_addc_u32 s5, s11, s35
	v_ashrrev_i32_e32 v55, 31, v54
	v_lshl_add_u64 v[2:3], v[54:55], 2, s[4:5]
	v_lshlrev_b32_e32 v56, 2, v70
	v_lshl_add_u64 v[10:11], v[2:3], 0, v[56:57]
	global_load_dwordx4 v[6:9], v[10:11], off
	global_load_dwordx4 v[2:5], v[10:11], off offset:256
	s_load_dwordx2 s[10:11], s[0:1], 0x40
	s_load_dwordx8 s[16:23], s[0:1], 0x0
	s_load_dwordx2 s[36:37], s[0:1], 0x80
	s_load_dwordx4 s[4:7], s[0:1], 0x70
	v_and_b32_e32 v57, 63, v0
	s_mul_i32 s51, s58, s24
	s_mul_i32 s62, s58, s28
	v_or_b32_e32 v71, 64, v70
	s_cmp_lt_i32 s24, 64
	v_lshrrev_b32_e32 v69, 3, v57
	s_mul_i32 s63, s43, s24
	s_mul_hi_u32 s64, s42, s24
	s_mul_i32 s44, s42, s24
	s_waitcnt lgkmcnt(0)
	s_mul_i32 s43, s58, s5
	s_mul_hi_u32 s53, s58, s4
	s_mul_i32 s54, s3, s4
	s_mul_i32 s40, s58, s4
	;; [unrolled: 1-line block ×3, first 2 shown]
	s_mul_hi_u32 s55, s33, s6
	s_mul_i32 s56, s50, s6
	s_mul_i32 s38, s33, s6
	s_cbranch_scc1 .LBB713_18
; %bb.1:
	s_add_i32 s45, s64, s63
	s_lshl_b64 s[0:1], s[44:45], 8
	v_and_b32_e32 v73, 56, v68
	s_add_u32 s4, s18, s0
	v_lshl_or_b32 v72, v1, 3, v69
	v_lshlrev_b32_e32 v10, 1, v73
	s_addc_u32 s0, s19, s1
	v_lshl_or_b32 v74, v72, 8, v10
	s_and_b32 s5, s0, 0xffff
	s_mov_b32 s7, 0x20000
	s_movk_i32 s6, 0x4000
	s_movk_i32 s0, 0x80
	v_or_b32_e32 v75, 0x2000, v74
	buffer_load_dwordx4 v[12:15], v74, s[4:7], 0 offen
	buffer_load_dwordx4 v[16:19], v74, s[4:7], s0 offen
	;; [unrolled: 1-line block ×4, first 2 shown]
	v_lshlrev_b32_e32 v11, 3, v72
	v_and_or_b32 v29, v0, 7, v11
	v_and_b32_e32 v11, 0x78, v11
	v_lshlrev_b32_e32 v29, 4, v29
	v_xor_b32_e32 v76, v29, v11
	v_mul_lo_u32 v28, v72, s27
	v_or_b32_e32 v77, 0x1000, v76
	v_xor_b32_e32 v11, 8, v76
	s_cmpk_eq_i32 s27, 0x80
	s_mov_b32 s65, s26
	v_xor_b32_e32 v29, 8, v77
	s_cselect_b64 s[0:1], -1, 0
	s_cmpk_lg_i32 s27, 0x80
	s_waitcnt vmcnt(3)
	ds_write_b64 v76, v[12:13] offset:16384
	ds_write_b64 v11, v[14:15] offset:16384
	s_waitcnt vmcnt(2)
	ds_write_b64 v76, v[16:17] offset:24576
	ds_write_b64 v11, v[18:19] offset:24576
	;; [unrolled: 3-line block ×4, first 2 shown]
	v_lshl_add_u32 v11, v28, 1, v73
	s_cbranch_scc0 .LBB713_3
; %bb.2:
	v_lshlrev_b32_e32 v13, 1, v11
	v_add_lshl_u32 v12, v11, s27, 1
	s_lshl_b32 s6, s27, 7
	v_lshl_or_b32 v10, v72, 9, v10
	s_cbranch_execz .LBB713_4
	s_branch .LBB713_5
.LBB713_3:
                                        ; implicit-def: $vgpr12
                                        ; implicit-def: $vgpr13
                                        ; implicit-def: $sgpr6
	v_lshl_or_b32 v10, v72, 9, v10
.LBB713_4:
	v_or_b32_e32 v12, 0x100, v10
	s_movk_i32 s6, 0x4000
	v_mov_b32_e32 v13, v10
.LBB713_5:
	s_mul_hi_u32 s4, s26, s24
	s_mul_i32 s5, s60, s24
	s_add_i32 s4, s4, s5
	s_mul_i32 s5, s26, s24
	s_mul_i32 s7, s5, s3
	s_mul_hi_u32 s28, s5, s58
	s_add_i32 s7, s28, s7
	s_mul_i32 s4, s4, s58
	s_add_i32 s7, s7, s4
	s_mul_i32 s5, s5, s58
	s_ashr_i32 s66, s61, 31
	s_add_u32 s4, s5, s61
	s_addc_u32 s5, s7, s66
	s_lshl_b64 s[4:5], s[4:5], 8
	s_add_u32 s4, s16, s4
	s_addc_u32 s5, s17, s5
	s_and_b32 s5, s5, 0xffff
	s_mov_b32 s7, 0x20000
	s_movk_i32 s67, 0x80
	buffer_load_dwordx4 v[14:17], v13, s[4:7], 0 offen
	buffer_load_dwordx4 v[18:21], v13, s[4:7], s67 offen
	;; [unrolled: 1-line block ×4, first 2 shown]
	v_and_b32_e32 v12, 6, v0
	v_lshlrev_b32_e32 v30, 2, v67
	v_lshlrev_b32_e32 v31, 3, v67
	v_xor_b32_e32 v33, v72, v12
	v_and_b32_e32 v13, 1, v0
	s_mul_i32 s3, s3, s24
	s_mul_hi_u32 s4, s58, s24
	v_lshl_or_b32 v31, v70, 5, v31
	v_xor_b32_e32 v34, v70, v30
	v_lshlrev_b32_e32 v33, 2, v33
	v_or_b32_e32 v78, 0x9000, v31
	v_or_b32_e32 v79, 0x9800, v31
	v_lshlrev_b32_e32 v31, 1, v34
	v_xor_b32_e32 v34, 0x440, v33
	v_cmp_eq_u32_e32 vcc, 0, v13
	s_add_i32 s71, s4, s3
	s_add_i32 s3, s53, s43
	v_cndmask_b32_e32 v13, v34, v33, vcc
	s_add_i32 s4, s55, s52
	s_add_i32 s41, s3, s54
	s_mov_b32 s69, 0x1000504
	v_lshlrev_b32_e32 v32, 8, v67
	s_mov_b32 s6, 0x8000
	v_xor_b32_e32 v30, v71, v30
	v_lshl_or_b32 v12, v12, 10, v13
	s_add_i32 s39, s4, s56
	s_lshl_b64 s[4:5], s[40:41], 2
	s_mov_b32 s70, 0x3020706
	v_lshlrev_b32_e32 v30, 1, v30
	v_or3_b32 v80, v31, v32, s6
	v_xor_b32_e32 v13, 8, v12
	v_xor_b32_e32 v31, 24, v12
	;; [unrolled: 1-line block ×4, first 2 shown]
	s_add_u32 s3, s22, s4
	v_or3_b32 v81, v30, v32, s6
	v_xor_b32_e32 v30, 16, v12
	v_xor_b32_e32 v32, 32, v12
	;; [unrolled: 1-line block ×3, first 2 shown]
	v_add_u32_e32 v13, 0x80, v13
	v_add_u32_e32 v31, 0x80, v31
	;; [unrolled: 1-line block ×4, first 2 shown]
	s_addc_u32 s28, s23, s5
	s_lshl_b64 s[4:5], s[38:39], 2
	s_add_u32 s46, s3, s4
	s_movk_i32 s3, 0xf8
	s_addc_u32 s47, s28, s5
	v_ashrrev_i32_e32 v59, 31, v58
	s_lshl_b32 s30, s27, 7
	s_mov_b32 s68, 0
	s_mov_b32 s39, 0x7060302
	v_mov_b32_e32 v101, 0x3fb8aa3b
	s_mov_b32 s72, 0
	s_waitcnt vmcnt(1)
	v_perm_b32 v36, v14, v22, s69
	s_waitcnt vmcnt(0)
	v_perm_b32 v37, v18, v26, s69
	v_perm_b32 v14, v14, v22, s70
	;; [unrolled: 1-line block ×15, first 2 shown]
	ds_write2st64_b32 v12, v36, v37 offset1:32
	ds_write2st64_b32 v13, v14, v18 offset1:32
	ds_write2st64_b32 v30, v22, v26 offset0:1 offset1:33
	ds_write2st64_b32 v31, v15, v19 offset0:1 offset1:33
	;; [unrolled: 1-line block ×6, first 2 shown]
	v_or_b32_e32 v12, v53, v67
	v_lshlrev_b32_e32 v12, 3, v12
	v_lshrrev_b32_e32 v14, 5, v57
	v_and_or_b32 v14, v12, s3, v14
	v_lshlrev_b32_e32 v14, 4, v14
	v_lshrrev_b32_e32 v13, 2, v57
	v_lshlrev_b32_e32 v21, 11, v1
	v_and_b32_e32 v12, 0x78, v12
	v_or_b32_e32 v17, 32, v14
	v_and_b32_e32 v20, 12, v13
	v_and_b32_e32 v13, 0x1000, v21
	v_lshrrev_b32_e32 v16, 1, v57
	v_xor_b32_e32 v17, v17, v12
	v_and_b32_e32 v16, 8, v16
	v_or_b32_e32 v17, v17, v13
	v_xor_b32_e32 v15, v14, v12
	v_xor_b32_e32 v84, v17, v16
	v_or_b32_e32 v17, 64, v14
	v_or_b32_e32 v14, 0x60, v14
	v_xor_b32_e32 v17, v17, v12
	v_xor_b32_e32 v12, v14, v12
	v_or_b32_e32 v15, v15, v13
	v_or_b32_e32 v17, v17, v13
	;; [unrolled: 1-line block ×3, first 2 shown]
	v_xor_b32_e32 v82, v15, v16
	v_xor_b32_e32 v85, v17, v16
	;; [unrolled: 1-line block ×3, first 2 shown]
	v_lshrrev_b32_e32 v16, 4, v0
	v_lshlrev_b32_e32 v17, 1, v67
	s_ashr_i32 s3, s2, 31
	v_or_b32_e32 v18, 1, v17
	v_xor_b32_e32 v17, v16, v17
	s_lshl_b64 s[4:5], s[2:3], 8
	v_xor_b32_e32 v18, v18, v16
	v_lshlrev_b32_e32 v17, 3, v17
	v_lshlrev_b32_e32 v16, 8, v16
	v_lshlrev_b64 v[12:13], 1, v[58:59]
	s_add_u32 s4, s12, s4
	v_or3_b32 v59, v17, v16, s6
	v_lshlrev_b32_e32 v17, 3, v18
	s_addc_u32 s5, s13, s5
	v_or3_b32 v88, v17, v16, s6
	v_mov_b32_e32 v17, 0
	v_lshrrev_b32_e32 v27, 1, v0
	v_lshl_add_u64 v[18:19], s[4:5], 0, v[16:17]
	v_lshlrev_b32_e32 v16, 4, v67
	s_movk_i32 s3, 0xff
	v_lshlrev_b32_e32 v26, 3, v1
	v_and_b32_e32 v27, 24, v27
	v_lshl_add_u64 v[60:61], v[18:19], 0, v[16:17]
	v_and_b32_e32 v16, 7, v0
	v_and_b32_e32 v19, 8, v0
	v_cmp_lt_u32_e32 vcc, s3, v0
	v_xor_b32_e32 v28, v26, v27
	v_lshlrev_b32_e32 v24, 3, v16
	v_lshlrev_b32_e32 v25, 7, v16
	v_cndmask_b32_e64 v16, 0, 1, vcc
	v_or_b32_e32 v29, 0x440, v28
	v_cmp_eq_u32_e32 vcc, 0, v19
	v_or_b32_e32 v31, 64, v27
	v_xor_b32_e32 v31, v26, v31
	v_cndmask_b32_e32 v19, v29, v28, vcc
	v_or_b32_e32 v29, 32, v27
	v_or_b32_e32 v27, 0x60, v27
	v_xor_b32_e32 v29, v26, v29
	v_xor_b32_e32 v26, v26, v27
	v_or_b32_e32 v30, 0x440, v29
	v_xor_b32_e32 v32, 0x440, v31
	v_xor_b32_e32 v27, 0x440, v26
	v_cndmask_b32_e32 v29, v30, v29, vcc
	v_cndmask_b32_e32 v31, v32, v31, vcc
	;; [unrolled: 1-line block ×3, first 2 shown]
	v_and_b32_e32 v15, 0x78, v68
	v_or_b32_e32 v19, v19, v21
	v_or_b32_e32 v29, v29, v21
	;; [unrolled: 1-line block ×4, first 2 shown]
	v_lshl_or_b32 v15, v66, 7, v15
	v_lshlrev_b32_e32 v16, 13, v16
	v_xor_b32_e32 v19, v19, v24
	v_xor_b32_e32 v29, v29, v24
	;; [unrolled: 1-line block ×4, first 2 shown]
	v_or_b32_e32 v83, 0x9000, v15
	v_or_b32_e32 v87, 0x9800, v15
	v_lshl_add_u64 v[14:15], s[20:21], 0, v[12:13]
	v_lshl_add_u64 v[12:13], s[14:15], 0, v[12:13]
	v_lshlrev_b32_e32 v22, 1, v11
	v_add_lshl_u32 v11, v11, s27, 1
	v_or_b32_e32 v23, 0x100, v10
	v_or_b32_e32 v18, v20, v53
	v_add_u32_e32 v28, v16, v19
	v_add_u32_e32 v30, v16, v29
	v_add_u32_e32 v32, v16, v31
	v_add_u32_e32 v24, v16, v21
	v_or3_b32 v20, v53, v20, 64
	v_add_u32_e32 v19, 0x2000, v19
	v_add_u32_e32 v26, 0x2000, v29
	;; [unrolled: 1-line block ×4, first 2 shown]
	v_lshlrev_b32_e32 v16, 8, v70
	v_cndmask_b32_e64 v89, v22, v10, s[0:1]
	v_cndmask_b32_e64 v90, v11, v23, s[0:1]
	v_lshl_add_u64 v[62:63], v[14:15], 0, v[16:17]
	v_lshl_add_u64 v[64:65], v[12:13], 0, v[16:17]
	s_add_i32 s3, s51, 63
	s_movk_i32 s6, 0x4000
	v_lshlrev_b32_e32 v91, 2, v18
	v_add_u32_e32 v92, v28, v25
	v_add_u32_e32 v93, v30, v25
	;; [unrolled: 1-line block ×4, first 2 shown]
	v_lshlrev_b32_e32 v96, 2, v20
	v_add_u32_e32 v97, v19, v25
	v_add_u32_e32 v98, v26, v25
	v_add_u32_e32 v99, v27, v25
	v_add_u32_e32 v100, v21, v25
	s_waitcnt lgkmcnt(0)
	s_barrier
.LBB713_6:                              ; =>This Inner Loop Header: Depth=1
	s_add_i32 s41, s72, 1
	s_cmp_lt_i32 s41, s59
	s_mov_b64 s[28:29], 0
	s_cselect_b64 s[48:49], -1, 0
	s_cmp_ge_i32 s41, s59
	s_mov_b64 s[4:5], 0
	s_cbranch_scc1 .LBB713_8
; %bb.7:                                ;   in Loop: Header=BB713_6 Depth=1
	s_add_i32 s0, s68, 64
	s_add_u32 s0, s44, s0
	s_addc_u32 s1, s45, 0
	s_lshl_b64 s[0:1], s[0:1], 8
	s_add_u32 s4, s18, s0
	s_addc_u32 s5, s19, s1
.LBB713_8:                              ;   in Loop: Header=BB713_6 Depth=1
	v_cndmask_b32_e64 v10, 0, 1, s[48:49]
	v_cmp_ne_u32_e64 s[0:1], 1, v10
	s_andn2_b64 vcc, exec, s[48:49]
	s_cbranch_vccnz .LBB713_10
; %bb.9:                                ;   in Loop: Header=BB713_6 Depth=1
	s_add_i32 s28, s68, 64
	s_add_u32 s28, s51, s28
	s_addc_u32 s29, s71, 0
	s_mul_i32 s31, s28, s60
	s_mul_hi_u32 s48, s28, s65
	s_add_i32 s31, s48, s31
	s_mul_i32 s29, s29, s65
	s_add_i32 s31, s31, s29
	s_mul_i32 s28, s28, s65
	s_add_u32 s28, s28, s61
	s_addc_u32 s29, s31, s66
	s_lshl_b64 s[28:29], s[28:29], 8
	s_add_u32 s28, s16, s28
	s_addc_u32 s29, s17, s29
.LBB713_10:                             ;   in Loop: Header=BB713_6 Depth=1
	v_perm_b32 v11, v9, v8, s39
	v_perm_b32 v10, v7, v6, s39
	;; [unrolled: 1-line block ×4, first 2 shown]
	ds_write_b64 v78, v[10:11]
	ds_write_b64 v79, v[12:13]
	;; [unrolled: 1-line block ×4, first 2 shown]
	s_waitcnt lgkmcnt(0)
	s_barrier
	ds_read_b64 v[18:19], v82 offset:16384
	ds_read_b64 v[20:21], v84 offset:16384
	ds_read2st64_b64 v[10:13], v83 offset1:1
	ds_read2st64_b64 v[14:17], v83 offset0:2 offset1:3
	ds_read_b64 v[22:23], v85 offset:16384
	s_waitcnt lgkmcnt(2)
	v_mfma_f32_16x16x16_bf16 a[0:3], v[18:19], v[10:11], 0
	ds_read_b64 v[10:11], v86 offset:16384
	s_add_i32 s31, s68, 63
	s_mul_i32 s48, s31, s37
	v_mfma_f32_16x16x16_bf16 a[0:3], v[20:21], v[12:13], a[0:3]
	s_mul_hi_u32 s49, s31, s36
	s_add_i32 s49, s49, s48
	s_mul_i32 s48, s31, s36
	s_waitcnt lgkmcnt(1)
	v_mfma_f32_16x16x16_bf16 a[0:3], v[22:23], v[14:15], a[0:3]
	s_lshl_b64 s[48:49], s[48:49], 2
	s_add_u32 s48, s46, s48
	s_addc_u32 s49, s47, s49
	s_waitcnt lgkmcnt(0)
	v_mfma_f32_16x16x16_bf16 a[0:3], v[10:11], v[16:17], a[0:3]
	s_and_b64 vcc, exec, s[0:1]
	v_mov_b32_e32 v104, 0
	v_mov_b32_e32 v103, 0
	;; [unrolled: 1-line block ×19, first 2 shown]
	s_cbranch_vccnz .LBB713_12
; %bb.11:                               ;   in Loop: Header=BB713_6 Depth=1
	s_and_b32 s5, s5, 0xffff
	buffer_load_dwordx4 v[22:25], v74, s[4:7], 0 offen
	buffer_load_dwordx4 v[18:21], v74, s[4:7], s67 offen
	;; [unrolled: 1-line block ×4, first 2 shown]
	v_mov_b32_e32 v103, v76
	v_mov_b32_e32 v102, v77
.LBB713_12:                             ;   in Loop: Header=BB713_6 Depth=1
	v_add_u32_e32 v32, s68, v70
	v_ashrrev_i32_e32 v26, 31, v32
	v_mul_lo_u32 v28, v26, s36
	v_mul_lo_u32 v29, v32, s37
	v_mad_u64_u32 v[26:27], s[4:5], v32, s36, 0
	v_add3_u32 v27, v27, v29, v28
	v_add_u32_e32 v28, 1, v32
	v_ashrrev_i32_e32 v29, 31, v28
	v_mul_lo_u32 v30, v29, s36
	v_mul_lo_u32 v31, v28, s37
	v_mad_u64_u32 v[28:29], s[4:5], v28, s36, 0
	v_add3_u32 v29, v29, v31, v30
	v_add_u32_e32 v30, 2, v32
	v_ashrrev_i32_e32 v31, 31, v30
	v_mul_lo_u32 v33, v31, s36
	v_mul_lo_u32 v34, v30, s37
	v_mad_u64_u32 v[30:31], s[4:5], v30, s36, 0
	s_add_u32 s4, s44, s68
	v_add3_u32 v31, v31, v34, v33
	v_add_u32_e32 v34, 3, v32
	s_addc_u32 s5, s45, 0
	v_ashrrev_i32_e32 v32, 31, v34
	s_lshl_b64 s[74:75], s[4:5], 8
	v_lshl_add_u64 v[26:27], v[26:27], 2, s[46:47]
	v_mul_lo_u32 v35, v32, s36
	v_lshl_add_u64 v[32:33], v[62:63], 0, s[74:75]
	v_mul_lo_u32 v36, v34, s37
	global_load_ushort v42, v[32:33], off
	global_load_ushort v43, v[32:33], off offset:256
	global_load_ushort v44, v[32:33], off offset:512
	global_load_ushort v45, v[32:33], off offset:768
	global_load_dword v46, v[26:27], off
	v_mad_u64_u32 v[26:27], s[4:5], v34, s36, 0
	v_lshl_add_u64 v[28:29], v[28:29], 2, s[46:47]
	v_add3_u32 v27, v27, v36, v35
	v_lshl_add_u64 v[30:31], v[30:31], 2, s[46:47]
	v_lshl_add_u64 v[26:27], v[26:27], 2, s[46:47]
	global_load_dword v47, v[28:29], off
	global_load_dword v48, v[30:31], off
	global_load_dword v49, v[26:27], off
	ds_read_b64 v[26:27], v82 offset:24576
	s_load_dword s4, s[48:49], 0x0
	ds_read_b64 v[36:37], v84 offset:24576
	ds_read2st64_b64 v[28:31], v87 offset1:1
	ds_read2st64_b64 v[32:35], v87 offset0:2 offset1:3
	ds_read_b64 v[38:39], v85 offset:24576
	ds_read_b64 v[40:41], v86 offset:24576
	s_waitcnt lgkmcnt(0)
	v_mfma_f32_16x16x16_bf16 a[0:3], v[26:27], v[28:29], a[0:3]
	v_mov_b32_e32 v105, 0
	v_mov_b32_e32 v26, 0
	;; [unrolled: 1-line block ×3, first 2 shown]
	v_mfma_f32_16x16x16_bf16 a[0:3], v[36:37], v[30:31], a[0:3]
	v_lshl_add_u64 v[36:37], v[64:65], 0, s[74:75]
	v_mov_b32_e32 v28, 0
	v_mov_b32_e32 v29, 0
	v_mfma_f32_16x16x16_bf16 a[0:3], v[38:39], v[32:33], a[0:3]
	v_mov_b32_e32 v30, 0
	v_mov_b32_e32 v31, 0
	;; [unrolled: 1-line block ×3, first 2 shown]
	v_mfma_f32_16x16x16_bf16 a[0:3], v[40:41], v[34:35], a[0:3]
	s_and_b64 vcc, exec, s[0:1]
	s_waitcnt vmcnt(7)
	v_lshlrev_b32_e32 v40, 16, v42
	s_nop 3
	v_accvgpr_read_b32 v39, a1
	v_accvgpr_read_b32 v35, a3
	;; [unrolled: 1-line block ×4, first 2 shown]
	s_waitcnt vmcnt(6)
	v_lshlrev_b32_e32 v41, 16, v43
	s_waitcnt vmcnt(4)
	v_lshlrev_b32_e32 v43, 16, v45
	v_lshlrev_b32_e32 v42, 16, v44
	s_waitcnt vmcnt(3)
	v_sub_f32_e32 v33, s4, v46
	v_pk_add_f32 v[38:39], v[40:41], v[38:39] neg_lo:[0,1] neg_hi:[0,1]
	v_pk_add_f32 v[34:35], v[42:43], v[34:35] neg_lo:[0,1] neg_hi:[0,1]
	v_mul_f32_e32 v33, 0x3fb8aa3b, v33
	s_waitcnt vmcnt(2)
	v_sub_f32_e32 v41, s4, v47
	s_waitcnt vmcnt(1)
	v_sub_f32_e32 v42, s4, v48
	;; [unrolled: 2-line block ×3, first 2 shown]
	v_exp_f32_e32 v40, v33
	v_mul_f32_e32 v33, 0x3fb8aa3b, v41
	v_mul_f32_e32 v42, 0x3fb8aa3b, v42
	;; [unrolled: 1-line block ×3, first 2 shown]
	v_exp_f32_e32 v41, v33
	v_exp_f32_e32 v42, v42
	;; [unrolled: 1-line block ×3, first 2 shown]
	global_store_short_d16_hi v[36:37], v38, off
	global_store_short_d16_hi v[36:37], v39, off offset:256
	global_store_short_d16_hi v[36:37], v34, off offset:512
	;; [unrolled: 1-line block ×3, first 2 shown]
	v_pk_mul_f32 v[36:37], v[40:41], v[38:39]
	v_pk_mul_f32 v[34:35], v[42:43], v[34:35]
	v_mov_b32_e32 v33, 0
	v_perm_b32 v35, v35, v34, s39
	v_perm_b32 v34, v37, v36, s39
	ds_write_b64 v79, v[34:35]
	v_mov_b32_e32 v34, 0
	v_mov_b32_e32 v35, 0
	;; [unrolled: 1-line block ×8, first 2 shown]
	s_cbranch_vccnz .LBB713_14
; %bb.13:                               ;   in Loop: Header=BB713_6 Depth=1
	s_and_b32 s29, s29, 0xffff
	s_mov_b32 s31, s7
	buffer_load_dwordx4 v[38:41], v89, s[28:31], 0 offen
	buffer_load_dwordx4 v[30:33], v89, s[28:31], s67 offen
	;; [unrolled: 1-line block ×4, first 2 shown]
	v_mov_b32_e32 v104, v73
	v_mov_b32_e32 v105, v72
.LBB713_14:                             ;   in Loop: Header=BB713_6 Depth=1
	s_waitcnt lgkmcnt(0)
	s_barrier
	ds_read_b64 v[42:43], v92
	ds_read_b64 v[48:49], v93
	ds_read2st64_b64 v[44:47], v87 offset1:1
	ds_read2st64_b64 v[106:109], v87 offset0:2 offset1:3
	ds_read_b64 v[50:51], v94
	ds_read_b64 v[114:115], v95
	s_add_i32 s5, s62, s72
	s_mul_hi_i32 s29, s5, s25
	s_mul_i32 s5, s5, s25
	s_waitcnt lgkmcnt(3)
	v_mfma_f32_16x16x16_bf16 a[0:3], v[42:43], v[44:45], 0
	ds_read_b64 v[42:43], v97
	s_add_u32 s28, s5, s33
	s_addc_u32 s29, s29, s50
	s_add_i32 s5, s3, s68
	v_mfma_f32_16x16x16_bf16 a[0:3], v[48:49], v[46:47], a[0:3]
	ds_read_b64 v[48:49], v98
	s_lshl_b64 s[28:29], s[28:29], 15
	s_mul_hi_i32 s31, s5, s25
	s_mul_i32 s5, s5, s25
	s_add_u32 s48, s5, s33
	s_addc_u32 s49, s31, s50
	s_lshl_b64 s[48:49], s[48:49], 9
	s_add_u32 s48, s8, s48
	s_waitcnt lgkmcnt(1)
	v_mfma_f32_16x16x16_bf16 a[4:7], v[42:43], v[44:45], 0
	s_addc_u32 s49, s9, s49
	s_and_b64 vcc, exec, s[0:1]
	v_mfma_f32_16x16x16_bf16 a[0:3], v[50:51], v[106:107], a[0:3]
	ds_read_b64 v[50:51], v99
	ds_read_b64 v[116:117], v100
	global_load_dwordx4 v[42:45], v96, s[48:49]
	s_waitcnt lgkmcnt(2)
	v_mfma_f32_16x16x16_bf16 a[4:7], v[48:49], v[46:47], a[4:7]
	global_load_dwordx4 v[46:49], v91, s[48:49]
	ds_read_b64 v[110:111], v59
	ds_read_b64 v[112:113], v88
	s_waitcnt lgkmcnt(3)
	v_mfma_f32_16x16x16_bf16 a[8:11], v[50:51], v[106:107], a[4:7]
	v_lshl_add_u64 v[50:51], v[60:61], 0, s[28:29]
	s_waitcnt lgkmcnt(0)
	global_store_dwordx4 v[50:51], v[110:113], off
	v_mfma_f32_16x16x16_bf16 a[4:7], v[114:115], v[108:109], a[0:3]
	s_waitcnt vmcnt(2)
	v_mov_b32_e32 v52, v45
	v_mfma_f32_16x16x16_bf16 a[0:3], v[116:117], v[108:109], a[8:11]
	v_mov_b32_e32 v51, v44
	v_mov_b32_e32 v50, v43
	s_cbranch_vccnz .LBB713_16
; %bb.15:                               ;   in Loop: Header=BB713_6 Depth=1
	v_lshrrev_b32_e32 v43, 3, v104
	v_and_b32_e32 v43, 6, v43
	v_xor_b32_e32 v44, v43, v105
	v_lshlrev_b32_e32 v44, 2, v44
	v_and_b32_e32 v45, 8, v104
	v_xor_b32_e32 v104, 0x440, v44
	v_cmp_eq_u32_e32 vcc, 0, v45
	v_perm_b32 v45, v30, v26, s69
	s_nop 0
	v_cndmask_b32_e32 v44, v104, v44, vcc
	v_lshl_or_b32 v43, v43, 10, v44
	v_perm_b32 v44, v38, v34, s69
	s_barrier
	ds_write2st64_b32 v43, v44, v45 offset1:32
	v_xor_b32_e32 v44, 8, v43
	v_perm_b32 v34, v38, v34, s70
	v_perm_b32 v26, v30, v26, s70
	v_add_u32_e32 v30, 0x80, v44
	ds_write2st64_b32 v30, v34, v26 offset1:32
	v_xor_b32_e32 v26, 16, v43
	v_perm_b32 v30, v39, v35, s69
	v_perm_b32 v34, v31, v27, s69
	ds_write2st64_b32 v26, v30, v34 offset0:1 offset1:33
	v_xor_b32_e32 v26, 24, v43
	v_perm_b32 v30, v39, v35, s70
	v_perm_b32 v27, v31, v27, s70
	v_add_u32_e32 v26, 0x80, v26
	ds_write2st64_b32 v26, v30, v27 offset0:1 offset1:33
	v_xor_b32_e32 v26, 32, v43
	v_perm_b32 v27, v40, v36, s69
	v_perm_b32 v30, v32, v28, s69
	ds_write2st64_b32 v26, v27, v30 offset0:2 offset1:34
	v_xor_b32_e32 v26, 40, v43
	v_perm_b32 v27, v40, v36, s70
	v_perm_b32 v28, v32, v28, s70
	v_add_u32_e32 v26, 0x80, v26
	ds_write2st64_b32 v26, v27, v28 offset0:2 offset1:34
	;; [unrolled: 9-line block ×3, first 2 shown]
	ds_write_b64 v103, v[22:23] offset:16384
	v_xor_b32_e32 v22, 8, v103
	ds_write_b64 v22, v[24:25] offset:16384
	ds_write_b64 v103, v[18:19] offset:24576
	;; [unrolled: 1-line block ×4, first 2 shown]
	v_xor_b32_e32 v14, 8, v102
	ds_write_b64 v14, v[16:17] offset:16384
	ds_write_b64 v102, v[10:11] offset:24576
	ds_write_b64 v14, v[12:13] offset:24576
.LBB713_16:                             ;   in Loop: Header=BB713_6 Depth=1
	v_mul_f32_e32 v14, s4, v101
	v_exp_f32_e32 v18, v14
	s_waitcnt vmcnt(1)
	v_mul_f32_e32 v14, 0x3fb8aa3b, v46
	v_exp_f32_e32 v20, v14
	v_mul_f32_e32 v14, 0x3fb8aa3b, v47
	v_exp_f32_e32 v21, v14
	;; [unrolled: 2-line block ×4, first 2 shown]
	v_accvgpr_read_b32 v13, a7
	v_accvgpr_read_b32 v11, a5
	;; [unrolled: 1-line block ×3, first 2 shown]
	v_pk_mul_f32 v[20:21], v[18:19], v[20:21] op_sel_hi:[0,1]
	v_pk_fma_f32 v[6:7], v[6:7], v[20:21], v[10:11]
	v_pk_mul_f32 v[10:11], v[18:19], v[22:23] op_sel_hi:[0,1]
	v_mul_f32_e32 v19, 0x3fb8aa3b, v42
	v_exp_f32_e32 v20, v19
	v_mul_f32_e32 v19, 0x3fb8aa3b, v50
	v_exp_f32_e32 v21, v19
	v_mul_f32_e32 v19, 0x3fb8aa3b, v51
	v_exp_f32_e32 v22, v19
	v_mul_f32_e32 v19, 0x3fb8aa3b, v52
	v_exp_f32_e32 v23, v19
	v_accvgpr_read_b32 v12, a6
	v_accvgpr_read_b32 v17, a3
	;; [unrolled: 1-line block ×4, first 2 shown]
	v_pk_fma_f32 v[8:9], v[8:9], v[10:11], v[12:13]
	v_pk_mul_f32 v[10:11], v[18:19], v[20:21] op_sel_hi:[0,1]
	v_accvgpr_read_b32 v16, a2
	v_pk_fma_f32 v[2:3], v[2:3], v[10:11], v[14:15]
	v_pk_mul_f32 v[10:11], v[18:19], v[22:23] op_sel_hi:[0,1]
	s_add_i32 s68, s68, 64
	s_cmp_eq_u32 s59, s41
	v_pk_fma_f32 v[4:5], v[4:5], v[10:11], v[16:17]
	s_cbranch_scc1 .LBB713_18
; %bb.17:                               ;   in Loop: Header=BB713_6 Depth=1
	s_mov_b32 s72, s41
	s_branch .LBB713_6
.LBB713_18:
	s_lshl_b32 s45, s59, 6
	s_sub_i32 s48, s24, s45
	s_cmp_gt_i32 s48, 0
	s_cbranch_scc0 .LBB713_75
; %bb.19:
	s_ashr_i32 s3, s45, 31
	s_cmpk_lg_i32 s27, 0x80
	s_cselect_b64 s[30:31], -1, 0
	s_and_b64 vcc, exec, s[30:31]
	s_cbranch_vccz .LBB713_21
; %bb.20:
	s_mul_hi_i32 s0, s58, s24
	s_add_u32 s1, s51, s45
	s_addc_u32 s0, s0, s3
	s_mul_i32 s4, s1, s60
	s_mul_hi_u32 s5, s1, s26
	s_add_i32 s4, s5, s4
	s_mul_i32 s0, s0, s26
	s_add_i32 s4, s4, s0
	s_mul_i32 s1, s1, s26
	s_ashr_i32 s0, s61, 31
	s_add_u32 s46, s1, s61
	s_addc_u32 s47, s4, s0
	s_cbranch_execz .LBB713_22
	s_branch .LBB713_23
.LBB713_21:
                                        ; implicit-def: $sgpr46_sgpr47
.LBB713_22:
	s_mul_hi_i32 s0, s58, s26
	s_mul_i32 s58, s58, s26
	s_ashr_i32 s1, s61, 31
	s_add_u32 s4, s58, s61
	s_addc_u32 s0, s0, s1
	s_mul_i32 s1, s4, s57
	s_mul_hi_u32 s5, s4, s24
	s_add_i32 s1, s5, s1
	s_mul_i32 s0, s0, s24
	s_add_i32 s1, s1, s0
	s_mul_i32 s4, s4, s24
	s_add_u32 s46, s4, s45
	s_addc_u32 s47, s1, s3
.LBB713_23:
	s_mul_i32 s0, s42, s57
	s_add_i32 s0, s64, s0
	s_add_i32 s4, s62, s59
	;; [unrolled: 1-line block ×3, first 2 shown]
	s_add_u32 s0, s44, s45
	s_addc_u32 s1, s1, s3
	s_mov_b32 s3, 0x7060302
	v_lshlrev_b32_e32 v14, 3, v67
	s_lshl_b64 s[28:29], s[0:1], 8
	s_waitcnt vmcnt(1)
	v_perm_b32 v11, v9, v8, s3
	v_perm_b32 v10, v7, v6, s3
	s_waitcnt vmcnt(0)
	v_perm_b32 v13, v5, v4, s3
	v_perm_b32 v12, v3, v2, s3
	v_lshlrev_b32_e32 v42, 2, v67
	v_lshl_or_b32 v14, v70, 5, v14
	s_add_u32 s0, s18, s28
	ds_write2st64_b64 v14, v[10:11], v[12:13] offset0:72 offset1:76
	v_xor_b32_e32 v14, v70, v42
	v_lshlrev_b32_e32 v15, 8, v67
	s_addc_u32 s1, s19, s29
	v_lshl_or_b32 v14, v14, 1, v15
	s_mul_hi_i32 s3, s4, s25
	s_mul_i32 s4, s4, s25
	ds_write_b64 v14, v[10:11] offset:32768
	v_xor_b32_e32 v10, v71, v42
	s_add_u32 s4, s4, s33
	v_lshl_or_b32 v10, v10, 1, v15
	s_addc_u32 s5, s3, s50
	v_lshlrev_b32_e32 v11, 1, v67
	ds_write_b64 v10, v[12:13] offset:32768
	v_lshrrev_b32_e32 v10, 4, v0
	s_ashr_i32 s3, s2, 31
	s_lshl_b64 s[4:5], s[4:5], 15
	v_or_b32_e32 v12, 1, v11
	s_add_u32 s4, s12, s4
	v_xor_b32_e32 v11, v10, v11
	v_xor_b32_e32 v12, v12, v10
	v_lshlrev_b32_e32 v14, 8, v10
	s_addc_u32 s5, s13, s5
	s_lshl_b64 s[2:3], s[2:3], 8
	v_lshl_or_b32 v10, v11, 3, v14
	v_lshl_or_b32 v12, v12, 3, v14
	s_waitcnt lgkmcnt(0)
	s_barrier
	s_add_u32 s2, s4, s2
	ds_read_b64 v[10:11], v10 offset:32768
	ds_read_b64 v[12:13], v12 offset:32768
	s_addc_u32 s3, s5, s3
	v_mov_b32_e32 v15, 0
	s_cmp_lg_u32 s48, 64
	v_lshl_add_u64 v[16:17], s[2:3], 0, v[14:15]
	v_lshlrev_b32_e32 v14, 4, v67
	s_cselect_b64 s[18:19], -1, 0
	v_lshl_or_b32 v44, v1, 3, v69
	s_mov_b32 s4, 0
	v_lshl_add_u64 v[14:15], v[16:17], 0, v[14:15]
	v_or_b32_e32 v27, 32, v44
	v_and_b32_e32 v26, 56, v68
	s_and_b64 vcc, exec, s[18:19]
	s_waitcnt lgkmcnt(0)
	global_store_dwordx4 v[14:15], v[10:13], off
	s_cbranch_vccz .LBB713_29
; %bb.24:
	s_mov_b32 s6, s4
	s_mov_b32 s7, s4
	s_mov_b32 s5, s4
	v_mov_b64_e32 v[16:17], s[6:7]
	v_mov_b64_e32 v[14:15], s[4:5]
	;; [unrolled: 1-line block ×3, first 2 shown]
	v_cmp_gt_i32_e32 vcc, s48, v44
	v_mov_b64_e32 v[12:13], v[16:17]
	s_and_saveexec_b64 s[2:3], vcc
	s_cbranch_execz .LBB713_26
; %bb.25:
	v_lshlrev_b32_e32 v10, 8, v44
	v_mov_b32_e32 v11, 0
	v_lshl_add_u64 v[12:13], s[0:1], 0, v[10:11]
	v_lshlrev_b32_e32 v10, 1, v26
	v_lshl_add_u64 v[18:19], v[12:13], 0, v[10:11]
	global_load_dwordx4 v[14:17], v[18:19], off
	global_load_dwordx4 v[10:13], v[18:19], off offset:128
.LBB713_26:
	s_or_b64 exec, exec, s[2:3]
	s_mov_b32 s6, s4
	s_mov_b32 s7, s4
	;; [unrolled: 1-line block ×3, first 2 shown]
	v_mov_b64_e32 v[24:25], s[6:7]
	v_mov_b64_e32 v[22:23], s[4:5]
	;; [unrolled: 1-line block ×3, first 2 shown]
	v_cmp_gt_i32_e32 vcc, s48, v27
	v_lshlrev_b32_e32 v28, 7, v27
	v_mov_b64_e32 v[20:21], v[24:25]
	s_and_saveexec_b64 s[2:3], vcc
	s_cbranch_execz .LBB713_28
; %bb.27:
	v_lshlrev_b32_e32 v18, 1, v28
	v_mov_b32_e32 v19, 0
	v_lshl_add_u64 v[20:21], s[0:1], 0, v[18:19]
	v_lshlrev_b32_e32 v18, 1, v26
	v_lshl_add_u64 v[30:31], v[20:21], 0, v[18:19]
	global_load_dwordx4 v[22:25], v[30:31], off
	global_load_dwordx4 v[18:21], v[30:31], off offset:128
.LBB713_28:
	s_or_b64 exec, exec, s[2:3]
	v_lshrrev_b32_e32 v29, 3, v26
	v_lshlrev_b32_e32 v30, 3, v44
	v_or_b32_e32 v29, v30, v29
	v_lshlrev_b32_e32 v29, 4, v29
	v_and_b32_e32 v30, 0x78, v30
	v_xor_b32_e32 v29, v29, v30
	s_branch .LBB713_31
.LBB713_29:
                                        ; implicit-def: $vgpr29
                                        ; implicit-def: $vgpr28
                                        ; implicit-def: $vgpr14_vgpr15_vgpr16_vgpr17
                                        ; implicit-def: $vgpr10_vgpr11_vgpr12_vgpr13
                                        ; implicit-def: $vgpr22_vgpr23_vgpr24_vgpr25
                                        ; implicit-def: $vgpr18_vgpr19_vgpr20_vgpr21
	s_cbranch_execz .LBB713_31
; %bb.30:
	s_waitcnt vmcnt(0)
	v_lshlrev_b32_e32 v10, 1, v26
	v_lshl_or_b32 v28, v44, 8, v10
	s_and_b32 s1, s1, 0xffff
	s_mov_b32 s3, 0x20000
	s_movk_i32 s2, 0x4000
	v_lshl_or_b32 v29, v27, 8, v10
	s_movk_i32 s4, 0x80
	buffer_load_dwordx4 v[14:17], v28, s[0:3], 0 offen
	buffer_load_dwordx4 v[10:13], v28, s[0:3], s4 offen
	;; [unrolled: 1-line block ×4, first 2 shown]
	v_lshrrev_b32_e32 v28, 3, v26
	v_lshlrev_b32_e32 v29, 3, v44
	v_or_b32_e32 v28, v29, v28
	v_lshlrev_b32_e32 v28, 4, v28
	v_and_b32_e32 v29, 0x78, v29
	v_xor_b32_e32 v29, v28, v29
	v_lshlrev_b32_e32 v28, 7, v27
.LBB713_31:
	s_lshl_b64 s[0:1], s[46:47], 8
	s_add_u32 s4, s16, s0
	s_movk_i32 s0, 0x1000
	v_and_or_b32 v27, v28, s0, v29
	s_waitcnt vmcnt(1)
	ds_write_b64 v29, v[14:15] offset:16384
	v_xor_b32_e32 v14, 8, v29
	ds_write_b64 v14, v[16:17] offset:16384
	s_waitcnt vmcnt(0)
	ds_write_b64 v29, v[10:11] offset:24576
	ds_write_b64 v14, v[12:13] offset:24576
	;; [unrolled: 1-line block ×3, first 2 shown]
	v_xor_b32_e32 v10, 8, v27
	ds_write_b64 v10, v[24:25] offset:16384
	ds_write_b64 v27, v[18:19] offset:24576
	;; [unrolled: 1-line block ×3, first 2 shown]
	v_or_b32_e32 v10, v53, v67
	v_lshlrev_b32_e32 v10, 3, v10
	v_lshrrev_b32_e32 v12, 5, v57
	s_movk_i32 s6, 0xf8
	v_and_or_b32 v12, v10, s6, v12
	v_lshlrev_b32_e32 v43, 11, v1
	v_lshlrev_b32_e32 v20, 4, v12
	v_and_b32_e32 v21, 0x78, v10
	v_and_b32_e32 v22, 0x1000, v43
	v_lshlrev_b32_e32 v11, 2, v0
	v_xor_b32_e32 v10, v20, v21
	v_lshrrev_b32_e32 v12, 1, v57
	v_and_b32_e32 v11, 60, v11
	v_or_b32_e32 v10, v10, v22
	v_and_b32_e32 v23, 8, v12
	v_xor_b32_e32 v34, v10, v23
	v_lshl_or_b32 v10, v66, 6, v11
	v_lshlrev_b32_e32 v45, 1, v10
	v_or_b32_e32 v10, 32, v20
	v_xor_b32_e32 v10, v10, v21
	s_waitcnt lgkmcnt(0)
	s_barrier
	ds_read_b64 v[18:19], v34 offset:16384
	v_or_b32_e32 v10, v10, v22
	v_xor_b32_e32 v35, v10, v23
	v_or_b32_e32 v10, 64, v20
	v_xor_b32_e32 v10, v10, v21
	v_or_b32_e32 v10, v10, v22
	v_or_b32_e32 v20, 0x60, v20
	v_xor_b32_e32 v36, v10, v23
	ds_read2st64_b64 v[10:13], v45 offset0:72 offset1:73
	ds_read2st64_b64 v[14:17], v45 offset0:74 offset1:75
	v_xor_b32_e32 v24, v20, v21
	ds_read_b64 v[20:21], v35 offset:16384
	s_addc_u32 s5, s17, s1
	s_add_i32 s0, s53, s43
	s_waitcnt lgkmcnt(2)
	v_mfma_f32_16x16x16_bf16 a[0:3], v[18:19], v[10:11], 0
	s_add_i32 s17, s24, -1
	s_add_i32 s41, s0, s54
	s_add_i32 s0, s55, s52
	;; [unrolled: 1-line block ×3, first 2 shown]
	s_ashr_i32 s0, s17, 31
	s_mul_i32 s1, s17, s37
	s_mul_hi_u32 s2, s17, s36
	s_add_i32 s1, s2, s1
	s_mul_i32 s0, s0, s36
	v_or_b32_e32 v22, v24, v22
	s_add_i32 s1, s1, s0
	s_lshl_b64 s[2:3], s[40:41], 2
	v_xor_b32_e32 v46, v22, v23
	ds_read_b64 v[22:23], v36 offset:16384
	ds_read_b64 v[24:25], v46 offset:16384
	s_waitcnt lgkmcnt(2)
	v_mfma_f32_16x16x16_bf16 a[0:3], v[20:21], v[12:13], a[0:3]
	s_add_u32 s6, s22, s2
	s_addc_u32 s7, s23, s3
	s_lshl_b64 s[2:3], s[38:39], 2
	s_mul_i32 s0, s17, s36
	s_add_u32 s12, s6, s2
	s_addc_u32 s13, s7, s3
	s_lshl_b64 s[0:1], s[0:1], 2
	s_waitcnt lgkmcnt(1)
	v_mfma_f32_16x16x16_bf16 a[0:3], v[22:23], v[14:15], a[0:3]
	s_add_u32 s0, s12, s0
	s_addc_u32 s1, s13, s1
	s_load_dword s16, s[0:1], 0x0
	s_waitcnt lgkmcnt(0)
	v_mfma_f32_16x16x16_bf16 a[0:3], v[24:25], v[16:17], a[0:3]
	s_and_b64 vcc, exec, s[30:31]
	s_cbranch_vccz .LBB713_42
; %bb.32:
	v_lshlrev_b32_e32 v27, 1, v44
	s_and_b64 vcc, exec, s[18:19]
	s_cbranch_vccz .LBB713_43
; %bb.33:
	v_cmp_gt_i32_e32 vcc, s48, v27
	v_mov_b32_e32 v14, 0
	v_mov_b32_e32 v10, 0
	;; [unrolled: 1-line block ×5, first 2 shown]
	s_and_saveexec_b64 s[0:1], vcc
	s_cbranch_execz .LBB713_35
; %bb.34:
	v_mad_i64_i32 v[10:11], s[2:3], s27, v27, 0
	v_lshl_add_u64 v[10:11], v[10:11], 1, s[4:5]
	v_lshlrev_b32_e32 v12, 1, v26
	v_mov_b32_e32 v13, 0
	v_lshl_add_u64 v[10:11], v[10:11], 0, v[12:13]
	global_load_dwordx4 v[10:13], v[10:11], off
.LBB713_35:
	s_or_b64 exec, exec, s[0:1]
	v_or_b32_e32 v28, 1, v27
	v_cmp_gt_i32_e64 s[0:1], s48, v28
	v_mov_b32_e32 v15, 0
	v_mov_b32_e32 v16, 0
	;; [unrolled: 1-line block ×3, first 2 shown]
	s_and_saveexec_b64 s[2:3], s[0:1]
	s_cbranch_execz .LBB713_37
; %bb.36:
	v_mad_i64_i32 v[14:15], s[6:7], s27, v28, 0
	v_lshl_add_u64 v[14:15], v[14:15], 1, s[4:5]
	v_lshlrev_b32_e32 v16, 1, v26
	v_mov_b32_e32 v17, 0
	v_lshl_add_u64 v[14:15], v[14:15], 0, v[16:17]
	global_load_dwordx4 v[14:17], v[14:15], off
.LBB713_37:
	s_or_b64 exec, exec, s[2:3]
	v_mov_b32_e32 v25, 0
	v_mov_b32_e32 v18, 0
	;; [unrolled: 1-line block ×5, first 2 shown]
	s_and_saveexec_b64 s[2:3], vcc
	s_cbranch_execz .LBB713_39
; %bb.38:
	v_mad_i64_i32 v[18:19], s[6:7], s27, v27, 0
	v_lshl_add_u64 v[18:19], v[18:19], 1, s[4:5]
	v_lshlrev_b32_e32 v20, 1, v26
	v_mov_b32_e32 v21, 0
	v_lshl_add_u64 v[18:19], v[18:19], 0, v[20:21]
	global_load_dwordx4 v[18:21], v[18:19], off offset:128
.LBB713_39:
	s_or_b64 exec, exec, s[2:3]
	v_mov_b32_e32 v24, 0
	v_mov_b32_e32 v23, 0
	;; [unrolled: 1-line block ×3, first 2 shown]
	s_and_saveexec_b64 s[2:3], s[0:1]
	s_cbranch_execz .LBB713_41
; %bb.40:
	v_mad_i64_i32 v[22:23], s[0:1], s27, v28, 0
	v_lshl_add_u64 v[22:23], v[22:23], 1, s[4:5]
	v_lshlrev_b32_e32 v24, 1, v26
	v_mov_b32_e32 v25, 0
	v_lshl_add_u64 v[22:23], v[22:23], 0, v[24:25]
	global_load_dwordx4 v[22:25], v[22:23], off offset:128
.LBB713_41:
	s_or_b64 exec, exec, s[2:3]
	s_branch .LBB713_45
.LBB713_42:
                                        ; implicit-def: $vgpr13
                                        ; implicit-def: $vgpr17
                                        ; implicit-def: $vgpr21
                                        ; implicit-def: $vgpr25
	v_lshrrev_b32_e32 v27, 2, v57
	s_branch .LBB713_46
.LBB713_43:
                                        ; implicit-def: $vgpr13
                                        ; implicit-def: $vgpr17
                                        ; implicit-def: $vgpr21
                                        ; implicit-def: $vgpr25
	s_cbranch_execz .LBB713_45
; %bb.44:
	s_waitcnt vmcnt(0)
	v_mad_u64_u32 v[10:11], s[0:1], v27, s27, v[26:27]
	v_lshlrev_b32_e32 v27, 1, v10
	s_lshl_b32 s2, s27, 7
	s_and_b32 s1, s5, 0xffff
	s_mov_b32 s3, 0x20000
	s_mov_b32 s0, s4
	v_add_lshl_u32 v28, v10, s27, 1
	s_movk_i32 s6, 0x80
	buffer_load_dwordx4 v[10:13], v27, s[0:3], 0 offen
	buffer_load_dwordx4 v[18:21], v27, s[0:3], s6 offen
	;; [unrolled: 1-line block ×4, first 2 shown]
.LBB713_45:
	v_lshrrev_b32_e32 v27, 2, v57
	s_cbranch_execnz .LBB713_58
.LBB713_46:
	s_and_b64 vcc, exec, s[18:19]
	s_cbranch_vccz .LBB713_56
; %bb.47:
	s_waitcnt vmcnt(0)
	v_lshlrev_b32_e32 v15, 1, v44
	v_cmp_gt_i32_e32 vcc, s48, v15
	v_mov_b32_e32 v14, 0
	v_lshlrev_b32_e32 v22, 9, v44
	v_mov_b32_e32 v10, 0
	v_mov_b32_e32 v11, 0
	;; [unrolled: 1-line block ×4, first 2 shown]
	s_and_saveexec_b64 s[0:1], vcc
	s_cbranch_execz .LBB713_49
; %bb.48:
	v_mov_b32_e32 v23, 0
	v_lshl_add_u64 v[10:11], s[4:5], 0, v[22:23]
	v_lshlrev_b32_e32 v12, 1, v26
	v_mov_b32_e32 v13, v23
	v_lshl_add_u64 v[10:11], v[10:11], 0, v[12:13]
	global_load_dwordx4 v[10:13], v[10:11], off
.LBB713_49:
	s_or_b64 exec, exec, s[0:1]
	v_or_b32_e32 v15, 1, v15
	v_cmp_gt_i32_e64 s[0:1], s48, v15
	v_lshlrev_b32_e32 v28, 8, v15
	v_mov_b32_e32 v15, 0
	v_mov_b32_e32 v16, 0
	v_mov_b32_e32 v17, 0
	s_and_saveexec_b64 s[2:3], s[0:1]
	s_cbranch_execz .LBB713_51
; %bb.50:
	v_mov_b32_e32 v29, 0
	v_lshl_add_u64 v[14:15], s[4:5], 0, v[28:29]
	v_lshlrev_b32_e32 v16, 1, v26
	v_mov_b32_e32 v17, v29
	v_lshl_add_u64 v[14:15], v[14:15], 0, v[16:17]
	global_load_dwordx4 v[14:17], v[14:15], off
.LBB713_51:
	s_or_b64 exec, exec, s[2:3]
	v_mov_b32_e32 v25, 0
	v_mov_b32_e32 v18, 0
	v_mov_b32_e32 v19, 0
	v_mov_b32_e32 v20, 0
	v_mov_b32_e32 v21, 0
	s_and_saveexec_b64 s[2:3], vcc
	s_cbranch_execz .LBB713_53
; %bb.52:
	v_mov_b32_e32 v23, 0
	v_lshl_add_u64 v[18:19], s[4:5], 0, v[22:23]
	v_lshlrev_b32_e32 v22, 1, v26
	v_lshl_add_u64 v[18:19], v[18:19], 0, v[22:23]
	global_load_dwordx4 v[18:21], v[18:19], off offset:128
.LBB713_53:
	s_or_b64 exec, exec, s[2:3]
	v_mov_b32_e32 v24, 0
	v_mov_b32_e32 v23, 0
	v_mov_b32_e32 v22, 0
	s_and_saveexec_b64 s[2:3], s[0:1]
	s_cbranch_execz .LBB713_55
; %bb.54:
	v_mov_b32_e32 v29, 0
	v_lshl_add_u64 v[22:23], s[4:5], 0, v[28:29]
	v_lshlrev_b32_e32 v28, 1, v26
	v_lshl_add_u64 v[22:23], v[22:23], 0, v[28:29]
	global_load_dwordx4 v[22:25], v[22:23], off offset:128
.LBB713_55:
	s_or_b64 exec, exec, s[2:3]
	s_branch .LBB713_58
.LBB713_56:
                                        ; implicit-def: $vgpr13
                                        ; implicit-def: $vgpr17
                                        ; implicit-def: $vgpr21
                                        ; implicit-def: $vgpr25
	s_cbranch_execz .LBB713_58
; %bb.57:
	s_waitcnt vmcnt(0)
	v_lshlrev_b32_e32 v10, 1, v26
	v_lshl_or_b32 v26, v44, 9, v10
	s_and_b32 s5, s5, 0xffff
	s_mov_b32 s7, 0x20000
	s_movk_i32 s6, 0x4000
	s_movk_i32 s0, 0x80
	buffer_load_dwordx4 v[10:13], v26, s[4:7], 0 offen
	buffer_load_dwordx4 v[14:17], v26, s[4:7], 0 offen offset:256
	buffer_load_dwordx4 v[18:21], v26, s[4:7], s0 offen
	buffer_load_dwordx4 v[22:25], v26, s[4:7], s0 offen offset:256
.LBB713_58:
	v_and_b32_e32 v47, 12, v27
	ds_read2st64_b64 v[30:33], v45 offset0:76 offset1:77
	ds_read2st64_b64 v[26:29], v45 offset0:78 offset1:79
	ds_read_b64 v[40:41], v34 offset:24576
	ds_read_b64 v[38:39], v35 offset:24576
	;; [unrolled: 1-line block ×4, first 2 shown]
	v_and_b32_e32 v46, 6, v0
	v_xor_b32_e32 v44, v44, v46
	v_lshlrev_b32_e32 v44, 2, v44
	v_and_b32_e32 v48, 1, v0
	v_xor_b32_e32 v49, 0x440, v44
	v_cmp_eq_u32_e32 vcc, 0, v48
	s_mov_b32 s0, 0x1000504
	s_waitcnt vmcnt(0)
	v_perm_b32 v48, v18, v22, s0
	v_cndmask_b32_e32 v44, v49, v44, vcc
	v_lshl_or_b32 v44, v46, 10, v44
	v_perm_b32 v46, v10, v14, s0
	ds_write2st64_b32 v44, v46, v48 offset1:32
	v_xor_b32_e32 v46, 8, v44
	s_mov_b32 s1, 0x3020706
	v_perm_b32 v10, v10, v14, s1
	v_perm_b32 v14, v18, v22, s1
	v_add_u32_e32 v18, 0x80, v46
	ds_write2st64_b32 v18, v10, v14 offset1:32
	v_xor_b32_e32 v10, 16, v44
	v_perm_b32 v14, v11, v15, s0
	v_perm_b32 v18, v19, v23, s0
	ds_write2st64_b32 v10, v14, v18 offset0:1 offset1:33
	v_xor_b32_e32 v10, 24, v44
	v_perm_b32 v11, v11, v15, s1
	v_perm_b32 v14, v19, v23, s1
	v_add_u32_e32 v10, 0x80, v10
	ds_write2st64_b32 v10, v11, v14 offset0:1 offset1:33
	v_xor_b32_e32 v10, 32, v44
	v_perm_b32 v11, v12, v16, s0
	v_perm_b32 v14, v20, v24, s0
	ds_write2st64_b32 v10, v11, v14 offset0:2 offset1:34
	v_xor_b32_e32 v10, 40, v44
	v_perm_b32 v11, v12, v16, s1
	v_perm_b32 v12, v20, v24, s1
	v_add_u32_e32 v10, 0x80, v10
	ds_write2st64_b32 v10, v11, v12 offset0:2 offset1:34
	v_xor_b32_e32 v10, 48, v44
	v_perm_b32 v11, v13, v17, s0
	v_perm_b32 v12, v21, v25, s0
	ds_write2st64_b32 v10, v11, v12 offset0:3 offset1:35
	v_xor_b32_e32 v10, 56, v44
	v_or_b32_e32 v18, v47, v53
	v_perm_b32 v11, v13, v17, s1
	v_perm_b32 v12, v21, v25, s1
	v_add_u32_e32 v10, 0x80, v10
	v_cmp_gt_i32_e32 vcc, s48, v18
	v_mov_b32_e32 v20, 0
	v_mov_b32_e32 v24, 0
	ds_write2st64_b32 v10, v11, v12 offset0:3 offset1:35
	s_and_saveexec_b64 s[0:1], vcc
	s_cbranch_execz .LBB713_60
; %bb.59:
	v_add_u32_e32 v10, s45, v18
	v_ashrrev_i32_e32 v11, 31, v10
	v_mul_lo_u32 v12, v11, s36
	v_mul_lo_u32 v13, v10, s37
	v_mad_u64_u32 v[10:11], s[2:3], v10, s36, 0
	v_add3_u32 v11, v11, v13, v12
	v_lshl_add_u64 v[10:11], v[10:11], 2, s[12:13]
	global_load_dword v10, v[10:11], off
	s_waitcnt vmcnt(0)
	v_sub_f32_e32 v10, s16, v10
	v_mul_f32_e32 v10, 0x3fb8aa3b, v10
	v_exp_f32_e32 v24, v10
.LBB713_60:
	s_or_b64 exec, exec, s[0:1]
	v_or_b32_e32 v23, 1, v18
	v_cmp_gt_i32_e64 s[4:5], s48, v23
	s_and_saveexec_b64 s[0:1], s[4:5]
	s_cbranch_execz .LBB713_62
; %bb.61:
	v_add_u32_e32 v10, s45, v23
	v_ashrrev_i32_e32 v11, 31, v10
	v_mul_lo_u32 v12, v11, s36
	v_mul_lo_u32 v13, v10, s37
	v_mad_u64_u32 v[10:11], s[2:3], v10, s36, 0
	v_add3_u32 v11, v11, v13, v12
	v_lshl_add_u64 v[10:11], v[10:11], 2, s[12:13]
	global_load_dword v10, v[10:11], off
	s_waitcnt vmcnt(0)
	v_sub_f32_e32 v10, s16, v10
	v_mul_f32_e32 v10, 0x3fb8aa3b, v10
	v_exp_f32_e32 v20, v10
.LBB713_62:
	s_or_b64 exec, exec, s[0:1]
	v_or_b32_e32 v21, 2, v18
	v_cmp_gt_i32_e64 s[0:1], s48, v21
	v_mov_b32_e32 v19, 0
	v_mov_b32_e32 v25, 0
	s_and_saveexec_b64 s[2:3], s[0:1]
	s_cbranch_execz .LBB713_64
; %bb.63:
	v_add_u32_e32 v10, s45, v21
	v_ashrrev_i32_e32 v11, 31, v10
	v_mul_lo_u32 v12, v11, s36
	v_mul_lo_u32 v13, v10, s37
	v_mad_u64_u32 v[10:11], s[6:7], v10, s36, 0
	v_add3_u32 v11, v11, v13, v12
	v_lshl_add_u64 v[10:11], v[10:11], 2, s[12:13]
	global_load_dword v10, v[10:11], off
	s_waitcnt vmcnt(0)
	v_sub_f32_e32 v10, s16, v10
	v_mul_f32_e32 v10, 0x3fb8aa3b, v10
	v_exp_f32_e32 v25, v10
.LBB713_64:
	s_or_b64 exec, exec, s[2:3]
	v_or_b32_e32 v22, 3, v18
	v_cmp_gt_i32_e64 s[2:3], s48, v22
	s_and_saveexec_b64 s[6:7], s[2:3]
	s_cbranch_execz .LBB713_66
; %bb.65:
	v_add_u32_e32 v10, s45, v22
	v_ashrrev_i32_e32 v11, 31, v10
	v_mul_lo_u32 v12, v11, s36
	v_mul_lo_u32 v13, v10, s37
	v_mad_u64_u32 v[10:11], s[18:19], v10, s36, 0
	v_add3_u32 v11, v11, v13, v12
	v_lshl_add_u64 v[10:11], v[10:11], 2, s[12:13]
	global_load_dword v10, v[10:11], off
	s_waitcnt vmcnt(0)
	v_sub_f32_e32 v10, s16, v10
	v_mul_f32_e32 v10, 0x3fb8aa3b, v10
	v_exp_f32_e32 v19, v10
.LBB713_66:
	s_or_b64 exec, exec, s[6:7]
	s_waitcnt lgkmcnt(11)
	v_mfma_f32_16x16x16_bf16 a[0:3], v[40:41], v[30:31], a[0:3]
	s_add_u32 s6, s20, s28
	v_ashrrev_i32_e32 v59, 31, v58
	s_addc_u32 s7, s21, s29
	s_waitcnt lgkmcnt(10)
	v_mfma_f32_16x16x16_bf16 a[0:3], v[38:39], v[32:33], a[0:3]
	v_lshlrev_b64 v[10:11], 1, v[58:59]
	v_lshl_add_u64 v[14:15], s[6:7], 0, v[10:11]
	s_add_u32 s6, s14, s28
	s_waitcnt lgkmcnt(9)
	v_mfma_f32_16x16x16_bf16 a[0:3], v[36:37], v[26:27], a[0:3]
	s_addc_u32 s7, s15, s29
	v_lshl_add_u64 v[16:17], s[6:7], 0, v[10:11]
	v_mov_b32_e32 v26, 0
	s_waitcnt lgkmcnt(8)
	v_mfma_f32_16x16x16_bf16 a[0:3], v[34:35], v[28:29], a[0:3]
	v_mov_b32_e32 v27, 0
	s_nop 5
	v_accvgpr_read_b32 v13, a3
	v_accvgpr_read_b32 v12, a2
	;; [unrolled: 1-line block ×4, first 2 shown]
	s_and_saveexec_b64 s[6:7], vcc
	s_cbranch_execz .LBB713_68
; %bb.67:
	v_lshlrev_b32_e32 v28, 8, v18
	v_mov_b32_e32 v29, 0
	v_lshl_add_u64 v[30:31], v[14:15], 0, v[28:29]
	global_load_ushort v27, v[30:31], off
	v_lshl_add_u64 v[28:29], v[16:17], 0, v[28:29]
	s_waitcnt vmcnt(0)
	v_lshlrev_b32_e32 v27, 16, v27
	v_sub_f32_e32 v10, v27, v10
	global_store_short_d16_hi v[28:29], v10, off
	v_mul_f32_e32 v10, v24, v10
	v_lshrrev_b32_e32 v27, 16, v10
.LBB713_68:
	s_or_b64 exec, exec, s[6:7]
	s_and_saveexec_b64 s[6:7], s[4:5]
	s_cbranch_execz .LBB713_70
; %bb.69:
	v_lshlrev_b32_e32 v28, 8, v23
	v_mov_b32_e32 v29, 0
	v_lshl_add_u64 v[30:31], v[14:15], 0, v[28:29]
	global_load_ushort v10, v[30:31], off
	v_lshl_add_u64 v[28:29], v[16:17], 0, v[28:29]
	s_waitcnt vmcnt(0)
	v_lshlrev_b32_e32 v10, 16, v10
	v_sub_f32_e32 v10, v10, v11
	global_store_short_d16_hi v[28:29], v10, off
	v_mul_f32_e32 v10, v20, v10
	v_lshrrev_b32_e32 v26, 16, v10
.LBB713_70:
	s_or_b64 exec, exec, s[6:7]
	v_mov_b32_e32 v11, 0
	v_mov_b32_e32 v20, 0
	s_and_saveexec_b64 s[4:5], s[0:1]
	s_cbranch_execz .LBB713_72
; %bb.71:
	v_lshlrev_b32_e32 v20, 8, v21
	v_mov_b32_e32 v21, 0
	v_lshl_add_u64 v[28:29], v[14:15], 0, v[20:21]
	global_load_ushort v10, v[28:29], off
	v_lshl_add_u64 v[20:21], v[16:17], 0, v[20:21]
	s_waitcnt vmcnt(0)
	v_lshlrev_b32_e32 v10, 16, v10
	v_sub_f32_e32 v10, v10, v12
	global_store_short_d16_hi v[20:21], v10, off
	v_mul_f32_e32 v10, v25, v10
	v_lshrrev_b32_e32 v20, 16, v10
.LBB713_72:
	s_or_b64 exec, exec, s[4:5]
	v_or_b32_e32 v10, 0x9800, v45
	s_and_saveexec_b64 s[0:1], s[2:3]
	s_cbranch_execz .LBB713_74
; %bb.73:
	v_lshlrev_b32_e32 v22, 8, v22
	v_mov_b32_e32 v23, 0
	v_lshl_add_u64 v[14:15], v[14:15], 0, v[22:23]
	global_load_ushort v11, v[14:15], off
	v_lshl_add_u64 v[14:15], v[16:17], 0, v[22:23]
	s_waitcnt vmcnt(0)
	v_lshlrev_b32_e32 v11, 16, v11
	v_sub_f32_e32 v11, v11, v13
	global_store_short_d16_hi v[14:15], v11, off
	v_mul_f32_e32 v11, v19, v11
	v_lshrrev_b32_e32 v11, 16, v11
.LBB713_74:
	s_or_b64 exec, exec, s[0:1]
	s_mov_b32 s0, 0x5040100
	v_perm_b32 v13, v11, v20, s0
	v_lshlrev_b32_e32 v11, 1, v42
	v_perm_b32 v12, v26, v27, s0
	v_lshl_or_b32 v11, v18, 5, v11
	s_movk_i32 s2, 0xff
	ds_write_b64 v11, v[12:13] offset:38912
	v_and_b32_e32 v11, 7, v0
	v_cmp_lt_u32_e32 vcc, s2, v0
	v_and_b32_e32 v12, 8, v0
	v_lshlrev_b32_e32 v20, 3, v11
	v_lshlrev_b32_e32 v32, 7, v11
	v_cndmask_b32_e64 v11, 0, 1, vcc
	v_lshrrev_b32_e32 v0, 1, v0
	v_lshlrev_b32_e32 v22, 13, v11
	v_lshlrev_b32_e32 v11, 3, v1
	v_and_b32_e32 v0, 24, v0
	v_xor_b32_e32 v13, v11, v0
	v_or_b32_e32 v14, 0x440, v13
	v_cmp_eq_u32_e32 vcc, 0, v12
	s_add_i32 s0, s17, s51
	s_mul_hi_i32 s1, s0, s25
	v_cndmask_b32_e32 v12, v14, v13, vcc
	v_or_b32_e32 v12, v12, v43
	v_xor_b32_e32 v33, v12, v20
	v_or_b32_e32 v12, 32, v0
	v_xor_b32_e32 v12, v11, v12
	v_or_b32_e32 v13, 0x440, v12
	v_cndmask_b32_e32 v12, v13, v12, vcc
	v_or_b32_e32 v12, v12, v43
	v_xor_b32_e32 v34, v12, v20
	v_or_b32_e32 v12, 64, v0
	v_xor_b32_e32 v12, v11, v12
	v_xor_b32_e32 v13, 0x440, v12
	s_mul_i32 s0, s0, s25
	v_cndmask_b32_e32 v12, v13, v12, vcc
	v_or_b32_e32 v0, 0x60, v0
	s_add_u32 s0, s0, s33
	v_add3_u32 v23, v22, v33, v32
	v_or_b32_e32 v12, v12, v43
	v_xor_b32_e32 v0, v11, v0
	s_waitcnt lgkmcnt(0)
	s_barrier
	s_addc_u32 s1, s1, s50
	v_lshlrev_b32_e32 v21, 2, v18
	v_xor_b32_e32 v35, v12, v20
	ds_read2st64_b64 v[12:15], v10 offset1:1
	ds_read2st64_b64 v[16:19], v10 offset0:2 offset1:3
	ds_read_b64 v[10:11], v23
	v_xor_b32_e32 v23, 0x440, v0
	s_lshl_b64 s[0:1], s[0:1], 9
	v_cndmask_b32_e32 v0, v23, v0, vcc
	s_add_u32 s0, s8, s0
	v_or_b32_e32 v0, v0, v43
	s_addc_u32 s1, s9, s1
	v_add3_u32 v24, v22, v34, v32
	v_xor_b32_e32 v36, v0, v20
	v_add3_u32 v26, v22, v35, v32
	v_add3_u32 v0, v22, v36, v32
	ds_read_b64 v[24:25], v24
	ds_read_b64 v[28:29], v26
	;; [unrolled: 1-line block ×3, first 2 shown]
	global_load_dwordx4 v[20:23], v21, s[0:1]
	s_waitcnt lgkmcnt(3)
	v_mfma_f32_16x16x16_bf16 a[0:3], v[10:11], v[12:13], 0
	v_lshlrev_b32_e32 v0, 6, v1
	v_lshlrev_b32_e32 v1, 2, v47
	s_movk_i32 s2, 0x100
	v_or3_b32 v0, v0, v1, s2
	s_waitcnt lgkmcnt(2)
	v_mfma_f32_16x16x16_bf16 a[0:3], v[24:25], v[14:15], a[0:3]
	global_load_dwordx4 v[24:27], v0, s[0:1]
	v_mov_b32_e32 v0, 0x3fb8aa3b
	v_mul_f32_e32 v0, s16, v0
	s_waitcnt lgkmcnt(1)
	v_mfma_f32_16x16x16_bf16 a[0:3], v[28:29], v[16:17], a[0:3]
	v_exp_f32_e32 v0, v0
	v_add_u32_e32 v1, v33, v32
	v_add_u32_e32 v33, v34, v32
	s_waitcnt lgkmcnt(0)
	v_mfma_f32_16x16x16_bf16 a[0:3], v[30:31], v[18:19], a[0:3]
	ds_read_b64 v[30:31], v1 offset:8192
	s_waitcnt vmcnt(1)
	v_mul_f32_e32 v20, 0x3fb8aa3b, v20
	v_mul_f32_e32 v21, 0x3fb8aa3b, v21
	v_exp_f32_e32 v20, v20
	v_exp_f32_e32 v21, v21
	s_nop 0
	v_accvgpr_read_b32 v29, a1
	v_accvgpr_read_b32 v28, a0
	v_mul_f32_e32 v22, 0x3fb8aa3b, v22
	v_pk_mul_f32 v[20:21], v[0:1], v[20:21] op_sel_hi:[0,1]
	v_pk_fma_f32 v[6:7], v[6:7], v[20:21], v[28:29]
	ds_read_b64 v[20:21], v33 offset:8192
	v_mul_f32_e32 v23, 0x3fb8aa3b, v23
	v_exp_f32_e32 v22, v22
	v_exp_f32_e32 v23, v23
	v_accvgpr_read_b32 v11, a3
	v_accvgpr_read_b32 v10, a2
	s_waitcnt lgkmcnt(1)
	v_mfma_f32_16x16x16_bf16 a[0:3], v[30:31], v[12:13], 0
	v_pk_mul_f32 v[22:23], v[0:1], v[22:23] op_sel_hi:[0,1]
	v_add_u32_e32 v1, v35, v32
	v_pk_fma_f32 v[8:9], v[8:9], v[22:23], v[10:11]
	v_add_u32_e32 v10, v36, v32
	ds_read_b64 v[22:23], v1 offset:8192
	ds_read_b64 v[28:29], v10 offset:8192
	s_waitcnt lgkmcnt(2)
	v_mfma_f32_16x16x16_bf16 a[0:3], v[20:21], v[14:15], a[0:3]
	s_waitcnt vmcnt(0)
	v_mov_b32_e32 v10, v25
	v_mul_f32_e32 v1, 0x3fb8aa3b, v24
	v_mov_b32_e32 v11, v26
	s_waitcnt lgkmcnt(1)
	v_mfma_f32_16x16x16_bf16 a[0:3], v[22:23], v[16:17], a[0:3]
	v_exp_f32_e32 v24, v1
	v_mul_f32_e32 v1, 0x3fb8aa3b, v10
	v_mov_b32_e32 v12, v27
	v_exp_f32_e32 v25, v1
	v_mul_f32_e32 v1, 0x3fb8aa3b, v11
	v_exp_f32_e32 v10, v1
	v_mul_f32_e32 v1, 0x3fb8aa3b, v12
	s_waitcnt lgkmcnt(0)
	v_mfma_f32_16x16x16_bf16 a[0:3], v[28:29], v[18:19], a[0:3]
	v_exp_f32_e32 v11, v1
	v_pk_mul_f32 v[14:15], v[0:1], v[24:25] op_sel_hi:[0,1]
	v_pk_mul_f32 v[0:1], v[0:1], v[10:11] op_sel_hi:[0,1]
	s_nop 3
	v_accvgpr_read_b32 v17, a1
	v_accvgpr_read_b32 v13, a3
	;; [unrolled: 1-line block ×4, first 2 shown]
	v_pk_fma_f32 v[2:3], v[2:3], v[14:15], v[16:17]
	v_pk_fma_f32 v[4:5], v[4:5], v[0:1], v[12:13]
.LBB713_75:
	s_add_u32 s0, s10, s34
	s_addc_u32 s1, s11, s35
	v_lshl_add_u64 v[0:1], v[54:55], 2, s[0:1]
	v_mov_b32_e32 v57, 0
	v_lshl_add_u64 v[0:1], v[0:1], 0, v[56:57]
	s_waitcnt vmcnt(1)
	global_store_dwordx4 v[0:1], v[6:9], off
	s_waitcnt vmcnt(1)
	global_store_dwordx4 v[0:1], v[2:5], off offset:256
	s_endpgm
	.section	.rodata,"a",@progbits
	.p2align	6, 0x0
	.amdhsa_kernel _ZN12_GLOBAL__N_139chunk_gated_delta_rule_fwd_h_hip_kernelILi16ELb1ELb1ELb1ELb0ELb0ELb1ELb1ELb0EEEvPK12hip_bfloat16S3_S3_PKfS5_PKvPS1_S8_PvPKiSB_iiiiilll
		.amdhsa_group_segment_fixed_size 40960
		.amdhsa_private_segment_fixed_size 0
		.amdhsa_kernarg_size 136
		.amdhsa_user_sgpr_count 2
		.amdhsa_user_sgpr_dispatch_ptr 0
		.amdhsa_user_sgpr_queue_ptr 0
		.amdhsa_user_sgpr_kernarg_segment_ptr 1
		.amdhsa_user_sgpr_dispatch_id 0
		.amdhsa_user_sgpr_kernarg_preload_length 0
		.amdhsa_user_sgpr_kernarg_preload_offset 0
		.amdhsa_user_sgpr_private_segment_size 0
		.amdhsa_uses_dynamic_stack 0
		.amdhsa_enable_private_segment 0
		.amdhsa_system_sgpr_workgroup_id_x 1
		.amdhsa_system_sgpr_workgroup_id_y 1
		.amdhsa_system_sgpr_workgroup_id_z 0
		.amdhsa_system_sgpr_workgroup_info 0
		.amdhsa_system_vgpr_workitem_id 0
		.amdhsa_next_free_vgpr 132
		.amdhsa_next_free_sgpr 76
		.amdhsa_accum_offset 120
		.amdhsa_reserve_vcc 1
		.amdhsa_float_round_mode_32 0
		.amdhsa_float_round_mode_16_64 0
		.amdhsa_float_denorm_mode_32 3
		.amdhsa_float_denorm_mode_16_64 3
		.amdhsa_dx10_clamp 1
		.amdhsa_ieee_mode 1
		.amdhsa_fp16_overflow 0
		.amdhsa_tg_split 0
		.amdhsa_exception_fp_ieee_invalid_op 0
		.amdhsa_exception_fp_denorm_src 0
		.amdhsa_exception_fp_ieee_div_zero 0
		.amdhsa_exception_fp_ieee_overflow 0
		.amdhsa_exception_fp_ieee_underflow 0
		.amdhsa_exception_fp_ieee_inexact 0
		.amdhsa_exception_int_div_zero 0
	.end_amdhsa_kernel
	.section	.text._ZN12_GLOBAL__N_139chunk_gated_delta_rule_fwd_h_hip_kernelILi16ELb1ELb1ELb1ELb0ELb0ELb1ELb1ELb0EEEvPK12hip_bfloat16S3_S3_PKfS5_PKvPS1_S8_PvPKiSB_iiiiilll,"axG",@progbits,_ZN12_GLOBAL__N_139chunk_gated_delta_rule_fwd_h_hip_kernelILi16ELb1ELb1ELb1ELb0ELb0ELb1ELb1ELb0EEEvPK12hip_bfloat16S3_S3_PKfS5_PKvPS1_S8_PvPKiSB_iiiiilll,comdat
.Lfunc_end713:
	.size	_ZN12_GLOBAL__N_139chunk_gated_delta_rule_fwd_h_hip_kernelILi16ELb1ELb1ELb1ELb0ELb0ELb1ELb1ELb0EEEvPK12hip_bfloat16S3_S3_PKfS5_PKvPS1_S8_PvPKiSB_iiiiilll, .Lfunc_end713-_ZN12_GLOBAL__N_139chunk_gated_delta_rule_fwd_h_hip_kernelILi16ELb1ELb1ELb1ELb0ELb0ELb1ELb1ELb0EEEvPK12hip_bfloat16S3_S3_PKfS5_PKvPS1_S8_PvPKiSB_iiiiilll
                                        ; -- End function
	.section	.AMDGPU.csdata,"",@progbits
; Kernel info:
; codeLenInByte = 8352
; NumSgprs: 82
; NumVgprs: 118
; NumAgprs: 12
; TotalNumVgprs: 132
; ScratchSize: 0
; MemoryBound: 0
; FloatMode: 240
; IeeeMode: 1
; LDSByteSize: 40960 bytes/workgroup (compile time only)
; SGPRBlocks: 10
; VGPRBlocks: 16
; NumSGPRsForWavesPerEU: 82
; NumVGPRsForWavesPerEU: 132
; AccumOffset: 120
; Occupancy: 1
; WaveLimiterHint : 1
; COMPUTE_PGM_RSRC2:SCRATCH_EN: 0
; COMPUTE_PGM_RSRC2:USER_SGPR: 2
; COMPUTE_PGM_RSRC2:TRAP_HANDLER: 0
; COMPUTE_PGM_RSRC2:TGID_X_EN: 1
; COMPUTE_PGM_RSRC2:TGID_Y_EN: 1
; COMPUTE_PGM_RSRC2:TGID_Z_EN: 0
; COMPUTE_PGM_RSRC2:TIDIG_COMP_CNT: 0
; COMPUTE_PGM_RSRC3_GFX90A:ACCUM_OFFSET: 29
; COMPUTE_PGM_RSRC3_GFX90A:TG_SPLIT: 0
	.section	.text._ZN12_GLOBAL__N_139chunk_gated_delta_rule_fwd_h_hip_kernelILi16ELb1ELb1ELb0ELb0ELb0ELb1ELb1ELb0EEEvPK12hip_bfloat16S3_S3_PKfS5_PKvPS1_S8_PvPKiSB_iiiiilll,"axG",@progbits,_ZN12_GLOBAL__N_139chunk_gated_delta_rule_fwd_h_hip_kernelILi16ELb1ELb1ELb0ELb0ELb0ELb1ELb1ELb0EEEvPK12hip_bfloat16S3_S3_PKfS5_PKvPS1_S8_PvPKiSB_iiiiilll,comdat
	.globl	_ZN12_GLOBAL__N_139chunk_gated_delta_rule_fwd_h_hip_kernelILi16ELb1ELb1ELb0ELb0ELb0ELb1ELb1ELb0EEEvPK12hip_bfloat16S3_S3_PKfS5_PKvPS1_S8_PvPKiSB_iiiiilll ; -- Begin function _ZN12_GLOBAL__N_139chunk_gated_delta_rule_fwd_h_hip_kernelILi16ELb1ELb1ELb0ELb0ELb0ELb1ELb1ELb0EEEvPK12hip_bfloat16S3_S3_PKfS5_PKvPS1_S8_PvPKiSB_iiiiilll
	.p2align	8
	.type	_ZN12_GLOBAL__N_139chunk_gated_delta_rule_fwd_h_hip_kernelILi16ELb1ELb1ELb0ELb0ELb0ELb1ELb1ELb0EEEvPK12hip_bfloat16S3_S3_PKfS5_PKvPS1_S8_PvPKiSB_iiiiilll,@function
_ZN12_GLOBAL__N_139chunk_gated_delta_rule_fwd_h_hip_kernelILi16ELb1ELb1ELb0ELb0ELb0ELb1ELb1ELb0EEEvPK12hip_bfloat16S3_S3_PKfS5_PKvPS1_S8_PvPKiSB_iiiiilll: ; @_ZN12_GLOBAL__N_139chunk_gated_delta_rule_fwd_h_hip_kernelILi16ELb1ELb1ELb0ELb0ELb0ELb1ELb1ELb0EEEvPK12hip_bfloat16S3_S3_PKfS5_PKvPS1_S8_PvPKiSB_iiiiilll
; %bb.0:
	s_load_dwordx4 s[12:15], s[0:1], 0x5c
	s_abs_i32 s6, s3
	s_ashr_i32 s5, s3, 31
	s_load_dwordx4 s[16:19], s[0:1], 0x20
	s_load_dwordx2 s[38:39], s[0:1], 0x30
	v_and_b32_e32 v65, 15, v0
	s_waitcnt lgkmcnt(0)
	s_abs_i32 s4, s13
	v_cvt_f32_u32_e32 v1, s4
	s_sub_i32 s8, 0, s4
	s_ashr_i32 s7, s13, 31
	s_xor_b32 s5, s5, s7
	v_rcp_iflag_f32_e32 v1, v1
	v_bfe_u32 v64, v0, 4, 2
	v_mov_b32_e32 v57, 0
	v_lshlrev_b32_e32 v66, 3, v0
	v_mul_f32_e32 v1, 0x4f7ffffe, v1
	v_cvt_u32_f32_e32 v1, v1
	s_nop 0
	v_readfirstlane_b32 s9, v1
	s_mul_i32 s8, s8, s9
	s_mul_hi_u32 s8, s9, s8
	s_add_i32 s9, s9, s8
	s_mul_hi_u32 s8, s6, s9
	s_mul_i32 s9, s8, s4
	s_sub_i32 s6, s6, s9
	s_add_i32 s10, s8, 1
	s_sub_i32 s9, s6, s4
	s_cmp_ge_u32 s6, s4
	s_cselect_b32 s8, s10, s8
	s_cselect_b32 s6, s9, s6
	s_add_i32 s9, s8, 1
	s_cmp_ge_u32 s6, s4
	s_cselect_b32 s6, s9, s8
	s_xor_b32 s6, s6, s5
	s_sub_i32 s56, s6, s5
	s_mul_i32 s6, s56, s13
	s_sub_i32 s33, s3, s6
	s_abs_i32 s3, s14
	v_cvt_f32_u32_e32 v1, s3
	s_add_i32 s8, s12, 63
	s_ashr_i32 s9, s8, 31
	s_lshr_b32 s5, s9, 26
	v_rcp_iflag_f32_e32 v1, v1
	s_ashr_i32 s55, s12, 31
	s_add_i32 s8, s8, s5
	s_lshr_b32 s5, s55, 26
	v_mul_f32_e32 v1, 0x4f7ffffe, v1
	v_cvt_u32_f32_e32 v1, v1
	s_add_i32 s5, s12, s5
	s_ashr_i32 s58, s14, 31
	s_ashr_i32 s24, s8, 6
	s_ashr_i32 s57, s5, 6
	s_xor_b32 s5, s7, s58
	s_sub_i32 s7, 0, s3
	v_readfirstlane_b32 s8, v1
	s_mul_i32 s7, s7, s8
	s_mul_hi_u32 s7, s8, s7
	s_add_i32 s8, s8, s7
	s_mul_hi_u32 s7, s4, s8
	s_mul_i32 s8, s7, s3
	s_sub_i32 s4, s4, s8
	s_lshl_b32 s2, s2, 4
	s_add_i32 s8, s7, 1
	s_sub_i32 s9, s4, s3
	s_cmp_ge_u32 s4, s3
	s_cselect_b32 s7, s8, s7
	s_cselect_b32 s4, s9, s4
	s_add_i32 s8, s7, 1
	s_cmp_ge_u32 s4, s3
	s_cselect_b32 s3, s8, s7
	s_xor_b32 s3, s3, s5
	s_sub_i32 s3, s3, s5
	s_abs_i32 s4, s3
	v_cvt_f32_u32_e32 v1, s4
	s_sub_i32 s7, 0, s4
	s_abs_i32 s5, s33
	s_xor_b32 s3, s33, s3
	v_rcp_iflag_f32_e32 v2, v1
	s_ashr_i32 s3, s3, 31
	v_lshrrev_b32_e32 v1, 6, v0
	v_or_b32_e32 v58, s2, v65
	v_mul_f32_e32 v2, 0x4f7ffffe, v2
	v_cvt_u32_f32_e32 v2, v2
	v_lshlrev_b32_e32 v53, 4, v1
	v_lshlrev_b32_e32 v54, 7, v58
	v_lshl_or_b32 v68, v64, 2, v53
	v_readfirstlane_b32 s8, v2
	s_mul_i32 s7, s7, s8
	s_mul_hi_u32 s7, s8, s7
	s_add_i32 s8, s8, s7
	s_mul_hi_u32 s7, s5, s8
	s_mul_i32 s8, s7, s4
	s_sub_i32 s5, s5, s8
	s_add_i32 s8, s7, 1
	s_sub_i32 s9, s5, s4
	s_cmp_ge_u32 s5, s4
	s_cselect_b32 s7, s8, s7
	s_cselect_b32 s5, s9, s5
	s_add_i32 s8, s7, 1
	s_cmp_ge_u32 s5, s4
	s_cselect_b32 s4, s8, s7
	s_xor_b32 s4, s4, s3
	s_sub_i32 s59, s4, s3
	s_ashr_i32 s3, s56, 31
	s_ashr_i32 s48, s33, 31
	s_mul_hi_i32 s4, s56, s13
	s_add_u32 s40, s6, s33
	s_addc_u32 s41, s4, s48
	s_lshl_b64 s[28:29], s[40:41], 16
	s_add_u32 s4, s18, s28
	s_addc_u32 s5, s19, s29
	v_ashrrev_i32_e32 v55, 31, v54
	v_lshl_add_u64 v[2:3], v[54:55], 2, s[4:5]
	v_lshlrev_b32_e32 v56, 2, v68
	v_lshl_add_u64 v[10:11], v[2:3], 0, v[56:57]
	global_load_dwordx4 v[6:9], v[10:11], off
	global_load_dwordx4 v[2:5], v[10:11], off offset:256
	s_load_dwordx2 s[18:19], s[0:1], 0x40
	s_load_dwordx8 s[4:11], s[0:1], 0x0
	s_load_dwordx2 s[30:31], s[0:1], 0x80
	s_load_dwordx4 s[20:23], s[0:1], 0x70
	v_and_b32_e32 v57, 63, v0
	s_mul_i32 s49, s56, s12
	s_mul_i32 s60, s56, s24
	v_or_b32_e32 v69, 64, v68
	s_cmp_lt_i32 s12, 64
	v_lshrrev_b32_e32 v67, 3, v57
	s_mul_i32 s61, s41, s12
	s_mul_hi_u32 s62, s40, s12
	s_mul_i32 s42, s40, s12
	s_waitcnt lgkmcnt(0)
	s_mul_i32 s41, s56, s21
	s_mul_hi_u32 s51, s56, s20
	s_mul_i32 s52, s3, s20
	s_mul_i32 s36, s56, s20
	;; [unrolled: 1-line block ×3, first 2 shown]
	s_mul_hi_u32 s53, s33, s22
	s_mul_i32 s54, s48, s22
	s_mul_i32 s34, s33, s22
	s_cbranch_scc1 .LBB714_18
; %bb.1:
	s_add_i32 s43, s62, s61
	s_lshl_b64 s[0:1], s[42:43], 8
	v_and_b32_e32 v71, 56, v66
	s_add_u32 s20, s6, s0
	v_lshl_or_b32 v70, v1, 3, v67
	v_lshlrev_b32_e32 v10, 1, v71
	s_addc_u32 s0, s7, s1
	v_lshl_or_b32 v72, v70, 8, v10
	s_and_b32 s21, s0, 0xffff
	s_mov_b32 s23, 0x20000
	s_movk_i32 s22, 0x4000
	s_movk_i32 s0, 0x80
	v_or_b32_e32 v73, 0x2000, v72
	buffer_load_dwordx4 v[12:15], v72, s[20:23], 0 offen
	buffer_load_dwordx4 v[16:19], v72, s[20:23], s0 offen
	;; [unrolled: 1-line block ×4, first 2 shown]
	v_lshlrev_b32_e32 v11, 3, v70
	v_and_or_b32 v29, v0, 7, v11
	v_and_b32_e32 v11, 0x78, v11
	v_lshlrev_b32_e32 v29, 4, v29
	v_xor_b32_e32 v74, v29, v11
	v_mul_lo_u32 v28, v70, s15
	v_or_b32_e32 v75, 0x1000, v74
	v_xor_b32_e32 v11, 8, v74
	s_cmpk_eq_i32 s15, 0x80
	s_mov_b32 s63, s14
	v_xor_b32_e32 v29, 8, v75
	s_cselect_b64 s[0:1], -1, 0
	s_cmpk_lg_i32 s15, 0x80
	s_waitcnt vmcnt(3)
	ds_write_b64 v74, v[12:13] offset:16384
	ds_write_b64 v11, v[14:15] offset:16384
	s_waitcnt vmcnt(2)
	ds_write_b64 v74, v[16:17] offset:24576
	ds_write_b64 v11, v[18:19] offset:24576
	;; [unrolled: 3-line block ×4, first 2 shown]
	v_lshl_add_u32 v11, v28, 1, v71
	s_cbranch_scc0 .LBB714_3
; %bb.2:
	v_lshlrev_b32_e32 v13, 1, v11
	v_add_lshl_u32 v12, v11, s15, 1
	s_lshl_b32 s22, s15, 7
	v_lshl_or_b32 v10, v70, 9, v10
	s_cbranch_execz .LBB714_4
	s_branch .LBB714_5
.LBB714_3:
                                        ; implicit-def: $vgpr12
                                        ; implicit-def: $vgpr13
                                        ; implicit-def: $sgpr22
	v_lshl_or_b32 v10, v70, 9, v10
.LBB714_4:
	v_or_b32_e32 v12, 0x100, v10
	s_movk_i32 s22, 0x4000
	v_mov_b32_e32 v13, v10
.LBB714_5:
	s_mul_hi_u32 s20, s14, s12
	s_mul_i32 s21, s58, s12
	s_add_i32 s20, s20, s21
	s_mul_i32 s21, s14, s12
	s_mul_i32 s23, s21, s3
	s_mul_hi_u32 s24, s21, s56
	s_add_i32 s23, s24, s23
	s_mul_i32 s20, s20, s56
	s_add_i32 s23, s23, s20
	s_mul_i32 s21, s21, s56
	s_ashr_i32 s64, s59, 31
	s_add_u32 s20, s21, s59
	s_addc_u32 s21, s23, s64
	s_lshl_b64 s[20:21], s[20:21], 8
	s_add_u32 s20, s4, s20
	s_addc_u32 s21, s5, s21
	s_and_b32 s21, s21, 0xffff
	s_mov_b32 s23, 0x20000
	s_movk_i32 s65, 0x80
	buffer_load_dwordx4 v[14:17], v13, s[20:23], 0 offen
	buffer_load_dwordx4 v[18:21], v13, s[20:23], s65 offen
	;; [unrolled: 1-line block ×4, first 2 shown]
	v_and_b32_e32 v12, 6, v0
	v_lshlrev_b32_e32 v30, 2, v65
	v_lshlrev_b32_e32 v31, 3, v65
	v_xor_b32_e32 v33, v70, v12
	v_and_b32_e32 v13, 1, v0
	s_mul_i32 s3, s3, s12
	s_mul_hi_u32 s20, s56, s12
	v_lshl_or_b32 v31, v68, 5, v31
	v_xor_b32_e32 v34, v68, v30
	v_lshlrev_b32_e32 v33, 2, v33
	v_or_b32_e32 v76, 0x9000, v31
	v_or_b32_e32 v77, 0x9800, v31
	v_lshlrev_b32_e32 v31, 1, v34
	v_xor_b32_e32 v34, 0x440, v33
	v_cmp_eq_u32_e32 vcc, 0, v13
	s_add_i32 s69, s20, s3
	s_add_i32 s3, s51, s41
	v_cndmask_b32_e32 v13, v34, v33, vcc
	s_add_i32 s20, s53, s50
	s_add_i32 s37, s3, s52
	s_mov_b32 s67, 0x1000504
	v_lshlrev_b32_e32 v32, 8, v65
	s_mov_b32 s22, 0x8000
	v_xor_b32_e32 v30, v69, v30
	v_lshl_or_b32 v12, v12, 10, v13
	s_add_i32 s35, s20, s54
	s_lshl_b64 s[20:21], s[36:37], 2
	s_mov_b32 s68, 0x3020706
	v_lshlrev_b32_e32 v30, 1, v30
	v_or3_b32 v78, v31, v32, s22
	v_xor_b32_e32 v13, 8, v12
	v_xor_b32_e32 v31, 24, v12
	;; [unrolled: 1-line block ×4, first 2 shown]
	s_add_u32 s3, s10, s20
	v_or3_b32 v79, v30, v32, s22
	v_xor_b32_e32 v30, 16, v12
	v_xor_b32_e32 v32, 32, v12
	;; [unrolled: 1-line block ×3, first 2 shown]
	v_add_u32_e32 v13, 0x80, v13
	v_add_u32_e32 v31, 0x80, v31
	;; [unrolled: 1-line block ×4, first 2 shown]
	s_addc_u32 s24, s11, s21
	s_lshl_b64 s[20:21], s[34:35], 2
	s_add_u32 s44, s3, s20
	s_movk_i32 s3, 0xf8
	s_addc_u32 s45, s24, s21
	v_ashrrev_i32_e32 v59, 31, v58
	s_lshl_b32 s26, s15, 7
	s_mov_b32 s66, 0
	s_mov_b32 s35, 0x7060302
	v_mov_b32_e32 v99, 0x3fb8aa3b
	s_mov_b32 s70, 0
	s_waitcnt vmcnt(1)
	v_perm_b32 v36, v14, v22, s67
	s_waitcnt vmcnt(0)
	v_perm_b32 v37, v18, v26, s67
	v_perm_b32 v14, v14, v22, s68
	;; [unrolled: 1-line block ×15, first 2 shown]
	ds_write2st64_b32 v12, v36, v37 offset1:32
	ds_write2st64_b32 v13, v14, v18 offset1:32
	ds_write2st64_b32 v30, v22, v26 offset0:1 offset1:33
	ds_write2st64_b32 v31, v15, v19 offset0:1 offset1:33
	;; [unrolled: 1-line block ×6, first 2 shown]
	v_or_b32_e32 v12, v53, v65
	v_lshlrev_b32_e32 v12, 3, v12
	v_lshrrev_b32_e32 v14, 5, v57
	v_and_or_b32 v14, v12, s3, v14
	v_lshlrev_b32_e32 v14, 4, v14
	v_lshrrev_b32_e32 v13, 2, v57
	v_lshlrev_b32_e32 v19, 11, v1
	v_and_b32_e32 v12, 0x78, v12
	v_or_b32_e32 v17, 32, v14
	v_and_b32_e32 v18, 12, v13
	v_and_b32_e32 v13, 0x1000, v19
	v_xor_b32_e32 v15, v14, v12
	v_lshrrev_b32_e32 v16, 1, v57
	v_xor_b32_e32 v17, v17, v12
	v_or_b32_e32 v15, v15, v13
	v_and_b32_e32 v16, 8, v16
	v_or_b32_e32 v17, v17, v13
	v_xor_b32_e32 v80, v15, v16
	v_and_b32_e32 v15, 0x78, v66
	v_xor_b32_e32 v82, v17, v16
	v_or_b32_e32 v17, 64, v14
	v_or_b32_e32 v14, 0x60, v14
	v_lshl_or_b32 v15, v64, 7, v15
	v_xor_b32_e32 v17, v17, v12
	v_xor_b32_e32 v12, v14, v12
	v_or_b32_e32 v81, 0x9000, v15
	v_or_b32_e32 v17, v17, v13
	;; [unrolled: 1-line block ×4, first 2 shown]
	v_lshrrev_b32_e32 v14, 4, v0
	v_lshlrev_b32_e32 v15, 1, v65
	v_xor_b32_e32 v83, v17, v16
	v_xor_b32_e32 v84, v12, v16
	s_ashr_i32 s3, s2, 31
	v_or_b32_e32 v16, 1, v15
	v_xor_b32_e32 v15, v14, v15
	s_lshl_b64 s[20:21], s[2:3], 8
	v_xor_b32_e32 v16, v16, v14
	v_lshlrev_b32_e32 v15, 3, v15
	v_lshlrev_b32_e32 v14, 8, v14
	v_lshl_add_u64 v[12:13], v[58:59], 1, s[8:9]
	s_add_u32 s20, s38, s20
	v_or3_b32 v59, v15, v14, s22
	v_lshlrev_b32_e32 v15, 3, v16
	s_addc_u32 s21, s39, s21
	v_or3_b32 v86, v15, v14, s22
	v_mov_b32_e32 v15, 0
	v_lshrrev_b32_e32 v25, 1, v0
	v_lshl_add_u64 v[16:17], s[20:21], 0, v[14:15]
	v_lshlrev_b32_e32 v14, 4, v65
	s_movk_i32 s3, 0xff
	v_lshlrev_b32_e32 v24, 3, v1
	v_and_b32_e32 v25, 24, v25
	v_lshl_add_u64 v[60:61], v[16:17], 0, v[14:15]
	v_and_b32_e32 v14, 7, v0
	v_and_b32_e32 v17, 8, v0
	v_cmp_lt_u32_e32 vcc, s3, v0
	v_xor_b32_e32 v26, v24, v25
	v_lshlrev_b32_e32 v22, 3, v14
	v_lshlrev_b32_e32 v23, 7, v14
	v_cndmask_b32_e64 v14, 0, 1, vcc
	v_or_b32_e32 v27, 0x440, v26
	v_cmp_eq_u32_e32 vcc, 0, v17
	v_or_b32_e32 v29, 64, v25
	v_xor_b32_e32 v29, v24, v29
	v_cndmask_b32_e32 v17, v27, v26, vcc
	v_or_b32_e32 v27, 32, v25
	v_or_b32_e32 v25, 0x60, v25
	v_xor_b32_e32 v27, v24, v27
	v_xor_b32_e32 v24, v24, v25
	v_or_b32_e32 v28, 0x440, v27
	v_xor_b32_e32 v30, 0x440, v29
	v_xor_b32_e32 v25, 0x440, v24
	v_cndmask_b32_e32 v27, v28, v27, vcc
	v_cndmask_b32_e32 v29, v30, v29, vcc
	;; [unrolled: 1-line block ×3, first 2 shown]
	v_or_b32_e32 v17, v17, v19
	v_or_b32_e32 v27, v27, v19
	;; [unrolled: 1-line block ×4, first 2 shown]
	v_lshlrev_b32_e32 v14, 13, v14
	v_xor_b32_e32 v17, v17, v22
	v_xor_b32_e32 v27, v27, v22
	;; [unrolled: 1-line block ×4, first 2 shown]
	v_lshlrev_b32_e32 v20, 1, v11
	v_add_lshl_u32 v11, v11, s15, 1
	v_or_b32_e32 v21, 0x100, v10
	v_or_b32_e32 v16, v18, v53
	v_add_u32_e32 v26, v14, v17
	v_add_u32_e32 v28, v14, v27
	;; [unrolled: 1-line block ×4, first 2 shown]
	v_or3_b32 v18, v53, v18, 64
	v_add_u32_e32 v17, 0x2000, v17
	v_add_u32_e32 v24, 0x2000, v27
	;; [unrolled: 1-line block ×4, first 2 shown]
	v_lshlrev_b32_e32 v14, 8, v68
	v_cndmask_b32_e64 v87, v20, v10, s[0:1]
	v_cndmask_b32_e64 v88, v11, v21, s[0:1]
	v_lshl_add_u64 v[62:63], v[12:13], 0, v[14:15]
	s_add_i32 s3, s49, 63
	s_movk_i32 s22, 0x4000
	v_lshlrev_b32_e32 v89, 2, v16
	v_add_u32_e32 v90, v26, v23
	v_add_u32_e32 v91, v28, v23
	v_add_u32_e32 v92, v30, v23
	v_add_u32_e32 v93, v22, v23
	v_lshlrev_b32_e32 v94, 2, v18
	v_add_u32_e32 v95, v17, v23
	v_add_u32_e32 v96, v24, v23
	;; [unrolled: 1-line block ×4, first 2 shown]
	s_waitcnt lgkmcnt(0)
	s_barrier
.LBB714_6:                              ; =>This Inner Loop Header: Depth=1
	s_add_i32 s37, s70, 1
	s_cmp_lt_i32 s37, s57
	s_mov_b64 s[24:25], 0
	s_cselect_b64 s[46:47], -1, 0
	s_cmp_ge_i32 s37, s57
	s_mov_b64 s[20:21], 0
	s_cbranch_scc1 .LBB714_8
; %bb.7:                                ;   in Loop: Header=BB714_6 Depth=1
	s_add_i32 s0, s66, 64
	s_add_u32 s0, s42, s0
	s_addc_u32 s1, s43, 0
	s_lshl_b64 s[0:1], s[0:1], 8
	s_add_u32 s20, s6, s0
	s_addc_u32 s21, s7, s1
.LBB714_8:                              ;   in Loop: Header=BB714_6 Depth=1
	v_cndmask_b32_e64 v10, 0, 1, s[46:47]
	v_cmp_ne_u32_e64 s[0:1], 1, v10
	s_andn2_b64 vcc, exec, s[46:47]
	s_cbranch_vccnz .LBB714_10
; %bb.9:                                ;   in Loop: Header=BB714_6 Depth=1
	s_add_i32 s24, s66, 64
	s_add_u32 s24, s49, s24
	s_addc_u32 s25, s69, 0
	s_mul_i32 s27, s24, s58
	s_mul_hi_u32 s46, s24, s63
	s_add_i32 s27, s46, s27
	s_mul_i32 s25, s25, s63
	s_add_i32 s27, s27, s25
	s_mul_i32 s24, s24, s63
	s_add_u32 s24, s24, s59
	s_addc_u32 s25, s27, s64
	s_lshl_b64 s[24:25], s[24:25], 8
	s_add_u32 s24, s4, s24
	s_addc_u32 s25, s5, s25
.LBB714_10:                             ;   in Loop: Header=BB714_6 Depth=1
	v_perm_b32 v11, v9, v8, s35
	v_perm_b32 v10, v7, v6, s35
	;; [unrolled: 1-line block ×4, first 2 shown]
	ds_write_b64 v76, v[10:11]
	ds_write_b64 v77, v[12:13]
	;; [unrolled: 1-line block ×4, first 2 shown]
	s_waitcnt lgkmcnt(0)
	s_barrier
	ds_read_b64 v[18:19], v80 offset:16384
	ds_read_b64 v[20:21], v82 offset:16384
	ds_read2st64_b64 v[10:13], v81 offset1:1
	ds_read2st64_b64 v[14:17], v81 offset0:2 offset1:3
	ds_read_b64 v[22:23], v83 offset:16384
	s_waitcnt lgkmcnt(2)
	v_mfma_f32_16x16x16_bf16 a[0:3], v[18:19], v[10:11], 0
	ds_read_b64 v[10:11], v84 offset:16384
	s_add_i32 s27, s66, 63
	s_mul_i32 s46, s27, s31
	v_mfma_f32_16x16x16_bf16 a[0:3], v[20:21], v[12:13], a[0:3]
	s_mul_hi_u32 s47, s27, s30
	s_add_i32 s47, s47, s46
	s_mul_i32 s46, s27, s30
	s_waitcnt lgkmcnt(1)
	v_mfma_f32_16x16x16_bf16 a[0:3], v[22:23], v[14:15], a[0:3]
	s_lshl_b64 s[46:47], s[46:47], 2
	s_add_u32 s46, s44, s46
	s_addc_u32 s47, s45, s47
	s_waitcnt lgkmcnt(0)
	v_mfma_f32_16x16x16_bf16 a[0:3], v[10:11], v[16:17], a[0:3]
	s_and_b64 vcc, exec, s[0:1]
	v_mov_b32_e32 v102, 0
	v_mov_b32_e32 v101, 0
	v_mov_b32_e32 v100, 0
	v_mov_b32_e32 v10, 0
	v_mov_b32_e32 v11, 0
	v_mov_b32_e32 v12, 0
	v_mov_b32_e32 v13, 0
	v_mov_b32_e32 v14, 0
	v_mov_b32_e32 v15, 0
	v_mov_b32_e32 v16, 0
	v_mov_b32_e32 v17, 0
	v_mov_b32_e32 v18, 0
	v_mov_b32_e32 v19, 0
	v_mov_b32_e32 v20, 0
	v_mov_b32_e32 v21, 0
	v_mov_b32_e32 v22, 0
	v_mov_b32_e32 v23, 0
	v_mov_b32_e32 v24, 0
	v_mov_b32_e32 v25, 0
	s_cbranch_vccnz .LBB714_12
; %bb.11:                               ;   in Loop: Header=BB714_6 Depth=1
	s_and_b32 s21, s21, 0xffff
	buffer_load_dwordx4 v[22:25], v72, s[20:23], 0 offen
	buffer_load_dwordx4 v[18:21], v72, s[20:23], s65 offen
	;; [unrolled: 1-line block ×4, first 2 shown]
	v_mov_b32_e32 v101, v74
	v_mov_b32_e32 v100, v75
.LBB714_12:                             ;   in Loop: Header=BB714_6 Depth=1
	v_add_u32_e32 v32, s66, v68
	v_ashrrev_i32_e32 v26, 31, v32
	v_mul_lo_u32 v28, v26, s30
	v_mul_lo_u32 v29, v32, s31
	v_mad_u64_u32 v[26:27], s[20:21], v32, s30, 0
	v_add3_u32 v27, v27, v29, v28
	v_add_u32_e32 v28, 1, v32
	v_ashrrev_i32_e32 v29, 31, v28
	v_mul_lo_u32 v30, v29, s30
	v_mul_lo_u32 v31, v28, s31
	v_mad_u64_u32 v[28:29], s[20:21], v28, s30, 0
	v_add3_u32 v29, v29, v31, v30
	v_add_u32_e32 v30, 2, v32
	v_ashrrev_i32_e32 v31, 31, v30
	v_mul_lo_u32 v33, v31, s30
	v_mul_lo_u32 v34, v30, s31
	v_mad_u64_u32 v[30:31], s[20:21], v30, s30, 0
	v_add_u32_e32 v32, 3, v32
	v_add3_u32 v31, v31, v34, v33
	v_ashrrev_i32_e32 v33, 31, v32
	v_mul_lo_u32 v36, v33, s30
	v_mul_lo_u32 v37, v32, s31
	v_mad_u64_u32 v[32:33], s[20:21], v32, s30, 0
	s_add_u32 s20, s42, s66
	s_addc_u32 s21, s43, 0
	s_lshl_b64 s[20:21], s[20:21], 8
	v_lshl_add_u64 v[26:27], v[26:27], 2, s[44:45]
	v_lshl_add_u64 v[28:29], v[28:29], 2, s[44:45]
	v_lshl_add_u64 v[34:35], v[62:63], 0, s[20:21]
	v_add3_u32 v33, v33, v37, v36
	v_lshl_add_u64 v[30:31], v[30:31], 2, s[44:45]
	global_load_ushort v46, v[34:35], off
	global_load_ushort v47, v[34:35], off offset:256
	global_load_ushort v48, v[34:35], off offset:512
	;; [unrolled: 1-line block ×3, first 2 shown]
	global_load_dword v50, v[26:27], off
	v_lshl_add_u64 v[26:27], v[32:33], 2, s[44:45]
	global_load_dword v51, v[28:29], off
	global_load_dword v52, v[30:31], off
	;; [unrolled: 1-line block ×3, first 2 shown]
	s_load_dword s20, s[46:47], 0x0
	ds_read2st64_b64 v[32:35], v85 offset1:1
	ds_read2st64_b64 v[36:39], v85 offset0:2 offset1:3
	ds_read_b64 v[30:31], v80 offset:24576
	ds_read_b64 v[40:41], v82 offset:24576
	;; [unrolled: 1-line block ×4, first 2 shown]
	s_waitcnt lgkmcnt(0)
	v_mfma_f32_16x16x16_bf16 a[0:3], v[30:31], v[32:33], a[0:3]
	v_mov_b32_e32 v103, 0
	v_mov_b32_e32 v26, 0
	v_mov_b32_e32 v27, 0
	v_mfma_f32_16x16x16_bf16 a[0:3], v[40:41], v[34:35], a[0:3]
	v_mov_b32_e32 v28, 0
	v_mov_b32_e32 v29, 0
	v_mov_b32_e32 v30, 0
	;; [unrolled: 4-line block ×4, first 2 shown]
	v_mov_b32_e32 v37, 0
	s_and_b64 vcc, exec, s[0:1]
	s_waitcnt vmcnt(7)
	v_lshlrev_b32_e32 v42, 16, v46
	s_waitcnt vmcnt(6)
	v_lshlrev_b32_e32 v43, 16, v47
	;; [unrolled: 2-line block ×4, first 2 shown]
	s_waitcnt vmcnt(3)
	v_sub_f32_e32 v46, s20, v50
	s_waitcnt vmcnt(2)
	v_sub_f32_e32 v47, s20, v51
	;; [unrolled: 2-line block ×4, first 2 shown]
	v_mul_f32_e32 v46, 0x3fb8aa3b, v46
	v_mul_f32_e32 v47, 0x3fb8aa3b, v47
	;; [unrolled: 1-line block ×4, first 2 shown]
	v_exp_f32_e32 v46, v46
	v_exp_f32_e32 v47, v47
	;; [unrolled: 1-line block ×4, first 2 shown]
	v_accvgpr_read_b32 v41, a1
	v_accvgpr_read_b32 v39, a3
	;; [unrolled: 1-line block ×4, first 2 shown]
	v_pk_add_f32 v[40:41], v[42:43], v[40:41] neg_lo:[0,1] neg_hi:[0,1]
	v_pk_add_f32 v[38:39], v[44:45], v[38:39] neg_lo:[0,1] neg_hi:[0,1]
	v_pk_mul_f32 v[40:41], v[46:47], v[40:41]
	v_pk_mul_f32 v[38:39], v[48:49], v[38:39]
	s_nop 0
	v_perm_b32 v39, v39, v38, s35
	v_perm_b32 v38, v41, v40, s35
	ds_write_b64 v77, v[38:39]
	v_mov_b32_e32 v38, 0
	v_mov_b32_e32 v39, 0
	;; [unrolled: 1-line block ×4, first 2 shown]
	s_cbranch_vccnz .LBB714_14
; %bb.13:                               ;   in Loop: Header=BB714_6 Depth=1
	s_and_b32 s25, s25, 0xffff
	s_mov_b32 s27, s23
	buffer_load_dwordx4 v[38:41], v87, s[24:27], 0 offen
	buffer_load_dwordx4 v[30:33], v87, s[24:27], s65 offen
	;; [unrolled: 1-line block ×4, first 2 shown]
	v_mov_b32_e32 v102, v71
	v_mov_b32_e32 v103, v70
.LBB714_14:                             ;   in Loop: Header=BB714_6 Depth=1
	s_waitcnt lgkmcnt(0)
	s_barrier
	ds_read_b64 v[42:43], v90
	ds_read_b64 v[48:49], v91
	ds_read2st64_b64 v[44:47], v85 offset1:1
	ds_read2st64_b64 v[104:107], v85 offset0:2 offset1:3
	ds_read_b64 v[50:51], v92
	ds_read_b64 v[112:113], v93
	s_add_i32 s21, s60, s70
	s_mul_hi_i32 s25, s21, s13
	s_mul_i32 s21, s21, s13
	s_waitcnt lgkmcnt(3)
	v_mfma_f32_16x16x16_bf16 a[0:3], v[42:43], v[44:45], 0
	ds_read_b64 v[42:43], v95
	s_add_u32 s24, s21, s33
	s_addc_u32 s25, s25, s48
	s_add_i32 s21, s3, s66
	v_mfma_f32_16x16x16_bf16 a[0:3], v[48:49], v[46:47], a[0:3]
	ds_read_b64 v[48:49], v96
	s_lshl_b64 s[24:25], s[24:25], 15
	s_mul_hi_i32 s27, s21, s13
	s_mul_i32 s21, s21, s13
	s_add_u32 s46, s21, s33
	s_addc_u32 s47, s27, s48
	s_lshl_b64 s[46:47], s[46:47], 9
	s_add_u32 s46, s16, s46
	s_waitcnt lgkmcnt(1)
	v_mfma_f32_16x16x16_bf16 a[4:7], v[42:43], v[44:45], 0
	s_addc_u32 s47, s17, s47
	s_and_b64 vcc, exec, s[0:1]
	v_mfma_f32_16x16x16_bf16 a[0:3], v[50:51], v[104:105], a[0:3]
	ds_read_b64 v[50:51], v97
	ds_read_b64 v[114:115], v98
	global_load_dwordx4 v[42:45], v94, s[46:47]
	s_waitcnt lgkmcnt(2)
	v_mfma_f32_16x16x16_bf16 a[4:7], v[48:49], v[46:47], a[4:7]
	global_load_dwordx4 v[46:49], v89, s[46:47]
	ds_read_b64 v[108:109], v59
	ds_read_b64 v[110:111], v86
	s_waitcnt lgkmcnt(3)
	v_mfma_f32_16x16x16_bf16 a[8:11], v[50:51], v[104:105], a[4:7]
	v_lshl_add_u64 v[50:51], v[60:61], 0, s[24:25]
	s_waitcnt lgkmcnt(0)
	global_store_dwordx4 v[50:51], v[108:111], off
	v_mfma_f32_16x16x16_bf16 a[4:7], v[112:113], v[106:107], a[0:3]
	s_waitcnt vmcnt(2)
	v_mov_b32_e32 v52, v45
	v_mfma_f32_16x16x16_bf16 a[0:3], v[114:115], v[106:107], a[8:11]
	v_mov_b32_e32 v51, v44
	v_mov_b32_e32 v50, v43
	s_cbranch_vccnz .LBB714_16
; %bb.15:                               ;   in Loop: Header=BB714_6 Depth=1
	v_lshrrev_b32_e32 v43, 3, v102
	v_and_b32_e32 v43, 6, v43
	v_xor_b32_e32 v44, v43, v103
	v_lshlrev_b32_e32 v44, 2, v44
	v_and_b32_e32 v45, 8, v102
	v_xor_b32_e32 v102, 0x440, v44
	v_cmp_eq_u32_e32 vcc, 0, v45
	v_perm_b32 v45, v30, v26, s67
	s_nop 0
	v_cndmask_b32_e32 v44, v102, v44, vcc
	v_lshl_or_b32 v43, v43, 10, v44
	v_perm_b32 v44, v38, v34, s67
	s_barrier
	ds_write2st64_b32 v43, v44, v45 offset1:32
	v_xor_b32_e32 v44, 8, v43
	v_perm_b32 v34, v38, v34, s68
	v_perm_b32 v26, v30, v26, s68
	v_add_u32_e32 v30, 0x80, v44
	ds_write2st64_b32 v30, v34, v26 offset1:32
	v_xor_b32_e32 v26, 16, v43
	v_perm_b32 v30, v39, v35, s67
	v_perm_b32 v34, v31, v27, s67
	ds_write2st64_b32 v26, v30, v34 offset0:1 offset1:33
	v_xor_b32_e32 v26, 24, v43
	v_perm_b32 v30, v39, v35, s68
	v_perm_b32 v27, v31, v27, s68
	v_add_u32_e32 v26, 0x80, v26
	ds_write2st64_b32 v26, v30, v27 offset0:1 offset1:33
	v_xor_b32_e32 v26, 32, v43
	v_perm_b32 v27, v40, v36, s67
	v_perm_b32 v30, v32, v28, s67
	ds_write2st64_b32 v26, v27, v30 offset0:2 offset1:34
	v_xor_b32_e32 v26, 40, v43
	v_perm_b32 v27, v40, v36, s68
	v_perm_b32 v28, v32, v28, s68
	v_add_u32_e32 v26, 0x80, v26
	ds_write2st64_b32 v26, v27, v28 offset0:2 offset1:34
	;; [unrolled: 9-line block ×3, first 2 shown]
	ds_write_b64 v101, v[22:23] offset:16384
	v_xor_b32_e32 v22, 8, v101
	ds_write_b64 v22, v[24:25] offset:16384
	ds_write_b64 v101, v[18:19] offset:24576
	;; [unrolled: 1-line block ×4, first 2 shown]
	v_xor_b32_e32 v14, 8, v100
	ds_write_b64 v14, v[16:17] offset:16384
	ds_write_b64 v100, v[10:11] offset:24576
	;; [unrolled: 1-line block ×3, first 2 shown]
.LBB714_16:                             ;   in Loop: Header=BB714_6 Depth=1
	v_mul_f32_e32 v14, s20, v99
	v_exp_f32_e32 v18, v14
	s_waitcnt vmcnt(1)
	v_mul_f32_e32 v14, 0x3fb8aa3b, v46
	v_exp_f32_e32 v20, v14
	v_mul_f32_e32 v14, 0x3fb8aa3b, v47
	v_exp_f32_e32 v21, v14
	;; [unrolled: 2-line block ×4, first 2 shown]
	v_accvgpr_read_b32 v13, a7
	v_accvgpr_read_b32 v11, a5
	;; [unrolled: 1-line block ×3, first 2 shown]
	v_pk_mul_f32 v[20:21], v[18:19], v[20:21] op_sel_hi:[0,1]
	v_pk_fma_f32 v[6:7], v[6:7], v[20:21], v[10:11]
	v_pk_mul_f32 v[10:11], v[18:19], v[22:23] op_sel_hi:[0,1]
	v_mul_f32_e32 v19, 0x3fb8aa3b, v42
	v_exp_f32_e32 v20, v19
	v_mul_f32_e32 v19, 0x3fb8aa3b, v50
	v_exp_f32_e32 v21, v19
	;; [unrolled: 2-line block ×4, first 2 shown]
	v_accvgpr_read_b32 v12, a6
	v_accvgpr_read_b32 v17, a3
	;; [unrolled: 1-line block ×4, first 2 shown]
	v_pk_fma_f32 v[8:9], v[8:9], v[10:11], v[12:13]
	v_pk_mul_f32 v[10:11], v[18:19], v[20:21] op_sel_hi:[0,1]
	v_accvgpr_read_b32 v16, a2
	v_pk_fma_f32 v[2:3], v[2:3], v[10:11], v[14:15]
	v_pk_mul_f32 v[10:11], v[18:19], v[22:23] op_sel_hi:[0,1]
	s_add_i32 s66, s66, 64
	s_cmp_eq_u32 s57, s37
	v_pk_fma_f32 v[4:5], v[4:5], v[10:11], v[16:17]
	s_cbranch_scc1 .LBB714_18
; %bb.17:                               ;   in Loop: Header=BB714_6 Depth=1
	s_mov_b32 s70, s37
	s_branch .LBB714_6
.LBB714_18:
	s_lshl_b32 s43, s57, 6
	s_sub_i32 s46, s12, s43
	s_cmp_gt_i32 s46, 0
	s_cbranch_scc0 .LBB714_75
; %bb.19:
	s_ashr_i32 s3, s43, 31
	s_cmpk_lg_i32 s15, 0x80
	s_cselect_b64 s[26:27], -1, 0
	s_and_b64 vcc, exec, s[26:27]
	s_cbranch_vccz .LBB714_21
; %bb.20:
	s_mul_hi_i32 s0, s56, s12
	s_add_u32 s1, s49, s43
	s_addc_u32 s0, s0, s3
	s_mul_i32 s20, s1, s58
	s_mul_hi_u32 s21, s1, s14
	s_add_i32 s20, s21, s20
	s_mul_i32 s0, s0, s14
	s_add_i32 s20, s20, s0
	s_mul_i32 s1, s1, s14
	s_ashr_i32 s0, s59, 31
	s_add_u32 s44, s1, s59
	s_addc_u32 s45, s20, s0
	s_cbranch_execz .LBB714_22
	s_branch .LBB714_23
.LBB714_21:
                                        ; implicit-def: $sgpr44_sgpr45
.LBB714_22:
	s_mul_hi_i32 s0, s56, s14
	s_mul_i32 s56, s56, s14
	s_ashr_i32 s1, s59, 31
	s_add_u32 s14, s56, s59
	s_addc_u32 s0, s0, s1
	s_mul_i32 s1, s14, s55
	s_mul_hi_u32 s20, s14, s12
	s_add_i32 s1, s20, s1
	s_mul_i32 s0, s0, s12
	s_add_i32 s1, s1, s0
	s_mul_i32 s14, s14, s12
	s_add_u32 s44, s14, s43
	s_addc_u32 s45, s1, s3
.LBB714_23:
	s_mul_i32 s0, s40, s55
	s_add_i32 s0, s62, s0
	s_add_i32 s14, s60, s57
	;; [unrolled: 1-line block ×3, first 2 shown]
	s_add_u32 s0, s42, s43
	s_addc_u32 s1, s1, s3
	s_mov_b32 s3, 0x7060302
	v_lshlrev_b32_e32 v14, 3, v65
	s_lshl_b64 s[24:25], s[0:1], 8
	s_waitcnt vmcnt(1)
	v_perm_b32 v11, v9, v8, s3
	v_perm_b32 v10, v7, v6, s3
	s_waitcnt vmcnt(0)
	v_perm_b32 v13, v5, v4, s3
	v_perm_b32 v12, v3, v2, s3
	v_lshlrev_b32_e32 v42, 2, v65
	v_lshl_or_b32 v14, v68, 5, v14
	s_add_u32 s0, s6, s24
	ds_write2st64_b64 v14, v[10:11], v[12:13] offset0:72 offset1:76
	v_xor_b32_e32 v14, v68, v42
	v_lshlrev_b32_e32 v15, 8, v65
	s_addc_u32 s1, s7, s25
	v_lshl_or_b32 v14, v14, 1, v15
	s_mul_hi_i32 s3, s14, s13
	s_mul_i32 s14, s14, s13
	ds_write_b64 v14, v[10:11] offset:32768
	v_xor_b32_e32 v10, v69, v42
	s_add_u32 s6, s14, s33
	v_lshl_or_b32 v10, v10, 1, v15
	s_addc_u32 s7, s3, s48
	v_lshlrev_b32_e32 v11, 1, v65
	ds_write_b64 v10, v[12:13] offset:32768
	v_lshrrev_b32_e32 v10, 4, v0
	s_ashr_i32 s3, s2, 31
	s_lshl_b64 s[6:7], s[6:7], 15
	v_or_b32_e32 v12, 1, v11
	s_add_u32 s6, s38, s6
	v_xor_b32_e32 v11, v10, v11
	v_xor_b32_e32 v12, v12, v10
	v_lshlrev_b32_e32 v14, 8, v10
	s_addc_u32 s7, s39, s7
	s_lshl_b64 s[2:3], s[2:3], 8
	v_lshl_or_b32 v10, v11, 3, v14
	v_lshl_or_b32 v12, v12, 3, v14
	s_waitcnt lgkmcnt(0)
	s_barrier
	s_add_u32 s2, s6, s2
	ds_read_b64 v[10:11], v10 offset:32768
	ds_read_b64 v[12:13], v12 offset:32768
	s_addc_u32 s3, s7, s3
	v_mov_b32_e32 v15, 0
	s_cmp_lg_u32 s46, 64
	v_lshl_add_u64 v[16:17], s[2:3], 0, v[14:15]
	v_lshlrev_b32_e32 v14, 4, v65
	s_cselect_b64 s[6:7], -1, 0
	v_lshl_or_b32 v44, v1, 3, v67
	s_mov_b32 s20, 0
	v_lshl_add_u64 v[14:15], v[16:17], 0, v[14:15]
	v_or_b32_e32 v27, 32, v44
	v_and_b32_e32 v26, 56, v66
	s_and_b64 vcc, exec, s[6:7]
	s_waitcnt lgkmcnt(0)
	global_store_dwordx4 v[14:15], v[10:13], off
	s_cbranch_vccz .LBB714_29
; %bb.24:
	s_mov_b32 s21, s20
	s_mov_b32 s22, s20
	s_mov_b32 s23, s20
	v_mov_b64_e32 v[14:15], s[20:21]
	v_mov_b64_e32 v[16:17], s[22:23]
	;; [unrolled: 1-line block ×3, first 2 shown]
	v_cmp_gt_i32_e32 vcc, s46, v44
	v_mov_b64_e32 v[12:13], v[16:17]
	s_and_saveexec_b64 s[2:3], vcc
	s_cbranch_execz .LBB714_26
; %bb.25:
	v_lshlrev_b32_e32 v10, 8, v44
	v_mov_b32_e32 v11, 0
	v_lshl_add_u64 v[12:13], s[0:1], 0, v[10:11]
	v_lshlrev_b32_e32 v10, 1, v26
	v_lshl_add_u64 v[18:19], v[12:13], 0, v[10:11]
	global_load_dwordx4 v[14:17], v[18:19], off
	global_load_dwordx4 v[10:13], v[18:19], off offset:128
.LBB714_26:
	s_or_b64 exec, exec, s[2:3]
	s_mov_b32 s22, s20
	s_mov_b32 s23, s20
	;; [unrolled: 1-line block ×3, first 2 shown]
	v_mov_b64_e32 v[24:25], s[22:23]
	v_mov_b64_e32 v[22:23], s[20:21]
	;; [unrolled: 1-line block ×3, first 2 shown]
	v_cmp_gt_i32_e32 vcc, s46, v27
	v_lshlrev_b32_e32 v28, 7, v27
	v_mov_b64_e32 v[20:21], v[24:25]
	s_and_saveexec_b64 s[2:3], vcc
	s_cbranch_execz .LBB714_28
; %bb.27:
	v_lshlrev_b32_e32 v18, 1, v28
	v_mov_b32_e32 v19, 0
	v_lshl_add_u64 v[20:21], s[0:1], 0, v[18:19]
	v_lshlrev_b32_e32 v18, 1, v26
	v_lshl_add_u64 v[30:31], v[20:21], 0, v[18:19]
	global_load_dwordx4 v[22:25], v[30:31], off
	global_load_dwordx4 v[18:21], v[30:31], off offset:128
.LBB714_28:
	s_or_b64 exec, exec, s[2:3]
	v_lshrrev_b32_e32 v29, 3, v26
	v_lshlrev_b32_e32 v30, 3, v44
	v_or_b32_e32 v29, v30, v29
	v_lshlrev_b32_e32 v29, 4, v29
	v_and_b32_e32 v30, 0x78, v30
	v_xor_b32_e32 v29, v29, v30
	s_branch .LBB714_31
.LBB714_29:
                                        ; implicit-def: $vgpr29
                                        ; implicit-def: $vgpr28
                                        ; implicit-def: $vgpr14_vgpr15_vgpr16_vgpr17
                                        ; implicit-def: $vgpr10_vgpr11_vgpr12_vgpr13
                                        ; implicit-def: $vgpr22_vgpr23_vgpr24_vgpr25
                                        ; implicit-def: $vgpr18_vgpr19_vgpr20_vgpr21
	s_cbranch_execz .LBB714_31
; %bb.30:
	s_waitcnt vmcnt(0)
	v_lshlrev_b32_e32 v10, 1, v26
	v_lshl_or_b32 v28, v44, 8, v10
	s_and_b32 s1, s1, 0xffff
	s_mov_b32 s3, 0x20000
	s_movk_i32 s2, 0x4000
	v_lshl_or_b32 v29, v27, 8, v10
	s_movk_i32 s14, 0x80
	buffer_load_dwordx4 v[14:17], v28, s[0:3], 0 offen
	buffer_load_dwordx4 v[10:13], v28, s[0:3], s14 offen
	;; [unrolled: 1-line block ×4, first 2 shown]
	v_lshrrev_b32_e32 v28, 3, v26
	v_lshlrev_b32_e32 v29, 3, v44
	v_or_b32_e32 v28, v29, v28
	v_lshlrev_b32_e32 v28, 4, v28
	v_and_b32_e32 v29, 0x78, v29
	v_xor_b32_e32 v29, v28, v29
	v_lshlrev_b32_e32 v28, 7, v27
.LBB714_31:
	s_lshl_b64 s[0:1], s[44:45], 8
	s_add_u32 s4, s4, s0
	s_movk_i32 s0, 0x1000
	v_and_or_b32 v27, v28, s0, v29
	s_waitcnt vmcnt(1)
	ds_write_b64 v29, v[14:15] offset:16384
	v_xor_b32_e32 v14, 8, v29
	ds_write_b64 v14, v[16:17] offset:16384
	s_waitcnt vmcnt(0)
	ds_write_b64 v29, v[10:11] offset:24576
	ds_write_b64 v14, v[12:13] offset:24576
	;; [unrolled: 1-line block ×3, first 2 shown]
	v_xor_b32_e32 v10, 8, v27
	ds_write_b64 v10, v[24:25] offset:16384
	ds_write_b64 v27, v[18:19] offset:24576
	;; [unrolled: 1-line block ×3, first 2 shown]
	v_or_b32_e32 v10, v53, v65
	s_addc_u32 s5, s5, s1
	s_add_i32 s14, s12, -1
	v_lshlrev_b32_e32 v10, 3, v10
	v_lshrrev_b32_e32 v12, 5, v57
	s_movk_i32 s12, 0xf8
	v_and_or_b32 v12, v10, s12, v12
	v_lshlrev_b32_e32 v43, 11, v1
	v_lshlrev_b32_e32 v20, 4, v12
	v_and_b32_e32 v21, 0x78, v10
	v_and_b32_e32 v22, 0x1000, v43
	v_lshlrev_b32_e32 v11, 2, v0
	v_xor_b32_e32 v10, v20, v21
	v_lshrrev_b32_e32 v12, 1, v57
	v_and_b32_e32 v11, 60, v11
	v_or_b32_e32 v10, v10, v22
	v_and_b32_e32 v23, 8, v12
	v_xor_b32_e32 v34, v10, v23
	v_lshl_or_b32 v10, v64, 6, v11
	v_lshlrev_b32_e32 v45, 1, v10
	v_or_b32_e32 v10, 32, v20
	v_xor_b32_e32 v10, v10, v21
	s_waitcnt lgkmcnt(0)
	s_barrier
	ds_read_b64 v[18:19], v34 offset:16384
	v_or_b32_e32 v10, v10, v22
	v_xor_b32_e32 v35, v10, v23
	v_or_b32_e32 v10, 64, v20
	v_xor_b32_e32 v10, v10, v21
	v_or_b32_e32 v10, v10, v22
	v_or_b32_e32 v20, 0x60, v20
	v_xor_b32_e32 v36, v10, v23
	ds_read2st64_b64 v[10:13], v45 offset0:72 offset1:73
	ds_read2st64_b64 v[14:17], v45 offset0:74 offset1:75
	v_xor_b32_e32 v24, v20, v21
	ds_read_b64 v[20:21], v35 offset:16384
	s_add_i32 s0, s51, s41
	s_waitcnt lgkmcnt(2)
	v_mfma_f32_16x16x16_bf16 a[0:3], v[18:19], v[10:11], 0
	s_add_i32 s37, s0, s52
	s_add_i32 s0, s53, s50
	;; [unrolled: 1-line block ×3, first 2 shown]
	s_ashr_i32 s0, s14, 31
	s_mul_i32 s1, s14, s31
	s_mul_hi_u32 s2, s14, s30
	s_add_i32 s1, s2, s1
	s_mul_i32 s0, s0, s30
	v_or_b32_e32 v22, v24, v22
	s_add_i32 s1, s1, s0
	s_lshl_b64 s[2:3], s[36:37], 2
	v_xor_b32_e32 v46, v22, v23
	ds_read_b64 v[22:23], v36 offset:16384
	ds_read_b64 v[24:25], v46 offset:16384
	s_waitcnt lgkmcnt(2)
	v_mfma_f32_16x16x16_bf16 a[0:3], v[20:21], v[12:13], a[0:3]
	s_add_u32 s10, s10, s2
	s_addc_u32 s11, s11, s3
	s_lshl_b64 s[2:3], s[34:35], 2
	s_mul_i32 s0, s14, s30
	s_add_u32 s10, s10, s2
	s_addc_u32 s11, s11, s3
	s_lshl_b64 s[0:1], s[0:1], 2
	s_waitcnt lgkmcnt(1)
	v_mfma_f32_16x16x16_bf16 a[0:3], v[22:23], v[14:15], a[0:3]
	s_add_u32 s0, s10, s0
	s_addc_u32 s1, s11, s1
	s_load_dword s12, s[0:1], 0x0
	s_waitcnt lgkmcnt(0)
	v_mfma_f32_16x16x16_bf16 a[0:3], v[24:25], v[16:17], a[0:3]
	s_and_b64 vcc, exec, s[26:27]
	s_cbranch_vccz .LBB714_42
; %bb.32:
	v_lshlrev_b32_e32 v27, 1, v44
	s_and_b64 vcc, exec, s[6:7]
	s_cbranch_vccz .LBB714_43
; %bb.33:
	v_cmp_gt_i32_e32 vcc, s46, v27
	v_mov_b32_e32 v14, 0
	v_mov_b32_e32 v10, 0
	;; [unrolled: 1-line block ×5, first 2 shown]
	s_and_saveexec_b64 s[0:1], vcc
	s_cbranch_execz .LBB714_35
; %bb.34:
	v_mad_i64_i32 v[10:11], s[2:3], s15, v27, 0
	v_lshl_add_u64 v[10:11], v[10:11], 1, s[4:5]
	v_lshlrev_b32_e32 v12, 1, v26
	v_mov_b32_e32 v13, 0
	v_lshl_add_u64 v[10:11], v[10:11], 0, v[12:13]
	global_load_dwordx4 v[10:13], v[10:11], off
.LBB714_35:
	s_or_b64 exec, exec, s[0:1]
	v_or_b32_e32 v28, 1, v27
	v_cmp_gt_i32_e64 s[0:1], s46, v28
	v_mov_b32_e32 v15, 0
	v_mov_b32_e32 v16, 0
	;; [unrolled: 1-line block ×3, first 2 shown]
	s_and_saveexec_b64 s[2:3], s[0:1]
	s_cbranch_execz .LBB714_37
; %bb.36:
	v_mad_i64_i32 v[14:15], s[20:21], s15, v28, 0
	v_lshl_add_u64 v[14:15], v[14:15], 1, s[4:5]
	v_lshlrev_b32_e32 v16, 1, v26
	v_mov_b32_e32 v17, 0
	v_lshl_add_u64 v[14:15], v[14:15], 0, v[16:17]
	global_load_dwordx4 v[14:17], v[14:15], off
.LBB714_37:
	s_or_b64 exec, exec, s[2:3]
	v_mov_b32_e32 v25, 0
	v_mov_b32_e32 v18, 0
	;; [unrolled: 1-line block ×5, first 2 shown]
	s_and_saveexec_b64 s[2:3], vcc
	s_cbranch_execz .LBB714_39
; %bb.38:
	v_mad_i64_i32 v[18:19], s[20:21], s15, v27, 0
	v_lshl_add_u64 v[18:19], v[18:19], 1, s[4:5]
	v_lshlrev_b32_e32 v20, 1, v26
	v_mov_b32_e32 v21, 0
	v_lshl_add_u64 v[18:19], v[18:19], 0, v[20:21]
	global_load_dwordx4 v[18:21], v[18:19], off offset:128
.LBB714_39:
	s_or_b64 exec, exec, s[2:3]
	v_mov_b32_e32 v24, 0
	v_mov_b32_e32 v23, 0
	;; [unrolled: 1-line block ×3, first 2 shown]
	s_and_saveexec_b64 s[2:3], s[0:1]
	s_cbranch_execz .LBB714_41
; %bb.40:
	v_mad_i64_i32 v[22:23], s[0:1], s15, v28, 0
	v_lshl_add_u64 v[22:23], v[22:23], 1, s[4:5]
	v_lshlrev_b32_e32 v24, 1, v26
	v_mov_b32_e32 v25, 0
	v_lshl_add_u64 v[22:23], v[22:23], 0, v[24:25]
	global_load_dwordx4 v[22:25], v[22:23], off offset:128
.LBB714_41:
	s_or_b64 exec, exec, s[2:3]
	s_branch .LBB714_45
.LBB714_42:
                                        ; implicit-def: $vgpr13
                                        ; implicit-def: $vgpr17
                                        ; implicit-def: $vgpr21
                                        ; implicit-def: $vgpr25
	v_lshrrev_b32_e32 v27, 2, v57
	s_branch .LBB714_46
.LBB714_43:
                                        ; implicit-def: $vgpr13
                                        ; implicit-def: $vgpr17
                                        ; implicit-def: $vgpr21
                                        ; implicit-def: $vgpr25
	s_cbranch_execz .LBB714_45
; %bb.44:
	s_waitcnt vmcnt(0)
	v_mad_u64_u32 v[10:11], s[0:1], v27, s15, v[26:27]
	v_lshlrev_b32_e32 v27, 1, v10
	s_lshl_b32 s2, s15, 7
	s_and_b32 s1, s5, 0xffff
	s_mov_b32 s3, 0x20000
	s_mov_b32 s0, s4
	v_add_lshl_u32 v28, v10, s15, 1
	s_movk_i32 s15, 0x80
	buffer_load_dwordx4 v[10:13], v27, s[0:3], 0 offen
	buffer_load_dwordx4 v[18:21], v27, s[0:3], s15 offen
	;; [unrolled: 1-line block ×4, first 2 shown]
.LBB714_45:
	v_lshrrev_b32_e32 v27, 2, v57
	s_cbranch_execnz .LBB714_58
.LBB714_46:
	s_and_b64 vcc, exec, s[6:7]
	s_cbranch_vccz .LBB714_56
; %bb.47:
	s_waitcnt vmcnt(0)
	v_lshlrev_b32_e32 v15, 1, v44
	v_cmp_gt_i32_e32 vcc, s46, v15
	v_mov_b32_e32 v14, 0
	v_lshlrev_b32_e32 v22, 9, v44
	v_mov_b32_e32 v10, 0
	v_mov_b32_e32 v11, 0
	;; [unrolled: 1-line block ×4, first 2 shown]
	s_and_saveexec_b64 s[0:1], vcc
	s_cbranch_execz .LBB714_49
; %bb.48:
	v_mov_b32_e32 v23, 0
	v_lshl_add_u64 v[10:11], s[4:5], 0, v[22:23]
	v_lshlrev_b32_e32 v12, 1, v26
	v_mov_b32_e32 v13, v23
	v_lshl_add_u64 v[10:11], v[10:11], 0, v[12:13]
	global_load_dwordx4 v[10:13], v[10:11], off
.LBB714_49:
	s_or_b64 exec, exec, s[0:1]
	v_or_b32_e32 v15, 1, v15
	v_cmp_gt_i32_e64 s[0:1], s46, v15
	v_lshlrev_b32_e32 v28, 8, v15
	v_mov_b32_e32 v15, 0
	v_mov_b32_e32 v16, 0
	;; [unrolled: 1-line block ×3, first 2 shown]
	s_and_saveexec_b64 s[2:3], s[0:1]
	s_cbranch_execz .LBB714_51
; %bb.50:
	v_mov_b32_e32 v29, 0
	v_lshl_add_u64 v[14:15], s[4:5], 0, v[28:29]
	v_lshlrev_b32_e32 v16, 1, v26
	v_mov_b32_e32 v17, v29
	v_lshl_add_u64 v[14:15], v[14:15], 0, v[16:17]
	global_load_dwordx4 v[14:17], v[14:15], off
.LBB714_51:
	s_or_b64 exec, exec, s[2:3]
	v_mov_b32_e32 v25, 0
	v_mov_b32_e32 v18, 0
	;; [unrolled: 1-line block ×5, first 2 shown]
	s_and_saveexec_b64 s[2:3], vcc
	s_cbranch_execz .LBB714_53
; %bb.52:
	v_mov_b32_e32 v23, 0
	v_lshl_add_u64 v[18:19], s[4:5], 0, v[22:23]
	v_lshlrev_b32_e32 v22, 1, v26
	v_lshl_add_u64 v[18:19], v[18:19], 0, v[22:23]
	global_load_dwordx4 v[18:21], v[18:19], off offset:128
.LBB714_53:
	s_or_b64 exec, exec, s[2:3]
	v_mov_b32_e32 v24, 0
	v_mov_b32_e32 v23, 0
	;; [unrolled: 1-line block ×3, first 2 shown]
	s_and_saveexec_b64 s[2:3], s[0:1]
	s_cbranch_execz .LBB714_55
; %bb.54:
	v_mov_b32_e32 v29, 0
	v_lshl_add_u64 v[22:23], s[4:5], 0, v[28:29]
	v_lshlrev_b32_e32 v28, 1, v26
	v_lshl_add_u64 v[22:23], v[22:23], 0, v[28:29]
	global_load_dwordx4 v[22:25], v[22:23], off offset:128
.LBB714_55:
	s_or_b64 exec, exec, s[2:3]
	s_branch .LBB714_58
.LBB714_56:
                                        ; implicit-def: $vgpr13
                                        ; implicit-def: $vgpr17
                                        ; implicit-def: $vgpr21
                                        ; implicit-def: $vgpr25
	s_cbranch_execz .LBB714_58
; %bb.57:
	s_waitcnt vmcnt(0)
	v_lshlrev_b32_e32 v10, 1, v26
	v_lshl_or_b32 v26, v44, 9, v10
	s_and_b32 s5, s5, 0xffff
	s_mov_b32 s7, 0x20000
	s_movk_i32 s6, 0x4000
	s_movk_i32 s0, 0x80
	buffer_load_dwordx4 v[10:13], v26, s[4:7], 0 offen
	buffer_load_dwordx4 v[14:17], v26, s[4:7], 0 offen offset:256
	buffer_load_dwordx4 v[18:21], v26, s[4:7], s0 offen
	buffer_load_dwordx4 v[22:25], v26, s[4:7], s0 offen offset:256
.LBB714_58:
	v_and_b32_e32 v47, 12, v27
	ds_read2st64_b64 v[30:33], v45 offset0:76 offset1:77
	ds_read2st64_b64 v[26:29], v45 offset0:78 offset1:79
	ds_read_b64 v[38:39], v34 offset:24576
	ds_read_b64 v[40:41], v35 offset:24576
	;; [unrolled: 1-line block ×4, first 2 shown]
	v_and_b32_e32 v46, 6, v0
	v_xor_b32_e32 v44, v44, v46
	v_lshlrev_b32_e32 v44, 2, v44
	v_and_b32_e32 v48, 1, v0
	v_xor_b32_e32 v49, 0x440, v44
	v_cmp_eq_u32_e32 vcc, 0, v48
	s_mov_b32 s0, 0x1000504
	s_waitcnt vmcnt(0)
	v_perm_b32 v48, v18, v22, s0
	v_cndmask_b32_e32 v44, v49, v44, vcc
	v_lshl_or_b32 v44, v46, 10, v44
	v_perm_b32 v46, v10, v14, s0
	ds_write2st64_b32 v44, v46, v48 offset1:32
	v_xor_b32_e32 v46, 8, v44
	s_mov_b32 s1, 0x3020706
	v_perm_b32 v10, v10, v14, s1
	v_perm_b32 v14, v18, v22, s1
	v_add_u32_e32 v18, 0x80, v46
	ds_write2st64_b32 v18, v10, v14 offset1:32
	v_xor_b32_e32 v10, 16, v44
	v_perm_b32 v14, v11, v15, s0
	v_perm_b32 v18, v19, v23, s0
	ds_write2st64_b32 v10, v14, v18 offset0:1 offset1:33
	v_xor_b32_e32 v10, 24, v44
	v_perm_b32 v11, v11, v15, s1
	v_perm_b32 v14, v19, v23, s1
	v_add_u32_e32 v10, 0x80, v10
	ds_write2st64_b32 v10, v11, v14 offset0:1 offset1:33
	v_xor_b32_e32 v10, 32, v44
	v_perm_b32 v11, v12, v16, s0
	v_perm_b32 v14, v20, v24, s0
	ds_write2st64_b32 v10, v11, v14 offset0:2 offset1:34
	v_xor_b32_e32 v10, 40, v44
	v_perm_b32 v11, v12, v16, s1
	v_perm_b32 v12, v20, v24, s1
	v_add_u32_e32 v10, 0x80, v10
	ds_write2st64_b32 v10, v11, v12 offset0:2 offset1:34
	v_xor_b32_e32 v10, 48, v44
	v_perm_b32 v11, v13, v17, s0
	v_perm_b32 v12, v21, v25, s0
	ds_write2st64_b32 v10, v11, v12 offset0:3 offset1:35
	v_xor_b32_e32 v10, 56, v44
	v_or_b32_e32 v16, v47, v53
	v_perm_b32 v11, v13, v17, s1
	v_perm_b32 v12, v21, v25, s1
	v_add_u32_e32 v10, 0x80, v10
	v_cmp_gt_i32_e32 vcc, s46, v16
	v_mov_b32_e32 v17, 0
	v_mov_b32_e32 v21, 0
	ds_write2st64_b32 v10, v11, v12 offset0:3 offset1:35
	s_and_saveexec_b64 s[0:1], vcc
	s_cbranch_execz .LBB714_60
; %bb.59:
	v_add_u32_e32 v10, s43, v16
	v_ashrrev_i32_e32 v11, 31, v10
	v_mul_lo_u32 v12, v11, s30
	v_mul_lo_u32 v13, v10, s31
	v_mad_u64_u32 v[10:11], s[2:3], v10, s30, 0
	v_add3_u32 v11, v11, v13, v12
	v_lshl_add_u64 v[10:11], v[10:11], 2, s[10:11]
	global_load_dword v10, v[10:11], off
	s_waitcnt vmcnt(0)
	v_sub_f32_e32 v10, s12, v10
	v_mul_f32_e32 v10, 0x3fb8aa3b, v10
	v_exp_f32_e32 v21, v10
.LBB714_60:
	s_or_b64 exec, exec, s[0:1]
	v_or_b32_e32 v19, 1, v16
	v_cmp_gt_i32_e64 s[0:1], s46, v19
	s_and_saveexec_b64 s[2:3], s[0:1]
	s_cbranch_execz .LBB714_62
; %bb.61:
	v_add_u32_e32 v10, s43, v19
	v_ashrrev_i32_e32 v11, 31, v10
	v_mul_lo_u32 v12, v11, s30
	v_mul_lo_u32 v13, v10, s31
	v_mad_u64_u32 v[10:11], s[4:5], v10, s30, 0
	v_add3_u32 v11, v11, v13, v12
	v_lshl_add_u64 v[10:11], v[10:11], 2, s[10:11]
	global_load_dword v10, v[10:11], off
	s_waitcnt vmcnt(0)
	v_sub_f32_e32 v10, s12, v10
	v_mul_f32_e32 v10, 0x3fb8aa3b, v10
	v_exp_f32_e32 v17, v10
.LBB714_62:
	s_or_b64 exec, exec, s[2:3]
	v_or_b32_e32 v20, 2, v16
	v_cmp_gt_i32_e64 s[2:3], s46, v20
	v_mov_b32_e32 v18, 0
	v_mov_b32_e32 v23, 0
	s_and_saveexec_b64 s[4:5], s[2:3]
	s_cbranch_execz .LBB714_64
; %bb.63:
	v_add_u32_e32 v10, s43, v20
	v_ashrrev_i32_e32 v11, 31, v10
	v_mul_lo_u32 v12, v11, s30
	v_mul_lo_u32 v13, v10, s31
	v_mad_u64_u32 v[10:11], s[6:7], v10, s30, 0
	v_add3_u32 v11, v11, v13, v12
	v_lshl_add_u64 v[10:11], v[10:11], 2, s[10:11]
	global_load_dword v10, v[10:11], off
	s_waitcnt vmcnt(0)
	v_sub_f32_e32 v10, s12, v10
	v_mul_f32_e32 v10, 0x3fb8aa3b, v10
	v_exp_f32_e32 v23, v10
.LBB714_64:
	s_or_b64 exec, exec, s[4:5]
	v_or_b32_e32 v22, 3, v16
	v_cmp_gt_i32_e64 s[4:5], s46, v22
	s_and_saveexec_b64 s[6:7], s[4:5]
	s_cbranch_execz .LBB714_66
; %bb.65:
	v_add_u32_e32 v10, s43, v22
	v_ashrrev_i32_e32 v11, 31, v10
	v_mul_lo_u32 v12, v11, s30
	v_mul_lo_u32 v13, v10, s31
	v_mad_u64_u32 v[10:11], s[20:21], v10, s30, 0
	v_add3_u32 v11, v11, v13, v12
	v_lshl_add_u64 v[10:11], v[10:11], 2, s[10:11]
	global_load_dword v10, v[10:11], off
	s_waitcnt vmcnt(0)
	v_sub_f32_e32 v10, s12, v10
	v_mul_f32_e32 v10, 0x3fb8aa3b, v10
	v_exp_f32_e32 v18, v10
.LBB714_66:
	s_or_b64 exec, exec, s[6:7]
	s_waitcnt lgkmcnt(11)
	v_mfma_f32_16x16x16_bf16 a[0:3], v[38:39], v[30:31], a[0:3]
	s_add_u32 s6, s8, s24
	v_ashrrev_i32_e32 v59, 31, v58
	s_addc_u32 s7, s9, s25
	s_waitcnt lgkmcnt(10)
	v_mfma_f32_16x16x16_bf16 a[0:3], v[40:41], v[32:33], a[0:3]
	v_mov_b32_e32 v24, 0
	v_lshl_add_u64 v[14:15], v[58:59], 1, s[6:7]
	v_mov_b32_e32 v25, 0
	s_waitcnt lgkmcnt(9)
	v_mfma_f32_16x16x16_bf16 a[0:3], v[36:37], v[26:27], a[0:3]
	s_waitcnt lgkmcnt(8)
	v_mfma_f32_16x16x16_bf16 a[0:3], v[34:35], v[28:29], a[0:3]
	s_nop 6
	v_accvgpr_read_b32 v13, a3
	v_accvgpr_read_b32 v12, a2
	;; [unrolled: 1-line block ×4, first 2 shown]
	s_and_saveexec_b64 s[6:7], vcc
	s_cbranch_execz .LBB714_68
; %bb.67:
	v_lshlrev_b32_e32 v26, 8, v16
	v_mov_b32_e32 v27, 0
	v_lshl_add_u64 v[26:27], v[14:15], 0, v[26:27]
	global_load_ushort v25, v[26:27], off
	s_waitcnt vmcnt(0)
	v_lshlrev_b32_e32 v25, 16, v25
	v_sub_f32_e32 v10, v25, v10
	v_mul_f32_e32 v10, v21, v10
	v_lshrrev_b32_e32 v25, 16, v10
.LBB714_68:
	s_or_b64 exec, exec, s[6:7]
	s_and_saveexec_b64 s[6:7], s[0:1]
	s_cbranch_execz .LBB714_70
; %bb.69:
	v_lshlrev_b32_e32 v26, 8, v19
	v_mov_b32_e32 v27, 0
	v_lshl_add_u64 v[26:27], v[14:15], 0, v[26:27]
	global_load_ushort v10, v[26:27], off
	s_waitcnt vmcnt(0)
	v_lshlrev_b32_e32 v10, 16, v10
	v_sub_f32_e32 v10, v10, v11
	v_mul_f32_e32 v10, v17, v10
	v_lshrrev_b32_e32 v24, 16, v10
.LBB714_70:
	s_or_b64 exec, exec, s[6:7]
	v_mov_b32_e32 v11, 0
	v_mov_b32_e32 v17, 0
	s_and_saveexec_b64 s[0:1], s[2:3]
	s_cbranch_execz .LBB714_72
; %bb.71:
	v_lshlrev_b32_e32 v20, 8, v20
	v_mov_b32_e32 v21, 0
	v_lshl_add_u64 v[20:21], v[14:15], 0, v[20:21]
	global_load_ushort v10, v[20:21], off
	s_waitcnt vmcnt(0)
	v_lshlrev_b32_e32 v10, 16, v10
	v_sub_f32_e32 v10, v10, v12
	v_mul_f32_e32 v10, v23, v10
	v_lshrrev_b32_e32 v17, 16, v10
.LBB714_72:
	s_or_b64 exec, exec, s[0:1]
	v_or_b32_e32 v10, 0x9800, v45
	s_and_saveexec_b64 s[0:1], s[4:5]
	s_cbranch_execz .LBB714_74
; %bb.73:
	v_lshlrev_b32_e32 v20, 8, v22
	v_mov_b32_e32 v21, 0
	v_lshl_add_u64 v[14:15], v[14:15], 0, v[20:21]
	global_load_ushort v11, v[14:15], off
	s_waitcnt vmcnt(0)
	v_lshlrev_b32_e32 v11, 16, v11
	v_sub_f32_e32 v11, v11, v13
	v_mul_f32_e32 v11, v18, v11
	v_lshrrev_b32_e32 v11, 16, v11
.LBB714_74:
	s_or_b64 exec, exec, s[0:1]
	s_mov_b32 s0, 0x5040100
	v_perm_b32 v13, v11, v17, s0
	v_lshlrev_b32_e32 v11, 1, v42
	v_perm_b32 v12, v24, v25, s0
	v_lshl_or_b32 v11, v16, 5, v11
	s_movk_i32 s2, 0xff
	ds_write_b64 v11, v[12:13] offset:38912
	v_and_b32_e32 v11, 7, v0
	v_cmp_lt_u32_e32 vcc, s2, v0
	v_and_b32_e32 v12, 8, v0
	v_lshlrev_b32_e32 v20, 3, v11
	v_lshlrev_b32_e32 v32, 7, v11
	v_cndmask_b32_e64 v11, 0, 1, vcc
	v_lshrrev_b32_e32 v0, 1, v0
	v_lshlrev_b32_e32 v22, 13, v11
	v_lshlrev_b32_e32 v11, 3, v1
	v_and_b32_e32 v0, 24, v0
	v_xor_b32_e32 v13, v11, v0
	v_or_b32_e32 v14, 0x440, v13
	v_cmp_eq_u32_e32 vcc, 0, v12
	s_add_i32 s0, s14, s49
	s_mul_hi_i32 s1, s0, s13
	v_cndmask_b32_e32 v12, v14, v13, vcc
	v_or_b32_e32 v12, v12, v43
	v_xor_b32_e32 v33, v12, v20
	v_or_b32_e32 v12, 32, v0
	v_xor_b32_e32 v12, v11, v12
	v_or_b32_e32 v13, 0x440, v12
	v_cndmask_b32_e32 v12, v13, v12, vcc
	v_or_b32_e32 v12, v12, v43
	v_xor_b32_e32 v34, v12, v20
	v_or_b32_e32 v12, 64, v0
	v_xor_b32_e32 v12, v11, v12
	v_xor_b32_e32 v13, 0x440, v12
	s_mul_i32 s0, s0, s13
	v_cndmask_b32_e32 v12, v13, v12, vcc
	v_or_b32_e32 v0, 0x60, v0
	s_add_u32 s0, s0, s33
	v_add3_u32 v23, v22, v33, v32
	v_or_b32_e32 v12, v12, v43
	v_xor_b32_e32 v0, v11, v0
	s_waitcnt lgkmcnt(0)
	s_barrier
	s_addc_u32 s1, s1, s48
	v_lshlrev_b32_e32 v21, 2, v16
	v_xor_b32_e32 v35, v12, v20
	ds_read2st64_b64 v[12:15], v10 offset1:1
	ds_read2st64_b64 v[16:19], v10 offset0:2 offset1:3
	ds_read_b64 v[10:11], v23
	v_xor_b32_e32 v23, 0x440, v0
	s_lshl_b64 s[0:1], s[0:1], 9
	v_cndmask_b32_e32 v0, v23, v0, vcc
	s_add_u32 s0, s16, s0
	v_or_b32_e32 v0, v0, v43
	s_addc_u32 s1, s17, s1
	v_add3_u32 v24, v22, v34, v32
	v_xor_b32_e32 v36, v0, v20
	v_add3_u32 v26, v22, v35, v32
	v_add3_u32 v0, v22, v36, v32
	ds_read_b64 v[24:25], v24
	ds_read_b64 v[28:29], v26
	;; [unrolled: 1-line block ×3, first 2 shown]
	global_load_dwordx4 v[20:23], v21, s[0:1]
	s_waitcnt lgkmcnt(3)
	v_mfma_f32_16x16x16_bf16 a[0:3], v[10:11], v[12:13], 0
	v_lshlrev_b32_e32 v0, 6, v1
	v_lshlrev_b32_e32 v1, 2, v47
	s_movk_i32 s2, 0x100
	v_or3_b32 v0, v0, v1, s2
	s_waitcnt lgkmcnt(2)
	v_mfma_f32_16x16x16_bf16 a[0:3], v[24:25], v[14:15], a[0:3]
	global_load_dwordx4 v[24:27], v0, s[0:1]
	v_mov_b32_e32 v0, 0x3fb8aa3b
	v_mul_f32_e32 v0, s12, v0
	s_waitcnt lgkmcnt(1)
	v_mfma_f32_16x16x16_bf16 a[0:3], v[28:29], v[16:17], a[0:3]
	v_exp_f32_e32 v0, v0
	v_add_u32_e32 v1, v33, v32
	v_add_u32_e32 v33, v34, v32
	s_waitcnt lgkmcnt(0)
	v_mfma_f32_16x16x16_bf16 a[0:3], v[30:31], v[18:19], a[0:3]
	ds_read_b64 v[30:31], v1 offset:8192
	s_waitcnt vmcnt(1)
	v_mul_f32_e32 v20, 0x3fb8aa3b, v20
	v_mul_f32_e32 v21, 0x3fb8aa3b, v21
	v_exp_f32_e32 v20, v20
	v_exp_f32_e32 v21, v21
	s_nop 0
	v_accvgpr_read_b32 v29, a1
	v_accvgpr_read_b32 v28, a0
	v_mul_f32_e32 v22, 0x3fb8aa3b, v22
	v_pk_mul_f32 v[20:21], v[0:1], v[20:21] op_sel_hi:[0,1]
	v_pk_fma_f32 v[6:7], v[6:7], v[20:21], v[28:29]
	ds_read_b64 v[20:21], v33 offset:8192
	v_mul_f32_e32 v23, 0x3fb8aa3b, v23
	v_exp_f32_e32 v22, v22
	v_exp_f32_e32 v23, v23
	v_accvgpr_read_b32 v11, a3
	v_accvgpr_read_b32 v10, a2
	s_waitcnt lgkmcnt(1)
	v_mfma_f32_16x16x16_bf16 a[0:3], v[30:31], v[12:13], 0
	v_pk_mul_f32 v[22:23], v[0:1], v[22:23] op_sel_hi:[0,1]
	v_add_u32_e32 v1, v35, v32
	v_pk_fma_f32 v[8:9], v[8:9], v[22:23], v[10:11]
	v_add_u32_e32 v10, v36, v32
	ds_read_b64 v[22:23], v1 offset:8192
	ds_read_b64 v[28:29], v10 offset:8192
	s_waitcnt lgkmcnt(2)
	v_mfma_f32_16x16x16_bf16 a[0:3], v[20:21], v[14:15], a[0:3]
	s_waitcnt vmcnt(0)
	v_mov_b32_e32 v10, v25
	v_mul_f32_e32 v1, 0x3fb8aa3b, v24
	v_mov_b32_e32 v11, v26
	s_waitcnt lgkmcnt(1)
	v_mfma_f32_16x16x16_bf16 a[0:3], v[22:23], v[16:17], a[0:3]
	v_exp_f32_e32 v24, v1
	v_mul_f32_e32 v1, 0x3fb8aa3b, v10
	v_mov_b32_e32 v12, v27
	v_exp_f32_e32 v25, v1
	v_mul_f32_e32 v1, 0x3fb8aa3b, v11
	v_exp_f32_e32 v10, v1
	v_mul_f32_e32 v1, 0x3fb8aa3b, v12
	s_waitcnt lgkmcnt(0)
	v_mfma_f32_16x16x16_bf16 a[0:3], v[28:29], v[18:19], a[0:3]
	v_exp_f32_e32 v11, v1
	v_pk_mul_f32 v[14:15], v[0:1], v[24:25] op_sel_hi:[0,1]
	v_pk_mul_f32 v[0:1], v[0:1], v[10:11] op_sel_hi:[0,1]
	s_nop 3
	v_accvgpr_read_b32 v17, a1
	v_accvgpr_read_b32 v13, a3
	;; [unrolled: 1-line block ×4, first 2 shown]
	v_pk_fma_f32 v[2:3], v[2:3], v[14:15], v[16:17]
	v_pk_fma_f32 v[4:5], v[4:5], v[0:1], v[12:13]
.LBB714_75:
	s_add_u32 s0, s18, s28
	s_addc_u32 s1, s19, s29
	v_lshl_add_u64 v[0:1], v[54:55], 2, s[0:1]
	v_mov_b32_e32 v57, 0
	v_lshl_add_u64 v[0:1], v[0:1], 0, v[56:57]
	s_waitcnt vmcnt(1)
	global_store_dwordx4 v[0:1], v[6:9], off
	s_waitcnt vmcnt(1)
	global_store_dwordx4 v[0:1], v[2:5], off offset:256
	s_endpgm
	.section	.rodata,"a",@progbits
	.p2align	6, 0x0
	.amdhsa_kernel _ZN12_GLOBAL__N_139chunk_gated_delta_rule_fwd_h_hip_kernelILi16ELb1ELb1ELb0ELb0ELb0ELb1ELb1ELb0EEEvPK12hip_bfloat16S3_S3_PKfS5_PKvPS1_S8_PvPKiSB_iiiiilll
		.amdhsa_group_segment_fixed_size 40960
		.amdhsa_private_segment_fixed_size 0
		.amdhsa_kernarg_size 136
		.amdhsa_user_sgpr_count 2
		.amdhsa_user_sgpr_dispatch_ptr 0
		.amdhsa_user_sgpr_queue_ptr 0
		.amdhsa_user_sgpr_kernarg_segment_ptr 1
		.amdhsa_user_sgpr_dispatch_id 0
		.amdhsa_user_sgpr_kernarg_preload_length 0
		.amdhsa_user_sgpr_kernarg_preload_offset 0
		.amdhsa_user_sgpr_private_segment_size 0
		.amdhsa_uses_dynamic_stack 0
		.amdhsa_enable_private_segment 0
		.amdhsa_system_sgpr_workgroup_id_x 1
		.amdhsa_system_sgpr_workgroup_id_y 1
		.amdhsa_system_sgpr_workgroup_id_z 0
		.amdhsa_system_sgpr_workgroup_info 0
		.amdhsa_system_vgpr_workitem_id 0
		.amdhsa_next_free_vgpr 128
		.amdhsa_next_free_sgpr 71
		.amdhsa_accum_offset 116
		.amdhsa_reserve_vcc 1
		.amdhsa_float_round_mode_32 0
		.amdhsa_float_round_mode_16_64 0
		.amdhsa_float_denorm_mode_32 3
		.amdhsa_float_denorm_mode_16_64 3
		.amdhsa_dx10_clamp 1
		.amdhsa_ieee_mode 1
		.amdhsa_fp16_overflow 0
		.amdhsa_tg_split 0
		.amdhsa_exception_fp_ieee_invalid_op 0
		.amdhsa_exception_fp_denorm_src 0
		.amdhsa_exception_fp_ieee_div_zero 0
		.amdhsa_exception_fp_ieee_overflow 0
		.amdhsa_exception_fp_ieee_underflow 0
		.amdhsa_exception_fp_ieee_inexact 0
		.amdhsa_exception_int_div_zero 0
	.end_amdhsa_kernel
	.section	.text._ZN12_GLOBAL__N_139chunk_gated_delta_rule_fwd_h_hip_kernelILi16ELb1ELb1ELb0ELb0ELb0ELb1ELb1ELb0EEEvPK12hip_bfloat16S3_S3_PKfS5_PKvPS1_S8_PvPKiSB_iiiiilll,"axG",@progbits,_ZN12_GLOBAL__N_139chunk_gated_delta_rule_fwd_h_hip_kernelILi16ELb1ELb1ELb0ELb0ELb0ELb1ELb1ELb0EEEvPK12hip_bfloat16S3_S3_PKfS5_PKvPS1_S8_PvPKiSB_iiiiilll,comdat
.Lfunc_end714:
	.size	_ZN12_GLOBAL__N_139chunk_gated_delta_rule_fwd_h_hip_kernelILi16ELb1ELb1ELb0ELb0ELb0ELb1ELb1ELb0EEEvPK12hip_bfloat16S3_S3_PKfS5_PKvPS1_S8_PvPKiSB_iiiiilll, .Lfunc_end714-_ZN12_GLOBAL__N_139chunk_gated_delta_rule_fwd_h_hip_kernelILi16ELb1ELb1ELb0ELb0ELb0ELb1ELb1ELb0EEEvPK12hip_bfloat16S3_S3_PKfS5_PKvPS1_S8_PvPKiSB_iiiiilll
                                        ; -- End function
	.section	.AMDGPU.csdata,"",@progbits
; Kernel info:
; codeLenInByte = 8208
; NumSgprs: 77
; NumVgprs: 116
; NumAgprs: 12
; TotalNumVgprs: 128
; ScratchSize: 0
; MemoryBound: 0
; FloatMode: 240
; IeeeMode: 1
; LDSByteSize: 40960 bytes/workgroup (compile time only)
; SGPRBlocks: 9
; VGPRBlocks: 15
; NumSGPRsForWavesPerEU: 77
; NumVGPRsForWavesPerEU: 128
; AccumOffset: 116
; Occupancy: 1
; WaveLimiterHint : 1
; COMPUTE_PGM_RSRC2:SCRATCH_EN: 0
; COMPUTE_PGM_RSRC2:USER_SGPR: 2
; COMPUTE_PGM_RSRC2:TRAP_HANDLER: 0
; COMPUTE_PGM_RSRC2:TGID_X_EN: 1
; COMPUTE_PGM_RSRC2:TGID_Y_EN: 1
; COMPUTE_PGM_RSRC2:TGID_Z_EN: 0
; COMPUTE_PGM_RSRC2:TIDIG_COMP_CNT: 0
; COMPUTE_PGM_RSRC3_GFX90A:ACCUM_OFFSET: 28
; COMPUTE_PGM_RSRC3_GFX90A:TG_SPLIT: 0
	.section	.text._ZN12_GLOBAL__N_139chunk_gated_delta_rule_fwd_h_hip_kernelILi16ELb1ELb0ELb1ELb0ELb0ELb1ELb1ELb0EEEvPK12hip_bfloat16S3_S3_PKfS5_PKvPS1_S8_PvPKiSB_iiiiilll,"axG",@progbits,_ZN12_GLOBAL__N_139chunk_gated_delta_rule_fwd_h_hip_kernelILi16ELb1ELb0ELb1ELb0ELb0ELb1ELb1ELb0EEEvPK12hip_bfloat16S3_S3_PKfS5_PKvPS1_S8_PvPKiSB_iiiiilll,comdat
	.globl	_ZN12_GLOBAL__N_139chunk_gated_delta_rule_fwd_h_hip_kernelILi16ELb1ELb0ELb1ELb0ELb0ELb1ELb1ELb0EEEvPK12hip_bfloat16S3_S3_PKfS5_PKvPS1_S8_PvPKiSB_iiiiilll ; -- Begin function _ZN12_GLOBAL__N_139chunk_gated_delta_rule_fwd_h_hip_kernelILi16ELb1ELb0ELb1ELb0ELb0ELb1ELb1ELb0EEEvPK12hip_bfloat16S3_S3_PKfS5_PKvPS1_S8_PvPKiSB_iiiiilll
	.p2align	8
	.type	_ZN12_GLOBAL__N_139chunk_gated_delta_rule_fwd_h_hip_kernelILi16ELb1ELb0ELb1ELb0ELb0ELb1ELb1ELb0EEEvPK12hip_bfloat16S3_S3_PKfS5_PKvPS1_S8_PvPKiSB_iiiiilll,@function
_ZN12_GLOBAL__N_139chunk_gated_delta_rule_fwd_h_hip_kernelILi16ELb1ELb0ELb1ELb0ELb0ELb1ELb1ELb0EEEvPK12hip_bfloat16S3_S3_PKfS5_PKvPS1_S8_PvPKiSB_iiiiilll: ; @_ZN12_GLOBAL__N_139chunk_gated_delta_rule_fwd_h_hip_kernelILi16ELb1ELb0ELb1ELb0ELb0ELb1ELb1ELb0EEEvPK12hip_bfloat16S3_S3_PKfS5_PKvPS1_S8_PvPKiSB_iiiiilll
; %bb.0:
	s_load_dwordx4 s[12:15], s[0:1], 0x5c
	s_load_dwordx4 s[20:23], s[0:1], 0x70
	s_abs_i32 s6, s3
	s_ashr_i32 s5, s3, 31
	s_load_dwordx4 s[16:19], s[0:1], 0x28
	s_load_dwordx2 s[28:29], s[0:1], 0x38
	s_waitcnt lgkmcnt(0)
	s_abs_i32 s4, s13
	v_cvt_f32_u32_e32 v1, s4
	s_sub_i32 s8, 0, s4
	s_ashr_i32 s7, s13, 31
	s_xor_b32 s5, s5, s7
	v_rcp_iflag_f32_e32 v1, v1
	v_and_b32_e32 v64, 15, v0
	v_lshrrev_b32_e32 v62, 6, v0
	v_bfe_u32 v63, v0, 4, 2
	v_mul_f32_e32 v1, 0x4f7ffffe, v1
	v_cvt_u32_f32_e32 v1, v1
	v_mov_b32_e32 v5, 0
	v_and_b32_e32 v53, 63, v0
	v_lshrrev_b32_e32 v66, 3, v53
	v_readfirstlane_b32 s9, v1
	s_mul_i32 s8, s8, s9
	s_mul_hi_u32 s8, s9, s8
	s_add_i32 s9, s9, s8
	s_mul_hi_u32 s8, s6, s9
	s_mul_i32 s9, s8, s4
	s_sub_i32 s6, s6, s9
	s_add_i32 s10, s8, 1
	s_sub_i32 s9, s6, s4
	s_cmp_ge_u32 s6, s4
	s_cselect_b32 s8, s10, s8
	s_cselect_b32 s6, s9, s6
	s_add_i32 s9, s8, 1
	s_cmp_ge_u32 s6, s4
	s_cselect_b32 s6, s9, s8
	s_xor_b32 s6, s6, s5
	s_add_i32 s8, s12, 63
	s_sub_i32 s52, s6, s5
	s_ashr_i32 s9, s8, 31
	s_mul_i32 s5, s52, s13
	s_sub_i32 s50, s3, s5
	s_lshr_b32 s3, s9, 26
	s_add_i32 s8, s8, s3
	s_abs_i32 s3, s14
	v_cvt_f32_u32_e32 v1, s3
	s_ashr_i32 s51, s12, 31
	s_lshr_b32 s6, s51, 26
	s_add_i32 s6, s12, s6
	v_rcp_iflag_f32_e32 v1, v1
	s_ashr_i32 s55, s14, 31
	s_ashr_i32 s53, s6, 6
	s_lshl_b32 s38, s2, 4
	v_mul_f32_e32 v1, 0x4f7ffffe, v1
	v_cvt_u32_f32_e32 v1, v1
	s_xor_b32 s2, s7, s55
	s_sub_i32 s6, 0, s3
	s_ashr_i32 s25, s8, 6
	v_readfirstlane_b32 s7, v1
	s_mul_i32 s6, s6, s7
	s_mul_hi_u32 s6, s7, s6
	s_add_i32 s7, s7, s6
	s_mul_hi_u32 s6, s4, s7
	s_mul_i32 s7, s6, s3
	s_sub_i32 s4, s4, s7
	s_add_i32 s7, s6, 1
	s_sub_i32 s8, s4, s3
	s_cmp_ge_u32 s4, s3
	s_cselect_b32 s6, s7, s6
	s_cselect_b32 s4, s8, s4
	s_add_i32 s7, s6, 1
	s_cmp_ge_u32 s4, s3
	s_cselect_b32 s3, s7, s6
	s_xor_b32 s3, s3, s2
	s_sub_i32 s2, s3, s2
	s_abs_i32 s3, s2
	v_cvt_f32_u32_e32 v1, s3
	s_sub_i32 s6, 0, s3
	s_abs_i32 s4, s50
	s_xor_b32 s2, s50, s2
	v_rcp_iflag_f32_e32 v1, v1
	s_ashr_i32 s2, s2, 31
	v_or_b32_e32 v54, s38, v64
	v_lshlrev_b32_e32 v2, 7, v54
	v_mul_f32_e32 v1, 0x4f7ffffe, v1
	v_cvt_u32_f32_e32 v1, v1
	v_ashrrev_i32_e32 v3, 31, v2
	s_mul_i32 s57, s52, s25
	v_lshlrev_b32_e32 v65, 3, v0
	v_readfirstlane_b32 s7, v1
	s_mul_i32 s6, s6, s7
	s_mul_hi_u32 s6, s7, s6
	s_add_i32 s7, s7, s6
	s_mul_hi_u32 s6, s4, s7
	s_mul_i32 s7, s6, s3
	s_sub_i32 s4, s4, s7
	s_add_i32 s7, s6, 1
	s_sub_i32 s8, s4, s3
	s_cmp_ge_u32 s4, s3
	s_cselect_b32 s6, s7, s6
	s_cselect_b32 s4, s8, s4
	s_add_i32 s7, s6, 1
	s_cmp_ge_u32 s4, s3
	s_cselect_b32 s3, s7, s6
	s_xor_b32 s3, s3, s2
	s_sub_i32 s56, s3, s2
	s_ashr_i32 s24, s52, 31
	s_ashr_i32 s54, s50, 31
	s_mul_hi_i32 s2, s52, s13
	s_add_u32 s40, s5, s50
	s_addc_u32 s41, s2, s54
	s_lshl_b64 s[2:3], s[40:41], 16
	v_lshlrev_b32_e32 v1, 4, v62
	s_add_u32 s2, s16, s2
	v_lshl_or_b32 v67, v63, 2, v1
	s_addc_u32 s3, s17, s3
	v_lshl_add_u64 v[2:3], v[2:3], 2, s[2:3]
	v_lshlrev_b32_e32 v4, 2, v67
	v_lshl_add_u64 v[10:11], v[2:3], 0, v[4:5]
	global_load_dwordx4 v[6:9], v[10:11], off
	global_load_dwordx4 v[2:5], v[10:11], off offset:256
	s_load_dwordx8 s[4:11], s[0:1], 0x0
	s_load_dwordx2 s[30:31], s[0:1], 0x80
	v_or_b32_e32 v68, 64, v67
	s_cmp_lt_i32 s12, 64
	s_mul_i32 s58, s41, s12
	s_mul_hi_u32 s59, s40, s12
	s_mul_i32 s16, s40, s12
	s_mul_i32 s33, s52, s21
	s_mul_hi_u32 s46, s52, s20
	s_mul_i32 s47, s24, s20
	s_mul_i32 s36, s52, s20
	s_mul_i32 s41, s50, s23
	s_mul_hi_u32 s48, s50, s22
	s_mul_i32 s49, s54, s22
	s_mul_i32 s34, s50, s22
	s_cbranch_scc1 .LBB715_18
; %bb.1:
	s_add_i32 s17, s59, s58
	s_lshl_b64 s[2:3], s[16:17], 8
	v_and_b32_e32 v70, 56, v65
	s_waitcnt lgkmcnt(0)
	s_add_u32 s20, s6, s2
	v_lshl_or_b32 v69, v62, 3, v66
	v_lshlrev_b32_e32 v10, 1, v70
	s_addc_u32 s2, s7, s3
	v_lshl_or_b32 v71, v69, 8, v10
	s_and_b32 s21, s2, 0xffff
	s_mov_b32 s23, 0x20000
	s_movk_i32 s22, 0x4000
	s_movk_i32 s2, 0x80
	v_or_b32_e32 v72, 0x2000, v71
	buffer_load_dwordx4 v[12:15], v71, s[20:23], 0 offen
	buffer_load_dwordx4 v[16:19], v71, s[20:23], s2 offen
	;; [unrolled: 1-line block ×4, first 2 shown]
	v_lshlrev_b32_e32 v11, 3, v69
	v_and_or_b32 v29, v0, 7, v11
	v_and_b32_e32 v11, 0x78, v11
	v_lshlrev_b32_e32 v29, 4, v29
	v_xor_b32_e32 v73, v29, v11
	v_mul_lo_u32 v28, v69, s15
	v_or_b32_e32 v74, 0x1000, v73
	v_xor_b32_e32 v11, 8, v73
	s_cmpk_eq_i32 s15, 0x80
	s_mov_b32 s60, s14
	v_xor_b32_e32 v29, 8, v74
	s_cselect_b64 s[2:3], -1, 0
	s_cmpk_lg_i32 s15, 0x80
	s_waitcnt vmcnt(3)
	ds_write_b64 v73, v[12:13] offset:16384
	ds_write_b64 v11, v[14:15] offset:16384
	s_waitcnt vmcnt(2)
	ds_write_b64 v73, v[16:17] offset:24576
	ds_write_b64 v11, v[18:19] offset:24576
	;; [unrolled: 3-line block ×4, first 2 shown]
	v_lshl_add_u32 v11, v28, 1, v70
	s_cbranch_scc0 .LBB715_3
; %bb.2:
	v_lshlrev_b32_e32 v13, 1, v11
	v_add_lshl_u32 v12, v11, s15, 1
	s_lshl_b32 s22, s15, 7
	s_load_dwordx2 s[42:43], s[0:1], 0x20
	v_lshl_or_b32 v10, v69, 9, v10
	s_cbranch_execz .LBB715_4
	s_branch .LBB715_5
.LBB715_3:
                                        ; implicit-def: $vgpr12
                                        ; implicit-def: $vgpr13
                                        ; implicit-def: $sgpr22
	s_load_dwordx2 s[42:43], s[0:1], 0x20
	v_lshl_or_b32 v10, v69, 9, v10
.LBB715_4:
	v_or_b32_e32 v12, 0x100, v10
	s_movk_i32 s22, 0x4000
	v_mov_b32_e32 v13, v10
.LBB715_5:
	s_mul_hi_u32 s0, s14, s12
	s_mul_i32 s1, s55, s12
	s_add_i32 s0, s0, s1
	s_mul_i32 s1, s14, s12
	s_mul_i32 s20, s1, s24
	s_mul_hi_u32 s21, s1, s52
	s_add_i32 s20, s21, s20
	s_mul_i32 s0, s0, s52
	s_add_i32 s20, s20, s0
	s_mul_i32 s1, s1, s52
	s_ashr_i32 s61, s56, 31
	s_add_u32 s0, s1, s56
	s_addc_u32 s1, s20, s61
	s_lshl_b64 s[0:1], s[0:1], 8
	s_add_u32 s20, s4, s0
	s_addc_u32 s0, s5, s1
	s_and_b32 s21, s0, 0xffff
	s_movk_i32 s62, 0x80
	buffer_load_dwordx4 v[14:17], v13, s[20:23], 0 offen
	buffer_load_dwordx4 v[18:21], v13, s[20:23], s62 offen
	;; [unrolled: 1-line block ×4, first 2 shown]
	v_and_b32_e32 v12, 6, v0
	v_lshlrev_b32_e32 v30, 2, v64
	v_lshlrev_b32_e32 v31, 3, v64
	v_xor_b32_e32 v33, v69, v12
	v_and_b32_e32 v13, 1, v0
	s_mul_i32 s24, s24, s12
	s_mul_hi_u32 s0, s52, s12
	v_lshl_or_b32 v31, v67, 5, v31
	v_xor_b32_e32 v34, v67, v30
	v_lshlrev_b32_e32 v33, 2, v33
	v_or_b32_e32 v75, 0x9000, v31
	v_or_b32_e32 v76, 0x9800, v31
	v_lshlrev_b32_e32 v31, 1, v34
	v_xor_b32_e32 v34, 0x440, v33
	v_cmp_eq_u32_e32 vcc, 0, v13
	s_add_i32 s67, s0, s24
	s_add_i32 s0, s46, s33
	v_cndmask_b32_e32 v13, v34, v33, vcc
	s_add_i32 s1, s48, s41
	s_add_i32 s37, s0, s47
	s_mov_b32 s65, 0x1000504
	v_lshlrev_b32_e32 v32, 8, v64
	s_mov_b32 s20, 0x8000
	v_xor_b32_e32 v30, v68, v30
	v_lshl_or_b32 v12, v12, 10, v13
	s_add_i32 s35, s1, s49
	s_lshl_b64 s[0:1], s[36:37], 2
	s_mov_b32 s66, 0x3020706
	v_lshlrev_b32_e32 v30, 1, v30
	v_or3_b32 v77, v31, v32, s20
	v_xor_b32_e32 v13, 8, v12
	v_xor_b32_e32 v31, 24, v12
	;; [unrolled: 1-line block ×4, first 2 shown]
	s_add_u32 s21, s10, s0
	v_or3_b32 v78, v30, v32, s20
	v_xor_b32_e32 v30, 16, v12
	v_xor_b32_e32 v32, 32, v12
	;; [unrolled: 1-line block ×3, first 2 shown]
	v_add_u32_e32 v13, 0x80, v13
	v_add_u32_e32 v31, 0x80, v31
	;; [unrolled: 1-line block ×4, first 2 shown]
	s_addc_u32 s22, s11, s1
	s_lshl_b64 s[0:1], s[34:35], 2
	s_add_u32 s44, s21, s0
	s_movk_i32 s0, 0xf8
	s_addc_u32 s45, s22, s1
	s_ashr_i32 s39, s38, 31
	v_ashrrev_i32_e32 v55, 31, v54
	s_lshl_b32 s26, s15, 7
	s_mul_i32 s63, s52, s12
	s_mov_b32 s64, 0
	s_mov_b32 s37, 0x7060302
	s_movk_i32 s22, 0x4000
	v_mov_b32_e32 v98, 0x3fb8aa3b
	s_mov_b32 s68, 0
	s_waitcnt vmcnt(1)
	v_perm_b32 v36, v14, v22, s65
	s_waitcnt vmcnt(0)
	v_perm_b32 v37, v18, v26, s65
	v_perm_b32 v14, v14, v22, s66
	;; [unrolled: 1-line block ×15, first 2 shown]
	ds_write2st64_b32 v12, v36, v37 offset1:32
	ds_write2st64_b32 v13, v14, v18 offset1:32
	ds_write2st64_b32 v30, v22, v26 offset0:1 offset1:33
	ds_write2st64_b32 v31, v15, v19 offset0:1 offset1:33
	ds_write2st64_b32 v32, v23, v27 offset0:2 offset1:34
	ds_write2st64_b32 v33, v16, v20 offset0:2 offset1:34
	ds_write2st64_b32 v34, v24, v28 offset0:3 offset1:35
	ds_write2st64_b32 v35, v17, v21 offset0:3 offset1:35
	v_or_b32_e32 v12, v1, v64
	v_lshlrev_b32_e32 v12, 3, v12
	v_lshrrev_b32_e32 v14, 5, v53
	v_and_or_b32 v14, v12, s0, v14
	v_lshlrev_b32_e32 v14, 4, v14
	v_lshrrev_b32_e32 v13, 2, v53
	v_lshlrev_b32_e32 v21, 11, v62
	v_and_b32_e32 v12, 0x78, v12
	v_or_b32_e32 v17, 32, v14
	v_and_b32_e32 v20, 12, v13
	v_and_b32_e32 v13, 0x1000, v21
	v_lshrrev_b32_e32 v16, 1, v53
	v_xor_b32_e32 v17, v17, v12
	v_and_b32_e32 v16, 8, v16
	v_or_b32_e32 v17, v17, v13
	v_xor_b32_e32 v15, v14, v12
	v_xor_b32_e32 v81, v17, v16
	v_or_b32_e32 v17, 64, v14
	v_or_b32_e32 v14, 0x60, v14
	v_xor_b32_e32 v17, v17, v12
	v_xor_b32_e32 v12, v14, v12
	v_or_b32_e32 v15, v15, v13
	v_or_b32_e32 v17, v17, v13
	v_or_b32_e32 v12, v12, v13
	v_xor_b32_e32 v79, v15, v16
	v_xor_b32_e32 v82, v17, v16
	;; [unrolled: 1-line block ×3, first 2 shown]
	v_lshrrev_b32_e32 v16, 4, v0
	v_lshlrev_b32_e32 v17, 1, v64
	v_or_b32_e32 v18, 1, v17
	v_xor_b32_e32 v17, v16, v17
	s_lshl_b64 s[0:1], s[38:39], 8
	v_xor_b32_e32 v18, v18, v16
	v_lshlrev_b32_e32 v17, 3, v17
	v_lshlrev_b32_e32 v16, 8, v16
	v_lshlrev_b64 v[12:13], 1, v[54:55]
	s_add_u32 s0, s18, s0
	v_or3_b32 v55, v17, v16, s20
	v_lshlrev_b32_e32 v17, 3, v18
	s_addc_u32 s1, s19, s1
	v_or3_b32 v85, v17, v16, s20
	v_mov_b32_e32 v17, 0
	v_lshrrev_b32_e32 v27, 1, v0
	v_lshl_add_u64 v[18:19], s[0:1], 0, v[16:17]
	v_lshlrev_b32_e32 v16, 4, v64
	s_movk_i32 s0, 0xff
	v_lshlrev_b32_e32 v26, 3, v62
	v_and_b32_e32 v27, 24, v27
	v_lshl_add_u64 v[56:57], v[18:19], 0, v[16:17]
	v_and_b32_e32 v16, 7, v0
	v_and_b32_e32 v19, 8, v0
	v_cmp_lt_u32_e32 vcc, s0, v0
	v_xor_b32_e32 v28, v26, v27
	v_lshlrev_b32_e32 v24, 3, v16
	v_lshlrev_b32_e32 v25, 7, v16
	v_cndmask_b32_e64 v16, 0, 1, vcc
	v_or_b32_e32 v29, 0x440, v28
	v_cmp_eq_u32_e32 vcc, 0, v19
	v_or_b32_e32 v31, 64, v27
	v_xor_b32_e32 v31, v26, v31
	v_cndmask_b32_e32 v19, v29, v28, vcc
	v_or_b32_e32 v29, 32, v27
	v_or_b32_e32 v27, 0x60, v27
	v_xor_b32_e32 v29, v26, v29
	v_xor_b32_e32 v26, v26, v27
	v_or_b32_e32 v30, 0x440, v29
	v_xor_b32_e32 v32, 0x440, v31
	v_xor_b32_e32 v27, 0x440, v26
	v_cndmask_b32_e32 v29, v30, v29, vcc
	v_cndmask_b32_e32 v31, v32, v31, vcc
	;; [unrolled: 1-line block ×3, first 2 shown]
	v_and_b32_e32 v15, 0x78, v65
	v_or_b32_e32 v19, v19, v21
	v_or_b32_e32 v29, v29, v21
	;; [unrolled: 1-line block ×4, first 2 shown]
	v_lshl_or_b32 v15, v63, 7, v15
	v_lshlrev_b32_e32 v16, 13, v16
	v_xor_b32_e32 v19, v19, v24
	v_xor_b32_e32 v29, v29, v24
	;; [unrolled: 1-line block ×4, first 2 shown]
	v_or_b32_e32 v80, 0x9000, v15
	v_or_b32_e32 v84, 0x9800, v15
	v_lshl_add_u64 v[14:15], s[8:9], 0, v[12:13]
	v_lshl_add_u64 v[12:13], s[28:29], 0, v[12:13]
	v_lshlrev_b32_e32 v22, 1, v11
	v_add_lshl_u32 v11, v11, s15, 1
	v_or_b32_e32 v23, 0x100, v10
	v_or_b32_e32 v18, v20, v1
	v_add_u32_e32 v28, v16, v19
	v_add_u32_e32 v30, v16, v29
	;; [unrolled: 1-line block ×4, first 2 shown]
	v_or3_b32 v20, v1, v20, 64
	v_add_u32_e32 v19, 0x2000, v19
	v_add_u32_e32 v26, 0x2000, v29
	;; [unrolled: 1-line block ×4, first 2 shown]
	v_lshlrev_b32_e32 v16, 8, v67
	v_cndmask_b32_e64 v86, v22, v10, s[2:3]
	v_cndmask_b32_e64 v87, v11, v23, s[2:3]
	v_lshl_add_u64 v[58:59], v[14:15], 0, v[16:17]
	v_lshl_add_u64 v[60:61], v[12:13], 0, v[16:17]
	s_add_i32 s35, s63, 63
	v_lshlrev_b32_e32 v88, 2, v18
	v_add_u32_e32 v89, v28, v25
	v_add_u32_e32 v90, v30, v25
	;; [unrolled: 1-line block ×4, first 2 shown]
	v_lshlrev_b32_e32 v93, 2, v20
	v_add_u32_e32 v94, v19, v25
	v_add_u32_e32 v95, v26, v25
	;; [unrolled: 1-line block ×4, first 2 shown]
	s_waitcnt lgkmcnt(0)
	s_barrier
.LBB715_6:                              ; =>This Inner Loop Header: Depth=1
	s_add_i32 s39, s68, 1
	s_cmp_lt_i32 s39, s53
	s_mov_b64 s[24:25], 0
	s_cselect_b64 s[2:3], -1, 0
	s_cmp_ge_i32 s39, s53
	s_mov_b64 s[20:21], 0
	s_cbranch_scc1 .LBB715_8
; %bb.7:                                ;   in Loop: Header=BB715_6 Depth=1
	s_add_i32 s0, s64, 64
	s_add_u32 s0, s16, s0
	s_addc_u32 s1, s17, 0
	s_lshl_b64 s[0:1], s[0:1], 8
	s_add_u32 s20, s6, s0
	s_addc_u32 s21, s7, s1
.LBB715_8:                              ;   in Loop: Header=BB715_6 Depth=1
	v_cndmask_b32_e64 v10, 0, 1, s[2:3]
	v_cmp_ne_u32_e64 s[0:1], 1, v10
	s_andn2_b64 vcc, exec, s[2:3]
	s_cbranch_vccnz .LBB715_10
; %bb.9:                                ;   in Loop: Header=BB715_6 Depth=1
	s_add_i32 s2, s64, 64
	s_add_u32 s2, s63, s2
	s_addc_u32 s3, s67, 0
	s_mul_i32 s24, s2, s55
	s_mul_hi_u32 s25, s2, s60
	s_add_i32 s24, s25, s24
	s_mul_i32 s3, s3, s60
	s_add_i32 s24, s24, s3
	s_mul_i32 s2, s2, s60
	s_add_u32 s2, s2, s56
	s_addc_u32 s3, s24, s61
	s_lshl_b64 s[2:3], s[2:3], 8
	s_add_u32 s24, s4, s2
	s_addc_u32 s25, s5, s3
.LBB715_10:                             ;   in Loop: Header=BB715_6 Depth=1
	v_perm_b32 v11, v9, v8, s37
	v_perm_b32 v10, v7, v6, s37
	;; [unrolled: 1-line block ×4, first 2 shown]
	ds_write_b64 v75, v[10:11]
	ds_write_b64 v76, v[12:13]
	;; [unrolled: 1-line block ×4, first 2 shown]
	s_waitcnt lgkmcnt(0)
	s_barrier
	ds_read_b64 v[18:19], v79 offset:16384
	ds_read_b64 v[20:21], v81 offset:16384
	ds_read2st64_b64 v[10:13], v80 offset1:1
	ds_read2st64_b64 v[14:17], v80 offset0:2 offset1:3
	ds_read_b64 v[22:23], v82 offset:16384
	s_waitcnt lgkmcnt(2)
	v_mfma_f32_16x16x16_bf16 a[0:3], v[18:19], v[10:11], 0
	ds_read_b64 v[10:11], v83 offset:16384
	s_add_i32 s2, s64, 63
	s_mul_i32 s3, s2, s31
	v_mfma_f32_16x16x16_bf16 a[0:3], v[20:21], v[12:13], a[0:3]
	s_mul_hi_u32 s27, s2, s30
	s_add_i32 s3, s27, s3
	s_mul_i32 s2, s2, s30
	s_waitcnt lgkmcnt(1)
	v_mfma_f32_16x16x16_bf16 a[0:3], v[22:23], v[14:15], a[0:3]
	s_lshl_b64 s[2:3], s[2:3], 2
	s_add_u32 s2, s44, s2
	s_addc_u32 s3, s45, s3
	s_waitcnt lgkmcnt(0)
	v_mfma_f32_16x16x16_bf16 a[0:3], v[10:11], v[16:17], a[0:3]
	s_and_b64 vcc, exec, s[0:1]
	v_mov_b32_e32 v101, 0
	v_mov_b32_e32 v100, 0
	;; [unrolled: 1-line block ×19, first 2 shown]
	s_cbranch_vccnz .LBB715_12
; %bb.11:                               ;   in Loop: Header=BB715_6 Depth=1
	s_and_b32 s21, s21, 0xffff
	buffer_load_dwordx4 v[22:25], v71, s[20:23], 0 offen
	buffer_load_dwordx4 v[18:21], v71, s[20:23], s62 offen
	;; [unrolled: 1-line block ×4, first 2 shown]
	v_mov_b32_e32 v100, v73
	v_mov_b32_e32 v99, v74
.LBB715_12:                             ;   in Loop: Header=BB715_6 Depth=1
	v_add_u32_e32 v32, s64, v67
	v_ashrrev_i32_e32 v26, 31, v32
	v_mul_lo_u32 v28, v26, s30
	v_mul_lo_u32 v29, v32, s31
	v_mad_u64_u32 v[26:27], s[20:21], v32, s30, 0
	v_add3_u32 v27, v27, v29, v28
	v_add_u32_e32 v28, 1, v32
	v_ashrrev_i32_e32 v29, 31, v28
	v_mul_lo_u32 v30, v29, s30
	v_mul_lo_u32 v31, v28, s31
	v_mad_u64_u32 v[28:29], s[20:21], v28, s30, 0
	v_add3_u32 v29, v29, v31, v30
	v_add_u32_e32 v30, 2, v32
	v_ashrrev_i32_e32 v31, 31, v30
	v_mul_lo_u32 v33, v31, s30
	v_mul_lo_u32 v34, v30, s31
	v_mad_u64_u32 v[30:31], s[20:21], v30, s30, 0
	s_add_u32 s20, s16, s64
	v_add3_u32 v31, v31, v34, v33
	v_add_u32_e32 v34, 3, v32
	s_addc_u32 s21, s17, 0
	v_ashrrev_i32_e32 v32, 31, v34
	s_lshl_b64 s[20:21], s[20:21], 8
	v_lshl_add_u64 v[26:27], v[26:27], 2, s[44:45]
	v_mul_lo_u32 v35, v32, s30
	v_lshl_add_u64 v[32:33], v[58:59], 0, s[20:21]
	v_mul_lo_u32 v36, v34, s31
	global_load_ushort v42, v[32:33], off
	global_load_ushort v43, v[32:33], off offset:256
	global_load_ushort v44, v[32:33], off offset:512
	;; [unrolled: 1-line block ×3, first 2 shown]
	global_load_dword v46, v[26:27], off
	v_mad_u64_u32 v[26:27], s[70:71], v34, s30, 0
	v_lshl_add_u64 v[28:29], v[28:29], 2, s[44:45]
	v_add3_u32 v27, v27, v36, v35
	v_lshl_add_u64 v[30:31], v[30:31], 2, s[44:45]
	v_lshl_add_u64 v[26:27], v[26:27], 2, s[44:45]
	global_load_dword v47, v[28:29], off
	global_load_dword v48, v[30:31], off
	;; [unrolled: 1-line block ×3, first 2 shown]
	ds_read_b64 v[26:27], v79 offset:24576
	s_load_dword s2, s[2:3], 0x0
	ds_read_b64 v[36:37], v81 offset:24576
	ds_read2st64_b64 v[28:31], v84 offset1:1
	ds_read2st64_b64 v[32:35], v84 offset0:2 offset1:3
	ds_read_b64 v[38:39], v82 offset:24576
	ds_read_b64 v[40:41], v83 offset:24576
	s_waitcnt lgkmcnt(0)
	v_mfma_f32_16x16x16_bf16 a[0:3], v[26:27], v[28:29], a[0:3]
	v_mov_b32_e32 v102, 0
	v_mov_b32_e32 v26, 0
	;; [unrolled: 1-line block ×3, first 2 shown]
	v_mfma_f32_16x16x16_bf16 a[0:3], v[36:37], v[30:31], a[0:3]
	v_lshl_add_u64 v[36:37], v[60:61], 0, s[20:21]
	v_mov_b32_e32 v28, 0
	v_mov_b32_e32 v29, 0
	v_mfma_f32_16x16x16_bf16 a[0:3], v[38:39], v[32:33], a[0:3]
	v_mov_b32_e32 v30, 0
	v_mov_b32_e32 v31, 0
	;; [unrolled: 1-line block ×3, first 2 shown]
	v_mfma_f32_16x16x16_bf16 a[0:3], v[40:41], v[34:35], a[0:3]
	s_and_b64 vcc, exec, s[0:1]
	s_waitcnt vmcnt(7)
	v_lshlrev_b32_e32 v40, 16, v42
	s_nop 3
	v_accvgpr_read_b32 v39, a1
	v_accvgpr_read_b32 v35, a3
	v_accvgpr_read_b32 v34, a2
	v_accvgpr_read_b32 v38, a0
	s_waitcnt vmcnt(6)
	v_lshlrev_b32_e32 v41, 16, v43
	s_waitcnt vmcnt(4)
	v_lshlrev_b32_e32 v43, 16, v45
	v_lshlrev_b32_e32 v42, 16, v44
	s_waitcnt vmcnt(3)
	v_sub_f32_e32 v33, s2, v46
	v_pk_add_f32 v[38:39], v[40:41], v[38:39] neg_lo:[0,1] neg_hi:[0,1]
	v_pk_add_f32 v[34:35], v[42:43], v[34:35] neg_lo:[0,1] neg_hi:[0,1]
	v_mul_f32_e32 v33, 0x3fb8aa3b, v33
	s_waitcnt vmcnt(2)
	v_sub_f32_e32 v41, s2, v47
	s_waitcnt vmcnt(1)
	v_sub_f32_e32 v42, s2, v48
	;; [unrolled: 2-line block ×3, first 2 shown]
	v_exp_f32_e32 v40, v33
	v_mul_f32_e32 v33, 0x3fb8aa3b, v41
	v_mul_f32_e32 v42, 0x3fb8aa3b, v42
	;; [unrolled: 1-line block ×3, first 2 shown]
	v_exp_f32_e32 v41, v33
	v_exp_f32_e32 v42, v42
	v_exp_f32_e32 v43, v43
	global_store_short_d16_hi v[36:37], v38, off
	global_store_short_d16_hi v[36:37], v39, off offset:256
	global_store_short_d16_hi v[36:37], v34, off offset:512
	;; [unrolled: 1-line block ×3, first 2 shown]
	v_pk_mul_f32 v[36:37], v[40:41], v[38:39]
	v_pk_mul_f32 v[34:35], v[42:43], v[34:35]
	v_mov_b32_e32 v33, 0
	v_perm_b32 v35, v35, v34, s37
	v_perm_b32 v34, v37, v36, s37
	ds_write_b64 v76, v[34:35]
	v_mov_b32_e32 v34, 0
	v_mov_b32_e32 v35, 0
	;; [unrolled: 1-line block ×8, first 2 shown]
	s_cbranch_vccnz .LBB715_14
; %bb.13:                               ;   in Loop: Header=BB715_6 Depth=1
	s_and_b32 s25, s25, 0xffff
	s_mov_b32 s27, s23
	buffer_load_dwordx4 v[38:41], v86, s[24:27], 0 offen
	buffer_load_dwordx4 v[30:33], v86, s[24:27], s62 offen
	;; [unrolled: 1-line block ×4, first 2 shown]
	v_mov_b32_e32 v101, v70
	v_mov_b32_e32 v102, v69
.LBB715_14:                             ;   in Loop: Header=BB715_6 Depth=1
	s_waitcnt lgkmcnt(0)
	s_barrier
	ds_read_b64 v[42:43], v89
	ds_read_b64 v[48:49], v90
	ds_read2st64_b64 v[44:47], v84 offset1:1
	ds_read2st64_b64 v[104:107], v84 offset0:2 offset1:3
	ds_read_b64 v[50:51], v91
	ds_read_b64 v[112:113], v92
	s_add_i32 s3, s57, s68
	s_mul_hi_i32 s21, s3, s13
	s_mul_i32 s3, s3, s13
	s_waitcnt lgkmcnt(3)
	v_mfma_f32_16x16x16_bf16 a[0:3], v[42:43], v[44:45], 0
	ds_read_b64 v[42:43], v94
	s_add_u32 s20, s3, s50
	s_addc_u32 s21, s21, s54
	s_add_i32 s3, s35, s64
	v_mfma_f32_16x16x16_bf16 a[0:3], v[48:49], v[46:47], a[0:3]
	ds_read_b64 v[48:49], v95
	s_lshl_b64 s[20:21], s[20:21], 15
	s_mul_hi_i32 s25, s3, s13
	s_mul_i32 s3, s3, s13
	s_add_u32 s24, s3, s50
	s_addc_u32 s25, s25, s54
	s_lshl_b64 s[24:25], s[24:25], 9
	s_add_u32 s24, s42, s24
	s_waitcnt lgkmcnt(1)
	v_mfma_f32_16x16x16_bf16 a[4:7], v[42:43], v[44:45], 0
	s_addc_u32 s25, s43, s25
	s_and_b64 vcc, exec, s[0:1]
	v_mfma_f32_16x16x16_bf16 a[0:3], v[50:51], v[104:105], a[0:3]
	ds_read_b64 v[50:51], v96
	ds_read_b64 v[114:115], v97
	global_load_dwordx4 v[42:45], v93, s[24:25]
	s_waitcnt lgkmcnt(2)
	v_mfma_f32_16x16x16_bf16 a[4:7], v[48:49], v[46:47], a[4:7]
	global_load_dwordx4 v[46:49], v88, s[24:25]
	ds_read_b64 v[108:109], v55
	ds_read_b64 v[110:111], v85
	s_waitcnt lgkmcnt(3)
	v_mfma_f32_16x16x16_bf16 a[8:11], v[50:51], v[104:105], a[4:7]
	v_lshl_add_u64 v[50:51], v[56:57], 0, s[20:21]
	s_waitcnt lgkmcnt(0)
	global_store_dwordx4 v[50:51], v[108:111], off
	v_mfma_f32_16x16x16_bf16 a[4:7], v[112:113], v[106:107], a[0:3]
	s_waitcnt vmcnt(2)
	v_mov_b32_e32 v52, v45
	v_mfma_f32_16x16x16_bf16 a[0:3], v[114:115], v[106:107], a[8:11]
	v_mov_b32_e32 v51, v44
	v_mov_b32_e32 v50, v43
	s_cbranch_vccnz .LBB715_16
; %bb.15:                               ;   in Loop: Header=BB715_6 Depth=1
	v_lshrrev_b32_e32 v43, 3, v101
	v_and_b32_e32 v43, 6, v43
	v_xor_b32_e32 v44, v43, v102
	v_lshlrev_b32_e32 v44, 2, v44
	v_and_b32_e32 v45, 8, v101
	v_xor_b32_e32 v101, 0x440, v44
	v_cmp_eq_u32_e32 vcc, 0, v45
	v_perm_b32 v45, v30, v26, s65
	s_nop 0
	v_cndmask_b32_e32 v44, v101, v44, vcc
	v_lshl_or_b32 v43, v43, 10, v44
	v_perm_b32 v44, v38, v34, s65
	s_barrier
	ds_write2st64_b32 v43, v44, v45 offset1:32
	v_xor_b32_e32 v44, 8, v43
	v_perm_b32 v34, v38, v34, s66
	v_perm_b32 v26, v30, v26, s66
	v_add_u32_e32 v30, 0x80, v44
	ds_write2st64_b32 v30, v34, v26 offset1:32
	v_xor_b32_e32 v26, 16, v43
	v_perm_b32 v30, v39, v35, s65
	v_perm_b32 v34, v31, v27, s65
	ds_write2st64_b32 v26, v30, v34 offset0:1 offset1:33
	v_xor_b32_e32 v26, 24, v43
	v_perm_b32 v30, v39, v35, s66
	v_perm_b32 v27, v31, v27, s66
	v_add_u32_e32 v26, 0x80, v26
	ds_write2st64_b32 v26, v30, v27 offset0:1 offset1:33
	v_xor_b32_e32 v26, 32, v43
	v_perm_b32 v27, v40, v36, s65
	v_perm_b32 v30, v32, v28, s65
	ds_write2st64_b32 v26, v27, v30 offset0:2 offset1:34
	v_xor_b32_e32 v26, 40, v43
	v_perm_b32 v27, v40, v36, s66
	v_perm_b32 v28, v32, v28, s66
	v_add_u32_e32 v26, 0x80, v26
	ds_write2st64_b32 v26, v27, v28 offset0:2 offset1:34
	;; [unrolled: 9-line block ×3, first 2 shown]
	ds_write_b64 v100, v[22:23] offset:16384
	v_xor_b32_e32 v22, 8, v100
	ds_write_b64 v22, v[24:25] offset:16384
	ds_write_b64 v100, v[18:19] offset:24576
	;; [unrolled: 1-line block ×4, first 2 shown]
	v_xor_b32_e32 v14, 8, v99
	ds_write_b64 v14, v[16:17] offset:16384
	ds_write_b64 v99, v[10:11] offset:24576
	;; [unrolled: 1-line block ×3, first 2 shown]
.LBB715_16:                             ;   in Loop: Header=BB715_6 Depth=1
	v_mul_f32_e32 v14, s2, v98
	v_exp_f32_e32 v18, v14
	s_waitcnt vmcnt(1)
	v_mul_f32_e32 v14, 0x3fb8aa3b, v46
	v_exp_f32_e32 v20, v14
	v_mul_f32_e32 v14, 0x3fb8aa3b, v47
	v_exp_f32_e32 v21, v14
	;; [unrolled: 2-line block ×4, first 2 shown]
	v_accvgpr_read_b32 v13, a7
	v_accvgpr_read_b32 v11, a5
	;; [unrolled: 1-line block ×3, first 2 shown]
	v_pk_mul_f32 v[20:21], v[18:19], v[20:21] op_sel_hi:[0,1]
	v_pk_fma_f32 v[6:7], v[6:7], v[20:21], v[10:11]
	v_pk_mul_f32 v[10:11], v[18:19], v[22:23] op_sel_hi:[0,1]
	v_mul_f32_e32 v19, 0x3fb8aa3b, v42
	v_exp_f32_e32 v20, v19
	v_mul_f32_e32 v19, 0x3fb8aa3b, v50
	v_exp_f32_e32 v21, v19
	;; [unrolled: 2-line block ×4, first 2 shown]
	v_accvgpr_read_b32 v12, a6
	v_accvgpr_read_b32 v17, a3
	;; [unrolled: 1-line block ×4, first 2 shown]
	v_pk_fma_f32 v[8:9], v[8:9], v[10:11], v[12:13]
	v_pk_mul_f32 v[10:11], v[18:19], v[20:21] op_sel_hi:[0,1]
	v_accvgpr_read_b32 v16, a2
	v_pk_fma_f32 v[2:3], v[2:3], v[10:11], v[14:15]
	v_pk_mul_f32 v[10:11], v[18:19], v[22:23] op_sel_hi:[0,1]
	s_add_i32 s64, s64, 64
	s_cmp_eq_u32 s53, s39
	v_pk_fma_f32 v[4:5], v[4:5], v[10:11], v[16:17]
	s_cbranch_scc1 .LBB715_18
; %bb.17:                               ;   in Loop: Header=BB715_6 Depth=1
	s_mov_b32 s68, s39
	s_branch .LBB715_6
.LBB715_18:
	s_lshl_b32 s26, s53, 6
	s_sub_i32 s27, s12, s26
	s_cmp_gt_i32 s27, 0
	s_cbranch_scc0 .LBB715_75
; %bb.19:
	s_ashr_i32 s2, s26, 31
	s_cmpk_lg_i32 s15, 0x80
	s_cselect_b64 s[22:23], -1, 0
	s_and_b64 vcc, exec, s[22:23]
	s_cbranch_vccz .LBB715_21
; %bb.20:
	s_mul_i32 s1, s52, s12
	s_mul_hi_i32 s0, s52, s12
	s_add_u32 s1, s1, s26
	s_addc_u32 s0, s0, s2
	s_mul_i32 s3, s1, s55
	s_mul_hi_u32 s17, s1, s14
	s_add_i32 s3, s17, s3
	s_mul_i32 s0, s0, s14
	s_add_i32 s3, s3, s0
	s_mul_i32 s1, s1, s14
	s_ashr_i32 s0, s56, 31
	s_add_u32 s24, s1, s56
	s_addc_u32 s25, s3, s0
	s_cbranch_execz .LBB715_22
	s_branch .LBB715_23
.LBB715_21:
                                        ; implicit-def: $sgpr24_sgpr25
.LBB715_22:
	s_mul_hi_i32 s0, s52, s14
	s_mul_i32 s52, s52, s14
	s_ashr_i32 s1, s56, 31
	s_add_u32 s3, s52, s56
	s_addc_u32 s0, s0, s1
	s_mul_i32 s1, s3, s51
	s_mul_hi_u32 s14, s3, s12
	s_add_i32 s1, s14, s1
	s_mul_i32 s0, s0, s12
	s_add_i32 s1, s1, s0
	s_mul_i32 s3, s3, s12
	s_add_u32 s24, s3, s26
	s_addc_u32 s25, s1, s2
.LBB715_23:
	s_mul_i32 s0, s40, s51
	s_add_i32 s0, s59, s0
	s_add_i32 s3, s57, s53
	;; [unrolled: 1-line block ×3, first 2 shown]
	s_add_u32 s0, s16, s26
	s_addc_u32 s1, s1, s2
	s_mov_b32 s2, 0x7060302
	s_waitcnt vmcnt(0)
	v_perm_b32 v5, v5, v4, s2
	v_perm_b32 v4, v3, v2, s2
	v_lshlrev_b32_e32 v2, 3, v64
	s_lshl_b64 s[20:21], s[0:1], 8
	v_perm_b32 v9, v9, v8, s2
	v_perm_b32 v8, v7, v6, s2
	v_lshlrev_b32_e32 v34, 2, v64
	v_lshl_or_b32 v2, v67, 5, v2
	s_waitcnt lgkmcnt(0)
	s_add_u32 s0, s6, s20
	ds_write2st64_b64 v2, v[8:9], v[4:5] offset0:72 offset1:76
	v_xor_b32_e32 v2, v67, v34
	v_lshlrev_b32_e32 v3, 8, v64
	s_addc_u32 s1, s7, s21
	v_lshl_or_b32 v2, v2, 1, v3
	s_mul_hi_i32 s6, s3, s13
	s_mul_i32 s3, s3, s13
	ds_write_b64 v2, v[8:9] offset:32768
	v_xor_b32_e32 v2, v68, v34
	s_add_u32 s2, s3, s50
	v_lshl_or_b32 v2, v2, 1, v3
	s_addc_u32 s3, s6, s54
	v_lshlrev_b32_e32 v3, 1, v64
	ds_write_b64 v2, v[4:5] offset:32768
	v_lshrrev_b32_e32 v2, 4, v0
	s_ashr_i32 s39, s38, 31
	s_lshl_b64 s[2:3], s[2:3], 15
	v_or_b32_e32 v4, 1, v3
	s_add_u32 s6, s18, s2
	v_xor_b32_e32 v3, v2, v3
	v_xor_b32_e32 v4, v4, v2
	v_lshlrev_b32_e32 v6, 8, v2
	s_addc_u32 s7, s19, s3
	s_lshl_b64 s[2:3], s[38:39], 8
	v_lshl_or_b32 v2, v3, 3, v6
	v_lshl_or_b32 v4, v4, 3, v6
	s_waitcnt lgkmcnt(0)
	s_barrier
	s_add_u32 s2, s6, s2
	ds_read_b64 v[2:3], v2 offset:32768
	ds_read_b64 v[4:5], v4 offset:32768
	s_addc_u32 s3, s7, s3
	v_mov_b32_e32 v7, 0
	s_cmp_lg_u32 s27, 64
	v_lshl_add_u64 v[8:9], s[2:3], 0, v[6:7]
	v_lshlrev_b32_e32 v6, 4, v64
	s_cselect_b64 s[6:7], -1, 0
	v_lshl_or_b32 v35, v62, 3, v66
	s_mov_b32 s16, 0
	v_lshl_add_u64 v[6:7], v[8:9], 0, v[6:7]
	v_or_b32_e32 v19, 32, v35
	v_and_b32_e32 v18, 56, v65
	s_and_b64 vcc, exec, s[6:7]
	s_waitcnt lgkmcnt(0)
	global_store_dwordx4 v[6:7], v[2:5], off
	s_cbranch_vccz .LBB715_29
; %bb.24:
	s_mov_b32 s17, s16
	s_mov_b32 s18, s16
	;; [unrolled: 1-line block ×3, first 2 shown]
	v_mov_b64_e32 v[6:7], s[16:17]
	v_mov_b64_e32 v[8:9], s[18:19]
	;; [unrolled: 1-line block ×3, first 2 shown]
	v_cmp_gt_i32_e32 vcc, s27, v35
	v_mov_b64_e32 v[4:5], v[8:9]
	s_and_saveexec_b64 s[2:3], vcc
	s_cbranch_execz .LBB715_26
; %bb.25:
	v_lshlrev_b32_e32 v2, 8, v35
	v_mov_b32_e32 v3, 0
	v_lshl_add_u64 v[4:5], s[0:1], 0, v[2:3]
	v_lshlrev_b32_e32 v2, 1, v18
	v_lshl_add_u64 v[10:11], v[4:5], 0, v[2:3]
	global_load_dwordx4 v[6:9], v[10:11], off
	global_load_dwordx4 v[2:5], v[10:11], off offset:128
.LBB715_26:
	s_or_b64 exec, exec, s[2:3]
	s_mov_b32 s17, s16
	s_mov_b32 s18, s16
	;; [unrolled: 1-line block ×3, first 2 shown]
	v_mov_b64_e32 v[14:15], s[16:17]
	v_mov_b64_e32 v[16:17], s[18:19]
	;; [unrolled: 1-line block ×3, first 2 shown]
	v_cmp_gt_i32_e32 vcc, s27, v19
	v_lshlrev_b32_e32 v20, 7, v19
	v_mov_b64_e32 v[12:13], v[16:17]
	s_and_saveexec_b64 s[2:3], vcc
	s_cbranch_execz .LBB715_28
; %bb.27:
	v_lshlrev_b32_e32 v10, 1, v20
	v_mov_b32_e32 v11, 0
	v_lshl_add_u64 v[12:13], s[0:1], 0, v[10:11]
	v_lshlrev_b32_e32 v10, 1, v18
	v_lshl_add_u64 v[22:23], v[12:13], 0, v[10:11]
	global_load_dwordx4 v[14:17], v[22:23], off
	global_load_dwordx4 v[10:13], v[22:23], off offset:128
.LBB715_28:
	s_or_b64 exec, exec, s[2:3]
	v_lshrrev_b32_e32 v21, 3, v18
	v_lshlrev_b32_e32 v22, 3, v35
	v_or_b32_e32 v21, v22, v21
	v_lshlrev_b32_e32 v21, 4, v21
	v_and_b32_e32 v22, 0x78, v22
	v_xor_b32_e32 v21, v21, v22
	s_branch .LBB715_31
.LBB715_29:
                                        ; implicit-def: $vgpr21
                                        ; implicit-def: $vgpr20
                                        ; implicit-def: $vgpr6_vgpr7_vgpr8_vgpr9
                                        ; implicit-def: $vgpr2_vgpr3_vgpr4_vgpr5
                                        ; implicit-def: $vgpr14_vgpr15_vgpr16_vgpr17
                                        ; implicit-def: $vgpr10_vgpr11_vgpr12_vgpr13
	s_cbranch_execz .LBB715_31
; %bb.30:
	s_waitcnt vmcnt(0)
	v_lshlrev_b32_e32 v2, 1, v18
	v_lshl_or_b32 v20, v35, 8, v2
	s_and_b32 s1, s1, 0xffff
	s_mov_b32 s3, 0x20000
	s_movk_i32 s2, 0x4000
	v_lshl_or_b32 v21, v19, 8, v2
	s_movk_i32 s13, 0x80
	buffer_load_dwordx4 v[6:9], v20, s[0:3], 0 offen
	buffer_load_dwordx4 v[2:5], v20, s[0:3], s13 offen
	;; [unrolled: 1-line block ×4, first 2 shown]
	v_lshrrev_b32_e32 v20, 3, v18
	v_lshlrev_b32_e32 v21, 3, v35
	v_or_b32_e32 v20, v21, v20
	v_lshlrev_b32_e32 v20, 4, v20
	v_and_b32_e32 v21, 0x78, v21
	v_xor_b32_e32 v21, v20, v21
	v_lshlrev_b32_e32 v20, 7, v19
.LBB715_31:
	s_lshl_b64 s[0:1], s[24:25], 8
	s_add_u32 s4, s4, s0
	s_movk_i32 s0, 0x1000
	v_and_or_b32 v19, v20, s0, v21
	s_waitcnt vmcnt(1)
	ds_write_b64 v21, v[6:7] offset:16384
	v_xor_b32_e32 v6, 8, v21
	ds_write_b64 v6, v[8:9] offset:16384
	s_waitcnt vmcnt(0)
	ds_write_b64 v21, v[2:3] offset:24576
	ds_write_b64 v6, v[4:5] offset:24576
	;; [unrolled: 1-line block ×3, first 2 shown]
	v_xor_b32_e32 v2, 8, v19
	ds_write_b64 v2, v[16:17] offset:16384
	ds_write_b64 v19, v[10:11] offset:24576
	;; [unrolled: 1-line block ×3, first 2 shown]
	v_or_b32_e32 v2, v1, v64
	s_addc_u32 s5, s5, s1
	s_add_i32 s0, s12, -1
	v_lshlrev_b32_e32 v2, 3, v2
	v_lshrrev_b32_e32 v4, 5, v53
	s_movk_i32 s12, 0xf8
	v_and_or_b32 v4, v2, s12, v4
	v_lshlrev_b32_e32 v3, 11, v62
	v_lshlrev_b32_e32 v12, 4, v4
	v_and_b32_e32 v13, 0x78, v2
	v_and_b32_e32 v14, 0x1000, v3
	v_lshlrev_b32_e32 v3, 2, v0
	v_xor_b32_e32 v2, v12, v13
	v_lshrrev_b32_e32 v4, 1, v53
	v_and_b32_e32 v3, 60, v3
	v_or_b32_e32 v2, v2, v14
	v_and_b32_e32 v15, 8, v4
	v_xor_b32_e32 v26, v2, v15
	v_lshl_or_b32 v2, v63, 6, v3
	v_lshlrev_b32_e32 v19, 1, v2
	v_or_b32_e32 v2, 32, v12
	v_xor_b32_e32 v2, v2, v13
	s_waitcnt lgkmcnt(0)
	s_barrier
	ds_read_b64 v[10:11], v26 offset:16384
	v_or_b32_e32 v2, v2, v14
	v_xor_b32_e32 v27, v2, v15
	v_or_b32_e32 v2, 64, v12
	v_xor_b32_e32 v2, v2, v13
	v_or_b32_e32 v2, v2, v14
	v_or_b32_e32 v12, 0x60, v12
	v_xor_b32_e32 v28, v2, v15
	ds_read2st64_b64 v[2:5], v19 offset0:72 offset1:73
	ds_read2st64_b64 v[6:9], v19 offset0:74 offset1:75
	v_xor_b32_e32 v16, v12, v13
	ds_read_b64 v[12:13], v27 offset:16384
	s_add_i32 s1, s46, s33
	s_waitcnt lgkmcnt(2)
	v_mfma_f32_16x16x16_bf16 a[0:3], v[10:11], v[2:3], 0
	s_add_i32 s37, s1, s47
	s_add_i32 s1, s48, s41
	s_add_i32 s35, s1, s49
	s_ashr_i32 s1, s0, 31
	s_mul_i32 s2, s0, s31
	s_mul_hi_u32 s3, s0, s30
	s_add_i32 s2, s3, s2
	s_mul_i32 s1, s1, s30
	v_or_b32_e32 v14, v16, v14
	s_add_i32 s1, s2, s1
	s_lshl_b64 s[2:3], s[36:37], 2
	v_xor_b32_e32 v36, v14, v15
	ds_read_b64 v[14:15], v28 offset:16384
	ds_read_b64 v[16:17], v36 offset:16384
	s_waitcnt lgkmcnt(2)
	v_mfma_f32_16x16x16_bf16 a[0:3], v[12:13], v[4:5], a[0:3]
	s_add_u32 s10, s10, s2
	s_addc_u32 s11, s11, s3
	s_lshl_b64 s[2:3], s[34:35], 2
	s_mul_i32 s0, s0, s30
	s_add_u32 s10, s10, s2
	s_addc_u32 s11, s11, s3
	s_lshl_b64 s[0:1], s[0:1], 2
	s_waitcnt lgkmcnt(1)
	v_mfma_f32_16x16x16_bf16 a[0:3], v[14:15], v[6:7], a[0:3]
	s_add_u32 s0, s10, s0
	s_addc_u32 s1, s11, s1
	s_load_dword s12, s[0:1], 0x0
	s_waitcnt lgkmcnt(0)
	v_mfma_f32_16x16x16_bf16 a[0:3], v[16:17], v[8:9], a[0:3]
	s_and_b64 vcc, exec, s[22:23]
	s_cbranch_vccz .LBB715_42
; %bb.32:
	v_lshlrev_b32_e32 v20, 1, v35
	s_and_b64 vcc, exec, s[6:7]
	s_cbranch_vccz .LBB715_43
; %bb.33:
	v_cmp_gt_i32_e32 vcc, s27, v20
	v_mov_b32_e32 v6, 0
	v_mov_b32_e32 v2, 0
	;; [unrolled: 1-line block ×5, first 2 shown]
	s_and_saveexec_b64 s[0:1], vcc
	s_cbranch_execz .LBB715_35
; %bb.34:
	v_mad_i64_i32 v[2:3], s[2:3], s15, v20, 0
	v_lshl_add_u64 v[2:3], v[2:3], 1, s[4:5]
	v_lshlrev_b32_e32 v4, 1, v18
	v_mov_b32_e32 v5, 0
	v_lshl_add_u64 v[2:3], v[2:3], 0, v[4:5]
	global_load_dwordx4 v[2:5], v[2:3], off
.LBB715_35:
	s_or_b64 exec, exec, s[0:1]
	v_or_b32_e32 v21, 1, v20
	v_cmp_gt_i32_e64 s[0:1], s27, v21
	v_mov_b32_e32 v7, 0
	v_mov_b32_e32 v8, 0
	;; [unrolled: 1-line block ×3, first 2 shown]
	s_and_saveexec_b64 s[2:3], s[0:1]
	s_cbranch_execz .LBB715_37
; %bb.36:
	v_mad_i64_i32 v[6:7], s[16:17], s15, v21, 0
	v_lshl_add_u64 v[6:7], v[6:7], 1, s[4:5]
	v_lshlrev_b32_e32 v8, 1, v18
	v_mov_b32_e32 v9, 0
	v_lshl_add_u64 v[6:7], v[6:7], 0, v[8:9]
	global_load_dwordx4 v[6:9], v[6:7], off
.LBB715_37:
	s_or_b64 exec, exec, s[2:3]
	v_mov_b32_e32 v17, 0
	v_mov_b32_e32 v10, 0
	;; [unrolled: 1-line block ×5, first 2 shown]
	s_and_saveexec_b64 s[2:3], vcc
	s_cbranch_execz .LBB715_39
; %bb.38:
	v_mad_i64_i32 v[10:11], s[16:17], s15, v20, 0
	v_lshl_add_u64 v[10:11], v[10:11], 1, s[4:5]
	v_lshlrev_b32_e32 v12, 1, v18
	v_mov_b32_e32 v13, 0
	v_lshl_add_u64 v[10:11], v[10:11], 0, v[12:13]
	global_load_dwordx4 v[10:13], v[10:11], off offset:128
.LBB715_39:
	s_or_b64 exec, exec, s[2:3]
	v_mov_b32_e32 v16, 0
	v_mov_b32_e32 v15, 0
	;; [unrolled: 1-line block ×3, first 2 shown]
	s_and_saveexec_b64 s[2:3], s[0:1]
	s_cbranch_execz .LBB715_41
; %bb.40:
	v_mad_i64_i32 v[14:15], s[0:1], s15, v21, 0
	v_lshl_add_u64 v[14:15], v[14:15], 1, s[4:5]
	v_lshlrev_b32_e32 v16, 1, v18
	v_mov_b32_e32 v17, 0
	v_lshl_add_u64 v[14:15], v[14:15], 0, v[16:17]
	global_load_dwordx4 v[14:17], v[14:15], off offset:128
.LBB715_41:
	s_or_b64 exec, exec, s[2:3]
	s_branch .LBB715_45
.LBB715_42:
                                        ; implicit-def: $vgpr5
                                        ; implicit-def: $vgpr9
                                        ; implicit-def: $vgpr13
                                        ; implicit-def: $vgpr17
	v_lshrrev_b32_e32 v37, 2, v53
	s_branch .LBB715_46
.LBB715_43:
                                        ; implicit-def: $vgpr5
                                        ; implicit-def: $vgpr9
                                        ; implicit-def: $vgpr13
                                        ; implicit-def: $vgpr17
	s_cbranch_execz .LBB715_45
; %bb.44:
	s_waitcnt vmcnt(0)
	v_mad_u64_u32 v[2:3], s[0:1], v20, s15, v[18:19]
	v_lshlrev_b32_e32 v20, 1, v2
	s_lshl_b32 s2, s15, 7
	s_and_b32 s1, s5, 0xffff
	s_mov_b32 s3, 0x20000
	s_mov_b32 s0, s4
	v_add_lshl_u32 v21, v2, s15, 1
	s_movk_i32 s13, 0x80
	buffer_load_dwordx4 v[2:5], v20, s[0:3], 0 offen
	buffer_load_dwordx4 v[10:13], v20, s[0:3], s13 offen
	;; [unrolled: 1-line block ×4, first 2 shown]
.LBB715_45:
	v_lshrrev_b32_e32 v37, 2, v53
	s_cbranch_execnz .LBB715_58
.LBB715_46:
	s_and_b64 vcc, exec, s[6:7]
	s_cbranch_vccz .LBB715_56
; %bb.47:
	s_waitcnt vmcnt(0)
	v_lshlrev_b32_e32 v7, 1, v35
	v_cmp_gt_i32_e32 vcc, s27, v7
	v_mov_b32_e32 v6, 0
	v_lshlrev_b32_e32 v14, 9, v35
	v_mov_b32_e32 v2, 0
	v_mov_b32_e32 v3, 0
	;; [unrolled: 1-line block ×4, first 2 shown]
	s_and_saveexec_b64 s[0:1], vcc
	s_cbranch_execz .LBB715_49
; %bb.48:
	v_mov_b32_e32 v15, 0
	v_lshl_add_u64 v[2:3], s[4:5], 0, v[14:15]
	v_lshlrev_b32_e32 v4, 1, v18
	v_mov_b32_e32 v5, v15
	v_lshl_add_u64 v[2:3], v[2:3], 0, v[4:5]
	global_load_dwordx4 v[2:5], v[2:3], off
.LBB715_49:
	s_or_b64 exec, exec, s[0:1]
	v_or_b32_e32 v7, 1, v7
	v_cmp_gt_i32_e64 s[0:1], s27, v7
	v_lshlrev_b32_e32 v20, 8, v7
	v_mov_b32_e32 v7, 0
	v_mov_b32_e32 v8, 0
	;; [unrolled: 1-line block ×3, first 2 shown]
	s_and_saveexec_b64 s[2:3], s[0:1]
	s_cbranch_execz .LBB715_51
; %bb.50:
	v_mov_b32_e32 v21, 0
	v_lshl_add_u64 v[6:7], s[4:5], 0, v[20:21]
	v_lshlrev_b32_e32 v8, 1, v18
	v_mov_b32_e32 v9, v21
	v_lshl_add_u64 v[6:7], v[6:7], 0, v[8:9]
	global_load_dwordx4 v[6:9], v[6:7], off
.LBB715_51:
	s_or_b64 exec, exec, s[2:3]
	v_mov_b32_e32 v17, 0
	v_mov_b32_e32 v10, 0
	;; [unrolled: 1-line block ×5, first 2 shown]
	s_and_saveexec_b64 s[2:3], vcc
	s_cbranch_execz .LBB715_53
; %bb.52:
	v_mov_b32_e32 v15, 0
	v_lshl_add_u64 v[10:11], s[4:5], 0, v[14:15]
	v_lshlrev_b32_e32 v14, 1, v18
	v_lshl_add_u64 v[10:11], v[10:11], 0, v[14:15]
	global_load_dwordx4 v[10:13], v[10:11], off offset:128
.LBB715_53:
	s_or_b64 exec, exec, s[2:3]
	v_mov_b32_e32 v16, 0
	v_mov_b32_e32 v15, 0
	;; [unrolled: 1-line block ×3, first 2 shown]
	s_and_saveexec_b64 s[2:3], s[0:1]
	s_cbranch_execz .LBB715_55
; %bb.54:
	v_mov_b32_e32 v21, 0
	v_lshl_add_u64 v[14:15], s[4:5], 0, v[20:21]
	v_lshlrev_b32_e32 v20, 1, v18
	v_lshl_add_u64 v[14:15], v[14:15], 0, v[20:21]
	global_load_dwordx4 v[14:17], v[14:15], off offset:128
.LBB715_55:
	s_or_b64 exec, exec, s[2:3]
	s_branch .LBB715_58
.LBB715_56:
                                        ; implicit-def: $vgpr5
                                        ; implicit-def: $vgpr9
                                        ; implicit-def: $vgpr13
                                        ; implicit-def: $vgpr17
	s_cbranch_execz .LBB715_58
; %bb.57:
	s_waitcnt vmcnt(0)
	v_lshlrev_b32_e32 v2, 1, v18
	v_lshl_or_b32 v18, v35, 9, v2
	s_and_b32 s5, s5, 0xffff
	s_mov_b32 s7, 0x20000
	s_movk_i32 s6, 0x4000
	s_movk_i32 s0, 0x80
	buffer_load_dwordx4 v[2:5], v18, s[4:7], 0 offen
	buffer_load_dwordx4 v[6:9], v18, s[4:7], 0 offen offset:256
	buffer_load_dwordx4 v[10:13], v18, s[4:7], s0 offen
	buffer_load_dwordx4 v[14:17], v18, s[4:7], s0 offen offset:256
.LBB715_58:
	ds_read2st64_b64 v[22:25], v19 offset0:76 offset1:77
	ds_read2st64_b64 v[18:21], v19 offset0:78 offset1:79
	ds_read_b64 v[32:33], v26 offset:24576
	ds_read_b64 v[30:31], v27 offset:24576
	ds_read_b64 v[28:29], v28 offset:24576
	ds_read_b64 v[26:27], v36 offset:24576
	v_and_b32_e32 v36, 6, v0
	v_xor_b32_e32 v35, v35, v36
	v_lshlrev_b32_e32 v35, 2, v35
	v_and_b32_e32 v0, 1, v0
	v_xor_b32_e32 v38, 0x440, v35
	v_cmp_eq_u32_e32 vcc, 0, v0
	s_mov_b32 s0, 0x1000504
	s_mov_b32 s1, 0x3020706
	v_cndmask_b32_e32 v0, v38, v35, vcc
	v_lshl_or_b32 v0, v36, 10, v0
	s_waitcnt vmcnt(0)
	v_perm_b32 v35, v2, v6, s0
	v_perm_b32 v36, v10, v14, s0
	ds_write2st64_b32 v0, v35, v36 offset1:32
	v_xor_b32_e32 v35, 8, v0
	v_perm_b32 v2, v2, v6, s1
	v_perm_b32 v6, v10, v14, s1
	v_add_u32_e32 v10, 0x80, v35
	ds_write2st64_b32 v10, v2, v6 offset1:32
	v_xor_b32_e32 v2, 16, v0
	v_perm_b32 v6, v3, v7, s0
	v_perm_b32 v10, v11, v15, s0
	ds_write2st64_b32 v2, v6, v10 offset0:1 offset1:33
	v_xor_b32_e32 v2, 24, v0
	v_perm_b32 v3, v3, v7, s1
	v_perm_b32 v6, v11, v15, s1
	v_add_u32_e32 v2, 0x80, v2
	ds_write2st64_b32 v2, v3, v6 offset0:1 offset1:33
	v_xor_b32_e32 v2, 32, v0
	v_perm_b32 v3, v4, v8, s0
	v_perm_b32 v6, v12, v16, s0
	ds_write2st64_b32 v2, v3, v6 offset0:2 offset1:34
	v_xor_b32_e32 v2, 40, v0
	v_perm_b32 v3, v4, v8, s1
	v_perm_b32 v4, v12, v16, s1
	v_add_u32_e32 v2, 0x80, v2
	ds_write2st64_b32 v2, v3, v4 offset0:2 offset1:34
	v_xor_b32_e32 v2, 48, v0
	v_perm_b32 v3, v5, v9, s0
	v_perm_b32 v4, v13, v17, s0
	v_xor_b32_e32 v0, 56, v0
	v_and_or_b32 v8, v37, 12, v1
	ds_write2st64_b32 v2, v3, v4 offset0:3 offset1:35
	v_perm_b32 v2, v5, v9, s1
	v_perm_b32 v3, v13, v17, s1
	v_add_u32_e32 v0, 0x80, v0
	v_cmp_gt_i32_e32 vcc, s27, v8
	v_mov_b32_e32 v9, 0
	v_mov_b32_e32 v14, 0
	ds_write2st64_b32 v0, v2, v3 offset0:3 offset1:35
	s_and_saveexec_b64 s[0:1], vcc
	s_cbranch_execz .LBB715_60
; %bb.59:
	v_add_u32_e32 v0, s26, v8
	v_ashrrev_i32_e32 v1, 31, v0
	v_mul_lo_u32 v2, v1, s30
	v_mul_lo_u32 v3, v0, s31
	v_mad_u64_u32 v[0:1], s[2:3], v0, s30, 0
	v_add3_u32 v1, v1, v3, v2
	v_lshl_add_u64 v[0:1], v[0:1], 2, s[10:11]
	global_load_dword v0, v[0:1], off
	s_waitcnt vmcnt(0)
	v_sub_f32_e32 v0, s12, v0
	v_mul_f32_e32 v0, 0x3fb8aa3b, v0
	v_exp_f32_e32 v14, v0
.LBB715_60:
	s_or_b64 exec, exec, s[0:1]
	v_or_b32_e32 v12, 1, v8
	v_cmp_gt_i32_e64 s[2:3], s27, v12
	s_and_saveexec_b64 s[0:1], s[2:3]
	s_cbranch_execz .LBB715_62
; %bb.61:
	v_add_u32_e32 v0, s26, v12
	v_ashrrev_i32_e32 v1, 31, v0
	v_mul_lo_u32 v2, v1, s30
	v_mul_lo_u32 v3, v0, s31
	v_mad_u64_u32 v[0:1], s[4:5], v0, s30, 0
	v_add3_u32 v1, v1, v3, v2
	v_lshl_add_u64 v[0:1], v[0:1], 2, s[10:11]
	global_load_dword v0, v[0:1], off
	s_waitcnt vmcnt(0)
	v_sub_f32_e32 v0, s12, v0
	v_mul_f32_e32 v0, 0x3fb8aa3b, v0
	v_exp_f32_e32 v9, v0
.LBB715_62:
	s_or_b64 exec, exec, s[0:1]
	v_or_b32_e32 v11, 2, v8
	v_cmp_gt_i32_e64 s[0:1], s27, v11
	v_mov_b32_e32 v10, 0
	v_mov_b32_e32 v15, 0
	s_and_saveexec_b64 s[4:5], s[0:1]
	s_cbranch_execz .LBB715_64
; %bb.63:
	v_add_u32_e32 v0, s26, v11
	v_ashrrev_i32_e32 v1, 31, v0
	v_mul_lo_u32 v2, v1, s30
	v_mul_lo_u32 v3, v0, s31
	v_mad_u64_u32 v[0:1], s[6:7], v0, s30, 0
	v_add3_u32 v1, v1, v3, v2
	v_lshl_add_u64 v[0:1], v[0:1], 2, s[10:11]
	global_load_dword v0, v[0:1], off
	s_waitcnt vmcnt(0)
	v_sub_f32_e32 v0, s12, v0
	v_mul_f32_e32 v0, 0x3fb8aa3b, v0
	v_exp_f32_e32 v15, v0
.LBB715_64:
	s_or_b64 exec, exec, s[4:5]
	v_or_b32_e32 v13, 3, v8
	v_cmp_gt_i32_e64 s[4:5], s27, v13
	s_and_saveexec_b64 s[6:7], s[4:5]
	s_cbranch_execz .LBB715_66
; %bb.65:
	v_add_u32_e32 v0, s26, v13
	v_ashrrev_i32_e32 v1, 31, v0
	v_mul_lo_u32 v2, v1, s30
	v_mul_lo_u32 v3, v0, s31
	v_mad_u64_u32 v[0:1], s[14:15], v0, s30, 0
	v_add3_u32 v1, v1, v3, v2
	v_lshl_add_u64 v[0:1], v[0:1], 2, s[10:11]
	global_load_dword v0, v[0:1], off
	s_waitcnt vmcnt(0)
	v_sub_f32_e32 v0, s12, v0
	v_mul_f32_e32 v0, 0x3fb8aa3b, v0
	v_exp_f32_e32 v10, v0
.LBB715_66:
	s_or_b64 exec, exec, s[6:7]
	s_waitcnt lgkmcnt(11)
	v_mfma_f32_16x16x16_bf16 a[0:3], v[32:33], v[22:23], a[0:3]
	s_add_u32 s6, s8, s20
	v_ashrrev_i32_e32 v55, 31, v54
	s_addc_u32 s7, s9, s21
	s_waitcnt lgkmcnt(10)
	v_mfma_f32_16x16x16_bf16 a[0:3], v[30:31], v[24:25], a[0:3]
	v_lshlrev_b64 v[0:1], 1, v[54:55]
	v_lshl_add_u64 v[4:5], s[6:7], 0, v[0:1]
	s_add_u32 s6, s28, s20
	s_waitcnt lgkmcnt(9)
	v_mfma_f32_16x16x16_bf16 a[0:3], v[28:29], v[18:19], a[0:3]
	s_addc_u32 s7, s29, s21
	v_lshl_add_u64 v[6:7], s[6:7], 0, v[0:1]
	v_mov_b32_e32 v16, 0
	s_waitcnt lgkmcnt(8)
	v_mfma_f32_16x16x16_bf16 a[0:3], v[26:27], v[20:21], a[0:3]
	v_mov_b32_e32 v17, 0
	s_nop 5
	v_accvgpr_read_b32 v0, a0
	v_accvgpr_read_b32 v1, a1
	;; [unrolled: 1-line block ×4, first 2 shown]
	s_and_saveexec_b64 s[6:7], vcc
	s_cbranch_execz .LBB715_68
; %bb.67:
	v_lshlrev_b32_e32 v18, 8, v8
	v_mov_b32_e32 v19, 0
	v_lshl_add_u64 v[20:21], v[4:5], 0, v[18:19]
	global_load_ushort v17, v[20:21], off
	v_lshl_add_u64 v[18:19], v[6:7], 0, v[18:19]
	s_waitcnt vmcnt(0)
	v_lshlrev_b32_e32 v17, 16, v17
	v_sub_f32_e32 v0, v17, v0
	global_store_short_d16_hi v[18:19], v0, off
	v_mul_f32_e32 v0, v14, v0
	v_lshrrev_b32_e32 v17, 16, v0
.LBB715_68:
	s_or_b64 exec, exec, s[6:7]
	s_and_saveexec_b64 s[6:7], s[2:3]
	s_cbranch_execz .LBB715_70
; %bb.69:
	v_lshlrev_b32_e32 v18, 8, v12
	v_mov_b32_e32 v19, 0
	v_lshl_add_u64 v[20:21], v[4:5], 0, v[18:19]
	global_load_ushort v0, v[20:21], off
	v_lshl_add_u64 v[18:19], v[6:7], 0, v[18:19]
	s_waitcnt vmcnt(0)
	v_lshlrev_b32_e32 v0, 16, v0
	v_sub_f32_e32 v0, v0, v1
	global_store_short_d16_hi v[18:19], v0, off
	v_mul_f32_e32 v0, v9, v0
	v_lshrrev_b32_e32 v16, 16, v0
.LBB715_70:
	s_or_b64 exec, exec, s[6:7]
	v_mov_b32_e32 v0, 0
	v_mov_b32_e32 v1, 0
	s_and_saveexec_b64 s[2:3], s[0:1]
	s_cbranch_execz .LBB715_72
; %bb.71:
	v_lshlrev_b32_e32 v18, 8, v11
	v_mov_b32_e32 v19, 0
	v_lshl_add_u64 v[20:21], v[4:5], 0, v[18:19]
	global_load_ushort v1, v[20:21], off
	v_lshl_add_u64 v[18:19], v[6:7], 0, v[18:19]
	s_waitcnt vmcnt(0)
	v_lshlrev_b32_e32 v1, 16, v1
	v_sub_f32_e32 v1, v1, v2
	global_store_short_d16_hi v[18:19], v1, off
	v_mul_f32_e32 v1, v15, v1
	v_lshrrev_b32_e32 v1, 16, v1
.LBB715_72:
	s_or_b64 exec, exec, s[2:3]
	s_and_saveexec_b64 s[0:1], s[4:5]
	s_cbranch_execz .LBB715_74
; %bb.73:
	v_lshlrev_b32_e32 v12, 8, v13
	v_mov_b32_e32 v13, 0
	v_lshl_add_u64 v[4:5], v[4:5], 0, v[12:13]
	global_load_ushort v0, v[4:5], off
	v_lshl_add_u64 v[4:5], v[6:7], 0, v[12:13]
	s_waitcnt vmcnt(0)
	v_lshlrev_b32_e32 v0, 16, v0
	v_sub_f32_e32 v0, v0, v3
	global_store_short_d16_hi v[4:5], v0, off
	v_mul_f32_e32 v0, v10, v0
	v_lshrrev_b32_e32 v0, 16, v0
.LBB715_74:
	s_or_b64 exec, exec, s[0:1]
	s_mov_b32 s0, 0x5040100
	v_lshlrev_b32_e32 v2, 1, v34
	v_perm_b32 v1, v0, v1, s0
	v_perm_b32 v0, v16, v17, s0
	v_lshl_or_b32 v2, v8, 5, v2
	ds_write_b64 v2, v[0:1] offset:38912
	s_waitcnt lgkmcnt(0)
	s_barrier
.LBB715_75:
	s_endpgm
	.section	.rodata,"a",@progbits
	.p2align	6, 0x0
	.amdhsa_kernel _ZN12_GLOBAL__N_139chunk_gated_delta_rule_fwd_h_hip_kernelILi16ELb1ELb0ELb1ELb0ELb0ELb1ELb1ELb0EEEvPK12hip_bfloat16S3_S3_PKfS5_PKvPS1_S8_PvPKiSB_iiiiilll
		.amdhsa_group_segment_fixed_size 40960
		.amdhsa_private_segment_fixed_size 0
		.amdhsa_kernarg_size 136
		.amdhsa_user_sgpr_count 2
		.amdhsa_user_sgpr_dispatch_ptr 0
		.amdhsa_user_sgpr_queue_ptr 0
		.amdhsa_user_sgpr_kernarg_segment_ptr 1
		.amdhsa_user_sgpr_dispatch_id 0
		.amdhsa_user_sgpr_kernarg_preload_length 0
		.amdhsa_user_sgpr_kernarg_preload_offset 0
		.amdhsa_user_sgpr_private_segment_size 0
		.amdhsa_uses_dynamic_stack 0
		.amdhsa_enable_private_segment 0
		.amdhsa_system_sgpr_workgroup_id_x 1
		.amdhsa_system_sgpr_workgroup_id_y 1
		.amdhsa_system_sgpr_workgroup_id_z 0
		.amdhsa_system_sgpr_workgroup_info 0
		.amdhsa_system_vgpr_workitem_id 0
		.amdhsa_next_free_vgpr 128
		.amdhsa_next_free_sgpr 72
		.amdhsa_accum_offset 116
		.amdhsa_reserve_vcc 1
		.amdhsa_float_round_mode_32 0
		.amdhsa_float_round_mode_16_64 0
		.amdhsa_float_denorm_mode_32 3
		.amdhsa_float_denorm_mode_16_64 3
		.amdhsa_dx10_clamp 1
		.amdhsa_ieee_mode 1
		.amdhsa_fp16_overflow 0
		.amdhsa_tg_split 0
		.amdhsa_exception_fp_ieee_invalid_op 0
		.amdhsa_exception_fp_denorm_src 0
		.amdhsa_exception_fp_ieee_div_zero 0
		.amdhsa_exception_fp_ieee_overflow 0
		.amdhsa_exception_fp_ieee_underflow 0
		.amdhsa_exception_fp_ieee_inexact 0
		.amdhsa_exception_int_div_zero 0
	.end_amdhsa_kernel
	.section	.text._ZN12_GLOBAL__N_139chunk_gated_delta_rule_fwd_h_hip_kernelILi16ELb1ELb0ELb1ELb0ELb0ELb1ELb1ELb0EEEvPK12hip_bfloat16S3_S3_PKfS5_PKvPS1_S8_PvPKiSB_iiiiilll,"axG",@progbits,_ZN12_GLOBAL__N_139chunk_gated_delta_rule_fwd_h_hip_kernelILi16ELb1ELb0ELb1ELb0ELb0ELb1ELb1ELb0EEEvPK12hip_bfloat16S3_S3_PKfS5_PKvPS1_S8_PvPKiSB_iiiiilll,comdat
.Lfunc_end715:
	.size	_ZN12_GLOBAL__N_139chunk_gated_delta_rule_fwd_h_hip_kernelILi16ELb1ELb0ELb1ELb0ELb0ELb1ELb1ELb0EEEvPK12hip_bfloat16S3_S3_PKfS5_PKvPS1_S8_PvPKiSB_iiiiilll, .Lfunc_end715-_ZN12_GLOBAL__N_139chunk_gated_delta_rule_fwd_h_hip_kernelILi16ELb1ELb0ELb1ELb0ELb0ELb1ELb1ELb0EEEvPK12hip_bfloat16S3_S3_PKfS5_PKvPS1_S8_PvPKiSB_iiiiilll
                                        ; -- End function
	.section	.AMDGPU.csdata,"",@progbits
; Kernel info:
; codeLenInByte = 7568
; NumSgprs: 78
; NumVgprs: 116
; NumAgprs: 12
; TotalNumVgprs: 128
; ScratchSize: 0
; MemoryBound: 0
; FloatMode: 240
; IeeeMode: 1
; LDSByteSize: 40960 bytes/workgroup (compile time only)
; SGPRBlocks: 9
; VGPRBlocks: 15
; NumSGPRsForWavesPerEU: 78
; NumVGPRsForWavesPerEU: 128
; AccumOffset: 116
; Occupancy: 1
; WaveLimiterHint : 1
; COMPUTE_PGM_RSRC2:SCRATCH_EN: 0
; COMPUTE_PGM_RSRC2:USER_SGPR: 2
; COMPUTE_PGM_RSRC2:TRAP_HANDLER: 0
; COMPUTE_PGM_RSRC2:TGID_X_EN: 1
; COMPUTE_PGM_RSRC2:TGID_Y_EN: 1
; COMPUTE_PGM_RSRC2:TGID_Z_EN: 0
; COMPUTE_PGM_RSRC2:TIDIG_COMP_CNT: 0
; COMPUTE_PGM_RSRC3_GFX90A:ACCUM_OFFSET: 28
; COMPUTE_PGM_RSRC3_GFX90A:TG_SPLIT: 0
	.section	.text._ZN12_GLOBAL__N_139chunk_gated_delta_rule_fwd_h_hip_kernelILi16ELb1ELb0ELb0ELb0ELb0ELb1ELb1ELb0EEEvPK12hip_bfloat16S3_S3_PKfS5_PKvPS1_S8_PvPKiSB_iiiiilll,"axG",@progbits,_ZN12_GLOBAL__N_139chunk_gated_delta_rule_fwd_h_hip_kernelILi16ELb1ELb0ELb0ELb0ELb0ELb1ELb1ELb0EEEvPK12hip_bfloat16S3_S3_PKfS5_PKvPS1_S8_PvPKiSB_iiiiilll,comdat
	.globl	_ZN12_GLOBAL__N_139chunk_gated_delta_rule_fwd_h_hip_kernelILi16ELb1ELb0ELb0ELb0ELb0ELb1ELb1ELb0EEEvPK12hip_bfloat16S3_S3_PKfS5_PKvPS1_S8_PvPKiSB_iiiiilll ; -- Begin function _ZN12_GLOBAL__N_139chunk_gated_delta_rule_fwd_h_hip_kernelILi16ELb1ELb0ELb0ELb0ELb0ELb1ELb1ELb0EEEvPK12hip_bfloat16S3_S3_PKfS5_PKvPS1_S8_PvPKiSB_iiiiilll
	.p2align	8
	.type	_ZN12_GLOBAL__N_139chunk_gated_delta_rule_fwd_h_hip_kernelILi16ELb1ELb0ELb0ELb0ELb0ELb1ELb1ELb0EEEvPK12hip_bfloat16S3_S3_PKfS5_PKvPS1_S8_PvPKiSB_iiiiilll,@function
_ZN12_GLOBAL__N_139chunk_gated_delta_rule_fwd_h_hip_kernelILi16ELb1ELb0ELb0ELb0ELb0ELb1ELb1ELb0EEEvPK12hip_bfloat16S3_S3_PKfS5_PKvPS1_S8_PvPKiSB_iiiiilll: ; @_ZN12_GLOBAL__N_139chunk_gated_delta_rule_fwd_h_hip_kernelILi16ELb1ELb0ELb0ELb0ELb0ELb1ELb1ELb0EEEvPK12hip_bfloat16S3_S3_PKfS5_PKvPS1_S8_PvPKiSB_iiiiilll
; %bb.0:
	s_load_dwordx4 s[12:15], s[0:1], 0x5c
	s_load_dwordx4 s[16:19], s[0:1], 0x28
	s_abs_i32 s6, s3
	s_ashr_i32 s5, s3, 31
	v_and_b32_e32 v62, 15, v0
	s_waitcnt lgkmcnt(0)
	s_abs_i32 s4, s13
	v_cvt_f32_u32_e32 v1, s4
	s_sub_i32 s8, 0, s4
	s_ashr_i32 s7, s13, 31
	s_xor_b32 s5, s5, s7
	v_rcp_iflag_f32_e32 v1, v1
	v_lshrrev_b32_e32 v60, 6, v0
	v_bfe_u32 v61, v0, 4, 2
	v_mov_b32_e32 v5, 0
	v_mul_f32_e32 v1, 0x4f7ffffe, v1
	v_cvt_u32_f32_e32 v1, v1
	v_and_b32_e32 v53, 63, v0
	v_lshrrev_b32_e32 v64, 3, v53
	v_lshlrev_b32_e32 v63, 3, v0
	v_readfirstlane_b32 s9, v1
	s_mul_i32 s8, s8, s9
	s_mul_hi_u32 s8, s9, s8
	s_add_i32 s9, s9, s8
	s_mul_hi_u32 s8, s6, s9
	s_mul_i32 s9, s8, s4
	s_sub_i32 s6, s6, s9
	s_add_i32 s10, s8, 1
	s_sub_i32 s9, s6, s4
	s_cmp_ge_u32 s6, s4
	s_cselect_b32 s8, s10, s8
	s_cselect_b32 s6, s9, s6
	s_add_i32 s9, s8, 1
	s_cmp_ge_u32 s6, s4
	s_cselect_b32 s6, s9, s8
	s_xor_b32 s6, s6, s5
	s_sub_i32 s50, s6, s5
	s_mul_i32 s6, s50, s13
	s_sub_i32 s48, s3, s6
	s_abs_i32 s3, s14
	v_cvt_f32_u32_e32 v1, s3
	s_add_i32 s8, s12, 63
	s_ashr_i32 s9, s8, 31
	s_lshr_b32 s5, s9, 26
	v_rcp_iflag_f32_e32 v1, v1
	s_ashr_i32 s49, s12, 31
	s_add_i32 s8, s8, s5
	s_lshr_b32 s5, s49, 26
	v_mul_f32_e32 v1, 0x4f7ffffe, v1
	v_cvt_u32_f32_e32 v1, v1
	s_add_i32 s5, s12, s5
	s_ashr_i32 s53, s14, 31
	s_ashr_i32 s51, s5, 6
	s_lshl_b32 s36, s2, 4
	s_xor_b32 s2, s7, s53
	s_sub_i32 s5, 0, s3
	v_readfirstlane_b32 s7, v1
	s_mul_i32 s5, s5, s7
	s_mul_hi_u32 s5, s7, s5
	s_add_i32 s7, s7, s5
	s_mul_hi_u32 s5, s4, s7
	s_mul_i32 s7, s5, s3
	s_sub_i32 s4, s4, s7
	s_ashr_i32 s25, s8, 6
	s_add_i32 s7, s5, 1
	s_sub_i32 s8, s4, s3
	s_cmp_ge_u32 s4, s3
	s_cselect_b32 s5, s7, s5
	s_cselect_b32 s4, s8, s4
	s_add_i32 s7, s5, 1
	s_cmp_ge_u32 s4, s3
	s_cselect_b32 s3, s7, s5
	s_xor_b32 s3, s3, s2
	s_sub_i32 s2, s3, s2
	s_abs_i32 s3, s2
	v_cvt_f32_u32_e32 v1, s3
	s_sub_i32 s5, 0, s3
	s_abs_i32 s4, s48
	s_xor_b32 s2, s48, s2
	v_rcp_iflag_f32_e32 v1, v1
	s_ashr_i32 s2, s2, 31
	v_or_b32_e32 v54, s36, v62
	v_lshlrev_b32_e32 v2, 7, v54
	v_mul_f32_e32 v1, 0x4f7ffffe, v1
	v_cvt_u32_f32_e32 v1, v1
	v_ashrrev_i32_e32 v3, 31, v2
	s_mul_i32 s55, s50, s25
	v_readfirstlane_b32 s7, v1
	s_mul_i32 s5, s5, s7
	s_mul_hi_u32 s5, s7, s5
	s_add_i32 s7, s7, s5
	s_mul_hi_u32 s5, s4, s7
	s_mul_i32 s7, s5, s3
	s_sub_i32 s4, s4, s7
	s_add_i32 s7, s5, 1
	s_sub_i32 s8, s4, s3
	s_cmp_ge_u32 s4, s3
	s_cselect_b32 s5, s7, s5
	s_cselect_b32 s4, s8, s4
	s_add_i32 s7, s5, 1
	s_cmp_ge_u32 s4, s3
	s_cselect_b32 s3, s7, s5
	s_xor_b32 s3, s3, s2
	s_sub_i32 s54, s3, s2
	s_ashr_i32 s24, s50, 31
	s_ashr_i32 s52, s48, 31
	s_mul_hi_i32 s2, s50, s13
	s_add_u32 s38, s6, s48
	s_addc_u32 s39, s2, s52
	s_lshl_b64 s[2:3], s[38:39], 16
	v_lshlrev_b32_e32 v1, 4, v60
	s_add_u32 s2, s16, s2
	v_lshl_or_b32 v65, v61, 2, v1
	s_addc_u32 s3, s17, s3
	v_lshl_add_u64 v[2:3], v[2:3], 2, s[2:3]
	v_lshlrev_b32_e32 v4, 2, v65
	v_lshl_add_u64 v[10:11], v[2:3], 0, v[4:5]
	global_load_dwordx4 v[6:9], v[10:11], off
	global_load_dwordx4 v[2:5], v[10:11], off offset:256
	s_load_dwordx8 s[4:11], s[0:1], 0x0
	s_load_dwordx2 s[28:29], s[0:1], 0x80
	s_load_dwordx4 s[20:23], s[0:1], 0x70
	v_or_b32_e32 v66, 64, v65
	s_cmp_lt_i32 s12, 64
	s_mul_i32 s56, s39, s12
	s_mul_hi_u32 s57, s38, s12
	s_mul_i32 s16, s38, s12
	s_waitcnt lgkmcnt(0)
	s_mul_i32 s33, s50, s21
	s_mul_hi_u32 s44, s50, s20
	s_mul_i32 s45, s24, s20
	s_mul_i32 s34, s50, s20
	;; [unrolled: 1-line block ×3, first 2 shown]
	s_mul_hi_u32 s46, s48, s22
	s_mul_i32 s47, s52, s22
	s_mul_i32 s30, s48, s22
	s_cbranch_scc1 .LBB716_18
; %bb.1:
	s_add_i32 s17, s57, s56
	s_lshl_b64 s[2:3], s[16:17], 8
	v_and_b32_e32 v68, 56, v63
	s_add_u32 s20, s6, s2
	v_lshl_or_b32 v67, v60, 3, v64
	v_lshlrev_b32_e32 v10, 1, v68
	s_addc_u32 s2, s7, s3
	v_lshl_or_b32 v69, v67, 8, v10
	s_and_b32 s21, s2, 0xffff
	s_mov_b32 s23, 0x20000
	s_movk_i32 s22, 0x4000
	s_movk_i32 s2, 0x80
	v_or_b32_e32 v70, 0x2000, v69
	buffer_load_dwordx4 v[12:15], v69, s[20:23], 0 offen
	buffer_load_dwordx4 v[16:19], v69, s[20:23], s2 offen
	;; [unrolled: 1-line block ×4, first 2 shown]
	v_lshlrev_b32_e32 v11, 3, v67
	v_and_or_b32 v29, v0, 7, v11
	v_and_b32_e32 v11, 0x78, v11
	v_lshlrev_b32_e32 v29, 4, v29
	v_xor_b32_e32 v71, v29, v11
	v_mul_lo_u32 v28, v67, s15
	v_or_b32_e32 v72, 0x1000, v71
	v_xor_b32_e32 v11, 8, v71
	s_cmpk_eq_i32 s15, 0x80
	s_mov_b32 s58, s14
	v_xor_b32_e32 v29, 8, v72
	s_cselect_b64 s[2:3], -1, 0
	s_cmpk_lg_i32 s15, 0x80
	s_waitcnt vmcnt(3)
	ds_write_b64 v71, v[12:13] offset:16384
	ds_write_b64 v11, v[14:15] offset:16384
	s_waitcnt vmcnt(2)
	ds_write_b64 v71, v[16:17] offset:24576
	ds_write_b64 v11, v[18:19] offset:24576
	;; [unrolled: 3-line block ×4, first 2 shown]
	v_lshl_add_u32 v11, v28, 1, v68
	s_cbranch_scc0 .LBB716_3
; %bb.2:
	v_lshlrev_b32_e32 v13, 1, v11
	v_add_lshl_u32 v12, v11, s15, 1
	s_lshl_b32 s22, s15, 7
	s_load_dwordx2 s[40:41], s[0:1], 0x20
	v_lshl_or_b32 v10, v67, 9, v10
	s_cbranch_execz .LBB716_4
	s_branch .LBB716_5
.LBB716_3:
                                        ; implicit-def: $vgpr12
                                        ; implicit-def: $vgpr13
                                        ; implicit-def: $sgpr22
	s_load_dwordx2 s[40:41], s[0:1], 0x20
	v_lshl_or_b32 v10, v67, 9, v10
.LBB716_4:
	v_or_b32_e32 v12, 0x100, v10
	s_movk_i32 s22, 0x4000
	v_mov_b32_e32 v13, v10
.LBB716_5:
	s_mul_hi_u32 s0, s14, s12
	s_mul_i32 s1, s53, s12
	s_add_i32 s0, s0, s1
	s_mul_i32 s1, s14, s12
	s_mul_i32 s20, s1, s24
	s_mul_hi_u32 s21, s1, s50
	s_add_i32 s20, s21, s20
	s_mul_i32 s0, s0, s50
	s_add_i32 s20, s20, s0
	s_mul_i32 s1, s1, s50
	s_ashr_i32 s59, s54, 31
	s_add_u32 s0, s1, s54
	s_addc_u32 s1, s20, s59
	s_lshl_b64 s[0:1], s[0:1], 8
	s_add_u32 s20, s4, s0
	s_addc_u32 s0, s5, s1
	s_and_b32 s21, s0, 0xffff
	s_movk_i32 s60, 0x80
	buffer_load_dwordx4 v[14:17], v13, s[20:23], 0 offen
	buffer_load_dwordx4 v[18:21], v13, s[20:23], s60 offen
	buffer_load_dwordx4 v[22:25], v12, s[20:23], 0 offen
	buffer_load_dwordx4 v[26:29], v12, s[20:23], s60 offen
	v_and_b32_e32 v12, 6, v0
	v_lshlrev_b32_e32 v30, 2, v62
	v_lshlrev_b32_e32 v31, 3, v62
	v_xor_b32_e32 v33, v67, v12
	v_and_b32_e32 v13, 1, v0
	s_mul_i32 s24, s24, s12
	s_mul_hi_u32 s0, s50, s12
	v_lshl_or_b32 v31, v65, 5, v31
	v_xor_b32_e32 v34, v65, v30
	v_lshlrev_b32_e32 v33, 2, v33
	v_or_b32_e32 v73, 0x9000, v31
	v_or_b32_e32 v74, 0x9800, v31
	v_lshlrev_b32_e32 v31, 1, v34
	v_xor_b32_e32 v34, 0x440, v33
	v_cmp_eq_u32_e32 vcc, 0, v13
	s_add_i32 s65, s0, s24
	s_add_i32 s0, s44, s33
	v_cndmask_b32_e32 v13, v34, v33, vcc
	s_add_i32 s1, s46, s39
	s_add_i32 s35, s0, s45
	s_mov_b32 s63, 0x1000504
	v_lshlrev_b32_e32 v32, 8, v62
	s_mov_b32 s20, 0x8000
	v_xor_b32_e32 v30, v66, v30
	v_lshl_or_b32 v12, v12, 10, v13
	s_add_i32 s31, s1, s47
	s_lshl_b64 s[0:1], s[34:35], 2
	s_mov_b32 s64, 0x3020706
	v_lshlrev_b32_e32 v30, 1, v30
	v_or3_b32 v75, v31, v32, s20
	v_xor_b32_e32 v13, 8, v12
	v_xor_b32_e32 v31, 24, v12
	;; [unrolled: 1-line block ×4, first 2 shown]
	s_add_u32 s21, s10, s0
	v_or3_b32 v76, v30, v32, s20
	v_xor_b32_e32 v30, 16, v12
	v_xor_b32_e32 v32, 32, v12
	;; [unrolled: 1-line block ×3, first 2 shown]
	v_add_u32_e32 v13, 0x80, v13
	v_add_u32_e32 v31, 0x80, v31
	;; [unrolled: 1-line block ×4, first 2 shown]
	s_addc_u32 s22, s11, s1
	s_lshl_b64 s[0:1], s[30:31], 2
	s_add_u32 s42, s21, s0
	s_movk_i32 s0, 0xf8
	s_addc_u32 s43, s22, s1
	s_ashr_i32 s37, s36, 31
	v_ashrrev_i32_e32 v55, 31, v54
	s_lshl_b32 s26, s15, 7
	s_mul_i32 s61, s50, s12
	s_mov_b32 s62, 0
	s_mov_b32 s35, 0x7060302
	s_movk_i32 s22, 0x4000
	v_mov_b32_e32 v96, 0x3fb8aa3b
	s_mov_b32 s66, 0
	s_waitcnt vmcnt(1)
	v_perm_b32 v36, v14, v22, s63
	s_waitcnt vmcnt(0)
	v_perm_b32 v37, v18, v26, s63
	v_perm_b32 v14, v14, v22, s64
	;; [unrolled: 1-line block ×15, first 2 shown]
	ds_write2st64_b32 v12, v36, v37 offset1:32
	ds_write2st64_b32 v13, v14, v18 offset1:32
	ds_write2st64_b32 v30, v22, v26 offset0:1 offset1:33
	ds_write2st64_b32 v31, v15, v19 offset0:1 offset1:33
	;; [unrolled: 1-line block ×6, first 2 shown]
	v_or_b32_e32 v12, v1, v62
	v_lshlrev_b32_e32 v12, 3, v12
	v_lshrrev_b32_e32 v14, 5, v53
	v_and_or_b32 v14, v12, s0, v14
	v_lshlrev_b32_e32 v14, 4, v14
	v_lshrrev_b32_e32 v13, 2, v53
	v_lshlrev_b32_e32 v19, 11, v60
	v_and_b32_e32 v12, 0x78, v12
	v_or_b32_e32 v17, 32, v14
	v_and_b32_e32 v18, 12, v13
	v_and_b32_e32 v13, 0x1000, v19
	v_xor_b32_e32 v15, v14, v12
	v_lshrrev_b32_e32 v16, 1, v53
	v_xor_b32_e32 v17, v17, v12
	v_or_b32_e32 v15, v15, v13
	v_and_b32_e32 v16, 8, v16
	v_or_b32_e32 v17, v17, v13
	v_xor_b32_e32 v77, v15, v16
	v_and_b32_e32 v15, 0x78, v63
	v_xor_b32_e32 v79, v17, v16
	v_or_b32_e32 v17, 64, v14
	v_or_b32_e32 v14, 0x60, v14
	v_lshl_or_b32 v15, v61, 7, v15
	v_xor_b32_e32 v17, v17, v12
	v_xor_b32_e32 v12, v14, v12
	v_or_b32_e32 v78, 0x9000, v15
	v_or_b32_e32 v17, v17, v13
	;; [unrolled: 1-line block ×4, first 2 shown]
	v_lshrrev_b32_e32 v14, 4, v0
	v_lshlrev_b32_e32 v15, 1, v62
	v_xor_b32_e32 v80, v17, v16
	v_xor_b32_e32 v81, v12, v16
	v_or_b32_e32 v16, 1, v15
	v_xor_b32_e32 v15, v14, v15
	s_lshl_b64 s[0:1], s[36:37], 8
	v_xor_b32_e32 v16, v16, v14
	v_lshlrev_b32_e32 v15, 3, v15
	v_lshlrev_b32_e32 v14, 8, v14
	v_lshl_add_u64 v[12:13], v[54:55], 1, s[8:9]
	s_add_u32 s0, s18, s0
	v_or3_b32 v55, v15, v14, s20
	v_lshlrev_b32_e32 v15, 3, v16
	s_addc_u32 s1, s19, s1
	v_or3_b32 v83, v15, v14, s20
	v_mov_b32_e32 v15, 0
	v_lshrrev_b32_e32 v25, 1, v0
	v_lshl_add_u64 v[16:17], s[0:1], 0, v[14:15]
	v_lshlrev_b32_e32 v14, 4, v62
	s_movk_i32 s0, 0xff
	v_lshlrev_b32_e32 v24, 3, v60
	v_and_b32_e32 v25, 24, v25
	v_lshl_add_u64 v[56:57], v[16:17], 0, v[14:15]
	v_and_b32_e32 v14, 7, v0
	v_and_b32_e32 v17, 8, v0
	v_cmp_lt_u32_e32 vcc, s0, v0
	v_xor_b32_e32 v26, v24, v25
	v_lshlrev_b32_e32 v22, 3, v14
	v_lshlrev_b32_e32 v23, 7, v14
	v_cndmask_b32_e64 v14, 0, 1, vcc
	v_or_b32_e32 v27, 0x440, v26
	v_cmp_eq_u32_e32 vcc, 0, v17
	v_or_b32_e32 v29, 64, v25
	v_xor_b32_e32 v29, v24, v29
	v_cndmask_b32_e32 v17, v27, v26, vcc
	v_or_b32_e32 v27, 32, v25
	v_or_b32_e32 v25, 0x60, v25
	v_xor_b32_e32 v27, v24, v27
	v_xor_b32_e32 v24, v24, v25
	v_or_b32_e32 v28, 0x440, v27
	v_xor_b32_e32 v30, 0x440, v29
	v_xor_b32_e32 v25, 0x440, v24
	v_cndmask_b32_e32 v27, v28, v27, vcc
	v_cndmask_b32_e32 v29, v30, v29, vcc
	v_cndmask_b32_e32 v24, v25, v24, vcc
	v_or_b32_e32 v17, v17, v19
	v_or_b32_e32 v27, v27, v19
	;; [unrolled: 1-line block ×4, first 2 shown]
	v_lshlrev_b32_e32 v14, 13, v14
	v_xor_b32_e32 v17, v17, v22
	v_xor_b32_e32 v27, v27, v22
	;; [unrolled: 1-line block ×4, first 2 shown]
	v_lshlrev_b32_e32 v20, 1, v11
	v_add_lshl_u32 v11, v11, s15, 1
	v_or_b32_e32 v21, 0x100, v10
	v_or_b32_e32 v16, v18, v1
	v_add_u32_e32 v26, v14, v17
	v_add_u32_e32 v28, v14, v27
	;; [unrolled: 1-line block ×4, first 2 shown]
	v_or3_b32 v18, v1, v18, 64
	v_add_u32_e32 v17, 0x2000, v17
	v_add_u32_e32 v24, 0x2000, v27
	;; [unrolled: 1-line block ×4, first 2 shown]
	v_lshlrev_b32_e32 v14, 8, v65
	v_cndmask_b32_e64 v84, v20, v10, s[2:3]
	v_cndmask_b32_e64 v85, v11, v21, s[2:3]
	v_lshl_add_u64 v[58:59], v[12:13], 0, v[14:15]
	s_add_i32 s31, s61, 63
	v_lshlrev_b32_e32 v86, 2, v16
	v_add_u32_e32 v87, v26, v23
	v_add_u32_e32 v88, v28, v23
	;; [unrolled: 1-line block ×4, first 2 shown]
	v_lshlrev_b32_e32 v91, 2, v18
	v_add_u32_e32 v92, v17, v23
	v_add_u32_e32 v93, v24, v23
	;; [unrolled: 1-line block ×4, first 2 shown]
	s_waitcnt lgkmcnt(0)
	s_barrier
.LBB716_6:                              ; =>This Inner Loop Header: Depth=1
	s_add_i32 s37, s66, 1
	s_cmp_lt_i32 s37, s51
	s_mov_b64 s[24:25], 0
	s_cselect_b64 s[2:3], -1, 0
	s_cmp_ge_i32 s37, s51
	s_mov_b64 s[20:21], 0
	s_cbranch_scc1 .LBB716_8
; %bb.7:                                ;   in Loop: Header=BB716_6 Depth=1
	s_add_i32 s0, s62, 64
	s_add_u32 s0, s16, s0
	s_addc_u32 s1, s17, 0
	s_lshl_b64 s[0:1], s[0:1], 8
	s_add_u32 s20, s6, s0
	s_addc_u32 s21, s7, s1
.LBB716_8:                              ;   in Loop: Header=BB716_6 Depth=1
	v_cndmask_b32_e64 v10, 0, 1, s[2:3]
	v_cmp_ne_u32_e64 s[0:1], 1, v10
	s_andn2_b64 vcc, exec, s[2:3]
	s_cbranch_vccnz .LBB716_10
; %bb.9:                                ;   in Loop: Header=BB716_6 Depth=1
	s_add_i32 s2, s62, 64
	s_add_u32 s2, s61, s2
	s_addc_u32 s3, s65, 0
	s_mul_i32 s24, s2, s53
	s_mul_hi_u32 s25, s2, s58
	s_add_i32 s24, s25, s24
	s_mul_i32 s3, s3, s58
	s_add_i32 s24, s24, s3
	s_mul_i32 s2, s2, s58
	s_add_u32 s2, s2, s54
	s_addc_u32 s3, s24, s59
	s_lshl_b64 s[2:3], s[2:3], 8
	s_add_u32 s24, s4, s2
	s_addc_u32 s25, s5, s3
.LBB716_10:                             ;   in Loop: Header=BB716_6 Depth=1
	v_perm_b32 v11, v9, v8, s35
	v_perm_b32 v10, v7, v6, s35
	;; [unrolled: 1-line block ×4, first 2 shown]
	ds_write_b64 v73, v[10:11]
	ds_write_b64 v74, v[12:13]
	;; [unrolled: 1-line block ×4, first 2 shown]
	s_waitcnt lgkmcnt(0)
	s_barrier
	ds_read_b64 v[18:19], v77 offset:16384
	ds_read_b64 v[20:21], v79 offset:16384
	ds_read2st64_b64 v[10:13], v78 offset1:1
	ds_read2st64_b64 v[14:17], v78 offset0:2 offset1:3
	ds_read_b64 v[22:23], v80 offset:16384
	s_waitcnt lgkmcnt(2)
	v_mfma_f32_16x16x16_bf16 a[0:3], v[18:19], v[10:11], 0
	ds_read_b64 v[10:11], v81 offset:16384
	s_add_i32 s2, s62, 63
	s_mul_i32 s3, s2, s29
	v_mfma_f32_16x16x16_bf16 a[0:3], v[20:21], v[12:13], a[0:3]
	s_mul_hi_u32 s27, s2, s28
	s_add_i32 s3, s27, s3
	s_mul_i32 s2, s2, s28
	s_waitcnt lgkmcnt(1)
	v_mfma_f32_16x16x16_bf16 a[0:3], v[22:23], v[14:15], a[0:3]
	s_lshl_b64 s[2:3], s[2:3], 2
	s_add_u32 s2, s42, s2
	s_addc_u32 s3, s43, s3
	s_waitcnt lgkmcnt(0)
	v_mfma_f32_16x16x16_bf16 a[0:3], v[10:11], v[16:17], a[0:3]
	s_and_b64 vcc, exec, s[0:1]
	v_mov_b32_e32 v99, 0
	v_mov_b32_e32 v98, 0
	;; [unrolled: 1-line block ×19, first 2 shown]
	s_cbranch_vccnz .LBB716_12
; %bb.11:                               ;   in Loop: Header=BB716_6 Depth=1
	s_and_b32 s21, s21, 0xffff
	buffer_load_dwordx4 v[22:25], v69, s[20:23], 0 offen
	buffer_load_dwordx4 v[18:21], v69, s[20:23], s60 offen
	;; [unrolled: 1-line block ×4, first 2 shown]
	v_mov_b32_e32 v98, v71
	v_mov_b32_e32 v97, v72
.LBB716_12:                             ;   in Loop: Header=BB716_6 Depth=1
	v_add_u32_e32 v32, s62, v65
	v_ashrrev_i32_e32 v26, 31, v32
	v_mul_lo_u32 v28, v26, s28
	v_mul_lo_u32 v29, v32, s29
	v_mad_u64_u32 v[26:27], s[20:21], v32, s28, 0
	v_add3_u32 v27, v27, v29, v28
	v_add_u32_e32 v28, 1, v32
	v_ashrrev_i32_e32 v29, 31, v28
	v_mul_lo_u32 v30, v29, s28
	v_mul_lo_u32 v31, v28, s29
	v_mad_u64_u32 v[28:29], s[20:21], v28, s28, 0
	v_add3_u32 v29, v29, v31, v30
	v_add_u32_e32 v30, 2, v32
	v_ashrrev_i32_e32 v31, 31, v30
	v_mul_lo_u32 v33, v31, s28
	v_mul_lo_u32 v34, v30, s29
	v_mad_u64_u32 v[30:31], s[20:21], v30, s28, 0
	v_add_u32_e32 v32, 3, v32
	v_add3_u32 v31, v31, v34, v33
	v_ashrrev_i32_e32 v33, 31, v32
	v_mul_lo_u32 v36, v33, s28
	v_mul_lo_u32 v37, v32, s29
	v_mad_u64_u32 v[32:33], s[20:21], v32, s28, 0
	s_add_u32 s20, s16, s62
	s_addc_u32 s21, s17, 0
	s_lshl_b64 s[20:21], s[20:21], 8
	v_lshl_add_u64 v[26:27], v[26:27], 2, s[42:43]
	v_lshl_add_u64 v[28:29], v[28:29], 2, s[42:43]
	;; [unrolled: 1-line block ×3, first 2 shown]
	v_add3_u32 v33, v33, v37, v36
	v_lshl_add_u64 v[30:31], v[30:31], 2, s[42:43]
	global_load_ushort v46, v[34:35], off
	global_load_ushort v47, v[34:35], off offset:256
	global_load_ushort v48, v[34:35], off offset:512
	;; [unrolled: 1-line block ×3, first 2 shown]
	global_load_dword v50, v[26:27], off
	v_lshl_add_u64 v[26:27], v[32:33], 2, s[42:43]
	global_load_dword v51, v[28:29], off
	global_load_dword v52, v[30:31], off
	;; [unrolled: 1-line block ×3, first 2 shown]
	s_load_dword s2, s[2:3], 0x0
	ds_read2st64_b64 v[32:35], v82 offset1:1
	ds_read2st64_b64 v[36:39], v82 offset0:2 offset1:3
	ds_read_b64 v[30:31], v77 offset:24576
	ds_read_b64 v[40:41], v79 offset:24576
	;; [unrolled: 1-line block ×4, first 2 shown]
	s_waitcnt lgkmcnt(0)
	v_mfma_f32_16x16x16_bf16 a[0:3], v[30:31], v[32:33], a[0:3]
	v_mov_b32_e32 v100, 0
	v_mov_b32_e32 v26, 0
	v_mov_b32_e32 v27, 0
	v_mfma_f32_16x16x16_bf16 a[0:3], v[40:41], v[34:35], a[0:3]
	v_mov_b32_e32 v28, 0
	v_mov_b32_e32 v29, 0
	v_mov_b32_e32 v30, 0
	;; [unrolled: 4-line block ×4, first 2 shown]
	v_mov_b32_e32 v37, 0
	s_and_b64 vcc, exec, s[0:1]
	s_waitcnt vmcnt(7)
	v_lshlrev_b32_e32 v42, 16, v46
	s_waitcnt vmcnt(6)
	v_lshlrev_b32_e32 v43, 16, v47
	;; [unrolled: 2-line block ×4, first 2 shown]
	s_waitcnt vmcnt(3)
	v_sub_f32_e32 v46, s2, v50
	s_waitcnt vmcnt(2)
	v_sub_f32_e32 v47, s2, v51
	;; [unrolled: 2-line block ×4, first 2 shown]
	v_mul_f32_e32 v46, 0x3fb8aa3b, v46
	v_mul_f32_e32 v47, 0x3fb8aa3b, v47
	v_mul_f32_e32 v48, 0x3fb8aa3b, v48
	v_mul_f32_e32 v49, 0x3fb8aa3b, v49
	v_exp_f32_e32 v46, v46
	v_exp_f32_e32 v47, v47
	v_exp_f32_e32 v48, v48
	v_exp_f32_e32 v49, v49
	v_accvgpr_read_b32 v41, a1
	v_accvgpr_read_b32 v39, a3
	;; [unrolled: 1-line block ×4, first 2 shown]
	v_pk_add_f32 v[40:41], v[42:43], v[40:41] neg_lo:[0,1] neg_hi:[0,1]
	v_pk_add_f32 v[38:39], v[44:45], v[38:39] neg_lo:[0,1] neg_hi:[0,1]
	v_pk_mul_f32 v[40:41], v[46:47], v[40:41]
	v_pk_mul_f32 v[38:39], v[48:49], v[38:39]
	s_nop 0
	v_perm_b32 v39, v39, v38, s35
	v_perm_b32 v38, v41, v40, s35
	ds_write_b64 v74, v[38:39]
	v_mov_b32_e32 v38, 0
	v_mov_b32_e32 v39, 0
	;; [unrolled: 1-line block ×4, first 2 shown]
	s_cbranch_vccnz .LBB716_14
; %bb.13:                               ;   in Loop: Header=BB716_6 Depth=1
	s_and_b32 s25, s25, 0xffff
	s_mov_b32 s27, s23
	buffer_load_dwordx4 v[38:41], v84, s[24:27], 0 offen
	buffer_load_dwordx4 v[30:33], v84, s[24:27], s60 offen
	;; [unrolled: 1-line block ×4, first 2 shown]
	v_mov_b32_e32 v99, v68
	v_mov_b32_e32 v100, v67
.LBB716_14:                             ;   in Loop: Header=BB716_6 Depth=1
	s_waitcnt lgkmcnt(0)
	s_barrier
	ds_read_b64 v[42:43], v87
	ds_read_b64 v[48:49], v88
	ds_read2st64_b64 v[44:47], v82 offset1:1
	ds_read2st64_b64 v[102:105], v82 offset0:2 offset1:3
	ds_read_b64 v[50:51], v89
	ds_read_b64 v[110:111], v90
	s_add_i32 s3, s55, s66
	s_mul_hi_i32 s21, s3, s13
	s_mul_i32 s3, s3, s13
	s_waitcnt lgkmcnt(3)
	v_mfma_f32_16x16x16_bf16 a[0:3], v[42:43], v[44:45], 0
	ds_read_b64 v[42:43], v92
	s_add_u32 s20, s3, s48
	s_addc_u32 s21, s21, s52
	s_add_i32 s3, s31, s62
	v_mfma_f32_16x16x16_bf16 a[0:3], v[48:49], v[46:47], a[0:3]
	ds_read_b64 v[48:49], v93
	s_lshl_b64 s[20:21], s[20:21], 15
	s_mul_hi_i32 s25, s3, s13
	s_mul_i32 s3, s3, s13
	s_add_u32 s24, s3, s48
	s_addc_u32 s25, s25, s52
	s_lshl_b64 s[24:25], s[24:25], 9
	s_add_u32 s24, s40, s24
	s_waitcnt lgkmcnt(1)
	v_mfma_f32_16x16x16_bf16 a[4:7], v[42:43], v[44:45], 0
	s_addc_u32 s25, s41, s25
	s_and_b64 vcc, exec, s[0:1]
	v_mfma_f32_16x16x16_bf16 a[0:3], v[50:51], v[102:103], a[0:3]
	ds_read_b64 v[50:51], v94
	ds_read_b64 v[112:113], v95
	global_load_dwordx4 v[42:45], v91, s[24:25]
	s_waitcnt lgkmcnt(2)
	v_mfma_f32_16x16x16_bf16 a[4:7], v[48:49], v[46:47], a[4:7]
	global_load_dwordx4 v[46:49], v86, s[24:25]
	ds_read_b64 v[106:107], v55
	ds_read_b64 v[108:109], v83
	s_waitcnt lgkmcnt(3)
	v_mfma_f32_16x16x16_bf16 a[8:11], v[50:51], v[102:103], a[4:7]
	v_lshl_add_u64 v[50:51], v[56:57], 0, s[20:21]
	s_waitcnt lgkmcnt(0)
	global_store_dwordx4 v[50:51], v[106:109], off
	v_mfma_f32_16x16x16_bf16 a[4:7], v[110:111], v[104:105], a[0:3]
	s_waitcnt vmcnt(2)
	v_mov_b32_e32 v52, v45
	v_mfma_f32_16x16x16_bf16 a[0:3], v[112:113], v[104:105], a[8:11]
	v_mov_b32_e32 v51, v44
	v_mov_b32_e32 v50, v43
	s_cbranch_vccnz .LBB716_16
; %bb.15:                               ;   in Loop: Header=BB716_6 Depth=1
	v_lshrrev_b32_e32 v43, 3, v99
	v_and_b32_e32 v43, 6, v43
	v_xor_b32_e32 v44, v43, v100
	v_lshlrev_b32_e32 v44, 2, v44
	v_and_b32_e32 v45, 8, v99
	v_xor_b32_e32 v99, 0x440, v44
	v_cmp_eq_u32_e32 vcc, 0, v45
	v_perm_b32 v45, v30, v26, s63
	s_nop 0
	v_cndmask_b32_e32 v44, v99, v44, vcc
	v_lshl_or_b32 v43, v43, 10, v44
	v_perm_b32 v44, v38, v34, s63
	s_barrier
	ds_write2st64_b32 v43, v44, v45 offset1:32
	v_xor_b32_e32 v44, 8, v43
	v_perm_b32 v34, v38, v34, s64
	v_perm_b32 v26, v30, v26, s64
	v_add_u32_e32 v30, 0x80, v44
	ds_write2st64_b32 v30, v34, v26 offset1:32
	v_xor_b32_e32 v26, 16, v43
	v_perm_b32 v30, v39, v35, s63
	v_perm_b32 v34, v31, v27, s63
	ds_write2st64_b32 v26, v30, v34 offset0:1 offset1:33
	v_xor_b32_e32 v26, 24, v43
	v_perm_b32 v30, v39, v35, s64
	v_perm_b32 v27, v31, v27, s64
	v_add_u32_e32 v26, 0x80, v26
	ds_write2st64_b32 v26, v30, v27 offset0:1 offset1:33
	v_xor_b32_e32 v26, 32, v43
	v_perm_b32 v27, v40, v36, s63
	v_perm_b32 v30, v32, v28, s63
	ds_write2st64_b32 v26, v27, v30 offset0:2 offset1:34
	v_xor_b32_e32 v26, 40, v43
	v_perm_b32 v27, v40, v36, s64
	v_perm_b32 v28, v32, v28, s64
	v_add_u32_e32 v26, 0x80, v26
	ds_write2st64_b32 v26, v27, v28 offset0:2 offset1:34
	v_xor_b32_e32 v26, 48, v43
	v_perm_b32 v27, v41, v37, s63
	v_perm_b32 v28, v33, v29, s63
	ds_write2st64_b32 v26, v27, v28 offset0:3 offset1:35
	v_xor_b32_e32 v26, 56, v43
	v_perm_b32 v27, v41, v37, s64
	v_perm_b32 v28, v33, v29, s64
	v_add_u32_e32 v26, 0x80, v26
	ds_write2st64_b32 v26, v27, v28 offset0:3 offset1:35
	ds_write_b64 v98, v[22:23] offset:16384
	v_xor_b32_e32 v22, 8, v98
	ds_write_b64 v22, v[24:25] offset:16384
	ds_write_b64 v98, v[18:19] offset:24576
	;; [unrolled: 1-line block ×4, first 2 shown]
	v_xor_b32_e32 v14, 8, v97
	ds_write_b64 v14, v[16:17] offset:16384
	ds_write_b64 v97, v[10:11] offset:24576
	;; [unrolled: 1-line block ×3, first 2 shown]
.LBB716_16:                             ;   in Loop: Header=BB716_6 Depth=1
	v_mul_f32_e32 v14, s2, v96
	v_exp_f32_e32 v18, v14
	s_waitcnt vmcnt(1)
	v_mul_f32_e32 v14, 0x3fb8aa3b, v46
	v_exp_f32_e32 v20, v14
	v_mul_f32_e32 v14, 0x3fb8aa3b, v47
	v_exp_f32_e32 v21, v14
	;; [unrolled: 2-line block ×4, first 2 shown]
	v_accvgpr_read_b32 v13, a7
	v_accvgpr_read_b32 v11, a5
	;; [unrolled: 1-line block ×3, first 2 shown]
	v_pk_mul_f32 v[20:21], v[18:19], v[20:21] op_sel_hi:[0,1]
	v_pk_fma_f32 v[6:7], v[6:7], v[20:21], v[10:11]
	v_pk_mul_f32 v[10:11], v[18:19], v[22:23] op_sel_hi:[0,1]
	v_mul_f32_e32 v19, 0x3fb8aa3b, v42
	v_exp_f32_e32 v20, v19
	v_mul_f32_e32 v19, 0x3fb8aa3b, v50
	v_exp_f32_e32 v21, v19
	;; [unrolled: 2-line block ×4, first 2 shown]
	v_accvgpr_read_b32 v12, a6
	v_accvgpr_read_b32 v17, a3
	;; [unrolled: 1-line block ×4, first 2 shown]
	v_pk_fma_f32 v[8:9], v[8:9], v[10:11], v[12:13]
	v_pk_mul_f32 v[10:11], v[18:19], v[20:21] op_sel_hi:[0,1]
	v_accvgpr_read_b32 v16, a2
	v_pk_fma_f32 v[2:3], v[2:3], v[10:11], v[14:15]
	v_pk_mul_f32 v[10:11], v[18:19], v[22:23] op_sel_hi:[0,1]
	s_add_i32 s62, s62, 64
	s_cmp_eq_u32 s51, s37
	v_pk_fma_f32 v[4:5], v[4:5], v[10:11], v[16:17]
	s_cbranch_scc1 .LBB716_18
; %bb.17:                               ;   in Loop: Header=BB716_6 Depth=1
	s_mov_b32 s66, s37
	s_branch .LBB716_6
.LBB716_18:
	s_lshl_b32 s26, s51, 6
	s_sub_i32 s27, s12, s26
	s_cmp_gt_i32 s27, 0
	s_cbranch_scc0 .LBB716_75
; %bb.19:
	s_ashr_i32 s2, s26, 31
	s_cmpk_lg_i32 s15, 0x80
	s_cselect_b64 s[22:23], -1, 0
	s_and_b64 vcc, exec, s[22:23]
	s_cbranch_vccz .LBB716_21
; %bb.20:
	s_mul_i32 s1, s50, s12
	s_mul_hi_i32 s0, s50, s12
	s_add_u32 s1, s1, s26
	s_addc_u32 s0, s0, s2
	s_mul_i32 s3, s1, s53
	s_mul_hi_u32 s17, s1, s14
	s_add_i32 s3, s17, s3
	s_mul_i32 s0, s0, s14
	s_add_i32 s3, s3, s0
	s_mul_i32 s1, s1, s14
	s_ashr_i32 s0, s54, 31
	s_add_u32 s24, s1, s54
	s_addc_u32 s25, s3, s0
	s_cbranch_execz .LBB716_22
	s_branch .LBB716_23
.LBB716_21:
                                        ; implicit-def: $sgpr24_sgpr25
.LBB716_22:
	s_mul_hi_i32 s0, s50, s14
	s_mul_i32 s50, s50, s14
	s_ashr_i32 s1, s54, 31
	s_add_u32 s3, s50, s54
	s_addc_u32 s0, s0, s1
	s_mul_i32 s1, s3, s49
	s_mul_hi_u32 s14, s3, s12
	s_add_i32 s1, s14, s1
	s_mul_i32 s0, s0, s12
	s_add_i32 s1, s1, s0
	s_mul_i32 s3, s3, s12
	s_add_u32 s24, s3, s26
	s_addc_u32 s25, s1, s2
.LBB716_23:
	s_mul_i32 s0, s38, s49
	s_add_i32 s0, s57, s0
	s_add_i32 s3, s55, s51
	;; [unrolled: 1-line block ×3, first 2 shown]
	s_add_u32 s0, s16, s26
	s_addc_u32 s1, s1, s2
	s_mov_b32 s2, 0x7060302
	s_waitcnt vmcnt(0)
	v_perm_b32 v5, v5, v4, s2
	v_perm_b32 v4, v3, v2, s2
	v_lshlrev_b32_e32 v2, 3, v62
	s_lshl_b64 s[20:21], s[0:1], 8
	v_perm_b32 v9, v9, v8, s2
	v_perm_b32 v8, v7, v6, s2
	v_lshlrev_b32_e32 v34, 2, v62
	v_lshl_or_b32 v2, v65, 5, v2
	s_add_u32 s0, s6, s20
	ds_write2st64_b64 v2, v[8:9], v[4:5] offset0:72 offset1:76
	v_xor_b32_e32 v2, v65, v34
	v_lshlrev_b32_e32 v3, 8, v62
	s_addc_u32 s1, s7, s21
	v_lshl_or_b32 v2, v2, 1, v3
	s_mul_hi_i32 s6, s3, s13
	s_mul_i32 s3, s3, s13
	ds_write_b64 v2, v[8:9] offset:32768
	v_xor_b32_e32 v2, v66, v34
	s_add_u32 s2, s3, s48
	v_lshl_or_b32 v2, v2, 1, v3
	s_addc_u32 s3, s6, s52
	v_lshlrev_b32_e32 v3, 1, v62
	ds_write_b64 v2, v[4:5] offset:32768
	v_lshrrev_b32_e32 v2, 4, v0
	s_ashr_i32 s37, s36, 31
	s_lshl_b64 s[2:3], s[2:3], 15
	v_or_b32_e32 v4, 1, v3
	s_add_u32 s6, s18, s2
	v_xor_b32_e32 v3, v2, v3
	v_xor_b32_e32 v4, v4, v2
	v_lshlrev_b32_e32 v6, 8, v2
	s_addc_u32 s7, s19, s3
	s_lshl_b64 s[2:3], s[36:37], 8
	v_lshl_or_b32 v2, v3, 3, v6
	v_lshl_or_b32 v4, v4, 3, v6
	s_waitcnt lgkmcnt(0)
	s_barrier
	s_add_u32 s2, s6, s2
	ds_read_b64 v[2:3], v2 offset:32768
	ds_read_b64 v[4:5], v4 offset:32768
	s_addc_u32 s3, s7, s3
	v_mov_b32_e32 v7, 0
	s_cmp_lg_u32 s27, 64
	v_lshl_add_u64 v[8:9], s[2:3], 0, v[6:7]
	v_lshlrev_b32_e32 v6, 4, v62
	s_cselect_b64 s[6:7], -1, 0
	v_lshl_or_b32 v35, v60, 3, v64
	s_mov_b32 s16, 0
	v_lshl_add_u64 v[6:7], v[8:9], 0, v[6:7]
	v_or_b32_e32 v19, 32, v35
	v_and_b32_e32 v18, 56, v63
	s_and_b64 vcc, exec, s[6:7]
	s_waitcnt lgkmcnt(0)
	global_store_dwordx4 v[6:7], v[2:5], off
	s_cbranch_vccz .LBB716_29
; %bb.24:
	s_mov_b32 s17, s16
	s_mov_b32 s18, s16
	;; [unrolled: 1-line block ×3, first 2 shown]
	v_mov_b64_e32 v[6:7], s[16:17]
	v_mov_b64_e32 v[8:9], s[18:19]
	;; [unrolled: 1-line block ×3, first 2 shown]
	v_cmp_gt_i32_e32 vcc, s27, v35
	v_mov_b64_e32 v[4:5], v[8:9]
	s_and_saveexec_b64 s[2:3], vcc
	s_cbranch_execz .LBB716_26
; %bb.25:
	v_lshlrev_b32_e32 v2, 8, v35
	v_mov_b32_e32 v3, 0
	v_lshl_add_u64 v[4:5], s[0:1], 0, v[2:3]
	v_lshlrev_b32_e32 v2, 1, v18
	v_lshl_add_u64 v[10:11], v[4:5], 0, v[2:3]
	global_load_dwordx4 v[6:9], v[10:11], off
	global_load_dwordx4 v[2:5], v[10:11], off offset:128
.LBB716_26:
	s_or_b64 exec, exec, s[2:3]
	s_mov_b32 s17, s16
	s_mov_b32 s18, s16
	;; [unrolled: 1-line block ×3, first 2 shown]
	v_mov_b64_e32 v[14:15], s[16:17]
	v_mov_b64_e32 v[16:17], s[18:19]
	;; [unrolled: 1-line block ×3, first 2 shown]
	v_cmp_gt_i32_e32 vcc, s27, v19
	v_lshlrev_b32_e32 v20, 7, v19
	v_mov_b64_e32 v[12:13], v[16:17]
	s_and_saveexec_b64 s[2:3], vcc
	s_cbranch_execz .LBB716_28
; %bb.27:
	v_lshlrev_b32_e32 v10, 1, v20
	v_mov_b32_e32 v11, 0
	v_lshl_add_u64 v[12:13], s[0:1], 0, v[10:11]
	v_lshlrev_b32_e32 v10, 1, v18
	v_lshl_add_u64 v[22:23], v[12:13], 0, v[10:11]
	global_load_dwordx4 v[14:17], v[22:23], off
	global_load_dwordx4 v[10:13], v[22:23], off offset:128
.LBB716_28:
	s_or_b64 exec, exec, s[2:3]
	v_lshrrev_b32_e32 v21, 3, v18
	v_lshlrev_b32_e32 v22, 3, v35
	v_or_b32_e32 v21, v22, v21
	v_lshlrev_b32_e32 v21, 4, v21
	v_and_b32_e32 v22, 0x78, v22
	v_xor_b32_e32 v21, v21, v22
	s_branch .LBB716_31
.LBB716_29:
                                        ; implicit-def: $vgpr21
                                        ; implicit-def: $vgpr20
                                        ; implicit-def: $vgpr6_vgpr7_vgpr8_vgpr9
                                        ; implicit-def: $vgpr2_vgpr3_vgpr4_vgpr5
                                        ; implicit-def: $vgpr14_vgpr15_vgpr16_vgpr17
                                        ; implicit-def: $vgpr10_vgpr11_vgpr12_vgpr13
	s_cbranch_execz .LBB716_31
; %bb.30:
	s_waitcnt vmcnt(0)
	v_lshlrev_b32_e32 v2, 1, v18
	v_lshl_or_b32 v20, v35, 8, v2
	s_and_b32 s1, s1, 0xffff
	s_mov_b32 s3, 0x20000
	s_movk_i32 s2, 0x4000
	v_lshl_or_b32 v21, v19, 8, v2
	s_movk_i32 s13, 0x80
	buffer_load_dwordx4 v[6:9], v20, s[0:3], 0 offen
	buffer_load_dwordx4 v[2:5], v20, s[0:3], s13 offen
	;; [unrolled: 1-line block ×4, first 2 shown]
	v_lshrrev_b32_e32 v20, 3, v18
	v_lshlrev_b32_e32 v21, 3, v35
	v_or_b32_e32 v20, v21, v20
	v_lshlrev_b32_e32 v20, 4, v20
	v_and_b32_e32 v21, 0x78, v21
	v_xor_b32_e32 v21, v20, v21
	v_lshlrev_b32_e32 v20, 7, v19
.LBB716_31:
	s_lshl_b64 s[0:1], s[24:25], 8
	s_add_u32 s4, s4, s0
	s_movk_i32 s0, 0x1000
	v_and_or_b32 v19, v20, s0, v21
	s_waitcnt vmcnt(1)
	ds_write_b64 v21, v[6:7] offset:16384
	v_xor_b32_e32 v6, 8, v21
	ds_write_b64 v6, v[8:9] offset:16384
	s_waitcnt vmcnt(0)
	ds_write_b64 v21, v[2:3] offset:24576
	ds_write_b64 v6, v[4:5] offset:24576
	;; [unrolled: 1-line block ×3, first 2 shown]
	v_xor_b32_e32 v2, 8, v19
	ds_write_b64 v2, v[16:17] offset:16384
	ds_write_b64 v19, v[10:11] offset:24576
	;; [unrolled: 1-line block ×3, first 2 shown]
	v_or_b32_e32 v2, v1, v62
	s_addc_u32 s5, s5, s1
	s_add_i32 s0, s12, -1
	v_lshlrev_b32_e32 v2, 3, v2
	v_lshrrev_b32_e32 v4, 5, v53
	s_movk_i32 s12, 0xf8
	v_and_or_b32 v4, v2, s12, v4
	v_lshlrev_b32_e32 v3, 11, v60
	v_lshlrev_b32_e32 v12, 4, v4
	v_and_b32_e32 v13, 0x78, v2
	v_and_b32_e32 v14, 0x1000, v3
	v_lshlrev_b32_e32 v3, 2, v0
	v_xor_b32_e32 v2, v12, v13
	v_lshrrev_b32_e32 v4, 1, v53
	v_and_b32_e32 v3, 60, v3
	v_or_b32_e32 v2, v2, v14
	v_and_b32_e32 v15, 8, v4
	v_xor_b32_e32 v26, v2, v15
	v_lshl_or_b32 v2, v61, 6, v3
	v_lshlrev_b32_e32 v19, 1, v2
	v_or_b32_e32 v2, 32, v12
	v_xor_b32_e32 v2, v2, v13
	s_waitcnt lgkmcnt(0)
	s_barrier
	ds_read_b64 v[10:11], v26 offset:16384
	v_or_b32_e32 v2, v2, v14
	v_xor_b32_e32 v27, v2, v15
	v_or_b32_e32 v2, 64, v12
	v_xor_b32_e32 v2, v2, v13
	v_or_b32_e32 v2, v2, v14
	v_or_b32_e32 v12, 0x60, v12
	v_xor_b32_e32 v28, v2, v15
	ds_read2st64_b64 v[2:5], v19 offset0:72 offset1:73
	ds_read2st64_b64 v[6:9], v19 offset0:74 offset1:75
	v_xor_b32_e32 v16, v12, v13
	ds_read_b64 v[12:13], v27 offset:16384
	s_add_i32 s1, s44, s33
	s_waitcnt lgkmcnt(2)
	v_mfma_f32_16x16x16_bf16 a[0:3], v[10:11], v[2:3], 0
	s_add_i32 s35, s1, s45
	s_add_i32 s1, s46, s39
	;; [unrolled: 1-line block ×3, first 2 shown]
	s_ashr_i32 s1, s0, 31
	s_mul_i32 s2, s0, s29
	s_mul_hi_u32 s3, s0, s28
	s_add_i32 s2, s3, s2
	s_mul_i32 s1, s1, s28
	v_or_b32_e32 v14, v16, v14
	s_add_i32 s1, s2, s1
	s_lshl_b64 s[2:3], s[34:35], 2
	v_xor_b32_e32 v36, v14, v15
	ds_read_b64 v[14:15], v28 offset:16384
	ds_read_b64 v[16:17], v36 offset:16384
	s_waitcnt lgkmcnt(2)
	v_mfma_f32_16x16x16_bf16 a[0:3], v[12:13], v[4:5], a[0:3]
	s_add_u32 s10, s10, s2
	s_addc_u32 s11, s11, s3
	s_lshl_b64 s[2:3], s[30:31], 2
	s_mul_i32 s0, s0, s28
	s_add_u32 s10, s10, s2
	s_addc_u32 s11, s11, s3
	s_lshl_b64 s[0:1], s[0:1], 2
	s_waitcnt lgkmcnt(1)
	v_mfma_f32_16x16x16_bf16 a[0:3], v[14:15], v[6:7], a[0:3]
	s_add_u32 s0, s10, s0
	s_addc_u32 s1, s11, s1
	s_load_dword s12, s[0:1], 0x0
	s_waitcnt lgkmcnt(0)
	v_mfma_f32_16x16x16_bf16 a[0:3], v[16:17], v[8:9], a[0:3]
	s_and_b64 vcc, exec, s[22:23]
	s_cbranch_vccz .LBB716_42
; %bb.32:
	v_lshlrev_b32_e32 v20, 1, v35
	s_and_b64 vcc, exec, s[6:7]
	s_cbranch_vccz .LBB716_43
; %bb.33:
	v_cmp_gt_i32_e32 vcc, s27, v20
	v_mov_b32_e32 v6, 0
	v_mov_b32_e32 v2, 0
	;; [unrolled: 1-line block ×5, first 2 shown]
	s_and_saveexec_b64 s[0:1], vcc
	s_cbranch_execz .LBB716_35
; %bb.34:
	v_mad_i64_i32 v[2:3], s[2:3], s15, v20, 0
	v_lshl_add_u64 v[2:3], v[2:3], 1, s[4:5]
	v_lshlrev_b32_e32 v4, 1, v18
	v_mov_b32_e32 v5, 0
	v_lshl_add_u64 v[2:3], v[2:3], 0, v[4:5]
	global_load_dwordx4 v[2:5], v[2:3], off
.LBB716_35:
	s_or_b64 exec, exec, s[0:1]
	v_or_b32_e32 v21, 1, v20
	v_cmp_gt_i32_e64 s[0:1], s27, v21
	v_mov_b32_e32 v7, 0
	v_mov_b32_e32 v8, 0
	;; [unrolled: 1-line block ×3, first 2 shown]
	s_and_saveexec_b64 s[2:3], s[0:1]
	s_cbranch_execz .LBB716_37
; %bb.36:
	v_mad_i64_i32 v[6:7], s[16:17], s15, v21, 0
	v_lshl_add_u64 v[6:7], v[6:7], 1, s[4:5]
	v_lshlrev_b32_e32 v8, 1, v18
	v_mov_b32_e32 v9, 0
	v_lshl_add_u64 v[6:7], v[6:7], 0, v[8:9]
	global_load_dwordx4 v[6:9], v[6:7], off
.LBB716_37:
	s_or_b64 exec, exec, s[2:3]
	v_mov_b32_e32 v17, 0
	v_mov_b32_e32 v10, 0
	v_mov_b32_e32 v11, 0
	v_mov_b32_e32 v12, 0
	v_mov_b32_e32 v13, 0
	s_and_saveexec_b64 s[2:3], vcc
	s_cbranch_execz .LBB716_39
; %bb.38:
	v_mad_i64_i32 v[10:11], s[16:17], s15, v20, 0
	v_lshl_add_u64 v[10:11], v[10:11], 1, s[4:5]
	v_lshlrev_b32_e32 v12, 1, v18
	v_mov_b32_e32 v13, 0
	v_lshl_add_u64 v[10:11], v[10:11], 0, v[12:13]
	global_load_dwordx4 v[10:13], v[10:11], off offset:128
.LBB716_39:
	s_or_b64 exec, exec, s[2:3]
	v_mov_b32_e32 v16, 0
	v_mov_b32_e32 v15, 0
	;; [unrolled: 1-line block ×3, first 2 shown]
	s_and_saveexec_b64 s[2:3], s[0:1]
	s_cbranch_execz .LBB716_41
; %bb.40:
	v_mad_i64_i32 v[14:15], s[0:1], s15, v21, 0
	v_lshl_add_u64 v[14:15], v[14:15], 1, s[4:5]
	v_lshlrev_b32_e32 v16, 1, v18
	v_mov_b32_e32 v17, 0
	v_lshl_add_u64 v[14:15], v[14:15], 0, v[16:17]
	global_load_dwordx4 v[14:17], v[14:15], off offset:128
.LBB716_41:
	s_or_b64 exec, exec, s[2:3]
	s_branch .LBB716_45
.LBB716_42:
                                        ; implicit-def: $vgpr5
                                        ; implicit-def: $vgpr9
                                        ; implicit-def: $vgpr13
                                        ; implicit-def: $vgpr17
	v_lshrrev_b32_e32 v37, 2, v53
	s_branch .LBB716_46
.LBB716_43:
                                        ; implicit-def: $vgpr5
                                        ; implicit-def: $vgpr9
                                        ; implicit-def: $vgpr13
                                        ; implicit-def: $vgpr17
	s_cbranch_execz .LBB716_45
; %bb.44:
	s_waitcnt vmcnt(0)
	v_mad_u64_u32 v[2:3], s[0:1], v20, s15, v[18:19]
	v_lshlrev_b32_e32 v20, 1, v2
	s_lshl_b32 s2, s15, 7
	s_and_b32 s1, s5, 0xffff
	s_mov_b32 s3, 0x20000
	s_mov_b32 s0, s4
	v_add_lshl_u32 v21, v2, s15, 1
	s_movk_i32 s13, 0x80
	buffer_load_dwordx4 v[2:5], v20, s[0:3], 0 offen
	buffer_load_dwordx4 v[10:13], v20, s[0:3], s13 offen
	;; [unrolled: 1-line block ×4, first 2 shown]
.LBB716_45:
	v_lshrrev_b32_e32 v37, 2, v53
	s_cbranch_execnz .LBB716_58
.LBB716_46:
	s_and_b64 vcc, exec, s[6:7]
	s_cbranch_vccz .LBB716_56
; %bb.47:
	s_waitcnt vmcnt(0)
	v_lshlrev_b32_e32 v7, 1, v35
	v_cmp_gt_i32_e32 vcc, s27, v7
	v_mov_b32_e32 v6, 0
	v_lshlrev_b32_e32 v14, 9, v35
	v_mov_b32_e32 v2, 0
	v_mov_b32_e32 v3, 0
	;; [unrolled: 1-line block ×4, first 2 shown]
	s_and_saveexec_b64 s[0:1], vcc
	s_cbranch_execz .LBB716_49
; %bb.48:
	v_mov_b32_e32 v15, 0
	v_lshl_add_u64 v[2:3], s[4:5], 0, v[14:15]
	v_lshlrev_b32_e32 v4, 1, v18
	v_mov_b32_e32 v5, v15
	v_lshl_add_u64 v[2:3], v[2:3], 0, v[4:5]
	global_load_dwordx4 v[2:5], v[2:3], off
.LBB716_49:
	s_or_b64 exec, exec, s[0:1]
	v_or_b32_e32 v7, 1, v7
	v_cmp_gt_i32_e64 s[0:1], s27, v7
	v_lshlrev_b32_e32 v20, 8, v7
	v_mov_b32_e32 v7, 0
	v_mov_b32_e32 v8, 0
	;; [unrolled: 1-line block ×3, first 2 shown]
	s_and_saveexec_b64 s[2:3], s[0:1]
	s_cbranch_execz .LBB716_51
; %bb.50:
	v_mov_b32_e32 v21, 0
	v_lshl_add_u64 v[6:7], s[4:5], 0, v[20:21]
	v_lshlrev_b32_e32 v8, 1, v18
	v_mov_b32_e32 v9, v21
	v_lshl_add_u64 v[6:7], v[6:7], 0, v[8:9]
	global_load_dwordx4 v[6:9], v[6:7], off
.LBB716_51:
	s_or_b64 exec, exec, s[2:3]
	v_mov_b32_e32 v17, 0
	v_mov_b32_e32 v10, 0
	;; [unrolled: 1-line block ×5, first 2 shown]
	s_and_saveexec_b64 s[2:3], vcc
	s_cbranch_execz .LBB716_53
; %bb.52:
	v_mov_b32_e32 v15, 0
	v_lshl_add_u64 v[10:11], s[4:5], 0, v[14:15]
	v_lshlrev_b32_e32 v14, 1, v18
	v_lshl_add_u64 v[10:11], v[10:11], 0, v[14:15]
	global_load_dwordx4 v[10:13], v[10:11], off offset:128
.LBB716_53:
	s_or_b64 exec, exec, s[2:3]
	v_mov_b32_e32 v16, 0
	v_mov_b32_e32 v15, 0
	;; [unrolled: 1-line block ×3, first 2 shown]
	s_and_saveexec_b64 s[2:3], s[0:1]
	s_cbranch_execz .LBB716_55
; %bb.54:
	v_mov_b32_e32 v21, 0
	v_lshl_add_u64 v[14:15], s[4:5], 0, v[20:21]
	v_lshlrev_b32_e32 v20, 1, v18
	v_lshl_add_u64 v[14:15], v[14:15], 0, v[20:21]
	global_load_dwordx4 v[14:17], v[14:15], off offset:128
.LBB716_55:
	s_or_b64 exec, exec, s[2:3]
	s_branch .LBB716_58
.LBB716_56:
                                        ; implicit-def: $vgpr5
                                        ; implicit-def: $vgpr9
                                        ; implicit-def: $vgpr13
                                        ; implicit-def: $vgpr17
	s_cbranch_execz .LBB716_58
; %bb.57:
	s_waitcnt vmcnt(0)
	v_lshlrev_b32_e32 v2, 1, v18
	v_lshl_or_b32 v18, v35, 9, v2
	s_and_b32 s5, s5, 0xffff
	s_mov_b32 s7, 0x20000
	s_movk_i32 s6, 0x4000
	s_movk_i32 s0, 0x80
	buffer_load_dwordx4 v[2:5], v18, s[4:7], 0 offen
	buffer_load_dwordx4 v[6:9], v18, s[4:7], 0 offen offset:256
	buffer_load_dwordx4 v[10:13], v18, s[4:7], s0 offen
	buffer_load_dwordx4 v[14:17], v18, s[4:7], s0 offen offset:256
.LBB716_58:
	ds_read2st64_b64 v[22:25], v19 offset0:76 offset1:77
	ds_read2st64_b64 v[18:21], v19 offset0:78 offset1:79
	ds_read_b64 v[30:31], v26 offset:24576
	ds_read_b64 v[32:33], v27 offset:24576
	;; [unrolled: 1-line block ×4, first 2 shown]
	v_and_b32_e32 v36, 6, v0
	v_xor_b32_e32 v35, v35, v36
	v_lshlrev_b32_e32 v35, 2, v35
	v_and_b32_e32 v0, 1, v0
	v_xor_b32_e32 v38, 0x440, v35
	v_cmp_eq_u32_e32 vcc, 0, v0
	s_mov_b32 s0, 0x1000504
	s_mov_b32 s1, 0x3020706
	v_cndmask_b32_e32 v0, v38, v35, vcc
	v_lshl_or_b32 v0, v36, 10, v0
	s_waitcnt vmcnt(0)
	v_perm_b32 v35, v2, v6, s0
	v_perm_b32 v36, v10, v14, s0
	ds_write2st64_b32 v0, v35, v36 offset1:32
	v_xor_b32_e32 v35, 8, v0
	v_perm_b32 v2, v2, v6, s1
	v_perm_b32 v6, v10, v14, s1
	v_add_u32_e32 v10, 0x80, v35
	ds_write2st64_b32 v10, v2, v6 offset1:32
	v_xor_b32_e32 v2, 16, v0
	v_perm_b32 v6, v3, v7, s0
	v_perm_b32 v10, v11, v15, s0
	ds_write2st64_b32 v2, v6, v10 offset0:1 offset1:33
	v_xor_b32_e32 v2, 24, v0
	v_perm_b32 v3, v3, v7, s1
	v_perm_b32 v6, v11, v15, s1
	v_add_u32_e32 v2, 0x80, v2
	ds_write2st64_b32 v2, v3, v6 offset0:1 offset1:33
	v_xor_b32_e32 v2, 32, v0
	v_perm_b32 v3, v4, v8, s0
	v_perm_b32 v6, v12, v16, s0
	ds_write2st64_b32 v2, v3, v6 offset0:2 offset1:34
	v_xor_b32_e32 v2, 40, v0
	v_perm_b32 v3, v4, v8, s1
	v_perm_b32 v4, v12, v16, s1
	v_add_u32_e32 v2, 0x80, v2
	ds_write2st64_b32 v2, v3, v4 offset0:2 offset1:34
	v_xor_b32_e32 v2, 48, v0
	v_perm_b32 v3, v5, v9, s0
	v_perm_b32 v4, v13, v17, s0
	v_xor_b32_e32 v0, 56, v0
	v_and_or_b32 v6, v37, 12, v1
	ds_write2st64_b32 v2, v3, v4 offset0:3 offset1:35
	v_perm_b32 v2, v5, v9, s1
	v_perm_b32 v3, v13, v17, s1
	v_add_u32_e32 v0, 0x80, v0
	v_cmp_gt_i32_e32 vcc, s27, v6
	v_mov_b32_e32 v7, 0
	v_mov_b32_e32 v11, 0
	ds_write2st64_b32 v0, v2, v3 offset0:3 offset1:35
	s_and_saveexec_b64 s[0:1], vcc
	s_cbranch_execz .LBB716_60
; %bb.59:
	v_add_u32_e32 v0, s26, v6
	v_ashrrev_i32_e32 v1, 31, v0
	v_mul_lo_u32 v2, v1, s28
	v_mul_lo_u32 v3, v0, s29
	v_mad_u64_u32 v[0:1], s[2:3], v0, s28, 0
	v_add3_u32 v1, v1, v3, v2
	v_lshl_add_u64 v[0:1], v[0:1], 2, s[10:11]
	global_load_dword v0, v[0:1], off
	s_waitcnt vmcnt(0)
	v_sub_f32_e32 v0, s12, v0
	v_mul_f32_e32 v0, 0x3fb8aa3b, v0
	v_exp_f32_e32 v11, v0
.LBB716_60:
	s_or_b64 exec, exec, s[0:1]
	v_or_b32_e32 v9, 1, v6
	v_cmp_gt_i32_e64 s[0:1], s27, v9
	s_and_saveexec_b64 s[2:3], s[0:1]
	s_cbranch_execz .LBB716_62
; %bb.61:
	v_add_u32_e32 v0, s26, v9
	v_ashrrev_i32_e32 v1, 31, v0
	v_mul_lo_u32 v2, v1, s28
	v_mul_lo_u32 v3, v0, s29
	v_mad_u64_u32 v[0:1], s[4:5], v0, s28, 0
	v_add3_u32 v1, v1, v3, v2
	v_lshl_add_u64 v[0:1], v[0:1], 2, s[10:11]
	global_load_dword v0, v[0:1], off
	s_waitcnt vmcnt(0)
	v_sub_f32_e32 v0, s12, v0
	v_mul_f32_e32 v0, 0x3fb8aa3b, v0
	v_exp_f32_e32 v7, v0
.LBB716_62:
	s_or_b64 exec, exec, s[2:3]
	v_or_b32_e32 v10, 2, v6
	v_cmp_gt_i32_e64 s[2:3], s27, v10
	v_mov_b32_e32 v8, 0
	v_mov_b32_e32 v13, 0
	s_and_saveexec_b64 s[4:5], s[2:3]
	s_cbranch_execz .LBB716_64
; %bb.63:
	v_add_u32_e32 v0, s26, v10
	v_ashrrev_i32_e32 v1, 31, v0
	v_mul_lo_u32 v2, v1, s28
	v_mul_lo_u32 v3, v0, s29
	v_mad_u64_u32 v[0:1], s[6:7], v0, s28, 0
	v_add3_u32 v1, v1, v3, v2
	v_lshl_add_u64 v[0:1], v[0:1], 2, s[10:11]
	global_load_dword v0, v[0:1], off
	s_waitcnt vmcnt(0)
	v_sub_f32_e32 v0, s12, v0
	v_mul_f32_e32 v0, 0x3fb8aa3b, v0
	v_exp_f32_e32 v13, v0
.LBB716_64:
	s_or_b64 exec, exec, s[4:5]
	v_or_b32_e32 v12, 3, v6
	v_cmp_gt_i32_e64 s[4:5], s27, v12
	s_and_saveexec_b64 s[6:7], s[4:5]
	s_cbranch_execz .LBB716_66
; %bb.65:
	v_add_u32_e32 v0, s26, v12
	v_ashrrev_i32_e32 v1, 31, v0
	v_mul_lo_u32 v2, v1, s28
	v_mul_lo_u32 v3, v0, s29
	v_mad_u64_u32 v[0:1], s[14:15], v0, s28, 0
	v_add3_u32 v1, v1, v3, v2
	v_lshl_add_u64 v[0:1], v[0:1], 2, s[10:11]
	global_load_dword v0, v[0:1], off
	s_waitcnt vmcnt(0)
	v_sub_f32_e32 v0, s12, v0
	v_mul_f32_e32 v0, 0x3fb8aa3b, v0
	v_exp_f32_e32 v8, v0
.LBB716_66:
	s_or_b64 exec, exec, s[6:7]
	s_waitcnt lgkmcnt(11)
	v_mfma_f32_16x16x16_bf16 a[0:3], v[30:31], v[22:23], a[0:3]
	s_add_u32 s6, s8, s20
	v_ashrrev_i32_e32 v55, 31, v54
	s_addc_u32 s7, s9, s21
	s_waitcnt lgkmcnt(10)
	v_mfma_f32_16x16x16_bf16 a[0:3], v[32:33], v[24:25], a[0:3]
	v_mov_b32_e32 v14, 0
	v_lshl_add_u64 v[4:5], v[54:55], 1, s[6:7]
	v_mov_b32_e32 v15, 0
	s_waitcnt lgkmcnt(9)
	v_mfma_f32_16x16x16_bf16 a[0:3], v[28:29], v[18:19], a[0:3]
	s_waitcnt lgkmcnt(8)
	v_mfma_f32_16x16x16_bf16 a[0:3], v[26:27], v[20:21], a[0:3]
	s_nop 6
	v_accvgpr_read_b32 v0, a0
	v_accvgpr_read_b32 v1, a1
	;; [unrolled: 1-line block ×4, first 2 shown]
	s_and_saveexec_b64 s[6:7], vcc
	s_cbranch_execz .LBB716_68
; %bb.67:
	v_lshlrev_b32_e32 v16, 8, v6
	v_mov_b32_e32 v17, 0
	v_lshl_add_u64 v[16:17], v[4:5], 0, v[16:17]
	global_load_ushort v15, v[16:17], off
	s_waitcnt vmcnt(0)
	v_lshlrev_b32_e32 v15, 16, v15
	v_sub_f32_e32 v0, v15, v0
	v_mul_f32_e32 v0, v11, v0
	v_lshrrev_b32_e32 v15, 16, v0
.LBB716_68:
	s_or_b64 exec, exec, s[6:7]
	s_and_saveexec_b64 s[6:7], s[0:1]
	s_cbranch_execz .LBB716_70
; %bb.69:
	v_lshlrev_b32_e32 v16, 8, v9
	v_mov_b32_e32 v17, 0
	v_lshl_add_u64 v[16:17], v[4:5], 0, v[16:17]
	global_load_ushort v0, v[16:17], off
	s_waitcnt vmcnt(0)
	v_lshlrev_b32_e32 v0, 16, v0
	v_sub_f32_e32 v0, v0, v1
	v_mul_f32_e32 v0, v7, v0
	v_lshrrev_b32_e32 v14, 16, v0
.LBB716_70:
	s_or_b64 exec, exec, s[6:7]
	v_mov_b32_e32 v0, 0
	v_mov_b32_e32 v1, 0
	s_and_saveexec_b64 s[0:1], s[2:3]
	s_cbranch_execz .LBB716_72
; %bb.71:
	v_lshlrev_b32_e32 v10, 8, v10
	v_mov_b32_e32 v11, 0
	v_lshl_add_u64 v[10:11], v[4:5], 0, v[10:11]
	global_load_ushort v1, v[10:11], off
	s_waitcnt vmcnt(0)
	v_lshlrev_b32_e32 v1, 16, v1
	v_sub_f32_e32 v1, v1, v2
	v_mul_f32_e32 v1, v13, v1
	v_lshrrev_b32_e32 v1, 16, v1
.LBB716_72:
	s_or_b64 exec, exec, s[0:1]
	s_and_saveexec_b64 s[0:1], s[4:5]
	s_cbranch_execz .LBB716_74
; %bb.73:
	v_lshlrev_b32_e32 v10, 8, v12
	v_mov_b32_e32 v11, 0
	v_lshl_add_u64 v[4:5], v[4:5], 0, v[10:11]
	global_load_ushort v0, v[4:5], off
	s_waitcnt vmcnt(0)
	v_lshlrev_b32_e32 v0, 16, v0
	v_sub_f32_e32 v0, v0, v3
	v_mul_f32_e32 v0, v8, v0
	v_lshrrev_b32_e32 v0, 16, v0
.LBB716_74:
	s_or_b64 exec, exec, s[0:1]
	s_mov_b32 s0, 0x5040100
	v_lshlrev_b32_e32 v2, 1, v34
	v_perm_b32 v1, v0, v1, s0
	v_perm_b32 v0, v14, v15, s0
	v_lshl_or_b32 v2, v6, 5, v2
	ds_write_b64 v2, v[0:1] offset:38912
	s_waitcnt lgkmcnt(0)
	s_barrier
.LBB716_75:
	s_endpgm
	.section	.rodata,"a",@progbits
	.p2align	6, 0x0
	.amdhsa_kernel _ZN12_GLOBAL__N_139chunk_gated_delta_rule_fwd_h_hip_kernelILi16ELb1ELb0ELb0ELb0ELb0ELb1ELb1ELb0EEEvPK12hip_bfloat16S3_S3_PKfS5_PKvPS1_S8_PvPKiSB_iiiiilll
		.amdhsa_group_segment_fixed_size 40960
		.amdhsa_private_segment_fixed_size 0
		.amdhsa_kernarg_size 136
		.amdhsa_user_sgpr_count 2
		.amdhsa_user_sgpr_dispatch_ptr 0
		.amdhsa_user_sgpr_queue_ptr 0
		.amdhsa_user_sgpr_kernarg_segment_ptr 1
		.amdhsa_user_sgpr_dispatch_id 0
		.amdhsa_user_sgpr_kernarg_preload_length 0
		.amdhsa_user_sgpr_kernarg_preload_offset 0
		.amdhsa_user_sgpr_private_segment_size 0
		.amdhsa_uses_dynamic_stack 0
		.amdhsa_enable_private_segment 0
		.amdhsa_system_sgpr_workgroup_id_x 1
		.amdhsa_system_sgpr_workgroup_id_y 1
		.amdhsa_system_sgpr_workgroup_id_z 0
		.amdhsa_system_sgpr_workgroup_info 0
		.amdhsa_system_vgpr_workitem_id 0
		.amdhsa_next_free_vgpr 128
		.amdhsa_next_free_sgpr 67
		.amdhsa_accum_offset 116
		.amdhsa_reserve_vcc 1
		.amdhsa_float_round_mode_32 0
		.amdhsa_float_round_mode_16_64 0
		.amdhsa_float_denorm_mode_32 3
		.amdhsa_float_denorm_mode_16_64 3
		.amdhsa_dx10_clamp 1
		.amdhsa_ieee_mode 1
		.amdhsa_fp16_overflow 0
		.amdhsa_tg_split 0
		.amdhsa_exception_fp_ieee_invalid_op 0
		.amdhsa_exception_fp_denorm_src 0
		.amdhsa_exception_fp_ieee_div_zero 0
		.amdhsa_exception_fp_ieee_overflow 0
		.amdhsa_exception_fp_ieee_underflow 0
		.amdhsa_exception_fp_ieee_inexact 0
		.amdhsa_exception_int_div_zero 0
	.end_amdhsa_kernel
	.section	.text._ZN12_GLOBAL__N_139chunk_gated_delta_rule_fwd_h_hip_kernelILi16ELb1ELb0ELb0ELb0ELb0ELb1ELb1ELb0EEEvPK12hip_bfloat16S3_S3_PKfS5_PKvPS1_S8_PvPKiSB_iiiiilll,"axG",@progbits,_ZN12_GLOBAL__N_139chunk_gated_delta_rule_fwd_h_hip_kernelILi16ELb1ELb0ELb0ELb0ELb0ELb1ELb1ELb0EEEvPK12hip_bfloat16S3_S3_PKfS5_PKvPS1_S8_PvPKiSB_iiiiilll,comdat
.Lfunc_end716:
	.size	_ZN12_GLOBAL__N_139chunk_gated_delta_rule_fwd_h_hip_kernelILi16ELb1ELb0ELb0ELb0ELb0ELb1ELb1ELb0EEEvPK12hip_bfloat16S3_S3_PKfS5_PKvPS1_S8_PvPKiSB_iiiiilll, .Lfunc_end716-_ZN12_GLOBAL__N_139chunk_gated_delta_rule_fwd_h_hip_kernelILi16ELb1ELb0ELb0ELb0ELb0ELb1ELb1ELb0EEEvPK12hip_bfloat16S3_S3_PKfS5_PKvPS1_S8_PvPKiSB_iiiiilll
                                        ; -- End function
	.section	.AMDGPU.csdata,"",@progbits
; Kernel info:
; codeLenInByte = 7408
; NumSgprs: 73
; NumVgprs: 114
; NumAgprs: 12
; TotalNumVgprs: 128
; ScratchSize: 0
; MemoryBound: 0
; FloatMode: 240
; IeeeMode: 1
; LDSByteSize: 40960 bytes/workgroup (compile time only)
; SGPRBlocks: 9
; VGPRBlocks: 15
; NumSGPRsForWavesPerEU: 73
; NumVGPRsForWavesPerEU: 128
; AccumOffset: 116
; Occupancy: 1
; WaveLimiterHint : 1
; COMPUTE_PGM_RSRC2:SCRATCH_EN: 0
; COMPUTE_PGM_RSRC2:USER_SGPR: 2
; COMPUTE_PGM_RSRC2:TRAP_HANDLER: 0
; COMPUTE_PGM_RSRC2:TGID_X_EN: 1
; COMPUTE_PGM_RSRC2:TGID_Y_EN: 1
; COMPUTE_PGM_RSRC2:TGID_Z_EN: 0
; COMPUTE_PGM_RSRC2:TIDIG_COMP_CNT: 0
; COMPUTE_PGM_RSRC3_GFX90A:ACCUM_OFFSET: 28
; COMPUTE_PGM_RSRC3_GFX90A:TG_SPLIT: 0
	.section	.text._ZN12_GLOBAL__N_139chunk_gated_delta_rule_fwd_h_hip_kernelILi16ELb0ELb1ELb1ELb0ELb0ELb1ELb1ELb0EEEvPK12hip_bfloat16S3_S3_PKfS5_PKvPS1_S8_PvPKiSB_iiiiilll,"axG",@progbits,_ZN12_GLOBAL__N_139chunk_gated_delta_rule_fwd_h_hip_kernelILi16ELb0ELb1ELb1ELb0ELb0ELb1ELb1ELb0EEEvPK12hip_bfloat16S3_S3_PKfS5_PKvPS1_S8_PvPKiSB_iiiiilll,comdat
	.globl	_ZN12_GLOBAL__N_139chunk_gated_delta_rule_fwd_h_hip_kernelILi16ELb0ELb1ELb1ELb0ELb0ELb1ELb1ELb0EEEvPK12hip_bfloat16S3_S3_PKfS5_PKvPS1_S8_PvPKiSB_iiiiilll ; -- Begin function _ZN12_GLOBAL__N_139chunk_gated_delta_rule_fwd_h_hip_kernelILi16ELb0ELb1ELb1ELb0ELb0ELb1ELb1ELb0EEEvPK12hip_bfloat16S3_S3_PKfS5_PKvPS1_S8_PvPKiSB_iiiiilll
	.p2align	8
	.type	_ZN12_GLOBAL__N_139chunk_gated_delta_rule_fwd_h_hip_kernelILi16ELb0ELb1ELb1ELb0ELb0ELb1ELb1ELb0EEEvPK12hip_bfloat16S3_S3_PKfS5_PKvPS1_S8_PvPKiSB_iiiiilll,@function
_ZN12_GLOBAL__N_139chunk_gated_delta_rule_fwd_h_hip_kernelILi16ELb0ELb1ELb1ELb0ELb0ELb1ELb1ELb0EEEvPK12hip_bfloat16S3_S3_PKfS5_PKvPS1_S8_PvPKiSB_iiiiilll: ; @_ZN12_GLOBAL__N_139chunk_gated_delta_rule_fwd_h_hip_kernelILi16ELb0ELb1ELb1ELb0ELb0ELb1ELb1ELb0EEEvPK12hip_bfloat16S3_S3_PKfS5_PKvPS1_S8_PvPKiSB_iiiiilll
; %bb.0:
	s_load_dwordx4 s[12:15], s[0:1], 0x5c
	s_load_dwordx2 s[34:35], s[0:1], 0x40
	s_abs_i32 s22, s3
	s_ashr_i32 s21, s3, 31
	s_load_dwordx8 s[4:11], s[0:1], 0x0
	s_load_dwordx2 s[36:37], s[0:1], 0x20
	s_load_dwordx4 s[16:19], s[0:1], 0x30
	s_waitcnt lgkmcnt(0)
	s_abs_i32 s20, s13
	v_cvt_f32_u32_e32 v1, s20
	s_sub_i32 s24, 0, s20
	s_ashr_i32 s23, s13, 31
	s_xor_b32 s21, s21, s23
	v_rcp_iflag_f32_e32 v1, v1
	v_lshrrev_b32_e32 v53, 6, v0
	v_bfe_u32 v62, v0, 4, 2
	v_lshlrev_b32_e32 v60, 4, v53
	v_mul_f32_e32 v1, 0x4f7ffffe, v1
	v_cvt_u32_f32_e32 v1, v1
	v_lshlrev_b32_e32 v10, 2, v62
	v_and_b32_e32 v61, 63, v0
	v_mov_b32_e32 v9, 0
	v_readfirstlane_b32 s25, v1
	s_mul_i32 s24, s24, s25
	s_mul_hi_u32 s24, s25, s24
	s_add_i32 s25, s25, s24
	s_mul_hi_u32 s24, s22, s25
	s_mul_i32 s25, s24, s20
	s_sub_i32 s22, s22, s25
	s_add_i32 s25, s24, 1
	s_sub_i32 s26, s22, s20
	s_cmp_ge_u32 s22, s20
	s_cselect_b32 s24, s25, s24
	s_cselect_b32 s22, s26, s22
	s_add_i32 s25, s24, 1
	s_cmp_ge_u32 s22, s20
	s_cselect_b32 s22, s25, s24
	s_xor_b32 s22, s22, s21
	s_sub_i32 s52, s22, s21
	s_abs_i32 s21, s14
	v_cvt_f32_u32_e32 v1, s21
	s_ashr_i32 s51, s12, 31
	s_lshr_b32 s22, s51, 26
	s_add_i32 s22, s12, s22
	v_rcp_iflag_f32_e32 v1, v1
	s_ashr_i32 s54, s14, 31
	s_ashr_i32 s53, s22, 6
	s_xor_b32 s22, s23, s54
	v_mul_f32_e32 v1, 0x4f7ffffe, v1
	v_cvt_u32_f32_e32 v1, v1
	s_sub_i32 s23, 0, s21
	s_mul_i32 s50, s52, s13
	s_sub_i32 s33, s3, s50
	v_readfirstlane_b32 s24, v1
	s_mul_i32 s23, s23, s24
	s_mul_hi_u32 s23, s24, s23
	s_add_i32 s24, s24, s23
	s_mul_hi_u32 s23, s20, s24
	s_mul_i32 s24, s23, s21
	s_sub_i32 s20, s20, s24
	s_add_i32 s3, s12, 63
	s_add_i32 s24, s23, 1
	s_sub_i32 s25, s20, s21
	s_cmp_ge_u32 s20, s21
	s_cselect_b32 s23, s24, s23
	s_cselect_b32 s20, s25, s20
	s_add_i32 s24, s23, 1
	s_cmp_ge_u32 s20, s21
	s_cselect_b32 s20, s24, s23
	s_xor_b32 s20, s20, s22
	s_sub_i32 s24, s20, s22
	s_abs_i32 s25, s24
	v_cvt_f32_u32_e32 v1, s25
	s_load_dwordx2 s[38:39], s[0:1], 0x80
	s_load_dwordx4 s[20:23], s[0:1], 0x70
	s_xor_b32 s0, s33, s24
	s_sub_i32 s24, 0, s25
	v_rcp_iflag_f32_e32 v1, v1
	s_abs_i32 s1, s33
	s_ashr_i32 s0, s0, 31
	s_mul_i32 s48, s52, s12
	v_mul_f32_e32 v1, 0x4f7ffffe, v1
	v_cvt_u32_f32_e32 v1, v1
	v_and_b32_e32 v63, 15, v0
	s_mul_hi_i32 s56, s52, s13
	v_lshrrev_b32_e32 v65, 3, v61
	v_readfirstlane_b32 s26, v1
	s_mul_i32 s24, s24, s26
	s_mul_hi_u32 s24, s26, s24
	s_add_i32 s26, s26, s24
	s_mul_hi_u32 s24, s1, s26
	s_mul_i32 s26, s24, s25
	s_sub_i32 s1, s1, s26
	s_add_i32 s26, s24, 1
	s_sub_i32 s27, s1, s25
	s_cmp_ge_u32 s1, s25
	s_cselect_b32 s24, s26, s24
	s_cselect_b32 s1, s27, s1
	s_add_i32 s26, s24, 1
	s_cmp_ge_u32 s1, s25
	s_cselect_b32 s1, s26, s24
	s_xor_b32 s1, s1, s0
	s_sub_i32 s57, s1, s0
	s_ashr_i32 s0, s3, 31
	s_lshr_b32 s0, s0, 26
	s_add_i32 s3, s3, s0
	v_or_b32_e32 v1, v10, v60
	s_ashr_i32 s0, s3, 6
	s_lshl_b32 s2, s2, 4
	s_mul_i32 s55, s52, s0
	v_or_b32_e32 v66, 64, v1
	s_cmp_lt_i32 s12, 64
	v_lshlrev_b32_e32 v64, 3, v0
	s_waitcnt lgkmcnt(0)
	s_mul_i32 s21, s52, s21
	s_mul_hi_u32 s49, s52, s20
	s_mul_i32 s40, s52, s20
	v_mov_b32_e32 v8, v9
	v_mov_b32_e32 v7, v9
	;; [unrolled: 1-line block ×7, first 2 shown]
	s_cbranch_scc1 .LBB717_18
; %bb.1:
	s_ashr_i32 s3, s52, 31
	s_ashr_i32 s59, s33, 31
	s_add_u32 s0, s50, s33
	s_addc_u32 s1, s56, s59
	s_mul_i32 s1, s12, s1
	s_mul_hi_u32 s24, s12, s0
	s_add_i32 s43, s24, s1
	s_mul_i32 s42, s12, s0
	s_lshl_b64 s[0:1], s[42:43], 8
	v_and_b32_e32 v68, 56, v64
	s_add_u32 s24, s6, s0
	v_lshl_or_b32 v67, v53, 3, v65
	v_lshlrev_b32_e32 v3, 1, v68
	s_addc_u32 s0, s7, s1
	v_lshl_or_b32 v69, v67, 8, v3
	s_and_b32 s25, s0, 0xffff
	s_mov_b32 s27, 0x20000
	s_movk_i32 s26, 0x4000
	s_movk_i32 s0, 0x80
	v_or_b32_e32 v70, 0x2000, v69
	buffer_load_dwordx4 v[4:7], v69, s[24:27], 0 offen
	buffer_load_dwordx4 v[12:15], v69, s[24:27], s0 offen
	;; [unrolled: 1-line block ×4, first 2 shown]
	v_lshlrev_b32_e32 v2, 3, v67
	v_and_or_b32 v9, v0, 7, v2
	v_and_b32_e32 v2, 0x78, v2
	v_lshlrev_b32_e32 v9, 4, v9
	v_xor_b32_e32 v71, v9, v2
	v_mul_lo_u32 v8, v67, s15
	v_or_b32_e32 v72, 0x1000, v71
	v_xor_b32_e32 v2, 8, v71
	s_cmpk_eq_i32 s15, 0x80
	s_mov_b32 s58, s14
	v_xor_b32_e32 v9, 8, v72
	s_cselect_b64 s[0:1], -1, 0
	s_cmpk_lg_i32 s15, 0x80
	s_waitcnt vmcnt(3)
	ds_write_b64 v71, v[4:5] offset:16384
	ds_write_b64 v2, v[6:7] offset:16384
	s_waitcnt vmcnt(2)
	ds_write_b64 v71, v[12:13] offset:24576
	ds_write_b64 v2, v[14:15] offset:24576
	;; [unrolled: 3-line block ×4, first 2 shown]
	v_lshl_add_u32 v2, v8, 1, v68
	s_cbranch_scc0 .LBB717_3
; %bb.2:
	v_lshlrev_b32_e32 v6, 1, v2
	v_add_lshl_u32 v5, v2, s15, 1
	s_lshl_b32 s26, s15, 7
	v_lshl_or_b32 v4, v67, 9, v3
	s_cbranch_execz .LBB717_4
	s_branch .LBB717_5
.LBB717_3:
                                        ; implicit-def: $vgpr5
                                        ; implicit-def: $vgpr6
                                        ; implicit-def: $sgpr26
	v_lshl_or_b32 v4, v67, 9, v3
.LBB717_4:
	v_or_b32_e32 v5, 0x100, v4
	s_movk_i32 s26, 0x4000
	v_mov_b32_e32 v6, v4
.LBB717_5:
	s_mul_hi_u32 s24, s14, s12
	s_mul_i32 s25, s54, s12
	s_add_i32 s24, s24, s25
	s_mul_i32 s25, s14, s12
	s_mul_i32 s27, s25, s3
	s_mul_hi_u32 s28, s25, s52
	s_add_i32 s27, s28, s27
	s_mul_i32 s24, s24, s52
	s_add_i32 s27, s27, s24
	s_mul_i32 s25, s25, s52
	s_ashr_i32 s60, s57, 31
	s_add_u32 s24, s25, s57
	s_addc_u32 s25, s27, s60
	s_lshl_b64 s[24:25], s[24:25], 8
	s_add_u32 s24, s4, s24
	s_addc_u32 s25, s5, s25
	s_and_b32 s25, s25, 0xffff
	s_mov_b32 s27, 0x20000
	s_movk_i32 s61, 0x80
	buffer_load_dwordx4 v[12:15], v6, s[24:27], 0 offen
	s_nop 0
	buffer_load_dwordx4 v[6:9], v6, s[24:27], s61 offen
	s_nop 0
	buffer_load_dwordx4 v[16:19], v5, s[24:27], 0 offen
	buffer_load_dwordx4 v[20:23], v5, s[24:27], s61 offen
	v_and_b32_e32 v3, 6, v0
	s_mul_i32 s24, s3, s12
	s_mul_hi_u32 s25, s52, s12
	v_lshlrev_b32_e32 v11, 2, v63
	v_lshlrev_b32_e32 v24, 3, v63
	v_xor_b32_e32 v26, v67, v3
	v_and_b32_e32 v5, 1, v0
	s_mul_i32 s3, s3, s20
	v_lshl_or_b32 v24, v1, 5, v24
	v_xor_b32_e32 v27, v1, v11
	v_lshlrev_b32_e32 v26, 2, v26
	s_add_i32 s65, s25, s24
	s_add_i32 s24, s49, s21
	s_mul_i32 s28, s33, s23
	v_or_b32_e32 v73, 0x9000, v24
	v_or_b32_e32 v74, 0x9800, v24
	v_lshlrev_b32_e32 v24, 1, v27
	v_xor_b32_e32 v27, 0x440, v26
	v_cmp_eq_u32_e32 vcc, 0, v5
	s_add_i32 s41, s24, s3
	s_mul_hi_u32 s3, s33, s22
	v_cndmask_b32_e32 v5, v27, v26, vcc
	s_add_i32 s3, s3, s28
	s_mul_i32 s24, s59, s22
	s_mov_b32 s63, 0x1000504
	v_lshlrev_b32_e32 v25, 8, v63
	s_mov_b32 s26, 0x8000
	v_xor_b32_e32 v11, v66, v11
	v_lshl_or_b32 v3, v3, 10, v5
	s_add_i32 s25, s3, s24
	s_lshl_b64 s[28:29], s[40:41], 2
	s_mov_b32 s64, 0x3020706
	v_lshlrev_b32_e32 v11, 1, v11
	v_or3_b32 v75, v24, v25, s26
	v_xor_b32_e32 v5, 8, v3
	v_xor_b32_e32 v24, 24, v3
	v_xor_b32_e32 v26, 40, v3
	v_xor_b32_e32 v28, 56, v3
	s_mul_i32 s24, s33, s22
	s_add_u32 s3, s10, s28
	v_or3_b32 v76, v11, v25, s26
	v_xor_b32_e32 v11, 16, v3
	v_xor_b32_e32 v25, 32, v3
	;; [unrolled: 1-line block ×3, first 2 shown]
	v_add_u32_e32 v5, 0x80, v5
	v_add_u32_e32 v24, 0x80, v24
	v_add_u32_e32 v26, 0x80, v26
	v_add_u32_e32 v28, 0x80, v28
	s_addc_u32 s28, s11, s29
	s_lshl_b64 s[24:25], s[24:25], 2
	s_add_u32 s44, s3, s24
	s_movk_i32 s3, 0xf8
	s_addc_u32 s45, s28, s25
	s_lshl_b32 s30, s15, 7
	s_mov_b32 s62, 0
	v_add_u32_e32 v87, v60, v10
	s_mov_b32 s41, 0x7060302
	v_mov_b32_e32 v98, 0x3fb8aa3b
	s_mov_b32 s67, 0
	s_waitcnt vmcnt(1)
	v_perm_b32 v29, v12, v16, s63
	s_waitcnt vmcnt(0)
	v_perm_b32 v30, v6, v20, s63
	v_perm_b32 v12, v12, v16, s64
	;; [unrolled: 1-line block ×15, first 2 shown]
	ds_write2st64_b32 v3, v29, v30 offset1:32
	ds_write2st64_b32 v5, v12, v6 offset1:32
	ds_write2st64_b32 v11, v16, v20 offset0:1 offset1:33
	ds_write2st64_b32 v24, v13, v7 offset0:1 offset1:33
	;; [unrolled: 1-line block ×6, first 2 shown]
	v_or_b32_e32 v3, v60, v63
	v_lshlrev_b32_e32 v3, 3, v3
	v_lshrrev_b32_e32 v7, 5, v61
	v_and_or_b32 v7, v3, s3, v7
	v_lshlrev_b32_e32 v7, 4, v7
	v_lshlrev_b32_e32 v11, 11, v53
	v_and_b32_e32 v3, 0x78, v3
	v_or_b32_e32 v12, 32, v7
	v_and_b32_e32 v6, 0x1000, v11
	v_lshrrev_b32_e32 v9, 1, v61
	v_xor_b32_e32 v12, v12, v3
	v_and_b32_e32 v9, 8, v9
	v_or_b32_e32 v12, v12, v6
	v_xor_b32_e32 v8, v7, v3
	v_xor_b32_e32 v79, v12, v9
	v_or_b32_e32 v12, 64, v7
	v_or_b32_e32 v7, 0x60, v7
	v_xor_b32_e32 v12, v12, v3
	v_xor_b32_e32 v3, v7, v3
	v_or_b32_e32 v3, v3, v6
	v_or_b32_e32 v12, v12, v6
	v_xor_b32_e32 v81, v3, v9
	v_lshlrev_b32_e32 v15, 1, v2
	v_add_lshl_u32 v16, v2, s15, 1
	v_lshrrev_b32_e32 v2, 4, v0
	v_lshlrev_b32_e32 v3, 1, v63
	v_xor_b32_e32 v80, v12, v9
	s_ashr_i32 s3, s2, 31
	v_or_b32_e32 v12, 1, v3
	v_xor_b32_e32 v3, v2, v3
	s_lshl_b64 s[24:25], s[2:3], 8
	v_xor_b32_e32 v12, v12, v2
	v_lshlrev_b32_e32 v3, 3, v3
	v_lshlrev_b32_e32 v2, 8, v2
	s_add_u32 s24, s16, s24
	v_or3_b32 v83, v3, v2, s26
	v_lshlrev_b32_e32 v3, 3, v12
	s_addc_u32 s25, s17, s25
	v_or3_b32 v84, v3, v2, s26
	v_mov_b32_e32 v3, 0
	v_lshrrev_b32_e32 v20, 1, v0
	v_lshl_add_u64 v[12:13], s[24:25], 0, v[2:3]
	v_lshlrev_b32_e32 v2, 4, v63
	s_movk_i32 s3, 0xff
	v_lshlrev_b32_e32 v19, 3, v53
	v_and_b32_e32 v20, 24, v20
	v_lshl_add_u64 v[54:55], v[12:13], 0, v[2:3]
	v_and_b32_e32 v2, 7, v0
	v_and_b32_e32 v13, 8, v0
	v_cmp_lt_u32_e32 vcc, s3, v0
	v_xor_b32_e32 v21, v19, v20
	v_lshlrev_b32_e32 v14, 3, v2
	v_lshlrev_b32_e32 v18, 7, v2
	v_cndmask_b32_e64 v2, 0, 1, vcc
	v_or_b32_e32 v22, 0x440, v21
	v_cmp_eq_u32_e32 vcc, 0, v13
	v_or_b32_e32 v24, 64, v20
	v_xor_b32_e32 v24, v19, v24
	v_cndmask_b32_e32 v13, v22, v21, vcc
	v_or_b32_e32 v22, 32, v20
	v_or_b32_e32 v20, 0x60, v20
	v_xor_b32_e32 v22, v19, v22
	v_xor_b32_e32 v19, v19, v20
	v_or_b32_e32 v23, 0x440, v22
	v_xor_b32_e32 v25, 0x440, v24
	v_xor_b32_e32 v20, 0x440, v19
	v_or_b32_e32 v8, v8, v6
	v_or_b32_e32 v6, s2, v63
	v_cndmask_b32_e32 v22, v23, v22, vcc
	v_cndmask_b32_e32 v24, v25, v24, vcc
	;; [unrolled: 1-line block ×3, first 2 shown]
	v_lshrrev_b32_e32 v5, 2, v61
	v_xor_b32_e32 v77, v8, v9
	v_and_b32_e32 v8, 0x78, v64
	v_ashrrev_i32_e32 v7, 31, v6
	v_or_b32_e32 v13, v13, v11
	v_or_b32_e32 v22, v22, v11
	;; [unrolled: 1-line block ×4, first 2 shown]
	v_and_b32_e32 v5, 12, v5
	v_lshl_or_b32 v8, v62, 7, v8
	v_lshlrev_b64 v[6:7], 1, v[6:7]
	v_lshlrev_b32_e32 v2, 13, v2
	v_xor_b32_e32 v13, v13, v14
	v_xor_b32_e32 v22, v22, v14
	;; [unrolled: 1-line block ×4, first 2 shown]
	v_or_b32_e32 v78, 0x9000, v8
	v_or_b32_e32 v82, 0x9800, v8
	v_lshl_add_u64 v[8:9], s[8:9], 0, v[6:7]
	v_lshl_add_u64 v[6:7], s[18:19], 0, v[6:7]
	v_or_b32_e32 v17, 0x100, v4
	v_or_b32_e32 v12, v5, v60
	v_add_u32_e32 v21, v2, v13
	v_add_u32_e32 v23, v2, v22
	;; [unrolled: 1-line block ×4, first 2 shown]
	v_or3_b32 v14, v60, v5, 64
	v_add_u32_e32 v5, 0x2000, v13
	v_add_u32_e32 v13, 0x2000, v22
	;; [unrolled: 1-line block ×4, first 2 shown]
	v_lshlrev_b32_e32 v2, 8, v1
	v_cndmask_b32_e64 v85, v15, v4, s[0:1]
	v_cndmask_b32_e64 v86, v16, v17, s[0:1]
	v_lshl_add_u64 v[56:57], v[8:9], 0, v[2:3]
	v_lshl_add_u64 v[58:59], v[6:7], 0, v[2:3]
	s_add_i32 s3, s48, 63
	s_movk_i32 s26, 0x4000
	v_lshlrev_b32_e32 v88, 2, v12
	v_add_u32_e32 v89, v21, v18
	v_add_u32_e32 v90, v23, v18
	;; [unrolled: 1-line block ×4, first 2 shown]
	v_lshlrev_b32_e32 v93, 2, v14
	v_add_u32_e32 v94, v5, v18
	v_add_u32_e32 v95, v13, v18
	;; [unrolled: 1-line block ×4, first 2 shown]
	v_mov_b32_e32 v2, v3
	v_mov_b32_e32 v4, v3
	;; [unrolled: 1-line block ×7, first 2 shown]
	s_waitcnt lgkmcnt(0)
	s_barrier
.LBB717_6:                              ; =>This Inner Loop Header: Depth=1
	s_add_i32 s66, s67, 1
	s_cmp_lt_i32 s66, s53
	s_mov_b64 s[28:29], 0
	s_cselect_b64 s[46:47], -1, 0
	s_cmp_ge_i32 s66, s53
	s_mov_b64 s[24:25], 0
	s_cbranch_scc1 .LBB717_8
; %bb.7:                                ;   in Loop: Header=BB717_6 Depth=1
	s_add_i32 s0, s62, 64
	s_add_u32 s0, s42, s0
	s_addc_u32 s1, s43, 0
	s_lshl_b64 s[0:1], s[0:1], 8
	s_add_u32 s24, s6, s0
	s_addc_u32 s25, s7, s1
.LBB717_8:                              ;   in Loop: Header=BB717_6 Depth=1
	v_cndmask_b32_e64 v10, 0, 1, s[46:47]
	v_cmp_ne_u32_e64 s[0:1], 1, v10
	s_andn2_b64 vcc, exec, s[46:47]
	s_cbranch_vccnz .LBB717_10
; %bb.9:                                ;   in Loop: Header=BB717_6 Depth=1
	s_add_i32 s28, s62, 64
	s_add_u32 s28, s48, s28
	s_addc_u32 s29, s65, 0
	s_mul_i32 s31, s28, s54
	s_mul_hi_u32 s46, s28, s58
	s_add_i32 s31, s46, s31
	s_mul_i32 s29, s29, s58
	s_add_i32 s31, s31, s29
	s_mul_i32 s28, s28, s58
	s_add_u32 s28, s28, s57
	s_addc_u32 s29, s31, s60
	s_lshl_b64 s[28:29], s[28:29], 8
	s_add_u32 s28, s4, s28
	s_addc_u32 s29, s5, s29
.LBB717_10:                             ;   in Loop: Header=BB717_6 Depth=1
	v_perm_b32 v11, v5, v4, s41
	v_perm_b32 v10, v3, v2, s41
	;; [unrolled: 1-line block ×4, first 2 shown]
	ds_write_b64 v73, v[10:11]
	ds_write_b64 v74, v[12:13]
	;; [unrolled: 1-line block ×4, first 2 shown]
	s_waitcnt lgkmcnt(0)
	s_barrier
	ds_read_b64 v[18:19], v77 offset:16384
	ds_read_b64 v[20:21], v79 offset:16384
	ds_read2st64_b64 v[10:13], v78 offset1:1
	ds_read2st64_b64 v[14:17], v78 offset0:2 offset1:3
	ds_read_b64 v[22:23], v80 offset:16384
	s_waitcnt lgkmcnt(2)
	v_mfma_f32_16x16x16_bf16 a[0:3], v[18:19], v[10:11], 0
	ds_read_b64 v[10:11], v81 offset:16384
	s_add_i32 s31, s62, 63
	s_mul_i32 s46, s31, s39
	v_mfma_f32_16x16x16_bf16 a[0:3], v[20:21], v[12:13], a[0:3]
	s_mul_hi_u32 s47, s31, s38
	s_add_i32 s47, s47, s46
	s_mul_i32 s46, s31, s38
	s_waitcnt lgkmcnt(1)
	v_mfma_f32_16x16x16_bf16 a[0:3], v[22:23], v[14:15], a[0:3]
	s_lshl_b64 s[46:47], s[46:47], 2
	s_add_u32 s46, s44, s46
	s_addc_u32 s47, s45, s47
	s_waitcnt lgkmcnt(0)
	v_mfma_f32_16x16x16_bf16 a[0:3], v[10:11], v[16:17], a[0:3]
	s_and_b64 vcc, exec, s[0:1]
	v_mov_b32_e32 v101, 0
	v_mov_b32_e32 v100, 0
	;; [unrolled: 1-line block ×19, first 2 shown]
	s_cbranch_vccnz .LBB717_12
; %bb.11:                               ;   in Loop: Header=BB717_6 Depth=1
	s_and_b32 s25, s25, 0xffff
	buffer_load_dwordx4 v[22:25], v69, s[24:27], 0 offen
	buffer_load_dwordx4 v[18:21], v69, s[24:27], s61 offen
	;; [unrolled: 1-line block ×4, first 2 shown]
	v_mov_b32_e32 v100, v71
	v_mov_b32_e32 v99, v72
.LBB717_12:                             ;   in Loop: Header=BB717_6 Depth=1
	v_add_u32_e32 v32, s62, v87
	v_ashrrev_i32_e32 v26, 31, v32
	v_mul_lo_u32 v28, v26, s38
	v_mul_lo_u32 v29, v32, s39
	v_mad_u64_u32 v[26:27], s[24:25], v32, s38, 0
	v_add3_u32 v27, v27, v29, v28
	v_add_u32_e32 v28, 1, v32
	v_ashrrev_i32_e32 v29, 31, v28
	v_mul_lo_u32 v30, v29, s38
	v_mul_lo_u32 v31, v28, s39
	v_mad_u64_u32 v[28:29], s[24:25], v28, s38, 0
	v_add3_u32 v29, v29, v31, v30
	v_add_u32_e32 v30, 2, v32
	v_ashrrev_i32_e32 v31, 31, v30
	v_mul_lo_u32 v33, v31, s38
	v_mul_lo_u32 v34, v30, s39
	v_mad_u64_u32 v[30:31], s[24:25], v30, s38, 0
	s_add_u32 s24, s42, s62
	v_add3_u32 v31, v31, v34, v33
	v_add_u32_e32 v34, 3, v32
	s_addc_u32 s25, s43, 0
	v_ashrrev_i32_e32 v32, 31, v34
	s_lshl_b64 s[68:69], s[24:25], 8
	v_lshl_add_u64 v[26:27], v[26:27], 2, s[44:45]
	v_mul_lo_u32 v35, v32, s38
	v_lshl_add_u64 v[32:33], v[56:57], 0, s[68:69]
	v_mul_lo_u32 v36, v34, s39
	global_load_ushort v42, v[32:33], off
	global_load_ushort v43, v[32:33], off offset:256
	global_load_ushort v44, v[32:33], off offset:512
	global_load_ushort v45, v[32:33], off offset:768
	global_load_dword v46, v[26:27], off
	v_mad_u64_u32 v[26:27], s[24:25], v34, s38, 0
	v_lshl_add_u64 v[28:29], v[28:29], 2, s[44:45]
	v_add3_u32 v27, v27, v36, v35
	v_lshl_add_u64 v[30:31], v[30:31], 2, s[44:45]
	v_lshl_add_u64 v[26:27], v[26:27], 2, s[44:45]
	global_load_dword v47, v[28:29], off
	global_load_dword v48, v[30:31], off
	;; [unrolled: 1-line block ×3, first 2 shown]
	ds_read_b64 v[26:27], v77 offset:24576
	s_load_dword s24, s[46:47], 0x0
	ds_read_b64 v[36:37], v79 offset:24576
	ds_read2st64_b64 v[28:31], v82 offset1:1
	ds_read2st64_b64 v[32:35], v82 offset0:2 offset1:3
	ds_read_b64 v[38:39], v80 offset:24576
	ds_read_b64 v[40:41], v81 offset:24576
	s_waitcnt lgkmcnt(0)
	v_mfma_f32_16x16x16_bf16 a[0:3], v[26:27], v[28:29], a[0:3]
	v_mov_b32_e32 v102, 0
	v_mov_b32_e32 v26, 0
	;; [unrolled: 1-line block ×3, first 2 shown]
	v_mfma_f32_16x16x16_bf16 a[0:3], v[36:37], v[30:31], a[0:3]
	v_lshl_add_u64 v[36:37], v[58:59], 0, s[68:69]
	v_mov_b32_e32 v28, 0
	v_mov_b32_e32 v29, 0
	v_mfma_f32_16x16x16_bf16 a[0:3], v[38:39], v[32:33], a[0:3]
	v_mov_b32_e32 v30, 0
	v_mov_b32_e32 v31, 0
	v_mov_b32_e32 v32, 0
	v_mfma_f32_16x16x16_bf16 a[0:3], v[40:41], v[34:35], a[0:3]
	s_and_b64 vcc, exec, s[0:1]
	s_waitcnt vmcnt(7)
	v_lshlrev_b32_e32 v40, 16, v42
	s_nop 3
	v_accvgpr_read_b32 v39, a1
	v_accvgpr_read_b32 v35, a3
	;; [unrolled: 1-line block ×4, first 2 shown]
	s_waitcnt vmcnt(6)
	v_lshlrev_b32_e32 v41, 16, v43
	s_waitcnt vmcnt(4)
	v_lshlrev_b32_e32 v43, 16, v45
	v_lshlrev_b32_e32 v42, 16, v44
	s_waitcnt vmcnt(3)
	v_sub_f32_e32 v33, s24, v46
	v_pk_add_f32 v[38:39], v[40:41], v[38:39] neg_lo:[0,1] neg_hi:[0,1]
	v_pk_add_f32 v[34:35], v[42:43], v[34:35] neg_lo:[0,1] neg_hi:[0,1]
	v_mul_f32_e32 v33, 0x3fb8aa3b, v33
	s_waitcnt vmcnt(2)
	v_sub_f32_e32 v41, s24, v47
	s_waitcnt vmcnt(1)
	v_sub_f32_e32 v42, s24, v48
	;; [unrolled: 2-line block ×3, first 2 shown]
	v_exp_f32_e32 v40, v33
	v_mul_f32_e32 v33, 0x3fb8aa3b, v41
	v_mul_f32_e32 v42, 0x3fb8aa3b, v42
	;; [unrolled: 1-line block ×3, first 2 shown]
	v_exp_f32_e32 v41, v33
	v_exp_f32_e32 v42, v42
	;; [unrolled: 1-line block ×3, first 2 shown]
	global_store_short_d16_hi v[36:37], v38, off
	global_store_short_d16_hi v[36:37], v39, off offset:256
	global_store_short_d16_hi v[36:37], v34, off offset:512
	;; [unrolled: 1-line block ×3, first 2 shown]
	v_pk_mul_f32 v[36:37], v[40:41], v[38:39]
	v_pk_mul_f32 v[34:35], v[42:43], v[34:35]
	v_mov_b32_e32 v33, 0
	v_perm_b32 v35, v35, v34, s41
	v_perm_b32 v34, v37, v36, s41
	ds_write_b64 v74, v[34:35]
	v_mov_b32_e32 v34, 0
	v_mov_b32_e32 v35, 0
	;; [unrolled: 1-line block ×8, first 2 shown]
	s_cbranch_vccnz .LBB717_14
; %bb.13:                               ;   in Loop: Header=BB717_6 Depth=1
	s_and_b32 s29, s29, 0xffff
	s_mov_b32 s31, s27
	buffer_load_dwordx4 v[38:41], v85, s[28:31], 0 offen
	buffer_load_dwordx4 v[30:33], v85, s[28:31], s61 offen
	;; [unrolled: 1-line block ×4, first 2 shown]
	v_mov_b32_e32 v101, v68
	v_mov_b32_e32 v102, v67
.LBB717_14:                             ;   in Loop: Header=BB717_6 Depth=1
	s_waitcnt lgkmcnt(0)
	s_barrier
	ds_read_b64 v[42:43], v89
	ds_read_b64 v[48:49], v90
	ds_read2st64_b64 v[44:47], v82 offset1:1
	ds_read2st64_b64 v[104:107], v82 offset0:2 offset1:3
	ds_read_b64 v[50:51], v91
	ds_read_b64 v[112:113], v92
	s_add_i32 s25, s55, s67
	s_mul_hi_i32 s29, s25, s13
	s_mul_i32 s25, s25, s13
	s_waitcnt lgkmcnt(3)
	v_mfma_f32_16x16x16_bf16 a[0:3], v[42:43], v[44:45], 0
	ds_read_b64 v[42:43], v94
	s_add_u32 s28, s25, s33
	s_addc_u32 s29, s29, s59
	s_add_i32 s25, s3, s62
	v_mfma_f32_16x16x16_bf16 a[0:3], v[48:49], v[46:47], a[0:3]
	ds_read_b64 v[48:49], v95
	s_lshl_b64 s[28:29], s[28:29], 15
	s_mul_hi_i32 s31, s25, s13
	s_mul_i32 s25, s25, s13
	s_add_u32 s46, s25, s33
	s_addc_u32 s47, s31, s59
	s_lshl_b64 s[46:47], s[46:47], 9
	s_add_u32 s46, s36, s46
	s_waitcnt lgkmcnt(1)
	v_mfma_f32_16x16x16_bf16 a[4:7], v[42:43], v[44:45], 0
	s_addc_u32 s47, s37, s47
	s_and_b64 vcc, exec, s[0:1]
	v_mfma_f32_16x16x16_bf16 a[0:3], v[50:51], v[104:105], a[0:3]
	ds_read_b64 v[50:51], v96
	ds_read_b64 v[114:115], v97
	global_load_dwordx4 v[42:45], v93, s[46:47]
	s_waitcnt lgkmcnt(2)
	v_mfma_f32_16x16x16_bf16 a[4:7], v[48:49], v[46:47], a[4:7]
	global_load_dwordx4 v[46:49], v88, s[46:47]
	ds_read_b64 v[108:109], v83
	ds_read_b64 v[110:111], v84
	s_waitcnt lgkmcnt(3)
	v_mfma_f32_16x16x16_bf16 a[8:11], v[50:51], v[104:105], a[4:7]
	v_lshl_add_u64 v[50:51], v[54:55], 0, s[28:29]
	s_waitcnt lgkmcnt(0)
	global_store_dwordx4 v[50:51], v[108:111], off
	v_mfma_f32_16x16x16_bf16 a[4:7], v[112:113], v[106:107], a[0:3]
	s_waitcnt vmcnt(2)
	v_mov_b32_e32 v52, v45
	v_mfma_f32_16x16x16_bf16 a[0:3], v[114:115], v[106:107], a[8:11]
	v_mov_b32_e32 v51, v44
	v_mov_b32_e32 v50, v43
	s_cbranch_vccnz .LBB717_16
; %bb.15:                               ;   in Loop: Header=BB717_6 Depth=1
	v_lshrrev_b32_e32 v43, 3, v101
	v_and_b32_e32 v43, 6, v43
	v_xor_b32_e32 v44, v43, v102
	v_lshlrev_b32_e32 v44, 2, v44
	v_and_b32_e32 v45, 8, v101
	v_xor_b32_e32 v101, 0x440, v44
	v_cmp_eq_u32_e32 vcc, 0, v45
	v_perm_b32 v45, v30, v26, s63
	s_nop 0
	v_cndmask_b32_e32 v44, v101, v44, vcc
	v_lshl_or_b32 v43, v43, 10, v44
	v_perm_b32 v44, v38, v34, s63
	s_barrier
	ds_write2st64_b32 v43, v44, v45 offset1:32
	v_xor_b32_e32 v44, 8, v43
	v_perm_b32 v34, v38, v34, s64
	v_perm_b32 v26, v30, v26, s64
	v_add_u32_e32 v30, 0x80, v44
	ds_write2st64_b32 v30, v34, v26 offset1:32
	v_xor_b32_e32 v26, 16, v43
	v_perm_b32 v30, v39, v35, s63
	v_perm_b32 v34, v31, v27, s63
	ds_write2st64_b32 v26, v30, v34 offset0:1 offset1:33
	v_xor_b32_e32 v26, 24, v43
	v_perm_b32 v30, v39, v35, s64
	v_perm_b32 v27, v31, v27, s64
	v_add_u32_e32 v26, 0x80, v26
	ds_write2st64_b32 v26, v30, v27 offset0:1 offset1:33
	v_xor_b32_e32 v26, 32, v43
	v_perm_b32 v27, v40, v36, s63
	v_perm_b32 v30, v32, v28, s63
	ds_write2st64_b32 v26, v27, v30 offset0:2 offset1:34
	v_xor_b32_e32 v26, 40, v43
	v_perm_b32 v27, v40, v36, s64
	v_perm_b32 v28, v32, v28, s64
	v_add_u32_e32 v26, 0x80, v26
	ds_write2st64_b32 v26, v27, v28 offset0:2 offset1:34
	;; [unrolled: 9-line block ×3, first 2 shown]
	ds_write_b64 v100, v[22:23] offset:16384
	v_xor_b32_e32 v22, 8, v100
	ds_write_b64 v22, v[24:25] offset:16384
	ds_write_b64 v100, v[18:19] offset:24576
	;; [unrolled: 1-line block ×4, first 2 shown]
	v_xor_b32_e32 v14, 8, v99
	ds_write_b64 v14, v[16:17] offset:16384
	ds_write_b64 v99, v[10:11] offset:24576
	;; [unrolled: 1-line block ×3, first 2 shown]
.LBB717_16:                             ;   in Loop: Header=BB717_6 Depth=1
	v_mul_f32_e32 v14, s24, v98
	v_exp_f32_e32 v18, v14
	s_waitcnt vmcnt(1)
	v_mul_f32_e32 v14, 0x3fb8aa3b, v46
	v_exp_f32_e32 v20, v14
	v_mul_f32_e32 v14, 0x3fb8aa3b, v47
	v_exp_f32_e32 v21, v14
	;; [unrolled: 2-line block ×4, first 2 shown]
	v_accvgpr_read_b32 v13, a7
	v_accvgpr_read_b32 v11, a5
	;; [unrolled: 1-line block ×3, first 2 shown]
	v_pk_mul_f32 v[20:21], v[18:19], v[20:21] op_sel_hi:[0,1]
	v_pk_fma_f32 v[2:3], v[2:3], v[20:21], v[10:11]
	v_pk_mul_f32 v[10:11], v[18:19], v[22:23] op_sel_hi:[0,1]
	v_mul_f32_e32 v19, 0x3fb8aa3b, v42
	v_exp_f32_e32 v20, v19
	v_mul_f32_e32 v19, 0x3fb8aa3b, v50
	v_exp_f32_e32 v21, v19
	;; [unrolled: 2-line block ×4, first 2 shown]
	v_accvgpr_read_b32 v12, a6
	v_accvgpr_read_b32 v17, a3
	;; [unrolled: 1-line block ×4, first 2 shown]
	v_pk_fma_f32 v[4:5], v[4:5], v[10:11], v[12:13]
	v_pk_mul_f32 v[10:11], v[18:19], v[20:21] op_sel_hi:[0,1]
	v_accvgpr_read_b32 v16, a2
	v_pk_fma_f32 v[6:7], v[6:7], v[10:11], v[14:15]
	v_pk_mul_f32 v[10:11], v[18:19], v[22:23] op_sel_hi:[0,1]
	s_add_i32 s62, s62, 64
	s_cmp_eq_u32 s53, s66
	v_pk_fma_f32 v[8:9], v[8:9], v[10:11], v[16:17]
	s_cbranch_scc1 .LBB717_18
; %bb.17:                               ;   in Loop: Header=BB717_6 Depth=1
	s_mov_b32 s67, s66
	s_branch .LBB717_6
.LBB717_18:
	s_lshl_b32 s46, s53, 6
	s_sub_i32 s47, s12, s46
	s_cmp_gt_i32 s47, 0
	v_or_b32_e32 v34, s2, v63
	s_cbranch_scc1 .LBB717_20
; %bb.19:
	s_ashr_i32 s0, s33, 31
	s_add_u32 s28, s50, s33
	s_addc_u32 s29, s56, s0
	v_or_b32_e32 v10, s2, v63
	s_cbranch_execz .LBB717_21
	s_branch .LBB717_77
.LBB717_20:
                                        ; implicit-def: $sgpr28_sgpr29
                                        ; implicit-def: $vgpr10
.LBB717_21:
	s_ashr_i32 s41, s52, 31
	s_ashr_i32 s3, s46, 31
	s_cmpk_lg_i32 s15, 0x80
	s_cselect_b64 s[42:43], -1, 0
	s_and_b64 vcc, exec, s[42:43]
	s_cbranch_vccz .LBB717_23
; %bb.22:
	s_mul_hi_i32 s0, s52, s12
	s_add_u32 s1, s48, s46
	s_addc_u32 s0, s0, s3
	s_mul_i32 s24, s1, s54
	s_mul_hi_u32 s25, s1, s14
	s_add_i32 s24, s25, s24
	s_mul_i32 s0, s0, s14
	s_add_i32 s24, s24, s0
	s_mul_i32 s1, s1, s14
	s_ashr_i32 s0, s57, 31
	s_add_u32 s44, s1, s57
	s_addc_u32 s45, s24, s0
	s_cbranch_execz .LBB717_24
	s_branch .LBB717_25
.LBB717_23:
                                        ; implicit-def: $sgpr44_sgpr45
.LBB717_24:
	s_mul_hi_i32 s0, s52, s14
	s_mul_i32 s52, s52, s14
	s_ashr_i32 s1, s57, 31
	s_add_u32 s14, s52, s57
	s_addc_u32 s0, s0, s1
	s_mul_i32 s1, s14, s51
	s_mul_hi_u32 s24, s14, s12
	s_add_i32 s1, s24, s1
	s_mul_i32 s0, s0, s12
	s_add_i32 s1, s1, s0
	s_mul_i32 s14, s14, s12
	s_add_u32 s44, s14, s46
	s_addc_u32 s45, s1, s3
.LBB717_25:
	s_add_i32 s24, s55, s53
	s_ashr_i32 s14, s33, 31
	s_add_u32 s28, s50, s33
	s_addc_u32 s29, s56, s14
	s_mul_i32 s0, s28, s51
	s_mul_hi_u32 s1, s28, s12
	s_add_i32 s0, s1, s0
	s_mul_i32 s1, s29, s12
	s_add_i32 s1, s0, s1
	s_mul_i32 s0, s28, s12
	s_add_u32 s0, s0, s46
	s_addc_u32 s1, s1, s3
	s_mov_b32 s3, 0x7060302
	v_lshlrev_b32_e32 v14, 3, v63
	s_lshl_b64 s[30:31], s[0:1], 8
	v_perm_b32 v11, v5, v4, s3
	v_perm_b32 v10, v3, v2, s3
	;; [unrolled: 1-line block ×4, first 2 shown]
	v_lshlrev_b32_e32 v44, 2, v63
	v_lshl_or_b32 v14, v1, 5, v14
	s_add_u32 s0, s6, s30
	ds_write2st64_b64 v14, v[10:11], v[12:13] offset0:72 offset1:76
	v_xor_b32_e32 v14, v1, v44
	v_lshlrev_b32_e32 v15, 8, v63
	s_addc_u32 s1, s7, s31
	v_lshl_or_b32 v14, v14, 1, v15
	s_mul_hi_i32 s3, s24, s13
	s_mul_i32 s24, s24, s13
	ds_write_b64 v14, v[10:11] offset:32768
	v_xor_b32_e32 v10, v66, v44
	s_add_u32 s6, s24, s33
	v_lshl_or_b32 v10, v10, 1, v15
	s_addc_u32 s7, s3, s14
	v_lshlrev_b32_e32 v11, 1, v63
	ds_write_b64 v10, v[12:13] offset:32768
	v_lshrrev_b32_e32 v10, 4, v0
	s_ashr_i32 s3, s2, 31
	s_lshl_b64 s[6:7], s[6:7], 15
	v_or_b32_e32 v12, 1, v11
	s_add_u32 s6, s16, s6
	v_xor_b32_e32 v11, v10, v11
	v_xor_b32_e32 v12, v12, v10
	v_lshlrev_b32_e32 v14, 8, v10
	s_addc_u32 s7, s17, s7
	s_lshl_b64 s[2:3], s[2:3], 8
	v_lshl_or_b32 v10, v11, 3, v14
	v_lshl_or_b32 v12, v12, 3, v14
	s_waitcnt lgkmcnt(0)
	s_barrier
	s_add_u32 s2, s6, s2
	ds_read_b64 v[10:11], v10 offset:32768
	ds_read_b64 v[12:13], v12 offset:32768
	s_addc_u32 s3, s7, s3
	v_mov_b32_e32 v15, 0
	s_cmp_lg_u32 s47, 64
	v_lshl_add_u64 v[16:17], s[2:3], 0, v[14:15]
	v_lshlrev_b32_e32 v14, 4, v63
	s_cselect_b64 s[6:7], -1, 0
	v_lshl_or_b32 v35, v53, 3, v65
	s_mov_b32 s24, 0
	v_lshl_add_u64 v[14:15], v[16:17], 0, v[14:15]
	v_or_b32_e32 v27, 32, v35
	v_and_b32_e32 v26, 56, v64
	s_and_b64 vcc, exec, s[6:7]
	s_waitcnt lgkmcnt(0)
	global_store_dwordx4 v[14:15], v[10:13], off
	s_cbranch_vccz .LBB717_31
; %bb.26:
	s_mov_b32 s25, s24
	s_mov_b32 s26, s24
	;; [unrolled: 1-line block ×3, first 2 shown]
	v_mov_b64_e32 v[14:15], s[24:25]
	v_mov_b64_e32 v[16:17], s[26:27]
	;; [unrolled: 1-line block ×3, first 2 shown]
	v_cmp_gt_i32_e32 vcc, s47, v35
	v_mov_b64_e32 v[12:13], v[16:17]
	s_and_saveexec_b64 s[2:3], vcc
	s_cbranch_execz .LBB717_28
; %bb.27:
	v_lshlrev_b32_e32 v10, 8, v35
	v_mov_b32_e32 v11, 0
	v_lshl_add_u64 v[12:13], s[0:1], 0, v[10:11]
	v_lshlrev_b32_e32 v10, 1, v26
	v_lshl_add_u64 v[18:19], v[12:13], 0, v[10:11]
	global_load_dwordx4 v[14:17], v[18:19], off
	global_load_dwordx4 v[10:13], v[18:19], off offset:128
.LBB717_28:
	s_or_b64 exec, exec, s[2:3]
	s_mov_b32 s25, s24
	s_mov_b32 s26, s24
	;; [unrolled: 1-line block ×3, first 2 shown]
	v_mov_b64_e32 v[22:23], s[24:25]
	v_mov_b64_e32 v[24:25], s[26:27]
	;; [unrolled: 1-line block ×3, first 2 shown]
	v_cmp_gt_i32_e32 vcc, s47, v27
	v_lshlrev_b32_e32 v28, 7, v27
	v_mov_b64_e32 v[20:21], v[24:25]
	s_and_saveexec_b64 s[2:3], vcc
	s_cbranch_execz .LBB717_30
; %bb.29:
	v_lshlrev_b32_e32 v18, 1, v28
	v_mov_b32_e32 v19, 0
	v_lshl_add_u64 v[20:21], s[0:1], 0, v[18:19]
	v_lshlrev_b32_e32 v18, 1, v26
	v_lshl_add_u64 v[30:31], v[20:21], 0, v[18:19]
	global_load_dwordx4 v[22:25], v[30:31], off
	global_load_dwordx4 v[18:21], v[30:31], off offset:128
.LBB717_30:
	s_or_b64 exec, exec, s[2:3]
	v_lshrrev_b32_e32 v29, 3, v26
	v_lshlrev_b32_e32 v30, 3, v35
	v_or_b32_e32 v29, v30, v29
	v_lshlrev_b32_e32 v29, 4, v29
	v_and_b32_e32 v30, 0x78, v30
	v_xor_b32_e32 v29, v29, v30
	s_branch .LBB717_33
.LBB717_31:
                                        ; implicit-def: $vgpr29
                                        ; implicit-def: $vgpr28
                                        ; implicit-def: $vgpr14_vgpr15_vgpr16_vgpr17
                                        ; implicit-def: $vgpr10_vgpr11_vgpr12_vgpr13
                                        ; implicit-def: $vgpr22_vgpr23_vgpr24_vgpr25
                                        ; implicit-def: $vgpr18_vgpr19_vgpr20_vgpr21
	s_cbranch_execz .LBB717_33
; %bb.32:
	s_waitcnt vmcnt(0)
	v_lshlrev_b32_e32 v10, 1, v26
	v_lshl_or_b32 v28, v35, 8, v10
	s_and_b32 s1, s1, 0xffff
	s_mov_b32 s3, 0x20000
	s_movk_i32 s2, 0x4000
	v_lshl_or_b32 v29, v27, 8, v10
	s_movk_i32 s16, 0x80
	buffer_load_dwordx4 v[14:17], v28, s[0:3], 0 offen
	buffer_load_dwordx4 v[10:13], v28, s[0:3], s16 offen
	;; [unrolled: 1-line block ×4, first 2 shown]
	v_lshrrev_b32_e32 v28, 3, v26
	v_lshlrev_b32_e32 v29, 3, v35
	v_or_b32_e32 v28, v29, v28
	v_lshlrev_b32_e32 v28, 4, v28
	v_and_b32_e32 v29, 0x78, v29
	v_xor_b32_e32 v29, v28, v29
	v_lshlrev_b32_e32 v28, 7, v27
.LBB717_33:
	s_lshl_b64 s[0:1], s[44:45], 8
	s_add_u32 s4, s4, s0
	s_movk_i32 s0, 0x1000
	v_and_or_b32 v27, v28, s0, v29
	s_waitcnt vmcnt(1)
	ds_write_b64 v29, v[14:15] offset:16384
	v_xor_b32_e32 v14, 8, v29
	s_addc_u32 s5, s5, s1
	ds_write_b64 v14, v[16:17] offset:16384
	s_waitcnt vmcnt(0)
	ds_write_b64 v29, v[10:11] offset:24576
	ds_write_b64 v14, v[12:13] offset:24576
	;; [unrolled: 1-line block ×3, first 2 shown]
	v_xor_b32_e32 v10, 8, v27
	s_add_i32 s16, s12, -1
	ds_write_b64 v10, v[24:25] offset:16384
	ds_write_b64 v27, v[18:19] offset:24576
	;; [unrolled: 1-line block ×3, first 2 shown]
	s_mul_i32 s3, s16, s39
	s_mul_hi_u32 s12, s16, s38
	v_or_b32_e32 v10, v60, v63
	s_add_i32 s3, s12, s3
	v_lshlrev_b32_e32 v10, 3, v10
	v_lshrrev_b32_e32 v12, 5, v61
	s_movk_i32 s12, 0xf8
	v_and_or_b32 v12, v10, s12, v12
	v_lshlrev_b32_e32 v45, 11, v53
	v_lshlrev_b32_e32 v20, 4, v12
	v_and_b32_e32 v21, 0x78, v10
	v_and_b32_e32 v22, 0x1000, v45
	v_lshlrev_b32_e32 v11, 2, v0
	v_xor_b32_e32 v10, v20, v21
	v_lshrrev_b32_e32 v12, 1, v61
	v_and_b32_e32 v11, 60, v11
	v_or_b32_e32 v10, v10, v22
	v_and_b32_e32 v23, 8, v12
	v_xor_b32_e32 v36, v10, v23
	v_lshl_or_b32 v10, v62, 6, v11
	v_lshlrev_b32_e32 v46, 1, v10
	v_or_b32_e32 v10, 32, v20
	v_xor_b32_e32 v10, v10, v21
	s_waitcnt lgkmcnt(0)
	s_barrier
	ds_read_b64 v[18:19], v36 offset:16384
	v_or_b32_e32 v10, v10, v22
	v_xor_b32_e32 v37, v10, v23
	v_or_b32_e32 v10, 64, v20
	v_xor_b32_e32 v10, v10, v21
	v_or_b32_e32 v10, v10, v22
	v_or_b32_e32 v20, 0x60, v20
	v_xor_b32_e32 v38, v10, v23
	ds_read2st64_b64 v[10:13], v46 offset0:72 offset1:73
	ds_read2st64_b64 v[14:17], v46 offset0:74 offset1:75
	v_xor_b32_e32 v24, v20, v21
	ds_read_b64 v[20:21], v37 offset:16384
	s_waitcnt lgkmcnt(2)
	v_mfma_f32_16x16x16_bf16 a[0:3], v[18:19], v[10:11], 0
	s_add_i32 s0, s49, s21
	s_mul_i32 s41, s41, s20
	s_add_i32 s41, s0, s41
	s_mul_i32 s0, s33, s23
	s_mul_hi_u32 s1, s33, s22
	s_ashr_i32 s2, s16, 31
	s_add_i32 s0, s1, s0
	s_mul_i32 s1, s14, s22
	s_mul_i32 s2, s2, s38
	v_or_b32_e32 v22, v24, v22
	s_add_i32 s1, s0, s1
	s_add_i32 s3, s3, s2
	s_lshl_b64 s[20:21], s[40:41], 2
	v_xor_b32_e32 v47, v22, v23
	ds_read_b64 v[22:23], v38 offset:16384
	ds_read_b64 v[24:25], v47 offset:16384
	s_waitcnt lgkmcnt(2)
	v_mfma_f32_16x16x16_bf16 a[0:3], v[20:21], v[12:13], a[0:3]
	s_mul_i32 s0, s33, s22
	s_add_u32 s10, s10, s20
	s_addc_u32 s11, s11, s21
	s_lshl_b64 s[0:1], s[0:1], 2
	s_mul_i32 s2, s16, s38
	s_add_u32 s10, s10, s0
	s_addc_u32 s11, s11, s1
	s_lshl_b64 s[0:1], s[2:3], 2
	s_waitcnt lgkmcnt(1)
	v_mfma_f32_16x16x16_bf16 a[0:3], v[22:23], v[14:15], a[0:3]
	s_add_u32 s0, s10, s0
	s_addc_u32 s1, s11, s1
	s_load_dword s12, s[0:1], 0x0
	s_waitcnt lgkmcnt(0)
	v_mfma_f32_16x16x16_bf16 a[0:3], v[24:25], v[16:17], a[0:3]
	s_and_b64 vcc, exec, s[42:43]
	s_cbranch_vccz .LBB717_44
; %bb.34:
	v_lshlrev_b32_e32 v27, 1, v35
	s_and_b64 vcc, exec, s[6:7]
	s_cbranch_vccz .LBB717_45
; %bb.35:
	v_cmp_gt_i32_e32 vcc, s47, v27
	v_mov_b32_e32 v14, 0
	v_mov_b32_e32 v10, 0
	;; [unrolled: 1-line block ×5, first 2 shown]
	s_and_saveexec_b64 s[0:1], vcc
	s_cbranch_execz .LBB717_37
; %bb.36:
	v_mad_i64_i32 v[10:11], s[2:3], s15, v27, 0
	v_lshl_add_u64 v[10:11], v[10:11], 1, s[4:5]
	v_lshlrev_b32_e32 v12, 1, v26
	v_mov_b32_e32 v13, 0
	v_lshl_add_u64 v[10:11], v[10:11], 0, v[12:13]
	global_load_dwordx4 v[10:13], v[10:11], off
.LBB717_37:
	s_or_b64 exec, exec, s[0:1]
	v_or_b32_e32 v28, 1, v27
	v_cmp_gt_i32_e64 s[0:1], s47, v28
	v_mov_b32_e32 v15, 0
	v_mov_b32_e32 v16, 0
	;; [unrolled: 1-line block ×3, first 2 shown]
	s_and_saveexec_b64 s[2:3], s[0:1]
	s_cbranch_execz .LBB717_39
; %bb.38:
	v_mad_i64_i32 v[14:15], s[20:21], s15, v28, 0
	v_lshl_add_u64 v[14:15], v[14:15], 1, s[4:5]
	v_lshlrev_b32_e32 v16, 1, v26
	v_mov_b32_e32 v17, 0
	v_lshl_add_u64 v[14:15], v[14:15], 0, v[16:17]
	global_load_dwordx4 v[14:17], v[14:15], off
.LBB717_39:
	s_or_b64 exec, exec, s[2:3]
	v_mov_b32_e32 v25, 0
	v_mov_b32_e32 v18, 0
	;; [unrolled: 1-line block ×5, first 2 shown]
	s_and_saveexec_b64 s[2:3], vcc
	s_cbranch_execz .LBB717_41
; %bb.40:
	v_mad_i64_i32 v[18:19], s[20:21], s15, v27, 0
	v_lshl_add_u64 v[18:19], v[18:19], 1, s[4:5]
	v_lshlrev_b32_e32 v20, 1, v26
	v_mov_b32_e32 v21, 0
	v_lshl_add_u64 v[18:19], v[18:19], 0, v[20:21]
	global_load_dwordx4 v[18:21], v[18:19], off offset:128
.LBB717_41:
	s_or_b64 exec, exec, s[2:3]
	v_mov_b32_e32 v24, 0
	v_mov_b32_e32 v23, 0
	;; [unrolled: 1-line block ×3, first 2 shown]
	s_and_saveexec_b64 s[2:3], s[0:1]
	s_cbranch_execz .LBB717_43
; %bb.42:
	v_mad_i64_i32 v[22:23], s[0:1], s15, v28, 0
	v_lshl_add_u64 v[22:23], v[22:23], 1, s[4:5]
	v_lshlrev_b32_e32 v24, 1, v26
	v_mov_b32_e32 v25, 0
	v_lshl_add_u64 v[22:23], v[22:23], 0, v[24:25]
	global_load_dwordx4 v[22:25], v[22:23], off offset:128
.LBB717_43:
	s_or_b64 exec, exec, s[2:3]
	s_branch .LBB717_47
.LBB717_44:
                                        ; implicit-def: $vgpr13
                                        ; implicit-def: $vgpr17
                                        ; implicit-def: $vgpr21
                                        ; implicit-def: $vgpr25
	v_lshrrev_b32_e32 v27, 2, v61
	s_branch .LBB717_48
.LBB717_45:
                                        ; implicit-def: $vgpr13
                                        ; implicit-def: $vgpr17
                                        ; implicit-def: $vgpr21
                                        ; implicit-def: $vgpr25
	s_cbranch_execz .LBB717_47
; %bb.46:
	s_waitcnt vmcnt(0)
	v_mad_u64_u32 v[10:11], s[0:1], v27, s15, v[26:27]
	v_lshlrev_b32_e32 v27, 1, v10
	s_lshl_b32 s2, s15, 7
	s_and_b32 s1, s5, 0xffff
	s_mov_b32 s3, 0x20000
	s_mov_b32 s0, s4
	v_add_lshl_u32 v28, v10, s15, 1
	s_movk_i32 s15, 0x80
	buffer_load_dwordx4 v[10:13], v27, s[0:3], 0 offen
	buffer_load_dwordx4 v[18:21], v27, s[0:3], s15 offen
	buffer_load_dwordx4 v[14:17], v28, s[0:3], 0 offen
	buffer_load_dwordx4 v[22:25], v28, s[0:3], s15 offen
.LBB717_47:
	v_lshrrev_b32_e32 v27, 2, v61
	s_cbranch_execnz .LBB717_60
.LBB717_48:
	s_and_b64 vcc, exec, s[6:7]
	s_cbranch_vccz .LBB717_58
; %bb.49:
	s_waitcnt vmcnt(0)
	v_lshlrev_b32_e32 v15, 1, v35
	v_cmp_gt_i32_e32 vcc, s47, v15
	v_mov_b32_e32 v14, 0
	v_lshlrev_b32_e32 v22, 9, v35
	v_mov_b32_e32 v10, 0
	v_mov_b32_e32 v11, 0
	;; [unrolled: 1-line block ×4, first 2 shown]
	s_and_saveexec_b64 s[0:1], vcc
	s_cbranch_execz .LBB717_51
; %bb.50:
	v_mov_b32_e32 v23, 0
	v_lshl_add_u64 v[10:11], s[4:5], 0, v[22:23]
	v_lshlrev_b32_e32 v12, 1, v26
	v_mov_b32_e32 v13, v23
	v_lshl_add_u64 v[10:11], v[10:11], 0, v[12:13]
	global_load_dwordx4 v[10:13], v[10:11], off
.LBB717_51:
	s_or_b64 exec, exec, s[0:1]
	v_or_b32_e32 v15, 1, v15
	v_cmp_gt_i32_e64 s[0:1], s47, v15
	v_lshlrev_b32_e32 v28, 8, v15
	v_mov_b32_e32 v15, 0
	v_mov_b32_e32 v16, 0
	;; [unrolled: 1-line block ×3, first 2 shown]
	s_and_saveexec_b64 s[2:3], s[0:1]
	s_cbranch_execz .LBB717_53
; %bb.52:
	v_mov_b32_e32 v29, 0
	v_lshl_add_u64 v[14:15], s[4:5], 0, v[28:29]
	v_lshlrev_b32_e32 v16, 1, v26
	v_mov_b32_e32 v17, v29
	v_lshl_add_u64 v[14:15], v[14:15], 0, v[16:17]
	global_load_dwordx4 v[14:17], v[14:15], off
.LBB717_53:
	s_or_b64 exec, exec, s[2:3]
	v_mov_b32_e32 v25, 0
	v_mov_b32_e32 v18, 0
	;; [unrolled: 1-line block ×5, first 2 shown]
	s_and_saveexec_b64 s[2:3], vcc
	s_cbranch_execz .LBB717_55
; %bb.54:
	v_mov_b32_e32 v23, 0
	v_lshl_add_u64 v[18:19], s[4:5], 0, v[22:23]
	v_lshlrev_b32_e32 v22, 1, v26
	v_lshl_add_u64 v[18:19], v[18:19], 0, v[22:23]
	global_load_dwordx4 v[18:21], v[18:19], off offset:128
.LBB717_55:
	s_or_b64 exec, exec, s[2:3]
	v_mov_b32_e32 v24, 0
	v_mov_b32_e32 v23, 0
	;; [unrolled: 1-line block ×3, first 2 shown]
	s_and_saveexec_b64 s[2:3], s[0:1]
	s_cbranch_execz .LBB717_57
; %bb.56:
	v_mov_b32_e32 v29, 0
	v_lshl_add_u64 v[22:23], s[4:5], 0, v[28:29]
	v_lshlrev_b32_e32 v28, 1, v26
	v_lshl_add_u64 v[22:23], v[22:23], 0, v[28:29]
	global_load_dwordx4 v[22:25], v[22:23], off offset:128
.LBB717_57:
	s_or_b64 exec, exec, s[2:3]
	s_branch .LBB717_60
.LBB717_58:
                                        ; implicit-def: $vgpr13
                                        ; implicit-def: $vgpr17
                                        ; implicit-def: $vgpr21
                                        ; implicit-def: $vgpr25
	s_cbranch_execz .LBB717_60
; %bb.59:
	s_waitcnt vmcnt(0)
	v_lshlrev_b32_e32 v10, 1, v26
	v_lshl_or_b32 v26, v35, 9, v10
	s_and_b32 s5, s5, 0xffff
	s_mov_b32 s7, 0x20000
	s_movk_i32 s6, 0x4000
	s_movk_i32 s0, 0x80
	buffer_load_dwordx4 v[10:13], v26, s[4:7], 0 offen
	buffer_load_dwordx4 v[14:17], v26, s[4:7], 0 offen offset:256
	buffer_load_dwordx4 v[18:21], v26, s[4:7], s0 offen
	buffer_load_dwordx4 v[22:25], v26, s[4:7], s0 offen offset:256
.LBB717_60:
	v_and_b32_e32 v48, 12, v27
	ds_read2st64_b64 v[30:33], v46 offset0:76 offset1:77
	ds_read2st64_b64 v[26:29], v46 offset0:78 offset1:79
	ds_read_b64 v[42:43], v36 offset:24576
	ds_read_b64 v[40:41], v37 offset:24576
	;; [unrolled: 1-line block ×4, first 2 shown]
	v_and_b32_e32 v47, 6, v0
	v_xor_b32_e32 v35, v35, v47
	v_lshlrev_b32_e32 v35, 2, v35
	v_and_b32_e32 v49, 1, v0
	v_xor_b32_e32 v50, 0x440, v35
	v_cmp_eq_u32_e32 vcc, 0, v49
	s_mov_b32 s0, 0x1000504
	s_waitcnt vmcnt(0)
	v_perm_b32 v49, v18, v22, s0
	v_cndmask_b32_e32 v35, v50, v35, vcc
	v_lshl_or_b32 v35, v47, 10, v35
	v_perm_b32 v47, v10, v14, s0
	ds_write2st64_b32 v35, v47, v49 offset1:32
	v_xor_b32_e32 v47, 8, v35
	s_mov_b32 s1, 0x3020706
	v_perm_b32 v10, v10, v14, s1
	v_perm_b32 v14, v18, v22, s1
	v_add_u32_e32 v18, 0x80, v47
	ds_write2st64_b32 v18, v10, v14 offset1:32
	v_xor_b32_e32 v10, 16, v35
	v_perm_b32 v14, v11, v15, s0
	v_perm_b32 v18, v19, v23, s0
	ds_write2st64_b32 v10, v14, v18 offset0:1 offset1:33
	v_xor_b32_e32 v10, 24, v35
	v_perm_b32 v11, v11, v15, s1
	v_perm_b32 v14, v19, v23, s1
	v_add_u32_e32 v10, 0x80, v10
	ds_write2st64_b32 v10, v11, v14 offset0:1 offset1:33
	v_xor_b32_e32 v10, 32, v35
	v_perm_b32 v11, v12, v16, s0
	v_perm_b32 v14, v20, v24, s0
	ds_write2st64_b32 v10, v11, v14 offset0:2 offset1:34
	v_xor_b32_e32 v10, 40, v35
	v_perm_b32 v11, v12, v16, s1
	v_perm_b32 v12, v20, v24, s1
	v_add_u32_e32 v10, 0x80, v10
	ds_write2st64_b32 v10, v11, v12 offset0:2 offset1:34
	v_xor_b32_e32 v10, 48, v35
	v_perm_b32 v11, v13, v17, s0
	v_perm_b32 v12, v21, v25, s0
	ds_write2st64_b32 v10, v11, v12 offset0:3 offset1:35
	v_xor_b32_e32 v10, 56, v35
	v_or_b32_e32 v18, v48, v60
	v_perm_b32 v11, v13, v17, s1
	v_perm_b32 v12, v21, v25, s1
	v_add_u32_e32 v10, 0x80, v10
	v_cmp_gt_i32_e32 vcc, s47, v18
	v_mov_b32_e32 v20, 0
	v_mov_b32_e32 v24, 0
	ds_write2st64_b32 v10, v11, v12 offset0:3 offset1:35
	s_and_saveexec_b64 s[0:1], vcc
	s_cbranch_execz .LBB717_62
; %bb.61:
	v_add_u32_e32 v10, s46, v18
	v_ashrrev_i32_e32 v11, 31, v10
	v_mul_lo_u32 v12, v11, s38
	v_mul_lo_u32 v13, v10, s39
	v_mad_u64_u32 v[10:11], s[2:3], v10, s38, 0
	v_add3_u32 v11, v11, v13, v12
	v_lshl_add_u64 v[10:11], v[10:11], 2, s[10:11]
	global_load_dword v10, v[10:11], off
	s_waitcnt vmcnt(0)
	v_sub_f32_e32 v10, s12, v10
	v_mul_f32_e32 v10, 0x3fb8aa3b, v10
	v_exp_f32_e32 v24, v10
.LBB717_62:
	s_or_b64 exec, exec, s[0:1]
	v_or_b32_e32 v23, 1, v18
	v_cmp_gt_i32_e64 s[4:5], s47, v23
	s_and_saveexec_b64 s[0:1], s[4:5]
	s_cbranch_execz .LBB717_64
; %bb.63:
	v_add_u32_e32 v10, s46, v23
	v_ashrrev_i32_e32 v11, 31, v10
	v_mul_lo_u32 v12, v11, s38
	v_mul_lo_u32 v13, v10, s39
	v_mad_u64_u32 v[10:11], s[2:3], v10, s38, 0
	v_add3_u32 v11, v11, v13, v12
	v_lshl_add_u64 v[10:11], v[10:11], 2, s[10:11]
	global_load_dword v10, v[10:11], off
	s_waitcnt vmcnt(0)
	v_sub_f32_e32 v10, s12, v10
	v_mul_f32_e32 v10, 0x3fb8aa3b, v10
	v_exp_f32_e32 v20, v10
.LBB717_64:
	s_or_b64 exec, exec, s[0:1]
	v_or_b32_e32 v21, 2, v18
	v_cmp_gt_i32_e64 s[0:1], s47, v21
	v_mov_b32_e32 v19, 0
	v_mov_b32_e32 v25, 0
	s_and_saveexec_b64 s[2:3], s[0:1]
	s_cbranch_execz .LBB717_66
; %bb.65:
	v_add_u32_e32 v10, s46, v21
	v_ashrrev_i32_e32 v11, 31, v10
	v_mul_lo_u32 v12, v11, s38
	v_mul_lo_u32 v13, v10, s39
	v_mad_u64_u32 v[10:11], s[6:7], v10, s38, 0
	v_add3_u32 v11, v11, v13, v12
	v_lshl_add_u64 v[10:11], v[10:11], 2, s[10:11]
	global_load_dword v10, v[10:11], off
	s_waitcnt vmcnt(0)
	v_sub_f32_e32 v10, s12, v10
	v_mul_f32_e32 v10, 0x3fb8aa3b, v10
	v_exp_f32_e32 v25, v10
.LBB717_66:
	s_or_b64 exec, exec, s[2:3]
	v_or_b32_e32 v22, 3, v18
	v_cmp_gt_i32_e64 s[2:3], s47, v22
	s_and_saveexec_b64 s[6:7], s[2:3]
	s_cbranch_execz .LBB717_68
; %bb.67:
	v_add_u32_e32 v10, s46, v22
	v_ashrrev_i32_e32 v11, 31, v10
	v_mul_lo_u32 v12, v11, s38
	v_mul_lo_u32 v13, v10, s39
	v_mad_u64_u32 v[10:11], s[20:21], v10, s38, 0
	v_add3_u32 v11, v11, v13, v12
	v_lshl_add_u64 v[10:11], v[10:11], 2, s[10:11]
	global_load_dword v10, v[10:11], off
	s_waitcnt vmcnt(0)
	v_sub_f32_e32 v10, s12, v10
	v_mul_f32_e32 v10, 0x3fb8aa3b, v10
	v_exp_f32_e32 v19, v10
.LBB717_68:
	s_or_b64 exec, exec, s[6:7]
	s_waitcnt lgkmcnt(11)
	v_mfma_f32_16x16x16_bf16 a[0:3], v[42:43], v[30:31], a[0:3]
	s_add_u32 s6, s8, s30
	v_ashrrev_i32_e32 v35, 31, v34
	s_addc_u32 s7, s9, s31
	s_waitcnt lgkmcnt(10)
	v_mfma_f32_16x16x16_bf16 a[0:3], v[40:41], v[32:33], a[0:3]
	v_lshlrev_b64 v[10:11], 1, v[34:35]
	v_lshl_add_u64 v[14:15], s[6:7], 0, v[10:11]
	s_add_u32 s6, s18, s30
	s_waitcnt lgkmcnt(9)
	v_mfma_f32_16x16x16_bf16 a[0:3], v[38:39], v[26:27], a[0:3]
	s_addc_u32 s7, s19, s31
	v_lshl_add_u64 v[16:17], s[6:7], 0, v[10:11]
	v_mov_b32_e32 v26, 0
	s_waitcnt lgkmcnt(8)
	v_mfma_f32_16x16x16_bf16 a[0:3], v[36:37], v[28:29], a[0:3]
	v_mov_b32_e32 v27, 0
	s_nop 5
	v_accvgpr_read_b32 v13, a3
	v_accvgpr_read_b32 v12, a2
	;; [unrolled: 1-line block ×4, first 2 shown]
	s_and_saveexec_b64 s[6:7], vcc
	s_cbranch_execz .LBB717_70
; %bb.69:
	v_lshlrev_b32_e32 v28, 8, v18
	v_mov_b32_e32 v29, 0
	v_lshl_add_u64 v[30:31], v[14:15], 0, v[28:29]
	global_load_ushort v27, v[30:31], off
	v_lshl_add_u64 v[28:29], v[16:17], 0, v[28:29]
	s_waitcnt vmcnt(0)
	v_lshlrev_b32_e32 v27, 16, v27
	v_sub_f32_e32 v10, v27, v10
	global_store_short_d16_hi v[28:29], v10, off
	v_mul_f32_e32 v10, v24, v10
	v_lshrrev_b32_e32 v27, 16, v10
.LBB717_70:
	s_or_b64 exec, exec, s[6:7]
	s_and_saveexec_b64 s[6:7], s[4:5]
	s_cbranch_execz .LBB717_72
; %bb.71:
	v_lshlrev_b32_e32 v28, 8, v23
	v_mov_b32_e32 v29, 0
	v_lshl_add_u64 v[30:31], v[14:15], 0, v[28:29]
	global_load_ushort v10, v[30:31], off
	v_lshl_add_u64 v[28:29], v[16:17], 0, v[28:29]
	s_waitcnt vmcnt(0)
	v_lshlrev_b32_e32 v10, 16, v10
	v_sub_f32_e32 v10, v10, v11
	global_store_short_d16_hi v[28:29], v10, off
	v_mul_f32_e32 v10, v20, v10
	v_lshrrev_b32_e32 v26, 16, v10
.LBB717_72:
	s_or_b64 exec, exec, s[6:7]
	v_mov_b32_e32 v11, 0
	v_mov_b32_e32 v20, 0
	s_and_saveexec_b64 s[4:5], s[0:1]
	s_cbranch_execz .LBB717_74
; %bb.73:
	v_lshlrev_b32_e32 v20, 8, v21
	v_mov_b32_e32 v21, 0
	v_lshl_add_u64 v[28:29], v[14:15], 0, v[20:21]
	global_load_ushort v10, v[28:29], off
	v_lshl_add_u64 v[20:21], v[16:17], 0, v[20:21]
	s_waitcnt vmcnt(0)
	v_lshlrev_b32_e32 v10, 16, v10
	v_sub_f32_e32 v10, v10, v12
	global_store_short_d16_hi v[20:21], v10, off
	v_mul_f32_e32 v10, v25, v10
	v_lshrrev_b32_e32 v20, 16, v10
.LBB717_74:
	s_or_b64 exec, exec, s[4:5]
	v_or_b32_e32 v10, 0x9800, v46
	s_and_saveexec_b64 s[0:1], s[2:3]
	s_cbranch_execz .LBB717_76
; %bb.75:
	v_lshlrev_b32_e32 v22, 8, v22
	v_mov_b32_e32 v23, 0
	v_lshl_add_u64 v[14:15], v[14:15], 0, v[22:23]
	global_load_ushort v11, v[14:15], off
	v_lshl_add_u64 v[14:15], v[16:17], 0, v[22:23]
	s_waitcnt vmcnt(0)
	v_lshlrev_b32_e32 v11, 16, v11
	v_sub_f32_e32 v11, v11, v13
	global_store_short_d16_hi v[14:15], v11, off
	v_mul_f32_e32 v11, v19, v11
	v_lshrrev_b32_e32 v11, 16, v11
.LBB717_76:
	s_or_b64 exec, exec, s[0:1]
	s_mov_b32 s0, 0x5040100
	v_perm_b32 v13, v11, v20, s0
	v_lshlrev_b32_e32 v11, 1, v44
	v_perm_b32 v12, v26, v27, s0
	v_lshl_or_b32 v11, v18, 5, v11
	s_movk_i32 s2, 0xff
	ds_write_b64 v11, v[12:13] offset:38912
	v_and_b32_e32 v11, 7, v0
	v_cmp_lt_u32_e32 vcc, s2, v0
	v_and_b32_e32 v12, 8, v0
	v_lshlrev_b32_e32 v20, 3, v11
	v_lshlrev_b32_e32 v32, 7, v11
	v_cndmask_b32_e64 v11, 0, 1, vcc
	v_lshrrev_b32_e32 v0, 1, v0
	v_lshlrev_b32_e32 v22, 13, v11
	v_lshlrev_b32_e32 v11, 3, v53
	v_and_b32_e32 v0, 24, v0
	v_xor_b32_e32 v13, v11, v0
	v_or_b32_e32 v14, 0x440, v13
	v_cmp_eq_u32_e32 vcc, 0, v12
	s_add_i32 s0, s16, s48
	s_mul_hi_i32 s1, s0, s13
	v_cndmask_b32_e32 v12, v14, v13, vcc
	v_or_b32_e32 v12, v12, v45
	v_xor_b32_e32 v33, v12, v20
	v_or_b32_e32 v12, 32, v0
	v_xor_b32_e32 v12, v11, v12
	v_or_b32_e32 v13, 0x440, v12
	v_cndmask_b32_e32 v12, v13, v12, vcc
	v_or_b32_e32 v12, v12, v45
	v_xor_b32_e32 v35, v12, v20
	v_or_b32_e32 v12, 64, v0
	v_xor_b32_e32 v12, v11, v12
	v_xor_b32_e32 v13, 0x440, v12
	s_mul_i32 s0, s0, s13
	v_cndmask_b32_e32 v12, v13, v12, vcc
	v_or_b32_e32 v0, 0x60, v0
	s_add_u32 s0, s0, s33
	v_add3_u32 v23, v22, v33, v32
	v_or_b32_e32 v12, v12, v45
	v_xor_b32_e32 v0, v11, v0
	s_waitcnt lgkmcnt(0)
	s_barrier
	s_addc_u32 s1, s1, s14
	v_lshlrev_b32_e32 v21, 2, v18
	v_xor_b32_e32 v36, v12, v20
	ds_read2st64_b64 v[12:15], v10 offset1:1
	ds_read2st64_b64 v[16:19], v10 offset0:2 offset1:3
	ds_read_b64 v[10:11], v23
	v_xor_b32_e32 v23, 0x440, v0
	s_lshl_b64 s[0:1], s[0:1], 9
	v_cndmask_b32_e32 v0, v23, v0, vcc
	s_add_u32 s0, s36, s0
	v_or_b32_e32 v0, v0, v45
	s_addc_u32 s1, s37, s1
	v_add3_u32 v24, v22, v35, v32
	v_xor_b32_e32 v37, v0, v20
	v_add3_u32 v26, v22, v36, v32
	v_add3_u32 v0, v22, v37, v32
	ds_read_b64 v[24:25], v24
	ds_read_b64 v[28:29], v26
	;; [unrolled: 1-line block ×3, first 2 shown]
	global_load_dwordx4 v[20:23], v21, s[0:1]
	s_waitcnt lgkmcnt(3)
	v_mfma_f32_16x16x16_bf16 a[0:3], v[10:11], v[12:13], 0
	v_lshlrev_b32_e32 v0, 6, v53
	v_lshlrev_b32_e32 v10, 2, v48
	s_movk_i32 s2, 0x100
	v_or3_b32 v0, v0, v10, s2
	s_waitcnt lgkmcnt(2)
	v_mfma_f32_16x16x16_bf16 a[0:3], v[24:25], v[14:15], a[0:3]
	global_load_dwordx4 v[24:27], v0, s[0:1]
	v_mov_b32_e32 v0, 0x3fb8aa3b
	v_mul_f32_e32 v0, s12, v0
	s_waitcnt lgkmcnt(1)
	v_mfma_f32_16x16x16_bf16 a[0:3], v[28:29], v[16:17], a[0:3]
	v_exp_f32_e32 v0, v0
	v_add_u32_e32 v33, v33, v32
	v_add_u32_e32 v35, v35, v32
	s_waitcnt lgkmcnt(0)
	v_mfma_f32_16x16x16_bf16 a[0:3], v[30:31], v[18:19], a[0:3]
	ds_read_b64 v[30:31], v33 offset:8192
	s_waitcnt vmcnt(1)
	v_mul_f32_e32 v20, 0x3fb8aa3b, v20
	v_mul_f32_e32 v21, 0x3fb8aa3b, v21
	v_exp_f32_e32 v20, v20
	v_exp_f32_e32 v21, v21
	s_nop 0
	v_accvgpr_read_b32 v29, a1
	v_accvgpr_read_b32 v28, a0
	v_mul_f32_e32 v22, 0x3fb8aa3b, v22
	v_pk_mul_f32 v[20:21], v[0:1], v[20:21] op_sel_hi:[0,1]
	v_pk_fma_f32 v[2:3], v[2:3], v[20:21], v[28:29]
	ds_read_b64 v[20:21], v35 offset:8192
	v_mul_f32_e32 v23, 0x3fb8aa3b, v23
	v_exp_f32_e32 v22, v22
	v_exp_f32_e32 v23, v23
	v_accvgpr_read_b32 v11, a3
	v_accvgpr_read_b32 v10, a2
	s_waitcnt lgkmcnt(1)
	v_mfma_f32_16x16x16_bf16 a[0:3], v[30:31], v[12:13], 0
	v_pk_mul_f32 v[22:23], v[0:1], v[22:23] op_sel_hi:[0,1]
	v_pk_fma_f32 v[4:5], v[4:5], v[22:23], v[10:11]
	v_add_u32_e32 v10, v36, v32
	v_add_u32_e32 v11, v37, v32
	ds_read_b64 v[22:23], v10 offset:8192
	ds_read_b64 v[28:29], v11 offset:8192
	s_waitcnt lgkmcnt(2)
	v_mfma_f32_16x16x16_bf16 a[0:3], v[20:21], v[14:15], a[0:3]
	s_waitcnt vmcnt(0)
	v_mov_b32_e32 v10, v25
	v_mov_b32_e32 v11, v26
	;; [unrolled: 1-line block ×3, first 2 shown]
	s_waitcnt lgkmcnt(1)
	v_mfma_f32_16x16x16_bf16 a[0:3], v[22:23], v[16:17], a[0:3]
	v_mul_f32_e32 v10, 0x3fb8aa3b, v10
	v_mul_f32_e32 v13, 0x3fb8aa3b, v24
	v_exp_f32_e32 v25, v10
	v_mul_f32_e32 v10, 0x3fb8aa3b, v11
	v_mul_f32_e32 v11, 0x3fb8aa3b, v12
	s_waitcnt lgkmcnt(0)
	v_mfma_f32_16x16x16_bf16 a[0:3], v[28:29], v[18:19], a[0:3]
	v_exp_f32_e32 v24, v13
	v_exp_f32_e32 v10, v10
	;; [unrolled: 1-line block ×3, first 2 shown]
	v_pk_mul_f32 v[14:15], v[0:1], v[24:25] op_sel_hi:[0,1]
	v_pk_mul_f32 v[10:11], v[0:1], v[10:11] op_sel_hi:[0,1]
	s_nop 1
	v_accvgpr_read_b32 v17, a1
	v_accvgpr_read_b32 v13, a3
	;; [unrolled: 1-line block ×4, first 2 shown]
	v_pk_fma_f32 v[6:7], v[6:7], v[14:15], v[16:17]
	v_pk_fma_f32 v[8:9], v[8:9], v[10:11], v[12:13]
	v_mov_b32_e32 v10, v34
.LBB717_77:
	s_lshl_b64 s[0:1], s[28:29], 16
	s_add_u32 s0, s34, s0
	v_lshlrev_b32_e32 v10, 7, v10
	s_addc_u32 s1, s35, s1
	v_ashrrev_i32_e32 v11, 31, v10
	v_lshl_add_u64 v[10:11], v[10:11], 2, s[0:1]
	v_lshlrev_b32_e32 v0, 2, v1
	v_mov_b32_e32 v1, 0
	v_lshl_add_u64 v[0:1], v[10:11], 0, v[0:1]
	global_store_dwordx4 v[0:1], v[2:5], off
	global_store_dwordx4 v[0:1], v[6:9], off offset:256
	s_endpgm
	.section	.rodata,"a",@progbits
	.p2align	6, 0x0
	.amdhsa_kernel _ZN12_GLOBAL__N_139chunk_gated_delta_rule_fwd_h_hip_kernelILi16ELb0ELb1ELb1ELb0ELb0ELb1ELb1ELb0EEEvPK12hip_bfloat16S3_S3_PKfS5_PKvPS1_S8_PvPKiSB_iiiiilll
		.amdhsa_group_segment_fixed_size 40960
		.amdhsa_private_segment_fixed_size 0
		.amdhsa_kernarg_size 136
		.amdhsa_user_sgpr_count 2
		.amdhsa_user_sgpr_dispatch_ptr 0
		.amdhsa_user_sgpr_queue_ptr 0
		.amdhsa_user_sgpr_kernarg_segment_ptr 1
		.amdhsa_user_sgpr_dispatch_id 0
		.amdhsa_user_sgpr_kernarg_preload_length 0
		.amdhsa_user_sgpr_kernarg_preload_offset 0
		.amdhsa_user_sgpr_private_segment_size 0
		.amdhsa_uses_dynamic_stack 0
		.amdhsa_enable_private_segment 0
		.amdhsa_system_sgpr_workgroup_id_x 1
		.amdhsa_system_sgpr_workgroup_id_y 1
		.amdhsa_system_sgpr_workgroup_id_z 0
		.amdhsa_system_sgpr_workgroup_info 0
		.amdhsa_system_vgpr_workitem_id 0
		.amdhsa_next_free_vgpr 128
		.amdhsa_next_free_sgpr 70
		.amdhsa_accum_offset 116
		.amdhsa_reserve_vcc 1
		.amdhsa_float_round_mode_32 0
		.amdhsa_float_round_mode_16_64 0
		.amdhsa_float_denorm_mode_32 3
		.amdhsa_float_denorm_mode_16_64 3
		.amdhsa_dx10_clamp 1
		.amdhsa_ieee_mode 1
		.amdhsa_fp16_overflow 0
		.amdhsa_tg_split 0
		.amdhsa_exception_fp_ieee_invalid_op 0
		.amdhsa_exception_fp_denorm_src 0
		.amdhsa_exception_fp_ieee_div_zero 0
		.amdhsa_exception_fp_ieee_overflow 0
		.amdhsa_exception_fp_ieee_underflow 0
		.amdhsa_exception_fp_ieee_inexact 0
		.amdhsa_exception_int_div_zero 0
	.end_amdhsa_kernel
	.section	.text._ZN12_GLOBAL__N_139chunk_gated_delta_rule_fwd_h_hip_kernelILi16ELb0ELb1ELb1ELb0ELb0ELb1ELb1ELb0EEEvPK12hip_bfloat16S3_S3_PKfS5_PKvPS1_S8_PvPKiSB_iiiiilll,"axG",@progbits,_ZN12_GLOBAL__N_139chunk_gated_delta_rule_fwd_h_hip_kernelILi16ELb0ELb1ELb1ELb0ELb0ELb1ELb1ELb0EEEvPK12hip_bfloat16S3_S3_PKfS5_PKvPS1_S8_PvPKiSB_iiiiilll,comdat
.Lfunc_end717:
	.size	_ZN12_GLOBAL__N_139chunk_gated_delta_rule_fwd_h_hip_kernelILi16ELb0ELb1ELb1ELb0ELb0ELb1ELb1ELb0EEEvPK12hip_bfloat16S3_S3_PKfS5_PKvPS1_S8_PvPKiSB_iiiiilll, .Lfunc_end717-_ZN12_GLOBAL__N_139chunk_gated_delta_rule_fwd_h_hip_kernelILi16ELb0ELb1ELb1ELb0ELb0ELb1ELb1ELb0EEEvPK12hip_bfloat16S3_S3_PKfS5_PKvPS1_S8_PvPKiSB_iiiiilll
                                        ; -- End function
	.section	.AMDGPU.csdata,"",@progbits
; Kernel info:
; codeLenInByte = 8444
; NumSgprs: 76
; NumVgprs: 116
; NumAgprs: 12
; TotalNumVgprs: 128
; ScratchSize: 0
; MemoryBound: 0
; FloatMode: 240
; IeeeMode: 1
; LDSByteSize: 40960 bytes/workgroup (compile time only)
; SGPRBlocks: 9
; VGPRBlocks: 15
; NumSGPRsForWavesPerEU: 76
; NumVGPRsForWavesPerEU: 128
; AccumOffset: 116
; Occupancy: 1
; WaveLimiterHint : 1
; COMPUTE_PGM_RSRC2:SCRATCH_EN: 0
; COMPUTE_PGM_RSRC2:USER_SGPR: 2
; COMPUTE_PGM_RSRC2:TRAP_HANDLER: 0
; COMPUTE_PGM_RSRC2:TGID_X_EN: 1
; COMPUTE_PGM_RSRC2:TGID_Y_EN: 1
; COMPUTE_PGM_RSRC2:TGID_Z_EN: 0
; COMPUTE_PGM_RSRC2:TIDIG_COMP_CNT: 0
; COMPUTE_PGM_RSRC3_GFX90A:ACCUM_OFFSET: 28
; COMPUTE_PGM_RSRC3_GFX90A:TG_SPLIT: 0
	.section	.text._ZN12_GLOBAL__N_139chunk_gated_delta_rule_fwd_h_hip_kernelILi16ELb0ELb1ELb0ELb0ELb0ELb1ELb1ELb0EEEvPK12hip_bfloat16S3_S3_PKfS5_PKvPS1_S8_PvPKiSB_iiiiilll,"axG",@progbits,_ZN12_GLOBAL__N_139chunk_gated_delta_rule_fwd_h_hip_kernelILi16ELb0ELb1ELb0ELb0ELb0ELb1ELb1ELb0EEEvPK12hip_bfloat16S3_S3_PKfS5_PKvPS1_S8_PvPKiSB_iiiiilll,comdat
	.globl	_ZN12_GLOBAL__N_139chunk_gated_delta_rule_fwd_h_hip_kernelILi16ELb0ELb1ELb0ELb0ELb0ELb1ELb1ELb0EEEvPK12hip_bfloat16S3_S3_PKfS5_PKvPS1_S8_PvPKiSB_iiiiilll ; -- Begin function _ZN12_GLOBAL__N_139chunk_gated_delta_rule_fwd_h_hip_kernelILi16ELb0ELb1ELb0ELb0ELb0ELb1ELb1ELb0EEEvPK12hip_bfloat16S3_S3_PKfS5_PKvPS1_S8_PvPKiSB_iiiiilll
	.p2align	8
	.type	_ZN12_GLOBAL__N_139chunk_gated_delta_rule_fwd_h_hip_kernelILi16ELb0ELb1ELb0ELb0ELb0ELb1ELb1ELb0EEEvPK12hip_bfloat16S3_S3_PKfS5_PKvPS1_S8_PvPKiSB_iiiiilll,@function
_ZN12_GLOBAL__N_139chunk_gated_delta_rule_fwd_h_hip_kernelILi16ELb0ELb1ELb0ELb0ELb0ELb1ELb1ELb0EEEvPK12hip_bfloat16S3_S3_PKfS5_PKvPS1_S8_PvPKiSB_iiiiilll: ; @_ZN12_GLOBAL__N_139chunk_gated_delta_rule_fwd_h_hip_kernelILi16ELb0ELb1ELb0ELb0ELb0ELb1ELb1ELb0EEEvPK12hip_bfloat16S3_S3_PKfS5_PKvPS1_S8_PvPKiSB_iiiiilll
; %bb.0:
	s_load_dwordx4 s[12:15], s[0:1], 0x5c
	s_load_dwordx4 s[16:19], s[0:1], 0x70
	s_abs_i32 s22, s3
	s_ashr_i32 s21, s3, 31
	s_load_dwordx8 s[4:11], s[0:1], 0x0
	s_load_dwordx2 s[30:31], s[0:1], 0x20
	s_waitcnt lgkmcnt(0)
	s_abs_i32 s20, s13
	v_cvt_f32_u32_e32 v1, s20
	s_sub_i32 s24, 0, s20
	s_ashr_i32 s23, s13, 31
	s_xor_b32 s21, s21, s23
	v_rcp_iflag_f32_e32 v1, v1
	s_load_dwordx2 s[28:29], s[0:1], 0x40
	s_load_dwordx2 s[38:39], s[0:1], 0x30
	;; [unrolled: 1-line block ×3, first 2 shown]
	v_lshrrev_b32_e32 v53, 6, v0
	v_mul_f32_e32 v1, 0x4f7ffffe, v1
	v_cvt_u32_f32_e32 v1, v1
	v_bfe_u32 v60, v0, 4, 2
	v_lshlrev_b32_e32 v58, 4, v53
	v_lshlrev_b32_e32 v10, 2, v60
	v_readfirstlane_b32 s25, v1
	s_mul_i32 s24, s24, s25
	s_mul_hi_u32 s24, s25, s24
	s_add_i32 s25, s25, s24
	s_mul_hi_u32 s24, s22, s25
	s_mul_i32 s25, s24, s20
	s_sub_i32 s22, s22, s25
	s_add_i32 s25, s24, 1
	s_sub_i32 s26, s22, s20
	s_cmp_ge_u32 s22, s20
	s_cselect_b32 s24, s25, s24
	s_cselect_b32 s22, s26, s22
	s_add_i32 s25, s24, 1
	s_cmp_ge_u32 s22, s20
	s_cselect_b32 s22, s25, s24
	s_xor_b32 s22, s22, s21
	s_sub_i32 s50, s22, s21
	s_abs_i32 s21, s14
	v_cvt_f32_u32_e32 v1, s21
	s_ashr_i32 s49, s12, 31
	s_lshr_b32 s22, s49, 26
	s_add_i32 s22, s12, s22
	v_rcp_iflag_f32_e32 v1, v1
	s_ashr_i32 s52, s14, 31
	s_ashr_i32 s51, s22, 6
	s_xor_b32 s22, s23, s52
	v_mul_f32_e32 v1, 0x4f7ffffe, v1
	v_cvt_u32_f32_e32 v1, v1
	s_sub_i32 s23, 0, s21
	s_mul_i32 s48, s50, s13
	s_sub_i32 s33, s3, s48
	v_readfirstlane_b32 s24, v1
	s_mul_i32 s23, s23, s24
	s_mul_hi_u32 s23, s24, s23
	s_add_i32 s24, s24, s23
	s_mul_hi_u32 s23, s20, s24
	s_mul_i32 s24, s23, s21
	s_sub_i32 s20, s20, s24
	s_add_i32 s3, s12, 63
	s_add_i32 s24, s23, 1
	s_sub_i32 s25, s20, s21
	s_cmp_ge_u32 s20, s21
	s_cselect_b32 s23, s24, s23
	s_cselect_b32 s20, s25, s20
	s_add_i32 s24, s23, 1
	s_cmp_ge_u32 s20, s21
	s_cselect_b32 s20, s24, s23
	s_xor_b32 s20, s20, s22
	s_sub_i32 s20, s20, s22
	s_abs_i32 s21, s20
	v_cvt_f32_u32_e32 v1, s21
	s_xor_b32 s0, s33, s20
	s_sub_i32 s20, 0, s21
	s_abs_i32 s1, s33
	v_rcp_iflag_f32_e32 v1, v1
	s_ashr_i32 s0, s0, 31
	v_and_b32_e32 v59, 63, v0
	v_mov_b32_e32 v9, 0
	v_mul_f32_e32 v1, 0x4f7ffffe, v1
	v_cvt_u32_f32_e32 v1, v1
	s_mul_i32 s46, s50, s12
	v_and_b32_e32 v61, 15, v0
	s_mul_hi_i32 s54, s50, s13
	v_readfirstlane_b32 s22, v1
	s_mul_i32 s20, s20, s22
	s_mul_hi_u32 s20, s22, s20
	s_add_i32 s22, s22, s20
	s_mul_hi_u32 s20, s1, s22
	s_mul_i32 s22, s20, s21
	s_sub_i32 s1, s1, s22
	s_add_i32 s22, s20, 1
	s_sub_i32 s23, s1, s21
	s_cmp_ge_u32 s1, s21
	s_cselect_b32 s20, s22, s20
	s_cselect_b32 s1, s23, s1
	s_add_i32 s22, s20, 1
	s_cmp_ge_u32 s1, s21
	s_cselect_b32 s1, s22, s20
	s_xor_b32 s1, s1, s0
	s_sub_i32 s55, s1, s0
	s_ashr_i32 s0, s3, 31
	s_lshr_b32 s0, s0, 26
	s_add_i32 s3, s3, s0
	v_or_b32_e32 v1, v10, v58
	s_ashr_i32 s0, s3, 6
	s_lshl_b32 s2, s2, 4
	s_mul_i32 s53, s50, s0
	v_or_b32_e32 v64, 64, v1
	s_cmp_lt_i32 s12, 64
	v_lshrrev_b32_e32 v63, 3, v59
	v_lshlrev_b32_e32 v62, 3, v0
	s_mul_i32 s17, s50, s17
	s_mul_hi_u32 s47, s50, s16
	s_mul_i32 s36, s50, s16
	v_mov_b32_e32 v8, v9
	v_mov_b32_e32 v7, v9
	;; [unrolled: 1-line block ×7, first 2 shown]
	s_cbranch_scc1 .LBB718_18
; %bb.1:
	s_ashr_i32 s3, s50, 31
	s_ashr_i32 s57, s33, 31
	s_add_u32 s0, s48, s33
	s_addc_u32 s1, s54, s57
	s_mul_i32 s1, s12, s1
	s_mul_hi_u32 s20, s12, s0
	s_add_i32 s41, s20, s1
	s_mul_i32 s40, s12, s0
	s_lshl_b64 s[0:1], s[40:41], 8
	v_and_b32_e32 v66, 56, v62
	s_add_u32 s20, s6, s0
	v_lshl_or_b32 v65, v53, 3, v63
	v_lshlrev_b32_e32 v3, 1, v66
	s_addc_u32 s0, s7, s1
	v_lshl_or_b32 v67, v65, 8, v3
	s_and_b32 s21, s0, 0xffff
	s_mov_b32 s23, 0x20000
	s_movk_i32 s22, 0x4000
	s_movk_i32 s0, 0x80
	v_or_b32_e32 v68, 0x2000, v67
	buffer_load_dwordx4 v[4:7], v67, s[20:23], 0 offen
	buffer_load_dwordx4 v[12:15], v67, s[20:23], s0 offen
	;; [unrolled: 1-line block ×4, first 2 shown]
	v_lshlrev_b32_e32 v2, 3, v65
	v_and_or_b32 v9, v0, 7, v2
	v_and_b32_e32 v2, 0x78, v2
	v_lshlrev_b32_e32 v9, 4, v9
	v_xor_b32_e32 v69, v9, v2
	v_mul_lo_u32 v8, v65, s15
	v_or_b32_e32 v70, 0x1000, v69
	v_xor_b32_e32 v2, 8, v69
	s_cmpk_eq_i32 s15, 0x80
	s_mov_b32 s56, s14
	v_xor_b32_e32 v9, 8, v70
	s_cselect_b64 s[0:1], -1, 0
	s_cmpk_lg_i32 s15, 0x80
	s_waitcnt vmcnt(3)
	ds_write_b64 v69, v[4:5] offset:16384
	ds_write_b64 v2, v[6:7] offset:16384
	s_waitcnt vmcnt(2)
	ds_write_b64 v69, v[12:13] offset:24576
	ds_write_b64 v2, v[14:15] offset:24576
	;; [unrolled: 3-line block ×4, first 2 shown]
	v_lshl_add_u32 v2, v8, 1, v66
	s_cbranch_scc0 .LBB718_3
; %bb.2:
	v_lshlrev_b32_e32 v6, 1, v2
	v_add_lshl_u32 v5, v2, s15, 1
	s_lshl_b32 s22, s15, 7
	v_lshl_or_b32 v4, v65, 9, v3
	s_cbranch_execz .LBB718_4
	s_branch .LBB718_5
.LBB718_3:
                                        ; implicit-def: $vgpr5
                                        ; implicit-def: $vgpr6
                                        ; implicit-def: $sgpr22
	v_lshl_or_b32 v4, v65, 9, v3
.LBB718_4:
	v_or_b32_e32 v5, 0x100, v4
	s_movk_i32 s22, 0x4000
	v_mov_b32_e32 v6, v4
.LBB718_5:
	s_mul_hi_u32 s20, s14, s12
	s_mul_i32 s21, s52, s12
	s_add_i32 s20, s20, s21
	s_mul_i32 s21, s14, s12
	s_mul_i32 s23, s21, s3
	s_mul_hi_u32 s24, s21, s50
	s_add_i32 s23, s24, s23
	s_mul_i32 s20, s20, s50
	s_add_i32 s23, s23, s20
	s_mul_i32 s21, s21, s50
	s_ashr_i32 s58, s55, 31
	s_add_u32 s20, s21, s55
	s_addc_u32 s21, s23, s58
	s_lshl_b64 s[20:21], s[20:21], 8
	s_add_u32 s20, s4, s20
	s_addc_u32 s21, s5, s21
	s_and_b32 s21, s21, 0xffff
	s_mov_b32 s23, 0x20000
	s_movk_i32 s59, 0x80
	buffer_load_dwordx4 v[12:15], v6, s[20:23], 0 offen
	s_nop 0
	buffer_load_dwordx4 v[6:9], v6, s[20:23], s59 offen
	s_nop 0
	buffer_load_dwordx4 v[16:19], v5, s[20:23], 0 offen
	buffer_load_dwordx4 v[20:23], v5, s[20:23], s59 offen
	v_and_b32_e32 v3, 6, v0
	s_mul_i32 s20, s3, s12
	s_mul_hi_u32 s21, s50, s12
	v_lshlrev_b32_e32 v11, 2, v61
	v_lshlrev_b32_e32 v24, 3, v61
	v_xor_b32_e32 v26, v65, v3
	v_and_b32_e32 v5, 1, v0
	s_mul_i32 s3, s3, s16
	v_lshl_or_b32 v24, v1, 5, v24
	v_xor_b32_e32 v27, v1, v11
	v_lshlrev_b32_e32 v26, 2, v26
	s_add_i32 s63, s21, s20
	s_add_i32 s20, s47, s17
	s_mul_i32 s24, s33, s19
	v_or_b32_e32 v71, 0x9000, v24
	v_or_b32_e32 v72, 0x9800, v24
	v_lshlrev_b32_e32 v24, 1, v27
	v_xor_b32_e32 v27, 0x440, v26
	v_cmp_eq_u32_e32 vcc, 0, v5
	s_add_i32 s37, s20, s3
	s_mul_hi_u32 s3, s33, s18
	v_cndmask_b32_e32 v5, v27, v26, vcc
	s_add_i32 s3, s3, s24
	s_mul_i32 s20, s57, s18
	s_mov_b32 s61, 0x1000504
	v_lshlrev_b32_e32 v25, 8, v61
	s_mov_b32 s22, 0x8000
	v_xor_b32_e32 v11, v64, v11
	v_lshl_or_b32 v3, v3, 10, v5
	s_add_i32 s21, s3, s20
	s_lshl_b64 s[24:25], s[36:37], 2
	s_mov_b32 s62, 0x3020706
	v_lshlrev_b32_e32 v11, 1, v11
	v_or3_b32 v73, v24, v25, s22
	v_xor_b32_e32 v5, 8, v3
	v_xor_b32_e32 v24, 24, v3
	;; [unrolled: 1-line block ×4, first 2 shown]
	s_mul_i32 s20, s33, s18
	s_add_u32 s3, s10, s24
	v_or3_b32 v74, v11, v25, s22
	v_xor_b32_e32 v11, 16, v3
	v_xor_b32_e32 v25, 32, v3
	;; [unrolled: 1-line block ×3, first 2 shown]
	v_add_u32_e32 v5, 0x80, v5
	v_add_u32_e32 v24, 0x80, v24
	;; [unrolled: 1-line block ×4, first 2 shown]
	s_addc_u32 s24, s11, s25
	s_lshl_b64 s[20:21], s[20:21], 2
	s_add_u32 s42, s3, s20
	s_movk_i32 s3, 0xf8
	s_addc_u32 s43, s24, s21
	s_lshl_b32 s26, s15, 7
	s_mov_b32 s60, 0
	v_add_u32_e32 v85, v58, v10
	s_mov_b32 s37, 0x7060302
	v_mov_b32_e32 v96, 0x3fb8aa3b
	s_mov_b32 s65, 0
	s_waitcnt vmcnt(1)
	v_perm_b32 v29, v12, v16, s61
	s_waitcnt vmcnt(0)
	v_perm_b32 v30, v6, v20, s61
	v_perm_b32 v12, v12, v16, s62
	;; [unrolled: 1-line block ×15, first 2 shown]
	ds_write2st64_b32 v3, v29, v30 offset1:32
	ds_write2st64_b32 v5, v12, v6 offset1:32
	ds_write2st64_b32 v11, v16, v20 offset0:1 offset1:33
	ds_write2st64_b32 v24, v13, v7 offset0:1 offset1:33
	;; [unrolled: 1-line block ×6, first 2 shown]
	v_or_b32_e32 v3, v58, v61
	v_lshlrev_b32_e32 v3, 3, v3
	v_lshrrev_b32_e32 v7, 5, v59
	v_and_or_b32 v7, v3, s3, v7
	v_lshlrev_b32_e32 v7, 4, v7
	v_lshlrev_b32_e32 v11, 11, v53
	v_and_b32_e32 v3, 0x78, v3
	v_or_b32_e32 v12, 32, v7
	v_and_b32_e32 v6, 0x1000, v11
	v_lshrrev_b32_e32 v9, 1, v59
	v_xor_b32_e32 v12, v12, v3
	v_and_b32_e32 v9, 8, v9
	v_or_b32_e32 v12, v12, v6
	v_xor_b32_e32 v8, v7, v3
	v_xor_b32_e32 v77, v12, v9
	v_or_b32_e32 v12, 64, v7
	v_or_b32_e32 v7, 0x60, v7
	;; [unrolled: 1-line block ×3, first 2 shown]
	v_xor_b32_e32 v12, v12, v3
	v_xor_b32_e32 v3, v7, v3
	;; [unrolled: 1-line block ×3, first 2 shown]
	v_and_b32_e32 v8, 0x78, v62
	v_or_b32_e32 v3, v3, v6
	v_lshl_or_b32 v8, v60, 7, v8
	v_xor_b32_e32 v79, v3, v9
	v_lshlrev_b32_e32 v13, 1, v2
	v_add_lshl_u32 v14, v2, s15, 1
	v_lshrrev_b32_e32 v2, 4, v0
	v_lshlrev_b32_e32 v3, 1, v61
	v_or_b32_e32 v76, 0x9000, v8
	v_or_b32_e32 v80, 0x9800, v8
	s_ashr_i32 s3, s2, 31
	v_or_b32_e32 v8, 1, v3
	v_xor_b32_e32 v3, v2, v3
	s_lshl_b64 s[20:21], s[2:3], 8
	v_xor_b32_e32 v8, v8, v2
	v_lshlrev_b32_e32 v3, 3, v3
	v_lshlrev_b32_e32 v2, 8, v2
	s_waitcnt lgkmcnt(0)
	s_add_u32 s20, s38, s20
	v_or3_b32 v81, v3, v2, s22
	v_lshlrev_b32_e32 v3, 3, v8
	v_or_b32_e32 v12, v12, v6
	s_addc_u32 s21, s39, s21
	v_or3_b32 v82, v3, v2, s22
	v_mov_b32_e32 v3, 0
	v_lshrrev_b32_e32 v18, 1, v0
	v_xor_b32_e32 v78, v12, v9
	v_lshl_add_u64 v[8:9], s[20:21], 0, v[2:3]
	v_lshlrev_b32_e32 v2, 4, v61
	s_movk_i32 s3, 0xff
	v_lshlrev_b32_e32 v17, 3, v53
	v_and_b32_e32 v18, 24, v18
	v_lshl_add_u64 v[54:55], v[8:9], 0, v[2:3]
	v_and_b32_e32 v2, 7, v0
	v_and_b32_e32 v9, 8, v0
	v_cmp_lt_u32_e32 vcc, s3, v0
	v_xor_b32_e32 v19, v17, v18
	v_lshlrev_b32_e32 v12, 3, v2
	v_lshlrev_b32_e32 v16, 7, v2
	v_cndmask_b32_e64 v2, 0, 1, vcc
	v_or_b32_e32 v20, 0x440, v19
	v_cmp_eq_u32_e32 vcc, 0, v9
	v_or_b32_e32 v22, 64, v18
	v_xor_b32_e32 v22, v17, v22
	v_cndmask_b32_e32 v9, v20, v19, vcc
	v_or_b32_e32 v20, 32, v18
	v_or_b32_e32 v18, 0x60, v18
	v_xor_b32_e32 v20, v17, v20
	v_xor_b32_e32 v17, v17, v18
	v_or_b32_e32 v21, 0x440, v20
	v_xor_b32_e32 v23, 0x440, v22
	v_xor_b32_e32 v18, 0x440, v17
	v_cndmask_b32_e32 v20, v21, v20, vcc
	v_cndmask_b32_e32 v22, v23, v22, vcc
	;; [unrolled: 1-line block ×3, first 2 shown]
	v_lshrrev_b32_e32 v5, 2, v59
	v_or_b32_e32 v6, s2, v61
	v_or_b32_e32 v9, v9, v11
	;; [unrolled: 1-line block ×5, first 2 shown]
	v_and_b32_e32 v5, 12, v5
	v_ashrrev_i32_e32 v7, 31, v6
	v_lshlrev_b32_e32 v2, 13, v2
	v_xor_b32_e32 v9, v9, v12
	v_xor_b32_e32 v20, v20, v12
	;; [unrolled: 1-line block ×4, first 2 shown]
	v_lshl_add_u64 v[6:7], v[6:7], 1, s[8:9]
	v_or_b32_e32 v15, 0x100, v4
	v_or_b32_e32 v8, v5, v58
	v_add_u32_e32 v19, v2, v9
	v_add_u32_e32 v21, v2, v20
	;; [unrolled: 1-line block ×4, first 2 shown]
	v_or3_b32 v12, v58, v5, 64
	v_add_u32_e32 v5, 0x2000, v9
	v_add_u32_e32 v9, 0x2000, v20
	;; [unrolled: 1-line block ×4, first 2 shown]
	v_lshlrev_b32_e32 v2, 8, v1
	v_cndmask_b32_e64 v83, v13, v4, s[0:1]
	v_cndmask_b32_e64 v84, v14, v15, s[0:1]
	v_lshl_add_u64 v[56:57], v[6:7], 0, v[2:3]
	s_add_i32 s3, s46, 63
	s_movk_i32 s22, 0x4000
	v_lshlrev_b32_e32 v86, 2, v8
	v_add_u32_e32 v87, v19, v16
	v_add_u32_e32 v88, v21, v16
	;; [unrolled: 1-line block ×4, first 2 shown]
	v_lshlrev_b32_e32 v91, 2, v12
	v_add_u32_e32 v92, v5, v16
	v_add_u32_e32 v93, v9, v16
	;; [unrolled: 1-line block ×4, first 2 shown]
	v_mov_b32_e32 v2, v3
	v_mov_b32_e32 v4, v3
	;; [unrolled: 1-line block ×7, first 2 shown]
	s_barrier
.LBB718_6:                              ; =>This Inner Loop Header: Depth=1
	s_add_i32 s64, s65, 1
	s_cmp_lt_i32 s64, s51
	s_mov_b64 s[24:25], 0
	s_cselect_b64 s[44:45], -1, 0
	s_cmp_ge_i32 s64, s51
	s_mov_b64 s[20:21], 0
	s_cbranch_scc1 .LBB718_8
; %bb.7:                                ;   in Loop: Header=BB718_6 Depth=1
	s_add_i32 s0, s60, 64
	s_add_u32 s0, s40, s0
	s_addc_u32 s1, s41, 0
	s_lshl_b64 s[0:1], s[0:1], 8
	s_add_u32 s20, s6, s0
	s_addc_u32 s21, s7, s1
.LBB718_8:                              ;   in Loop: Header=BB718_6 Depth=1
	v_cndmask_b32_e64 v10, 0, 1, s[44:45]
	v_cmp_ne_u32_e64 s[0:1], 1, v10
	s_andn2_b64 vcc, exec, s[44:45]
	s_cbranch_vccnz .LBB718_10
; %bb.9:                                ;   in Loop: Header=BB718_6 Depth=1
	s_add_i32 s24, s60, 64
	s_add_u32 s24, s46, s24
	s_addc_u32 s25, s63, 0
	s_mul_i32 s27, s24, s52
	s_mul_hi_u32 s44, s24, s56
	s_add_i32 s27, s44, s27
	s_mul_i32 s25, s25, s56
	s_add_i32 s27, s27, s25
	s_mul_i32 s24, s24, s56
	s_add_u32 s24, s24, s55
	s_addc_u32 s25, s27, s58
	s_lshl_b64 s[24:25], s[24:25], 8
	s_add_u32 s24, s4, s24
	s_addc_u32 s25, s5, s25
.LBB718_10:                             ;   in Loop: Header=BB718_6 Depth=1
	v_perm_b32 v11, v5, v4, s37
	v_perm_b32 v10, v3, v2, s37
	;; [unrolled: 1-line block ×4, first 2 shown]
	ds_write_b64 v71, v[10:11]
	ds_write_b64 v72, v[12:13]
	;; [unrolled: 1-line block ×4, first 2 shown]
	s_waitcnt lgkmcnt(0)
	s_barrier
	ds_read_b64 v[18:19], v75 offset:16384
	ds_read_b64 v[20:21], v77 offset:16384
	ds_read2st64_b64 v[10:13], v76 offset1:1
	ds_read2st64_b64 v[14:17], v76 offset0:2 offset1:3
	ds_read_b64 v[22:23], v78 offset:16384
	s_waitcnt lgkmcnt(2)
	v_mfma_f32_16x16x16_bf16 a[0:3], v[18:19], v[10:11], 0
	ds_read_b64 v[10:11], v79 offset:16384
	s_add_i32 s27, s60, 63
	s_mul_i32 s44, s27, s35
	v_mfma_f32_16x16x16_bf16 a[0:3], v[20:21], v[12:13], a[0:3]
	s_mul_hi_u32 s45, s27, s34
	s_add_i32 s45, s45, s44
	s_mul_i32 s44, s27, s34
	s_waitcnt lgkmcnt(1)
	v_mfma_f32_16x16x16_bf16 a[0:3], v[22:23], v[14:15], a[0:3]
	s_lshl_b64 s[44:45], s[44:45], 2
	s_add_u32 s44, s42, s44
	s_addc_u32 s45, s43, s45
	s_waitcnt lgkmcnt(0)
	v_mfma_f32_16x16x16_bf16 a[0:3], v[10:11], v[16:17], a[0:3]
	s_and_b64 vcc, exec, s[0:1]
	v_mov_b32_e32 v99, 0
	v_mov_b32_e32 v98, 0
	;; [unrolled: 1-line block ×19, first 2 shown]
	s_cbranch_vccnz .LBB718_12
; %bb.11:                               ;   in Loop: Header=BB718_6 Depth=1
	s_and_b32 s21, s21, 0xffff
	buffer_load_dwordx4 v[22:25], v67, s[20:23], 0 offen
	buffer_load_dwordx4 v[18:21], v67, s[20:23], s59 offen
	;; [unrolled: 1-line block ×4, first 2 shown]
	v_mov_b32_e32 v98, v69
	v_mov_b32_e32 v97, v70
.LBB718_12:                             ;   in Loop: Header=BB718_6 Depth=1
	v_add_u32_e32 v32, s60, v85
	v_ashrrev_i32_e32 v26, 31, v32
	v_mul_lo_u32 v28, v26, s34
	v_mul_lo_u32 v29, v32, s35
	v_mad_u64_u32 v[26:27], s[20:21], v32, s34, 0
	v_add3_u32 v27, v27, v29, v28
	v_add_u32_e32 v28, 1, v32
	v_ashrrev_i32_e32 v29, 31, v28
	v_mul_lo_u32 v30, v29, s34
	v_mul_lo_u32 v31, v28, s35
	v_mad_u64_u32 v[28:29], s[20:21], v28, s34, 0
	v_add3_u32 v29, v29, v31, v30
	v_add_u32_e32 v30, 2, v32
	v_ashrrev_i32_e32 v31, 31, v30
	v_mul_lo_u32 v33, v31, s34
	v_mul_lo_u32 v34, v30, s35
	v_mad_u64_u32 v[30:31], s[20:21], v30, s34, 0
	v_add_u32_e32 v32, 3, v32
	v_add3_u32 v31, v31, v34, v33
	v_ashrrev_i32_e32 v33, 31, v32
	v_mul_lo_u32 v36, v33, s34
	v_mul_lo_u32 v37, v32, s35
	v_mad_u64_u32 v[32:33], s[20:21], v32, s34, 0
	s_add_u32 s20, s40, s60
	s_addc_u32 s21, s41, 0
	s_lshl_b64 s[20:21], s[20:21], 8
	v_lshl_add_u64 v[26:27], v[26:27], 2, s[42:43]
	v_lshl_add_u64 v[28:29], v[28:29], 2, s[42:43]
	;; [unrolled: 1-line block ×3, first 2 shown]
	v_add3_u32 v33, v33, v37, v36
	v_lshl_add_u64 v[30:31], v[30:31], 2, s[42:43]
	global_load_ushort v46, v[34:35], off
	global_load_ushort v47, v[34:35], off offset:256
	global_load_ushort v48, v[34:35], off offset:512
	;; [unrolled: 1-line block ×3, first 2 shown]
	global_load_dword v50, v[26:27], off
	v_lshl_add_u64 v[26:27], v[32:33], 2, s[42:43]
	global_load_dword v51, v[28:29], off
	global_load_dword v52, v[30:31], off
	;; [unrolled: 1-line block ×3, first 2 shown]
	s_load_dword s20, s[44:45], 0x0
	ds_read2st64_b64 v[32:35], v80 offset1:1
	ds_read2st64_b64 v[36:39], v80 offset0:2 offset1:3
	ds_read_b64 v[30:31], v75 offset:24576
	ds_read_b64 v[40:41], v77 offset:24576
	;; [unrolled: 1-line block ×4, first 2 shown]
	s_waitcnt lgkmcnt(0)
	v_mfma_f32_16x16x16_bf16 a[0:3], v[30:31], v[32:33], a[0:3]
	v_mov_b32_e32 v100, 0
	v_mov_b32_e32 v26, 0
	v_mov_b32_e32 v27, 0
	v_mfma_f32_16x16x16_bf16 a[0:3], v[40:41], v[34:35], a[0:3]
	v_mov_b32_e32 v28, 0
	v_mov_b32_e32 v29, 0
	v_mov_b32_e32 v30, 0
	v_mfma_f32_16x16x16_bf16 a[0:3], v[42:43], v[36:37], a[0:3]
	v_mov_b32_e32 v31, 0
	v_mov_b32_e32 v32, 0
	v_mov_b32_e32 v33, 0
	v_mfma_f32_16x16x16_bf16 a[0:3], v[44:45], v[38:39], a[0:3]
	v_mov_b32_e32 v34, 0
	v_mov_b32_e32 v35, 0
	v_mov_b32_e32 v36, 0
	v_mov_b32_e32 v37, 0
	s_and_b64 vcc, exec, s[0:1]
	s_waitcnt vmcnt(7)
	v_lshlrev_b32_e32 v42, 16, v46
	s_waitcnt vmcnt(6)
	v_lshlrev_b32_e32 v43, 16, v47
	;; [unrolled: 2-line block ×4, first 2 shown]
	s_waitcnt vmcnt(3)
	v_sub_f32_e32 v46, s20, v50
	s_waitcnt vmcnt(2)
	v_sub_f32_e32 v47, s20, v51
	;; [unrolled: 2-line block ×4, first 2 shown]
	v_mul_f32_e32 v46, 0x3fb8aa3b, v46
	v_mul_f32_e32 v47, 0x3fb8aa3b, v47
	;; [unrolled: 1-line block ×4, first 2 shown]
	v_exp_f32_e32 v46, v46
	v_exp_f32_e32 v47, v47
	;; [unrolled: 1-line block ×4, first 2 shown]
	v_accvgpr_read_b32 v41, a1
	v_accvgpr_read_b32 v39, a3
	;; [unrolled: 1-line block ×4, first 2 shown]
	v_pk_add_f32 v[40:41], v[42:43], v[40:41] neg_lo:[0,1] neg_hi:[0,1]
	v_pk_add_f32 v[38:39], v[44:45], v[38:39] neg_lo:[0,1] neg_hi:[0,1]
	v_pk_mul_f32 v[40:41], v[46:47], v[40:41]
	v_pk_mul_f32 v[38:39], v[48:49], v[38:39]
	s_nop 0
	v_perm_b32 v39, v39, v38, s37
	v_perm_b32 v38, v41, v40, s37
	ds_write_b64 v72, v[38:39]
	v_mov_b32_e32 v38, 0
	v_mov_b32_e32 v39, 0
	v_mov_b32_e32 v40, 0
	v_mov_b32_e32 v41, 0
	s_cbranch_vccnz .LBB718_14
; %bb.13:                               ;   in Loop: Header=BB718_6 Depth=1
	s_and_b32 s25, s25, 0xffff
	s_mov_b32 s27, s23
	buffer_load_dwordx4 v[38:41], v83, s[24:27], 0 offen
	buffer_load_dwordx4 v[30:33], v83, s[24:27], s59 offen
	;; [unrolled: 1-line block ×4, first 2 shown]
	v_mov_b32_e32 v99, v66
	v_mov_b32_e32 v100, v65
.LBB718_14:                             ;   in Loop: Header=BB718_6 Depth=1
	s_waitcnt lgkmcnt(0)
	s_barrier
	ds_read_b64 v[42:43], v87
	ds_read_b64 v[48:49], v88
	ds_read2st64_b64 v[44:47], v80 offset1:1
	ds_read2st64_b64 v[102:105], v80 offset0:2 offset1:3
	ds_read_b64 v[50:51], v89
	ds_read_b64 v[110:111], v90
	s_add_i32 s21, s53, s65
	s_mul_hi_i32 s25, s21, s13
	s_mul_i32 s21, s21, s13
	s_waitcnt lgkmcnt(3)
	v_mfma_f32_16x16x16_bf16 a[0:3], v[42:43], v[44:45], 0
	ds_read_b64 v[42:43], v92
	s_add_u32 s24, s21, s33
	s_addc_u32 s25, s25, s57
	s_add_i32 s21, s3, s60
	v_mfma_f32_16x16x16_bf16 a[0:3], v[48:49], v[46:47], a[0:3]
	ds_read_b64 v[48:49], v93
	s_lshl_b64 s[24:25], s[24:25], 15
	s_mul_hi_i32 s27, s21, s13
	s_mul_i32 s21, s21, s13
	s_add_u32 s44, s21, s33
	s_addc_u32 s45, s27, s57
	s_lshl_b64 s[44:45], s[44:45], 9
	s_add_u32 s44, s30, s44
	s_waitcnt lgkmcnt(1)
	v_mfma_f32_16x16x16_bf16 a[4:7], v[42:43], v[44:45], 0
	s_addc_u32 s45, s31, s45
	s_and_b64 vcc, exec, s[0:1]
	v_mfma_f32_16x16x16_bf16 a[0:3], v[50:51], v[102:103], a[0:3]
	ds_read_b64 v[50:51], v94
	ds_read_b64 v[112:113], v95
	global_load_dwordx4 v[42:45], v91, s[44:45]
	s_waitcnt lgkmcnt(2)
	v_mfma_f32_16x16x16_bf16 a[4:7], v[48:49], v[46:47], a[4:7]
	global_load_dwordx4 v[46:49], v86, s[44:45]
	ds_read_b64 v[106:107], v81
	ds_read_b64 v[108:109], v82
	s_waitcnt lgkmcnt(3)
	v_mfma_f32_16x16x16_bf16 a[8:11], v[50:51], v[102:103], a[4:7]
	v_lshl_add_u64 v[50:51], v[54:55], 0, s[24:25]
	s_waitcnt lgkmcnt(0)
	global_store_dwordx4 v[50:51], v[106:109], off
	v_mfma_f32_16x16x16_bf16 a[4:7], v[110:111], v[104:105], a[0:3]
	s_waitcnt vmcnt(2)
	v_mov_b32_e32 v52, v45
	v_mfma_f32_16x16x16_bf16 a[0:3], v[112:113], v[104:105], a[8:11]
	v_mov_b32_e32 v51, v44
	v_mov_b32_e32 v50, v43
	s_cbranch_vccnz .LBB718_16
; %bb.15:                               ;   in Loop: Header=BB718_6 Depth=1
	v_lshrrev_b32_e32 v43, 3, v99
	v_and_b32_e32 v43, 6, v43
	v_xor_b32_e32 v44, v43, v100
	v_lshlrev_b32_e32 v44, 2, v44
	v_and_b32_e32 v45, 8, v99
	v_xor_b32_e32 v99, 0x440, v44
	v_cmp_eq_u32_e32 vcc, 0, v45
	v_perm_b32 v45, v30, v26, s61
	s_nop 0
	v_cndmask_b32_e32 v44, v99, v44, vcc
	v_lshl_or_b32 v43, v43, 10, v44
	v_perm_b32 v44, v38, v34, s61
	s_barrier
	ds_write2st64_b32 v43, v44, v45 offset1:32
	v_xor_b32_e32 v44, 8, v43
	v_perm_b32 v34, v38, v34, s62
	v_perm_b32 v26, v30, v26, s62
	v_add_u32_e32 v30, 0x80, v44
	ds_write2st64_b32 v30, v34, v26 offset1:32
	v_xor_b32_e32 v26, 16, v43
	v_perm_b32 v30, v39, v35, s61
	v_perm_b32 v34, v31, v27, s61
	ds_write2st64_b32 v26, v30, v34 offset0:1 offset1:33
	v_xor_b32_e32 v26, 24, v43
	v_perm_b32 v30, v39, v35, s62
	v_perm_b32 v27, v31, v27, s62
	v_add_u32_e32 v26, 0x80, v26
	ds_write2st64_b32 v26, v30, v27 offset0:1 offset1:33
	v_xor_b32_e32 v26, 32, v43
	v_perm_b32 v27, v40, v36, s61
	v_perm_b32 v30, v32, v28, s61
	ds_write2st64_b32 v26, v27, v30 offset0:2 offset1:34
	v_xor_b32_e32 v26, 40, v43
	v_perm_b32 v27, v40, v36, s62
	v_perm_b32 v28, v32, v28, s62
	v_add_u32_e32 v26, 0x80, v26
	ds_write2st64_b32 v26, v27, v28 offset0:2 offset1:34
	;; [unrolled: 9-line block ×3, first 2 shown]
	ds_write_b64 v98, v[22:23] offset:16384
	v_xor_b32_e32 v22, 8, v98
	ds_write_b64 v22, v[24:25] offset:16384
	ds_write_b64 v98, v[18:19] offset:24576
	;; [unrolled: 1-line block ×4, first 2 shown]
	v_xor_b32_e32 v14, 8, v97
	ds_write_b64 v14, v[16:17] offset:16384
	ds_write_b64 v97, v[10:11] offset:24576
	;; [unrolled: 1-line block ×3, first 2 shown]
.LBB718_16:                             ;   in Loop: Header=BB718_6 Depth=1
	v_mul_f32_e32 v14, s20, v96
	v_exp_f32_e32 v18, v14
	s_waitcnt vmcnt(1)
	v_mul_f32_e32 v14, 0x3fb8aa3b, v46
	v_exp_f32_e32 v20, v14
	v_mul_f32_e32 v14, 0x3fb8aa3b, v47
	v_exp_f32_e32 v21, v14
	;; [unrolled: 2-line block ×4, first 2 shown]
	v_accvgpr_read_b32 v13, a7
	v_accvgpr_read_b32 v11, a5
	;; [unrolled: 1-line block ×3, first 2 shown]
	v_pk_mul_f32 v[20:21], v[18:19], v[20:21] op_sel_hi:[0,1]
	v_pk_fma_f32 v[2:3], v[2:3], v[20:21], v[10:11]
	v_pk_mul_f32 v[10:11], v[18:19], v[22:23] op_sel_hi:[0,1]
	v_mul_f32_e32 v19, 0x3fb8aa3b, v42
	v_exp_f32_e32 v20, v19
	v_mul_f32_e32 v19, 0x3fb8aa3b, v50
	v_exp_f32_e32 v21, v19
	;; [unrolled: 2-line block ×4, first 2 shown]
	v_accvgpr_read_b32 v12, a6
	v_accvgpr_read_b32 v17, a3
	v_accvgpr_read_b32 v15, a1
	v_accvgpr_read_b32 v14, a0
	v_pk_fma_f32 v[4:5], v[4:5], v[10:11], v[12:13]
	v_pk_mul_f32 v[10:11], v[18:19], v[20:21] op_sel_hi:[0,1]
	v_accvgpr_read_b32 v16, a2
	v_pk_fma_f32 v[6:7], v[6:7], v[10:11], v[14:15]
	v_pk_mul_f32 v[10:11], v[18:19], v[22:23] op_sel_hi:[0,1]
	s_add_i32 s60, s60, 64
	s_cmp_eq_u32 s51, s64
	v_pk_fma_f32 v[8:9], v[8:9], v[10:11], v[16:17]
	s_cbranch_scc1 .LBB718_18
; %bb.17:                               ;   in Loop: Header=BB718_6 Depth=1
	s_mov_b32 s65, s64
	s_branch .LBB718_6
.LBB718_18:
	s_lshl_b32 s44, s51, 6
	s_sub_i32 s45, s12, s44
	s_cmp_gt_i32 s45, 0
	v_or_b32_e32 v34, s2, v61
	s_cbranch_scc1 .LBB718_20
; %bb.19:
	s_ashr_i32 s0, s33, 31
	s_add_u32 s24, s48, s33
	s_addc_u32 s25, s54, s0
	v_or_b32_e32 v10, s2, v61
	s_cbranch_execz .LBB718_21
	s_branch .LBB718_77
.LBB718_20:
                                        ; implicit-def: $sgpr24_sgpr25
                                        ; implicit-def: $vgpr10
.LBB718_21:
	s_ashr_i32 s37, s50, 31
	s_ashr_i32 s3, s44, 31
	s_cmpk_lg_i32 s15, 0x80
	s_cselect_b64 s[40:41], -1, 0
	s_and_b64 vcc, exec, s[40:41]
	s_cbranch_vccz .LBB718_23
; %bb.22:
	s_mul_hi_i32 s0, s50, s12
	s_add_u32 s1, s46, s44
	s_addc_u32 s0, s0, s3
	s_mul_i32 s20, s1, s52
	s_mul_hi_u32 s21, s1, s14
	s_add_i32 s20, s21, s20
	s_mul_i32 s0, s0, s14
	s_add_i32 s20, s20, s0
	s_mul_i32 s1, s1, s14
	s_ashr_i32 s0, s55, 31
	s_add_u32 s42, s1, s55
	s_addc_u32 s43, s20, s0
	s_cbranch_execz .LBB718_24
	s_branch .LBB718_25
.LBB718_23:
                                        ; implicit-def: $sgpr42_sgpr43
.LBB718_24:
	s_mul_hi_i32 s0, s50, s14
	s_mul_i32 s50, s50, s14
	s_ashr_i32 s1, s55, 31
	s_add_u32 s14, s50, s55
	s_addc_u32 s0, s0, s1
	s_mul_i32 s1, s14, s49
	s_mul_hi_u32 s20, s14, s12
	s_add_i32 s1, s20, s1
	s_mul_i32 s0, s0, s12
	s_add_i32 s1, s1, s0
	s_mul_i32 s14, s14, s12
	s_add_u32 s42, s14, s44
	s_addc_u32 s43, s1, s3
.LBB718_25:
	s_add_i32 s20, s53, s51
	s_ashr_i32 s14, s33, 31
	s_add_u32 s24, s48, s33
	s_addc_u32 s25, s54, s14
	s_mul_i32 s0, s24, s49
	s_mul_hi_u32 s1, s24, s12
	s_add_i32 s0, s1, s0
	s_mul_i32 s1, s25, s12
	s_add_i32 s1, s0, s1
	s_mul_i32 s0, s24, s12
	s_add_u32 s0, s0, s44
	s_addc_u32 s1, s1, s3
	s_mov_b32 s3, 0x7060302
	v_lshlrev_b32_e32 v14, 3, v61
	s_lshl_b64 s[26:27], s[0:1], 8
	v_perm_b32 v11, v5, v4, s3
	v_perm_b32 v10, v3, v2, s3
	v_perm_b32 v13, v9, v8, s3
	v_perm_b32 v12, v7, v6, s3
	v_lshlrev_b32_e32 v44, 2, v61
	v_lshl_or_b32 v14, v1, 5, v14
	s_add_u32 s0, s6, s26
	ds_write2st64_b64 v14, v[10:11], v[12:13] offset0:72 offset1:76
	v_xor_b32_e32 v14, v1, v44
	v_lshlrev_b32_e32 v15, 8, v61
	s_addc_u32 s1, s7, s27
	v_lshl_or_b32 v14, v14, 1, v15
	s_mul_hi_i32 s3, s20, s13
	s_mul_i32 s20, s20, s13
	ds_write_b64 v14, v[10:11] offset:32768
	v_xor_b32_e32 v10, v64, v44
	s_add_u32 s6, s20, s33
	v_lshl_or_b32 v10, v10, 1, v15
	s_addc_u32 s7, s3, s14
	v_lshlrev_b32_e32 v11, 1, v61
	ds_write_b64 v10, v[12:13] offset:32768
	v_lshrrev_b32_e32 v10, 4, v0
	s_ashr_i32 s3, s2, 31
	s_lshl_b64 s[6:7], s[6:7], 15
	v_or_b32_e32 v12, 1, v11
	s_waitcnt lgkmcnt(0)
	s_add_u32 s6, s38, s6
	v_xor_b32_e32 v11, v10, v11
	v_xor_b32_e32 v12, v12, v10
	v_lshlrev_b32_e32 v14, 8, v10
	s_addc_u32 s7, s39, s7
	s_lshl_b64 s[2:3], s[2:3], 8
	v_lshl_or_b32 v10, v11, 3, v14
	v_lshl_or_b32 v12, v12, 3, v14
	s_barrier
	s_add_u32 s2, s6, s2
	ds_read_b64 v[10:11], v10 offset:32768
	ds_read_b64 v[12:13], v12 offset:32768
	s_addc_u32 s3, s7, s3
	v_mov_b32_e32 v15, 0
	s_cmp_lg_u32 s45, 64
	v_lshl_add_u64 v[16:17], s[2:3], 0, v[14:15]
	v_lshlrev_b32_e32 v14, 4, v61
	s_cselect_b64 s[6:7], -1, 0
	v_lshl_or_b32 v35, v53, 3, v63
	s_mov_b32 s20, 0
	v_lshl_add_u64 v[14:15], v[16:17], 0, v[14:15]
	v_or_b32_e32 v27, 32, v35
	v_and_b32_e32 v26, 56, v62
	s_and_b64 vcc, exec, s[6:7]
	s_waitcnt lgkmcnt(0)
	global_store_dwordx4 v[14:15], v[10:13], off
	s_cbranch_vccz .LBB718_31
; %bb.26:
	s_mov_b32 s21, s20
	s_mov_b32 s22, s20
	;; [unrolled: 1-line block ×3, first 2 shown]
	v_mov_b64_e32 v[14:15], s[20:21]
	v_mov_b64_e32 v[16:17], s[22:23]
	;; [unrolled: 1-line block ×3, first 2 shown]
	v_cmp_gt_i32_e32 vcc, s45, v35
	v_mov_b64_e32 v[12:13], v[16:17]
	s_and_saveexec_b64 s[2:3], vcc
	s_cbranch_execz .LBB718_28
; %bb.27:
	v_lshlrev_b32_e32 v10, 8, v35
	v_mov_b32_e32 v11, 0
	v_lshl_add_u64 v[12:13], s[0:1], 0, v[10:11]
	v_lshlrev_b32_e32 v10, 1, v26
	v_lshl_add_u64 v[18:19], v[12:13], 0, v[10:11]
	global_load_dwordx4 v[14:17], v[18:19], off
	global_load_dwordx4 v[10:13], v[18:19], off offset:128
.LBB718_28:
	s_or_b64 exec, exec, s[2:3]
	s_mov_b32 s22, s20
	s_mov_b32 s23, s20
	s_mov_b32 s21, s20
	v_mov_b64_e32 v[24:25], s[22:23]
	v_mov_b64_e32 v[22:23], s[20:21]
	;; [unrolled: 1-line block ×3, first 2 shown]
	v_cmp_gt_i32_e32 vcc, s45, v27
	v_lshlrev_b32_e32 v28, 7, v27
	v_mov_b64_e32 v[20:21], v[24:25]
	s_and_saveexec_b64 s[2:3], vcc
	s_cbranch_execz .LBB718_30
; %bb.29:
	v_lshlrev_b32_e32 v18, 1, v28
	v_mov_b32_e32 v19, 0
	v_lshl_add_u64 v[20:21], s[0:1], 0, v[18:19]
	v_lshlrev_b32_e32 v18, 1, v26
	v_lshl_add_u64 v[30:31], v[20:21], 0, v[18:19]
	global_load_dwordx4 v[22:25], v[30:31], off
	global_load_dwordx4 v[18:21], v[30:31], off offset:128
.LBB718_30:
	s_or_b64 exec, exec, s[2:3]
	v_lshrrev_b32_e32 v29, 3, v26
	v_lshlrev_b32_e32 v30, 3, v35
	v_or_b32_e32 v29, v30, v29
	v_lshlrev_b32_e32 v29, 4, v29
	v_and_b32_e32 v30, 0x78, v30
	v_xor_b32_e32 v29, v29, v30
	s_branch .LBB718_33
.LBB718_31:
                                        ; implicit-def: $vgpr29
                                        ; implicit-def: $vgpr28
                                        ; implicit-def: $vgpr14_vgpr15_vgpr16_vgpr17
                                        ; implicit-def: $vgpr10_vgpr11_vgpr12_vgpr13
                                        ; implicit-def: $vgpr22_vgpr23_vgpr24_vgpr25
                                        ; implicit-def: $vgpr18_vgpr19_vgpr20_vgpr21
	s_cbranch_execz .LBB718_33
; %bb.32:
	s_waitcnt vmcnt(0)
	v_lshlrev_b32_e32 v10, 1, v26
	v_lshl_or_b32 v28, v35, 8, v10
	s_and_b32 s1, s1, 0xffff
	s_mov_b32 s3, 0x20000
	s_movk_i32 s2, 0x4000
	v_lshl_or_b32 v29, v27, 8, v10
	s_movk_i32 s20, 0x80
	buffer_load_dwordx4 v[14:17], v28, s[0:3], 0 offen
	buffer_load_dwordx4 v[10:13], v28, s[0:3], s20 offen
	;; [unrolled: 1-line block ×4, first 2 shown]
	v_lshrrev_b32_e32 v28, 3, v26
	v_lshlrev_b32_e32 v29, 3, v35
	v_or_b32_e32 v28, v29, v28
	v_lshlrev_b32_e32 v28, 4, v28
	v_and_b32_e32 v29, 0x78, v29
	v_xor_b32_e32 v29, v28, v29
	v_lshlrev_b32_e32 v28, 7, v27
.LBB718_33:
	s_lshl_b64 s[0:1], s[42:43], 8
	s_add_u32 s4, s4, s0
	s_movk_i32 s0, 0x1000
	v_and_or_b32 v27, v28, s0, v29
	s_waitcnt vmcnt(1)
	ds_write_b64 v29, v[14:15] offset:16384
	v_xor_b32_e32 v14, 8, v29
	s_addc_u32 s5, s5, s1
	ds_write_b64 v14, v[16:17] offset:16384
	s_waitcnt vmcnt(0)
	ds_write_b64 v29, v[10:11] offset:24576
	ds_write_b64 v14, v[12:13] offset:24576
	;; [unrolled: 1-line block ×3, first 2 shown]
	v_xor_b32_e32 v10, 8, v27
	s_add_i32 s20, s12, -1
	ds_write_b64 v10, v[24:25] offset:16384
	ds_write_b64 v27, v[18:19] offset:24576
	;; [unrolled: 1-line block ×3, first 2 shown]
	s_mul_i32 s3, s20, s35
	s_mul_hi_u32 s12, s20, s34
	v_or_b32_e32 v10, v58, v61
	s_add_i32 s3, s12, s3
	v_lshlrev_b32_e32 v10, 3, v10
	v_lshrrev_b32_e32 v12, 5, v59
	s_movk_i32 s12, 0xf8
	v_and_or_b32 v12, v10, s12, v12
	v_lshlrev_b32_e32 v45, 11, v53
	v_lshlrev_b32_e32 v20, 4, v12
	v_and_b32_e32 v21, 0x78, v10
	v_and_b32_e32 v22, 0x1000, v45
	v_lshlrev_b32_e32 v11, 2, v0
	v_xor_b32_e32 v10, v20, v21
	v_lshrrev_b32_e32 v12, 1, v59
	v_and_b32_e32 v11, 60, v11
	v_or_b32_e32 v10, v10, v22
	v_and_b32_e32 v23, 8, v12
	v_xor_b32_e32 v36, v10, v23
	v_lshl_or_b32 v10, v60, 6, v11
	v_lshlrev_b32_e32 v46, 1, v10
	v_or_b32_e32 v10, 32, v20
	v_xor_b32_e32 v10, v10, v21
	s_waitcnt lgkmcnt(0)
	s_barrier
	ds_read_b64 v[18:19], v36 offset:16384
	v_or_b32_e32 v10, v10, v22
	v_xor_b32_e32 v37, v10, v23
	v_or_b32_e32 v10, 64, v20
	v_xor_b32_e32 v10, v10, v21
	v_or_b32_e32 v10, v10, v22
	v_or_b32_e32 v20, 0x60, v20
	v_xor_b32_e32 v38, v10, v23
	ds_read2st64_b64 v[10:13], v46 offset0:72 offset1:73
	ds_read2st64_b64 v[14:17], v46 offset0:74 offset1:75
	v_xor_b32_e32 v24, v20, v21
	ds_read_b64 v[20:21], v37 offset:16384
	s_waitcnt lgkmcnt(2)
	v_mfma_f32_16x16x16_bf16 a[0:3], v[18:19], v[10:11], 0
	s_add_i32 s0, s47, s17
	s_mul_i32 s37, s37, s16
	s_add_i32 s37, s0, s37
	s_mul_i32 s0, s33, s19
	s_mul_hi_u32 s1, s33, s18
	s_ashr_i32 s2, s20, 31
	s_add_i32 s0, s1, s0
	s_mul_i32 s1, s14, s18
	s_mul_i32 s2, s2, s34
	v_or_b32_e32 v22, v24, v22
	s_add_i32 s1, s0, s1
	s_add_i32 s3, s3, s2
	s_lshl_b64 s[16:17], s[36:37], 2
	v_xor_b32_e32 v47, v22, v23
	ds_read_b64 v[22:23], v38 offset:16384
	ds_read_b64 v[24:25], v47 offset:16384
	s_waitcnt lgkmcnt(2)
	v_mfma_f32_16x16x16_bf16 a[0:3], v[20:21], v[12:13], a[0:3]
	s_mul_i32 s0, s33, s18
	s_add_u32 s10, s10, s16
	s_addc_u32 s11, s11, s17
	s_lshl_b64 s[0:1], s[0:1], 2
	s_mul_i32 s2, s20, s34
	s_add_u32 s10, s10, s0
	s_addc_u32 s11, s11, s1
	s_lshl_b64 s[0:1], s[2:3], 2
	s_waitcnt lgkmcnt(1)
	v_mfma_f32_16x16x16_bf16 a[0:3], v[22:23], v[14:15], a[0:3]
	s_add_u32 s0, s10, s0
	s_addc_u32 s1, s11, s1
	s_load_dword s12, s[0:1], 0x0
	s_waitcnt lgkmcnt(0)
	v_mfma_f32_16x16x16_bf16 a[0:3], v[24:25], v[16:17], a[0:3]
	s_and_b64 vcc, exec, s[40:41]
	s_cbranch_vccz .LBB718_44
; %bb.34:
	v_lshlrev_b32_e32 v27, 1, v35
	s_and_b64 vcc, exec, s[6:7]
	s_cbranch_vccz .LBB718_45
; %bb.35:
	v_cmp_gt_i32_e32 vcc, s45, v27
	v_mov_b32_e32 v14, 0
	v_mov_b32_e32 v10, 0
	;; [unrolled: 1-line block ×5, first 2 shown]
	s_and_saveexec_b64 s[0:1], vcc
	s_cbranch_execz .LBB718_37
; %bb.36:
	v_mad_i64_i32 v[10:11], s[2:3], s15, v27, 0
	v_lshl_add_u64 v[10:11], v[10:11], 1, s[4:5]
	v_lshlrev_b32_e32 v12, 1, v26
	v_mov_b32_e32 v13, 0
	v_lshl_add_u64 v[10:11], v[10:11], 0, v[12:13]
	global_load_dwordx4 v[10:13], v[10:11], off
.LBB718_37:
	s_or_b64 exec, exec, s[0:1]
	v_or_b32_e32 v28, 1, v27
	v_cmp_gt_i32_e64 s[0:1], s45, v28
	v_mov_b32_e32 v15, 0
	v_mov_b32_e32 v16, 0
	;; [unrolled: 1-line block ×3, first 2 shown]
	s_and_saveexec_b64 s[2:3], s[0:1]
	s_cbranch_execz .LBB718_39
; %bb.38:
	v_mad_i64_i32 v[14:15], s[16:17], s15, v28, 0
	v_lshl_add_u64 v[14:15], v[14:15], 1, s[4:5]
	v_lshlrev_b32_e32 v16, 1, v26
	v_mov_b32_e32 v17, 0
	v_lshl_add_u64 v[14:15], v[14:15], 0, v[16:17]
	global_load_dwordx4 v[14:17], v[14:15], off
.LBB718_39:
	s_or_b64 exec, exec, s[2:3]
	v_mov_b32_e32 v25, 0
	v_mov_b32_e32 v18, 0
	v_mov_b32_e32 v19, 0
	v_mov_b32_e32 v20, 0
	v_mov_b32_e32 v21, 0
	s_and_saveexec_b64 s[2:3], vcc
	s_cbranch_execz .LBB718_41
; %bb.40:
	v_mad_i64_i32 v[18:19], s[16:17], s15, v27, 0
	v_lshl_add_u64 v[18:19], v[18:19], 1, s[4:5]
	v_lshlrev_b32_e32 v20, 1, v26
	v_mov_b32_e32 v21, 0
	v_lshl_add_u64 v[18:19], v[18:19], 0, v[20:21]
	global_load_dwordx4 v[18:21], v[18:19], off offset:128
.LBB718_41:
	s_or_b64 exec, exec, s[2:3]
	v_mov_b32_e32 v24, 0
	v_mov_b32_e32 v23, 0
	;; [unrolled: 1-line block ×3, first 2 shown]
	s_and_saveexec_b64 s[2:3], s[0:1]
	s_cbranch_execz .LBB718_43
; %bb.42:
	v_mad_i64_i32 v[22:23], s[0:1], s15, v28, 0
	v_lshl_add_u64 v[22:23], v[22:23], 1, s[4:5]
	v_lshlrev_b32_e32 v24, 1, v26
	v_mov_b32_e32 v25, 0
	v_lshl_add_u64 v[22:23], v[22:23], 0, v[24:25]
	global_load_dwordx4 v[22:25], v[22:23], off offset:128
.LBB718_43:
	s_or_b64 exec, exec, s[2:3]
	s_branch .LBB718_47
.LBB718_44:
                                        ; implicit-def: $vgpr13
                                        ; implicit-def: $vgpr17
                                        ; implicit-def: $vgpr21
                                        ; implicit-def: $vgpr25
	v_lshrrev_b32_e32 v27, 2, v59
	s_branch .LBB718_48
.LBB718_45:
                                        ; implicit-def: $vgpr13
                                        ; implicit-def: $vgpr17
                                        ; implicit-def: $vgpr21
                                        ; implicit-def: $vgpr25
	s_cbranch_execz .LBB718_47
; %bb.46:
	s_waitcnt vmcnt(0)
	v_mad_u64_u32 v[10:11], s[0:1], v27, s15, v[26:27]
	v_lshlrev_b32_e32 v27, 1, v10
	s_lshl_b32 s2, s15, 7
	s_and_b32 s1, s5, 0xffff
	s_mov_b32 s3, 0x20000
	s_mov_b32 s0, s4
	v_add_lshl_u32 v28, v10, s15, 1
	s_movk_i32 s15, 0x80
	buffer_load_dwordx4 v[10:13], v27, s[0:3], 0 offen
	buffer_load_dwordx4 v[18:21], v27, s[0:3], s15 offen
	;; [unrolled: 1-line block ×4, first 2 shown]
.LBB718_47:
	v_lshrrev_b32_e32 v27, 2, v59
	s_cbranch_execnz .LBB718_60
.LBB718_48:
	s_and_b64 vcc, exec, s[6:7]
	s_cbranch_vccz .LBB718_58
; %bb.49:
	s_waitcnt vmcnt(0)
	v_lshlrev_b32_e32 v15, 1, v35
	v_cmp_gt_i32_e32 vcc, s45, v15
	v_mov_b32_e32 v14, 0
	v_lshlrev_b32_e32 v22, 9, v35
	v_mov_b32_e32 v10, 0
	v_mov_b32_e32 v11, 0
	v_mov_b32_e32 v12, 0
	v_mov_b32_e32 v13, 0
	s_and_saveexec_b64 s[0:1], vcc
	s_cbranch_execz .LBB718_51
; %bb.50:
	v_mov_b32_e32 v23, 0
	v_lshl_add_u64 v[10:11], s[4:5], 0, v[22:23]
	v_lshlrev_b32_e32 v12, 1, v26
	v_mov_b32_e32 v13, v23
	v_lshl_add_u64 v[10:11], v[10:11], 0, v[12:13]
	global_load_dwordx4 v[10:13], v[10:11], off
.LBB718_51:
	s_or_b64 exec, exec, s[0:1]
	v_or_b32_e32 v15, 1, v15
	v_cmp_gt_i32_e64 s[0:1], s45, v15
	v_lshlrev_b32_e32 v28, 8, v15
	v_mov_b32_e32 v15, 0
	v_mov_b32_e32 v16, 0
	;; [unrolled: 1-line block ×3, first 2 shown]
	s_and_saveexec_b64 s[2:3], s[0:1]
	s_cbranch_execz .LBB718_53
; %bb.52:
	v_mov_b32_e32 v29, 0
	v_lshl_add_u64 v[14:15], s[4:5], 0, v[28:29]
	v_lshlrev_b32_e32 v16, 1, v26
	v_mov_b32_e32 v17, v29
	v_lshl_add_u64 v[14:15], v[14:15], 0, v[16:17]
	global_load_dwordx4 v[14:17], v[14:15], off
.LBB718_53:
	s_or_b64 exec, exec, s[2:3]
	v_mov_b32_e32 v25, 0
	v_mov_b32_e32 v18, 0
	;; [unrolled: 1-line block ×5, first 2 shown]
	s_and_saveexec_b64 s[2:3], vcc
	s_cbranch_execz .LBB718_55
; %bb.54:
	v_mov_b32_e32 v23, 0
	v_lshl_add_u64 v[18:19], s[4:5], 0, v[22:23]
	v_lshlrev_b32_e32 v22, 1, v26
	v_lshl_add_u64 v[18:19], v[18:19], 0, v[22:23]
	global_load_dwordx4 v[18:21], v[18:19], off offset:128
.LBB718_55:
	s_or_b64 exec, exec, s[2:3]
	v_mov_b32_e32 v24, 0
	v_mov_b32_e32 v23, 0
	;; [unrolled: 1-line block ×3, first 2 shown]
	s_and_saveexec_b64 s[2:3], s[0:1]
	s_cbranch_execz .LBB718_57
; %bb.56:
	v_mov_b32_e32 v29, 0
	v_lshl_add_u64 v[22:23], s[4:5], 0, v[28:29]
	v_lshlrev_b32_e32 v28, 1, v26
	v_lshl_add_u64 v[22:23], v[22:23], 0, v[28:29]
	global_load_dwordx4 v[22:25], v[22:23], off offset:128
.LBB718_57:
	s_or_b64 exec, exec, s[2:3]
	s_branch .LBB718_60
.LBB718_58:
                                        ; implicit-def: $vgpr13
                                        ; implicit-def: $vgpr17
                                        ; implicit-def: $vgpr21
                                        ; implicit-def: $vgpr25
	s_cbranch_execz .LBB718_60
; %bb.59:
	s_waitcnt vmcnt(0)
	v_lshlrev_b32_e32 v10, 1, v26
	v_lshl_or_b32 v26, v35, 9, v10
	s_and_b32 s5, s5, 0xffff
	s_mov_b32 s7, 0x20000
	s_movk_i32 s6, 0x4000
	s_movk_i32 s0, 0x80
	buffer_load_dwordx4 v[10:13], v26, s[4:7], 0 offen
	buffer_load_dwordx4 v[14:17], v26, s[4:7], 0 offen offset:256
	buffer_load_dwordx4 v[18:21], v26, s[4:7], s0 offen
	buffer_load_dwordx4 v[22:25], v26, s[4:7], s0 offen offset:256
.LBB718_60:
	v_and_b32_e32 v48, 12, v27
	ds_read2st64_b64 v[30:33], v46 offset0:76 offset1:77
	ds_read2st64_b64 v[26:29], v46 offset0:78 offset1:79
	ds_read_b64 v[40:41], v36 offset:24576
	ds_read_b64 v[42:43], v37 offset:24576
	;; [unrolled: 1-line block ×4, first 2 shown]
	v_and_b32_e32 v47, 6, v0
	v_xor_b32_e32 v35, v35, v47
	v_lshlrev_b32_e32 v35, 2, v35
	v_and_b32_e32 v49, 1, v0
	v_xor_b32_e32 v50, 0x440, v35
	v_cmp_eq_u32_e32 vcc, 0, v49
	s_mov_b32 s0, 0x1000504
	s_waitcnt vmcnt(0)
	v_perm_b32 v49, v18, v22, s0
	v_cndmask_b32_e32 v35, v50, v35, vcc
	v_lshl_or_b32 v35, v47, 10, v35
	v_perm_b32 v47, v10, v14, s0
	ds_write2st64_b32 v35, v47, v49 offset1:32
	v_xor_b32_e32 v47, 8, v35
	s_mov_b32 s1, 0x3020706
	v_perm_b32 v10, v10, v14, s1
	v_perm_b32 v14, v18, v22, s1
	v_add_u32_e32 v18, 0x80, v47
	ds_write2st64_b32 v18, v10, v14 offset1:32
	v_xor_b32_e32 v10, 16, v35
	v_perm_b32 v14, v11, v15, s0
	v_perm_b32 v18, v19, v23, s0
	ds_write2st64_b32 v10, v14, v18 offset0:1 offset1:33
	v_xor_b32_e32 v10, 24, v35
	v_perm_b32 v11, v11, v15, s1
	v_perm_b32 v14, v19, v23, s1
	v_add_u32_e32 v10, 0x80, v10
	ds_write2st64_b32 v10, v11, v14 offset0:1 offset1:33
	v_xor_b32_e32 v10, 32, v35
	v_perm_b32 v11, v12, v16, s0
	v_perm_b32 v14, v20, v24, s0
	ds_write2st64_b32 v10, v11, v14 offset0:2 offset1:34
	v_xor_b32_e32 v10, 40, v35
	v_perm_b32 v11, v12, v16, s1
	v_perm_b32 v12, v20, v24, s1
	v_add_u32_e32 v10, 0x80, v10
	ds_write2st64_b32 v10, v11, v12 offset0:2 offset1:34
	v_xor_b32_e32 v10, 48, v35
	v_perm_b32 v11, v13, v17, s0
	v_perm_b32 v12, v21, v25, s0
	ds_write2st64_b32 v10, v11, v12 offset0:3 offset1:35
	v_xor_b32_e32 v10, 56, v35
	v_or_b32_e32 v16, v48, v58
	v_perm_b32 v11, v13, v17, s1
	v_perm_b32 v12, v21, v25, s1
	v_add_u32_e32 v10, 0x80, v10
	v_cmp_gt_i32_e32 vcc, s45, v16
	v_mov_b32_e32 v17, 0
	v_mov_b32_e32 v21, 0
	ds_write2st64_b32 v10, v11, v12 offset0:3 offset1:35
	s_and_saveexec_b64 s[0:1], vcc
	s_cbranch_execz .LBB718_62
; %bb.61:
	v_add_u32_e32 v10, s44, v16
	v_ashrrev_i32_e32 v11, 31, v10
	v_mul_lo_u32 v12, v11, s34
	v_mul_lo_u32 v13, v10, s35
	v_mad_u64_u32 v[10:11], s[2:3], v10, s34, 0
	v_add3_u32 v11, v11, v13, v12
	v_lshl_add_u64 v[10:11], v[10:11], 2, s[10:11]
	global_load_dword v10, v[10:11], off
	s_waitcnt vmcnt(0)
	v_sub_f32_e32 v10, s12, v10
	v_mul_f32_e32 v10, 0x3fb8aa3b, v10
	v_exp_f32_e32 v21, v10
.LBB718_62:
	s_or_b64 exec, exec, s[0:1]
	v_or_b32_e32 v19, 1, v16
	v_cmp_gt_i32_e64 s[0:1], s45, v19
	s_and_saveexec_b64 s[2:3], s[0:1]
	s_cbranch_execz .LBB718_64
; %bb.63:
	v_add_u32_e32 v10, s44, v19
	v_ashrrev_i32_e32 v11, 31, v10
	v_mul_lo_u32 v12, v11, s34
	v_mul_lo_u32 v13, v10, s35
	v_mad_u64_u32 v[10:11], s[4:5], v10, s34, 0
	v_add3_u32 v11, v11, v13, v12
	v_lshl_add_u64 v[10:11], v[10:11], 2, s[10:11]
	global_load_dword v10, v[10:11], off
	s_waitcnt vmcnt(0)
	v_sub_f32_e32 v10, s12, v10
	v_mul_f32_e32 v10, 0x3fb8aa3b, v10
	v_exp_f32_e32 v17, v10
.LBB718_64:
	s_or_b64 exec, exec, s[2:3]
	v_or_b32_e32 v20, 2, v16
	v_cmp_gt_i32_e64 s[2:3], s45, v20
	v_mov_b32_e32 v18, 0
	v_mov_b32_e32 v23, 0
	s_and_saveexec_b64 s[4:5], s[2:3]
	s_cbranch_execz .LBB718_66
; %bb.65:
	v_add_u32_e32 v10, s44, v20
	v_ashrrev_i32_e32 v11, 31, v10
	v_mul_lo_u32 v12, v11, s34
	v_mul_lo_u32 v13, v10, s35
	v_mad_u64_u32 v[10:11], s[6:7], v10, s34, 0
	v_add3_u32 v11, v11, v13, v12
	v_lshl_add_u64 v[10:11], v[10:11], 2, s[10:11]
	global_load_dword v10, v[10:11], off
	s_waitcnt vmcnt(0)
	v_sub_f32_e32 v10, s12, v10
	v_mul_f32_e32 v10, 0x3fb8aa3b, v10
	v_exp_f32_e32 v23, v10
.LBB718_66:
	s_or_b64 exec, exec, s[4:5]
	v_or_b32_e32 v22, 3, v16
	v_cmp_gt_i32_e64 s[4:5], s45, v22
	s_and_saveexec_b64 s[6:7], s[4:5]
	s_cbranch_execz .LBB718_68
; %bb.67:
	v_add_u32_e32 v10, s44, v22
	v_ashrrev_i32_e32 v11, 31, v10
	v_mul_lo_u32 v12, v11, s34
	v_mul_lo_u32 v13, v10, s35
	v_mad_u64_u32 v[10:11], s[16:17], v10, s34, 0
	v_add3_u32 v11, v11, v13, v12
	v_lshl_add_u64 v[10:11], v[10:11], 2, s[10:11]
	global_load_dword v10, v[10:11], off
	s_waitcnt vmcnt(0)
	v_sub_f32_e32 v10, s12, v10
	v_mul_f32_e32 v10, 0x3fb8aa3b, v10
	v_exp_f32_e32 v18, v10
.LBB718_68:
	s_or_b64 exec, exec, s[6:7]
	s_waitcnt lgkmcnt(11)
	v_mfma_f32_16x16x16_bf16 a[0:3], v[40:41], v[30:31], a[0:3]
	s_add_u32 s6, s8, s26
	v_ashrrev_i32_e32 v35, 31, v34
	s_addc_u32 s7, s9, s27
	s_waitcnt lgkmcnt(10)
	v_mfma_f32_16x16x16_bf16 a[0:3], v[42:43], v[32:33], a[0:3]
	v_mov_b32_e32 v24, 0
	v_lshl_add_u64 v[14:15], v[34:35], 1, s[6:7]
	v_mov_b32_e32 v25, 0
	s_waitcnt lgkmcnt(9)
	v_mfma_f32_16x16x16_bf16 a[0:3], v[38:39], v[26:27], a[0:3]
	s_waitcnt lgkmcnt(8)
	v_mfma_f32_16x16x16_bf16 a[0:3], v[36:37], v[28:29], a[0:3]
	s_nop 6
	v_accvgpr_read_b32 v13, a3
	v_accvgpr_read_b32 v12, a2
	;; [unrolled: 1-line block ×4, first 2 shown]
	s_and_saveexec_b64 s[6:7], vcc
	s_cbranch_execz .LBB718_70
; %bb.69:
	v_lshlrev_b32_e32 v26, 8, v16
	v_mov_b32_e32 v27, 0
	v_lshl_add_u64 v[26:27], v[14:15], 0, v[26:27]
	global_load_ushort v25, v[26:27], off
	s_waitcnt vmcnt(0)
	v_lshlrev_b32_e32 v25, 16, v25
	v_sub_f32_e32 v10, v25, v10
	v_mul_f32_e32 v10, v21, v10
	v_lshrrev_b32_e32 v25, 16, v10
.LBB718_70:
	s_or_b64 exec, exec, s[6:7]
	s_and_saveexec_b64 s[6:7], s[0:1]
	s_cbranch_execz .LBB718_72
; %bb.71:
	v_lshlrev_b32_e32 v26, 8, v19
	v_mov_b32_e32 v27, 0
	v_lshl_add_u64 v[26:27], v[14:15], 0, v[26:27]
	global_load_ushort v10, v[26:27], off
	s_waitcnt vmcnt(0)
	v_lshlrev_b32_e32 v10, 16, v10
	v_sub_f32_e32 v10, v10, v11
	v_mul_f32_e32 v10, v17, v10
	v_lshrrev_b32_e32 v24, 16, v10
.LBB718_72:
	s_or_b64 exec, exec, s[6:7]
	v_mov_b32_e32 v11, 0
	v_mov_b32_e32 v17, 0
	s_and_saveexec_b64 s[0:1], s[2:3]
	s_cbranch_execz .LBB718_74
; %bb.73:
	v_lshlrev_b32_e32 v20, 8, v20
	v_mov_b32_e32 v21, 0
	v_lshl_add_u64 v[20:21], v[14:15], 0, v[20:21]
	global_load_ushort v10, v[20:21], off
	s_waitcnt vmcnt(0)
	v_lshlrev_b32_e32 v10, 16, v10
	v_sub_f32_e32 v10, v10, v12
	v_mul_f32_e32 v10, v23, v10
	v_lshrrev_b32_e32 v17, 16, v10
.LBB718_74:
	s_or_b64 exec, exec, s[0:1]
	v_or_b32_e32 v10, 0x9800, v46
	s_and_saveexec_b64 s[0:1], s[4:5]
	s_cbranch_execz .LBB718_76
; %bb.75:
	v_lshlrev_b32_e32 v20, 8, v22
	v_mov_b32_e32 v21, 0
	v_lshl_add_u64 v[14:15], v[14:15], 0, v[20:21]
	global_load_ushort v11, v[14:15], off
	s_waitcnt vmcnt(0)
	v_lshlrev_b32_e32 v11, 16, v11
	v_sub_f32_e32 v11, v11, v13
	v_mul_f32_e32 v11, v18, v11
	v_lshrrev_b32_e32 v11, 16, v11
.LBB718_76:
	s_or_b64 exec, exec, s[0:1]
	s_mov_b32 s0, 0x5040100
	v_perm_b32 v13, v11, v17, s0
	v_lshlrev_b32_e32 v11, 1, v44
	v_perm_b32 v12, v24, v25, s0
	v_lshl_or_b32 v11, v16, 5, v11
	s_movk_i32 s2, 0xff
	ds_write_b64 v11, v[12:13] offset:38912
	v_and_b32_e32 v11, 7, v0
	v_cmp_lt_u32_e32 vcc, s2, v0
	v_and_b32_e32 v12, 8, v0
	v_lshlrev_b32_e32 v20, 3, v11
	v_lshlrev_b32_e32 v32, 7, v11
	v_cndmask_b32_e64 v11, 0, 1, vcc
	v_lshrrev_b32_e32 v0, 1, v0
	v_lshlrev_b32_e32 v22, 13, v11
	v_lshlrev_b32_e32 v11, 3, v53
	v_and_b32_e32 v0, 24, v0
	v_xor_b32_e32 v13, v11, v0
	v_or_b32_e32 v14, 0x440, v13
	v_cmp_eq_u32_e32 vcc, 0, v12
	s_add_i32 s0, s20, s46
	s_mul_hi_i32 s1, s0, s13
	v_cndmask_b32_e32 v12, v14, v13, vcc
	v_or_b32_e32 v12, v12, v45
	v_xor_b32_e32 v33, v12, v20
	v_or_b32_e32 v12, 32, v0
	v_xor_b32_e32 v12, v11, v12
	v_or_b32_e32 v13, 0x440, v12
	v_cndmask_b32_e32 v12, v13, v12, vcc
	v_or_b32_e32 v12, v12, v45
	v_xor_b32_e32 v35, v12, v20
	v_or_b32_e32 v12, 64, v0
	v_xor_b32_e32 v12, v11, v12
	v_xor_b32_e32 v13, 0x440, v12
	s_mul_i32 s0, s0, s13
	v_cndmask_b32_e32 v12, v13, v12, vcc
	v_or_b32_e32 v0, 0x60, v0
	s_add_u32 s0, s0, s33
	v_add3_u32 v23, v22, v33, v32
	v_or_b32_e32 v12, v12, v45
	v_xor_b32_e32 v0, v11, v0
	s_waitcnt lgkmcnt(0)
	s_barrier
	s_addc_u32 s1, s1, s14
	v_lshlrev_b32_e32 v21, 2, v16
	v_xor_b32_e32 v36, v12, v20
	ds_read2st64_b64 v[12:15], v10 offset1:1
	ds_read2st64_b64 v[16:19], v10 offset0:2 offset1:3
	ds_read_b64 v[10:11], v23
	v_xor_b32_e32 v23, 0x440, v0
	s_lshl_b64 s[0:1], s[0:1], 9
	v_cndmask_b32_e32 v0, v23, v0, vcc
	s_add_u32 s0, s30, s0
	v_or_b32_e32 v0, v0, v45
	s_addc_u32 s1, s31, s1
	v_add3_u32 v24, v22, v35, v32
	v_xor_b32_e32 v37, v0, v20
	v_add3_u32 v26, v22, v36, v32
	v_add3_u32 v0, v22, v37, v32
	ds_read_b64 v[24:25], v24
	ds_read_b64 v[28:29], v26
	;; [unrolled: 1-line block ×3, first 2 shown]
	global_load_dwordx4 v[20:23], v21, s[0:1]
	s_waitcnt lgkmcnt(3)
	v_mfma_f32_16x16x16_bf16 a[0:3], v[10:11], v[12:13], 0
	v_lshlrev_b32_e32 v0, 6, v53
	v_lshlrev_b32_e32 v10, 2, v48
	s_movk_i32 s2, 0x100
	v_or3_b32 v0, v0, v10, s2
	s_waitcnt lgkmcnt(2)
	v_mfma_f32_16x16x16_bf16 a[0:3], v[24:25], v[14:15], a[0:3]
	global_load_dwordx4 v[24:27], v0, s[0:1]
	v_mov_b32_e32 v0, 0x3fb8aa3b
	v_mul_f32_e32 v0, s12, v0
	s_waitcnt lgkmcnt(1)
	v_mfma_f32_16x16x16_bf16 a[0:3], v[28:29], v[16:17], a[0:3]
	v_exp_f32_e32 v0, v0
	v_add_u32_e32 v33, v33, v32
	v_add_u32_e32 v35, v35, v32
	s_waitcnt lgkmcnt(0)
	v_mfma_f32_16x16x16_bf16 a[0:3], v[30:31], v[18:19], a[0:3]
	ds_read_b64 v[30:31], v33 offset:8192
	s_waitcnt vmcnt(1)
	v_mul_f32_e32 v20, 0x3fb8aa3b, v20
	v_mul_f32_e32 v21, 0x3fb8aa3b, v21
	v_exp_f32_e32 v20, v20
	v_exp_f32_e32 v21, v21
	s_nop 0
	v_accvgpr_read_b32 v29, a1
	v_accvgpr_read_b32 v28, a0
	v_mul_f32_e32 v22, 0x3fb8aa3b, v22
	v_pk_mul_f32 v[20:21], v[0:1], v[20:21] op_sel_hi:[0,1]
	v_pk_fma_f32 v[2:3], v[2:3], v[20:21], v[28:29]
	ds_read_b64 v[20:21], v35 offset:8192
	v_mul_f32_e32 v23, 0x3fb8aa3b, v23
	v_exp_f32_e32 v22, v22
	v_exp_f32_e32 v23, v23
	v_accvgpr_read_b32 v11, a3
	v_accvgpr_read_b32 v10, a2
	s_waitcnt lgkmcnt(1)
	v_mfma_f32_16x16x16_bf16 a[0:3], v[30:31], v[12:13], 0
	v_pk_mul_f32 v[22:23], v[0:1], v[22:23] op_sel_hi:[0,1]
	v_pk_fma_f32 v[4:5], v[4:5], v[22:23], v[10:11]
	v_add_u32_e32 v10, v36, v32
	v_add_u32_e32 v11, v37, v32
	ds_read_b64 v[22:23], v10 offset:8192
	ds_read_b64 v[28:29], v11 offset:8192
	s_waitcnt lgkmcnt(2)
	v_mfma_f32_16x16x16_bf16 a[0:3], v[20:21], v[14:15], a[0:3]
	s_waitcnt vmcnt(0)
	v_mov_b32_e32 v10, v25
	v_mov_b32_e32 v11, v26
	;; [unrolled: 1-line block ×3, first 2 shown]
	s_waitcnt lgkmcnt(1)
	v_mfma_f32_16x16x16_bf16 a[0:3], v[22:23], v[16:17], a[0:3]
	v_mul_f32_e32 v10, 0x3fb8aa3b, v10
	v_mul_f32_e32 v13, 0x3fb8aa3b, v24
	v_exp_f32_e32 v25, v10
	v_mul_f32_e32 v10, 0x3fb8aa3b, v11
	v_mul_f32_e32 v11, 0x3fb8aa3b, v12
	s_waitcnt lgkmcnt(0)
	v_mfma_f32_16x16x16_bf16 a[0:3], v[28:29], v[18:19], a[0:3]
	v_exp_f32_e32 v24, v13
	v_exp_f32_e32 v10, v10
	;; [unrolled: 1-line block ×3, first 2 shown]
	v_pk_mul_f32 v[14:15], v[0:1], v[24:25] op_sel_hi:[0,1]
	v_pk_mul_f32 v[10:11], v[0:1], v[10:11] op_sel_hi:[0,1]
	s_nop 1
	v_accvgpr_read_b32 v17, a1
	v_accvgpr_read_b32 v13, a3
	;; [unrolled: 1-line block ×4, first 2 shown]
	v_pk_fma_f32 v[6:7], v[6:7], v[14:15], v[16:17]
	v_pk_fma_f32 v[8:9], v[8:9], v[10:11], v[12:13]
	v_mov_b32_e32 v10, v34
.LBB718_77:
	s_lshl_b64 s[0:1], s[24:25], 16
	s_waitcnt lgkmcnt(0)
	s_add_u32 s0, s28, s0
	v_lshlrev_b32_e32 v10, 7, v10
	s_addc_u32 s1, s29, s1
	v_ashrrev_i32_e32 v11, 31, v10
	v_lshl_add_u64 v[10:11], v[10:11], 2, s[0:1]
	v_lshlrev_b32_e32 v0, 2, v1
	v_mov_b32_e32 v1, 0
	v_lshl_add_u64 v[0:1], v[10:11], 0, v[0:1]
	global_store_dwordx4 v[0:1], v[2:5], off
	global_store_dwordx4 v[0:1], v[6:9], off offset:256
	s_endpgm
	.section	.rodata,"a",@progbits
	.p2align	6, 0x0
	.amdhsa_kernel _ZN12_GLOBAL__N_139chunk_gated_delta_rule_fwd_h_hip_kernelILi16ELb0ELb1ELb0ELb0ELb0ELb1ELb1ELb0EEEvPK12hip_bfloat16S3_S3_PKfS5_PKvPS1_S8_PvPKiSB_iiiiilll
		.amdhsa_group_segment_fixed_size 40960
		.amdhsa_private_segment_fixed_size 0
		.amdhsa_kernarg_size 136
		.amdhsa_user_sgpr_count 2
		.amdhsa_user_sgpr_dispatch_ptr 0
		.amdhsa_user_sgpr_queue_ptr 0
		.amdhsa_user_sgpr_kernarg_segment_ptr 1
		.amdhsa_user_sgpr_dispatch_id 0
		.amdhsa_user_sgpr_kernarg_preload_length 0
		.amdhsa_user_sgpr_kernarg_preload_offset 0
		.amdhsa_user_sgpr_private_segment_size 0
		.amdhsa_uses_dynamic_stack 0
		.amdhsa_enable_private_segment 0
		.amdhsa_system_sgpr_workgroup_id_x 1
		.amdhsa_system_sgpr_workgroup_id_y 1
		.amdhsa_system_sgpr_workgroup_id_z 0
		.amdhsa_system_sgpr_workgroup_info 0
		.amdhsa_system_vgpr_workitem_id 0
		.amdhsa_next_free_vgpr 128
		.amdhsa_next_free_sgpr 66
		.amdhsa_accum_offset 116
		.amdhsa_reserve_vcc 1
		.amdhsa_float_round_mode_32 0
		.amdhsa_float_round_mode_16_64 0
		.amdhsa_float_denorm_mode_32 3
		.amdhsa_float_denorm_mode_16_64 3
		.amdhsa_dx10_clamp 1
		.amdhsa_ieee_mode 1
		.amdhsa_fp16_overflow 0
		.amdhsa_tg_split 0
		.amdhsa_exception_fp_ieee_invalid_op 0
		.amdhsa_exception_fp_denorm_src 0
		.amdhsa_exception_fp_ieee_div_zero 0
		.amdhsa_exception_fp_ieee_overflow 0
		.amdhsa_exception_fp_ieee_underflow 0
		.amdhsa_exception_fp_ieee_inexact 0
		.amdhsa_exception_int_div_zero 0
	.end_amdhsa_kernel
	.section	.text._ZN12_GLOBAL__N_139chunk_gated_delta_rule_fwd_h_hip_kernelILi16ELb0ELb1ELb0ELb0ELb0ELb1ELb1ELb0EEEvPK12hip_bfloat16S3_S3_PKfS5_PKvPS1_S8_PvPKiSB_iiiiilll,"axG",@progbits,_ZN12_GLOBAL__N_139chunk_gated_delta_rule_fwd_h_hip_kernelILi16ELb0ELb1ELb0ELb0ELb0ELb1ELb1ELb0EEEvPK12hip_bfloat16S3_S3_PKfS5_PKvPS1_S8_PvPKiSB_iiiiilll,comdat
.Lfunc_end718:
	.size	_ZN12_GLOBAL__N_139chunk_gated_delta_rule_fwd_h_hip_kernelILi16ELb0ELb1ELb0ELb0ELb0ELb1ELb1ELb0EEEvPK12hip_bfloat16S3_S3_PKfS5_PKvPS1_S8_PvPKiSB_iiiiilll, .Lfunc_end718-_ZN12_GLOBAL__N_139chunk_gated_delta_rule_fwd_h_hip_kernelILi16ELb0ELb1ELb0ELb0ELb0ELb1ELb1ELb0EEEvPK12hip_bfloat16S3_S3_PKfS5_PKvPS1_S8_PvPKiSB_iiiiilll
                                        ; -- End function
	.section	.AMDGPU.csdata,"",@progbits
; Kernel info:
; codeLenInByte = 8296
; NumSgprs: 72
; NumVgprs: 114
; NumAgprs: 12
; TotalNumVgprs: 128
; ScratchSize: 0
; MemoryBound: 0
; FloatMode: 240
; IeeeMode: 1
; LDSByteSize: 40960 bytes/workgroup (compile time only)
; SGPRBlocks: 8
; VGPRBlocks: 15
; NumSGPRsForWavesPerEU: 72
; NumVGPRsForWavesPerEU: 128
; AccumOffset: 116
; Occupancy: 1
; WaveLimiterHint : 1
; COMPUTE_PGM_RSRC2:SCRATCH_EN: 0
; COMPUTE_PGM_RSRC2:USER_SGPR: 2
; COMPUTE_PGM_RSRC2:TRAP_HANDLER: 0
; COMPUTE_PGM_RSRC2:TGID_X_EN: 1
; COMPUTE_PGM_RSRC2:TGID_Y_EN: 1
; COMPUTE_PGM_RSRC2:TGID_Z_EN: 0
; COMPUTE_PGM_RSRC2:TIDIG_COMP_CNT: 0
; COMPUTE_PGM_RSRC3_GFX90A:ACCUM_OFFSET: 28
; COMPUTE_PGM_RSRC3_GFX90A:TG_SPLIT: 0
	.section	.text._ZN12_GLOBAL__N_139chunk_gated_delta_rule_fwd_h_hip_kernelILi16ELb0ELb0ELb1ELb0ELb0ELb1ELb1ELb0EEEvPK12hip_bfloat16S3_S3_PKfS5_PKvPS1_S8_PvPKiSB_iiiiilll,"axG",@progbits,_ZN12_GLOBAL__N_139chunk_gated_delta_rule_fwd_h_hip_kernelILi16ELb0ELb0ELb1ELb0ELb0ELb1ELb1ELb0EEEvPK12hip_bfloat16S3_S3_PKfS5_PKvPS1_S8_PvPKiSB_iiiiilll,comdat
	.globl	_ZN12_GLOBAL__N_139chunk_gated_delta_rule_fwd_h_hip_kernelILi16ELb0ELb0ELb1ELb0ELb0ELb1ELb1ELb0EEEvPK12hip_bfloat16S3_S3_PKfS5_PKvPS1_S8_PvPKiSB_iiiiilll ; -- Begin function _ZN12_GLOBAL__N_139chunk_gated_delta_rule_fwd_h_hip_kernelILi16ELb0ELb0ELb1ELb0ELb0ELb1ELb1ELb0EEEvPK12hip_bfloat16S3_S3_PKfS5_PKvPS1_S8_PvPKiSB_iiiiilll
	.p2align	8
	.type	_ZN12_GLOBAL__N_139chunk_gated_delta_rule_fwd_h_hip_kernelILi16ELb0ELb0ELb1ELb0ELb0ELb1ELb1ELb0EEEvPK12hip_bfloat16S3_S3_PKfS5_PKvPS1_S8_PvPKiSB_iiiiilll,@function
_ZN12_GLOBAL__N_139chunk_gated_delta_rule_fwd_h_hip_kernelILi16ELb0ELb0ELb1ELb0ELb0ELb1ELb1ELb0EEEvPK12hip_bfloat16S3_S3_PKfS5_PKvPS1_S8_PvPKiSB_iiiiilll: ; @_ZN12_GLOBAL__N_139chunk_gated_delta_rule_fwd_h_hip_kernelILi16ELb0ELb0ELb1ELb0ELb0ELb1ELb1ELb0EEEvPK12hip_bfloat16S3_S3_PKfS5_PKvPS1_S8_PvPKiSB_iiiiilll
; %bb.0:
	s_load_dwordx4 s[16:19], s[0:1], 0x5c
	s_load_dwordx4 s[12:15], s[0:1], 0x30
	s_abs_i32 s22, s3
	s_ashr_i32 s21, s3, 31
	s_load_dwordx8 s[4:11], s[0:1], 0x0
	s_waitcnt lgkmcnt(0)
	s_abs_i32 s20, s17
	v_cvt_f32_u32_e32 v1, s20
	s_sub_i32 s24, 0, s20
	s_ashr_i32 s23, s17, 31
	s_xor_b32 s21, s21, s23
	v_rcp_iflag_f32_e32 v1, v1
	v_lshrrev_b32_e32 v61, 6, v0
	v_bfe_u32 v62, v0, 4, 2
	v_lshlrev_b32_e32 v45, 4, v61
	v_mul_f32_e32 v1, 0x4f7ffffe, v1
	v_cvt_u32_f32_e32 v1, v1
	v_lshlrev_b32_e32 v2, 2, v62
	v_and_b32_e32 v60, 63, v0
	v_or_b32_e32 v65, v2, v45
	v_readfirstlane_b32 s25, v1
	s_mul_i32 s24, s24, s25
	s_mul_hi_u32 s24, s25, s24
	s_add_i32 s25, s25, s24
	s_mul_hi_u32 s24, s22, s25
	s_mul_i32 s25, s24, s20
	s_sub_i32 s22, s22, s25
	s_add_i32 s26, s24, 1
	s_sub_i32 s25, s22, s20
	s_cmp_ge_u32 s22, s20
	s_cselect_b32 s24, s26, s24
	s_cselect_b32 s22, s25, s22
	s_add_i32 s25, s24, 1
	s_cmp_ge_u32 s22, s20
	s_cselect_b32 s22, s25, s24
	s_abs_i32 s24, s18
	v_cvt_f32_u32_e32 v1, s24
	s_xor_b32 s22, s22, s21
	s_ashr_i32 s48, s16, 31
	s_sub_i32 s50, s22, s21
	v_rcp_iflag_f32_e32 v1, v1
	s_lshr_b32 s21, s48, 26
	s_add_i32 s21, s16, s21
	s_ashr_i32 s51, s18, 31
	v_mul_f32_e32 v1, 0x4f7ffffe, v1
	v_cvt_u32_f32_e32 v1, v1
	s_ashr_i32 s49, s21, 6
	s_xor_b32 s21, s23, s51
	s_sub_i32 s22, 0, s24
	v_readfirstlane_b32 s23, v1
	s_mul_i32 s22, s22, s23
	s_mul_hi_u32 s22, s23, s22
	s_add_i32 s23, s23, s22
	s_mul_hi_u32 s22, s20, s23
	s_mul_i32 s23, s22, s24
	s_mul_i32 s47, s50, s17
	s_sub_i32 s20, s20, s23
	s_sub_i32 s33, s3, s47
	s_add_i32 s3, s16, 63
	s_add_i32 s23, s22, 1
	s_sub_i32 s25, s20, s24
	s_cmp_ge_u32 s20, s24
	s_cselect_b32 s22, s23, s22
	s_cselect_b32 s20, s25, s20
	s_add_i32 s23, s22, 1
	s_cmp_ge_u32 s20, s24
	s_cselect_b32 s20, s23, s22
	s_xor_b32 s20, s20, s21
	s_sub_i32 s24, s20, s21
	s_abs_i32 s25, s24
	v_cvt_f32_u32_e32 v1, s25
	s_sub_i32 s27, 0, s25
	s_abs_i32 s26, s33
	s_xor_b32 s24, s33, s24
	v_rcp_iflag_f32_e32 v1, v1
	s_ashr_i32 s24, s24, 31
	s_load_dwordx2 s[34:35], s[0:1], 0x80
	s_load_dwordx4 s[20:23], s[0:1], 0x70
	v_mov_b32_e32 v49, 0
	v_mul_f32_e32 v1, 0x4f7ffffe, v1
	v_cvt_u32_f32_e32 v1, v1
	v_or_b32_e32 v66, 64, v65
	s_mul_hi_i32 s53, s50, s17
	v_lshrrev_b32_e32 v64, 3, v60
	v_readfirstlane_b32 s28, v1
	s_mul_i32 s27, s27, s28
	s_mul_hi_u32 s27, s28, s27
	s_add_i32 s28, s28, s27
	s_mul_hi_u32 s27, s26, s28
	s_mul_i32 s28, s27, s25
	s_sub_i32 s26, s26, s28
	s_add_i32 s28, s27, 1
	s_sub_i32 s29, s26, s25
	s_cmp_ge_u32 s26, s25
	s_cselect_b32 s27, s28, s27
	s_cselect_b32 s26, s29, s26
	s_add_i32 s28, s27, 1
	s_cmp_ge_u32 s26, s25
	s_cselect_b32 s25, s28, s27
	s_xor_b32 s25, s25, s24
	s_sub_i32 s54, s25, s24
	s_ashr_i32 s24, s3, 31
	s_lshr_b32 s24, s24, 26
	s_add_i32 s3, s3, s24
	s_ashr_i32 s3, s3, 6
	s_lshl_b32 s36, s2, 4
	s_mul_i32 s52, s50, s3
	v_and_b32_e32 v1, 15, v0
	s_cmp_lt_i32 s16, 64
	v_lshlrev_b32_e32 v63, 3, v0
	s_waitcnt lgkmcnt(0)
	s_mul_i32 s21, s50, s21
	s_mul_hi_u32 s46, s50, s20
	s_mul_i32 s38, s50, s20
	v_mov_b32_e32 v48, v49
	v_mov_b32_e32 v51, v49
	;; [unrolled: 1-line block ×7, first 2 shown]
	s_cbranch_scc1 .LBB719_18
; %bb.1:
	s_ashr_i32 s28, s50, 31
	s_ashr_i32 s56, s33, 31
	s_add_u32 s2, s47, s33
	s_addc_u32 s3, s53, s56
	s_mul_i32 s3, s16, s3
	s_mul_hi_u32 s24, s16, s2
	s_add_i32 s41, s24, s3
	s_mul_i32 s40, s16, s2
	s_lshl_b64 s[2:3], s[40:41], 8
	v_and_b32_e32 v68, 56, v63
	s_add_u32 s24, s6, s2
	v_lshl_or_b32 v67, v61, 3, v64
	v_lshlrev_b32_e32 v3, 1, v68
	s_addc_u32 s2, s7, s3
	v_lshl_or_b32 v69, v67, 8, v3
	s_and_b32 s25, s2, 0xffff
	s_mov_b32 s27, 0x20000
	s_movk_i32 s26, 0x4000
	s_movk_i32 s2, 0x80
	v_or_b32_e32 v70, 0x2000, v69
	buffer_load_dwordx4 v[4:7], v69, s[24:27], 0 offen
	buffer_load_dwordx4 v[8:11], v69, s[24:27], s2 offen
	;; [unrolled: 1-line block ×4, first 2 shown]
	v_lshlrev_b32_e32 v20, 3, v67
	v_and_or_b32 v22, v0, 7, v20
	v_and_b32_e32 v20, 0x78, v20
	v_lshlrev_b32_e32 v22, 4, v22
	v_xor_b32_e32 v71, v22, v20
	v_mul_lo_u32 v21, v67, s19
	v_or_b32_e32 v72, 0x1000, v71
	s_cmpk_eq_i32 s19, 0x80
	s_mov_b32 s55, s18
	v_xor_b32_e32 v20, 8, v71
	v_xor_b32_e32 v22, 8, v72
	s_cselect_b64 s[2:3], -1, 0
	s_cmpk_lg_i32 s19, 0x80
	s_waitcnt vmcnt(3)
	ds_write_b64 v71, v[4:5] offset:16384
	ds_write_b64 v20, v[6:7] offset:16384
	s_waitcnt vmcnt(2)
	ds_write_b64 v71, v[8:9] offset:24576
	ds_write_b64 v20, v[10:11] offset:24576
	;; [unrolled: 3-line block ×4, first 2 shown]
	v_lshl_add_u32 v4, v21, 1, v68
	s_cbranch_scc0 .LBB719_3
; %bb.2:
	v_lshlrev_b32_e32 v6, 1, v4
	v_add_lshl_u32 v5, v4, s19, 1
	s_lshl_b32 s26, s19, 7
	s_load_dwordx2 s[42:43], s[0:1], 0x20
	v_lshl_or_b32 v3, v67, 9, v3
	s_cbranch_execz .LBB719_4
	s_branch .LBB719_5
.LBB719_3:
                                        ; implicit-def: $vgpr5
                                        ; implicit-def: $vgpr6
                                        ; implicit-def: $sgpr26
	s_load_dwordx2 s[42:43], s[0:1], 0x20
	v_lshl_or_b32 v3, v67, 9, v3
.LBB719_4:
	v_or_b32_e32 v5, 0x100, v3
	s_movk_i32 s26, 0x4000
	v_mov_b32_e32 v6, v3
.LBB719_5:
	s_mul_hi_u32 s0, s18, s16
	s_mul_i32 s1, s51, s16
	s_add_i32 s0, s0, s1
	s_mul_i32 s1, s18, s16
	s_mul_i32 s24, s1, s28
	s_mul_hi_u32 s25, s1, s50
	s_add_i32 s24, s25, s24
	s_mul_i32 s0, s0, s50
	s_add_i32 s24, s24, s0
	s_mul_i32 s1, s1, s50
	s_ashr_i32 s57, s54, 31
	s_add_u32 s0, s1, s54
	s_addc_u32 s1, s24, s57
	s_lshl_b64 s[0:1], s[0:1], 8
	s_add_u32 s24, s4, s0
	s_addc_u32 s0, s5, s1
	s_and_b32 s25, s0, 0xffff
	s_movk_i32 s58, 0x80
	buffer_load_dwordx4 v[8:11], v6, s[24:27], 0 offen
	buffer_load_dwordx4 v[12:15], v6, s[24:27], s58 offen
	buffer_load_dwordx4 v[16:19], v5, s[24:27], 0 offen
	buffer_load_dwordx4 v[20:23], v5, s[24:27], s58 offen
	v_and_b32_e32 v5, 6, v0
	s_mul_i32 s0, s28, s16
	s_mul_hi_u32 s1, s50, s16
	v_lshlrev_b32_e32 v7, 2, v1
	v_lshlrev_b32_e32 v24, 3, v1
	v_xor_b32_e32 v26, v67, v5
	v_and_b32_e32 v6, 1, v0
	s_mul_i32 s28, s28, s20
	v_lshl_or_b32 v24, v65, 5, v24
	v_xor_b32_e32 v27, v65, v7
	v_lshlrev_b32_e32 v26, 2, v26
	s_add_i32 s63, s1, s0
	s_add_i32 s0, s46, s21
	v_or_b32_e32 v73, 0x9000, v24
	v_or_b32_e32 v74, 0x9800, v24
	v_lshlrev_b32_e32 v24, 1, v27
	v_xor_b32_e32 v27, 0x440, v26
	v_cmp_eq_u32_e32 vcc, 0, v6
	s_add_i32 s39, s0, s28
	s_mul_i32 s0, s33, s23
	s_mul_hi_u32 s1, s33, s22
	v_cndmask_b32_e32 v6, v27, v26, vcc
	s_add_i32 s0, s1, s0
	s_mul_i32 s1, s56, s22
	s_mov_b32 s61, 0x1000504
	v_lshlrev_b32_e32 v25, 8, v1
	s_mov_b32 s26, 0x8000
	v_xor_b32_e32 v7, v66, v7
	v_lshl_or_b32 v5, v5, 10, v6
	s_add_i32 s1, s0, s1
	s_lshl_b64 s[24:25], s[38:39], 2
	s_mov_b32 s62, 0x3020706
	v_lshlrev_b32_e32 v7, 1, v7
	v_or3_b32 v75, v24, v25, s26
	v_xor_b32_e32 v6, 8, v5
	v_xor_b32_e32 v24, 24, v5
	;; [unrolled: 1-line block ×4, first 2 shown]
	s_mul_i32 s0, s33, s22
	s_add_u32 s24, s10, s24
	v_or3_b32 v76, v7, v25, s26
	v_xor_b32_e32 v7, 16, v5
	v_xor_b32_e32 v25, 32, v5
	;; [unrolled: 1-line block ×3, first 2 shown]
	v_add_u32_e32 v6, 0x80, v6
	v_add_u32_e32 v24, 0x80, v24
	;; [unrolled: 1-line block ×4, first 2 shown]
	s_addc_u32 s25, s11, s25
	s_lshl_b64 s[0:1], s[0:1], 2
	s_add_u32 s44, s24, s0
	s_movk_i32 s0, 0xf8
	s_addc_u32 s45, s25, s1
	s_ashr_i32 s37, s36, 31
	s_lshl_b32 s30, s19, 7
	v_mov_b32_e32 v47, 0
	s_mul_i32 s59, s50, s16
	s_mov_b32 s60, 0
	v_add_u32_e32 v87, v45, v2
	s_mov_b32 s39, 0x7060302
	v_mov_b32_e32 v98, 0x3fb8aa3b
	s_mov_b32 s65, 0
	v_mov_b32_e32 v52, v47
	v_mov_b32_e32 v53, v47
	;; [unrolled: 1-line block ×6, first 2 shown]
	s_waitcnt vmcnt(1)
	v_perm_b32 v29, v8, v16, s61
	s_waitcnt vmcnt(0)
	v_perm_b32 v30, v12, v20, s61
	v_perm_b32 v8, v8, v16, s62
	;; [unrolled: 1-line block ×15, first 2 shown]
	ds_write2st64_b32 v5, v29, v30 offset1:32
	ds_write2st64_b32 v6, v8, v12 offset1:32
	ds_write2st64_b32 v7, v16, v20 offset0:1 offset1:33
	ds_write2st64_b32 v24, v9, v13 offset0:1 offset1:33
	ds_write2st64_b32 v25, v17, v21 offset0:2 offset1:34
	ds_write2st64_b32 v26, v10, v14 offset0:2 offset1:34
	ds_write2st64_b32 v27, v18, v22 offset0:3 offset1:35
	ds_write2st64_b32 v28, v11, v15 offset0:3 offset1:35
	v_or_b32_e32 v5, v45, v1
	v_lshlrev_b32_e32 v5, 3, v5
	v_lshrrev_b32_e32 v7, 5, v60
	v_and_or_b32 v7, v5, s0, v7
	v_lshlrev_b32_e32 v7, 4, v7
	v_lshrrev_b32_e32 v6, 2, v60
	v_lshlrev_b32_e32 v11, 11, v61
	v_and_b32_e32 v5, 0x78, v5
	v_or_b32_e32 v12, 32, v7
	v_and_b32_e32 v10, 12, v6
	v_and_b32_e32 v6, 0x1000, v11
	v_lshrrev_b32_e32 v9, 1, v60
	v_xor_b32_e32 v12, v12, v5
	v_and_b32_e32 v9, 8, v9
	v_or_b32_e32 v12, v12, v6
	v_xor_b32_e32 v8, v7, v5
	v_xor_b32_e32 v79, v12, v9
	v_or_b32_e32 v12, 64, v7
	v_or_b32_e32 v7, 0x60, v7
	v_xor_b32_e32 v12, v12, v5
	v_xor_b32_e32 v5, v7, v5
	v_or_b32_e32 v5, v5, v6
	v_or_b32_e32 v12, v12, v6
	v_xor_b32_e32 v81, v5, v9
	v_lshlrev_b32_e32 v5, 1, v1
	v_xor_b32_e32 v80, v12, v9
	v_lshlrev_b32_e32 v12, 1, v4
	v_add_lshl_u32 v13, v4, s19, 1
	v_lshrrev_b32_e32 v4, 4, v0
	s_lshl_b64 s[0:1], s[36:37], 8
	v_or_b32_e32 v15, 1, v5
	s_add_u32 s0, s12, s0
	v_xor_b32_e32 v5, v4, v5
	v_xor_b32_e32 v15, v15, v4
	s_addc_u32 s1, s13, s1
	v_lshlrev_b32_e32 v5, 3, v5
	v_lshlrev_b32_e32 v46, 8, v4
	;; [unrolled: 1-line block ×3, first 2 shown]
	v_lshrrev_b32_e32 v19, 1, v0
	v_or3_b32 v83, v5, v46, s26
	v_or3_b32 v84, v4, v46, s26
	v_lshl_add_u64 v[4:5], s[0:1], 0, v[46:47]
	v_lshlrev_b32_e32 v46, 4, v1
	s_movk_i32 s0, 0xff
	v_lshlrev_b32_e32 v18, 3, v61
	v_and_b32_e32 v19, 24, v19
	v_lshl_add_u64 v[54:55], v[4:5], 0, v[46:47]
	v_and_b32_e32 v5, 8, v0
	v_cmp_lt_u32_e32 vcc, s0, v0
	v_xor_b32_e32 v20, v18, v19
	v_or_b32_e32 v21, 0x440, v20
	v_cndmask_b32_e64 v17, 0, 1, vcc
	v_cmp_eq_u32_e32 vcc, 0, v5
	v_or_b32_e32 v23, 64, v19
	v_xor_b32_e32 v23, v18, v23
	v_cndmask_b32_e32 v5, v21, v20, vcc
	v_or_b32_e32 v21, 32, v19
	v_or_b32_e32 v19, 0x60, v19
	v_xor_b32_e32 v21, v18, v21
	v_xor_b32_e32 v18, v18, v19
	v_or_b32_e32 v22, 0x440, v21
	v_xor_b32_e32 v24, 0x440, v23
	v_xor_b32_e32 v19, 0x440, v18
	v_or_b32_e32 v8, v8, v6
	v_or_b32_e32 v6, s36, v1
	v_and_b32_e32 v4, 7, v0
	v_cndmask_b32_e32 v21, v22, v21, vcc
	v_cndmask_b32_e32 v23, v24, v23, vcc
	v_cndmask_b32_e32 v18, v19, v18, vcc
	v_xor_b32_e32 v77, v8, v9
	v_and_b32_e32 v8, 0x78, v63
	v_ashrrev_i32_e32 v7, 31, v6
	v_lshlrev_b32_e32 v15, 3, v4
	v_or_b32_e32 v5, v5, v11
	v_or_b32_e32 v21, v21, v11
	;; [unrolled: 1-line block ×4, first 2 shown]
	v_lshl_or_b32 v8, v62, 7, v8
	v_lshlrev_b64 v[6:7], 1, v[6:7]
	v_lshlrev_b32_e32 v17, 13, v17
	v_xor_b32_e32 v5, v5, v15
	v_xor_b32_e32 v21, v21, v15
	;; [unrolled: 1-line block ×4, first 2 shown]
	v_or_b32_e32 v78, 0x9000, v8
	v_or_b32_e32 v82, 0x9800, v8
	v_lshl_add_u64 v[8:9], s[8:9], 0, v[6:7]
	v_lshl_add_u64 v[6:7], s[14:15], 0, v[6:7]
	v_or_b32_e32 v14, 0x100, v3
	v_lshlrev_b32_e32 v16, 7, v4
	v_or_b32_e32 v4, v10, v45
	v_add_u32_e32 v20, v17, v5
	v_add_u32_e32 v22, v17, v21
	;; [unrolled: 1-line block ×4, first 2 shown]
	v_or3_b32 v10, v45, v10, 64
	v_add_u32_e32 v5, 0x2000, v5
	v_add_u32_e32 v17, 0x2000, v21
	;; [unrolled: 1-line block ×4, first 2 shown]
	v_lshlrev_b32_e32 v46, 8, v65
	v_cndmask_b32_e64 v85, v12, v3, s[2:3]
	v_cndmask_b32_e64 v86, v13, v14, s[2:3]
	v_lshl_add_u64 v[56:57], v[8:9], 0, v[46:47]
	v_lshl_add_u64 v[58:59], v[6:7], 0, v[46:47]
	s_add_i32 s37, s59, 63
	s_movk_i32 s26, 0x4000
	v_lshlrev_b32_e32 v88, 2, v4
	v_add_u32_e32 v89, v20, v16
	v_add_u32_e32 v90, v22, v16
	v_add_u32_e32 v91, v24, v16
	v_add_u32_e32 v92, v15, v16
	v_lshlrev_b32_e32 v93, 2, v10
	v_add_u32_e32 v94, v5, v16
	v_add_u32_e32 v95, v17, v16
	;; [unrolled: 1-line block ×4, first 2 shown]
	v_mov_b32_e32 v46, v47
	s_waitcnt lgkmcnt(0)
	s_barrier
.LBB719_6:                              ; =>This Inner Loop Header: Depth=1
	s_add_i32 s64, s65, 1
	s_cmp_lt_i32 s64, s49
	s_mov_b64 s[28:29], 0
	s_cselect_b64 s[2:3], -1, 0
	s_cmp_ge_i32 s64, s49
	s_mov_b64 s[24:25], 0
	s_cbranch_scc1 .LBB719_8
; %bb.7:                                ;   in Loop: Header=BB719_6 Depth=1
	s_add_i32 s0, s60, 64
	s_add_u32 s0, s40, s0
	s_addc_u32 s1, s41, 0
	s_lshl_b64 s[0:1], s[0:1], 8
	s_add_u32 s24, s6, s0
	s_addc_u32 s25, s7, s1
.LBB719_8:                              ;   in Loop: Header=BB719_6 Depth=1
	v_cndmask_b32_e64 v2, 0, 1, s[2:3]
	v_cmp_ne_u32_e64 s[0:1], 1, v2
	s_andn2_b64 vcc, exec, s[2:3]
	s_cbranch_vccnz .LBB719_10
; %bb.9:                                ;   in Loop: Header=BB719_6 Depth=1
	s_add_i32 s2, s60, 64
	s_add_u32 s2, s59, s2
	s_addc_u32 s3, s63, 0
	s_mul_i32 s28, s2, s51
	s_mul_hi_u32 s29, s2, s55
	s_add_i32 s28, s29, s28
	s_mul_i32 s3, s3, s55
	s_add_i32 s28, s28, s3
	s_mul_i32 s2, s2, s55
	s_add_u32 s2, s2, s54
	s_addc_u32 s3, s28, s57
	s_lshl_b64 s[2:3], s[2:3], 8
	s_add_u32 s28, s4, s2
	s_addc_u32 s29, s5, s3
.LBB719_10:                             ;   in Loop: Header=BB719_6 Depth=1
	v_perm_b32 v3, v53, v52, s39
	v_perm_b32 v2, v47, v46, s39
	;; [unrolled: 1-line block ×4, first 2 shown]
	ds_write_b64 v73, v[2:3]
	ds_write_b64 v74, v[4:5]
	;; [unrolled: 1-line block ×4, first 2 shown]
	s_waitcnt lgkmcnt(0)
	s_barrier
	ds_read_b64 v[10:11], v77 offset:16384
	ds_read_b64 v[12:13], v79 offset:16384
	ds_read2st64_b64 v[2:5], v78 offset1:1
	ds_read2st64_b64 v[6:9], v78 offset0:2 offset1:3
	ds_read_b64 v[14:15], v80 offset:16384
	s_waitcnt lgkmcnt(2)
	v_mfma_f32_16x16x16_bf16 a[0:3], v[10:11], v[2:3], 0
	ds_read_b64 v[2:3], v81 offset:16384
	s_add_i32 s2, s60, 63
	s_mul_i32 s3, s2, s35
	v_mfma_f32_16x16x16_bf16 a[0:3], v[12:13], v[4:5], a[0:3]
	s_mul_hi_u32 s31, s2, s34
	s_add_i32 s3, s31, s3
	s_mul_i32 s2, s2, s34
	s_waitcnt lgkmcnt(1)
	v_mfma_f32_16x16x16_bf16 a[0:3], v[14:15], v[6:7], a[0:3]
	s_lshl_b64 s[2:3], s[2:3], 2
	s_add_u32 s2, s44, s2
	s_addc_u32 s3, s45, s3
	s_waitcnt lgkmcnt(0)
	v_mfma_f32_16x16x16_bf16 a[0:3], v[2:3], v[8:9], a[0:3]
	s_and_b64 vcc, exec, s[0:1]
	v_mov_b32_e32 v101, 0
	v_mov_b32_e32 v100, 0
	;; [unrolled: 1-line block ×19, first 2 shown]
	s_cbranch_vccnz .LBB719_12
; %bb.11:                               ;   in Loop: Header=BB719_6 Depth=1
	s_and_b32 s25, s25, 0xffff
	buffer_load_dwordx4 v[14:17], v69, s[24:27], 0 offen
	buffer_load_dwordx4 v[10:13], v69, s[24:27], s58 offen
	;; [unrolled: 1-line block ×4, first 2 shown]
	v_mov_b32_e32 v100, v71
	v_mov_b32_e32 v99, v72
.LBB719_12:                             ;   in Loop: Header=BB719_6 Depth=1
	v_add_u32_e32 v24, s60, v87
	v_ashrrev_i32_e32 v18, 31, v24
	v_mul_lo_u32 v20, v18, s34
	v_mul_lo_u32 v21, v24, s35
	v_mad_u64_u32 v[18:19], s[24:25], v24, s34, 0
	v_add3_u32 v19, v19, v21, v20
	v_add_u32_e32 v20, 1, v24
	v_ashrrev_i32_e32 v21, 31, v20
	v_mul_lo_u32 v22, v21, s34
	v_mul_lo_u32 v23, v20, s35
	v_mad_u64_u32 v[20:21], s[24:25], v20, s34, 0
	v_add3_u32 v21, v21, v23, v22
	v_add_u32_e32 v22, 2, v24
	v_ashrrev_i32_e32 v23, 31, v22
	v_mul_lo_u32 v25, v23, s34
	v_mul_lo_u32 v26, v22, s35
	v_mad_u64_u32 v[22:23], s[24:25], v22, s34, 0
	s_add_u32 s24, s40, s60
	v_add3_u32 v23, v23, v26, v25
	v_add_u32_e32 v26, 3, v24
	s_addc_u32 s25, s41, 0
	v_ashrrev_i32_e32 v24, 31, v26
	s_lshl_b64 s[24:25], s[24:25], 8
	v_lshl_add_u64 v[18:19], v[18:19], 2, s[44:45]
	v_mul_lo_u32 v27, v24, s34
	v_lshl_add_u64 v[24:25], v[56:57], 0, s[24:25]
	v_mul_lo_u32 v28, v26, s35
	global_load_ushort v34, v[24:25], off
	global_load_ushort v35, v[24:25], off offset:256
	global_load_ushort v36, v[24:25], off offset:512
	;; [unrolled: 1-line block ×3, first 2 shown]
	global_load_dword v38, v[18:19], off
	v_mad_u64_u32 v[18:19], s[66:67], v26, s34, 0
	v_lshl_add_u64 v[20:21], v[20:21], 2, s[44:45]
	v_add3_u32 v19, v19, v28, v27
	v_lshl_add_u64 v[22:23], v[22:23], 2, s[44:45]
	v_lshl_add_u64 v[18:19], v[18:19], 2, s[44:45]
	global_load_dword v39, v[20:21], off
	global_load_dword v40, v[22:23], off
	;; [unrolled: 1-line block ×3, first 2 shown]
	ds_read_b64 v[18:19], v77 offset:24576
	s_load_dword s2, s[2:3], 0x0
	ds_read_b64 v[28:29], v79 offset:24576
	ds_read2st64_b64 v[20:23], v82 offset1:1
	ds_read2st64_b64 v[24:27], v82 offset0:2 offset1:3
	ds_read_b64 v[30:31], v80 offset:24576
	ds_read_b64 v[32:33], v81 offset:24576
	s_waitcnt lgkmcnt(0)
	v_mfma_f32_16x16x16_bf16 a[0:3], v[18:19], v[20:21], a[0:3]
	v_mov_b32_e32 v102, 0
	v_mov_b32_e32 v18, 0
	;; [unrolled: 1-line block ×3, first 2 shown]
	v_mfma_f32_16x16x16_bf16 a[0:3], v[28:29], v[22:23], a[0:3]
	v_lshl_add_u64 v[28:29], v[58:59], 0, s[24:25]
	v_mov_b32_e32 v20, 0
	v_mov_b32_e32 v21, 0
	v_mfma_f32_16x16x16_bf16 a[0:3], v[30:31], v[24:25], a[0:3]
	v_mov_b32_e32 v22, 0
	v_mov_b32_e32 v23, 0
	;; [unrolled: 1-line block ×3, first 2 shown]
	v_mfma_f32_16x16x16_bf16 a[0:3], v[32:33], v[26:27], a[0:3]
	s_and_b64 vcc, exec, s[0:1]
	s_waitcnt vmcnt(7)
	v_lshlrev_b32_e32 v32, 16, v34
	s_nop 3
	v_accvgpr_read_b32 v31, a1
	v_accvgpr_read_b32 v27, a3
	;; [unrolled: 1-line block ×4, first 2 shown]
	s_waitcnt vmcnt(6)
	v_lshlrev_b32_e32 v33, 16, v35
	s_waitcnt vmcnt(4)
	v_lshlrev_b32_e32 v35, 16, v37
	v_lshlrev_b32_e32 v34, 16, v36
	s_waitcnt vmcnt(3)
	v_sub_f32_e32 v25, s2, v38
	v_pk_add_f32 v[30:31], v[32:33], v[30:31] neg_lo:[0,1] neg_hi:[0,1]
	v_pk_add_f32 v[26:27], v[34:35], v[26:27] neg_lo:[0,1] neg_hi:[0,1]
	v_mul_f32_e32 v25, 0x3fb8aa3b, v25
	s_waitcnt vmcnt(2)
	v_sub_f32_e32 v33, s2, v39
	s_waitcnt vmcnt(1)
	v_sub_f32_e32 v34, s2, v40
	;; [unrolled: 2-line block ×3, first 2 shown]
	v_exp_f32_e32 v32, v25
	v_mul_f32_e32 v25, 0x3fb8aa3b, v33
	v_mul_f32_e32 v34, 0x3fb8aa3b, v34
	;; [unrolled: 1-line block ×3, first 2 shown]
	v_exp_f32_e32 v33, v25
	v_exp_f32_e32 v34, v34
	;; [unrolled: 1-line block ×3, first 2 shown]
	global_store_short_d16_hi v[28:29], v30, off
	global_store_short_d16_hi v[28:29], v31, off offset:256
	global_store_short_d16_hi v[28:29], v26, off offset:512
	;; [unrolled: 1-line block ×3, first 2 shown]
	v_pk_mul_f32 v[28:29], v[32:33], v[30:31]
	v_pk_mul_f32 v[26:27], v[34:35], v[26:27]
	v_mov_b32_e32 v25, 0
	v_perm_b32 v27, v27, v26, s39
	v_perm_b32 v26, v29, v28, s39
	ds_write_b64 v74, v[26:27]
	v_mov_b32_e32 v26, 0
	v_mov_b32_e32 v27, 0
	;; [unrolled: 1-line block ×8, first 2 shown]
	s_cbranch_vccnz .LBB719_14
; %bb.13:                               ;   in Loop: Header=BB719_6 Depth=1
	s_and_b32 s29, s29, 0xffff
	s_mov_b32 s31, s27
	buffer_load_dwordx4 v[30:33], v85, s[28:31], 0 offen
	buffer_load_dwordx4 v[22:25], v85, s[28:31], s58 offen
	;; [unrolled: 1-line block ×4, first 2 shown]
	v_mov_b32_e32 v101, v68
	v_mov_b32_e32 v102, v67
.LBB719_14:                             ;   in Loop: Header=BB719_6 Depth=1
	s_waitcnt lgkmcnt(0)
	s_barrier
	ds_read_b64 v[34:35], v89
	ds_read_b64 v[40:41], v90
	ds_read2st64_b64 v[36:39], v82 offset1:1
	ds_read2st64_b64 v[104:107], v82 offset0:2 offset1:3
	ds_read_b64 v[42:43], v91
	ds_read_b64 v[112:113], v92
	s_add_i32 s3, s52, s65
	s_mul_hi_i32 s25, s3, s17
	s_mul_i32 s3, s3, s17
	s_waitcnt lgkmcnt(3)
	v_mfma_f32_16x16x16_bf16 a[0:3], v[34:35], v[36:37], 0
	ds_read_b64 v[34:35], v94
	s_add_u32 s24, s3, s33
	s_addc_u32 s25, s25, s56
	s_add_i32 s3, s37, s60
	v_mfma_f32_16x16x16_bf16 a[0:3], v[40:41], v[38:39], a[0:3]
	ds_read_b64 v[40:41], v95
	s_lshl_b64 s[24:25], s[24:25], 15
	s_mul_hi_i32 s29, s3, s17
	s_mul_i32 s3, s3, s17
	s_add_u32 s28, s3, s33
	s_addc_u32 s29, s29, s56
	s_lshl_b64 s[28:29], s[28:29], 9
	s_add_u32 s28, s42, s28
	s_waitcnt lgkmcnt(1)
	v_mfma_f32_16x16x16_bf16 a[4:7], v[34:35], v[36:37], 0
	s_addc_u32 s29, s43, s29
	s_and_b64 vcc, exec, s[0:1]
	v_mfma_f32_16x16x16_bf16 a[0:3], v[42:43], v[104:105], a[0:3]
	ds_read_b64 v[42:43], v96
	ds_read_b64 v[114:115], v97
	global_load_dwordx4 v[34:37], v93, s[28:29]
	s_waitcnt lgkmcnt(2)
	v_mfma_f32_16x16x16_bf16 a[4:7], v[40:41], v[38:39], a[4:7]
	global_load_dwordx4 v[38:41], v88, s[28:29]
	ds_read_b64 v[108:109], v83
	ds_read_b64 v[110:111], v84
	s_waitcnt lgkmcnt(3)
	v_mfma_f32_16x16x16_bf16 a[8:11], v[42:43], v[104:105], a[4:7]
	v_lshl_add_u64 v[42:43], v[54:55], 0, s[24:25]
	s_waitcnt lgkmcnt(0)
	global_store_dwordx4 v[42:43], v[108:111], off
	v_mfma_f32_16x16x16_bf16 a[4:7], v[112:113], v[106:107], a[0:3]
	s_waitcnt vmcnt(2)
	v_mov_b32_e32 v44, v37
	v_mfma_f32_16x16x16_bf16 a[0:3], v[114:115], v[106:107], a[8:11]
	v_mov_b32_e32 v43, v36
	v_mov_b32_e32 v42, v35
	s_cbranch_vccnz .LBB719_16
; %bb.15:                               ;   in Loop: Header=BB719_6 Depth=1
	v_lshrrev_b32_e32 v35, 3, v101
	v_and_b32_e32 v35, 6, v35
	v_xor_b32_e32 v36, v35, v102
	v_lshlrev_b32_e32 v36, 2, v36
	v_and_b32_e32 v37, 8, v101
	v_xor_b32_e32 v101, 0x440, v36
	v_cmp_eq_u32_e32 vcc, 0, v37
	v_perm_b32 v37, v22, v18, s61
	s_nop 0
	v_cndmask_b32_e32 v36, v101, v36, vcc
	v_lshl_or_b32 v35, v35, 10, v36
	v_perm_b32 v36, v30, v26, s61
	s_barrier
	ds_write2st64_b32 v35, v36, v37 offset1:32
	v_xor_b32_e32 v36, 8, v35
	v_perm_b32 v26, v30, v26, s62
	v_perm_b32 v18, v22, v18, s62
	v_add_u32_e32 v22, 0x80, v36
	ds_write2st64_b32 v22, v26, v18 offset1:32
	v_xor_b32_e32 v18, 16, v35
	v_perm_b32 v22, v31, v27, s61
	v_perm_b32 v26, v23, v19, s61
	ds_write2st64_b32 v18, v22, v26 offset0:1 offset1:33
	v_xor_b32_e32 v18, 24, v35
	v_perm_b32 v22, v31, v27, s62
	v_perm_b32 v19, v23, v19, s62
	v_add_u32_e32 v18, 0x80, v18
	ds_write2st64_b32 v18, v22, v19 offset0:1 offset1:33
	v_xor_b32_e32 v18, 32, v35
	v_perm_b32 v19, v32, v28, s61
	v_perm_b32 v22, v24, v20, s61
	ds_write2st64_b32 v18, v19, v22 offset0:2 offset1:34
	v_xor_b32_e32 v18, 40, v35
	v_perm_b32 v19, v32, v28, s62
	v_perm_b32 v20, v24, v20, s62
	v_add_u32_e32 v18, 0x80, v18
	ds_write2st64_b32 v18, v19, v20 offset0:2 offset1:34
	;; [unrolled: 9-line block ×3, first 2 shown]
	ds_write_b64 v100, v[14:15] offset:16384
	v_xor_b32_e32 v14, 8, v100
	ds_write_b64 v14, v[16:17] offset:16384
	ds_write_b64 v100, v[10:11] offset:24576
	ds_write_b64 v14, v[12:13] offset:24576
	ds_write_b64 v99, v[6:7] offset:16384
	v_xor_b32_e32 v6, 8, v99
	ds_write_b64 v6, v[8:9] offset:16384
	ds_write_b64 v99, v[2:3] offset:24576
	;; [unrolled: 1-line block ×3, first 2 shown]
.LBB719_16:                             ;   in Loop: Header=BB719_6 Depth=1
	v_mul_f32_e32 v6, s2, v98
	v_exp_f32_e32 v10, v6
	s_waitcnt vmcnt(1)
	v_mul_f32_e32 v6, 0x3fb8aa3b, v38
	v_exp_f32_e32 v12, v6
	v_mul_f32_e32 v6, 0x3fb8aa3b, v39
	v_exp_f32_e32 v13, v6
	;; [unrolled: 2-line block ×4, first 2 shown]
	v_accvgpr_read_b32 v2, a4
	v_accvgpr_read_b32 v3, a5
	v_pk_mul_f32 v[12:13], v[10:11], v[12:13] op_sel_hi:[0,1]
	v_pk_fma_f32 v[46:47], v[46:47], v[12:13], v[2:3]
	v_pk_mul_f32 v[2:3], v[10:11], v[14:15] op_sel_hi:[0,1]
	v_mul_f32_e32 v11, 0x3fb8aa3b, v34
	v_exp_f32_e32 v12, v11
	v_mul_f32_e32 v11, 0x3fb8aa3b, v42
	v_exp_f32_e32 v13, v11
	;; [unrolled: 2-line block ×4, first 2 shown]
	v_accvgpr_read_b32 v4, a6
	v_accvgpr_read_b32 v5, a7
	;; [unrolled: 1-line block ×5, first 2 shown]
	v_pk_fma_f32 v[52:53], v[52:53], v[2:3], v[4:5]
	v_pk_mul_f32 v[2:3], v[10:11], v[12:13] op_sel_hi:[0,1]
	v_accvgpr_read_b32 v8, a2
	v_pk_fma_f32 v[50:51], v[50:51], v[2:3], v[6:7]
	v_pk_mul_f32 v[2:3], v[10:11], v[14:15] op_sel_hi:[0,1]
	s_add_i32 s60, s60, 64
	s_cmp_eq_u32 s49, s64
	v_pk_fma_f32 v[48:49], v[48:49], v[2:3], v[8:9]
	s_cbranch_scc1 .LBB719_18
; %bb.17:                               ;   in Loop: Header=BB719_6 Depth=1
	s_mov_b32 s65, s64
	s_branch .LBB719_6
.LBB719_18:
	s_lshl_b32 s42, s49, 6
	s_sub_i32 s43, s16, s42
	s_cmp_gt_i32 s43, 0
	s_cbranch_scc0 .LBB719_75
; %bb.19:
	s_ashr_i32 s39, s50, 31
	s_ashr_i32 s2, s42, 31
	s_cmpk_lg_i32 s19, 0x80
	s_cselect_b64 s[30:31], -1, 0
	s_and_b64 vcc, exec, s[30:31]
	s_cbranch_vccz .LBB719_21
; %bb.20:
	s_mul_i32 s1, s50, s16
	s_mul_hi_i32 s0, s50, s16
	s_add_u32 s1, s1, s42
	s_addc_u32 s0, s0, s2
	s_mul_i32 s3, s1, s51
	s_mul_hi_u32 s24, s1, s18
	s_add_i32 s3, s24, s3
	s_mul_i32 s0, s0, s18
	s_add_i32 s3, s3, s0
	s_mul_i32 s1, s1, s18
	s_ashr_i32 s0, s54, 31
	s_add_u32 s40, s1, s54
	s_addc_u32 s41, s3, s0
	s_cbranch_execz .LBB719_22
	s_branch .LBB719_23
.LBB719_21:
                                        ; implicit-def: $sgpr40_sgpr41
.LBB719_22:
	s_mul_hi_i32 s0, s50, s18
	s_mul_i32 s50, s50, s18
	s_ashr_i32 s1, s54, 31
	s_add_u32 s3, s50, s54
	s_addc_u32 s0, s0, s1
	s_mul_i32 s1, s3, s48
	s_mul_hi_u32 s18, s3, s16
	s_add_i32 s1, s18, s1
	s_mul_i32 s0, s0, s16
	s_add_i32 s1, s1, s0
	s_mul_i32 s3, s3, s16
	s_add_u32 s40, s3, s42
	s_addc_u32 s41, s1, s2
.LBB719_23:
	s_add_i32 s3, s52, s49
	s_ashr_i32 s18, s33, 31
	s_add_u32 s0, s47, s33
	s_addc_u32 s1, s53, s18
	s_mul_i32 s24, s0, s48
	s_mul_hi_u32 s25, s0, s16
	s_add_i32 s24, s25, s24
	s_mul_i32 s1, s1, s16
	s_add_i32 s24, s24, s1
	s_mul_i32 s0, s0, s16
	s_add_u32 s0, s0, s42
	s_addc_u32 s1, s24, s2
	s_mov_b32 s2, 0x7060302
	v_lshlrev_b32_e32 v6, 3, v1
	s_lshl_b64 s[28:29], s[0:1], 8
	v_perm_b32 v3, v53, v52, s2
	v_perm_b32 v2, v47, v46, s2
	;; [unrolled: 1-line block ×4, first 2 shown]
	v_lshlrev_b32_e32 v34, 2, v1
	v_lshl_or_b32 v6, v65, 5, v6
	s_add_u32 s0, s6, s28
	ds_write2st64_b64 v6, v[2:3], v[4:5] offset0:72 offset1:76
	v_xor_b32_e32 v6, v65, v34
	v_lshlrev_b32_e32 v7, 8, v1
	s_addc_u32 s1, s7, s29
	v_lshl_or_b32 v6, v6, 1, v7
	s_mul_hi_i32 s6, s3, s17
	s_mul_i32 s3, s3, s17
	ds_write_b64 v6, v[2:3] offset:32768
	v_xor_b32_e32 v2, v66, v34
	s_add_u32 s2, s3, s33
	v_lshl_or_b32 v2, v2, 1, v7
	s_addc_u32 s3, s6, s18
	v_lshlrev_b32_e32 v3, 1, v1
	ds_write_b64 v2, v[4:5] offset:32768
	v_lshrrev_b32_e32 v2, 4, v0
	s_ashr_i32 s37, s36, 31
	s_lshl_b64 s[2:3], s[2:3], 15
	v_or_b32_e32 v4, 1, v3
	s_add_u32 s6, s12, s2
	v_xor_b32_e32 v3, v2, v3
	v_xor_b32_e32 v4, v4, v2
	v_lshlrev_b32_e32 v6, 8, v2
	s_addc_u32 s7, s13, s3
	s_lshl_b64 s[2:3], s[36:37], 8
	v_lshl_or_b32 v2, v3, 3, v6
	v_lshl_or_b32 v4, v4, 3, v6
	s_waitcnt lgkmcnt(0)
	s_barrier
	s_add_u32 s2, s6, s2
	ds_read_b64 v[2:3], v2 offset:32768
	ds_read_b64 v[4:5], v4 offset:32768
	s_addc_u32 s3, s7, s3
	v_mov_b32_e32 v7, 0
	s_cmp_lg_u32 s43, 64
	v_lshl_add_u64 v[8:9], s[2:3], 0, v[6:7]
	v_lshlrev_b32_e32 v6, 4, v1
	s_cselect_b64 s[6:7], -1, 0
	v_lshl_or_b32 v35, v61, 3, v64
	s_mov_b32 s24, 0
	v_lshl_add_u64 v[6:7], v[8:9], 0, v[6:7]
	v_or_b32_e32 v19, 32, v35
	v_and_b32_e32 v18, 56, v63
	s_and_b64 vcc, exec, s[6:7]
	s_waitcnt lgkmcnt(0)
	global_store_dwordx4 v[6:7], v[2:5], off
	s_cbranch_vccz .LBB719_29
; %bb.24:
	s_mov_b32 s25, s24
	s_mov_b32 s26, s24
	;; [unrolled: 1-line block ×3, first 2 shown]
	v_mov_b64_e32 v[6:7], s[24:25]
	v_mov_b64_e32 v[8:9], s[26:27]
	;; [unrolled: 1-line block ×3, first 2 shown]
	v_cmp_gt_i32_e32 vcc, s43, v35
	v_mov_b64_e32 v[4:5], v[8:9]
	s_and_saveexec_b64 s[2:3], vcc
	s_cbranch_execz .LBB719_26
; %bb.25:
	v_lshlrev_b32_e32 v2, 8, v35
	v_mov_b32_e32 v3, 0
	v_lshl_add_u64 v[4:5], s[0:1], 0, v[2:3]
	v_lshlrev_b32_e32 v2, 1, v18
	v_lshl_add_u64 v[10:11], v[4:5], 0, v[2:3]
	global_load_dwordx4 v[6:9], v[10:11], off
	global_load_dwordx4 v[2:5], v[10:11], off offset:128
.LBB719_26:
	s_or_b64 exec, exec, s[2:3]
	s_mov_b32 s25, s24
	s_mov_b32 s26, s24
	;; [unrolled: 1-line block ×3, first 2 shown]
	v_mov_b64_e32 v[14:15], s[24:25]
	v_mov_b64_e32 v[16:17], s[26:27]
	;; [unrolled: 1-line block ×3, first 2 shown]
	v_cmp_gt_i32_e32 vcc, s43, v19
	v_lshlrev_b32_e32 v20, 7, v19
	v_mov_b64_e32 v[12:13], v[16:17]
	s_and_saveexec_b64 s[2:3], vcc
	s_cbranch_execz .LBB719_28
; %bb.27:
	v_lshlrev_b32_e32 v10, 1, v20
	v_mov_b32_e32 v11, 0
	v_lshl_add_u64 v[12:13], s[0:1], 0, v[10:11]
	v_lshlrev_b32_e32 v10, 1, v18
	v_lshl_add_u64 v[22:23], v[12:13], 0, v[10:11]
	global_load_dwordx4 v[14:17], v[22:23], off
	global_load_dwordx4 v[10:13], v[22:23], off offset:128
.LBB719_28:
	s_or_b64 exec, exec, s[2:3]
	v_lshrrev_b32_e32 v21, 3, v18
	v_lshlrev_b32_e32 v22, 3, v35
	v_or_b32_e32 v21, v22, v21
	v_lshlrev_b32_e32 v21, 4, v21
	v_and_b32_e32 v22, 0x78, v22
	v_xor_b32_e32 v21, v21, v22
	s_branch .LBB719_31
.LBB719_29:
                                        ; implicit-def: $vgpr21
                                        ; implicit-def: $vgpr20
                                        ; implicit-def: $vgpr6_vgpr7_vgpr8_vgpr9
                                        ; implicit-def: $vgpr2_vgpr3_vgpr4_vgpr5
                                        ; implicit-def: $vgpr14_vgpr15_vgpr16_vgpr17
                                        ; implicit-def: $vgpr10_vgpr11_vgpr12_vgpr13
	s_cbranch_execz .LBB719_31
; %bb.30:
	s_waitcnt vmcnt(0)
	v_lshlrev_b32_e32 v2, 1, v18
	v_lshl_or_b32 v20, v35, 8, v2
	s_and_b32 s1, s1, 0xffff
	s_mov_b32 s3, 0x20000
	s_movk_i32 s2, 0x4000
	v_lshl_or_b32 v21, v19, 8, v2
	s_movk_i32 s12, 0x80
	buffer_load_dwordx4 v[6:9], v20, s[0:3], 0 offen
	buffer_load_dwordx4 v[2:5], v20, s[0:3], s12 offen
	;; [unrolled: 1-line block ×4, first 2 shown]
	v_lshrrev_b32_e32 v20, 3, v18
	v_lshlrev_b32_e32 v21, 3, v35
	v_or_b32_e32 v20, v21, v20
	v_lshlrev_b32_e32 v20, 4, v20
	v_and_b32_e32 v21, 0x78, v21
	v_xor_b32_e32 v21, v20, v21
	v_lshlrev_b32_e32 v20, 7, v19
.LBB719_31:
	s_lshl_b64 s[0:1], s[40:41], 8
	s_add_u32 s4, s4, s0
	s_movk_i32 s0, 0x1000
	v_and_or_b32 v19, v20, s0, v21
	s_waitcnt vmcnt(1)
	ds_write_b64 v21, v[6:7] offset:16384
	v_xor_b32_e32 v6, 8, v21
	ds_write_b64 v6, v[8:9] offset:16384
	s_waitcnt vmcnt(0)
	ds_write_b64 v21, v[2:3] offset:24576
	ds_write_b64 v6, v[4:5] offset:24576
	;; [unrolled: 1-line block ×3, first 2 shown]
	v_xor_b32_e32 v2, 8, v19
	ds_write_b64 v2, v[16:17] offset:16384
	ds_write_b64 v19, v[10:11] offset:24576
	;; [unrolled: 1-line block ×3, first 2 shown]
	v_or_b32_e32 v2, v45, v1
	s_addc_u32 s5, s5, s1
	s_add_i32 s2, s16, -1
	v_lshlrev_b32_e32 v2, 3, v2
	v_lshrrev_b32_e32 v4, 5, v60
	s_movk_i32 s16, 0xf8
	v_and_or_b32 v4, v2, s16, v4
	v_lshlrev_b32_e32 v3, 11, v61
	v_lshlrev_b32_e32 v12, 4, v4
	v_and_b32_e32 v13, 0x78, v2
	v_and_b32_e32 v14, 0x1000, v3
	v_lshlrev_b32_e32 v3, 2, v0
	v_xor_b32_e32 v2, v12, v13
	v_lshrrev_b32_e32 v4, 1, v60
	v_and_b32_e32 v3, 60, v3
	v_or_b32_e32 v2, v2, v14
	v_and_b32_e32 v15, 8, v4
	v_xor_b32_e32 v26, v2, v15
	v_lshl_or_b32 v2, v62, 6, v3
	v_lshlrev_b32_e32 v19, 1, v2
	v_or_b32_e32 v2, 32, v12
	v_xor_b32_e32 v2, v2, v13
	s_waitcnt lgkmcnt(0)
	s_barrier
	ds_read_b64 v[10:11], v26 offset:16384
	v_or_b32_e32 v2, v2, v14
	v_xor_b32_e32 v27, v2, v15
	v_or_b32_e32 v2, 64, v12
	v_xor_b32_e32 v2, v2, v13
	v_or_b32_e32 v2, v2, v14
	v_or_b32_e32 v12, 0x60, v12
	v_xor_b32_e32 v28, v2, v15
	ds_read2st64_b64 v[2:5], v19 offset0:72 offset1:73
	ds_read2st64_b64 v[6:9], v19 offset0:74 offset1:75
	v_xor_b32_e32 v16, v12, v13
	ds_read_b64 v[12:13], v27 offset:16384
	s_waitcnt lgkmcnt(2)
	v_mfma_f32_16x16x16_bf16 a[0:3], v[10:11], v[2:3], 0
	s_add_i32 s0, s46, s21
	s_mul_i32 s39, s39, s20
	s_add_i32 s39, s0, s39
	s_mul_i32 s0, s33, s23
	s_mul_hi_u32 s1, s33, s22
	s_ashr_i32 s3, s2, 31
	s_mul_i32 s12, s2, s35
	s_mul_hi_u32 s13, s2, s34
	s_add_i32 s0, s1, s0
	s_mul_i32 s1, s18, s22
	s_add_i32 s12, s13, s12
	s_mul_i32 s3, s3, s34
	v_or_b32_e32 v14, v16, v14
	s_add_i32 s1, s0, s1
	s_add_i32 s3, s12, s3
	s_lshl_b64 s[12:13], s[38:39], 2
	v_xor_b32_e32 v36, v14, v15
	ds_read_b64 v[14:15], v28 offset:16384
	ds_read_b64 v[16:17], v36 offset:16384
	s_waitcnt lgkmcnt(2)
	v_mfma_f32_16x16x16_bf16 a[0:3], v[12:13], v[4:5], a[0:3]
	s_mul_i32 s0, s33, s22
	s_add_u32 s10, s10, s12
	s_addc_u32 s11, s11, s13
	s_lshl_b64 s[0:1], s[0:1], 2
	s_mul_i32 s2, s2, s34
	s_add_u32 s10, s10, s0
	s_addc_u32 s11, s11, s1
	s_lshl_b64 s[0:1], s[2:3], 2
	s_waitcnt lgkmcnt(1)
	v_mfma_f32_16x16x16_bf16 a[0:3], v[14:15], v[6:7], a[0:3]
	s_add_u32 s0, s10, s0
	s_addc_u32 s1, s11, s1
	s_load_dword s12, s[0:1], 0x0
	s_waitcnt lgkmcnt(0)
	v_mfma_f32_16x16x16_bf16 a[0:3], v[16:17], v[8:9], a[0:3]
	s_and_b64 vcc, exec, s[30:31]
	s_cbranch_vccz .LBB719_42
; %bb.32:
	v_lshlrev_b32_e32 v20, 1, v35
	s_and_b64 vcc, exec, s[6:7]
	s_cbranch_vccz .LBB719_43
; %bb.33:
	v_cmp_gt_i32_e32 vcc, s43, v20
	v_mov_b32_e32 v6, 0
	v_mov_b32_e32 v2, 0
	;; [unrolled: 1-line block ×5, first 2 shown]
	s_and_saveexec_b64 s[0:1], vcc
	s_cbranch_execz .LBB719_35
; %bb.34:
	v_mad_i64_i32 v[2:3], s[2:3], s19, v20, 0
	v_lshl_add_u64 v[2:3], v[2:3], 1, s[4:5]
	v_lshlrev_b32_e32 v4, 1, v18
	v_mov_b32_e32 v5, 0
	v_lshl_add_u64 v[2:3], v[2:3], 0, v[4:5]
	global_load_dwordx4 v[2:5], v[2:3], off
.LBB719_35:
	s_or_b64 exec, exec, s[0:1]
	v_or_b32_e32 v21, 1, v20
	v_cmp_gt_i32_e64 s[0:1], s43, v21
	v_mov_b32_e32 v7, 0
	v_mov_b32_e32 v8, 0
	;; [unrolled: 1-line block ×3, first 2 shown]
	s_and_saveexec_b64 s[2:3], s[0:1]
	s_cbranch_execz .LBB719_37
; %bb.36:
	v_mad_i64_i32 v[6:7], s[16:17], s19, v21, 0
	v_lshl_add_u64 v[6:7], v[6:7], 1, s[4:5]
	v_lshlrev_b32_e32 v8, 1, v18
	v_mov_b32_e32 v9, 0
	v_lshl_add_u64 v[6:7], v[6:7], 0, v[8:9]
	global_load_dwordx4 v[6:9], v[6:7], off
.LBB719_37:
	s_or_b64 exec, exec, s[2:3]
	v_mov_b32_e32 v17, 0
	v_mov_b32_e32 v10, 0
	;; [unrolled: 1-line block ×5, first 2 shown]
	s_and_saveexec_b64 s[2:3], vcc
	s_cbranch_execz .LBB719_39
; %bb.38:
	v_mad_i64_i32 v[10:11], s[16:17], s19, v20, 0
	v_lshl_add_u64 v[10:11], v[10:11], 1, s[4:5]
	v_lshlrev_b32_e32 v12, 1, v18
	v_mov_b32_e32 v13, 0
	v_lshl_add_u64 v[10:11], v[10:11], 0, v[12:13]
	global_load_dwordx4 v[10:13], v[10:11], off offset:128
.LBB719_39:
	s_or_b64 exec, exec, s[2:3]
	v_mov_b32_e32 v16, 0
	v_mov_b32_e32 v15, 0
	;; [unrolled: 1-line block ×3, first 2 shown]
	s_and_saveexec_b64 s[2:3], s[0:1]
	s_cbranch_execz .LBB719_41
; %bb.40:
	v_mad_i64_i32 v[14:15], s[0:1], s19, v21, 0
	v_lshl_add_u64 v[14:15], v[14:15], 1, s[4:5]
	v_lshlrev_b32_e32 v16, 1, v18
	v_mov_b32_e32 v17, 0
	v_lshl_add_u64 v[14:15], v[14:15], 0, v[16:17]
	global_load_dwordx4 v[14:17], v[14:15], off offset:128
.LBB719_41:
	s_or_b64 exec, exec, s[2:3]
	s_branch .LBB719_45
.LBB719_42:
                                        ; implicit-def: $vgpr5
                                        ; implicit-def: $vgpr9
                                        ; implicit-def: $vgpr13
                                        ; implicit-def: $vgpr17
	v_lshrrev_b32_e32 v37, 2, v60
	s_branch .LBB719_46
.LBB719_43:
                                        ; implicit-def: $vgpr5
                                        ; implicit-def: $vgpr9
                                        ; implicit-def: $vgpr13
                                        ; implicit-def: $vgpr17
	s_cbranch_execz .LBB719_45
; %bb.44:
	s_waitcnt vmcnt(0)
	v_mad_u64_u32 v[2:3], s[0:1], v20, s19, v[18:19]
	v_lshlrev_b32_e32 v20, 1, v2
	s_lshl_b32 s2, s19, 7
	s_and_b32 s1, s5, 0xffff
	s_mov_b32 s3, 0x20000
	s_mov_b32 s0, s4
	v_add_lshl_u32 v21, v2, s19, 1
	s_movk_i32 s13, 0x80
	buffer_load_dwordx4 v[2:5], v20, s[0:3], 0 offen
	buffer_load_dwordx4 v[10:13], v20, s[0:3], s13 offen
	;; [unrolled: 1-line block ×4, first 2 shown]
.LBB719_45:
	v_lshrrev_b32_e32 v37, 2, v60
	s_cbranch_execnz .LBB719_58
.LBB719_46:
	s_and_b64 vcc, exec, s[6:7]
	s_cbranch_vccz .LBB719_56
; %bb.47:
	s_waitcnt vmcnt(0)
	v_lshlrev_b32_e32 v7, 1, v35
	v_cmp_gt_i32_e32 vcc, s43, v7
	v_mov_b32_e32 v6, 0
	v_lshlrev_b32_e32 v14, 9, v35
	v_mov_b32_e32 v2, 0
	v_mov_b32_e32 v3, 0
	;; [unrolled: 1-line block ×4, first 2 shown]
	s_and_saveexec_b64 s[0:1], vcc
	s_cbranch_execz .LBB719_49
; %bb.48:
	v_mov_b32_e32 v15, 0
	v_lshl_add_u64 v[2:3], s[4:5], 0, v[14:15]
	v_lshlrev_b32_e32 v4, 1, v18
	v_mov_b32_e32 v5, v15
	v_lshl_add_u64 v[2:3], v[2:3], 0, v[4:5]
	global_load_dwordx4 v[2:5], v[2:3], off
.LBB719_49:
	s_or_b64 exec, exec, s[0:1]
	v_or_b32_e32 v7, 1, v7
	v_cmp_gt_i32_e64 s[0:1], s43, v7
	v_lshlrev_b32_e32 v20, 8, v7
	v_mov_b32_e32 v7, 0
	v_mov_b32_e32 v8, 0
	;; [unrolled: 1-line block ×3, first 2 shown]
	s_and_saveexec_b64 s[2:3], s[0:1]
	s_cbranch_execz .LBB719_51
; %bb.50:
	v_mov_b32_e32 v21, 0
	v_lshl_add_u64 v[6:7], s[4:5], 0, v[20:21]
	v_lshlrev_b32_e32 v8, 1, v18
	v_mov_b32_e32 v9, v21
	v_lshl_add_u64 v[6:7], v[6:7], 0, v[8:9]
	global_load_dwordx4 v[6:9], v[6:7], off
.LBB719_51:
	s_or_b64 exec, exec, s[2:3]
	v_mov_b32_e32 v17, 0
	v_mov_b32_e32 v10, 0
	v_mov_b32_e32 v11, 0
	v_mov_b32_e32 v12, 0
	v_mov_b32_e32 v13, 0
	s_and_saveexec_b64 s[2:3], vcc
	s_cbranch_execz .LBB719_53
; %bb.52:
	v_mov_b32_e32 v15, 0
	v_lshl_add_u64 v[10:11], s[4:5], 0, v[14:15]
	v_lshlrev_b32_e32 v14, 1, v18
	v_lshl_add_u64 v[10:11], v[10:11], 0, v[14:15]
	global_load_dwordx4 v[10:13], v[10:11], off offset:128
.LBB719_53:
	s_or_b64 exec, exec, s[2:3]
	v_mov_b32_e32 v16, 0
	v_mov_b32_e32 v15, 0
	;; [unrolled: 1-line block ×3, first 2 shown]
	s_and_saveexec_b64 s[2:3], s[0:1]
	s_cbranch_execz .LBB719_55
; %bb.54:
	v_mov_b32_e32 v21, 0
	v_lshl_add_u64 v[14:15], s[4:5], 0, v[20:21]
	v_lshlrev_b32_e32 v20, 1, v18
	v_lshl_add_u64 v[14:15], v[14:15], 0, v[20:21]
	global_load_dwordx4 v[14:17], v[14:15], off offset:128
.LBB719_55:
	s_or_b64 exec, exec, s[2:3]
	s_branch .LBB719_58
.LBB719_56:
                                        ; implicit-def: $vgpr5
                                        ; implicit-def: $vgpr9
                                        ; implicit-def: $vgpr13
                                        ; implicit-def: $vgpr17
	s_cbranch_execz .LBB719_58
; %bb.57:
	s_waitcnt vmcnt(0)
	v_lshlrev_b32_e32 v2, 1, v18
	v_lshl_or_b32 v18, v35, 9, v2
	s_and_b32 s5, s5, 0xffff
	s_mov_b32 s7, 0x20000
	s_movk_i32 s6, 0x4000
	s_movk_i32 s0, 0x80
	buffer_load_dwordx4 v[2:5], v18, s[4:7], 0 offen
	buffer_load_dwordx4 v[6:9], v18, s[4:7], 0 offen offset:256
	buffer_load_dwordx4 v[10:13], v18, s[4:7], s0 offen
	buffer_load_dwordx4 v[14:17], v18, s[4:7], s0 offen offset:256
.LBB719_58:
	ds_read2st64_b64 v[22:25], v19 offset0:76 offset1:77
	ds_read2st64_b64 v[18:21], v19 offset0:78 offset1:79
	ds_read_b64 v[32:33], v26 offset:24576
	ds_read_b64 v[30:31], v27 offset:24576
	;; [unrolled: 1-line block ×4, first 2 shown]
	v_and_b32_e32 v36, 6, v0
	v_xor_b32_e32 v35, v35, v36
	v_lshlrev_b32_e32 v35, 2, v35
	v_and_b32_e32 v0, 1, v0
	v_xor_b32_e32 v38, 0x440, v35
	v_cmp_eq_u32_e32 vcc, 0, v0
	s_mov_b32 s0, 0x1000504
	s_mov_b32 s1, 0x3020706
	v_cndmask_b32_e32 v0, v38, v35, vcc
	v_lshl_or_b32 v0, v36, 10, v0
	s_waitcnt vmcnt(0)
	v_perm_b32 v35, v2, v6, s0
	v_perm_b32 v36, v10, v14, s0
	ds_write2st64_b32 v0, v35, v36 offset1:32
	v_xor_b32_e32 v35, 8, v0
	v_perm_b32 v2, v2, v6, s1
	v_perm_b32 v6, v10, v14, s1
	v_add_u32_e32 v10, 0x80, v35
	ds_write2st64_b32 v10, v2, v6 offset1:32
	v_xor_b32_e32 v2, 16, v0
	v_perm_b32 v6, v3, v7, s0
	v_perm_b32 v10, v11, v15, s0
	ds_write2st64_b32 v2, v6, v10 offset0:1 offset1:33
	v_xor_b32_e32 v2, 24, v0
	v_perm_b32 v3, v3, v7, s1
	v_perm_b32 v6, v11, v15, s1
	v_add_u32_e32 v2, 0x80, v2
	ds_write2st64_b32 v2, v3, v6 offset0:1 offset1:33
	v_xor_b32_e32 v2, 32, v0
	v_perm_b32 v3, v4, v8, s0
	v_perm_b32 v6, v12, v16, s0
	ds_write2st64_b32 v2, v3, v6 offset0:2 offset1:34
	v_xor_b32_e32 v2, 40, v0
	v_perm_b32 v3, v4, v8, s1
	v_perm_b32 v4, v12, v16, s1
	v_add_u32_e32 v2, 0x80, v2
	ds_write2st64_b32 v2, v3, v4 offset0:2 offset1:34
	v_xor_b32_e32 v2, 48, v0
	v_perm_b32 v3, v5, v9, s0
	v_perm_b32 v4, v13, v17, s0
	v_xor_b32_e32 v0, 56, v0
	v_and_or_b32 v8, v37, 12, v45
	ds_write2st64_b32 v2, v3, v4 offset0:3 offset1:35
	v_perm_b32 v2, v5, v9, s1
	v_perm_b32 v3, v13, v17, s1
	v_add_u32_e32 v0, 0x80, v0
	v_cmp_gt_i32_e32 vcc, s43, v8
	v_mov_b32_e32 v9, 0
	v_mov_b32_e32 v14, 0
	ds_write2st64_b32 v0, v2, v3 offset0:3 offset1:35
	s_and_saveexec_b64 s[0:1], vcc
	s_cbranch_execz .LBB719_60
; %bb.59:
	v_add_u32_e32 v0, s42, v8
	v_ashrrev_i32_e32 v2, 31, v0
	v_mul_lo_u32 v4, v2, s34
	v_mul_lo_u32 v5, v0, s35
	v_mad_u64_u32 v[2:3], s[2:3], v0, s34, 0
	v_add3_u32 v3, v3, v5, v4
	v_lshl_add_u64 v[2:3], v[2:3], 2, s[10:11]
	global_load_dword v0, v[2:3], off
	s_waitcnt vmcnt(0)
	v_sub_f32_e32 v0, s12, v0
	v_mul_f32_e32 v0, 0x3fb8aa3b, v0
	v_exp_f32_e32 v14, v0
.LBB719_60:
	s_or_b64 exec, exec, s[0:1]
	v_or_b32_e32 v12, 1, v8
	v_cmp_gt_i32_e64 s[2:3], s43, v12
	s_and_saveexec_b64 s[0:1], s[2:3]
	s_cbranch_execz .LBB719_62
; %bb.61:
	v_add_u32_e32 v0, s42, v12
	v_ashrrev_i32_e32 v2, 31, v0
	v_mul_lo_u32 v4, v2, s34
	v_mul_lo_u32 v5, v0, s35
	v_mad_u64_u32 v[2:3], s[4:5], v0, s34, 0
	v_add3_u32 v3, v3, v5, v4
	v_lshl_add_u64 v[2:3], v[2:3], 2, s[10:11]
	global_load_dword v0, v[2:3], off
	s_waitcnt vmcnt(0)
	v_sub_f32_e32 v0, s12, v0
	v_mul_f32_e32 v0, 0x3fb8aa3b, v0
	v_exp_f32_e32 v9, v0
.LBB719_62:
	s_or_b64 exec, exec, s[0:1]
	v_or_b32_e32 v11, 2, v8
	v_cmp_gt_i32_e64 s[0:1], s43, v11
	v_mov_b32_e32 v10, 0
	v_mov_b32_e32 v15, 0
	s_and_saveexec_b64 s[4:5], s[0:1]
	s_cbranch_execz .LBB719_64
; %bb.63:
	v_add_u32_e32 v0, s42, v11
	v_ashrrev_i32_e32 v2, 31, v0
	v_mul_lo_u32 v4, v2, s34
	v_mul_lo_u32 v5, v0, s35
	v_mad_u64_u32 v[2:3], s[6:7], v0, s34, 0
	v_add3_u32 v3, v3, v5, v4
	v_lshl_add_u64 v[2:3], v[2:3], 2, s[10:11]
	global_load_dword v0, v[2:3], off
	s_waitcnt vmcnt(0)
	v_sub_f32_e32 v0, s12, v0
	v_mul_f32_e32 v0, 0x3fb8aa3b, v0
	v_exp_f32_e32 v15, v0
.LBB719_64:
	s_or_b64 exec, exec, s[4:5]
	v_or_b32_e32 v13, 3, v8
	v_cmp_gt_i32_e64 s[4:5], s43, v13
	s_and_saveexec_b64 s[6:7], s[4:5]
	s_cbranch_execz .LBB719_66
; %bb.65:
	v_add_u32_e32 v0, s42, v13
	v_ashrrev_i32_e32 v2, 31, v0
	v_mul_lo_u32 v4, v2, s34
	v_mul_lo_u32 v5, v0, s35
	v_mad_u64_u32 v[2:3], s[16:17], v0, s34, 0
	v_add3_u32 v3, v3, v5, v4
	v_lshl_add_u64 v[2:3], v[2:3], 2, s[10:11]
	global_load_dword v0, v[2:3], off
	s_waitcnt vmcnt(0)
	v_sub_f32_e32 v0, s12, v0
	v_mul_f32_e32 v0, 0x3fb8aa3b, v0
	v_exp_f32_e32 v10, v0
.LBB719_66:
	s_or_b64 exec, exec, s[6:7]
	s_waitcnt lgkmcnt(11)
	v_mfma_f32_16x16x16_bf16 a[0:3], v[32:33], v[22:23], a[0:3]
	v_or_b32_e32 v0, s36, v1
	s_add_u32 s6, s8, s28
	v_ashrrev_i32_e32 v1, 31, v0
	s_waitcnt lgkmcnt(10)
	v_mfma_f32_16x16x16_bf16 a[0:3], v[30:31], v[24:25], a[0:3]
	s_addc_u32 s7, s9, s29
	v_lshlrev_b64 v[0:1], 1, v[0:1]
	v_lshl_add_u64 v[4:5], s[6:7], 0, v[0:1]
	s_waitcnt lgkmcnt(9)
	v_mfma_f32_16x16x16_bf16 a[0:3], v[28:29], v[18:19], a[0:3]
	s_add_u32 s6, s14, s28
	s_addc_u32 s7, s15, s29
	v_lshl_add_u64 v[6:7], s[6:7], 0, v[0:1]
	s_waitcnt lgkmcnt(8)
	v_mfma_f32_16x16x16_bf16 a[0:3], v[26:27], v[20:21], a[0:3]
	v_mov_b32_e32 v16, 0
	v_mov_b32_e32 v17, 0
	s_nop 4
	v_accvgpr_read_b32 v0, a0
	v_accvgpr_read_b32 v1, a1
	;; [unrolled: 1-line block ×4, first 2 shown]
	s_and_saveexec_b64 s[6:7], vcc
	s_cbranch_execz .LBB719_68
; %bb.67:
	v_lshlrev_b32_e32 v18, 8, v8
	v_mov_b32_e32 v19, 0
	v_lshl_add_u64 v[20:21], v[4:5], 0, v[18:19]
	global_load_ushort v17, v[20:21], off
	v_lshl_add_u64 v[18:19], v[6:7], 0, v[18:19]
	s_waitcnt vmcnt(0)
	v_lshlrev_b32_e32 v17, 16, v17
	v_sub_f32_e32 v0, v17, v0
	global_store_short_d16_hi v[18:19], v0, off
	v_mul_f32_e32 v0, v14, v0
	v_lshrrev_b32_e32 v17, 16, v0
.LBB719_68:
	s_or_b64 exec, exec, s[6:7]
	s_and_saveexec_b64 s[6:7], s[2:3]
	s_cbranch_execz .LBB719_70
; %bb.69:
	v_lshlrev_b32_e32 v18, 8, v12
	v_mov_b32_e32 v19, 0
	v_lshl_add_u64 v[20:21], v[4:5], 0, v[18:19]
	global_load_ushort v0, v[20:21], off
	v_lshl_add_u64 v[18:19], v[6:7], 0, v[18:19]
	s_waitcnt vmcnt(0)
	v_lshlrev_b32_e32 v0, 16, v0
	v_sub_f32_e32 v0, v0, v1
	global_store_short_d16_hi v[18:19], v0, off
	v_mul_f32_e32 v0, v9, v0
	v_lshrrev_b32_e32 v16, 16, v0
.LBB719_70:
	s_or_b64 exec, exec, s[6:7]
	v_mov_b32_e32 v0, 0
	v_mov_b32_e32 v1, 0
	s_and_saveexec_b64 s[2:3], s[0:1]
	s_cbranch_execz .LBB719_72
; %bb.71:
	v_lshlrev_b32_e32 v18, 8, v11
	v_mov_b32_e32 v19, 0
	v_lshl_add_u64 v[20:21], v[4:5], 0, v[18:19]
	global_load_ushort v1, v[20:21], off
	v_lshl_add_u64 v[18:19], v[6:7], 0, v[18:19]
	s_waitcnt vmcnt(0)
	v_lshlrev_b32_e32 v1, 16, v1
	v_sub_f32_e32 v1, v1, v2
	global_store_short_d16_hi v[18:19], v1, off
	v_mul_f32_e32 v1, v15, v1
	v_lshrrev_b32_e32 v1, 16, v1
.LBB719_72:
	s_or_b64 exec, exec, s[2:3]
	s_and_saveexec_b64 s[0:1], s[4:5]
	s_cbranch_execz .LBB719_74
; %bb.73:
	v_lshlrev_b32_e32 v12, 8, v13
	v_mov_b32_e32 v13, 0
	v_lshl_add_u64 v[4:5], v[4:5], 0, v[12:13]
	global_load_ushort v0, v[4:5], off
	v_lshl_add_u64 v[4:5], v[6:7], 0, v[12:13]
	s_waitcnt vmcnt(0)
	v_lshlrev_b32_e32 v0, 16, v0
	v_sub_f32_e32 v0, v0, v3
	global_store_short_d16_hi v[4:5], v0, off
	v_mul_f32_e32 v0, v10, v0
	v_lshrrev_b32_e32 v0, 16, v0
.LBB719_74:
	s_or_b64 exec, exec, s[0:1]
	s_mov_b32 s0, 0x5040100
	v_lshlrev_b32_e32 v2, 1, v34
	v_perm_b32 v1, v0, v1, s0
	v_perm_b32 v0, v16, v17, s0
	v_lshl_or_b32 v2, v8, 5, v2
	ds_write_b64 v2, v[0:1] offset:38912
	s_waitcnt lgkmcnt(0)
	s_barrier
.LBB719_75:
	s_endpgm
	.section	.rodata,"a",@progbits
	.p2align	6, 0x0
	.amdhsa_kernel _ZN12_GLOBAL__N_139chunk_gated_delta_rule_fwd_h_hip_kernelILi16ELb0ELb0ELb1ELb0ELb0ELb1ELb1ELb0EEEvPK12hip_bfloat16S3_S3_PKfS5_PKvPS1_S8_PvPKiSB_iiiiilll
		.amdhsa_group_segment_fixed_size 40960
		.amdhsa_private_segment_fixed_size 0
		.amdhsa_kernarg_size 136
		.amdhsa_user_sgpr_count 2
		.amdhsa_user_sgpr_dispatch_ptr 0
		.amdhsa_user_sgpr_queue_ptr 0
		.amdhsa_user_sgpr_kernarg_segment_ptr 1
		.amdhsa_user_sgpr_dispatch_id 0
		.amdhsa_user_sgpr_kernarg_preload_length 0
		.amdhsa_user_sgpr_kernarg_preload_offset 0
		.amdhsa_user_sgpr_private_segment_size 0
		.amdhsa_uses_dynamic_stack 0
		.amdhsa_enable_private_segment 0
		.amdhsa_system_sgpr_workgroup_id_x 1
		.amdhsa_system_sgpr_workgroup_id_y 1
		.amdhsa_system_sgpr_workgroup_id_z 0
		.amdhsa_system_sgpr_workgroup_info 0
		.amdhsa_system_vgpr_workitem_id 0
		.amdhsa_next_free_vgpr 128
		.amdhsa_next_free_sgpr 68
		.amdhsa_accum_offset 116
		.amdhsa_reserve_vcc 1
		.amdhsa_float_round_mode_32 0
		.amdhsa_float_round_mode_16_64 0
		.amdhsa_float_denorm_mode_32 3
		.amdhsa_float_denorm_mode_16_64 3
		.amdhsa_dx10_clamp 1
		.amdhsa_ieee_mode 1
		.amdhsa_fp16_overflow 0
		.amdhsa_tg_split 0
		.amdhsa_exception_fp_ieee_invalid_op 0
		.amdhsa_exception_fp_denorm_src 0
		.amdhsa_exception_fp_ieee_div_zero 0
		.amdhsa_exception_fp_ieee_overflow 0
		.amdhsa_exception_fp_ieee_underflow 0
		.amdhsa_exception_fp_ieee_inexact 0
		.amdhsa_exception_int_div_zero 0
	.end_amdhsa_kernel
	.section	.text._ZN12_GLOBAL__N_139chunk_gated_delta_rule_fwd_h_hip_kernelILi16ELb0ELb0ELb1ELb0ELb0ELb1ELb1ELb0EEEvPK12hip_bfloat16S3_S3_PKfS5_PKvPS1_S8_PvPKiSB_iiiiilll,"axG",@progbits,_ZN12_GLOBAL__N_139chunk_gated_delta_rule_fwd_h_hip_kernelILi16ELb0ELb0ELb1ELb0ELb0ELb1ELb1ELb0EEEvPK12hip_bfloat16S3_S3_PKfS5_PKvPS1_S8_PvPKiSB_iiiiilll,comdat
.Lfunc_end719:
	.size	_ZN12_GLOBAL__N_139chunk_gated_delta_rule_fwd_h_hip_kernelILi16ELb0ELb0ELb1ELb0ELb0ELb1ELb1ELb0EEEvPK12hip_bfloat16S3_S3_PKfS5_PKvPS1_S8_PvPKiSB_iiiiilll, .Lfunc_end719-_ZN12_GLOBAL__N_139chunk_gated_delta_rule_fwd_h_hip_kernelILi16ELb0ELb0ELb1ELb0ELb0ELb1ELb1ELb0EEEvPK12hip_bfloat16S3_S3_PKfS5_PKvPS1_S8_PvPKiSB_iiiiilll
                                        ; -- End function
	.section	.AMDGPU.csdata,"",@progbits
; Kernel info:
; codeLenInByte = 7608
; NumSgprs: 74
; NumVgprs: 116
; NumAgprs: 12
; TotalNumVgprs: 128
; ScratchSize: 0
; MemoryBound: 0
; FloatMode: 240
; IeeeMode: 1
; LDSByteSize: 40960 bytes/workgroup (compile time only)
; SGPRBlocks: 9
; VGPRBlocks: 15
; NumSGPRsForWavesPerEU: 74
; NumVGPRsForWavesPerEU: 128
; AccumOffset: 116
; Occupancy: 1
; WaveLimiterHint : 1
; COMPUTE_PGM_RSRC2:SCRATCH_EN: 0
; COMPUTE_PGM_RSRC2:USER_SGPR: 2
; COMPUTE_PGM_RSRC2:TRAP_HANDLER: 0
; COMPUTE_PGM_RSRC2:TGID_X_EN: 1
; COMPUTE_PGM_RSRC2:TGID_Y_EN: 1
; COMPUTE_PGM_RSRC2:TGID_Z_EN: 0
; COMPUTE_PGM_RSRC2:TIDIG_COMP_CNT: 0
; COMPUTE_PGM_RSRC3_GFX90A:ACCUM_OFFSET: 28
; COMPUTE_PGM_RSRC3_GFX90A:TG_SPLIT: 0
	.section	.text._ZN12_GLOBAL__N_139chunk_gated_delta_rule_fwd_h_hip_kernelILi16ELb0ELb0ELb0ELb0ELb0ELb1ELb1ELb0EEEvPK12hip_bfloat16S3_S3_PKfS5_PKvPS1_S8_PvPKiSB_iiiiilll,"axG",@progbits,_ZN12_GLOBAL__N_139chunk_gated_delta_rule_fwd_h_hip_kernelILi16ELb0ELb0ELb0ELb0ELb0ELb1ELb1ELb0EEEvPK12hip_bfloat16S3_S3_PKfS5_PKvPS1_S8_PvPKiSB_iiiiilll,comdat
	.globl	_ZN12_GLOBAL__N_139chunk_gated_delta_rule_fwd_h_hip_kernelILi16ELb0ELb0ELb0ELb0ELb0ELb1ELb1ELb0EEEvPK12hip_bfloat16S3_S3_PKfS5_PKvPS1_S8_PvPKiSB_iiiiilll ; -- Begin function _ZN12_GLOBAL__N_139chunk_gated_delta_rule_fwd_h_hip_kernelILi16ELb0ELb0ELb0ELb0ELb0ELb1ELb1ELb0EEEvPK12hip_bfloat16S3_S3_PKfS5_PKvPS1_S8_PvPKiSB_iiiiilll
	.p2align	8
	.type	_ZN12_GLOBAL__N_139chunk_gated_delta_rule_fwd_h_hip_kernelILi16ELb0ELb0ELb0ELb0ELb0ELb1ELb1ELb0EEEvPK12hip_bfloat16S3_S3_PKfS5_PKvPS1_S8_PvPKiSB_iiiiilll,@function
_ZN12_GLOBAL__N_139chunk_gated_delta_rule_fwd_h_hip_kernelILi16ELb0ELb0ELb0ELb0ELb0ELb1ELb1ELb0EEEvPK12hip_bfloat16S3_S3_PKfS5_PKvPS1_S8_PvPKiSB_iiiiilll: ; @_ZN12_GLOBAL__N_139chunk_gated_delta_rule_fwd_h_hip_kernelILi16ELb0ELb0ELb0ELb0ELb0ELb1ELb1ELb0EEEvPK12hip_bfloat16S3_S3_PKfS5_PKvPS1_S8_PvPKiSB_iiiiilll
; %bb.0:
	s_load_dwordx4 s[12:15], s[0:1], 0x5c
	s_load_dwordx2 s[36:37], s[0:1], 0x30
	s_abs_i32 s18, s3
	s_ashr_i32 s17, s3, 31
	s_load_dwordx8 s[4:11], s[0:1], 0x0
	s_waitcnt lgkmcnt(0)
	s_abs_i32 s16, s13
	v_cvt_f32_u32_e32 v1, s16
	s_sub_i32 s20, 0, s16
	s_ashr_i32 s19, s13, 31
	s_xor_b32 s17, s17, s19
	v_rcp_iflag_f32_e32 v1, v1
	v_lshrrev_b32_e32 v59, 6, v0
	v_bfe_u32 v60, v0, 4, 2
	v_lshlrev_b32_e32 v45, 4, v59
	v_mul_f32_e32 v1, 0x4f7ffffe, v1
	v_cvt_u32_f32_e32 v1, v1
	v_lshlrev_b32_e32 v2, 2, v60
	v_and_b32_e32 v58, 63, v0
	v_or_b32_e32 v63, v2, v45
	v_readfirstlane_b32 s21, v1
	s_mul_i32 s20, s20, s21
	s_mul_hi_u32 s20, s21, s20
	s_add_i32 s21, s21, s20
	s_mul_hi_u32 s20, s18, s21
	s_mul_i32 s21, s20, s16
	s_sub_i32 s18, s18, s21
	s_add_i32 s22, s20, 1
	s_sub_i32 s21, s18, s16
	s_cmp_ge_u32 s18, s16
	s_cselect_b32 s20, s22, s20
	s_cselect_b32 s18, s21, s18
	s_add_i32 s21, s20, 1
	s_cmp_ge_u32 s18, s16
	s_cselect_b32 s18, s21, s20
	s_abs_i32 s20, s14
	v_cvt_f32_u32_e32 v1, s20
	s_xor_b32 s18, s18, s17
	s_ashr_i32 s46, s12, 31
	s_sub_i32 s48, s18, s17
	v_rcp_iflag_f32_e32 v1, v1
	s_lshr_b32 s17, s46, 26
	s_add_i32 s17, s12, s17
	s_ashr_i32 s49, s14, 31
	v_mul_f32_e32 v1, 0x4f7ffffe, v1
	v_cvt_u32_f32_e32 v1, v1
	s_ashr_i32 s47, s17, 6
	s_xor_b32 s17, s19, s49
	s_sub_i32 s18, 0, s20
	v_readfirstlane_b32 s19, v1
	s_mul_i32 s18, s18, s19
	s_mul_hi_u32 s18, s19, s18
	s_add_i32 s19, s19, s18
	s_mul_hi_u32 s18, s16, s19
	s_mul_i32 s19, s18, s20
	s_mul_i32 s45, s48, s13
	s_sub_i32 s16, s16, s19
	s_sub_i32 s33, s3, s45
	s_add_i32 s3, s12, 63
	s_add_i32 s19, s18, 1
	s_sub_i32 s21, s16, s20
	s_cmp_ge_u32 s16, s20
	s_cselect_b32 s18, s19, s18
	s_cselect_b32 s16, s21, s16
	s_add_i32 s19, s18, 1
	s_cmp_ge_u32 s16, s20
	s_cselect_b32 s16, s19, s18
	s_xor_b32 s16, s16, s17
	s_sub_i32 s20, s16, s17
	s_abs_i32 s21, s20
	v_cvt_f32_u32_e32 v1, s21
	s_sub_i32 s23, 0, s21
	s_abs_i32 s22, s33
	s_xor_b32 s20, s33, s20
	v_rcp_iflag_f32_e32 v1, v1
	s_ashr_i32 s20, s20, 31
	s_load_dwordx2 s[28:29], s[0:1], 0x80
	s_load_dwordx4 s[16:19], s[0:1], 0x70
	v_mov_b32_e32 v49, 0
	v_mul_f32_e32 v1, 0x4f7ffffe, v1
	v_cvt_u32_f32_e32 v1, v1
	v_or_b32_e32 v64, 64, v63
	s_mul_hi_i32 s51, s48, s13
	v_lshrrev_b32_e32 v62, 3, v58
	v_readfirstlane_b32 s24, v1
	s_mul_i32 s23, s23, s24
	s_mul_hi_u32 s23, s24, s23
	s_add_i32 s24, s24, s23
	s_mul_hi_u32 s23, s22, s24
	s_mul_i32 s24, s23, s21
	s_sub_i32 s22, s22, s24
	s_add_i32 s24, s23, 1
	s_sub_i32 s25, s22, s21
	s_cmp_ge_u32 s22, s21
	s_cselect_b32 s23, s24, s23
	s_cselect_b32 s22, s25, s22
	s_add_i32 s24, s23, 1
	s_cmp_ge_u32 s22, s21
	s_cselect_b32 s21, s24, s23
	s_xor_b32 s21, s21, s20
	s_sub_i32 s52, s21, s20
	s_ashr_i32 s20, s3, 31
	s_lshr_b32 s20, s20, 26
	s_add_i32 s3, s3, s20
	s_ashr_i32 s3, s3, 6
	s_lshl_b32 s30, s2, 4
	s_mul_i32 s50, s48, s3
	v_and_b32_e32 v1, 15, v0
	s_cmp_lt_i32 s12, 64
	v_lshlrev_b32_e32 v61, 3, v0
	s_waitcnt lgkmcnt(0)
	s_mul_i32 s17, s48, s17
	s_mul_hi_u32 s44, s48, s16
	s_mul_i32 s34, s48, s16
	v_mov_b32_e32 v48, v49
	v_mov_b32_e32 v51, v49
	;; [unrolled: 1-line block ×7, first 2 shown]
	s_cbranch_scc1 .LBB720_18
; %bb.1:
	s_ashr_i32 s24, s48, 31
	s_ashr_i32 s54, s33, 31
	s_add_u32 s2, s45, s33
	s_addc_u32 s3, s51, s54
	s_mul_i32 s3, s12, s3
	s_mul_hi_u32 s20, s12, s2
	s_add_i32 s39, s20, s3
	s_mul_i32 s38, s12, s2
	s_lshl_b64 s[2:3], s[38:39], 8
	v_and_b32_e32 v66, 56, v61
	s_add_u32 s20, s6, s2
	v_lshl_or_b32 v65, v59, 3, v62
	v_lshlrev_b32_e32 v3, 1, v66
	s_addc_u32 s2, s7, s3
	v_lshl_or_b32 v67, v65, 8, v3
	s_and_b32 s21, s2, 0xffff
	s_mov_b32 s23, 0x20000
	s_movk_i32 s22, 0x4000
	s_movk_i32 s2, 0x80
	v_or_b32_e32 v68, 0x2000, v67
	buffer_load_dwordx4 v[4:7], v67, s[20:23], 0 offen
	buffer_load_dwordx4 v[8:11], v67, s[20:23], s2 offen
	;; [unrolled: 1-line block ×4, first 2 shown]
	v_lshlrev_b32_e32 v20, 3, v65
	v_and_or_b32 v22, v0, 7, v20
	v_and_b32_e32 v20, 0x78, v20
	v_lshlrev_b32_e32 v22, 4, v22
	v_xor_b32_e32 v69, v22, v20
	v_mul_lo_u32 v21, v65, s15
	v_or_b32_e32 v70, 0x1000, v69
	s_cmpk_eq_i32 s15, 0x80
	s_mov_b32 s53, s14
	v_xor_b32_e32 v20, 8, v69
	v_xor_b32_e32 v22, 8, v70
	s_cselect_b64 s[2:3], -1, 0
	s_cmpk_lg_i32 s15, 0x80
	s_waitcnt vmcnt(3)
	ds_write_b64 v69, v[4:5] offset:16384
	ds_write_b64 v20, v[6:7] offset:16384
	s_waitcnt vmcnt(2)
	ds_write_b64 v69, v[8:9] offset:24576
	ds_write_b64 v20, v[10:11] offset:24576
	;; [unrolled: 3-line block ×4, first 2 shown]
	v_lshl_add_u32 v4, v21, 1, v66
	s_cbranch_scc0 .LBB720_3
; %bb.2:
	v_lshlrev_b32_e32 v6, 1, v4
	v_add_lshl_u32 v5, v4, s15, 1
	s_lshl_b32 s22, s15, 7
	s_load_dwordx2 s[40:41], s[0:1], 0x20
	v_lshl_or_b32 v3, v65, 9, v3
	s_cbranch_execz .LBB720_4
	s_branch .LBB720_5
.LBB720_3:
                                        ; implicit-def: $vgpr5
                                        ; implicit-def: $vgpr6
                                        ; implicit-def: $sgpr22
	s_load_dwordx2 s[40:41], s[0:1], 0x20
	v_lshl_or_b32 v3, v65, 9, v3
.LBB720_4:
	v_or_b32_e32 v5, 0x100, v3
	s_movk_i32 s22, 0x4000
	v_mov_b32_e32 v6, v3
.LBB720_5:
	s_mul_hi_u32 s0, s14, s12
	s_mul_i32 s1, s49, s12
	s_add_i32 s0, s0, s1
	s_mul_i32 s1, s14, s12
	s_mul_i32 s20, s1, s24
	s_mul_hi_u32 s21, s1, s48
	s_add_i32 s20, s21, s20
	s_mul_i32 s0, s0, s48
	s_add_i32 s20, s20, s0
	s_mul_i32 s1, s1, s48
	s_ashr_i32 s55, s52, 31
	s_add_u32 s0, s1, s52
	s_addc_u32 s1, s20, s55
	s_lshl_b64 s[0:1], s[0:1], 8
	s_add_u32 s20, s4, s0
	s_addc_u32 s0, s5, s1
	s_and_b32 s21, s0, 0xffff
	s_movk_i32 s56, 0x80
	buffer_load_dwordx4 v[8:11], v6, s[20:23], 0 offen
	buffer_load_dwordx4 v[12:15], v6, s[20:23], s56 offen
	;; [unrolled: 1-line block ×4, first 2 shown]
	v_and_b32_e32 v5, 6, v0
	s_mul_i32 s0, s24, s12
	s_mul_hi_u32 s1, s48, s12
	v_lshlrev_b32_e32 v7, 2, v1
	v_lshlrev_b32_e32 v24, 3, v1
	v_xor_b32_e32 v26, v65, v5
	v_and_b32_e32 v6, 1, v0
	s_mul_i32 s24, s24, s16
	v_lshl_or_b32 v24, v63, 5, v24
	v_xor_b32_e32 v27, v63, v7
	v_lshlrev_b32_e32 v26, 2, v26
	s_add_i32 s61, s1, s0
	s_add_i32 s0, s44, s17
	v_or_b32_e32 v71, 0x9000, v24
	v_or_b32_e32 v72, 0x9800, v24
	v_lshlrev_b32_e32 v24, 1, v27
	v_xor_b32_e32 v27, 0x440, v26
	v_cmp_eq_u32_e32 vcc, 0, v6
	s_add_i32 s35, s0, s24
	s_mul_i32 s0, s33, s19
	s_mul_hi_u32 s1, s33, s18
	v_cndmask_b32_e32 v6, v27, v26, vcc
	s_add_i32 s0, s1, s0
	s_mul_i32 s1, s54, s18
	s_mov_b32 s59, 0x1000504
	v_lshlrev_b32_e32 v25, 8, v1
	s_mov_b32 s22, 0x8000
	v_xor_b32_e32 v7, v64, v7
	v_lshl_or_b32 v5, v5, 10, v6
	s_add_i32 s1, s0, s1
	s_lshl_b64 s[20:21], s[34:35], 2
	s_mov_b32 s60, 0x3020706
	v_lshlrev_b32_e32 v7, 1, v7
	v_or3_b32 v73, v24, v25, s22
	v_xor_b32_e32 v6, 8, v5
	v_xor_b32_e32 v24, 24, v5
	;; [unrolled: 1-line block ×4, first 2 shown]
	s_mul_i32 s0, s33, s18
	s_add_u32 s20, s10, s20
	v_or3_b32 v74, v7, v25, s22
	v_xor_b32_e32 v7, 16, v5
	v_xor_b32_e32 v25, 32, v5
	;; [unrolled: 1-line block ×3, first 2 shown]
	v_add_u32_e32 v6, 0x80, v6
	v_add_u32_e32 v24, 0x80, v24
	;; [unrolled: 1-line block ×4, first 2 shown]
	s_addc_u32 s21, s11, s21
	s_lshl_b64 s[0:1], s[0:1], 2
	s_add_u32 s42, s20, s0
	s_movk_i32 s0, 0xf8
	s_addc_u32 s43, s21, s1
	s_ashr_i32 s31, s30, 31
	s_lshl_b32 s26, s15, 7
	v_mov_b32_e32 v47, 0
	s_mul_i32 s57, s48, s12
	s_mov_b32 s58, 0
	v_add_u32_e32 v85, v45, v2
	s_mov_b32 s35, 0x7060302
	v_mov_b32_e32 v96, 0x3fb8aa3b
	s_mov_b32 s63, 0
	v_mov_b32_e32 v52, v47
	v_mov_b32_e32 v53, v47
	;; [unrolled: 1-line block ×6, first 2 shown]
	s_waitcnt vmcnt(1)
	v_perm_b32 v29, v8, v16, s59
	s_waitcnt vmcnt(0)
	v_perm_b32 v30, v12, v20, s59
	v_perm_b32 v8, v8, v16, s60
	;; [unrolled: 1-line block ×15, first 2 shown]
	ds_write2st64_b32 v5, v29, v30 offset1:32
	ds_write2st64_b32 v6, v8, v12 offset1:32
	ds_write2st64_b32 v7, v16, v20 offset0:1 offset1:33
	ds_write2st64_b32 v24, v9, v13 offset0:1 offset1:33
	;; [unrolled: 1-line block ×6, first 2 shown]
	v_or_b32_e32 v5, v45, v1
	v_lshlrev_b32_e32 v5, 3, v5
	v_lshrrev_b32_e32 v7, 5, v58
	v_and_or_b32 v7, v5, s0, v7
	v_lshlrev_b32_e32 v7, 4, v7
	v_lshrrev_b32_e32 v6, 2, v58
	v_lshlrev_b32_e32 v9, 11, v59
	v_and_b32_e32 v5, 0x78, v5
	v_or_b32_e32 v12, 32, v7
	v_and_b32_e32 v8, 12, v6
	v_and_b32_e32 v6, 0x1000, v9
	v_lshrrev_b32_e32 v11, 1, v58
	v_xor_b32_e32 v12, v12, v5
	v_and_b32_e32 v11, 8, v11
	v_or_b32_e32 v12, v12, v6
	v_xor_b32_e32 v10, v7, v5
	v_xor_b32_e32 v77, v12, v11
	v_or_b32_e32 v12, 64, v7
	v_or_b32_e32 v7, 0x60, v7
	;; [unrolled: 1-line block ×3, first 2 shown]
	v_xor_b32_e32 v12, v12, v5
	v_xor_b32_e32 v5, v7, v5
	;; [unrolled: 1-line block ×3, first 2 shown]
	v_and_b32_e32 v10, 0x78, v61
	v_or_b32_e32 v5, v5, v6
	v_lshl_or_b32 v10, v60, 7, v10
	v_or_b32_e32 v12, v12, v6
	v_xor_b32_e32 v79, v5, v11
	v_lshlrev_b32_e32 v5, 1, v1
	v_or_b32_e32 v76, 0x9000, v10
	v_xor_b32_e32 v78, v12, v11
	v_or_b32_e32 v80, 0x9800, v10
	v_lshlrev_b32_e32 v10, 1, v4
	v_add_lshl_u32 v11, v4, s15, 1
	v_lshrrev_b32_e32 v4, 4, v0
	s_lshl_b64 s[0:1], s[30:31], 8
	v_or_b32_e32 v13, 1, v5
	s_add_u32 s0, s36, s0
	v_xor_b32_e32 v5, v4, v5
	v_xor_b32_e32 v13, v13, v4
	s_addc_u32 s1, s37, s1
	v_lshlrev_b32_e32 v5, 3, v5
	v_lshlrev_b32_e32 v46, 8, v4
	;; [unrolled: 1-line block ×3, first 2 shown]
	v_lshrrev_b32_e32 v17, 1, v0
	v_or3_b32 v81, v5, v46, s22
	v_or3_b32 v82, v4, v46, s22
	v_lshl_add_u64 v[4:5], s[0:1], 0, v[46:47]
	v_lshlrev_b32_e32 v46, 4, v1
	s_movk_i32 s0, 0xff
	v_lshlrev_b32_e32 v16, 3, v59
	v_and_b32_e32 v17, 24, v17
	v_lshl_add_u64 v[54:55], v[4:5], 0, v[46:47]
	v_and_b32_e32 v5, 8, v0
	v_cmp_lt_u32_e32 vcc, s0, v0
	v_xor_b32_e32 v18, v16, v17
	v_or_b32_e32 v19, 0x440, v18
	v_cndmask_b32_e64 v15, 0, 1, vcc
	v_cmp_eq_u32_e32 vcc, 0, v5
	v_or_b32_e32 v21, 64, v17
	v_xor_b32_e32 v21, v16, v21
	v_cndmask_b32_e32 v5, v19, v18, vcc
	v_or_b32_e32 v19, 32, v17
	v_or_b32_e32 v17, 0x60, v17
	v_xor_b32_e32 v19, v16, v19
	v_xor_b32_e32 v16, v16, v17
	v_or_b32_e32 v20, 0x440, v19
	v_xor_b32_e32 v22, 0x440, v21
	v_xor_b32_e32 v17, 0x440, v16
	v_and_b32_e32 v4, 7, v0
	v_cndmask_b32_e32 v19, v20, v19, vcc
	v_cndmask_b32_e32 v21, v22, v21, vcc
	;; [unrolled: 1-line block ×3, first 2 shown]
	v_or_b32_e32 v6, s30, v1
	v_lshlrev_b32_e32 v13, 3, v4
	v_or_b32_e32 v5, v5, v9
	v_or_b32_e32 v19, v19, v9
	;; [unrolled: 1-line block ×4, first 2 shown]
	v_ashrrev_i32_e32 v7, 31, v6
	v_lshlrev_b32_e32 v15, 13, v15
	v_xor_b32_e32 v5, v5, v13
	v_xor_b32_e32 v19, v19, v13
	v_xor_b32_e32 v21, v21, v13
	v_xor_b32_e32 v9, v9, v13
	v_lshl_add_u64 v[6:7], v[6:7], 1, s[8:9]
	v_or_b32_e32 v12, 0x100, v3
	v_lshlrev_b32_e32 v14, 7, v4
	v_or_b32_e32 v4, v8, v45
	v_add_u32_e32 v18, v15, v5
	v_add_u32_e32 v20, v15, v19
	;; [unrolled: 1-line block ×4, first 2 shown]
	v_or3_b32 v8, v45, v8, 64
	v_add_u32_e32 v5, 0x2000, v5
	v_add_u32_e32 v15, 0x2000, v19
	v_add_u32_e32 v16, 0x2000, v21
	v_add_u32_e32 v9, 0x2000, v9
	v_lshlrev_b32_e32 v46, 8, v63
	v_cndmask_b32_e64 v83, v10, v3, s[2:3]
	v_cndmask_b32_e64 v84, v11, v12, s[2:3]
	v_lshl_add_u64 v[56:57], v[6:7], 0, v[46:47]
	s_add_i32 s31, s57, 63
	s_movk_i32 s22, 0x4000
	v_lshlrev_b32_e32 v86, 2, v4
	v_add_u32_e32 v87, v18, v14
	v_add_u32_e32 v88, v20, v14
	;; [unrolled: 1-line block ×4, first 2 shown]
	v_lshlrev_b32_e32 v91, 2, v8
	v_add_u32_e32 v92, v5, v14
	v_add_u32_e32 v93, v15, v14
	;; [unrolled: 1-line block ×4, first 2 shown]
	v_mov_b32_e32 v46, v47
	s_waitcnt lgkmcnt(0)
	s_barrier
.LBB720_6:                              ; =>This Inner Loop Header: Depth=1
	s_add_i32 s62, s63, 1
	s_cmp_lt_i32 s62, s47
	s_mov_b64 s[24:25], 0
	s_cselect_b64 s[2:3], -1, 0
	s_cmp_ge_i32 s62, s47
	s_mov_b64 s[20:21], 0
	s_cbranch_scc1 .LBB720_8
; %bb.7:                                ;   in Loop: Header=BB720_6 Depth=1
	s_add_i32 s0, s58, 64
	s_add_u32 s0, s38, s0
	s_addc_u32 s1, s39, 0
	s_lshl_b64 s[0:1], s[0:1], 8
	s_add_u32 s20, s6, s0
	s_addc_u32 s21, s7, s1
.LBB720_8:                              ;   in Loop: Header=BB720_6 Depth=1
	v_cndmask_b32_e64 v2, 0, 1, s[2:3]
	v_cmp_ne_u32_e64 s[0:1], 1, v2
	s_andn2_b64 vcc, exec, s[2:3]
	s_cbranch_vccnz .LBB720_10
; %bb.9:                                ;   in Loop: Header=BB720_6 Depth=1
	s_add_i32 s2, s58, 64
	s_add_u32 s2, s57, s2
	s_addc_u32 s3, s61, 0
	s_mul_i32 s24, s2, s49
	s_mul_hi_u32 s25, s2, s53
	s_add_i32 s24, s25, s24
	s_mul_i32 s3, s3, s53
	s_add_i32 s24, s24, s3
	s_mul_i32 s2, s2, s53
	s_add_u32 s2, s2, s52
	s_addc_u32 s3, s24, s55
	s_lshl_b64 s[2:3], s[2:3], 8
	s_add_u32 s24, s4, s2
	s_addc_u32 s25, s5, s3
.LBB720_10:                             ;   in Loop: Header=BB720_6 Depth=1
	v_perm_b32 v3, v53, v52, s35
	v_perm_b32 v2, v47, v46, s35
	;; [unrolled: 1-line block ×4, first 2 shown]
	ds_write_b64 v71, v[2:3]
	ds_write_b64 v72, v[4:5]
	ds_write_b64 v73, v[2:3]
	ds_write_b64 v74, v[4:5]
	s_waitcnt lgkmcnt(0)
	s_barrier
	ds_read_b64 v[10:11], v75 offset:16384
	ds_read_b64 v[12:13], v77 offset:16384
	ds_read2st64_b64 v[2:5], v76 offset1:1
	ds_read2st64_b64 v[6:9], v76 offset0:2 offset1:3
	ds_read_b64 v[14:15], v78 offset:16384
	s_waitcnt lgkmcnt(2)
	v_mfma_f32_16x16x16_bf16 a[0:3], v[10:11], v[2:3], 0
	ds_read_b64 v[2:3], v79 offset:16384
	s_add_i32 s2, s58, 63
	s_mul_i32 s3, s2, s29
	v_mfma_f32_16x16x16_bf16 a[0:3], v[12:13], v[4:5], a[0:3]
	s_mul_hi_u32 s27, s2, s28
	s_add_i32 s3, s27, s3
	s_mul_i32 s2, s2, s28
	s_waitcnt lgkmcnt(1)
	v_mfma_f32_16x16x16_bf16 a[0:3], v[14:15], v[6:7], a[0:3]
	s_lshl_b64 s[2:3], s[2:3], 2
	s_add_u32 s2, s42, s2
	s_addc_u32 s3, s43, s3
	s_waitcnt lgkmcnt(0)
	v_mfma_f32_16x16x16_bf16 a[0:3], v[2:3], v[8:9], a[0:3]
	s_and_b64 vcc, exec, s[0:1]
	v_mov_b32_e32 v99, 0
	v_mov_b32_e32 v98, 0
	;; [unrolled: 1-line block ×19, first 2 shown]
	s_cbranch_vccnz .LBB720_12
; %bb.11:                               ;   in Loop: Header=BB720_6 Depth=1
	s_and_b32 s21, s21, 0xffff
	buffer_load_dwordx4 v[14:17], v67, s[20:23], 0 offen
	buffer_load_dwordx4 v[10:13], v67, s[20:23], s56 offen
	;; [unrolled: 1-line block ×4, first 2 shown]
	v_mov_b32_e32 v98, v69
	v_mov_b32_e32 v97, v70
.LBB720_12:                             ;   in Loop: Header=BB720_6 Depth=1
	v_add_u32_e32 v24, s58, v85
	v_ashrrev_i32_e32 v18, 31, v24
	v_mul_lo_u32 v20, v18, s28
	v_mul_lo_u32 v21, v24, s29
	v_mad_u64_u32 v[18:19], s[20:21], v24, s28, 0
	v_add3_u32 v19, v19, v21, v20
	v_add_u32_e32 v20, 1, v24
	v_ashrrev_i32_e32 v21, 31, v20
	v_mul_lo_u32 v22, v21, s28
	v_mul_lo_u32 v23, v20, s29
	v_mad_u64_u32 v[20:21], s[20:21], v20, s28, 0
	v_add3_u32 v21, v21, v23, v22
	v_add_u32_e32 v22, 2, v24
	v_ashrrev_i32_e32 v23, 31, v22
	v_mul_lo_u32 v25, v23, s28
	v_mul_lo_u32 v26, v22, s29
	v_mad_u64_u32 v[22:23], s[20:21], v22, s28, 0
	v_add_u32_e32 v24, 3, v24
	v_add3_u32 v23, v23, v26, v25
	v_ashrrev_i32_e32 v25, 31, v24
	v_mul_lo_u32 v28, v25, s28
	v_mul_lo_u32 v29, v24, s29
	v_mad_u64_u32 v[24:25], s[20:21], v24, s28, 0
	s_add_u32 s20, s38, s58
	s_addc_u32 s21, s39, 0
	s_lshl_b64 s[20:21], s[20:21], 8
	v_lshl_add_u64 v[18:19], v[18:19], 2, s[42:43]
	v_lshl_add_u64 v[20:21], v[20:21], 2, s[42:43]
	;; [unrolled: 1-line block ×3, first 2 shown]
	v_add3_u32 v25, v25, v29, v28
	v_lshl_add_u64 v[22:23], v[22:23], 2, s[42:43]
	global_load_ushort v38, v[26:27], off
	global_load_ushort v39, v[26:27], off offset:256
	global_load_ushort v40, v[26:27], off offset:512
	;; [unrolled: 1-line block ×3, first 2 shown]
	global_load_dword v42, v[18:19], off
	v_lshl_add_u64 v[18:19], v[24:25], 2, s[42:43]
	global_load_dword v43, v[20:21], off
	global_load_dword v44, v[22:23], off
	global_load_dword v101, v[18:19], off
	s_load_dword s2, s[2:3], 0x0
	ds_read2st64_b64 v[24:27], v80 offset1:1
	ds_read2st64_b64 v[28:31], v80 offset0:2 offset1:3
	ds_read_b64 v[22:23], v75 offset:24576
	ds_read_b64 v[32:33], v77 offset:24576
	;; [unrolled: 1-line block ×4, first 2 shown]
	s_waitcnt lgkmcnt(0)
	v_mfma_f32_16x16x16_bf16 a[0:3], v[22:23], v[24:25], a[0:3]
	v_mov_b32_e32 v100, 0
	v_mov_b32_e32 v18, 0
	v_mov_b32_e32 v19, 0
	v_mfma_f32_16x16x16_bf16 a[0:3], v[32:33], v[26:27], a[0:3]
	v_mov_b32_e32 v20, 0
	v_mov_b32_e32 v21, 0
	v_mov_b32_e32 v22, 0
	;; [unrolled: 4-line block ×4, first 2 shown]
	v_mov_b32_e32 v29, 0
	s_and_b64 vcc, exec, s[0:1]
	s_waitcnt vmcnt(7)
	v_lshlrev_b32_e32 v34, 16, v38
	s_waitcnt vmcnt(6)
	v_lshlrev_b32_e32 v35, 16, v39
	;; [unrolled: 2-line block ×4, first 2 shown]
	s_waitcnt vmcnt(3)
	v_sub_f32_e32 v38, s2, v42
	s_waitcnt vmcnt(2)
	v_sub_f32_e32 v39, s2, v43
	;; [unrolled: 2-line block ×4, first 2 shown]
	v_mul_f32_e32 v38, 0x3fb8aa3b, v38
	v_mul_f32_e32 v39, 0x3fb8aa3b, v39
	;; [unrolled: 1-line block ×4, first 2 shown]
	v_exp_f32_e32 v38, v38
	v_exp_f32_e32 v39, v39
	;; [unrolled: 1-line block ×4, first 2 shown]
	v_accvgpr_read_b32 v33, a1
	v_accvgpr_read_b32 v31, a3
	;; [unrolled: 1-line block ×4, first 2 shown]
	v_pk_add_f32 v[32:33], v[34:35], v[32:33] neg_lo:[0,1] neg_hi:[0,1]
	v_pk_add_f32 v[30:31], v[36:37], v[30:31] neg_lo:[0,1] neg_hi:[0,1]
	v_pk_mul_f32 v[32:33], v[38:39], v[32:33]
	v_pk_mul_f32 v[30:31], v[40:41], v[30:31]
	s_nop 0
	v_perm_b32 v31, v31, v30, s35
	v_perm_b32 v30, v33, v32, s35
	ds_write_b64 v72, v[30:31]
	v_mov_b32_e32 v30, 0
	v_mov_b32_e32 v31, 0
	;; [unrolled: 1-line block ×4, first 2 shown]
	s_cbranch_vccnz .LBB720_14
; %bb.13:                               ;   in Loop: Header=BB720_6 Depth=1
	s_and_b32 s25, s25, 0xffff
	s_mov_b32 s27, s23
	buffer_load_dwordx4 v[30:33], v83, s[24:27], 0 offen
	buffer_load_dwordx4 v[22:25], v83, s[24:27], s56 offen
	;; [unrolled: 1-line block ×4, first 2 shown]
	v_mov_b32_e32 v99, v66
	v_mov_b32_e32 v100, v65
.LBB720_14:                             ;   in Loop: Header=BB720_6 Depth=1
	s_waitcnt lgkmcnt(0)
	s_barrier
	ds_read_b64 v[34:35], v87
	ds_read_b64 v[40:41], v88
	ds_read2st64_b64 v[36:39], v80 offset1:1
	ds_read2st64_b64 v[102:105], v80 offset0:2 offset1:3
	ds_read_b64 v[42:43], v89
	ds_read_b64 v[110:111], v90
	s_add_i32 s3, s50, s63
	s_mul_hi_i32 s21, s3, s13
	s_mul_i32 s3, s3, s13
	s_waitcnt lgkmcnt(3)
	v_mfma_f32_16x16x16_bf16 a[0:3], v[34:35], v[36:37], 0
	ds_read_b64 v[34:35], v92
	s_add_u32 s20, s3, s33
	s_addc_u32 s21, s21, s54
	s_add_i32 s3, s31, s58
	v_mfma_f32_16x16x16_bf16 a[0:3], v[40:41], v[38:39], a[0:3]
	ds_read_b64 v[40:41], v93
	s_lshl_b64 s[20:21], s[20:21], 15
	s_mul_hi_i32 s25, s3, s13
	s_mul_i32 s3, s3, s13
	s_add_u32 s24, s3, s33
	s_addc_u32 s25, s25, s54
	s_lshl_b64 s[24:25], s[24:25], 9
	s_add_u32 s24, s40, s24
	s_waitcnt lgkmcnt(1)
	v_mfma_f32_16x16x16_bf16 a[4:7], v[34:35], v[36:37], 0
	s_addc_u32 s25, s41, s25
	s_and_b64 vcc, exec, s[0:1]
	v_mfma_f32_16x16x16_bf16 a[0:3], v[42:43], v[102:103], a[0:3]
	ds_read_b64 v[42:43], v94
	ds_read_b64 v[112:113], v95
	global_load_dwordx4 v[34:37], v91, s[24:25]
	s_waitcnt lgkmcnt(2)
	v_mfma_f32_16x16x16_bf16 a[4:7], v[40:41], v[38:39], a[4:7]
	global_load_dwordx4 v[38:41], v86, s[24:25]
	ds_read_b64 v[106:107], v81
	ds_read_b64 v[108:109], v82
	s_waitcnt lgkmcnt(3)
	v_mfma_f32_16x16x16_bf16 a[8:11], v[42:43], v[102:103], a[4:7]
	v_lshl_add_u64 v[42:43], v[54:55], 0, s[20:21]
	s_waitcnt lgkmcnt(0)
	global_store_dwordx4 v[42:43], v[106:109], off
	v_mfma_f32_16x16x16_bf16 a[4:7], v[110:111], v[104:105], a[0:3]
	s_waitcnt vmcnt(2)
	v_mov_b32_e32 v44, v37
	v_mfma_f32_16x16x16_bf16 a[0:3], v[112:113], v[104:105], a[8:11]
	v_mov_b32_e32 v43, v36
	v_mov_b32_e32 v42, v35
	s_cbranch_vccnz .LBB720_16
; %bb.15:                               ;   in Loop: Header=BB720_6 Depth=1
	v_lshrrev_b32_e32 v35, 3, v99
	v_and_b32_e32 v35, 6, v35
	v_xor_b32_e32 v36, v35, v100
	v_lshlrev_b32_e32 v36, 2, v36
	v_and_b32_e32 v37, 8, v99
	v_xor_b32_e32 v99, 0x440, v36
	v_cmp_eq_u32_e32 vcc, 0, v37
	v_perm_b32 v37, v22, v18, s59
	s_nop 0
	v_cndmask_b32_e32 v36, v99, v36, vcc
	v_lshl_or_b32 v35, v35, 10, v36
	v_perm_b32 v36, v30, v26, s59
	s_barrier
	ds_write2st64_b32 v35, v36, v37 offset1:32
	v_xor_b32_e32 v36, 8, v35
	v_perm_b32 v26, v30, v26, s60
	v_perm_b32 v18, v22, v18, s60
	v_add_u32_e32 v22, 0x80, v36
	ds_write2st64_b32 v22, v26, v18 offset1:32
	v_xor_b32_e32 v18, 16, v35
	v_perm_b32 v22, v31, v27, s59
	v_perm_b32 v26, v23, v19, s59
	ds_write2st64_b32 v18, v22, v26 offset0:1 offset1:33
	v_xor_b32_e32 v18, 24, v35
	v_perm_b32 v22, v31, v27, s60
	v_perm_b32 v19, v23, v19, s60
	v_add_u32_e32 v18, 0x80, v18
	ds_write2st64_b32 v18, v22, v19 offset0:1 offset1:33
	v_xor_b32_e32 v18, 32, v35
	v_perm_b32 v19, v32, v28, s59
	v_perm_b32 v22, v24, v20, s59
	ds_write2st64_b32 v18, v19, v22 offset0:2 offset1:34
	v_xor_b32_e32 v18, 40, v35
	v_perm_b32 v19, v32, v28, s60
	v_perm_b32 v20, v24, v20, s60
	v_add_u32_e32 v18, 0x80, v18
	ds_write2st64_b32 v18, v19, v20 offset0:2 offset1:34
	;; [unrolled: 9-line block ×3, first 2 shown]
	ds_write_b64 v98, v[14:15] offset:16384
	v_xor_b32_e32 v14, 8, v98
	ds_write_b64 v14, v[16:17] offset:16384
	ds_write_b64 v98, v[10:11] offset:24576
	;; [unrolled: 1-line block ×4, first 2 shown]
	v_xor_b32_e32 v6, 8, v97
	ds_write_b64 v6, v[8:9] offset:16384
	ds_write_b64 v97, v[2:3] offset:24576
	;; [unrolled: 1-line block ×3, first 2 shown]
.LBB720_16:                             ;   in Loop: Header=BB720_6 Depth=1
	v_mul_f32_e32 v6, s2, v96
	v_exp_f32_e32 v10, v6
	s_waitcnt vmcnt(1)
	v_mul_f32_e32 v6, 0x3fb8aa3b, v38
	v_exp_f32_e32 v12, v6
	v_mul_f32_e32 v6, 0x3fb8aa3b, v39
	v_exp_f32_e32 v13, v6
	;; [unrolled: 2-line block ×4, first 2 shown]
	v_accvgpr_read_b32 v2, a4
	v_accvgpr_read_b32 v3, a5
	v_pk_mul_f32 v[12:13], v[10:11], v[12:13] op_sel_hi:[0,1]
	v_pk_fma_f32 v[46:47], v[46:47], v[12:13], v[2:3]
	v_pk_mul_f32 v[2:3], v[10:11], v[14:15] op_sel_hi:[0,1]
	v_mul_f32_e32 v11, 0x3fb8aa3b, v34
	v_exp_f32_e32 v12, v11
	v_mul_f32_e32 v11, 0x3fb8aa3b, v42
	v_exp_f32_e32 v13, v11
	;; [unrolled: 2-line block ×4, first 2 shown]
	v_accvgpr_read_b32 v4, a6
	v_accvgpr_read_b32 v5, a7
	;; [unrolled: 1-line block ×5, first 2 shown]
	v_pk_fma_f32 v[52:53], v[52:53], v[2:3], v[4:5]
	v_pk_mul_f32 v[2:3], v[10:11], v[12:13] op_sel_hi:[0,1]
	v_accvgpr_read_b32 v8, a2
	v_pk_fma_f32 v[50:51], v[50:51], v[2:3], v[6:7]
	v_pk_mul_f32 v[2:3], v[10:11], v[14:15] op_sel_hi:[0,1]
	s_add_i32 s58, s58, 64
	s_cmp_eq_u32 s47, s62
	v_pk_fma_f32 v[48:49], v[48:49], v[2:3], v[8:9]
	s_cbranch_scc1 .LBB720_18
; %bb.17:                               ;   in Loop: Header=BB720_6 Depth=1
	s_mov_b32 s63, s62
	s_branch .LBB720_6
.LBB720_18:
	s_lshl_b32 s40, s47, 6
	s_sub_i32 s41, s12, s40
	s_cmp_gt_i32 s41, 0
	s_cbranch_scc0 .LBB720_75
; %bb.19:
	s_ashr_i32 s35, s48, 31
	s_ashr_i32 s2, s40, 31
	s_cmpk_lg_i32 s15, 0x80
	s_cselect_b64 s[26:27], -1, 0
	s_and_b64 vcc, exec, s[26:27]
	s_cbranch_vccz .LBB720_21
; %bb.20:
	s_mul_i32 s1, s48, s12
	s_mul_hi_i32 s0, s48, s12
	s_add_u32 s1, s1, s40
	s_addc_u32 s0, s0, s2
	s_mul_i32 s3, s1, s49
	s_mul_hi_u32 s20, s1, s14
	s_add_i32 s3, s20, s3
	s_mul_i32 s0, s0, s14
	s_add_i32 s3, s3, s0
	s_mul_i32 s1, s1, s14
	s_ashr_i32 s0, s52, 31
	s_add_u32 s38, s1, s52
	s_addc_u32 s39, s3, s0
	s_cbranch_execz .LBB720_22
	s_branch .LBB720_23
.LBB720_21:
                                        ; implicit-def: $sgpr38_sgpr39
.LBB720_22:
	s_mul_hi_i32 s0, s48, s14
	s_mul_i32 s48, s48, s14
	s_ashr_i32 s1, s52, 31
	s_add_u32 s3, s48, s52
	s_addc_u32 s0, s0, s1
	s_mul_i32 s1, s3, s46
	s_mul_hi_u32 s14, s3, s12
	s_add_i32 s1, s14, s1
	s_mul_i32 s0, s0, s12
	s_add_i32 s1, s1, s0
	s_mul_i32 s3, s3, s12
	s_add_u32 s38, s3, s40
	s_addc_u32 s39, s1, s2
.LBB720_23:
	s_add_i32 s3, s50, s47
	s_ashr_i32 s14, s33, 31
	s_add_u32 s0, s45, s33
	s_addc_u32 s1, s51, s14
	s_mul_i32 s20, s0, s46
	s_mul_hi_u32 s21, s0, s12
	s_add_i32 s20, s21, s20
	s_mul_i32 s1, s1, s12
	s_add_i32 s20, s20, s1
	s_mul_i32 s0, s0, s12
	s_add_u32 s0, s0, s40
	s_addc_u32 s1, s20, s2
	s_mov_b32 s2, 0x7060302
	v_lshlrev_b32_e32 v6, 3, v1
	s_lshl_b64 s[24:25], s[0:1], 8
	v_perm_b32 v3, v53, v52, s2
	v_perm_b32 v2, v47, v46, s2
	;; [unrolled: 1-line block ×4, first 2 shown]
	v_lshlrev_b32_e32 v34, 2, v1
	v_lshl_or_b32 v6, v63, 5, v6
	s_add_u32 s0, s6, s24
	ds_write2st64_b64 v6, v[2:3], v[4:5] offset0:72 offset1:76
	v_xor_b32_e32 v6, v63, v34
	v_lshlrev_b32_e32 v7, 8, v1
	s_addc_u32 s1, s7, s25
	v_lshl_or_b32 v6, v6, 1, v7
	s_mul_hi_i32 s6, s3, s13
	s_mul_i32 s3, s3, s13
	ds_write_b64 v6, v[2:3] offset:32768
	v_xor_b32_e32 v2, v64, v34
	s_add_u32 s2, s3, s33
	v_lshl_or_b32 v2, v2, 1, v7
	s_addc_u32 s3, s6, s14
	v_lshlrev_b32_e32 v3, 1, v1
	ds_write_b64 v2, v[4:5] offset:32768
	v_lshrrev_b32_e32 v2, 4, v0
	s_ashr_i32 s31, s30, 31
	s_lshl_b64 s[2:3], s[2:3], 15
	v_or_b32_e32 v4, 1, v3
	s_add_u32 s6, s36, s2
	v_xor_b32_e32 v3, v2, v3
	v_xor_b32_e32 v4, v4, v2
	v_lshlrev_b32_e32 v6, 8, v2
	s_addc_u32 s7, s37, s3
	s_lshl_b64 s[2:3], s[30:31], 8
	v_lshl_or_b32 v2, v3, 3, v6
	v_lshl_or_b32 v4, v4, 3, v6
	s_waitcnt lgkmcnt(0)
	s_barrier
	s_add_u32 s2, s6, s2
	ds_read_b64 v[2:3], v2 offset:32768
	ds_read_b64 v[4:5], v4 offset:32768
	s_addc_u32 s3, s7, s3
	v_mov_b32_e32 v7, 0
	s_cmp_lg_u32 s41, 64
	v_lshl_add_u64 v[8:9], s[2:3], 0, v[6:7]
	v_lshlrev_b32_e32 v6, 4, v1
	s_cselect_b64 s[6:7], -1, 0
	v_lshl_or_b32 v35, v59, 3, v62
	s_mov_b32 s20, 0
	v_lshl_add_u64 v[6:7], v[8:9], 0, v[6:7]
	v_or_b32_e32 v19, 32, v35
	v_and_b32_e32 v18, 56, v61
	s_and_b64 vcc, exec, s[6:7]
	s_waitcnt lgkmcnt(0)
	global_store_dwordx4 v[6:7], v[2:5], off
	s_cbranch_vccz .LBB720_29
; %bb.24:
	s_mov_b32 s21, s20
	s_mov_b32 s22, s20
	;; [unrolled: 1-line block ×3, first 2 shown]
	v_mov_b64_e32 v[6:7], s[20:21]
	v_mov_b64_e32 v[8:9], s[22:23]
	;; [unrolled: 1-line block ×3, first 2 shown]
	v_cmp_gt_i32_e32 vcc, s41, v35
	v_mov_b64_e32 v[4:5], v[8:9]
	s_and_saveexec_b64 s[2:3], vcc
	s_cbranch_execz .LBB720_26
; %bb.25:
	v_lshlrev_b32_e32 v2, 8, v35
	v_mov_b32_e32 v3, 0
	v_lshl_add_u64 v[4:5], s[0:1], 0, v[2:3]
	v_lshlrev_b32_e32 v2, 1, v18
	v_lshl_add_u64 v[10:11], v[4:5], 0, v[2:3]
	global_load_dwordx4 v[6:9], v[10:11], off
	global_load_dwordx4 v[2:5], v[10:11], off offset:128
.LBB720_26:
	s_or_b64 exec, exec, s[2:3]
	s_mov_b32 s21, s20
	s_mov_b32 s22, s20
	;; [unrolled: 1-line block ×3, first 2 shown]
	v_mov_b64_e32 v[14:15], s[20:21]
	v_mov_b64_e32 v[16:17], s[22:23]
	;; [unrolled: 1-line block ×3, first 2 shown]
	v_cmp_gt_i32_e32 vcc, s41, v19
	v_lshlrev_b32_e32 v20, 7, v19
	v_mov_b64_e32 v[12:13], v[16:17]
	s_and_saveexec_b64 s[2:3], vcc
	s_cbranch_execz .LBB720_28
; %bb.27:
	v_lshlrev_b32_e32 v10, 1, v20
	v_mov_b32_e32 v11, 0
	v_lshl_add_u64 v[12:13], s[0:1], 0, v[10:11]
	v_lshlrev_b32_e32 v10, 1, v18
	v_lshl_add_u64 v[22:23], v[12:13], 0, v[10:11]
	global_load_dwordx4 v[14:17], v[22:23], off
	global_load_dwordx4 v[10:13], v[22:23], off offset:128
.LBB720_28:
	s_or_b64 exec, exec, s[2:3]
	v_lshrrev_b32_e32 v21, 3, v18
	v_lshlrev_b32_e32 v22, 3, v35
	v_or_b32_e32 v21, v22, v21
	v_lshlrev_b32_e32 v21, 4, v21
	v_and_b32_e32 v22, 0x78, v22
	v_xor_b32_e32 v21, v21, v22
	s_branch .LBB720_31
.LBB720_29:
                                        ; implicit-def: $vgpr21
                                        ; implicit-def: $vgpr20
                                        ; implicit-def: $vgpr6_vgpr7_vgpr8_vgpr9
                                        ; implicit-def: $vgpr2_vgpr3_vgpr4_vgpr5
                                        ; implicit-def: $vgpr14_vgpr15_vgpr16_vgpr17
                                        ; implicit-def: $vgpr10_vgpr11_vgpr12_vgpr13
	s_cbranch_execz .LBB720_31
; %bb.30:
	s_waitcnt vmcnt(0)
	v_lshlrev_b32_e32 v2, 1, v18
	v_lshl_or_b32 v20, v35, 8, v2
	s_and_b32 s1, s1, 0xffff
	s_mov_b32 s3, 0x20000
	s_movk_i32 s2, 0x4000
	v_lshl_or_b32 v21, v19, 8, v2
	s_movk_i32 s13, 0x80
	buffer_load_dwordx4 v[6:9], v20, s[0:3], 0 offen
	buffer_load_dwordx4 v[2:5], v20, s[0:3], s13 offen
	;; [unrolled: 1-line block ×4, first 2 shown]
	v_lshrrev_b32_e32 v20, 3, v18
	v_lshlrev_b32_e32 v21, 3, v35
	v_or_b32_e32 v20, v21, v20
	v_lshlrev_b32_e32 v20, 4, v20
	v_and_b32_e32 v21, 0x78, v21
	v_xor_b32_e32 v21, v20, v21
	v_lshlrev_b32_e32 v20, 7, v19
.LBB720_31:
	s_lshl_b64 s[0:1], s[38:39], 8
	s_add_u32 s4, s4, s0
	s_movk_i32 s0, 0x1000
	v_and_or_b32 v19, v20, s0, v21
	s_waitcnt vmcnt(1)
	ds_write_b64 v21, v[6:7] offset:16384
	v_xor_b32_e32 v6, 8, v21
	s_addc_u32 s5, s5, s1
	ds_write_b64 v6, v[8:9] offset:16384
	s_waitcnt vmcnt(0)
	ds_write_b64 v21, v[2:3] offset:24576
	ds_write_b64 v6, v[4:5] offset:24576
	;; [unrolled: 1-line block ×3, first 2 shown]
	v_xor_b32_e32 v2, 8, v19
	s_add_i32 s0, s44, s17
	s_mul_i32 s35, s35, s16
	ds_write_b64 v2, v[16:17] offset:16384
	ds_write_b64 v19, v[10:11] offset:24576
	ds_write_b64 v2, v[12:13] offset:24576
	s_add_i32 s35, s0, s35
	s_mul_i32 s0, s33, s19
	s_mul_hi_u32 s1, s33, s18
	v_or_b32_e32 v2, v45, v1
	s_add_i32 s0, s1, s0
	s_mul_i32 s1, s14, s18
	v_lshlrev_b32_e32 v2, 3, v2
	v_lshrrev_b32_e32 v4, 5, v58
	s_movk_i32 s14, 0xf8
	v_and_or_b32 v4, v2, s14, v4
	v_lshlrev_b32_e32 v3, 11, v59
	v_lshlrev_b32_e32 v12, 4, v4
	v_and_b32_e32 v13, 0x78, v2
	v_and_b32_e32 v14, 0x1000, v3
	v_lshlrev_b32_e32 v3, 2, v0
	v_xor_b32_e32 v2, v12, v13
	v_lshrrev_b32_e32 v4, 1, v58
	v_and_b32_e32 v3, 60, v3
	v_or_b32_e32 v2, v2, v14
	v_and_b32_e32 v15, 8, v4
	v_xor_b32_e32 v26, v2, v15
	v_lshl_or_b32 v2, v60, 6, v3
	v_lshlrev_b32_e32 v19, 1, v2
	v_or_b32_e32 v2, 32, v12
	v_xor_b32_e32 v2, v2, v13
	s_waitcnt lgkmcnt(0)
	s_barrier
	ds_read_b64 v[10:11], v26 offset:16384
	v_or_b32_e32 v2, v2, v14
	v_xor_b32_e32 v27, v2, v15
	v_or_b32_e32 v2, 64, v12
	v_xor_b32_e32 v2, v2, v13
	v_or_b32_e32 v2, v2, v14
	v_or_b32_e32 v12, 0x60, v12
	v_xor_b32_e32 v28, v2, v15
	ds_read2st64_b64 v[2:5], v19 offset0:72 offset1:73
	ds_read2st64_b64 v[6:9], v19 offset0:74 offset1:75
	v_xor_b32_e32 v16, v12, v13
	ds_read_b64 v[12:13], v27 offset:16384
	s_waitcnt lgkmcnt(2)
	v_mfma_f32_16x16x16_bf16 a[0:3], v[10:11], v[2:3], 0
	s_add_i32 s2, s12, -1
	s_ashr_i32 s3, s2, 31
	s_mul_i32 s12, s2, s29
	s_mul_hi_u32 s13, s2, s28
	s_add_i32 s12, s13, s12
	s_mul_i32 s3, s3, s28
	v_or_b32_e32 v14, v16, v14
	s_add_i32 s1, s0, s1
	s_add_i32 s3, s12, s3
	s_lshl_b64 s[12:13], s[34:35], 2
	v_xor_b32_e32 v36, v14, v15
	ds_read_b64 v[14:15], v28 offset:16384
	ds_read_b64 v[16:17], v36 offset:16384
	s_waitcnt lgkmcnt(2)
	v_mfma_f32_16x16x16_bf16 a[0:3], v[12:13], v[4:5], a[0:3]
	s_mul_i32 s0, s33, s18
	s_add_u32 s10, s10, s12
	s_addc_u32 s11, s11, s13
	s_lshl_b64 s[0:1], s[0:1], 2
	s_mul_i32 s2, s2, s28
	s_add_u32 s10, s10, s0
	s_addc_u32 s11, s11, s1
	s_lshl_b64 s[0:1], s[2:3], 2
	s_waitcnt lgkmcnt(1)
	v_mfma_f32_16x16x16_bf16 a[0:3], v[14:15], v[6:7], a[0:3]
	s_add_u32 s0, s10, s0
	s_addc_u32 s1, s11, s1
	s_load_dword s12, s[0:1], 0x0
	s_waitcnt lgkmcnt(0)
	v_mfma_f32_16x16x16_bf16 a[0:3], v[16:17], v[8:9], a[0:3]
	s_and_b64 vcc, exec, s[26:27]
	s_cbranch_vccz .LBB720_42
; %bb.32:
	v_lshlrev_b32_e32 v20, 1, v35
	s_and_b64 vcc, exec, s[6:7]
	s_cbranch_vccz .LBB720_43
; %bb.33:
	v_cmp_gt_i32_e32 vcc, s41, v20
	v_mov_b32_e32 v6, 0
	v_mov_b32_e32 v2, 0
	;; [unrolled: 1-line block ×5, first 2 shown]
	s_and_saveexec_b64 s[0:1], vcc
	s_cbranch_execz .LBB720_35
; %bb.34:
	v_mad_i64_i32 v[2:3], s[2:3], s15, v20, 0
	v_lshl_add_u64 v[2:3], v[2:3], 1, s[4:5]
	v_lshlrev_b32_e32 v4, 1, v18
	v_mov_b32_e32 v5, 0
	v_lshl_add_u64 v[2:3], v[2:3], 0, v[4:5]
	global_load_dwordx4 v[2:5], v[2:3], off
.LBB720_35:
	s_or_b64 exec, exec, s[0:1]
	v_or_b32_e32 v21, 1, v20
	v_cmp_gt_i32_e64 s[0:1], s41, v21
	v_mov_b32_e32 v7, 0
	v_mov_b32_e32 v8, 0
	;; [unrolled: 1-line block ×3, first 2 shown]
	s_and_saveexec_b64 s[2:3], s[0:1]
	s_cbranch_execz .LBB720_37
; %bb.36:
	v_mad_i64_i32 v[6:7], s[16:17], s15, v21, 0
	v_lshl_add_u64 v[6:7], v[6:7], 1, s[4:5]
	v_lshlrev_b32_e32 v8, 1, v18
	v_mov_b32_e32 v9, 0
	v_lshl_add_u64 v[6:7], v[6:7], 0, v[8:9]
	global_load_dwordx4 v[6:9], v[6:7], off
.LBB720_37:
	s_or_b64 exec, exec, s[2:3]
	v_mov_b32_e32 v17, 0
	v_mov_b32_e32 v10, 0
	;; [unrolled: 1-line block ×5, first 2 shown]
	s_and_saveexec_b64 s[2:3], vcc
	s_cbranch_execz .LBB720_39
; %bb.38:
	v_mad_i64_i32 v[10:11], s[16:17], s15, v20, 0
	v_lshl_add_u64 v[10:11], v[10:11], 1, s[4:5]
	v_lshlrev_b32_e32 v12, 1, v18
	v_mov_b32_e32 v13, 0
	v_lshl_add_u64 v[10:11], v[10:11], 0, v[12:13]
	global_load_dwordx4 v[10:13], v[10:11], off offset:128
.LBB720_39:
	s_or_b64 exec, exec, s[2:3]
	v_mov_b32_e32 v16, 0
	v_mov_b32_e32 v15, 0
	;; [unrolled: 1-line block ×3, first 2 shown]
	s_and_saveexec_b64 s[2:3], s[0:1]
	s_cbranch_execz .LBB720_41
; %bb.40:
	v_mad_i64_i32 v[14:15], s[0:1], s15, v21, 0
	v_lshl_add_u64 v[14:15], v[14:15], 1, s[4:5]
	v_lshlrev_b32_e32 v16, 1, v18
	v_mov_b32_e32 v17, 0
	v_lshl_add_u64 v[14:15], v[14:15], 0, v[16:17]
	global_load_dwordx4 v[14:17], v[14:15], off offset:128
.LBB720_41:
	s_or_b64 exec, exec, s[2:3]
	s_branch .LBB720_45
.LBB720_42:
                                        ; implicit-def: $vgpr5
                                        ; implicit-def: $vgpr9
                                        ; implicit-def: $vgpr13
                                        ; implicit-def: $vgpr17
	v_lshrrev_b32_e32 v37, 2, v58
	s_branch .LBB720_46
.LBB720_43:
                                        ; implicit-def: $vgpr5
                                        ; implicit-def: $vgpr9
                                        ; implicit-def: $vgpr13
                                        ; implicit-def: $vgpr17
	s_cbranch_execz .LBB720_45
; %bb.44:
	s_waitcnt vmcnt(0)
	v_mad_u64_u32 v[2:3], s[0:1], v20, s15, v[18:19]
	v_lshlrev_b32_e32 v20, 1, v2
	s_lshl_b32 s2, s15, 7
	s_and_b32 s1, s5, 0xffff
	s_mov_b32 s3, 0x20000
	s_mov_b32 s0, s4
	v_add_lshl_u32 v21, v2, s15, 1
	s_movk_i32 s13, 0x80
	buffer_load_dwordx4 v[2:5], v20, s[0:3], 0 offen
	buffer_load_dwordx4 v[10:13], v20, s[0:3], s13 offen
	;; [unrolled: 1-line block ×4, first 2 shown]
.LBB720_45:
	v_lshrrev_b32_e32 v37, 2, v58
	s_cbranch_execnz .LBB720_58
.LBB720_46:
	s_and_b64 vcc, exec, s[6:7]
	s_cbranch_vccz .LBB720_56
; %bb.47:
	s_waitcnt vmcnt(0)
	v_lshlrev_b32_e32 v7, 1, v35
	v_cmp_gt_i32_e32 vcc, s41, v7
	v_mov_b32_e32 v6, 0
	v_lshlrev_b32_e32 v14, 9, v35
	v_mov_b32_e32 v2, 0
	v_mov_b32_e32 v3, 0
	;; [unrolled: 1-line block ×4, first 2 shown]
	s_and_saveexec_b64 s[0:1], vcc
	s_cbranch_execz .LBB720_49
; %bb.48:
	v_mov_b32_e32 v15, 0
	v_lshl_add_u64 v[2:3], s[4:5], 0, v[14:15]
	v_lshlrev_b32_e32 v4, 1, v18
	v_mov_b32_e32 v5, v15
	v_lshl_add_u64 v[2:3], v[2:3], 0, v[4:5]
	global_load_dwordx4 v[2:5], v[2:3], off
.LBB720_49:
	s_or_b64 exec, exec, s[0:1]
	v_or_b32_e32 v7, 1, v7
	v_cmp_gt_i32_e64 s[0:1], s41, v7
	v_lshlrev_b32_e32 v20, 8, v7
	v_mov_b32_e32 v7, 0
	v_mov_b32_e32 v8, 0
	;; [unrolled: 1-line block ×3, first 2 shown]
	s_and_saveexec_b64 s[2:3], s[0:1]
	s_cbranch_execz .LBB720_51
; %bb.50:
	v_mov_b32_e32 v21, 0
	v_lshl_add_u64 v[6:7], s[4:5], 0, v[20:21]
	v_lshlrev_b32_e32 v8, 1, v18
	v_mov_b32_e32 v9, v21
	v_lshl_add_u64 v[6:7], v[6:7], 0, v[8:9]
	global_load_dwordx4 v[6:9], v[6:7], off
.LBB720_51:
	s_or_b64 exec, exec, s[2:3]
	v_mov_b32_e32 v17, 0
	v_mov_b32_e32 v10, 0
	;; [unrolled: 1-line block ×5, first 2 shown]
	s_and_saveexec_b64 s[2:3], vcc
	s_cbranch_execz .LBB720_53
; %bb.52:
	v_mov_b32_e32 v15, 0
	v_lshl_add_u64 v[10:11], s[4:5], 0, v[14:15]
	v_lshlrev_b32_e32 v14, 1, v18
	v_lshl_add_u64 v[10:11], v[10:11], 0, v[14:15]
	global_load_dwordx4 v[10:13], v[10:11], off offset:128
.LBB720_53:
	s_or_b64 exec, exec, s[2:3]
	v_mov_b32_e32 v16, 0
	v_mov_b32_e32 v15, 0
	;; [unrolled: 1-line block ×3, first 2 shown]
	s_and_saveexec_b64 s[2:3], s[0:1]
	s_cbranch_execz .LBB720_55
; %bb.54:
	v_mov_b32_e32 v21, 0
	v_lshl_add_u64 v[14:15], s[4:5], 0, v[20:21]
	v_lshlrev_b32_e32 v20, 1, v18
	v_lshl_add_u64 v[14:15], v[14:15], 0, v[20:21]
	global_load_dwordx4 v[14:17], v[14:15], off offset:128
.LBB720_55:
	s_or_b64 exec, exec, s[2:3]
	s_branch .LBB720_58
.LBB720_56:
                                        ; implicit-def: $vgpr5
                                        ; implicit-def: $vgpr9
                                        ; implicit-def: $vgpr13
                                        ; implicit-def: $vgpr17
	s_cbranch_execz .LBB720_58
; %bb.57:
	s_waitcnt vmcnt(0)
	v_lshlrev_b32_e32 v2, 1, v18
	v_lshl_or_b32 v18, v35, 9, v2
	s_and_b32 s5, s5, 0xffff
	s_mov_b32 s7, 0x20000
	s_movk_i32 s6, 0x4000
	s_movk_i32 s0, 0x80
	buffer_load_dwordx4 v[2:5], v18, s[4:7], 0 offen
	buffer_load_dwordx4 v[6:9], v18, s[4:7], 0 offen offset:256
	buffer_load_dwordx4 v[10:13], v18, s[4:7], s0 offen
	buffer_load_dwordx4 v[14:17], v18, s[4:7], s0 offen offset:256
.LBB720_58:
	ds_read2st64_b64 v[22:25], v19 offset0:76 offset1:77
	ds_read2st64_b64 v[18:21], v19 offset0:78 offset1:79
	ds_read_b64 v[30:31], v26 offset:24576
	ds_read_b64 v[32:33], v27 offset:24576
	;; [unrolled: 1-line block ×4, first 2 shown]
	v_and_b32_e32 v36, 6, v0
	v_xor_b32_e32 v35, v35, v36
	v_lshlrev_b32_e32 v35, 2, v35
	v_and_b32_e32 v0, 1, v0
	v_xor_b32_e32 v38, 0x440, v35
	v_cmp_eq_u32_e32 vcc, 0, v0
	s_mov_b32 s0, 0x1000504
	s_mov_b32 s1, 0x3020706
	v_cndmask_b32_e32 v0, v38, v35, vcc
	v_lshl_or_b32 v0, v36, 10, v0
	s_waitcnt vmcnt(0)
	v_perm_b32 v35, v2, v6, s0
	v_perm_b32 v36, v10, v14, s0
	ds_write2st64_b32 v0, v35, v36 offset1:32
	v_xor_b32_e32 v35, 8, v0
	v_perm_b32 v2, v2, v6, s1
	v_perm_b32 v6, v10, v14, s1
	v_add_u32_e32 v10, 0x80, v35
	ds_write2st64_b32 v10, v2, v6 offset1:32
	v_xor_b32_e32 v2, 16, v0
	v_perm_b32 v6, v3, v7, s0
	v_perm_b32 v10, v11, v15, s0
	ds_write2st64_b32 v2, v6, v10 offset0:1 offset1:33
	v_xor_b32_e32 v2, 24, v0
	v_perm_b32 v3, v3, v7, s1
	v_perm_b32 v6, v11, v15, s1
	v_add_u32_e32 v2, 0x80, v2
	ds_write2st64_b32 v2, v3, v6 offset0:1 offset1:33
	v_xor_b32_e32 v2, 32, v0
	v_perm_b32 v3, v4, v8, s0
	v_perm_b32 v6, v12, v16, s0
	ds_write2st64_b32 v2, v3, v6 offset0:2 offset1:34
	v_xor_b32_e32 v2, 40, v0
	v_perm_b32 v3, v4, v8, s1
	v_perm_b32 v4, v12, v16, s1
	v_add_u32_e32 v2, 0x80, v2
	ds_write2st64_b32 v2, v3, v4 offset0:2 offset1:34
	v_xor_b32_e32 v2, 48, v0
	v_perm_b32 v3, v5, v9, s0
	v_perm_b32 v4, v13, v17, s0
	v_xor_b32_e32 v0, 56, v0
	v_and_or_b32 v6, v37, 12, v45
	ds_write2st64_b32 v2, v3, v4 offset0:3 offset1:35
	v_perm_b32 v2, v5, v9, s1
	v_perm_b32 v3, v13, v17, s1
	v_add_u32_e32 v0, 0x80, v0
	v_cmp_gt_i32_e32 vcc, s41, v6
	v_mov_b32_e32 v7, 0
	v_mov_b32_e32 v11, 0
	ds_write2st64_b32 v0, v2, v3 offset0:3 offset1:35
	s_and_saveexec_b64 s[0:1], vcc
	s_cbranch_execz .LBB720_60
; %bb.59:
	v_add_u32_e32 v0, s40, v6
	v_ashrrev_i32_e32 v2, 31, v0
	v_mul_lo_u32 v4, v2, s28
	v_mul_lo_u32 v5, v0, s29
	v_mad_u64_u32 v[2:3], s[2:3], v0, s28, 0
	v_add3_u32 v3, v3, v5, v4
	v_lshl_add_u64 v[2:3], v[2:3], 2, s[10:11]
	global_load_dword v0, v[2:3], off
	s_waitcnt vmcnt(0)
	v_sub_f32_e32 v0, s12, v0
	v_mul_f32_e32 v0, 0x3fb8aa3b, v0
	v_exp_f32_e32 v11, v0
.LBB720_60:
	s_or_b64 exec, exec, s[0:1]
	v_or_b32_e32 v9, 1, v6
	v_cmp_gt_i32_e64 s[0:1], s41, v9
	s_and_saveexec_b64 s[2:3], s[0:1]
	s_cbranch_execz .LBB720_62
; %bb.61:
	v_add_u32_e32 v0, s40, v9
	v_ashrrev_i32_e32 v2, 31, v0
	v_mul_lo_u32 v4, v2, s28
	v_mul_lo_u32 v5, v0, s29
	v_mad_u64_u32 v[2:3], s[4:5], v0, s28, 0
	v_add3_u32 v3, v3, v5, v4
	v_lshl_add_u64 v[2:3], v[2:3], 2, s[10:11]
	global_load_dword v0, v[2:3], off
	s_waitcnt vmcnt(0)
	v_sub_f32_e32 v0, s12, v0
	v_mul_f32_e32 v0, 0x3fb8aa3b, v0
	v_exp_f32_e32 v7, v0
.LBB720_62:
	s_or_b64 exec, exec, s[2:3]
	v_or_b32_e32 v10, 2, v6
	v_cmp_gt_i32_e64 s[2:3], s41, v10
	v_mov_b32_e32 v8, 0
	v_mov_b32_e32 v13, 0
	s_and_saveexec_b64 s[4:5], s[2:3]
	s_cbranch_execz .LBB720_64
; %bb.63:
	v_add_u32_e32 v0, s40, v10
	v_ashrrev_i32_e32 v2, 31, v0
	v_mul_lo_u32 v4, v2, s28
	v_mul_lo_u32 v5, v0, s29
	v_mad_u64_u32 v[2:3], s[6:7], v0, s28, 0
	v_add3_u32 v3, v3, v5, v4
	v_lshl_add_u64 v[2:3], v[2:3], 2, s[10:11]
	global_load_dword v0, v[2:3], off
	s_waitcnt vmcnt(0)
	v_sub_f32_e32 v0, s12, v0
	v_mul_f32_e32 v0, 0x3fb8aa3b, v0
	v_exp_f32_e32 v13, v0
.LBB720_64:
	s_or_b64 exec, exec, s[4:5]
	v_or_b32_e32 v12, 3, v6
	v_cmp_gt_i32_e64 s[4:5], s41, v12
	s_and_saveexec_b64 s[6:7], s[4:5]
	s_cbranch_execz .LBB720_66
; %bb.65:
	v_add_u32_e32 v0, s40, v12
	v_ashrrev_i32_e32 v2, 31, v0
	v_mul_lo_u32 v4, v2, s28
	v_mul_lo_u32 v5, v0, s29
	v_mad_u64_u32 v[2:3], s[14:15], v0, s28, 0
	v_add3_u32 v3, v3, v5, v4
	v_lshl_add_u64 v[2:3], v[2:3], 2, s[10:11]
	global_load_dword v0, v[2:3], off
	s_waitcnt vmcnt(0)
	v_sub_f32_e32 v0, s12, v0
	v_mul_f32_e32 v0, 0x3fb8aa3b, v0
	v_exp_f32_e32 v8, v0
.LBB720_66:
	s_or_b64 exec, exec, s[6:7]
	s_waitcnt lgkmcnt(11)
	v_mfma_f32_16x16x16_bf16 a[0:3], v[30:31], v[22:23], a[0:3]
	v_or_b32_e32 v0, s30, v1
	s_add_u32 s6, s8, s24
	s_addc_u32 s7, s9, s25
	s_waitcnt lgkmcnt(10)
	v_mfma_f32_16x16x16_bf16 a[0:3], v[32:33], v[24:25], a[0:3]
	v_ashrrev_i32_e32 v1, 31, v0
	v_lshl_add_u64 v[4:5], v[0:1], 1, s[6:7]
	v_mov_b32_e32 v14, 0
	s_waitcnt lgkmcnt(9)
	v_mfma_f32_16x16x16_bf16 a[0:3], v[28:29], v[18:19], a[0:3]
	v_mov_b32_e32 v15, 0
	s_waitcnt lgkmcnt(8)
	v_mfma_f32_16x16x16_bf16 a[0:3], v[26:27], v[20:21], a[0:3]
	s_nop 6
	v_accvgpr_read_b32 v0, a0
	v_accvgpr_read_b32 v1, a1
	v_accvgpr_read_b32 v2, a2
	v_accvgpr_read_b32 v3, a3
	s_and_saveexec_b64 s[6:7], vcc
	s_cbranch_execz .LBB720_68
; %bb.67:
	v_lshlrev_b32_e32 v16, 8, v6
	v_mov_b32_e32 v17, 0
	v_lshl_add_u64 v[16:17], v[4:5], 0, v[16:17]
	global_load_ushort v15, v[16:17], off
	s_waitcnt vmcnt(0)
	v_lshlrev_b32_e32 v15, 16, v15
	v_sub_f32_e32 v0, v15, v0
	v_mul_f32_e32 v0, v11, v0
	v_lshrrev_b32_e32 v15, 16, v0
.LBB720_68:
	s_or_b64 exec, exec, s[6:7]
	s_and_saveexec_b64 s[6:7], s[0:1]
	s_cbranch_execz .LBB720_70
; %bb.69:
	v_lshlrev_b32_e32 v16, 8, v9
	v_mov_b32_e32 v17, 0
	v_lshl_add_u64 v[16:17], v[4:5], 0, v[16:17]
	global_load_ushort v0, v[16:17], off
	s_waitcnt vmcnt(0)
	v_lshlrev_b32_e32 v0, 16, v0
	v_sub_f32_e32 v0, v0, v1
	v_mul_f32_e32 v0, v7, v0
	v_lshrrev_b32_e32 v14, 16, v0
.LBB720_70:
	s_or_b64 exec, exec, s[6:7]
	v_mov_b32_e32 v0, 0
	v_mov_b32_e32 v1, 0
	s_and_saveexec_b64 s[0:1], s[2:3]
	s_cbranch_execz .LBB720_72
; %bb.71:
	v_lshlrev_b32_e32 v10, 8, v10
	v_mov_b32_e32 v11, 0
	v_lshl_add_u64 v[10:11], v[4:5], 0, v[10:11]
	global_load_ushort v1, v[10:11], off
	s_waitcnt vmcnt(0)
	v_lshlrev_b32_e32 v1, 16, v1
	v_sub_f32_e32 v1, v1, v2
	v_mul_f32_e32 v1, v13, v1
	v_lshrrev_b32_e32 v1, 16, v1
.LBB720_72:
	s_or_b64 exec, exec, s[0:1]
	s_and_saveexec_b64 s[0:1], s[4:5]
	s_cbranch_execz .LBB720_74
; %bb.73:
	v_lshlrev_b32_e32 v10, 8, v12
	v_mov_b32_e32 v11, 0
	v_lshl_add_u64 v[4:5], v[4:5], 0, v[10:11]
	global_load_ushort v0, v[4:5], off
	s_waitcnt vmcnt(0)
	v_lshlrev_b32_e32 v0, 16, v0
	v_sub_f32_e32 v0, v0, v3
	v_mul_f32_e32 v0, v8, v0
	v_lshrrev_b32_e32 v0, 16, v0
.LBB720_74:
	s_or_b64 exec, exec, s[0:1]
	s_mov_b32 s0, 0x5040100
	v_lshlrev_b32_e32 v2, 1, v34
	v_perm_b32 v1, v0, v1, s0
	v_perm_b32 v0, v14, v15, s0
	v_lshl_or_b32 v2, v6, 5, v2
	ds_write_b64 v2, v[0:1] offset:38912
	s_waitcnt lgkmcnt(0)
	s_barrier
.LBB720_75:
	s_endpgm
	.section	.rodata,"a",@progbits
	.p2align	6, 0x0
	.amdhsa_kernel _ZN12_GLOBAL__N_139chunk_gated_delta_rule_fwd_h_hip_kernelILi16ELb0ELb0ELb0ELb0ELb0ELb1ELb1ELb0EEEvPK12hip_bfloat16S3_S3_PKfS5_PKvPS1_S8_PvPKiSB_iiiiilll
		.amdhsa_group_segment_fixed_size 40960
		.amdhsa_private_segment_fixed_size 0
		.amdhsa_kernarg_size 136
		.amdhsa_user_sgpr_count 2
		.amdhsa_user_sgpr_dispatch_ptr 0
		.amdhsa_user_sgpr_queue_ptr 0
		.amdhsa_user_sgpr_kernarg_segment_ptr 1
		.amdhsa_user_sgpr_dispatch_id 0
		.amdhsa_user_sgpr_kernarg_preload_length 0
		.amdhsa_user_sgpr_kernarg_preload_offset 0
		.amdhsa_user_sgpr_private_segment_size 0
		.amdhsa_uses_dynamic_stack 0
		.amdhsa_enable_private_segment 0
		.amdhsa_system_sgpr_workgroup_id_x 1
		.amdhsa_system_sgpr_workgroup_id_y 1
		.amdhsa_system_sgpr_workgroup_id_z 0
		.amdhsa_system_sgpr_workgroup_info 0
		.amdhsa_system_vgpr_workitem_id 0
		.amdhsa_next_free_vgpr 128
		.amdhsa_next_free_sgpr 64
		.amdhsa_accum_offset 116
		.amdhsa_reserve_vcc 1
		.amdhsa_float_round_mode_32 0
		.amdhsa_float_round_mode_16_64 0
		.amdhsa_float_denorm_mode_32 3
		.amdhsa_float_denorm_mode_16_64 3
		.amdhsa_dx10_clamp 1
		.amdhsa_ieee_mode 1
		.amdhsa_fp16_overflow 0
		.amdhsa_tg_split 0
		.amdhsa_exception_fp_ieee_invalid_op 0
		.amdhsa_exception_fp_denorm_src 0
		.amdhsa_exception_fp_ieee_div_zero 0
		.amdhsa_exception_fp_ieee_overflow 0
		.amdhsa_exception_fp_ieee_underflow 0
		.amdhsa_exception_fp_ieee_inexact 0
		.amdhsa_exception_int_div_zero 0
	.end_amdhsa_kernel
	.section	.text._ZN12_GLOBAL__N_139chunk_gated_delta_rule_fwd_h_hip_kernelILi16ELb0ELb0ELb0ELb0ELb0ELb1ELb1ELb0EEEvPK12hip_bfloat16S3_S3_PKfS5_PKvPS1_S8_PvPKiSB_iiiiilll,"axG",@progbits,_ZN12_GLOBAL__N_139chunk_gated_delta_rule_fwd_h_hip_kernelILi16ELb0ELb0ELb0ELb0ELb0ELb1ELb1ELb0EEEvPK12hip_bfloat16S3_S3_PKfS5_PKvPS1_S8_PvPKiSB_iiiiilll,comdat
.Lfunc_end720:
	.size	_ZN12_GLOBAL__N_139chunk_gated_delta_rule_fwd_h_hip_kernelILi16ELb0ELb0ELb0ELb0ELb0ELb1ELb1ELb0EEEvPK12hip_bfloat16S3_S3_PKfS5_PKvPS1_S8_PvPKiSB_iiiiilll, .Lfunc_end720-_ZN12_GLOBAL__N_139chunk_gated_delta_rule_fwd_h_hip_kernelILi16ELb0ELb0ELb0ELb0ELb0ELb1ELb1ELb0EEEvPK12hip_bfloat16S3_S3_PKfS5_PKvPS1_S8_PvPKiSB_iiiiilll
                                        ; -- End function
	.section	.AMDGPU.csdata,"",@progbits
; Kernel info:
; codeLenInByte = 7460
; NumSgprs: 70
; NumVgprs: 114
; NumAgprs: 12
; TotalNumVgprs: 128
; ScratchSize: 0
; MemoryBound: 0
; FloatMode: 240
; IeeeMode: 1
; LDSByteSize: 40960 bytes/workgroup (compile time only)
; SGPRBlocks: 8
; VGPRBlocks: 15
; NumSGPRsForWavesPerEU: 70
; NumVGPRsForWavesPerEU: 128
; AccumOffset: 116
; Occupancy: 1
; WaveLimiterHint : 1
; COMPUTE_PGM_RSRC2:SCRATCH_EN: 0
; COMPUTE_PGM_RSRC2:USER_SGPR: 2
; COMPUTE_PGM_RSRC2:TRAP_HANDLER: 0
; COMPUTE_PGM_RSRC2:TGID_X_EN: 1
; COMPUTE_PGM_RSRC2:TGID_Y_EN: 1
; COMPUTE_PGM_RSRC2:TGID_Z_EN: 0
; COMPUTE_PGM_RSRC2:TIDIG_COMP_CNT: 0
; COMPUTE_PGM_RSRC3_GFX90A:ACCUM_OFFSET: 28
; COMPUTE_PGM_RSRC3_GFX90A:TG_SPLIT: 0
	.section	.text._ZN12_GLOBAL__N_139chunk_gated_delta_rule_fwd_h_hip_kernelILi16ELb1ELb1ELb1ELb1ELb0ELb1ELb0ELb0EEEvPK12hip_bfloat16S3_S3_PKfS5_PKvPS1_S8_PvPKiSB_iiiiilll,"axG",@progbits,_ZN12_GLOBAL__N_139chunk_gated_delta_rule_fwd_h_hip_kernelILi16ELb1ELb1ELb1ELb1ELb0ELb1ELb0ELb0EEEvPK12hip_bfloat16S3_S3_PKfS5_PKvPS1_S8_PvPKiSB_iiiiilll,comdat
	.globl	_ZN12_GLOBAL__N_139chunk_gated_delta_rule_fwd_h_hip_kernelILi16ELb1ELb1ELb1ELb1ELb0ELb1ELb0ELb0EEEvPK12hip_bfloat16S3_S3_PKfS5_PKvPS1_S8_PvPKiSB_iiiiilll ; -- Begin function _ZN12_GLOBAL__N_139chunk_gated_delta_rule_fwd_h_hip_kernelILi16ELb1ELb1ELb1ELb1ELb0ELb1ELb0ELb0EEEvPK12hip_bfloat16S3_S3_PKfS5_PKvPS1_S8_PvPKiSB_iiiiilll
	.p2align	8
	.type	_ZN12_GLOBAL__N_139chunk_gated_delta_rule_fwd_h_hip_kernelILi16ELb1ELb1ELb1ELb1ELb0ELb1ELb0ELb0EEEvPK12hip_bfloat16S3_S3_PKfS5_PKvPS1_S8_PvPKiSB_iiiiilll,@function
_ZN12_GLOBAL__N_139chunk_gated_delta_rule_fwd_h_hip_kernelILi16ELb1ELb1ELb1ELb1ELb0ELb1ELb0ELb0EEEvPK12hip_bfloat16S3_S3_PKfS5_PKvPS1_S8_PvPKiSB_iiiiilll: ; @_ZN12_GLOBAL__N_139chunk_gated_delta_rule_fwd_h_hip_kernelILi16ELb1ELb1ELb1ELb1ELb0ELb1ELb0ELb0EEEvPK12hip_bfloat16S3_S3_PKfS5_PKvPS1_S8_PvPKiSB_iiiiilll
; %bb.0:
	s_load_dwordx4 s[28:31], s[0:1], 0x5c
	s_load_dwordx4 s[4:7], s[0:1], 0x70
	s_abs_i32 s11, s3
	s_ashr_i32 s10, s3, 31
	s_load_dwordx4 s[24:27], s[0:1], 0x40
	s_load_dwordx2 s[8:9], s[0:1], 0x50
	s_waitcnt lgkmcnt(0)
	s_abs_i32 s14, s29
	v_cvt_f32_u32_e32 v1, s14
	s_sub_i32 s12, 0, s14
	s_ashr_i32 s15, s29, 31
	s_xor_b32 s10, s10, s15
	v_rcp_iflag_f32_e32 v1, v1
	v_and_b32_e32 v67, 15, v0
	v_bfe_u32 v66, v0, 4, 2
	v_mov_b32_e32 v57, 0
	v_mul_f32_e32 v1, 0x4f7ffffe, v1
	v_cvt_u32_f32_e32 v1, v1
	v_lshlrev_b32_e32 v68, 3, v0
	v_readfirstlane_b32 s13, v1
	s_mul_i32 s12, s12, s13
	s_mul_hi_u32 s12, s13, s12
	s_add_i32 s13, s13, s12
	s_mul_hi_u32 s12, s11, s13
	s_mul_i32 s13, s12, s14
	s_sub_i32 s11, s11, s13
	s_add_i32 s16, s12, 1
	s_sub_i32 s13, s11, s14
	s_cmp_ge_u32 s11, s14
	s_cselect_b32 s12, s16, s12
	s_cselect_b32 s11, s13, s11
	s_add_i32 s13, s12, 1
	s_cmp_ge_u32 s11, s14
	s_cselect_b32 s11, s13, s12
	s_xor_b32 s11, s11, s10
	s_sub_i32 s36, s11, s10
	s_mul_i32 s16, s36, s29
	s_ashr_i32 s37, s36, 31
	s_sub_i32 s33, s3, s16
	s_lshl_b64 s[10:11], s[36:37], 2
	s_add_u32 s12, s26, s10
	s_addc_u32 s13, s27, s11
	s_add_u32 s38, s8, s10
	s_addc_u32 s39, s9, s11
	s_abs_i32 s3, s30
	v_cvt_f32_u32_e32 v1, s3
	s_load_dwordx2 s[34:35], s[12:13], 0x0
	s_sub_i32 s9, 0, s3
	s_lshl_b32 s2, s2, 4
	v_rcp_iflag_f32_e32 v1, v1
	v_or_b32_e32 v58, s2, v67
	s_waitcnt lgkmcnt(0)
	s_sub_i32 s56, s35, s34
	s_ashr_i32 s8, s56, 31
	v_mul_f32_e32 v1, 0x4f7ffffe, v1
	v_cvt_u32_f32_e32 v1, v1
	s_lshr_b32 s8, s8, 26
	s_add_i32 s8, s56, s8
	s_ashr_i32 s55, s8, 6
	v_readfirstlane_b32 s10, v1
	s_mul_i32 s9, s9, s10
	s_mul_hi_u32 s9, s10, s9
	s_add_i32 s10, s10, s9
	s_mul_hi_u32 s9, s14, s10
	s_mul_i32 s10, s9, s3
	s_ashr_i32 s8, s30, 31
	s_sub_i32 s10, s14, s10
	s_xor_b32 s8, s15, s8
	s_add_i32 s11, s9, 1
	s_sub_i32 s12, s10, s3
	s_cmp_ge_u32 s10, s3
	s_cselect_b32 s9, s11, s9
	s_cselect_b32 s10, s12, s10
	s_add_i32 s11, s9, 1
	s_cmp_ge_u32 s10, s3
	s_cselect_b32 s3, s11, s9
	s_xor_b32 s3, s3, s8
	s_sub_i32 s3, s3, s8
	s_abs_i32 s17, s3
	v_cvt_f32_u32_e32 v1, s17
	s_sub_i32 s19, 0, s17
	s_abs_i32 s18, s33
	s_xor_b32 s3, s33, s3
	v_rcp_iflag_f32_e32 v2, v1
	s_ashr_i32 s3, s3, 31
	s_load_dwordx8 s[8:15], s[0:1], 0x20
	v_lshrrev_b32_e32 v1, 6, v0
	v_mul_f32_e32 v2, 0x4f7ffffe, v2
	v_cvt_u32_f32_e32 v2, v2
	v_lshlrev_b32_e32 v53, 4, v1
	v_lshlrev_b32_e32 v54, 7, v58
	v_lshl_or_b32 v70, v66, 2, v53
	v_readfirstlane_b32 s20, v2
	s_mul_i32 s19, s19, s20
	s_mul_hi_u32 s19, s20, s19
	s_add_i32 s20, s20, s19
	s_mul_hi_u32 s19, s18, s20
	s_mul_i32 s20, s19, s17
	s_sub_i32 s18, s18, s20
	s_add_i32 s20, s19, 1
	s_sub_i32 s21, s18, s17
	s_cmp_ge_u32 s18, s17
	s_cselect_b32 s19, s20, s19
	s_cselect_b32 s18, s21, s18
	s_add_i32 s20, s19, 1
	s_cmp_ge_u32 s18, s17
	s_cselect_b32 s17, s20, s19
	s_xor_b32 s17, s17, s3
	s_sub_i32 s57, s17, s3
	s_ashr_i32 s48, s33, 31
	s_mul_hi_i32 s3, s36, s29
	s_add_u32 s16, s16, s33
	s_addc_u32 s17, s3, s48
	s_lshl_b64 s[26:27], s[16:17], 16
	s_waitcnt lgkmcnt(0)
	s_add_u32 s10, s10, s26
	s_addc_u32 s11, s11, s27
	v_ashrrev_i32_e32 v55, 31, v54
	v_lshl_add_u64 v[2:3], v[54:55], 2, s[10:11]
	v_lshlrev_b32_e32 v56, 2, v70
	v_lshl_add_u64 v[10:11], v[2:3], 0, v[56:57]
	global_load_dwordx4 v[6:9], v[10:11], off
	global_load_dwordx4 v[2:5], v[10:11], off offset:256
	s_load_dwordx8 s[16:23], s[0:1], 0x0
	s_load_dwordx2 s[10:11], s[0:1], 0x80
	s_load_dword s58, s[38:39], 0x0
	v_and_b32_e32 v57, 63, v0
	v_or_b32_e32 v71, 64, v70
	s_cmp_lt_i32 s56, 64
	s_mul_hi_i32 s59, s33, s28
	s_mul_i32 s60, s33, s28
	v_lshrrev_b32_e32 v69, 3, v57
	s_mul_i32 s49, s36, s5
	s_mul_hi_u32 s51, s36, s4
	s_mul_i32 s52, s37, s4
	s_mul_i32 s42, s36, s4
	;; [unrolled: 1-line block ×3, first 2 shown]
	s_mul_hi_u32 s53, s33, s6
	s_mul_i32 s54, s48, s6
	s_mul_i32 s40, s33, s6
	s_cbranch_scc1 .LBB721_18
; %bb.1:
	s_ashr_i32 s1, s34, 31
	s_add_u32 s0, s60, s34
	s_addc_u32 s1, s59, s1
	s_lshl_b64 s[0:1], s[0:1], 8
	v_and_b32_e32 v73, 56, v68
	s_waitcnt lgkmcnt(0)
	s_add_u32 s4, s18, s0
	v_lshl_or_b32 v72, v1, 3, v69
	v_lshlrev_b32_e32 v10, 1, v73
	s_addc_u32 s0, s19, s1
	v_lshl_or_b32 v74, v72, 8, v10
	s_and_b32 s5, s0, 0xffff
	s_mov_b32 s7, 0x20000
	s_movk_i32 s6, 0x4000
	s_movk_i32 s0, 0x80
	v_or_b32_e32 v75, 0x2000, v74
	buffer_load_dwordx4 v[12:15], v74, s[4:7], 0 offen
	buffer_load_dwordx4 v[16:19], v74, s[4:7], s0 offen
	;; [unrolled: 1-line block ×4, first 2 shown]
	v_lshlrev_b32_e32 v11, 3, v72
	v_and_or_b32 v29, v0, 7, v11
	v_and_b32_e32 v11, 0x78, v11
	v_lshlrev_b32_e32 v29, 4, v29
	v_xor_b32_e32 v76, v29, v11
	v_mul_lo_u32 v28, v72, s31
	v_or_b32_e32 v77, 0x1000, v76
	v_xor_b32_e32 v11, 8, v76
	s_cmpk_eq_i32 s31, 0x80
	s_mov_b32 s61, s34
	v_xor_b32_e32 v29, 8, v77
	s_cselect_b64 s[0:1], -1, 0
	s_cmpk_lg_i32 s31, 0x80
	s_waitcnt vmcnt(3)
	ds_write_b64 v76, v[12:13] offset:16384
	ds_write_b64 v11, v[14:15] offset:16384
	s_waitcnt vmcnt(2)
	ds_write_b64 v76, v[16:17] offset:24576
	ds_write_b64 v11, v[18:19] offset:24576
	;; [unrolled: 3-line block ×4, first 2 shown]
	v_lshl_add_u32 v11, v28, 1, v73
	s_cbranch_scc0 .LBB721_3
; %bb.2:
	v_lshlrev_b32_e32 v13, 1, v11
	v_add_lshl_u32 v12, v11, s31, 1
	s_lshl_b32 s6, s31, 7
	v_lshl_or_b32 v10, v72, 9, v10
	s_cbranch_execz .LBB721_4
	s_branch .LBB721_5
.LBB721_3:
                                        ; implicit-def: $vgpr12
                                        ; implicit-def: $vgpr13
                                        ; implicit-def: $sgpr6
	v_lshl_or_b32 v10, v72, 9, v10
.LBB721_4:
	v_or_b32_e32 v12, 0x100, v10
	s_movk_i32 s6, 0x4000
	v_mov_b32_e32 v13, v10
.LBB721_5:
	s_mul_i32 s4, s34, s30
	s_ashr_i32 s62, s57, 31
	s_mul_hi_i32 s3, s34, s30
	s_add_u32 s4, s4, s57
	s_addc_u32 s5, s3, s62
	s_lshl_b64 s[4:5], s[4:5], 8
	s_add_u32 s4, s16, s4
	s_addc_u32 s3, s17, s5
	s_and_b32 s5, s3, 0xffff
	s_movk_i32 s63, 0x80
	buffer_load_dwordx4 v[14:17], v13, s[4:7], 0 offen
	buffer_load_dwordx4 v[18:21], v13, s[4:7], s63 offen
	;; [unrolled: 1-line block ×4, first 2 shown]
	v_and_b32_e32 v12, 6, v0
	v_lshlrev_b32_e32 v30, 2, v67
	v_lshlrev_b32_e32 v31, 3, v67
	v_xor_b32_e32 v35, v72, v12
	v_and_b32_e32 v13, 1, v0
	v_lshl_or_b32 v31, v70, 5, v31
	v_xor_b32_e32 v36, v70, v30
	v_lshlrev_b32_e32 v35, 2, v35
	s_add_i32 s3, s51, s49
	v_or_b32_e32 v78, 0x9000, v31
	v_or_b32_e32 v79, 0x9800, v31
	v_lshlrev_b32_e32 v31, 1, v36
	v_xor_b32_e32 v36, 0x440, v35
	v_cmp_eq_u32_e32 vcc, 0, v13
	s_add_i32 s4, s53, s50
	s_add_i32 s43, s3, s52
	v_cndmask_b32_e32 v13, v36, v35, vcc
	s_add_i32 s41, s4, s54
	s_lshl_b64 s[4:5], s[42:43], 2
	s_mov_b32 s64, 0x1000504
	s_mov_b32 s65, 0x3020706
	v_lshlrev_b32_e32 v32, 8, v67
	s_mov_b32 s6, 0x8000
	v_xor_b32_e32 v30, v71, v30
	v_lshl_or_b32 v12, v12, 10, v13
	s_add_u32 s3, s22, s4
	v_or_b32_e32 v33, v53, v67
	v_lshlrev_b32_e32 v30, 1, v30
	v_or3_b32 v80, v31, v32, s6
	v_xor_b32_e32 v13, 8, v12
	v_xor_b32_e32 v31, 24, v12
	;; [unrolled: 1-line block ×4, first 2 shown]
	s_addc_u32 s36, s23, s5
	s_lshl_b64 s[4:5], s[40:41], 2
	v_or3_b32 v81, v30, v32, s6
	v_xor_b32_e32 v30, 16, v12
	v_xor_b32_e32 v32, 32, v12
	;; [unrolled: 1-line block ×3, first 2 shown]
	v_add_u32_e32 v13, 0x80, v13
	v_add_u32_e32 v31, 0x80, v31
	;; [unrolled: 1-line block ×4, first 2 shown]
	s_add_u32 s44, s3, s4
	s_movk_i32 s3, 0xf8
	s_addc_u32 s45, s36, s5
	v_ashrrev_i32_e32 v59, 31, v58
	s_lshl_b32 s38, s31, 7
	v_lshrrev_b32_e32 v34, 2, v57
	s_mov_b32 s66, 0
	v_mov_b32_e32 v101, 0x3fb8aa3b
	s_waitcnt vmcnt(1)
	v_perm_b32 v38, v14, v22, s64
	s_waitcnt vmcnt(0)
	v_perm_b32 v39, v18, v26, s64
	v_perm_b32 v14, v14, v22, s65
	v_perm_b32 v18, v18, v26, s65
	v_perm_b32 v22, v15, v23, s64
	v_perm_b32 v26, v19, v27, s64
	v_perm_b32 v15, v15, v23, s65
	v_perm_b32 v19, v19, v27, s65
	v_perm_b32 v23, v16, v24, s64
	v_perm_b32 v27, v20, v28, s64
	v_perm_b32 v16, v16, v24, s65
	v_perm_b32 v20, v20, v28, s65
	v_perm_b32 v24, v17, v25, s64
	v_perm_b32 v28, v21, v29, s64
	v_perm_b32 v17, v17, v25, s65
	v_perm_b32 v21, v21, v29, s65
	ds_write2st64_b32 v12, v38, v39 offset1:32
	ds_write2st64_b32 v13, v14, v18 offset1:32
	ds_write2st64_b32 v30, v22, v26 offset0:1 offset1:33
	ds_write2st64_b32 v31, v15, v19 offset0:1 offset1:33
	;; [unrolled: 1-line block ×6, first 2 shown]
	v_lshlrev_b32_e32 v12, 3, v33
	v_lshrrev_b32_e32 v14, 5, v57
	v_and_or_b32 v14, v12, s3, v14
	v_lshlrev_b32_e32 v14, 4, v14
	v_lshlrev_b32_e32 v21, 11, v1
	v_and_b32_e32 v12, 0x78, v12
	v_or_b32_e32 v17, 32, v14
	v_and_b32_e32 v13, 0x1000, v21
	v_lshrrev_b32_e32 v16, 1, v57
	v_xor_b32_e32 v17, v17, v12
	v_and_b32_e32 v16, 8, v16
	v_or_b32_e32 v17, v17, v13
	v_xor_b32_e32 v15, v14, v12
	v_xor_b32_e32 v84, v17, v16
	v_or_b32_e32 v17, 64, v14
	v_or_b32_e32 v14, 0x60, v14
	v_xor_b32_e32 v17, v17, v12
	v_xor_b32_e32 v12, v14, v12
	v_or_b32_e32 v15, v15, v13
	v_or_b32_e32 v17, v17, v13
	;; [unrolled: 1-line block ×3, first 2 shown]
	v_xor_b32_e32 v82, v15, v16
	v_xor_b32_e32 v85, v17, v16
	;; [unrolled: 1-line block ×3, first 2 shown]
	v_lshrrev_b32_e32 v16, 4, v0
	v_lshlrev_b32_e32 v17, 1, v67
	s_ashr_i32 s3, s2, 31
	v_or_b32_e32 v18, 1, v17
	v_xor_b32_e32 v17, v16, v17
	s_lshl_b64 s[4:5], s[2:3], 8
	v_xor_b32_e32 v18, v18, v16
	v_lshlrev_b32_e32 v17, 3, v17
	v_lshlrev_b32_e32 v16, 8, v16
	v_lshlrev_b64 v[12:13], 1, v[58:59]
	s_add_u32 s4, s12, s4
	v_or3_b32 v59, v17, v16, s6
	v_lshlrev_b32_e32 v17, 3, v18
	s_addc_u32 s5, s13, s5
	v_or3_b32 v88, v17, v16, s6
	v_mov_b32_e32 v17, 0
	v_lshrrev_b32_e32 v27, 1, v0
	v_lshl_add_u64 v[18:19], s[4:5], 0, v[16:17]
	v_lshlrev_b32_e32 v16, 4, v67
	s_movk_i32 s3, 0xff
	v_lshlrev_b32_e32 v26, 3, v1
	v_and_b32_e32 v27, 24, v27
	v_lshl_add_u64 v[60:61], v[18:19], 0, v[16:17]
	v_and_b32_e32 v16, 7, v0
	v_and_b32_e32 v19, 8, v0
	v_cmp_lt_u32_e32 vcc, s3, v0
	v_xor_b32_e32 v28, v26, v27
	v_lshlrev_b32_e32 v24, 3, v16
	v_lshlrev_b32_e32 v25, 7, v16
	v_cndmask_b32_e64 v16, 0, 1, vcc
	v_or_b32_e32 v29, 0x440, v28
	v_cmp_eq_u32_e32 vcc, 0, v19
	v_or_b32_e32 v31, 64, v27
	v_xor_b32_e32 v31, v26, v31
	v_cndmask_b32_e32 v19, v29, v28, vcc
	v_or_b32_e32 v29, 32, v27
	v_or_b32_e32 v27, 0x60, v27
	v_xor_b32_e32 v29, v26, v29
	v_xor_b32_e32 v26, v26, v27
	v_or_b32_e32 v30, 0x440, v29
	v_xor_b32_e32 v32, 0x440, v31
	v_xor_b32_e32 v27, 0x440, v26
	v_cndmask_b32_e32 v29, v30, v29, vcc
	v_cndmask_b32_e32 v31, v32, v31, vcc
	;; [unrolled: 1-line block ×3, first 2 shown]
	v_and_b32_e32 v15, 0x78, v68
	v_or_b32_e32 v19, v19, v21
	v_or_b32_e32 v29, v29, v21
	;; [unrolled: 1-line block ×4, first 2 shown]
	v_and_b32_e32 v20, 12, v34
	v_lshl_or_b32 v15, v66, 7, v15
	v_lshlrev_b32_e32 v16, 13, v16
	v_xor_b32_e32 v19, v19, v24
	v_xor_b32_e32 v29, v29, v24
	;; [unrolled: 1-line block ×4, first 2 shown]
	v_or_b32_e32 v83, 0x9000, v15
	v_or_b32_e32 v87, 0x9800, v15
	v_lshl_add_u64 v[14:15], s[20:21], 0, v[12:13]
	v_lshl_add_u64 v[12:13], s[14:15], 0, v[12:13]
	v_lshlrev_b32_e32 v22, 1, v11
	v_add_lshl_u32 v11, v11, s31, 1
	v_or_b32_e32 v23, 0x100, v10
	v_or_b32_e32 v18, v20, v53
	v_add_u32_e32 v28, v16, v19
	v_add_u32_e32 v30, v16, v29
	;; [unrolled: 1-line block ×4, first 2 shown]
	v_or3_b32 v20, v53, v20, 64
	v_add_u32_e32 v19, 0x2000, v19
	v_add_u32_e32 v26, 0x2000, v29
	;; [unrolled: 1-line block ×4, first 2 shown]
	v_lshlrev_b32_e32 v16, 8, v70
	v_cndmask_b32_e64 v89, v22, v10, s[0:1]
	v_cndmask_b32_e64 v90, v11, v23, s[0:1]
	v_lshl_add_u64 v[62:63], v[14:15], 0, v[16:17]
	v_lshl_add_u64 v[64:65], v[12:13], 0, v[16:17]
	s_mov_b32 s3, 0x7060302
	s_movk_i32 s6, 0x4000
	v_lshlrev_b32_e32 v91, 2, v18
	v_add_u32_e32 v92, v28, v25
	v_add_u32_e32 v93, v30, v25
	;; [unrolled: 1-line block ×4, first 2 shown]
	v_lshlrev_b32_e32 v96, 2, v20
	v_add_u32_e32 v97, v19, v25
	v_add_u32_e32 v98, v26, v25
	;; [unrolled: 1-line block ×4, first 2 shown]
	s_waitcnt lgkmcnt(0)
	s_barrier
.LBB721_6:                              ; =>This Inner Loop Header: Depth=1
	s_add_i32 s41, s66, 1
	s_cmp_lt_i32 s41, s55
	s_mov_b64 s[36:37], 0
	s_cselect_b64 s[46:47], -1, 0
	s_cmp_ge_i32 s41, s55
	s_mov_b64 s[4:5], 0
	s_cbranch_scc1 .LBB721_8
; %bb.7:                                ;   in Loop: Header=BB721_6 Depth=1
	s_add_i32 s0, s61, 64
	s_ashr_i32 s1, s0, 31
	s_add_u32 s0, s60, s0
	s_addc_u32 s1, s59, s1
	s_lshl_b64 s[0:1], s[0:1], 8
	s_add_u32 s4, s18, s0
	s_addc_u32 s5, s19, s1
.LBB721_8:                              ;   in Loop: Header=BB721_6 Depth=1
	v_cndmask_b32_e64 v10, 0, 1, s[46:47]
	v_cmp_ne_u32_e64 s[0:1], 1, v10
	s_andn2_b64 vcc, exec, s[46:47]
	s_cbranch_vccnz .LBB721_10
; %bb.9:                                ;   in Loop: Header=BB721_6 Depth=1
	s_add_i32 s36, s61, 64
	s_mul_hi_i32 s37, s36, s30
	s_mul_i32 s36, s36, s30
	s_add_u32 s36, s36, s57
	s_addc_u32 s37, s37, s62
	s_lshl_b64 s[36:37], s[36:37], 8
	s_add_u32 s36, s16, s36
	s_addc_u32 s37, s17, s37
.LBB721_10:                             ;   in Loop: Header=BB721_6 Depth=1
	v_perm_b32 v11, v9, v8, s3
	v_perm_b32 v10, v7, v6, s3
	;; [unrolled: 1-line block ×4, first 2 shown]
	ds_write_b64 v78, v[10:11]
	ds_write_b64 v79, v[12:13]
	;; [unrolled: 1-line block ×4, first 2 shown]
	s_waitcnt lgkmcnt(0)
	s_barrier
	ds_read_b64 v[18:19], v82 offset:16384
	ds_read_b64 v[20:21], v84 offset:16384
	ds_read2st64_b64 v[10:13], v83 offset1:1
	s_waitcnt lgkmcnt(0)
	v_mfma_f32_16x16x16_bf16 a[0:3], v[18:19], v[10:11], 0
	ds_read2st64_b64 v[14:17], v83 offset0:2 offset1:3
	ds_read_b64 v[22:23], v85 offset:16384
	ds_read_b64 v[10:11], v86 offset:16384
	s_add_i32 s43, s61, 63
	v_mfma_f32_16x16x16_bf16 a[0:3], v[20:21], v[12:13], a[0:3]
	s_ashr_i32 s39, s43, 31
	s_mul_i32 s46, s43, s11
	s_mul_hi_u32 s47, s43, s10
	s_waitcnt lgkmcnt(1)
	v_mfma_f32_16x16x16_bf16 a[0:3], v[22:23], v[14:15], a[0:3]
	s_add_i32 s46, s47, s46
	s_mul_i32 s39, s39, s10
	s_add_i32 s47, s46, s39
	s_mul_i32 s46, s43, s10
	s_waitcnt lgkmcnt(0)
	v_mfma_f32_16x16x16_bf16 a[0:3], v[10:11], v[16:17], a[0:3]
	s_lshl_b64 s[46:47], s[46:47], 2
	s_add_u32 s46, s44, s46
	s_addc_u32 s47, s45, s47
	s_and_b64 vcc, exec, s[0:1]
	v_mov_b32_e32 v104, 0
	v_mov_b32_e32 v103, 0
	v_mov_b32_e32 v102, 0
	v_mov_b32_e32 v10, 0
	v_mov_b32_e32 v11, 0
	v_mov_b32_e32 v12, 0
	v_mov_b32_e32 v13, 0
	v_mov_b32_e32 v14, 0
	v_mov_b32_e32 v15, 0
	v_mov_b32_e32 v16, 0
	v_mov_b32_e32 v17, 0
	v_mov_b32_e32 v18, 0
	v_mov_b32_e32 v19, 0
	v_mov_b32_e32 v20, 0
	v_mov_b32_e32 v21, 0
	v_mov_b32_e32 v22, 0
	v_mov_b32_e32 v23, 0
	v_mov_b32_e32 v24, 0
	v_mov_b32_e32 v25, 0
	s_cbranch_vccnz .LBB721_12
; %bb.11:                               ;   in Loop: Header=BB721_6 Depth=1
	s_and_b32 s5, s5, 0xffff
	buffer_load_dwordx4 v[22:25], v74, s[4:7], 0 offen
	buffer_load_dwordx4 v[18:21], v74, s[4:7], s63 offen
	;; [unrolled: 1-line block ×4, first 2 shown]
	v_mov_b32_e32 v103, v76
	v_mov_b32_e32 v102, v77
.LBB721_12:                             ;   in Loop: Header=BB721_6 Depth=1
	v_add_u32_e32 v30, s61, v70
	v_ashrrev_i32_e32 v26, 31, v30
	v_mul_lo_u32 v28, v26, s10
	v_mul_lo_u32 v29, v30, s11
	v_mad_u64_u32 v[26:27], s[4:5], v30, s10, 0
	v_add3_u32 v27, v27, v29, v28
	v_lshl_add_u64 v[26:27], v[26:27], 2, s[44:45]
	global_load_dword v42, v[26:27], off
	v_add_u32_e32 v26, 1, v30
	v_ashrrev_i32_e32 v27, 31, v26
	v_mul_lo_u32 v28, v27, s10
	v_mul_lo_u32 v29, v26, s11
	v_mad_u64_u32 v[26:27], s[4:5], v26, s10, 0
	v_add3_u32 v27, v27, v29, v28
	v_add_u32_e32 v28, 2, v30
	v_ashrrev_i32_e32 v29, 31, v28
	v_mul_lo_u32 v31, v29, s10
	v_mul_lo_u32 v32, v28, s11
	v_mad_u64_u32 v[28:29], s[4:5], v28, s10, 0
	v_add_u32_e32 v30, 3, v30
	v_add3_u32 v29, v29, v32, v31
	v_ashrrev_i32_e32 v31, 31, v30
	v_mul_lo_u32 v34, v31, s10
	v_mul_lo_u32 v35, v30, s11
	v_mad_u64_u32 v[30:31], s[4:5], v30, s10, 0
	s_ashr_i32 s5, s61, 31
	s_add_u32 s4, s60, s61
	s_addc_u32 s5, s59, s5
	s_lshl_b64 s[68:69], s[4:5], 8
	v_lshl_add_u64 v[26:27], v[26:27], 2, s[44:45]
	v_lshl_add_u64 v[32:33], v[62:63], 0, s[68:69]
	v_add3_u32 v31, v31, v35, v34
	v_lshl_add_u64 v[28:29], v[28:29], 2, s[44:45]
	global_load_ushort v43, v[32:33], off
	global_load_ushort v44, v[32:33], off offset:256
	global_load_ushort v45, v[32:33], off offset:512
	;; [unrolled: 1-line block ×3, first 2 shown]
	v_lshl_add_u64 v[30:31], v[30:31], 2, s[44:45]
	global_load_dword v47, v[26:27], off
	global_load_dword v48, v[28:29], off
	global_load_dword v49, v[30:31], off
	ds_read_b64 v[30:31], v82 offset:24576
	ds_read_b64 v[36:37], v84 offset:24576
	ds_read2st64_b64 v[26:29], v87 offset1:1
	s_waitcnt lgkmcnt(0)
	v_mfma_f32_16x16x16_bf16 a[0:3], v[30:31], v[26:27], a[0:3]
	s_load_dword s4, s[46:47], 0x0
	ds_read2st64_b64 v[32:35], v87 offset0:2 offset1:3
	ds_read_b64 v[38:39], v85 offset:24576
	ds_read_b64 v[40:41], v86 offset:24576
	v_mov_b32_e32 v105, 0
	v_mfma_f32_16x16x16_bf16 a[0:3], v[36:37], v[28:29], a[0:3]
	v_mov_b32_e32 v26, 0
	v_mov_b32_e32 v27, 0
	;; [unrolled: 1-line block ×3, first 2 shown]
	s_waitcnt lgkmcnt(0)
	v_mfma_f32_16x16x16_bf16 a[0:3], v[38:39], v[32:33], a[0:3]
	v_lshl_add_u64 v[32:33], v[64:65], 0, s[68:69]
	v_mov_b32_e32 v29, 0
	v_mov_b32_e32 v30, 0
	v_mfma_f32_16x16x16_bf16 a[0:3], v[40:41], v[34:35], a[0:3]
	v_mov_b32_e32 v31, 0
	s_and_b64 vcc, exec, s[0:1]
	s_waitcnt vmcnt(7)
	v_sub_f32_e32 v42, s4, v42
	s_nop 2
	v_accvgpr_read_b32 v37, a1
	v_accvgpr_read_b32 v35, a3
	;; [unrolled: 1-line block ×4, first 2 shown]
	v_mul_f32_e32 v42, 0x3fb8aa3b, v42
	s_waitcnt vmcnt(6)
	v_lshlrev_b32_e32 v38, 16, v43
	s_waitcnt vmcnt(5)
	v_lshlrev_b32_e32 v39, 16, v44
	;; [unrolled: 2-line block ×4, first 2 shown]
	s_waitcnt vmcnt(2)
	v_sub_f32_e32 v43, s4, v47
	s_waitcnt vmcnt(1)
	v_sub_f32_e32 v44, s4, v48
	;; [unrolled: 2-line block ×3, first 2 shown]
	v_pk_add_f32 v[36:37], v[38:39], v[36:37] neg_lo:[0,1] neg_hi:[0,1]
	v_pk_add_f32 v[34:35], v[40:41], v[34:35] neg_lo:[0,1] neg_hi:[0,1]
	v_mul_f32_e32 v39, 0x3fb8aa3b, v43
	v_mul_f32_e32 v40, 0x3fb8aa3b, v44
	;; [unrolled: 1-line block ×3, first 2 shown]
	v_exp_f32_e32 v38, v42
	v_exp_f32_e32 v39, v39
	;; [unrolled: 1-line block ×4, first 2 shown]
	global_store_short_d16_hi v[32:33], v36, off
	global_store_short_d16_hi v[32:33], v37, off offset:256
	global_store_short_d16_hi v[32:33], v34, off offset:512
	;; [unrolled: 1-line block ×3, first 2 shown]
	v_pk_mul_f32 v[32:33], v[38:39], v[36:37]
	v_pk_mul_f32 v[34:35], v[40:41], v[34:35]
	v_mov_b32_e32 v36, 0
	v_perm_b32 v35, v35, v34, s3
	v_perm_b32 v34, v33, v32, s3
	ds_write_b64 v79, v[34:35]
	v_mov_b32_e32 v32, 0
	v_mov_b32_e32 v33, 0
	;; [unrolled: 1-line block ×9, first 2 shown]
	s_cbranch_vccnz .LBB721_14
; %bb.13:                               ;   in Loop: Header=BB721_6 Depth=1
	s_and_b32 s37, s37, 0xffff
	s_mov_b32 s39, s7
	buffer_load_dwordx4 v[38:41], v89, s[36:39], 0 offen
	buffer_load_dwordx4 v[30:33], v89, s[36:39], s63 offen
	;; [unrolled: 1-line block ×4, first 2 shown]
	v_mov_b32_e32 v104, v73
	v_mov_b32_e32 v105, v72
.LBB721_14:                             ;   in Loop: Header=BB721_6 Depth=1
	s_waitcnt lgkmcnt(0)
	s_barrier
	ds_read_b64 v[42:43], v92
	ds_read_b64 v[48:49], v93
	ds_read2st64_b64 v[44:47], v87 offset1:1
	ds_read2st64_b64 v[106:109], v87 offset0:2 offset1:3
	ds_read_b64 v[50:51], v94
	ds_read_b64 v[114:115], v95
	s_add_i32 s5, s58, s66
	s_mul_hi_i32 s37, s5, s29
	s_mul_i32 s5, s5, s29
	s_waitcnt lgkmcnt(3)
	v_mfma_f32_16x16x16_bf16 a[0:3], v[42:43], v[44:45], 0
	ds_read_b64 v[42:43], v97
	s_add_u32 s36, s5, s33
	s_addc_u32 s37, s37, s48
	v_mfma_f32_16x16x16_bf16 a[0:3], v[48:49], v[46:47], a[0:3]
	ds_read_b64 v[48:49], v98
	s_lshl_b64 s[36:37], s[36:37], 15
	s_mul_i32 s39, s43, s29
	s_mul_hi_i32 s5, s43, s29
	s_add_u32 s46, s39, s33
	s_addc_u32 s47, s5, s48
	s_lshl_b64 s[46:47], s[46:47], 9
	s_add_u32 s46, s8, s46
	s_waitcnt lgkmcnt(1)
	v_mfma_f32_16x16x16_bf16 a[4:7], v[42:43], v[44:45], 0
	s_addc_u32 s47, s9, s47
	s_and_b64 vcc, exec, s[0:1]
	v_mfma_f32_16x16x16_bf16 a[0:3], v[50:51], v[106:107], a[0:3]
	ds_read_b64 v[50:51], v99
	ds_read_b64 v[116:117], v100
	global_load_dwordx4 v[42:45], v96, s[46:47]
	s_waitcnt lgkmcnt(2)
	v_mfma_f32_16x16x16_bf16 a[4:7], v[48:49], v[46:47], a[4:7]
	global_load_dwordx4 v[46:49], v91, s[46:47]
	ds_read_b64 v[110:111], v59
	ds_read_b64 v[112:113], v88
	s_waitcnt lgkmcnt(3)
	v_mfma_f32_16x16x16_bf16 a[8:11], v[50:51], v[106:107], a[4:7]
	v_lshl_add_u64 v[50:51], v[60:61], 0, s[36:37]
	s_waitcnt lgkmcnt(0)
	global_store_dwordx4 v[50:51], v[110:113], off
	v_mfma_f32_16x16x16_bf16 a[4:7], v[114:115], v[108:109], a[0:3]
	s_waitcnt vmcnt(2)
	v_mov_b32_e32 v52, v45
	v_mfma_f32_16x16x16_bf16 a[0:3], v[116:117], v[108:109], a[8:11]
	v_mov_b32_e32 v51, v44
	v_mov_b32_e32 v50, v43
	s_cbranch_vccnz .LBB721_16
; %bb.15:                               ;   in Loop: Header=BB721_6 Depth=1
	v_lshrrev_b32_e32 v43, 3, v104
	v_and_b32_e32 v43, 6, v43
	v_xor_b32_e32 v44, v43, v105
	v_lshlrev_b32_e32 v44, 2, v44
	v_and_b32_e32 v45, 8, v104
	v_xor_b32_e32 v104, 0x440, v44
	v_cmp_eq_u32_e32 vcc, 0, v45
	v_perm_b32 v45, v30, v26, s64
	s_nop 0
	v_cndmask_b32_e32 v44, v104, v44, vcc
	v_lshl_or_b32 v43, v43, 10, v44
	v_perm_b32 v44, v38, v34, s64
	s_barrier
	ds_write2st64_b32 v43, v44, v45 offset1:32
	v_xor_b32_e32 v44, 8, v43
	v_perm_b32 v34, v38, v34, s65
	v_perm_b32 v26, v30, v26, s65
	v_add_u32_e32 v30, 0x80, v44
	ds_write2st64_b32 v30, v34, v26 offset1:32
	v_xor_b32_e32 v26, 16, v43
	v_perm_b32 v30, v39, v35, s64
	v_perm_b32 v34, v31, v27, s64
	ds_write2st64_b32 v26, v30, v34 offset0:1 offset1:33
	v_xor_b32_e32 v26, 24, v43
	v_perm_b32 v30, v39, v35, s65
	v_perm_b32 v27, v31, v27, s65
	v_add_u32_e32 v26, 0x80, v26
	ds_write2st64_b32 v26, v30, v27 offset0:1 offset1:33
	v_xor_b32_e32 v26, 32, v43
	v_perm_b32 v27, v40, v36, s64
	v_perm_b32 v30, v32, v28, s64
	ds_write2st64_b32 v26, v27, v30 offset0:2 offset1:34
	v_xor_b32_e32 v26, 40, v43
	v_perm_b32 v27, v40, v36, s65
	v_perm_b32 v28, v32, v28, s65
	v_add_u32_e32 v26, 0x80, v26
	ds_write2st64_b32 v26, v27, v28 offset0:2 offset1:34
	v_xor_b32_e32 v26, 48, v43
	v_perm_b32 v27, v41, v37, s64
	v_perm_b32 v28, v33, v29, s64
	ds_write2st64_b32 v26, v27, v28 offset0:3 offset1:35
	v_xor_b32_e32 v26, 56, v43
	v_perm_b32 v27, v41, v37, s65
	v_perm_b32 v28, v33, v29, s65
	v_add_u32_e32 v26, 0x80, v26
	ds_write2st64_b32 v26, v27, v28 offset0:3 offset1:35
	ds_write_b64 v103, v[22:23] offset:16384
	v_xor_b32_e32 v22, 8, v103
	ds_write_b64 v22, v[24:25] offset:16384
	ds_write_b64 v103, v[18:19] offset:24576
	ds_write_b64 v22, v[20:21] offset:24576
	ds_write_b64 v102, v[14:15] offset:16384
	v_xor_b32_e32 v14, 8, v102
	ds_write_b64 v14, v[16:17] offset:16384
	ds_write_b64 v102, v[10:11] offset:24576
	;; [unrolled: 1-line block ×3, first 2 shown]
.LBB721_16:                             ;   in Loop: Header=BB721_6 Depth=1
	v_mul_f32_e32 v14, s4, v101
	v_exp_f32_e32 v18, v14
	s_waitcnt vmcnt(1)
	v_mul_f32_e32 v14, 0x3fb8aa3b, v46
	v_exp_f32_e32 v20, v14
	v_mul_f32_e32 v14, 0x3fb8aa3b, v47
	v_exp_f32_e32 v21, v14
	v_mul_f32_e32 v14, 0x3fb8aa3b, v48
	v_exp_f32_e32 v22, v14
	v_mul_f32_e32 v14, 0x3fb8aa3b, v49
	v_exp_f32_e32 v23, v14
	v_accvgpr_read_b32 v13, a7
	v_accvgpr_read_b32 v11, a5
	;; [unrolled: 1-line block ×3, first 2 shown]
	v_pk_mul_f32 v[20:21], v[18:19], v[20:21] op_sel_hi:[0,1]
	v_pk_fma_f32 v[6:7], v[6:7], v[20:21], v[10:11]
	v_pk_mul_f32 v[10:11], v[18:19], v[22:23] op_sel_hi:[0,1]
	v_mul_f32_e32 v19, 0x3fb8aa3b, v42
	v_exp_f32_e32 v20, v19
	v_mul_f32_e32 v19, 0x3fb8aa3b, v50
	v_exp_f32_e32 v21, v19
	v_mul_f32_e32 v19, 0x3fb8aa3b, v51
	v_exp_f32_e32 v22, v19
	v_mul_f32_e32 v19, 0x3fb8aa3b, v52
	v_exp_f32_e32 v23, v19
	v_accvgpr_read_b32 v12, a6
	v_accvgpr_read_b32 v17, a3
	;; [unrolled: 1-line block ×4, first 2 shown]
	v_pk_fma_f32 v[8:9], v[8:9], v[10:11], v[12:13]
	v_pk_mul_f32 v[10:11], v[18:19], v[20:21] op_sel_hi:[0,1]
	v_accvgpr_read_b32 v16, a2
	v_pk_fma_f32 v[2:3], v[2:3], v[10:11], v[14:15]
	v_pk_mul_f32 v[10:11], v[18:19], v[22:23] op_sel_hi:[0,1]
	s_add_i32 s61, s61, 64
	s_cmp_eq_u32 s55, s41
	v_pk_fma_f32 v[4:5], v[4:5], v[10:11], v[16:17]
	s_cbranch_scc1 .LBB721_18
; %bb.17:                               ;   in Loop: Header=BB721_6 Depth=1
	s_mov_b32 s66, s41
	s_branch .LBB721_6
.LBB721_18:
	s_lshl_b32 s0, s55, 6
	s_sub_i32 s46, s56, s0
	s_cmp_gt_i32 s46, 0
	s_cbranch_scc0 .LBB721_75
; %bb.19:
	s_add_i32 s34, s0, s34
	s_ashr_i32 s3, s34, 31
	s_cmpk_lg_i32 s31, 0x80
	s_cselect_b64 s[38:39], -1, 0
	s_and_b64 vcc, exec, s[38:39]
	s_cbranch_vccz .LBB721_21
; %bb.20:
	s_mul_i32 s1, s34, s30
	s_ashr_i32 s4, s57, 31
	s_mul_hi_i32 s0, s34, s30
	s_add_u32 s44, s1, s57
	s_addc_u32 s45, s0, s4
	s_cbranch_execz .LBB721_22
	s_branch .LBB721_23
.LBB721_21:
                                        ; implicit-def: $sgpr44_sgpr45
.LBB721_22:
	s_mul_i32 s1, s57, s28
	s_mul_hi_i32 s0, s57, s28
	s_add_u32 s44, s1, s34
	s_addc_u32 s45, s0, s3
.LBB721_23:
	s_waitcnt lgkmcnt(0)
	s_add_i32 s4, s55, s58
	s_add_u32 s0, s60, s34
	s_addc_u32 s1, s59, s3
	s_mov_b32 s3, 0x7060302
	v_lshlrev_b32_e32 v14, 3, v67
	s_lshl_b64 s[36:37], s[0:1], 8
	s_waitcnt vmcnt(1)
	v_perm_b32 v11, v9, v8, s3
	v_perm_b32 v10, v7, v6, s3
	s_waitcnt vmcnt(0)
	v_perm_b32 v13, v5, v4, s3
	v_perm_b32 v12, v3, v2, s3
	v_lshlrev_b32_e32 v42, 2, v67
	v_lshl_or_b32 v14, v70, 5, v14
	s_add_u32 s0, s18, s36
	ds_write2st64_b64 v14, v[10:11], v[12:13] offset0:72 offset1:76
	v_xor_b32_e32 v14, v70, v42
	v_lshlrev_b32_e32 v15, 8, v67
	s_addc_u32 s1, s19, s37
	v_lshl_or_b32 v14, v14, 1, v15
	s_mul_hi_i32 s3, s4, s29
	s_mul_i32 s4, s4, s29
	ds_write_b64 v14, v[10:11] offset:32768
	v_xor_b32_e32 v10, v71, v42
	s_add_u32 s4, s4, s33
	v_lshl_or_b32 v10, v10, 1, v15
	s_addc_u32 s5, s3, s48
	v_lshlrev_b32_e32 v11, 1, v67
	ds_write_b64 v10, v[12:13] offset:32768
	v_lshrrev_b32_e32 v10, 4, v0
	s_ashr_i32 s3, s2, 31
	s_lshl_b64 s[4:5], s[4:5], 15
	v_or_b32_e32 v12, 1, v11
	s_add_u32 s4, s12, s4
	v_xor_b32_e32 v11, v10, v11
	v_xor_b32_e32 v12, v12, v10
	v_lshlrev_b32_e32 v14, 8, v10
	s_addc_u32 s5, s13, s5
	s_lshl_b64 s[2:3], s[2:3], 8
	v_lshl_or_b32 v10, v11, 3, v14
	v_lshl_or_b32 v12, v12, 3, v14
	s_waitcnt lgkmcnt(0)
	s_barrier
	s_add_u32 s2, s4, s2
	ds_read_b64 v[10:11], v10 offset:32768
	ds_read_b64 v[12:13], v12 offset:32768
	s_addc_u32 s3, s5, s3
	v_mov_b32_e32 v15, 0
	s_cmp_lg_u32 s46, 64
	v_lshl_add_u64 v[16:17], s[2:3], 0, v[14:15]
	v_lshlrev_b32_e32 v14, 4, v67
	s_cselect_b64 s[18:19], -1, 0
	v_lshl_or_b32 v44, v1, 3, v69
	s_mov_b32 s4, 0
	v_lshl_add_u64 v[14:15], v[16:17], 0, v[14:15]
	v_or_b32_e32 v27, 32, v44
	v_and_b32_e32 v26, 56, v68
	s_and_b64 vcc, exec, s[18:19]
	s_waitcnt lgkmcnt(0)
	global_store_dwordx4 v[14:15], v[10:13], off
	s_cbranch_vccz .LBB721_29
; %bb.24:
	s_mov_b32 s6, s4
	s_mov_b32 s7, s4
	s_mov_b32 s5, s4
	v_mov_b64_e32 v[16:17], s[6:7]
	v_mov_b64_e32 v[14:15], s[4:5]
	;; [unrolled: 1-line block ×3, first 2 shown]
	v_cmp_gt_i32_e32 vcc, s46, v44
	v_mov_b64_e32 v[12:13], v[16:17]
	s_and_saveexec_b64 s[2:3], vcc
	s_cbranch_execz .LBB721_26
; %bb.25:
	v_lshlrev_b32_e32 v10, 8, v44
	v_mov_b32_e32 v11, 0
	v_lshl_add_u64 v[12:13], s[0:1], 0, v[10:11]
	v_lshlrev_b32_e32 v10, 1, v26
	v_lshl_add_u64 v[18:19], v[12:13], 0, v[10:11]
	global_load_dwordx4 v[14:17], v[18:19], off
	global_load_dwordx4 v[10:13], v[18:19], off offset:128
.LBB721_26:
	s_or_b64 exec, exec, s[2:3]
	s_mov_b32 s6, s4
	s_mov_b32 s7, s4
	;; [unrolled: 1-line block ×3, first 2 shown]
	v_mov_b64_e32 v[24:25], s[6:7]
	v_mov_b64_e32 v[22:23], s[4:5]
	;; [unrolled: 1-line block ×3, first 2 shown]
	v_cmp_gt_i32_e32 vcc, s46, v27
	v_lshlrev_b32_e32 v28, 7, v27
	v_mov_b64_e32 v[20:21], v[24:25]
	s_and_saveexec_b64 s[2:3], vcc
	s_cbranch_execz .LBB721_28
; %bb.27:
	v_lshlrev_b32_e32 v18, 1, v28
	v_mov_b32_e32 v19, 0
	v_lshl_add_u64 v[20:21], s[0:1], 0, v[18:19]
	v_lshlrev_b32_e32 v18, 1, v26
	v_lshl_add_u64 v[30:31], v[20:21], 0, v[18:19]
	global_load_dwordx4 v[22:25], v[30:31], off
	global_load_dwordx4 v[18:21], v[30:31], off offset:128
.LBB721_28:
	s_or_b64 exec, exec, s[2:3]
	v_lshrrev_b32_e32 v29, 3, v26
	v_lshlrev_b32_e32 v30, 3, v44
	v_or_b32_e32 v29, v30, v29
	v_lshlrev_b32_e32 v29, 4, v29
	v_and_b32_e32 v30, 0x78, v30
	v_xor_b32_e32 v29, v29, v30
	s_branch .LBB721_31
.LBB721_29:
                                        ; implicit-def: $vgpr29
                                        ; implicit-def: $vgpr28
                                        ; implicit-def: $vgpr14_vgpr15_vgpr16_vgpr17
                                        ; implicit-def: $vgpr10_vgpr11_vgpr12_vgpr13
                                        ; implicit-def: $vgpr22_vgpr23_vgpr24_vgpr25
                                        ; implicit-def: $vgpr18_vgpr19_vgpr20_vgpr21
	s_cbranch_execz .LBB721_31
; %bb.30:
	s_waitcnt vmcnt(0)
	v_lshlrev_b32_e32 v10, 1, v26
	v_lshl_or_b32 v28, v44, 8, v10
	s_and_b32 s1, s1, 0xffff
	s_mov_b32 s3, 0x20000
	s_movk_i32 s2, 0x4000
	v_lshl_or_b32 v29, v27, 8, v10
	s_movk_i32 s4, 0x80
	buffer_load_dwordx4 v[14:17], v28, s[0:3], 0 offen
	buffer_load_dwordx4 v[10:13], v28, s[0:3], s4 offen
	;; [unrolled: 1-line block ×4, first 2 shown]
	v_lshrrev_b32_e32 v28, 3, v26
	v_lshlrev_b32_e32 v29, 3, v44
	v_or_b32_e32 v28, v29, v28
	v_lshlrev_b32_e32 v28, 4, v28
	v_and_b32_e32 v29, 0x78, v29
	v_xor_b32_e32 v29, v28, v29
	v_lshlrev_b32_e32 v28, 7, v27
.LBB721_31:
	s_lshl_b64 s[0:1], s[44:45], 8
	s_add_u32 s4, s16, s0
	s_movk_i32 s0, 0x1000
	v_and_or_b32 v27, v28, s0, v29
	s_waitcnt vmcnt(1)
	ds_write_b64 v29, v[14:15] offset:16384
	v_xor_b32_e32 v14, 8, v29
	ds_write_b64 v14, v[16:17] offset:16384
	s_waitcnt vmcnt(0)
	ds_write_b64 v29, v[10:11] offset:24576
	ds_write_b64 v14, v[12:13] offset:24576
	;; [unrolled: 1-line block ×3, first 2 shown]
	v_xor_b32_e32 v10, 8, v27
	ds_write_b64 v10, v[24:25] offset:16384
	ds_write_b64 v27, v[18:19] offset:24576
	;; [unrolled: 1-line block ×3, first 2 shown]
	v_or_b32_e32 v10, v53, v67
	v_lshlrev_b32_e32 v10, 3, v10
	v_lshrrev_b32_e32 v12, 5, v57
	s_movk_i32 s6, 0xf8
	v_and_or_b32 v12, v10, s6, v12
	v_lshlrev_b32_e32 v43, 11, v1
	v_lshlrev_b32_e32 v20, 4, v12
	v_and_b32_e32 v21, 0x78, v10
	v_and_b32_e32 v22, 0x1000, v43
	v_lshlrev_b32_e32 v11, 2, v0
	v_xor_b32_e32 v10, v20, v21
	v_lshrrev_b32_e32 v12, 1, v57
	v_and_b32_e32 v11, 60, v11
	v_or_b32_e32 v10, v10, v22
	v_and_b32_e32 v23, 8, v12
	v_xor_b32_e32 v34, v10, v23
	v_lshl_or_b32 v10, v66, 6, v11
	v_lshlrev_b32_e32 v45, 1, v10
	v_or_b32_e32 v10, 32, v20
	v_xor_b32_e32 v10, v10, v21
	s_waitcnt lgkmcnt(0)
	s_barrier
	ds_read_b64 v[18:19], v34 offset:16384
	v_or_b32_e32 v10, v10, v22
	v_xor_b32_e32 v35, v10, v23
	v_or_b32_e32 v10, 64, v20
	v_xor_b32_e32 v10, v10, v21
	v_or_b32_e32 v10, v10, v22
	v_or_b32_e32 v20, 0x60, v20
	v_xor_b32_e32 v36, v10, v23
	ds_read2st64_b64 v[10:13], v45 offset0:72 offset1:73
	ds_read2st64_b64 v[14:17], v45 offset0:74 offset1:75
	v_xor_b32_e32 v24, v20, v21
	ds_read_b64 v[20:21], v35 offset:16384
	s_addc_u32 s5, s17, s1
	s_add_i32 s0, s51, s49
	s_waitcnt lgkmcnt(2)
	v_mfma_f32_16x16x16_bf16 a[0:3], v[18:19], v[10:11], 0
	s_add_i32 s17, s35, -1
	s_add_i32 s43, s0, s52
	s_add_i32 s0, s53, s50
	;; [unrolled: 1-line block ×3, first 2 shown]
	s_ashr_i32 s0, s17, 31
	s_mul_i32 s1, s17, s11
	s_mul_hi_u32 s2, s17, s10
	s_add_i32 s1, s2, s1
	s_mul_i32 s0, s0, s10
	v_or_b32_e32 v22, v24, v22
	s_add_i32 s1, s1, s0
	s_lshl_b64 s[2:3], s[42:43], 2
	v_xor_b32_e32 v46, v22, v23
	ds_read_b64 v[22:23], v36 offset:16384
	ds_read_b64 v[24:25], v46 offset:16384
	s_waitcnt lgkmcnt(2)
	v_mfma_f32_16x16x16_bf16 a[0:3], v[20:21], v[12:13], a[0:3]
	s_add_u32 s6, s22, s2
	s_addc_u32 s7, s23, s3
	s_lshl_b64 s[2:3], s[40:41], 2
	s_mul_i32 s0, s17, s10
	s_add_u32 s12, s6, s2
	s_addc_u32 s13, s7, s3
	s_lshl_b64 s[0:1], s[0:1], 2
	s_waitcnt lgkmcnt(1)
	v_mfma_f32_16x16x16_bf16 a[0:3], v[22:23], v[14:15], a[0:3]
	s_add_u32 s0, s12, s0
	s_addc_u32 s1, s13, s1
	s_load_dword s16, s[0:1], 0x0
	s_waitcnt lgkmcnt(0)
	v_mfma_f32_16x16x16_bf16 a[0:3], v[24:25], v[16:17], a[0:3]
	s_and_b64 vcc, exec, s[38:39]
	s_cbranch_vccz .LBB721_42
; %bb.32:
	v_lshlrev_b32_e32 v27, 1, v44
	s_and_b64 vcc, exec, s[18:19]
	s_cbranch_vccz .LBB721_43
; %bb.33:
	v_cmp_gt_i32_e32 vcc, s46, v27
	v_mov_b32_e32 v14, 0
	v_mov_b32_e32 v10, 0
	;; [unrolled: 1-line block ×5, first 2 shown]
	s_and_saveexec_b64 s[0:1], vcc
	s_cbranch_execz .LBB721_35
; %bb.34:
	v_mad_i64_i32 v[10:11], s[2:3], s31, v27, 0
	v_lshl_add_u64 v[10:11], v[10:11], 1, s[4:5]
	v_lshlrev_b32_e32 v12, 1, v26
	v_mov_b32_e32 v13, 0
	v_lshl_add_u64 v[10:11], v[10:11], 0, v[12:13]
	global_load_dwordx4 v[10:13], v[10:11], off
.LBB721_35:
	s_or_b64 exec, exec, s[0:1]
	v_or_b32_e32 v28, 1, v27
	v_cmp_gt_i32_e64 s[0:1], s46, v28
	v_mov_b32_e32 v15, 0
	v_mov_b32_e32 v16, 0
	;; [unrolled: 1-line block ×3, first 2 shown]
	s_and_saveexec_b64 s[2:3], s[0:1]
	s_cbranch_execz .LBB721_37
; %bb.36:
	v_mad_i64_i32 v[14:15], s[6:7], s31, v28, 0
	v_lshl_add_u64 v[14:15], v[14:15], 1, s[4:5]
	v_lshlrev_b32_e32 v16, 1, v26
	v_mov_b32_e32 v17, 0
	v_lshl_add_u64 v[14:15], v[14:15], 0, v[16:17]
	global_load_dwordx4 v[14:17], v[14:15], off
.LBB721_37:
	s_or_b64 exec, exec, s[2:3]
	v_mov_b32_e32 v25, 0
	v_mov_b32_e32 v18, 0
	;; [unrolled: 1-line block ×5, first 2 shown]
	s_and_saveexec_b64 s[2:3], vcc
	s_cbranch_execz .LBB721_39
; %bb.38:
	v_mad_i64_i32 v[18:19], s[6:7], s31, v27, 0
	v_lshl_add_u64 v[18:19], v[18:19], 1, s[4:5]
	v_lshlrev_b32_e32 v20, 1, v26
	v_mov_b32_e32 v21, 0
	v_lshl_add_u64 v[18:19], v[18:19], 0, v[20:21]
	global_load_dwordx4 v[18:21], v[18:19], off offset:128
.LBB721_39:
	s_or_b64 exec, exec, s[2:3]
	v_mov_b32_e32 v24, 0
	v_mov_b32_e32 v23, 0
	;; [unrolled: 1-line block ×3, first 2 shown]
	s_and_saveexec_b64 s[2:3], s[0:1]
	s_cbranch_execz .LBB721_41
; %bb.40:
	v_mad_i64_i32 v[22:23], s[0:1], s31, v28, 0
	v_lshl_add_u64 v[22:23], v[22:23], 1, s[4:5]
	v_lshlrev_b32_e32 v24, 1, v26
	v_mov_b32_e32 v25, 0
	v_lshl_add_u64 v[22:23], v[22:23], 0, v[24:25]
	global_load_dwordx4 v[22:25], v[22:23], off offset:128
.LBB721_41:
	s_or_b64 exec, exec, s[2:3]
	s_branch .LBB721_45
.LBB721_42:
                                        ; implicit-def: $vgpr13
                                        ; implicit-def: $vgpr17
                                        ; implicit-def: $vgpr21
                                        ; implicit-def: $vgpr25
	v_lshrrev_b32_e32 v27, 2, v57
	s_branch .LBB721_46
.LBB721_43:
                                        ; implicit-def: $vgpr13
                                        ; implicit-def: $vgpr17
                                        ; implicit-def: $vgpr21
                                        ; implicit-def: $vgpr25
	s_cbranch_execz .LBB721_45
; %bb.44:
	s_waitcnt vmcnt(0)
	v_mad_u64_u32 v[10:11], s[0:1], v27, s31, v[26:27]
	v_lshlrev_b32_e32 v27, 1, v10
	s_lshl_b32 s2, s31, 7
	s_and_b32 s1, s5, 0xffff
	s_mov_b32 s3, 0x20000
	s_mov_b32 s0, s4
	v_add_lshl_u32 v28, v10, s31, 1
	s_movk_i32 s6, 0x80
	buffer_load_dwordx4 v[10:13], v27, s[0:3], 0 offen
	buffer_load_dwordx4 v[18:21], v27, s[0:3], s6 offen
	;; [unrolled: 1-line block ×4, first 2 shown]
.LBB721_45:
	v_lshrrev_b32_e32 v27, 2, v57
	s_cbranch_execnz .LBB721_58
.LBB721_46:
	s_and_b64 vcc, exec, s[18:19]
	s_cbranch_vccz .LBB721_56
; %bb.47:
	s_waitcnt vmcnt(0)
	v_lshlrev_b32_e32 v15, 1, v44
	v_cmp_gt_i32_e32 vcc, s46, v15
	v_mov_b32_e32 v14, 0
	v_lshlrev_b32_e32 v22, 9, v44
	v_mov_b32_e32 v10, 0
	v_mov_b32_e32 v11, 0
	;; [unrolled: 1-line block ×4, first 2 shown]
	s_and_saveexec_b64 s[0:1], vcc
	s_cbranch_execz .LBB721_49
; %bb.48:
	v_mov_b32_e32 v23, 0
	v_lshl_add_u64 v[10:11], s[4:5], 0, v[22:23]
	v_lshlrev_b32_e32 v12, 1, v26
	v_mov_b32_e32 v13, v23
	v_lshl_add_u64 v[10:11], v[10:11], 0, v[12:13]
	global_load_dwordx4 v[10:13], v[10:11], off
.LBB721_49:
	s_or_b64 exec, exec, s[0:1]
	v_or_b32_e32 v15, 1, v15
	v_cmp_gt_i32_e64 s[0:1], s46, v15
	v_lshlrev_b32_e32 v28, 8, v15
	v_mov_b32_e32 v15, 0
	v_mov_b32_e32 v16, 0
	;; [unrolled: 1-line block ×3, first 2 shown]
	s_and_saveexec_b64 s[2:3], s[0:1]
	s_cbranch_execz .LBB721_51
; %bb.50:
	v_mov_b32_e32 v29, 0
	v_lshl_add_u64 v[14:15], s[4:5], 0, v[28:29]
	v_lshlrev_b32_e32 v16, 1, v26
	v_mov_b32_e32 v17, v29
	v_lshl_add_u64 v[14:15], v[14:15], 0, v[16:17]
	global_load_dwordx4 v[14:17], v[14:15], off
.LBB721_51:
	s_or_b64 exec, exec, s[2:3]
	v_mov_b32_e32 v25, 0
	v_mov_b32_e32 v18, 0
	;; [unrolled: 1-line block ×5, first 2 shown]
	s_and_saveexec_b64 s[2:3], vcc
	s_cbranch_execz .LBB721_53
; %bb.52:
	v_mov_b32_e32 v23, 0
	v_lshl_add_u64 v[18:19], s[4:5], 0, v[22:23]
	v_lshlrev_b32_e32 v22, 1, v26
	v_lshl_add_u64 v[18:19], v[18:19], 0, v[22:23]
	global_load_dwordx4 v[18:21], v[18:19], off offset:128
.LBB721_53:
	s_or_b64 exec, exec, s[2:3]
	v_mov_b32_e32 v24, 0
	v_mov_b32_e32 v23, 0
	;; [unrolled: 1-line block ×3, first 2 shown]
	s_and_saveexec_b64 s[2:3], s[0:1]
	s_cbranch_execz .LBB721_55
; %bb.54:
	v_mov_b32_e32 v29, 0
	v_lshl_add_u64 v[22:23], s[4:5], 0, v[28:29]
	v_lshlrev_b32_e32 v28, 1, v26
	v_lshl_add_u64 v[22:23], v[22:23], 0, v[28:29]
	global_load_dwordx4 v[22:25], v[22:23], off offset:128
.LBB721_55:
	s_or_b64 exec, exec, s[2:3]
	s_branch .LBB721_58
.LBB721_56:
                                        ; implicit-def: $vgpr13
                                        ; implicit-def: $vgpr17
                                        ; implicit-def: $vgpr21
                                        ; implicit-def: $vgpr25
	s_cbranch_execz .LBB721_58
; %bb.57:
	s_waitcnt vmcnt(0)
	v_lshlrev_b32_e32 v10, 1, v26
	v_lshl_or_b32 v26, v44, 9, v10
	s_and_b32 s5, s5, 0xffff
	s_mov_b32 s7, 0x20000
	s_movk_i32 s6, 0x4000
	s_movk_i32 s0, 0x80
	buffer_load_dwordx4 v[10:13], v26, s[4:7], 0 offen
	buffer_load_dwordx4 v[14:17], v26, s[4:7], 0 offen offset:256
	buffer_load_dwordx4 v[18:21], v26, s[4:7], s0 offen
	buffer_load_dwordx4 v[22:25], v26, s[4:7], s0 offen offset:256
.LBB721_58:
	v_and_b32_e32 v47, 12, v27
	ds_read2st64_b64 v[30:33], v45 offset0:76 offset1:77
	ds_read2st64_b64 v[26:29], v45 offset0:78 offset1:79
	ds_read_b64 v[40:41], v34 offset:24576
	ds_read_b64 v[38:39], v35 offset:24576
	;; [unrolled: 1-line block ×4, first 2 shown]
	v_and_b32_e32 v46, 6, v0
	v_xor_b32_e32 v44, v44, v46
	v_lshlrev_b32_e32 v44, 2, v44
	v_and_b32_e32 v48, 1, v0
	v_xor_b32_e32 v49, 0x440, v44
	v_cmp_eq_u32_e32 vcc, 0, v48
	s_mov_b32 s0, 0x1000504
	s_waitcnt vmcnt(0)
	v_perm_b32 v48, v18, v22, s0
	v_cndmask_b32_e32 v44, v49, v44, vcc
	v_lshl_or_b32 v44, v46, 10, v44
	v_perm_b32 v46, v10, v14, s0
	ds_write2st64_b32 v44, v46, v48 offset1:32
	v_xor_b32_e32 v46, 8, v44
	s_mov_b32 s1, 0x3020706
	v_perm_b32 v10, v10, v14, s1
	v_perm_b32 v14, v18, v22, s1
	v_add_u32_e32 v18, 0x80, v46
	ds_write2st64_b32 v18, v10, v14 offset1:32
	v_xor_b32_e32 v10, 16, v44
	v_perm_b32 v14, v11, v15, s0
	v_perm_b32 v18, v19, v23, s0
	ds_write2st64_b32 v10, v14, v18 offset0:1 offset1:33
	v_xor_b32_e32 v10, 24, v44
	v_perm_b32 v11, v11, v15, s1
	v_perm_b32 v14, v19, v23, s1
	v_add_u32_e32 v10, 0x80, v10
	ds_write2st64_b32 v10, v11, v14 offset0:1 offset1:33
	v_xor_b32_e32 v10, 32, v44
	v_perm_b32 v11, v12, v16, s0
	v_perm_b32 v14, v20, v24, s0
	ds_write2st64_b32 v10, v11, v14 offset0:2 offset1:34
	v_xor_b32_e32 v10, 40, v44
	v_perm_b32 v11, v12, v16, s1
	v_perm_b32 v12, v20, v24, s1
	v_add_u32_e32 v10, 0x80, v10
	ds_write2st64_b32 v10, v11, v12 offset0:2 offset1:34
	v_xor_b32_e32 v10, 48, v44
	v_perm_b32 v11, v13, v17, s0
	v_perm_b32 v12, v21, v25, s0
	ds_write2st64_b32 v10, v11, v12 offset0:3 offset1:35
	v_xor_b32_e32 v10, 56, v44
	v_or_b32_e32 v18, v47, v53
	v_perm_b32 v11, v13, v17, s1
	v_perm_b32 v12, v21, v25, s1
	v_add_u32_e32 v10, 0x80, v10
	v_cmp_gt_i32_e32 vcc, s46, v18
	v_mov_b32_e32 v20, 0
	v_mov_b32_e32 v24, 0
	ds_write2st64_b32 v10, v11, v12 offset0:3 offset1:35
	s_and_saveexec_b64 s[0:1], vcc
	s_cbranch_execz .LBB721_60
; %bb.59:
	v_add_u32_e32 v10, s34, v18
	v_ashrrev_i32_e32 v11, 31, v10
	v_mul_lo_u32 v12, v11, s10
	v_mul_lo_u32 v13, v10, s11
	v_mad_u64_u32 v[10:11], s[2:3], v10, s10, 0
	v_add3_u32 v11, v11, v13, v12
	v_lshl_add_u64 v[10:11], v[10:11], 2, s[12:13]
	global_load_dword v10, v[10:11], off
	s_waitcnt vmcnt(0)
	v_sub_f32_e32 v10, s16, v10
	v_mul_f32_e32 v10, 0x3fb8aa3b, v10
	v_exp_f32_e32 v24, v10
.LBB721_60:
	s_or_b64 exec, exec, s[0:1]
	v_or_b32_e32 v23, 1, v18
	v_cmp_gt_i32_e64 s[4:5], s46, v23
	s_and_saveexec_b64 s[0:1], s[4:5]
	s_cbranch_execz .LBB721_62
; %bb.61:
	v_add_u32_e32 v10, s34, v23
	v_ashrrev_i32_e32 v11, 31, v10
	v_mul_lo_u32 v12, v11, s10
	v_mul_lo_u32 v13, v10, s11
	v_mad_u64_u32 v[10:11], s[2:3], v10, s10, 0
	v_add3_u32 v11, v11, v13, v12
	v_lshl_add_u64 v[10:11], v[10:11], 2, s[12:13]
	global_load_dword v10, v[10:11], off
	s_waitcnt vmcnt(0)
	v_sub_f32_e32 v10, s16, v10
	v_mul_f32_e32 v10, 0x3fb8aa3b, v10
	v_exp_f32_e32 v20, v10
.LBB721_62:
	s_or_b64 exec, exec, s[0:1]
	v_or_b32_e32 v21, 2, v18
	v_cmp_gt_i32_e64 s[0:1], s46, v21
	v_mov_b32_e32 v19, 0
	v_mov_b32_e32 v25, 0
	s_and_saveexec_b64 s[2:3], s[0:1]
	s_cbranch_execz .LBB721_64
; %bb.63:
	v_add_u32_e32 v10, s34, v21
	v_ashrrev_i32_e32 v11, 31, v10
	v_mul_lo_u32 v12, v11, s10
	v_mul_lo_u32 v13, v10, s11
	v_mad_u64_u32 v[10:11], s[6:7], v10, s10, 0
	v_add3_u32 v11, v11, v13, v12
	v_lshl_add_u64 v[10:11], v[10:11], 2, s[12:13]
	global_load_dword v10, v[10:11], off
	s_waitcnt vmcnt(0)
	v_sub_f32_e32 v10, s16, v10
	v_mul_f32_e32 v10, 0x3fb8aa3b, v10
	v_exp_f32_e32 v25, v10
.LBB721_64:
	s_or_b64 exec, exec, s[2:3]
	v_or_b32_e32 v22, 3, v18
	v_cmp_gt_i32_e64 s[2:3], s46, v22
	s_and_saveexec_b64 s[6:7], s[2:3]
	s_cbranch_execz .LBB721_66
; %bb.65:
	v_add_u32_e32 v10, s34, v22
	v_ashrrev_i32_e32 v11, 31, v10
	v_mul_lo_u32 v12, v11, s10
	v_mul_lo_u32 v13, v10, s11
	v_mad_u64_u32 v[10:11], s[10:11], v10, s10, 0
	v_add3_u32 v11, v11, v13, v12
	v_lshl_add_u64 v[10:11], v[10:11], 2, s[12:13]
	global_load_dword v10, v[10:11], off
	s_waitcnt vmcnt(0)
	v_sub_f32_e32 v10, s16, v10
	v_mul_f32_e32 v10, 0x3fb8aa3b, v10
	v_exp_f32_e32 v19, v10
.LBB721_66:
	s_or_b64 exec, exec, s[6:7]
	s_waitcnt lgkmcnt(11)
	v_mfma_f32_16x16x16_bf16 a[0:3], v[40:41], v[30:31], a[0:3]
	s_add_u32 s6, s20, s36
	v_ashrrev_i32_e32 v59, 31, v58
	s_addc_u32 s7, s21, s37
	s_waitcnt lgkmcnt(10)
	v_mfma_f32_16x16x16_bf16 a[0:3], v[38:39], v[32:33], a[0:3]
	v_lshlrev_b64 v[10:11], 1, v[58:59]
	v_lshl_add_u64 v[14:15], s[6:7], 0, v[10:11]
	s_add_u32 s6, s14, s36
	s_waitcnt lgkmcnt(9)
	v_mfma_f32_16x16x16_bf16 a[0:3], v[36:37], v[26:27], a[0:3]
	s_addc_u32 s7, s15, s37
	v_lshl_add_u64 v[16:17], s[6:7], 0, v[10:11]
	v_mov_b32_e32 v26, 0
	s_waitcnt lgkmcnt(8)
	v_mfma_f32_16x16x16_bf16 a[0:3], v[34:35], v[28:29], a[0:3]
	v_mov_b32_e32 v27, 0
	s_nop 5
	v_accvgpr_read_b32 v13, a3
	v_accvgpr_read_b32 v12, a2
	v_accvgpr_read_b32 v11, a1
	v_accvgpr_read_b32 v10, a0
	s_and_saveexec_b64 s[6:7], vcc
	s_cbranch_execz .LBB721_68
; %bb.67:
	v_lshlrev_b32_e32 v28, 8, v18
	v_mov_b32_e32 v29, 0
	v_lshl_add_u64 v[30:31], v[14:15], 0, v[28:29]
	global_load_ushort v27, v[30:31], off
	v_lshl_add_u64 v[28:29], v[16:17], 0, v[28:29]
	s_waitcnt vmcnt(0)
	v_lshlrev_b32_e32 v27, 16, v27
	v_sub_f32_e32 v10, v27, v10
	global_store_short_d16_hi v[28:29], v10, off
	v_mul_f32_e32 v10, v24, v10
	v_lshrrev_b32_e32 v27, 16, v10
.LBB721_68:
	s_or_b64 exec, exec, s[6:7]
	s_and_saveexec_b64 s[6:7], s[4:5]
	s_cbranch_execz .LBB721_70
; %bb.69:
	v_lshlrev_b32_e32 v28, 8, v23
	v_mov_b32_e32 v29, 0
	v_lshl_add_u64 v[30:31], v[14:15], 0, v[28:29]
	global_load_ushort v10, v[30:31], off
	v_lshl_add_u64 v[28:29], v[16:17], 0, v[28:29]
	s_waitcnt vmcnt(0)
	v_lshlrev_b32_e32 v10, 16, v10
	v_sub_f32_e32 v10, v10, v11
	global_store_short_d16_hi v[28:29], v10, off
	v_mul_f32_e32 v10, v20, v10
	v_lshrrev_b32_e32 v26, 16, v10
.LBB721_70:
	s_or_b64 exec, exec, s[6:7]
	v_mov_b32_e32 v11, 0
	v_mov_b32_e32 v20, 0
	s_and_saveexec_b64 s[4:5], s[0:1]
	s_cbranch_execz .LBB721_72
; %bb.71:
	v_lshlrev_b32_e32 v20, 8, v21
	v_mov_b32_e32 v21, 0
	v_lshl_add_u64 v[28:29], v[14:15], 0, v[20:21]
	global_load_ushort v10, v[28:29], off
	v_lshl_add_u64 v[20:21], v[16:17], 0, v[20:21]
	s_waitcnt vmcnt(0)
	v_lshlrev_b32_e32 v10, 16, v10
	v_sub_f32_e32 v10, v10, v12
	global_store_short_d16_hi v[20:21], v10, off
	v_mul_f32_e32 v10, v25, v10
	v_lshrrev_b32_e32 v20, 16, v10
.LBB721_72:
	s_or_b64 exec, exec, s[4:5]
	v_or_b32_e32 v10, 0x9800, v45
	s_and_saveexec_b64 s[0:1], s[2:3]
	s_cbranch_execz .LBB721_74
; %bb.73:
	v_lshlrev_b32_e32 v22, 8, v22
	v_mov_b32_e32 v23, 0
	v_lshl_add_u64 v[14:15], v[14:15], 0, v[22:23]
	global_load_ushort v11, v[14:15], off
	v_lshl_add_u64 v[14:15], v[16:17], 0, v[22:23]
	s_waitcnt vmcnt(0)
	v_lshlrev_b32_e32 v11, 16, v11
	v_sub_f32_e32 v11, v11, v13
	global_store_short_d16_hi v[14:15], v11, off
	v_mul_f32_e32 v11, v19, v11
	v_lshrrev_b32_e32 v11, 16, v11
.LBB721_74:
	s_or_b64 exec, exec, s[0:1]
	s_mov_b32 s0, 0x5040100
	v_perm_b32 v13, v11, v20, s0
	v_lshlrev_b32_e32 v11, 1, v42
	v_perm_b32 v12, v26, v27, s0
	v_lshl_or_b32 v11, v18, 5, v11
	s_movk_i32 s2, 0xff
	ds_write_b64 v11, v[12:13] offset:38912
	v_and_b32_e32 v11, 7, v0
	v_cmp_lt_u32_e32 vcc, s2, v0
	v_and_b32_e32 v12, 8, v0
	v_lshlrev_b32_e32 v20, 3, v11
	v_lshlrev_b32_e32 v32, 7, v11
	v_cndmask_b32_e64 v11, 0, 1, vcc
	v_lshrrev_b32_e32 v0, 1, v0
	v_lshlrev_b32_e32 v22, 13, v11
	v_lshlrev_b32_e32 v11, 3, v1
	v_and_b32_e32 v0, 24, v0
	v_xor_b32_e32 v13, v11, v0
	v_or_b32_e32 v14, 0x440, v13
	v_cmp_eq_u32_e32 vcc, 0, v12
	s_mul_i32 s0, s17, s29
	s_mul_hi_i32 s1, s17, s29
	v_cndmask_b32_e32 v12, v14, v13, vcc
	v_or_b32_e32 v12, v12, v43
	v_xor_b32_e32 v33, v12, v20
	v_or_b32_e32 v12, 32, v0
	v_xor_b32_e32 v12, v11, v12
	v_or_b32_e32 v13, 0x440, v12
	v_cndmask_b32_e32 v12, v13, v12, vcc
	v_or_b32_e32 v12, v12, v43
	v_xor_b32_e32 v34, v12, v20
	v_or_b32_e32 v12, 64, v0
	v_xor_b32_e32 v12, v11, v12
	v_xor_b32_e32 v13, 0x440, v12
	v_cndmask_b32_e32 v12, v13, v12, vcc
	v_or_b32_e32 v0, 0x60, v0
	s_add_u32 s0, s0, s33
	v_add3_u32 v23, v22, v33, v32
	v_or_b32_e32 v12, v12, v43
	v_xor_b32_e32 v0, v11, v0
	s_waitcnt lgkmcnt(0)
	s_barrier
	s_addc_u32 s1, s1, s48
	v_lshlrev_b32_e32 v21, 2, v18
	v_xor_b32_e32 v35, v12, v20
	ds_read2st64_b64 v[12:15], v10 offset1:1
	ds_read2st64_b64 v[16:19], v10 offset0:2 offset1:3
	ds_read_b64 v[10:11], v23
	v_xor_b32_e32 v23, 0x440, v0
	s_lshl_b64 s[0:1], s[0:1], 9
	v_cndmask_b32_e32 v0, v23, v0, vcc
	s_add_u32 s0, s8, s0
	v_or_b32_e32 v0, v0, v43
	s_addc_u32 s1, s9, s1
	v_add3_u32 v24, v22, v34, v32
	v_xor_b32_e32 v36, v0, v20
	v_add3_u32 v26, v22, v35, v32
	v_add3_u32 v0, v22, v36, v32
	ds_read_b64 v[24:25], v24
	ds_read_b64 v[28:29], v26
	;; [unrolled: 1-line block ×3, first 2 shown]
	global_load_dwordx4 v[20:23], v21, s[0:1]
	s_waitcnt lgkmcnt(3)
	v_mfma_f32_16x16x16_bf16 a[0:3], v[10:11], v[12:13], 0
	v_lshlrev_b32_e32 v0, 6, v1
	v_lshlrev_b32_e32 v1, 2, v47
	s_movk_i32 s2, 0x100
	v_or3_b32 v0, v0, v1, s2
	s_waitcnt lgkmcnt(2)
	v_mfma_f32_16x16x16_bf16 a[0:3], v[24:25], v[14:15], a[0:3]
	global_load_dwordx4 v[24:27], v0, s[0:1]
	v_mov_b32_e32 v0, 0x3fb8aa3b
	v_mul_f32_e32 v0, s16, v0
	s_waitcnt lgkmcnt(1)
	v_mfma_f32_16x16x16_bf16 a[0:3], v[28:29], v[16:17], a[0:3]
	v_exp_f32_e32 v0, v0
	v_add_u32_e32 v1, v33, v32
	v_add_u32_e32 v33, v34, v32
	s_waitcnt lgkmcnt(0)
	v_mfma_f32_16x16x16_bf16 a[0:3], v[30:31], v[18:19], a[0:3]
	ds_read_b64 v[30:31], v1 offset:8192
	s_waitcnt vmcnt(1)
	v_mul_f32_e32 v20, 0x3fb8aa3b, v20
	v_mul_f32_e32 v21, 0x3fb8aa3b, v21
	v_exp_f32_e32 v20, v20
	v_exp_f32_e32 v21, v21
	s_nop 0
	v_accvgpr_read_b32 v29, a1
	v_accvgpr_read_b32 v28, a0
	v_mul_f32_e32 v22, 0x3fb8aa3b, v22
	v_pk_mul_f32 v[20:21], v[0:1], v[20:21] op_sel_hi:[0,1]
	v_pk_fma_f32 v[6:7], v[6:7], v[20:21], v[28:29]
	ds_read_b64 v[20:21], v33 offset:8192
	v_mul_f32_e32 v23, 0x3fb8aa3b, v23
	v_exp_f32_e32 v22, v22
	v_exp_f32_e32 v23, v23
	v_accvgpr_read_b32 v11, a3
	v_accvgpr_read_b32 v10, a2
	s_waitcnt lgkmcnt(1)
	v_mfma_f32_16x16x16_bf16 a[0:3], v[30:31], v[12:13], 0
	v_pk_mul_f32 v[22:23], v[0:1], v[22:23] op_sel_hi:[0,1]
	v_add_u32_e32 v1, v35, v32
	v_pk_fma_f32 v[8:9], v[8:9], v[22:23], v[10:11]
	v_add_u32_e32 v10, v36, v32
	ds_read_b64 v[22:23], v1 offset:8192
	ds_read_b64 v[28:29], v10 offset:8192
	s_waitcnt lgkmcnt(2)
	v_mfma_f32_16x16x16_bf16 a[0:3], v[20:21], v[14:15], a[0:3]
	s_waitcnt vmcnt(0)
	v_mov_b32_e32 v10, v25
	v_mul_f32_e32 v1, 0x3fb8aa3b, v24
	v_mov_b32_e32 v11, v26
	s_waitcnt lgkmcnt(1)
	v_mfma_f32_16x16x16_bf16 a[0:3], v[22:23], v[16:17], a[0:3]
	v_exp_f32_e32 v24, v1
	v_mul_f32_e32 v1, 0x3fb8aa3b, v10
	v_mov_b32_e32 v12, v27
	v_exp_f32_e32 v25, v1
	v_mul_f32_e32 v1, 0x3fb8aa3b, v11
	v_exp_f32_e32 v10, v1
	v_mul_f32_e32 v1, 0x3fb8aa3b, v12
	s_waitcnt lgkmcnt(0)
	v_mfma_f32_16x16x16_bf16 a[0:3], v[28:29], v[18:19], a[0:3]
	v_exp_f32_e32 v11, v1
	v_pk_mul_f32 v[14:15], v[0:1], v[24:25] op_sel_hi:[0,1]
	v_pk_mul_f32 v[0:1], v[0:1], v[10:11] op_sel_hi:[0,1]
	s_nop 3
	v_accvgpr_read_b32 v17, a1
	v_accvgpr_read_b32 v13, a3
	;; [unrolled: 1-line block ×4, first 2 shown]
	v_pk_fma_f32 v[2:3], v[2:3], v[14:15], v[16:17]
	v_pk_fma_f32 v[4:5], v[4:5], v[0:1], v[12:13]
.LBB721_75:
	s_add_u32 s0, s24, s26
	s_addc_u32 s1, s25, s27
	v_lshl_add_u64 v[0:1], v[54:55], 2, s[0:1]
	v_mov_b32_e32 v57, 0
	v_lshl_add_u64 v[0:1], v[0:1], 0, v[56:57]
	s_waitcnt vmcnt(1)
	global_store_dwordx4 v[0:1], v[6:9], off
	s_waitcnt vmcnt(1)
	global_store_dwordx4 v[0:1], v[2:5], off offset:256
	s_endpgm
	.section	.rodata,"a",@progbits
	.p2align	6, 0x0
	.amdhsa_kernel _ZN12_GLOBAL__N_139chunk_gated_delta_rule_fwd_h_hip_kernelILi16ELb1ELb1ELb1ELb1ELb0ELb1ELb0ELb0EEEvPK12hip_bfloat16S3_S3_PKfS5_PKvPS1_S8_PvPKiSB_iiiiilll
		.amdhsa_group_segment_fixed_size 40960
		.amdhsa_private_segment_fixed_size 0
		.amdhsa_kernarg_size 136
		.amdhsa_user_sgpr_count 2
		.amdhsa_user_sgpr_dispatch_ptr 0
		.amdhsa_user_sgpr_queue_ptr 0
		.amdhsa_user_sgpr_kernarg_segment_ptr 1
		.amdhsa_user_sgpr_dispatch_id 0
		.amdhsa_user_sgpr_kernarg_preload_length 0
		.amdhsa_user_sgpr_kernarg_preload_offset 0
		.amdhsa_user_sgpr_private_segment_size 0
		.amdhsa_uses_dynamic_stack 0
		.amdhsa_enable_private_segment 0
		.amdhsa_system_sgpr_workgroup_id_x 1
		.amdhsa_system_sgpr_workgroup_id_y 1
		.amdhsa_system_sgpr_workgroup_id_z 0
		.amdhsa_system_sgpr_workgroup_info 0
		.amdhsa_system_vgpr_workitem_id 0
		.amdhsa_next_free_vgpr 132
		.amdhsa_next_free_sgpr 70
		.amdhsa_accum_offset 120
		.amdhsa_reserve_vcc 1
		.amdhsa_float_round_mode_32 0
		.amdhsa_float_round_mode_16_64 0
		.amdhsa_float_denorm_mode_32 3
		.amdhsa_float_denorm_mode_16_64 3
		.amdhsa_dx10_clamp 1
		.amdhsa_ieee_mode 1
		.amdhsa_fp16_overflow 0
		.amdhsa_tg_split 0
		.amdhsa_exception_fp_ieee_invalid_op 0
		.amdhsa_exception_fp_denorm_src 0
		.amdhsa_exception_fp_ieee_div_zero 0
		.amdhsa_exception_fp_ieee_overflow 0
		.amdhsa_exception_fp_ieee_underflow 0
		.amdhsa_exception_fp_ieee_inexact 0
		.amdhsa_exception_int_div_zero 0
	.end_amdhsa_kernel
	.section	.text._ZN12_GLOBAL__N_139chunk_gated_delta_rule_fwd_h_hip_kernelILi16ELb1ELb1ELb1ELb1ELb0ELb1ELb0ELb0EEEvPK12hip_bfloat16S3_S3_PKfS5_PKvPS1_S8_PvPKiSB_iiiiilll,"axG",@progbits,_ZN12_GLOBAL__N_139chunk_gated_delta_rule_fwd_h_hip_kernelILi16ELb1ELb1ELb1ELb1ELb0ELb1ELb0ELb0EEEvPK12hip_bfloat16S3_S3_PKfS5_PKvPS1_S8_PvPKiSB_iiiiilll,comdat
.Lfunc_end721:
	.size	_ZN12_GLOBAL__N_139chunk_gated_delta_rule_fwd_h_hip_kernelILi16ELb1ELb1ELb1ELb1ELb0ELb1ELb0ELb0EEEvPK12hip_bfloat16S3_S3_PKfS5_PKvPS1_S8_PvPKiSB_iiiiilll, .Lfunc_end721-_ZN12_GLOBAL__N_139chunk_gated_delta_rule_fwd_h_hip_kernelILi16ELb1ELb1ELb1ELb1ELb0ELb1ELb0ELb0EEEvPK12hip_bfloat16S3_S3_PKfS5_PKvPS1_S8_PvPKiSB_iiiiilll
                                        ; -- End function
	.section	.AMDGPU.csdata,"",@progbits
; Kernel info:
; codeLenInByte = 8244
; NumSgprs: 76
; NumVgprs: 118
; NumAgprs: 12
; TotalNumVgprs: 132
; ScratchSize: 0
; MemoryBound: 0
; FloatMode: 240
; IeeeMode: 1
; LDSByteSize: 40960 bytes/workgroup (compile time only)
; SGPRBlocks: 9
; VGPRBlocks: 16
; NumSGPRsForWavesPerEU: 76
; NumVGPRsForWavesPerEU: 132
; AccumOffset: 120
; Occupancy: 1
; WaveLimiterHint : 1
; COMPUTE_PGM_RSRC2:SCRATCH_EN: 0
; COMPUTE_PGM_RSRC2:USER_SGPR: 2
; COMPUTE_PGM_RSRC2:TRAP_HANDLER: 0
; COMPUTE_PGM_RSRC2:TGID_X_EN: 1
; COMPUTE_PGM_RSRC2:TGID_Y_EN: 1
; COMPUTE_PGM_RSRC2:TGID_Z_EN: 0
; COMPUTE_PGM_RSRC2:TIDIG_COMP_CNT: 0
; COMPUTE_PGM_RSRC3_GFX90A:ACCUM_OFFSET: 29
; COMPUTE_PGM_RSRC3_GFX90A:TG_SPLIT: 0
	.section	.text._ZN12_GLOBAL__N_139chunk_gated_delta_rule_fwd_h_hip_kernelILi16ELb1ELb1ELb0ELb1ELb0ELb1ELb0ELb0EEEvPK12hip_bfloat16S3_S3_PKfS5_PKvPS1_S8_PvPKiSB_iiiiilll,"axG",@progbits,_ZN12_GLOBAL__N_139chunk_gated_delta_rule_fwd_h_hip_kernelILi16ELb1ELb1ELb0ELb1ELb0ELb1ELb0ELb0EEEvPK12hip_bfloat16S3_S3_PKfS5_PKvPS1_S8_PvPKiSB_iiiiilll,comdat
	.globl	_ZN12_GLOBAL__N_139chunk_gated_delta_rule_fwd_h_hip_kernelILi16ELb1ELb1ELb0ELb1ELb0ELb1ELb0ELb0EEEvPK12hip_bfloat16S3_S3_PKfS5_PKvPS1_S8_PvPKiSB_iiiiilll ; -- Begin function _ZN12_GLOBAL__N_139chunk_gated_delta_rule_fwd_h_hip_kernelILi16ELb1ELb1ELb0ELb1ELb0ELb1ELb0ELb0EEEvPK12hip_bfloat16S3_S3_PKfS5_PKvPS1_S8_PvPKiSB_iiiiilll
	.p2align	8
	.type	_ZN12_GLOBAL__N_139chunk_gated_delta_rule_fwd_h_hip_kernelILi16ELb1ELb1ELb0ELb1ELb0ELb1ELb0ELb0EEEvPK12hip_bfloat16S3_S3_PKfS5_PKvPS1_S8_PvPKiSB_iiiiilll,@function
_ZN12_GLOBAL__N_139chunk_gated_delta_rule_fwd_h_hip_kernelILi16ELb1ELb1ELb0ELb1ELb0ELb1ELb0ELb0EEEvPK12hip_bfloat16S3_S3_PKfS5_PKvPS1_S8_PvPKiSB_iiiiilll: ; @_ZN12_GLOBAL__N_139chunk_gated_delta_rule_fwd_h_hip_kernelILi16ELb1ELb1ELb0ELb1ELb0ELb1ELb0ELb0EEEvPK12hip_bfloat16S3_S3_PKfS5_PKvPS1_S8_PvPKiSB_iiiiilll
; %bb.0:
	s_load_dwordx4 s[16:19], s[0:1], 0x5c
	s_load_dwordx4 s[24:27], s[0:1], 0x70
	s_abs_i32 s7, s3
	s_ashr_i32 s6, s3, 31
	s_load_dwordx4 s[12:15], s[0:1], 0x40
	s_load_dwordx2 s[4:5], s[0:1], 0x50
	s_waitcnt lgkmcnt(0)
	s_abs_i32 s10, s17
	v_cvt_f32_u32_e32 v1, s10
	s_sub_i32 s8, 0, s10
	s_ashr_i32 s11, s17, 31
	s_xor_b32 s6, s6, s11
	v_rcp_iflag_f32_e32 v1, v1
	v_and_b32_e32 v65, 15, v0
	v_bfe_u32 v64, v0, 4, 2
	v_mov_b32_e32 v57, 0
	v_mul_f32_e32 v1, 0x4f7ffffe, v1
	v_cvt_u32_f32_e32 v1, v1
	v_lshlrev_b32_e32 v66, 3, v0
	v_readfirstlane_b32 s9, v1
	s_mul_i32 s8, s8, s9
	s_mul_hi_u32 s8, s9, s8
	s_add_i32 s9, s9, s8
	s_mul_hi_u32 s8, s7, s9
	s_mul_i32 s9, s8, s10
	s_sub_i32 s7, s7, s9
	s_add_i32 s20, s8, 1
	s_sub_i32 s9, s7, s10
	s_cmp_ge_u32 s7, s10
	s_cselect_b32 s8, s20, s8
	s_cselect_b32 s7, s9, s7
	s_add_i32 s9, s8, 1
	s_cmp_ge_u32 s7, s10
	s_cselect_b32 s7, s9, s8
	s_xor_b32 s7, s7, s6
	s_sub_i32 s28, s7, s6
	s_mul_i32 s36, s28, s17
	s_ashr_i32 s29, s28, 31
	s_sub_i32 s33, s3, s36
	s_lshl_b64 s[6:7], s[28:29], 2
	s_add_u32 s8, s14, s6
	s_addc_u32 s9, s15, s7
	s_add_u32 s30, s4, s6
	s_addc_u32 s31, s5, s7
	s_abs_i32 s3, s18
	v_cvt_f32_u32_e32 v1, s3
	s_load_dwordx2 s[34:35], s[8:9], 0x0
	s_sub_i32 s5, 0, s3
	s_lshl_b32 s2, s2, 4
	v_rcp_iflag_f32_e32 v1, v1
	s_load_dwordx4 s[20:23], s[0:1], 0x20
	s_load_dwordx2 s[40:41], s[0:1], 0x30
	s_waitcnt lgkmcnt(0)
	s_sub_i32 s54, s35, s34
	s_ashr_i32 s4, s54, 31
	v_mul_f32_e32 v1, 0x4f7ffffe, v1
	v_cvt_u32_f32_e32 v1, v1
	s_lshr_b32 s4, s4, 26
	s_add_i32 s4, s54, s4
	s_ashr_i32 s53, s4, 6
	v_readfirstlane_b32 s6, v1
	s_mul_i32 s5, s5, s6
	s_mul_hi_u32 s5, s6, s5
	s_add_i32 s6, s6, s5
	s_mul_hi_u32 s5, s10, s6
	s_mul_i32 s6, s5, s3
	s_ashr_i32 s4, s18, 31
	s_sub_i32 s6, s10, s6
	s_xor_b32 s4, s11, s4
	s_add_i32 s7, s5, 1
	s_sub_i32 s8, s6, s3
	s_cmp_ge_u32 s6, s3
	s_cselect_b32 s5, s7, s5
	s_cselect_b32 s6, s8, s6
	s_add_i32 s7, s5, 1
	s_cmp_ge_u32 s6, s3
	s_cselect_b32 s3, s7, s5
	s_xor_b32 s3, s3, s4
	s_sub_i32 s3, s3, s4
	s_abs_i32 s4, s3
	v_cvt_f32_u32_e32 v1, s4
	s_sub_i32 s6, 0, s4
	s_abs_i32 s5, s33
	s_xor_b32 s3, s33, s3
	v_rcp_iflag_f32_e32 v2, v1
	s_ashr_i32 s3, s3, 31
	v_lshrrev_b32_e32 v1, 6, v0
	v_or_b32_e32 v58, s2, v65
	v_mul_f32_e32 v2, 0x4f7ffffe, v2
	v_cvt_u32_f32_e32 v2, v2
	v_lshlrev_b32_e32 v53, 4, v1
	v_lshlrev_b32_e32 v54, 7, v58
	v_lshl_or_b32 v68, v64, 2, v53
	v_readfirstlane_b32 s7, v2
	s_mul_i32 s6, s6, s7
	s_mul_hi_u32 s6, s7, s6
	s_add_i32 s7, s7, s6
	s_mul_hi_u32 s6, s5, s7
	s_mul_i32 s7, s6, s4
	s_sub_i32 s5, s5, s7
	s_add_i32 s7, s6, 1
	s_sub_i32 s8, s5, s4
	s_cmp_ge_u32 s5, s4
	s_cselect_b32 s6, s7, s6
	s_cselect_b32 s5, s8, s5
	s_add_i32 s7, s6, 1
	s_cmp_ge_u32 s5, s4
	s_cselect_b32 s4, s7, s6
	s_xor_b32 s4, s4, s3
	s_sub_i32 s55, s4, s3
	s_ashr_i32 s46, s33, 31
	s_mul_hi_i32 s3, s28, s17
	s_add_u32 s4, s36, s33
	s_addc_u32 s5, s3, s46
	s_lshl_b64 s[14:15], s[4:5], 16
	s_add_u32 s4, s22, s14
	s_addc_u32 s5, s23, s15
	v_ashrrev_i32_e32 v55, 31, v54
	v_lshl_add_u64 v[2:3], v[54:55], 2, s[4:5]
	v_lshlrev_b32_e32 v56, 2, v68
	v_lshl_add_u64 v[10:11], v[2:3], 0, v[56:57]
	global_load_dwordx4 v[6:9], v[10:11], off
	global_load_dwordx4 v[2:5], v[10:11], off offset:256
	s_load_dwordx8 s[4:11], s[0:1], 0x0
	s_load_dwordx2 s[22:23], s[0:1], 0x80
	s_load_dword s56, s[30:31], 0x0
	v_and_b32_e32 v57, 63, v0
	v_or_b32_e32 v69, 64, v68
	s_cmp_lt_i32 s54, 64
	s_mul_hi_i32 s57, s33, s16
	s_mul_i32 s58, s33, s16
	v_lshrrev_b32_e32 v67, 3, v57
	s_mul_i32 s47, s28, s25
	s_mul_hi_u32 s49, s28, s24
	s_mul_i32 s50, s29, s24
	s_mul_i32 s38, s28, s24
	;; [unrolled: 1-line block ×3, first 2 shown]
	s_mul_hi_u32 s51, s33, s26
	s_mul_i32 s52, s46, s26
	s_mul_i32 s36, s33, s26
	s_cbranch_scc1 .LBB722_18
; %bb.1:
	s_ashr_i32 s1, s34, 31
	s_add_u32 s0, s58, s34
	s_addc_u32 s1, s57, s1
	s_lshl_b64 s[0:1], s[0:1], 8
	v_and_b32_e32 v71, 56, v66
	s_waitcnt lgkmcnt(0)
	s_add_u32 s24, s6, s0
	v_lshl_or_b32 v70, v1, 3, v67
	v_lshlrev_b32_e32 v10, 1, v71
	s_addc_u32 s0, s7, s1
	v_lshl_or_b32 v72, v70, 8, v10
	s_and_b32 s25, s0, 0xffff
	s_mov_b32 s27, 0x20000
	s_movk_i32 s26, 0x4000
	s_movk_i32 s0, 0x80
	v_or_b32_e32 v73, 0x2000, v72
	buffer_load_dwordx4 v[12:15], v72, s[24:27], 0 offen
	buffer_load_dwordx4 v[16:19], v72, s[24:27], s0 offen
	;; [unrolled: 1-line block ×4, first 2 shown]
	v_lshlrev_b32_e32 v11, 3, v70
	v_and_or_b32 v29, v0, 7, v11
	v_and_b32_e32 v11, 0x78, v11
	v_lshlrev_b32_e32 v29, 4, v29
	v_xor_b32_e32 v74, v29, v11
	v_mul_lo_u32 v28, v70, s19
	v_or_b32_e32 v75, 0x1000, v74
	v_xor_b32_e32 v11, 8, v74
	s_cmpk_eq_i32 s19, 0x80
	s_mov_b32 s59, s34
	v_xor_b32_e32 v29, 8, v75
	s_cselect_b64 s[0:1], -1, 0
	s_cmpk_lg_i32 s19, 0x80
	s_waitcnt vmcnt(3)
	ds_write_b64 v74, v[12:13] offset:16384
	ds_write_b64 v11, v[14:15] offset:16384
	s_waitcnt vmcnt(2)
	ds_write_b64 v74, v[16:17] offset:24576
	ds_write_b64 v11, v[18:19] offset:24576
	;; [unrolled: 3-line block ×4, first 2 shown]
	v_lshl_add_u32 v11, v28, 1, v71
	s_cbranch_scc0 .LBB722_3
; %bb.2:
	v_lshlrev_b32_e32 v13, 1, v11
	v_add_lshl_u32 v12, v11, s19, 1
	s_lshl_b32 s26, s19, 7
	v_lshl_or_b32 v10, v70, 9, v10
	s_cbranch_execz .LBB722_4
	s_branch .LBB722_5
.LBB722_3:
                                        ; implicit-def: $vgpr12
                                        ; implicit-def: $vgpr13
                                        ; implicit-def: $sgpr26
	v_lshl_or_b32 v10, v70, 9, v10
.LBB722_4:
	v_or_b32_e32 v12, 0x100, v10
	s_movk_i32 s26, 0x4000
	v_mov_b32_e32 v13, v10
.LBB722_5:
	s_mul_i32 s24, s34, s18
	s_ashr_i32 s60, s55, 31
	s_mul_hi_i32 s3, s34, s18
	s_add_u32 s24, s24, s55
	s_addc_u32 s25, s3, s60
	s_lshl_b64 s[24:25], s[24:25], 8
	s_add_u32 s24, s4, s24
	s_addc_u32 s3, s5, s25
	s_and_b32 s25, s3, 0xffff
	s_movk_i32 s61, 0x80
	buffer_load_dwordx4 v[14:17], v13, s[24:27], 0 offen
	buffer_load_dwordx4 v[18:21], v13, s[24:27], s61 offen
	;; [unrolled: 1-line block ×4, first 2 shown]
	v_and_b32_e32 v12, 6, v0
	v_lshlrev_b32_e32 v30, 2, v65
	v_lshlrev_b32_e32 v31, 3, v65
	v_xor_b32_e32 v35, v70, v12
	v_and_b32_e32 v13, 1, v0
	v_lshl_or_b32 v31, v68, 5, v31
	v_xor_b32_e32 v36, v68, v30
	v_lshlrev_b32_e32 v35, 2, v35
	s_add_i32 s3, s49, s47
	v_or_b32_e32 v76, 0x9000, v31
	v_or_b32_e32 v77, 0x9800, v31
	v_lshlrev_b32_e32 v31, 1, v36
	v_xor_b32_e32 v36, 0x440, v35
	v_cmp_eq_u32_e32 vcc, 0, v13
	s_add_i32 s24, s51, s48
	s_add_i32 s39, s3, s50
	v_cndmask_b32_e32 v13, v36, v35, vcc
	s_add_i32 s37, s24, s52
	s_lshl_b64 s[24:25], s[38:39], 2
	s_mov_b32 s62, 0x1000504
	s_mov_b32 s63, 0x3020706
	v_lshlrev_b32_e32 v32, 8, v65
	s_mov_b32 s26, 0x8000
	v_xor_b32_e32 v30, v69, v30
	v_lshl_or_b32 v12, v12, 10, v13
	s_add_u32 s3, s10, s24
	v_or_b32_e32 v33, v53, v65
	v_lshlrev_b32_e32 v30, 1, v30
	v_or3_b32 v78, v31, v32, s26
	v_xor_b32_e32 v13, 8, v12
	v_xor_b32_e32 v31, 24, v12
	;; [unrolled: 1-line block ×4, first 2 shown]
	s_addc_u32 s28, s11, s25
	s_lshl_b64 s[24:25], s[36:37], 2
	v_or3_b32 v79, v30, v32, s26
	v_xor_b32_e32 v30, 16, v12
	v_xor_b32_e32 v32, 32, v12
	;; [unrolled: 1-line block ×3, first 2 shown]
	v_add_u32_e32 v13, 0x80, v13
	v_add_u32_e32 v31, 0x80, v31
	;; [unrolled: 1-line block ×4, first 2 shown]
	s_add_u32 s42, s3, s24
	s_movk_i32 s3, 0xf8
	s_addc_u32 s43, s28, s25
	v_ashrrev_i32_e32 v59, 31, v58
	s_lshl_b32 s30, s19, 7
	v_lshrrev_b32_e32 v34, 2, v57
	s_mov_b32 s64, 0
	v_mov_b32_e32 v99, 0x3fb8aa3b
	s_waitcnt vmcnt(1)
	v_perm_b32 v38, v14, v22, s62
	s_waitcnt vmcnt(0)
	v_perm_b32 v39, v18, v26, s62
	v_perm_b32 v14, v14, v22, s63
	;; [unrolled: 1-line block ×15, first 2 shown]
	ds_write2st64_b32 v12, v38, v39 offset1:32
	ds_write2st64_b32 v13, v14, v18 offset1:32
	ds_write2st64_b32 v30, v22, v26 offset0:1 offset1:33
	ds_write2st64_b32 v31, v15, v19 offset0:1 offset1:33
	;; [unrolled: 1-line block ×6, first 2 shown]
	v_lshlrev_b32_e32 v12, 3, v33
	v_lshrrev_b32_e32 v14, 5, v57
	v_and_or_b32 v14, v12, s3, v14
	v_lshlrev_b32_e32 v14, 4, v14
	v_lshlrev_b32_e32 v19, 11, v1
	v_and_b32_e32 v12, 0x78, v12
	v_or_b32_e32 v17, 32, v14
	v_and_b32_e32 v13, 0x1000, v19
	v_xor_b32_e32 v15, v14, v12
	v_lshrrev_b32_e32 v16, 1, v57
	v_xor_b32_e32 v17, v17, v12
	v_or_b32_e32 v15, v15, v13
	v_and_b32_e32 v16, 8, v16
	v_or_b32_e32 v17, v17, v13
	v_xor_b32_e32 v80, v15, v16
	v_and_b32_e32 v15, 0x78, v66
	v_xor_b32_e32 v82, v17, v16
	v_or_b32_e32 v17, 64, v14
	v_or_b32_e32 v14, 0x60, v14
	v_lshl_or_b32 v15, v64, 7, v15
	v_xor_b32_e32 v17, v17, v12
	v_xor_b32_e32 v12, v14, v12
	v_or_b32_e32 v81, 0x9000, v15
	v_or_b32_e32 v17, v17, v13
	v_or_b32_e32 v12, v12, v13
	v_or_b32_e32 v85, 0x9800, v15
	v_lshrrev_b32_e32 v14, 4, v0
	v_lshlrev_b32_e32 v15, 1, v65
	v_xor_b32_e32 v83, v17, v16
	v_xor_b32_e32 v84, v12, v16
	s_ashr_i32 s3, s2, 31
	v_or_b32_e32 v16, 1, v15
	v_xor_b32_e32 v15, v14, v15
	s_lshl_b64 s[24:25], s[2:3], 8
	v_xor_b32_e32 v16, v16, v14
	v_lshlrev_b32_e32 v15, 3, v15
	v_lshlrev_b32_e32 v14, 8, v14
	v_lshl_add_u64 v[12:13], v[58:59], 1, s[8:9]
	s_add_u32 s24, s40, s24
	v_or3_b32 v59, v15, v14, s26
	v_lshlrev_b32_e32 v15, 3, v16
	s_addc_u32 s25, s41, s25
	v_or3_b32 v86, v15, v14, s26
	v_mov_b32_e32 v15, 0
	v_lshrrev_b32_e32 v25, 1, v0
	v_lshl_add_u64 v[16:17], s[24:25], 0, v[14:15]
	v_lshlrev_b32_e32 v14, 4, v65
	s_movk_i32 s3, 0xff
	v_lshlrev_b32_e32 v24, 3, v1
	v_and_b32_e32 v25, 24, v25
	v_lshl_add_u64 v[60:61], v[16:17], 0, v[14:15]
	v_and_b32_e32 v14, 7, v0
	v_and_b32_e32 v17, 8, v0
	v_cmp_lt_u32_e32 vcc, s3, v0
	v_xor_b32_e32 v26, v24, v25
	v_lshlrev_b32_e32 v22, 3, v14
	v_lshlrev_b32_e32 v23, 7, v14
	v_cndmask_b32_e64 v14, 0, 1, vcc
	v_or_b32_e32 v27, 0x440, v26
	v_cmp_eq_u32_e32 vcc, 0, v17
	v_or_b32_e32 v29, 64, v25
	v_xor_b32_e32 v29, v24, v29
	v_cndmask_b32_e32 v17, v27, v26, vcc
	v_or_b32_e32 v27, 32, v25
	v_or_b32_e32 v25, 0x60, v25
	v_xor_b32_e32 v27, v24, v27
	v_xor_b32_e32 v24, v24, v25
	v_or_b32_e32 v28, 0x440, v27
	v_xor_b32_e32 v30, 0x440, v29
	v_xor_b32_e32 v25, 0x440, v24
	v_cndmask_b32_e32 v27, v28, v27, vcc
	v_cndmask_b32_e32 v29, v30, v29, vcc
	;; [unrolled: 1-line block ×3, first 2 shown]
	v_or_b32_e32 v17, v17, v19
	v_or_b32_e32 v27, v27, v19
	;; [unrolled: 1-line block ×4, first 2 shown]
	v_and_b32_e32 v18, 12, v34
	v_lshlrev_b32_e32 v14, 13, v14
	v_xor_b32_e32 v17, v17, v22
	v_xor_b32_e32 v27, v27, v22
	v_xor_b32_e32 v29, v29, v22
	v_xor_b32_e32 v19, v19, v22
	v_lshlrev_b32_e32 v20, 1, v11
	v_add_lshl_u32 v11, v11, s19, 1
	v_or_b32_e32 v21, 0x100, v10
	v_or_b32_e32 v16, v18, v53
	v_add_u32_e32 v26, v14, v17
	v_add_u32_e32 v28, v14, v27
	;; [unrolled: 1-line block ×4, first 2 shown]
	v_or3_b32 v18, v53, v18, 64
	v_add_u32_e32 v17, 0x2000, v17
	v_add_u32_e32 v24, 0x2000, v27
	;; [unrolled: 1-line block ×4, first 2 shown]
	v_lshlrev_b32_e32 v14, 8, v68
	v_cndmask_b32_e64 v87, v20, v10, s[0:1]
	v_cndmask_b32_e64 v88, v11, v21, s[0:1]
	v_lshl_add_u64 v[62:63], v[12:13], 0, v[14:15]
	s_mov_b32 s3, 0x7060302
	s_movk_i32 s26, 0x4000
	v_lshlrev_b32_e32 v89, 2, v16
	v_add_u32_e32 v90, v26, v23
	v_add_u32_e32 v91, v28, v23
	;; [unrolled: 1-line block ×4, first 2 shown]
	v_lshlrev_b32_e32 v94, 2, v18
	v_add_u32_e32 v95, v17, v23
	v_add_u32_e32 v96, v24, v23
	;; [unrolled: 1-line block ×4, first 2 shown]
	s_waitcnt lgkmcnt(0)
	s_barrier
.LBB722_6:                              ; =>This Inner Loop Header: Depth=1
	s_add_i32 s37, s64, 1
	s_cmp_lt_i32 s37, s53
	s_mov_b64 s[28:29], 0
	s_cselect_b64 s[44:45], -1, 0
	s_cmp_ge_i32 s37, s53
	s_mov_b64 s[24:25], 0
	s_cbranch_scc1 .LBB722_8
; %bb.7:                                ;   in Loop: Header=BB722_6 Depth=1
	s_add_i32 s0, s59, 64
	s_ashr_i32 s1, s0, 31
	s_add_u32 s0, s58, s0
	s_addc_u32 s1, s57, s1
	s_lshl_b64 s[0:1], s[0:1], 8
	s_add_u32 s24, s6, s0
	s_addc_u32 s25, s7, s1
.LBB722_8:                              ;   in Loop: Header=BB722_6 Depth=1
	v_cndmask_b32_e64 v10, 0, 1, s[44:45]
	v_cmp_ne_u32_e64 s[0:1], 1, v10
	s_andn2_b64 vcc, exec, s[44:45]
	s_cbranch_vccnz .LBB722_10
; %bb.9:                                ;   in Loop: Header=BB722_6 Depth=1
	s_add_i32 s28, s59, 64
	s_mul_hi_i32 s29, s28, s18
	s_mul_i32 s28, s28, s18
	s_add_u32 s28, s28, s55
	s_addc_u32 s29, s29, s60
	s_lshl_b64 s[28:29], s[28:29], 8
	s_add_u32 s28, s4, s28
	s_addc_u32 s29, s5, s29
.LBB722_10:                             ;   in Loop: Header=BB722_6 Depth=1
	v_perm_b32 v11, v9, v8, s3
	v_perm_b32 v10, v7, v6, s3
	;; [unrolled: 1-line block ×4, first 2 shown]
	ds_write_b64 v76, v[10:11]
	ds_write_b64 v77, v[12:13]
	ds_write_b64 v78, v[10:11]
	ds_write_b64 v79, v[12:13]
	s_waitcnt lgkmcnt(0)
	s_barrier
	ds_read_b64 v[18:19], v80 offset:16384
	ds_read_b64 v[20:21], v82 offset:16384
	ds_read2st64_b64 v[10:13], v81 offset1:1
	s_waitcnt lgkmcnt(0)
	v_mfma_f32_16x16x16_bf16 a[0:3], v[18:19], v[10:11], 0
	ds_read2st64_b64 v[14:17], v81 offset0:2 offset1:3
	ds_read_b64 v[22:23], v83 offset:16384
	ds_read_b64 v[10:11], v84 offset:16384
	s_add_i32 s39, s59, 63
	v_mfma_f32_16x16x16_bf16 a[0:3], v[20:21], v[12:13], a[0:3]
	s_ashr_i32 s31, s39, 31
	s_mul_i32 s44, s39, s23
	s_mul_hi_u32 s45, s39, s22
	s_waitcnt lgkmcnt(1)
	v_mfma_f32_16x16x16_bf16 a[0:3], v[22:23], v[14:15], a[0:3]
	s_add_i32 s44, s45, s44
	s_mul_i32 s31, s31, s22
	s_add_i32 s45, s44, s31
	s_mul_i32 s44, s39, s22
	s_waitcnt lgkmcnt(0)
	v_mfma_f32_16x16x16_bf16 a[0:3], v[10:11], v[16:17], a[0:3]
	s_lshl_b64 s[44:45], s[44:45], 2
	s_add_u32 s44, s42, s44
	s_addc_u32 s45, s43, s45
	s_and_b64 vcc, exec, s[0:1]
	v_mov_b32_e32 v102, 0
	v_mov_b32_e32 v101, 0
	;; [unrolled: 1-line block ×19, first 2 shown]
	s_cbranch_vccnz .LBB722_12
; %bb.11:                               ;   in Loop: Header=BB722_6 Depth=1
	s_and_b32 s25, s25, 0xffff
	buffer_load_dwordx4 v[22:25], v72, s[24:27], 0 offen
	buffer_load_dwordx4 v[18:21], v72, s[24:27], s61 offen
	;; [unrolled: 1-line block ×4, first 2 shown]
	v_mov_b32_e32 v101, v74
	v_mov_b32_e32 v100, v75
.LBB722_12:                             ;   in Loop: Header=BB722_6 Depth=1
	v_add_u32_e32 v30, s59, v68
	v_ashrrev_i32_e32 v26, 31, v30
	v_mul_lo_u32 v28, v26, s22
	v_mul_lo_u32 v29, v30, s23
	v_mad_u64_u32 v[26:27], s[24:25], v30, s22, 0
	v_add3_u32 v27, v27, v29, v28
	v_lshl_add_u64 v[26:27], v[26:27], 2, s[42:43]
	global_load_dword v46, v[26:27], off
	v_add_u32_e32 v26, 1, v30
	v_ashrrev_i32_e32 v27, 31, v26
	v_mul_lo_u32 v28, v27, s22
	v_mul_lo_u32 v29, v26, s23
	v_mad_u64_u32 v[26:27], s[24:25], v26, s22, 0
	v_add3_u32 v27, v27, v29, v28
	v_add_u32_e32 v28, 2, v30
	v_ashrrev_i32_e32 v29, 31, v28
	v_mul_lo_u32 v31, v29, s22
	v_mul_lo_u32 v32, v28, s23
	v_mad_u64_u32 v[28:29], s[24:25], v28, s22, 0
	v_add_u32_e32 v30, 3, v30
	v_add3_u32 v29, v29, v32, v31
	v_ashrrev_i32_e32 v31, 31, v30
	v_mul_lo_u32 v34, v31, s22
	v_mul_lo_u32 v35, v30, s23
	v_mad_u64_u32 v[30:31], s[24:25], v30, s22, 0
	s_ashr_i32 s25, s59, 31
	s_add_u32 s24, s58, s59
	s_addc_u32 s25, s57, s25
	s_lshl_b64 s[24:25], s[24:25], 8
	v_lshl_add_u64 v[26:27], v[26:27], 2, s[42:43]
	v_lshl_add_u64 v[32:33], v[62:63], 0, s[24:25]
	v_add3_u32 v31, v31, v35, v34
	v_lshl_add_u64 v[28:29], v[28:29], 2, s[42:43]
	global_load_ushort v47, v[32:33], off
	global_load_ushort v48, v[32:33], off offset:256
	global_load_ushort v49, v[32:33], off offset:512
	;; [unrolled: 1-line block ×3, first 2 shown]
	v_lshl_add_u64 v[30:31], v[30:31], 2, s[42:43]
	global_load_dword v51, v[26:27], off
	global_load_dword v52, v[28:29], off
	;; [unrolled: 1-line block ×3, first 2 shown]
	s_load_dword s24, s[44:45], 0x0
	ds_read_b64 v[34:35], v80 offset:24576
	ds_read2st64_b64 v[30:33], v85 offset1:1
	ds_read2st64_b64 v[36:39], v85 offset0:2 offset1:3
	ds_read_b64 v[40:41], v82 offset:24576
	ds_read_b64 v[42:43], v83 offset:24576
	;; [unrolled: 1-line block ×3, first 2 shown]
	s_waitcnt lgkmcnt(0)
	v_mfma_f32_16x16x16_bf16 a[0:3], v[34:35], v[30:31], a[0:3]
	v_mov_b32_e32 v103, 0
	v_mov_b32_e32 v26, 0
	v_mov_b32_e32 v27, 0
	v_mfma_f32_16x16x16_bf16 a[0:3], v[40:41], v[32:33], a[0:3]
	v_mov_b32_e32 v28, 0
	v_mov_b32_e32 v29, 0
	v_mov_b32_e32 v30, 0
	;; [unrolled: 4-line block ×4, first 2 shown]
	s_and_b64 vcc, exec, s[0:1]
	s_waitcnt vmcnt(7)
	v_sub_f32_e32 v37, s24, v46
	v_mul_f32_e32 v37, 0x3fb8aa3b, v37
	v_exp_f32_e32 v46, v37
	v_accvgpr_read_b32 v41, a1
	v_accvgpr_read_b32 v39, a3
	;; [unrolled: 1-line block ×4, first 2 shown]
	s_waitcnt vmcnt(6)
	v_lshlrev_b32_e32 v42, 16, v47
	s_waitcnt vmcnt(5)
	v_lshlrev_b32_e32 v43, 16, v48
	;; [unrolled: 2-line block ×3, first 2 shown]
	s_waitcnt vmcnt(2)
	v_sub_f32_e32 v47, s24, v51
	s_waitcnt vmcnt(1)
	v_sub_f32_e32 v48, s24, v52
	;; [unrolled: 2-line block ×3, first 2 shown]
	v_mul_f32_e32 v37, 0x3fb8aa3b, v47
	v_mul_f32_e32 v48, 0x3fb8aa3b, v48
	;; [unrolled: 1-line block ×3, first 2 shown]
	v_exp_f32_e32 v47, v37
	v_exp_f32_e32 v48, v48
	;; [unrolled: 1-line block ×3, first 2 shown]
	v_lshlrev_b32_e32 v45, 16, v50
	v_pk_add_f32 v[40:41], v[42:43], v[40:41] neg_lo:[0,1] neg_hi:[0,1]
	v_pk_add_f32 v[38:39], v[44:45], v[38:39] neg_lo:[0,1] neg_hi:[0,1]
	v_pk_mul_f32 v[40:41], v[46:47], v[40:41]
	v_pk_mul_f32 v[38:39], v[48:49], v[38:39]
	v_mov_b32_e32 v37, 0
	v_perm_b32 v39, v39, v38, s3
	v_perm_b32 v38, v41, v40, s3
	ds_write_b64 v77, v[38:39]
	v_mov_b32_e32 v38, 0
	v_mov_b32_e32 v39, 0
	;; [unrolled: 1-line block ×4, first 2 shown]
	s_cbranch_vccnz .LBB722_14
; %bb.13:                               ;   in Loop: Header=BB722_6 Depth=1
	s_and_b32 s29, s29, 0xffff
	s_mov_b32 s31, s27
	buffer_load_dwordx4 v[38:41], v87, s[28:31], 0 offen
	buffer_load_dwordx4 v[30:33], v87, s[28:31], s61 offen
	;; [unrolled: 1-line block ×4, first 2 shown]
	v_mov_b32_e32 v102, v71
	v_mov_b32_e32 v103, v70
.LBB722_14:                             ;   in Loop: Header=BB722_6 Depth=1
	s_waitcnt lgkmcnt(0)
	s_barrier
	ds_read_b64 v[42:43], v90
	ds_read_b64 v[48:49], v91
	ds_read2st64_b64 v[44:47], v85 offset1:1
	ds_read2st64_b64 v[104:107], v85 offset0:2 offset1:3
	ds_read_b64 v[50:51], v92
	ds_read_b64 v[112:113], v93
	s_add_i32 s25, s56, s64
	s_mul_hi_i32 s29, s25, s17
	s_mul_i32 s25, s25, s17
	s_waitcnt lgkmcnt(3)
	v_mfma_f32_16x16x16_bf16 a[0:3], v[42:43], v[44:45], 0
	ds_read_b64 v[42:43], v95
	s_add_u32 s28, s25, s33
	s_addc_u32 s29, s29, s46
	v_mfma_f32_16x16x16_bf16 a[0:3], v[48:49], v[46:47], a[0:3]
	ds_read_b64 v[48:49], v96
	s_lshl_b64 s[28:29], s[28:29], 15
	s_mul_i32 s31, s39, s17
	s_mul_hi_i32 s25, s39, s17
	s_add_u32 s44, s31, s33
	s_addc_u32 s45, s25, s46
	s_lshl_b64 s[44:45], s[44:45], 9
	s_add_u32 s44, s20, s44
	s_waitcnt lgkmcnt(1)
	v_mfma_f32_16x16x16_bf16 a[4:7], v[42:43], v[44:45], 0
	s_addc_u32 s45, s21, s45
	s_and_b64 vcc, exec, s[0:1]
	v_mfma_f32_16x16x16_bf16 a[0:3], v[50:51], v[104:105], a[0:3]
	ds_read_b64 v[50:51], v97
	ds_read_b64 v[114:115], v98
	global_load_dwordx4 v[42:45], v94, s[44:45]
	s_waitcnt lgkmcnt(2)
	v_mfma_f32_16x16x16_bf16 a[4:7], v[48:49], v[46:47], a[4:7]
	global_load_dwordx4 v[46:49], v89, s[44:45]
	ds_read_b64 v[108:109], v59
	ds_read_b64 v[110:111], v86
	s_waitcnt lgkmcnt(3)
	v_mfma_f32_16x16x16_bf16 a[8:11], v[50:51], v[104:105], a[4:7]
	v_lshl_add_u64 v[50:51], v[60:61], 0, s[28:29]
	s_waitcnt lgkmcnt(0)
	global_store_dwordx4 v[50:51], v[108:111], off
	v_mfma_f32_16x16x16_bf16 a[4:7], v[112:113], v[106:107], a[0:3]
	s_waitcnt vmcnt(2)
	v_mov_b32_e32 v52, v45
	v_mfma_f32_16x16x16_bf16 a[0:3], v[114:115], v[106:107], a[8:11]
	v_mov_b32_e32 v51, v44
	v_mov_b32_e32 v50, v43
	s_cbranch_vccnz .LBB722_16
; %bb.15:                               ;   in Loop: Header=BB722_6 Depth=1
	v_lshrrev_b32_e32 v43, 3, v102
	v_and_b32_e32 v43, 6, v43
	v_xor_b32_e32 v44, v43, v103
	v_lshlrev_b32_e32 v44, 2, v44
	v_and_b32_e32 v45, 8, v102
	v_xor_b32_e32 v102, 0x440, v44
	v_cmp_eq_u32_e32 vcc, 0, v45
	v_perm_b32 v45, v30, v26, s62
	s_nop 0
	v_cndmask_b32_e32 v44, v102, v44, vcc
	v_lshl_or_b32 v43, v43, 10, v44
	v_perm_b32 v44, v38, v34, s62
	s_barrier
	ds_write2st64_b32 v43, v44, v45 offset1:32
	v_xor_b32_e32 v44, 8, v43
	v_perm_b32 v34, v38, v34, s63
	v_perm_b32 v26, v30, v26, s63
	v_add_u32_e32 v30, 0x80, v44
	ds_write2st64_b32 v30, v34, v26 offset1:32
	v_xor_b32_e32 v26, 16, v43
	v_perm_b32 v30, v39, v35, s62
	v_perm_b32 v34, v31, v27, s62
	ds_write2st64_b32 v26, v30, v34 offset0:1 offset1:33
	v_xor_b32_e32 v26, 24, v43
	v_perm_b32 v30, v39, v35, s63
	v_perm_b32 v27, v31, v27, s63
	v_add_u32_e32 v26, 0x80, v26
	ds_write2st64_b32 v26, v30, v27 offset0:1 offset1:33
	v_xor_b32_e32 v26, 32, v43
	v_perm_b32 v27, v40, v36, s62
	v_perm_b32 v30, v32, v28, s62
	ds_write2st64_b32 v26, v27, v30 offset0:2 offset1:34
	v_xor_b32_e32 v26, 40, v43
	v_perm_b32 v27, v40, v36, s63
	v_perm_b32 v28, v32, v28, s63
	v_add_u32_e32 v26, 0x80, v26
	ds_write2st64_b32 v26, v27, v28 offset0:2 offset1:34
	;; [unrolled: 9-line block ×3, first 2 shown]
	ds_write_b64 v101, v[22:23] offset:16384
	v_xor_b32_e32 v22, 8, v101
	ds_write_b64 v22, v[24:25] offset:16384
	ds_write_b64 v101, v[18:19] offset:24576
	;; [unrolled: 1-line block ×4, first 2 shown]
	v_xor_b32_e32 v14, 8, v100
	ds_write_b64 v14, v[16:17] offset:16384
	ds_write_b64 v100, v[10:11] offset:24576
	ds_write_b64 v14, v[12:13] offset:24576
.LBB722_16:                             ;   in Loop: Header=BB722_6 Depth=1
	v_mul_f32_e32 v14, s24, v99
	v_exp_f32_e32 v18, v14
	s_waitcnt vmcnt(1)
	v_mul_f32_e32 v14, 0x3fb8aa3b, v46
	v_exp_f32_e32 v20, v14
	v_mul_f32_e32 v14, 0x3fb8aa3b, v47
	v_exp_f32_e32 v21, v14
	;; [unrolled: 2-line block ×4, first 2 shown]
	v_accvgpr_read_b32 v13, a7
	v_accvgpr_read_b32 v11, a5
	;; [unrolled: 1-line block ×3, first 2 shown]
	v_pk_mul_f32 v[20:21], v[18:19], v[20:21] op_sel_hi:[0,1]
	v_pk_fma_f32 v[6:7], v[6:7], v[20:21], v[10:11]
	v_pk_mul_f32 v[10:11], v[18:19], v[22:23] op_sel_hi:[0,1]
	v_mul_f32_e32 v19, 0x3fb8aa3b, v42
	v_exp_f32_e32 v20, v19
	v_mul_f32_e32 v19, 0x3fb8aa3b, v50
	v_exp_f32_e32 v21, v19
	;; [unrolled: 2-line block ×4, first 2 shown]
	v_accvgpr_read_b32 v12, a6
	v_accvgpr_read_b32 v17, a3
	;; [unrolled: 1-line block ×4, first 2 shown]
	v_pk_fma_f32 v[8:9], v[8:9], v[10:11], v[12:13]
	v_pk_mul_f32 v[10:11], v[18:19], v[20:21] op_sel_hi:[0,1]
	v_accvgpr_read_b32 v16, a2
	v_pk_fma_f32 v[2:3], v[2:3], v[10:11], v[14:15]
	v_pk_mul_f32 v[10:11], v[18:19], v[22:23] op_sel_hi:[0,1]
	s_add_i32 s59, s59, 64
	s_cmp_eq_u32 s53, s37
	v_pk_fma_f32 v[4:5], v[4:5], v[10:11], v[16:17]
	s_cbranch_scc1 .LBB722_18
; %bb.17:                               ;   in Loop: Header=BB722_6 Depth=1
	s_mov_b32 s64, s37
	s_branch .LBB722_6
.LBB722_18:
	s_lshl_b32 s0, s53, 6
	s_sub_i32 s44, s54, s0
	s_cmp_gt_i32 s44, 0
	s_cbranch_scc0 .LBB722_75
; %bb.19:
	s_add_i32 s34, s0, s34
	s_ashr_i32 s3, s34, 31
	s_cmpk_lg_i32 s19, 0x80
	s_cselect_b64 s[30:31], -1, 0
	s_and_b64 vcc, exec, s[30:31]
	s_cbranch_vccz .LBB722_21
; %bb.20:
	s_mul_hi_i32 s0, s34, s18
	s_mul_i32 s1, s34, s18
	s_ashr_i32 s18, s55, 31
	s_add_u32 s42, s1, s55
	s_addc_u32 s43, s0, s18
	s_cbranch_execz .LBB722_22
	s_branch .LBB722_23
.LBB722_21:
                                        ; implicit-def: $sgpr42_sgpr43
.LBB722_22:
	s_mul_i32 s1, s55, s16
	s_mul_hi_i32 s0, s55, s16
	s_add_u32 s42, s1, s34
	s_addc_u32 s43, s0, s3
.LBB722_23:
	s_waitcnt lgkmcnt(0)
	s_add_i32 s16, s53, s56
	s_add_u32 s0, s58, s34
	s_addc_u32 s1, s57, s3
	s_mov_b32 s3, 0x7060302
	v_lshlrev_b32_e32 v14, 3, v65
	s_lshl_b64 s[28:29], s[0:1], 8
	s_waitcnt vmcnt(1)
	v_perm_b32 v11, v9, v8, s3
	v_perm_b32 v10, v7, v6, s3
	s_waitcnt vmcnt(0)
	v_perm_b32 v13, v5, v4, s3
	v_perm_b32 v12, v3, v2, s3
	v_lshlrev_b32_e32 v42, 2, v65
	v_lshl_or_b32 v14, v68, 5, v14
	s_add_u32 s0, s6, s28
	ds_write2st64_b64 v14, v[10:11], v[12:13] offset0:72 offset1:76
	v_xor_b32_e32 v14, v68, v42
	v_lshlrev_b32_e32 v15, 8, v65
	s_addc_u32 s1, s7, s29
	v_lshl_or_b32 v14, v14, 1, v15
	s_mul_hi_i32 s3, s16, s17
	s_mul_i32 s16, s16, s17
	ds_write_b64 v14, v[10:11] offset:32768
	v_xor_b32_e32 v10, v69, v42
	s_add_u32 s6, s16, s33
	v_lshl_or_b32 v10, v10, 1, v15
	s_addc_u32 s7, s3, s46
	v_lshlrev_b32_e32 v11, 1, v65
	ds_write_b64 v10, v[12:13] offset:32768
	v_lshrrev_b32_e32 v10, 4, v0
	s_ashr_i32 s3, s2, 31
	s_lshl_b64 s[6:7], s[6:7], 15
	v_or_b32_e32 v12, 1, v11
	s_add_u32 s6, s40, s6
	v_xor_b32_e32 v11, v10, v11
	v_xor_b32_e32 v12, v12, v10
	v_lshlrev_b32_e32 v14, 8, v10
	s_addc_u32 s7, s41, s7
	s_lshl_b64 s[2:3], s[2:3], 8
	v_lshl_or_b32 v10, v11, 3, v14
	v_lshl_or_b32 v12, v12, 3, v14
	s_waitcnt lgkmcnt(0)
	s_barrier
	s_add_u32 s2, s6, s2
	ds_read_b64 v[10:11], v10 offset:32768
	ds_read_b64 v[12:13], v12 offset:32768
	s_addc_u32 s3, s7, s3
	v_mov_b32_e32 v15, 0
	s_cmp_lg_u32 s44, 64
	v_lshl_add_u64 v[16:17], s[2:3], 0, v[14:15]
	v_lshlrev_b32_e32 v14, 4, v65
	s_cselect_b64 s[6:7], -1, 0
	v_lshl_or_b32 v44, v1, 3, v67
	s_mov_b32 s24, 0
	v_lshl_add_u64 v[14:15], v[16:17], 0, v[14:15]
	v_or_b32_e32 v27, 32, v44
	v_and_b32_e32 v26, 56, v66
	s_and_b64 vcc, exec, s[6:7]
	s_waitcnt lgkmcnt(0)
	global_store_dwordx4 v[14:15], v[10:13], off
	s_cbranch_vccz .LBB722_29
; %bb.24:
	s_mov_b32 s25, s24
	s_mov_b32 s26, s24
	;; [unrolled: 1-line block ×3, first 2 shown]
	v_mov_b64_e32 v[14:15], s[24:25]
	v_mov_b64_e32 v[16:17], s[26:27]
	;; [unrolled: 1-line block ×3, first 2 shown]
	v_cmp_gt_i32_e32 vcc, s44, v44
	v_mov_b64_e32 v[12:13], v[16:17]
	s_and_saveexec_b64 s[2:3], vcc
	s_cbranch_execz .LBB722_26
; %bb.25:
	v_lshlrev_b32_e32 v10, 8, v44
	v_mov_b32_e32 v11, 0
	v_lshl_add_u64 v[12:13], s[0:1], 0, v[10:11]
	v_lshlrev_b32_e32 v10, 1, v26
	v_lshl_add_u64 v[18:19], v[12:13], 0, v[10:11]
	global_load_dwordx4 v[14:17], v[18:19], off
	global_load_dwordx4 v[10:13], v[18:19], off offset:128
.LBB722_26:
	s_or_b64 exec, exec, s[2:3]
	s_mov_b32 s25, s24
	s_mov_b32 s26, s24
	s_mov_b32 s27, s24
	v_mov_b64_e32 v[22:23], s[24:25]
	v_mov_b64_e32 v[24:25], s[26:27]
	;; [unrolled: 1-line block ×3, first 2 shown]
	v_cmp_gt_i32_e32 vcc, s44, v27
	v_lshlrev_b32_e32 v28, 7, v27
	v_mov_b64_e32 v[20:21], v[24:25]
	s_and_saveexec_b64 s[2:3], vcc
	s_cbranch_execz .LBB722_28
; %bb.27:
	v_lshlrev_b32_e32 v18, 1, v28
	v_mov_b32_e32 v19, 0
	v_lshl_add_u64 v[20:21], s[0:1], 0, v[18:19]
	v_lshlrev_b32_e32 v18, 1, v26
	v_lshl_add_u64 v[30:31], v[20:21], 0, v[18:19]
	global_load_dwordx4 v[22:25], v[30:31], off
	global_load_dwordx4 v[18:21], v[30:31], off offset:128
.LBB722_28:
	s_or_b64 exec, exec, s[2:3]
	v_lshrrev_b32_e32 v29, 3, v26
	v_lshlrev_b32_e32 v30, 3, v44
	v_or_b32_e32 v29, v30, v29
	v_lshlrev_b32_e32 v29, 4, v29
	v_and_b32_e32 v30, 0x78, v30
	v_xor_b32_e32 v29, v29, v30
	s_branch .LBB722_31
.LBB722_29:
                                        ; implicit-def: $vgpr29
                                        ; implicit-def: $vgpr28
                                        ; implicit-def: $vgpr14_vgpr15_vgpr16_vgpr17
                                        ; implicit-def: $vgpr10_vgpr11_vgpr12_vgpr13
                                        ; implicit-def: $vgpr22_vgpr23_vgpr24_vgpr25
                                        ; implicit-def: $vgpr18_vgpr19_vgpr20_vgpr21
	s_cbranch_execz .LBB722_31
; %bb.30:
	s_waitcnt vmcnt(0)
	v_lshlrev_b32_e32 v10, 1, v26
	v_lshl_or_b32 v28, v44, 8, v10
	s_and_b32 s1, s1, 0xffff
	s_mov_b32 s3, 0x20000
	s_movk_i32 s2, 0x4000
	v_lshl_or_b32 v29, v27, 8, v10
	s_movk_i32 s16, 0x80
	buffer_load_dwordx4 v[14:17], v28, s[0:3], 0 offen
	buffer_load_dwordx4 v[10:13], v28, s[0:3], s16 offen
	buffer_load_dwordx4 v[22:25], v29, s[0:3], 0 offen
	buffer_load_dwordx4 v[18:21], v29, s[0:3], s16 offen
	v_lshrrev_b32_e32 v28, 3, v26
	v_lshlrev_b32_e32 v29, 3, v44
	v_or_b32_e32 v28, v29, v28
	v_lshlrev_b32_e32 v28, 4, v28
	v_and_b32_e32 v29, 0x78, v29
	v_xor_b32_e32 v29, v28, v29
	v_lshlrev_b32_e32 v28, 7, v27
.LBB722_31:
	s_lshl_b64 s[0:1], s[42:43], 8
	s_add_u32 s4, s4, s0
	s_movk_i32 s0, 0x1000
	v_and_or_b32 v27, v28, s0, v29
	s_waitcnt vmcnt(1)
	ds_write_b64 v29, v[14:15] offset:16384
	v_xor_b32_e32 v14, 8, v29
	ds_write_b64 v14, v[16:17] offset:16384
	s_waitcnt vmcnt(0)
	ds_write_b64 v29, v[10:11] offset:24576
	ds_write_b64 v14, v[12:13] offset:24576
	;; [unrolled: 1-line block ×3, first 2 shown]
	v_xor_b32_e32 v10, 8, v27
	ds_write_b64 v10, v[24:25] offset:16384
	ds_write_b64 v27, v[18:19] offset:24576
	;; [unrolled: 1-line block ×3, first 2 shown]
	v_or_b32_e32 v10, v53, v65
	v_lshlrev_b32_e32 v10, 3, v10
	v_lshrrev_b32_e32 v12, 5, v57
	s_movk_i32 s16, 0xf8
	v_and_or_b32 v12, v10, s16, v12
	v_lshlrev_b32_e32 v43, 11, v1
	v_lshlrev_b32_e32 v20, 4, v12
	v_and_b32_e32 v21, 0x78, v10
	v_and_b32_e32 v22, 0x1000, v43
	v_lshlrev_b32_e32 v11, 2, v0
	v_xor_b32_e32 v10, v20, v21
	v_lshrrev_b32_e32 v12, 1, v57
	v_and_b32_e32 v11, 60, v11
	v_or_b32_e32 v10, v10, v22
	v_and_b32_e32 v23, 8, v12
	v_xor_b32_e32 v34, v10, v23
	v_lshl_or_b32 v10, v64, 6, v11
	v_lshlrev_b32_e32 v45, 1, v10
	v_or_b32_e32 v10, 32, v20
	v_xor_b32_e32 v10, v10, v21
	s_waitcnt lgkmcnt(0)
	s_barrier
	ds_read_b64 v[18:19], v34 offset:16384
	v_or_b32_e32 v10, v10, v22
	v_xor_b32_e32 v35, v10, v23
	v_or_b32_e32 v10, 64, v20
	v_xor_b32_e32 v10, v10, v21
	v_or_b32_e32 v10, v10, v22
	v_or_b32_e32 v20, 0x60, v20
	v_xor_b32_e32 v36, v10, v23
	ds_read2st64_b64 v[10:13], v45 offset0:72 offset1:73
	ds_read2st64_b64 v[14:17], v45 offset0:74 offset1:75
	v_xor_b32_e32 v24, v20, v21
	ds_read_b64 v[20:21], v35 offset:16384
	s_addc_u32 s5, s5, s1
	s_add_i32 s0, s49, s47
	s_waitcnt lgkmcnt(2)
	v_mfma_f32_16x16x16_bf16 a[0:3], v[18:19], v[10:11], 0
	s_add_i32 s18, s35, -1
	s_add_i32 s39, s0, s50
	s_add_i32 s0, s51, s48
	;; [unrolled: 1-line block ×3, first 2 shown]
	s_ashr_i32 s0, s18, 31
	s_mul_i32 s1, s18, s23
	s_mul_hi_u32 s2, s18, s22
	s_add_i32 s1, s2, s1
	s_mul_i32 s0, s0, s22
	v_or_b32_e32 v22, v24, v22
	s_add_i32 s1, s1, s0
	s_lshl_b64 s[2:3], s[38:39], 2
	v_xor_b32_e32 v46, v22, v23
	ds_read_b64 v[22:23], v36 offset:16384
	ds_read_b64 v[24:25], v46 offset:16384
	s_waitcnt lgkmcnt(2)
	v_mfma_f32_16x16x16_bf16 a[0:3], v[20:21], v[12:13], a[0:3]
	s_add_u32 s10, s10, s2
	s_addc_u32 s11, s11, s3
	s_lshl_b64 s[2:3], s[36:37], 2
	s_mul_i32 s0, s18, s22
	s_add_u32 s10, s10, s2
	s_addc_u32 s11, s11, s3
	s_lshl_b64 s[0:1], s[0:1], 2
	s_waitcnt lgkmcnt(1)
	v_mfma_f32_16x16x16_bf16 a[0:3], v[22:23], v[14:15], a[0:3]
	s_add_u32 s0, s10, s0
	s_addc_u32 s1, s11, s1
	s_load_dword s16, s[0:1], 0x0
	s_waitcnt lgkmcnt(0)
	v_mfma_f32_16x16x16_bf16 a[0:3], v[24:25], v[16:17], a[0:3]
	s_and_b64 vcc, exec, s[30:31]
	s_cbranch_vccz .LBB722_42
; %bb.32:
	v_lshlrev_b32_e32 v27, 1, v44
	s_and_b64 vcc, exec, s[6:7]
	s_cbranch_vccz .LBB722_43
; %bb.33:
	v_cmp_gt_i32_e32 vcc, s44, v27
	v_mov_b32_e32 v14, 0
	v_mov_b32_e32 v10, 0
	;; [unrolled: 1-line block ×5, first 2 shown]
	s_and_saveexec_b64 s[0:1], vcc
	s_cbranch_execz .LBB722_35
; %bb.34:
	v_mad_i64_i32 v[10:11], s[2:3], s19, v27, 0
	v_lshl_add_u64 v[10:11], v[10:11], 1, s[4:5]
	v_lshlrev_b32_e32 v12, 1, v26
	v_mov_b32_e32 v13, 0
	v_lshl_add_u64 v[10:11], v[10:11], 0, v[12:13]
	global_load_dwordx4 v[10:13], v[10:11], off
.LBB722_35:
	s_or_b64 exec, exec, s[0:1]
	v_or_b32_e32 v28, 1, v27
	v_cmp_gt_i32_e64 s[0:1], s44, v28
	v_mov_b32_e32 v15, 0
	v_mov_b32_e32 v16, 0
	;; [unrolled: 1-line block ×3, first 2 shown]
	s_and_saveexec_b64 s[2:3], s[0:1]
	s_cbranch_execz .LBB722_37
; %bb.36:
	v_mad_i64_i32 v[14:15], s[24:25], s19, v28, 0
	v_lshl_add_u64 v[14:15], v[14:15], 1, s[4:5]
	v_lshlrev_b32_e32 v16, 1, v26
	v_mov_b32_e32 v17, 0
	v_lshl_add_u64 v[14:15], v[14:15], 0, v[16:17]
	global_load_dwordx4 v[14:17], v[14:15], off
.LBB722_37:
	s_or_b64 exec, exec, s[2:3]
	v_mov_b32_e32 v25, 0
	v_mov_b32_e32 v18, 0
	;; [unrolled: 1-line block ×5, first 2 shown]
	s_and_saveexec_b64 s[2:3], vcc
	s_cbranch_execz .LBB722_39
; %bb.38:
	v_mad_i64_i32 v[18:19], s[24:25], s19, v27, 0
	v_lshl_add_u64 v[18:19], v[18:19], 1, s[4:5]
	v_lshlrev_b32_e32 v20, 1, v26
	v_mov_b32_e32 v21, 0
	v_lshl_add_u64 v[18:19], v[18:19], 0, v[20:21]
	global_load_dwordx4 v[18:21], v[18:19], off offset:128
.LBB722_39:
	s_or_b64 exec, exec, s[2:3]
	v_mov_b32_e32 v24, 0
	v_mov_b32_e32 v23, 0
	;; [unrolled: 1-line block ×3, first 2 shown]
	s_and_saveexec_b64 s[2:3], s[0:1]
	s_cbranch_execz .LBB722_41
; %bb.40:
	v_mad_i64_i32 v[22:23], s[0:1], s19, v28, 0
	v_lshl_add_u64 v[22:23], v[22:23], 1, s[4:5]
	v_lshlrev_b32_e32 v24, 1, v26
	v_mov_b32_e32 v25, 0
	v_lshl_add_u64 v[22:23], v[22:23], 0, v[24:25]
	global_load_dwordx4 v[22:25], v[22:23], off offset:128
.LBB722_41:
	s_or_b64 exec, exec, s[2:3]
	s_branch .LBB722_45
.LBB722_42:
                                        ; implicit-def: $vgpr13
                                        ; implicit-def: $vgpr17
                                        ; implicit-def: $vgpr21
                                        ; implicit-def: $vgpr25
	v_lshrrev_b32_e32 v27, 2, v57
	s_branch .LBB722_46
.LBB722_43:
                                        ; implicit-def: $vgpr13
                                        ; implicit-def: $vgpr17
                                        ; implicit-def: $vgpr21
                                        ; implicit-def: $vgpr25
	s_cbranch_execz .LBB722_45
; %bb.44:
	s_waitcnt vmcnt(0)
	v_mad_u64_u32 v[10:11], s[0:1], v27, s19, v[26:27]
	v_lshlrev_b32_e32 v27, 1, v10
	s_lshl_b32 s2, s19, 7
	s_and_b32 s1, s5, 0xffff
	s_mov_b32 s3, 0x20000
	s_mov_b32 s0, s4
	v_add_lshl_u32 v28, v10, s19, 1
	s_movk_i32 s19, 0x80
	buffer_load_dwordx4 v[10:13], v27, s[0:3], 0 offen
	buffer_load_dwordx4 v[18:21], v27, s[0:3], s19 offen
	;; [unrolled: 1-line block ×4, first 2 shown]
.LBB722_45:
	v_lshrrev_b32_e32 v27, 2, v57
	s_cbranch_execnz .LBB722_58
.LBB722_46:
	s_and_b64 vcc, exec, s[6:7]
	s_cbranch_vccz .LBB722_56
; %bb.47:
	s_waitcnt vmcnt(0)
	v_lshlrev_b32_e32 v15, 1, v44
	v_cmp_gt_i32_e32 vcc, s44, v15
	v_mov_b32_e32 v14, 0
	v_lshlrev_b32_e32 v22, 9, v44
	v_mov_b32_e32 v10, 0
	v_mov_b32_e32 v11, 0
	;; [unrolled: 1-line block ×4, first 2 shown]
	s_and_saveexec_b64 s[0:1], vcc
	s_cbranch_execz .LBB722_49
; %bb.48:
	v_mov_b32_e32 v23, 0
	v_lshl_add_u64 v[10:11], s[4:5], 0, v[22:23]
	v_lshlrev_b32_e32 v12, 1, v26
	v_mov_b32_e32 v13, v23
	v_lshl_add_u64 v[10:11], v[10:11], 0, v[12:13]
	global_load_dwordx4 v[10:13], v[10:11], off
.LBB722_49:
	s_or_b64 exec, exec, s[0:1]
	v_or_b32_e32 v15, 1, v15
	v_cmp_gt_i32_e64 s[0:1], s44, v15
	v_lshlrev_b32_e32 v28, 8, v15
	v_mov_b32_e32 v15, 0
	v_mov_b32_e32 v16, 0
	;; [unrolled: 1-line block ×3, first 2 shown]
	s_and_saveexec_b64 s[2:3], s[0:1]
	s_cbranch_execz .LBB722_51
; %bb.50:
	v_mov_b32_e32 v29, 0
	v_lshl_add_u64 v[14:15], s[4:5], 0, v[28:29]
	v_lshlrev_b32_e32 v16, 1, v26
	v_mov_b32_e32 v17, v29
	v_lshl_add_u64 v[14:15], v[14:15], 0, v[16:17]
	global_load_dwordx4 v[14:17], v[14:15], off
.LBB722_51:
	s_or_b64 exec, exec, s[2:3]
	v_mov_b32_e32 v25, 0
	v_mov_b32_e32 v18, 0
	;; [unrolled: 1-line block ×5, first 2 shown]
	s_and_saveexec_b64 s[2:3], vcc
	s_cbranch_execz .LBB722_53
; %bb.52:
	v_mov_b32_e32 v23, 0
	v_lshl_add_u64 v[18:19], s[4:5], 0, v[22:23]
	v_lshlrev_b32_e32 v22, 1, v26
	v_lshl_add_u64 v[18:19], v[18:19], 0, v[22:23]
	global_load_dwordx4 v[18:21], v[18:19], off offset:128
.LBB722_53:
	s_or_b64 exec, exec, s[2:3]
	v_mov_b32_e32 v24, 0
	v_mov_b32_e32 v23, 0
	;; [unrolled: 1-line block ×3, first 2 shown]
	s_and_saveexec_b64 s[2:3], s[0:1]
	s_cbranch_execz .LBB722_55
; %bb.54:
	v_mov_b32_e32 v29, 0
	v_lshl_add_u64 v[22:23], s[4:5], 0, v[28:29]
	v_lshlrev_b32_e32 v28, 1, v26
	v_lshl_add_u64 v[22:23], v[22:23], 0, v[28:29]
	global_load_dwordx4 v[22:25], v[22:23], off offset:128
.LBB722_55:
	s_or_b64 exec, exec, s[2:3]
	s_branch .LBB722_58
.LBB722_56:
                                        ; implicit-def: $vgpr13
                                        ; implicit-def: $vgpr17
                                        ; implicit-def: $vgpr21
                                        ; implicit-def: $vgpr25
	s_cbranch_execz .LBB722_58
; %bb.57:
	s_waitcnt vmcnt(0)
	v_lshlrev_b32_e32 v10, 1, v26
	v_lshl_or_b32 v26, v44, 9, v10
	s_and_b32 s5, s5, 0xffff
	s_mov_b32 s7, 0x20000
	s_movk_i32 s6, 0x4000
	s_movk_i32 s0, 0x80
	buffer_load_dwordx4 v[10:13], v26, s[4:7], 0 offen
	buffer_load_dwordx4 v[14:17], v26, s[4:7], 0 offen offset:256
	buffer_load_dwordx4 v[18:21], v26, s[4:7], s0 offen
	buffer_load_dwordx4 v[22:25], v26, s[4:7], s0 offen offset:256
.LBB722_58:
	v_and_b32_e32 v47, 12, v27
	ds_read2st64_b64 v[30:33], v45 offset0:76 offset1:77
	ds_read2st64_b64 v[26:29], v45 offset0:78 offset1:79
	ds_read_b64 v[38:39], v34 offset:24576
	ds_read_b64 v[40:41], v35 offset:24576
	;; [unrolled: 1-line block ×4, first 2 shown]
	v_and_b32_e32 v46, 6, v0
	v_xor_b32_e32 v44, v44, v46
	v_lshlrev_b32_e32 v44, 2, v44
	v_and_b32_e32 v48, 1, v0
	v_xor_b32_e32 v49, 0x440, v44
	v_cmp_eq_u32_e32 vcc, 0, v48
	s_mov_b32 s0, 0x1000504
	s_waitcnt vmcnt(0)
	v_perm_b32 v48, v18, v22, s0
	v_cndmask_b32_e32 v44, v49, v44, vcc
	v_lshl_or_b32 v44, v46, 10, v44
	v_perm_b32 v46, v10, v14, s0
	ds_write2st64_b32 v44, v46, v48 offset1:32
	v_xor_b32_e32 v46, 8, v44
	s_mov_b32 s1, 0x3020706
	v_perm_b32 v10, v10, v14, s1
	v_perm_b32 v14, v18, v22, s1
	v_add_u32_e32 v18, 0x80, v46
	ds_write2st64_b32 v18, v10, v14 offset1:32
	v_xor_b32_e32 v10, 16, v44
	v_perm_b32 v14, v11, v15, s0
	v_perm_b32 v18, v19, v23, s0
	ds_write2st64_b32 v10, v14, v18 offset0:1 offset1:33
	v_xor_b32_e32 v10, 24, v44
	v_perm_b32 v11, v11, v15, s1
	v_perm_b32 v14, v19, v23, s1
	v_add_u32_e32 v10, 0x80, v10
	ds_write2st64_b32 v10, v11, v14 offset0:1 offset1:33
	v_xor_b32_e32 v10, 32, v44
	v_perm_b32 v11, v12, v16, s0
	v_perm_b32 v14, v20, v24, s0
	ds_write2st64_b32 v10, v11, v14 offset0:2 offset1:34
	v_xor_b32_e32 v10, 40, v44
	v_perm_b32 v11, v12, v16, s1
	v_perm_b32 v12, v20, v24, s1
	v_add_u32_e32 v10, 0x80, v10
	ds_write2st64_b32 v10, v11, v12 offset0:2 offset1:34
	v_xor_b32_e32 v10, 48, v44
	v_perm_b32 v11, v13, v17, s0
	v_perm_b32 v12, v21, v25, s0
	ds_write2st64_b32 v10, v11, v12 offset0:3 offset1:35
	v_xor_b32_e32 v10, 56, v44
	v_or_b32_e32 v16, v47, v53
	v_perm_b32 v11, v13, v17, s1
	v_perm_b32 v12, v21, v25, s1
	v_add_u32_e32 v10, 0x80, v10
	v_cmp_gt_i32_e32 vcc, s44, v16
	v_mov_b32_e32 v17, 0
	v_mov_b32_e32 v21, 0
	ds_write2st64_b32 v10, v11, v12 offset0:3 offset1:35
	s_and_saveexec_b64 s[0:1], vcc
	s_cbranch_execz .LBB722_60
; %bb.59:
	v_add_u32_e32 v10, s34, v16
	v_ashrrev_i32_e32 v11, 31, v10
	v_mul_lo_u32 v12, v11, s22
	v_mul_lo_u32 v13, v10, s23
	v_mad_u64_u32 v[10:11], s[2:3], v10, s22, 0
	v_add3_u32 v11, v11, v13, v12
	v_lshl_add_u64 v[10:11], v[10:11], 2, s[10:11]
	global_load_dword v10, v[10:11], off
	s_waitcnt vmcnt(0)
	v_sub_f32_e32 v10, s16, v10
	v_mul_f32_e32 v10, 0x3fb8aa3b, v10
	v_exp_f32_e32 v21, v10
.LBB722_60:
	s_or_b64 exec, exec, s[0:1]
	v_or_b32_e32 v19, 1, v16
	v_cmp_gt_i32_e64 s[0:1], s44, v19
	s_and_saveexec_b64 s[2:3], s[0:1]
	s_cbranch_execz .LBB722_62
; %bb.61:
	v_add_u32_e32 v10, s34, v19
	v_ashrrev_i32_e32 v11, 31, v10
	v_mul_lo_u32 v12, v11, s22
	v_mul_lo_u32 v13, v10, s23
	v_mad_u64_u32 v[10:11], s[4:5], v10, s22, 0
	v_add3_u32 v11, v11, v13, v12
	v_lshl_add_u64 v[10:11], v[10:11], 2, s[10:11]
	global_load_dword v10, v[10:11], off
	s_waitcnt vmcnt(0)
	v_sub_f32_e32 v10, s16, v10
	v_mul_f32_e32 v10, 0x3fb8aa3b, v10
	v_exp_f32_e32 v17, v10
.LBB722_62:
	s_or_b64 exec, exec, s[2:3]
	v_or_b32_e32 v20, 2, v16
	v_cmp_gt_i32_e64 s[2:3], s44, v20
	v_mov_b32_e32 v18, 0
	v_mov_b32_e32 v23, 0
	s_and_saveexec_b64 s[4:5], s[2:3]
	s_cbranch_execz .LBB722_64
; %bb.63:
	v_add_u32_e32 v10, s34, v20
	v_ashrrev_i32_e32 v11, 31, v10
	v_mul_lo_u32 v12, v11, s22
	v_mul_lo_u32 v13, v10, s23
	v_mad_u64_u32 v[10:11], s[6:7], v10, s22, 0
	v_add3_u32 v11, v11, v13, v12
	v_lshl_add_u64 v[10:11], v[10:11], 2, s[10:11]
	global_load_dword v10, v[10:11], off
	s_waitcnt vmcnt(0)
	v_sub_f32_e32 v10, s16, v10
	v_mul_f32_e32 v10, 0x3fb8aa3b, v10
	v_exp_f32_e32 v23, v10
.LBB722_64:
	s_or_b64 exec, exec, s[4:5]
	v_or_b32_e32 v22, 3, v16
	v_cmp_gt_i32_e64 s[4:5], s44, v22
	s_and_saveexec_b64 s[6:7], s[4:5]
	s_cbranch_execz .LBB722_66
; %bb.65:
	v_add_u32_e32 v10, s34, v22
	v_ashrrev_i32_e32 v11, 31, v10
	v_mul_lo_u32 v12, v11, s22
	v_mul_lo_u32 v13, v10, s23
	v_mad_u64_u32 v[10:11], s[22:23], v10, s22, 0
	v_add3_u32 v11, v11, v13, v12
	v_lshl_add_u64 v[10:11], v[10:11], 2, s[10:11]
	global_load_dword v10, v[10:11], off
	s_waitcnt vmcnt(0)
	v_sub_f32_e32 v10, s16, v10
	v_mul_f32_e32 v10, 0x3fb8aa3b, v10
	v_exp_f32_e32 v18, v10
.LBB722_66:
	s_or_b64 exec, exec, s[6:7]
	s_waitcnt lgkmcnt(11)
	v_mfma_f32_16x16x16_bf16 a[0:3], v[38:39], v[30:31], a[0:3]
	s_add_u32 s6, s8, s28
	v_ashrrev_i32_e32 v59, 31, v58
	s_addc_u32 s7, s9, s29
	s_waitcnt lgkmcnt(10)
	v_mfma_f32_16x16x16_bf16 a[0:3], v[40:41], v[32:33], a[0:3]
	v_mov_b32_e32 v24, 0
	v_lshl_add_u64 v[14:15], v[58:59], 1, s[6:7]
	v_mov_b32_e32 v25, 0
	s_waitcnt lgkmcnt(9)
	v_mfma_f32_16x16x16_bf16 a[0:3], v[36:37], v[26:27], a[0:3]
	s_waitcnt lgkmcnt(8)
	v_mfma_f32_16x16x16_bf16 a[0:3], v[34:35], v[28:29], a[0:3]
	s_nop 6
	v_accvgpr_read_b32 v13, a3
	v_accvgpr_read_b32 v12, a2
	;; [unrolled: 1-line block ×4, first 2 shown]
	s_and_saveexec_b64 s[6:7], vcc
	s_cbranch_execz .LBB722_68
; %bb.67:
	v_lshlrev_b32_e32 v26, 8, v16
	v_mov_b32_e32 v27, 0
	v_lshl_add_u64 v[26:27], v[14:15], 0, v[26:27]
	global_load_ushort v25, v[26:27], off
	s_waitcnt vmcnt(0)
	v_lshlrev_b32_e32 v25, 16, v25
	v_sub_f32_e32 v10, v25, v10
	v_mul_f32_e32 v10, v21, v10
	v_lshrrev_b32_e32 v25, 16, v10
.LBB722_68:
	s_or_b64 exec, exec, s[6:7]
	s_and_saveexec_b64 s[6:7], s[0:1]
	s_cbranch_execz .LBB722_70
; %bb.69:
	v_lshlrev_b32_e32 v26, 8, v19
	v_mov_b32_e32 v27, 0
	v_lshl_add_u64 v[26:27], v[14:15], 0, v[26:27]
	global_load_ushort v10, v[26:27], off
	s_waitcnt vmcnt(0)
	v_lshlrev_b32_e32 v10, 16, v10
	v_sub_f32_e32 v10, v10, v11
	v_mul_f32_e32 v10, v17, v10
	v_lshrrev_b32_e32 v24, 16, v10
.LBB722_70:
	s_or_b64 exec, exec, s[6:7]
	v_mov_b32_e32 v11, 0
	v_mov_b32_e32 v17, 0
	s_and_saveexec_b64 s[0:1], s[2:3]
	s_cbranch_execz .LBB722_72
; %bb.71:
	v_lshlrev_b32_e32 v20, 8, v20
	v_mov_b32_e32 v21, 0
	v_lshl_add_u64 v[20:21], v[14:15], 0, v[20:21]
	global_load_ushort v10, v[20:21], off
	s_waitcnt vmcnt(0)
	v_lshlrev_b32_e32 v10, 16, v10
	v_sub_f32_e32 v10, v10, v12
	v_mul_f32_e32 v10, v23, v10
	v_lshrrev_b32_e32 v17, 16, v10
.LBB722_72:
	s_or_b64 exec, exec, s[0:1]
	v_or_b32_e32 v10, 0x9800, v45
	s_and_saveexec_b64 s[0:1], s[4:5]
	s_cbranch_execz .LBB722_74
; %bb.73:
	v_lshlrev_b32_e32 v20, 8, v22
	v_mov_b32_e32 v21, 0
	v_lshl_add_u64 v[14:15], v[14:15], 0, v[20:21]
	global_load_ushort v11, v[14:15], off
	s_waitcnt vmcnt(0)
	v_lshlrev_b32_e32 v11, 16, v11
	v_sub_f32_e32 v11, v11, v13
	v_mul_f32_e32 v11, v18, v11
	v_lshrrev_b32_e32 v11, 16, v11
.LBB722_74:
	s_or_b64 exec, exec, s[0:1]
	s_mov_b32 s0, 0x5040100
	v_perm_b32 v13, v11, v17, s0
	v_lshlrev_b32_e32 v11, 1, v42
	v_perm_b32 v12, v24, v25, s0
	v_lshl_or_b32 v11, v16, 5, v11
	s_movk_i32 s2, 0xff
	ds_write_b64 v11, v[12:13] offset:38912
	v_and_b32_e32 v11, 7, v0
	v_cmp_lt_u32_e32 vcc, s2, v0
	v_and_b32_e32 v12, 8, v0
	v_lshlrev_b32_e32 v20, 3, v11
	v_lshlrev_b32_e32 v32, 7, v11
	v_cndmask_b32_e64 v11, 0, 1, vcc
	v_lshrrev_b32_e32 v0, 1, v0
	v_lshlrev_b32_e32 v22, 13, v11
	v_lshlrev_b32_e32 v11, 3, v1
	v_and_b32_e32 v0, 24, v0
	v_xor_b32_e32 v13, v11, v0
	v_or_b32_e32 v14, 0x440, v13
	v_cmp_eq_u32_e32 vcc, 0, v12
	s_mul_i32 s0, s18, s17
	s_mul_hi_i32 s1, s18, s17
	v_cndmask_b32_e32 v12, v14, v13, vcc
	v_or_b32_e32 v12, v12, v43
	v_xor_b32_e32 v33, v12, v20
	v_or_b32_e32 v12, 32, v0
	v_xor_b32_e32 v12, v11, v12
	v_or_b32_e32 v13, 0x440, v12
	v_cndmask_b32_e32 v12, v13, v12, vcc
	v_or_b32_e32 v12, v12, v43
	v_xor_b32_e32 v34, v12, v20
	v_or_b32_e32 v12, 64, v0
	v_xor_b32_e32 v12, v11, v12
	v_xor_b32_e32 v13, 0x440, v12
	v_cndmask_b32_e32 v12, v13, v12, vcc
	v_or_b32_e32 v0, 0x60, v0
	s_add_u32 s0, s0, s33
	v_add3_u32 v23, v22, v33, v32
	v_or_b32_e32 v12, v12, v43
	v_xor_b32_e32 v0, v11, v0
	s_waitcnt lgkmcnt(0)
	s_barrier
	s_addc_u32 s1, s1, s46
	v_lshlrev_b32_e32 v21, 2, v16
	v_xor_b32_e32 v35, v12, v20
	ds_read2st64_b64 v[12:15], v10 offset1:1
	ds_read2st64_b64 v[16:19], v10 offset0:2 offset1:3
	ds_read_b64 v[10:11], v23
	v_xor_b32_e32 v23, 0x440, v0
	s_lshl_b64 s[0:1], s[0:1], 9
	v_cndmask_b32_e32 v0, v23, v0, vcc
	s_add_u32 s0, s20, s0
	v_or_b32_e32 v0, v0, v43
	s_addc_u32 s1, s21, s1
	v_add3_u32 v24, v22, v34, v32
	v_xor_b32_e32 v36, v0, v20
	v_add3_u32 v26, v22, v35, v32
	v_add3_u32 v0, v22, v36, v32
	ds_read_b64 v[24:25], v24
	ds_read_b64 v[28:29], v26
	;; [unrolled: 1-line block ×3, first 2 shown]
	global_load_dwordx4 v[20:23], v21, s[0:1]
	s_waitcnt lgkmcnt(3)
	v_mfma_f32_16x16x16_bf16 a[0:3], v[10:11], v[12:13], 0
	v_lshlrev_b32_e32 v0, 6, v1
	v_lshlrev_b32_e32 v1, 2, v47
	s_movk_i32 s2, 0x100
	v_or3_b32 v0, v0, v1, s2
	s_waitcnt lgkmcnt(2)
	v_mfma_f32_16x16x16_bf16 a[0:3], v[24:25], v[14:15], a[0:3]
	global_load_dwordx4 v[24:27], v0, s[0:1]
	v_mov_b32_e32 v0, 0x3fb8aa3b
	v_mul_f32_e32 v0, s16, v0
	s_waitcnt lgkmcnt(1)
	v_mfma_f32_16x16x16_bf16 a[0:3], v[28:29], v[16:17], a[0:3]
	v_exp_f32_e32 v0, v0
	v_add_u32_e32 v1, v33, v32
	v_add_u32_e32 v33, v34, v32
	s_waitcnt lgkmcnt(0)
	v_mfma_f32_16x16x16_bf16 a[0:3], v[30:31], v[18:19], a[0:3]
	ds_read_b64 v[30:31], v1 offset:8192
	s_waitcnt vmcnt(1)
	v_mul_f32_e32 v20, 0x3fb8aa3b, v20
	v_mul_f32_e32 v21, 0x3fb8aa3b, v21
	v_exp_f32_e32 v20, v20
	v_exp_f32_e32 v21, v21
	s_nop 0
	v_accvgpr_read_b32 v29, a1
	v_accvgpr_read_b32 v28, a0
	v_mul_f32_e32 v22, 0x3fb8aa3b, v22
	v_pk_mul_f32 v[20:21], v[0:1], v[20:21] op_sel_hi:[0,1]
	v_pk_fma_f32 v[6:7], v[6:7], v[20:21], v[28:29]
	ds_read_b64 v[20:21], v33 offset:8192
	v_mul_f32_e32 v23, 0x3fb8aa3b, v23
	v_exp_f32_e32 v22, v22
	v_exp_f32_e32 v23, v23
	v_accvgpr_read_b32 v11, a3
	v_accvgpr_read_b32 v10, a2
	s_waitcnt lgkmcnt(1)
	v_mfma_f32_16x16x16_bf16 a[0:3], v[30:31], v[12:13], 0
	v_pk_mul_f32 v[22:23], v[0:1], v[22:23] op_sel_hi:[0,1]
	v_add_u32_e32 v1, v35, v32
	v_pk_fma_f32 v[8:9], v[8:9], v[22:23], v[10:11]
	v_add_u32_e32 v10, v36, v32
	ds_read_b64 v[22:23], v1 offset:8192
	ds_read_b64 v[28:29], v10 offset:8192
	s_waitcnt lgkmcnt(2)
	v_mfma_f32_16x16x16_bf16 a[0:3], v[20:21], v[14:15], a[0:3]
	s_waitcnt vmcnt(0)
	v_mov_b32_e32 v10, v25
	v_mul_f32_e32 v1, 0x3fb8aa3b, v24
	v_mov_b32_e32 v11, v26
	s_waitcnt lgkmcnt(1)
	v_mfma_f32_16x16x16_bf16 a[0:3], v[22:23], v[16:17], a[0:3]
	v_exp_f32_e32 v24, v1
	v_mul_f32_e32 v1, 0x3fb8aa3b, v10
	v_mov_b32_e32 v12, v27
	v_exp_f32_e32 v25, v1
	v_mul_f32_e32 v1, 0x3fb8aa3b, v11
	v_exp_f32_e32 v10, v1
	v_mul_f32_e32 v1, 0x3fb8aa3b, v12
	s_waitcnt lgkmcnt(0)
	v_mfma_f32_16x16x16_bf16 a[0:3], v[28:29], v[18:19], a[0:3]
	v_exp_f32_e32 v11, v1
	v_pk_mul_f32 v[14:15], v[0:1], v[24:25] op_sel_hi:[0,1]
	v_pk_mul_f32 v[0:1], v[0:1], v[10:11] op_sel_hi:[0,1]
	s_nop 3
	v_accvgpr_read_b32 v17, a1
	v_accvgpr_read_b32 v13, a3
	v_accvgpr_read_b32 v12, a2
	v_accvgpr_read_b32 v16, a0
	v_pk_fma_f32 v[2:3], v[2:3], v[14:15], v[16:17]
	v_pk_fma_f32 v[4:5], v[4:5], v[0:1], v[12:13]
.LBB722_75:
	s_add_u32 s0, s12, s14
	s_addc_u32 s1, s13, s15
	v_lshl_add_u64 v[0:1], v[54:55], 2, s[0:1]
	v_mov_b32_e32 v57, 0
	v_lshl_add_u64 v[0:1], v[0:1], 0, v[56:57]
	s_waitcnt vmcnt(1)
	global_store_dwordx4 v[0:1], v[6:9], off
	s_waitcnt vmcnt(1)
	global_store_dwordx4 v[0:1], v[2:5], off offset:256
	s_endpgm
	.section	.rodata,"a",@progbits
	.p2align	6, 0x0
	.amdhsa_kernel _ZN12_GLOBAL__N_139chunk_gated_delta_rule_fwd_h_hip_kernelILi16ELb1ELb1ELb0ELb1ELb0ELb1ELb0ELb0EEEvPK12hip_bfloat16S3_S3_PKfS5_PKvPS1_S8_PvPKiSB_iiiiilll
		.amdhsa_group_segment_fixed_size 40960
		.amdhsa_private_segment_fixed_size 0
		.amdhsa_kernarg_size 136
		.amdhsa_user_sgpr_count 2
		.amdhsa_user_sgpr_dispatch_ptr 0
		.amdhsa_user_sgpr_queue_ptr 0
		.amdhsa_user_sgpr_kernarg_segment_ptr 1
		.amdhsa_user_sgpr_dispatch_id 0
		.amdhsa_user_sgpr_kernarg_preload_length 0
		.amdhsa_user_sgpr_kernarg_preload_offset 0
		.amdhsa_user_sgpr_private_segment_size 0
		.amdhsa_uses_dynamic_stack 0
		.amdhsa_enable_private_segment 0
		.amdhsa_system_sgpr_workgroup_id_x 1
		.amdhsa_system_sgpr_workgroup_id_y 1
		.amdhsa_system_sgpr_workgroup_id_z 0
		.amdhsa_system_sgpr_workgroup_info 0
		.amdhsa_system_vgpr_workitem_id 0
		.amdhsa_next_free_vgpr 128
		.amdhsa_next_free_sgpr 65
		.amdhsa_accum_offset 116
		.amdhsa_reserve_vcc 1
		.amdhsa_float_round_mode_32 0
		.amdhsa_float_round_mode_16_64 0
		.amdhsa_float_denorm_mode_32 3
		.amdhsa_float_denorm_mode_16_64 3
		.amdhsa_dx10_clamp 1
		.amdhsa_ieee_mode 1
		.amdhsa_fp16_overflow 0
		.amdhsa_tg_split 0
		.amdhsa_exception_fp_ieee_invalid_op 0
		.amdhsa_exception_fp_denorm_src 0
		.amdhsa_exception_fp_ieee_div_zero 0
		.amdhsa_exception_fp_ieee_overflow 0
		.amdhsa_exception_fp_ieee_underflow 0
		.amdhsa_exception_fp_ieee_inexact 0
		.amdhsa_exception_int_div_zero 0
	.end_amdhsa_kernel
	.section	.text._ZN12_GLOBAL__N_139chunk_gated_delta_rule_fwd_h_hip_kernelILi16ELb1ELb1ELb0ELb1ELb0ELb1ELb0ELb0EEEvPK12hip_bfloat16S3_S3_PKfS5_PKvPS1_S8_PvPKiSB_iiiiilll,"axG",@progbits,_ZN12_GLOBAL__N_139chunk_gated_delta_rule_fwd_h_hip_kernelILi16ELb1ELb1ELb0ELb1ELb0ELb1ELb0ELb0EEEvPK12hip_bfloat16S3_S3_PKfS5_PKvPS1_S8_PvPKiSB_iiiiilll,comdat
.Lfunc_end722:
	.size	_ZN12_GLOBAL__N_139chunk_gated_delta_rule_fwd_h_hip_kernelILi16ELb1ELb1ELb0ELb1ELb0ELb1ELb0ELb0EEEvPK12hip_bfloat16S3_S3_PKfS5_PKvPS1_S8_PvPKiSB_iiiiilll, .Lfunc_end722-_ZN12_GLOBAL__N_139chunk_gated_delta_rule_fwd_h_hip_kernelILi16ELb1ELb1ELb0ELb1ELb0ELb1ELb0ELb0EEEvPK12hip_bfloat16S3_S3_PKfS5_PKvPS1_S8_PvPKiSB_iiiiilll
                                        ; -- End function
	.section	.AMDGPU.csdata,"",@progbits
; Kernel info:
; codeLenInByte = 8084
; NumSgprs: 71
; NumVgprs: 116
; NumAgprs: 12
; TotalNumVgprs: 128
; ScratchSize: 0
; MemoryBound: 0
; FloatMode: 240
; IeeeMode: 1
; LDSByteSize: 40960 bytes/workgroup (compile time only)
; SGPRBlocks: 8
; VGPRBlocks: 15
; NumSGPRsForWavesPerEU: 71
; NumVGPRsForWavesPerEU: 128
; AccumOffset: 116
; Occupancy: 1
; WaveLimiterHint : 1
; COMPUTE_PGM_RSRC2:SCRATCH_EN: 0
; COMPUTE_PGM_RSRC2:USER_SGPR: 2
; COMPUTE_PGM_RSRC2:TRAP_HANDLER: 0
; COMPUTE_PGM_RSRC2:TGID_X_EN: 1
; COMPUTE_PGM_RSRC2:TGID_Y_EN: 1
; COMPUTE_PGM_RSRC2:TGID_Z_EN: 0
; COMPUTE_PGM_RSRC2:TIDIG_COMP_CNT: 0
; COMPUTE_PGM_RSRC3_GFX90A:ACCUM_OFFSET: 28
; COMPUTE_PGM_RSRC3_GFX90A:TG_SPLIT: 0
	.section	.text._ZN12_GLOBAL__N_139chunk_gated_delta_rule_fwd_h_hip_kernelILi16ELb1ELb0ELb1ELb1ELb0ELb1ELb0ELb0EEEvPK12hip_bfloat16S3_S3_PKfS5_PKvPS1_S8_PvPKiSB_iiiiilll,"axG",@progbits,_ZN12_GLOBAL__N_139chunk_gated_delta_rule_fwd_h_hip_kernelILi16ELb1ELb0ELb1ELb1ELb0ELb1ELb0ELb0EEEvPK12hip_bfloat16S3_S3_PKfS5_PKvPS1_S8_PvPKiSB_iiiiilll,comdat
	.globl	_ZN12_GLOBAL__N_139chunk_gated_delta_rule_fwd_h_hip_kernelILi16ELb1ELb0ELb1ELb1ELb0ELb1ELb0ELb0EEEvPK12hip_bfloat16S3_S3_PKfS5_PKvPS1_S8_PvPKiSB_iiiiilll ; -- Begin function _ZN12_GLOBAL__N_139chunk_gated_delta_rule_fwd_h_hip_kernelILi16ELb1ELb0ELb1ELb1ELb0ELb1ELb0ELb0EEEvPK12hip_bfloat16S3_S3_PKfS5_PKvPS1_S8_PvPKiSB_iiiiilll
	.p2align	8
	.type	_ZN12_GLOBAL__N_139chunk_gated_delta_rule_fwd_h_hip_kernelILi16ELb1ELb0ELb1ELb1ELb0ELb1ELb0ELb0EEEvPK12hip_bfloat16S3_S3_PKfS5_PKvPS1_S8_PvPKiSB_iiiiilll,@function
_ZN12_GLOBAL__N_139chunk_gated_delta_rule_fwd_h_hip_kernelILi16ELb1ELb0ELb1ELb1ELb0ELb1ELb0ELb0EEEvPK12hip_bfloat16S3_S3_PKfS5_PKvPS1_S8_PvPKiSB_iiiiilll: ; @_ZN12_GLOBAL__N_139chunk_gated_delta_rule_fwd_h_hip_kernelILi16ELb1ELb0ELb1ELb1ELb0ELb1ELb0ELb0EEEvPK12hip_bfloat16S3_S3_PKfS5_PKvPS1_S8_PvPKiSB_iiiiilll
; %bb.0:
	s_load_dwordx4 s[12:15], s[0:1], 0x5c
	s_load_dwordx4 s[4:7], s[0:1], 0x48
	s_abs_i32 s9, s3
	s_ashr_i32 s8, s3, 31
	v_and_b32_e32 v64, 15, v0
	s_waitcnt lgkmcnt(0)
	s_abs_i32 s10, s13
	v_cvt_f32_u32_e32 v1, s10
	s_sub_i32 s16, 0, s10
	s_ashr_i32 s11, s13, 31
	s_xor_b32 s8, s8, s11
	v_rcp_iflag_f32_e32 v1, v1
	v_lshrrev_b32_e32 v62, 6, v0
	v_bfe_u32 v63, v0, 4, 2
	v_mov_b32_e32 v5, 0
	v_mul_f32_e32 v1, 0x4f7ffffe, v1
	v_cvt_u32_f32_e32 v1, v1
	v_and_b32_e32 v53, 63, v0
	v_lshrrev_b32_e32 v66, 3, v53
	v_lshlrev_b32_e32 v65, 3, v0
	v_readfirstlane_b32 s17, v1
	s_mul_i32 s16, s16, s17
	s_mul_hi_u32 s16, s17, s16
	s_add_i32 s17, s17, s16
	s_mul_hi_u32 s16, s9, s17
	s_mul_i32 s17, s16, s10
	s_sub_i32 s9, s9, s17
	s_add_i32 s18, s16, 1
	s_sub_i32 s17, s9, s10
	s_cmp_ge_u32 s9, s10
	s_cselect_b32 s16, s18, s16
	s_cselect_b32 s9, s17, s9
	s_add_i32 s17, s16, 1
	s_cmp_ge_u32 s9, s10
	s_cselect_b32 s9, s17, s16
	s_xor_b32 s9, s9, s8
	s_sub_i32 s20, s9, s8
	s_mul_i32 s24, s20, s13
	s_ashr_i32 s21, s20, 31
	s_sub_i32 s49, s3, s24
	s_lshl_b64 s[8:9], s[20:21], 2
	s_add_u32 s4, s4, s8
	s_addc_u32 s5, s5, s9
	s_add_u32 s22, s6, s8
	s_addc_u32 s23, s7, s9
	s_abs_i32 s3, s14
	v_cvt_f32_u32_e32 v1, s3
	s_load_dwordx2 s[34:35], s[4:5], 0x0
	s_lshl_b32 s40, s2, 4
	s_ashr_i32 s2, s14, 31
	v_rcp_iflag_f32_e32 v1, v1
	s_xor_b32 s2, s11, s2
	s_waitcnt lgkmcnt(0)
	s_sub_i32 s52, s35, s34
	s_ashr_i32 s4, s52, 31
	v_mul_f32_e32 v1, 0x4f7ffffe, v1
	v_cvt_u32_f32_e32 v1, v1
	s_lshr_b32 s4, s4, 26
	s_add_i32 s4, s52, s4
	s_ashr_i32 s50, s4, 6
	s_sub_i32 s4, 0, s3
	v_readfirstlane_b32 s5, v1
	s_mul_i32 s4, s4, s5
	s_mul_hi_u32 s4, s5, s4
	s_add_i32 s5, s5, s4
	s_mul_hi_u32 s4, s10, s5
	s_mul_i32 s5, s4, s3
	s_sub_i32 s5, s10, s5
	s_add_i32 s6, s4, 1
	s_sub_i32 s7, s5, s3
	s_cmp_ge_u32 s5, s3
	s_cselect_b32 s4, s6, s4
	s_cselect_b32 s5, s7, s5
	s_add_i32 s6, s4, 1
	s_cmp_ge_u32 s5, s3
	s_cselect_b32 s3, s6, s4
	s_xor_b32 s3, s3, s2
	s_sub_i32 s2, s3, s2
	s_abs_i32 s3, s2
	v_cvt_f32_u32_e32 v1, s3
	s_sub_i32 s5, 0, s3
	s_abs_i32 s4, s49
	s_xor_b32 s2, s49, s2
	v_rcp_iflag_f32_e32 v1, v1
	s_ashr_i32 s2, s2, 31
	s_load_dwordx4 s[16:19], s[0:1], 0x28
	s_load_dwordx2 s[28:29], s[0:1], 0x38
	v_or_b32_e32 v54, s40, v64
	v_mul_f32_e32 v1, 0x4f7ffffe, v1
	v_cvt_u32_f32_e32 v1, v1
	v_lshlrev_b32_e32 v2, 7, v54
	v_ashrrev_i32_e32 v3, 31, v2
	s_mul_hi_i32 s55, s49, s12
	v_readfirstlane_b32 s6, v1
	s_mul_i32 s5, s5, s6
	s_mul_hi_u32 s5, s6, s5
	s_add_i32 s6, s6, s5
	s_mul_hi_u32 s5, s4, s6
	s_mul_i32 s6, s5, s3
	s_sub_i32 s4, s4, s6
	s_add_i32 s6, s5, 1
	s_sub_i32 s7, s4, s3
	s_cmp_ge_u32 s4, s3
	s_cselect_b32 s5, s6, s5
	s_cselect_b32 s4, s7, s4
	s_add_i32 s6, s5, 1
	s_cmp_ge_u32 s4, s3
	s_cselect_b32 s3, s6, s5
	s_xor_b32 s3, s3, s2
	s_sub_i32 s53, s3, s2
	s_ashr_i32 s51, s49, 31
	s_mul_hi_i32 s3, s20, s13
	s_add_u32 s2, s24, s49
	s_addc_u32 s3, s3, s51
	s_lshl_b64 s[2:3], s[2:3], 16
	v_lshlrev_b32_e32 v1, 4, v62
	s_waitcnt lgkmcnt(0)
	s_add_u32 s2, s16, s2
	v_lshl_or_b32 v67, v63, 2, v1
	s_addc_u32 s3, s17, s3
	v_lshl_add_u64 v[2:3], v[2:3], 2, s[2:3]
	v_lshlrev_b32_e32 v4, 2, v67
	v_lshl_add_u64 v[10:11], v[2:3], 0, v[4:5]
	global_load_dwordx4 v[6:9], v[10:11], off
	global_load_dwordx4 v[2:5], v[10:11], off offset:256
	s_load_dwordx8 s[4:11], s[0:1], 0x0
	s_load_dwordx2 s[30:31], s[0:1], 0x80
	s_load_dwordx4 s[24:27], s[0:1], 0x70
	s_load_dword s54, s[22:23], 0x0
	v_or_b32_e32 v68, 64, v67
	s_cmp_lt_i32 s52, 64
	s_mul_i32 s56, s49, s12
	s_waitcnt lgkmcnt(0)
	s_mul_i32 s33, s20, s25
	s_mul_hi_u32 s45, s20, s24
	s_mul_i32 s46, s21, s24
	s_mul_i32 s38, s20, s24
	;; [unrolled: 1-line block ×3, first 2 shown]
	s_mul_hi_u32 s47, s49, s26
	s_mul_i32 s48, s51, s26
	s_mul_i32 s36, s49, s26
	s_cbranch_scc1 .LBB723_18
; %bb.1:
	s_ashr_i32 s3, s34, 31
	s_add_u32 s2, s56, s34
	s_addc_u32 s3, s55, s3
	s_lshl_b64 s[2:3], s[2:3], 8
	v_and_b32_e32 v70, 56, v65
	s_add_u32 s20, s6, s2
	v_lshl_or_b32 v69, v62, 3, v66
	v_lshlrev_b32_e32 v10, 1, v70
	s_addc_u32 s2, s7, s3
	v_lshl_or_b32 v71, v69, 8, v10
	s_and_b32 s21, s2, 0xffff
	s_mov_b32 s23, 0x20000
	s_movk_i32 s22, 0x4000
	s_movk_i32 s2, 0x80
	v_or_b32_e32 v72, 0x2000, v71
	buffer_load_dwordx4 v[12:15], v71, s[20:23], 0 offen
	buffer_load_dwordx4 v[16:19], v71, s[20:23], s2 offen
	;; [unrolled: 1-line block ×4, first 2 shown]
	v_lshlrev_b32_e32 v11, 3, v69
	v_and_or_b32 v29, v0, 7, v11
	v_and_b32_e32 v11, 0x78, v11
	v_lshlrev_b32_e32 v29, 4, v29
	v_xor_b32_e32 v73, v29, v11
	v_mul_lo_u32 v28, v69, s15
	v_or_b32_e32 v74, 0x1000, v73
	v_xor_b32_e32 v11, 8, v73
	s_cmpk_eq_i32 s15, 0x80
	s_mov_b32 s57, s34
	v_xor_b32_e32 v29, 8, v74
	s_cselect_b64 s[2:3], -1, 0
	s_cmpk_lg_i32 s15, 0x80
	s_waitcnt vmcnt(3)
	ds_write_b64 v73, v[12:13] offset:16384
	ds_write_b64 v11, v[14:15] offset:16384
	s_waitcnt vmcnt(2)
	ds_write_b64 v73, v[16:17] offset:24576
	ds_write_b64 v11, v[18:19] offset:24576
	;; [unrolled: 3-line block ×4, first 2 shown]
	v_lshl_add_u32 v11, v28, 1, v70
	s_cbranch_scc0 .LBB723_3
; %bb.2:
	v_lshlrev_b32_e32 v13, 1, v11
	v_add_lshl_u32 v12, v11, s15, 1
	s_lshl_b32 s22, s15, 7
	s_load_dwordx2 s[16:17], s[0:1], 0x20
	v_lshl_or_b32 v10, v69, 9, v10
	s_cbranch_execz .LBB723_4
	s_branch .LBB723_5
.LBB723_3:
                                        ; implicit-def: $vgpr12
                                        ; implicit-def: $vgpr13
                                        ; implicit-def: $sgpr22
	s_load_dwordx2 s[16:17], s[0:1], 0x20
	v_lshl_or_b32 v10, v69, 9, v10
.LBB723_4:
	v_or_b32_e32 v12, 0x100, v10
	s_movk_i32 s22, 0x4000
	v_mov_b32_e32 v13, v10
.LBB723_5:
	s_mul_i32 s0, s34, s14
	s_ashr_i32 s58, s53, 31
	s_mul_hi_i32 s1, s34, s14
	s_add_u32 s0, s0, s53
	s_addc_u32 s1, s1, s58
	s_lshl_b64 s[0:1], s[0:1], 8
	s_add_u32 s20, s4, s0
	s_addc_u32 s0, s5, s1
	s_and_b32 s21, s0, 0xffff
	s_movk_i32 s59, 0x80
	buffer_load_dwordx4 v[14:17], v13, s[20:23], 0 offen
	buffer_load_dwordx4 v[18:21], v13, s[20:23], s59 offen
	;; [unrolled: 1-line block ×4, first 2 shown]
	v_and_b32_e32 v12, 6, v0
	v_lshlrev_b32_e32 v30, 2, v64
	v_lshlrev_b32_e32 v31, 3, v64
	v_xor_b32_e32 v35, v69, v12
	v_and_b32_e32 v13, 1, v0
	v_lshl_or_b32 v31, v67, 5, v31
	v_xor_b32_e32 v36, v67, v30
	v_lshlrev_b32_e32 v35, 2, v35
	s_add_i32 s0, s45, s33
	v_or_b32_e32 v75, 0x9000, v31
	v_or_b32_e32 v76, 0x9800, v31
	v_lshlrev_b32_e32 v31, 1, v36
	v_xor_b32_e32 v36, 0x440, v35
	v_cmp_eq_u32_e32 vcc, 0, v13
	s_add_i32 s1, s47, s44
	s_add_i32 s39, s0, s46
	v_cndmask_b32_e32 v13, v36, v35, vcc
	s_add_i32 s37, s1, s48
	s_lshl_b64 s[0:1], s[38:39], 2
	s_mov_b32 s60, 0x1000504
	s_mov_b32 s61, 0x3020706
	v_lshlrev_b32_e32 v32, 8, v64
	s_mov_b32 s20, 0x8000
	v_xor_b32_e32 v30, v68, v30
	v_lshl_or_b32 v12, v12, 10, v13
	s_add_u32 s21, s10, s0
	v_or_b32_e32 v33, v1, v64
	v_lshlrev_b32_e32 v30, 1, v30
	v_or3_b32 v77, v31, v32, s20
	v_xor_b32_e32 v13, 8, v12
	v_xor_b32_e32 v31, 24, v12
	;; [unrolled: 1-line block ×4, first 2 shown]
	s_addc_u32 s22, s11, s1
	s_lshl_b64 s[0:1], s[36:37], 2
	v_or3_b32 v78, v30, v32, s20
	v_xor_b32_e32 v30, 16, v12
	v_xor_b32_e32 v32, 32, v12
	;; [unrolled: 1-line block ×3, first 2 shown]
	v_add_u32_e32 v13, 0x80, v13
	v_add_u32_e32 v31, 0x80, v31
	;; [unrolled: 1-line block ×4, first 2 shown]
	s_add_u32 s42, s21, s0
	s_movk_i32 s0, 0xf8
	s_addc_u32 s43, s22, s1
	s_ashr_i32 s41, s40, 31
	v_ashrrev_i32_e32 v55, 31, v54
	s_lshl_b32 s26, s15, 7
	v_lshrrev_b32_e32 v34, 2, v53
	s_mov_b32 s62, 0
	s_mov_b32 s37, 0x7060302
	s_movk_i32 s22, 0x4000
	v_mov_b32_e32 v98, 0x3fb8aa3b
	s_waitcnt vmcnt(1)
	v_perm_b32 v38, v14, v22, s60
	s_waitcnt vmcnt(0)
	v_perm_b32 v39, v18, v26, s60
	v_perm_b32 v14, v14, v22, s61
	;; [unrolled: 1-line block ×15, first 2 shown]
	ds_write2st64_b32 v12, v38, v39 offset1:32
	ds_write2st64_b32 v13, v14, v18 offset1:32
	ds_write2st64_b32 v30, v22, v26 offset0:1 offset1:33
	ds_write2st64_b32 v31, v15, v19 offset0:1 offset1:33
	;; [unrolled: 1-line block ×6, first 2 shown]
	v_lshlrev_b32_e32 v12, 3, v33
	v_lshrrev_b32_e32 v14, 5, v53
	v_and_or_b32 v14, v12, s0, v14
	v_lshlrev_b32_e32 v14, 4, v14
	v_lshlrev_b32_e32 v21, 11, v62
	v_and_b32_e32 v12, 0x78, v12
	v_or_b32_e32 v17, 32, v14
	v_and_b32_e32 v13, 0x1000, v21
	v_lshrrev_b32_e32 v16, 1, v53
	v_xor_b32_e32 v17, v17, v12
	v_and_b32_e32 v16, 8, v16
	v_or_b32_e32 v17, v17, v13
	v_xor_b32_e32 v15, v14, v12
	v_xor_b32_e32 v81, v17, v16
	v_or_b32_e32 v17, 64, v14
	v_or_b32_e32 v14, 0x60, v14
	v_xor_b32_e32 v17, v17, v12
	v_xor_b32_e32 v12, v14, v12
	v_or_b32_e32 v15, v15, v13
	v_or_b32_e32 v17, v17, v13
	;; [unrolled: 1-line block ×3, first 2 shown]
	v_xor_b32_e32 v79, v15, v16
	v_xor_b32_e32 v82, v17, v16
	;; [unrolled: 1-line block ×3, first 2 shown]
	v_lshrrev_b32_e32 v16, 4, v0
	v_lshlrev_b32_e32 v17, 1, v64
	v_or_b32_e32 v18, 1, v17
	v_xor_b32_e32 v17, v16, v17
	s_lshl_b64 s[0:1], s[40:41], 8
	v_xor_b32_e32 v18, v18, v16
	v_lshlrev_b32_e32 v17, 3, v17
	v_lshlrev_b32_e32 v16, 8, v16
	v_lshlrev_b64 v[12:13], 1, v[54:55]
	s_add_u32 s0, s18, s0
	v_or3_b32 v55, v17, v16, s20
	v_lshlrev_b32_e32 v17, 3, v18
	s_addc_u32 s1, s19, s1
	v_or3_b32 v85, v17, v16, s20
	v_mov_b32_e32 v17, 0
	v_lshrrev_b32_e32 v27, 1, v0
	v_lshl_add_u64 v[18:19], s[0:1], 0, v[16:17]
	v_lshlrev_b32_e32 v16, 4, v64
	s_movk_i32 s0, 0xff
	v_lshlrev_b32_e32 v26, 3, v62
	v_and_b32_e32 v27, 24, v27
	v_lshl_add_u64 v[56:57], v[18:19], 0, v[16:17]
	v_and_b32_e32 v16, 7, v0
	v_and_b32_e32 v19, 8, v0
	v_cmp_lt_u32_e32 vcc, s0, v0
	v_xor_b32_e32 v28, v26, v27
	v_lshlrev_b32_e32 v24, 3, v16
	v_lshlrev_b32_e32 v25, 7, v16
	v_cndmask_b32_e64 v16, 0, 1, vcc
	v_or_b32_e32 v29, 0x440, v28
	v_cmp_eq_u32_e32 vcc, 0, v19
	v_or_b32_e32 v31, 64, v27
	v_xor_b32_e32 v31, v26, v31
	v_cndmask_b32_e32 v19, v29, v28, vcc
	v_or_b32_e32 v29, 32, v27
	v_or_b32_e32 v27, 0x60, v27
	v_xor_b32_e32 v29, v26, v29
	v_xor_b32_e32 v26, v26, v27
	v_or_b32_e32 v30, 0x440, v29
	v_xor_b32_e32 v32, 0x440, v31
	v_xor_b32_e32 v27, 0x440, v26
	v_cndmask_b32_e32 v29, v30, v29, vcc
	v_cndmask_b32_e32 v31, v32, v31, vcc
	;; [unrolled: 1-line block ×3, first 2 shown]
	v_and_b32_e32 v15, 0x78, v65
	v_or_b32_e32 v19, v19, v21
	v_or_b32_e32 v29, v29, v21
	;; [unrolled: 1-line block ×4, first 2 shown]
	v_and_b32_e32 v20, 12, v34
	v_lshl_or_b32 v15, v63, 7, v15
	v_lshlrev_b32_e32 v16, 13, v16
	v_xor_b32_e32 v19, v19, v24
	v_xor_b32_e32 v29, v29, v24
	;; [unrolled: 1-line block ×4, first 2 shown]
	v_or_b32_e32 v80, 0x9000, v15
	v_or_b32_e32 v84, 0x9800, v15
	v_lshl_add_u64 v[14:15], s[8:9], 0, v[12:13]
	v_lshl_add_u64 v[12:13], s[28:29], 0, v[12:13]
	v_lshlrev_b32_e32 v22, 1, v11
	v_add_lshl_u32 v11, v11, s15, 1
	v_or_b32_e32 v23, 0x100, v10
	v_or_b32_e32 v18, v20, v1
	v_add_u32_e32 v28, v16, v19
	v_add_u32_e32 v30, v16, v29
	;; [unrolled: 1-line block ×4, first 2 shown]
	v_or3_b32 v20, v1, v20, 64
	v_add_u32_e32 v19, 0x2000, v19
	v_add_u32_e32 v26, 0x2000, v29
	;; [unrolled: 1-line block ×4, first 2 shown]
	v_lshlrev_b32_e32 v16, 8, v67
	v_cndmask_b32_e64 v86, v22, v10, s[2:3]
	v_cndmask_b32_e64 v87, v11, v23, s[2:3]
	v_lshl_add_u64 v[58:59], v[14:15], 0, v[16:17]
	v_lshl_add_u64 v[60:61], v[12:13], 0, v[16:17]
	v_lshlrev_b32_e32 v88, 2, v18
	v_add_u32_e32 v89, v28, v25
	v_add_u32_e32 v90, v30, v25
	;; [unrolled: 1-line block ×4, first 2 shown]
	v_lshlrev_b32_e32 v93, 2, v20
	v_add_u32_e32 v94, v19, v25
	v_add_u32_e32 v95, v26, v25
	;; [unrolled: 1-line block ×4, first 2 shown]
	s_waitcnt lgkmcnt(0)
	s_barrier
.LBB723_6:                              ; =>This Inner Loop Header: Depth=1
	s_add_i32 s39, s62, 1
	s_cmp_lt_i32 s39, s50
	s_mov_b64 s[24:25], 0
	s_cselect_b64 s[2:3], -1, 0
	s_cmp_ge_i32 s39, s50
	s_mov_b64 s[20:21], 0
	s_cbranch_scc1 .LBB723_8
; %bb.7:                                ;   in Loop: Header=BB723_6 Depth=1
	s_add_i32 s0, s57, 64
	s_ashr_i32 s1, s0, 31
	s_add_u32 s0, s56, s0
	s_addc_u32 s1, s55, s1
	s_lshl_b64 s[0:1], s[0:1], 8
	s_add_u32 s20, s6, s0
	s_addc_u32 s21, s7, s1
.LBB723_8:                              ;   in Loop: Header=BB723_6 Depth=1
	v_cndmask_b32_e64 v10, 0, 1, s[2:3]
	v_cmp_ne_u32_e64 s[0:1], 1, v10
	s_andn2_b64 vcc, exec, s[2:3]
	s_cbranch_vccnz .LBB723_10
; %bb.9:                                ;   in Loop: Header=BB723_6 Depth=1
	s_add_i32 s2, s57, 64
	s_mul_hi_i32 s3, s2, s14
	s_mul_i32 s2, s2, s14
	s_add_u32 s2, s2, s53
	s_addc_u32 s3, s3, s58
	s_lshl_b64 s[2:3], s[2:3], 8
	s_add_u32 s24, s4, s2
	s_addc_u32 s25, s5, s3
.LBB723_10:                             ;   in Loop: Header=BB723_6 Depth=1
	v_perm_b32 v11, v9, v8, s37
	v_perm_b32 v10, v7, v6, s37
	;; [unrolled: 1-line block ×4, first 2 shown]
	ds_write_b64 v75, v[10:11]
	ds_write_b64 v76, v[12:13]
	;; [unrolled: 1-line block ×4, first 2 shown]
	s_waitcnt lgkmcnt(0)
	s_barrier
	ds_read_b64 v[18:19], v79 offset:16384
	ds_read_b64 v[20:21], v81 offset:16384
	ds_read2st64_b64 v[10:13], v80 offset1:1
	s_waitcnt lgkmcnt(0)
	v_mfma_f32_16x16x16_bf16 a[0:3], v[18:19], v[10:11], 0
	ds_read2st64_b64 v[14:17], v80 offset0:2 offset1:3
	ds_read_b64 v[22:23], v82 offset:16384
	ds_read_b64 v[10:11], v83 offset:16384
	s_add_i32 s41, s57, 63
	v_mfma_f32_16x16x16_bf16 a[0:3], v[20:21], v[12:13], a[0:3]
	s_ashr_i32 s2, s41, 31
	s_mul_i32 s3, s41, s31
	s_mul_hi_u32 s27, s41, s30
	s_waitcnt lgkmcnt(1)
	v_mfma_f32_16x16x16_bf16 a[0:3], v[22:23], v[14:15], a[0:3]
	s_add_i32 s3, s27, s3
	s_mul_i32 s2, s2, s30
	s_add_i32 s3, s3, s2
	s_mul_i32 s2, s41, s30
	s_waitcnt lgkmcnt(0)
	v_mfma_f32_16x16x16_bf16 a[0:3], v[10:11], v[16:17], a[0:3]
	s_lshl_b64 s[2:3], s[2:3], 2
	s_add_u32 s2, s42, s2
	s_addc_u32 s3, s43, s3
	s_and_b64 vcc, exec, s[0:1]
	v_mov_b32_e32 v101, 0
	v_mov_b32_e32 v100, 0
	;; [unrolled: 1-line block ×19, first 2 shown]
	s_cbranch_vccnz .LBB723_12
; %bb.11:                               ;   in Loop: Header=BB723_6 Depth=1
	s_and_b32 s21, s21, 0xffff
	buffer_load_dwordx4 v[22:25], v71, s[20:23], 0 offen
	buffer_load_dwordx4 v[18:21], v71, s[20:23], s59 offen
	;; [unrolled: 1-line block ×4, first 2 shown]
	v_mov_b32_e32 v100, v73
	v_mov_b32_e32 v99, v74
.LBB723_12:                             ;   in Loop: Header=BB723_6 Depth=1
	v_add_u32_e32 v30, s57, v67
	v_ashrrev_i32_e32 v26, 31, v30
	v_mul_lo_u32 v28, v26, s30
	v_mul_lo_u32 v29, v30, s31
	v_mad_u64_u32 v[26:27], s[20:21], v30, s30, 0
	v_add3_u32 v27, v27, v29, v28
	v_lshl_add_u64 v[26:27], v[26:27], 2, s[42:43]
	global_load_dword v42, v[26:27], off
	v_add_u32_e32 v26, 1, v30
	v_ashrrev_i32_e32 v27, 31, v26
	v_mul_lo_u32 v28, v27, s30
	v_mul_lo_u32 v29, v26, s31
	v_mad_u64_u32 v[26:27], s[20:21], v26, s30, 0
	v_add3_u32 v27, v27, v29, v28
	v_add_u32_e32 v28, 2, v30
	v_ashrrev_i32_e32 v29, 31, v28
	v_mul_lo_u32 v31, v29, s30
	v_mul_lo_u32 v32, v28, s31
	v_mad_u64_u32 v[28:29], s[20:21], v28, s30, 0
	v_add_u32_e32 v30, 3, v30
	v_add3_u32 v29, v29, v32, v31
	v_ashrrev_i32_e32 v31, 31, v30
	v_mul_lo_u32 v34, v31, s30
	v_mul_lo_u32 v35, v30, s31
	v_mad_u64_u32 v[30:31], s[20:21], v30, s30, 0
	s_ashr_i32 s21, s57, 31
	s_add_u32 s20, s56, s57
	s_addc_u32 s21, s55, s21
	s_lshl_b64 s[20:21], s[20:21], 8
	v_lshl_add_u64 v[26:27], v[26:27], 2, s[42:43]
	v_lshl_add_u64 v[32:33], v[58:59], 0, s[20:21]
	v_add3_u32 v31, v31, v35, v34
	v_lshl_add_u64 v[28:29], v[28:29], 2, s[42:43]
	global_load_ushort v43, v[32:33], off
	global_load_ushort v44, v[32:33], off offset:256
	global_load_ushort v45, v[32:33], off offset:512
	;; [unrolled: 1-line block ×3, first 2 shown]
	v_lshl_add_u64 v[30:31], v[30:31], 2, s[42:43]
	global_load_dword v47, v[26:27], off
	global_load_dword v48, v[28:29], off
	;; [unrolled: 1-line block ×3, first 2 shown]
	ds_read_b64 v[30:31], v79 offset:24576
	ds_read_b64 v[36:37], v81 offset:24576
	ds_read2st64_b64 v[26:29], v84 offset1:1
	s_waitcnt lgkmcnt(0)
	v_mfma_f32_16x16x16_bf16 a[0:3], v[30:31], v[26:27], a[0:3]
	s_load_dword s2, s[2:3], 0x0
	ds_read2st64_b64 v[32:35], v84 offset0:2 offset1:3
	ds_read_b64 v[38:39], v82 offset:24576
	ds_read_b64 v[40:41], v83 offset:24576
	v_mov_b32_e32 v102, 0
	v_mfma_f32_16x16x16_bf16 a[0:3], v[36:37], v[28:29], a[0:3]
	v_mov_b32_e32 v26, 0
	v_mov_b32_e32 v27, 0
	v_mov_b32_e32 v28, 0
	s_waitcnt lgkmcnt(0)
	v_mfma_f32_16x16x16_bf16 a[0:3], v[38:39], v[32:33], a[0:3]
	v_lshl_add_u64 v[32:33], v[60:61], 0, s[20:21]
	v_mov_b32_e32 v29, 0
	v_mov_b32_e32 v30, 0
	v_mfma_f32_16x16x16_bf16 a[0:3], v[40:41], v[34:35], a[0:3]
	v_mov_b32_e32 v31, 0
	s_and_b64 vcc, exec, s[0:1]
	s_waitcnt vmcnt(7)
	v_sub_f32_e32 v42, s2, v42
	s_nop 2
	v_accvgpr_read_b32 v37, a1
	v_accvgpr_read_b32 v35, a3
	v_accvgpr_read_b32 v34, a2
	v_accvgpr_read_b32 v36, a0
	v_mul_f32_e32 v42, 0x3fb8aa3b, v42
	s_waitcnt vmcnt(6)
	v_lshlrev_b32_e32 v38, 16, v43
	s_waitcnt vmcnt(5)
	v_lshlrev_b32_e32 v39, 16, v44
	;; [unrolled: 2-line block ×4, first 2 shown]
	s_waitcnt vmcnt(2)
	v_sub_f32_e32 v43, s2, v47
	s_waitcnt vmcnt(1)
	v_sub_f32_e32 v44, s2, v48
	;; [unrolled: 2-line block ×3, first 2 shown]
	v_pk_add_f32 v[36:37], v[38:39], v[36:37] neg_lo:[0,1] neg_hi:[0,1]
	v_pk_add_f32 v[34:35], v[40:41], v[34:35] neg_lo:[0,1] neg_hi:[0,1]
	v_mul_f32_e32 v39, 0x3fb8aa3b, v43
	v_mul_f32_e32 v40, 0x3fb8aa3b, v44
	;; [unrolled: 1-line block ×3, first 2 shown]
	v_exp_f32_e32 v38, v42
	v_exp_f32_e32 v39, v39
	;; [unrolled: 1-line block ×4, first 2 shown]
	global_store_short_d16_hi v[32:33], v36, off
	global_store_short_d16_hi v[32:33], v37, off offset:256
	global_store_short_d16_hi v[32:33], v34, off offset:512
	;; [unrolled: 1-line block ×3, first 2 shown]
	v_pk_mul_f32 v[32:33], v[38:39], v[36:37]
	v_pk_mul_f32 v[34:35], v[40:41], v[34:35]
	v_perm_b32 v32, v33, v32, s37
	v_perm_b32 v33, v35, v34, s37
	ds_write_b64 v76, v[32:33]
	v_mov_b32_e32 v32, 0
	v_mov_b32_e32 v33, 0
	;; [unrolled: 1-line block ×10, first 2 shown]
	s_cbranch_vccnz .LBB723_14
; %bb.13:                               ;   in Loop: Header=BB723_6 Depth=1
	s_and_b32 s25, s25, 0xffff
	s_mov_b32 s27, s23
	buffer_load_dwordx4 v[38:41], v86, s[24:27], 0 offen
	buffer_load_dwordx4 v[30:33], v86, s[24:27], s59 offen
	;; [unrolled: 1-line block ×4, first 2 shown]
	v_mov_b32_e32 v101, v70
	v_mov_b32_e32 v102, v69
.LBB723_14:                             ;   in Loop: Header=BB723_6 Depth=1
	s_waitcnt lgkmcnt(0)
	s_barrier
	ds_read_b64 v[42:43], v89
	ds_read_b64 v[48:49], v90
	ds_read2st64_b64 v[44:47], v84 offset1:1
	ds_read2st64_b64 v[104:107], v84 offset0:2 offset1:3
	ds_read_b64 v[50:51], v91
	ds_read_b64 v[112:113], v92
	s_add_i32 s3, s54, s62
	s_mul_hi_i32 s21, s3, s13
	s_mul_i32 s3, s3, s13
	s_waitcnt lgkmcnt(3)
	v_mfma_f32_16x16x16_bf16 a[0:3], v[42:43], v[44:45], 0
	ds_read_b64 v[42:43], v94
	s_add_u32 s20, s3, s49
	s_addc_u32 s21, s21, s51
	v_mfma_f32_16x16x16_bf16 a[0:3], v[48:49], v[46:47], a[0:3]
	ds_read_b64 v[48:49], v95
	s_lshl_b64 s[20:21], s[20:21], 15
	s_mul_i32 s24, s41, s13
	s_mul_hi_i32 s3, s41, s13
	s_add_u32 s24, s24, s49
	s_addc_u32 s25, s3, s51
	s_lshl_b64 s[24:25], s[24:25], 9
	s_add_u32 s24, s16, s24
	s_waitcnt lgkmcnt(1)
	v_mfma_f32_16x16x16_bf16 a[4:7], v[42:43], v[44:45], 0
	s_addc_u32 s25, s17, s25
	s_and_b64 vcc, exec, s[0:1]
	v_mfma_f32_16x16x16_bf16 a[0:3], v[50:51], v[104:105], a[0:3]
	ds_read_b64 v[50:51], v96
	ds_read_b64 v[114:115], v97
	global_load_dwordx4 v[42:45], v93, s[24:25]
	s_waitcnt lgkmcnt(2)
	v_mfma_f32_16x16x16_bf16 a[4:7], v[48:49], v[46:47], a[4:7]
	global_load_dwordx4 v[46:49], v88, s[24:25]
	ds_read_b64 v[108:109], v55
	ds_read_b64 v[110:111], v85
	s_waitcnt lgkmcnt(3)
	v_mfma_f32_16x16x16_bf16 a[8:11], v[50:51], v[104:105], a[4:7]
	v_lshl_add_u64 v[50:51], v[56:57], 0, s[20:21]
	s_waitcnt lgkmcnt(0)
	global_store_dwordx4 v[50:51], v[108:111], off
	v_mfma_f32_16x16x16_bf16 a[4:7], v[112:113], v[106:107], a[0:3]
	s_waitcnt vmcnt(2)
	v_mov_b32_e32 v52, v45
	v_mfma_f32_16x16x16_bf16 a[0:3], v[114:115], v[106:107], a[8:11]
	v_mov_b32_e32 v51, v44
	v_mov_b32_e32 v50, v43
	s_cbranch_vccnz .LBB723_16
; %bb.15:                               ;   in Loop: Header=BB723_6 Depth=1
	v_lshrrev_b32_e32 v43, 3, v101
	v_and_b32_e32 v43, 6, v43
	v_xor_b32_e32 v44, v43, v102
	v_lshlrev_b32_e32 v44, 2, v44
	v_and_b32_e32 v45, 8, v101
	v_xor_b32_e32 v101, 0x440, v44
	v_cmp_eq_u32_e32 vcc, 0, v45
	v_perm_b32 v45, v30, v26, s60
	s_nop 0
	v_cndmask_b32_e32 v44, v101, v44, vcc
	v_lshl_or_b32 v43, v43, 10, v44
	v_perm_b32 v44, v38, v34, s60
	s_barrier
	ds_write2st64_b32 v43, v44, v45 offset1:32
	v_xor_b32_e32 v44, 8, v43
	v_perm_b32 v34, v38, v34, s61
	v_perm_b32 v26, v30, v26, s61
	v_add_u32_e32 v30, 0x80, v44
	ds_write2st64_b32 v30, v34, v26 offset1:32
	v_xor_b32_e32 v26, 16, v43
	v_perm_b32 v30, v39, v35, s60
	v_perm_b32 v34, v31, v27, s60
	ds_write2st64_b32 v26, v30, v34 offset0:1 offset1:33
	v_xor_b32_e32 v26, 24, v43
	v_perm_b32 v30, v39, v35, s61
	v_perm_b32 v27, v31, v27, s61
	v_add_u32_e32 v26, 0x80, v26
	ds_write2st64_b32 v26, v30, v27 offset0:1 offset1:33
	v_xor_b32_e32 v26, 32, v43
	v_perm_b32 v27, v40, v36, s60
	v_perm_b32 v30, v32, v28, s60
	ds_write2st64_b32 v26, v27, v30 offset0:2 offset1:34
	v_xor_b32_e32 v26, 40, v43
	v_perm_b32 v27, v40, v36, s61
	v_perm_b32 v28, v32, v28, s61
	v_add_u32_e32 v26, 0x80, v26
	ds_write2st64_b32 v26, v27, v28 offset0:2 offset1:34
	;; [unrolled: 9-line block ×3, first 2 shown]
	ds_write_b64 v100, v[22:23] offset:16384
	v_xor_b32_e32 v22, 8, v100
	ds_write_b64 v22, v[24:25] offset:16384
	ds_write_b64 v100, v[18:19] offset:24576
	;; [unrolled: 1-line block ×4, first 2 shown]
	v_xor_b32_e32 v14, 8, v99
	ds_write_b64 v14, v[16:17] offset:16384
	ds_write_b64 v99, v[10:11] offset:24576
	;; [unrolled: 1-line block ×3, first 2 shown]
.LBB723_16:                             ;   in Loop: Header=BB723_6 Depth=1
	v_mul_f32_e32 v14, s2, v98
	v_exp_f32_e32 v18, v14
	s_waitcnt vmcnt(1)
	v_mul_f32_e32 v14, 0x3fb8aa3b, v46
	v_exp_f32_e32 v20, v14
	v_mul_f32_e32 v14, 0x3fb8aa3b, v47
	v_exp_f32_e32 v21, v14
	;; [unrolled: 2-line block ×4, first 2 shown]
	v_accvgpr_read_b32 v13, a7
	v_accvgpr_read_b32 v11, a5
	v_accvgpr_read_b32 v10, a4
	v_pk_mul_f32 v[20:21], v[18:19], v[20:21] op_sel_hi:[0,1]
	v_pk_fma_f32 v[6:7], v[6:7], v[20:21], v[10:11]
	v_pk_mul_f32 v[10:11], v[18:19], v[22:23] op_sel_hi:[0,1]
	v_mul_f32_e32 v19, 0x3fb8aa3b, v42
	v_exp_f32_e32 v20, v19
	v_mul_f32_e32 v19, 0x3fb8aa3b, v50
	v_exp_f32_e32 v21, v19
	;; [unrolled: 2-line block ×4, first 2 shown]
	v_accvgpr_read_b32 v12, a6
	v_accvgpr_read_b32 v17, a3
	;; [unrolled: 1-line block ×4, first 2 shown]
	v_pk_fma_f32 v[8:9], v[8:9], v[10:11], v[12:13]
	v_pk_mul_f32 v[10:11], v[18:19], v[20:21] op_sel_hi:[0,1]
	v_accvgpr_read_b32 v16, a2
	v_pk_fma_f32 v[2:3], v[2:3], v[10:11], v[14:15]
	v_pk_mul_f32 v[10:11], v[18:19], v[22:23] op_sel_hi:[0,1]
	s_add_i32 s57, s57, 64
	s_cmp_eq_u32 s50, s39
	v_pk_fma_f32 v[4:5], v[4:5], v[10:11], v[16:17]
	s_cbranch_scc1 .LBB723_18
; %bb.17:                               ;   in Loop: Header=BB723_6 Depth=1
	s_mov_b32 s62, s39
	s_branch .LBB723_6
.LBB723_18:
	s_lshl_b32 s26, s50, 6
	s_sub_i32 s27, s52, s26
	s_cmp_gt_i32 s27, 0
	s_cbranch_scc0 .LBB723_75
; %bb.19:
	s_add_i32 s26, s26, s34
	s_ashr_i32 s2, s26, 31
	s_cmpk_lg_i32 s15, 0x80
	s_cselect_b64 s[22:23], -1, 0
	s_and_b64 vcc, exec, s[22:23]
	s_cbranch_vccz .LBB723_21
; %bb.20:
	s_mul_i32 s1, s26, s14
	s_ashr_i32 s3, s53, 31
	s_mul_hi_i32 s0, s26, s14
	s_add_u32 s24, s1, s53
	s_addc_u32 s25, s0, s3
	s_cbranch_execz .LBB723_22
	s_branch .LBB723_23
.LBB723_21:
                                        ; implicit-def: $sgpr24_sgpr25
.LBB723_22:
	s_mul_i32 s1, s53, s12
	s_mul_hi_i32 s0, s53, s12
	s_add_u32 s24, s1, s26
	s_addc_u32 s25, s0, s2
.LBB723_23:
	s_add_i32 s3, s50, s54
	s_add_u32 s0, s56, s26
	s_addc_u32 s1, s55, s2
	s_mov_b32 s2, 0x7060302
	s_waitcnt vmcnt(0)
	v_perm_b32 v5, v5, v4, s2
	v_perm_b32 v4, v3, v2, s2
	v_lshlrev_b32_e32 v2, 3, v64
	s_lshl_b64 s[20:21], s[0:1], 8
	v_perm_b32 v9, v9, v8, s2
	v_perm_b32 v8, v7, v6, s2
	v_lshlrev_b32_e32 v34, 2, v64
	v_lshl_or_b32 v2, v67, 5, v2
	s_add_u32 s0, s6, s20
	ds_write2st64_b64 v2, v[8:9], v[4:5] offset0:72 offset1:76
	v_xor_b32_e32 v2, v67, v34
	v_lshlrev_b32_e32 v3, 8, v64
	s_addc_u32 s1, s7, s21
	v_lshl_or_b32 v2, v2, 1, v3
	s_mul_hi_i32 s6, s3, s13
	s_mul_i32 s3, s3, s13
	ds_write_b64 v2, v[8:9] offset:32768
	v_xor_b32_e32 v2, v68, v34
	s_add_u32 s2, s3, s49
	v_lshl_or_b32 v2, v2, 1, v3
	s_addc_u32 s3, s6, s51
	v_lshlrev_b32_e32 v3, 1, v64
	ds_write_b64 v2, v[4:5] offset:32768
	v_lshrrev_b32_e32 v2, 4, v0
	s_ashr_i32 s41, s40, 31
	s_lshl_b64 s[2:3], s[2:3], 15
	v_or_b32_e32 v4, 1, v3
	s_add_u32 s6, s18, s2
	v_xor_b32_e32 v3, v2, v3
	v_xor_b32_e32 v4, v4, v2
	v_lshlrev_b32_e32 v6, 8, v2
	s_addc_u32 s7, s19, s3
	s_lshl_b64 s[2:3], s[40:41], 8
	v_lshl_or_b32 v2, v3, 3, v6
	v_lshl_or_b32 v4, v4, 3, v6
	s_waitcnt lgkmcnt(0)
	s_barrier
	s_add_u32 s2, s6, s2
	ds_read_b64 v[2:3], v2 offset:32768
	ds_read_b64 v[4:5], v4 offset:32768
	s_addc_u32 s3, s7, s3
	v_mov_b32_e32 v7, 0
	s_cmp_lg_u32 s27, 64
	v_lshl_add_u64 v[8:9], s[2:3], 0, v[6:7]
	v_lshlrev_b32_e32 v6, 4, v64
	s_cselect_b64 s[6:7], -1, 0
	v_lshl_or_b32 v35, v62, 3, v66
	s_mov_b32 s16, 0
	v_lshl_add_u64 v[6:7], v[8:9], 0, v[6:7]
	v_or_b32_e32 v19, 32, v35
	v_and_b32_e32 v18, 56, v65
	s_and_b64 vcc, exec, s[6:7]
	s_waitcnt lgkmcnt(0)
	global_store_dwordx4 v[6:7], v[2:5], off
	s_cbranch_vccz .LBB723_29
; %bb.24:
	s_mov_b32 s17, s16
	s_mov_b32 s18, s16
	;; [unrolled: 1-line block ×3, first 2 shown]
	v_mov_b64_e32 v[6:7], s[16:17]
	v_mov_b64_e32 v[8:9], s[18:19]
	;; [unrolled: 1-line block ×3, first 2 shown]
	v_cmp_gt_i32_e32 vcc, s27, v35
	v_mov_b64_e32 v[4:5], v[8:9]
	s_and_saveexec_b64 s[2:3], vcc
	s_cbranch_execz .LBB723_26
; %bb.25:
	v_lshlrev_b32_e32 v2, 8, v35
	v_mov_b32_e32 v3, 0
	v_lshl_add_u64 v[4:5], s[0:1], 0, v[2:3]
	v_lshlrev_b32_e32 v2, 1, v18
	v_lshl_add_u64 v[10:11], v[4:5], 0, v[2:3]
	global_load_dwordx4 v[6:9], v[10:11], off
	global_load_dwordx4 v[2:5], v[10:11], off offset:128
.LBB723_26:
	s_or_b64 exec, exec, s[2:3]
	s_mov_b32 s17, s16
	s_mov_b32 s18, s16
	;; [unrolled: 1-line block ×3, first 2 shown]
	v_mov_b64_e32 v[14:15], s[16:17]
	v_mov_b64_e32 v[16:17], s[18:19]
	;; [unrolled: 1-line block ×3, first 2 shown]
	v_cmp_gt_i32_e32 vcc, s27, v19
	v_lshlrev_b32_e32 v20, 7, v19
	v_mov_b64_e32 v[12:13], v[16:17]
	s_and_saveexec_b64 s[2:3], vcc
	s_cbranch_execz .LBB723_28
; %bb.27:
	v_lshlrev_b32_e32 v10, 1, v20
	v_mov_b32_e32 v11, 0
	v_lshl_add_u64 v[12:13], s[0:1], 0, v[10:11]
	v_lshlrev_b32_e32 v10, 1, v18
	v_lshl_add_u64 v[22:23], v[12:13], 0, v[10:11]
	global_load_dwordx4 v[14:17], v[22:23], off
	global_load_dwordx4 v[10:13], v[22:23], off offset:128
.LBB723_28:
	s_or_b64 exec, exec, s[2:3]
	v_lshrrev_b32_e32 v21, 3, v18
	v_lshlrev_b32_e32 v22, 3, v35
	v_or_b32_e32 v21, v22, v21
	v_lshlrev_b32_e32 v21, 4, v21
	v_and_b32_e32 v22, 0x78, v22
	v_xor_b32_e32 v21, v21, v22
	s_branch .LBB723_31
.LBB723_29:
                                        ; implicit-def: $vgpr21
                                        ; implicit-def: $vgpr20
                                        ; implicit-def: $vgpr6_vgpr7_vgpr8_vgpr9
                                        ; implicit-def: $vgpr2_vgpr3_vgpr4_vgpr5
                                        ; implicit-def: $vgpr14_vgpr15_vgpr16_vgpr17
                                        ; implicit-def: $vgpr10_vgpr11_vgpr12_vgpr13
	s_cbranch_execz .LBB723_31
; %bb.30:
	s_waitcnt vmcnt(0)
	v_lshlrev_b32_e32 v2, 1, v18
	v_lshl_or_b32 v20, v35, 8, v2
	s_and_b32 s1, s1, 0xffff
	s_mov_b32 s3, 0x20000
	s_movk_i32 s2, 0x4000
	v_lshl_or_b32 v21, v19, 8, v2
	s_movk_i32 s12, 0x80
	buffer_load_dwordx4 v[6:9], v20, s[0:3], 0 offen
	buffer_load_dwordx4 v[2:5], v20, s[0:3], s12 offen
	;; [unrolled: 1-line block ×4, first 2 shown]
	v_lshrrev_b32_e32 v20, 3, v18
	v_lshlrev_b32_e32 v21, 3, v35
	v_or_b32_e32 v20, v21, v20
	v_lshlrev_b32_e32 v20, 4, v20
	v_and_b32_e32 v21, 0x78, v21
	v_xor_b32_e32 v21, v20, v21
	v_lshlrev_b32_e32 v20, 7, v19
.LBB723_31:
	s_lshl_b64 s[0:1], s[24:25], 8
	s_add_u32 s4, s4, s0
	s_movk_i32 s0, 0x1000
	v_and_or_b32 v19, v20, s0, v21
	s_waitcnt vmcnt(1)
	ds_write_b64 v21, v[6:7] offset:16384
	v_xor_b32_e32 v6, 8, v21
	ds_write_b64 v6, v[8:9] offset:16384
	s_waitcnt vmcnt(0)
	ds_write_b64 v21, v[2:3] offset:24576
	ds_write_b64 v6, v[4:5] offset:24576
	;; [unrolled: 1-line block ×3, first 2 shown]
	v_xor_b32_e32 v2, 8, v19
	ds_write_b64 v2, v[16:17] offset:16384
	ds_write_b64 v19, v[10:11] offset:24576
	;; [unrolled: 1-line block ×3, first 2 shown]
	v_or_b32_e32 v2, v1, v64
	v_lshlrev_b32_e32 v2, 3, v2
	v_lshrrev_b32_e32 v4, 5, v53
	s_movk_i32 s12, 0xf8
	v_and_or_b32 v4, v2, s12, v4
	v_lshlrev_b32_e32 v3, 11, v62
	v_lshlrev_b32_e32 v12, 4, v4
	v_and_b32_e32 v13, 0x78, v2
	v_and_b32_e32 v14, 0x1000, v3
	v_lshlrev_b32_e32 v3, 2, v0
	v_xor_b32_e32 v2, v12, v13
	v_lshrrev_b32_e32 v4, 1, v53
	v_and_b32_e32 v3, 60, v3
	v_or_b32_e32 v2, v2, v14
	v_and_b32_e32 v15, 8, v4
	v_xor_b32_e32 v26, v2, v15
	v_lshl_or_b32 v2, v63, 6, v3
	v_lshlrev_b32_e32 v19, 1, v2
	v_or_b32_e32 v2, 32, v12
	v_xor_b32_e32 v2, v2, v13
	s_waitcnt lgkmcnt(0)
	s_barrier
	ds_read_b64 v[10:11], v26 offset:16384
	v_or_b32_e32 v2, v2, v14
	v_xor_b32_e32 v27, v2, v15
	v_or_b32_e32 v2, 64, v12
	v_xor_b32_e32 v2, v2, v13
	v_or_b32_e32 v2, v2, v14
	v_or_b32_e32 v12, 0x60, v12
	v_xor_b32_e32 v28, v2, v15
	ds_read2st64_b64 v[2:5], v19 offset0:72 offset1:73
	ds_read2st64_b64 v[6:9], v19 offset0:74 offset1:75
	v_xor_b32_e32 v16, v12, v13
	ds_read_b64 v[12:13], v27 offset:16384
	s_addc_u32 s5, s5, s1
	s_add_i32 s1, s45, s33
	s_waitcnt lgkmcnt(2)
	v_mfma_f32_16x16x16_bf16 a[0:3], v[10:11], v[2:3], 0
	s_add_i32 s0, s35, -1
	s_add_i32 s39, s1, s46
	s_add_i32 s1, s47, s44
	;; [unrolled: 1-line block ×3, first 2 shown]
	s_ashr_i32 s1, s0, 31
	s_mul_i32 s2, s0, s31
	s_mul_hi_u32 s3, s0, s30
	s_add_i32 s2, s3, s2
	s_mul_i32 s1, s1, s30
	v_or_b32_e32 v14, v16, v14
	s_add_i32 s1, s2, s1
	s_lshl_b64 s[2:3], s[38:39], 2
	v_xor_b32_e32 v36, v14, v15
	ds_read_b64 v[14:15], v28 offset:16384
	ds_read_b64 v[16:17], v36 offset:16384
	s_waitcnt lgkmcnt(2)
	v_mfma_f32_16x16x16_bf16 a[0:3], v[12:13], v[4:5], a[0:3]
	s_add_u32 s10, s10, s2
	s_addc_u32 s11, s11, s3
	s_lshl_b64 s[2:3], s[36:37], 2
	s_mul_i32 s0, s0, s30
	s_add_u32 s10, s10, s2
	s_addc_u32 s11, s11, s3
	s_lshl_b64 s[0:1], s[0:1], 2
	s_waitcnt lgkmcnt(1)
	v_mfma_f32_16x16x16_bf16 a[0:3], v[14:15], v[6:7], a[0:3]
	s_add_u32 s0, s10, s0
	s_addc_u32 s1, s11, s1
	s_load_dword s12, s[0:1], 0x0
	s_waitcnt lgkmcnt(0)
	v_mfma_f32_16x16x16_bf16 a[0:3], v[16:17], v[8:9], a[0:3]
	s_and_b64 vcc, exec, s[22:23]
	s_cbranch_vccz .LBB723_42
; %bb.32:
	v_lshlrev_b32_e32 v20, 1, v35
	s_and_b64 vcc, exec, s[6:7]
	s_cbranch_vccz .LBB723_43
; %bb.33:
	v_cmp_gt_i32_e32 vcc, s27, v20
	v_mov_b32_e32 v6, 0
	v_mov_b32_e32 v2, 0
	;; [unrolled: 1-line block ×5, first 2 shown]
	s_and_saveexec_b64 s[0:1], vcc
	s_cbranch_execz .LBB723_35
; %bb.34:
	v_mad_i64_i32 v[2:3], s[2:3], s15, v20, 0
	v_lshl_add_u64 v[2:3], v[2:3], 1, s[4:5]
	v_lshlrev_b32_e32 v4, 1, v18
	v_mov_b32_e32 v5, 0
	v_lshl_add_u64 v[2:3], v[2:3], 0, v[4:5]
	global_load_dwordx4 v[2:5], v[2:3], off
.LBB723_35:
	s_or_b64 exec, exec, s[0:1]
	v_or_b32_e32 v21, 1, v20
	v_cmp_gt_i32_e64 s[0:1], s27, v21
	v_mov_b32_e32 v7, 0
	v_mov_b32_e32 v8, 0
	;; [unrolled: 1-line block ×3, first 2 shown]
	s_and_saveexec_b64 s[2:3], s[0:1]
	s_cbranch_execz .LBB723_37
; %bb.36:
	v_mad_i64_i32 v[6:7], s[16:17], s15, v21, 0
	v_lshl_add_u64 v[6:7], v[6:7], 1, s[4:5]
	v_lshlrev_b32_e32 v8, 1, v18
	v_mov_b32_e32 v9, 0
	v_lshl_add_u64 v[6:7], v[6:7], 0, v[8:9]
	global_load_dwordx4 v[6:9], v[6:7], off
.LBB723_37:
	s_or_b64 exec, exec, s[2:3]
	v_mov_b32_e32 v17, 0
	v_mov_b32_e32 v10, 0
	v_mov_b32_e32 v11, 0
	v_mov_b32_e32 v12, 0
	v_mov_b32_e32 v13, 0
	s_and_saveexec_b64 s[2:3], vcc
	s_cbranch_execz .LBB723_39
; %bb.38:
	v_mad_i64_i32 v[10:11], s[16:17], s15, v20, 0
	v_lshl_add_u64 v[10:11], v[10:11], 1, s[4:5]
	v_lshlrev_b32_e32 v12, 1, v18
	v_mov_b32_e32 v13, 0
	v_lshl_add_u64 v[10:11], v[10:11], 0, v[12:13]
	global_load_dwordx4 v[10:13], v[10:11], off offset:128
.LBB723_39:
	s_or_b64 exec, exec, s[2:3]
	v_mov_b32_e32 v16, 0
	v_mov_b32_e32 v15, 0
	v_mov_b32_e32 v14, 0
	s_and_saveexec_b64 s[2:3], s[0:1]
	s_cbranch_execz .LBB723_41
; %bb.40:
	v_mad_i64_i32 v[14:15], s[0:1], s15, v21, 0
	v_lshl_add_u64 v[14:15], v[14:15], 1, s[4:5]
	v_lshlrev_b32_e32 v16, 1, v18
	v_mov_b32_e32 v17, 0
	v_lshl_add_u64 v[14:15], v[14:15], 0, v[16:17]
	global_load_dwordx4 v[14:17], v[14:15], off offset:128
.LBB723_41:
	s_or_b64 exec, exec, s[2:3]
	s_branch .LBB723_45
.LBB723_42:
                                        ; implicit-def: $vgpr5
                                        ; implicit-def: $vgpr9
                                        ; implicit-def: $vgpr13
                                        ; implicit-def: $vgpr17
	v_lshrrev_b32_e32 v37, 2, v53
	s_branch .LBB723_46
.LBB723_43:
                                        ; implicit-def: $vgpr5
                                        ; implicit-def: $vgpr9
                                        ; implicit-def: $vgpr13
                                        ; implicit-def: $vgpr17
	s_cbranch_execz .LBB723_45
; %bb.44:
	s_waitcnt vmcnt(0)
	v_mad_u64_u32 v[2:3], s[0:1], v20, s15, v[18:19]
	v_lshlrev_b32_e32 v20, 1, v2
	s_lshl_b32 s2, s15, 7
	s_and_b32 s1, s5, 0xffff
	s_mov_b32 s3, 0x20000
	s_mov_b32 s0, s4
	v_add_lshl_u32 v21, v2, s15, 1
	s_movk_i32 s13, 0x80
	buffer_load_dwordx4 v[2:5], v20, s[0:3], 0 offen
	buffer_load_dwordx4 v[10:13], v20, s[0:3], s13 offen
	;; [unrolled: 1-line block ×4, first 2 shown]
.LBB723_45:
	v_lshrrev_b32_e32 v37, 2, v53
	s_cbranch_execnz .LBB723_58
.LBB723_46:
	s_and_b64 vcc, exec, s[6:7]
	s_cbranch_vccz .LBB723_56
; %bb.47:
	s_waitcnt vmcnt(0)
	v_lshlrev_b32_e32 v7, 1, v35
	v_cmp_gt_i32_e32 vcc, s27, v7
	v_mov_b32_e32 v6, 0
	v_lshlrev_b32_e32 v14, 9, v35
	v_mov_b32_e32 v2, 0
	v_mov_b32_e32 v3, 0
	;; [unrolled: 1-line block ×4, first 2 shown]
	s_and_saveexec_b64 s[0:1], vcc
	s_cbranch_execz .LBB723_49
; %bb.48:
	v_mov_b32_e32 v15, 0
	v_lshl_add_u64 v[2:3], s[4:5], 0, v[14:15]
	v_lshlrev_b32_e32 v4, 1, v18
	v_mov_b32_e32 v5, v15
	v_lshl_add_u64 v[2:3], v[2:3], 0, v[4:5]
	global_load_dwordx4 v[2:5], v[2:3], off
.LBB723_49:
	s_or_b64 exec, exec, s[0:1]
	v_or_b32_e32 v7, 1, v7
	v_cmp_gt_i32_e64 s[0:1], s27, v7
	v_lshlrev_b32_e32 v20, 8, v7
	v_mov_b32_e32 v7, 0
	v_mov_b32_e32 v8, 0
	;; [unrolled: 1-line block ×3, first 2 shown]
	s_and_saveexec_b64 s[2:3], s[0:1]
	s_cbranch_execz .LBB723_51
; %bb.50:
	v_mov_b32_e32 v21, 0
	v_lshl_add_u64 v[6:7], s[4:5], 0, v[20:21]
	v_lshlrev_b32_e32 v8, 1, v18
	v_mov_b32_e32 v9, v21
	v_lshl_add_u64 v[6:7], v[6:7], 0, v[8:9]
	global_load_dwordx4 v[6:9], v[6:7], off
.LBB723_51:
	s_or_b64 exec, exec, s[2:3]
	v_mov_b32_e32 v17, 0
	v_mov_b32_e32 v10, 0
	;; [unrolled: 1-line block ×5, first 2 shown]
	s_and_saveexec_b64 s[2:3], vcc
	s_cbranch_execz .LBB723_53
; %bb.52:
	v_mov_b32_e32 v15, 0
	v_lshl_add_u64 v[10:11], s[4:5], 0, v[14:15]
	v_lshlrev_b32_e32 v14, 1, v18
	v_lshl_add_u64 v[10:11], v[10:11], 0, v[14:15]
	global_load_dwordx4 v[10:13], v[10:11], off offset:128
.LBB723_53:
	s_or_b64 exec, exec, s[2:3]
	v_mov_b32_e32 v16, 0
	v_mov_b32_e32 v15, 0
	;; [unrolled: 1-line block ×3, first 2 shown]
	s_and_saveexec_b64 s[2:3], s[0:1]
	s_cbranch_execz .LBB723_55
; %bb.54:
	v_mov_b32_e32 v21, 0
	v_lshl_add_u64 v[14:15], s[4:5], 0, v[20:21]
	v_lshlrev_b32_e32 v20, 1, v18
	v_lshl_add_u64 v[14:15], v[14:15], 0, v[20:21]
	global_load_dwordx4 v[14:17], v[14:15], off offset:128
.LBB723_55:
	s_or_b64 exec, exec, s[2:3]
	s_branch .LBB723_58
.LBB723_56:
                                        ; implicit-def: $vgpr5
                                        ; implicit-def: $vgpr9
                                        ; implicit-def: $vgpr13
                                        ; implicit-def: $vgpr17
	s_cbranch_execz .LBB723_58
; %bb.57:
	s_waitcnt vmcnt(0)
	v_lshlrev_b32_e32 v2, 1, v18
	v_lshl_or_b32 v18, v35, 9, v2
	s_and_b32 s5, s5, 0xffff
	s_mov_b32 s7, 0x20000
	s_movk_i32 s6, 0x4000
	s_movk_i32 s0, 0x80
	buffer_load_dwordx4 v[2:5], v18, s[4:7], 0 offen
	buffer_load_dwordx4 v[6:9], v18, s[4:7], 0 offen offset:256
	buffer_load_dwordx4 v[10:13], v18, s[4:7], s0 offen
	buffer_load_dwordx4 v[14:17], v18, s[4:7], s0 offen offset:256
.LBB723_58:
	ds_read2st64_b64 v[22:25], v19 offset0:76 offset1:77
	ds_read2st64_b64 v[18:21], v19 offset0:78 offset1:79
	ds_read_b64 v[32:33], v26 offset:24576
	ds_read_b64 v[30:31], v27 offset:24576
	;; [unrolled: 1-line block ×4, first 2 shown]
	v_and_b32_e32 v36, 6, v0
	v_xor_b32_e32 v35, v35, v36
	v_lshlrev_b32_e32 v35, 2, v35
	v_and_b32_e32 v0, 1, v0
	v_xor_b32_e32 v38, 0x440, v35
	v_cmp_eq_u32_e32 vcc, 0, v0
	s_mov_b32 s0, 0x1000504
	s_mov_b32 s1, 0x3020706
	v_cndmask_b32_e32 v0, v38, v35, vcc
	v_lshl_or_b32 v0, v36, 10, v0
	s_waitcnt vmcnt(0)
	v_perm_b32 v35, v2, v6, s0
	v_perm_b32 v36, v10, v14, s0
	ds_write2st64_b32 v0, v35, v36 offset1:32
	v_xor_b32_e32 v35, 8, v0
	v_perm_b32 v2, v2, v6, s1
	v_perm_b32 v6, v10, v14, s1
	v_add_u32_e32 v10, 0x80, v35
	ds_write2st64_b32 v10, v2, v6 offset1:32
	v_xor_b32_e32 v2, 16, v0
	v_perm_b32 v6, v3, v7, s0
	v_perm_b32 v10, v11, v15, s0
	ds_write2st64_b32 v2, v6, v10 offset0:1 offset1:33
	v_xor_b32_e32 v2, 24, v0
	v_perm_b32 v3, v3, v7, s1
	v_perm_b32 v6, v11, v15, s1
	v_add_u32_e32 v2, 0x80, v2
	ds_write2st64_b32 v2, v3, v6 offset0:1 offset1:33
	v_xor_b32_e32 v2, 32, v0
	v_perm_b32 v3, v4, v8, s0
	v_perm_b32 v6, v12, v16, s0
	ds_write2st64_b32 v2, v3, v6 offset0:2 offset1:34
	v_xor_b32_e32 v2, 40, v0
	v_perm_b32 v3, v4, v8, s1
	v_perm_b32 v4, v12, v16, s1
	v_add_u32_e32 v2, 0x80, v2
	ds_write2st64_b32 v2, v3, v4 offset0:2 offset1:34
	v_xor_b32_e32 v2, 48, v0
	v_perm_b32 v3, v5, v9, s0
	v_perm_b32 v4, v13, v17, s0
	v_xor_b32_e32 v0, 56, v0
	v_and_or_b32 v8, v37, 12, v1
	ds_write2st64_b32 v2, v3, v4 offset0:3 offset1:35
	v_perm_b32 v2, v5, v9, s1
	v_perm_b32 v3, v13, v17, s1
	v_add_u32_e32 v0, 0x80, v0
	v_cmp_gt_i32_e32 vcc, s27, v8
	v_mov_b32_e32 v9, 0
	v_mov_b32_e32 v14, 0
	ds_write2st64_b32 v0, v2, v3 offset0:3 offset1:35
	s_and_saveexec_b64 s[0:1], vcc
	s_cbranch_execz .LBB723_60
; %bb.59:
	v_add_u32_e32 v0, s26, v8
	v_ashrrev_i32_e32 v1, 31, v0
	v_mul_lo_u32 v2, v1, s30
	v_mul_lo_u32 v3, v0, s31
	v_mad_u64_u32 v[0:1], s[2:3], v0, s30, 0
	v_add3_u32 v1, v1, v3, v2
	v_lshl_add_u64 v[0:1], v[0:1], 2, s[10:11]
	global_load_dword v0, v[0:1], off
	s_waitcnt vmcnt(0)
	v_sub_f32_e32 v0, s12, v0
	v_mul_f32_e32 v0, 0x3fb8aa3b, v0
	v_exp_f32_e32 v14, v0
.LBB723_60:
	s_or_b64 exec, exec, s[0:1]
	v_or_b32_e32 v12, 1, v8
	v_cmp_gt_i32_e64 s[2:3], s27, v12
	s_and_saveexec_b64 s[0:1], s[2:3]
	s_cbranch_execz .LBB723_62
; %bb.61:
	v_add_u32_e32 v0, s26, v12
	v_ashrrev_i32_e32 v1, 31, v0
	v_mul_lo_u32 v2, v1, s30
	v_mul_lo_u32 v3, v0, s31
	v_mad_u64_u32 v[0:1], s[4:5], v0, s30, 0
	v_add3_u32 v1, v1, v3, v2
	v_lshl_add_u64 v[0:1], v[0:1], 2, s[10:11]
	global_load_dword v0, v[0:1], off
	s_waitcnt vmcnt(0)
	v_sub_f32_e32 v0, s12, v0
	v_mul_f32_e32 v0, 0x3fb8aa3b, v0
	v_exp_f32_e32 v9, v0
.LBB723_62:
	s_or_b64 exec, exec, s[0:1]
	v_or_b32_e32 v11, 2, v8
	v_cmp_gt_i32_e64 s[0:1], s27, v11
	v_mov_b32_e32 v10, 0
	v_mov_b32_e32 v15, 0
	s_and_saveexec_b64 s[4:5], s[0:1]
	s_cbranch_execz .LBB723_64
; %bb.63:
	v_add_u32_e32 v0, s26, v11
	v_ashrrev_i32_e32 v1, 31, v0
	v_mul_lo_u32 v2, v1, s30
	v_mul_lo_u32 v3, v0, s31
	v_mad_u64_u32 v[0:1], s[6:7], v0, s30, 0
	v_add3_u32 v1, v1, v3, v2
	v_lshl_add_u64 v[0:1], v[0:1], 2, s[10:11]
	global_load_dword v0, v[0:1], off
	s_waitcnt vmcnt(0)
	v_sub_f32_e32 v0, s12, v0
	v_mul_f32_e32 v0, 0x3fb8aa3b, v0
	v_exp_f32_e32 v15, v0
.LBB723_64:
	s_or_b64 exec, exec, s[4:5]
	v_or_b32_e32 v13, 3, v8
	v_cmp_gt_i32_e64 s[4:5], s27, v13
	s_and_saveexec_b64 s[6:7], s[4:5]
	s_cbranch_execz .LBB723_66
; %bb.65:
	v_add_u32_e32 v0, s26, v13
	v_ashrrev_i32_e32 v1, 31, v0
	v_mul_lo_u32 v2, v1, s30
	v_mul_lo_u32 v3, v0, s31
	v_mad_u64_u32 v[0:1], s[14:15], v0, s30, 0
	v_add3_u32 v1, v1, v3, v2
	v_lshl_add_u64 v[0:1], v[0:1], 2, s[10:11]
	global_load_dword v0, v[0:1], off
	s_waitcnt vmcnt(0)
	v_sub_f32_e32 v0, s12, v0
	v_mul_f32_e32 v0, 0x3fb8aa3b, v0
	v_exp_f32_e32 v10, v0
.LBB723_66:
	s_or_b64 exec, exec, s[6:7]
	s_waitcnt lgkmcnt(11)
	v_mfma_f32_16x16x16_bf16 a[0:3], v[32:33], v[22:23], a[0:3]
	s_add_u32 s6, s8, s20
	v_ashrrev_i32_e32 v55, 31, v54
	s_addc_u32 s7, s9, s21
	s_waitcnt lgkmcnt(10)
	v_mfma_f32_16x16x16_bf16 a[0:3], v[30:31], v[24:25], a[0:3]
	v_lshlrev_b64 v[0:1], 1, v[54:55]
	v_lshl_add_u64 v[4:5], s[6:7], 0, v[0:1]
	s_add_u32 s6, s28, s20
	s_waitcnt lgkmcnt(9)
	v_mfma_f32_16x16x16_bf16 a[0:3], v[28:29], v[18:19], a[0:3]
	s_addc_u32 s7, s29, s21
	v_lshl_add_u64 v[6:7], s[6:7], 0, v[0:1]
	v_mov_b32_e32 v16, 0
	s_waitcnt lgkmcnt(8)
	v_mfma_f32_16x16x16_bf16 a[0:3], v[26:27], v[20:21], a[0:3]
	v_mov_b32_e32 v17, 0
	s_nop 5
	v_accvgpr_read_b32 v0, a0
	v_accvgpr_read_b32 v1, a1
	;; [unrolled: 1-line block ×4, first 2 shown]
	s_and_saveexec_b64 s[6:7], vcc
	s_cbranch_execz .LBB723_68
; %bb.67:
	v_lshlrev_b32_e32 v18, 8, v8
	v_mov_b32_e32 v19, 0
	v_lshl_add_u64 v[20:21], v[4:5], 0, v[18:19]
	global_load_ushort v17, v[20:21], off
	v_lshl_add_u64 v[18:19], v[6:7], 0, v[18:19]
	s_waitcnt vmcnt(0)
	v_lshlrev_b32_e32 v17, 16, v17
	v_sub_f32_e32 v0, v17, v0
	global_store_short_d16_hi v[18:19], v0, off
	v_mul_f32_e32 v0, v14, v0
	v_lshrrev_b32_e32 v17, 16, v0
.LBB723_68:
	s_or_b64 exec, exec, s[6:7]
	s_and_saveexec_b64 s[6:7], s[2:3]
	s_cbranch_execz .LBB723_70
; %bb.69:
	v_lshlrev_b32_e32 v18, 8, v12
	v_mov_b32_e32 v19, 0
	v_lshl_add_u64 v[20:21], v[4:5], 0, v[18:19]
	global_load_ushort v0, v[20:21], off
	v_lshl_add_u64 v[18:19], v[6:7], 0, v[18:19]
	s_waitcnt vmcnt(0)
	v_lshlrev_b32_e32 v0, 16, v0
	v_sub_f32_e32 v0, v0, v1
	global_store_short_d16_hi v[18:19], v0, off
	v_mul_f32_e32 v0, v9, v0
	v_lshrrev_b32_e32 v16, 16, v0
.LBB723_70:
	s_or_b64 exec, exec, s[6:7]
	v_mov_b32_e32 v0, 0
	v_mov_b32_e32 v1, 0
	s_and_saveexec_b64 s[2:3], s[0:1]
	s_cbranch_execz .LBB723_72
; %bb.71:
	v_lshlrev_b32_e32 v18, 8, v11
	v_mov_b32_e32 v19, 0
	v_lshl_add_u64 v[20:21], v[4:5], 0, v[18:19]
	global_load_ushort v1, v[20:21], off
	v_lshl_add_u64 v[18:19], v[6:7], 0, v[18:19]
	s_waitcnt vmcnt(0)
	v_lshlrev_b32_e32 v1, 16, v1
	v_sub_f32_e32 v1, v1, v2
	global_store_short_d16_hi v[18:19], v1, off
	v_mul_f32_e32 v1, v15, v1
	v_lshrrev_b32_e32 v1, 16, v1
.LBB723_72:
	s_or_b64 exec, exec, s[2:3]
	s_and_saveexec_b64 s[0:1], s[4:5]
	s_cbranch_execz .LBB723_74
; %bb.73:
	v_lshlrev_b32_e32 v12, 8, v13
	v_mov_b32_e32 v13, 0
	v_lshl_add_u64 v[4:5], v[4:5], 0, v[12:13]
	global_load_ushort v0, v[4:5], off
	v_lshl_add_u64 v[4:5], v[6:7], 0, v[12:13]
	s_waitcnt vmcnt(0)
	v_lshlrev_b32_e32 v0, 16, v0
	v_sub_f32_e32 v0, v0, v3
	global_store_short_d16_hi v[4:5], v0, off
	v_mul_f32_e32 v0, v10, v0
	v_lshrrev_b32_e32 v0, 16, v0
.LBB723_74:
	s_or_b64 exec, exec, s[0:1]
	s_mov_b32 s0, 0x5040100
	v_lshlrev_b32_e32 v2, 1, v34
	v_perm_b32 v1, v0, v1, s0
	v_perm_b32 v0, v16, v17, s0
	v_lshl_or_b32 v2, v8, 5, v2
	ds_write_b64 v2, v[0:1] offset:38912
	s_waitcnt lgkmcnt(0)
	s_barrier
.LBB723_75:
	s_endpgm
	.section	.rodata,"a",@progbits
	.p2align	6, 0x0
	.amdhsa_kernel _ZN12_GLOBAL__N_139chunk_gated_delta_rule_fwd_h_hip_kernelILi16ELb1ELb0ELb1ELb1ELb0ELb1ELb0ELb0EEEvPK12hip_bfloat16S3_S3_PKfS5_PKvPS1_S8_PvPKiSB_iiiiilll
		.amdhsa_group_segment_fixed_size 40960
		.amdhsa_private_segment_fixed_size 0
		.amdhsa_kernarg_size 136
		.amdhsa_user_sgpr_count 2
		.amdhsa_user_sgpr_dispatch_ptr 0
		.amdhsa_user_sgpr_queue_ptr 0
		.amdhsa_user_sgpr_kernarg_segment_ptr 1
		.amdhsa_user_sgpr_dispatch_id 0
		.amdhsa_user_sgpr_kernarg_preload_length 0
		.amdhsa_user_sgpr_kernarg_preload_offset 0
		.amdhsa_user_sgpr_private_segment_size 0
		.amdhsa_uses_dynamic_stack 0
		.amdhsa_enable_private_segment 0
		.amdhsa_system_sgpr_workgroup_id_x 1
		.amdhsa_system_sgpr_workgroup_id_y 1
		.amdhsa_system_sgpr_workgroup_id_z 0
		.amdhsa_system_sgpr_workgroup_info 0
		.amdhsa_system_vgpr_workitem_id 0
		.amdhsa_next_free_vgpr 128
		.amdhsa_next_free_sgpr 63
		.amdhsa_accum_offset 116
		.amdhsa_reserve_vcc 1
		.amdhsa_float_round_mode_32 0
		.amdhsa_float_round_mode_16_64 0
		.amdhsa_float_denorm_mode_32 3
		.amdhsa_float_denorm_mode_16_64 3
		.amdhsa_dx10_clamp 1
		.amdhsa_ieee_mode 1
		.amdhsa_fp16_overflow 0
		.amdhsa_tg_split 0
		.amdhsa_exception_fp_ieee_invalid_op 0
		.amdhsa_exception_fp_denorm_src 0
		.amdhsa_exception_fp_ieee_div_zero 0
		.amdhsa_exception_fp_ieee_overflow 0
		.amdhsa_exception_fp_ieee_underflow 0
		.amdhsa_exception_fp_ieee_inexact 0
		.amdhsa_exception_int_div_zero 0
	.end_amdhsa_kernel
	.section	.text._ZN12_GLOBAL__N_139chunk_gated_delta_rule_fwd_h_hip_kernelILi16ELb1ELb0ELb1ELb1ELb0ELb1ELb0ELb0EEEvPK12hip_bfloat16S3_S3_PKfS5_PKvPS1_S8_PvPKiSB_iiiiilll,"axG",@progbits,_ZN12_GLOBAL__N_139chunk_gated_delta_rule_fwd_h_hip_kernelILi16ELb1ELb0ELb1ELb1ELb0ELb1ELb0ELb0EEEvPK12hip_bfloat16S3_S3_PKfS5_PKvPS1_S8_PvPKiSB_iiiiilll,comdat
.Lfunc_end723:
	.size	_ZN12_GLOBAL__N_139chunk_gated_delta_rule_fwd_h_hip_kernelILi16ELb1ELb0ELb1ELb1ELb0ELb1ELb0ELb0EEEvPK12hip_bfloat16S3_S3_PKfS5_PKvPS1_S8_PvPKiSB_iiiiilll, .Lfunc_end723-_ZN12_GLOBAL__N_139chunk_gated_delta_rule_fwd_h_hip_kernelILi16ELb1ELb0ELb1ELb1ELb0ELb1ELb0ELb0EEEvPK12hip_bfloat16S3_S3_PKfS5_PKvPS1_S8_PvPKiSB_iiiiilll
                                        ; -- End function
	.section	.AMDGPU.csdata,"",@progbits
; Kernel info:
; codeLenInByte = 7468
; NumSgprs: 69
; NumVgprs: 116
; NumAgprs: 12
; TotalNumVgprs: 128
; ScratchSize: 0
; MemoryBound: 0
; FloatMode: 240
; IeeeMode: 1
; LDSByteSize: 40960 bytes/workgroup (compile time only)
; SGPRBlocks: 8
; VGPRBlocks: 15
; NumSGPRsForWavesPerEU: 69
; NumVGPRsForWavesPerEU: 128
; AccumOffset: 116
; Occupancy: 1
; WaveLimiterHint : 1
; COMPUTE_PGM_RSRC2:SCRATCH_EN: 0
; COMPUTE_PGM_RSRC2:USER_SGPR: 2
; COMPUTE_PGM_RSRC2:TRAP_HANDLER: 0
; COMPUTE_PGM_RSRC2:TGID_X_EN: 1
; COMPUTE_PGM_RSRC2:TGID_Y_EN: 1
; COMPUTE_PGM_RSRC2:TGID_Z_EN: 0
; COMPUTE_PGM_RSRC2:TIDIG_COMP_CNT: 0
; COMPUTE_PGM_RSRC3_GFX90A:ACCUM_OFFSET: 28
; COMPUTE_PGM_RSRC3_GFX90A:TG_SPLIT: 0
	.section	.text._ZN12_GLOBAL__N_139chunk_gated_delta_rule_fwd_h_hip_kernelILi16ELb1ELb0ELb0ELb1ELb0ELb1ELb0ELb0EEEvPK12hip_bfloat16S3_S3_PKfS5_PKvPS1_S8_PvPKiSB_iiiiilll,"axG",@progbits,_ZN12_GLOBAL__N_139chunk_gated_delta_rule_fwd_h_hip_kernelILi16ELb1ELb0ELb0ELb1ELb0ELb1ELb0ELb0EEEvPK12hip_bfloat16S3_S3_PKfS5_PKvPS1_S8_PvPKiSB_iiiiilll,comdat
	.globl	_ZN12_GLOBAL__N_139chunk_gated_delta_rule_fwd_h_hip_kernelILi16ELb1ELb0ELb0ELb1ELb0ELb1ELb0ELb0EEEvPK12hip_bfloat16S3_S3_PKfS5_PKvPS1_S8_PvPKiSB_iiiiilll ; -- Begin function _ZN12_GLOBAL__N_139chunk_gated_delta_rule_fwd_h_hip_kernelILi16ELb1ELb0ELb0ELb1ELb0ELb1ELb0ELb0EEEvPK12hip_bfloat16S3_S3_PKfS5_PKvPS1_S8_PvPKiSB_iiiiilll
	.p2align	8
	.type	_ZN12_GLOBAL__N_139chunk_gated_delta_rule_fwd_h_hip_kernelILi16ELb1ELb0ELb0ELb1ELb0ELb1ELb0ELb0EEEvPK12hip_bfloat16S3_S3_PKfS5_PKvPS1_S8_PvPKiSB_iiiiilll,@function
_ZN12_GLOBAL__N_139chunk_gated_delta_rule_fwd_h_hip_kernelILi16ELb1ELb0ELb0ELb1ELb0ELb1ELb0ELb0EEEvPK12hip_bfloat16S3_S3_PKfS5_PKvPS1_S8_PvPKiSB_iiiiilll: ; @_ZN12_GLOBAL__N_139chunk_gated_delta_rule_fwd_h_hip_kernelILi16ELb1ELb0ELb0ELb1ELb0ELb1ELb0ELb0EEEvPK12hip_bfloat16S3_S3_PKfS5_PKvPS1_S8_PvPKiSB_iiiiilll
; %bb.0:
	s_load_dwordx4 s[12:15], s[0:1], 0x5c
	s_load_dwordx4 s[20:23], s[0:1], 0x70
	s_abs_i32 s9, s3
	s_ashr_i32 s8, s3, 31
	s_load_dwordx4 s[4:7], s[0:1], 0x48
	s_waitcnt lgkmcnt(0)
	s_abs_i32 s10, s13
	v_cvt_f32_u32_e32 v1, s10
	s_sub_i32 s16, 0, s10
	s_ashr_i32 s11, s13, 31
	s_xor_b32 s8, s8, s11
	v_rcp_iflag_f32_e32 v1, v1
	v_and_b32_e32 v62, 15, v0
	v_lshrrev_b32_e32 v60, 6, v0
	v_bfe_u32 v61, v0, 4, 2
	v_mul_f32_e32 v1, 0x4f7ffffe, v1
	v_cvt_u32_f32_e32 v1, v1
	v_mov_b32_e32 v5, 0
	v_and_b32_e32 v53, 63, v0
	v_lshrrev_b32_e32 v64, 3, v53
	v_readfirstlane_b32 s17, v1
	s_mul_i32 s16, s16, s17
	s_mul_hi_u32 s16, s17, s16
	s_add_i32 s17, s17, s16
	s_mul_hi_u32 s16, s9, s17
	s_mul_i32 s17, s16, s10
	s_sub_i32 s9, s9, s17
	s_add_i32 s18, s16, 1
	s_sub_i32 s17, s9, s10
	s_cmp_ge_u32 s9, s10
	s_cselect_b32 s16, s18, s16
	s_cselect_b32 s9, s17, s9
	s_add_i32 s17, s16, 1
	s_cmp_ge_u32 s9, s10
	s_cselect_b32 s9, s17, s16
	s_load_dwordx4 s[16:19], s[0:1], 0x28
	s_xor_b32 s9, s9, s8
	s_sub_i32 s24, s9, s8
	s_mul_i32 s28, s24, s13
	s_ashr_i32 s25, s24, 31
	s_sub_i32 s47, s3, s28
	s_lshl_b64 s[8:9], s[24:25], 2
	s_add_u32 s4, s4, s8
	s_addc_u32 s5, s5, s9
	s_add_u32 s26, s6, s8
	s_addc_u32 s27, s7, s9
	s_abs_i32 s3, s14
	v_cvt_f32_u32_e32 v1, s3
	s_load_dwordx2 s[30:31], s[4:5], 0x0
	s_lshl_b32 s38, s2, 4
	s_ashr_i32 s2, s14, 31
	v_rcp_iflag_f32_e32 v1, v1
	s_xor_b32 s2, s11, s2
	s_waitcnt lgkmcnt(0)
	s_sub_i32 s50, s31, s30
	s_ashr_i32 s4, s50, 31
	v_mul_f32_e32 v1, 0x4f7ffffe, v1
	v_cvt_u32_f32_e32 v1, v1
	s_lshr_b32 s4, s4, 26
	s_add_i32 s4, s50, s4
	s_ashr_i32 s48, s4, 6
	s_sub_i32 s4, 0, s3
	v_readfirstlane_b32 s5, v1
	s_mul_i32 s4, s4, s5
	s_mul_hi_u32 s4, s5, s4
	s_add_i32 s5, s5, s4
	s_mul_hi_u32 s4, s10, s5
	s_mul_i32 s5, s4, s3
	s_sub_i32 s5, s10, s5
	s_add_i32 s6, s4, 1
	s_sub_i32 s7, s5, s3
	s_cmp_ge_u32 s5, s3
	s_cselect_b32 s4, s6, s4
	s_cselect_b32 s5, s7, s5
	s_add_i32 s6, s4, 1
	s_cmp_ge_u32 s5, s3
	s_cselect_b32 s3, s6, s4
	s_xor_b32 s3, s3, s2
	s_sub_i32 s2, s3, s2
	s_abs_i32 s3, s2
	v_cvt_f32_u32_e32 v1, s3
	s_sub_i32 s5, 0, s3
	s_abs_i32 s4, s47
	s_xor_b32 s2, s47, s2
	v_rcp_iflag_f32_e32 v1, v1
	s_ashr_i32 s2, s2, 31
	v_or_b32_e32 v54, s38, v62
	v_lshlrev_b32_e32 v2, 7, v54
	v_mul_f32_e32 v1, 0x4f7ffffe, v1
	v_cvt_u32_f32_e32 v1, v1
	v_ashrrev_i32_e32 v3, 31, v2
	s_mul_hi_i32 s53, s47, s12
	s_mul_i32 s54, s47, s12
	v_readfirstlane_b32 s6, v1
	s_mul_i32 s5, s5, s6
	s_mul_hi_u32 s5, s6, s5
	s_add_i32 s6, s6, s5
	s_mul_hi_u32 s5, s4, s6
	s_mul_i32 s6, s5, s3
	s_sub_i32 s4, s4, s6
	s_add_i32 s6, s5, 1
	s_sub_i32 s7, s4, s3
	s_cmp_ge_u32 s4, s3
	s_cselect_b32 s5, s6, s5
	s_cselect_b32 s4, s7, s4
	s_add_i32 s6, s5, 1
	s_cmp_ge_u32 s4, s3
	s_cselect_b32 s3, s6, s5
	s_xor_b32 s3, s3, s2
	s_sub_i32 s51, s3, s2
	s_ashr_i32 s49, s47, 31
	s_mul_hi_i32 s3, s24, s13
	s_add_u32 s2, s28, s47
	s_addc_u32 s3, s3, s49
	s_lshl_b64 s[2:3], s[2:3], 16
	v_lshlrev_b32_e32 v1, 4, v60
	s_add_u32 s2, s16, s2
	v_lshl_or_b32 v65, v61, 2, v1
	s_addc_u32 s3, s17, s3
	v_lshl_add_u64 v[2:3], v[2:3], 2, s[2:3]
	v_lshlrev_b32_e32 v4, 2, v65
	v_lshl_add_u64 v[10:11], v[2:3], 0, v[4:5]
	global_load_dwordx4 v[6:9], v[10:11], off
	global_load_dwordx4 v[2:5], v[10:11], off offset:256
	s_load_dwordx8 s[4:11], s[0:1], 0x0
	s_load_dwordx2 s[28:29], s[0:1], 0x80
	s_load_dword s52, s[26:27], 0x0
	v_or_b32_e32 v66, 64, v65
	s_cmp_lt_i32 s50, 64
	v_lshlrev_b32_e32 v63, 3, v0
	s_mul_i32 s33, s24, s21
	s_mul_hi_u32 s43, s24, s20
	s_mul_i32 s44, s25, s20
	s_mul_i32 s36, s24, s20
	;; [unrolled: 1-line block ×3, first 2 shown]
	s_mul_hi_u32 s45, s47, s22
	s_mul_i32 s46, s49, s22
	s_mul_i32 s34, s47, s22
	s_cbranch_scc1 .LBB724_18
; %bb.1:
	s_ashr_i32 s3, s30, 31
	s_add_u32 s2, s54, s30
	s_addc_u32 s3, s53, s3
	s_lshl_b64 s[2:3], s[2:3], 8
	v_and_b32_e32 v68, 56, v63
	s_waitcnt lgkmcnt(0)
	s_add_u32 s20, s6, s2
	v_lshl_or_b32 v67, v60, 3, v64
	v_lshlrev_b32_e32 v10, 1, v68
	s_addc_u32 s2, s7, s3
	v_lshl_or_b32 v69, v67, 8, v10
	s_and_b32 s21, s2, 0xffff
	s_mov_b32 s23, 0x20000
	s_movk_i32 s22, 0x4000
	s_movk_i32 s2, 0x80
	v_or_b32_e32 v70, 0x2000, v69
	buffer_load_dwordx4 v[12:15], v69, s[20:23], 0 offen
	buffer_load_dwordx4 v[16:19], v69, s[20:23], s2 offen
	;; [unrolled: 1-line block ×4, first 2 shown]
	v_lshlrev_b32_e32 v11, 3, v67
	v_and_or_b32 v29, v0, 7, v11
	v_and_b32_e32 v11, 0x78, v11
	v_lshlrev_b32_e32 v29, 4, v29
	v_xor_b32_e32 v71, v29, v11
	v_mul_lo_u32 v28, v67, s15
	v_or_b32_e32 v72, 0x1000, v71
	v_xor_b32_e32 v11, 8, v71
	s_cmpk_eq_i32 s15, 0x80
	s_mov_b32 s55, s30
	v_xor_b32_e32 v29, 8, v72
	s_cselect_b64 s[2:3], -1, 0
	s_cmpk_lg_i32 s15, 0x80
	s_waitcnt vmcnt(3)
	ds_write_b64 v71, v[12:13] offset:16384
	ds_write_b64 v11, v[14:15] offset:16384
	s_waitcnt vmcnt(2)
	ds_write_b64 v71, v[16:17] offset:24576
	ds_write_b64 v11, v[18:19] offset:24576
	;; [unrolled: 3-line block ×4, first 2 shown]
	v_lshl_add_u32 v11, v28, 1, v68
	s_cbranch_scc0 .LBB724_3
; %bb.2:
	v_lshlrev_b32_e32 v13, 1, v11
	v_add_lshl_u32 v12, v11, s15, 1
	s_lshl_b32 s22, s15, 7
	s_load_dwordx2 s[16:17], s[0:1], 0x20
	v_lshl_or_b32 v10, v67, 9, v10
	s_cbranch_execz .LBB724_4
	s_branch .LBB724_5
.LBB724_3:
                                        ; implicit-def: $vgpr12
                                        ; implicit-def: $vgpr13
                                        ; implicit-def: $sgpr22
	s_load_dwordx2 s[16:17], s[0:1], 0x20
	v_lshl_or_b32 v10, v67, 9, v10
.LBB724_4:
	v_or_b32_e32 v12, 0x100, v10
	s_movk_i32 s22, 0x4000
	v_mov_b32_e32 v13, v10
.LBB724_5:
	s_mul_i32 s0, s30, s14
	s_ashr_i32 s56, s51, 31
	s_mul_hi_i32 s1, s30, s14
	s_add_u32 s0, s0, s51
	s_addc_u32 s1, s1, s56
	s_lshl_b64 s[0:1], s[0:1], 8
	s_add_u32 s20, s4, s0
	s_addc_u32 s0, s5, s1
	s_and_b32 s21, s0, 0xffff
	s_movk_i32 s57, 0x80
	buffer_load_dwordx4 v[14:17], v13, s[20:23], 0 offen
	buffer_load_dwordx4 v[18:21], v13, s[20:23], s57 offen
	;; [unrolled: 1-line block ×4, first 2 shown]
	v_and_b32_e32 v12, 6, v0
	v_lshlrev_b32_e32 v30, 2, v62
	v_lshlrev_b32_e32 v31, 3, v62
	v_xor_b32_e32 v35, v67, v12
	v_and_b32_e32 v13, 1, v0
	v_lshl_or_b32 v31, v65, 5, v31
	v_xor_b32_e32 v36, v65, v30
	v_lshlrev_b32_e32 v35, 2, v35
	s_add_i32 s0, s43, s33
	v_or_b32_e32 v73, 0x9000, v31
	v_or_b32_e32 v74, 0x9800, v31
	v_lshlrev_b32_e32 v31, 1, v36
	v_xor_b32_e32 v36, 0x440, v35
	v_cmp_eq_u32_e32 vcc, 0, v13
	s_add_i32 s1, s45, s42
	s_add_i32 s37, s0, s44
	v_cndmask_b32_e32 v13, v36, v35, vcc
	s_add_i32 s35, s1, s46
	s_lshl_b64 s[0:1], s[36:37], 2
	s_mov_b32 s58, 0x1000504
	s_mov_b32 s59, 0x3020706
	v_lshlrev_b32_e32 v32, 8, v62
	s_mov_b32 s20, 0x8000
	v_xor_b32_e32 v30, v66, v30
	v_lshl_or_b32 v12, v12, 10, v13
	s_add_u32 s21, s10, s0
	v_or_b32_e32 v33, v1, v62
	v_lshlrev_b32_e32 v30, 1, v30
	v_or3_b32 v75, v31, v32, s20
	v_xor_b32_e32 v13, 8, v12
	v_xor_b32_e32 v31, 24, v12
	;; [unrolled: 1-line block ×4, first 2 shown]
	s_addc_u32 s22, s11, s1
	s_lshl_b64 s[0:1], s[34:35], 2
	v_or3_b32 v76, v30, v32, s20
	v_xor_b32_e32 v30, 16, v12
	v_xor_b32_e32 v32, 32, v12
	;; [unrolled: 1-line block ×3, first 2 shown]
	v_add_u32_e32 v13, 0x80, v13
	v_add_u32_e32 v31, 0x80, v31
	;; [unrolled: 1-line block ×4, first 2 shown]
	s_add_u32 s40, s21, s0
	s_movk_i32 s0, 0xf8
	s_addc_u32 s41, s22, s1
	s_ashr_i32 s39, s38, 31
	v_ashrrev_i32_e32 v55, 31, v54
	s_lshl_b32 s26, s15, 7
	v_lshrrev_b32_e32 v34, 2, v53
	s_mov_b32 s60, 0
	s_mov_b32 s35, 0x7060302
	s_movk_i32 s22, 0x4000
	v_mov_b32_e32 v96, 0x3fb8aa3b
	s_waitcnt vmcnt(1)
	v_perm_b32 v38, v14, v22, s58
	s_waitcnt vmcnt(0)
	v_perm_b32 v39, v18, v26, s58
	v_perm_b32 v14, v14, v22, s59
	;; [unrolled: 1-line block ×15, first 2 shown]
	ds_write2st64_b32 v12, v38, v39 offset1:32
	ds_write2st64_b32 v13, v14, v18 offset1:32
	ds_write2st64_b32 v30, v22, v26 offset0:1 offset1:33
	ds_write2st64_b32 v31, v15, v19 offset0:1 offset1:33
	;; [unrolled: 1-line block ×6, first 2 shown]
	v_lshlrev_b32_e32 v12, 3, v33
	v_lshrrev_b32_e32 v14, 5, v53
	v_and_or_b32 v14, v12, s0, v14
	v_lshlrev_b32_e32 v14, 4, v14
	v_lshlrev_b32_e32 v19, 11, v60
	v_and_b32_e32 v12, 0x78, v12
	v_or_b32_e32 v17, 32, v14
	v_and_b32_e32 v13, 0x1000, v19
	v_xor_b32_e32 v15, v14, v12
	v_lshrrev_b32_e32 v16, 1, v53
	v_xor_b32_e32 v17, v17, v12
	v_or_b32_e32 v15, v15, v13
	v_and_b32_e32 v16, 8, v16
	v_or_b32_e32 v17, v17, v13
	v_xor_b32_e32 v77, v15, v16
	v_and_b32_e32 v15, 0x78, v63
	v_xor_b32_e32 v79, v17, v16
	v_or_b32_e32 v17, 64, v14
	v_or_b32_e32 v14, 0x60, v14
	v_lshl_or_b32 v15, v61, 7, v15
	v_xor_b32_e32 v17, v17, v12
	v_xor_b32_e32 v12, v14, v12
	v_or_b32_e32 v78, 0x9000, v15
	v_or_b32_e32 v17, v17, v13
	v_or_b32_e32 v12, v12, v13
	v_or_b32_e32 v82, 0x9800, v15
	v_lshrrev_b32_e32 v14, 4, v0
	v_lshlrev_b32_e32 v15, 1, v62
	v_xor_b32_e32 v80, v17, v16
	v_xor_b32_e32 v81, v12, v16
	v_or_b32_e32 v16, 1, v15
	v_xor_b32_e32 v15, v14, v15
	s_lshl_b64 s[0:1], s[38:39], 8
	v_xor_b32_e32 v16, v16, v14
	v_lshlrev_b32_e32 v15, 3, v15
	v_lshlrev_b32_e32 v14, 8, v14
	v_lshl_add_u64 v[12:13], v[54:55], 1, s[8:9]
	s_add_u32 s0, s18, s0
	v_or3_b32 v55, v15, v14, s20
	v_lshlrev_b32_e32 v15, 3, v16
	s_addc_u32 s1, s19, s1
	v_or3_b32 v83, v15, v14, s20
	v_mov_b32_e32 v15, 0
	v_lshrrev_b32_e32 v25, 1, v0
	v_lshl_add_u64 v[16:17], s[0:1], 0, v[14:15]
	v_lshlrev_b32_e32 v14, 4, v62
	s_movk_i32 s0, 0xff
	v_lshlrev_b32_e32 v24, 3, v60
	v_and_b32_e32 v25, 24, v25
	v_lshl_add_u64 v[56:57], v[16:17], 0, v[14:15]
	v_and_b32_e32 v14, 7, v0
	v_and_b32_e32 v17, 8, v0
	v_cmp_lt_u32_e32 vcc, s0, v0
	v_xor_b32_e32 v26, v24, v25
	v_lshlrev_b32_e32 v22, 3, v14
	v_lshlrev_b32_e32 v23, 7, v14
	v_cndmask_b32_e64 v14, 0, 1, vcc
	v_or_b32_e32 v27, 0x440, v26
	v_cmp_eq_u32_e32 vcc, 0, v17
	v_or_b32_e32 v29, 64, v25
	v_xor_b32_e32 v29, v24, v29
	v_cndmask_b32_e32 v17, v27, v26, vcc
	v_or_b32_e32 v27, 32, v25
	v_or_b32_e32 v25, 0x60, v25
	v_xor_b32_e32 v27, v24, v27
	v_xor_b32_e32 v24, v24, v25
	v_or_b32_e32 v28, 0x440, v27
	v_xor_b32_e32 v30, 0x440, v29
	v_xor_b32_e32 v25, 0x440, v24
	v_cndmask_b32_e32 v27, v28, v27, vcc
	v_cndmask_b32_e32 v29, v30, v29, vcc
	;; [unrolled: 1-line block ×3, first 2 shown]
	v_or_b32_e32 v17, v17, v19
	v_or_b32_e32 v27, v27, v19
	;; [unrolled: 1-line block ×4, first 2 shown]
	v_and_b32_e32 v18, 12, v34
	v_lshlrev_b32_e32 v14, 13, v14
	v_xor_b32_e32 v17, v17, v22
	v_xor_b32_e32 v27, v27, v22
	;; [unrolled: 1-line block ×4, first 2 shown]
	v_lshlrev_b32_e32 v20, 1, v11
	v_add_lshl_u32 v11, v11, s15, 1
	v_or_b32_e32 v21, 0x100, v10
	v_or_b32_e32 v16, v18, v1
	v_add_u32_e32 v26, v14, v17
	v_add_u32_e32 v28, v14, v27
	;; [unrolled: 1-line block ×4, first 2 shown]
	v_or3_b32 v18, v1, v18, 64
	v_add_u32_e32 v17, 0x2000, v17
	v_add_u32_e32 v24, 0x2000, v27
	;; [unrolled: 1-line block ×4, first 2 shown]
	v_lshlrev_b32_e32 v14, 8, v65
	v_cndmask_b32_e64 v84, v20, v10, s[2:3]
	v_cndmask_b32_e64 v85, v11, v21, s[2:3]
	v_lshl_add_u64 v[58:59], v[12:13], 0, v[14:15]
	v_lshlrev_b32_e32 v86, 2, v16
	v_add_u32_e32 v87, v26, v23
	v_add_u32_e32 v88, v28, v23
	;; [unrolled: 1-line block ×4, first 2 shown]
	v_lshlrev_b32_e32 v91, 2, v18
	v_add_u32_e32 v92, v17, v23
	v_add_u32_e32 v93, v24, v23
	;; [unrolled: 1-line block ×4, first 2 shown]
	s_waitcnt lgkmcnt(0)
	s_barrier
.LBB724_6:                              ; =>This Inner Loop Header: Depth=1
	s_add_i32 s37, s60, 1
	s_cmp_lt_i32 s37, s48
	s_mov_b64 s[24:25], 0
	s_cselect_b64 s[2:3], -1, 0
	s_cmp_ge_i32 s37, s48
	s_mov_b64 s[20:21], 0
	s_cbranch_scc1 .LBB724_8
; %bb.7:                                ;   in Loop: Header=BB724_6 Depth=1
	s_add_i32 s0, s55, 64
	s_ashr_i32 s1, s0, 31
	s_add_u32 s0, s54, s0
	s_addc_u32 s1, s53, s1
	s_lshl_b64 s[0:1], s[0:1], 8
	s_add_u32 s20, s6, s0
	s_addc_u32 s21, s7, s1
.LBB724_8:                              ;   in Loop: Header=BB724_6 Depth=1
	v_cndmask_b32_e64 v10, 0, 1, s[2:3]
	v_cmp_ne_u32_e64 s[0:1], 1, v10
	s_andn2_b64 vcc, exec, s[2:3]
	s_cbranch_vccnz .LBB724_10
; %bb.9:                                ;   in Loop: Header=BB724_6 Depth=1
	s_add_i32 s2, s55, 64
	s_mul_hi_i32 s3, s2, s14
	s_mul_i32 s2, s2, s14
	s_add_u32 s2, s2, s51
	s_addc_u32 s3, s3, s56
	s_lshl_b64 s[2:3], s[2:3], 8
	s_add_u32 s24, s4, s2
	s_addc_u32 s25, s5, s3
.LBB724_10:                             ;   in Loop: Header=BB724_6 Depth=1
	v_perm_b32 v11, v9, v8, s35
	v_perm_b32 v10, v7, v6, s35
	v_perm_b32 v13, v5, v4, s35
	v_perm_b32 v12, v3, v2, s35
	ds_write_b64 v73, v[10:11]
	ds_write_b64 v74, v[12:13]
	;; [unrolled: 1-line block ×4, first 2 shown]
	s_waitcnt lgkmcnt(0)
	s_barrier
	ds_read_b64 v[18:19], v77 offset:16384
	ds_read_b64 v[20:21], v79 offset:16384
	ds_read2st64_b64 v[10:13], v78 offset1:1
	s_waitcnt lgkmcnt(0)
	v_mfma_f32_16x16x16_bf16 a[0:3], v[18:19], v[10:11], 0
	ds_read2st64_b64 v[14:17], v78 offset0:2 offset1:3
	ds_read_b64 v[22:23], v80 offset:16384
	ds_read_b64 v[10:11], v81 offset:16384
	s_add_i32 s39, s55, 63
	v_mfma_f32_16x16x16_bf16 a[0:3], v[20:21], v[12:13], a[0:3]
	s_ashr_i32 s2, s39, 31
	s_mul_i32 s3, s39, s29
	s_mul_hi_u32 s27, s39, s28
	s_waitcnt lgkmcnt(1)
	v_mfma_f32_16x16x16_bf16 a[0:3], v[22:23], v[14:15], a[0:3]
	s_add_i32 s3, s27, s3
	s_mul_i32 s2, s2, s28
	s_add_i32 s3, s3, s2
	s_mul_i32 s2, s39, s28
	s_waitcnt lgkmcnt(0)
	v_mfma_f32_16x16x16_bf16 a[0:3], v[10:11], v[16:17], a[0:3]
	s_lshl_b64 s[2:3], s[2:3], 2
	s_add_u32 s2, s40, s2
	s_addc_u32 s3, s41, s3
	s_and_b64 vcc, exec, s[0:1]
	v_mov_b32_e32 v99, 0
	v_mov_b32_e32 v98, 0
	;; [unrolled: 1-line block ×19, first 2 shown]
	s_cbranch_vccnz .LBB724_12
; %bb.11:                               ;   in Loop: Header=BB724_6 Depth=1
	s_and_b32 s21, s21, 0xffff
	buffer_load_dwordx4 v[22:25], v69, s[20:23], 0 offen
	buffer_load_dwordx4 v[18:21], v69, s[20:23], s57 offen
	buffer_load_dwordx4 v[14:17], v70, s[20:23], 0 offen
	buffer_load_dwordx4 v[10:13], v70, s[20:23], s57 offen
	v_mov_b32_e32 v98, v71
	v_mov_b32_e32 v97, v72
.LBB724_12:                             ;   in Loop: Header=BB724_6 Depth=1
	v_add_u32_e32 v30, s55, v65
	v_ashrrev_i32_e32 v26, 31, v30
	v_mul_lo_u32 v28, v26, s28
	v_mul_lo_u32 v29, v30, s29
	v_mad_u64_u32 v[26:27], s[20:21], v30, s28, 0
	v_add3_u32 v27, v27, v29, v28
	v_lshl_add_u64 v[26:27], v[26:27], 2, s[40:41]
	global_load_dword v46, v[26:27], off
	v_add_u32_e32 v26, 1, v30
	v_ashrrev_i32_e32 v27, 31, v26
	v_mul_lo_u32 v28, v27, s28
	v_mul_lo_u32 v29, v26, s29
	v_mad_u64_u32 v[26:27], s[20:21], v26, s28, 0
	v_add3_u32 v27, v27, v29, v28
	v_add_u32_e32 v28, 2, v30
	v_ashrrev_i32_e32 v29, 31, v28
	v_mul_lo_u32 v31, v29, s28
	v_mul_lo_u32 v32, v28, s29
	v_mad_u64_u32 v[28:29], s[20:21], v28, s28, 0
	v_add_u32_e32 v30, 3, v30
	v_add3_u32 v29, v29, v32, v31
	v_ashrrev_i32_e32 v31, 31, v30
	v_mul_lo_u32 v34, v31, s28
	v_mul_lo_u32 v35, v30, s29
	v_mad_u64_u32 v[30:31], s[20:21], v30, s28, 0
	s_ashr_i32 s21, s55, 31
	s_add_u32 s20, s54, s55
	s_addc_u32 s21, s53, s21
	s_lshl_b64 s[20:21], s[20:21], 8
	v_lshl_add_u64 v[26:27], v[26:27], 2, s[40:41]
	v_lshl_add_u64 v[32:33], v[58:59], 0, s[20:21]
	v_add3_u32 v31, v31, v35, v34
	v_lshl_add_u64 v[28:29], v[28:29], 2, s[40:41]
	global_load_ushort v47, v[32:33], off
	global_load_ushort v48, v[32:33], off offset:256
	global_load_ushort v49, v[32:33], off offset:512
	;; [unrolled: 1-line block ×3, first 2 shown]
	v_lshl_add_u64 v[30:31], v[30:31], 2, s[40:41]
	global_load_dword v51, v[26:27], off
	global_load_dword v52, v[28:29], off
	;; [unrolled: 1-line block ×3, first 2 shown]
	s_load_dword s2, s[2:3], 0x0
	ds_read_b64 v[34:35], v77 offset:24576
	ds_read2st64_b64 v[30:33], v82 offset1:1
	ds_read2st64_b64 v[36:39], v82 offset0:2 offset1:3
	ds_read_b64 v[40:41], v79 offset:24576
	ds_read_b64 v[42:43], v80 offset:24576
	;; [unrolled: 1-line block ×3, first 2 shown]
	s_waitcnt lgkmcnt(0)
	v_mfma_f32_16x16x16_bf16 a[0:3], v[34:35], v[30:31], a[0:3]
	v_mov_b32_e32 v100, 0
	v_mov_b32_e32 v26, 0
	v_mov_b32_e32 v27, 0
	v_mfma_f32_16x16x16_bf16 a[0:3], v[40:41], v[32:33], a[0:3]
	v_mov_b32_e32 v28, 0
	v_mov_b32_e32 v29, 0
	v_mov_b32_e32 v30, 0
	;; [unrolled: 4-line block ×4, first 2 shown]
	s_and_b64 vcc, exec, s[0:1]
	s_waitcnt vmcnt(7)
	v_sub_f32_e32 v37, s2, v46
	v_mul_f32_e32 v37, 0x3fb8aa3b, v37
	v_exp_f32_e32 v46, v37
	v_accvgpr_read_b32 v41, a1
	v_accvgpr_read_b32 v39, a3
	;; [unrolled: 1-line block ×4, first 2 shown]
	s_waitcnt vmcnt(6)
	v_lshlrev_b32_e32 v42, 16, v47
	s_waitcnt vmcnt(5)
	v_lshlrev_b32_e32 v43, 16, v48
	;; [unrolled: 2-line block ×3, first 2 shown]
	s_waitcnt vmcnt(2)
	v_sub_f32_e32 v47, s2, v51
	s_waitcnt vmcnt(1)
	v_sub_f32_e32 v48, s2, v52
	;; [unrolled: 2-line block ×3, first 2 shown]
	v_mul_f32_e32 v37, 0x3fb8aa3b, v47
	v_mul_f32_e32 v48, 0x3fb8aa3b, v48
	;; [unrolled: 1-line block ×3, first 2 shown]
	v_exp_f32_e32 v47, v37
	v_exp_f32_e32 v48, v48
	;; [unrolled: 1-line block ×3, first 2 shown]
	v_lshlrev_b32_e32 v45, 16, v50
	v_pk_add_f32 v[40:41], v[42:43], v[40:41] neg_lo:[0,1] neg_hi:[0,1]
	v_pk_add_f32 v[38:39], v[44:45], v[38:39] neg_lo:[0,1] neg_hi:[0,1]
	v_pk_mul_f32 v[40:41], v[46:47], v[40:41]
	v_pk_mul_f32 v[38:39], v[48:49], v[38:39]
	v_mov_b32_e32 v37, 0
	v_perm_b32 v39, v39, v38, s35
	v_perm_b32 v38, v41, v40, s35
	ds_write_b64 v74, v[38:39]
	v_mov_b32_e32 v38, 0
	v_mov_b32_e32 v39, 0
	;; [unrolled: 1-line block ×4, first 2 shown]
	s_cbranch_vccnz .LBB724_14
; %bb.13:                               ;   in Loop: Header=BB724_6 Depth=1
	s_and_b32 s25, s25, 0xffff
	s_mov_b32 s27, s23
	buffer_load_dwordx4 v[38:41], v84, s[24:27], 0 offen
	buffer_load_dwordx4 v[30:33], v84, s[24:27], s57 offen
	;; [unrolled: 1-line block ×4, first 2 shown]
	v_mov_b32_e32 v99, v68
	v_mov_b32_e32 v100, v67
.LBB724_14:                             ;   in Loop: Header=BB724_6 Depth=1
	s_waitcnt lgkmcnt(0)
	s_barrier
	ds_read_b64 v[42:43], v87
	ds_read_b64 v[48:49], v88
	ds_read2st64_b64 v[44:47], v82 offset1:1
	ds_read2st64_b64 v[102:105], v82 offset0:2 offset1:3
	ds_read_b64 v[50:51], v89
	ds_read_b64 v[110:111], v90
	s_add_i32 s3, s52, s60
	s_mul_hi_i32 s21, s3, s13
	s_mul_i32 s3, s3, s13
	s_waitcnt lgkmcnt(3)
	v_mfma_f32_16x16x16_bf16 a[0:3], v[42:43], v[44:45], 0
	ds_read_b64 v[42:43], v92
	s_add_u32 s20, s3, s47
	s_addc_u32 s21, s21, s49
	v_mfma_f32_16x16x16_bf16 a[0:3], v[48:49], v[46:47], a[0:3]
	ds_read_b64 v[48:49], v93
	s_lshl_b64 s[20:21], s[20:21], 15
	s_mul_i32 s24, s39, s13
	s_mul_hi_i32 s3, s39, s13
	s_add_u32 s24, s24, s47
	s_addc_u32 s25, s3, s49
	s_lshl_b64 s[24:25], s[24:25], 9
	s_add_u32 s24, s16, s24
	s_waitcnt lgkmcnt(1)
	v_mfma_f32_16x16x16_bf16 a[4:7], v[42:43], v[44:45], 0
	s_addc_u32 s25, s17, s25
	s_and_b64 vcc, exec, s[0:1]
	v_mfma_f32_16x16x16_bf16 a[0:3], v[50:51], v[102:103], a[0:3]
	ds_read_b64 v[50:51], v94
	ds_read_b64 v[112:113], v95
	global_load_dwordx4 v[42:45], v91, s[24:25]
	s_waitcnt lgkmcnt(2)
	v_mfma_f32_16x16x16_bf16 a[4:7], v[48:49], v[46:47], a[4:7]
	global_load_dwordx4 v[46:49], v86, s[24:25]
	ds_read_b64 v[106:107], v55
	ds_read_b64 v[108:109], v83
	s_waitcnt lgkmcnt(3)
	v_mfma_f32_16x16x16_bf16 a[8:11], v[50:51], v[102:103], a[4:7]
	v_lshl_add_u64 v[50:51], v[56:57], 0, s[20:21]
	s_waitcnt lgkmcnt(0)
	global_store_dwordx4 v[50:51], v[106:109], off
	v_mfma_f32_16x16x16_bf16 a[4:7], v[110:111], v[104:105], a[0:3]
	s_waitcnt vmcnt(2)
	v_mov_b32_e32 v52, v45
	v_mfma_f32_16x16x16_bf16 a[0:3], v[112:113], v[104:105], a[8:11]
	v_mov_b32_e32 v51, v44
	v_mov_b32_e32 v50, v43
	s_cbranch_vccnz .LBB724_16
; %bb.15:                               ;   in Loop: Header=BB724_6 Depth=1
	v_lshrrev_b32_e32 v43, 3, v99
	v_and_b32_e32 v43, 6, v43
	v_xor_b32_e32 v44, v43, v100
	v_lshlrev_b32_e32 v44, 2, v44
	v_and_b32_e32 v45, 8, v99
	v_xor_b32_e32 v99, 0x440, v44
	v_cmp_eq_u32_e32 vcc, 0, v45
	v_perm_b32 v45, v30, v26, s58
	s_nop 0
	v_cndmask_b32_e32 v44, v99, v44, vcc
	v_lshl_or_b32 v43, v43, 10, v44
	v_perm_b32 v44, v38, v34, s58
	s_barrier
	ds_write2st64_b32 v43, v44, v45 offset1:32
	v_xor_b32_e32 v44, 8, v43
	v_perm_b32 v34, v38, v34, s59
	v_perm_b32 v26, v30, v26, s59
	v_add_u32_e32 v30, 0x80, v44
	ds_write2st64_b32 v30, v34, v26 offset1:32
	v_xor_b32_e32 v26, 16, v43
	v_perm_b32 v30, v39, v35, s58
	v_perm_b32 v34, v31, v27, s58
	ds_write2st64_b32 v26, v30, v34 offset0:1 offset1:33
	v_xor_b32_e32 v26, 24, v43
	v_perm_b32 v30, v39, v35, s59
	v_perm_b32 v27, v31, v27, s59
	v_add_u32_e32 v26, 0x80, v26
	ds_write2st64_b32 v26, v30, v27 offset0:1 offset1:33
	v_xor_b32_e32 v26, 32, v43
	v_perm_b32 v27, v40, v36, s58
	v_perm_b32 v30, v32, v28, s58
	ds_write2st64_b32 v26, v27, v30 offset0:2 offset1:34
	v_xor_b32_e32 v26, 40, v43
	v_perm_b32 v27, v40, v36, s59
	v_perm_b32 v28, v32, v28, s59
	v_add_u32_e32 v26, 0x80, v26
	ds_write2st64_b32 v26, v27, v28 offset0:2 offset1:34
	;; [unrolled: 9-line block ×3, first 2 shown]
	ds_write_b64 v98, v[22:23] offset:16384
	v_xor_b32_e32 v22, 8, v98
	ds_write_b64 v22, v[24:25] offset:16384
	ds_write_b64 v98, v[18:19] offset:24576
	;; [unrolled: 1-line block ×4, first 2 shown]
	v_xor_b32_e32 v14, 8, v97
	ds_write_b64 v14, v[16:17] offset:16384
	ds_write_b64 v97, v[10:11] offset:24576
	;; [unrolled: 1-line block ×3, first 2 shown]
.LBB724_16:                             ;   in Loop: Header=BB724_6 Depth=1
	v_mul_f32_e32 v14, s2, v96
	v_exp_f32_e32 v18, v14
	s_waitcnt vmcnt(1)
	v_mul_f32_e32 v14, 0x3fb8aa3b, v46
	v_exp_f32_e32 v20, v14
	v_mul_f32_e32 v14, 0x3fb8aa3b, v47
	v_exp_f32_e32 v21, v14
	;; [unrolled: 2-line block ×4, first 2 shown]
	v_accvgpr_read_b32 v13, a7
	v_accvgpr_read_b32 v11, a5
	;; [unrolled: 1-line block ×3, first 2 shown]
	v_pk_mul_f32 v[20:21], v[18:19], v[20:21] op_sel_hi:[0,1]
	v_pk_fma_f32 v[6:7], v[6:7], v[20:21], v[10:11]
	v_pk_mul_f32 v[10:11], v[18:19], v[22:23] op_sel_hi:[0,1]
	v_mul_f32_e32 v19, 0x3fb8aa3b, v42
	v_exp_f32_e32 v20, v19
	v_mul_f32_e32 v19, 0x3fb8aa3b, v50
	v_exp_f32_e32 v21, v19
	;; [unrolled: 2-line block ×4, first 2 shown]
	v_accvgpr_read_b32 v12, a6
	v_accvgpr_read_b32 v17, a3
	;; [unrolled: 1-line block ×4, first 2 shown]
	v_pk_fma_f32 v[8:9], v[8:9], v[10:11], v[12:13]
	v_pk_mul_f32 v[10:11], v[18:19], v[20:21] op_sel_hi:[0,1]
	v_accvgpr_read_b32 v16, a2
	v_pk_fma_f32 v[2:3], v[2:3], v[10:11], v[14:15]
	v_pk_mul_f32 v[10:11], v[18:19], v[22:23] op_sel_hi:[0,1]
	s_add_i32 s55, s55, 64
	s_cmp_eq_u32 s48, s37
	v_pk_fma_f32 v[4:5], v[4:5], v[10:11], v[16:17]
	s_cbranch_scc1 .LBB724_18
; %bb.17:                               ;   in Loop: Header=BB724_6 Depth=1
	s_mov_b32 s60, s37
	s_branch .LBB724_6
.LBB724_18:
	s_lshl_b32 s26, s48, 6
	s_sub_i32 s27, s50, s26
	s_cmp_gt_i32 s27, 0
	s_cbranch_scc0 .LBB724_75
; %bb.19:
	s_add_i32 s26, s26, s30
	s_ashr_i32 s2, s26, 31
	s_cmpk_lg_i32 s15, 0x80
	s_cselect_b64 s[22:23], -1, 0
	s_and_b64 vcc, exec, s[22:23]
	s_cbranch_vccz .LBB724_21
; %bb.20:
	s_mul_i32 s1, s26, s14
	s_ashr_i32 s3, s51, 31
	s_mul_hi_i32 s0, s26, s14
	s_add_u32 s24, s1, s51
	s_addc_u32 s25, s0, s3
	s_cbranch_execz .LBB724_22
	s_branch .LBB724_23
.LBB724_21:
                                        ; implicit-def: $sgpr24_sgpr25
.LBB724_22:
	s_mul_i32 s1, s51, s12
	s_mul_hi_i32 s0, s51, s12
	s_add_u32 s24, s1, s26
	s_addc_u32 s25, s0, s2
.LBB724_23:
	s_waitcnt lgkmcnt(0)
	s_add_i32 s3, s48, s52
	s_add_u32 s0, s54, s26
	s_addc_u32 s1, s53, s2
	s_mov_b32 s2, 0x7060302
	s_waitcnt vmcnt(0)
	v_perm_b32 v5, v5, v4, s2
	v_perm_b32 v4, v3, v2, s2
	v_lshlrev_b32_e32 v2, 3, v62
	s_lshl_b64 s[20:21], s[0:1], 8
	v_perm_b32 v9, v9, v8, s2
	v_perm_b32 v8, v7, v6, s2
	v_lshlrev_b32_e32 v34, 2, v62
	v_lshl_or_b32 v2, v65, 5, v2
	s_add_u32 s0, s6, s20
	ds_write2st64_b64 v2, v[8:9], v[4:5] offset0:72 offset1:76
	v_xor_b32_e32 v2, v65, v34
	v_lshlrev_b32_e32 v3, 8, v62
	s_addc_u32 s1, s7, s21
	v_lshl_or_b32 v2, v2, 1, v3
	s_mul_hi_i32 s6, s3, s13
	s_mul_i32 s3, s3, s13
	ds_write_b64 v2, v[8:9] offset:32768
	v_xor_b32_e32 v2, v66, v34
	s_add_u32 s2, s3, s47
	v_lshl_or_b32 v2, v2, 1, v3
	s_addc_u32 s3, s6, s49
	v_lshlrev_b32_e32 v3, 1, v62
	ds_write_b64 v2, v[4:5] offset:32768
	v_lshrrev_b32_e32 v2, 4, v0
	s_ashr_i32 s39, s38, 31
	s_lshl_b64 s[2:3], s[2:3], 15
	v_or_b32_e32 v4, 1, v3
	s_add_u32 s6, s18, s2
	v_xor_b32_e32 v3, v2, v3
	v_xor_b32_e32 v4, v4, v2
	v_lshlrev_b32_e32 v6, 8, v2
	s_addc_u32 s7, s19, s3
	s_lshl_b64 s[2:3], s[38:39], 8
	v_lshl_or_b32 v2, v3, 3, v6
	v_lshl_or_b32 v4, v4, 3, v6
	s_waitcnt lgkmcnt(0)
	s_barrier
	s_add_u32 s2, s6, s2
	ds_read_b64 v[2:3], v2 offset:32768
	ds_read_b64 v[4:5], v4 offset:32768
	s_addc_u32 s3, s7, s3
	v_mov_b32_e32 v7, 0
	s_cmp_lg_u32 s27, 64
	v_lshl_add_u64 v[8:9], s[2:3], 0, v[6:7]
	v_lshlrev_b32_e32 v6, 4, v62
	s_cselect_b64 s[6:7], -1, 0
	v_lshl_or_b32 v35, v60, 3, v64
	s_mov_b32 s16, 0
	v_lshl_add_u64 v[6:7], v[8:9], 0, v[6:7]
	v_or_b32_e32 v19, 32, v35
	v_and_b32_e32 v18, 56, v63
	s_and_b64 vcc, exec, s[6:7]
	s_waitcnt lgkmcnt(0)
	global_store_dwordx4 v[6:7], v[2:5], off
	s_cbranch_vccz .LBB724_29
; %bb.24:
	s_mov_b32 s17, s16
	s_mov_b32 s18, s16
	;; [unrolled: 1-line block ×3, first 2 shown]
	v_mov_b64_e32 v[6:7], s[16:17]
	v_mov_b64_e32 v[8:9], s[18:19]
	;; [unrolled: 1-line block ×3, first 2 shown]
	v_cmp_gt_i32_e32 vcc, s27, v35
	v_mov_b64_e32 v[4:5], v[8:9]
	s_and_saveexec_b64 s[2:3], vcc
	s_cbranch_execz .LBB724_26
; %bb.25:
	v_lshlrev_b32_e32 v2, 8, v35
	v_mov_b32_e32 v3, 0
	v_lshl_add_u64 v[4:5], s[0:1], 0, v[2:3]
	v_lshlrev_b32_e32 v2, 1, v18
	v_lshl_add_u64 v[10:11], v[4:5], 0, v[2:3]
	global_load_dwordx4 v[6:9], v[10:11], off
	global_load_dwordx4 v[2:5], v[10:11], off offset:128
.LBB724_26:
	s_or_b64 exec, exec, s[2:3]
	s_mov_b32 s17, s16
	s_mov_b32 s18, s16
	;; [unrolled: 1-line block ×3, first 2 shown]
	v_mov_b64_e32 v[14:15], s[16:17]
	v_mov_b64_e32 v[16:17], s[18:19]
	v_mov_b64_e32 v[10:11], v[14:15]
	v_cmp_gt_i32_e32 vcc, s27, v19
	v_lshlrev_b32_e32 v20, 7, v19
	v_mov_b64_e32 v[12:13], v[16:17]
	s_and_saveexec_b64 s[2:3], vcc
	s_cbranch_execz .LBB724_28
; %bb.27:
	v_lshlrev_b32_e32 v10, 1, v20
	v_mov_b32_e32 v11, 0
	v_lshl_add_u64 v[12:13], s[0:1], 0, v[10:11]
	v_lshlrev_b32_e32 v10, 1, v18
	v_lshl_add_u64 v[22:23], v[12:13], 0, v[10:11]
	global_load_dwordx4 v[14:17], v[22:23], off
	global_load_dwordx4 v[10:13], v[22:23], off offset:128
.LBB724_28:
	s_or_b64 exec, exec, s[2:3]
	v_lshrrev_b32_e32 v21, 3, v18
	v_lshlrev_b32_e32 v22, 3, v35
	v_or_b32_e32 v21, v22, v21
	v_lshlrev_b32_e32 v21, 4, v21
	v_and_b32_e32 v22, 0x78, v22
	v_xor_b32_e32 v21, v21, v22
	s_branch .LBB724_31
.LBB724_29:
                                        ; implicit-def: $vgpr21
                                        ; implicit-def: $vgpr20
                                        ; implicit-def: $vgpr6_vgpr7_vgpr8_vgpr9
                                        ; implicit-def: $vgpr2_vgpr3_vgpr4_vgpr5
                                        ; implicit-def: $vgpr14_vgpr15_vgpr16_vgpr17
                                        ; implicit-def: $vgpr10_vgpr11_vgpr12_vgpr13
	s_cbranch_execz .LBB724_31
; %bb.30:
	s_waitcnt vmcnt(0)
	v_lshlrev_b32_e32 v2, 1, v18
	v_lshl_or_b32 v20, v35, 8, v2
	s_and_b32 s1, s1, 0xffff
	s_mov_b32 s3, 0x20000
	s_movk_i32 s2, 0x4000
	v_lshl_or_b32 v21, v19, 8, v2
	s_movk_i32 s12, 0x80
	buffer_load_dwordx4 v[6:9], v20, s[0:3], 0 offen
	buffer_load_dwordx4 v[2:5], v20, s[0:3], s12 offen
	;; [unrolled: 1-line block ×4, first 2 shown]
	v_lshrrev_b32_e32 v20, 3, v18
	v_lshlrev_b32_e32 v21, 3, v35
	v_or_b32_e32 v20, v21, v20
	v_lshlrev_b32_e32 v20, 4, v20
	v_and_b32_e32 v21, 0x78, v21
	v_xor_b32_e32 v21, v20, v21
	v_lshlrev_b32_e32 v20, 7, v19
.LBB724_31:
	s_lshl_b64 s[0:1], s[24:25], 8
	s_add_u32 s4, s4, s0
	s_movk_i32 s0, 0x1000
	v_and_or_b32 v19, v20, s0, v21
	s_waitcnt vmcnt(1)
	ds_write_b64 v21, v[6:7] offset:16384
	v_xor_b32_e32 v6, 8, v21
	ds_write_b64 v6, v[8:9] offset:16384
	s_waitcnt vmcnt(0)
	ds_write_b64 v21, v[2:3] offset:24576
	ds_write_b64 v6, v[4:5] offset:24576
	;; [unrolled: 1-line block ×3, first 2 shown]
	v_xor_b32_e32 v2, 8, v19
	ds_write_b64 v2, v[16:17] offset:16384
	ds_write_b64 v19, v[10:11] offset:24576
	;; [unrolled: 1-line block ×3, first 2 shown]
	v_or_b32_e32 v2, v1, v62
	v_lshlrev_b32_e32 v2, 3, v2
	v_lshrrev_b32_e32 v4, 5, v53
	s_movk_i32 s12, 0xf8
	v_and_or_b32 v4, v2, s12, v4
	v_lshlrev_b32_e32 v3, 11, v60
	v_lshlrev_b32_e32 v12, 4, v4
	v_and_b32_e32 v13, 0x78, v2
	v_and_b32_e32 v14, 0x1000, v3
	v_lshlrev_b32_e32 v3, 2, v0
	v_xor_b32_e32 v2, v12, v13
	v_lshrrev_b32_e32 v4, 1, v53
	v_and_b32_e32 v3, 60, v3
	v_or_b32_e32 v2, v2, v14
	v_and_b32_e32 v15, 8, v4
	v_xor_b32_e32 v26, v2, v15
	v_lshl_or_b32 v2, v61, 6, v3
	v_lshlrev_b32_e32 v19, 1, v2
	v_or_b32_e32 v2, 32, v12
	v_xor_b32_e32 v2, v2, v13
	s_waitcnt lgkmcnt(0)
	s_barrier
	ds_read_b64 v[10:11], v26 offset:16384
	v_or_b32_e32 v2, v2, v14
	v_xor_b32_e32 v27, v2, v15
	v_or_b32_e32 v2, 64, v12
	v_xor_b32_e32 v2, v2, v13
	v_or_b32_e32 v2, v2, v14
	v_or_b32_e32 v12, 0x60, v12
	v_xor_b32_e32 v28, v2, v15
	ds_read2st64_b64 v[2:5], v19 offset0:72 offset1:73
	ds_read2st64_b64 v[6:9], v19 offset0:74 offset1:75
	v_xor_b32_e32 v16, v12, v13
	ds_read_b64 v[12:13], v27 offset:16384
	s_addc_u32 s5, s5, s1
	s_add_i32 s1, s43, s33
	s_waitcnt lgkmcnt(2)
	v_mfma_f32_16x16x16_bf16 a[0:3], v[10:11], v[2:3], 0
	s_add_i32 s0, s31, -1
	s_add_i32 s37, s1, s44
	s_add_i32 s1, s45, s42
	s_add_i32 s35, s1, s46
	s_ashr_i32 s1, s0, 31
	s_mul_i32 s2, s0, s29
	s_mul_hi_u32 s3, s0, s28
	s_add_i32 s2, s3, s2
	s_mul_i32 s1, s1, s28
	v_or_b32_e32 v14, v16, v14
	s_add_i32 s1, s2, s1
	s_lshl_b64 s[2:3], s[36:37], 2
	v_xor_b32_e32 v36, v14, v15
	ds_read_b64 v[14:15], v28 offset:16384
	ds_read_b64 v[16:17], v36 offset:16384
	s_waitcnt lgkmcnt(2)
	v_mfma_f32_16x16x16_bf16 a[0:3], v[12:13], v[4:5], a[0:3]
	s_add_u32 s10, s10, s2
	s_addc_u32 s11, s11, s3
	s_lshl_b64 s[2:3], s[34:35], 2
	s_mul_i32 s0, s0, s28
	s_add_u32 s10, s10, s2
	s_addc_u32 s11, s11, s3
	s_lshl_b64 s[0:1], s[0:1], 2
	s_waitcnt lgkmcnt(1)
	v_mfma_f32_16x16x16_bf16 a[0:3], v[14:15], v[6:7], a[0:3]
	s_add_u32 s0, s10, s0
	s_addc_u32 s1, s11, s1
	s_load_dword s12, s[0:1], 0x0
	s_waitcnt lgkmcnt(0)
	v_mfma_f32_16x16x16_bf16 a[0:3], v[16:17], v[8:9], a[0:3]
	s_and_b64 vcc, exec, s[22:23]
	s_cbranch_vccz .LBB724_42
; %bb.32:
	v_lshlrev_b32_e32 v20, 1, v35
	s_and_b64 vcc, exec, s[6:7]
	s_cbranch_vccz .LBB724_43
; %bb.33:
	v_cmp_gt_i32_e32 vcc, s27, v20
	v_mov_b32_e32 v6, 0
	v_mov_b32_e32 v2, 0
	;; [unrolled: 1-line block ×5, first 2 shown]
	s_and_saveexec_b64 s[0:1], vcc
	s_cbranch_execz .LBB724_35
; %bb.34:
	v_mad_i64_i32 v[2:3], s[2:3], s15, v20, 0
	v_lshl_add_u64 v[2:3], v[2:3], 1, s[4:5]
	v_lshlrev_b32_e32 v4, 1, v18
	v_mov_b32_e32 v5, 0
	v_lshl_add_u64 v[2:3], v[2:3], 0, v[4:5]
	global_load_dwordx4 v[2:5], v[2:3], off
.LBB724_35:
	s_or_b64 exec, exec, s[0:1]
	v_or_b32_e32 v21, 1, v20
	v_cmp_gt_i32_e64 s[0:1], s27, v21
	v_mov_b32_e32 v7, 0
	v_mov_b32_e32 v8, 0
	;; [unrolled: 1-line block ×3, first 2 shown]
	s_and_saveexec_b64 s[2:3], s[0:1]
	s_cbranch_execz .LBB724_37
; %bb.36:
	v_mad_i64_i32 v[6:7], s[16:17], s15, v21, 0
	v_lshl_add_u64 v[6:7], v[6:7], 1, s[4:5]
	v_lshlrev_b32_e32 v8, 1, v18
	v_mov_b32_e32 v9, 0
	v_lshl_add_u64 v[6:7], v[6:7], 0, v[8:9]
	global_load_dwordx4 v[6:9], v[6:7], off
.LBB724_37:
	s_or_b64 exec, exec, s[2:3]
	v_mov_b32_e32 v17, 0
	v_mov_b32_e32 v10, 0
	v_mov_b32_e32 v11, 0
	v_mov_b32_e32 v12, 0
	v_mov_b32_e32 v13, 0
	s_and_saveexec_b64 s[2:3], vcc
	s_cbranch_execz .LBB724_39
; %bb.38:
	v_mad_i64_i32 v[10:11], s[16:17], s15, v20, 0
	v_lshl_add_u64 v[10:11], v[10:11], 1, s[4:5]
	v_lshlrev_b32_e32 v12, 1, v18
	v_mov_b32_e32 v13, 0
	v_lshl_add_u64 v[10:11], v[10:11], 0, v[12:13]
	global_load_dwordx4 v[10:13], v[10:11], off offset:128
.LBB724_39:
	s_or_b64 exec, exec, s[2:3]
	v_mov_b32_e32 v16, 0
	v_mov_b32_e32 v15, 0
	;; [unrolled: 1-line block ×3, first 2 shown]
	s_and_saveexec_b64 s[2:3], s[0:1]
	s_cbranch_execz .LBB724_41
; %bb.40:
	v_mad_i64_i32 v[14:15], s[0:1], s15, v21, 0
	v_lshl_add_u64 v[14:15], v[14:15], 1, s[4:5]
	v_lshlrev_b32_e32 v16, 1, v18
	v_mov_b32_e32 v17, 0
	v_lshl_add_u64 v[14:15], v[14:15], 0, v[16:17]
	global_load_dwordx4 v[14:17], v[14:15], off offset:128
.LBB724_41:
	s_or_b64 exec, exec, s[2:3]
	s_branch .LBB724_45
.LBB724_42:
                                        ; implicit-def: $vgpr5
                                        ; implicit-def: $vgpr9
                                        ; implicit-def: $vgpr13
                                        ; implicit-def: $vgpr17
	v_lshrrev_b32_e32 v37, 2, v53
	s_branch .LBB724_46
.LBB724_43:
                                        ; implicit-def: $vgpr5
                                        ; implicit-def: $vgpr9
                                        ; implicit-def: $vgpr13
                                        ; implicit-def: $vgpr17
	s_cbranch_execz .LBB724_45
; %bb.44:
	s_waitcnt vmcnt(0)
	v_mad_u64_u32 v[2:3], s[0:1], v20, s15, v[18:19]
	v_lshlrev_b32_e32 v20, 1, v2
	s_lshl_b32 s2, s15, 7
	s_and_b32 s1, s5, 0xffff
	s_mov_b32 s3, 0x20000
	s_mov_b32 s0, s4
	v_add_lshl_u32 v21, v2, s15, 1
	s_movk_i32 s13, 0x80
	buffer_load_dwordx4 v[2:5], v20, s[0:3], 0 offen
	buffer_load_dwordx4 v[10:13], v20, s[0:3], s13 offen
	;; [unrolled: 1-line block ×4, first 2 shown]
.LBB724_45:
	v_lshrrev_b32_e32 v37, 2, v53
	s_cbranch_execnz .LBB724_58
.LBB724_46:
	s_and_b64 vcc, exec, s[6:7]
	s_cbranch_vccz .LBB724_56
; %bb.47:
	s_waitcnt vmcnt(0)
	v_lshlrev_b32_e32 v7, 1, v35
	v_cmp_gt_i32_e32 vcc, s27, v7
	v_mov_b32_e32 v6, 0
	v_lshlrev_b32_e32 v14, 9, v35
	v_mov_b32_e32 v2, 0
	v_mov_b32_e32 v3, 0
	;; [unrolled: 1-line block ×4, first 2 shown]
	s_and_saveexec_b64 s[0:1], vcc
	s_cbranch_execz .LBB724_49
; %bb.48:
	v_mov_b32_e32 v15, 0
	v_lshl_add_u64 v[2:3], s[4:5], 0, v[14:15]
	v_lshlrev_b32_e32 v4, 1, v18
	v_mov_b32_e32 v5, v15
	v_lshl_add_u64 v[2:3], v[2:3], 0, v[4:5]
	global_load_dwordx4 v[2:5], v[2:3], off
.LBB724_49:
	s_or_b64 exec, exec, s[0:1]
	v_or_b32_e32 v7, 1, v7
	v_cmp_gt_i32_e64 s[0:1], s27, v7
	v_lshlrev_b32_e32 v20, 8, v7
	v_mov_b32_e32 v7, 0
	v_mov_b32_e32 v8, 0
	;; [unrolled: 1-line block ×3, first 2 shown]
	s_and_saveexec_b64 s[2:3], s[0:1]
	s_cbranch_execz .LBB724_51
; %bb.50:
	v_mov_b32_e32 v21, 0
	v_lshl_add_u64 v[6:7], s[4:5], 0, v[20:21]
	v_lshlrev_b32_e32 v8, 1, v18
	v_mov_b32_e32 v9, v21
	v_lshl_add_u64 v[6:7], v[6:7], 0, v[8:9]
	global_load_dwordx4 v[6:9], v[6:7], off
.LBB724_51:
	s_or_b64 exec, exec, s[2:3]
	v_mov_b32_e32 v17, 0
	v_mov_b32_e32 v10, 0
	;; [unrolled: 1-line block ×5, first 2 shown]
	s_and_saveexec_b64 s[2:3], vcc
	s_cbranch_execz .LBB724_53
; %bb.52:
	v_mov_b32_e32 v15, 0
	v_lshl_add_u64 v[10:11], s[4:5], 0, v[14:15]
	v_lshlrev_b32_e32 v14, 1, v18
	v_lshl_add_u64 v[10:11], v[10:11], 0, v[14:15]
	global_load_dwordx4 v[10:13], v[10:11], off offset:128
.LBB724_53:
	s_or_b64 exec, exec, s[2:3]
	v_mov_b32_e32 v16, 0
	v_mov_b32_e32 v15, 0
	;; [unrolled: 1-line block ×3, first 2 shown]
	s_and_saveexec_b64 s[2:3], s[0:1]
	s_cbranch_execz .LBB724_55
; %bb.54:
	v_mov_b32_e32 v21, 0
	v_lshl_add_u64 v[14:15], s[4:5], 0, v[20:21]
	v_lshlrev_b32_e32 v20, 1, v18
	v_lshl_add_u64 v[14:15], v[14:15], 0, v[20:21]
	global_load_dwordx4 v[14:17], v[14:15], off offset:128
.LBB724_55:
	s_or_b64 exec, exec, s[2:3]
	s_branch .LBB724_58
.LBB724_56:
                                        ; implicit-def: $vgpr5
                                        ; implicit-def: $vgpr9
                                        ; implicit-def: $vgpr13
                                        ; implicit-def: $vgpr17
	s_cbranch_execz .LBB724_58
; %bb.57:
	s_waitcnt vmcnt(0)
	v_lshlrev_b32_e32 v2, 1, v18
	v_lshl_or_b32 v18, v35, 9, v2
	s_and_b32 s5, s5, 0xffff
	s_mov_b32 s7, 0x20000
	s_movk_i32 s6, 0x4000
	s_movk_i32 s0, 0x80
	buffer_load_dwordx4 v[2:5], v18, s[4:7], 0 offen
	buffer_load_dwordx4 v[6:9], v18, s[4:7], 0 offen offset:256
	buffer_load_dwordx4 v[10:13], v18, s[4:7], s0 offen
	buffer_load_dwordx4 v[14:17], v18, s[4:7], s0 offen offset:256
.LBB724_58:
	ds_read2st64_b64 v[22:25], v19 offset0:76 offset1:77
	ds_read2st64_b64 v[18:21], v19 offset0:78 offset1:79
	ds_read_b64 v[30:31], v26 offset:24576
	ds_read_b64 v[32:33], v27 offset:24576
	;; [unrolled: 1-line block ×4, first 2 shown]
	v_and_b32_e32 v36, 6, v0
	v_xor_b32_e32 v35, v35, v36
	v_lshlrev_b32_e32 v35, 2, v35
	v_and_b32_e32 v0, 1, v0
	v_xor_b32_e32 v38, 0x440, v35
	v_cmp_eq_u32_e32 vcc, 0, v0
	s_mov_b32 s0, 0x1000504
	s_mov_b32 s1, 0x3020706
	v_cndmask_b32_e32 v0, v38, v35, vcc
	v_lshl_or_b32 v0, v36, 10, v0
	s_waitcnt vmcnt(0)
	v_perm_b32 v35, v2, v6, s0
	v_perm_b32 v36, v10, v14, s0
	ds_write2st64_b32 v0, v35, v36 offset1:32
	v_xor_b32_e32 v35, 8, v0
	v_perm_b32 v2, v2, v6, s1
	v_perm_b32 v6, v10, v14, s1
	v_add_u32_e32 v10, 0x80, v35
	ds_write2st64_b32 v10, v2, v6 offset1:32
	v_xor_b32_e32 v2, 16, v0
	v_perm_b32 v6, v3, v7, s0
	v_perm_b32 v10, v11, v15, s0
	ds_write2st64_b32 v2, v6, v10 offset0:1 offset1:33
	v_xor_b32_e32 v2, 24, v0
	v_perm_b32 v3, v3, v7, s1
	v_perm_b32 v6, v11, v15, s1
	v_add_u32_e32 v2, 0x80, v2
	ds_write2st64_b32 v2, v3, v6 offset0:1 offset1:33
	v_xor_b32_e32 v2, 32, v0
	v_perm_b32 v3, v4, v8, s0
	v_perm_b32 v6, v12, v16, s0
	ds_write2st64_b32 v2, v3, v6 offset0:2 offset1:34
	v_xor_b32_e32 v2, 40, v0
	v_perm_b32 v3, v4, v8, s1
	v_perm_b32 v4, v12, v16, s1
	v_add_u32_e32 v2, 0x80, v2
	ds_write2st64_b32 v2, v3, v4 offset0:2 offset1:34
	v_xor_b32_e32 v2, 48, v0
	v_perm_b32 v3, v5, v9, s0
	v_perm_b32 v4, v13, v17, s0
	v_xor_b32_e32 v0, 56, v0
	v_and_or_b32 v6, v37, 12, v1
	ds_write2st64_b32 v2, v3, v4 offset0:3 offset1:35
	v_perm_b32 v2, v5, v9, s1
	v_perm_b32 v3, v13, v17, s1
	v_add_u32_e32 v0, 0x80, v0
	v_cmp_gt_i32_e32 vcc, s27, v6
	v_mov_b32_e32 v7, 0
	v_mov_b32_e32 v11, 0
	ds_write2st64_b32 v0, v2, v3 offset0:3 offset1:35
	s_and_saveexec_b64 s[0:1], vcc
	s_cbranch_execz .LBB724_60
; %bb.59:
	v_add_u32_e32 v0, s26, v6
	v_ashrrev_i32_e32 v1, 31, v0
	v_mul_lo_u32 v2, v1, s28
	v_mul_lo_u32 v3, v0, s29
	v_mad_u64_u32 v[0:1], s[2:3], v0, s28, 0
	v_add3_u32 v1, v1, v3, v2
	v_lshl_add_u64 v[0:1], v[0:1], 2, s[10:11]
	global_load_dword v0, v[0:1], off
	s_waitcnt vmcnt(0)
	v_sub_f32_e32 v0, s12, v0
	v_mul_f32_e32 v0, 0x3fb8aa3b, v0
	v_exp_f32_e32 v11, v0
.LBB724_60:
	s_or_b64 exec, exec, s[0:1]
	v_or_b32_e32 v9, 1, v6
	v_cmp_gt_i32_e64 s[0:1], s27, v9
	s_and_saveexec_b64 s[2:3], s[0:1]
	s_cbranch_execz .LBB724_62
; %bb.61:
	v_add_u32_e32 v0, s26, v9
	v_ashrrev_i32_e32 v1, 31, v0
	v_mul_lo_u32 v2, v1, s28
	v_mul_lo_u32 v3, v0, s29
	v_mad_u64_u32 v[0:1], s[4:5], v0, s28, 0
	v_add3_u32 v1, v1, v3, v2
	v_lshl_add_u64 v[0:1], v[0:1], 2, s[10:11]
	global_load_dword v0, v[0:1], off
	s_waitcnt vmcnt(0)
	v_sub_f32_e32 v0, s12, v0
	v_mul_f32_e32 v0, 0x3fb8aa3b, v0
	v_exp_f32_e32 v7, v0
.LBB724_62:
	s_or_b64 exec, exec, s[2:3]
	v_or_b32_e32 v10, 2, v6
	v_cmp_gt_i32_e64 s[2:3], s27, v10
	v_mov_b32_e32 v8, 0
	v_mov_b32_e32 v13, 0
	s_and_saveexec_b64 s[4:5], s[2:3]
	s_cbranch_execz .LBB724_64
; %bb.63:
	v_add_u32_e32 v0, s26, v10
	v_ashrrev_i32_e32 v1, 31, v0
	v_mul_lo_u32 v2, v1, s28
	v_mul_lo_u32 v3, v0, s29
	v_mad_u64_u32 v[0:1], s[6:7], v0, s28, 0
	v_add3_u32 v1, v1, v3, v2
	v_lshl_add_u64 v[0:1], v[0:1], 2, s[10:11]
	global_load_dword v0, v[0:1], off
	s_waitcnt vmcnt(0)
	v_sub_f32_e32 v0, s12, v0
	v_mul_f32_e32 v0, 0x3fb8aa3b, v0
	v_exp_f32_e32 v13, v0
.LBB724_64:
	s_or_b64 exec, exec, s[4:5]
	v_or_b32_e32 v12, 3, v6
	v_cmp_gt_i32_e64 s[4:5], s27, v12
	s_and_saveexec_b64 s[6:7], s[4:5]
	s_cbranch_execz .LBB724_66
; %bb.65:
	v_add_u32_e32 v0, s26, v12
	v_ashrrev_i32_e32 v1, 31, v0
	v_mul_lo_u32 v2, v1, s28
	v_mul_lo_u32 v3, v0, s29
	v_mad_u64_u32 v[0:1], s[14:15], v0, s28, 0
	v_add3_u32 v1, v1, v3, v2
	v_lshl_add_u64 v[0:1], v[0:1], 2, s[10:11]
	global_load_dword v0, v[0:1], off
	s_waitcnt vmcnt(0)
	v_sub_f32_e32 v0, s12, v0
	v_mul_f32_e32 v0, 0x3fb8aa3b, v0
	v_exp_f32_e32 v8, v0
.LBB724_66:
	s_or_b64 exec, exec, s[6:7]
	s_waitcnt lgkmcnt(11)
	v_mfma_f32_16x16x16_bf16 a[0:3], v[30:31], v[22:23], a[0:3]
	s_add_u32 s6, s8, s20
	v_ashrrev_i32_e32 v55, 31, v54
	s_addc_u32 s7, s9, s21
	s_waitcnt lgkmcnt(10)
	v_mfma_f32_16x16x16_bf16 a[0:3], v[32:33], v[24:25], a[0:3]
	v_mov_b32_e32 v14, 0
	v_lshl_add_u64 v[4:5], v[54:55], 1, s[6:7]
	v_mov_b32_e32 v15, 0
	s_waitcnt lgkmcnt(9)
	v_mfma_f32_16x16x16_bf16 a[0:3], v[28:29], v[18:19], a[0:3]
	s_waitcnt lgkmcnt(8)
	v_mfma_f32_16x16x16_bf16 a[0:3], v[26:27], v[20:21], a[0:3]
	s_nop 6
	v_accvgpr_read_b32 v0, a0
	v_accvgpr_read_b32 v1, a1
	;; [unrolled: 1-line block ×4, first 2 shown]
	s_and_saveexec_b64 s[6:7], vcc
	s_cbranch_execz .LBB724_68
; %bb.67:
	v_lshlrev_b32_e32 v16, 8, v6
	v_mov_b32_e32 v17, 0
	v_lshl_add_u64 v[16:17], v[4:5], 0, v[16:17]
	global_load_ushort v15, v[16:17], off
	s_waitcnt vmcnt(0)
	v_lshlrev_b32_e32 v15, 16, v15
	v_sub_f32_e32 v0, v15, v0
	v_mul_f32_e32 v0, v11, v0
	v_lshrrev_b32_e32 v15, 16, v0
.LBB724_68:
	s_or_b64 exec, exec, s[6:7]
	s_and_saveexec_b64 s[6:7], s[0:1]
	s_cbranch_execz .LBB724_70
; %bb.69:
	v_lshlrev_b32_e32 v16, 8, v9
	v_mov_b32_e32 v17, 0
	v_lshl_add_u64 v[16:17], v[4:5], 0, v[16:17]
	global_load_ushort v0, v[16:17], off
	s_waitcnt vmcnt(0)
	v_lshlrev_b32_e32 v0, 16, v0
	v_sub_f32_e32 v0, v0, v1
	v_mul_f32_e32 v0, v7, v0
	v_lshrrev_b32_e32 v14, 16, v0
.LBB724_70:
	s_or_b64 exec, exec, s[6:7]
	v_mov_b32_e32 v0, 0
	v_mov_b32_e32 v1, 0
	s_and_saveexec_b64 s[0:1], s[2:3]
	s_cbranch_execz .LBB724_72
; %bb.71:
	v_lshlrev_b32_e32 v10, 8, v10
	v_mov_b32_e32 v11, 0
	v_lshl_add_u64 v[10:11], v[4:5], 0, v[10:11]
	global_load_ushort v1, v[10:11], off
	s_waitcnt vmcnt(0)
	v_lshlrev_b32_e32 v1, 16, v1
	v_sub_f32_e32 v1, v1, v2
	v_mul_f32_e32 v1, v13, v1
	v_lshrrev_b32_e32 v1, 16, v1
.LBB724_72:
	s_or_b64 exec, exec, s[0:1]
	s_and_saveexec_b64 s[0:1], s[4:5]
	s_cbranch_execz .LBB724_74
; %bb.73:
	v_lshlrev_b32_e32 v10, 8, v12
	v_mov_b32_e32 v11, 0
	v_lshl_add_u64 v[4:5], v[4:5], 0, v[10:11]
	global_load_ushort v0, v[4:5], off
	s_waitcnt vmcnt(0)
	v_lshlrev_b32_e32 v0, 16, v0
	v_sub_f32_e32 v0, v0, v3
	v_mul_f32_e32 v0, v8, v0
	v_lshrrev_b32_e32 v0, 16, v0
.LBB724_74:
	s_or_b64 exec, exec, s[0:1]
	s_mov_b32 s0, 0x5040100
	v_lshlrev_b32_e32 v2, 1, v34
	v_perm_b32 v1, v0, v1, s0
	v_perm_b32 v0, v14, v15, s0
	v_lshl_or_b32 v2, v6, 5, v2
	ds_write_b64 v2, v[0:1] offset:38912
	s_waitcnt lgkmcnt(0)
	s_barrier
.LBB724_75:
	s_endpgm
	.section	.rodata,"a",@progbits
	.p2align	6, 0x0
	.amdhsa_kernel _ZN12_GLOBAL__N_139chunk_gated_delta_rule_fwd_h_hip_kernelILi16ELb1ELb0ELb0ELb1ELb0ELb1ELb0ELb0EEEvPK12hip_bfloat16S3_S3_PKfS5_PKvPS1_S8_PvPKiSB_iiiiilll
		.amdhsa_group_segment_fixed_size 40960
		.amdhsa_private_segment_fixed_size 0
		.amdhsa_kernarg_size 136
		.amdhsa_user_sgpr_count 2
		.amdhsa_user_sgpr_dispatch_ptr 0
		.amdhsa_user_sgpr_queue_ptr 0
		.amdhsa_user_sgpr_kernarg_segment_ptr 1
		.amdhsa_user_sgpr_dispatch_id 0
		.amdhsa_user_sgpr_kernarg_preload_length 0
		.amdhsa_user_sgpr_kernarg_preload_offset 0
		.amdhsa_user_sgpr_private_segment_size 0
		.amdhsa_uses_dynamic_stack 0
		.amdhsa_enable_private_segment 0
		.amdhsa_system_sgpr_workgroup_id_x 1
		.amdhsa_system_sgpr_workgroup_id_y 1
		.amdhsa_system_sgpr_workgroup_id_z 0
		.amdhsa_system_sgpr_workgroup_info 0
		.amdhsa_system_vgpr_workitem_id 0
		.amdhsa_next_free_vgpr 128
		.amdhsa_next_free_sgpr 61
		.amdhsa_accum_offset 116
		.amdhsa_reserve_vcc 1
		.amdhsa_float_round_mode_32 0
		.amdhsa_float_round_mode_16_64 0
		.amdhsa_float_denorm_mode_32 3
		.amdhsa_float_denorm_mode_16_64 3
		.amdhsa_dx10_clamp 1
		.amdhsa_ieee_mode 1
		.amdhsa_fp16_overflow 0
		.amdhsa_tg_split 0
		.amdhsa_exception_fp_ieee_invalid_op 0
		.amdhsa_exception_fp_denorm_src 0
		.amdhsa_exception_fp_ieee_div_zero 0
		.amdhsa_exception_fp_ieee_overflow 0
		.amdhsa_exception_fp_ieee_underflow 0
		.amdhsa_exception_fp_ieee_inexact 0
		.amdhsa_exception_int_div_zero 0
	.end_amdhsa_kernel
	.section	.text._ZN12_GLOBAL__N_139chunk_gated_delta_rule_fwd_h_hip_kernelILi16ELb1ELb0ELb0ELb1ELb0ELb1ELb0ELb0EEEvPK12hip_bfloat16S3_S3_PKfS5_PKvPS1_S8_PvPKiSB_iiiiilll,"axG",@progbits,_ZN12_GLOBAL__N_139chunk_gated_delta_rule_fwd_h_hip_kernelILi16ELb1ELb0ELb0ELb1ELb0ELb1ELb0ELb0EEEvPK12hip_bfloat16S3_S3_PKfS5_PKvPS1_S8_PvPKiSB_iiiiilll,comdat
.Lfunc_end724:
	.size	_ZN12_GLOBAL__N_139chunk_gated_delta_rule_fwd_h_hip_kernelILi16ELb1ELb0ELb0ELb1ELb0ELb1ELb0ELb0EEEvPK12hip_bfloat16S3_S3_PKfS5_PKvPS1_S8_PvPKiSB_iiiiilll, .Lfunc_end724-_ZN12_GLOBAL__N_139chunk_gated_delta_rule_fwd_h_hip_kernelILi16ELb1ELb0ELb0ELb1ELb0ELb1ELb0ELb0EEEvPK12hip_bfloat16S3_S3_PKfS5_PKvPS1_S8_PvPKiSB_iiiiilll
                                        ; -- End function
	.section	.AMDGPU.csdata,"",@progbits
; Kernel info:
; codeLenInByte = 7296
; NumSgprs: 67
; NumVgprs: 114
; NumAgprs: 12
; TotalNumVgprs: 128
; ScratchSize: 0
; MemoryBound: 0
; FloatMode: 240
; IeeeMode: 1
; LDSByteSize: 40960 bytes/workgroup (compile time only)
; SGPRBlocks: 8
; VGPRBlocks: 15
; NumSGPRsForWavesPerEU: 67
; NumVGPRsForWavesPerEU: 128
; AccumOffset: 116
; Occupancy: 1
; WaveLimiterHint : 1
; COMPUTE_PGM_RSRC2:SCRATCH_EN: 0
; COMPUTE_PGM_RSRC2:USER_SGPR: 2
; COMPUTE_PGM_RSRC2:TRAP_HANDLER: 0
; COMPUTE_PGM_RSRC2:TGID_X_EN: 1
; COMPUTE_PGM_RSRC2:TGID_Y_EN: 1
; COMPUTE_PGM_RSRC2:TGID_Z_EN: 0
; COMPUTE_PGM_RSRC2:TIDIG_COMP_CNT: 0
; COMPUTE_PGM_RSRC3_GFX90A:ACCUM_OFFSET: 28
; COMPUTE_PGM_RSRC3_GFX90A:TG_SPLIT: 0
	.section	.text._ZN12_GLOBAL__N_139chunk_gated_delta_rule_fwd_h_hip_kernelILi16ELb0ELb1ELb1ELb1ELb0ELb1ELb0ELb0EEEvPK12hip_bfloat16S3_S3_PKfS5_PKvPS1_S8_PvPKiSB_iiiiilll,"axG",@progbits,_ZN12_GLOBAL__N_139chunk_gated_delta_rule_fwd_h_hip_kernelILi16ELb0ELb1ELb1ELb1ELb0ELb1ELb0ELb0EEEvPK12hip_bfloat16S3_S3_PKfS5_PKvPS1_S8_PvPKiSB_iiiiilll,comdat
	.globl	_ZN12_GLOBAL__N_139chunk_gated_delta_rule_fwd_h_hip_kernelILi16ELb0ELb1ELb1ELb1ELb0ELb1ELb0ELb0EEEvPK12hip_bfloat16S3_S3_PKfS5_PKvPS1_S8_PvPKiSB_iiiiilll ; -- Begin function _ZN12_GLOBAL__N_139chunk_gated_delta_rule_fwd_h_hip_kernelILi16ELb0ELb1ELb1ELb1ELb0ELb1ELb0ELb0EEEvPK12hip_bfloat16S3_S3_PKfS5_PKvPS1_S8_PvPKiSB_iiiiilll
	.p2align	8
	.type	_ZN12_GLOBAL__N_139chunk_gated_delta_rule_fwd_h_hip_kernelILi16ELb0ELb1ELb1ELb1ELb0ELb1ELb0ELb0EEEvPK12hip_bfloat16S3_S3_PKfS5_PKvPS1_S8_PvPKiSB_iiiiilll,@function
_ZN12_GLOBAL__N_139chunk_gated_delta_rule_fwd_h_hip_kernelILi16ELb0ELb1ELb1ELb1ELb0ELb1ELb0ELb0EEEvPK12hip_bfloat16S3_S3_PKfS5_PKvPS1_S8_PvPKiSB_iiiiilll: ; @_ZN12_GLOBAL__N_139chunk_gated_delta_rule_fwd_h_hip_kernelILi16ELb0ELb1ELb1ELb1ELb0ELb1ELb0ELb0EEEvPK12hip_bfloat16S3_S3_PKfS5_PKvPS1_S8_PvPKiSB_iiiiilll
; %bb.0:
	s_load_dwordx4 s[20:23], s[0:1], 0x5c
	s_load_dwordx2 s[40:41], s[0:1], 0x20
	s_abs_i32 s27, s3
	s_ashr_i32 s26, s3, 31
	s_load_dwordx2 s[24:25], s[0:1], 0x50
	s_load_dwordx8 s[4:11], s[0:1], 0x30
	s_load_dwordx8 s[12:19], s[0:1], 0x0
	s_waitcnt lgkmcnt(0)
	s_abs_i32 s30, s21
	v_cvt_f32_u32_e32 v1, s30
	s_sub_i32 s28, 0, s30
	s_ashr_i32 s33, s21, 31
	s_xor_b32 s26, s26, s33
	v_rcp_iflag_f32_e32 v1, v1
	v_lshrrev_b32_e32 v53, 6, v0
	v_bfe_u32 v62, v0, 4, 2
	v_lshlrev_b32_e32 v60, 4, v53
	v_mul_f32_e32 v1, 0x4f7ffffe, v1
	v_cvt_u32_f32_e32 v1, v1
	v_lshlrev_b32_e32 v10, 2, v62
	v_and_b32_e32 v61, 63, v0
	v_mov_b32_e32 v9, 0
	v_readfirstlane_b32 s29, v1
	s_mul_i32 s28, s28, s29
	s_mul_hi_u32 s28, s29, s28
	s_add_i32 s29, s29, s28
	s_mul_hi_u32 s28, s27, s29
	s_mul_i32 s29, s28, s30
	s_sub_i32 s27, s27, s29
	s_add_i32 s31, s28, 1
	s_sub_i32 s29, s27, s30
	s_cmp_ge_u32 s27, s30
	s_cselect_b32 s28, s31, s28
	s_cselect_b32 s27, s29, s27
	s_add_i32 s29, s28, 1
	s_cmp_ge_u32 s27, s30
	s_cselect_b32 s27, s29, s28
	s_xor_b32 s27, s27, s26
	s_sub_i32 s34, s27, s26
	s_mul_i32 s26, s34, s21
	s_ashr_i32 s35, s34, 31
	s_sub_i32 s48, s3, s26
	s_lshl_b64 s[26:27], s[34:35], 2
	s_add_u32 s10, s10, s26
	s_addc_u32 s11, s11, s27
	s_add_u32 s28, s24, s26
	s_addc_u32 s29, s25, s27
	s_abs_i32 s3, s22
	v_cvt_f32_u32_e32 v1, s3
	s_load_dwordx2 s[42:43], s[10:11], 0x0
	s_sub_i32 s11, 0, s3
	s_mov_b32 s49, s21
	v_rcp_iflag_f32_e32 v1, v1
	v_and_b32_e32 v63, 15, v0
	s_waitcnt lgkmcnt(0)
	s_sub_i32 s54, s43, s42
	s_ashr_i32 s10, s54, 31
	v_mul_f32_e32 v1, 0x4f7ffffe, v1
	v_cvt_u32_f32_e32 v1, v1
	s_lshr_b32 s10, s10, 26
	s_add_i32 s10, s54, s10
	s_ashr_i32 s53, s10, 6
	v_readfirstlane_b32 s24, v1
	s_mul_i32 s11, s11, s24
	s_mul_hi_u32 s11, s24, s11
	s_add_i32 s24, s24, s11
	s_mul_hi_u32 s11, s30, s24
	s_mul_i32 s24, s11, s3
	s_ashr_i32 s10, s22, 31
	s_sub_i32 s24, s30, s24
	s_xor_b32 s10, s33, s10
	s_add_i32 s25, s11, 1
	s_sub_i32 s26, s24, s3
	s_cmp_ge_u32 s24, s3
	s_cselect_b32 s11, s25, s11
	s_cselect_b32 s24, s26, s24
	s_add_i32 s25, s11, 1
	s_cmp_ge_u32 s24, s3
	s_cselect_b32 s3, s25, s11
	s_xor_b32 s3, s3, s10
	s_sub_i32 s3, s3, s10
	s_abs_i32 s30, s3
	v_cvt_f32_u32_e32 v1, s30
	s_load_dwordx2 s[10:11], s[0:1], 0x80
	s_load_dwordx4 s[24:27], s[0:1], 0x70
	s_load_dword s55, s[28:29], 0x0
	s_xor_b32 s0, s48, s3
	v_rcp_iflag_f32_e32 v1, v1
	s_sub_i32 s3, 0, s30
	s_abs_i32 s1, s48
	s_ashr_i32 s0, s0, 31
	v_mul_f32_e32 v1, 0x4f7ffffe, v1
	v_cvt_u32_f32_e32 v1, v1
	s_mul_hi_i32 s56, s48, s20
	s_mul_i32 s57, s48, s20
	v_lshrrev_b32_e32 v65, 3, v61
	v_readfirstlane_b32 s28, v1
	s_mul_i32 s3, s3, s28
	s_mul_hi_u32 s3, s28, s3
	s_add_i32 s28, s28, s3
	s_mul_hi_u32 s3, s1, s28
	s_mul_i32 s28, s3, s30
	s_sub_i32 s1, s1, s28
	s_add_i32 s28, s3, 1
	s_sub_i32 s29, s1, s30
	s_cmp_ge_u32 s1, s30
	s_cselect_b32 s3, s28, s3
	s_cselect_b32 s1, s29, s1
	s_add_i32 s28, s3, 1
	s_cmp_ge_u32 s1, s30
	s_cselect_b32 s1, s28, s3
	s_xor_b32 s1, s1, s0
	s_sub_i32 s58, s1, s0
	v_or_b32_e32 v1, v10, v60
	s_lshl_b32 s2, s2, 4
	v_or_b32_e32 v66, 64, v1
	s_cmp_lt_i32 s54, 64
	v_lshlrev_b32_e32 v64, 3, v0
	s_waitcnt lgkmcnt(0)
	s_mul_i32 s50, s34, s25
	s_mul_hi_u32 s51, s34, s24
	s_mul_i32 s52, s35, s24
	s_mul_i32 s44, s34, s24
	v_mov_b32_e32 v8, v9
	v_mov_b32_e32 v7, v9
	;; [unrolled: 1-line block ×7, first 2 shown]
	s_cbranch_scc1 .LBB725_18
; %bb.1:
	s_ashr_i32 s60, s48, 31
	s_ashr_i32 s1, s42, 31
	s_add_u32 s0, s57, s42
	s_addc_u32 s1, s56, s1
	s_lshl_b64 s[0:1], s[0:1], 8
	v_and_b32_e32 v68, 56, v64
	s_add_u32 s28, s14, s0
	v_lshl_or_b32 v67, v53, 3, v65
	v_lshlrev_b32_e32 v3, 1, v68
	s_addc_u32 s0, s15, s1
	v_lshl_or_b32 v69, v67, 8, v3
	s_and_b32 s29, s0, 0xffff
	s_mov_b32 s31, 0x20000
	s_movk_i32 s30, 0x4000
	s_movk_i32 s0, 0x80
	v_or_b32_e32 v70, 0x2000, v69
	buffer_load_dwordx4 v[4:7], v69, s[28:31], 0 offen
	buffer_load_dwordx4 v[12:15], v69, s[28:31], s0 offen
	;; [unrolled: 1-line block ×4, first 2 shown]
	v_lshlrev_b32_e32 v2, 3, v67
	v_and_or_b32 v9, v0, 7, v2
	v_and_b32_e32 v2, 0x78, v2
	v_lshlrev_b32_e32 v9, 4, v9
	v_xor_b32_e32 v71, v9, v2
	v_mul_lo_u32 v8, v67, s23
	v_or_b32_e32 v72, 0x1000, v71
	v_xor_b32_e32 v2, 8, v71
	s_cmpk_eq_i32 s23, 0x80
	s_mov_b32 s59, s42
	v_xor_b32_e32 v9, 8, v72
	s_cselect_b64 s[0:1], -1, 0
	s_cmpk_lg_i32 s23, 0x80
	s_waitcnt vmcnt(3)
	ds_write_b64 v71, v[4:5] offset:16384
	ds_write_b64 v2, v[6:7] offset:16384
	s_waitcnt vmcnt(2)
	ds_write_b64 v71, v[12:13] offset:24576
	ds_write_b64 v2, v[14:15] offset:24576
	;; [unrolled: 3-line block ×4, first 2 shown]
	v_lshl_add_u32 v2, v8, 1, v68
	s_cbranch_scc0 .LBB725_3
; %bb.2:
	v_lshlrev_b32_e32 v6, 1, v2
	v_add_lshl_u32 v5, v2, s23, 1
	s_lshl_b32 s30, s23, 7
	v_lshl_or_b32 v4, v67, 9, v3
	s_cbranch_execz .LBB725_4
	s_branch .LBB725_5
.LBB725_3:
                                        ; implicit-def: $vgpr5
                                        ; implicit-def: $vgpr6
                                        ; implicit-def: $sgpr30
	v_lshl_or_b32 v4, v67, 9, v3
.LBB725_4:
	v_or_b32_e32 v5, 0x100, v4
	s_movk_i32 s30, 0x4000
	v_mov_b32_e32 v6, v4
.LBB725_5:
	s_mul_i32 s24, s42, s22
	s_ashr_i32 s61, s58, 31
	s_mul_hi_i32 s3, s42, s22
	s_add_u32 s24, s24, s58
	s_addc_u32 s25, s3, s61
	s_lshl_b64 s[24:25], s[24:25], 8
	s_add_u32 s28, s12, s24
	s_addc_u32 s3, s13, s25
	s_and_b32 s29, s3, 0xffff
	s_movk_i32 s62, 0x80
	buffer_load_dwordx4 v[12:15], v6, s[28:31], 0 offen
	s_nop 0
	buffer_load_dwordx4 v[6:9], v6, s[28:31], s62 offen
	s_nop 0
	buffer_load_dwordx4 v[16:19], v5, s[28:31], 0 offen
	buffer_load_dwordx4 v[20:23], v5, s[28:31], s62 offen
	v_and_b32_e32 v3, 6, v0
	v_lshlrev_b32_e32 v11, 2, v63
	v_lshlrev_b32_e32 v24, 3, v63
	v_xor_b32_e32 v26, v67, v3
	v_and_b32_e32 v5, 1, v0
	v_lshl_or_b32 v24, v1, 5, v24
	v_xor_b32_e32 v27, v1, v11
	v_lshlrev_b32_e32 v26, 2, v26
	s_mul_i32 s3, s48, s27
	s_mul_hi_u32 s25, s48, s26
	v_or_b32_e32 v73, 0x9000, v24
	v_or_b32_e32 v74, 0x9800, v24
	v_lshlrev_b32_e32 v24, 1, v27
	v_xor_b32_e32 v27, 0x440, v26
	v_cmp_eq_u32_e32 vcc, 0, v5
	s_add_i32 s29, s51, s50
	s_mul_i32 s28, s60, s26
	v_cndmask_b32_e32 v5, v27, v26, vcc
	s_add_i32 s3, s25, s3
	s_add_i32 s45, s29, s52
	s_mov_b32 s63, 0x1000504
	v_lshlrev_b32_e32 v25, 8, v63
	s_mov_b32 s30, 0x8000
	v_xor_b32_e32 v11, v66, v11
	v_lshl_or_b32 v3, v3, 10, v5
	s_add_i32 s25, s3, s28
	s_lshl_b64 s[28:29], s[44:45], 2
	s_mov_b32 s64, 0x3020706
	s_mul_i32 s24, s48, s26
	v_lshlrev_b32_e32 v11, 1, v11
	v_or3_b32 v75, v24, v25, s30
	v_xor_b32_e32 v5, 8, v3
	v_xor_b32_e32 v24, 24, v3
	;; [unrolled: 1-line block ×4, first 2 shown]
	s_add_u32 s3, s18, s28
	v_or3_b32 v76, v11, v25, s30
	v_xor_b32_e32 v11, 16, v3
	v_xor_b32_e32 v25, 32, v3
	;; [unrolled: 1-line block ×3, first 2 shown]
	v_add_u32_e32 v5, 0x80, v5
	v_add_u32_e32 v24, 0x80, v24
	;; [unrolled: 1-line block ×4, first 2 shown]
	s_addc_u32 s28, s19, s29
	s_lshl_b64 s[24:25], s[24:25], 2
	s_add_u32 s24, s3, s24
	s_movk_i32 s3, 0xf8
	s_addc_u32 s25, s28, s25
	s_lshl_b32 s38, s23, 7
	s_mov_b32 s65, 0
	v_add_u32_e32 v87, v60, v10
	v_mov_b32_e32 v98, 0x3fb8aa3b
	s_waitcnt vmcnt(1)
	v_perm_b32 v29, v12, v16, s63
	s_waitcnt vmcnt(0)
	v_perm_b32 v30, v6, v20, s63
	v_perm_b32 v12, v12, v16, s64
	;; [unrolled: 1-line block ×15, first 2 shown]
	ds_write2st64_b32 v3, v29, v30 offset1:32
	ds_write2st64_b32 v5, v12, v6 offset1:32
	ds_write2st64_b32 v11, v16, v20 offset0:1 offset1:33
	ds_write2st64_b32 v24, v13, v7 offset0:1 offset1:33
	;; [unrolled: 1-line block ×6, first 2 shown]
	v_or_b32_e32 v3, v60, v63
	v_lshlrev_b32_e32 v3, 3, v3
	v_lshrrev_b32_e32 v7, 5, v61
	v_and_or_b32 v7, v3, s3, v7
	v_lshlrev_b32_e32 v7, 4, v7
	v_lshlrev_b32_e32 v11, 11, v53
	v_and_b32_e32 v3, 0x78, v3
	v_or_b32_e32 v12, 32, v7
	v_and_b32_e32 v6, 0x1000, v11
	v_lshrrev_b32_e32 v9, 1, v61
	v_xor_b32_e32 v12, v12, v3
	v_and_b32_e32 v9, 8, v9
	v_or_b32_e32 v12, v12, v6
	v_xor_b32_e32 v8, v7, v3
	v_xor_b32_e32 v79, v12, v9
	v_or_b32_e32 v12, 64, v7
	v_or_b32_e32 v7, 0x60, v7
	v_xor_b32_e32 v12, v12, v3
	v_xor_b32_e32 v3, v7, v3
	v_or_b32_e32 v3, v3, v6
	v_or_b32_e32 v12, v12, v6
	v_xor_b32_e32 v81, v3, v9
	v_lshlrev_b32_e32 v15, 1, v2
	v_add_lshl_u32 v16, v2, s23, 1
	v_lshrrev_b32_e32 v2, 4, v0
	v_lshlrev_b32_e32 v3, 1, v63
	v_xor_b32_e32 v80, v12, v9
	s_ashr_i32 s3, s2, 31
	v_or_b32_e32 v12, 1, v3
	v_xor_b32_e32 v3, v2, v3
	s_lshl_b64 s[28:29], s[2:3], 8
	v_xor_b32_e32 v12, v12, v2
	v_lshlrev_b32_e32 v3, 3, v3
	v_lshlrev_b32_e32 v2, 8, v2
	s_add_u32 s28, s4, s28
	v_or3_b32 v83, v3, v2, s30
	v_lshlrev_b32_e32 v3, 3, v12
	s_addc_u32 s29, s5, s29
	v_or3_b32 v84, v3, v2, s30
	v_mov_b32_e32 v3, 0
	v_lshrrev_b32_e32 v20, 1, v0
	v_lshl_add_u64 v[12:13], s[28:29], 0, v[2:3]
	v_lshlrev_b32_e32 v2, 4, v63
	s_movk_i32 s3, 0xff
	v_lshlrev_b32_e32 v19, 3, v53
	v_and_b32_e32 v20, 24, v20
	v_lshl_add_u64 v[54:55], v[12:13], 0, v[2:3]
	v_and_b32_e32 v2, 7, v0
	v_and_b32_e32 v13, 8, v0
	v_cmp_lt_u32_e32 vcc, s3, v0
	v_xor_b32_e32 v21, v19, v20
	v_lshlrev_b32_e32 v14, 3, v2
	v_lshlrev_b32_e32 v18, 7, v2
	v_cndmask_b32_e64 v2, 0, 1, vcc
	v_or_b32_e32 v22, 0x440, v21
	v_cmp_eq_u32_e32 vcc, 0, v13
	v_or_b32_e32 v24, 64, v20
	v_xor_b32_e32 v24, v19, v24
	v_cndmask_b32_e32 v13, v22, v21, vcc
	v_or_b32_e32 v22, 32, v20
	v_or_b32_e32 v20, 0x60, v20
	v_xor_b32_e32 v22, v19, v22
	v_xor_b32_e32 v19, v19, v20
	v_or_b32_e32 v23, 0x440, v22
	v_xor_b32_e32 v25, 0x440, v24
	v_xor_b32_e32 v20, 0x440, v19
	v_or_b32_e32 v8, v8, v6
	v_or_b32_e32 v6, s2, v63
	v_cndmask_b32_e32 v22, v23, v22, vcc
	v_cndmask_b32_e32 v24, v25, v24, vcc
	;; [unrolled: 1-line block ×3, first 2 shown]
	v_lshrrev_b32_e32 v5, 2, v61
	v_xor_b32_e32 v77, v8, v9
	v_and_b32_e32 v8, 0x78, v64
	v_ashrrev_i32_e32 v7, 31, v6
	v_or_b32_e32 v13, v13, v11
	v_or_b32_e32 v22, v22, v11
	;; [unrolled: 1-line block ×4, first 2 shown]
	v_and_b32_e32 v5, 12, v5
	v_lshl_or_b32 v8, v62, 7, v8
	v_lshlrev_b64 v[6:7], 1, v[6:7]
	v_lshlrev_b32_e32 v2, 13, v2
	v_xor_b32_e32 v13, v13, v14
	v_xor_b32_e32 v22, v22, v14
	;; [unrolled: 1-line block ×4, first 2 shown]
	v_or_b32_e32 v78, 0x9000, v8
	v_or_b32_e32 v82, 0x9800, v8
	v_lshl_add_u64 v[8:9], s[16:17], 0, v[6:7]
	v_lshl_add_u64 v[6:7], s[6:7], 0, v[6:7]
	v_or_b32_e32 v17, 0x100, v4
	v_or_b32_e32 v12, v5, v60
	v_add_u32_e32 v21, v2, v13
	v_add_u32_e32 v23, v2, v22
	;; [unrolled: 1-line block ×4, first 2 shown]
	v_or3_b32 v14, v60, v5, 64
	v_add_u32_e32 v5, 0x2000, v13
	v_add_u32_e32 v13, 0x2000, v22
	v_add_u32_e32 v20, 0x2000, v24
	v_add_u32_e32 v11, 0x2000, v11
	v_lshlrev_b32_e32 v2, 8, v1
	v_cndmask_b32_e64 v85, v15, v4, s[0:1]
	v_cndmask_b32_e64 v86, v16, v17, s[0:1]
	v_lshl_add_u64 v[56:57], v[8:9], 0, v[2:3]
	v_lshl_add_u64 v[58:59], v[6:7], 0, v[2:3]
	s_mov_b32 s3, 0x7060302
	s_movk_i32 s30, 0x4000
	v_lshlrev_b32_e32 v88, 2, v12
	v_add_u32_e32 v89, v21, v18
	v_add_u32_e32 v90, v23, v18
	;; [unrolled: 1-line block ×4, first 2 shown]
	v_lshlrev_b32_e32 v93, 2, v14
	v_add_u32_e32 v94, v5, v18
	v_add_u32_e32 v95, v13, v18
	v_add_u32_e32 v96, v20, v18
	v_add_u32_e32 v97, v11, v18
	v_mov_b32_e32 v2, v3
	v_mov_b32_e32 v4, v3
	;; [unrolled: 1-line block ×7, first 2 shown]
	s_waitcnt lgkmcnt(0)
	s_barrier
.LBB725_6:                              ; =>This Inner Loop Header: Depth=1
	s_add_i32 s45, s65, 1
	s_cmp_lt_i32 s45, s53
	s_mov_b64 s[36:37], 0
	s_cselect_b64 s[46:47], -1, 0
	s_cmp_ge_i32 s45, s53
	s_mov_b64 s[28:29], 0
	s_cbranch_scc1 .LBB725_8
; %bb.7:                                ;   in Loop: Header=BB725_6 Depth=1
	s_add_i32 s0, s59, 64
	s_ashr_i32 s1, s0, 31
	s_add_u32 s0, s57, s0
	s_addc_u32 s1, s56, s1
	s_lshl_b64 s[0:1], s[0:1], 8
	s_add_u32 s28, s14, s0
	s_addc_u32 s29, s15, s1
.LBB725_8:                              ;   in Loop: Header=BB725_6 Depth=1
	v_cndmask_b32_e64 v10, 0, 1, s[46:47]
	v_cmp_ne_u32_e64 s[0:1], 1, v10
	s_andn2_b64 vcc, exec, s[46:47]
	s_cbranch_vccnz .LBB725_10
; %bb.9:                                ;   in Loop: Header=BB725_6 Depth=1
	s_add_i32 s36, s59, 64
	s_mul_hi_i32 s37, s36, s22
	s_mul_i32 s36, s36, s22
	s_add_u32 s36, s36, s58
	s_addc_u32 s37, s37, s61
	s_lshl_b64 s[36:37], s[36:37], 8
	s_add_u32 s36, s12, s36
	s_addc_u32 s37, s13, s37
.LBB725_10:                             ;   in Loop: Header=BB725_6 Depth=1
	v_perm_b32 v11, v5, v4, s3
	v_perm_b32 v10, v3, v2, s3
	v_perm_b32 v13, v9, v8, s3
	v_perm_b32 v12, v7, v6, s3
	ds_write_b64 v73, v[10:11]
	ds_write_b64 v74, v[12:13]
	;; [unrolled: 1-line block ×4, first 2 shown]
	s_waitcnt lgkmcnt(0)
	s_barrier
	ds_read_b64 v[18:19], v77 offset:16384
	ds_read_b64 v[20:21], v79 offset:16384
	ds_read2st64_b64 v[10:13], v78 offset1:1
	s_waitcnt lgkmcnt(0)
	v_mfma_f32_16x16x16_bf16 a[0:3], v[18:19], v[10:11], 0
	ds_read2st64_b64 v[14:17], v78 offset0:2 offset1:3
	ds_read_b64 v[22:23], v80 offset:16384
	ds_read_b64 v[10:11], v81 offset:16384
	s_add_i32 s66, s59, 63
	v_mfma_f32_16x16x16_bf16 a[0:3], v[20:21], v[12:13], a[0:3]
	s_ashr_i32 s39, s66, 31
	s_mul_i32 s46, s66, s11
	s_mul_hi_u32 s47, s66, s10
	s_waitcnt lgkmcnt(1)
	v_mfma_f32_16x16x16_bf16 a[0:3], v[22:23], v[14:15], a[0:3]
	s_add_i32 s46, s47, s46
	s_mul_i32 s39, s39, s10
	s_add_i32 s47, s46, s39
	s_mul_i32 s46, s66, s10
	s_waitcnt lgkmcnt(0)
	v_mfma_f32_16x16x16_bf16 a[0:3], v[10:11], v[16:17], a[0:3]
	s_lshl_b64 s[46:47], s[46:47], 2
	s_add_u32 s46, s24, s46
	s_addc_u32 s47, s25, s47
	s_and_b64 vcc, exec, s[0:1]
	v_mov_b32_e32 v101, 0
	v_mov_b32_e32 v100, 0
	;; [unrolled: 1-line block ×19, first 2 shown]
	s_cbranch_vccnz .LBB725_12
; %bb.11:                               ;   in Loop: Header=BB725_6 Depth=1
	s_and_b32 s29, s29, 0xffff
	buffer_load_dwordx4 v[22:25], v69, s[28:31], 0 offen
	buffer_load_dwordx4 v[18:21], v69, s[28:31], s62 offen
	;; [unrolled: 1-line block ×4, first 2 shown]
	v_mov_b32_e32 v100, v71
	v_mov_b32_e32 v99, v72
.LBB725_12:                             ;   in Loop: Header=BB725_6 Depth=1
	v_add_u32_e32 v30, s59, v87
	v_ashrrev_i32_e32 v26, 31, v30
	v_mul_lo_u32 v28, v26, s10
	v_mul_lo_u32 v29, v30, s11
	v_mad_u64_u32 v[26:27], s[28:29], v30, s10, 0
	v_add3_u32 v27, v27, v29, v28
	v_lshl_add_u64 v[26:27], v[26:27], 2, s[24:25]
	global_load_dword v42, v[26:27], off
	v_add_u32_e32 v26, 1, v30
	v_ashrrev_i32_e32 v27, 31, v26
	v_mul_lo_u32 v28, v27, s10
	v_mul_lo_u32 v29, v26, s11
	v_mad_u64_u32 v[26:27], s[28:29], v26, s10, 0
	v_add3_u32 v27, v27, v29, v28
	v_add_u32_e32 v28, 2, v30
	v_ashrrev_i32_e32 v29, 31, v28
	v_mul_lo_u32 v31, v29, s10
	v_mul_lo_u32 v32, v28, s11
	v_mad_u64_u32 v[28:29], s[28:29], v28, s10, 0
	v_add_u32_e32 v30, 3, v30
	v_add3_u32 v29, v29, v32, v31
	v_ashrrev_i32_e32 v31, 31, v30
	v_mul_lo_u32 v34, v31, s10
	v_mul_lo_u32 v35, v30, s11
	v_mad_u64_u32 v[30:31], s[28:29], v30, s10, 0
	s_ashr_i32 s29, s59, 31
	s_add_u32 s28, s57, s59
	s_addc_u32 s29, s56, s29
	s_lshl_b64 s[68:69], s[28:29], 8
	v_lshl_add_u64 v[26:27], v[26:27], 2, s[24:25]
	v_lshl_add_u64 v[32:33], v[56:57], 0, s[68:69]
	v_add3_u32 v31, v31, v35, v34
	v_lshl_add_u64 v[28:29], v[28:29], 2, s[24:25]
	global_load_ushort v43, v[32:33], off
	global_load_ushort v44, v[32:33], off offset:256
	global_load_ushort v45, v[32:33], off offset:512
	;; [unrolled: 1-line block ×3, first 2 shown]
	v_lshl_add_u64 v[30:31], v[30:31], 2, s[24:25]
	global_load_dword v47, v[26:27], off
	global_load_dword v48, v[28:29], off
	;; [unrolled: 1-line block ×3, first 2 shown]
	ds_read_b64 v[30:31], v77 offset:24576
	ds_read_b64 v[36:37], v79 offset:24576
	ds_read2st64_b64 v[26:29], v82 offset1:1
	s_waitcnt lgkmcnt(0)
	v_mfma_f32_16x16x16_bf16 a[0:3], v[30:31], v[26:27], a[0:3]
	s_load_dword s28, s[46:47], 0x0
	ds_read2st64_b64 v[32:35], v82 offset0:2 offset1:3
	ds_read_b64 v[38:39], v80 offset:24576
	ds_read_b64 v[40:41], v81 offset:24576
	v_mov_b32_e32 v102, 0
	v_mfma_f32_16x16x16_bf16 a[0:3], v[36:37], v[28:29], a[0:3]
	v_mov_b32_e32 v26, 0
	v_mov_b32_e32 v27, 0
	;; [unrolled: 1-line block ×3, first 2 shown]
	s_waitcnt lgkmcnt(0)
	v_mfma_f32_16x16x16_bf16 a[0:3], v[38:39], v[32:33], a[0:3]
	v_lshl_add_u64 v[32:33], v[58:59], 0, s[68:69]
	v_mov_b32_e32 v29, 0
	v_mov_b32_e32 v30, 0
	v_mfma_f32_16x16x16_bf16 a[0:3], v[40:41], v[34:35], a[0:3]
	v_mov_b32_e32 v31, 0
	s_and_b64 vcc, exec, s[0:1]
	s_waitcnt vmcnt(7)
	v_sub_f32_e32 v42, s28, v42
	s_nop 2
	v_accvgpr_read_b32 v37, a1
	v_accvgpr_read_b32 v35, a3
	;; [unrolled: 1-line block ×4, first 2 shown]
	v_mul_f32_e32 v42, 0x3fb8aa3b, v42
	s_waitcnt vmcnt(6)
	v_lshlrev_b32_e32 v38, 16, v43
	s_waitcnt vmcnt(5)
	v_lshlrev_b32_e32 v39, 16, v44
	;; [unrolled: 2-line block ×4, first 2 shown]
	s_waitcnt vmcnt(2)
	v_sub_f32_e32 v43, s28, v47
	s_waitcnt vmcnt(1)
	v_sub_f32_e32 v44, s28, v48
	;; [unrolled: 2-line block ×3, first 2 shown]
	v_pk_add_f32 v[36:37], v[38:39], v[36:37] neg_lo:[0,1] neg_hi:[0,1]
	v_pk_add_f32 v[34:35], v[40:41], v[34:35] neg_lo:[0,1] neg_hi:[0,1]
	v_mul_f32_e32 v39, 0x3fb8aa3b, v43
	v_mul_f32_e32 v40, 0x3fb8aa3b, v44
	;; [unrolled: 1-line block ×3, first 2 shown]
	v_exp_f32_e32 v38, v42
	v_exp_f32_e32 v39, v39
	;; [unrolled: 1-line block ×4, first 2 shown]
	global_store_short_d16_hi v[32:33], v36, off
	global_store_short_d16_hi v[32:33], v37, off offset:256
	global_store_short_d16_hi v[32:33], v34, off offset:512
	global_store_short_d16_hi v[32:33], v35, off offset:768
	v_pk_mul_f32 v[32:33], v[38:39], v[36:37]
	v_pk_mul_f32 v[34:35], v[40:41], v[34:35]
	v_perm_b32 v32, v33, v32, s3
	v_perm_b32 v33, v35, v34, s3
	ds_write_b64 v74, v[32:33]
	v_mov_b32_e32 v32, 0
	v_mov_b32_e32 v33, 0
	;; [unrolled: 1-line block ×10, first 2 shown]
	s_cbranch_vccnz .LBB725_14
; %bb.13:                               ;   in Loop: Header=BB725_6 Depth=1
	s_and_b32 s37, s37, 0xffff
	s_mov_b32 s39, s31
	buffer_load_dwordx4 v[38:41], v85, s[36:39], 0 offen
	buffer_load_dwordx4 v[30:33], v85, s[36:39], s62 offen
	;; [unrolled: 1-line block ×4, first 2 shown]
	v_mov_b32_e32 v101, v68
	v_mov_b32_e32 v102, v67
.LBB725_14:                             ;   in Loop: Header=BB725_6 Depth=1
	s_waitcnt lgkmcnt(0)
	s_barrier
	ds_read_b64 v[42:43], v89
	ds_read_b64 v[48:49], v90
	ds_read2st64_b64 v[44:47], v82 offset1:1
	ds_read2st64_b64 v[104:107], v82 offset0:2 offset1:3
	ds_read_b64 v[50:51], v91
	ds_read_b64 v[112:113], v92
	s_add_i32 s29, s55, s65
	s_mul_hi_i32 s37, s29, s49
	s_mul_i32 s29, s29, s49
	s_waitcnt lgkmcnt(3)
	v_mfma_f32_16x16x16_bf16 a[0:3], v[42:43], v[44:45], 0
	ds_read_b64 v[42:43], v94
	s_add_u32 s36, s29, s48
	s_addc_u32 s37, s37, s60
	v_mfma_f32_16x16x16_bf16 a[0:3], v[48:49], v[46:47], a[0:3]
	ds_read_b64 v[48:49], v95
	s_lshl_b64 s[36:37], s[36:37], 15
	s_mul_i32 s39, s66, s49
	s_mul_hi_i32 s29, s66, s49
	s_add_u32 s46, s39, s48
	s_addc_u32 s47, s29, s60
	s_lshl_b64 s[46:47], s[46:47], 9
	s_add_u32 s46, s40, s46
	s_waitcnt lgkmcnt(1)
	v_mfma_f32_16x16x16_bf16 a[4:7], v[42:43], v[44:45], 0
	s_addc_u32 s47, s41, s47
	s_and_b64 vcc, exec, s[0:1]
	v_mfma_f32_16x16x16_bf16 a[0:3], v[50:51], v[104:105], a[0:3]
	ds_read_b64 v[50:51], v96
	ds_read_b64 v[114:115], v97
	global_load_dwordx4 v[42:45], v93, s[46:47]
	s_waitcnt lgkmcnt(2)
	v_mfma_f32_16x16x16_bf16 a[4:7], v[48:49], v[46:47], a[4:7]
	global_load_dwordx4 v[46:49], v88, s[46:47]
	ds_read_b64 v[108:109], v83
	ds_read_b64 v[110:111], v84
	s_waitcnt lgkmcnt(3)
	v_mfma_f32_16x16x16_bf16 a[8:11], v[50:51], v[104:105], a[4:7]
	v_lshl_add_u64 v[50:51], v[54:55], 0, s[36:37]
	s_waitcnt lgkmcnt(0)
	global_store_dwordx4 v[50:51], v[108:111], off
	v_mfma_f32_16x16x16_bf16 a[4:7], v[112:113], v[106:107], a[0:3]
	s_waitcnt vmcnt(2)
	v_mov_b32_e32 v52, v45
	v_mfma_f32_16x16x16_bf16 a[0:3], v[114:115], v[106:107], a[8:11]
	v_mov_b32_e32 v51, v44
	v_mov_b32_e32 v50, v43
	s_cbranch_vccnz .LBB725_16
; %bb.15:                               ;   in Loop: Header=BB725_6 Depth=1
	v_lshrrev_b32_e32 v43, 3, v101
	v_and_b32_e32 v43, 6, v43
	v_xor_b32_e32 v44, v43, v102
	v_lshlrev_b32_e32 v44, 2, v44
	v_and_b32_e32 v45, 8, v101
	v_xor_b32_e32 v101, 0x440, v44
	v_cmp_eq_u32_e32 vcc, 0, v45
	v_perm_b32 v45, v30, v26, s63
	s_nop 0
	v_cndmask_b32_e32 v44, v101, v44, vcc
	v_lshl_or_b32 v43, v43, 10, v44
	v_perm_b32 v44, v38, v34, s63
	s_barrier
	ds_write2st64_b32 v43, v44, v45 offset1:32
	v_xor_b32_e32 v44, 8, v43
	v_perm_b32 v34, v38, v34, s64
	v_perm_b32 v26, v30, v26, s64
	v_add_u32_e32 v30, 0x80, v44
	ds_write2st64_b32 v30, v34, v26 offset1:32
	v_xor_b32_e32 v26, 16, v43
	v_perm_b32 v30, v39, v35, s63
	v_perm_b32 v34, v31, v27, s63
	ds_write2st64_b32 v26, v30, v34 offset0:1 offset1:33
	v_xor_b32_e32 v26, 24, v43
	v_perm_b32 v30, v39, v35, s64
	v_perm_b32 v27, v31, v27, s64
	v_add_u32_e32 v26, 0x80, v26
	ds_write2st64_b32 v26, v30, v27 offset0:1 offset1:33
	v_xor_b32_e32 v26, 32, v43
	v_perm_b32 v27, v40, v36, s63
	v_perm_b32 v30, v32, v28, s63
	ds_write2st64_b32 v26, v27, v30 offset0:2 offset1:34
	v_xor_b32_e32 v26, 40, v43
	v_perm_b32 v27, v40, v36, s64
	v_perm_b32 v28, v32, v28, s64
	v_add_u32_e32 v26, 0x80, v26
	ds_write2st64_b32 v26, v27, v28 offset0:2 offset1:34
	;; [unrolled: 9-line block ×3, first 2 shown]
	ds_write_b64 v100, v[22:23] offset:16384
	v_xor_b32_e32 v22, 8, v100
	ds_write_b64 v22, v[24:25] offset:16384
	ds_write_b64 v100, v[18:19] offset:24576
	;; [unrolled: 1-line block ×4, first 2 shown]
	v_xor_b32_e32 v14, 8, v99
	ds_write_b64 v14, v[16:17] offset:16384
	ds_write_b64 v99, v[10:11] offset:24576
	ds_write_b64 v14, v[12:13] offset:24576
.LBB725_16:                             ;   in Loop: Header=BB725_6 Depth=1
	v_mul_f32_e32 v14, s28, v98
	v_exp_f32_e32 v18, v14
	s_waitcnt vmcnt(1)
	v_mul_f32_e32 v14, 0x3fb8aa3b, v46
	v_exp_f32_e32 v20, v14
	v_mul_f32_e32 v14, 0x3fb8aa3b, v47
	v_exp_f32_e32 v21, v14
	;; [unrolled: 2-line block ×4, first 2 shown]
	v_accvgpr_read_b32 v13, a7
	v_accvgpr_read_b32 v11, a5
	;; [unrolled: 1-line block ×3, first 2 shown]
	v_pk_mul_f32 v[20:21], v[18:19], v[20:21] op_sel_hi:[0,1]
	v_pk_fma_f32 v[2:3], v[2:3], v[20:21], v[10:11]
	v_pk_mul_f32 v[10:11], v[18:19], v[22:23] op_sel_hi:[0,1]
	v_mul_f32_e32 v19, 0x3fb8aa3b, v42
	v_exp_f32_e32 v20, v19
	v_mul_f32_e32 v19, 0x3fb8aa3b, v50
	v_exp_f32_e32 v21, v19
	;; [unrolled: 2-line block ×4, first 2 shown]
	v_accvgpr_read_b32 v12, a6
	v_accvgpr_read_b32 v17, a3
	;; [unrolled: 1-line block ×4, first 2 shown]
	v_pk_fma_f32 v[4:5], v[4:5], v[10:11], v[12:13]
	v_pk_mul_f32 v[10:11], v[18:19], v[20:21] op_sel_hi:[0,1]
	v_accvgpr_read_b32 v16, a2
	v_pk_fma_f32 v[6:7], v[6:7], v[10:11], v[14:15]
	v_pk_mul_f32 v[10:11], v[18:19], v[22:23] op_sel_hi:[0,1]
	s_add_i32 s59, s59, 64
	s_cmp_eq_u32 s53, s45
	v_pk_fma_f32 v[8:9], v[8:9], v[10:11], v[16:17]
	s_cbranch_scc1 .LBB725_18
; %bb.17:                               ;   in Loop: Header=BB725_6 Depth=1
	s_mov_b32 s65, s45
	s_branch .LBB725_6
.LBB725_18:
	s_lshl_b32 s3, s53, 6
	s_sub_i32 s54, s54, s3
	s_cmp_gt_i32 s54, 0
	v_or_b32_e32 v34, s2, v63
	s_cbranch_scc1 .LBB725_20
; %bb.19:
	s_ashr_i32 s25, s48, 31
	v_or_b32_e32 v10, s2, v63
	s_cbranch_execz .LBB725_21
	s_branch .LBB725_77
.LBB725_20:
                                        ; implicit-def: $vgpr10
                                        ; implicit-def: $sgpr24_sgpr25
.LBB725_21:
	s_add_i32 s24, s3, s42
	s_ashr_i32 s3, s24, 31
	s_cmpk_lg_i32 s23, 0x80
	s_cselect_b64 s[38:39], -1, 0
	s_and_b64 vcc, exec, s[38:39]
	s_cbranch_vccz .LBB725_23
; %bb.22:
	s_mul_hi_i32 s0, s24, s22
	s_mul_i32 s1, s24, s22
	s_ashr_i32 s22, s58, 31
	s_add_u32 s46, s1, s58
	s_addc_u32 s47, s0, s22
	s_cbranch_execz .LBB725_24
	s_branch .LBB725_25
.LBB725_23:
                                        ; implicit-def: $sgpr46_sgpr47
.LBB725_24:
	s_mul_i32 s1, s58, s20
	s_mul_hi_i32 s0, s58, s20
	s_add_u32 s46, s1, s24
	s_addc_u32 s47, s0, s3
.LBB725_25:
	s_add_i32 s20, s53, s55
	s_ashr_i32 s25, s48, 31
	s_add_u32 s0, s57, s24
	s_addc_u32 s1, s56, s3
	s_mov_b32 s3, 0x7060302
	v_lshlrev_b32_e32 v14, 3, v63
	s_lshl_b64 s[36:37], s[0:1], 8
	v_perm_b32 v11, v5, v4, s3
	v_perm_b32 v10, v3, v2, s3
	;; [unrolled: 1-line block ×4, first 2 shown]
	v_lshlrev_b32_e32 v44, 2, v63
	v_lshl_or_b32 v14, v1, 5, v14
	s_add_u32 s0, s14, s36
	ds_write2st64_b64 v14, v[10:11], v[12:13] offset0:72 offset1:76
	v_xor_b32_e32 v14, v1, v44
	v_lshlrev_b32_e32 v15, 8, v63
	s_addc_u32 s1, s15, s37
	v_lshl_or_b32 v14, v14, 1, v15
	s_mul_hi_i32 s3, s20, s21
	s_mul_i32 s20, s20, s21
	ds_write_b64 v14, v[10:11] offset:32768
	v_xor_b32_e32 v10, v66, v44
	s_add_u32 s14, s20, s48
	v_lshl_or_b32 v10, v10, 1, v15
	s_addc_u32 s15, s3, s25
	v_lshlrev_b32_e32 v11, 1, v63
	ds_write_b64 v10, v[12:13] offset:32768
	v_lshrrev_b32_e32 v10, 4, v0
	s_ashr_i32 s3, s2, 31
	s_lshl_b64 s[14:15], s[14:15], 15
	v_or_b32_e32 v12, 1, v11
	s_add_u32 s4, s4, s14
	v_xor_b32_e32 v11, v10, v11
	v_xor_b32_e32 v12, v12, v10
	v_lshlrev_b32_e32 v14, 8, v10
	s_addc_u32 s5, s5, s15
	s_lshl_b64 s[2:3], s[2:3], 8
	v_lshl_or_b32 v10, v11, 3, v14
	v_lshl_or_b32 v12, v12, 3, v14
	s_waitcnt lgkmcnt(0)
	s_barrier
	s_add_u32 s2, s4, s2
	ds_read_b64 v[10:11], v10 offset:32768
	ds_read_b64 v[12:13], v12 offset:32768
	s_addc_u32 s3, s5, s3
	v_mov_b32_e32 v15, 0
	s_cmp_lg_u32 s54, 64
	v_lshl_add_u64 v[16:17], s[2:3], 0, v[14:15]
	v_lshlrev_b32_e32 v14, 4, v63
	s_cselect_b64 s[4:5], -1, 0
	v_lshl_or_b32 v35, v53, 3, v65
	s_mov_b32 s28, 0
	v_lshl_add_u64 v[14:15], v[16:17], 0, v[14:15]
	v_or_b32_e32 v27, 32, v35
	v_and_b32_e32 v26, 56, v64
	s_and_b64 vcc, exec, s[4:5]
	s_waitcnt lgkmcnt(0)
	global_store_dwordx4 v[14:15], v[10:13], off
	s_cbranch_vccz .LBB725_31
; %bb.26:
	s_mov_b32 s29, s28
	s_mov_b32 s30, s28
	;; [unrolled: 1-line block ×3, first 2 shown]
	v_mov_b64_e32 v[14:15], s[28:29]
	v_mov_b64_e32 v[16:17], s[30:31]
	;; [unrolled: 1-line block ×3, first 2 shown]
	v_cmp_gt_i32_e32 vcc, s54, v35
	v_mov_b64_e32 v[12:13], v[16:17]
	s_and_saveexec_b64 s[2:3], vcc
	s_cbranch_execz .LBB725_28
; %bb.27:
	v_lshlrev_b32_e32 v10, 8, v35
	v_mov_b32_e32 v11, 0
	v_lshl_add_u64 v[12:13], s[0:1], 0, v[10:11]
	v_lshlrev_b32_e32 v10, 1, v26
	v_lshl_add_u64 v[18:19], v[12:13], 0, v[10:11]
	global_load_dwordx4 v[14:17], v[18:19], off
	global_load_dwordx4 v[10:13], v[18:19], off offset:128
.LBB725_28:
	s_or_b64 exec, exec, s[2:3]
	s_mov_b32 s29, s28
	s_mov_b32 s30, s28
	;; [unrolled: 1-line block ×3, first 2 shown]
	v_mov_b64_e32 v[22:23], s[28:29]
	v_mov_b64_e32 v[24:25], s[30:31]
	;; [unrolled: 1-line block ×3, first 2 shown]
	v_cmp_gt_i32_e32 vcc, s54, v27
	v_lshlrev_b32_e32 v28, 7, v27
	v_mov_b64_e32 v[20:21], v[24:25]
	s_and_saveexec_b64 s[2:3], vcc
	s_cbranch_execz .LBB725_30
; %bb.29:
	v_lshlrev_b32_e32 v18, 1, v28
	v_mov_b32_e32 v19, 0
	v_lshl_add_u64 v[20:21], s[0:1], 0, v[18:19]
	v_lshlrev_b32_e32 v18, 1, v26
	v_lshl_add_u64 v[30:31], v[20:21], 0, v[18:19]
	global_load_dwordx4 v[22:25], v[30:31], off
	global_load_dwordx4 v[18:21], v[30:31], off offset:128
.LBB725_30:
	s_or_b64 exec, exec, s[2:3]
	v_lshrrev_b32_e32 v29, 3, v26
	v_lshlrev_b32_e32 v30, 3, v35
	v_or_b32_e32 v29, v30, v29
	v_lshlrev_b32_e32 v29, 4, v29
	v_and_b32_e32 v30, 0x78, v30
	v_xor_b32_e32 v29, v29, v30
	s_branch .LBB725_33
.LBB725_31:
                                        ; implicit-def: $vgpr29
                                        ; implicit-def: $vgpr28
                                        ; implicit-def: $vgpr14_vgpr15_vgpr16_vgpr17
                                        ; implicit-def: $vgpr10_vgpr11_vgpr12_vgpr13
                                        ; implicit-def: $vgpr22_vgpr23_vgpr24_vgpr25
                                        ; implicit-def: $vgpr18_vgpr19_vgpr20_vgpr21
	s_cbranch_execz .LBB725_33
; %bb.32:
	s_waitcnt vmcnt(0)
	v_lshlrev_b32_e32 v10, 1, v26
	v_lshl_or_b32 v28, v35, 8, v10
	s_and_b32 s1, s1, 0xffff
	s_mov_b32 s3, 0x20000
	s_movk_i32 s2, 0x4000
	v_lshl_or_b32 v29, v27, 8, v10
	s_movk_i32 s14, 0x80
	buffer_load_dwordx4 v[14:17], v28, s[0:3], 0 offen
	buffer_load_dwordx4 v[10:13], v28, s[0:3], s14 offen
	;; [unrolled: 1-line block ×4, first 2 shown]
	v_lshrrev_b32_e32 v28, 3, v26
	v_lshlrev_b32_e32 v29, 3, v35
	v_or_b32_e32 v28, v29, v28
	v_lshlrev_b32_e32 v28, 4, v28
	v_and_b32_e32 v29, 0x78, v29
	v_xor_b32_e32 v29, v28, v29
	v_lshlrev_b32_e32 v28, 7, v27
.LBB725_33:
	s_lshl_b64 s[0:1], s[46:47], 8
	s_add_u32 s12, s12, s0
	s_movk_i32 s0, 0x1000
	v_and_or_b32 v27, v28, s0, v29
	s_waitcnt vmcnt(1)
	ds_write_b64 v29, v[14:15] offset:16384
	v_xor_b32_e32 v14, 8, v29
	ds_write_b64 v14, v[16:17] offset:16384
	s_waitcnt vmcnt(0)
	ds_write_b64 v29, v[10:11] offset:24576
	ds_write_b64 v14, v[12:13] offset:24576
	;; [unrolled: 1-line block ×3, first 2 shown]
	v_xor_b32_e32 v10, 8, v27
	ds_write_b64 v10, v[24:25] offset:16384
	ds_write_b64 v27, v[18:19] offset:24576
	;; [unrolled: 1-line block ×3, first 2 shown]
	v_or_b32_e32 v10, v60, v63
	v_lshlrev_b32_e32 v10, 3, v10
	v_lshrrev_b32_e32 v12, 5, v61
	s_movk_i32 s20, 0xf8
	v_and_or_b32 v12, v10, s20, v12
	v_lshlrev_b32_e32 v45, 11, v53
	v_lshlrev_b32_e32 v20, 4, v12
	v_and_b32_e32 v21, 0x78, v10
	v_and_b32_e32 v22, 0x1000, v45
	v_lshlrev_b32_e32 v11, 2, v0
	v_xor_b32_e32 v10, v20, v21
	v_lshrrev_b32_e32 v12, 1, v61
	v_and_b32_e32 v11, 60, v11
	v_or_b32_e32 v10, v10, v22
	v_and_b32_e32 v23, 8, v12
	v_xor_b32_e32 v36, v10, v23
	v_lshl_or_b32 v10, v62, 6, v11
	v_lshlrev_b32_e32 v46, 1, v10
	v_or_b32_e32 v10, 32, v20
	v_xor_b32_e32 v10, v10, v21
	s_waitcnt lgkmcnt(0)
	s_barrier
	ds_read_b64 v[18:19], v36 offset:16384
	v_or_b32_e32 v10, v10, v22
	v_xor_b32_e32 v37, v10, v23
	v_or_b32_e32 v10, 64, v20
	v_xor_b32_e32 v10, v10, v21
	v_or_b32_e32 v10, v10, v22
	v_or_b32_e32 v20, 0x60, v20
	v_xor_b32_e32 v38, v10, v23
	ds_read2st64_b64 v[10:13], v46 offset0:72 offset1:73
	ds_read2st64_b64 v[14:17], v46 offset0:74 offset1:75
	v_xor_b32_e32 v24, v20, v21
	ds_read_b64 v[20:21], v37 offset:16384
	s_waitcnt lgkmcnt(2)
	v_mfma_f32_16x16x16_bf16 a[0:3], v[18:19], v[10:11], 0
	s_addc_u32 s13, s13, s1
	s_add_i32 s22, s43, -1
	s_add_i32 s0, s51, s50
	s_add_i32 s45, s0, s52
	s_mul_i32 s0, s48, s27
	s_mul_hi_u32 s1, s48, s26
	s_ashr_i32 s2, s22, 31
	s_mul_i32 s3, s22, s11
	s_mul_hi_u32 s14, s22, s10
	s_add_i32 s0, s1, s0
	s_mul_i32 s1, s25, s26
	s_add_i32 s3, s14, s3
	s_mul_i32 s2, s2, s10
	v_or_b32_e32 v22, v24, v22
	s_add_i32 s1, s0, s1
	s_add_i32 s3, s3, s2
	s_lshl_b64 s[14:15], s[44:45], 2
	v_xor_b32_e32 v47, v22, v23
	ds_read_b64 v[22:23], v38 offset:16384
	ds_read_b64 v[24:25], v47 offset:16384
	s_waitcnt lgkmcnt(2)
	v_mfma_f32_16x16x16_bf16 a[0:3], v[20:21], v[12:13], a[0:3]
	s_mul_i32 s0, s48, s26
	s_add_u32 s14, s18, s14
	s_addc_u32 s15, s19, s15
	s_lshl_b64 s[0:1], s[0:1], 2
	s_mul_i32 s2, s22, s10
	s_add_u32 s18, s14, s0
	s_addc_u32 s19, s15, s1
	s_lshl_b64 s[0:1], s[2:3], 2
	s_waitcnt lgkmcnt(1)
	v_mfma_f32_16x16x16_bf16 a[0:3], v[22:23], v[14:15], a[0:3]
	s_add_u32 s0, s18, s0
	s_addc_u32 s1, s19, s1
	s_load_dword s20, s[0:1], 0x0
	s_waitcnt lgkmcnt(0)
	v_mfma_f32_16x16x16_bf16 a[0:3], v[24:25], v[16:17], a[0:3]
	s_and_b64 vcc, exec, s[38:39]
	s_cbranch_vccz .LBB725_44
; %bb.34:
	v_lshlrev_b32_e32 v27, 1, v35
	s_and_b64 vcc, exec, s[4:5]
	s_cbranch_vccz .LBB725_45
; %bb.35:
	v_cmp_gt_i32_e32 vcc, s54, v27
	v_mov_b32_e32 v14, 0
	v_mov_b32_e32 v10, 0
	;; [unrolled: 1-line block ×5, first 2 shown]
	s_and_saveexec_b64 s[0:1], vcc
	s_cbranch_execz .LBB725_37
; %bb.36:
	v_mad_i64_i32 v[10:11], s[2:3], s23, v27, 0
	v_lshl_add_u64 v[10:11], v[10:11], 1, s[12:13]
	v_lshlrev_b32_e32 v12, 1, v26
	v_mov_b32_e32 v13, 0
	v_lshl_add_u64 v[10:11], v[10:11], 0, v[12:13]
	global_load_dwordx4 v[10:13], v[10:11], off
.LBB725_37:
	s_or_b64 exec, exec, s[0:1]
	v_or_b32_e32 v28, 1, v27
	v_cmp_gt_i32_e64 s[0:1], s54, v28
	v_mov_b32_e32 v15, 0
	v_mov_b32_e32 v16, 0
	;; [unrolled: 1-line block ×3, first 2 shown]
	s_and_saveexec_b64 s[2:3], s[0:1]
	s_cbranch_execz .LBB725_39
; %bb.38:
	v_mad_i64_i32 v[14:15], s[14:15], s23, v28, 0
	v_lshl_add_u64 v[14:15], v[14:15], 1, s[12:13]
	v_lshlrev_b32_e32 v16, 1, v26
	v_mov_b32_e32 v17, 0
	v_lshl_add_u64 v[14:15], v[14:15], 0, v[16:17]
	global_load_dwordx4 v[14:17], v[14:15], off
.LBB725_39:
	s_or_b64 exec, exec, s[2:3]
	v_mov_b32_e32 v25, 0
	v_mov_b32_e32 v18, 0
	;; [unrolled: 1-line block ×5, first 2 shown]
	s_and_saveexec_b64 s[2:3], vcc
	s_cbranch_execz .LBB725_41
; %bb.40:
	v_mad_i64_i32 v[18:19], s[14:15], s23, v27, 0
	v_lshl_add_u64 v[18:19], v[18:19], 1, s[12:13]
	v_lshlrev_b32_e32 v20, 1, v26
	v_mov_b32_e32 v21, 0
	v_lshl_add_u64 v[18:19], v[18:19], 0, v[20:21]
	global_load_dwordx4 v[18:21], v[18:19], off offset:128
.LBB725_41:
	s_or_b64 exec, exec, s[2:3]
	v_mov_b32_e32 v24, 0
	v_mov_b32_e32 v23, 0
	;; [unrolled: 1-line block ×3, first 2 shown]
	s_and_saveexec_b64 s[2:3], s[0:1]
	s_cbranch_execz .LBB725_43
; %bb.42:
	v_mad_i64_i32 v[22:23], s[0:1], s23, v28, 0
	v_lshl_add_u64 v[22:23], v[22:23], 1, s[12:13]
	v_lshlrev_b32_e32 v24, 1, v26
	v_mov_b32_e32 v25, 0
	v_lshl_add_u64 v[22:23], v[22:23], 0, v[24:25]
	global_load_dwordx4 v[22:25], v[22:23], off offset:128
.LBB725_43:
	s_or_b64 exec, exec, s[2:3]
	s_branch .LBB725_47
.LBB725_44:
                                        ; implicit-def: $vgpr13
                                        ; implicit-def: $vgpr17
                                        ; implicit-def: $vgpr21
                                        ; implicit-def: $vgpr25
	v_lshrrev_b32_e32 v27, 2, v61
	s_branch .LBB725_48
.LBB725_45:
                                        ; implicit-def: $vgpr13
                                        ; implicit-def: $vgpr17
                                        ; implicit-def: $vgpr21
                                        ; implicit-def: $vgpr25
	s_cbranch_execz .LBB725_47
; %bb.46:
	s_waitcnt vmcnt(0)
	v_mad_u64_u32 v[10:11], s[0:1], v27, s23, v[26:27]
	v_lshlrev_b32_e32 v27, 1, v10
	s_lshl_b32 s2, s23, 7
	s_and_b32 s1, s13, 0xffff
	s_mov_b32 s3, 0x20000
	s_mov_b32 s0, s12
	v_add_lshl_u32 v28, v10, s23, 1
	s_movk_i32 s14, 0x80
	buffer_load_dwordx4 v[10:13], v27, s[0:3], 0 offen
	buffer_load_dwordx4 v[18:21], v27, s[0:3], s14 offen
	;; [unrolled: 1-line block ×4, first 2 shown]
.LBB725_47:
	v_lshrrev_b32_e32 v27, 2, v61
	s_cbranch_execnz .LBB725_60
.LBB725_48:
	s_and_b64 vcc, exec, s[4:5]
	s_cbranch_vccz .LBB725_58
; %bb.49:
	s_waitcnt vmcnt(0)
	v_lshlrev_b32_e32 v15, 1, v35
	v_cmp_gt_i32_e32 vcc, s54, v15
	v_mov_b32_e32 v14, 0
	v_lshlrev_b32_e32 v22, 9, v35
	v_mov_b32_e32 v10, 0
	v_mov_b32_e32 v11, 0
	;; [unrolled: 1-line block ×4, first 2 shown]
	s_and_saveexec_b64 s[0:1], vcc
	s_cbranch_execz .LBB725_51
; %bb.50:
	v_mov_b32_e32 v23, 0
	v_lshl_add_u64 v[10:11], s[12:13], 0, v[22:23]
	v_lshlrev_b32_e32 v12, 1, v26
	v_mov_b32_e32 v13, v23
	v_lshl_add_u64 v[10:11], v[10:11], 0, v[12:13]
	global_load_dwordx4 v[10:13], v[10:11], off
.LBB725_51:
	s_or_b64 exec, exec, s[0:1]
	v_or_b32_e32 v15, 1, v15
	v_cmp_gt_i32_e64 s[0:1], s54, v15
	v_lshlrev_b32_e32 v28, 8, v15
	v_mov_b32_e32 v15, 0
	v_mov_b32_e32 v16, 0
	;; [unrolled: 1-line block ×3, first 2 shown]
	s_and_saveexec_b64 s[2:3], s[0:1]
	s_cbranch_execz .LBB725_53
; %bb.52:
	v_mov_b32_e32 v29, 0
	v_lshl_add_u64 v[14:15], s[12:13], 0, v[28:29]
	v_lshlrev_b32_e32 v16, 1, v26
	v_mov_b32_e32 v17, v29
	v_lshl_add_u64 v[14:15], v[14:15], 0, v[16:17]
	global_load_dwordx4 v[14:17], v[14:15], off
.LBB725_53:
	s_or_b64 exec, exec, s[2:3]
	v_mov_b32_e32 v25, 0
	v_mov_b32_e32 v18, 0
	v_mov_b32_e32 v19, 0
	v_mov_b32_e32 v20, 0
	v_mov_b32_e32 v21, 0
	s_and_saveexec_b64 s[2:3], vcc
	s_cbranch_execz .LBB725_55
; %bb.54:
	v_mov_b32_e32 v23, 0
	v_lshl_add_u64 v[18:19], s[12:13], 0, v[22:23]
	v_lshlrev_b32_e32 v22, 1, v26
	v_lshl_add_u64 v[18:19], v[18:19], 0, v[22:23]
	global_load_dwordx4 v[18:21], v[18:19], off offset:128
.LBB725_55:
	s_or_b64 exec, exec, s[2:3]
	v_mov_b32_e32 v24, 0
	v_mov_b32_e32 v23, 0
	;; [unrolled: 1-line block ×3, first 2 shown]
	s_and_saveexec_b64 s[2:3], s[0:1]
	s_cbranch_execz .LBB725_57
; %bb.56:
	v_mov_b32_e32 v29, 0
	v_lshl_add_u64 v[22:23], s[12:13], 0, v[28:29]
	v_lshlrev_b32_e32 v28, 1, v26
	v_lshl_add_u64 v[22:23], v[22:23], 0, v[28:29]
	global_load_dwordx4 v[22:25], v[22:23], off offset:128
.LBB725_57:
	s_or_b64 exec, exec, s[2:3]
	s_branch .LBB725_60
.LBB725_58:
                                        ; implicit-def: $vgpr13
                                        ; implicit-def: $vgpr17
                                        ; implicit-def: $vgpr21
                                        ; implicit-def: $vgpr25
	s_cbranch_execz .LBB725_60
; %bb.59:
	s_waitcnt vmcnt(0)
	v_lshlrev_b32_e32 v10, 1, v26
	v_lshl_or_b32 v26, v35, 9, v10
	s_and_b32 s13, s13, 0xffff
	s_mov_b32 s15, 0x20000
	s_movk_i32 s14, 0x4000
	s_movk_i32 s0, 0x80
	buffer_load_dwordx4 v[10:13], v26, s[12:15], 0 offen
	buffer_load_dwordx4 v[14:17], v26, s[12:15], 0 offen offset:256
	buffer_load_dwordx4 v[18:21], v26, s[12:15], s0 offen
	buffer_load_dwordx4 v[22:25], v26, s[12:15], s0 offen offset:256
.LBB725_60:
	v_and_b32_e32 v48, 12, v27
	ds_read2st64_b64 v[30:33], v46 offset0:76 offset1:77
	ds_read2st64_b64 v[26:29], v46 offset0:78 offset1:79
	ds_read_b64 v[42:43], v36 offset:24576
	ds_read_b64 v[40:41], v37 offset:24576
	ds_read_b64 v[38:39], v38 offset:24576
	ds_read_b64 v[36:37], v47 offset:24576
	v_and_b32_e32 v47, 6, v0
	v_xor_b32_e32 v35, v35, v47
	v_lshlrev_b32_e32 v35, 2, v35
	v_and_b32_e32 v49, 1, v0
	v_xor_b32_e32 v50, 0x440, v35
	v_cmp_eq_u32_e32 vcc, 0, v49
	s_mov_b32 s0, 0x1000504
	s_waitcnt vmcnt(0)
	v_perm_b32 v49, v18, v22, s0
	v_cndmask_b32_e32 v35, v50, v35, vcc
	v_lshl_or_b32 v35, v47, 10, v35
	v_perm_b32 v47, v10, v14, s0
	ds_write2st64_b32 v35, v47, v49 offset1:32
	v_xor_b32_e32 v47, 8, v35
	s_mov_b32 s1, 0x3020706
	v_perm_b32 v10, v10, v14, s1
	v_perm_b32 v14, v18, v22, s1
	v_add_u32_e32 v18, 0x80, v47
	ds_write2st64_b32 v18, v10, v14 offset1:32
	v_xor_b32_e32 v10, 16, v35
	v_perm_b32 v14, v11, v15, s0
	v_perm_b32 v18, v19, v23, s0
	ds_write2st64_b32 v10, v14, v18 offset0:1 offset1:33
	v_xor_b32_e32 v10, 24, v35
	v_perm_b32 v11, v11, v15, s1
	v_perm_b32 v14, v19, v23, s1
	v_add_u32_e32 v10, 0x80, v10
	ds_write2st64_b32 v10, v11, v14 offset0:1 offset1:33
	v_xor_b32_e32 v10, 32, v35
	v_perm_b32 v11, v12, v16, s0
	v_perm_b32 v14, v20, v24, s0
	ds_write2st64_b32 v10, v11, v14 offset0:2 offset1:34
	v_xor_b32_e32 v10, 40, v35
	v_perm_b32 v11, v12, v16, s1
	v_perm_b32 v12, v20, v24, s1
	v_add_u32_e32 v10, 0x80, v10
	ds_write2st64_b32 v10, v11, v12 offset0:2 offset1:34
	v_xor_b32_e32 v10, 48, v35
	v_perm_b32 v11, v13, v17, s0
	v_perm_b32 v12, v21, v25, s0
	ds_write2st64_b32 v10, v11, v12 offset0:3 offset1:35
	v_xor_b32_e32 v10, 56, v35
	v_or_b32_e32 v18, v48, v60
	v_perm_b32 v11, v13, v17, s1
	v_perm_b32 v12, v21, v25, s1
	v_add_u32_e32 v10, 0x80, v10
	v_cmp_gt_i32_e64 s[0:1], s54, v18
	v_mov_b32_e32 v20, 0
	v_mov_b32_e32 v24, 0
	ds_write2st64_b32 v10, v11, v12 offset0:3 offset1:35
	s_and_saveexec_b64 s[2:3], s[0:1]
	s_cbranch_execz .LBB725_62
; %bb.61:
	v_add_u32_e32 v10, s24, v18
	v_ashrrev_i32_e32 v11, 31, v10
	v_mul_lo_u32 v12, v11, s10
	v_mul_lo_u32 v13, v10, s11
	v_mad_u64_u32 v[10:11], s[4:5], v10, s10, 0
	v_add3_u32 v11, v11, v13, v12
	v_lshl_add_u64 v[10:11], v[10:11], 2, s[18:19]
	global_load_dword v10, v[10:11], off
	s_waitcnt vmcnt(0)
	v_sub_f32_e32 v10, s20, v10
	v_mul_f32_e32 v10, 0x3fb8aa3b, v10
	v_exp_f32_e32 v24, v10
.LBB725_62:
	s_or_b64 exec, exec, s[2:3]
	v_or_b32_e32 v23, 1, v18
	v_cmp_gt_i32_e64 s[4:5], s54, v23
	s_and_saveexec_b64 s[2:3], s[4:5]
	s_cbranch_execz .LBB725_64
; %bb.63:
	v_add_u32_e32 v10, s24, v23
	v_ashrrev_i32_e32 v11, 31, v10
	v_mul_lo_u32 v12, v11, s10
	v_mul_lo_u32 v13, v10, s11
	v_mad_u64_u32 v[10:11], s[12:13], v10, s10, 0
	v_add3_u32 v11, v11, v13, v12
	v_lshl_add_u64 v[10:11], v[10:11], 2, s[18:19]
	global_load_dword v10, v[10:11], off
	s_waitcnt vmcnt(0)
	v_sub_f32_e32 v10, s20, v10
	v_mul_f32_e32 v10, 0x3fb8aa3b, v10
	v_exp_f32_e32 v20, v10
.LBB725_64:
	s_or_b64 exec, exec, s[2:3]
	v_or_b32_e32 v22, 2, v18
	v_cmp_gt_i32_e64 s[2:3], s54, v22
	v_mov_b32_e32 v19, 0
	v_mov_b32_e32 v25, 0
	s_and_saveexec_b64 s[12:13], s[2:3]
	s_cbranch_execz .LBB725_66
; %bb.65:
	v_add_u32_e32 v10, s24, v22
	v_ashrrev_i32_e32 v11, 31, v10
	v_mul_lo_u32 v12, v11, s10
	v_mul_lo_u32 v13, v10, s11
	v_mad_u64_u32 v[10:11], s[14:15], v10, s10, 0
	v_add3_u32 v11, v11, v13, v12
	v_lshl_add_u64 v[10:11], v[10:11], 2, s[18:19]
	global_load_dword v10, v[10:11], off
	s_waitcnt vmcnt(0)
	v_sub_f32_e32 v10, s20, v10
	v_mul_f32_e32 v10, 0x3fb8aa3b, v10
	v_exp_f32_e32 v25, v10
.LBB725_66:
	s_or_b64 exec, exec, s[12:13]
	v_or_b32_e32 v21, 3, v18
	v_cmp_gt_i32_e32 vcc, s54, v21
	s_and_saveexec_b64 s[12:13], vcc
	s_cbranch_execz .LBB725_68
; %bb.67:
	v_add_u32_e32 v10, s24, v21
	v_ashrrev_i32_e32 v11, 31, v10
	v_mul_lo_u32 v12, v11, s10
	v_mul_lo_u32 v13, v10, s11
	v_mad_u64_u32 v[10:11], s[10:11], v10, s10, 0
	v_add3_u32 v11, v11, v13, v12
	v_lshl_add_u64 v[10:11], v[10:11], 2, s[18:19]
	global_load_dword v10, v[10:11], off
	s_waitcnt vmcnt(0)
	v_sub_f32_e32 v10, s20, v10
	v_mul_f32_e32 v10, 0x3fb8aa3b, v10
	v_exp_f32_e32 v19, v10
.LBB725_68:
	s_or_b64 exec, exec, s[12:13]
	s_waitcnt lgkmcnt(11)
	v_mfma_f32_16x16x16_bf16 a[0:3], v[42:43], v[30:31], a[0:3]
	s_add_u32 s10, s16, s36
	s_addc_u32 s11, s17, s37
	v_ashrrev_i32_e32 v35, 31, v34
	s_waitcnt lgkmcnt(10)
	v_mfma_f32_16x16x16_bf16 a[0:3], v[40:41], v[32:33], a[0:3]
	s_add_u32 s6, s6, s36
	v_lshlrev_b64 v[10:11], 1, v[34:35]
	s_addc_u32 s7, s7, s37
	s_waitcnt lgkmcnt(9)
	v_mfma_f32_16x16x16_bf16 a[0:3], v[38:39], v[26:27], a[0:3]
	v_lshl_add_u64 v[14:15], s[10:11], 0, v[10:11]
	v_lshl_add_u64 v[16:17], s[6:7], 0, v[10:11]
	v_mov_b32_e32 v26, 0
	s_waitcnt lgkmcnt(8)
	v_mfma_f32_16x16x16_bf16 a[0:3], v[36:37], v[28:29], a[0:3]
	v_mov_b32_e32 v27, 0
	s_nop 5
	v_accvgpr_read_b32 v13, a3
	v_accvgpr_read_b32 v12, a2
	;; [unrolled: 1-line block ×4, first 2 shown]
	s_and_saveexec_b64 s[6:7], s[0:1]
	s_cbranch_execz .LBB725_70
; %bb.69:
	v_lshlrev_b32_e32 v28, 8, v18
	v_mov_b32_e32 v29, 0
	v_lshl_add_u64 v[30:31], v[14:15], 0, v[28:29]
	global_load_ushort v27, v[30:31], off
	v_lshl_add_u64 v[28:29], v[16:17], 0, v[28:29]
	s_waitcnt vmcnt(0)
	v_lshlrev_b32_e32 v27, 16, v27
	v_sub_f32_e32 v10, v27, v10
	global_store_short_d16_hi v[28:29], v10, off
	v_mul_f32_e32 v10, v24, v10
	v_lshrrev_b32_e32 v27, 16, v10
.LBB725_70:
	s_or_b64 exec, exec, s[6:7]
	s_and_saveexec_b64 s[0:1], s[4:5]
	s_cbranch_execz .LBB725_72
; %bb.71:
	v_lshlrev_b32_e32 v28, 8, v23
	v_mov_b32_e32 v29, 0
	v_lshl_add_u64 v[30:31], v[14:15], 0, v[28:29]
	global_load_ushort v10, v[30:31], off
	v_lshl_add_u64 v[28:29], v[16:17], 0, v[28:29]
	s_waitcnt vmcnt(0)
	v_lshlrev_b32_e32 v10, 16, v10
	v_sub_f32_e32 v10, v10, v11
	global_store_short_d16_hi v[28:29], v10, off
	v_mul_f32_e32 v10, v20, v10
	v_lshrrev_b32_e32 v26, 16, v10
.LBB725_72:
	s_or_b64 exec, exec, s[0:1]
	v_mov_b32_e32 v11, 0
	v_mov_b32_e32 v20, 0
	s_and_saveexec_b64 s[0:1], s[2:3]
	s_cbranch_execz .LBB725_74
; %bb.73:
	v_lshlrev_b32_e32 v22, 8, v22
	v_mov_b32_e32 v23, 0
	v_lshl_add_u64 v[28:29], v[14:15], 0, v[22:23]
	global_load_ushort v10, v[28:29], off
	v_lshl_add_u64 v[22:23], v[16:17], 0, v[22:23]
	s_waitcnt vmcnt(0)
	v_lshlrev_b32_e32 v10, 16, v10
	v_sub_f32_e32 v10, v10, v12
	global_store_short_d16_hi v[22:23], v10, off
	v_mul_f32_e32 v10, v25, v10
	v_lshrrev_b32_e32 v20, 16, v10
.LBB725_74:
	s_or_b64 exec, exec, s[0:1]
	v_or_b32_e32 v10, 0x9800, v46
	s_and_saveexec_b64 s[0:1], vcc
	s_cbranch_execz .LBB725_76
; %bb.75:
	v_lshlrev_b32_e32 v22, 8, v21
	v_mov_b32_e32 v23, 0
	v_lshl_add_u64 v[14:15], v[14:15], 0, v[22:23]
	global_load_ushort v11, v[14:15], off
	v_lshl_add_u64 v[14:15], v[16:17], 0, v[22:23]
	s_waitcnt vmcnt(0)
	v_lshlrev_b32_e32 v11, 16, v11
	v_sub_f32_e32 v11, v11, v13
	global_store_short_d16_hi v[14:15], v11, off
	v_mul_f32_e32 v11, v19, v11
	v_lshrrev_b32_e32 v11, 16, v11
.LBB725_76:
	s_or_b64 exec, exec, s[0:1]
	s_mov_b32 s0, 0x5040100
	v_perm_b32 v13, v11, v20, s0
	v_lshlrev_b32_e32 v11, 1, v44
	v_perm_b32 v12, v26, v27, s0
	v_lshl_or_b32 v11, v18, 5, v11
	s_movk_i32 s2, 0xff
	ds_write_b64 v11, v[12:13] offset:38912
	v_and_b32_e32 v11, 7, v0
	v_cmp_lt_u32_e32 vcc, s2, v0
	v_and_b32_e32 v12, 8, v0
	v_lshlrev_b32_e32 v20, 3, v11
	v_lshlrev_b32_e32 v32, 7, v11
	v_cndmask_b32_e64 v11, 0, 1, vcc
	v_lshrrev_b32_e32 v0, 1, v0
	v_lshlrev_b32_e32 v22, 13, v11
	v_lshlrev_b32_e32 v11, 3, v53
	v_and_b32_e32 v0, 24, v0
	v_xor_b32_e32 v13, v11, v0
	v_or_b32_e32 v14, 0x440, v13
	v_cmp_eq_u32_e32 vcc, 0, v12
	s_mul_i32 s0, s22, s21
	s_mul_hi_i32 s1, s22, s21
	v_cndmask_b32_e32 v12, v14, v13, vcc
	v_or_b32_e32 v12, v12, v45
	v_xor_b32_e32 v33, v12, v20
	v_or_b32_e32 v12, 32, v0
	v_xor_b32_e32 v12, v11, v12
	v_or_b32_e32 v13, 0x440, v12
	v_cndmask_b32_e32 v12, v13, v12, vcc
	v_or_b32_e32 v12, v12, v45
	v_xor_b32_e32 v35, v12, v20
	v_or_b32_e32 v12, 64, v0
	v_xor_b32_e32 v12, v11, v12
	v_xor_b32_e32 v13, 0x440, v12
	v_cndmask_b32_e32 v12, v13, v12, vcc
	v_or_b32_e32 v0, 0x60, v0
	s_add_u32 s0, s0, s48
	v_add3_u32 v23, v22, v33, v32
	v_or_b32_e32 v12, v12, v45
	v_xor_b32_e32 v0, v11, v0
	s_waitcnt lgkmcnt(0)
	s_barrier
	s_addc_u32 s1, s1, s25
	v_lshlrev_b32_e32 v21, 2, v18
	v_xor_b32_e32 v36, v12, v20
	ds_read2st64_b64 v[12:15], v10 offset1:1
	ds_read2st64_b64 v[16:19], v10 offset0:2 offset1:3
	ds_read_b64 v[10:11], v23
	v_xor_b32_e32 v23, 0x440, v0
	s_lshl_b64 s[0:1], s[0:1], 9
	v_cndmask_b32_e32 v0, v23, v0, vcc
	s_add_u32 s0, s40, s0
	v_or_b32_e32 v0, v0, v45
	s_addc_u32 s1, s41, s1
	v_add3_u32 v24, v22, v35, v32
	v_xor_b32_e32 v37, v0, v20
	v_add3_u32 v26, v22, v36, v32
	v_add3_u32 v0, v22, v37, v32
	ds_read_b64 v[24:25], v24
	ds_read_b64 v[28:29], v26
	;; [unrolled: 1-line block ×3, first 2 shown]
	global_load_dwordx4 v[20:23], v21, s[0:1]
	s_waitcnt lgkmcnt(3)
	v_mfma_f32_16x16x16_bf16 a[0:3], v[10:11], v[12:13], 0
	v_lshlrev_b32_e32 v0, 6, v53
	v_lshlrev_b32_e32 v10, 2, v48
	s_movk_i32 s2, 0x100
	v_or3_b32 v0, v0, v10, s2
	s_waitcnt lgkmcnt(2)
	v_mfma_f32_16x16x16_bf16 a[0:3], v[24:25], v[14:15], a[0:3]
	global_load_dwordx4 v[24:27], v0, s[0:1]
	v_mov_b32_e32 v0, 0x3fb8aa3b
	v_mul_f32_e32 v0, s20, v0
	s_waitcnt lgkmcnt(1)
	v_mfma_f32_16x16x16_bf16 a[0:3], v[28:29], v[16:17], a[0:3]
	v_exp_f32_e32 v0, v0
	v_add_u32_e32 v33, v33, v32
	v_add_u32_e32 v35, v35, v32
	s_waitcnt lgkmcnt(0)
	v_mfma_f32_16x16x16_bf16 a[0:3], v[30:31], v[18:19], a[0:3]
	ds_read_b64 v[30:31], v33 offset:8192
	s_waitcnt vmcnt(1)
	v_mul_f32_e32 v20, 0x3fb8aa3b, v20
	v_mul_f32_e32 v21, 0x3fb8aa3b, v21
	v_exp_f32_e32 v20, v20
	v_exp_f32_e32 v21, v21
	s_nop 0
	v_accvgpr_read_b32 v29, a1
	v_accvgpr_read_b32 v28, a0
	v_mul_f32_e32 v22, 0x3fb8aa3b, v22
	v_pk_mul_f32 v[20:21], v[0:1], v[20:21] op_sel_hi:[0,1]
	v_pk_fma_f32 v[2:3], v[2:3], v[20:21], v[28:29]
	ds_read_b64 v[20:21], v35 offset:8192
	v_mul_f32_e32 v23, 0x3fb8aa3b, v23
	v_exp_f32_e32 v22, v22
	v_exp_f32_e32 v23, v23
	v_accvgpr_read_b32 v11, a3
	v_accvgpr_read_b32 v10, a2
	s_waitcnt lgkmcnt(1)
	v_mfma_f32_16x16x16_bf16 a[0:3], v[30:31], v[12:13], 0
	v_pk_mul_f32 v[22:23], v[0:1], v[22:23] op_sel_hi:[0,1]
	v_pk_fma_f32 v[4:5], v[4:5], v[22:23], v[10:11]
	v_add_u32_e32 v10, v36, v32
	v_add_u32_e32 v11, v37, v32
	ds_read_b64 v[22:23], v10 offset:8192
	ds_read_b64 v[28:29], v11 offset:8192
	s_waitcnt lgkmcnt(2)
	v_mfma_f32_16x16x16_bf16 a[0:3], v[20:21], v[14:15], a[0:3]
	s_waitcnt vmcnt(0)
	v_mov_b32_e32 v10, v25
	v_mov_b32_e32 v11, v26
	;; [unrolled: 1-line block ×3, first 2 shown]
	s_waitcnt lgkmcnt(1)
	v_mfma_f32_16x16x16_bf16 a[0:3], v[22:23], v[16:17], a[0:3]
	v_mul_f32_e32 v10, 0x3fb8aa3b, v10
	v_mul_f32_e32 v13, 0x3fb8aa3b, v24
	v_exp_f32_e32 v25, v10
	v_mul_f32_e32 v10, 0x3fb8aa3b, v11
	v_mul_f32_e32 v11, 0x3fb8aa3b, v12
	s_waitcnt lgkmcnt(0)
	v_mfma_f32_16x16x16_bf16 a[0:3], v[28:29], v[18:19], a[0:3]
	v_exp_f32_e32 v24, v13
	v_exp_f32_e32 v10, v10
	;; [unrolled: 1-line block ×3, first 2 shown]
	v_pk_mul_f32 v[14:15], v[0:1], v[24:25] op_sel_hi:[0,1]
	v_pk_mul_f32 v[10:11], v[0:1], v[10:11] op_sel_hi:[0,1]
	s_nop 1
	v_accvgpr_read_b32 v17, a1
	v_accvgpr_read_b32 v13, a3
	;; [unrolled: 1-line block ×4, first 2 shown]
	v_pk_fma_f32 v[6:7], v[6:7], v[14:15], v[16:17]
	v_pk_fma_f32 v[8:9], v[8:9], v[10:11], v[12:13]
	v_mov_b32_e32 v10, v34
.LBB725_77:
	s_mul_i32 s0, s49, s35
	s_mul_hi_u32 s1, s49, s34
	s_add_i32 s0, s1, s0
	s_mul_i32 s1, s33, s34
	s_add_i32 s1, s0, s1
	s_mul_i32 s0, s49, s34
	s_add_u32 s0, s0, s48
	s_addc_u32 s1, s1, s25
	s_lshl_b64 s[0:1], s[0:1], 16
	s_add_u32 s0, s8, s0
	v_lshlrev_b32_e32 v10, 7, v10
	s_addc_u32 s1, s9, s1
	v_ashrrev_i32_e32 v11, 31, v10
	v_lshl_add_u64 v[10:11], v[10:11], 2, s[0:1]
	v_lshlrev_b32_e32 v0, 2, v1
	v_mov_b32_e32 v1, 0
	v_lshl_add_u64 v[0:1], v[10:11], 0, v[0:1]
	global_store_dwordx4 v[0:1], v[2:5], off
	global_store_dwordx4 v[0:1], v[6:9], off offset:256
	s_endpgm
	.section	.rodata,"a",@progbits
	.p2align	6, 0x0
	.amdhsa_kernel _ZN12_GLOBAL__N_139chunk_gated_delta_rule_fwd_h_hip_kernelILi16ELb0ELb1ELb1ELb1ELb0ELb1ELb0ELb0EEEvPK12hip_bfloat16S3_S3_PKfS5_PKvPS1_S8_PvPKiSB_iiiiilll
		.amdhsa_group_segment_fixed_size 40960
		.amdhsa_private_segment_fixed_size 0
		.amdhsa_kernarg_size 136
		.amdhsa_user_sgpr_count 2
		.amdhsa_user_sgpr_dispatch_ptr 0
		.amdhsa_user_sgpr_queue_ptr 0
		.amdhsa_user_sgpr_kernarg_segment_ptr 1
		.amdhsa_user_sgpr_dispatch_id 0
		.amdhsa_user_sgpr_kernarg_preload_length 0
		.amdhsa_user_sgpr_kernarg_preload_offset 0
		.amdhsa_user_sgpr_private_segment_size 0
		.amdhsa_uses_dynamic_stack 0
		.amdhsa_enable_private_segment 0
		.amdhsa_system_sgpr_workgroup_id_x 1
		.amdhsa_system_sgpr_workgroup_id_y 1
		.amdhsa_system_sgpr_workgroup_id_z 0
		.amdhsa_system_sgpr_workgroup_info 0
		.amdhsa_system_vgpr_workitem_id 0
		.amdhsa_next_free_vgpr 128
		.amdhsa_next_free_sgpr 70
		.amdhsa_accum_offset 116
		.amdhsa_reserve_vcc 1
		.amdhsa_float_round_mode_32 0
		.amdhsa_float_round_mode_16_64 0
		.amdhsa_float_denorm_mode_32 3
		.amdhsa_float_denorm_mode_16_64 3
		.amdhsa_dx10_clamp 1
		.amdhsa_ieee_mode 1
		.amdhsa_fp16_overflow 0
		.amdhsa_tg_split 0
		.amdhsa_exception_fp_ieee_invalid_op 0
		.amdhsa_exception_fp_denorm_src 0
		.amdhsa_exception_fp_ieee_div_zero 0
		.amdhsa_exception_fp_ieee_overflow 0
		.amdhsa_exception_fp_ieee_underflow 0
		.amdhsa_exception_fp_ieee_inexact 0
		.amdhsa_exception_int_div_zero 0
	.end_amdhsa_kernel
	.section	.text._ZN12_GLOBAL__N_139chunk_gated_delta_rule_fwd_h_hip_kernelILi16ELb0ELb1ELb1ELb1ELb0ELb1ELb0ELb0EEEvPK12hip_bfloat16S3_S3_PKfS5_PKvPS1_S8_PvPKiSB_iiiiilll,"axG",@progbits,_ZN12_GLOBAL__N_139chunk_gated_delta_rule_fwd_h_hip_kernelILi16ELb0ELb1ELb1ELb1ELb0ELb1ELb0ELb0EEEvPK12hip_bfloat16S3_S3_PKfS5_PKvPS1_S8_PvPKiSB_iiiiilll,comdat
.Lfunc_end725:
	.size	_ZN12_GLOBAL__N_139chunk_gated_delta_rule_fwd_h_hip_kernelILi16ELb0ELb1ELb1ELb1ELb0ELb1ELb0ELb0EEEvPK12hip_bfloat16S3_S3_PKfS5_PKvPS1_S8_PvPKiSB_iiiiilll, .Lfunc_end725-_ZN12_GLOBAL__N_139chunk_gated_delta_rule_fwd_h_hip_kernelILi16ELb0ELb1ELb1ELb1ELb0ELb1ELb0ELb0EEEvPK12hip_bfloat16S3_S3_PKfS5_PKvPS1_S8_PvPKiSB_iiiiilll
                                        ; -- End function
	.section	.AMDGPU.csdata,"",@progbits
; Kernel info:
; codeLenInByte = 8316
; NumSgprs: 76
; NumVgprs: 116
; NumAgprs: 12
; TotalNumVgprs: 128
; ScratchSize: 0
; MemoryBound: 0
; FloatMode: 240
; IeeeMode: 1
; LDSByteSize: 40960 bytes/workgroup (compile time only)
; SGPRBlocks: 9
; VGPRBlocks: 15
; NumSGPRsForWavesPerEU: 76
; NumVGPRsForWavesPerEU: 128
; AccumOffset: 116
; Occupancy: 1
; WaveLimiterHint : 1
; COMPUTE_PGM_RSRC2:SCRATCH_EN: 0
; COMPUTE_PGM_RSRC2:USER_SGPR: 2
; COMPUTE_PGM_RSRC2:TRAP_HANDLER: 0
; COMPUTE_PGM_RSRC2:TGID_X_EN: 1
; COMPUTE_PGM_RSRC2:TGID_Y_EN: 1
; COMPUTE_PGM_RSRC2:TGID_Z_EN: 0
; COMPUTE_PGM_RSRC2:TIDIG_COMP_CNT: 0
; COMPUTE_PGM_RSRC3_GFX90A:ACCUM_OFFSET: 28
; COMPUTE_PGM_RSRC3_GFX90A:TG_SPLIT: 0
	.section	.text._ZN12_GLOBAL__N_139chunk_gated_delta_rule_fwd_h_hip_kernelILi16ELb0ELb1ELb0ELb1ELb0ELb1ELb0ELb0EEEvPK12hip_bfloat16S3_S3_PKfS5_PKvPS1_S8_PvPKiSB_iiiiilll,"axG",@progbits,_ZN12_GLOBAL__N_139chunk_gated_delta_rule_fwd_h_hip_kernelILi16ELb0ELb1ELb0ELb1ELb0ELb1ELb0ELb0EEEvPK12hip_bfloat16S3_S3_PKfS5_PKvPS1_S8_PvPKiSB_iiiiilll,comdat
	.globl	_ZN12_GLOBAL__N_139chunk_gated_delta_rule_fwd_h_hip_kernelILi16ELb0ELb1ELb0ELb1ELb0ELb1ELb0ELb0EEEvPK12hip_bfloat16S3_S3_PKfS5_PKvPS1_S8_PvPKiSB_iiiiilll ; -- Begin function _ZN12_GLOBAL__N_139chunk_gated_delta_rule_fwd_h_hip_kernelILi16ELb0ELb1ELb0ELb1ELb0ELb1ELb0ELb0EEEvPK12hip_bfloat16S3_S3_PKfS5_PKvPS1_S8_PvPKiSB_iiiiilll
	.p2align	8
	.type	_ZN12_GLOBAL__N_139chunk_gated_delta_rule_fwd_h_hip_kernelILi16ELb0ELb1ELb0ELb1ELb0ELb1ELb0ELb0EEEvPK12hip_bfloat16S3_S3_PKfS5_PKvPS1_S8_PvPKiSB_iiiiilll,@function
_ZN12_GLOBAL__N_139chunk_gated_delta_rule_fwd_h_hip_kernelILi16ELb0ELb1ELb0ELb1ELb0ELb1ELb0ELb0EEEvPK12hip_bfloat16S3_S3_PKfS5_PKvPS1_S8_PvPKiSB_iiiiilll: ; @_ZN12_GLOBAL__N_139chunk_gated_delta_rule_fwd_h_hip_kernelILi16ELb0ELb1ELb0ELb1ELb0ELb1ELb0ELb0EEEvPK12hip_bfloat16S3_S3_PKfS5_PKvPS1_S8_PvPKiSB_iiiiilll
; %bb.0:
	s_load_dwordx4 s[16:19], s[0:1], 0x5c
	s_load_dwordx4 s[20:23], s[0:1], 0x70
	s_abs_i32 s27, s3
	s_ashr_i32 s26, s3, 31
	s_load_dwordx8 s[4:11], s[0:1], 0x0
	s_load_dwordx2 s[36:37], s[0:1], 0x20
	s_load_dwordx2 s[42:43], s[0:1], 0x30
	s_waitcnt lgkmcnt(0)
	s_abs_i32 s28, s17
	v_cvt_f32_u32_e32 v1, s28
	s_sub_i32 s29, 0, s28
	s_ashr_i32 s33, s17, 31
	s_xor_b32 s26, s26, s33
	v_rcp_iflag_f32_e32 v1, v1
	s_load_dwordx4 s[12:15], s[0:1], 0x40
	s_load_dwordx2 s[24:25], s[0:1], 0x50
	v_lshrrev_b32_e32 v53, 6, v0
	v_bfe_u32 v60, v0, 4, 2
	v_mul_f32_e32 v1, 0x4f7ffffe, v1
	v_cvt_u32_f32_e32 v1, v1
	v_lshlrev_b32_e32 v58, 4, v53
	v_lshlrev_b32_e32 v10, 2, v60
	v_and_b32_e32 v59, 63, v0
	v_readfirstlane_b32 s30, v1
	s_mul_i32 s29, s29, s30
	s_mul_hi_u32 s29, s30, s29
	s_add_i32 s30, s30, s29
	s_mul_hi_u32 s29, s27, s30
	s_mul_i32 s30, s29, s28
	s_sub_i32 s27, s27, s30
	s_add_i32 s30, s29, 1
	s_sub_i32 s31, s27, s28
	s_cmp_ge_u32 s27, s28
	s_cselect_b32 s29, s30, s29
	s_cselect_b32 s27, s31, s27
	s_add_i32 s30, s29, 1
	s_cmp_ge_u32 s27, s28
	s_cselect_b32 s27, s30, s29
	s_xor_b32 s27, s27, s26
	s_sub_i32 s34, s27, s26
	s_mul_i32 s26, s34, s17
	s_ashr_i32 s35, s34, 31
	s_sub_i32 s46, s3, s26
	s_lshl_b64 s[26:27], s[34:35], 2
	s_waitcnt lgkmcnt(0)
	s_add_u32 s14, s14, s26
	s_addc_u32 s15, s15, s27
	s_add_u32 s24, s24, s26
	s_addc_u32 s25, s25, s27
	s_abs_i32 s3, s18
	v_cvt_f32_u32_e32 v1, s3
	s_load_dwordx2 s[38:39], s[14:15], 0x0
	s_sub_i32 s15, 0, s3
	s_load_dword s53, s[24:25], 0x0
	v_rcp_iflag_f32_e32 v1, v1
	v_mov_b32_e32 v9, 0
	s_waitcnt lgkmcnt(0)
	s_sub_i32 s51, s39, s38
	s_ashr_i32 s14, s51, 31
	v_mul_f32_e32 v1, 0x4f7ffffe, v1
	v_cvt_u32_f32_e32 v1, v1
	s_lshr_b32 s14, s14, 26
	s_add_i32 s14, s51, s14
	s_ashr_i32 s52, s14, 6
	v_readfirstlane_b32 s26, v1
	s_mul_i32 s15, s15, s26
	s_mul_hi_u32 s15, s26, s15
	s_add_i32 s26, s26, s15
	s_mul_hi_u32 s15, s28, s26
	s_mul_i32 s26, s15, s3
	s_ashr_i32 s14, s18, 31
	s_sub_i32 s26, s28, s26
	s_xor_b32 s14, s33, s14
	s_add_i32 s27, s15, 1
	s_sub_i32 s28, s26, s3
	s_cmp_ge_u32 s26, s3
	s_cselect_b32 s15, s27, s15
	s_cselect_b32 s26, s28, s26
	s_add_i32 s27, s15, 1
	s_cmp_ge_u32 s26, s3
	s_cselect_b32 s3, s27, s15
	s_xor_b32 s3, s3, s14
	s_sub_i32 s3, s3, s14
	s_abs_i32 s26, s3
	v_cvt_f32_u32_e32 v1, s26
	s_load_dwordx2 s[14:15], s[0:1], 0x80
	s_xor_b32 s0, s46, s3
	s_sub_i32 s3, 0, s26
	v_rcp_iflag_f32_e32 v1, v1
	s_abs_i32 s1, s46
	s_ashr_i32 s0, s0, 31
	s_mov_b32 s47, s17
	v_mul_f32_e32 v1, 0x4f7ffffe, v1
	v_cvt_u32_f32_e32 v1, v1
	v_and_b32_e32 v61, 15, v0
	s_mul_hi_i32 s54, s46, s16
	s_mul_i32 s55, s46, s16
	v_readfirstlane_b32 s24, v1
	s_mul_i32 s3, s3, s24
	s_mul_hi_u32 s3, s24, s3
	s_add_i32 s24, s24, s3
	s_mul_hi_u32 s3, s1, s24
	s_mul_i32 s24, s3, s26
	s_sub_i32 s1, s1, s24
	s_add_i32 s24, s3, 1
	s_sub_i32 s25, s1, s26
	s_cmp_ge_u32 s1, s26
	s_cselect_b32 s3, s24, s3
	s_cselect_b32 s1, s25, s1
	s_add_i32 s24, s3, 1
	s_cmp_ge_u32 s1, s26
	s_cselect_b32 s1, s24, s3
	s_xor_b32 s1, s1, s0
	s_sub_i32 s56, s1, s0
	v_or_b32_e32 v1, v10, v58
	s_lshl_b32 s2, s2, 4
	v_or_b32_e32 v64, 64, v1
	s_cmp_lt_i32 s51, 64
	v_lshrrev_b32_e32 v63, 3, v59
	v_lshlrev_b32_e32 v62, 3, v0
	s_mul_i32 s48, s34, s21
	s_mul_hi_u32 s49, s34, s20
	s_mul_i32 s50, s35, s20
	s_mul_i32 s40, s34, s20
	v_mov_b32_e32 v8, v9
	v_mov_b32_e32 v7, v9
	;; [unrolled: 1-line block ×7, first 2 shown]
	s_cbranch_scc1 .LBB726_18
; %bb.1:
	s_ashr_i32 s58, s46, 31
	s_ashr_i32 s1, s38, 31
	s_add_u32 s0, s55, s38
	s_addc_u32 s1, s54, s1
	s_lshl_b64 s[0:1], s[0:1], 8
	v_and_b32_e32 v66, 56, v62
	s_add_u32 s24, s6, s0
	v_lshl_or_b32 v65, v53, 3, v63
	v_lshlrev_b32_e32 v3, 1, v66
	s_addc_u32 s0, s7, s1
	v_lshl_or_b32 v67, v65, 8, v3
	s_and_b32 s25, s0, 0xffff
	s_mov_b32 s27, 0x20000
	s_movk_i32 s26, 0x4000
	s_movk_i32 s0, 0x80
	v_or_b32_e32 v68, 0x2000, v67
	buffer_load_dwordx4 v[4:7], v67, s[24:27], 0 offen
	buffer_load_dwordx4 v[12:15], v67, s[24:27], s0 offen
	;; [unrolled: 1-line block ×4, first 2 shown]
	v_lshlrev_b32_e32 v2, 3, v65
	v_and_or_b32 v9, v0, 7, v2
	v_and_b32_e32 v2, 0x78, v2
	v_lshlrev_b32_e32 v9, 4, v9
	v_xor_b32_e32 v69, v9, v2
	v_mul_lo_u32 v8, v65, s19
	v_or_b32_e32 v70, 0x1000, v69
	v_xor_b32_e32 v2, 8, v69
	s_cmpk_eq_i32 s19, 0x80
	s_mov_b32 s57, s38
	v_xor_b32_e32 v9, 8, v70
	s_cselect_b64 s[0:1], -1, 0
	s_cmpk_lg_i32 s19, 0x80
	s_waitcnt vmcnt(3)
	ds_write_b64 v69, v[4:5] offset:16384
	ds_write_b64 v2, v[6:7] offset:16384
	s_waitcnt vmcnt(2)
	ds_write_b64 v69, v[12:13] offset:24576
	ds_write_b64 v2, v[14:15] offset:24576
	;; [unrolled: 3-line block ×4, first 2 shown]
	v_lshl_add_u32 v2, v8, 1, v66
	s_cbranch_scc0 .LBB726_3
; %bb.2:
	v_lshlrev_b32_e32 v6, 1, v2
	v_add_lshl_u32 v5, v2, s19, 1
	s_lshl_b32 s26, s19, 7
	v_lshl_or_b32 v4, v65, 9, v3
	s_cbranch_execz .LBB726_4
	s_branch .LBB726_5
.LBB726_3:
                                        ; implicit-def: $vgpr5
                                        ; implicit-def: $vgpr6
                                        ; implicit-def: $sgpr26
	v_lshl_or_b32 v4, v65, 9, v3
.LBB726_4:
	v_or_b32_e32 v5, 0x100, v4
	s_movk_i32 s26, 0x4000
	v_mov_b32_e32 v6, v4
.LBB726_5:
	s_mul_i32 s20, s38, s18
	s_ashr_i32 s59, s56, 31
	s_mul_hi_i32 s3, s38, s18
	s_add_u32 s20, s20, s56
	s_addc_u32 s21, s3, s59
	s_lshl_b64 s[20:21], s[20:21], 8
	s_add_u32 s24, s4, s20
	s_addc_u32 s3, s5, s21
	s_and_b32 s25, s3, 0xffff
	s_movk_i32 s60, 0x80
	buffer_load_dwordx4 v[12:15], v6, s[24:27], 0 offen
	s_nop 0
	buffer_load_dwordx4 v[6:9], v6, s[24:27], s60 offen
	s_nop 0
	buffer_load_dwordx4 v[16:19], v5, s[24:27], 0 offen
	buffer_load_dwordx4 v[20:23], v5, s[24:27], s60 offen
	v_and_b32_e32 v3, 6, v0
	v_lshlrev_b32_e32 v11, 2, v61
	v_lshlrev_b32_e32 v24, 3, v61
	v_xor_b32_e32 v26, v65, v3
	v_and_b32_e32 v5, 1, v0
	v_lshl_or_b32 v24, v1, 5, v24
	v_xor_b32_e32 v27, v1, v11
	v_lshlrev_b32_e32 v26, 2, v26
	s_mul_i32 s3, s46, s23
	s_mul_hi_u32 s21, s46, s22
	v_or_b32_e32 v71, 0x9000, v24
	v_or_b32_e32 v72, 0x9800, v24
	v_lshlrev_b32_e32 v24, 1, v27
	v_xor_b32_e32 v27, 0x440, v26
	v_cmp_eq_u32_e32 vcc, 0, v5
	s_add_i32 s25, s49, s48
	s_mul_i32 s24, s58, s22
	v_cndmask_b32_e32 v5, v27, v26, vcc
	s_add_i32 s3, s21, s3
	s_add_i32 s41, s25, s50
	s_mov_b32 s61, 0x1000504
	v_lshlrev_b32_e32 v25, 8, v61
	s_mov_b32 s26, 0x8000
	v_xor_b32_e32 v11, v64, v11
	v_lshl_or_b32 v3, v3, 10, v5
	s_add_i32 s21, s3, s24
	s_lshl_b64 s[24:25], s[40:41], 2
	s_mov_b32 s62, 0x3020706
	s_mul_i32 s20, s46, s22
	v_lshlrev_b32_e32 v11, 1, v11
	v_or3_b32 v73, v24, v25, s26
	v_xor_b32_e32 v5, 8, v3
	v_xor_b32_e32 v24, 24, v3
	;; [unrolled: 1-line block ×4, first 2 shown]
	s_add_u32 s3, s10, s24
	v_or3_b32 v74, v11, v25, s26
	v_xor_b32_e32 v11, 16, v3
	v_xor_b32_e32 v25, 32, v3
	;; [unrolled: 1-line block ×3, first 2 shown]
	v_add_u32_e32 v5, 0x80, v5
	v_add_u32_e32 v24, 0x80, v24
	;; [unrolled: 1-line block ×4, first 2 shown]
	s_addc_u32 s24, s11, s25
	s_lshl_b64 s[20:21], s[20:21], 2
	s_add_u32 s20, s3, s20
	s_movk_i32 s3, 0xf8
	s_addc_u32 s21, s24, s21
	s_lshl_b32 s30, s19, 7
	s_mov_b32 s63, 0
	v_add_u32_e32 v85, v58, v10
	v_mov_b32_e32 v96, 0x3fb8aa3b
	s_waitcnt vmcnt(1)
	v_perm_b32 v29, v12, v16, s61
	s_waitcnt vmcnt(0)
	v_perm_b32 v30, v6, v20, s61
	v_perm_b32 v12, v12, v16, s62
	;; [unrolled: 1-line block ×15, first 2 shown]
	ds_write2st64_b32 v3, v29, v30 offset1:32
	ds_write2st64_b32 v5, v12, v6 offset1:32
	ds_write2st64_b32 v11, v16, v20 offset0:1 offset1:33
	ds_write2st64_b32 v24, v13, v7 offset0:1 offset1:33
	;; [unrolled: 1-line block ×6, first 2 shown]
	v_or_b32_e32 v3, v58, v61
	v_lshlrev_b32_e32 v3, 3, v3
	v_lshrrev_b32_e32 v7, 5, v59
	v_and_or_b32 v7, v3, s3, v7
	v_lshlrev_b32_e32 v7, 4, v7
	v_lshlrev_b32_e32 v11, 11, v53
	v_and_b32_e32 v3, 0x78, v3
	v_or_b32_e32 v12, 32, v7
	v_and_b32_e32 v6, 0x1000, v11
	v_lshrrev_b32_e32 v9, 1, v59
	v_xor_b32_e32 v12, v12, v3
	v_and_b32_e32 v9, 8, v9
	v_or_b32_e32 v12, v12, v6
	v_xor_b32_e32 v8, v7, v3
	v_xor_b32_e32 v77, v12, v9
	v_or_b32_e32 v12, 64, v7
	v_or_b32_e32 v7, 0x60, v7
	;; [unrolled: 1-line block ×3, first 2 shown]
	v_xor_b32_e32 v12, v12, v3
	v_xor_b32_e32 v3, v7, v3
	;; [unrolled: 1-line block ×3, first 2 shown]
	v_and_b32_e32 v8, 0x78, v62
	v_or_b32_e32 v3, v3, v6
	v_lshl_or_b32 v8, v60, 7, v8
	v_xor_b32_e32 v79, v3, v9
	v_lshlrev_b32_e32 v13, 1, v2
	v_add_lshl_u32 v14, v2, s19, 1
	v_lshrrev_b32_e32 v2, 4, v0
	v_lshlrev_b32_e32 v3, 1, v61
	v_or_b32_e32 v76, 0x9000, v8
	v_or_b32_e32 v80, 0x9800, v8
	s_ashr_i32 s3, s2, 31
	v_or_b32_e32 v8, 1, v3
	v_xor_b32_e32 v3, v2, v3
	s_lshl_b64 s[24:25], s[2:3], 8
	v_xor_b32_e32 v8, v8, v2
	v_lshlrev_b32_e32 v3, 3, v3
	v_lshlrev_b32_e32 v2, 8, v2
	s_add_u32 s24, s42, s24
	v_or3_b32 v81, v3, v2, s26
	v_lshlrev_b32_e32 v3, 3, v8
	v_or_b32_e32 v12, v12, v6
	s_addc_u32 s25, s43, s25
	v_or3_b32 v82, v3, v2, s26
	v_mov_b32_e32 v3, 0
	v_lshrrev_b32_e32 v18, 1, v0
	v_xor_b32_e32 v78, v12, v9
	v_lshl_add_u64 v[8:9], s[24:25], 0, v[2:3]
	v_lshlrev_b32_e32 v2, 4, v61
	s_movk_i32 s3, 0xff
	v_lshlrev_b32_e32 v17, 3, v53
	v_and_b32_e32 v18, 24, v18
	v_lshl_add_u64 v[54:55], v[8:9], 0, v[2:3]
	v_and_b32_e32 v2, 7, v0
	v_and_b32_e32 v9, 8, v0
	v_cmp_lt_u32_e32 vcc, s3, v0
	v_xor_b32_e32 v19, v17, v18
	v_lshlrev_b32_e32 v12, 3, v2
	v_lshlrev_b32_e32 v16, 7, v2
	v_cndmask_b32_e64 v2, 0, 1, vcc
	v_or_b32_e32 v20, 0x440, v19
	v_cmp_eq_u32_e32 vcc, 0, v9
	v_or_b32_e32 v22, 64, v18
	v_xor_b32_e32 v22, v17, v22
	v_cndmask_b32_e32 v9, v20, v19, vcc
	v_or_b32_e32 v20, 32, v18
	v_or_b32_e32 v18, 0x60, v18
	v_xor_b32_e32 v20, v17, v20
	v_xor_b32_e32 v17, v17, v18
	v_or_b32_e32 v21, 0x440, v20
	v_xor_b32_e32 v23, 0x440, v22
	v_xor_b32_e32 v18, 0x440, v17
	v_cndmask_b32_e32 v20, v21, v20, vcc
	v_cndmask_b32_e32 v22, v23, v22, vcc
	v_cndmask_b32_e32 v17, v18, v17, vcc
	v_lshrrev_b32_e32 v5, 2, v59
	v_or_b32_e32 v6, s2, v61
	v_or_b32_e32 v9, v9, v11
	;; [unrolled: 1-line block ×5, first 2 shown]
	v_and_b32_e32 v5, 12, v5
	v_ashrrev_i32_e32 v7, 31, v6
	v_lshlrev_b32_e32 v2, 13, v2
	v_xor_b32_e32 v9, v9, v12
	v_xor_b32_e32 v20, v20, v12
	;; [unrolled: 1-line block ×4, first 2 shown]
	v_lshl_add_u64 v[6:7], v[6:7], 1, s[8:9]
	v_or_b32_e32 v15, 0x100, v4
	v_or_b32_e32 v8, v5, v58
	v_add_u32_e32 v19, v2, v9
	v_add_u32_e32 v21, v2, v20
	;; [unrolled: 1-line block ×4, first 2 shown]
	v_or3_b32 v12, v58, v5, 64
	v_add_u32_e32 v5, 0x2000, v9
	v_add_u32_e32 v9, 0x2000, v20
	;; [unrolled: 1-line block ×4, first 2 shown]
	v_lshlrev_b32_e32 v2, 8, v1
	v_cndmask_b32_e64 v83, v13, v4, s[0:1]
	v_cndmask_b32_e64 v84, v14, v15, s[0:1]
	v_lshl_add_u64 v[56:57], v[6:7], 0, v[2:3]
	s_mov_b32 s3, 0x7060302
	s_movk_i32 s26, 0x4000
	v_lshlrev_b32_e32 v86, 2, v8
	v_add_u32_e32 v87, v19, v16
	v_add_u32_e32 v88, v21, v16
	;; [unrolled: 1-line block ×4, first 2 shown]
	v_lshlrev_b32_e32 v91, 2, v12
	v_add_u32_e32 v92, v5, v16
	v_add_u32_e32 v93, v9, v16
	;; [unrolled: 1-line block ×4, first 2 shown]
	v_mov_b32_e32 v2, v3
	v_mov_b32_e32 v4, v3
	;; [unrolled: 1-line block ×7, first 2 shown]
	s_waitcnt lgkmcnt(0)
	s_barrier
.LBB726_6:                              ; =>This Inner Loop Header: Depth=1
	s_add_i32 s41, s63, 1
	s_cmp_lt_i32 s41, s52
	s_mov_b64 s[28:29], 0
	s_cselect_b64 s[44:45], -1, 0
	s_cmp_ge_i32 s41, s52
	s_mov_b64 s[24:25], 0
	s_cbranch_scc1 .LBB726_8
; %bb.7:                                ;   in Loop: Header=BB726_6 Depth=1
	s_add_i32 s0, s57, 64
	s_ashr_i32 s1, s0, 31
	s_add_u32 s0, s55, s0
	s_addc_u32 s1, s54, s1
	s_lshl_b64 s[0:1], s[0:1], 8
	s_add_u32 s24, s6, s0
	s_addc_u32 s25, s7, s1
.LBB726_8:                              ;   in Loop: Header=BB726_6 Depth=1
	v_cndmask_b32_e64 v10, 0, 1, s[44:45]
	v_cmp_ne_u32_e64 s[0:1], 1, v10
	s_andn2_b64 vcc, exec, s[44:45]
	s_cbranch_vccnz .LBB726_10
; %bb.9:                                ;   in Loop: Header=BB726_6 Depth=1
	s_add_i32 s28, s57, 64
	s_mul_hi_i32 s29, s28, s18
	s_mul_i32 s28, s28, s18
	s_add_u32 s28, s28, s56
	s_addc_u32 s29, s29, s59
	s_lshl_b64 s[28:29], s[28:29], 8
	s_add_u32 s28, s4, s28
	s_addc_u32 s29, s5, s29
.LBB726_10:                             ;   in Loop: Header=BB726_6 Depth=1
	v_perm_b32 v11, v5, v4, s3
	v_perm_b32 v10, v3, v2, s3
	v_perm_b32 v13, v9, v8, s3
	v_perm_b32 v12, v7, v6, s3
	ds_write_b64 v71, v[10:11]
	ds_write_b64 v72, v[12:13]
	;; [unrolled: 1-line block ×4, first 2 shown]
	s_waitcnt lgkmcnt(0)
	s_barrier
	ds_read_b64 v[18:19], v75 offset:16384
	ds_read_b64 v[20:21], v77 offset:16384
	ds_read2st64_b64 v[10:13], v76 offset1:1
	s_waitcnt lgkmcnt(0)
	v_mfma_f32_16x16x16_bf16 a[0:3], v[18:19], v[10:11], 0
	ds_read2st64_b64 v[14:17], v76 offset0:2 offset1:3
	ds_read_b64 v[22:23], v78 offset:16384
	ds_read_b64 v[10:11], v79 offset:16384
	s_add_i32 s64, s57, 63
	v_mfma_f32_16x16x16_bf16 a[0:3], v[20:21], v[12:13], a[0:3]
	s_ashr_i32 s31, s64, 31
	s_mul_i32 s44, s64, s15
	s_mul_hi_u32 s45, s64, s14
	s_waitcnt lgkmcnt(1)
	v_mfma_f32_16x16x16_bf16 a[0:3], v[22:23], v[14:15], a[0:3]
	s_add_i32 s44, s45, s44
	s_mul_i32 s31, s31, s14
	s_add_i32 s45, s44, s31
	s_mul_i32 s44, s64, s14
	s_waitcnt lgkmcnt(0)
	v_mfma_f32_16x16x16_bf16 a[0:3], v[10:11], v[16:17], a[0:3]
	s_lshl_b64 s[44:45], s[44:45], 2
	s_add_u32 s44, s20, s44
	s_addc_u32 s45, s21, s45
	s_and_b64 vcc, exec, s[0:1]
	v_mov_b32_e32 v99, 0
	v_mov_b32_e32 v98, 0
	;; [unrolled: 1-line block ×19, first 2 shown]
	s_cbranch_vccnz .LBB726_12
; %bb.11:                               ;   in Loop: Header=BB726_6 Depth=1
	s_and_b32 s25, s25, 0xffff
	buffer_load_dwordx4 v[22:25], v67, s[24:27], 0 offen
	buffer_load_dwordx4 v[18:21], v67, s[24:27], s60 offen
	buffer_load_dwordx4 v[14:17], v68, s[24:27], 0 offen
	buffer_load_dwordx4 v[10:13], v68, s[24:27], s60 offen
	v_mov_b32_e32 v98, v69
	v_mov_b32_e32 v97, v70
.LBB726_12:                             ;   in Loop: Header=BB726_6 Depth=1
	v_add_u32_e32 v30, s57, v85
	v_ashrrev_i32_e32 v26, 31, v30
	v_mul_lo_u32 v28, v26, s14
	v_mul_lo_u32 v29, v30, s15
	v_mad_u64_u32 v[26:27], s[24:25], v30, s14, 0
	v_add3_u32 v27, v27, v29, v28
	v_lshl_add_u64 v[26:27], v[26:27], 2, s[20:21]
	global_load_dword v46, v[26:27], off
	v_add_u32_e32 v26, 1, v30
	v_ashrrev_i32_e32 v27, 31, v26
	v_mul_lo_u32 v28, v27, s14
	v_mul_lo_u32 v29, v26, s15
	v_mad_u64_u32 v[26:27], s[24:25], v26, s14, 0
	v_add3_u32 v27, v27, v29, v28
	v_add_u32_e32 v28, 2, v30
	v_ashrrev_i32_e32 v29, 31, v28
	v_mul_lo_u32 v31, v29, s14
	v_mul_lo_u32 v32, v28, s15
	v_mad_u64_u32 v[28:29], s[24:25], v28, s14, 0
	v_add_u32_e32 v30, 3, v30
	v_add3_u32 v29, v29, v32, v31
	v_ashrrev_i32_e32 v31, 31, v30
	v_mul_lo_u32 v34, v31, s14
	v_mul_lo_u32 v35, v30, s15
	v_mad_u64_u32 v[30:31], s[24:25], v30, s14, 0
	s_ashr_i32 s25, s57, 31
	s_add_u32 s24, s55, s57
	s_addc_u32 s25, s54, s25
	s_lshl_b64 s[24:25], s[24:25], 8
	v_lshl_add_u64 v[26:27], v[26:27], 2, s[20:21]
	v_lshl_add_u64 v[32:33], v[56:57], 0, s[24:25]
	v_add3_u32 v31, v31, v35, v34
	v_lshl_add_u64 v[28:29], v[28:29], 2, s[20:21]
	global_load_ushort v47, v[32:33], off
	global_load_ushort v48, v[32:33], off offset:256
	global_load_ushort v49, v[32:33], off offset:512
	;; [unrolled: 1-line block ×3, first 2 shown]
	v_lshl_add_u64 v[30:31], v[30:31], 2, s[20:21]
	global_load_dword v51, v[26:27], off
	global_load_dword v52, v[28:29], off
	;; [unrolled: 1-line block ×3, first 2 shown]
	s_load_dword s24, s[44:45], 0x0
	ds_read_b64 v[34:35], v75 offset:24576
	ds_read2st64_b64 v[30:33], v80 offset1:1
	ds_read2st64_b64 v[36:39], v80 offset0:2 offset1:3
	ds_read_b64 v[40:41], v77 offset:24576
	ds_read_b64 v[42:43], v78 offset:24576
	;; [unrolled: 1-line block ×3, first 2 shown]
	s_waitcnt lgkmcnt(0)
	v_mfma_f32_16x16x16_bf16 a[0:3], v[34:35], v[30:31], a[0:3]
	v_mov_b32_e32 v100, 0
	v_mov_b32_e32 v26, 0
	v_mov_b32_e32 v27, 0
	v_mfma_f32_16x16x16_bf16 a[0:3], v[40:41], v[32:33], a[0:3]
	v_mov_b32_e32 v28, 0
	v_mov_b32_e32 v29, 0
	v_mov_b32_e32 v30, 0
	;; [unrolled: 4-line block ×4, first 2 shown]
	s_and_b64 vcc, exec, s[0:1]
	s_waitcnt vmcnt(7)
	v_sub_f32_e32 v37, s24, v46
	v_mul_f32_e32 v37, 0x3fb8aa3b, v37
	v_exp_f32_e32 v46, v37
	v_accvgpr_read_b32 v41, a1
	v_accvgpr_read_b32 v39, a3
	;; [unrolled: 1-line block ×4, first 2 shown]
	s_waitcnt vmcnt(6)
	v_lshlrev_b32_e32 v42, 16, v47
	s_waitcnt vmcnt(5)
	v_lshlrev_b32_e32 v43, 16, v48
	;; [unrolled: 2-line block ×3, first 2 shown]
	s_waitcnt vmcnt(2)
	v_sub_f32_e32 v47, s24, v51
	s_waitcnt vmcnt(1)
	v_sub_f32_e32 v48, s24, v52
	;; [unrolled: 2-line block ×3, first 2 shown]
	v_mul_f32_e32 v37, 0x3fb8aa3b, v47
	v_mul_f32_e32 v48, 0x3fb8aa3b, v48
	;; [unrolled: 1-line block ×3, first 2 shown]
	v_exp_f32_e32 v47, v37
	v_exp_f32_e32 v48, v48
	;; [unrolled: 1-line block ×3, first 2 shown]
	v_lshlrev_b32_e32 v45, 16, v50
	v_pk_add_f32 v[40:41], v[42:43], v[40:41] neg_lo:[0,1] neg_hi:[0,1]
	v_pk_add_f32 v[38:39], v[44:45], v[38:39] neg_lo:[0,1] neg_hi:[0,1]
	v_pk_mul_f32 v[40:41], v[46:47], v[40:41]
	v_pk_mul_f32 v[38:39], v[48:49], v[38:39]
	v_mov_b32_e32 v37, 0
	v_perm_b32 v39, v39, v38, s3
	v_perm_b32 v38, v41, v40, s3
	ds_write_b64 v72, v[38:39]
	v_mov_b32_e32 v38, 0
	v_mov_b32_e32 v39, 0
	;; [unrolled: 1-line block ×4, first 2 shown]
	s_cbranch_vccnz .LBB726_14
; %bb.13:                               ;   in Loop: Header=BB726_6 Depth=1
	s_and_b32 s29, s29, 0xffff
	s_mov_b32 s31, s27
	buffer_load_dwordx4 v[38:41], v83, s[28:31], 0 offen
	buffer_load_dwordx4 v[30:33], v83, s[28:31], s60 offen
	;; [unrolled: 1-line block ×4, first 2 shown]
	v_mov_b32_e32 v99, v66
	v_mov_b32_e32 v100, v65
.LBB726_14:                             ;   in Loop: Header=BB726_6 Depth=1
	s_waitcnt lgkmcnt(0)
	s_barrier
	ds_read_b64 v[42:43], v87
	ds_read_b64 v[48:49], v88
	ds_read2st64_b64 v[44:47], v80 offset1:1
	ds_read2st64_b64 v[102:105], v80 offset0:2 offset1:3
	ds_read_b64 v[50:51], v89
	ds_read_b64 v[110:111], v90
	s_add_i32 s25, s53, s63
	s_mul_hi_i32 s29, s25, s47
	s_mul_i32 s25, s25, s47
	s_waitcnt lgkmcnt(3)
	v_mfma_f32_16x16x16_bf16 a[0:3], v[42:43], v[44:45], 0
	ds_read_b64 v[42:43], v92
	s_add_u32 s28, s25, s46
	s_addc_u32 s29, s29, s58
	v_mfma_f32_16x16x16_bf16 a[0:3], v[48:49], v[46:47], a[0:3]
	ds_read_b64 v[48:49], v93
	s_lshl_b64 s[28:29], s[28:29], 15
	s_mul_i32 s31, s64, s47
	s_mul_hi_i32 s25, s64, s47
	s_add_u32 s44, s31, s46
	s_addc_u32 s45, s25, s58
	s_lshl_b64 s[44:45], s[44:45], 9
	s_add_u32 s44, s36, s44
	s_waitcnt lgkmcnt(1)
	v_mfma_f32_16x16x16_bf16 a[4:7], v[42:43], v[44:45], 0
	s_addc_u32 s45, s37, s45
	s_and_b64 vcc, exec, s[0:1]
	v_mfma_f32_16x16x16_bf16 a[0:3], v[50:51], v[102:103], a[0:3]
	ds_read_b64 v[50:51], v94
	ds_read_b64 v[112:113], v95
	global_load_dwordx4 v[42:45], v91, s[44:45]
	s_waitcnt lgkmcnt(2)
	v_mfma_f32_16x16x16_bf16 a[4:7], v[48:49], v[46:47], a[4:7]
	global_load_dwordx4 v[46:49], v86, s[44:45]
	ds_read_b64 v[106:107], v81
	ds_read_b64 v[108:109], v82
	s_waitcnt lgkmcnt(3)
	v_mfma_f32_16x16x16_bf16 a[8:11], v[50:51], v[102:103], a[4:7]
	v_lshl_add_u64 v[50:51], v[54:55], 0, s[28:29]
	s_waitcnt lgkmcnt(0)
	global_store_dwordx4 v[50:51], v[106:109], off
	v_mfma_f32_16x16x16_bf16 a[4:7], v[110:111], v[104:105], a[0:3]
	s_waitcnt vmcnt(2)
	v_mov_b32_e32 v52, v45
	v_mfma_f32_16x16x16_bf16 a[0:3], v[112:113], v[104:105], a[8:11]
	v_mov_b32_e32 v51, v44
	v_mov_b32_e32 v50, v43
	s_cbranch_vccnz .LBB726_16
; %bb.15:                               ;   in Loop: Header=BB726_6 Depth=1
	v_lshrrev_b32_e32 v43, 3, v99
	v_and_b32_e32 v43, 6, v43
	v_xor_b32_e32 v44, v43, v100
	v_lshlrev_b32_e32 v44, 2, v44
	v_and_b32_e32 v45, 8, v99
	v_xor_b32_e32 v99, 0x440, v44
	v_cmp_eq_u32_e32 vcc, 0, v45
	v_perm_b32 v45, v30, v26, s61
	s_nop 0
	v_cndmask_b32_e32 v44, v99, v44, vcc
	v_lshl_or_b32 v43, v43, 10, v44
	v_perm_b32 v44, v38, v34, s61
	s_barrier
	ds_write2st64_b32 v43, v44, v45 offset1:32
	v_xor_b32_e32 v44, 8, v43
	v_perm_b32 v34, v38, v34, s62
	v_perm_b32 v26, v30, v26, s62
	v_add_u32_e32 v30, 0x80, v44
	ds_write2st64_b32 v30, v34, v26 offset1:32
	v_xor_b32_e32 v26, 16, v43
	v_perm_b32 v30, v39, v35, s61
	v_perm_b32 v34, v31, v27, s61
	ds_write2st64_b32 v26, v30, v34 offset0:1 offset1:33
	v_xor_b32_e32 v26, 24, v43
	v_perm_b32 v30, v39, v35, s62
	v_perm_b32 v27, v31, v27, s62
	v_add_u32_e32 v26, 0x80, v26
	ds_write2st64_b32 v26, v30, v27 offset0:1 offset1:33
	v_xor_b32_e32 v26, 32, v43
	v_perm_b32 v27, v40, v36, s61
	v_perm_b32 v30, v32, v28, s61
	ds_write2st64_b32 v26, v27, v30 offset0:2 offset1:34
	v_xor_b32_e32 v26, 40, v43
	v_perm_b32 v27, v40, v36, s62
	v_perm_b32 v28, v32, v28, s62
	v_add_u32_e32 v26, 0x80, v26
	ds_write2st64_b32 v26, v27, v28 offset0:2 offset1:34
	;; [unrolled: 9-line block ×3, first 2 shown]
	ds_write_b64 v98, v[22:23] offset:16384
	v_xor_b32_e32 v22, 8, v98
	ds_write_b64 v22, v[24:25] offset:16384
	ds_write_b64 v98, v[18:19] offset:24576
	;; [unrolled: 1-line block ×4, first 2 shown]
	v_xor_b32_e32 v14, 8, v97
	ds_write_b64 v14, v[16:17] offset:16384
	ds_write_b64 v97, v[10:11] offset:24576
	;; [unrolled: 1-line block ×3, first 2 shown]
.LBB726_16:                             ;   in Loop: Header=BB726_6 Depth=1
	v_mul_f32_e32 v14, s24, v96
	v_exp_f32_e32 v18, v14
	s_waitcnt vmcnt(1)
	v_mul_f32_e32 v14, 0x3fb8aa3b, v46
	v_exp_f32_e32 v20, v14
	v_mul_f32_e32 v14, 0x3fb8aa3b, v47
	v_exp_f32_e32 v21, v14
	;; [unrolled: 2-line block ×4, first 2 shown]
	v_accvgpr_read_b32 v13, a7
	v_accvgpr_read_b32 v11, a5
	;; [unrolled: 1-line block ×3, first 2 shown]
	v_pk_mul_f32 v[20:21], v[18:19], v[20:21] op_sel_hi:[0,1]
	v_pk_fma_f32 v[2:3], v[2:3], v[20:21], v[10:11]
	v_pk_mul_f32 v[10:11], v[18:19], v[22:23] op_sel_hi:[0,1]
	v_mul_f32_e32 v19, 0x3fb8aa3b, v42
	v_exp_f32_e32 v20, v19
	v_mul_f32_e32 v19, 0x3fb8aa3b, v50
	v_exp_f32_e32 v21, v19
	;; [unrolled: 2-line block ×4, first 2 shown]
	v_accvgpr_read_b32 v12, a6
	v_accvgpr_read_b32 v17, a3
	;; [unrolled: 1-line block ×4, first 2 shown]
	v_pk_fma_f32 v[4:5], v[4:5], v[10:11], v[12:13]
	v_pk_mul_f32 v[10:11], v[18:19], v[20:21] op_sel_hi:[0,1]
	v_accvgpr_read_b32 v16, a2
	v_pk_fma_f32 v[6:7], v[6:7], v[10:11], v[14:15]
	v_pk_mul_f32 v[10:11], v[18:19], v[22:23] op_sel_hi:[0,1]
	s_add_i32 s57, s57, 64
	s_cmp_eq_u32 s52, s41
	v_pk_fma_f32 v[8:9], v[8:9], v[10:11], v[16:17]
	s_cbranch_scc1 .LBB726_18
; %bb.17:                               ;   in Loop: Header=BB726_6 Depth=1
	s_mov_b32 s63, s41
	s_branch .LBB726_6
.LBB726_18:
	s_lshl_b32 s3, s52, 6
	s_sub_i32 s51, s51, s3
	s_cmp_gt_i32 s51, 0
	v_or_b32_e32 v34, s2, v61
	s_cbranch_scc1 .LBB726_20
; %bb.19:
	s_ashr_i32 s21, s46, 31
	v_or_b32_e32 v10, s2, v61
	s_cbranch_execz .LBB726_21
	s_branch .LBB726_77
.LBB726_20:
                                        ; implicit-def: $vgpr10
                                        ; implicit-def: $sgpr20_sgpr21
.LBB726_21:
	s_add_i32 s20, s3, s38
	s_ashr_i32 s3, s20, 31
	s_cmpk_lg_i32 s19, 0x80
	s_cselect_b64 s[30:31], -1, 0
	s_and_b64 vcc, exec, s[30:31]
	s_cbranch_vccz .LBB726_23
; %bb.22:
	s_mul_hi_i32 s0, s20, s18
	s_mul_i32 s1, s20, s18
	s_ashr_i32 s18, s56, 31
	s_add_u32 s44, s1, s56
	s_addc_u32 s45, s0, s18
	s_cbranch_execz .LBB726_24
	s_branch .LBB726_25
.LBB726_23:
                                        ; implicit-def: $sgpr44_sgpr45
.LBB726_24:
	s_mul_i32 s1, s56, s16
	s_mul_hi_i32 s0, s56, s16
	s_add_u32 s44, s1, s20
	s_addc_u32 s45, s0, s3
.LBB726_25:
	s_add_i32 s16, s52, s53
	s_ashr_i32 s21, s46, 31
	s_add_u32 s0, s55, s20
	s_addc_u32 s1, s54, s3
	s_mov_b32 s3, 0x7060302
	v_lshlrev_b32_e32 v14, 3, v61
	s_lshl_b64 s[28:29], s[0:1], 8
	v_perm_b32 v11, v5, v4, s3
	v_perm_b32 v10, v3, v2, s3
	;; [unrolled: 1-line block ×4, first 2 shown]
	v_lshlrev_b32_e32 v44, 2, v61
	v_lshl_or_b32 v14, v1, 5, v14
	s_add_u32 s0, s6, s28
	ds_write2st64_b64 v14, v[10:11], v[12:13] offset0:72 offset1:76
	v_xor_b32_e32 v14, v1, v44
	v_lshlrev_b32_e32 v15, 8, v61
	s_addc_u32 s1, s7, s29
	v_lshl_or_b32 v14, v14, 1, v15
	s_mul_hi_i32 s3, s16, s17
	s_mul_i32 s16, s16, s17
	ds_write_b64 v14, v[10:11] offset:32768
	v_xor_b32_e32 v10, v64, v44
	s_add_u32 s6, s16, s46
	v_lshl_or_b32 v10, v10, 1, v15
	s_addc_u32 s7, s3, s21
	v_lshlrev_b32_e32 v11, 1, v61
	ds_write_b64 v10, v[12:13] offset:32768
	v_lshrrev_b32_e32 v10, 4, v0
	s_ashr_i32 s3, s2, 31
	s_lshl_b64 s[6:7], s[6:7], 15
	v_or_b32_e32 v12, 1, v11
	s_add_u32 s6, s42, s6
	v_xor_b32_e32 v11, v10, v11
	v_xor_b32_e32 v12, v12, v10
	v_lshlrev_b32_e32 v14, 8, v10
	s_addc_u32 s7, s43, s7
	s_lshl_b64 s[2:3], s[2:3], 8
	v_lshl_or_b32 v10, v11, 3, v14
	v_lshl_or_b32 v12, v12, 3, v14
	s_waitcnt lgkmcnt(0)
	s_barrier
	s_add_u32 s2, s6, s2
	ds_read_b64 v[10:11], v10 offset:32768
	ds_read_b64 v[12:13], v12 offset:32768
	s_addc_u32 s3, s7, s3
	v_mov_b32_e32 v15, 0
	s_cmp_lg_u32 s51, 64
	v_lshl_add_u64 v[16:17], s[2:3], 0, v[14:15]
	v_lshlrev_b32_e32 v14, 4, v61
	s_cselect_b64 s[6:7], -1, 0
	v_lshl_or_b32 v35, v53, 3, v63
	s_mov_b32 s24, 0
	v_lshl_add_u64 v[14:15], v[16:17], 0, v[14:15]
	v_or_b32_e32 v27, 32, v35
	v_and_b32_e32 v26, 56, v62
	s_and_b64 vcc, exec, s[6:7]
	s_waitcnt lgkmcnt(0)
	global_store_dwordx4 v[14:15], v[10:13], off
	s_cbranch_vccz .LBB726_31
; %bb.26:
	s_mov_b32 s25, s24
	s_mov_b32 s26, s24
	;; [unrolled: 1-line block ×3, first 2 shown]
	v_mov_b64_e32 v[14:15], s[24:25]
	v_mov_b64_e32 v[16:17], s[26:27]
	;; [unrolled: 1-line block ×3, first 2 shown]
	v_cmp_gt_i32_e32 vcc, s51, v35
	v_mov_b64_e32 v[12:13], v[16:17]
	s_and_saveexec_b64 s[2:3], vcc
	s_cbranch_execz .LBB726_28
; %bb.27:
	v_lshlrev_b32_e32 v10, 8, v35
	v_mov_b32_e32 v11, 0
	v_lshl_add_u64 v[12:13], s[0:1], 0, v[10:11]
	v_lshlrev_b32_e32 v10, 1, v26
	v_lshl_add_u64 v[18:19], v[12:13], 0, v[10:11]
	global_load_dwordx4 v[14:17], v[18:19], off
	global_load_dwordx4 v[10:13], v[18:19], off offset:128
.LBB726_28:
	s_or_b64 exec, exec, s[2:3]
	s_mov_b32 s25, s24
	s_mov_b32 s26, s24
	;; [unrolled: 1-line block ×3, first 2 shown]
	v_mov_b64_e32 v[22:23], s[24:25]
	v_mov_b64_e32 v[24:25], s[26:27]
	;; [unrolled: 1-line block ×3, first 2 shown]
	v_cmp_gt_i32_e32 vcc, s51, v27
	v_lshlrev_b32_e32 v28, 7, v27
	v_mov_b64_e32 v[20:21], v[24:25]
	s_and_saveexec_b64 s[2:3], vcc
	s_cbranch_execz .LBB726_30
; %bb.29:
	v_lshlrev_b32_e32 v18, 1, v28
	v_mov_b32_e32 v19, 0
	v_lshl_add_u64 v[20:21], s[0:1], 0, v[18:19]
	v_lshlrev_b32_e32 v18, 1, v26
	v_lshl_add_u64 v[30:31], v[20:21], 0, v[18:19]
	global_load_dwordx4 v[22:25], v[30:31], off
	global_load_dwordx4 v[18:21], v[30:31], off offset:128
.LBB726_30:
	s_or_b64 exec, exec, s[2:3]
	v_lshrrev_b32_e32 v29, 3, v26
	v_lshlrev_b32_e32 v30, 3, v35
	v_or_b32_e32 v29, v30, v29
	v_lshlrev_b32_e32 v29, 4, v29
	v_and_b32_e32 v30, 0x78, v30
	v_xor_b32_e32 v29, v29, v30
	s_branch .LBB726_33
.LBB726_31:
                                        ; implicit-def: $vgpr29
                                        ; implicit-def: $vgpr28
                                        ; implicit-def: $vgpr14_vgpr15_vgpr16_vgpr17
                                        ; implicit-def: $vgpr10_vgpr11_vgpr12_vgpr13
                                        ; implicit-def: $vgpr22_vgpr23_vgpr24_vgpr25
                                        ; implicit-def: $vgpr18_vgpr19_vgpr20_vgpr21
	s_cbranch_execz .LBB726_33
; %bb.32:
	s_waitcnt vmcnt(0)
	v_lshlrev_b32_e32 v10, 1, v26
	v_lshl_or_b32 v28, v35, 8, v10
	s_and_b32 s1, s1, 0xffff
	s_mov_b32 s3, 0x20000
	s_movk_i32 s2, 0x4000
	v_lshl_or_b32 v29, v27, 8, v10
	s_movk_i32 s16, 0x80
	buffer_load_dwordx4 v[14:17], v28, s[0:3], 0 offen
	buffer_load_dwordx4 v[10:13], v28, s[0:3], s16 offen
	buffer_load_dwordx4 v[22:25], v29, s[0:3], 0 offen
	buffer_load_dwordx4 v[18:21], v29, s[0:3], s16 offen
	v_lshrrev_b32_e32 v28, 3, v26
	v_lshlrev_b32_e32 v29, 3, v35
	v_or_b32_e32 v28, v29, v28
	v_lshlrev_b32_e32 v28, 4, v28
	v_and_b32_e32 v29, 0x78, v29
	v_xor_b32_e32 v29, v28, v29
	v_lshlrev_b32_e32 v28, 7, v27
.LBB726_33:
	s_lshl_b64 s[0:1], s[44:45], 8
	s_add_u32 s4, s4, s0
	s_movk_i32 s0, 0x1000
	v_and_or_b32 v27, v28, s0, v29
	s_waitcnt vmcnt(1)
	ds_write_b64 v29, v[14:15] offset:16384
	v_xor_b32_e32 v14, 8, v29
	s_addc_u32 s5, s5, s1
	ds_write_b64 v14, v[16:17] offset:16384
	s_waitcnt vmcnt(0)
	ds_write_b64 v29, v[10:11] offset:24576
	ds_write_b64 v14, v[12:13] offset:24576
	;; [unrolled: 1-line block ×3, first 2 shown]
	v_xor_b32_e32 v10, 8, v27
	s_add_i32 s18, s39, -1
	ds_write_b64 v10, v[24:25] offset:16384
	ds_write_b64 v27, v[18:19] offset:24576
	;; [unrolled: 1-line block ×3, first 2 shown]
	s_mul_i32 s3, s18, s15
	s_mul_hi_u32 s16, s18, s14
	v_or_b32_e32 v10, v58, v61
	s_add_i32 s3, s16, s3
	v_lshlrev_b32_e32 v10, 3, v10
	v_lshrrev_b32_e32 v12, 5, v59
	s_movk_i32 s16, 0xf8
	v_and_or_b32 v12, v10, s16, v12
	v_lshlrev_b32_e32 v45, 11, v53
	v_lshlrev_b32_e32 v20, 4, v12
	v_and_b32_e32 v21, 0x78, v10
	v_and_b32_e32 v22, 0x1000, v45
	v_lshlrev_b32_e32 v11, 2, v0
	v_xor_b32_e32 v10, v20, v21
	v_lshrrev_b32_e32 v12, 1, v59
	v_and_b32_e32 v11, 60, v11
	v_or_b32_e32 v10, v10, v22
	v_and_b32_e32 v23, 8, v12
	v_xor_b32_e32 v36, v10, v23
	v_lshl_or_b32 v10, v60, 6, v11
	v_lshlrev_b32_e32 v46, 1, v10
	v_or_b32_e32 v10, 32, v20
	v_xor_b32_e32 v10, v10, v21
	s_waitcnt lgkmcnt(0)
	s_barrier
	ds_read_b64 v[18:19], v36 offset:16384
	v_or_b32_e32 v10, v10, v22
	v_xor_b32_e32 v37, v10, v23
	v_or_b32_e32 v10, 64, v20
	v_xor_b32_e32 v10, v10, v21
	v_or_b32_e32 v10, v10, v22
	v_or_b32_e32 v20, 0x60, v20
	v_xor_b32_e32 v38, v10, v23
	ds_read2st64_b64 v[10:13], v46 offset0:72 offset1:73
	ds_read2st64_b64 v[14:17], v46 offset0:74 offset1:75
	v_xor_b32_e32 v24, v20, v21
	ds_read_b64 v[20:21], v37 offset:16384
	s_waitcnt lgkmcnt(2)
	v_mfma_f32_16x16x16_bf16 a[0:3], v[18:19], v[10:11], 0
	s_add_i32 s0, s49, s48
	s_add_i32 s41, s0, s50
	s_mul_i32 s0, s46, s23
	s_mul_hi_u32 s1, s46, s22
	s_ashr_i32 s2, s18, 31
	s_add_i32 s0, s1, s0
	s_mul_i32 s1, s21, s22
	s_mul_i32 s2, s2, s14
	v_or_b32_e32 v22, v24, v22
	s_add_i32 s1, s0, s1
	s_mul_i32 s0, s46, s22
	s_add_i32 s3, s3, s2
	s_lshl_b64 s[22:23], s[40:41], 2
	v_xor_b32_e32 v47, v22, v23
	ds_read_b64 v[22:23], v38 offset:16384
	ds_read_b64 v[24:25], v47 offset:16384
	s_waitcnt lgkmcnt(2)
	v_mfma_f32_16x16x16_bf16 a[0:3], v[20:21], v[12:13], a[0:3]
	s_add_u32 s10, s10, s22
	s_addc_u32 s11, s11, s23
	s_lshl_b64 s[0:1], s[0:1], 2
	s_mul_i32 s2, s18, s14
	s_add_u32 s10, s10, s0
	s_addc_u32 s11, s11, s1
	s_lshl_b64 s[0:1], s[2:3], 2
	s_waitcnt lgkmcnt(1)
	v_mfma_f32_16x16x16_bf16 a[0:3], v[22:23], v[14:15], a[0:3]
	s_add_u32 s0, s10, s0
	s_addc_u32 s1, s11, s1
	s_load_dword s16, s[0:1], 0x0
	s_waitcnt lgkmcnt(0)
	v_mfma_f32_16x16x16_bf16 a[0:3], v[24:25], v[16:17], a[0:3]
	s_and_b64 vcc, exec, s[30:31]
	s_cbranch_vccz .LBB726_44
; %bb.34:
	v_lshlrev_b32_e32 v27, 1, v35
	s_and_b64 vcc, exec, s[6:7]
	s_cbranch_vccz .LBB726_45
; %bb.35:
	v_cmp_gt_i32_e32 vcc, s51, v27
	v_mov_b32_e32 v14, 0
	v_mov_b32_e32 v10, 0
	;; [unrolled: 1-line block ×5, first 2 shown]
	s_and_saveexec_b64 s[0:1], vcc
	s_cbranch_execz .LBB726_37
; %bb.36:
	v_mad_i64_i32 v[10:11], s[2:3], s19, v27, 0
	v_lshl_add_u64 v[10:11], v[10:11], 1, s[4:5]
	v_lshlrev_b32_e32 v12, 1, v26
	v_mov_b32_e32 v13, 0
	v_lshl_add_u64 v[10:11], v[10:11], 0, v[12:13]
	global_load_dwordx4 v[10:13], v[10:11], off
.LBB726_37:
	s_or_b64 exec, exec, s[0:1]
	v_or_b32_e32 v28, 1, v27
	v_cmp_gt_i32_e64 s[0:1], s51, v28
	v_mov_b32_e32 v15, 0
	v_mov_b32_e32 v16, 0
	;; [unrolled: 1-line block ×3, first 2 shown]
	s_and_saveexec_b64 s[2:3], s[0:1]
	s_cbranch_execz .LBB726_39
; %bb.38:
	v_mad_i64_i32 v[14:15], s[22:23], s19, v28, 0
	v_lshl_add_u64 v[14:15], v[14:15], 1, s[4:5]
	v_lshlrev_b32_e32 v16, 1, v26
	v_mov_b32_e32 v17, 0
	v_lshl_add_u64 v[14:15], v[14:15], 0, v[16:17]
	global_load_dwordx4 v[14:17], v[14:15], off
.LBB726_39:
	s_or_b64 exec, exec, s[2:3]
	v_mov_b32_e32 v25, 0
	v_mov_b32_e32 v18, 0
	;; [unrolled: 1-line block ×5, first 2 shown]
	s_and_saveexec_b64 s[2:3], vcc
	s_cbranch_execz .LBB726_41
; %bb.40:
	v_mad_i64_i32 v[18:19], s[22:23], s19, v27, 0
	v_lshl_add_u64 v[18:19], v[18:19], 1, s[4:5]
	v_lshlrev_b32_e32 v20, 1, v26
	v_mov_b32_e32 v21, 0
	v_lshl_add_u64 v[18:19], v[18:19], 0, v[20:21]
	global_load_dwordx4 v[18:21], v[18:19], off offset:128
.LBB726_41:
	s_or_b64 exec, exec, s[2:3]
	v_mov_b32_e32 v24, 0
	v_mov_b32_e32 v23, 0
	;; [unrolled: 1-line block ×3, first 2 shown]
	s_and_saveexec_b64 s[2:3], s[0:1]
	s_cbranch_execz .LBB726_43
; %bb.42:
	v_mad_i64_i32 v[22:23], s[0:1], s19, v28, 0
	v_lshl_add_u64 v[22:23], v[22:23], 1, s[4:5]
	v_lshlrev_b32_e32 v24, 1, v26
	v_mov_b32_e32 v25, 0
	v_lshl_add_u64 v[22:23], v[22:23], 0, v[24:25]
	global_load_dwordx4 v[22:25], v[22:23], off offset:128
.LBB726_43:
	s_or_b64 exec, exec, s[2:3]
	s_branch .LBB726_47
.LBB726_44:
                                        ; implicit-def: $vgpr13
                                        ; implicit-def: $vgpr17
                                        ; implicit-def: $vgpr21
                                        ; implicit-def: $vgpr25
	v_lshrrev_b32_e32 v27, 2, v59
	s_branch .LBB726_48
.LBB726_45:
                                        ; implicit-def: $vgpr13
                                        ; implicit-def: $vgpr17
                                        ; implicit-def: $vgpr21
                                        ; implicit-def: $vgpr25
	s_cbranch_execz .LBB726_47
; %bb.46:
	s_waitcnt vmcnt(0)
	v_mad_u64_u32 v[10:11], s[0:1], v27, s19, v[26:27]
	v_lshlrev_b32_e32 v27, 1, v10
	s_lshl_b32 s2, s19, 7
	s_and_b32 s1, s5, 0xffff
	s_mov_b32 s3, 0x20000
	s_mov_b32 s0, s4
	v_add_lshl_u32 v28, v10, s19, 1
	s_movk_i32 s19, 0x80
	buffer_load_dwordx4 v[10:13], v27, s[0:3], 0 offen
	buffer_load_dwordx4 v[18:21], v27, s[0:3], s19 offen
	;; [unrolled: 1-line block ×4, first 2 shown]
.LBB726_47:
	v_lshrrev_b32_e32 v27, 2, v59
	s_cbranch_execnz .LBB726_60
.LBB726_48:
	s_and_b64 vcc, exec, s[6:7]
	s_cbranch_vccz .LBB726_58
; %bb.49:
	s_waitcnt vmcnt(0)
	v_lshlrev_b32_e32 v15, 1, v35
	v_cmp_gt_i32_e32 vcc, s51, v15
	v_mov_b32_e32 v14, 0
	v_lshlrev_b32_e32 v22, 9, v35
	v_mov_b32_e32 v10, 0
	v_mov_b32_e32 v11, 0
	;; [unrolled: 1-line block ×4, first 2 shown]
	s_and_saveexec_b64 s[0:1], vcc
	s_cbranch_execz .LBB726_51
; %bb.50:
	v_mov_b32_e32 v23, 0
	v_lshl_add_u64 v[10:11], s[4:5], 0, v[22:23]
	v_lshlrev_b32_e32 v12, 1, v26
	v_mov_b32_e32 v13, v23
	v_lshl_add_u64 v[10:11], v[10:11], 0, v[12:13]
	global_load_dwordx4 v[10:13], v[10:11], off
.LBB726_51:
	s_or_b64 exec, exec, s[0:1]
	v_or_b32_e32 v15, 1, v15
	v_cmp_gt_i32_e64 s[0:1], s51, v15
	v_lshlrev_b32_e32 v28, 8, v15
	v_mov_b32_e32 v15, 0
	v_mov_b32_e32 v16, 0
	;; [unrolled: 1-line block ×3, first 2 shown]
	s_and_saveexec_b64 s[2:3], s[0:1]
	s_cbranch_execz .LBB726_53
; %bb.52:
	v_mov_b32_e32 v29, 0
	v_lshl_add_u64 v[14:15], s[4:5], 0, v[28:29]
	v_lshlrev_b32_e32 v16, 1, v26
	v_mov_b32_e32 v17, v29
	v_lshl_add_u64 v[14:15], v[14:15], 0, v[16:17]
	global_load_dwordx4 v[14:17], v[14:15], off
.LBB726_53:
	s_or_b64 exec, exec, s[2:3]
	v_mov_b32_e32 v25, 0
	v_mov_b32_e32 v18, 0
	;; [unrolled: 1-line block ×5, first 2 shown]
	s_and_saveexec_b64 s[2:3], vcc
	s_cbranch_execz .LBB726_55
; %bb.54:
	v_mov_b32_e32 v23, 0
	v_lshl_add_u64 v[18:19], s[4:5], 0, v[22:23]
	v_lshlrev_b32_e32 v22, 1, v26
	v_lshl_add_u64 v[18:19], v[18:19], 0, v[22:23]
	global_load_dwordx4 v[18:21], v[18:19], off offset:128
.LBB726_55:
	s_or_b64 exec, exec, s[2:3]
	v_mov_b32_e32 v24, 0
	v_mov_b32_e32 v23, 0
	;; [unrolled: 1-line block ×3, first 2 shown]
	s_and_saveexec_b64 s[2:3], s[0:1]
	s_cbranch_execz .LBB726_57
; %bb.56:
	v_mov_b32_e32 v29, 0
	v_lshl_add_u64 v[22:23], s[4:5], 0, v[28:29]
	v_lshlrev_b32_e32 v28, 1, v26
	v_lshl_add_u64 v[22:23], v[22:23], 0, v[28:29]
	global_load_dwordx4 v[22:25], v[22:23], off offset:128
.LBB726_57:
	s_or_b64 exec, exec, s[2:3]
	s_branch .LBB726_60
.LBB726_58:
                                        ; implicit-def: $vgpr13
                                        ; implicit-def: $vgpr17
                                        ; implicit-def: $vgpr21
                                        ; implicit-def: $vgpr25
	s_cbranch_execz .LBB726_60
; %bb.59:
	s_waitcnt vmcnt(0)
	v_lshlrev_b32_e32 v10, 1, v26
	v_lshl_or_b32 v26, v35, 9, v10
	s_and_b32 s5, s5, 0xffff
	s_mov_b32 s7, 0x20000
	s_movk_i32 s6, 0x4000
	s_movk_i32 s0, 0x80
	buffer_load_dwordx4 v[10:13], v26, s[4:7], 0 offen
	buffer_load_dwordx4 v[14:17], v26, s[4:7], 0 offen offset:256
	buffer_load_dwordx4 v[18:21], v26, s[4:7], s0 offen
	buffer_load_dwordx4 v[22:25], v26, s[4:7], s0 offen offset:256
.LBB726_60:
	v_and_b32_e32 v48, 12, v27
	ds_read2st64_b64 v[30:33], v46 offset0:76 offset1:77
	ds_read2st64_b64 v[26:29], v46 offset0:78 offset1:79
	ds_read_b64 v[40:41], v36 offset:24576
	ds_read_b64 v[42:43], v37 offset:24576
	;; [unrolled: 1-line block ×4, first 2 shown]
	v_and_b32_e32 v47, 6, v0
	v_xor_b32_e32 v35, v35, v47
	v_lshlrev_b32_e32 v35, 2, v35
	v_and_b32_e32 v49, 1, v0
	v_xor_b32_e32 v50, 0x440, v35
	v_cmp_eq_u32_e32 vcc, 0, v49
	s_mov_b32 s0, 0x1000504
	s_waitcnt vmcnt(0)
	v_perm_b32 v49, v18, v22, s0
	v_cndmask_b32_e32 v35, v50, v35, vcc
	v_lshl_or_b32 v35, v47, 10, v35
	v_perm_b32 v47, v10, v14, s0
	ds_write2st64_b32 v35, v47, v49 offset1:32
	v_xor_b32_e32 v47, 8, v35
	s_mov_b32 s1, 0x3020706
	v_perm_b32 v10, v10, v14, s1
	v_perm_b32 v14, v18, v22, s1
	v_add_u32_e32 v18, 0x80, v47
	ds_write2st64_b32 v18, v10, v14 offset1:32
	v_xor_b32_e32 v10, 16, v35
	v_perm_b32 v14, v11, v15, s0
	v_perm_b32 v18, v19, v23, s0
	ds_write2st64_b32 v10, v14, v18 offset0:1 offset1:33
	v_xor_b32_e32 v10, 24, v35
	v_perm_b32 v11, v11, v15, s1
	v_perm_b32 v14, v19, v23, s1
	v_add_u32_e32 v10, 0x80, v10
	ds_write2st64_b32 v10, v11, v14 offset0:1 offset1:33
	v_xor_b32_e32 v10, 32, v35
	v_perm_b32 v11, v12, v16, s0
	v_perm_b32 v14, v20, v24, s0
	ds_write2st64_b32 v10, v11, v14 offset0:2 offset1:34
	v_xor_b32_e32 v10, 40, v35
	v_perm_b32 v11, v12, v16, s1
	v_perm_b32 v12, v20, v24, s1
	v_add_u32_e32 v10, 0x80, v10
	ds_write2st64_b32 v10, v11, v12 offset0:2 offset1:34
	v_xor_b32_e32 v10, 48, v35
	v_perm_b32 v11, v13, v17, s0
	v_perm_b32 v12, v21, v25, s0
	ds_write2st64_b32 v10, v11, v12 offset0:3 offset1:35
	v_xor_b32_e32 v10, 56, v35
	v_or_b32_e32 v16, v48, v58
	v_perm_b32 v11, v13, v17, s1
	v_perm_b32 v12, v21, v25, s1
	v_add_u32_e32 v10, 0x80, v10
	v_cmp_gt_i32_e32 vcc, s51, v16
	v_mov_b32_e32 v17, 0
	v_mov_b32_e32 v21, 0
	ds_write2st64_b32 v10, v11, v12 offset0:3 offset1:35
	s_and_saveexec_b64 s[0:1], vcc
	s_cbranch_execz .LBB726_62
; %bb.61:
	v_add_u32_e32 v10, s20, v16
	v_ashrrev_i32_e32 v11, 31, v10
	v_mul_lo_u32 v12, v11, s14
	v_mul_lo_u32 v13, v10, s15
	v_mad_u64_u32 v[10:11], s[2:3], v10, s14, 0
	v_add3_u32 v11, v11, v13, v12
	v_lshl_add_u64 v[10:11], v[10:11], 2, s[10:11]
	global_load_dword v10, v[10:11], off
	s_waitcnt vmcnt(0)
	v_sub_f32_e32 v10, s16, v10
	v_mul_f32_e32 v10, 0x3fb8aa3b, v10
	v_exp_f32_e32 v21, v10
.LBB726_62:
	s_or_b64 exec, exec, s[0:1]
	v_or_b32_e32 v19, 1, v16
	v_cmp_gt_i32_e64 s[0:1], s51, v19
	s_and_saveexec_b64 s[2:3], s[0:1]
	s_cbranch_execz .LBB726_64
; %bb.63:
	v_add_u32_e32 v10, s20, v19
	v_ashrrev_i32_e32 v11, 31, v10
	v_mul_lo_u32 v12, v11, s14
	v_mul_lo_u32 v13, v10, s15
	v_mad_u64_u32 v[10:11], s[4:5], v10, s14, 0
	v_add3_u32 v11, v11, v13, v12
	v_lshl_add_u64 v[10:11], v[10:11], 2, s[10:11]
	global_load_dword v10, v[10:11], off
	s_waitcnt vmcnt(0)
	v_sub_f32_e32 v10, s16, v10
	v_mul_f32_e32 v10, 0x3fb8aa3b, v10
	v_exp_f32_e32 v17, v10
.LBB726_64:
	s_or_b64 exec, exec, s[2:3]
	v_or_b32_e32 v20, 2, v16
	v_cmp_gt_i32_e64 s[2:3], s51, v20
	v_mov_b32_e32 v18, 0
	v_mov_b32_e32 v23, 0
	s_and_saveexec_b64 s[4:5], s[2:3]
	s_cbranch_execz .LBB726_66
; %bb.65:
	v_add_u32_e32 v10, s20, v20
	v_ashrrev_i32_e32 v11, 31, v10
	v_mul_lo_u32 v12, v11, s14
	v_mul_lo_u32 v13, v10, s15
	v_mad_u64_u32 v[10:11], s[6:7], v10, s14, 0
	v_add3_u32 v11, v11, v13, v12
	v_lshl_add_u64 v[10:11], v[10:11], 2, s[10:11]
	global_load_dword v10, v[10:11], off
	s_waitcnt vmcnt(0)
	v_sub_f32_e32 v10, s16, v10
	v_mul_f32_e32 v10, 0x3fb8aa3b, v10
	v_exp_f32_e32 v23, v10
.LBB726_66:
	s_or_b64 exec, exec, s[4:5]
	v_or_b32_e32 v22, 3, v16
	v_cmp_gt_i32_e64 s[4:5], s51, v22
	s_and_saveexec_b64 s[6:7], s[4:5]
	s_cbranch_execz .LBB726_68
; %bb.67:
	v_add_u32_e32 v10, s20, v22
	v_ashrrev_i32_e32 v11, 31, v10
	v_mul_lo_u32 v12, v11, s14
	v_mul_lo_u32 v13, v10, s15
	v_mad_u64_u32 v[10:11], s[14:15], v10, s14, 0
	v_add3_u32 v11, v11, v13, v12
	v_lshl_add_u64 v[10:11], v[10:11], 2, s[10:11]
	global_load_dword v10, v[10:11], off
	s_waitcnt vmcnt(0)
	v_sub_f32_e32 v10, s16, v10
	v_mul_f32_e32 v10, 0x3fb8aa3b, v10
	v_exp_f32_e32 v18, v10
.LBB726_68:
	s_or_b64 exec, exec, s[6:7]
	s_waitcnt lgkmcnt(11)
	v_mfma_f32_16x16x16_bf16 a[0:3], v[40:41], v[30:31], a[0:3]
	s_add_u32 s6, s8, s28
	v_ashrrev_i32_e32 v35, 31, v34
	s_addc_u32 s7, s9, s29
	s_waitcnt lgkmcnt(10)
	v_mfma_f32_16x16x16_bf16 a[0:3], v[42:43], v[32:33], a[0:3]
	v_mov_b32_e32 v24, 0
	v_lshl_add_u64 v[14:15], v[34:35], 1, s[6:7]
	v_mov_b32_e32 v25, 0
	s_waitcnt lgkmcnt(9)
	v_mfma_f32_16x16x16_bf16 a[0:3], v[38:39], v[26:27], a[0:3]
	s_waitcnt lgkmcnt(8)
	v_mfma_f32_16x16x16_bf16 a[0:3], v[36:37], v[28:29], a[0:3]
	s_nop 6
	v_accvgpr_read_b32 v13, a3
	v_accvgpr_read_b32 v12, a2
	;; [unrolled: 1-line block ×4, first 2 shown]
	s_and_saveexec_b64 s[6:7], vcc
	s_cbranch_execz .LBB726_70
; %bb.69:
	v_lshlrev_b32_e32 v26, 8, v16
	v_mov_b32_e32 v27, 0
	v_lshl_add_u64 v[26:27], v[14:15], 0, v[26:27]
	global_load_ushort v25, v[26:27], off
	s_waitcnt vmcnt(0)
	v_lshlrev_b32_e32 v25, 16, v25
	v_sub_f32_e32 v10, v25, v10
	v_mul_f32_e32 v10, v21, v10
	v_lshrrev_b32_e32 v25, 16, v10
.LBB726_70:
	s_or_b64 exec, exec, s[6:7]
	s_and_saveexec_b64 s[6:7], s[0:1]
	s_cbranch_execz .LBB726_72
; %bb.71:
	v_lshlrev_b32_e32 v26, 8, v19
	v_mov_b32_e32 v27, 0
	v_lshl_add_u64 v[26:27], v[14:15], 0, v[26:27]
	global_load_ushort v10, v[26:27], off
	s_waitcnt vmcnt(0)
	v_lshlrev_b32_e32 v10, 16, v10
	v_sub_f32_e32 v10, v10, v11
	v_mul_f32_e32 v10, v17, v10
	v_lshrrev_b32_e32 v24, 16, v10
.LBB726_72:
	s_or_b64 exec, exec, s[6:7]
	v_mov_b32_e32 v11, 0
	v_mov_b32_e32 v17, 0
	s_and_saveexec_b64 s[0:1], s[2:3]
	s_cbranch_execz .LBB726_74
; %bb.73:
	v_lshlrev_b32_e32 v20, 8, v20
	v_mov_b32_e32 v21, 0
	v_lshl_add_u64 v[20:21], v[14:15], 0, v[20:21]
	global_load_ushort v10, v[20:21], off
	s_waitcnt vmcnt(0)
	v_lshlrev_b32_e32 v10, 16, v10
	v_sub_f32_e32 v10, v10, v12
	v_mul_f32_e32 v10, v23, v10
	v_lshrrev_b32_e32 v17, 16, v10
.LBB726_74:
	s_or_b64 exec, exec, s[0:1]
	v_or_b32_e32 v10, 0x9800, v46
	s_and_saveexec_b64 s[0:1], s[4:5]
	s_cbranch_execz .LBB726_76
; %bb.75:
	v_lshlrev_b32_e32 v20, 8, v22
	v_mov_b32_e32 v21, 0
	v_lshl_add_u64 v[14:15], v[14:15], 0, v[20:21]
	global_load_ushort v11, v[14:15], off
	s_waitcnt vmcnt(0)
	v_lshlrev_b32_e32 v11, 16, v11
	v_sub_f32_e32 v11, v11, v13
	v_mul_f32_e32 v11, v18, v11
	v_lshrrev_b32_e32 v11, 16, v11
.LBB726_76:
	s_or_b64 exec, exec, s[0:1]
	s_mov_b32 s0, 0x5040100
	v_perm_b32 v13, v11, v17, s0
	v_lshlrev_b32_e32 v11, 1, v44
	v_perm_b32 v12, v24, v25, s0
	v_lshl_or_b32 v11, v16, 5, v11
	s_movk_i32 s2, 0xff
	ds_write_b64 v11, v[12:13] offset:38912
	v_and_b32_e32 v11, 7, v0
	v_cmp_lt_u32_e32 vcc, s2, v0
	v_and_b32_e32 v12, 8, v0
	v_lshlrev_b32_e32 v20, 3, v11
	v_lshlrev_b32_e32 v32, 7, v11
	v_cndmask_b32_e64 v11, 0, 1, vcc
	v_lshrrev_b32_e32 v0, 1, v0
	v_lshlrev_b32_e32 v22, 13, v11
	v_lshlrev_b32_e32 v11, 3, v53
	v_and_b32_e32 v0, 24, v0
	v_xor_b32_e32 v13, v11, v0
	v_or_b32_e32 v14, 0x440, v13
	v_cmp_eq_u32_e32 vcc, 0, v12
	s_mul_i32 s0, s18, s17
	s_mul_hi_i32 s1, s18, s17
	v_cndmask_b32_e32 v12, v14, v13, vcc
	v_or_b32_e32 v12, v12, v45
	v_xor_b32_e32 v33, v12, v20
	v_or_b32_e32 v12, 32, v0
	v_xor_b32_e32 v12, v11, v12
	v_or_b32_e32 v13, 0x440, v12
	v_cndmask_b32_e32 v12, v13, v12, vcc
	v_or_b32_e32 v12, v12, v45
	v_xor_b32_e32 v35, v12, v20
	v_or_b32_e32 v12, 64, v0
	v_xor_b32_e32 v12, v11, v12
	v_xor_b32_e32 v13, 0x440, v12
	v_cndmask_b32_e32 v12, v13, v12, vcc
	v_or_b32_e32 v0, 0x60, v0
	s_add_u32 s0, s0, s46
	v_add3_u32 v23, v22, v33, v32
	v_or_b32_e32 v12, v12, v45
	v_xor_b32_e32 v0, v11, v0
	s_waitcnt lgkmcnt(0)
	s_barrier
	s_addc_u32 s1, s1, s21
	v_lshlrev_b32_e32 v21, 2, v16
	v_xor_b32_e32 v36, v12, v20
	ds_read2st64_b64 v[12:15], v10 offset1:1
	ds_read2st64_b64 v[16:19], v10 offset0:2 offset1:3
	ds_read_b64 v[10:11], v23
	v_xor_b32_e32 v23, 0x440, v0
	s_lshl_b64 s[0:1], s[0:1], 9
	v_cndmask_b32_e32 v0, v23, v0, vcc
	s_add_u32 s0, s36, s0
	v_or_b32_e32 v0, v0, v45
	s_addc_u32 s1, s37, s1
	v_add3_u32 v24, v22, v35, v32
	v_xor_b32_e32 v37, v0, v20
	v_add3_u32 v26, v22, v36, v32
	v_add3_u32 v0, v22, v37, v32
	ds_read_b64 v[24:25], v24
	ds_read_b64 v[28:29], v26
	;; [unrolled: 1-line block ×3, first 2 shown]
	global_load_dwordx4 v[20:23], v21, s[0:1]
	s_waitcnt lgkmcnt(3)
	v_mfma_f32_16x16x16_bf16 a[0:3], v[10:11], v[12:13], 0
	v_lshlrev_b32_e32 v0, 6, v53
	v_lshlrev_b32_e32 v10, 2, v48
	s_movk_i32 s2, 0x100
	v_or3_b32 v0, v0, v10, s2
	s_waitcnt lgkmcnt(2)
	v_mfma_f32_16x16x16_bf16 a[0:3], v[24:25], v[14:15], a[0:3]
	global_load_dwordx4 v[24:27], v0, s[0:1]
	v_mov_b32_e32 v0, 0x3fb8aa3b
	v_mul_f32_e32 v0, s16, v0
	s_waitcnt lgkmcnt(1)
	v_mfma_f32_16x16x16_bf16 a[0:3], v[28:29], v[16:17], a[0:3]
	v_exp_f32_e32 v0, v0
	v_add_u32_e32 v33, v33, v32
	v_add_u32_e32 v35, v35, v32
	s_waitcnt lgkmcnt(0)
	v_mfma_f32_16x16x16_bf16 a[0:3], v[30:31], v[18:19], a[0:3]
	ds_read_b64 v[30:31], v33 offset:8192
	s_waitcnt vmcnt(1)
	v_mul_f32_e32 v20, 0x3fb8aa3b, v20
	v_mul_f32_e32 v21, 0x3fb8aa3b, v21
	v_exp_f32_e32 v20, v20
	v_exp_f32_e32 v21, v21
	s_nop 0
	v_accvgpr_read_b32 v29, a1
	v_accvgpr_read_b32 v28, a0
	v_mul_f32_e32 v22, 0x3fb8aa3b, v22
	v_pk_mul_f32 v[20:21], v[0:1], v[20:21] op_sel_hi:[0,1]
	v_pk_fma_f32 v[2:3], v[2:3], v[20:21], v[28:29]
	ds_read_b64 v[20:21], v35 offset:8192
	v_mul_f32_e32 v23, 0x3fb8aa3b, v23
	v_exp_f32_e32 v22, v22
	v_exp_f32_e32 v23, v23
	v_accvgpr_read_b32 v11, a3
	v_accvgpr_read_b32 v10, a2
	s_waitcnt lgkmcnt(1)
	v_mfma_f32_16x16x16_bf16 a[0:3], v[30:31], v[12:13], 0
	v_pk_mul_f32 v[22:23], v[0:1], v[22:23] op_sel_hi:[0,1]
	v_pk_fma_f32 v[4:5], v[4:5], v[22:23], v[10:11]
	v_add_u32_e32 v10, v36, v32
	v_add_u32_e32 v11, v37, v32
	ds_read_b64 v[22:23], v10 offset:8192
	ds_read_b64 v[28:29], v11 offset:8192
	s_waitcnt lgkmcnt(2)
	v_mfma_f32_16x16x16_bf16 a[0:3], v[20:21], v[14:15], a[0:3]
	s_waitcnt vmcnt(0)
	v_mov_b32_e32 v10, v25
	v_mov_b32_e32 v11, v26
	;; [unrolled: 1-line block ×3, first 2 shown]
	s_waitcnt lgkmcnt(1)
	v_mfma_f32_16x16x16_bf16 a[0:3], v[22:23], v[16:17], a[0:3]
	v_mul_f32_e32 v10, 0x3fb8aa3b, v10
	v_mul_f32_e32 v13, 0x3fb8aa3b, v24
	v_exp_f32_e32 v25, v10
	v_mul_f32_e32 v10, 0x3fb8aa3b, v11
	v_mul_f32_e32 v11, 0x3fb8aa3b, v12
	s_waitcnt lgkmcnt(0)
	v_mfma_f32_16x16x16_bf16 a[0:3], v[28:29], v[18:19], a[0:3]
	v_exp_f32_e32 v24, v13
	v_exp_f32_e32 v10, v10
	;; [unrolled: 1-line block ×3, first 2 shown]
	v_pk_mul_f32 v[14:15], v[0:1], v[24:25] op_sel_hi:[0,1]
	v_pk_mul_f32 v[10:11], v[0:1], v[10:11] op_sel_hi:[0,1]
	s_nop 1
	v_accvgpr_read_b32 v17, a1
	v_accvgpr_read_b32 v13, a3
	;; [unrolled: 1-line block ×4, first 2 shown]
	v_pk_fma_f32 v[6:7], v[6:7], v[14:15], v[16:17]
	v_pk_fma_f32 v[8:9], v[8:9], v[10:11], v[12:13]
	v_mov_b32_e32 v10, v34
.LBB726_77:
	s_mul_i32 s0, s47, s35
	s_mul_hi_u32 s1, s47, s34
	s_add_i32 s0, s1, s0
	s_mul_i32 s1, s33, s34
	s_add_i32 s1, s0, s1
	s_mul_i32 s0, s47, s34
	s_add_u32 s0, s0, s46
	s_addc_u32 s1, s1, s21
	s_lshl_b64 s[0:1], s[0:1], 16
	s_add_u32 s0, s12, s0
	v_lshlrev_b32_e32 v10, 7, v10
	s_addc_u32 s1, s13, s1
	v_ashrrev_i32_e32 v11, 31, v10
	v_lshl_add_u64 v[10:11], v[10:11], 2, s[0:1]
	v_lshlrev_b32_e32 v0, 2, v1
	v_mov_b32_e32 v1, 0
	v_lshl_add_u64 v[0:1], v[10:11], 0, v[0:1]
	global_store_dwordx4 v[0:1], v[2:5], off
	global_store_dwordx4 v[0:1], v[6:9], off offset:256
	s_endpgm
	.section	.rodata,"a",@progbits
	.p2align	6, 0x0
	.amdhsa_kernel _ZN12_GLOBAL__N_139chunk_gated_delta_rule_fwd_h_hip_kernelILi16ELb0ELb1ELb0ELb1ELb0ELb1ELb0ELb0EEEvPK12hip_bfloat16S3_S3_PKfS5_PKvPS1_S8_PvPKiSB_iiiiilll
		.amdhsa_group_segment_fixed_size 40960
		.amdhsa_private_segment_fixed_size 0
		.amdhsa_kernarg_size 136
		.amdhsa_user_sgpr_count 2
		.amdhsa_user_sgpr_dispatch_ptr 0
		.amdhsa_user_sgpr_queue_ptr 0
		.amdhsa_user_sgpr_kernarg_segment_ptr 1
		.amdhsa_user_sgpr_dispatch_id 0
		.amdhsa_user_sgpr_kernarg_preload_length 0
		.amdhsa_user_sgpr_kernarg_preload_offset 0
		.amdhsa_user_sgpr_private_segment_size 0
		.amdhsa_uses_dynamic_stack 0
		.amdhsa_enable_private_segment 0
		.amdhsa_system_sgpr_workgroup_id_x 1
		.amdhsa_system_sgpr_workgroup_id_y 1
		.amdhsa_system_sgpr_workgroup_id_z 0
		.amdhsa_system_sgpr_workgroup_info 0
		.amdhsa_system_vgpr_workitem_id 0
		.amdhsa_next_free_vgpr 128
		.amdhsa_next_free_sgpr 65
		.amdhsa_accum_offset 116
		.amdhsa_reserve_vcc 1
		.amdhsa_float_round_mode_32 0
		.amdhsa_float_round_mode_16_64 0
		.amdhsa_float_denorm_mode_32 3
		.amdhsa_float_denorm_mode_16_64 3
		.amdhsa_dx10_clamp 1
		.amdhsa_ieee_mode 1
		.amdhsa_fp16_overflow 0
		.amdhsa_tg_split 0
		.amdhsa_exception_fp_ieee_invalid_op 0
		.amdhsa_exception_fp_denorm_src 0
		.amdhsa_exception_fp_ieee_div_zero 0
		.amdhsa_exception_fp_ieee_overflow 0
		.amdhsa_exception_fp_ieee_underflow 0
		.amdhsa_exception_fp_ieee_inexact 0
		.amdhsa_exception_int_div_zero 0
	.end_amdhsa_kernel
	.section	.text._ZN12_GLOBAL__N_139chunk_gated_delta_rule_fwd_h_hip_kernelILi16ELb0ELb1ELb0ELb1ELb0ELb1ELb0ELb0EEEvPK12hip_bfloat16S3_S3_PKfS5_PKvPS1_S8_PvPKiSB_iiiiilll,"axG",@progbits,_ZN12_GLOBAL__N_139chunk_gated_delta_rule_fwd_h_hip_kernelILi16ELb0ELb1ELb0ELb1ELb0ELb1ELb0ELb0EEEvPK12hip_bfloat16S3_S3_PKfS5_PKvPS1_S8_PvPKiSB_iiiiilll,comdat
.Lfunc_end726:
	.size	_ZN12_GLOBAL__N_139chunk_gated_delta_rule_fwd_h_hip_kernelILi16ELb0ELb1ELb0ELb1ELb0ELb1ELb0ELb0EEEvPK12hip_bfloat16S3_S3_PKfS5_PKvPS1_S8_PvPKiSB_iiiiilll, .Lfunc_end726-_ZN12_GLOBAL__N_139chunk_gated_delta_rule_fwd_h_hip_kernelILi16ELb0ELb1ELb0ELb1ELb0ELb1ELb0ELb0EEEvPK12hip_bfloat16S3_S3_PKfS5_PKvPS1_S8_PvPKiSB_iiiiilll
                                        ; -- End function
	.section	.AMDGPU.csdata,"",@progbits
; Kernel info:
; codeLenInByte = 8160
; NumSgprs: 71
; NumVgprs: 114
; NumAgprs: 12
; TotalNumVgprs: 128
; ScratchSize: 0
; MemoryBound: 0
; FloatMode: 240
; IeeeMode: 1
; LDSByteSize: 40960 bytes/workgroup (compile time only)
; SGPRBlocks: 8
; VGPRBlocks: 15
; NumSGPRsForWavesPerEU: 71
; NumVGPRsForWavesPerEU: 128
; AccumOffset: 116
; Occupancy: 1
; WaveLimiterHint : 1
; COMPUTE_PGM_RSRC2:SCRATCH_EN: 0
; COMPUTE_PGM_RSRC2:USER_SGPR: 2
; COMPUTE_PGM_RSRC2:TRAP_HANDLER: 0
; COMPUTE_PGM_RSRC2:TGID_X_EN: 1
; COMPUTE_PGM_RSRC2:TGID_Y_EN: 1
; COMPUTE_PGM_RSRC2:TGID_Z_EN: 0
; COMPUTE_PGM_RSRC2:TIDIG_COMP_CNT: 0
; COMPUTE_PGM_RSRC3_GFX90A:ACCUM_OFFSET: 28
; COMPUTE_PGM_RSRC3_GFX90A:TG_SPLIT: 0
	.section	.text._ZN12_GLOBAL__N_139chunk_gated_delta_rule_fwd_h_hip_kernelILi16ELb0ELb0ELb1ELb1ELb0ELb1ELb0ELb0EEEvPK12hip_bfloat16S3_S3_PKfS5_PKvPS1_S8_PvPKiSB_iiiiilll,"axG",@progbits,_ZN12_GLOBAL__N_139chunk_gated_delta_rule_fwd_h_hip_kernelILi16ELb0ELb0ELb1ELb1ELb0ELb1ELb0ELb0EEEvPK12hip_bfloat16S3_S3_PKfS5_PKvPS1_S8_PvPKiSB_iiiiilll,comdat
	.globl	_ZN12_GLOBAL__N_139chunk_gated_delta_rule_fwd_h_hip_kernelILi16ELb0ELb0ELb1ELb1ELb0ELb1ELb0ELb0EEEvPK12hip_bfloat16S3_S3_PKfS5_PKvPS1_S8_PvPKiSB_iiiiilll ; -- Begin function _ZN12_GLOBAL__N_139chunk_gated_delta_rule_fwd_h_hip_kernelILi16ELb0ELb0ELb1ELb1ELb0ELb1ELb0ELb0EEEvPK12hip_bfloat16S3_S3_PKfS5_PKvPS1_S8_PvPKiSB_iiiiilll
	.p2align	8
	.type	_ZN12_GLOBAL__N_139chunk_gated_delta_rule_fwd_h_hip_kernelILi16ELb0ELb0ELb1ELb1ELb0ELb1ELb0ELb0EEEvPK12hip_bfloat16S3_S3_PKfS5_PKvPS1_S8_PvPKiSB_iiiiilll,@function
_ZN12_GLOBAL__N_139chunk_gated_delta_rule_fwd_h_hip_kernelILi16ELb0ELb0ELb1ELb1ELb0ELb1ELb0ELb0EEEvPK12hip_bfloat16S3_S3_PKfS5_PKvPS1_S8_PvPKiSB_iiiiilll: ; @_ZN12_GLOBAL__N_139chunk_gated_delta_rule_fwd_h_hip_kernelILi16ELb0ELb0ELb1ELb1ELb0ELb1ELb0ELb0EEEvPK12hip_bfloat16S3_S3_PKfS5_PKvPS1_S8_PvPKiSB_iiiiilll
; %bb.0:
	s_load_dwordx4 s[16:19], s[0:1], 0x5c
	s_load_dwordx4 s[20:23], s[0:1], 0x70
	s_abs_i32 s25, s3
	s_ashr_i32 s24, s3, 31
	s_load_dwordx4 s[12:15], s[0:1], 0x30
	s_load_dwordx4 s[28:31], s[0:1], 0x48
	s_waitcnt lgkmcnt(0)
	s_abs_i32 s34, s17
	v_cvt_f32_u32_e32 v1, s34
	s_sub_i32 s26, 0, s34
	s_ashr_i32 s35, s17, 31
	s_xor_b32 s24, s24, s35
	v_rcp_iflag_f32_e32 v1, v1
	s_load_dwordx8 s[4:11], s[0:1], 0x0
	v_lshrrev_b32_e32 v61, 6, v0
	v_bfe_u32 v62, v0, 4, 2
	v_mul_f32_e32 v1, 0x4f7ffffe, v1
	v_cvt_u32_f32_e32 v1, v1
	v_lshlrev_b32_e32 v45, 4, v61
	v_lshlrev_b32_e32 v2, 2, v62
	v_and_b32_e32 v60, 63, v0
	v_readfirstlane_b32 s27, v1
	s_mul_i32 s26, s26, s27
	s_mul_hi_u32 s26, s27, s26
	s_add_i32 s27, s27, s26
	s_mul_hi_u32 s26, s25, s27
	s_mul_i32 s27, s26, s34
	s_sub_i32 s25, s25, s27
	s_add_i32 s33, s26, 1
	s_sub_i32 s27, s25, s34
	s_cmp_ge_u32 s25, s34
	s_cselect_b32 s26, s33, s26
	s_cselect_b32 s25, s27, s25
	s_add_i32 s27, s26, 1
	s_cmp_ge_u32 s25, s34
	s_cselect_b32 s25, s27, s26
	s_xor_b32 s25, s25, s24
	s_sub_i32 s24, s25, s24
	s_mul_i32 s25, s24, s17
	s_sub_i32 s33, s3, s25
	s_ashr_i32 s25, s24, 31
	s_lshl_b64 s[26:27], s[24:25], 2
	s_add_u32 s28, s28, s26
	s_addc_u32 s29, s29, s27
	s_add_u32 s26, s30, s26
	s_addc_u32 s27, s31, s27
	s_abs_i32 s3, s18
	v_cvt_f32_u32_e32 v1, s3
	s_load_dwordx2 s[38:39], s[28:29], 0x0
	s_sub_i32 s29, 0, s3
	s_load_dword s48, s[26:27], 0x0
	v_rcp_iflag_f32_e32 v1, v1
	v_or_b32_e32 v66, v2, v45
	s_waitcnt lgkmcnt(0)
	s_sub_i32 s49, s39, s38
	s_ashr_i32 s28, s49, 31
	v_mul_f32_e32 v1, 0x4f7ffffe, v1
	v_cvt_u32_f32_e32 v1, v1
	s_lshr_b32 s28, s28, 26
	s_add_i32 s28, s49, s28
	s_ashr_i32 s47, s28, 6
	v_readfirstlane_b32 s30, v1
	s_mul_i32 s29, s29, s30
	s_mul_hi_u32 s29, s30, s29
	s_add_i32 s30, s30, s29
	s_mul_hi_u32 s29, s34, s30
	s_mul_i32 s30, s29, s3
	s_ashr_i32 s28, s18, 31
	s_sub_i32 s30, s34, s30
	s_xor_b32 s28, s35, s28
	s_add_i32 s31, s29, 1
	s_sub_i32 s34, s30, s3
	s_cmp_ge_u32 s30, s3
	s_cselect_b32 s29, s31, s29
	s_cselect_b32 s30, s34, s30
	s_add_i32 s31, s29, 1
	s_cmp_ge_u32 s30, s3
	s_cselect_b32 s3, s31, s29
	s_xor_b32 s3, s3, s28
	s_sub_i32 s3, s3, s28
	s_abs_i32 s28, s3
	v_cvt_f32_u32_e32 v1, s28
	s_sub_i32 s27, 0, s28
	s_abs_i32 s26, s33
	s_xor_b32 s3, s33, s3
	v_rcp_iflag_f32_e32 v1, v1
	s_ashr_i32 s3, s3, 31
	s_load_dwordx2 s[34:35], s[0:1], 0x80
	v_mov_b32_e32 v49, 0
	v_mul_f32_e32 v1, 0x4f7ffffe, v1
	v_cvt_u32_f32_e32 v1, v1
	v_or_b32_e32 v65, 64, v66
	s_mul_hi_i32 s50, s33, s16
	s_mul_i32 s51, s33, s16
	v_readfirstlane_b32 s29, v1
	s_mul_i32 s27, s27, s29
	s_mul_hi_u32 s27, s29, s27
	s_add_i32 s29, s29, s27
	s_mul_hi_u32 s27, s26, s29
	s_mul_i32 s29, s27, s28
	s_sub_i32 s26, s26, s29
	s_add_i32 s29, s27, 1
	s_sub_i32 s30, s26, s28
	s_cmp_ge_u32 s26, s28
	s_cselect_b32 s27, s29, s27
	s_cselect_b32 s26, s30, s26
	s_add_i32 s29, s27, 1
	s_cmp_ge_u32 s26, s28
	s_cselect_b32 s26, s29, s27
	s_xor_b32 s26, s26, s3
	s_sub_i32 s53, s26, s3
	s_lshl_b32 s36, s2, 4
	v_and_b32_e32 v1, 15, v0
	s_cmp_lt_i32 s49, 64
	v_lshrrev_b32_e32 v64, 3, v60
	v_lshlrev_b32_e32 v63, 3, v0
	s_mul_i32 s44, s24, s21
	s_mul_hi_u32 s45, s24, s20
	s_mul_i32 s46, s25, s20
	s_mul_i32 s20, s24, s20
	v_mov_b32_e32 v48, v49
	v_mov_b32_e32 v51, v49
	;; [unrolled: 1-line block ×7, first 2 shown]
	s_cbranch_scc1 .LBB727_18
; %bb.1:
	s_ashr_i32 s55, s33, 31
	s_ashr_i32 s3, s38, 31
	s_add_u32 s2, s51, s38
	s_addc_u32 s3, s50, s3
	s_lshl_b64 s[2:3], s[2:3], 8
	v_and_b32_e32 v68, 56, v63
	s_add_u32 s24, s6, s2
	v_lshl_or_b32 v67, v61, 3, v64
	v_lshlrev_b32_e32 v3, 1, v68
	s_addc_u32 s2, s7, s3
	v_lshl_or_b32 v69, v67, 8, v3
	s_and_b32 s25, s2, 0xffff
	s_mov_b32 s27, 0x20000
	s_movk_i32 s26, 0x4000
	s_movk_i32 s2, 0x80
	v_or_b32_e32 v70, 0x2000, v69
	buffer_load_dwordx4 v[4:7], v69, s[24:27], 0 offen
	buffer_load_dwordx4 v[8:11], v69, s[24:27], s2 offen
	;; [unrolled: 1-line block ×4, first 2 shown]
	v_lshlrev_b32_e32 v20, 3, v67
	v_and_or_b32 v22, v0, 7, v20
	v_and_b32_e32 v20, 0x78, v20
	v_lshlrev_b32_e32 v22, 4, v22
	v_xor_b32_e32 v71, v22, v20
	v_mul_lo_u32 v21, v67, s19
	v_or_b32_e32 v72, 0x1000, v71
	s_cmpk_eq_i32 s19, 0x80
	s_mov_b32 s52, s17
	s_mov_b32 s54, s38
	v_xor_b32_e32 v20, 8, v71
	v_xor_b32_e32 v22, 8, v72
	s_cselect_b64 s[2:3], -1, 0
	s_cmpk_lg_i32 s19, 0x80
	s_waitcnt vmcnt(3)
	ds_write_b64 v71, v[4:5] offset:16384
	ds_write_b64 v20, v[6:7] offset:16384
	s_waitcnt vmcnt(2)
	ds_write_b64 v71, v[8:9] offset:24576
	ds_write_b64 v20, v[10:11] offset:24576
	;; [unrolled: 3-line block ×4, first 2 shown]
	v_lshl_add_u32 v4, v21, 1, v68
	s_cbranch_scc0 .LBB727_3
; %bb.2:
	v_lshlrev_b32_e32 v6, 1, v4
	v_add_lshl_u32 v5, v4, s19, 1
	s_lshl_b32 s26, s19, 7
	s_load_dwordx2 s[40:41], s[0:1], 0x20
	v_lshl_or_b32 v3, v67, 9, v3
	s_cbranch_execz .LBB727_4
	s_branch .LBB727_5
.LBB727_3:
                                        ; implicit-def: $vgpr5
                                        ; implicit-def: $vgpr6
                                        ; implicit-def: $sgpr26
	s_load_dwordx2 s[40:41], s[0:1], 0x20
	v_lshl_or_b32 v3, v67, 9, v3
.LBB727_4:
	v_or_b32_e32 v5, 0x100, v3
	s_movk_i32 s26, 0x4000
	v_mov_b32_e32 v6, v3
.LBB727_5:
	s_mul_i32 s0, s38, s18
	s_ashr_i32 s56, s53, 31
	s_mul_hi_i32 s1, s38, s18
	s_add_u32 s0, s0, s53
	s_addc_u32 s1, s1, s56
	s_lshl_b64 s[0:1], s[0:1], 8
	s_add_u32 s24, s4, s0
	s_addc_u32 s0, s5, s1
	s_and_b32 s25, s0, 0xffff
	s_movk_i32 s57, 0x80
	buffer_load_dwordx4 v[8:11], v6, s[24:27], 0 offen
	buffer_load_dwordx4 v[12:15], v6, s[24:27], s57 offen
	;; [unrolled: 1-line block ×4, first 2 shown]
	v_and_b32_e32 v5, 6, v0
	v_lshlrev_b32_e32 v7, 2, v1
	v_lshlrev_b32_e32 v24, 3, v1
	v_xor_b32_e32 v26, v67, v5
	v_and_b32_e32 v6, 1, v0
	v_lshl_or_b32 v24, v66, 5, v24
	v_xor_b32_e32 v27, v66, v7
	v_lshlrev_b32_e32 v26, 2, v26
	s_mul_i32 s1, s33, s23
	s_mul_hi_u32 s21, s33, s22
	v_or_b32_e32 v73, 0x9000, v24
	v_or_b32_e32 v74, 0x9800, v24
	v_lshlrev_b32_e32 v24, 1, v27
	v_xor_b32_e32 v27, 0x440, v26
	v_cmp_eq_u32_e32 vcc, 0, v6
	s_add_i32 s25, s45, s44
	s_mul_i32 s24, s55, s22
	v_cndmask_b32_e32 v6, v27, v26, vcc
	s_add_i32 s1, s21, s1
	s_add_i32 s21, s25, s46
	s_mov_b32 s58, 0x1000504
	v_lshlrev_b32_e32 v25, 8, v1
	s_mov_b32 s26, 0x8000
	v_xor_b32_e32 v7, v65, v7
	v_lshl_or_b32 v5, v5, 10, v6
	s_add_i32 s1, s1, s24
	s_lshl_b64 s[24:25], s[20:21], 2
	s_mov_b32 s59, 0x3020706
	s_mul_i32 s0, s33, s22
	v_lshlrev_b32_e32 v7, 1, v7
	v_or3_b32 v75, v24, v25, s26
	v_xor_b32_e32 v6, 8, v5
	v_xor_b32_e32 v24, 24, v5
	;; [unrolled: 1-line block ×4, first 2 shown]
	s_add_u32 s21, s10, s24
	v_or3_b32 v76, v7, v25, s26
	v_xor_b32_e32 v7, 16, v5
	v_xor_b32_e32 v25, 32, v5
	;; [unrolled: 1-line block ×3, first 2 shown]
	v_add_u32_e32 v6, 0x80, v6
	v_add_u32_e32 v24, 0x80, v24
	;; [unrolled: 1-line block ×4, first 2 shown]
	s_addc_u32 s24, s11, s25
	s_lshl_b64 s[0:1], s[0:1], 2
	s_add_u32 s42, s21, s0
	s_movk_i32 s0, 0xf8
	s_addc_u32 s43, s24, s1
	s_ashr_i32 s37, s36, 31
	s_lshl_b32 s30, s19, 7
	v_mov_b32_e32 v47, 0
	s_mov_b32 s60, 0
	v_add_u32_e32 v87, v45, v2
	s_mov_b32 s21, 0x7060302
	v_mov_b32_e32 v98, 0x3fb8aa3b
	v_mov_b32_e32 v52, v47
	;; [unrolled: 1-line block ×7, first 2 shown]
	s_waitcnt vmcnt(1)
	v_perm_b32 v29, v8, v16, s58
	s_waitcnt vmcnt(0)
	v_perm_b32 v30, v12, v20, s58
	v_perm_b32 v8, v8, v16, s59
	;; [unrolled: 1-line block ×15, first 2 shown]
	ds_write2st64_b32 v5, v29, v30 offset1:32
	ds_write2st64_b32 v6, v8, v12 offset1:32
	ds_write2st64_b32 v7, v16, v20 offset0:1 offset1:33
	ds_write2st64_b32 v24, v9, v13 offset0:1 offset1:33
	;; [unrolled: 1-line block ×6, first 2 shown]
	v_or_b32_e32 v5, v45, v1
	v_lshlrev_b32_e32 v5, 3, v5
	v_lshrrev_b32_e32 v7, 5, v60
	v_and_or_b32 v7, v5, s0, v7
	v_lshlrev_b32_e32 v7, 4, v7
	v_lshrrev_b32_e32 v6, 2, v60
	v_lshlrev_b32_e32 v11, 11, v61
	v_and_b32_e32 v5, 0x78, v5
	v_or_b32_e32 v12, 32, v7
	v_and_b32_e32 v10, 12, v6
	v_and_b32_e32 v6, 0x1000, v11
	v_lshrrev_b32_e32 v9, 1, v60
	v_xor_b32_e32 v12, v12, v5
	v_and_b32_e32 v9, 8, v9
	v_or_b32_e32 v12, v12, v6
	v_xor_b32_e32 v8, v7, v5
	v_xor_b32_e32 v79, v12, v9
	v_or_b32_e32 v12, 64, v7
	v_or_b32_e32 v7, 0x60, v7
	v_xor_b32_e32 v12, v12, v5
	v_xor_b32_e32 v5, v7, v5
	v_or_b32_e32 v5, v5, v6
	v_or_b32_e32 v12, v12, v6
	v_xor_b32_e32 v81, v5, v9
	v_lshlrev_b32_e32 v5, 1, v1
	v_xor_b32_e32 v80, v12, v9
	v_lshlrev_b32_e32 v12, 1, v4
	v_add_lshl_u32 v13, v4, s19, 1
	v_lshrrev_b32_e32 v4, 4, v0
	s_lshl_b64 s[0:1], s[36:37], 8
	v_or_b32_e32 v15, 1, v5
	s_add_u32 s0, s12, s0
	v_xor_b32_e32 v5, v4, v5
	v_xor_b32_e32 v15, v15, v4
	s_addc_u32 s1, s13, s1
	v_lshlrev_b32_e32 v5, 3, v5
	v_lshlrev_b32_e32 v46, 8, v4
	;; [unrolled: 1-line block ×3, first 2 shown]
	v_lshrrev_b32_e32 v19, 1, v0
	v_or3_b32 v83, v5, v46, s26
	v_or3_b32 v84, v4, v46, s26
	v_lshl_add_u64 v[4:5], s[0:1], 0, v[46:47]
	v_lshlrev_b32_e32 v46, 4, v1
	s_movk_i32 s0, 0xff
	v_lshlrev_b32_e32 v18, 3, v61
	v_and_b32_e32 v19, 24, v19
	v_lshl_add_u64 v[54:55], v[4:5], 0, v[46:47]
	v_and_b32_e32 v5, 8, v0
	v_cmp_lt_u32_e32 vcc, s0, v0
	v_xor_b32_e32 v20, v18, v19
	v_or_b32_e32 v21, 0x440, v20
	v_cndmask_b32_e64 v17, 0, 1, vcc
	v_cmp_eq_u32_e32 vcc, 0, v5
	v_or_b32_e32 v23, 64, v19
	v_xor_b32_e32 v23, v18, v23
	v_cndmask_b32_e32 v5, v21, v20, vcc
	v_or_b32_e32 v21, 32, v19
	v_or_b32_e32 v19, 0x60, v19
	v_xor_b32_e32 v21, v18, v21
	v_xor_b32_e32 v18, v18, v19
	v_or_b32_e32 v22, 0x440, v21
	v_xor_b32_e32 v24, 0x440, v23
	v_xor_b32_e32 v19, 0x440, v18
	v_or_b32_e32 v8, v8, v6
	v_or_b32_e32 v6, s36, v1
	v_and_b32_e32 v4, 7, v0
	v_cndmask_b32_e32 v21, v22, v21, vcc
	v_cndmask_b32_e32 v23, v24, v23, vcc
	v_cndmask_b32_e32 v18, v19, v18, vcc
	v_xor_b32_e32 v77, v8, v9
	v_and_b32_e32 v8, 0x78, v63
	v_ashrrev_i32_e32 v7, 31, v6
	v_lshlrev_b32_e32 v15, 3, v4
	v_or_b32_e32 v5, v5, v11
	v_or_b32_e32 v21, v21, v11
	;; [unrolled: 1-line block ×4, first 2 shown]
	v_lshl_or_b32 v8, v62, 7, v8
	v_lshlrev_b64 v[6:7], 1, v[6:7]
	v_lshlrev_b32_e32 v17, 13, v17
	v_xor_b32_e32 v5, v5, v15
	v_xor_b32_e32 v21, v21, v15
	;; [unrolled: 1-line block ×4, first 2 shown]
	v_or_b32_e32 v78, 0x9000, v8
	v_or_b32_e32 v82, 0x9800, v8
	v_lshl_add_u64 v[8:9], s[8:9], 0, v[6:7]
	v_lshl_add_u64 v[6:7], s[14:15], 0, v[6:7]
	v_or_b32_e32 v14, 0x100, v3
	v_lshlrev_b32_e32 v16, 7, v4
	v_or_b32_e32 v4, v10, v45
	v_add_u32_e32 v20, v17, v5
	v_add_u32_e32 v22, v17, v21
	;; [unrolled: 1-line block ×4, first 2 shown]
	v_or3_b32 v10, v45, v10, 64
	v_add_u32_e32 v5, 0x2000, v5
	v_add_u32_e32 v17, 0x2000, v21
	;; [unrolled: 1-line block ×4, first 2 shown]
	v_lshlrev_b32_e32 v46, 8, v66
	v_cndmask_b32_e64 v85, v12, v3, s[2:3]
	v_cndmask_b32_e64 v86, v13, v14, s[2:3]
	v_lshl_add_u64 v[56:57], v[8:9], 0, v[46:47]
	v_lshl_add_u64 v[58:59], v[6:7], 0, v[46:47]
	s_movk_i32 s26, 0x4000
	v_lshlrev_b32_e32 v88, 2, v4
	v_add_u32_e32 v89, v20, v16
	v_add_u32_e32 v90, v22, v16
	v_add_u32_e32 v91, v24, v16
	v_add_u32_e32 v92, v15, v16
	v_lshlrev_b32_e32 v93, 2, v10
	v_add_u32_e32 v94, v5, v16
	v_add_u32_e32 v95, v17, v16
	;; [unrolled: 1-line block ×4, first 2 shown]
	v_mov_b32_e32 v46, v47
	s_waitcnt lgkmcnt(0)
	s_barrier
.LBB727_6:                              ; =>This Inner Loop Header: Depth=1
	s_add_i32 s37, s60, 1
	s_cmp_lt_i32 s37, s47
	s_mov_b64 s[28:29], 0
	s_cselect_b64 s[2:3], -1, 0
	s_cmp_ge_i32 s37, s47
	s_mov_b64 s[24:25], 0
	s_cbranch_scc1 .LBB727_8
; %bb.7:                                ;   in Loop: Header=BB727_6 Depth=1
	s_add_i32 s0, s54, 64
	s_ashr_i32 s1, s0, 31
	s_add_u32 s0, s51, s0
	s_addc_u32 s1, s50, s1
	s_lshl_b64 s[0:1], s[0:1], 8
	s_add_u32 s24, s6, s0
	s_addc_u32 s25, s7, s1
.LBB727_8:                              ;   in Loop: Header=BB727_6 Depth=1
	v_cndmask_b32_e64 v2, 0, 1, s[2:3]
	v_cmp_ne_u32_e64 s[0:1], 1, v2
	s_andn2_b64 vcc, exec, s[2:3]
	s_cbranch_vccnz .LBB727_10
; %bb.9:                                ;   in Loop: Header=BB727_6 Depth=1
	s_add_i32 s2, s54, 64
	s_mul_hi_i32 s3, s2, s18
	s_mul_i32 s2, s2, s18
	s_add_u32 s2, s2, s53
	s_addc_u32 s3, s3, s56
	s_lshl_b64 s[2:3], s[2:3], 8
	s_add_u32 s28, s4, s2
	s_addc_u32 s29, s5, s3
.LBB727_10:                             ;   in Loop: Header=BB727_6 Depth=1
	v_perm_b32 v3, v53, v52, s21
	v_perm_b32 v2, v47, v46, s21
	;; [unrolled: 1-line block ×4, first 2 shown]
	ds_write_b64 v73, v[2:3]
	ds_write_b64 v74, v[4:5]
	;; [unrolled: 1-line block ×4, first 2 shown]
	s_waitcnt lgkmcnt(0)
	s_barrier
	ds_read_b64 v[10:11], v77 offset:16384
	ds_read_b64 v[12:13], v79 offset:16384
	ds_read2st64_b64 v[2:5], v78 offset1:1
	s_waitcnt lgkmcnt(0)
	v_mfma_f32_16x16x16_bf16 a[0:3], v[10:11], v[2:3], 0
	ds_read2st64_b64 v[6:9], v78 offset0:2 offset1:3
	ds_read_b64 v[14:15], v80 offset:16384
	ds_read_b64 v[2:3], v81 offset:16384
	s_add_i32 s61, s54, 63
	v_mfma_f32_16x16x16_bf16 a[0:3], v[12:13], v[4:5], a[0:3]
	s_ashr_i32 s2, s61, 31
	s_mul_i32 s3, s61, s35
	s_mul_hi_u32 s31, s61, s34
	s_waitcnt lgkmcnt(1)
	v_mfma_f32_16x16x16_bf16 a[0:3], v[14:15], v[6:7], a[0:3]
	s_add_i32 s3, s31, s3
	s_mul_i32 s2, s2, s34
	s_add_i32 s3, s3, s2
	s_mul_i32 s2, s61, s34
	s_waitcnt lgkmcnt(0)
	v_mfma_f32_16x16x16_bf16 a[0:3], v[2:3], v[8:9], a[0:3]
	s_lshl_b64 s[2:3], s[2:3], 2
	s_add_u32 s2, s42, s2
	s_addc_u32 s3, s43, s3
	s_and_b64 vcc, exec, s[0:1]
	v_mov_b32_e32 v101, 0
	v_mov_b32_e32 v100, 0
	;; [unrolled: 1-line block ×19, first 2 shown]
	s_cbranch_vccnz .LBB727_12
; %bb.11:                               ;   in Loop: Header=BB727_6 Depth=1
	s_and_b32 s25, s25, 0xffff
	buffer_load_dwordx4 v[14:17], v69, s[24:27], 0 offen
	buffer_load_dwordx4 v[10:13], v69, s[24:27], s57 offen
	;; [unrolled: 1-line block ×4, first 2 shown]
	v_mov_b32_e32 v100, v71
	v_mov_b32_e32 v99, v72
.LBB727_12:                             ;   in Loop: Header=BB727_6 Depth=1
	v_add_u32_e32 v22, s54, v87
	v_ashrrev_i32_e32 v18, 31, v22
	v_mul_lo_u32 v20, v18, s34
	v_mul_lo_u32 v21, v22, s35
	v_mad_u64_u32 v[18:19], s[24:25], v22, s34, 0
	v_add3_u32 v19, v19, v21, v20
	v_lshl_add_u64 v[18:19], v[18:19], 2, s[42:43]
	global_load_dword v34, v[18:19], off
	v_add_u32_e32 v18, 1, v22
	v_ashrrev_i32_e32 v19, 31, v18
	v_mul_lo_u32 v20, v19, s34
	v_mul_lo_u32 v21, v18, s35
	v_mad_u64_u32 v[18:19], s[24:25], v18, s34, 0
	v_add3_u32 v19, v19, v21, v20
	v_add_u32_e32 v20, 2, v22
	v_ashrrev_i32_e32 v21, 31, v20
	v_mul_lo_u32 v23, v21, s34
	v_mul_lo_u32 v24, v20, s35
	v_mad_u64_u32 v[20:21], s[24:25], v20, s34, 0
	v_add_u32_e32 v22, 3, v22
	v_add3_u32 v21, v21, v24, v23
	v_ashrrev_i32_e32 v23, 31, v22
	v_mul_lo_u32 v26, v23, s34
	v_mul_lo_u32 v27, v22, s35
	v_mad_u64_u32 v[22:23], s[24:25], v22, s34, 0
	s_ashr_i32 s25, s54, 31
	s_add_u32 s24, s51, s54
	s_addc_u32 s25, s50, s25
	s_lshl_b64 s[24:25], s[24:25], 8
	v_lshl_add_u64 v[18:19], v[18:19], 2, s[42:43]
	v_lshl_add_u64 v[24:25], v[56:57], 0, s[24:25]
	v_add3_u32 v23, v23, v27, v26
	v_lshl_add_u64 v[20:21], v[20:21], 2, s[42:43]
	global_load_ushort v35, v[24:25], off
	global_load_ushort v36, v[24:25], off offset:256
	global_load_ushort v37, v[24:25], off offset:512
	;; [unrolled: 1-line block ×3, first 2 shown]
	v_lshl_add_u64 v[22:23], v[22:23], 2, s[42:43]
	global_load_dword v39, v[18:19], off
	global_load_dword v40, v[20:21], off
	;; [unrolled: 1-line block ×3, first 2 shown]
	ds_read_b64 v[22:23], v77 offset:24576
	ds_read_b64 v[28:29], v79 offset:24576
	ds_read2st64_b64 v[18:21], v82 offset1:1
	s_waitcnt lgkmcnt(0)
	v_mfma_f32_16x16x16_bf16 a[0:3], v[22:23], v[18:19], a[0:3]
	s_load_dword s2, s[2:3], 0x0
	ds_read2st64_b64 v[24:27], v82 offset0:2 offset1:3
	ds_read_b64 v[30:31], v80 offset:24576
	ds_read_b64 v[32:33], v81 offset:24576
	v_mov_b32_e32 v102, 0
	v_mfma_f32_16x16x16_bf16 a[0:3], v[28:29], v[20:21], a[0:3]
	v_mov_b32_e32 v18, 0
	v_mov_b32_e32 v19, 0
	;; [unrolled: 1-line block ×3, first 2 shown]
	s_waitcnt lgkmcnt(0)
	v_mfma_f32_16x16x16_bf16 a[0:3], v[30:31], v[24:25], a[0:3]
	v_lshl_add_u64 v[24:25], v[58:59], 0, s[24:25]
	v_mov_b32_e32 v21, 0
	v_mov_b32_e32 v22, 0
	v_mfma_f32_16x16x16_bf16 a[0:3], v[32:33], v[26:27], a[0:3]
	v_mov_b32_e32 v23, 0
	s_and_b64 vcc, exec, s[0:1]
	s_waitcnt vmcnt(7)
	v_sub_f32_e32 v34, s2, v34
	s_nop 2
	v_accvgpr_read_b32 v29, a1
	v_accvgpr_read_b32 v27, a3
	;; [unrolled: 1-line block ×4, first 2 shown]
	v_mul_f32_e32 v34, 0x3fb8aa3b, v34
	s_waitcnt vmcnt(6)
	v_lshlrev_b32_e32 v30, 16, v35
	s_waitcnt vmcnt(5)
	v_lshlrev_b32_e32 v31, 16, v36
	;; [unrolled: 2-line block ×4, first 2 shown]
	s_waitcnt vmcnt(2)
	v_sub_f32_e32 v35, s2, v39
	s_waitcnt vmcnt(1)
	v_sub_f32_e32 v36, s2, v40
	;; [unrolled: 2-line block ×3, first 2 shown]
	v_pk_add_f32 v[28:29], v[30:31], v[28:29] neg_lo:[0,1] neg_hi:[0,1]
	v_pk_add_f32 v[26:27], v[32:33], v[26:27] neg_lo:[0,1] neg_hi:[0,1]
	v_mul_f32_e32 v31, 0x3fb8aa3b, v35
	v_mul_f32_e32 v32, 0x3fb8aa3b, v36
	;; [unrolled: 1-line block ×3, first 2 shown]
	v_exp_f32_e32 v30, v34
	v_exp_f32_e32 v31, v31
	;; [unrolled: 1-line block ×4, first 2 shown]
	global_store_short_d16_hi v[24:25], v28, off
	global_store_short_d16_hi v[24:25], v29, off offset:256
	global_store_short_d16_hi v[24:25], v26, off offset:512
	;; [unrolled: 1-line block ×3, first 2 shown]
	v_pk_mul_f32 v[24:25], v[30:31], v[28:29]
	v_pk_mul_f32 v[26:27], v[32:33], v[26:27]
	v_perm_b32 v24, v25, v24, s21
	v_perm_b32 v25, v27, v26, s21
	ds_write_b64 v74, v[24:25]
	v_mov_b32_e32 v24, 0
	v_mov_b32_e32 v25, 0
	v_mov_b32_e32 v26, 0
	v_mov_b32_e32 v27, 0
	v_mov_b32_e32 v28, 0
	v_mov_b32_e32 v29, 0
	v_mov_b32_e32 v30, 0
	v_mov_b32_e32 v31, 0
	v_mov_b32_e32 v32, 0
	v_mov_b32_e32 v33, 0
	s_cbranch_vccnz .LBB727_14
; %bb.13:                               ;   in Loop: Header=BB727_6 Depth=1
	s_and_b32 s29, s29, 0xffff
	s_mov_b32 s31, s27
	buffer_load_dwordx4 v[30:33], v85, s[28:31], 0 offen
	buffer_load_dwordx4 v[22:25], v85, s[28:31], s57 offen
	;; [unrolled: 1-line block ×4, first 2 shown]
	v_mov_b32_e32 v101, v68
	v_mov_b32_e32 v102, v67
.LBB727_14:                             ;   in Loop: Header=BB727_6 Depth=1
	s_waitcnt lgkmcnt(0)
	s_barrier
	ds_read_b64 v[34:35], v89
	ds_read_b64 v[40:41], v90
	ds_read2st64_b64 v[36:39], v82 offset1:1
	ds_read2st64_b64 v[104:107], v82 offset0:2 offset1:3
	ds_read_b64 v[42:43], v91
	ds_read_b64 v[112:113], v92
	s_add_i32 s3, s48, s60
	s_mul_hi_i32 s25, s3, s52
	s_mul_i32 s3, s3, s52
	s_waitcnt lgkmcnt(3)
	v_mfma_f32_16x16x16_bf16 a[0:3], v[34:35], v[36:37], 0
	ds_read_b64 v[34:35], v94
	s_add_u32 s24, s3, s33
	s_addc_u32 s25, s25, s55
	v_mfma_f32_16x16x16_bf16 a[0:3], v[40:41], v[38:39], a[0:3]
	ds_read_b64 v[40:41], v95
	s_lshl_b64 s[24:25], s[24:25], 15
	s_mul_i32 s28, s61, s52
	s_mul_hi_i32 s3, s61, s52
	s_add_u32 s28, s28, s33
	s_addc_u32 s29, s3, s55
	s_lshl_b64 s[28:29], s[28:29], 9
	s_add_u32 s28, s40, s28
	s_waitcnt lgkmcnt(1)
	v_mfma_f32_16x16x16_bf16 a[4:7], v[34:35], v[36:37], 0
	s_addc_u32 s29, s41, s29
	s_and_b64 vcc, exec, s[0:1]
	v_mfma_f32_16x16x16_bf16 a[0:3], v[42:43], v[104:105], a[0:3]
	ds_read_b64 v[42:43], v96
	ds_read_b64 v[114:115], v97
	global_load_dwordx4 v[34:37], v93, s[28:29]
	s_waitcnt lgkmcnt(2)
	v_mfma_f32_16x16x16_bf16 a[4:7], v[40:41], v[38:39], a[4:7]
	global_load_dwordx4 v[38:41], v88, s[28:29]
	ds_read_b64 v[108:109], v83
	ds_read_b64 v[110:111], v84
	s_waitcnt lgkmcnt(3)
	v_mfma_f32_16x16x16_bf16 a[8:11], v[42:43], v[104:105], a[4:7]
	v_lshl_add_u64 v[42:43], v[54:55], 0, s[24:25]
	s_waitcnt lgkmcnt(0)
	global_store_dwordx4 v[42:43], v[108:111], off
	v_mfma_f32_16x16x16_bf16 a[4:7], v[112:113], v[106:107], a[0:3]
	s_waitcnt vmcnt(2)
	v_mov_b32_e32 v44, v37
	v_mfma_f32_16x16x16_bf16 a[0:3], v[114:115], v[106:107], a[8:11]
	v_mov_b32_e32 v43, v36
	v_mov_b32_e32 v42, v35
	s_cbranch_vccnz .LBB727_16
; %bb.15:                               ;   in Loop: Header=BB727_6 Depth=1
	v_lshrrev_b32_e32 v35, 3, v101
	v_and_b32_e32 v35, 6, v35
	v_xor_b32_e32 v36, v35, v102
	v_lshlrev_b32_e32 v36, 2, v36
	v_and_b32_e32 v37, 8, v101
	v_xor_b32_e32 v101, 0x440, v36
	v_cmp_eq_u32_e32 vcc, 0, v37
	v_perm_b32 v37, v22, v18, s58
	s_nop 0
	v_cndmask_b32_e32 v36, v101, v36, vcc
	v_lshl_or_b32 v35, v35, 10, v36
	v_perm_b32 v36, v30, v26, s58
	s_barrier
	ds_write2st64_b32 v35, v36, v37 offset1:32
	v_xor_b32_e32 v36, 8, v35
	v_perm_b32 v26, v30, v26, s59
	v_perm_b32 v18, v22, v18, s59
	v_add_u32_e32 v22, 0x80, v36
	ds_write2st64_b32 v22, v26, v18 offset1:32
	v_xor_b32_e32 v18, 16, v35
	v_perm_b32 v22, v31, v27, s58
	v_perm_b32 v26, v23, v19, s58
	ds_write2st64_b32 v18, v22, v26 offset0:1 offset1:33
	v_xor_b32_e32 v18, 24, v35
	v_perm_b32 v22, v31, v27, s59
	v_perm_b32 v19, v23, v19, s59
	v_add_u32_e32 v18, 0x80, v18
	ds_write2st64_b32 v18, v22, v19 offset0:1 offset1:33
	v_xor_b32_e32 v18, 32, v35
	v_perm_b32 v19, v32, v28, s58
	v_perm_b32 v22, v24, v20, s58
	ds_write2st64_b32 v18, v19, v22 offset0:2 offset1:34
	v_xor_b32_e32 v18, 40, v35
	v_perm_b32 v19, v32, v28, s59
	v_perm_b32 v20, v24, v20, s59
	v_add_u32_e32 v18, 0x80, v18
	ds_write2st64_b32 v18, v19, v20 offset0:2 offset1:34
	;; [unrolled: 9-line block ×3, first 2 shown]
	ds_write_b64 v100, v[14:15] offset:16384
	v_xor_b32_e32 v14, 8, v100
	ds_write_b64 v14, v[16:17] offset:16384
	ds_write_b64 v100, v[10:11] offset:24576
	ds_write_b64 v14, v[12:13] offset:24576
	ds_write_b64 v99, v[6:7] offset:16384
	v_xor_b32_e32 v6, 8, v99
	ds_write_b64 v6, v[8:9] offset:16384
	ds_write_b64 v99, v[2:3] offset:24576
	;; [unrolled: 1-line block ×3, first 2 shown]
.LBB727_16:                             ;   in Loop: Header=BB727_6 Depth=1
	v_mul_f32_e32 v6, s2, v98
	v_exp_f32_e32 v10, v6
	s_waitcnt vmcnt(1)
	v_mul_f32_e32 v6, 0x3fb8aa3b, v38
	v_exp_f32_e32 v12, v6
	v_mul_f32_e32 v6, 0x3fb8aa3b, v39
	v_exp_f32_e32 v13, v6
	;; [unrolled: 2-line block ×4, first 2 shown]
	v_accvgpr_read_b32 v2, a4
	v_accvgpr_read_b32 v3, a5
	v_pk_mul_f32 v[12:13], v[10:11], v[12:13] op_sel_hi:[0,1]
	v_pk_fma_f32 v[46:47], v[46:47], v[12:13], v[2:3]
	v_pk_mul_f32 v[2:3], v[10:11], v[14:15] op_sel_hi:[0,1]
	v_mul_f32_e32 v11, 0x3fb8aa3b, v34
	v_exp_f32_e32 v12, v11
	v_mul_f32_e32 v11, 0x3fb8aa3b, v42
	v_exp_f32_e32 v13, v11
	;; [unrolled: 2-line block ×4, first 2 shown]
	v_accvgpr_read_b32 v4, a6
	v_accvgpr_read_b32 v5, a7
	;; [unrolled: 1-line block ×5, first 2 shown]
	v_pk_fma_f32 v[52:53], v[52:53], v[2:3], v[4:5]
	v_pk_mul_f32 v[2:3], v[10:11], v[12:13] op_sel_hi:[0,1]
	v_accvgpr_read_b32 v8, a2
	v_pk_fma_f32 v[50:51], v[50:51], v[2:3], v[6:7]
	v_pk_mul_f32 v[2:3], v[10:11], v[14:15] op_sel_hi:[0,1]
	s_add_i32 s54, s54, 64
	s_cmp_eq_u32 s47, s37
	v_pk_fma_f32 v[48:49], v[48:49], v[2:3], v[8:9]
	s_cbranch_scc1 .LBB727_18
; %bb.17:                               ;   in Loop: Header=BB727_6 Depth=1
	s_mov_b32 s60, s37
	s_branch .LBB727_6
.LBB727_18:
	s_lshl_b32 s0, s47, 6
	s_sub_i32 s42, s49, s0
	s_cmp_gt_i32 s42, 0
	s_cbranch_scc0 .LBB727_75
; %bb.19:
	s_add_i32 s38, s0, s38
	s_ashr_i32 s2, s38, 31
	s_cmpk_lg_i32 s19, 0x80
	s_cselect_b64 s[30:31], -1, 0
	s_and_b64 vcc, exec, s[30:31]
	s_cbranch_vccz .LBB727_21
; %bb.20:
	s_mul_i32 s1, s38, s18
	s_ashr_i32 s3, s53, 31
	s_mul_hi_i32 s0, s38, s18
	s_add_u32 s40, s1, s53
	s_addc_u32 s41, s0, s3
	s_cbranch_execz .LBB727_22
	s_branch .LBB727_23
.LBB727_21:
                                        ; implicit-def: $sgpr40_sgpr41
.LBB727_22:
	s_mul_i32 s1, s53, s16
	s_mul_hi_i32 s0, s53, s16
	s_add_u32 s40, s1, s38
	s_addc_u32 s41, s0, s2
.LBB727_23:
	s_add_i32 s3, s47, s48
	s_ashr_i32 s16, s33, 31
	s_add_u32 s0, s51, s38
	s_addc_u32 s1, s50, s2
	s_mov_b32 s2, 0x7060302
	v_lshlrev_b32_e32 v6, 3, v1
	s_lshl_b64 s[28:29], s[0:1], 8
	v_perm_b32 v3, v53, v52, s2
	v_perm_b32 v2, v47, v46, s2
	;; [unrolled: 1-line block ×4, first 2 shown]
	v_lshlrev_b32_e32 v34, 2, v1
	v_lshl_or_b32 v6, v66, 5, v6
	s_add_u32 s0, s6, s28
	ds_write2st64_b64 v6, v[2:3], v[4:5] offset0:72 offset1:76
	v_xor_b32_e32 v6, v66, v34
	v_lshlrev_b32_e32 v7, 8, v1
	s_addc_u32 s1, s7, s29
	v_lshl_or_b32 v6, v6, 1, v7
	s_mul_hi_i32 s6, s3, s17
	s_mul_i32 s3, s3, s17
	ds_write_b64 v6, v[2:3] offset:32768
	v_xor_b32_e32 v2, v65, v34
	s_add_u32 s2, s3, s33
	v_lshl_or_b32 v2, v2, 1, v7
	s_addc_u32 s3, s6, s16
	v_lshlrev_b32_e32 v3, 1, v1
	ds_write_b64 v2, v[4:5] offset:32768
	v_lshrrev_b32_e32 v2, 4, v0
	s_ashr_i32 s37, s36, 31
	s_lshl_b64 s[2:3], s[2:3], 15
	v_or_b32_e32 v4, 1, v3
	s_add_u32 s6, s12, s2
	v_xor_b32_e32 v3, v2, v3
	v_xor_b32_e32 v4, v4, v2
	v_lshlrev_b32_e32 v6, 8, v2
	s_addc_u32 s7, s13, s3
	s_lshl_b64 s[2:3], s[36:37], 8
	v_lshl_or_b32 v2, v3, 3, v6
	v_lshl_or_b32 v4, v4, 3, v6
	s_waitcnt lgkmcnt(0)
	s_barrier
	s_add_u32 s2, s6, s2
	ds_read_b64 v[2:3], v2 offset:32768
	ds_read_b64 v[4:5], v4 offset:32768
	s_addc_u32 s3, s7, s3
	v_mov_b32_e32 v7, 0
	s_cmp_lg_u32 s42, 64
	v_lshl_add_u64 v[8:9], s[2:3], 0, v[6:7]
	v_lshlrev_b32_e32 v6, 4, v1
	s_cselect_b64 s[6:7], -1, 0
	v_lshl_or_b32 v35, v61, 3, v64
	s_mov_b32 s24, 0
	v_lshl_add_u64 v[6:7], v[8:9], 0, v[6:7]
	v_or_b32_e32 v19, 32, v35
	v_and_b32_e32 v18, 56, v63
	s_and_b64 vcc, exec, s[6:7]
	s_waitcnt lgkmcnt(0)
	global_store_dwordx4 v[6:7], v[2:5], off
	s_cbranch_vccz .LBB727_29
; %bb.24:
	s_mov_b32 s25, s24
	s_mov_b32 s26, s24
	;; [unrolled: 1-line block ×3, first 2 shown]
	v_mov_b64_e32 v[6:7], s[24:25]
	v_mov_b64_e32 v[8:9], s[26:27]
	;; [unrolled: 1-line block ×3, first 2 shown]
	v_cmp_gt_i32_e32 vcc, s42, v35
	v_mov_b64_e32 v[4:5], v[8:9]
	s_and_saveexec_b64 s[2:3], vcc
	s_cbranch_execz .LBB727_26
; %bb.25:
	v_lshlrev_b32_e32 v2, 8, v35
	v_mov_b32_e32 v3, 0
	v_lshl_add_u64 v[4:5], s[0:1], 0, v[2:3]
	v_lshlrev_b32_e32 v2, 1, v18
	v_lshl_add_u64 v[10:11], v[4:5], 0, v[2:3]
	global_load_dwordx4 v[6:9], v[10:11], off
	global_load_dwordx4 v[2:5], v[10:11], off offset:128
.LBB727_26:
	s_or_b64 exec, exec, s[2:3]
	s_mov_b32 s25, s24
	s_mov_b32 s26, s24
	;; [unrolled: 1-line block ×3, first 2 shown]
	v_mov_b64_e32 v[14:15], s[24:25]
	v_mov_b64_e32 v[16:17], s[26:27]
	v_mov_b64_e32 v[10:11], v[14:15]
	v_cmp_gt_i32_e32 vcc, s42, v19
	v_lshlrev_b32_e32 v20, 7, v19
	v_mov_b64_e32 v[12:13], v[16:17]
	s_and_saveexec_b64 s[2:3], vcc
	s_cbranch_execz .LBB727_28
; %bb.27:
	v_lshlrev_b32_e32 v10, 1, v20
	v_mov_b32_e32 v11, 0
	v_lshl_add_u64 v[12:13], s[0:1], 0, v[10:11]
	v_lshlrev_b32_e32 v10, 1, v18
	v_lshl_add_u64 v[22:23], v[12:13], 0, v[10:11]
	global_load_dwordx4 v[14:17], v[22:23], off
	global_load_dwordx4 v[10:13], v[22:23], off offset:128
.LBB727_28:
	s_or_b64 exec, exec, s[2:3]
	v_lshrrev_b32_e32 v21, 3, v18
	v_lshlrev_b32_e32 v22, 3, v35
	v_or_b32_e32 v21, v22, v21
	v_lshlrev_b32_e32 v21, 4, v21
	v_and_b32_e32 v22, 0x78, v22
	v_xor_b32_e32 v21, v21, v22
	s_branch .LBB727_31
.LBB727_29:
                                        ; implicit-def: $vgpr21
                                        ; implicit-def: $vgpr20
                                        ; implicit-def: $vgpr6_vgpr7_vgpr8_vgpr9
                                        ; implicit-def: $vgpr2_vgpr3_vgpr4_vgpr5
                                        ; implicit-def: $vgpr14_vgpr15_vgpr16_vgpr17
                                        ; implicit-def: $vgpr10_vgpr11_vgpr12_vgpr13
	s_cbranch_execz .LBB727_31
; %bb.30:
	s_waitcnt vmcnt(0)
	v_lshlrev_b32_e32 v2, 1, v18
	v_lshl_or_b32 v20, v35, 8, v2
	s_and_b32 s1, s1, 0xffff
	s_mov_b32 s3, 0x20000
	s_movk_i32 s2, 0x4000
	v_lshl_or_b32 v21, v19, 8, v2
	s_movk_i32 s12, 0x80
	buffer_load_dwordx4 v[6:9], v20, s[0:3], 0 offen
	buffer_load_dwordx4 v[2:5], v20, s[0:3], s12 offen
	;; [unrolled: 1-line block ×4, first 2 shown]
	v_lshrrev_b32_e32 v20, 3, v18
	v_lshlrev_b32_e32 v21, 3, v35
	v_or_b32_e32 v20, v21, v20
	v_lshlrev_b32_e32 v20, 4, v20
	v_and_b32_e32 v21, 0x78, v21
	v_xor_b32_e32 v21, v20, v21
	v_lshlrev_b32_e32 v20, 7, v19
.LBB727_31:
	s_lshl_b64 s[0:1], s[40:41], 8
	s_add_u32 s4, s4, s0
	s_movk_i32 s0, 0x1000
	v_and_or_b32 v19, v20, s0, v21
	s_waitcnt vmcnt(1)
	ds_write_b64 v21, v[6:7] offset:16384
	v_xor_b32_e32 v6, 8, v21
	s_addc_u32 s5, s5, s1
	ds_write_b64 v6, v[8:9] offset:16384
	s_waitcnt vmcnt(0)
	ds_write_b64 v21, v[2:3] offset:24576
	ds_write_b64 v6, v[4:5] offset:24576
	;; [unrolled: 1-line block ×3, first 2 shown]
	v_xor_b32_e32 v2, 8, v19
	s_add_i32 s0, s45, s44
	ds_write_b64 v2, v[16:17] offset:16384
	ds_write_b64 v19, v[10:11] offset:24576
	;; [unrolled: 1-line block ×3, first 2 shown]
	s_add_i32 s21, s0, s46
	s_mul_i32 s0, s33, s23
	s_mul_hi_u32 s1, s33, s22
	v_or_b32_e32 v2, v45, v1
	s_add_i32 s0, s1, s0
	s_mul_i32 s1, s16, s22
	v_lshlrev_b32_e32 v2, 3, v2
	v_lshrrev_b32_e32 v4, 5, v60
	s_movk_i32 s16, 0xf8
	v_and_or_b32 v4, v2, s16, v4
	v_lshlrev_b32_e32 v3, 11, v61
	v_lshlrev_b32_e32 v12, 4, v4
	v_and_b32_e32 v13, 0x78, v2
	v_and_b32_e32 v14, 0x1000, v3
	v_lshlrev_b32_e32 v3, 2, v0
	v_xor_b32_e32 v2, v12, v13
	v_lshrrev_b32_e32 v4, 1, v60
	v_and_b32_e32 v3, 60, v3
	v_or_b32_e32 v2, v2, v14
	v_and_b32_e32 v15, 8, v4
	v_xor_b32_e32 v26, v2, v15
	v_lshl_or_b32 v2, v62, 6, v3
	v_lshlrev_b32_e32 v19, 1, v2
	v_or_b32_e32 v2, 32, v12
	v_xor_b32_e32 v2, v2, v13
	s_waitcnt lgkmcnt(0)
	s_barrier
	ds_read_b64 v[10:11], v26 offset:16384
	v_or_b32_e32 v2, v2, v14
	v_xor_b32_e32 v27, v2, v15
	v_or_b32_e32 v2, 64, v12
	v_xor_b32_e32 v2, v2, v13
	v_or_b32_e32 v2, v2, v14
	v_or_b32_e32 v12, 0x60, v12
	v_xor_b32_e32 v28, v2, v15
	ds_read2st64_b64 v[2:5], v19 offset0:72 offset1:73
	ds_read2st64_b64 v[6:9], v19 offset0:74 offset1:75
	v_xor_b32_e32 v16, v12, v13
	ds_read_b64 v[12:13], v27 offset:16384
	s_waitcnt lgkmcnt(2)
	v_mfma_f32_16x16x16_bf16 a[0:3], v[10:11], v[2:3], 0
	s_add_i32 s2, s39, -1
	s_ashr_i32 s3, s2, 31
	s_mul_i32 s12, s2, s35
	s_mul_hi_u32 s13, s2, s34
	s_add_i32 s12, s13, s12
	s_mul_i32 s3, s3, s34
	v_or_b32_e32 v14, v16, v14
	s_add_i32 s1, s0, s1
	s_add_i32 s3, s12, s3
	s_lshl_b64 s[12:13], s[20:21], 2
	v_xor_b32_e32 v36, v14, v15
	ds_read_b64 v[14:15], v28 offset:16384
	ds_read_b64 v[16:17], v36 offset:16384
	s_waitcnt lgkmcnt(2)
	v_mfma_f32_16x16x16_bf16 a[0:3], v[12:13], v[4:5], a[0:3]
	s_mul_i32 s0, s33, s22
	s_add_u32 s10, s10, s12
	s_addc_u32 s11, s11, s13
	s_lshl_b64 s[0:1], s[0:1], 2
	s_mul_i32 s2, s2, s34
	s_add_u32 s10, s10, s0
	s_addc_u32 s11, s11, s1
	s_lshl_b64 s[0:1], s[2:3], 2
	s_waitcnt lgkmcnt(1)
	v_mfma_f32_16x16x16_bf16 a[0:3], v[14:15], v[6:7], a[0:3]
	s_add_u32 s0, s10, s0
	s_addc_u32 s1, s11, s1
	s_load_dword s12, s[0:1], 0x0
	s_waitcnt lgkmcnt(0)
	v_mfma_f32_16x16x16_bf16 a[0:3], v[16:17], v[8:9], a[0:3]
	s_and_b64 vcc, exec, s[30:31]
	s_cbranch_vccz .LBB727_42
; %bb.32:
	v_lshlrev_b32_e32 v20, 1, v35
	s_and_b64 vcc, exec, s[6:7]
	s_cbranch_vccz .LBB727_43
; %bb.33:
	v_cmp_gt_i32_e32 vcc, s42, v20
	v_mov_b32_e32 v6, 0
	v_mov_b32_e32 v2, 0
	;; [unrolled: 1-line block ×5, first 2 shown]
	s_and_saveexec_b64 s[0:1], vcc
	s_cbranch_execz .LBB727_35
; %bb.34:
	v_mad_i64_i32 v[2:3], s[2:3], s19, v20, 0
	v_lshl_add_u64 v[2:3], v[2:3], 1, s[4:5]
	v_lshlrev_b32_e32 v4, 1, v18
	v_mov_b32_e32 v5, 0
	v_lshl_add_u64 v[2:3], v[2:3], 0, v[4:5]
	global_load_dwordx4 v[2:5], v[2:3], off
.LBB727_35:
	s_or_b64 exec, exec, s[0:1]
	v_or_b32_e32 v21, 1, v20
	v_cmp_gt_i32_e64 s[0:1], s42, v21
	v_mov_b32_e32 v7, 0
	v_mov_b32_e32 v8, 0
	;; [unrolled: 1-line block ×3, first 2 shown]
	s_and_saveexec_b64 s[2:3], s[0:1]
	s_cbranch_execz .LBB727_37
; %bb.36:
	v_mad_i64_i32 v[6:7], s[16:17], s19, v21, 0
	v_lshl_add_u64 v[6:7], v[6:7], 1, s[4:5]
	v_lshlrev_b32_e32 v8, 1, v18
	v_mov_b32_e32 v9, 0
	v_lshl_add_u64 v[6:7], v[6:7], 0, v[8:9]
	global_load_dwordx4 v[6:9], v[6:7], off
.LBB727_37:
	s_or_b64 exec, exec, s[2:3]
	v_mov_b32_e32 v17, 0
	v_mov_b32_e32 v10, 0
	;; [unrolled: 1-line block ×5, first 2 shown]
	s_and_saveexec_b64 s[2:3], vcc
	s_cbranch_execz .LBB727_39
; %bb.38:
	v_mad_i64_i32 v[10:11], s[16:17], s19, v20, 0
	v_lshl_add_u64 v[10:11], v[10:11], 1, s[4:5]
	v_lshlrev_b32_e32 v12, 1, v18
	v_mov_b32_e32 v13, 0
	v_lshl_add_u64 v[10:11], v[10:11], 0, v[12:13]
	global_load_dwordx4 v[10:13], v[10:11], off offset:128
.LBB727_39:
	s_or_b64 exec, exec, s[2:3]
	v_mov_b32_e32 v16, 0
	v_mov_b32_e32 v15, 0
	;; [unrolled: 1-line block ×3, first 2 shown]
	s_and_saveexec_b64 s[2:3], s[0:1]
	s_cbranch_execz .LBB727_41
; %bb.40:
	v_mad_i64_i32 v[14:15], s[0:1], s19, v21, 0
	v_lshl_add_u64 v[14:15], v[14:15], 1, s[4:5]
	v_lshlrev_b32_e32 v16, 1, v18
	v_mov_b32_e32 v17, 0
	v_lshl_add_u64 v[14:15], v[14:15], 0, v[16:17]
	global_load_dwordx4 v[14:17], v[14:15], off offset:128
.LBB727_41:
	s_or_b64 exec, exec, s[2:3]
	s_branch .LBB727_45
.LBB727_42:
                                        ; implicit-def: $vgpr5
                                        ; implicit-def: $vgpr9
                                        ; implicit-def: $vgpr13
                                        ; implicit-def: $vgpr17
	v_lshrrev_b32_e32 v37, 2, v60
	s_branch .LBB727_46
.LBB727_43:
                                        ; implicit-def: $vgpr5
                                        ; implicit-def: $vgpr9
                                        ; implicit-def: $vgpr13
                                        ; implicit-def: $vgpr17
	s_cbranch_execz .LBB727_45
; %bb.44:
	s_waitcnt vmcnt(0)
	v_mad_u64_u32 v[2:3], s[0:1], v20, s19, v[18:19]
	v_lshlrev_b32_e32 v20, 1, v2
	s_lshl_b32 s2, s19, 7
	s_and_b32 s1, s5, 0xffff
	s_mov_b32 s3, 0x20000
	s_mov_b32 s0, s4
	v_add_lshl_u32 v21, v2, s19, 1
	s_movk_i32 s13, 0x80
	buffer_load_dwordx4 v[2:5], v20, s[0:3], 0 offen
	buffer_load_dwordx4 v[10:13], v20, s[0:3], s13 offen
	;; [unrolled: 1-line block ×4, first 2 shown]
.LBB727_45:
	v_lshrrev_b32_e32 v37, 2, v60
	s_cbranch_execnz .LBB727_58
.LBB727_46:
	s_and_b64 vcc, exec, s[6:7]
	s_cbranch_vccz .LBB727_56
; %bb.47:
	s_waitcnt vmcnt(0)
	v_lshlrev_b32_e32 v7, 1, v35
	v_cmp_gt_i32_e32 vcc, s42, v7
	v_mov_b32_e32 v6, 0
	v_lshlrev_b32_e32 v14, 9, v35
	v_mov_b32_e32 v2, 0
	v_mov_b32_e32 v3, 0
	v_mov_b32_e32 v4, 0
	v_mov_b32_e32 v5, 0
	s_and_saveexec_b64 s[0:1], vcc
	s_cbranch_execz .LBB727_49
; %bb.48:
	v_mov_b32_e32 v15, 0
	v_lshl_add_u64 v[2:3], s[4:5], 0, v[14:15]
	v_lshlrev_b32_e32 v4, 1, v18
	v_mov_b32_e32 v5, v15
	v_lshl_add_u64 v[2:3], v[2:3], 0, v[4:5]
	global_load_dwordx4 v[2:5], v[2:3], off
.LBB727_49:
	s_or_b64 exec, exec, s[0:1]
	v_or_b32_e32 v7, 1, v7
	v_cmp_gt_i32_e64 s[0:1], s42, v7
	v_lshlrev_b32_e32 v20, 8, v7
	v_mov_b32_e32 v7, 0
	v_mov_b32_e32 v8, 0
	;; [unrolled: 1-line block ×3, first 2 shown]
	s_and_saveexec_b64 s[2:3], s[0:1]
	s_cbranch_execz .LBB727_51
; %bb.50:
	v_mov_b32_e32 v21, 0
	v_lshl_add_u64 v[6:7], s[4:5], 0, v[20:21]
	v_lshlrev_b32_e32 v8, 1, v18
	v_mov_b32_e32 v9, v21
	v_lshl_add_u64 v[6:7], v[6:7], 0, v[8:9]
	global_load_dwordx4 v[6:9], v[6:7], off
.LBB727_51:
	s_or_b64 exec, exec, s[2:3]
	v_mov_b32_e32 v17, 0
	v_mov_b32_e32 v10, 0
	;; [unrolled: 1-line block ×5, first 2 shown]
	s_and_saveexec_b64 s[2:3], vcc
	s_cbranch_execz .LBB727_53
; %bb.52:
	v_mov_b32_e32 v15, 0
	v_lshl_add_u64 v[10:11], s[4:5], 0, v[14:15]
	v_lshlrev_b32_e32 v14, 1, v18
	v_lshl_add_u64 v[10:11], v[10:11], 0, v[14:15]
	global_load_dwordx4 v[10:13], v[10:11], off offset:128
.LBB727_53:
	s_or_b64 exec, exec, s[2:3]
	v_mov_b32_e32 v16, 0
	v_mov_b32_e32 v15, 0
	;; [unrolled: 1-line block ×3, first 2 shown]
	s_and_saveexec_b64 s[2:3], s[0:1]
	s_cbranch_execz .LBB727_55
; %bb.54:
	v_mov_b32_e32 v21, 0
	v_lshl_add_u64 v[14:15], s[4:5], 0, v[20:21]
	v_lshlrev_b32_e32 v20, 1, v18
	v_lshl_add_u64 v[14:15], v[14:15], 0, v[20:21]
	global_load_dwordx4 v[14:17], v[14:15], off offset:128
.LBB727_55:
	s_or_b64 exec, exec, s[2:3]
	s_branch .LBB727_58
.LBB727_56:
                                        ; implicit-def: $vgpr5
                                        ; implicit-def: $vgpr9
                                        ; implicit-def: $vgpr13
                                        ; implicit-def: $vgpr17
	s_cbranch_execz .LBB727_58
; %bb.57:
	s_waitcnt vmcnt(0)
	v_lshlrev_b32_e32 v2, 1, v18
	v_lshl_or_b32 v18, v35, 9, v2
	s_and_b32 s5, s5, 0xffff
	s_mov_b32 s7, 0x20000
	s_movk_i32 s6, 0x4000
	s_movk_i32 s0, 0x80
	buffer_load_dwordx4 v[2:5], v18, s[4:7], 0 offen
	buffer_load_dwordx4 v[6:9], v18, s[4:7], 0 offen offset:256
	buffer_load_dwordx4 v[10:13], v18, s[4:7], s0 offen
	buffer_load_dwordx4 v[14:17], v18, s[4:7], s0 offen offset:256
.LBB727_58:
	ds_read2st64_b64 v[22:25], v19 offset0:76 offset1:77
	ds_read2st64_b64 v[18:21], v19 offset0:78 offset1:79
	ds_read_b64 v[32:33], v26 offset:24576
	ds_read_b64 v[30:31], v27 offset:24576
	;; [unrolled: 1-line block ×4, first 2 shown]
	v_and_b32_e32 v36, 6, v0
	v_xor_b32_e32 v35, v35, v36
	v_lshlrev_b32_e32 v35, 2, v35
	v_and_b32_e32 v0, 1, v0
	v_xor_b32_e32 v38, 0x440, v35
	v_cmp_eq_u32_e32 vcc, 0, v0
	s_mov_b32 s0, 0x1000504
	s_mov_b32 s1, 0x3020706
	v_cndmask_b32_e32 v0, v38, v35, vcc
	v_lshl_or_b32 v0, v36, 10, v0
	s_waitcnt vmcnt(0)
	v_perm_b32 v35, v2, v6, s0
	v_perm_b32 v36, v10, v14, s0
	ds_write2st64_b32 v0, v35, v36 offset1:32
	v_xor_b32_e32 v35, 8, v0
	v_perm_b32 v2, v2, v6, s1
	v_perm_b32 v6, v10, v14, s1
	v_add_u32_e32 v10, 0x80, v35
	ds_write2st64_b32 v10, v2, v6 offset1:32
	v_xor_b32_e32 v2, 16, v0
	v_perm_b32 v6, v3, v7, s0
	v_perm_b32 v10, v11, v15, s0
	ds_write2st64_b32 v2, v6, v10 offset0:1 offset1:33
	v_xor_b32_e32 v2, 24, v0
	v_perm_b32 v3, v3, v7, s1
	v_perm_b32 v6, v11, v15, s1
	v_add_u32_e32 v2, 0x80, v2
	ds_write2st64_b32 v2, v3, v6 offset0:1 offset1:33
	v_xor_b32_e32 v2, 32, v0
	v_perm_b32 v3, v4, v8, s0
	v_perm_b32 v6, v12, v16, s0
	ds_write2st64_b32 v2, v3, v6 offset0:2 offset1:34
	v_xor_b32_e32 v2, 40, v0
	v_perm_b32 v3, v4, v8, s1
	v_perm_b32 v4, v12, v16, s1
	v_add_u32_e32 v2, 0x80, v2
	ds_write2st64_b32 v2, v3, v4 offset0:2 offset1:34
	v_xor_b32_e32 v2, 48, v0
	v_perm_b32 v3, v5, v9, s0
	v_perm_b32 v4, v13, v17, s0
	v_xor_b32_e32 v0, 56, v0
	v_and_or_b32 v8, v37, 12, v45
	ds_write2st64_b32 v2, v3, v4 offset0:3 offset1:35
	v_perm_b32 v2, v5, v9, s1
	v_perm_b32 v3, v13, v17, s1
	v_add_u32_e32 v0, 0x80, v0
	v_cmp_gt_i32_e32 vcc, s42, v8
	v_mov_b32_e32 v9, 0
	v_mov_b32_e32 v14, 0
	ds_write2st64_b32 v0, v2, v3 offset0:3 offset1:35
	s_and_saveexec_b64 s[0:1], vcc
	s_cbranch_execz .LBB727_60
; %bb.59:
	v_add_u32_e32 v0, s38, v8
	v_ashrrev_i32_e32 v2, 31, v0
	v_mul_lo_u32 v4, v2, s34
	v_mul_lo_u32 v5, v0, s35
	v_mad_u64_u32 v[2:3], s[2:3], v0, s34, 0
	v_add3_u32 v3, v3, v5, v4
	v_lshl_add_u64 v[2:3], v[2:3], 2, s[10:11]
	global_load_dword v0, v[2:3], off
	s_waitcnt vmcnt(0)
	v_sub_f32_e32 v0, s12, v0
	v_mul_f32_e32 v0, 0x3fb8aa3b, v0
	v_exp_f32_e32 v14, v0
.LBB727_60:
	s_or_b64 exec, exec, s[0:1]
	v_or_b32_e32 v12, 1, v8
	v_cmp_gt_i32_e64 s[2:3], s42, v12
	s_and_saveexec_b64 s[0:1], s[2:3]
	s_cbranch_execz .LBB727_62
; %bb.61:
	v_add_u32_e32 v0, s38, v12
	v_ashrrev_i32_e32 v2, 31, v0
	v_mul_lo_u32 v4, v2, s34
	v_mul_lo_u32 v5, v0, s35
	v_mad_u64_u32 v[2:3], s[4:5], v0, s34, 0
	v_add3_u32 v3, v3, v5, v4
	v_lshl_add_u64 v[2:3], v[2:3], 2, s[10:11]
	global_load_dword v0, v[2:3], off
	s_waitcnt vmcnt(0)
	v_sub_f32_e32 v0, s12, v0
	v_mul_f32_e32 v0, 0x3fb8aa3b, v0
	v_exp_f32_e32 v9, v0
.LBB727_62:
	s_or_b64 exec, exec, s[0:1]
	v_or_b32_e32 v11, 2, v8
	v_cmp_gt_i32_e64 s[0:1], s42, v11
	v_mov_b32_e32 v10, 0
	v_mov_b32_e32 v15, 0
	s_and_saveexec_b64 s[4:5], s[0:1]
	s_cbranch_execz .LBB727_64
; %bb.63:
	v_add_u32_e32 v0, s38, v11
	v_ashrrev_i32_e32 v2, 31, v0
	v_mul_lo_u32 v4, v2, s34
	v_mul_lo_u32 v5, v0, s35
	v_mad_u64_u32 v[2:3], s[6:7], v0, s34, 0
	v_add3_u32 v3, v3, v5, v4
	v_lshl_add_u64 v[2:3], v[2:3], 2, s[10:11]
	global_load_dword v0, v[2:3], off
	s_waitcnt vmcnt(0)
	v_sub_f32_e32 v0, s12, v0
	v_mul_f32_e32 v0, 0x3fb8aa3b, v0
	v_exp_f32_e32 v15, v0
.LBB727_64:
	s_or_b64 exec, exec, s[4:5]
	v_or_b32_e32 v13, 3, v8
	v_cmp_gt_i32_e64 s[4:5], s42, v13
	s_and_saveexec_b64 s[6:7], s[4:5]
	s_cbranch_execz .LBB727_66
; %bb.65:
	v_add_u32_e32 v0, s38, v13
	v_ashrrev_i32_e32 v2, 31, v0
	v_mul_lo_u32 v4, v2, s34
	v_mul_lo_u32 v5, v0, s35
	v_mad_u64_u32 v[2:3], s[16:17], v0, s34, 0
	v_add3_u32 v3, v3, v5, v4
	v_lshl_add_u64 v[2:3], v[2:3], 2, s[10:11]
	global_load_dword v0, v[2:3], off
	s_waitcnt vmcnt(0)
	v_sub_f32_e32 v0, s12, v0
	v_mul_f32_e32 v0, 0x3fb8aa3b, v0
	v_exp_f32_e32 v10, v0
.LBB727_66:
	s_or_b64 exec, exec, s[6:7]
	s_waitcnt lgkmcnt(11)
	v_mfma_f32_16x16x16_bf16 a[0:3], v[32:33], v[22:23], a[0:3]
	v_or_b32_e32 v0, s36, v1
	s_add_u32 s6, s8, s28
	v_ashrrev_i32_e32 v1, 31, v0
	s_waitcnt lgkmcnt(10)
	v_mfma_f32_16x16x16_bf16 a[0:3], v[30:31], v[24:25], a[0:3]
	s_addc_u32 s7, s9, s29
	v_lshlrev_b64 v[0:1], 1, v[0:1]
	v_lshl_add_u64 v[4:5], s[6:7], 0, v[0:1]
	s_waitcnt lgkmcnt(9)
	v_mfma_f32_16x16x16_bf16 a[0:3], v[28:29], v[18:19], a[0:3]
	s_add_u32 s6, s14, s28
	s_addc_u32 s7, s15, s29
	v_lshl_add_u64 v[6:7], s[6:7], 0, v[0:1]
	s_waitcnt lgkmcnt(8)
	v_mfma_f32_16x16x16_bf16 a[0:3], v[26:27], v[20:21], a[0:3]
	v_mov_b32_e32 v16, 0
	v_mov_b32_e32 v17, 0
	s_nop 4
	v_accvgpr_read_b32 v0, a0
	v_accvgpr_read_b32 v1, a1
	;; [unrolled: 1-line block ×4, first 2 shown]
	s_and_saveexec_b64 s[6:7], vcc
	s_cbranch_execz .LBB727_68
; %bb.67:
	v_lshlrev_b32_e32 v18, 8, v8
	v_mov_b32_e32 v19, 0
	v_lshl_add_u64 v[20:21], v[4:5], 0, v[18:19]
	global_load_ushort v17, v[20:21], off
	v_lshl_add_u64 v[18:19], v[6:7], 0, v[18:19]
	s_waitcnt vmcnt(0)
	v_lshlrev_b32_e32 v17, 16, v17
	v_sub_f32_e32 v0, v17, v0
	global_store_short_d16_hi v[18:19], v0, off
	v_mul_f32_e32 v0, v14, v0
	v_lshrrev_b32_e32 v17, 16, v0
.LBB727_68:
	s_or_b64 exec, exec, s[6:7]
	s_and_saveexec_b64 s[6:7], s[2:3]
	s_cbranch_execz .LBB727_70
; %bb.69:
	v_lshlrev_b32_e32 v18, 8, v12
	v_mov_b32_e32 v19, 0
	v_lshl_add_u64 v[20:21], v[4:5], 0, v[18:19]
	global_load_ushort v0, v[20:21], off
	v_lshl_add_u64 v[18:19], v[6:7], 0, v[18:19]
	s_waitcnt vmcnt(0)
	v_lshlrev_b32_e32 v0, 16, v0
	v_sub_f32_e32 v0, v0, v1
	global_store_short_d16_hi v[18:19], v0, off
	v_mul_f32_e32 v0, v9, v0
	v_lshrrev_b32_e32 v16, 16, v0
.LBB727_70:
	s_or_b64 exec, exec, s[6:7]
	v_mov_b32_e32 v0, 0
	v_mov_b32_e32 v1, 0
	s_and_saveexec_b64 s[2:3], s[0:1]
	s_cbranch_execz .LBB727_72
; %bb.71:
	v_lshlrev_b32_e32 v18, 8, v11
	v_mov_b32_e32 v19, 0
	v_lshl_add_u64 v[20:21], v[4:5], 0, v[18:19]
	global_load_ushort v1, v[20:21], off
	v_lshl_add_u64 v[18:19], v[6:7], 0, v[18:19]
	s_waitcnt vmcnt(0)
	v_lshlrev_b32_e32 v1, 16, v1
	v_sub_f32_e32 v1, v1, v2
	global_store_short_d16_hi v[18:19], v1, off
	v_mul_f32_e32 v1, v15, v1
	v_lshrrev_b32_e32 v1, 16, v1
.LBB727_72:
	s_or_b64 exec, exec, s[2:3]
	s_and_saveexec_b64 s[0:1], s[4:5]
	s_cbranch_execz .LBB727_74
; %bb.73:
	v_lshlrev_b32_e32 v12, 8, v13
	v_mov_b32_e32 v13, 0
	v_lshl_add_u64 v[4:5], v[4:5], 0, v[12:13]
	global_load_ushort v0, v[4:5], off
	v_lshl_add_u64 v[4:5], v[6:7], 0, v[12:13]
	s_waitcnt vmcnt(0)
	v_lshlrev_b32_e32 v0, 16, v0
	v_sub_f32_e32 v0, v0, v3
	global_store_short_d16_hi v[4:5], v0, off
	v_mul_f32_e32 v0, v10, v0
	v_lshrrev_b32_e32 v0, 16, v0
.LBB727_74:
	s_or_b64 exec, exec, s[0:1]
	s_mov_b32 s0, 0x5040100
	v_lshlrev_b32_e32 v2, 1, v34
	v_perm_b32 v1, v0, v1, s0
	v_perm_b32 v0, v16, v17, s0
	v_lshl_or_b32 v2, v8, 5, v2
	ds_write_b64 v2, v[0:1] offset:38912
	s_waitcnt lgkmcnt(0)
	s_barrier
.LBB727_75:
	s_endpgm
	.section	.rodata,"a",@progbits
	.p2align	6, 0x0
	.amdhsa_kernel _ZN12_GLOBAL__N_139chunk_gated_delta_rule_fwd_h_hip_kernelILi16ELb0ELb0ELb1ELb1ELb0ELb1ELb0ELb0EEEvPK12hip_bfloat16S3_S3_PKfS5_PKvPS1_S8_PvPKiSB_iiiiilll
		.amdhsa_group_segment_fixed_size 40960
		.amdhsa_private_segment_fixed_size 0
		.amdhsa_kernarg_size 136
		.amdhsa_user_sgpr_count 2
		.amdhsa_user_sgpr_dispatch_ptr 0
		.amdhsa_user_sgpr_queue_ptr 0
		.amdhsa_user_sgpr_kernarg_segment_ptr 1
		.amdhsa_user_sgpr_dispatch_id 0
		.amdhsa_user_sgpr_kernarg_preload_length 0
		.amdhsa_user_sgpr_kernarg_preload_offset 0
		.amdhsa_user_sgpr_private_segment_size 0
		.amdhsa_uses_dynamic_stack 0
		.amdhsa_enable_private_segment 0
		.amdhsa_system_sgpr_workgroup_id_x 1
		.amdhsa_system_sgpr_workgroup_id_y 1
		.amdhsa_system_sgpr_workgroup_id_z 0
		.amdhsa_system_sgpr_workgroup_info 0
		.amdhsa_system_vgpr_workitem_id 0
		.amdhsa_next_free_vgpr 128
		.amdhsa_next_free_sgpr 62
		.amdhsa_accum_offset 116
		.amdhsa_reserve_vcc 1
		.amdhsa_float_round_mode_32 0
		.amdhsa_float_round_mode_16_64 0
		.amdhsa_float_denorm_mode_32 3
		.amdhsa_float_denorm_mode_16_64 3
		.amdhsa_dx10_clamp 1
		.amdhsa_ieee_mode 1
		.amdhsa_fp16_overflow 0
		.amdhsa_tg_split 0
		.amdhsa_exception_fp_ieee_invalid_op 0
		.amdhsa_exception_fp_denorm_src 0
		.amdhsa_exception_fp_ieee_div_zero 0
		.amdhsa_exception_fp_ieee_overflow 0
		.amdhsa_exception_fp_ieee_underflow 0
		.amdhsa_exception_fp_ieee_inexact 0
		.amdhsa_exception_int_div_zero 0
	.end_amdhsa_kernel
	.section	.text._ZN12_GLOBAL__N_139chunk_gated_delta_rule_fwd_h_hip_kernelILi16ELb0ELb0ELb1ELb1ELb0ELb1ELb0ELb0EEEvPK12hip_bfloat16S3_S3_PKfS5_PKvPS1_S8_PvPKiSB_iiiiilll,"axG",@progbits,_ZN12_GLOBAL__N_139chunk_gated_delta_rule_fwd_h_hip_kernelILi16ELb0ELb0ELb1ELb1ELb0ELb1ELb0ELb0EEEvPK12hip_bfloat16S3_S3_PKfS5_PKvPS1_S8_PvPKiSB_iiiiilll,comdat
.Lfunc_end727:
	.size	_ZN12_GLOBAL__N_139chunk_gated_delta_rule_fwd_h_hip_kernelILi16ELb0ELb0ELb1ELb1ELb0ELb1ELb0ELb0EEEvPK12hip_bfloat16S3_S3_PKfS5_PKvPS1_S8_PvPKiSB_iiiiilll, .Lfunc_end727-_ZN12_GLOBAL__N_139chunk_gated_delta_rule_fwd_h_hip_kernelILi16ELb0ELb0ELb1ELb1ELb0ELb1ELb0ELb0EEEvPK12hip_bfloat16S3_S3_PKfS5_PKvPS1_S8_PvPKiSB_iiiiilll
                                        ; -- End function
	.section	.AMDGPU.csdata,"",@progbits
; Kernel info:
; codeLenInByte = 7468
; NumSgprs: 68
; NumVgprs: 116
; NumAgprs: 12
; TotalNumVgprs: 128
; ScratchSize: 0
; MemoryBound: 0
; FloatMode: 240
; IeeeMode: 1
; LDSByteSize: 40960 bytes/workgroup (compile time only)
; SGPRBlocks: 8
; VGPRBlocks: 15
; NumSGPRsForWavesPerEU: 68
; NumVGPRsForWavesPerEU: 128
; AccumOffset: 116
; Occupancy: 1
; WaveLimiterHint : 1
; COMPUTE_PGM_RSRC2:SCRATCH_EN: 0
; COMPUTE_PGM_RSRC2:USER_SGPR: 2
; COMPUTE_PGM_RSRC2:TRAP_HANDLER: 0
; COMPUTE_PGM_RSRC2:TGID_X_EN: 1
; COMPUTE_PGM_RSRC2:TGID_Y_EN: 1
; COMPUTE_PGM_RSRC2:TGID_Z_EN: 0
; COMPUTE_PGM_RSRC2:TIDIG_COMP_CNT: 0
; COMPUTE_PGM_RSRC3_GFX90A:ACCUM_OFFSET: 28
; COMPUTE_PGM_RSRC3_GFX90A:TG_SPLIT: 0
	.section	.text._ZN12_GLOBAL__N_139chunk_gated_delta_rule_fwd_h_hip_kernelILi16ELb0ELb0ELb0ELb1ELb0ELb1ELb0ELb0EEEvPK12hip_bfloat16S3_S3_PKfS5_PKvPS1_S8_PvPKiSB_iiiiilll,"axG",@progbits,_ZN12_GLOBAL__N_139chunk_gated_delta_rule_fwd_h_hip_kernelILi16ELb0ELb0ELb0ELb1ELb0ELb1ELb0ELb0EEEvPK12hip_bfloat16S3_S3_PKfS5_PKvPS1_S8_PvPKiSB_iiiiilll,comdat
	.globl	_ZN12_GLOBAL__N_139chunk_gated_delta_rule_fwd_h_hip_kernelILi16ELb0ELb0ELb0ELb1ELb0ELb1ELb0ELb0EEEvPK12hip_bfloat16S3_S3_PKfS5_PKvPS1_S8_PvPKiSB_iiiiilll ; -- Begin function _ZN12_GLOBAL__N_139chunk_gated_delta_rule_fwd_h_hip_kernelILi16ELb0ELb0ELb0ELb1ELb0ELb1ELb0ELb0EEEvPK12hip_bfloat16S3_S3_PKfS5_PKvPS1_S8_PvPKiSB_iiiiilll
	.p2align	8
	.type	_ZN12_GLOBAL__N_139chunk_gated_delta_rule_fwd_h_hip_kernelILi16ELb0ELb0ELb0ELb1ELb0ELb1ELb0ELb0EEEvPK12hip_bfloat16S3_S3_PKfS5_PKvPS1_S8_PvPKiSB_iiiiilll,@function
_ZN12_GLOBAL__N_139chunk_gated_delta_rule_fwd_h_hip_kernelILi16ELb0ELb0ELb0ELb1ELb0ELb1ELb0ELb0EEEvPK12hip_bfloat16S3_S3_PKfS5_PKvPS1_S8_PvPKiSB_iiiiilll: ; @_ZN12_GLOBAL__N_139chunk_gated_delta_rule_fwd_h_hip_kernelILi16ELb0ELb0ELb0ELb1ELb0ELb1ELb0ELb0EEEvPK12hip_bfloat16S3_S3_PKfS5_PKvPS1_S8_PvPKiSB_iiiiilll
; %bb.0:
	s_load_dwordx4 s[12:15], s[0:1], 0x5c
	s_load_dwordx4 s[16:19], s[0:1], 0x70
	s_abs_i32 s21, s3
	s_ashr_i32 s20, s3, 31
	s_load_dwordx2 s[36:37], s[0:1], 0x30
	s_load_dwordx4 s[24:27], s[0:1], 0x48
	s_waitcnt lgkmcnt(0)
	s_abs_i32 s28, s13
	v_cvt_f32_u32_e32 v1, s28
	s_sub_i32 s22, 0, s28
	s_ashr_i32 s29, s13, 31
	s_xor_b32 s20, s20, s29
	v_rcp_iflag_f32_e32 v1, v1
	s_load_dwordx8 s[4:11], s[0:1], 0x0
	v_lshrrev_b32_e32 v59, 6, v0
	v_bfe_u32 v60, v0, 4, 2
	v_mul_f32_e32 v1, 0x4f7ffffe, v1
	v_cvt_u32_f32_e32 v1, v1
	v_lshlrev_b32_e32 v45, 4, v59
	v_lshlrev_b32_e32 v2, 2, v60
	v_and_b32_e32 v58, 63, v0
	v_readfirstlane_b32 s23, v1
	s_mul_i32 s22, s22, s23
	s_mul_hi_u32 s22, s23, s22
	s_add_i32 s23, s23, s22
	s_mul_hi_u32 s22, s21, s23
	s_mul_i32 s23, s22, s28
	s_sub_i32 s21, s21, s23
	s_add_i32 s30, s22, 1
	s_sub_i32 s23, s21, s28
	s_cmp_ge_u32 s21, s28
	s_cselect_b32 s22, s30, s22
	s_cselect_b32 s21, s23, s21
	s_add_i32 s23, s22, 1
	s_cmp_ge_u32 s21, s28
	s_cselect_b32 s21, s23, s22
	s_xor_b32 s21, s21, s20
	s_sub_i32 s20, s21, s20
	s_mul_i32 s21, s20, s13
	s_sub_i32 s33, s3, s21
	s_ashr_i32 s21, s20, 31
	s_lshl_b64 s[22:23], s[20:21], 2
	s_add_u32 s24, s24, s22
	s_addc_u32 s25, s25, s23
	s_add_u32 s22, s26, s22
	s_addc_u32 s23, s27, s23
	s_abs_i32 s3, s14
	v_cvt_f32_u32_e32 v1, s3
	s_load_dwordx2 s[34:35], s[24:25], 0x0
	s_sub_i32 s25, 0, s3
	s_load_dword s46, s[22:23], 0x0
	v_rcp_iflag_f32_e32 v1, v1
	v_or_b32_e32 v64, v2, v45
	s_waitcnt lgkmcnt(0)
	s_sub_i32 s47, s35, s34
	s_ashr_i32 s24, s47, 31
	v_mul_f32_e32 v1, 0x4f7ffffe, v1
	v_cvt_u32_f32_e32 v1, v1
	s_lshr_b32 s24, s24, 26
	s_add_i32 s24, s47, s24
	s_ashr_i32 s45, s24, 6
	v_readfirstlane_b32 s26, v1
	s_mul_i32 s25, s25, s26
	s_mul_hi_u32 s25, s26, s25
	s_add_i32 s26, s26, s25
	s_mul_hi_u32 s25, s28, s26
	s_mul_i32 s26, s25, s3
	s_ashr_i32 s24, s14, 31
	s_sub_i32 s26, s28, s26
	s_xor_b32 s24, s29, s24
	s_add_i32 s27, s25, 1
	s_sub_i32 s28, s26, s3
	s_cmp_ge_u32 s26, s3
	s_cselect_b32 s25, s27, s25
	s_cselect_b32 s26, s28, s26
	s_add_i32 s27, s25, 1
	s_cmp_ge_u32 s26, s3
	s_cselect_b32 s3, s27, s25
	s_xor_b32 s3, s3, s24
	s_sub_i32 s3, s3, s24
	s_abs_i32 s24, s3
	v_cvt_f32_u32_e32 v1, s24
	s_sub_i32 s23, 0, s24
	s_abs_i32 s22, s33
	s_xor_b32 s3, s33, s3
	v_rcp_iflag_f32_e32 v1, v1
	s_ashr_i32 s3, s3, 31
	s_load_dwordx2 s[28:29], s[0:1], 0x80
	v_mov_b32_e32 v49, 0
	v_mul_f32_e32 v1, 0x4f7ffffe, v1
	v_cvt_u32_f32_e32 v1, v1
	v_or_b32_e32 v63, 64, v64
	s_mul_hi_i32 s48, s33, s12
	s_mul_i32 s49, s33, s12
	v_readfirstlane_b32 s25, v1
	s_mul_i32 s23, s23, s25
	s_mul_hi_u32 s23, s25, s23
	s_add_i32 s25, s25, s23
	s_mul_hi_u32 s23, s22, s25
	s_mul_i32 s25, s23, s24
	s_sub_i32 s22, s22, s25
	s_add_i32 s25, s23, 1
	s_sub_i32 s26, s22, s24
	s_cmp_ge_u32 s22, s24
	s_cselect_b32 s23, s25, s23
	s_cselect_b32 s22, s26, s22
	s_add_i32 s25, s23, 1
	s_cmp_ge_u32 s22, s24
	s_cselect_b32 s22, s25, s23
	s_xor_b32 s22, s22, s3
	s_sub_i32 s51, s22, s3
	s_lshl_b32 s30, s2, 4
	v_and_b32_e32 v1, 15, v0
	s_cmp_lt_i32 s47, 64
	v_lshrrev_b32_e32 v62, 3, v58
	v_lshlrev_b32_e32 v61, 3, v0
	s_mul_i32 s42, s20, s17
	s_mul_hi_u32 s43, s20, s16
	s_mul_i32 s44, s21, s16
	s_mul_i32 s16, s20, s16
	v_mov_b32_e32 v48, v49
	v_mov_b32_e32 v51, v49
	;; [unrolled: 1-line block ×7, first 2 shown]
	s_cbranch_scc1 .LBB728_18
; %bb.1:
	s_ashr_i32 s53, s33, 31
	s_ashr_i32 s3, s34, 31
	s_add_u32 s2, s49, s34
	s_addc_u32 s3, s48, s3
	s_lshl_b64 s[2:3], s[2:3], 8
	v_and_b32_e32 v66, 56, v61
	s_add_u32 s20, s6, s2
	v_lshl_or_b32 v65, v59, 3, v62
	v_lshlrev_b32_e32 v3, 1, v66
	s_addc_u32 s2, s7, s3
	v_lshl_or_b32 v67, v65, 8, v3
	s_and_b32 s21, s2, 0xffff
	s_mov_b32 s23, 0x20000
	s_movk_i32 s22, 0x4000
	s_movk_i32 s2, 0x80
	v_or_b32_e32 v68, 0x2000, v67
	buffer_load_dwordx4 v[4:7], v67, s[20:23], 0 offen
	buffer_load_dwordx4 v[8:11], v67, s[20:23], s2 offen
	;; [unrolled: 1-line block ×4, first 2 shown]
	v_lshlrev_b32_e32 v20, 3, v65
	v_and_or_b32 v22, v0, 7, v20
	v_and_b32_e32 v20, 0x78, v20
	v_lshlrev_b32_e32 v22, 4, v22
	v_xor_b32_e32 v69, v22, v20
	v_mul_lo_u32 v21, v65, s15
	v_or_b32_e32 v70, 0x1000, v69
	s_cmpk_eq_i32 s15, 0x80
	s_mov_b32 s50, s13
	s_mov_b32 s52, s34
	v_xor_b32_e32 v20, 8, v69
	v_xor_b32_e32 v22, 8, v70
	s_cselect_b64 s[2:3], -1, 0
	s_cmpk_lg_i32 s15, 0x80
	s_waitcnt vmcnt(3)
	ds_write_b64 v69, v[4:5] offset:16384
	ds_write_b64 v20, v[6:7] offset:16384
	s_waitcnt vmcnt(2)
	ds_write_b64 v69, v[8:9] offset:24576
	ds_write_b64 v20, v[10:11] offset:24576
	;; [unrolled: 3-line block ×4, first 2 shown]
	v_lshl_add_u32 v4, v21, 1, v66
	s_cbranch_scc0 .LBB728_3
; %bb.2:
	v_lshlrev_b32_e32 v6, 1, v4
	v_add_lshl_u32 v5, v4, s15, 1
	s_lshl_b32 s22, s15, 7
	s_load_dwordx2 s[38:39], s[0:1], 0x20
	v_lshl_or_b32 v3, v65, 9, v3
	s_cbranch_execz .LBB728_4
	s_branch .LBB728_5
.LBB728_3:
                                        ; implicit-def: $vgpr5
                                        ; implicit-def: $vgpr6
                                        ; implicit-def: $sgpr22
	s_load_dwordx2 s[38:39], s[0:1], 0x20
	v_lshl_or_b32 v3, v65, 9, v3
.LBB728_4:
	v_or_b32_e32 v5, 0x100, v3
	s_movk_i32 s22, 0x4000
	v_mov_b32_e32 v6, v3
.LBB728_5:
	s_mul_i32 s0, s34, s14
	s_ashr_i32 s54, s51, 31
	s_mul_hi_i32 s1, s34, s14
	s_add_u32 s0, s0, s51
	s_addc_u32 s1, s1, s54
	s_lshl_b64 s[0:1], s[0:1], 8
	s_add_u32 s20, s4, s0
	s_addc_u32 s0, s5, s1
	s_and_b32 s21, s0, 0xffff
	s_movk_i32 s55, 0x80
	buffer_load_dwordx4 v[8:11], v6, s[20:23], 0 offen
	buffer_load_dwordx4 v[12:15], v6, s[20:23], s55 offen
	;; [unrolled: 1-line block ×4, first 2 shown]
	v_and_b32_e32 v5, 6, v0
	v_lshlrev_b32_e32 v7, 2, v1
	v_lshlrev_b32_e32 v24, 3, v1
	v_xor_b32_e32 v26, v65, v5
	v_and_b32_e32 v6, 1, v0
	v_lshl_or_b32 v24, v64, 5, v24
	v_xor_b32_e32 v27, v64, v7
	v_lshlrev_b32_e32 v26, 2, v26
	s_mul_i32 s1, s33, s19
	s_mul_hi_u32 s17, s33, s18
	v_or_b32_e32 v71, 0x9000, v24
	v_or_b32_e32 v72, 0x9800, v24
	v_lshlrev_b32_e32 v24, 1, v27
	v_xor_b32_e32 v27, 0x440, v26
	v_cmp_eq_u32_e32 vcc, 0, v6
	s_add_i32 s21, s43, s42
	s_mul_i32 s20, s53, s18
	v_cndmask_b32_e32 v6, v27, v26, vcc
	s_add_i32 s1, s17, s1
	s_add_i32 s17, s21, s44
	s_mov_b32 s56, 0x1000504
	v_lshlrev_b32_e32 v25, 8, v1
	s_mov_b32 s22, 0x8000
	v_xor_b32_e32 v7, v63, v7
	v_lshl_or_b32 v5, v5, 10, v6
	s_add_i32 s1, s1, s20
	s_lshl_b64 s[20:21], s[16:17], 2
	s_mov_b32 s57, 0x3020706
	s_mul_i32 s0, s33, s18
	v_lshlrev_b32_e32 v7, 1, v7
	v_or3_b32 v73, v24, v25, s22
	v_xor_b32_e32 v6, 8, v5
	v_xor_b32_e32 v24, 24, v5
	;; [unrolled: 1-line block ×4, first 2 shown]
	s_add_u32 s17, s10, s20
	v_or3_b32 v74, v7, v25, s22
	v_xor_b32_e32 v7, 16, v5
	v_xor_b32_e32 v25, 32, v5
	v_xor_b32_e32 v27, 48, v5
	v_add_u32_e32 v6, 0x80, v6
	v_add_u32_e32 v24, 0x80, v24
	;; [unrolled: 1-line block ×4, first 2 shown]
	s_addc_u32 s20, s11, s21
	s_lshl_b64 s[0:1], s[0:1], 2
	s_add_u32 s40, s17, s0
	s_movk_i32 s0, 0xf8
	s_addc_u32 s41, s20, s1
	s_ashr_i32 s31, s30, 31
	s_lshl_b32 s26, s15, 7
	v_mov_b32_e32 v47, 0
	s_mov_b32 s58, 0
	v_add_u32_e32 v85, v45, v2
	s_mov_b32 s17, 0x7060302
	v_mov_b32_e32 v96, 0x3fb8aa3b
	v_mov_b32_e32 v52, v47
	;; [unrolled: 1-line block ×7, first 2 shown]
	s_waitcnt vmcnt(1)
	v_perm_b32 v29, v8, v16, s56
	s_waitcnt vmcnt(0)
	v_perm_b32 v30, v12, v20, s56
	v_perm_b32 v8, v8, v16, s57
	;; [unrolled: 1-line block ×15, first 2 shown]
	ds_write2st64_b32 v5, v29, v30 offset1:32
	ds_write2st64_b32 v6, v8, v12 offset1:32
	ds_write2st64_b32 v7, v16, v20 offset0:1 offset1:33
	ds_write2st64_b32 v24, v9, v13 offset0:1 offset1:33
	;; [unrolled: 1-line block ×6, first 2 shown]
	v_or_b32_e32 v5, v45, v1
	v_lshlrev_b32_e32 v5, 3, v5
	v_lshrrev_b32_e32 v7, 5, v58
	v_and_or_b32 v7, v5, s0, v7
	v_lshlrev_b32_e32 v7, 4, v7
	v_lshrrev_b32_e32 v6, 2, v58
	v_lshlrev_b32_e32 v9, 11, v59
	v_and_b32_e32 v5, 0x78, v5
	v_or_b32_e32 v12, 32, v7
	v_and_b32_e32 v8, 12, v6
	v_and_b32_e32 v6, 0x1000, v9
	v_lshrrev_b32_e32 v11, 1, v58
	v_xor_b32_e32 v12, v12, v5
	v_and_b32_e32 v11, 8, v11
	v_or_b32_e32 v12, v12, v6
	v_xor_b32_e32 v10, v7, v5
	v_xor_b32_e32 v77, v12, v11
	v_or_b32_e32 v12, 64, v7
	v_or_b32_e32 v7, 0x60, v7
	;; [unrolled: 1-line block ×3, first 2 shown]
	v_xor_b32_e32 v12, v12, v5
	v_xor_b32_e32 v5, v7, v5
	;; [unrolled: 1-line block ×3, first 2 shown]
	v_and_b32_e32 v10, 0x78, v61
	v_or_b32_e32 v5, v5, v6
	v_lshl_or_b32 v10, v60, 7, v10
	v_or_b32_e32 v12, v12, v6
	v_xor_b32_e32 v79, v5, v11
	v_lshlrev_b32_e32 v5, 1, v1
	v_or_b32_e32 v76, 0x9000, v10
	v_xor_b32_e32 v78, v12, v11
	v_or_b32_e32 v80, 0x9800, v10
	v_lshlrev_b32_e32 v10, 1, v4
	v_add_lshl_u32 v11, v4, s15, 1
	v_lshrrev_b32_e32 v4, 4, v0
	s_lshl_b64 s[0:1], s[30:31], 8
	v_or_b32_e32 v13, 1, v5
	s_add_u32 s0, s36, s0
	v_xor_b32_e32 v5, v4, v5
	v_xor_b32_e32 v13, v13, v4
	s_addc_u32 s1, s37, s1
	v_lshlrev_b32_e32 v5, 3, v5
	v_lshlrev_b32_e32 v46, 8, v4
	;; [unrolled: 1-line block ×3, first 2 shown]
	v_lshrrev_b32_e32 v17, 1, v0
	v_or3_b32 v81, v5, v46, s22
	v_or3_b32 v82, v4, v46, s22
	v_lshl_add_u64 v[4:5], s[0:1], 0, v[46:47]
	v_lshlrev_b32_e32 v46, 4, v1
	s_movk_i32 s0, 0xff
	v_lshlrev_b32_e32 v16, 3, v59
	v_and_b32_e32 v17, 24, v17
	v_lshl_add_u64 v[54:55], v[4:5], 0, v[46:47]
	v_and_b32_e32 v5, 8, v0
	v_cmp_lt_u32_e32 vcc, s0, v0
	v_xor_b32_e32 v18, v16, v17
	v_or_b32_e32 v19, 0x440, v18
	v_cndmask_b32_e64 v15, 0, 1, vcc
	v_cmp_eq_u32_e32 vcc, 0, v5
	v_or_b32_e32 v21, 64, v17
	v_xor_b32_e32 v21, v16, v21
	v_cndmask_b32_e32 v5, v19, v18, vcc
	v_or_b32_e32 v19, 32, v17
	v_or_b32_e32 v17, 0x60, v17
	v_xor_b32_e32 v19, v16, v19
	v_xor_b32_e32 v16, v16, v17
	v_or_b32_e32 v20, 0x440, v19
	v_xor_b32_e32 v22, 0x440, v21
	v_xor_b32_e32 v17, 0x440, v16
	v_and_b32_e32 v4, 7, v0
	v_cndmask_b32_e32 v19, v20, v19, vcc
	v_cndmask_b32_e32 v21, v22, v21, vcc
	;; [unrolled: 1-line block ×3, first 2 shown]
	v_or_b32_e32 v6, s30, v1
	v_lshlrev_b32_e32 v13, 3, v4
	v_or_b32_e32 v5, v5, v9
	v_or_b32_e32 v19, v19, v9
	v_or_b32_e32 v21, v21, v9
	v_or_b32_e32 v9, v16, v9
	v_ashrrev_i32_e32 v7, 31, v6
	v_lshlrev_b32_e32 v15, 13, v15
	v_xor_b32_e32 v5, v5, v13
	v_xor_b32_e32 v19, v19, v13
	;; [unrolled: 1-line block ×4, first 2 shown]
	v_lshl_add_u64 v[6:7], v[6:7], 1, s[8:9]
	v_or_b32_e32 v12, 0x100, v3
	v_lshlrev_b32_e32 v14, 7, v4
	v_or_b32_e32 v4, v8, v45
	v_add_u32_e32 v18, v15, v5
	v_add_u32_e32 v20, v15, v19
	;; [unrolled: 1-line block ×4, first 2 shown]
	v_or3_b32 v8, v45, v8, 64
	v_add_u32_e32 v5, 0x2000, v5
	v_add_u32_e32 v15, 0x2000, v19
	;; [unrolled: 1-line block ×4, first 2 shown]
	v_lshlrev_b32_e32 v46, 8, v64
	v_cndmask_b32_e64 v83, v10, v3, s[2:3]
	v_cndmask_b32_e64 v84, v11, v12, s[2:3]
	v_lshl_add_u64 v[56:57], v[6:7], 0, v[46:47]
	s_movk_i32 s22, 0x4000
	v_lshlrev_b32_e32 v86, 2, v4
	v_add_u32_e32 v87, v18, v14
	v_add_u32_e32 v88, v20, v14
	;; [unrolled: 1-line block ×4, first 2 shown]
	v_lshlrev_b32_e32 v91, 2, v8
	v_add_u32_e32 v92, v5, v14
	v_add_u32_e32 v93, v15, v14
	;; [unrolled: 1-line block ×4, first 2 shown]
	v_mov_b32_e32 v46, v47
	s_waitcnt lgkmcnt(0)
	s_barrier
.LBB728_6:                              ; =>This Inner Loop Header: Depth=1
	s_add_i32 s31, s58, 1
	s_cmp_lt_i32 s31, s45
	s_mov_b64 s[24:25], 0
	s_cselect_b64 s[2:3], -1, 0
	s_cmp_ge_i32 s31, s45
	s_mov_b64 s[20:21], 0
	s_cbranch_scc1 .LBB728_8
; %bb.7:                                ;   in Loop: Header=BB728_6 Depth=1
	s_add_i32 s0, s52, 64
	s_ashr_i32 s1, s0, 31
	s_add_u32 s0, s49, s0
	s_addc_u32 s1, s48, s1
	s_lshl_b64 s[0:1], s[0:1], 8
	s_add_u32 s20, s6, s0
	s_addc_u32 s21, s7, s1
.LBB728_8:                              ;   in Loop: Header=BB728_6 Depth=1
	v_cndmask_b32_e64 v2, 0, 1, s[2:3]
	v_cmp_ne_u32_e64 s[0:1], 1, v2
	s_andn2_b64 vcc, exec, s[2:3]
	s_cbranch_vccnz .LBB728_10
; %bb.9:                                ;   in Loop: Header=BB728_6 Depth=1
	s_add_i32 s2, s52, 64
	s_mul_hi_i32 s3, s2, s14
	s_mul_i32 s2, s2, s14
	s_add_u32 s2, s2, s51
	s_addc_u32 s3, s3, s54
	s_lshl_b64 s[2:3], s[2:3], 8
	s_add_u32 s24, s4, s2
	s_addc_u32 s25, s5, s3
.LBB728_10:                             ;   in Loop: Header=BB728_6 Depth=1
	v_perm_b32 v3, v53, v52, s17
	v_perm_b32 v2, v47, v46, s17
	;; [unrolled: 1-line block ×4, first 2 shown]
	ds_write_b64 v71, v[2:3]
	ds_write_b64 v72, v[4:5]
	;; [unrolled: 1-line block ×4, first 2 shown]
	s_waitcnt lgkmcnt(0)
	s_barrier
	ds_read_b64 v[10:11], v75 offset:16384
	ds_read_b64 v[12:13], v77 offset:16384
	ds_read2st64_b64 v[2:5], v76 offset1:1
	s_waitcnt lgkmcnt(0)
	v_mfma_f32_16x16x16_bf16 a[0:3], v[10:11], v[2:3], 0
	ds_read2st64_b64 v[6:9], v76 offset0:2 offset1:3
	ds_read_b64 v[14:15], v78 offset:16384
	ds_read_b64 v[2:3], v79 offset:16384
	s_add_i32 s59, s52, 63
	v_mfma_f32_16x16x16_bf16 a[0:3], v[12:13], v[4:5], a[0:3]
	s_ashr_i32 s2, s59, 31
	s_mul_i32 s3, s59, s29
	s_mul_hi_u32 s27, s59, s28
	s_waitcnt lgkmcnt(1)
	v_mfma_f32_16x16x16_bf16 a[0:3], v[14:15], v[6:7], a[0:3]
	s_add_i32 s3, s27, s3
	s_mul_i32 s2, s2, s28
	s_add_i32 s3, s3, s2
	s_mul_i32 s2, s59, s28
	s_waitcnt lgkmcnt(0)
	v_mfma_f32_16x16x16_bf16 a[0:3], v[2:3], v[8:9], a[0:3]
	s_lshl_b64 s[2:3], s[2:3], 2
	s_add_u32 s2, s40, s2
	s_addc_u32 s3, s41, s3
	s_and_b64 vcc, exec, s[0:1]
	v_mov_b32_e32 v99, 0
	v_mov_b32_e32 v98, 0
	;; [unrolled: 1-line block ×19, first 2 shown]
	s_cbranch_vccnz .LBB728_12
; %bb.11:                               ;   in Loop: Header=BB728_6 Depth=1
	s_and_b32 s21, s21, 0xffff
	buffer_load_dwordx4 v[14:17], v67, s[20:23], 0 offen
	buffer_load_dwordx4 v[10:13], v67, s[20:23], s55 offen
	;; [unrolled: 1-line block ×4, first 2 shown]
	v_mov_b32_e32 v98, v69
	v_mov_b32_e32 v97, v70
.LBB728_12:                             ;   in Loop: Header=BB728_6 Depth=1
	v_add_u32_e32 v22, s52, v85
	v_ashrrev_i32_e32 v18, 31, v22
	v_mul_lo_u32 v20, v18, s28
	v_mul_lo_u32 v21, v22, s29
	v_mad_u64_u32 v[18:19], s[20:21], v22, s28, 0
	v_add3_u32 v19, v19, v21, v20
	v_lshl_add_u64 v[18:19], v[18:19], 2, s[40:41]
	global_load_dword v38, v[18:19], off
	v_add_u32_e32 v18, 1, v22
	v_ashrrev_i32_e32 v19, 31, v18
	v_mul_lo_u32 v20, v19, s28
	v_mul_lo_u32 v21, v18, s29
	v_mad_u64_u32 v[18:19], s[20:21], v18, s28, 0
	v_add3_u32 v19, v19, v21, v20
	v_add_u32_e32 v20, 2, v22
	v_ashrrev_i32_e32 v21, 31, v20
	v_mul_lo_u32 v23, v21, s28
	v_mul_lo_u32 v24, v20, s29
	v_mad_u64_u32 v[20:21], s[20:21], v20, s28, 0
	v_add_u32_e32 v22, 3, v22
	v_add3_u32 v21, v21, v24, v23
	v_ashrrev_i32_e32 v23, 31, v22
	v_mul_lo_u32 v26, v23, s28
	v_mul_lo_u32 v27, v22, s29
	v_mad_u64_u32 v[22:23], s[20:21], v22, s28, 0
	s_ashr_i32 s21, s52, 31
	s_add_u32 s20, s49, s52
	s_addc_u32 s21, s48, s21
	s_lshl_b64 s[20:21], s[20:21], 8
	v_lshl_add_u64 v[18:19], v[18:19], 2, s[40:41]
	v_lshl_add_u64 v[24:25], v[56:57], 0, s[20:21]
	v_add3_u32 v23, v23, v27, v26
	v_lshl_add_u64 v[20:21], v[20:21], 2, s[40:41]
	global_load_ushort v39, v[24:25], off
	global_load_ushort v40, v[24:25], off offset:256
	global_load_ushort v41, v[24:25], off offset:512
	global_load_ushort v42, v[24:25], off offset:768
	v_lshl_add_u64 v[22:23], v[22:23], 2, s[40:41]
	global_load_dword v43, v[18:19], off
	global_load_dword v44, v[20:21], off
	;; [unrolled: 1-line block ×3, first 2 shown]
	s_load_dword s2, s[2:3], 0x0
	ds_read_b64 v[26:27], v75 offset:24576
	ds_read2st64_b64 v[22:25], v80 offset1:1
	ds_read2st64_b64 v[28:31], v80 offset0:2 offset1:3
	ds_read_b64 v[32:33], v77 offset:24576
	ds_read_b64 v[34:35], v78 offset:24576
	;; [unrolled: 1-line block ×3, first 2 shown]
	s_waitcnt lgkmcnt(0)
	v_mfma_f32_16x16x16_bf16 a[0:3], v[26:27], v[22:23], a[0:3]
	v_mov_b32_e32 v100, 0
	v_mov_b32_e32 v18, 0
	v_mov_b32_e32 v19, 0
	v_mfma_f32_16x16x16_bf16 a[0:3], v[32:33], v[24:25], a[0:3]
	v_mov_b32_e32 v20, 0
	v_mov_b32_e32 v21, 0
	v_mov_b32_e32 v22, 0
	;; [unrolled: 4-line block ×4, first 2 shown]
	s_and_b64 vcc, exec, s[0:1]
	s_waitcnt vmcnt(7)
	v_sub_f32_e32 v29, s2, v38
	v_mul_f32_e32 v29, 0x3fb8aa3b, v29
	v_exp_f32_e32 v38, v29
	v_accvgpr_read_b32 v33, a1
	v_accvgpr_read_b32 v31, a3
	;; [unrolled: 1-line block ×4, first 2 shown]
	s_waitcnt vmcnt(6)
	v_lshlrev_b32_e32 v34, 16, v39
	s_waitcnt vmcnt(5)
	v_lshlrev_b32_e32 v35, 16, v40
	;; [unrolled: 2-line block ×3, first 2 shown]
	s_waitcnt vmcnt(2)
	v_sub_f32_e32 v39, s2, v43
	s_waitcnt vmcnt(1)
	v_sub_f32_e32 v40, s2, v44
	;; [unrolled: 2-line block ×3, first 2 shown]
	v_mul_f32_e32 v29, 0x3fb8aa3b, v39
	v_mul_f32_e32 v40, 0x3fb8aa3b, v40
	;; [unrolled: 1-line block ×3, first 2 shown]
	v_exp_f32_e32 v39, v29
	v_exp_f32_e32 v40, v40
	;; [unrolled: 1-line block ×3, first 2 shown]
	v_lshlrev_b32_e32 v37, 16, v42
	v_pk_add_f32 v[32:33], v[34:35], v[32:33] neg_lo:[0,1] neg_hi:[0,1]
	v_pk_add_f32 v[30:31], v[36:37], v[30:31] neg_lo:[0,1] neg_hi:[0,1]
	v_pk_mul_f32 v[32:33], v[38:39], v[32:33]
	v_pk_mul_f32 v[30:31], v[40:41], v[30:31]
	v_mov_b32_e32 v29, 0
	v_perm_b32 v31, v31, v30, s17
	v_perm_b32 v30, v33, v32, s17
	ds_write_b64 v72, v[30:31]
	v_mov_b32_e32 v30, 0
	v_mov_b32_e32 v31, 0
	;; [unrolled: 1-line block ×4, first 2 shown]
	s_cbranch_vccnz .LBB728_14
; %bb.13:                               ;   in Loop: Header=BB728_6 Depth=1
	s_and_b32 s25, s25, 0xffff
	s_mov_b32 s27, s23
	buffer_load_dwordx4 v[30:33], v83, s[24:27], 0 offen
	buffer_load_dwordx4 v[22:25], v83, s[24:27], s55 offen
	;; [unrolled: 1-line block ×4, first 2 shown]
	v_mov_b32_e32 v99, v66
	v_mov_b32_e32 v100, v65
.LBB728_14:                             ;   in Loop: Header=BB728_6 Depth=1
	s_waitcnt lgkmcnt(0)
	s_barrier
	ds_read_b64 v[34:35], v87
	ds_read_b64 v[40:41], v88
	ds_read2st64_b64 v[36:39], v80 offset1:1
	ds_read2st64_b64 v[102:105], v80 offset0:2 offset1:3
	ds_read_b64 v[42:43], v89
	ds_read_b64 v[110:111], v90
	s_add_i32 s3, s46, s58
	s_mul_hi_i32 s21, s3, s50
	s_mul_i32 s3, s3, s50
	s_waitcnt lgkmcnt(3)
	v_mfma_f32_16x16x16_bf16 a[0:3], v[34:35], v[36:37], 0
	ds_read_b64 v[34:35], v92
	s_add_u32 s20, s3, s33
	s_addc_u32 s21, s21, s53
	v_mfma_f32_16x16x16_bf16 a[0:3], v[40:41], v[38:39], a[0:3]
	ds_read_b64 v[40:41], v93
	s_lshl_b64 s[20:21], s[20:21], 15
	s_mul_i32 s24, s59, s50
	s_mul_hi_i32 s3, s59, s50
	s_add_u32 s24, s24, s33
	s_addc_u32 s25, s3, s53
	s_lshl_b64 s[24:25], s[24:25], 9
	s_add_u32 s24, s38, s24
	s_waitcnt lgkmcnt(1)
	v_mfma_f32_16x16x16_bf16 a[4:7], v[34:35], v[36:37], 0
	s_addc_u32 s25, s39, s25
	s_and_b64 vcc, exec, s[0:1]
	v_mfma_f32_16x16x16_bf16 a[0:3], v[42:43], v[102:103], a[0:3]
	ds_read_b64 v[42:43], v94
	ds_read_b64 v[112:113], v95
	global_load_dwordx4 v[34:37], v91, s[24:25]
	s_waitcnt lgkmcnt(2)
	v_mfma_f32_16x16x16_bf16 a[4:7], v[40:41], v[38:39], a[4:7]
	global_load_dwordx4 v[38:41], v86, s[24:25]
	ds_read_b64 v[106:107], v81
	ds_read_b64 v[108:109], v82
	s_waitcnt lgkmcnt(3)
	v_mfma_f32_16x16x16_bf16 a[8:11], v[42:43], v[102:103], a[4:7]
	v_lshl_add_u64 v[42:43], v[54:55], 0, s[20:21]
	s_waitcnt lgkmcnt(0)
	global_store_dwordx4 v[42:43], v[106:109], off
	v_mfma_f32_16x16x16_bf16 a[4:7], v[110:111], v[104:105], a[0:3]
	s_waitcnt vmcnt(2)
	v_mov_b32_e32 v44, v37
	v_mfma_f32_16x16x16_bf16 a[0:3], v[112:113], v[104:105], a[8:11]
	v_mov_b32_e32 v43, v36
	v_mov_b32_e32 v42, v35
	s_cbranch_vccnz .LBB728_16
; %bb.15:                               ;   in Loop: Header=BB728_6 Depth=1
	v_lshrrev_b32_e32 v35, 3, v99
	v_and_b32_e32 v35, 6, v35
	v_xor_b32_e32 v36, v35, v100
	v_lshlrev_b32_e32 v36, 2, v36
	v_and_b32_e32 v37, 8, v99
	v_xor_b32_e32 v99, 0x440, v36
	v_cmp_eq_u32_e32 vcc, 0, v37
	v_perm_b32 v37, v22, v18, s56
	s_nop 0
	v_cndmask_b32_e32 v36, v99, v36, vcc
	v_lshl_or_b32 v35, v35, 10, v36
	v_perm_b32 v36, v30, v26, s56
	s_barrier
	ds_write2st64_b32 v35, v36, v37 offset1:32
	v_xor_b32_e32 v36, 8, v35
	v_perm_b32 v26, v30, v26, s57
	v_perm_b32 v18, v22, v18, s57
	v_add_u32_e32 v22, 0x80, v36
	ds_write2st64_b32 v22, v26, v18 offset1:32
	v_xor_b32_e32 v18, 16, v35
	v_perm_b32 v22, v31, v27, s56
	v_perm_b32 v26, v23, v19, s56
	ds_write2st64_b32 v18, v22, v26 offset0:1 offset1:33
	v_xor_b32_e32 v18, 24, v35
	v_perm_b32 v22, v31, v27, s57
	v_perm_b32 v19, v23, v19, s57
	v_add_u32_e32 v18, 0x80, v18
	ds_write2st64_b32 v18, v22, v19 offset0:1 offset1:33
	v_xor_b32_e32 v18, 32, v35
	v_perm_b32 v19, v32, v28, s56
	v_perm_b32 v22, v24, v20, s56
	ds_write2st64_b32 v18, v19, v22 offset0:2 offset1:34
	v_xor_b32_e32 v18, 40, v35
	v_perm_b32 v19, v32, v28, s57
	v_perm_b32 v20, v24, v20, s57
	v_add_u32_e32 v18, 0x80, v18
	ds_write2st64_b32 v18, v19, v20 offset0:2 offset1:34
	;; [unrolled: 9-line block ×3, first 2 shown]
	ds_write_b64 v98, v[14:15] offset:16384
	v_xor_b32_e32 v14, 8, v98
	ds_write_b64 v14, v[16:17] offset:16384
	ds_write_b64 v98, v[10:11] offset:24576
	;; [unrolled: 1-line block ×4, first 2 shown]
	v_xor_b32_e32 v6, 8, v97
	ds_write_b64 v6, v[8:9] offset:16384
	ds_write_b64 v97, v[2:3] offset:24576
	;; [unrolled: 1-line block ×3, first 2 shown]
.LBB728_16:                             ;   in Loop: Header=BB728_6 Depth=1
	v_mul_f32_e32 v6, s2, v96
	v_exp_f32_e32 v10, v6
	s_waitcnt vmcnt(1)
	v_mul_f32_e32 v6, 0x3fb8aa3b, v38
	v_exp_f32_e32 v12, v6
	v_mul_f32_e32 v6, 0x3fb8aa3b, v39
	v_exp_f32_e32 v13, v6
	;; [unrolled: 2-line block ×4, first 2 shown]
	v_accvgpr_read_b32 v2, a4
	v_accvgpr_read_b32 v3, a5
	v_pk_mul_f32 v[12:13], v[10:11], v[12:13] op_sel_hi:[0,1]
	v_pk_fma_f32 v[46:47], v[46:47], v[12:13], v[2:3]
	v_pk_mul_f32 v[2:3], v[10:11], v[14:15] op_sel_hi:[0,1]
	v_mul_f32_e32 v11, 0x3fb8aa3b, v34
	v_exp_f32_e32 v12, v11
	v_mul_f32_e32 v11, 0x3fb8aa3b, v42
	v_exp_f32_e32 v13, v11
	;; [unrolled: 2-line block ×4, first 2 shown]
	v_accvgpr_read_b32 v4, a6
	v_accvgpr_read_b32 v5, a7
	;; [unrolled: 1-line block ×5, first 2 shown]
	v_pk_fma_f32 v[52:53], v[52:53], v[2:3], v[4:5]
	v_pk_mul_f32 v[2:3], v[10:11], v[12:13] op_sel_hi:[0,1]
	v_accvgpr_read_b32 v8, a2
	v_pk_fma_f32 v[50:51], v[50:51], v[2:3], v[6:7]
	v_pk_mul_f32 v[2:3], v[10:11], v[14:15] op_sel_hi:[0,1]
	s_add_i32 s52, s52, 64
	s_cmp_eq_u32 s45, s31
	v_pk_fma_f32 v[48:49], v[48:49], v[2:3], v[8:9]
	s_cbranch_scc1 .LBB728_18
; %bb.17:                               ;   in Loop: Header=BB728_6 Depth=1
	s_mov_b32 s58, s31
	s_branch .LBB728_6
.LBB728_18:
	s_lshl_b32 s0, s45, 6
	s_sub_i32 s40, s47, s0
	s_cmp_gt_i32 s40, 0
	s_cbranch_scc0 .LBB728_75
; %bb.19:
	s_add_i32 s34, s0, s34
	s_ashr_i32 s2, s34, 31
	s_cmpk_lg_i32 s15, 0x80
	s_cselect_b64 s[26:27], -1, 0
	s_and_b64 vcc, exec, s[26:27]
	s_cbranch_vccz .LBB728_21
; %bb.20:
	s_mul_i32 s1, s34, s14
	s_ashr_i32 s3, s51, 31
	s_mul_hi_i32 s0, s34, s14
	s_add_u32 s38, s1, s51
	s_addc_u32 s39, s0, s3
	s_cbranch_execz .LBB728_22
	s_branch .LBB728_23
.LBB728_21:
                                        ; implicit-def: $sgpr38_sgpr39
.LBB728_22:
	s_mul_i32 s1, s51, s12
	s_mul_hi_i32 s0, s51, s12
	s_add_u32 s38, s1, s34
	s_addc_u32 s39, s0, s2
.LBB728_23:
	s_add_i32 s3, s45, s46
	s_ashr_i32 s12, s33, 31
	s_add_u32 s0, s49, s34
	s_addc_u32 s1, s48, s2
	s_mov_b32 s2, 0x7060302
	v_lshlrev_b32_e32 v6, 3, v1
	s_lshl_b64 s[24:25], s[0:1], 8
	v_perm_b32 v3, v53, v52, s2
	v_perm_b32 v2, v47, v46, s2
	;; [unrolled: 1-line block ×4, first 2 shown]
	v_lshlrev_b32_e32 v34, 2, v1
	v_lshl_or_b32 v6, v64, 5, v6
	s_add_u32 s0, s6, s24
	ds_write2st64_b64 v6, v[2:3], v[4:5] offset0:72 offset1:76
	v_xor_b32_e32 v6, v64, v34
	v_lshlrev_b32_e32 v7, 8, v1
	s_addc_u32 s1, s7, s25
	v_lshl_or_b32 v6, v6, 1, v7
	s_mul_hi_i32 s6, s3, s13
	s_mul_i32 s3, s3, s13
	ds_write_b64 v6, v[2:3] offset:32768
	v_xor_b32_e32 v2, v63, v34
	s_add_u32 s2, s3, s33
	v_lshl_or_b32 v2, v2, 1, v7
	s_addc_u32 s3, s6, s12
	v_lshlrev_b32_e32 v3, 1, v1
	ds_write_b64 v2, v[4:5] offset:32768
	v_lshrrev_b32_e32 v2, 4, v0
	s_ashr_i32 s31, s30, 31
	s_lshl_b64 s[2:3], s[2:3], 15
	v_or_b32_e32 v4, 1, v3
	s_add_u32 s6, s36, s2
	v_xor_b32_e32 v3, v2, v3
	v_xor_b32_e32 v4, v4, v2
	v_lshlrev_b32_e32 v6, 8, v2
	s_addc_u32 s7, s37, s3
	s_lshl_b64 s[2:3], s[30:31], 8
	v_lshl_or_b32 v2, v3, 3, v6
	v_lshl_or_b32 v4, v4, 3, v6
	s_waitcnt lgkmcnt(0)
	s_barrier
	s_add_u32 s2, s6, s2
	ds_read_b64 v[2:3], v2 offset:32768
	ds_read_b64 v[4:5], v4 offset:32768
	s_addc_u32 s3, s7, s3
	v_mov_b32_e32 v7, 0
	s_cmp_lg_u32 s40, 64
	v_lshl_add_u64 v[8:9], s[2:3], 0, v[6:7]
	v_lshlrev_b32_e32 v6, 4, v1
	s_cselect_b64 s[6:7], -1, 0
	v_lshl_or_b32 v35, v59, 3, v62
	s_mov_b32 s20, 0
	v_lshl_add_u64 v[6:7], v[8:9], 0, v[6:7]
	v_or_b32_e32 v19, 32, v35
	v_and_b32_e32 v18, 56, v61
	s_and_b64 vcc, exec, s[6:7]
	s_waitcnt lgkmcnt(0)
	global_store_dwordx4 v[6:7], v[2:5], off
	s_cbranch_vccz .LBB728_29
; %bb.24:
	s_mov_b32 s21, s20
	s_mov_b32 s22, s20
	;; [unrolled: 1-line block ×3, first 2 shown]
	v_mov_b64_e32 v[6:7], s[20:21]
	v_mov_b64_e32 v[8:9], s[22:23]
	v_mov_b64_e32 v[2:3], v[6:7]
	v_cmp_gt_i32_e32 vcc, s40, v35
	v_mov_b64_e32 v[4:5], v[8:9]
	s_and_saveexec_b64 s[2:3], vcc
	s_cbranch_execz .LBB728_26
; %bb.25:
	v_lshlrev_b32_e32 v2, 8, v35
	v_mov_b32_e32 v3, 0
	v_lshl_add_u64 v[4:5], s[0:1], 0, v[2:3]
	v_lshlrev_b32_e32 v2, 1, v18
	v_lshl_add_u64 v[10:11], v[4:5], 0, v[2:3]
	global_load_dwordx4 v[6:9], v[10:11], off
	global_load_dwordx4 v[2:5], v[10:11], off offset:128
.LBB728_26:
	s_or_b64 exec, exec, s[2:3]
	s_mov_b32 s21, s20
	s_mov_b32 s22, s20
	;; [unrolled: 1-line block ×3, first 2 shown]
	v_mov_b64_e32 v[14:15], s[20:21]
	v_mov_b64_e32 v[16:17], s[22:23]
	;; [unrolled: 1-line block ×3, first 2 shown]
	v_cmp_gt_i32_e32 vcc, s40, v19
	v_lshlrev_b32_e32 v20, 7, v19
	v_mov_b64_e32 v[12:13], v[16:17]
	s_and_saveexec_b64 s[2:3], vcc
	s_cbranch_execz .LBB728_28
; %bb.27:
	v_lshlrev_b32_e32 v10, 1, v20
	v_mov_b32_e32 v11, 0
	v_lshl_add_u64 v[12:13], s[0:1], 0, v[10:11]
	v_lshlrev_b32_e32 v10, 1, v18
	v_lshl_add_u64 v[22:23], v[12:13], 0, v[10:11]
	global_load_dwordx4 v[14:17], v[22:23], off
	global_load_dwordx4 v[10:13], v[22:23], off offset:128
.LBB728_28:
	s_or_b64 exec, exec, s[2:3]
	v_lshrrev_b32_e32 v21, 3, v18
	v_lshlrev_b32_e32 v22, 3, v35
	v_or_b32_e32 v21, v22, v21
	v_lshlrev_b32_e32 v21, 4, v21
	v_and_b32_e32 v22, 0x78, v22
	v_xor_b32_e32 v21, v21, v22
	s_branch .LBB728_31
.LBB728_29:
                                        ; implicit-def: $vgpr21
                                        ; implicit-def: $vgpr20
                                        ; implicit-def: $vgpr6_vgpr7_vgpr8_vgpr9
                                        ; implicit-def: $vgpr2_vgpr3_vgpr4_vgpr5
                                        ; implicit-def: $vgpr14_vgpr15_vgpr16_vgpr17
                                        ; implicit-def: $vgpr10_vgpr11_vgpr12_vgpr13
	s_cbranch_execz .LBB728_31
; %bb.30:
	s_waitcnt vmcnt(0)
	v_lshlrev_b32_e32 v2, 1, v18
	v_lshl_or_b32 v20, v35, 8, v2
	s_and_b32 s1, s1, 0xffff
	s_mov_b32 s3, 0x20000
	s_movk_i32 s2, 0x4000
	v_lshl_or_b32 v21, v19, 8, v2
	s_movk_i32 s13, 0x80
	buffer_load_dwordx4 v[6:9], v20, s[0:3], 0 offen
	buffer_load_dwordx4 v[2:5], v20, s[0:3], s13 offen
	;; [unrolled: 1-line block ×4, first 2 shown]
	v_lshrrev_b32_e32 v20, 3, v18
	v_lshlrev_b32_e32 v21, 3, v35
	v_or_b32_e32 v20, v21, v20
	v_lshlrev_b32_e32 v20, 4, v20
	v_and_b32_e32 v21, 0x78, v21
	v_xor_b32_e32 v21, v20, v21
	v_lshlrev_b32_e32 v20, 7, v19
.LBB728_31:
	s_lshl_b64 s[0:1], s[38:39], 8
	s_add_u32 s4, s4, s0
	s_movk_i32 s0, 0x1000
	v_and_or_b32 v19, v20, s0, v21
	s_waitcnt vmcnt(1)
	ds_write_b64 v21, v[6:7] offset:16384
	v_xor_b32_e32 v6, 8, v21
	ds_write_b64 v6, v[8:9] offset:16384
	s_waitcnt vmcnt(0)
	ds_write_b64 v21, v[2:3] offset:24576
	ds_write_b64 v6, v[4:5] offset:24576
	;; [unrolled: 1-line block ×3, first 2 shown]
	v_xor_b32_e32 v2, 8, v19
	ds_write_b64 v2, v[16:17] offset:16384
	ds_write_b64 v19, v[10:11] offset:24576
	;; [unrolled: 1-line block ×3, first 2 shown]
	v_or_b32_e32 v2, v45, v1
	v_lshlrev_b32_e32 v2, 3, v2
	v_lshrrev_b32_e32 v4, 5, v58
	s_movk_i32 s14, 0xf8
	v_and_or_b32 v4, v2, s14, v4
	v_lshlrev_b32_e32 v3, 11, v59
	v_lshlrev_b32_e32 v12, 4, v4
	v_and_b32_e32 v13, 0x78, v2
	v_and_b32_e32 v14, 0x1000, v3
	v_lshlrev_b32_e32 v3, 2, v0
	v_xor_b32_e32 v2, v12, v13
	v_lshrrev_b32_e32 v4, 1, v58
	v_and_b32_e32 v3, 60, v3
	v_or_b32_e32 v2, v2, v14
	v_and_b32_e32 v15, 8, v4
	v_xor_b32_e32 v26, v2, v15
	v_lshl_or_b32 v2, v60, 6, v3
	v_lshlrev_b32_e32 v19, 1, v2
	v_or_b32_e32 v2, 32, v12
	v_xor_b32_e32 v2, v2, v13
	s_waitcnt lgkmcnt(0)
	s_barrier
	ds_read_b64 v[10:11], v26 offset:16384
	v_or_b32_e32 v2, v2, v14
	v_xor_b32_e32 v27, v2, v15
	v_or_b32_e32 v2, 64, v12
	v_xor_b32_e32 v2, v2, v13
	v_or_b32_e32 v2, v2, v14
	v_or_b32_e32 v12, 0x60, v12
	v_xor_b32_e32 v28, v2, v15
	ds_read2st64_b64 v[2:5], v19 offset0:72 offset1:73
	ds_read2st64_b64 v[6:9], v19 offset0:74 offset1:75
	v_xor_b32_e32 v16, v12, v13
	ds_read_b64 v[12:13], v27 offset:16384
	s_addc_u32 s5, s5, s1
	s_add_i32 s0, s43, s42
	s_waitcnt lgkmcnt(2)
	v_mfma_f32_16x16x16_bf16 a[0:3], v[10:11], v[2:3], 0
	s_add_i32 s2, s35, -1
	s_add_i32 s17, s0, s44
	s_mul_i32 s0, s33, s19
	s_mul_hi_u32 s1, s33, s18
	s_add_i32 s0, s1, s0
	s_mul_i32 s1, s12, s18
	s_ashr_i32 s3, s2, 31
	s_mul_i32 s12, s2, s29
	s_mul_hi_u32 s13, s2, s28
	s_add_i32 s12, s13, s12
	s_mul_i32 s3, s3, s28
	v_or_b32_e32 v14, v16, v14
	s_add_i32 s1, s0, s1
	s_add_i32 s3, s12, s3
	s_lshl_b64 s[12:13], s[16:17], 2
	v_xor_b32_e32 v36, v14, v15
	ds_read_b64 v[14:15], v28 offset:16384
	ds_read_b64 v[16:17], v36 offset:16384
	s_waitcnt lgkmcnt(2)
	v_mfma_f32_16x16x16_bf16 a[0:3], v[12:13], v[4:5], a[0:3]
	s_mul_i32 s0, s33, s18
	s_add_u32 s10, s10, s12
	s_addc_u32 s11, s11, s13
	s_lshl_b64 s[0:1], s[0:1], 2
	s_mul_i32 s2, s2, s28
	s_add_u32 s10, s10, s0
	s_addc_u32 s11, s11, s1
	s_lshl_b64 s[0:1], s[2:3], 2
	s_waitcnt lgkmcnt(1)
	v_mfma_f32_16x16x16_bf16 a[0:3], v[14:15], v[6:7], a[0:3]
	s_add_u32 s0, s10, s0
	s_addc_u32 s1, s11, s1
	s_load_dword s12, s[0:1], 0x0
	s_waitcnt lgkmcnt(0)
	v_mfma_f32_16x16x16_bf16 a[0:3], v[16:17], v[8:9], a[0:3]
	s_and_b64 vcc, exec, s[26:27]
	s_cbranch_vccz .LBB728_42
; %bb.32:
	v_lshlrev_b32_e32 v20, 1, v35
	s_and_b64 vcc, exec, s[6:7]
	s_cbranch_vccz .LBB728_43
; %bb.33:
	v_cmp_gt_i32_e32 vcc, s40, v20
	v_mov_b32_e32 v6, 0
	v_mov_b32_e32 v2, 0
	;; [unrolled: 1-line block ×5, first 2 shown]
	s_and_saveexec_b64 s[0:1], vcc
	s_cbranch_execz .LBB728_35
; %bb.34:
	v_mad_i64_i32 v[2:3], s[2:3], s15, v20, 0
	v_lshl_add_u64 v[2:3], v[2:3], 1, s[4:5]
	v_lshlrev_b32_e32 v4, 1, v18
	v_mov_b32_e32 v5, 0
	v_lshl_add_u64 v[2:3], v[2:3], 0, v[4:5]
	global_load_dwordx4 v[2:5], v[2:3], off
.LBB728_35:
	s_or_b64 exec, exec, s[0:1]
	v_or_b32_e32 v21, 1, v20
	v_cmp_gt_i32_e64 s[0:1], s40, v21
	v_mov_b32_e32 v7, 0
	v_mov_b32_e32 v8, 0
	;; [unrolled: 1-line block ×3, first 2 shown]
	s_and_saveexec_b64 s[2:3], s[0:1]
	s_cbranch_execz .LBB728_37
; %bb.36:
	v_mad_i64_i32 v[6:7], s[16:17], s15, v21, 0
	v_lshl_add_u64 v[6:7], v[6:7], 1, s[4:5]
	v_lshlrev_b32_e32 v8, 1, v18
	v_mov_b32_e32 v9, 0
	v_lshl_add_u64 v[6:7], v[6:7], 0, v[8:9]
	global_load_dwordx4 v[6:9], v[6:7], off
.LBB728_37:
	s_or_b64 exec, exec, s[2:3]
	v_mov_b32_e32 v17, 0
	v_mov_b32_e32 v10, 0
	;; [unrolled: 1-line block ×5, first 2 shown]
	s_and_saveexec_b64 s[2:3], vcc
	s_cbranch_execz .LBB728_39
; %bb.38:
	v_mad_i64_i32 v[10:11], s[16:17], s15, v20, 0
	v_lshl_add_u64 v[10:11], v[10:11], 1, s[4:5]
	v_lshlrev_b32_e32 v12, 1, v18
	v_mov_b32_e32 v13, 0
	v_lshl_add_u64 v[10:11], v[10:11], 0, v[12:13]
	global_load_dwordx4 v[10:13], v[10:11], off offset:128
.LBB728_39:
	s_or_b64 exec, exec, s[2:3]
	v_mov_b32_e32 v16, 0
	v_mov_b32_e32 v15, 0
	;; [unrolled: 1-line block ×3, first 2 shown]
	s_and_saveexec_b64 s[2:3], s[0:1]
	s_cbranch_execz .LBB728_41
; %bb.40:
	v_mad_i64_i32 v[14:15], s[0:1], s15, v21, 0
	v_lshl_add_u64 v[14:15], v[14:15], 1, s[4:5]
	v_lshlrev_b32_e32 v16, 1, v18
	v_mov_b32_e32 v17, 0
	v_lshl_add_u64 v[14:15], v[14:15], 0, v[16:17]
	global_load_dwordx4 v[14:17], v[14:15], off offset:128
.LBB728_41:
	s_or_b64 exec, exec, s[2:3]
	s_branch .LBB728_45
.LBB728_42:
                                        ; implicit-def: $vgpr5
                                        ; implicit-def: $vgpr9
                                        ; implicit-def: $vgpr13
                                        ; implicit-def: $vgpr17
	v_lshrrev_b32_e32 v37, 2, v58
	s_branch .LBB728_46
.LBB728_43:
                                        ; implicit-def: $vgpr5
                                        ; implicit-def: $vgpr9
                                        ; implicit-def: $vgpr13
                                        ; implicit-def: $vgpr17
	s_cbranch_execz .LBB728_45
; %bb.44:
	s_waitcnt vmcnt(0)
	v_mad_u64_u32 v[2:3], s[0:1], v20, s15, v[18:19]
	v_lshlrev_b32_e32 v20, 1, v2
	s_lshl_b32 s2, s15, 7
	s_and_b32 s1, s5, 0xffff
	s_mov_b32 s3, 0x20000
	s_mov_b32 s0, s4
	v_add_lshl_u32 v21, v2, s15, 1
	s_movk_i32 s13, 0x80
	buffer_load_dwordx4 v[2:5], v20, s[0:3], 0 offen
	buffer_load_dwordx4 v[10:13], v20, s[0:3], s13 offen
	;; [unrolled: 1-line block ×4, first 2 shown]
.LBB728_45:
	v_lshrrev_b32_e32 v37, 2, v58
	s_cbranch_execnz .LBB728_58
.LBB728_46:
	s_and_b64 vcc, exec, s[6:7]
	s_cbranch_vccz .LBB728_56
; %bb.47:
	s_waitcnt vmcnt(0)
	v_lshlrev_b32_e32 v7, 1, v35
	v_cmp_gt_i32_e32 vcc, s40, v7
	v_mov_b32_e32 v6, 0
	v_lshlrev_b32_e32 v14, 9, v35
	v_mov_b32_e32 v2, 0
	v_mov_b32_e32 v3, 0
	;; [unrolled: 1-line block ×4, first 2 shown]
	s_and_saveexec_b64 s[0:1], vcc
	s_cbranch_execz .LBB728_49
; %bb.48:
	v_mov_b32_e32 v15, 0
	v_lshl_add_u64 v[2:3], s[4:5], 0, v[14:15]
	v_lshlrev_b32_e32 v4, 1, v18
	v_mov_b32_e32 v5, v15
	v_lshl_add_u64 v[2:3], v[2:3], 0, v[4:5]
	global_load_dwordx4 v[2:5], v[2:3], off
.LBB728_49:
	s_or_b64 exec, exec, s[0:1]
	v_or_b32_e32 v7, 1, v7
	v_cmp_gt_i32_e64 s[0:1], s40, v7
	v_lshlrev_b32_e32 v20, 8, v7
	v_mov_b32_e32 v7, 0
	v_mov_b32_e32 v8, 0
	;; [unrolled: 1-line block ×3, first 2 shown]
	s_and_saveexec_b64 s[2:3], s[0:1]
	s_cbranch_execz .LBB728_51
; %bb.50:
	v_mov_b32_e32 v21, 0
	v_lshl_add_u64 v[6:7], s[4:5], 0, v[20:21]
	v_lshlrev_b32_e32 v8, 1, v18
	v_mov_b32_e32 v9, v21
	v_lshl_add_u64 v[6:7], v[6:7], 0, v[8:9]
	global_load_dwordx4 v[6:9], v[6:7], off
.LBB728_51:
	s_or_b64 exec, exec, s[2:3]
	v_mov_b32_e32 v17, 0
	v_mov_b32_e32 v10, 0
	;; [unrolled: 1-line block ×5, first 2 shown]
	s_and_saveexec_b64 s[2:3], vcc
	s_cbranch_execz .LBB728_53
; %bb.52:
	v_mov_b32_e32 v15, 0
	v_lshl_add_u64 v[10:11], s[4:5], 0, v[14:15]
	v_lshlrev_b32_e32 v14, 1, v18
	v_lshl_add_u64 v[10:11], v[10:11], 0, v[14:15]
	global_load_dwordx4 v[10:13], v[10:11], off offset:128
.LBB728_53:
	s_or_b64 exec, exec, s[2:3]
	v_mov_b32_e32 v16, 0
	v_mov_b32_e32 v15, 0
	;; [unrolled: 1-line block ×3, first 2 shown]
	s_and_saveexec_b64 s[2:3], s[0:1]
	s_cbranch_execz .LBB728_55
; %bb.54:
	v_mov_b32_e32 v21, 0
	v_lshl_add_u64 v[14:15], s[4:5], 0, v[20:21]
	v_lshlrev_b32_e32 v20, 1, v18
	v_lshl_add_u64 v[14:15], v[14:15], 0, v[20:21]
	global_load_dwordx4 v[14:17], v[14:15], off offset:128
.LBB728_55:
	s_or_b64 exec, exec, s[2:3]
	s_branch .LBB728_58
.LBB728_56:
                                        ; implicit-def: $vgpr5
                                        ; implicit-def: $vgpr9
                                        ; implicit-def: $vgpr13
                                        ; implicit-def: $vgpr17
	s_cbranch_execz .LBB728_58
; %bb.57:
	s_waitcnt vmcnt(0)
	v_lshlrev_b32_e32 v2, 1, v18
	v_lshl_or_b32 v18, v35, 9, v2
	s_and_b32 s5, s5, 0xffff
	s_mov_b32 s7, 0x20000
	s_movk_i32 s6, 0x4000
	s_movk_i32 s0, 0x80
	buffer_load_dwordx4 v[2:5], v18, s[4:7], 0 offen
	buffer_load_dwordx4 v[6:9], v18, s[4:7], 0 offen offset:256
	buffer_load_dwordx4 v[10:13], v18, s[4:7], s0 offen
	buffer_load_dwordx4 v[14:17], v18, s[4:7], s0 offen offset:256
.LBB728_58:
	ds_read2st64_b64 v[22:25], v19 offset0:76 offset1:77
	ds_read2st64_b64 v[18:21], v19 offset0:78 offset1:79
	ds_read_b64 v[30:31], v26 offset:24576
	ds_read_b64 v[32:33], v27 offset:24576
	;; [unrolled: 1-line block ×4, first 2 shown]
	v_and_b32_e32 v36, 6, v0
	v_xor_b32_e32 v35, v35, v36
	v_lshlrev_b32_e32 v35, 2, v35
	v_and_b32_e32 v0, 1, v0
	v_xor_b32_e32 v38, 0x440, v35
	v_cmp_eq_u32_e32 vcc, 0, v0
	s_mov_b32 s0, 0x1000504
	s_mov_b32 s1, 0x3020706
	v_cndmask_b32_e32 v0, v38, v35, vcc
	v_lshl_or_b32 v0, v36, 10, v0
	s_waitcnt vmcnt(0)
	v_perm_b32 v35, v2, v6, s0
	v_perm_b32 v36, v10, v14, s0
	ds_write2st64_b32 v0, v35, v36 offset1:32
	v_xor_b32_e32 v35, 8, v0
	v_perm_b32 v2, v2, v6, s1
	v_perm_b32 v6, v10, v14, s1
	v_add_u32_e32 v10, 0x80, v35
	ds_write2st64_b32 v10, v2, v6 offset1:32
	v_xor_b32_e32 v2, 16, v0
	v_perm_b32 v6, v3, v7, s0
	v_perm_b32 v10, v11, v15, s0
	ds_write2st64_b32 v2, v6, v10 offset0:1 offset1:33
	v_xor_b32_e32 v2, 24, v0
	v_perm_b32 v3, v3, v7, s1
	v_perm_b32 v6, v11, v15, s1
	v_add_u32_e32 v2, 0x80, v2
	ds_write2st64_b32 v2, v3, v6 offset0:1 offset1:33
	v_xor_b32_e32 v2, 32, v0
	v_perm_b32 v3, v4, v8, s0
	v_perm_b32 v6, v12, v16, s0
	ds_write2st64_b32 v2, v3, v6 offset0:2 offset1:34
	v_xor_b32_e32 v2, 40, v0
	v_perm_b32 v3, v4, v8, s1
	v_perm_b32 v4, v12, v16, s1
	v_add_u32_e32 v2, 0x80, v2
	ds_write2st64_b32 v2, v3, v4 offset0:2 offset1:34
	v_xor_b32_e32 v2, 48, v0
	v_perm_b32 v3, v5, v9, s0
	v_perm_b32 v4, v13, v17, s0
	v_xor_b32_e32 v0, 56, v0
	v_and_or_b32 v6, v37, 12, v45
	ds_write2st64_b32 v2, v3, v4 offset0:3 offset1:35
	v_perm_b32 v2, v5, v9, s1
	v_perm_b32 v3, v13, v17, s1
	v_add_u32_e32 v0, 0x80, v0
	v_cmp_gt_i32_e32 vcc, s40, v6
	v_mov_b32_e32 v7, 0
	v_mov_b32_e32 v11, 0
	ds_write2st64_b32 v0, v2, v3 offset0:3 offset1:35
	s_and_saveexec_b64 s[0:1], vcc
	s_cbranch_execz .LBB728_60
; %bb.59:
	v_add_u32_e32 v0, s34, v6
	v_ashrrev_i32_e32 v2, 31, v0
	v_mul_lo_u32 v4, v2, s28
	v_mul_lo_u32 v5, v0, s29
	v_mad_u64_u32 v[2:3], s[2:3], v0, s28, 0
	v_add3_u32 v3, v3, v5, v4
	v_lshl_add_u64 v[2:3], v[2:3], 2, s[10:11]
	global_load_dword v0, v[2:3], off
	s_waitcnt vmcnt(0)
	v_sub_f32_e32 v0, s12, v0
	v_mul_f32_e32 v0, 0x3fb8aa3b, v0
	v_exp_f32_e32 v11, v0
.LBB728_60:
	s_or_b64 exec, exec, s[0:1]
	v_or_b32_e32 v9, 1, v6
	v_cmp_gt_i32_e64 s[0:1], s40, v9
	s_and_saveexec_b64 s[2:3], s[0:1]
	s_cbranch_execz .LBB728_62
; %bb.61:
	v_add_u32_e32 v0, s34, v9
	v_ashrrev_i32_e32 v2, 31, v0
	v_mul_lo_u32 v4, v2, s28
	v_mul_lo_u32 v5, v0, s29
	v_mad_u64_u32 v[2:3], s[4:5], v0, s28, 0
	v_add3_u32 v3, v3, v5, v4
	v_lshl_add_u64 v[2:3], v[2:3], 2, s[10:11]
	global_load_dword v0, v[2:3], off
	s_waitcnt vmcnt(0)
	v_sub_f32_e32 v0, s12, v0
	v_mul_f32_e32 v0, 0x3fb8aa3b, v0
	v_exp_f32_e32 v7, v0
.LBB728_62:
	s_or_b64 exec, exec, s[2:3]
	v_or_b32_e32 v10, 2, v6
	v_cmp_gt_i32_e64 s[2:3], s40, v10
	v_mov_b32_e32 v8, 0
	v_mov_b32_e32 v13, 0
	s_and_saveexec_b64 s[4:5], s[2:3]
	s_cbranch_execz .LBB728_64
; %bb.63:
	v_add_u32_e32 v0, s34, v10
	v_ashrrev_i32_e32 v2, 31, v0
	v_mul_lo_u32 v4, v2, s28
	v_mul_lo_u32 v5, v0, s29
	v_mad_u64_u32 v[2:3], s[6:7], v0, s28, 0
	v_add3_u32 v3, v3, v5, v4
	v_lshl_add_u64 v[2:3], v[2:3], 2, s[10:11]
	global_load_dword v0, v[2:3], off
	s_waitcnt vmcnt(0)
	v_sub_f32_e32 v0, s12, v0
	v_mul_f32_e32 v0, 0x3fb8aa3b, v0
	v_exp_f32_e32 v13, v0
.LBB728_64:
	s_or_b64 exec, exec, s[4:5]
	v_or_b32_e32 v12, 3, v6
	v_cmp_gt_i32_e64 s[4:5], s40, v12
	s_and_saveexec_b64 s[6:7], s[4:5]
	s_cbranch_execz .LBB728_66
; %bb.65:
	v_add_u32_e32 v0, s34, v12
	v_ashrrev_i32_e32 v2, 31, v0
	v_mul_lo_u32 v4, v2, s28
	v_mul_lo_u32 v5, v0, s29
	v_mad_u64_u32 v[2:3], s[14:15], v0, s28, 0
	v_add3_u32 v3, v3, v5, v4
	v_lshl_add_u64 v[2:3], v[2:3], 2, s[10:11]
	global_load_dword v0, v[2:3], off
	s_waitcnt vmcnt(0)
	v_sub_f32_e32 v0, s12, v0
	v_mul_f32_e32 v0, 0x3fb8aa3b, v0
	v_exp_f32_e32 v8, v0
.LBB728_66:
	s_or_b64 exec, exec, s[6:7]
	s_waitcnt lgkmcnt(11)
	v_mfma_f32_16x16x16_bf16 a[0:3], v[30:31], v[22:23], a[0:3]
	v_or_b32_e32 v0, s30, v1
	s_add_u32 s6, s8, s24
	s_addc_u32 s7, s9, s25
	s_waitcnt lgkmcnt(10)
	v_mfma_f32_16x16x16_bf16 a[0:3], v[32:33], v[24:25], a[0:3]
	v_ashrrev_i32_e32 v1, 31, v0
	v_lshl_add_u64 v[4:5], v[0:1], 1, s[6:7]
	v_mov_b32_e32 v14, 0
	s_waitcnt lgkmcnt(9)
	v_mfma_f32_16x16x16_bf16 a[0:3], v[28:29], v[18:19], a[0:3]
	v_mov_b32_e32 v15, 0
	s_waitcnt lgkmcnt(8)
	v_mfma_f32_16x16x16_bf16 a[0:3], v[26:27], v[20:21], a[0:3]
	s_nop 6
	v_accvgpr_read_b32 v0, a0
	v_accvgpr_read_b32 v1, a1
	;; [unrolled: 1-line block ×4, first 2 shown]
	s_and_saveexec_b64 s[6:7], vcc
	s_cbranch_execz .LBB728_68
; %bb.67:
	v_lshlrev_b32_e32 v16, 8, v6
	v_mov_b32_e32 v17, 0
	v_lshl_add_u64 v[16:17], v[4:5], 0, v[16:17]
	global_load_ushort v15, v[16:17], off
	s_waitcnt vmcnt(0)
	v_lshlrev_b32_e32 v15, 16, v15
	v_sub_f32_e32 v0, v15, v0
	v_mul_f32_e32 v0, v11, v0
	v_lshrrev_b32_e32 v15, 16, v0
.LBB728_68:
	s_or_b64 exec, exec, s[6:7]
	s_and_saveexec_b64 s[6:7], s[0:1]
	s_cbranch_execz .LBB728_70
; %bb.69:
	v_lshlrev_b32_e32 v16, 8, v9
	v_mov_b32_e32 v17, 0
	v_lshl_add_u64 v[16:17], v[4:5], 0, v[16:17]
	global_load_ushort v0, v[16:17], off
	s_waitcnt vmcnt(0)
	v_lshlrev_b32_e32 v0, 16, v0
	v_sub_f32_e32 v0, v0, v1
	v_mul_f32_e32 v0, v7, v0
	v_lshrrev_b32_e32 v14, 16, v0
.LBB728_70:
	s_or_b64 exec, exec, s[6:7]
	v_mov_b32_e32 v0, 0
	v_mov_b32_e32 v1, 0
	s_and_saveexec_b64 s[0:1], s[2:3]
	s_cbranch_execz .LBB728_72
; %bb.71:
	v_lshlrev_b32_e32 v10, 8, v10
	v_mov_b32_e32 v11, 0
	v_lshl_add_u64 v[10:11], v[4:5], 0, v[10:11]
	global_load_ushort v1, v[10:11], off
	s_waitcnt vmcnt(0)
	v_lshlrev_b32_e32 v1, 16, v1
	v_sub_f32_e32 v1, v1, v2
	v_mul_f32_e32 v1, v13, v1
	v_lshrrev_b32_e32 v1, 16, v1
.LBB728_72:
	s_or_b64 exec, exec, s[0:1]
	s_and_saveexec_b64 s[0:1], s[4:5]
	s_cbranch_execz .LBB728_74
; %bb.73:
	v_lshlrev_b32_e32 v10, 8, v12
	v_mov_b32_e32 v11, 0
	v_lshl_add_u64 v[4:5], v[4:5], 0, v[10:11]
	global_load_ushort v0, v[4:5], off
	s_waitcnt vmcnt(0)
	v_lshlrev_b32_e32 v0, 16, v0
	v_sub_f32_e32 v0, v0, v3
	v_mul_f32_e32 v0, v8, v0
	v_lshrrev_b32_e32 v0, 16, v0
.LBB728_74:
	s_or_b64 exec, exec, s[0:1]
	s_mov_b32 s0, 0x5040100
	v_lshlrev_b32_e32 v2, 1, v34
	v_perm_b32 v1, v0, v1, s0
	v_perm_b32 v0, v14, v15, s0
	v_lshl_or_b32 v2, v6, 5, v2
	ds_write_b64 v2, v[0:1] offset:38912
	s_waitcnt lgkmcnt(0)
	s_barrier
.LBB728_75:
	s_endpgm
	.section	.rodata,"a",@progbits
	.p2align	6, 0x0
	.amdhsa_kernel _ZN12_GLOBAL__N_139chunk_gated_delta_rule_fwd_h_hip_kernelILi16ELb0ELb0ELb0ELb1ELb0ELb1ELb0ELb0EEEvPK12hip_bfloat16S3_S3_PKfS5_PKvPS1_S8_PvPKiSB_iiiiilll
		.amdhsa_group_segment_fixed_size 40960
		.amdhsa_private_segment_fixed_size 0
		.amdhsa_kernarg_size 136
		.amdhsa_user_sgpr_count 2
		.amdhsa_user_sgpr_dispatch_ptr 0
		.amdhsa_user_sgpr_queue_ptr 0
		.amdhsa_user_sgpr_kernarg_segment_ptr 1
		.amdhsa_user_sgpr_dispatch_id 0
		.amdhsa_user_sgpr_kernarg_preload_length 0
		.amdhsa_user_sgpr_kernarg_preload_offset 0
		.amdhsa_user_sgpr_private_segment_size 0
		.amdhsa_uses_dynamic_stack 0
		.amdhsa_enable_private_segment 0
		.amdhsa_system_sgpr_workgroup_id_x 1
		.amdhsa_system_sgpr_workgroup_id_y 1
		.amdhsa_system_sgpr_workgroup_id_z 0
		.amdhsa_system_sgpr_workgroup_info 0
		.amdhsa_system_vgpr_workitem_id 0
		.amdhsa_next_free_vgpr 128
		.amdhsa_next_free_sgpr 60
		.amdhsa_accum_offset 116
		.amdhsa_reserve_vcc 1
		.amdhsa_float_round_mode_32 0
		.amdhsa_float_round_mode_16_64 0
		.amdhsa_float_denorm_mode_32 3
		.amdhsa_float_denorm_mode_16_64 3
		.amdhsa_dx10_clamp 1
		.amdhsa_ieee_mode 1
		.amdhsa_fp16_overflow 0
		.amdhsa_tg_split 0
		.amdhsa_exception_fp_ieee_invalid_op 0
		.amdhsa_exception_fp_denorm_src 0
		.amdhsa_exception_fp_ieee_div_zero 0
		.amdhsa_exception_fp_ieee_overflow 0
		.amdhsa_exception_fp_ieee_underflow 0
		.amdhsa_exception_fp_ieee_inexact 0
		.amdhsa_exception_int_div_zero 0
	.end_amdhsa_kernel
	.section	.text._ZN12_GLOBAL__N_139chunk_gated_delta_rule_fwd_h_hip_kernelILi16ELb0ELb0ELb0ELb1ELb0ELb1ELb0ELb0EEEvPK12hip_bfloat16S3_S3_PKfS5_PKvPS1_S8_PvPKiSB_iiiiilll,"axG",@progbits,_ZN12_GLOBAL__N_139chunk_gated_delta_rule_fwd_h_hip_kernelILi16ELb0ELb0ELb0ELb1ELb0ELb1ELb0ELb0EEEvPK12hip_bfloat16S3_S3_PKfS5_PKvPS1_S8_PvPKiSB_iiiiilll,comdat
.Lfunc_end728:
	.size	_ZN12_GLOBAL__N_139chunk_gated_delta_rule_fwd_h_hip_kernelILi16ELb0ELb0ELb0ELb1ELb0ELb1ELb0ELb0EEEvPK12hip_bfloat16S3_S3_PKfS5_PKvPS1_S8_PvPKiSB_iiiiilll, .Lfunc_end728-_ZN12_GLOBAL__N_139chunk_gated_delta_rule_fwd_h_hip_kernelILi16ELb0ELb0ELb0ELb1ELb0ELb1ELb0ELb0EEEvPK12hip_bfloat16S3_S3_PKfS5_PKvPS1_S8_PvPKiSB_iiiiilll
                                        ; -- End function
	.section	.AMDGPU.csdata,"",@progbits
; Kernel info:
; codeLenInByte = 7304
; NumSgprs: 66
; NumVgprs: 114
; NumAgprs: 12
; TotalNumVgprs: 128
; ScratchSize: 0
; MemoryBound: 0
; FloatMode: 240
; IeeeMode: 1
; LDSByteSize: 40960 bytes/workgroup (compile time only)
; SGPRBlocks: 8
; VGPRBlocks: 15
; NumSGPRsForWavesPerEU: 66
; NumVGPRsForWavesPerEU: 128
; AccumOffset: 116
; Occupancy: 1
; WaveLimiterHint : 1
; COMPUTE_PGM_RSRC2:SCRATCH_EN: 0
; COMPUTE_PGM_RSRC2:USER_SGPR: 2
; COMPUTE_PGM_RSRC2:TRAP_HANDLER: 0
; COMPUTE_PGM_RSRC2:TGID_X_EN: 1
; COMPUTE_PGM_RSRC2:TGID_Y_EN: 1
; COMPUTE_PGM_RSRC2:TGID_Z_EN: 0
; COMPUTE_PGM_RSRC2:TIDIG_COMP_CNT: 0
; COMPUTE_PGM_RSRC3_GFX90A:ACCUM_OFFSET: 28
; COMPUTE_PGM_RSRC3_GFX90A:TG_SPLIT: 0
	.section	.text._ZN12_GLOBAL__N_139chunk_gated_delta_rule_fwd_h_hip_kernelILi16ELb1ELb1ELb1ELb0ELb0ELb1ELb0ELb0EEEvPK12hip_bfloat16S3_S3_PKfS5_PKvPS1_S8_PvPKiSB_iiiiilll,"axG",@progbits,_ZN12_GLOBAL__N_139chunk_gated_delta_rule_fwd_h_hip_kernelILi16ELb1ELb1ELb1ELb0ELb0ELb1ELb0ELb0EEEvPK12hip_bfloat16S3_S3_PKfS5_PKvPS1_S8_PvPKiSB_iiiiilll,comdat
	.globl	_ZN12_GLOBAL__N_139chunk_gated_delta_rule_fwd_h_hip_kernelILi16ELb1ELb1ELb1ELb0ELb0ELb1ELb0ELb0EEEvPK12hip_bfloat16S3_S3_PKfS5_PKvPS1_S8_PvPKiSB_iiiiilll ; -- Begin function _ZN12_GLOBAL__N_139chunk_gated_delta_rule_fwd_h_hip_kernelILi16ELb1ELb1ELb1ELb0ELb0ELb1ELb0ELb0EEEvPK12hip_bfloat16S3_S3_PKfS5_PKvPS1_S8_PvPKiSB_iiiiilll
	.p2align	8
	.type	_ZN12_GLOBAL__N_139chunk_gated_delta_rule_fwd_h_hip_kernelILi16ELb1ELb1ELb1ELb0ELb0ELb1ELb0ELb0EEEvPK12hip_bfloat16S3_S3_PKfS5_PKvPS1_S8_PvPKiSB_iiiiilll,@function
_ZN12_GLOBAL__N_139chunk_gated_delta_rule_fwd_h_hip_kernelILi16ELb1ELb1ELb1ELb0ELb0ELb1ELb0ELb0EEEvPK12hip_bfloat16S3_S3_PKfS5_PKvPS1_S8_PvPKiSB_iiiiilll: ; @_ZN12_GLOBAL__N_139chunk_gated_delta_rule_fwd_h_hip_kernelILi16ELb1ELb1ELb1ELb0ELb0ELb1ELb0ELb0EEEvPK12hip_bfloat16S3_S3_PKfS5_PKvPS1_S8_PvPKiSB_iiiiilll
; %bb.0:
	s_load_dwordx4 s[24:27], s[0:1], 0x5c
	s_abs_i32 s6, s3
	s_ashr_i32 s5, s3, 31
	v_and_b32_e32 v67, 15, v0
	v_bfe_u32 v66, v0, 4, 2
	s_waitcnt lgkmcnt(0)
	s_abs_i32 s4, s25
	v_cvt_f32_u32_e32 v1, s4
	s_sub_i32 s8, 0, s4
	s_ashr_i32 s7, s25, 31
	s_xor_b32 s5, s5, s7
	v_rcp_iflag_f32_e32 v1, v1
	v_mov_b32_e32 v57, 0
	v_lshlrev_b32_e32 v68, 3, v0
	v_mul_f32_e32 v1, 0x4f7ffffe, v1
	v_cvt_u32_f32_e32 v1, v1
	s_nop 0
	v_readfirstlane_b32 s9, v1
	s_mul_i32 s8, s8, s9
	s_mul_hi_u32 s8, s9, s8
	s_add_i32 s9, s9, s8
	s_mul_hi_u32 s8, s6, s9
	s_mul_i32 s9, s8, s4
	s_sub_i32 s6, s6, s9
	s_add_i32 s10, s8, 1
	s_sub_i32 s9, s6, s4
	s_cmp_ge_u32 s6, s4
	s_cselect_b32 s8, s10, s8
	s_cselect_b32 s6, s9, s6
	s_add_i32 s9, s8, 1
	s_cmp_ge_u32 s6, s4
	s_cselect_b32 s6, s9, s8
	s_xor_b32 s6, s6, s5
	s_sub_i32 s58, s6, s5
	s_mul_i32 s6, s58, s25
	s_sub_i32 s33, s3, s6
	s_abs_i32 s3, s26
	v_cvt_f32_u32_e32 v1, s3
	s_add_i32 s8, s24, 63
	s_ashr_i32 s9, s8, 31
	s_lshr_b32 s5, s9, 26
	v_rcp_iflag_f32_e32 v1, v1
	s_ashr_i32 s57, s24, 31
	s_add_i32 s8, s8, s5
	s_lshr_b32 s5, s57, 26
	v_mul_f32_e32 v1, 0x4f7ffffe, v1
	v_cvt_u32_f32_e32 v1, v1
	s_add_i32 s5, s24, s5
	s_ashr_i32 s60, s26, 31
	s_ashr_i32 s28, s8, 6
	;; [unrolled: 1-line block ×3, first 2 shown]
	s_xor_b32 s5, s7, s60
	s_sub_i32 s7, 0, s3
	v_readfirstlane_b32 s8, v1
	s_mul_i32 s7, s7, s8
	s_mul_hi_u32 s7, s8, s7
	s_add_i32 s8, s8, s7
	s_mul_hi_u32 s7, s4, s8
	s_mul_i32 s8, s7, s3
	s_sub_i32 s4, s4, s8
	s_lshl_b32 s2, s2, 4
	s_add_i32 s8, s7, 1
	s_sub_i32 s9, s4, s3
	s_cmp_ge_u32 s4, s3
	s_cselect_b32 s7, s8, s7
	s_cselect_b32 s4, s9, s4
	s_add_i32 s8, s7, 1
	s_cmp_ge_u32 s4, s3
	s_cselect_b32 s3, s8, s7
	s_xor_b32 s3, s3, s5
	s_sub_i32 s3, s3, s5
	s_abs_i32 s4, s3
	v_cvt_f32_u32_e32 v1, s4
	s_sub_i32 s7, 0, s4
	s_abs_i32 s5, s33
	s_xor_b32 s3, s33, s3
	v_rcp_iflag_f32_e32 v2, v1
	s_ashr_i32 s3, s3, 31
	s_load_dwordx8 s[8:15], s[0:1], 0x20
	v_lshrrev_b32_e32 v1, 6, v0
	v_mul_f32_e32 v2, 0x4f7ffffe, v2
	v_cvt_u32_f32_e32 v2, v2
	v_or_b32_e32 v58, s2, v67
	v_lshlrev_b32_e32 v53, 4, v1
	v_lshlrev_b32_e32 v54, 7, v58
	v_readfirstlane_b32 s16, v2
	s_mul_i32 s7, s7, s16
	s_mul_hi_u32 s7, s16, s7
	s_add_i32 s16, s16, s7
	s_mul_hi_u32 s7, s5, s16
	s_mul_i32 s16, s7, s4
	s_sub_i32 s5, s5, s16
	s_add_i32 s16, s7, 1
	s_sub_i32 s17, s5, s4
	s_cmp_ge_u32 s5, s4
	s_cselect_b32 s7, s16, s7
	s_cselect_b32 s5, s17, s5
	s_add_i32 s16, s7, 1
	s_cmp_ge_u32 s5, s4
	s_cselect_b32 s4, s16, s7
	s_xor_b32 s4, s4, s3
	s_sub_i32 s61, s4, s3
	s_ashr_i32 s3, s58, 31
	s_ashr_i32 s50, s33, 31
	s_mul_hi_i32 s4, s58, s25
	s_add_u32 s42, s6, s33
	s_addc_u32 s43, s4, s50
	s_lshl_b64 s[34:35], s[42:43], 16
	s_waitcnt lgkmcnt(0)
	s_add_u32 s4, s10, s34
	v_lshl_or_b32 v70, v66, 2, v53
	s_addc_u32 s5, s11, s35
	v_ashrrev_i32_e32 v55, 31, v54
	v_lshl_add_u64 v[2:3], v[54:55], 2, s[4:5]
	v_lshlrev_b32_e32 v56, 2, v70
	v_lshl_add_u64 v[10:11], v[2:3], 0, v[56:57]
	global_load_dwordx4 v[6:9], v[10:11], off
	global_load_dwordx4 v[2:5], v[10:11], off offset:256
	s_load_dwordx2 s[10:11], s[0:1], 0x40
	s_load_dwordx8 s[16:23], s[0:1], 0x0
	s_load_dwordx2 s[36:37], s[0:1], 0x80
	s_load_dwordx4 s[4:7], s[0:1], 0x70
	v_and_b32_e32 v57, 63, v0
	s_mul_i32 s51, s58, s24
	s_mul_i32 s62, s58, s28
	v_or_b32_e32 v71, 64, v70
	s_cmp_lt_i32 s24, 64
	v_lshrrev_b32_e32 v69, 3, v57
	s_mul_i32 s63, s43, s24
	s_mul_hi_u32 s64, s42, s24
	s_mul_i32 s44, s42, s24
	s_waitcnt lgkmcnt(0)
	s_mul_i32 s43, s58, s5
	s_mul_hi_u32 s53, s58, s4
	s_mul_i32 s54, s3, s4
	s_mul_i32 s40, s58, s4
	s_mul_i32 s52, s33, s7
	s_mul_hi_u32 s55, s33, s6
	s_mul_i32 s56, s50, s6
	s_mul_i32 s38, s33, s6
	s_cbranch_scc1 .LBB729_18
; %bb.1:
	s_add_i32 s45, s64, s63
	s_lshl_b64 s[0:1], s[44:45], 8
	v_and_b32_e32 v73, 56, v68
	s_add_u32 s4, s18, s0
	v_lshl_or_b32 v72, v1, 3, v69
	v_lshlrev_b32_e32 v10, 1, v73
	s_addc_u32 s0, s19, s1
	v_lshl_or_b32 v74, v72, 8, v10
	s_and_b32 s5, s0, 0xffff
	s_mov_b32 s7, 0x20000
	s_movk_i32 s6, 0x4000
	s_movk_i32 s0, 0x80
	v_or_b32_e32 v75, 0x2000, v74
	buffer_load_dwordx4 v[12:15], v74, s[4:7], 0 offen
	buffer_load_dwordx4 v[16:19], v74, s[4:7], s0 offen
	;; [unrolled: 1-line block ×4, first 2 shown]
	v_lshlrev_b32_e32 v11, 3, v72
	v_and_or_b32 v29, v0, 7, v11
	v_and_b32_e32 v11, 0x78, v11
	v_lshlrev_b32_e32 v29, 4, v29
	v_xor_b32_e32 v76, v29, v11
	v_mul_lo_u32 v28, v72, s27
	v_or_b32_e32 v77, 0x1000, v76
	v_xor_b32_e32 v11, 8, v76
	s_cmpk_eq_i32 s27, 0x80
	s_mov_b32 s65, s26
	v_xor_b32_e32 v29, 8, v77
	s_cselect_b64 s[0:1], -1, 0
	s_cmpk_lg_i32 s27, 0x80
	s_waitcnt vmcnt(3)
	ds_write_b64 v76, v[12:13] offset:16384
	ds_write_b64 v11, v[14:15] offset:16384
	s_waitcnt vmcnt(2)
	ds_write_b64 v76, v[16:17] offset:24576
	ds_write_b64 v11, v[18:19] offset:24576
	;; [unrolled: 3-line block ×4, first 2 shown]
	v_lshl_add_u32 v11, v28, 1, v73
	s_cbranch_scc0 .LBB729_3
; %bb.2:
	v_lshlrev_b32_e32 v13, 1, v11
	v_add_lshl_u32 v12, v11, s27, 1
	s_lshl_b32 s6, s27, 7
	v_lshl_or_b32 v10, v72, 9, v10
	s_cbranch_execz .LBB729_4
	s_branch .LBB729_5
.LBB729_3:
                                        ; implicit-def: $vgpr12
                                        ; implicit-def: $vgpr13
                                        ; implicit-def: $sgpr6
	v_lshl_or_b32 v10, v72, 9, v10
.LBB729_4:
	v_or_b32_e32 v12, 0x100, v10
	s_movk_i32 s6, 0x4000
	v_mov_b32_e32 v13, v10
.LBB729_5:
	s_mul_hi_u32 s4, s26, s24
	s_mul_i32 s5, s60, s24
	s_add_i32 s4, s4, s5
	s_mul_i32 s5, s26, s24
	s_mul_i32 s7, s5, s3
	s_mul_hi_u32 s28, s5, s58
	s_add_i32 s7, s28, s7
	s_mul_i32 s4, s4, s58
	s_add_i32 s7, s7, s4
	s_mul_i32 s5, s5, s58
	s_ashr_i32 s66, s61, 31
	s_add_u32 s4, s5, s61
	s_addc_u32 s5, s7, s66
	s_lshl_b64 s[4:5], s[4:5], 8
	s_add_u32 s4, s16, s4
	s_addc_u32 s5, s17, s5
	s_and_b32 s5, s5, 0xffff
	s_mov_b32 s7, 0x20000
	s_movk_i32 s67, 0x80
	buffer_load_dwordx4 v[14:17], v13, s[4:7], 0 offen
	buffer_load_dwordx4 v[18:21], v13, s[4:7], s67 offen
	buffer_load_dwordx4 v[22:25], v12, s[4:7], 0 offen
	buffer_load_dwordx4 v[26:29], v12, s[4:7], s67 offen
	v_and_b32_e32 v12, 6, v0
	v_lshlrev_b32_e32 v30, 2, v67
	v_lshlrev_b32_e32 v31, 3, v67
	v_xor_b32_e32 v33, v72, v12
	v_and_b32_e32 v13, 1, v0
	s_mul_i32 s3, s3, s24
	s_mul_hi_u32 s4, s58, s24
	v_lshl_or_b32 v31, v70, 5, v31
	v_xor_b32_e32 v34, v70, v30
	v_lshlrev_b32_e32 v33, 2, v33
	v_or_b32_e32 v78, 0x9000, v31
	v_or_b32_e32 v79, 0x9800, v31
	v_lshlrev_b32_e32 v31, 1, v34
	v_xor_b32_e32 v34, 0x440, v33
	v_cmp_eq_u32_e32 vcc, 0, v13
	s_add_i32 s71, s4, s3
	s_add_i32 s3, s53, s43
	v_cndmask_b32_e32 v13, v34, v33, vcc
	s_add_i32 s4, s55, s52
	s_add_i32 s41, s3, s54
	s_mov_b32 s69, 0x1000504
	v_lshlrev_b32_e32 v32, 8, v67
	s_mov_b32 s6, 0x8000
	v_xor_b32_e32 v30, v71, v30
	v_lshl_or_b32 v12, v12, 10, v13
	s_add_i32 s39, s4, s56
	s_lshl_b64 s[4:5], s[40:41], 2
	s_mov_b32 s70, 0x3020706
	v_lshlrev_b32_e32 v30, 1, v30
	v_or3_b32 v80, v31, v32, s6
	v_xor_b32_e32 v13, 8, v12
	v_xor_b32_e32 v31, 24, v12
	;; [unrolled: 1-line block ×4, first 2 shown]
	s_add_u32 s3, s22, s4
	v_or3_b32 v81, v30, v32, s6
	v_xor_b32_e32 v30, 16, v12
	v_xor_b32_e32 v32, 32, v12
	;; [unrolled: 1-line block ×3, first 2 shown]
	v_add_u32_e32 v13, 0x80, v13
	v_add_u32_e32 v31, 0x80, v31
	;; [unrolled: 1-line block ×4, first 2 shown]
	s_addc_u32 s28, s23, s5
	s_lshl_b64 s[4:5], s[38:39], 2
	s_add_u32 s46, s3, s4
	s_movk_i32 s3, 0xf8
	s_addc_u32 s47, s28, s5
	v_ashrrev_i32_e32 v59, 31, v58
	s_lshl_b32 s30, s27, 7
	s_mov_b32 s68, 0
	s_mov_b32 s39, 0x7060302
	v_mov_b32_e32 v101, 0x3fb8aa3b
	s_mov_b32 s72, 0
	s_waitcnt vmcnt(1)
	v_perm_b32 v36, v14, v22, s69
	s_waitcnt vmcnt(0)
	v_perm_b32 v37, v18, v26, s69
	v_perm_b32 v14, v14, v22, s70
	;; [unrolled: 1-line block ×15, first 2 shown]
	ds_write2st64_b32 v12, v36, v37 offset1:32
	ds_write2st64_b32 v13, v14, v18 offset1:32
	ds_write2st64_b32 v30, v22, v26 offset0:1 offset1:33
	ds_write2st64_b32 v31, v15, v19 offset0:1 offset1:33
	;; [unrolled: 1-line block ×6, first 2 shown]
	v_or_b32_e32 v12, v53, v67
	v_lshlrev_b32_e32 v12, 3, v12
	v_lshrrev_b32_e32 v14, 5, v57
	v_and_or_b32 v14, v12, s3, v14
	v_lshlrev_b32_e32 v14, 4, v14
	v_lshrrev_b32_e32 v13, 2, v57
	v_lshlrev_b32_e32 v21, 11, v1
	v_and_b32_e32 v12, 0x78, v12
	v_or_b32_e32 v17, 32, v14
	v_and_b32_e32 v20, 12, v13
	v_and_b32_e32 v13, 0x1000, v21
	v_lshrrev_b32_e32 v16, 1, v57
	v_xor_b32_e32 v17, v17, v12
	v_and_b32_e32 v16, 8, v16
	v_or_b32_e32 v17, v17, v13
	v_xor_b32_e32 v15, v14, v12
	v_xor_b32_e32 v84, v17, v16
	v_or_b32_e32 v17, 64, v14
	v_or_b32_e32 v14, 0x60, v14
	v_xor_b32_e32 v17, v17, v12
	v_xor_b32_e32 v12, v14, v12
	v_or_b32_e32 v15, v15, v13
	v_or_b32_e32 v17, v17, v13
	;; [unrolled: 1-line block ×3, first 2 shown]
	v_xor_b32_e32 v82, v15, v16
	v_xor_b32_e32 v85, v17, v16
	;; [unrolled: 1-line block ×3, first 2 shown]
	v_lshrrev_b32_e32 v16, 4, v0
	v_lshlrev_b32_e32 v17, 1, v67
	s_ashr_i32 s3, s2, 31
	v_or_b32_e32 v18, 1, v17
	v_xor_b32_e32 v17, v16, v17
	s_lshl_b64 s[4:5], s[2:3], 8
	v_xor_b32_e32 v18, v18, v16
	v_lshlrev_b32_e32 v17, 3, v17
	v_lshlrev_b32_e32 v16, 8, v16
	v_lshlrev_b64 v[12:13], 1, v[58:59]
	s_add_u32 s4, s12, s4
	v_or3_b32 v59, v17, v16, s6
	v_lshlrev_b32_e32 v17, 3, v18
	s_addc_u32 s5, s13, s5
	v_or3_b32 v88, v17, v16, s6
	v_mov_b32_e32 v17, 0
	v_lshrrev_b32_e32 v27, 1, v0
	v_lshl_add_u64 v[18:19], s[4:5], 0, v[16:17]
	v_lshlrev_b32_e32 v16, 4, v67
	s_movk_i32 s3, 0xff
	v_lshlrev_b32_e32 v26, 3, v1
	v_and_b32_e32 v27, 24, v27
	v_lshl_add_u64 v[60:61], v[18:19], 0, v[16:17]
	v_and_b32_e32 v16, 7, v0
	v_and_b32_e32 v19, 8, v0
	v_cmp_lt_u32_e32 vcc, s3, v0
	v_xor_b32_e32 v28, v26, v27
	v_lshlrev_b32_e32 v24, 3, v16
	v_lshlrev_b32_e32 v25, 7, v16
	v_cndmask_b32_e64 v16, 0, 1, vcc
	v_or_b32_e32 v29, 0x440, v28
	v_cmp_eq_u32_e32 vcc, 0, v19
	v_or_b32_e32 v31, 64, v27
	v_xor_b32_e32 v31, v26, v31
	v_cndmask_b32_e32 v19, v29, v28, vcc
	v_or_b32_e32 v29, 32, v27
	v_or_b32_e32 v27, 0x60, v27
	v_xor_b32_e32 v29, v26, v29
	v_xor_b32_e32 v26, v26, v27
	v_or_b32_e32 v30, 0x440, v29
	v_xor_b32_e32 v32, 0x440, v31
	v_xor_b32_e32 v27, 0x440, v26
	v_cndmask_b32_e32 v29, v30, v29, vcc
	v_cndmask_b32_e32 v31, v32, v31, vcc
	;; [unrolled: 1-line block ×3, first 2 shown]
	v_and_b32_e32 v15, 0x78, v68
	v_or_b32_e32 v19, v19, v21
	v_or_b32_e32 v29, v29, v21
	;; [unrolled: 1-line block ×4, first 2 shown]
	v_lshl_or_b32 v15, v66, 7, v15
	v_lshlrev_b32_e32 v16, 13, v16
	v_xor_b32_e32 v19, v19, v24
	v_xor_b32_e32 v29, v29, v24
	v_xor_b32_e32 v31, v31, v24
	v_xor_b32_e32 v21, v21, v24
	v_or_b32_e32 v83, 0x9000, v15
	v_or_b32_e32 v87, 0x9800, v15
	v_lshl_add_u64 v[14:15], s[20:21], 0, v[12:13]
	v_lshl_add_u64 v[12:13], s[14:15], 0, v[12:13]
	v_lshlrev_b32_e32 v22, 1, v11
	v_add_lshl_u32 v11, v11, s27, 1
	v_or_b32_e32 v23, 0x100, v10
	v_or_b32_e32 v18, v20, v53
	v_add_u32_e32 v28, v16, v19
	v_add_u32_e32 v30, v16, v29
	;; [unrolled: 1-line block ×4, first 2 shown]
	v_or3_b32 v20, v53, v20, 64
	v_add_u32_e32 v19, 0x2000, v19
	v_add_u32_e32 v26, 0x2000, v29
	;; [unrolled: 1-line block ×4, first 2 shown]
	v_lshlrev_b32_e32 v16, 8, v70
	v_cndmask_b32_e64 v89, v22, v10, s[0:1]
	v_cndmask_b32_e64 v90, v11, v23, s[0:1]
	v_lshl_add_u64 v[62:63], v[14:15], 0, v[16:17]
	v_lshl_add_u64 v[64:65], v[12:13], 0, v[16:17]
	s_add_i32 s3, s51, 63
	s_movk_i32 s6, 0x4000
	v_lshlrev_b32_e32 v91, 2, v18
	v_add_u32_e32 v92, v28, v25
	v_add_u32_e32 v93, v30, v25
	;; [unrolled: 1-line block ×4, first 2 shown]
	v_lshlrev_b32_e32 v96, 2, v20
	v_add_u32_e32 v97, v19, v25
	v_add_u32_e32 v98, v26, v25
	v_add_u32_e32 v99, v27, v25
	v_add_u32_e32 v100, v21, v25
	s_waitcnt lgkmcnt(0)
	s_barrier
.LBB729_6:                              ; =>This Inner Loop Header: Depth=1
	s_add_i32 s41, s72, 1
	s_cmp_lt_i32 s41, s59
	s_mov_b64 s[28:29], 0
	s_cselect_b64 s[48:49], -1, 0
	s_cmp_ge_i32 s41, s59
	s_mov_b64 s[4:5], 0
	s_cbranch_scc1 .LBB729_8
; %bb.7:                                ;   in Loop: Header=BB729_6 Depth=1
	s_add_i32 s0, s68, 64
	s_add_u32 s0, s44, s0
	s_addc_u32 s1, s45, 0
	s_lshl_b64 s[0:1], s[0:1], 8
	s_add_u32 s4, s18, s0
	s_addc_u32 s5, s19, s1
.LBB729_8:                              ;   in Loop: Header=BB729_6 Depth=1
	v_cndmask_b32_e64 v10, 0, 1, s[48:49]
	v_cmp_ne_u32_e64 s[0:1], 1, v10
	s_andn2_b64 vcc, exec, s[48:49]
	s_cbranch_vccnz .LBB729_10
; %bb.9:                                ;   in Loop: Header=BB729_6 Depth=1
	s_add_i32 s28, s68, 64
	s_add_u32 s28, s51, s28
	s_addc_u32 s29, s71, 0
	s_mul_i32 s31, s28, s60
	s_mul_hi_u32 s48, s28, s65
	s_add_i32 s31, s48, s31
	s_mul_i32 s29, s29, s65
	s_add_i32 s31, s31, s29
	s_mul_i32 s28, s28, s65
	s_add_u32 s28, s28, s61
	s_addc_u32 s29, s31, s66
	s_lshl_b64 s[28:29], s[28:29], 8
	s_add_u32 s28, s16, s28
	s_addc_u32 s29, s17, s29
.LBB729_10:                             ;   in Loop: Header=BB729_6 Depth=1
	v_perm_b32 v11, v9, v8, s39
	v_perm_b32 v10, v7, v6, s39
	;; [unrolled: 1-line block ×4, first 2 shown]
	ds_write_b64 v78, v[10:11]
	ds_write_b64 v79, v[12:13]
	;; [unrolled: 1-line block ×4, first 2 shown]
	s_waitcnt lgkmcnt(0)
	s_barrier
	ds_read_b64 v[18:19], v82 offset:16384
	ds_read_b64 v[20:21], v84 offset:16384
	ds_read2st64_b64 v[10:13], v83 offset1:1
	ds_read2st64_b64 v[14:17], v83 offset0:2 offset1:3
	ds_read_b64 v[22:23], v85 offset:16384
	s_waitcnt lgkmcnt(2)
	v_mfma_f32_16x16x16_bf16 a[0:3], v[18:19], v[10:11], 0
	ds_read_b64 v[10:11], v86 offset:16384
	s_add_i32 s31, s68, 63
	s_mul_i32 s48, s31, s37
	v_mfma_f32_16x16x16_bf16 a[0:3], v[20:21], v[12:13], a[0:3]
	s_mul_hi_u32 s49, s31, s36
	s_add_i32 s49, s49, s48
	s_mul_i32 s48, s31, s36
	s_waitcnt lgkmcnt(1)
	v_mfma_f32_16x16x16_bf16 a[0:3], v[22:23], v[14:15], a[0:3]
	s_lshl_b64 s[48:49], s[48:49], 2
	s_add_u32 s48, s46, s48
	s_addc_u32 s49, s47, s49
	s_waitcnt lgkmcnt(0)
	v_mfma_f32_16x16x16_bf16 a[0:3], v[10:11], v[16:17], a[0:3]
	s_and_b64 vcc, exec, s[0:1]
	v_mov_b32_e32 v104, 0
	v_mov_b32_e32 v103, 0
	;; [unrolled: 1-line block ×19, first 2 shown]
	s_cbranch_vccnz .LBB729_12
; %bb.11:                               ;   in Loop: Header=BB729_6 Depth=1
	s_and_b32 s5, s5, 0xffff
	buffer_load_dwordx4 v[22:25], v74, s[4:7], 0 offen
	buffer_load_dwordx4 v[18:21], v74, s[4:7], s67 offen
	;; [unrolled: 1-line block ×4, first 2 shown]
	v_mov_b32_e32 v103, v76
	v_mov_b32_e32 v102, v77
.LBB729_12:                             ;   in Loop: Header=BB729_6 Depth=1
	v_add_u32_e32 v32, s68, v70
	v_ashrrev_i32_e32 v26, 31, v32
	v_mul_lo_u32 v28, v26, s36
	v_mul_lo_u32 v29, v32, s37
	v_mad_u64_u32 v[26:27], s[4:5], v32, s36, 0
	v_add3_u32 v27, v27, v29, v28
	v_add_u32_e32 v28, 1, v32
	v_ashrrev_i32_e32 v29, 31, v28
	v_mul_lo_u32 v30, v29, s36
	v_mul_lo_u32 v31, v28, s37
	v_mad_u64_u32 v[28:29], s[4:5], v28, s36, 0
	v_add3_u32 v29, v29, v31, v30
	v_add_u32_e32 v30, 2, v32
	v_ashrrev_i32_e32 v31, 31, v30
	v_mul_lo_u32 v33, v31, s36
	v_mul_lo_u32 v34, v30, s37
	v_mad_u64_u32 v[30:31], s[4:5], v30, s36, 0
	s_add_u32 s4, s44, s68
	v_add3_u32 v31, v31, v34, v33
	v_add_u32_e32 v34, 3, v32
	s_addc_u32 s5, s45, 0
	v_ashrrev_i32_e32 v32, 31, v34
	s_lshl_b64 s[74:75], s[4:5], 8
	v_lshl_add_u64 v[26:27], v[26:27], 2, s[46:47]
	v_mul_lo_u32 v35, v32, s36
	v_lshl_add_u64 v[32:33], v[62:63], 0, s[74:75]
	v_mul_lo_u32 v36, v34, s37
	global_load_ushort v42, v[32:33], off
	global_load_ushort v43, v[32:33], off offset:256
	global_load_ushort v44, v[32:33], off offset:512
	;; [unrolled: 1-line block ×3, first 2 shown]
	global_load_dword v46, v[26:27], off
	v_mad_u64_u32 v[26:27], s[4:5], v34, s36, 0
	v_lshl_add_u64 v[28:29], v[28:29], 2, s[46:47]
	v_add3_u32 v27, v27, v36, v35
	v_lshl_add_u64 v[30:31], v[30:31], 2, s[46:47]
	v_lshl_add_u64 v[26:27], v[26:27], 2, s[46:47]
	global_load_dword v47, v[28:29], off
	global_load_dword v48, v[30:31], off
	;; [unrolled: 1-line block ×3, first 2 shown]
	ds_read_b64 v[26:27], v82 offset:24576
	s_load_dword s4, s[48:49], 0x0
	ds_read_b64 v[36:37], v84 offset:24576
	ds_read2st64_b64 v[28:31], v87 offset1:1
	ds_read2st64_b64 v[32:35], v87 offset0:2 offset1:3
	ds_read_b64 v[38:39], v85 offset:24576
	ds_read_b64 v[40:41], v86 offset:24576
	s_waitcnt lgkmcnt(0)
	v_mfma_f32_16x16x16_bf16 a[0:3], v[26:27], v[28:29], a[0:3]
	v_mov_b32_e32 v105, 0
	v_mov_b32_e32 v26, 0
	;; [unrolled: 1-line block ×3, first 2 shown]
	v_mfma_f32_16x16x16_bf16 a[0:3], v[36:37], v[30:31], a[0:3]
	v_lshl_add_u64 v[36:37], v[64:65], 0, s[74:75]
	v_mov_b32_e32 v28, 0
	v_mov_b32_e32 v29, 0
	v_mfma_f32_16x16x16_bf16 a[0:3], v[38:39], v[32:33], a[0:3]
	v_mov_b32_e32 v30, 0
	v_mov_b32_e32 v31, 0
	;; [unrolled: 1-line block ×3, first 2 shown]
	v_mfma_f32_16x16x16_bf16 a[0:3], v[40:41], v[34:35], a[0:3]
	s_and_b64 vcc, exec, s[0:1]
	s_waitcnt vmcnt(7)
	v_lshlrev_b32_e32 v40, 16, v42
	s_nop 3
	v_accvgpr_read_b32 v39, a1
	v_accvgpr_read_b32 v35, a3
	;; [unrolled: 1-line block ×4, first 2 shown]
	s_waitcnt vmcnt(6)
	v_lshlrev_b32_e32 v41, 16, v43
	s_waitcnt vmcnt(4)
	v_lshlrev_b32_e32 v43, 16, v45
	v_lshlrev_b32_e32 v42, 16, v44
	s_waitcnt vmcnt(3)
	v_sub_f32_e32 v33, s4, v46
	v_pk_add_f32 v[38:39], v[40:41], v[38:39] neg_lo:[0,1] neg_hi:[0,1]
	v_pk_add_f32 v[34:35], v[42:43], v[34:35] neg_lo:[0,1] neg_hi:[0,1]
	v_mul_f32_e32 v33, 0x3fb8aa3b, v33
	s_waitcnt vmcnt(2)
	v_sub_f32_e32 v41, s4, v47
	s_waitcnt vmcnt(1)
	v_sub_f32_e32 v42, s4, v48
	;; [unrolled: 2-line block ×3, first 2 shown]
	v_exp_f32_e32 v40, v33
	v_mul_f32_e32 v33, 0x3fb8aa3b, v41
	v_mul_f32_e32 v42, 0x3fb8aa3b, v42
	;; [unrolled: 1-line block ×3, first 2 shown]
	v_exp_f32_e32 v41, v33
	v_exp_f32_e32 v42, v42
	;; [unrolled: 1-line block ×3, first 2 shown]
	global_store_short_d16_hi v[36:37], v38, off
	global_store_short_d16_hi v[36:37], v39, off offset:256
	global_store_short_d16_hi v[36:37], v34, off offset:512
	;; [unrolled: 1-line block ×3, first 2 shown]
	v_pk_mul_f32 v[36:37], v[40:41], v[38:39]
	v_pk_mul_f32 v[34:35], v[42:43], v[34:35]
	v_mov_b32_e32 v33, 0
	v_perm_b32 v35, v35, v34, s39
	v_perm_b32 v34, v37, v36, s39
	ds_write_b64 v79, v[34:35]
	v_mov_b32_e32 v34, 0
	v_mov_b32_e32 v35, 0
	;; [unrolled: 1-line block ×8, first 2 shown]
	s_cbranch_vccnz .LBB729_14
; %bb.13:                               ;   in Loop: Header=BB729_6 Depth=1
	s_and_b32 s29, s29, 0xffff
	s_mov_b32 s31, s7
	buffer_load_dwordx4 v[38:41], v89, s[28:31], 0 offen
	buffer_load_dwordx4 v[30:33], v89, s[28:31], s67 offen
	;; [unrolled: 1-line block ×4, first 2 shown]
	v_mov_b32_e32 v104, v73
	v_mov_b32_e32 v105, v72
.LBB729_14:                             ;   in Loop: Header=BB729_6 Depth=1
	s_waitcnt lgkmcnt(0)
	s_barrier
	ds_read_b64 v[42:43], v92
	ds_read_b64 v[48:49], v93
	ds_read2st64_b64 v[44:47], v87 offset1:1
	ds_read2st64_b64 v[106:109], v87 offset0:2 offset1:3
	ds_read_b64 v[50:51], v94
	ds_read_b64 v[114:115], v95
	s_add_i32 s5, s62, s72
	s_mul_hi_i32 s29, s5, s25
	s_mul_i32 s5, s5, s25
	s_waitcnt lgkmcnt(3)
	v_mfma_f32_16x16x16_bf16 a[0:3], v[42:43], v[44:45], 0
	ds_read_b64 v[42:43], v97
	s_add_u32 s28, s5, s33
	s_addc_u32 s29, s29, s50
	s_add_i32 s5, s3, s68
	v_mfma_f32_16x16x16_bf16 a[0:3], v[48:49], v[46:47], a[0:3]
	ds_read_b64 v[48:49], v98
	s_lshl_b64 s[28:29], s[28:29], 15
	s_mul_hi_i32 s31, s5, s25
	s_mul_i32 s5, s5, s25
	s_add_u32 s48, s5, s33
	s_addc_u32 s49, s31, s50
	s_lshl_b64 s[48:49], s[48:49], 9
	s_add_u32 s48, s8, s48
	s_waitcnt lgkmcnt(1)
	v_mfma_f32_16x16x16_bf16 a[4:7], v[42:43], v[44:45], 0
	s_addc_u32 s49, s9, s49
	s_and_b64 vcc, exec, s[0:1]
	v_mfma_f32_16x16x16_bf16 a[0:3], v[50:51], v[106:107], a[0:3]
	ds_read_b64 v[50:51], v99
	ds_read_b64 v[116:117], v100
	global_load_dwordx4 v[42:45], v96, s[48:49]
	s_waitcnt lgkmcnt(2)
	v_mfma_f32_16x16x16_bf16 a[4:7], v[48:49], v[46:47], a[4:7]
	global_load_dwordx4 v[46:49], v91, s[48:49]
	ds_read_b64 v[110:111], v59
	ds_read_b64 v[112:113], v88
	s_waitcnt lgkmcnt(3)
	v_mfma_f32_16x16x16_bf16 a[8:11], v[50:51], v[106:107], a[4:7]
	v_lshl_add_u64 v[50:51], v[60:61], 0, s[28:29]
	s_waitcnt lgkmcnt(0)
	global_store_dwordx4 v[50:51], v[110:113], off
	v_mfma_f32_16x16x16_bf16 a[4:7], v[114:115], v[108:109], a[0:3]
	s_waitcnt vmcnt(2)
	v_mov_b32_e32 v52, v45
	v_mfma_f32_16x16x16_bf16 a[0:3], v[116:117], v[108:109], a[8:11]
	v_mov_b32_e32 v51, v44
	v_mov_b32_e32 v50, v43
	s_cbranch_vccnz .LBB729_16
; %bb.15:                               ;   in Loop: Header=BB729_6 Depth=1
	v_lshrrev_b32_e32 v43, 3, v104
	v_and_b32_e32 v43, 6, v43
	v_xor_b32_e32 v44, v43, v105
	v_lshlrev_b32_e32 v44, 2, v44
	v_and_b32_e32 v45, 8, v104
	v_xor_b32_e32 v104, 0x440, v44
	v_cmp_eq_u32_e32 vcc, 0, v45
	v_perm_b32 v45, v30, v26, s69
	s_nop 0
	v_cndmask_b32_e32 v44, v104, v44, vcc
	v_lshl_or_b32 v43, v43, 10, v44
	v_perm_b32 v44, v38, v34, s69
	s_barrier
	ds_write2st64_b32 v43, v44, v45 offset1:32
	v_xor_b32_e32 v44, 8, v43
	v_perm_b32 v34, v38, v34, s70
	v_perm_b32 v26, v30, v26, s70
	v_add_u32_e32 v30, 0x80, v44
	ds_write2st64_b32 v30, v34, v26 offset1:32
	v_xor_b32_e32 v26, 16, v43
	v_perm_b32 v30, v39, v35, s69
	v_perm_b32 v34, v31, v27, s69
	ds_write2st64_b32 v26, v30, v34 offset0:1 offset1:33
	v_xor_b32_e32 v26, 24, v43
	v_perm_b32 v30, v39, v35, s70
	v_perm_b32 v27, v31, v27, s70
	v_add_u32_e32 v26, 0x80, v26
	ds_write2st64_b32 v26, v30, v27 offset0:1 offset1:33
	v_xor_b32_e32 v26, 32, v43
	v_perm_b32 v27, v40, v36, s69
	v_perm_b32 v30, v32, v28, s69
	ds_write2st64_b32 v26, v27, v30 offset0:2 offset1:34
	v_xor_b32_e32 v26, 40, v43
	v_perm_b32 v27, v40, v36, s70
	v_perm_b32 v28, v32, v28, s70
	v_add_u32_e32 v26, 0x80, v26
	ds_write2st64_b32 v26, v27, v28 offset0:2 offset1:34
	;; [unrolled: 9-line block ×3, first 2 shown]
	ds_write_b64 v103, v[22:23] offset:16384
	v_xor_b32_e32 v22, 8, v103
	ds_write_b64 v22, v[24:25] offset:16384
	ds_write_b64 v103, v[18:19] offset:24576
	ds_write_b64 v22, v[20:21] offset:24576
	ds_write_b64 v102, v[14:15] offset:16384
	v_xor_b32_e32 v14, 8, v102
	ds_write_b64 v14, v[16:17] offset:16384
	ds_write_b64 v102, v[10:11] offset:24576
	;; [unrolled: 1-line block ×3, first 2 shown]
.LBB729_16:                             ;   in Loop: Header=BB729_6 Depth=1
	v_mul_f32_e32 v14, s4, v101
	v_exp_f32_e32 v18, v14
	s_waitcnt vmcnt(1)
	v_mul_f32_e32 v14, 0x3fb8aa3b, v46
	v_exp_f32_e32 v20, v14
	v_mul_f32_e32 v14, 0x3fb8aa3b, v47
	v_exp_f32_e32 v21, v14
	;; [unrolled: 2-line block ×4, first 2 shown]
	v_accvgpr_read_b32 v13, a7
	v_accvgpr_read_b32 v11, a5
	;; [unrolled: 1-line block ×3, first 2 shown]
	v_pk_mul_f32 v[20:21], v[18:19], v[20:21] op_sel_hi:[0,1]
	v_pk_fma_f32 v[6:7], v[6:7], v[20:21], v[10:11]
	v_pk_mul_f32 v[10:11], v[18:19], v[22:23] op_sel_hi:[0,1]
	v_mul_f32_e32 v19, 0x3fb8aa3b, v42
	v_exp_f32_e32 v20, v19
	v_mul_f32_e32 v19, 0x3fb8aa3b, v50
	v_exp_f32_e32 v21, v19
	;; [unrolled: 2-line block ×4, first 2 shown]
	v_accvgpr_read_b32 v12, a6
	v_accvgpr_read_b32 v17, a3
	;; [unrolled: 1-line block ×4, first 2 shown]
	v_pk_fma_f32 v[8:9], v[8:9], v[10:11], v[12:13]
	v_pk_mul_f32 v[10:11], v[18:19], v[20:21] op_sel_hi:[0,1]
	v_accvgpr_read_b32 v16, a2
	v_pk_fma_f32 v[2:3], v[2:3], v[10:11], v[14:15]
	v_pk_mul_f32 v[10:11], v[18:19], v[22:23] op_sel_hi:[0,1]
	s_add_i32 s68, s68, 64
	s_cmp_eq_u32 s59, s41
	v_pk_fma_f32 v[4:5], v[4:5], v[10:11], v[16:17]
	s_cbranch_scc1 .LBB729_18
; %bb.17:                               ;   in Loop: Header=BB729_6 Depth=1
	s_mov_b32 s72, s41
	s_branch .LBB729_6
.LBB729_18:
	s_lshl_b32 s45, s59, 6
	s_sub_i32 s48, s24, s45
	s_cmp_gt_i32 s48, 0
	s_cbranch_scc0 .LBB729_75
; %bb.19:
	s_ashr_i32 s3, s45, 31
	s_cmpk_lg_i32 s27, 0x80
	s_cselect_b64 s[30:31], -1, 0
	s_and_b64 vcc, exec, s[30:31]
	s_cbranch_vccz .LBB729_21
; %bb.20:
	s_mul_hi_i32 s0, s58, s24
	s_add_u32 s1, s51, s45
	s_addc_u32 s0, s0, s3
	s_mul_i32 s4, s1, s60
	s_mul_hi_u32 s5, s1, s26
	s_add_i32 s4, s5, s4
	s_mul_i32 s0, s0, s26
	s_add_i32 s4, s4, s0
	s_mul_i32 s1, s1, s26
	s_ashr_i32 s0, s61, 31
	s_add_u32 s46, s1, s61
	s_addc_u32 s47, s4, s0
	s_cbranch_execz .LBB729_22
	s_branch .LBB729_23
.LBB729_21:
                                        ; implicit-def: $sgpr46_sgpr47
.LBB729_22:
	s_mul_hi_i32 s0, s58, s26
	s_mul_i32 s58, s58, s26
	s_ashr_i32 s1, s61, 31
	s_add_u32 s4, s58, s61
	s_addc_u32 s0, s0, s1
	s_mul_i32 s1, s4, s57
	s_mul_hi_u32 s5, s4, s24
	s_add_i32 s1, s5, s1
	s_mul_i32 s0, s0, s24
	s_add_i32 s1, s1, s0
	s_mul_i32 s4, s4, s24
	s_add_u32 s46, s4, s45
	s_addc_u32 s47, s1, s3
.LBB729_23:
	s_mul_i32 s0, s42, s57
	s_add_i32 s0, s64, s0
	s_add_i32 s4, s62, s59
	;; [unrolled: 1-line block ×3, first 2 shown]
	s_add_u32 s0, s44, s45
	s_addc_u32 s1, s1, s3
	s_mov_b32 s3, 0x7060302
	v_lshlrev_b32_e32 v14, 3, v67
	s_lshl_b64 s[28:29], s[0:1], 8
	s_waitcnt vmcnt(1)
	v_perm_b32 v11, v9, v8, s3
	v_perm_b32 v10, v7, v6, s3
	s_waitcnt vmcnt(0)
	v_perm_b32 v13, v5, v4, s3
	v_perm_b32 v12, v3, v2, s3
	v_lshlrev_b32_e32 v42, 2, v67
	v_lshl_or_b32 v14, v70, 5, v14
	s_add_u32 s0, s18, s28
	ds_write2st64_b64 v14, v[10:11], v[12:13] offset0:72 offset1:76
	v_xor_b32_e32 v14, v70, v42
	v_lshlrev_b32_e32 v15, 8, v67
	s_addc_u32 s1, s19, s29
	v_lshl_or_b32 v14, v14, 1, v15
	s_mul_hi_i32 s3, s4, s25
	s_mul_i32 s4, s4, s25
	ds_write_b64 v14, v[10:11] offset:32768
	v_xor_b32_e32 v10, v71, v42
	s_add_u32 s4, s4, s33
	v_lshl_or_b32 v10, v10, 1, v15
	s_addc_u32 s5, s3, s50
	v_lshlrev_b32_e32 v11, 1, v67
	ds_write_b64 v10, v[12:13] offset:32768
	v_lshrrev_b32_e32 v10, 4, v0
	s_ashr_i32 s3, s2, 31
	s_lshl_b64 s[4:5], s[4:5], 15
	v_or_b32_e32 v12, 1, v11
	s_add_u32 s4, s12, s4
	v_xor_b32_e32 v11, v10, v11
	v_xor_b32_e32 v12, v12, v10
	v_lshlrev_b32_e32 v14, 8, v10
	s_addc_u32 s5, s13, s5
	s_lshl_b64 s[2:3], s[2:3], 8
	v_lshl_or_b32 v10, v11, 3, v14
	v_lshl_or_b32 v12, v12, 3, v14
	s_waitcnt lgkmcnt(0)
	s_barrier
	s_add_u32 s2, s4, s2
	ds_read_b64 v[10:11], v10 offset:32768
	ds_read_b64 v[12:13], v12 offset:32768
	s_addc_u32 s3, s5, s3
	v_mov_b32_e32 v15, 0
	s_cmp_lg_u32 s48, 64
	v_lshl_add_u64 v[16:17], s[2:3], 0, v[14:15]
	v_lshlrev_b32_e32 v14, 4, v67
	s_cselect_b64 s[18:19], -1, 0
	v_lshl_or_b32 v44, v1, 3, v69
	s_mov_b32 s4, 0
	v_lshl_add_u64 v[14:15], v[16:17], 0, v[14:15]
	v_or_b32_e32 v27, 32, v44
	v_and_b32_e32 v26, 56, v68
	s_and_b64 vcc, exec, s[18:19]
	s_waitcnt lgkmcnt(0)
	global_store_dwordx4 v[14:15], v[10:13], off
	s_cbranch_vccz .LBB729_29
; %bb.24:
	s_mov_b32 s6, s4
	s_mov_b32 s7, s4
	;; [unrolled: 1-line block ×3, first 2 shown]
	v_mov_b64_e32 v[16:17], s[6:7]
	v_mov_b64_e32 v[14:15], s[4:5]
	;; [unrolled: 1-line block ×3, first 2 shown]
	v_cmp_gt_i32_e32 vcc, s48, v44
	v_mov_b64_e32 v[12:13], v[16:17]
	s_and_saveexec_b64 s[2:3], vcc
	s_cbranch_execz .LBB729_26
; %bb.25:
	v_lshlrev_b32_e32 v10, 8, v44
	v_mov_b32_e32 v11, 0
	v_lshl_add_u64 v[12:13], s[0:1], 0, v[10:11]
	v_lshlrev_b32_e32 v10, 1, v26
	v_lshl_add_u64 v[18:19], v[12:13], 0, v[10:11]
	global_load_dwordx4 v[14:17], v[18:19], off
	global_load_dwordx4 v[10:13], v[18:19], off offset:128
.LBB729_26:
	s_or_b64 exec, exec, s[2:3]
	s_mov_b32 s6, s4
	s_mov_b32 s7, s4
	;; [unrolled: 1-line block ×3, first 2 shown]
	v_mov_b64_e32 v[24:25], s[6:7]
	v_mov_b64_e32 v[22:23], s[4:5]
	;; [unrolled: 1-line block ×3, first 2 shown]
	v_cmp_gt_i32_e32 vcc, s48, v27
	v_lshlrev_b32_e32 v28, 7, v27
	v_mov_b64_e32 v[20:21], v[24:25]
	s_and_saveexec_b64 s[2:3], vcc
	s_cbranch_execz .LBB729_28
; %bb.27:
	v_lshlrev_b32_e32 v18, 1, v28
	v_mov_b32_e32 v19, 0
	v_lshl_add_u64 v[20:21], s[0:1], 0, v[18:19]
	v_lshlrev_b32_e32 v18, 1, v26
	v_lshl_add_u64 v[30:31], v[20:21], 0, v[18:19]
	global_load_dwordx4 v[22:25], v[30:31], off
	global_load_dwordx4 v[18:21], v[30:31], off offset:128
.LBB729_28:
	s_or_b64 exec, exec, s[2:3]
	v_lshrrev_b32_e32 v29, 3, v26
	v_lshlrev_b32_e32 v30, 3, v44
	v_or_b32_e32 v29, v30, v29
	v_lshlrev_b32_e32 v29, 4, v29
	v_and_b32_e32 v30, 0x78, v30
	v_xor_b32_e32 v29, v29, v30
	s_branch .LBB729_31
.LBB729_29:
                                        ; implicit-def: $vgpr29
                                        ; implicit-def: $vgpr28
                                        ; implicit-def: $vgpr14_vgpr15_vgpr16_vgpr17
                                        ; implicit-def: $vgpr10_vgpr11_vgpr12_vgpr13
                                        ; implicit-def: $vgpr22_vgpr23_vgpr24_vgpr25
                                        ; implicit-def: $vgpr18_vgpr19_vgpr20_vgpr21
	s_cbranch_execz .LBB729_31
; %bb.30:
	s_waitcnt vmcnt(0)
	v_lshlrev_b32_e32 v10, 1, v26
	v_lshl_or_b32 v28, v44, 8, v10
	s_and_b32 s1, s1, 0xffff
	s_mov_b32 s3, 0x20000
	s_movk_i32 s2, 0x4000
	v_lshl_or_b32 v29, v27, 8, v10
	s_movk_i32 s4, 0x80
	buffer_load_dwordx4 v[14:17], v28, s[0:3], 0 offen
	buffer_load_dwordx4 v[10:13], v28, s[0:3], s4 offen
	;; [unrolled: 1-line block ×4, first 2 shown]
	v_lshrrev_b32_e32 v28, 3, v26
	v_lshlrev_b32_e32 v29, 3, v44
	v_or_b32_e32 v28, v29, v28
	v_lshlrev_b32_e32 v28, 4, v28
	v_and_b32_e32 v29, 0x78, v29
	v_xor_b32_e32 v29, v28, v29
	v_lshlrev_b32_e32 v28, 7, v27
.LBB729_31:
	s_lshl_b64 s[0:1], s[46:47], 8
	s_add_u32 s4, s16, s0
	s_movk_i32 s0, 0x1000
	v_and_or_b32 v27, v28, s0, v29
	s_waitcnt vmcnt(1)
	ds_write_b64 v29, v[14:15] offset:16384
	v_xor_b32_e32 v14, 8, v29
	ds_write_b64 v14, v[16:17] offset:16384
	s_waitcnt vmcnt(0)
	ds_write_b64 v29, v[10:11] offset:24576
	ds_write_b64 v14, v[12:13] offset:24576
	;; [unrolled: 1-line block ×3, first 2 shown]
	v_xor_b32_e32 v10, 8, v27
	ds_write_b64 v10, v[24:25] offset:16384
	ds_write_b64 v27, v[18:19] offset:24576
	;; [unrolled: 1-line block ×3, first 2 shown]
	v_or_b32_e32 v10, v53, v67
	v_lshlrev_b32_e32 v10, 3, v10
	v_lshrrev_b32_e32 v12, 5, v57
	s_movk_i32 s6, 0xf8
	v_and_or_b32 v12, v10, s6, v12
	v_lshlrev_b32_e32 v43, 11, v1
	v_lshlrev_b32_e32 v20, 4, v12
	v_and_b32_e32 v21, 0x78, v10
	v_and_b32_e32 v22, 0x1000, v43
	v_lshlrev_b32_e32 v11, 2, v0
	v_xor_b32_e32 v10, v20, v21
	v_lshrrev_b32_e32 v12, 1, v57
	v_and_b32_e32 v11, 60, v11
	v_or_b32_e32 v10, v10, v22
	v_and_b32_e32 v23, 8, v12
	v_xor_b32_e32 v34, v10, v23
	v_lshl_or_b32 v10, v66, 6, v11
	v_lshlrev_b32_e32 v45, 1, v10
	v_or_b32_e32 v10, 32, v20
	v_xor_b32_e32 v10, v10, v21
	s_waitcnt lgkmcnt(0)
	s_barrier
	ds_read_b64 v[18:19], v34 offset:16384
	v_or_b32_e32 v10, v10, v22
	v_xor_b32_e32 v35, v10, v23
	v_or_b32_e32 v10, 64, v20
	v_xor_b32_e32 v10, v10, v21
	v_or_b32_e32 v10, v10, v22
	v_or_b32_e32 v20, 0x60, v20
	v_xor_b32_e32 v36, v10, v23
	ds_read2st64_b64 v[10:13], v45 offset0:72 offset1:73
	ds_read2st64_b64 v[14:17], v45 offset0:74 offset1:75
	v_xor_b32_e32 v24, v20, v21
	ds_read_b64 v[20:21], v35 offset:16384
	s_addc_u32 s5, s17, s1
	s_add_i32 s0, s53, s43
	s_waitcnt lgkmcnt(2)
	v_mfma_f32_16x16x16_bf16 a[0:3], v[18:19], v[10:11], 0
	s_add_i32 s17, s24, -1
	s_add_i32 s41, s0, s54
	s_add_i32 s0, s55, s52
	;; [unrolled: 1-line block ×3, first 2 shown]
	s_ashr_i32 s0, s17, 31
	s_mul_i32 s1, s17, s37
	s_mul_hi_u32 s2, s17, s36
	s_add_i32 s1, s2, s1
	s_mul_i32 s0, s0, s36
	v_or_b32_e32 v22, v24, v22
	s_add_i32 s1, s1, s0
	s_lshl_b64 s[2:3], s[40:41], 2
	v_xor_b32_e32 v46, v22, v23
	ds_read_b64 v[22:23], v36 offset:16384
	ds_read_b64 v[24:25], v46 offset:16384
	s_waitcnt lgkmcnt(2)
	v_mfma_f32_16x16x16_bf16 a[0:3], v[20:21], v[12:13], a[0:3]
	s_add_u32 s6, s22, s2
	s_addc_u32 s7, s23, s3
	s_lshl_b64 s[2:3], s[38:39], 2
	s_mul_i32 s0, s17, s36
	s_add_u32 s12, s6, s2
	s_addc_u32 s13, s7, s3
	s_lshl_b64 s[0:1], s[0:1], 2
	s_waitcnt lgkmcnt(1)
	v_mfma_f32_16x16x16_bf16 a[0:3], v[22:23], v[14:15], a[0:3]
	s_add_u32 s0, s12, s0
	s_addc_u32 s1, s13, s1
	s_load_dword s16, s[0:1], 0x0
	s_waitcnt lgkmcnt(0)
	v_mfma_f32_16x16x16_bf16 a[0:3], v[24:25], v[16:17], a[0:3]
	s_and_b64 vcc, exec, s[30:31]
	s_cbranch_vccz .LBB729_42
; %bb.32:
	v_lshlrev_b32_e32 v27, 1, v44
	s_and_b64 vcc, exec, s[18:19]
	s_cbranch_vccz .LBB729_43
; %bb.33:
	v_cmp_gt_i32_e32 vcc, s48, v27
	v_mov_b32_e32 v14, 0
	v_mov_b32_e32 v10, 0
	;; [unrolled: 1-line block ×5, first 2 shown]
	s_and_saveexec_b64 s[0:1], vcc
	s_cbranch_execz .LBB729_35
; %bb.34:
	v_mad_i64_i32 v[10:11], s[2:3], s27, v27, 0
	v_lshl_add_u64 v[10:11], v[10:11], 1, s[4:5]
	v_lshlrev_b32_e32 v12, 1, v26
	v_mov_b32_e32 v13, 0
	v_lshl_add_u64 v[10:11], v[10:11], 0, v[12:13]
	global_load_dwordx4 v[10:13], v[10:11], off
.LBB729_35:
	s_or_b64 exec, exec, s[0:1]
	v_or_b32_e32 v28, 1, v27
	v_cmp_gt_i32_e64 s[0:1], s48, v28
	v_mov_b32_e32 v15, 0
	v_mov_b32_e32 v16, 0
	v_mov_b32_e32 v17, 0
	s_and_saveexec_b64 s[2:3], s[0:1]
	s_cbranch_execz .LBB729_37
; %bb.36:
	v_mad_i64_i32 v[14:15], s[6:7], s27, v28, 0
	v_lshl_add_u64 v[14:15], v[14:15], 1, s[4:5]
	v_lshlrev_b32_e32 v16, 1, v26
	v_mov_b32_e32 v17, 0
	v_lshl_add_u64 v[14:15], v[14:15], 0, v[16:17]
	global_load_dwordx4 v[14:17], v[14:15], off
.LBB729_37:
	s_or_b64 exec, exec, s[2:3]
	v_mov_b32_e32 v25, 0
	v_mov_b32_e32 v18, 0
	;; [unrolled: 1-line block ×5, first 2 shown]
	s_and_saveexec_b64 s[2:3], vcc
	s_cbranch_execz .LBB729_39
; %bb.38:
	v_mad_i64_i32 v[18:19], s[6:7], s27, v27, 0
	v_lshl_add_u64 v[18:19], v[18:19], 1, s[4:5]
	v_lshlrev_b32_e32 v20, 1, v26
	v_mov_b32_e32 v21, 0
	v_lshl_add_u64 v[18:19], v[18:19], 0, v[20:21]
	global_load_dwordx4 v[18:21], v[18:19], off offset:128
.LBB729_39:
	s_or_b64 exec, exec, s[2:3]
	v_mov_b32_e32 v24, 0
	v_mov_b32_e32 v23, 0
	;; [unrolled: 1-line block ×3, first 2 shown]
	s_and_saveexec_b64 s[2:3], s[0:1]
	s_cbranch_execz .LBB729_41
; %bb.40:
	v_mad_i64_i32 v[22:23], s[0:1], s27, v28, 0
	v_lshl_add_u64 v[22:23], v[22:23], 1, s[4:5]
	v_lshlrev_b32_e32 v24, 1, v26
	v_mov_b32_e32 v25, 0
	v_lshl_add_u64 v[22:23], v[22:23], 0, v[24:25]
	global_load_dwordx4 v[22:25], v[22:23], off offset:128
.LBB729_41:
	s_or_b64 exec, exec, s[2:3]
	s_branch .LBB729_45
.LBB729_42:
                                        ; implicit-def: $vgpr13
                                        ; implicit-def: $vgpr17
                                        ; implicit-def: $vgpr21
                                        ; implicit-def: $vgpr25
	v_lshrrev_b32_e32 v27, 2, v57
	s_branch .LBB729_46
.LBB729_43:
                                        ; implicit-def: $vgpr13
                                        ; implicit-def: $vgpr17
                                        ; implicit-def: $vgpr21
                                        ; implicit-def: $vgpr25
	s_cbranch_execz .LBB729_45
; %bb.44:
	s_waitcnt vmcnt(0)
	v_mad_u64_u32 v[10:11], s[0:1], v27, s27, v[26:27]
	v_lshlrev_b32_e32 v27, 1, v10
	s_lshl_b32 s2, s27, 7
	s_and_b32 s1, s5, 0xffff
	s_mov_b32 s3, 0x20000
	s_mov_b32 s0, s4
	v_add_lshl_u32 v28, v10, s27, 1
	s_movk_i32 s6, 0x80
	buffer_load_dwordx4 v[10:13], v27, s[0:3], 0 offen
	buffer_load_dwordx4 v[18:21], v27, s[0:3], s6 offen
	;; [unrolled: 1-line block ×4, first 2 shown]
.LBB729_45:
	v_lshrrev_b32_e32 v27, 2, v57
	s_cbranch_execnz .LBB729_58
.LBB729_46:
	s_and_b64 vcc, exec, s[18:19]
	s_cbranch_vccz .LBB729_56
; %bb.47:
	s_waitcnt vmcnt(0)
	v_lshlrev_b32_e32 v15, 1, v44
	v_cmp_gt_i32_e32 vcc, s48, v15
	v_mov_b32_e32 v14, 0
	v_lshlrev_b32_e32 v22, 9, v44
	v_mov_b32_e32 v10, 0
	v_mov_b32_e32 v11, 0
	;; [unrolled: 1-line block ×4, first 2 shown]
	s_and_saveexec_b64 s[0:1], vcc
	s_cbranch_execz .LBB729_49
; %bb.48:
	v_mov_b32_e32 v23, 0
	v_lshl_add_u64 v[10:11], s[4:5], 0, v[22:23]
	v_lshlrev_b32_e32 v12, 1, v26
	v_mov_b32_e32 v13, v23
	v_lshl_add_u64 v[10:11], v[10:11], 0, v[12:13]
	global_load_dwordx4 v[10:13], v[10:11], off
.LBB729_49:
	s_or_b64 exec, exec, s[0:1]
	v_or_b32_e32 v15, 1, v15
	v_cmp_gt_i32_e64 s[0:1], s48, v15
	v_lshlrev_b32_e32 v28, 8, v15
	v_mov_b32_e32 v15, 0
	v_mov_b32_e32 v16, 0
	;; [unrolled: 1-line block ×3, first 2 shown]
	s_and_saveexec_b64 s[2:3], s[0:1]
	s_cbranch_execz .LBB729_51
; %bb.50:
	v_mov_b32_e32 v29, 0
	v_lshl_add_u64 v[14:15], s[4:5], 0, v[28:29]
	v_lshlrev_b32_e32 v16, 1, v26
	v_mov_b32_e32 v17, v29
	v_lshl_add_u64 v[14:15], v[14:15], 0, v[16:17]
	global_load_dwordx4 v[14:17], v[14:15], off
.LBB729_51:
	s_or_b64 exec, exec, s[2:3]
	v_mov_b32_e32 v25, 0
	v_mov_b32_e32 v18, 0
	;; [unrolled: 1-line block ×5, first 2 shown]
	s_and_saveexec_b64 s[2:3], vcc
	s_cbranch_execz .LBB729_53
; %bb.52:
	v_mov_b32_e32 v23, 0
	v_lshl_add_u64 v[18:19], s[4:5], 0, v[22:23]
	v_lshlrev_b32_e32 v22, 1, v26
	v_lshl_add_u64 v[18:19], v[18:19], 0, v[22:23]
	global_load_dwordx4 v[18:21], v[18:19], off offset:128
.LBB729_53:
	s_or_b64 exec, exec, s[2:3]
	v_mov_b32_e32 v24, 0
	v_mov_b32_e32 v23, 0
	;; [unrolled: 1-line block ×3, first 2 shown]
	s_and_saveexec_b64 s[2:3], s[0:1]
	s_cbranch_execz .LBB729_55
; %bb.54:
	v_mov_b32_e32 v29, 0
	v_lshl_add_u64 v[22:23], s[4:5], 0, v[28:29]
	v_lshlrev_b32_e32 v28, 1, v26
	v_lshl_add_u64 v[22:23], v[22:23], 0, v[28:29]
	global_load_dwordx4 v[22:25], v[22:23], off offset:128
.LBB729_55:
	s_or_b64 exec, exec, s[2:3]
	s_branch .LBB729_58
.LBB729_56:
                                        ; implicit-def: $vgpr13
                                        ; implicit-def: $vgpr17
                                        ; implicit-def: $vgpr21
                                        ; implicit-def: $vgpr25
	s_cbranch_execz .LBB729_58
; %bb.57:
	s_waitcnt vmcnt(0)
	v_lshlrev_b32_e32 v10, 1, v26
	v_lshl_or_b32 v26, v44, 9, v10
	s_and_b32 s5, s5, 0xffff
	s_mov_b32 s7, 0x20000
	s_movk_i32 s6, 0x4000
	s_movk_i32 s0, 0x80
	buffer_load_dwordx4 v[10:13], v26, s[4:7], 0 offen
	buffer_load_dwordx4 v[14:17], v26, s[4:7], 0 offen offset:256
	buffer_load_dwordx4 v[18:21], v26, s[4:7], s0 offen
	buffer_load_dwordx4 v[22:25], v26, s[4:7], s0 offen offset:256
.LBB729_58:
	v_and_b32_e32 v47, 12, v27
	ds_read2st64_b64 v[30:33], v45 offset0:76 offset1:77
	ds_read2st64_b64 v[26:29], v45 offset0:78 offset1:79
	ds_read_b64 v[40:41], v34 offset:24576
	ds_read_b64 v[38:39], v35 offset:24576
	;; [unrolled: 1-line block ×4, first 2 shown]
	v_and_b32_e32 v46, 6, v0
	v_xor_b32_e32 v44, v44, v46
	v_lshlrev_b32_e32 v44, 2, v44
	v_and_b32_e32 v48, 1, v0
	v_xor_b32_e32 v49, 0x440, v44
	v_cmp_eq_u32_e32 vcc, 0, v48
	s_mov_b32 s0, 0x1000504
	s_waitcnt vmcnt(0)
	v_perm_b32 v48, v18, v22, s0
	v_cndmask_b32_e32 v44, v49, v44, vcc
	v_lshl_or_b32 v44, v46, 10, v44
	v_perm_b32 v46, v10, v14, s0
	ds_write2st64_b32 v44, v46, v48 offset1:32
	v_xor_b32_e32 v46, 8, v44
	s_mov_b32 s1, 0x3020706
	v_perm_b32 v10, v10, v14, s1
	v_perm_b32 v14, v18, v22, s1
	v_add_u32_e32 v18, 0x80, v46
	ds_write2st64_b32 v18, v10, v14 offset1:32
	v_xor_b32_e32 v10, 16, v44
	v_perm_b32 v14, v11, v15, s0
	v_perm_b32 v18, v19, v23, s0
	ds_write2st64_b32 v10, v14, v18 offset0:1 offset1:33
	v_xor_b32_e32 v10, 24, v44
	v_perm_b32 v11, v11, v15, s1
	v_perm_b32 v14, v19, v23, s1
	v_add_u32_e32 v10, 0x80, v10
	ds_write2st64_b32 v10, v11, v14 offset0:1 offset1:33
	v_xor_b32_e32 v10, 32, v44
	v_perm_b32 v11, v12, v16, s0
	v_perm_b32 v14, v20, v24, s0
	ds_write2st64_b32 v10, v11, v14 offset0:2 offset1:34
	v_xor_b32_e32 v10, 40, v44
	v_perm_b32 v11, v12, v16, s1
	v_perm_b32 v12, v20, v24, s1
	v_add_u32_e32 v10, 0x80, v10
	ds_write2st64_b32 v10, v11, v12 offset0:2 offset1:34
	v_xor_b32_e32 v10, 48, v44
	v_perm_b32 v11, v13, v17, s0
	v_perm_b32 v12, v21, v25, s0
	ds_write2st64_b32 v10, v11, v12 offset0:3 offset1:35
	v_xor_b32_e32 v10, 56, v44
	v_or_b32_e32 v18, v47, v53
	v_perm_b32 v11, v13, v17, s1
	v_perm_b32 v12, v21, v25, s1
	v_add_u32_e32 v10, 0x80, v10
	v_cmp_gt_i32_e32 vcc, s48, v18
	v_mov_b32_e32 v20, 0
	v_mov_b32_e32 v24, 0
	ds_write2st64_b32 v10, v11, v12 offset0:3 offset1:35
	s_and_saveexec_b64 s[0:1], vcc
	s_cbranch_execz .LBB729_60
; %bb.59:
	v_add_u32_e32 v10, s45, v18
	v_ashrrev_i32_e32 v11, 31, v10
	v_mul_lo_u32 v12, v11, s36
	v_mul_lo_u32 v13, v10, s37
	v_mad_u64_u32 v[10:11], s[2:3], v10, s36, 0
	v_add3_u32 v11, v11, v13, v12
	v_lshl_add_u64 v[10:11], v[10:11], 2, s[12:13]
	global_load_dword v10, v[10:11], off
	s_waitcnt vmcnt(0)
	v_sub_f32_e32 v10, s16, v10
	v_mul_f32_e32 v10, 0x3fb8aa3b, v10
	v_exp_f32_e32 v24, v10
.LBB729_60:
	s_or_b64 exec, exec, s[0:1]
	v_or_b32_e32 v23, 1, v18
	v_cmp_gt_i32_e64 s[4:5], s48, v23
	s_and_saveexec_b64 s[0:1], s[4:5]
	s_cbranch_execz .LBB729_62
; %bb.61:
	v_add_u32_e32 v10, s45, v23
	v_ashrrev_i32_e32 v11, 31, v10
	v_mul_lo_u32 v12, v11, s36
	v_mul_lo_u32 v13, v10, s37
	v_mad_u64_u32 v[10:11], s[2:3], v10, s36, 0
	v_add3_u32 v11, v11, v13, v12
	v_lshl_add_u64 v[10:11], v[10:11], 2, s[12:13]
	global_load_dword v10, v[10:11], off
	s_waitcnt vmcnt(0)
	v_sub_f32_e32 v10, s16, v10
	v_mul_f32_e32 v10, 0x3fb8aa3b, v10
	v_exp_f32_e32 v20, v10
.LBB729_62:
	s_or_b64 exec, exec, s[0:1]
	v_or_b32_e32 v21, 2, v18
	v_cmp_gt_i32_e64 s[0:1], s48, v21
	v_mov_b32_e32 v19, 0
	v_mov_b32_e32 v25, 0
	s_and_saveexec_b64 s[2:3], s[0:1]
	s_cbranch_execz .LBB729_64
; %bb.63:
	v_add_u32_e32 v10, s45, v21
	v_ashrrev_i32_e32 v11, 31, v10
	v_mul_lo_u32 v12, v11, s36
	v_mul_lo_u32 v13, v10, s37
	v_mad_u64_u32 v[10:11], s[6:7], v10, s36, 0
	v_add3_u32 v11, v11, v13, v12
	v_lshl_add_u64 v[10:11], v[10:11], 2, s[12:13]
	global_load_dword v10, v[10:11], off
	s_waitcnt vmcnt(0)
	v_sub_f32_e32 v10, s16, v10
	v_mul_f32_e32 v10, 0x3fb8aa3b, v10
	v_exp_f32_e32 v25, v10
.LBB729_64:
	s_or_b64 exec, exec, s[2:3]
	v_or_b32_e32 v22, 3, v18
	v_cmp_gt_i32_e64 s[2:3], s48, v22
	s_and_saveexec_b64 s[6:7], s[2:3]
	s_cbranch_execz .LBB729_66
; %bb.65:
	v_add_u32_e32 v10, s45, v22
	v_ashrrev_i32_e32 v11, 31, v10
	v_mul_lo_u32 v12, v11, s36
	v_mul_lo_u32 v13, v10, s37
	v_mad_u64_u32 v[10:11], s[18:19], v10, s36, 0
	v_add3_u32 v11, v11, v13, v12
	v_lshl_add_u64 v[10:11], v[10:11], 2, s[12:13]
	global_load_dword v10, v[10:11], off
	s_waitcnt vmcnt(0)
	v_sub_f32_e32 v10, s16, v10
	v_mul_f32_e32 v10, 0x3fb8aa3b, v10
	v_exp_f32_e32 v19, v10
.LBB729_66:
	s_or_b64 exec, exec, s[6:7]
	s_waitcnt lgkmcnt(11)
	v_mfma_f32_16x16x16_bf16 a[0:3], v[40:41], v[30:31], a[0:3]
	s_add_u32 s6, s20, s28
	v_ashrrev_i32_e32 v59, 31, v58
	s_addc_u32 s7, s21, s29
	s_waitcnt lgkmcnt(10)
	v_mfma_f32_16x16x16_bf16 a[0:3], v[38:39], v[32:33], a[0:3]
	v_lshlrev_b64 v[10:11], 1, v[58:59]
	v_lshl_add_u64 v[14:15], s[6:7], 0, v[10:11]
	s_add_u32 s6, s14, s28
	s_waitcnt lgkmcnt(9)
	v_mfma_f32_16x16x16_bf16 a[0:3], v[36:37], v[26:27], a[0:3]
	s_addc_u32 s7, s15, s29
	v_lshl_add_u64 v[16:17], s[6:7], 0, v[10:11]
	v_mov_b32_e32 v26, 0
	s_waitcnt lgkmcnt(8)
	v_mfma_f32_16x16x16_bf16 a[0:3], v[34:35], v[28:29], a[0:3]
	v_mov_b32_e32 v27, 0
	s_nop 5
	v_accvgpr_read_b32 v13, a3
	v_accvgpr_read_b32 v12, a2
	;; [unrolled: 1-line block ×4, first 2 shown]
	s_and_saveexec_b64 s[6:7], vcc
	s_cbranch_execz .LBB729_68
; %bb.67:
	v_lshlrev_b32_e32 v28, 8, v18
	v_mov_b32_e32 v29, 0
	v_lshl_add_u64 v[30:31], v[14:15], 0, v[28:29]
	global_load_ushort v27, v[30:31], off
	v_lshl_add_u64 v[28:29], v[16:17], 0, v[28:29]
	s_waitcnt vmcnt(0)
	v_lshlrev_b32_e32 v27, 16, v27
	v_sub_f32_e32 v10, v27, v10
	global_store_short_d16_hi v[28:29], v10, off
	v_mul_f32_e32 v10, v24, v10
	v_lshrrev_b32_e32 v27, 16, v10
.LBB729_68:
	s_or_b64 exec, exec, s[6:7]
	s_and_saveexec_b64 s[6:7], s[4:5]
	s_cbranch_execz .LBB729_70
; %bb.69:
	v_lshlrev_b32_e32 v28, 8, v23
	v_mov_b32_e32 v29, 0
	v_lshl_add_u64 v[30:31], v[14:15], 0, v[28:29]
	global_load_ushort v10, v[30:31], off
	v_lshl_add_u64 v[28:29], v[16:17], 0, v[28:29]
	s_waitcnt vmcnt(0)
	v_lshlrev_b32_e32 v10, 16, v10
	v_sub_f32_e32 v10, v10, v11
	global_store_short_d16_hi v[28:29], v10, off
	v_mul_f32_e32 v10, v20, v10
	v_lshrrev_b32_e32 v26, 16, v10
.LBB729_70:
	s_or_b64 exec, exec, s[6:7]
	v_mov_b32_e32 v11, 0
	v_mov_b32_e32 v20, 0
	s_and_saveexec_b64 s[4:5], s[0:1]
	s_cbranch_execz .LBB729_72
; %bb.71:
	v_lshlrev_b32_e32 v20, 8, v21
	v_mov_b32_e32 v21, 0
	v_lshl_add_u64 v[28:29], v[14:15], 0, v[20:21]
	global_load_ushort v10, v[28:29], off
	v_lshl_add_u64 v[20:21], v[16:17], 0, v[20:21]
	s_waitcnt vmcnt(0)
	v_lshlrev_b32_e32 v10, 16, v10
	v_sub_f32_e32 v10, v10, v12
	global_store_short_d16_hi v[20:21], v10, off
	v_mul_f32_e32 v10, v25, v10
	v_lshrrev_b32_e32 v20, 16, v10
.LBB729_72:
	s_or_b64 exec, exec, s[4:5]
	v_or_b32_e32 v10, 0x9800, v45
	s_and_saveexec_b64 s[0:1], s[2:3]
	s_cbranch_execz .LBB729_74
; %bb.73:
	v_lshlrev_b32_e32 v22, 8, v22
	v_mov_b32_e32 v23, 0
	v_lshl_add_u64 v[14:15], v[14:15], 0, v[22:23]
	global_load_ushort v11, v[14:15], off
	v_lshl_add_u64 v[14:15], v[16:17], 0, v[22:23]
	s_waitcnt vmcnt(0)
	v_lshlrev_b32_e32 v11, 16, v11
	v_sub_f32_e32 v11, v11, v13
	global_store_short_d16_hi v[14:15], v11, off
	v_mul_f32_e32 v11, v19, v11
	v_lshrrev_b32_e32 v11, 16, v11
.LBB729_74:
	s_or_b64 exec, exec, s[0:1]
	s_mov_b32 s0, 0x5040100
	v_perm_b32 v13, v11, v20, s0
	v_lshlrev_b32_e32 v11, 1, v42
	v_perm_b32 v12, v26, v27, s0
	v_lshl_or_b32 v11, v18, 5, v11
	s_movk_i32 s2, 0xff
	ds_write_b64 v11, v[12:13] offset:38912
	v_and_b32_e32 v11, 7, v0
	v_cmp_lt_u32_e32 vcc, s2, v0
	v_and_b32_e32 v12, 8, v0
	v_lshlrev_b32_e32 v20, 3, v11
	v_lshlrev_b32_e32 v32, 7, v11
	v_cndmask_b32_e64 v11, 0, 1, vcc
	v_lshrrev_b32_e32 v0, 1, v0
	v_lshlrev_b32_e32 v22, 13, v11
	v_lshlrev_b32_e32 v11, 3, v1
	v_and_b32_e32 v0, 24, v0
	v_xor_b32_e32 v13, v11, v0
	v_or_b32_e32 v14, 0x440, v13
	v_cmp_eq_u32_e32 vcc, 0, v12
	s_add_i32 s0, s17, s51
	s_mul_hi_i32 s1, s0, s25
	v_cndmask_b32_e32 v12, v14, v13, vcc
	v_or_b32_e32 v12, v12, v43
	v_xor_b32_e32 v33, v12, v20
	v_or_b32_e32 v12, 32, v0
	v_xor_b32_e32 v12, v11, v12
	v_or_b32_e32 v13, 0x440, v12
	v_cndmask_b32_e32 v12, v13, v12, vcc
	v_or_b32_e32 v12, v12, v43
	v_xor_b32_e32 v34, v12, v20
	v_or_b32_e32 v12, 64, v0
	v_xor_b32_e32 v12, v11, v12
	v_xor_b32_e32 v13, 0x440, v12
	s_mul_i32 s0, s0, s25
	v_cndmask_b32_e32 v12, v13, v12, vcc
	v_or_b32_e32 v0, 0x60, v0
	s_add_u32 s0, s0, s33
	v_add3_u32 v23, v22, v33, v32
	v_or_b32_e32 v12, v12, v43
	v_xor_b32_e32 v0, v11, v0
	s_waitcnt lgkmcnt(0)
	s_barrier
	s_addc_u32 s1, s1, s50
	v_lshlrev_b32_e32 v21, 2, v18
	v_xor_b32_e32 v35, v12, v20
	ds_read2st64_b64 v[12:15], v10 offset1:1
	ds_read2st64_b64 v[16:19], v10 offset0:2 offset1:3
	ds_read_b64 v[10:11], v23
	v_xor_b32_e32 v23, 0x440, v0
	s_lshl_b64 s[0:1], s[0:1], 9
	v_cndmask_b32_e32 v0, v23, v0, vcc
	s_add_u32 s0, s8, s0
	v_or_b32_e32 v0, v0, v43
	s_addc_u32 s1, s9, s1
	v_add3_u32 v24, v22, v34, v32
	v_xor_b32_e32 v36, v0, v20
	v_add3_u32 v26, v22, v35, v32
	v_add3_u32 v0, v22, v36, v32
	ds_read_b64 v[24:25], v24
	ds_read_b64 v[28:29], v26
	;; [unrolled: 1-line block ×3, first 2 shown]
	global_load_dwordx4 v[20:23], v21, s[0:1]
	s_waitcnt lgkmcnt(3)
	v_mfma_f32_16x16x16_bf16 a[0:3], v[10:11], v[12:13], 0
	v_lshlrev_b32_e32 v0, 6, v1
	v_lshlrev_b32_e32 v1, 2, v47
	s_movk_i32 s2, 0x100
	v_or3_b32 v0, v0, v1, s2
	s_waitcnt lgkmcnt(2)
	v_mfma_f32_16x16x16_bf16 a[0:3], v[24:25], v[14:15], a[0:3]
	global_load_dwordx4 v[24:27], v0, s[0:1]
	v_mov_b32_e32 v0, 0x3fb8aa3b
	v_mul_f32_e32 v0, s16, v0
	s_waitcnt lgkmcnt(1)
	v_mfma_f32_16x16x16_bf16 a[0:3], v[28:29], v[16:17], a[0:3]
	v_exp_f32_e32 v0, v0
	v_add_u32_e32 v1, v33, v32
	v_add_u32_e32 v33, v34, v32
	s_waitcnt lgkmcnt(0)
	v_mfma_f32_16x16x16_bf16 a[0:3], v[30:31], v[18:19], a[0:3]
	ds_read_b64 v[30:31], v1 offset:8192
	s_waitcnt vmcnt(1)
	v_mul_f32_e32 v20, 0x3fb8aa3b, v20
	v_mul_f32_e32 v21, 0x3fb8aa3b, v21
	v_exp_f32_e32 v20, v20
	v_exp_f32_e32 v21, v21
	s_nop 0
	v_accvgpr_read_b32 v29, a1
	v_accvgpr_read_b32 v28, a0
	v_mul_f32_e32 v22, 0x3fb8aa3b, v22
	v_pk_mul_f32 v[20:21], v[0:1], v[20:21] op_sel_hi:[0,1]
	v_pk_fma_f32 v[6:7], v[6:7], v[20:21], v[28:29]
	ds_read_b64 v[20:21], v33 offset:8192
	v_mul_f32_e32 v23, 0x3fb8aa3b, v23
	v_exp_f32_e32 v22, v22
	v_exp_f32_e32 v23, v23
	v_accvgpr_read_b32 v11, a3
	v_accvgpr_read_b32 v10, a2
	s_waitcnt lgkmcnt(1)
	v_mfma_f32_16x16x16_bf16 a[0:3], v[30:31], v[12:13], 0
	v_pk_mul_f32 v[22:23], v[0:1], v[22:23] op_sel_hi:[0,1]
	v_add_u32_e32 v1, v35, v32
	v_pk_fma_f32 v[8:9], v[8:9], v[22:23], v[10:11]
	v_add_u32_e32 v10, v36, v32
	ds_read_b64 v[22:23], v1 offset:8192
	ds_read_b64 v[28:29], v10 offset:8192
	s_waitcnt lgkmcnt(2)
	v_mfma_f32_16x16x16_bf16 a[0:3], v[20:21], v[14:15], a[0:3]
	s_waitcnt vmcnt(0)
	v_mov_b32_e32 v10, v25
	v_mul_f32_e32 v1, 0x3fb8aa3b, v24
	v_mov_b32_e32 v11, v26
	s_waitcnt lgkmcnt(1)
	v_mfma_f32_16x16x16_bf16 a[0:3], v[22:23], v[16:17], a[0:3]
	v_exp_f32_e32 v24, v1
	v_mul_f32_e32 v1, 0x3fb8aa3b, v10
	v_mov_b32_e32 v12, v27
	v_exp_f32_e32 v25, v1
	v_mul_f32_e32 v1, 0x3fb8aa3b, v11
	v_exp_f32_e32 v10, v1
	v_mul_f32_e32 v1, 0x3fb8aa3b, v12
	s_waitcnt lgkmcnt(0)
	v_mfma_f32_16x16x16_bf16 a[0:3], v[28:29], v[18:19], a[0:3]
	v_exp_f32_e32 v11, v1
	v_pk_mul_f32 v[14:15], v[0:1], v[24:25] op_sel_hi:[0,1]
	v_pk_mul_f32 v[0:1], v[0:1], v[10:11] op_sel_hi:[0,1]
	s_nop 3
	v_accvgpr_read_b32 v17, a1
	v_accvgpr_read_b32 v13, a3
	;; [unrolled: 1-line block ×4, first 2 shown]
	v_pk_fma_f32 v[2:3], v[2:3], v[14:15], v[16:17]
	v_pk_fma_f32 v[4:5], v[4:5], v[0:1], v[12:13]
.LBB729_75:
	s_add_u32 s0, s10, s34
	s_addc_u32 s1, s11, s35
	v_lshl_add_u64 v[0:1], v[54:55], 2, s[0:1]
	v_mov_b32_e32 v57, 0
	v_lshl_add_u64 v[0:1], v[0:1], 0, v[56:57]
	s_waitcnt vmcnt(1)
	global_store_dwordx4 v[0:1], v[6:9], off
	s_waitcnt vmcnt(1)
	global_store_dwordx4 v[0:1], v[2:5], off offset:256
	s_endpgm
	.section	.rodata,"a",@progbits
	.p2align	6, 0x0
	.amdhsa_kernel _ZN12_GLOBAL__N_139chunk_gated_delta_rule_fwd_h_hip_kernelILi16ELb1ELb1ELb1ELb0ELb0ELb1ELb0ELb0EEEvPK12hip_bfloat16S3_S3_PKfS5_PKvPS1_S8_PvPKiSB_iiiiilll
		.amdhsa_group_segment_fixed_size 40960
		.amdhsa_private_segment_fixed_size 0
		.amdhsa_kernarg_size 136
		.amdhsa_user_sgpr_count 2
		.amdhsa_user_sgpr_dispatch_ptr 0
		.amdhsa_user_sgpr_queue_ptr 0
		.amdhsa_user_sgpr_kernarg_segment_ptr 1
		.amdhsa_user_sgpr_dispatch_id 0
		.amdhsa_user_sgpr_kernarg_preload_length 0
		.amdhsa_user_sgpr_kernarg_preload_offset 0
		.amdhsa_user_sgpr_private_segment_size 0
		.amdhsa_uses_dynamic_stack 0
		.amdhsa_enable_private_segment 0
		.amdhsa_system_sgpr_workgroup_id_x 1
		.amdhsa_system_sgpr_workgroup_id_y 1
		.amdhsa_system_sgpr_workgroup_id_z 0
		.amdhsa_system_sgpr_workgroup_info 0
		.amdhsa_system_vgpr_workitem_id 0
		.amdhsa_next_free_vgpr 132
		.amdhsa_next_free_sgpr 76
		.amdhsa_accum_offset 120
		.amdhsa_reserve_vcc 1
		.amdhsa_float_round_mode_32 0
		.amdhsa_float_round_mode_16_64 0
		.amdhsa_float_denorm_mode_32 3
		.amdhsa_float_denorm_mode_16_64 3
		.amdhsa_dx10_clamp 1
		.amdhsa_ieee_mode 1
		.amdhsa_fp16_overflow 0
		.amdhsa_tg_split 0
		.amdhsa_exception_fp_ieee_invalid_op 0
		.amdhsa_exception_fp_denorm_src 0
		.amdhsa_exception_fp_ieee_div_zero 0
		.amdhsa_exception_fp_ieee_overflow 0
		.amdhsa_exception_fp_ieee_underflow 0
		.amdhsa_exception_fp_ieee_inexact 0
		.amdhsa_exception_int_div_zero 0
	.end_amdhsa_kernel
	.section	.text._ZN12_GLOBAL__N_139chunk_gated_delta_rule_fwd_h_hip_kernelILi16ELb1ELb1ELb1ELb0ELb0ELb1ELb0ELb0EEEvPK12hip_bfloat16S3_S3_PKfS5_PKvPS1_S8_PvPKiSB_iiiiilll,"axG",@progbits,_ZN12_GLOBAL__N_139chunk_gated_delta_rule_fwd_h_hip_kernelILi16ELb1ELb1ELb1ELb0ELb0ELb1ELb0ELb0EEEvPK12hip_bfloat16S3_S3_PKfS5_PKvPS1_S8_PvPKiSB_iiiiilll,comdat
.Lfunc_end729:
	.size	_ZN12_GLOBAL__N_139chunk_gated_delta_rule_fwd_h_hip_kernelILi16ELb1ELb1ELb1ELb0ELb0ELb1ELb0ELb0EEEvPK12hip_bfloat16S3_S3_PKfS5_PKvPS1_S8_PvPKiSB_iiiiilll, .Lfunc_end729-_ZN12_GLOBAL__N_139chunk_gated_delta_rule_fwd_h_hip_kernelILi16ELb1ELb1ELb1ELb0ELb0ELb1ELb0ELb0EEEvPK12hip_bfloat16S3_S3_PKfS5_PKvPS1_S8_PvPKiSB_iiiiilll
                                        ; -- End function
	.section	.AMDGPU.csdata,"",@progbits
; Kernel info:
; codeLenInByte = 8352
; NumSgprs: 82
; NumVgprs: 118
; NumAgprs: 12
; TotalNumVgprs: 132
; ScratchSize: 0
; MemoryBound: 0
; FloatMode: 240
; IeeeMode: 1
; LDSByteSize: 40960 bytes/workgroup (compile time only)
; SGPRBlocks: 10
; VGPRBlocks: 16
; NumSGPRsForWavesPerEU: 82
; NumVGPRsForWavesPerEU: 132
; AccumOffset: 120
; Occupancy: 1
; WaveLimiterHint : 1
; COMPUTE_PGM_RSRC2:SCRATCH_EN: 0
; COMPUTE_PGM_RSRC2:USER_SGPR: 2
; COMPUTE_PGM_RSRC2:TRAP_HANDLER: 0
; COMPUTE_PGM_RSRC2:TGID_X_EN: 1
; COMPUTE_PGM_RSRC2:TGID_Y_EN: 1
; COMPUTE_PGM_RSRC2:TGID_Z_EN: 0
; COMPUTE_PGM_RSRC2:TIDIG_COMP_CNT: 0
; COMPUTE_PGM_RSRC3_GFX90A:ACCUM_OFFSET: 29
; COMPUTE_PGM_RSRC3_GFX90A:TG_SPLIT: 0
	.section	.text._ZN12_GLOBAL__N_139chunk_gated_delta_rule_fwd_h_hip_kernelILi16ELb1ELb1ELb0ELb0ELb0ELb1ELb0ELb0EEEvPK12hip_bfloat16S3_S3_PKfS5_PKvPS1_S8_PvPKiSB_iiiiilll,"axG",@progbits,_ZN12_GLOBAL__N_139chunk_gated_delta_rule_fwd_h_hip_kernelILi16ELb1ELb1ELb0ELb0ELb0ELb1ELb0ELb0EEEvPK12hip_bfloat16S3_S3_PKfS5_PKvPS1_S8_PvPKiSB_iiiiilll,comdat
	.globl	_ZN12_GLOBAL__N_139chunk_gated_delta_rule_fwd_h_hip_kernelILi16ELb1ELb1ELb0ELb0ELb0ELb1ELb0ELb0EEEvPK12hip_bfloat16S3_S3_PKfS5_PKvPS1_S8_PvPKiSB_iiiiilll ; -- Begin function _ZN12_GLOBAL__N_139chunk_gated_delta_rule_fwd_h_hip_kernelILi16ELb1ELb1ELb0ELb0ELb0ELb1ELb0ELb0EEEvPK12hip_bfloat16S3_S3_PKfS5_PKvPS1_S8_PvPKiSB_iiiiilll
	.p2align	8
	.type	_ZN12_GLOBAL__N_139chunk_gated_delta_rule_fwd_h_hip_kernelILi16ELb1ELb1ELb0ELb0ELb0ELb1ELb0ELb0EEEvPK12hip_bfloat16S3_S3_PKfS5_PKvPS1_S8_PvPKiSB_iiiiilll,@function
_ZN12_GLOBAL__N_139chunk_gated_delta_rule_fwd_h_hip_kernelILi16ELb1ELb1ELb0ELb0ELb0ELb1ELb0ELb0EEEvPK12hip_bfloat16S3_S3_PKfS5_PKvPS1_S8_PvPKiSB_iiiiilll: ; @_ZN12_GLOBAL__N_139chunk_gated_delta_rule_fwd_h_hip_kernelILi16ELb1ELb1ELb0ELb0ELb0ELb1ELb0ELb0EEEvPK12hip_bfloat16S3_S3_PKfS5_PKvPS1_S8_PvPKiSB_iiiiilll
; %bb.0:
	s_load_dwordx4 s[12:15], s[0:1], 0x5c
	s_abs_i32 s6, s3
	s_ashr_i32 s5, s3, 31
	s_load_dwordx4 s[16:19], s[0:1], 0x20
	s_load_dwordx2 s[38:39], s[0:1], 0x30
	v_and_b32_e32 v65, 15, v0
	s_waitcnt lgkmcnt(0)
	s_abs_i32 s4, s13
	v_cvt_f32_u32_e32 v1, s4
	s_sub_i32 s8, 0, s4
	s_ashr_i32 s7, s13, 31
	s_xor_b32 s5, s5, s7
	v_rcp_iflag_f32_e32 v1, v1
	v_bfe_u32 v64, v0, 4, 2
	v_mov_b32_e32 v57, 0
	v_lshlrev_b32_e32 v66, 3, v0
	v_mul_f32_e32 v1, 0x4f7ffffe, v1
	v_cvt_u32_f32_e32 v1, v1
	s_nop 0
	v_readfirstlane_b32 s9, v1
	s_mul_i32 s8, s8, s9
	s_mul_hi_u32 s8, s9, s8
	s_add_i32 s9, s9, s8
	s_mul_hi_u32 s8, s6, s9
	s_mul_i32 s9, s8, s4
	s_sub_i32 s6, s6, s9
	s_add_i32 s10, s8, 1
	s_sub_i32 s9, s6, s4
	s_cmp_ge_u32 s6, s4
	s_cselect_b32 s8, s10, s8
	s_cselect_b32 s6, s9, s6
	s_add_i32 s9, s8, 1
	s_cmp_ge_u32 s6, s4
	s_cselect_b32 s6, s9, s8
	s_xor_b32 s6, s6, s5
	s_sub_i32 s56, s6, s5
	s_mul_i32 s6, s56, s13
	s_sub_i32 s33, s3, s6
	s_abs_i32 s3, s14
	v_cvt_f32_u32_e32 v1, s3
	s_add_i32 s8, s12, 63
	s_ashr_i32 s9, s8, 31
	s_lshr_b32 s5, s9, 26
	v_rcp_iflag_f32_e32 v1, v1
	s_ashr_i32 s55, s12, 31
	s_add_i32 s8, s8, s5
	s_lshr_b32 s5, s55, 26
	v_mul_f32_e32 v1, 0x4f7ffffe, v1
	v_cvt_u32_f32_e32 v1, v1
	s_add_i32 s5, s12, s5
	s_ashr_i32 s58, s14, 31
	s_ashr_i32 s24, s8, 6
	;; [unrolled: 1-line block ×3, first 2 shown]
	s_xor_b32 s5, s7, s58
	s_sub_i32 s7, 0, s3
	v_readfirstlane_b32 s8, v1
	s_mul_i32 s7, s7, s8
	s_mul_hi_u32 s7, s8, s7
	s_add_i32 s8, s8, s7
	s_mul_hi_u32 s7, s4, s8
	s_mul_i32 s8, s7, s3
	s_sub_i32 s4, s4, s8
	s_lshl_b32 s2, s2, 4
	s_add_i32 s8, s7, 1
	s_sub_i32 s9, s4, s3
	s_cmp_ge_u32 s4, s3
	s_cselect_b32 s7, s8, s7
	s_cselect_b32 s4, s9, s4
	s_add_i32 s8, s7, 1
	s_cmp_ge_u32 s4, s3
	s_cselect_b32 s3, s8, s7
	s_xor_b32 s3, s3, s5
	s_sub_i32 s3, s3, s5
	s_abs_i32 s4, s3
	v_cvt_f32_u32_e32 v1, s4
	s_sub_i32 s7, 0, s4
	s_abs_i32 s5, s33
	s_xor_b32 s3, s33, s3
	v_rcp_iflag_f32_e32 v2, v1
	s_ashr_i32 s3, s3, 31
	v_lshrrev_b32_e32 v1, 6, v0
	v_or_b32_e32 v58, s2, v65
	v_mul_f32_e32 v2, 0x4f7ffffe, v2
	v_cvt_u32_f32_e32 v2, v2
	v_lshlrev_b32_e32 v53, 4, v1
	v_lshlrev_b32_e32 v54, 7, v58
	v_lshl_or_b32 v68, v64, 2, v53
	v_readfirstlane_b32 s8, v2
	s_mul_i32 s7, s7, s8
	s_mul_hi_u32 s7, s8, s7
	s_add_i32 s8, s8, s7
	s_mul_hi_u32 s7, s5, s8
	s_mul_i32 s8, s7, s4
	s_sub_i32 s5, s5, s8
	s_add_i32 s8, s7, 1
	s_sub_i32 s9, s5, s4
	s_cmp_ge_u32 s5, s4
	s_cselect_b32 s7, s8, s7
	s_cselect_b32 s5, s9, s5
	s_add_i32 s8, s7, 1
	s_cmp_ge_u32 s5, s4
	s_cselect_b32 s4, s8, s7
	s_xor_b32 s4, s4, s3
	s_sub_i32 s59, s4, s3
	s_ashr_i32 s3, s56, 31
	s_ashr_i32 s48, s33, 31
	s_mul_hi_i32 s4, s56, s13
	s_add_u32 s40, s6, s33
	s_addc_u32 s41, s4, s48
	s_lshl_b64 s[28:29], s[40:41], 16
	s_add_u32 s4, s18, s28
	s_addc_u32 s5, s19, s29
	v_ashrrev_i32_e32 v55, 31, v54
	v_lshl_add_u64 v[2:3], v[54:55], 2, s[4:5]
	v_lshlrev_b32_e32 v56, 2, v68
	v_lshl_add_u64 v[10:11], v[2:3], 0, v[56:57]
	global_load_dwordx4 v[6:9], v[10:11], off
	global_load_dwordx4 v[2:5], v[10:11], off offset:256
	s_load_dwordx2 s[18:19], s[0:1], 0x40
	s_load_dwordx8 s[4:11], s[0:1], 0x0
	s_load_dwordx2 s[30:31], s[0:1], 0x80
	s_load_dwordx4 s[20:23], s[0:1], 0x70
	v_and_b32_e32 v57, 63, v0
	s_mul_i32 s49, s56, s12
	s_mul_i32 s60, s56, s24
	v_or_b32_e32 v69, 64, v68
	s_cmp_lt_i32 s12, 64
	v_lshrrev_b32_e32 v67, 3, v57
	s_mul_i32 s61, s41, s12
	s_mul_hi_u32 s62, s40, s12
	s_mul_i32 s42, s40, s12
	s_waitcnt lgkmcnt(0)
	s_mul_i32 s41, s56, s21
	s_mul_hi_u32 s51, s56, s20
	s_mul_i32 s52, s3, s20
	s_mul_i32 s36, s56, s20
	;; [unrolled: 1-line block ×3, first 2 shown]
	s_mul_hi_u32 s53, s33, s22
	s_mul_i32 s54, s48, s22
	s_mul_i32 s34, s33, s22
	s_cbranch_scc1 .LBB730_18
; %bb.1:
	s_add_i32 s43, s62, s61
	s_lshl_b64 s[0:1], s[42:43], 8
	v_and_b32_e32 v71, 56, v66
	s_add_u32 s20, s6, s0
	v_lshl_or_b32 v70, v1, 3, v67
	v_lshlrev_b32_e32 v10, 1, v71
	s_addc_u32 s0, s7, s1
	v_lshl_or_b32 v72, v70, 8, v10
	s_and_b32 s21, s0, 0xffff
	s_mov_b32 s23, 0x20000
	s_movk_i32 s22, 0x4000
	s_movk_i32 s0, 0x80
	v_or_b32_e32 v73, 0x2000, v72
	buffer_load_dwordx4 v[12:15], v72, s[20:23], 0 offen
	buffer_load_dwordx4 v[16:19], v72, s[20:23], s0 offen
	;; [unrolled: 1-line block ×4, first 2 shown]
	v_lshlrev_b32_e32 v11, 3, v70
	v_and_or_b32 v29, v0, 7, v11
	v_and_b32_e32 v11, 0x78, v11
	v_lshlrev_b32_e32 v29, 4, v29
	v_xor_b32_e32 v74, v29, v11
	v_mul_lo_u32 v28, v70, s15
	v_or_b32_e32 v75, 0x1000, v74
	v_xor_b32_e32 v11, 8, v74
	s_cmpk_eq_i32 s15, 0x80
	s_mov_b32 s63, s14
	v_xor_b32_e32 v29, 8, v75
	s_cselect_b64 s[0:1], -1, 0
	s_cmpk_lg_i32 s15, 0x80
	s_waitcnt vmcnt(3)
	ds_write_b64 v74, v[12:13] offset:16384
	ds_write_b64 v11, v[14:15] offset:16384
	s_waitcnt vmcnt(2)
	ds_write_b64 v74, v[16:17] offset:24576
	ds_write_b64 v11, v[18:19] offset:24576
	;; [unrolled: 3-line block ×4, first 2 shown]
	v_lshl_add_u32 v11, v28, 1, v71
	s_cbranch_scc0 .LBB730_3
; %bb.2:
	v_lshlrev_b32_e32 v13, 1, v11
	v_add_lshl_u32 v12, v11, s15, 1
	s_lshl_b32 s22, s15, 7
	v_lshl_or_b32 v10, v70, 9, v10
	s_cbranch_execz .LBB730_4
	s_branch .LBB730_5
.LBB730_3:
                                        ; implicit-def: $vgpr12
                                        ; implicit-def: $vgpr13
                                        ; implicit-def: $sgpr22
	v_lshl_or_b32 v10, v70, 9, v10
.LBB730_4:
	v_or_b32_e32 v12, 0x100, v10
	s_movk_i32 s22, 0x4000
	v_mov_b32_e32 v13, v10
.LBB730_5:
	s_mul_hi_u32 s20, s14, s12
	s_mul_i32 s21, s58, s12
	s_add_i32 s20, s20, s21
	s_mul_i32 s21, s14, s12
	s_mul_i32 s23, s21, s3
	s_mul_hi_u32 s24, s21, s56
	s_add_i32 s23, s24, s23
	s_mul_i32 s20, s20, s56
	s_add_i32 s23, s23, s20
	s_mul_i32 s21, s21, s56
	s_ashr_i32 s64, s59, 31
	s_add_u32 s20, s21, s59
	s_addc_u32 s21, s23, s64
	s_lshl_b64 s[20:21], s[20:21], 8
	s_add_u32 s20, s4, s20
	s_addc_u32 s21, s5, s21
	s_and_b32 s21, s21, 0xffff
	s_mov_b32 s23, 0x20000
	s_movk_i32 s65, 0x80
	buffer_load_dwordx4 v[14:17], v13, s[20:23], 0 offen
	buffer_load_dwordx4 v[18:21], v13, s[20:23], s65 offen
	;; [unrolled: 1-line block ×4, first 2 shown]
	v_and_b32_e32 v12, 6, v0
	v_lshlrev_b32_e32 v30, 2, v65
	v_lshlrev_b32_e32 v31, 3, v65
	v_xor_b32_e32 v33, v70, v12
	v_and_b32_e32 v13, 1, v0
	s_mul_i32 s3, s3, s12
	s_mul_hi_u32 s20, s56, s12
	v_lshl_or_b32 v31, v68, 5, v31
	v_xor_b32_e32 v34, v68, v30
	v_lshlrev_b32_e32 v33, 2, v33
	v_or_b32_e32 v76, 0x9000, v31
	v_or_b32_e32 v77, 0x9800, v31
	v_lshlrev_b32_e32 v31, 1, v34
	v_xor_b32_e32 v34, 0x440, v33
	v_cmp_eq_u32_e32 vcc, 0, v13
	s_add_i32 s69, s20, s3
	s_add_i32 s3, s51, s41
	v_cndmask_b32_e32 v13, v34, v33, vcc
	s_add_i32 s20, s53, s50
	s_add_i32 s37, s3, s52
	s_mov_b32 s67, 0x1000504
	v_lshlrev_b32_e32 v32, 8, v65
	s_mov_b32 s22, 0x8000
	v_xor_b32_e32 v30, v69, v30
	v_lshl_or_b32 v12, v12, 10, v13
	s_add_i32 s35, s20, s54
	s_lshl_b64 s[20:21], s[36:37], 2
	s_mov_b32 s68, 0x3020706
	v_lshlrev_b32_e32 v30, 1, v30
	v_or3_b32 v78, v31, v32, s22
	v_xor_b32_e32 v13, 8, v12
	v_xor_b32_e32 v31, 24, v12
	;; [unrolled: 1-line block ×4, first 2 shown]
	s_add_u32 s3, s10, s20
	v_or3_b32 v79, v30, v32, s22
	v_xor_b32_e32 v30, 16, v12
	v_xor_b32_e32 v32, 32, v12
	;; [unrolled: 1-line block ×3, first 2 shown]
	v_add_u32_e32 v13, 0x80, v13
	v_add_u32_e32 v31, 0x80, v31
	;; [unrolled: 1-line block ×4, first 2 shown]
	s_addc_u32 s24, s11, s21
	s_lshl_b64 s[20:21], s[34:35], 2
	s_add_u32 s44, s3, s20
	s_movk_i32 s3, 0xf8
	s_addc_u32 s45, s24, s21
	v_ashrrev_i32_e32 v59, 31, v58
	s_lshl_b32 s26, s15, 7
	s_mov_b32 s66, 0
	s_mov_b32 s35, 0x7060302
	v_mov_b32_e32 v99, 0x3fb8aa3b
	s_mov_b32 s70, 0
	s_waitcnt vmcnt(1)
	v_perm_b32 v36, v14, v22, s67
	s_waitcnt vmcnt(0)
	v_perm_b32 v37, v18, v26, s67
	v_perm_b32 v14, v14, v22, s68
	;; [unrolled: 1-line block ×15, first 2 shown]
	ds_write2st64_b32 v12, v36, v37 offset1:32
	ds_write2st64_b32 v13, v14, v18 offset1:32
	ds_write2st64_b32 v30, v22, v26 offset0:1 offset1:33
	ds_write2st64_b32 v31, v15, v19 offset0:1 offset1:33
	;; [unrolled: 1-line block ×6, first 2 shown]
	v_or_b32_e32 v12, v53, v65
	v_lshlrev_b32_e32 v12, 3, v12
	v_lshrrev_b32_e32 v14, 5, v57
	v_and_or_b32 v14, v12, s3, v14
	v_lshlrev_b32_e32 v14, 4, v14
	v_lshrrev_b32_e32 v13, 2, v57
	v_lshlrev_b32_e32 v19, 11, v1
	v_and_b32_e32 v12, 0x78, v12
	v_or_b32_e32 v17, 32, v14
	v_and_b32_e32 v18, 12, v13
	v_and_b32_e32 v13, 0x1000, v19
	v_xor_b32_e32 v15, v14, v12
	v_lshrrev_b32_e32 v16, 1, v57
	v_xor_b32_e32 v17, v17, v12
	v_or_b32_e32 v15, v15, v13
	v_and_b32_e32 v16, 8, v16
	v_or_b32_e32 v17, v17, v13
	v_xor_b32_e32 v80, v15, v16
	v_and_b32_e32 v15, 0x78, v66
	v_xor_b32_e32 v82, v17, v16
	v_or_b32_e32 v17, 64, v14
	v_or_b32_e32 v14, 0x60, v14
	v_lshl_or_b32 v15, v64, 7, v15
	v_xor_b32_e32 v17, v17, v12
	v_xor_b32_e32 v12, v14, v12
	v_or_b32_e32 v81, 0x9000, v15
	v_or_b32_e32 v17, v17, v13
	;; [unrolled: 1-line block ×4, first 2 shown]
	v_lshrrev_b32_e32 v14, 4, v0
	v_lshlrev_b32_e32 v15, 1, v65
	v_xor_b32_e32 v83, v17, v16
	v_xor_b32_e32 v84, v12, v16
	s_ashr_i32 s3, s2, 31
	v_or_b32_e32 v16, 1, v15
	v_xor_b32_e32 v15, v14, v15
	s_lshl_b64 s[20:21], s[2:3], 8
	v_xor_b32_e32 v16, v16, v14
	v_lshlrev_b32_e32 v15, 3, v15
	v_lshlrev_b32_e32 v14, 8, v14
	v_lshl_add_u64 v[12:13], v[58:59], 1, s[8:9]
	s_add_u32 s20, s38, s20
	v_or3_b32 v59, v15, v14, s22
	v_lshlrev_b32_e32 v15, 3, v16
	s_addc_u32 s21, s39, s21
	v_or3_b32 v86, v15, v14, s22
	v_mov_b32_e32 v15, 0
	v_lshrrev_b32_e32 v25, 1, v0
	v_lshl_add_u64 v[16:17], s[20:21], 0, v[14:15]
	v_lshlrev_b32_e32 v14, 4, v65
	s_movk_i32 s3, 0xff
	v_lshlrev_b32_e32 v24, 3, v1
	v_and_b32_e32 v25, 24, v25
	v_lshl_add_u64 v[60:61], v[16:17], 0, v[14:15]
	v_and_b32_e32 v14, 7, v0
	v_and_b32_e32 v17, 8, v0
	v_cmp_lt_u32_e32 vcc, s3, v0
	v_xor_b32_e32 v26, v24, v25
	v_lshlrev_b32_e32 v22, 3, v14
	v_lshlrev_b32_e32 v23, 7, v14
	v_cndmask_b32_e64 v14, 0, 1, vcc
	v_or_b32_e32 v27, 0x440, v26
	v_cmp_eq_u32_e32 vcc, 0, v17
	v_or_b32_e32 v29, 64, v25
	v_xor_b32_e32 v29, v24, v29
	v_cndmask_b32_e32 v17, v27, v26, vcc
	v_or_b32_e32 v27, 32, v25
	v_or_b32_e32 v25, 0x60, v25
	v_xor_b32_e32 v27, v24, v27
	v_xor_b32_e32 v24, v24, v25
	v_or_b32_e32 v28, 0x440, v27
	v_xor_b32_e32 v30, 0x440, v29
	v_xor_b32_e32 v25, 0x440, v24
	v_cndmask_b32_e32 v27, v28, v27, vcc
	v_cndmask_b32_e32 v29, v30, v29, vcc
	;; [unrolled: 1-line block ×3, first 2 shown]
	v_or_b32_e32 v17, v17, v19
	v_or_b32_e32 v27, v27, v19
	;; [unrolled: 1-line block ×4, first 2 shown]
	v_lshlrev_b32_e32 v14, 13, v14
	v_xor_b32_e32 v17, v17, v22
	v_xor_b32_e32 v27, v27, v22
	;; [unrolled: 1-line block ×4, first 2 shown]
	v_lshlrev_b32_e32 v20, 1, v11
	v_add_lshl_u32 v11, v11, s15, 1
	v_or_b32_e32 v21, 0x100, v10
	v_or_b32_e32 v16, v18, v53
	v_add_u32_e32 v26, v14, v17
	v_add_u32_e32 v28, v14, v27
	v_add_u32_e32 v30, v14, v29
	v_add_u32_e32 v22, v14, v19
	v_or3_b32 v18, v53, v18, 64
	v_add_u32_e32 v17, 0x2000, v17
	v_add_u32_e32 v24, 0x2000, v27
	;; [unrolled: 1-line block ×4, first 2 shown]
	v_lshlrev_b32_e32 v14, 8, v68
	v_cndmask_b32_e64 v87, v20, v10, s[0:1]
	v_cndmask_b32_e64 v88, v11, v21, s[0:1]
	v_lshl_add_u64 v[62:63], v[12:13], 0, v[14:15]
	s_add_i32 s3, s49, 63
	s_movk_i32 s22, 0x4000
	v_lshlrev_b32_e32 v89, 2, v16
	v_add_u32_e32 v90, v26, v23
	v_add_u32_e32 v91, v28, v23
	;; [unrolled: 1-line block ×4, first 2 shown]
	v_lshlrev_b32_e32 v94, 2, v18
	v_add_u32_e32 v95, v17, v23
	v_add_u32_e32 v96, v24, v23
	;; [unrolled: 1-line block ×4, first 2 shown]
	s_waitcnt lgkmcnt(0)
	s_barrier
.LBB730_6:                              ; =>This Inner Loop Header: Depth=1
	s_add_i32 s37, s70, 1
	s_cmp_lt_i32 s37, s57
	s_mov_b64 s[24:25], 0
	s_cselect_b64 s[46:47], -1, 0
	s_cmp_ge_i32 s37, s57
	s_mov_b64 s[20:21], 0
	s_cbranch_scc1 .LBB730_8
; %bb.7:                                ;   in Loop: Header=BB730_6 Depth=1
	s_add_i32 s0, s66, 64
	s_add_u32 s0, s42, s0
	s_addc_u32 s1, s43, 0
	s_lshl_b64 s[0:1], s[0:1], 8
	s_add_u32 s20, s6, s0
	s_addc_u32 s21, s7, s1
.LBB730_8:                              ;   in Loop: Header=BB730_6 Depth=1
	v_cndmask_b32_e64 v10, 0, 1, s[46:47]
	v_cmp_ne_u32_e64 s[0:1], 1, v10
	s_andn2_b64 vcc, exec, s[46:47]
	s_cbranch_vccnz .LBB730_10
; %bb.9:                                ;   in Loop: Header=BB730_6 Depth=1
	s_add_i32 s24, s66, 64
	s_add_u32 s24, s49, s24
	s_addc_u32 s25, s69, 0
	s_mul_i32 s27, s24, s58
	s_mul_hi_u32 s46, s24, s63
	s_add_i32 s27, s46, s27
	s_mul_i32 s25, s25, s63
	s_add_i32 s27, s27, s25
	s_mul_i32 s24, s24, s63
	s_add_u32 s24, s24, s59
	s_addc_u32 s25, s27, s64
	s_lshl_b64 s[24:25], s[24:25], 8
	s_add_u32 s24, s4, s24
	s_addc_u32 s25, s5, s25
.LBB730_10:                             ;   in Loop: Header=BB730_6 Depth=1
	v_perm_b32 v11, v9, v8, s35
	v_perm_b32 v10, v7, v6, s35
	;; [unrolled: 1-line block ×4, first 2 shown]
	ds_write_b64 v76, v[10:11]
	ds_write_b64 v77, v[12:13]
	;; [unrolled: 1-line block ×4, first 2 shown]
	s_waitcnt lgkmcnt(0)
	s_barrier
	ds_read_b64 v[18:19], v80 offset:16384
	ds_read_b64 v[20:21], v82 offset:16384
	ds_read2st64_b64 v[10:13], v81 offset1:1
	ds_read2st64_b64 v[14:17], v81 offset0:2 offset1:3
	ds_read_b64 v[22:23], v83 offset:16384
	s_waitcnt lgkmcnt(2)
	v_mfma_f32_16x16x16_bf16 a[0:3], v[18:19], v[10:11], 0
	ds_read_b64 v[10:11], v84 offset:16384
	s_add_i32 s27, s66, 63
	s_mul_i32 s46, s27, s31
	v_mfma_f32_16x16x16_bf16 a[0:3], v[20:21], v[12:13], a[0:3]
	s_mul_hi_u32 s47, s27, s30
	s_add_i32 s47, s47, s46
	s_mul_i32 s46, s27, s30
	s_waitcnt lgkmcnt(1)
	v_mfma_f32_16x16x16_bf16 a[0:3], v[22:23], v[14:15], a[0:3]
	s_lshl_b64 s[46:47], s[46:47], 2
	s_add_u32 s46, s44, s46
	s_addc_u32 s47, s45, s47
	s_waitcnt lgkmcnt(0)
	v_mfma_f32_16x16x16_bf16 a[0:3], v[10:11], v[16:17], a[0:3]
	s_and_b64 vcc, exec, s[0:1]
	v_mov_b32_e32 v102, 0
	v_mov_b32_e32 v101, 0
	;; [unrolled: 1-line block ×19, first 2 shown]
	s_cbranch_vccnz .LBB730_12
; %bb.11:                               ;   in Loop: Header=BB730_6 Depth=1
	s_and_b32 s21, s21, 0xffff
	buffer_load_dwordx4 v[22:25], v72, s[20:23], 0 offen
	buffer_load_dwordx4 v[18:21], v72, s[20:23], s65 offen
	;; [unrolled: 1-line block ×4, first 2 shown]
	v_mov_b32_e32 v101, v74
	v_mov_b32_e32 v100, v75
.LBB730_12:                             ;   in Loop: Header=BB730_6 Depth=1
	v_add_u32_e32 v32, s66, v68
	v_ashrrev_i32_e32 v26, 31, v32
	v_mul_lo_u32 v28, v26, s30
	v_mul_lo_u32 v29, v32, s31
	v_mad_u64_u32 v[26:27], s[20:21], v32, s30, 0
	v_add3_u32 v27, v27, v29, v28
	v_add_u32_e32 v28, 1, v32
	v_ashrrev_i32_e32 v29, 31, v28
	v_mul_lo_u32 v30, v29, s30
	v_mul_lo_u32 v31, v28, s31
	v_mad_u64_u32 v[28:29], s[20:21], v28, s30, 0
	v_add3_u32 v29, v29, v31, v30
	v_add_u32_e32 v30, 2, v32
	v_ashrrev_i32_e32 v31, 31, v30
	v_mul_lo_u32 v33, v31, s30
	v_mul_lo_u32 v34, v30, s31
	v_mad_u64_u32 v[30:31], s[20:21], v30, s30, 0
	v_add_u32_e32 v32, 3, v32
	v_add3_u32 v31, v31, v34, v33
	v_ashrrev_i32_e32 v33, 31, v32
	v_mul_lo_u32 v36, v33, s30
	v_mul_lo_u32 v37, v32, s31
	v_mad_u64_u32 v[32:33], s[20:21], v32, s30, 0
	s_add_u32 s20, s42, s66
	s_addc_u32 s21, s43, 0
	s_lshl_b64 s[20:21], s[20:21], 8
	v_lshl_add_u64 v[26:27], v[26:27], 2, s[44:45]
	v_lshl_add_u64 v[28:29], v[28:29], 2, s[44:45]
	;; [unrolled: 1-line block ×3, first 2 shown]
	v_add3_u32 v33, v33, v37, v36
	v_lshl_add_u64 v[30:31], v[30:31], 2, s[44:45]
	global_load_ushort v46, v[34:35], off
	global_load_ushort v47, v[34:35], off offset:256
	global_load_ushort v48, v[34:35], off offset:512
	;; [unrolled: 1-line block ×3, first 2 shown]
	global_load_dword v50, v[26:27], off
	v_lshl_add_u64 v[26:27], v[32:33], 2, s[44:45]
	global_load_dword v51, v[28:29], off
	global_load_dword v52, v[30:31], off
	;; [unrolled: 1-line block ×3, first 2 shown]
	s_load_dword s20, s[46:47], 0x0
	ds_read2st64_b64 v[32:35], v85 offset1:1
	ds_read2st64_b64 v[36:39], v85 offset0:2 offset1:3
	ds_read_b64 v[30:31], v80 offset:24576
	ds_read_b64 v[40:41], v82 offset:24576
	;; [unrolled: 1-line block ×4, first 2 shown]
	s_waitcnt lgkmcnt(0)
	v_mfma_f32_16x16x16_bf16 a[0:3], v[30:31], v[32:33], a[0:3]
	v_mov_b32_e32 v103, 0
	v_mov_b32_e32 v26, 0
	v_mov_b32_e32 v27, 0
	v_mfma_f32_16x16x16_bf16 a[0:3], v[40:41], v[34:35], a[0:3]
	v_mov_b32_e32 v28, 0
	v_mov_b32_e32 v29, 0
	v_mov_b32_e32 v30, 0
	v_mfma_f32_16x16x16_bf16 a[0:3], v[42:43], v[36:37], a[0:3]
	v_mov_b32_e32 v31, 0
	v_mov_b32_e32 v32, 0
	v_mov_b32_e32 v33, 0
	v_mfma_f32_16x16x16_bf16 a[0:3], v[44:45], v[38:39], a[0:3]
	v_mov_b32_e32 v34, 0
	v_mov_b32_e32 v35, 0
	v_mov_b32_e32 v36, 0
	v_mov_b32_e32 v37, 0
	s_and_b64 vcc, exec, s[0:1]
	s_waitcnt vmcnt(7)
	v_lshlrev_b32_e32 v42, 16, v46
	s_waitcnt vmcnt(6)
	v_lshlrev_b32_e32 v43, 16, v47
	;; [unrolled: 2-line block ×4, first 2 shown]
	s_waitcnt vmcnt(3)
	v_sub_f32_e32 v46, s20, v50
	s_waitcnt vmcnt(2)
	v_sub_f32_e32 v47, s20, v51
	;; [unrolled: 2-line block ×4, first 2 shown]
	v_mul_f32_e32 v46, 0x3fb8aa3b, v46
	v_mul_f32_e32 v47, 0x3fb8aa3b, v47
	;; [unrolled: 1-line block ×4, first 2 shown]
	v_exp_f32_e32 v46, v46
	v_exp_f32_e32 v47, v47
	;; [unrolled: 1-line block ×4, first 2 shown]
	v_accvgpr_read_b32 v41, a1
	v_accvgpr_read_b32 v39, a3
	;; [unrolled: 1-line block ×4, first 2 shown]
	v_pk_add_f32 v[40:41], v[42:43], v[40:41] neg_lo:[0,1] neg_hi:[0,1]
	v_pk_add_f32 v[38:39], v[44:45], v[38:39] neg_lo:[0,1] neg_hi:[0,1]
	v_pk_mul_f32 v[40:41], v[46:47], v[40:41]
	v_pk_mul_f32 v[38:39], v[48:49], v[38:39]
	s_nop 0
	v_perm_b32 v39, v39, v38, s35
	v_perm_b32 v38, v41, v40, s35
	ds_write_b64 v77, v[38:39]
	v_mov_b32_e32 v38, 0
	v_mov_b32_e32 v39, 0
	;; [unrolled: 1-line block ×4, first 2 shown]
	s_cbranch_vccnz .LBB730_14
; %bb.13:                               ;   in Loop: Header=BB730_6 Depth=1
	s_and_b32 s25, s25, 0xffff
	s_mov_b32 s27, s23
	buffer_load_dwordx4 v[38:41], v87, s[24:27], 0 offen
	buffer_load_dwordx4 v[30:33], v87, s[24:27], s65 offen
	;; [unrolled: 1-line block ×4, first 2 shown]
	v_mov_b32_e32 v102, v71
	v_mov_b32_e32 v103, v70
.LBB730_14:                             ;   in Loop: Header=BB730_6 Depth=1
	s_waitcnt lgkmcnt(0)
	s_barrier
	ds_read_b64 v[42:43], v90
	ds_read_b64 v[48:49], v91
	ds_read2st64_b64 v[44:47], v85 offset1:1
	ds_read2st64_b64 v[104:107], v85 offset0:2 offset1:3
	ds_read_b64 v[50:51], v92
	ds_read_b64 v[112:113], v93
	s_add_i32 s21, s60, s70
	s_mul_hi_i32 s25, s21, s13
	s_mul_i32 s21, s21, s13
	s_waitcnt lgkmcnt(3)
	v_mfma_f32_16x16x16_bf16 a[0:3], v[42:43], v[44:45], 0
	ds_read_b64 v[42:43], v95
	s_add_u32 s24, s21, s33
	s_addc_u32 s25, s25, s48
	s_add_i32 s21, s3, s66
	v_mfma_f32_16x16x16_bf16 a[0:3], v[48:49], v[46:47], a[0:3]
	ds_read_b64 v[48:49], v96
	s_lshl_b64 s[24:25], s[24:25], 15
	s_mul_hi_i32 s27, s21, s13
	s_mul_i32 s21, s21, s13
	s_add_u32 s46, s21, s33
	s_addc_u32 s47, s27, s48
	s_lshl_b64 s[46:47], s[46:47], 9
	s_add_u32 s46, s16, s46
	s_waitcnt lgkmcnt(1)
	v_mfma_f32_16x16x16_bf16 a[4:7], v[42:43], v[44:45], 0
	s_addc_u32 s47, s17, s47
	s_and_b64 vcc, exec, s[0:1]
	v_mfma_f32_16x16x16_bf16 a[0:3], v[50:51], v[104:105], a[0:3]
	ds_read_b64 v[50:51], v97
	ds_read_b64 v[114:115], v98
	global_load_dwordx4 v[42:45], v94, s[46:47]
	s_waitcnt lgkmcnt(2)
	v_mfma_f32_16x16x16_bf16 a[4:7], v[48:49], v[46:47], a[4:7]
	global_load_dwordx4 v[46:49], v89, s[46:47]
	ds_read_b64 v[108:109], v59
	ds_read_b64 v[110:111], v86
	s_waitcnt lgkmcnt(3)
	v_mfma_f32_16x16x16_bf16 a[8:11], v[50:51], v[104:105], a[4:7]
	v_lshl_add_u64 v[50:51], v[60:61], 0, s[24:25]
	s_waitcnt lgkmcnt(0)
	global_store_dwordx4 v[50:51], v[108:111], off
	v_mfma_f32_16x16x16_bf16 a[4:7], v[112:113], v[106:107], a[0:3]
	s_waitcnt vmcnt(2)
	v_mov_b32_e32 v52, v45
	v_mfma_f32_16x16x16_bf16 a[0:3], v[114:115], v[106:107], a[8:11]
	v_mov_b32_e32 v51, v44
	v_mov_b32_e32 v50, v43
	s_cbranch_vccnz .LBB730_16
; %bb.15:                               ;   in Loop: Header=BB730_6 Depth=1
	v_lshrrev_b32_e32 v43, 3, v102
	v_and_b32_e32 v43, 6, v43
	v_xor_b32_e32 v44, v43, v103
	v_lshlrev_b32_e32 v44, 2, v44
	v_and_b32_e32 v45, 8, v102
	v_xor_b32_e32 v102, 0x440, v44
	v_cmp_eq_u32_e32 vcc, 0, v45
	v_perm_b32 v45, v30, v26, s67
	s_nop 0
	v_cndmask_b32_e32 v44, v102, v44, vcc
	v_lshl_or_b32 v43, v43, 10, v44
	v_perm_b32 v44, v38, v34, s67
	s_barrier
	ds_write2st64_b32 v43, v44, v45 offset1:32
	v_xor_b32_e32 v44, 8, v43
	v_perm_b32 v34, v38, v34, s68
	v_perm_b32 v26, v30, v26, s68
	v_add_u32_e32 v30, 0x80, v44
	ds_write2st64_b32 v30, v34, v26 offset1:32
	v_xor_b32_e32 v26, 16, v43
	v_perm_b32 v30, v39, v35, s67
	v_perm_b32 v34, v31, v27, s67
	ds_write2st64_b32 v26, v30, v34 offset0:1 offset1:33
	v_xor_b32_e32 v26, 24, v43
	v_perm_b32 v30, v39, v35, s68
	v_perm_b32 v27, v31, v27, s68
	v_add_u32_e32 v26, 0x80, v26
	ds_write2st64_b32 v26, v30, v27 offset0:1 offset1:33
	v_xor_b32_e32 v26, 32, v43
	v_perm_b32 v27, v40, v36, s67
	v_perm_b32 v30, v32, v28, s67
	ds_write2st64_b32 v26, v27, v30 offset0:2 offset1:34
	v_xor_b32_e32 v26, 40, v43
	v_perm_b32 v27, v40, v36, s68
	v_perm_b32 v28, v32, v28, s68
	v_add_u32_e32 v26, 0x80, v26
	ds_write2st64_b32 v26, v27, v28 offset0:2 offset1:34
	;; [unrolled: 9-line block ×3, first 2 shown]
	ds_write_b64 v101, v[22:23] offset:16384
	v_xor_b32_e32 v22, 8, v101
	ds_write_b64 v22, v[24:25] offset:16384
	ds_write_b64 v101, v[18:19] offset:24576
	;; [unrolled: 1-line block ×4, first 2 shown]
	v_xor_b32_e32 v14, 8, v100
	ds_write_b64 v14, v[16:17] offset:16384
	ds_write_b64 v100, v[10:11] offset:24576
	;; [unrolled: 1-line block ×3, first 2 shown]
.LBB730_16:                             ;   in Loop: Header=BB730_6 Depth=1
	v_mul_f32_e32 v14, s20, v99
	v_exp_f32_e32 v18, v14
	s_waitcnt vmcnt(1)
	v_mul_f32_e32 v14, 0x3fb8aa3b, v46
	v_exp_f32_e32 v20, v14
	v_mul_f32_e32 v14, 0x3fb8aa3b, v47
	v_exp_f32_e32 v21, v14
	;; [unrolled: 2-line block ×4, first 2 shown]
	v_accvgpr_read_b32 v13, a7
	v_accvgpr_read_b32 v11, a5
	;; [unrolled: 1-line block ×3, first 2 shown]
	v_pk_mul_f32 v[20:21], v[18:19], v[20:21] op_sel_hi:[0,1]
	v_pk_fma_f32 v[6:7], v[6:7], v[20:21], v[10:11]
	v_pk_mul_f32 v[10:11], v[18:19], v[22:23] op_sel_hi:[0,1]
	v_mul_f32_e32 v19, 0x3fb8aa3b, v42
	v_exp_f32_e32 v20, v19
	v_mul_f32_e32 v19, 0x3fb8aa3b, v50
	v_exp_f32_e32 v21, v19
	;; [unrolled: 2-line block ×4, first 2 shown]
	v_accvgpr_read_b32 v12, a6
	v_accvgpr_read_b32 v17, a3
	;; [unrolled: 1-line block ×4, first 2 shown]
	v_pk_fma_f32 v[8:9], v[8:9], v[10:11], v[12:13]
	v_pk_mul_f32 v[10:11], v[18:19], v[20:21] op_sel_hi:[0,1]
	v_accvgpr_read_b32 v16, a2
	v_pk_fma_f32 v[2:3], v[2:3], v[10:11], v[14:15]
	v_pk_mul_f32 v[10:11], v[18:19], v[22:23] op_sel_hi:[0,1]
	s_add_i32 s66, s66, 64
	s_cmp_eq_u32 s57, s37
	v_pk_fma_f32 v[4:5], v[4:5], v[10:11], v[16:17]
	s_cbranch_scc1 .LBB730_18
; %bb.17:                               ;   in Loop: Header=BB730_6 Depth=1
	s_mov_b32 s70, s37
	s_branch .LBB730_6
.LBB730_18:
	s_lshl_b32 s43, s57, 6
	s_sub_i32 s46, s12, s43
	s_cmp_gt_i32 s46, 0
	s_cbranch_scc0 .LBB730_75
; %bb.19:
	s_ashr_i32 s3, s43, 31
	s_cmpk_lg_i32 s15, 0x80
	s_cselect_b64 s[26:27], -1, 0
	s_and_b64 vcc, exec, s[26:27]
	s_cbranch_vccz .LBB730_21
; %bb.20:
	s_mul_hi_i32 s0, s56, s12
	s_add_u32 s1, s49, s43
	s_addc_u32 s0, s0, s3
	s_mul_i32 s20, s1, s58
	s_mul_hi_u32 s21, s1, s14
	s_add_i32 s20, s21, s20
	s_mul_i32 s0, s0, s14
	s_add_i32 s20, s20, s0
	s_mul_i32 s1, s1, s14
	s_ashr_i32 s0, s59, 31
	s_add_u32 s44, s1, s59
	s_addc_u32 s45, s20, s0
	s_cbranch_execz .LBB730_22
	s_branch .LBB730_23
.LBB730_21:
                                        ; implicit-def: $sgpr44_sgpr45
.LBB730_22:
	s_mul_hi_i32 s0, s56, s14
	s_mul_i32 s56, s56, s14
	s_ashr_i32 s1, s59, 31
	s_add_u32 s14, s56, s59
	s_addc_u32 s0, s0, s1
	s_mul_i32 s1, s14, s55
	s_mul_hi_u32 s20, s14, s12
	s_add_i32 s1, s20, s1
	s_mul_i32 s0, s0, s12
	s_add_i32 s1, s1, s0
	s_mul_i32 s14, s14, s12
	s_add_u32 s44, s14, s43
	s_addc_u32 s45, s1, s3
.LBB730_23:
	s_mul_i32 s0, s40, s55
	s_add_i32 s0, s62, s0
	s_add_i32 s14, s60, s57
	;; [unrolled: 1-line block ×3, first 2 shown]
	s_add_u32 s0, s42, s43
	s_addc_u32 s1, s1, s3
	s_mov_b32 s3, 0x7060302
	v_lshlrev_b32_e32 v14, 3, v65
	s_lshl_b64 s[24:25], s[0:1], 8
	s_waitcnt vmcnt(1)
	v_perm_b32 v11, v9, v8, s3
	v_perm_b32 v10, v7, v6, s3
	s_waitcnt vmcnt(0)
	v_perm_b32 v13, v5, v4, s3
	v_perm_b32 v12, v3, v2, s3
	v_lshlrev_b32_e32 v42, 2, v65
	v_lshl_or_b32 v14, v68, 5, v14
	s_add_u32 s0, s6, s24
	ds_write2st64_b64 v14, v[10:11], v[12:13] offset0:72 offset1:76
	v_xor_b32_e32 v14, v68, v42
	v_lshlrev_b32_e32 v15, 8, v65
	s_addc_u32 s1, s7, s25
	v_lshl_or_b32 v14, v14, 1, v15
	s_mul_hi_i32 s3, s14, s13
	s_mul_i32 s14, s14, s13
	ds_write_b64 v14, v[10:11] offset:32768
	v_xor_b32_e32 v10, v69, v42
	s_add_u32 s6, s14, s33
	v_lshl_or_b32 v10, v10, 1, v15
	s_addc_u32 s7, s3, s48
	v_lshlrev_b32_e32 v11, 1, v65
	ds_write_b64 v10, v[12:13] offset:32768
	v_lshrrev_b32_e32 v10, 4, v0
	s_ashr_i32 s3, s2, 31
	s_lshl_b64 s[6:7], s[6:7], 15
	v_or_b32_e32 v12, 1, v11
	s_add_u32 s6, s38, s6
	v_xor_b32_e32 v11, v10, v11
	v_xor_b32_e32 v12, v12, v10
	v_lshlrev_b32_e32 v14, 8, v10
	s_addc_u32 s7, s39, s7
	s_lshl_b64 s[2:3], s[2:3], 8
	v_lshl_or_b32 v10, v11, 3, v14
	v_lshl_or_b32 v12, v12, 3, v14
	s_waitcnt lgkmcnt(0)
	s_barrier
	s_add_u32 s2, s6, s2
	ds_read_b64 v[10:11], v10 offset:32768
	ds_read_b64 v[12:13], v12 offset:32768
	s_addc_u32 s3, s7, s3
	v_mov_b32_e32 v15, 0
	s_cmp_lg_u32 s46, 64
	v_lshl_add_u64 v[16:17], s[2:3], 0, v[14:15]
	v_lshlrev_b32_e32 v14, 4, v65
	s_cselect_b64 s[6:7], -1, 0
	v_lshl_or_b32 v44, v1, 3, v67
	s_mov_b32 s20, 0
	v_lshl_add_u64 v[14:15], v[16:17], 0, v[14:15]
	v_or_b32_e32 v27, 32, v44
	v_and_b32_e32 v26, 56, v66
	s_and_b64 vcc, exec, s[6:7]
	s_waitcnt lgkmcnt(0)
	global_store_dwordx4 v[14:15], v[10:13], off
	s_cbranch_vccz .LBB730_29
; %bb.24:
	s_mov_b32 s21, s20
	s_mov_b32 s22, s20
	;; [unrolled: 1-line block ×3, first 2 shown]
	v_mov_b64_e32 v[14:15], s[20:21]
	v_mov_b64_e32 v[16:17], s[22:23]
	v_mov_b64_e32 v[10:11], v[14:15]
	v_cmp_gt_i32_e32 vcc, s46, v44
	v_mov_b64_e32 v[12:13], v[16:17]
	s_and_saveexec_b64 s[2:3], vcc
	s_cbranch_execz .LBB730_26
; %bb.25:
	v_lshlrev_b32_e32 v10, 8, v44
	v_mov_b32_e32 v11, 0
	v_lshl_add_u64 v[12:13], s[0:1], 0, v[10:11]
	v_lshlrev_b32_e32 v10, 1, v26
	v_lshl_add_u64 v[18:19], v[12:13], 0, v[10:11]
	global_load_dwordx4 v[14:17], v[18:19], off
	global_load_dwordx4 v[10:13], v[18:19], off offset:128
.LBB730_26:
	s_or_b64 exec, exec, s[2:3]
	s_mov_b32 s22, s20
	s_mov_b32 s23, s20
	;; [unrolled: 1-line block ×3, first 2 shown]
	v_mov_b64_e32 v[24:25], s[22:23]
	v_mov_b64_e32 v[22:23], s[20:21]
	;; [unrolled: 1-line block ×3, first 2 shown]
	v_cmp_gt_i32_e32 vcc, s46, v27
	v_lshlrev_b32_e32 v28, 7, v27
	v_mov_b64_e32 v[20:21], v[24:25]
	s_and_saveexec_b64 s[2:3], vcc
	s_cbranch_execz .LBB730_28
; %bb.27:
	v_lshlrev_b32_e32 v18, 1, v28
	v_mov_b32_e32 v19, 0
	v_lshl_add_u64 v[20:21], s[0:1], 0, v[18:19]
	v_lshlrev_b32_e32 v18, 1, v26
	v_lshl_add_u64 v[30:31], v[20:21], 0, v[18:19]
	global_load_dwordx4 v[22:25], v[30:31], off
	global_load_dwordx4 v[18:21], v[30:31], off offset:128
.LBB730_28:
	s_or_b64 exec, exec, s[2:3]
	v_lshrrev_b32_e32 v29, 3, v26
	v_lshlrev_b32_e32 v30, 3, v44
	v_or_b32_e32 v29, v30, v29
	v_lshlrev_b32_e32 v29, 4, v29
	v_and_b32_e32 v30, 0x78, v30
	v_xor_b32_e32 v29, v29, v30
	s_branch .LBB730_31
.LBB730_29:
                                        ; implicit-def: $vgpr29
                                        ; implicit-def: $vgpr28
                                        ; implicit-def: $vgpr14_vgpr15_vgpr16_vgpr17
                                        ; implicit-def: $vgpr10_vgpr11_vgpr12_vgpr13
                                        ; implicit-def: $vgpr22_vgpr23_vgpr24_vgpr25
                                        ; implicit-def: $vgpr18_vgpr19_vgpr20_vgpr21
	s_cbranch_execz .LBB730_31
; %bb.30:
	s_waitcnt vmcnt(0)
	v_lshlrev_b32_e32 v10, 1, v26
	v_lshl_or_b32 v28, v44, 8, v10
	s_and_b32 s1, s1, 0xffff
	s_mov_b32 s3, 0x20000
	s_movk_i32 s2, 0x4000
	v_lshl_or_b32 v29, v27, 8, v10
	s_movk_i32 s14, 0x80
	buffer_load_dwordx4 v[14:17], v28, s[0:3], 0 offen
	buffer_load_dwordx4 v[10:13], v28, s[0:3], s14 offen
	;; [unrolled: 1-line block ×4, first 2 shown]
	v_lshrrev_b32_e32 v28, 3, v26
	v_lshlrev_b32_e32 v29, 3, v44
	v_or_b32_e32 v28, v29, v28
	v_lshlrev_b32_e32 v28, 4, v28
	v_and_b32_e32 v29, 0x78, v29
	v_xor_b32_e32 v29, v28, v29
	v_lshlrev_b32_e32 v28, 7, v27
.LBB730_31:
	s_lshl_b64 s[0:1], s[44:45], 8
	s_add_u32 s4, s4, s0
	s_movk_i32 s0, 0x1000
	v_and_or_b32 v27, v28, s0, v29
	s_waitcnt vmcnt(1)
	ds_write_b64 v29, v[14:15] offset:16384
	v_xor_b32_e32 v14, 8, v29
	ds_write_b64 v14, v[16:17] offset:16384
	s_waitcnt vmcnt(0)
	ds_write_b64 v29, v[10:11] offset:24576
	ds_write_b64 v14, v[12:13] offset:24576
	;; [unrolled: 1-line block ×3, first 2 shown]
	v_xor_b32_e32 v10, 8, v27
	ds_write_b64 v10, v[24:25] offset:16384
	ds_write_b64 v27, v[18:19] offset:24576
	;; [unrolled: 1-line block ×3, first 2 shown]
	v_or_b32_e32 v10, v53, v65
	s_addc_u32 s5, s5, s1
	s_add_i32 s14, s12, -1
	v_lshlrev_b32_e32 v10, 3, v10
	v_lshrrev_b32_e32 v12, 5, v57
	s_movk_i32 s12, 0xf8
	v_and_or_b32 v12, v10, s12, v12
	v_lshlrev_b32_e32 v43, 11, v1
	v_lshlrev_b32_e32 v20, 4, v12
	v_and_b32_e32 v21, 0x78, v10
	v_and_b32_e32 v22, 0x1000, v43
	v_lshlrev_b32_e32 v11, 2, v0
	v_xor_b32_e32 v10, v20, v21
	v_lshrrev_b32_e32 v12, 1, v57
	v_and_b32_e32 v11, 60, v11
	v_or_b32_e32 v10, v10, v22
	v_and_b32_e32 v23, 8, v12
	v_xor_b32_e32 v34, v10, v23
	v_lshl_or_b32 v10, v64, 6, v11
	v_lshlrev_b32_e32 v45, 1, v10
	v_or_b32_e32 v10, 32, v20
	v_xor_b32_e32 v10, v10, v21
	s_waitcnt lgkmcnt(0)
	s_barrier
	ds_read_b64 v[18:19], v34 offset:16384
	v_or_b32_e32 v10, v10, v22
	v_xor_b32_e32 v35, v10, v23
	v_or_b32_e32 v10, 64, v20
	v_xor_b32_e32 v10, v10, v21
	v_or_b32_e32 v10, v10, v22
	v_or_b32_e32 v20, 0x60, v20
	v_xor_b32_e32 v36, v10, v23
	ds_read2st64_b64 v[10:13], v45 offset0:72 offset1:73
	ds_read2st64_b64 v[14:17], v45 offset0:74 offset1:75
	v_xor_b32_e32 v24, v20, v21
	ds_read_b64 v[20:21], v35 offset:16384
	s_add_i32 s0, s51, s41
	s_waitcnt lgkmcnt(2)
	v_mfma_f32_16x16x16_bf16 a[0:3], v[18:19], v[10:11], 0
	s_add_i32 s37, s0, s52
	s_add_i32 s0, s53, s50
	;; [unrolled: 1-line block ×3, first 2 shown]
	s_ashr_i32 s0, s14, 31
	s_mul_i32 s1, s14, s31
	s_mul_hi_u32 s2, s14, s30
	s_add_i32 s1, s2, s1
	s_mul_i32 s0, s0, s30
	v_or_b32_e32 v22, v24, v22
	s_add_i32 s1, s1, s0
	s_lshl_b64 s[2:3], s[36:37], 2
	v_xor_b32_e32 v46, v22, v23
	ds_read_b64 v[22:23], v36 offset:16384
	ds_read_b64 v[24:25], v46 offset:16384
	s_waitcnt lgkmcnt(2)
	v_mfma_f32_16x16x16_bf16 a[0:3], v[20:21], v[12:13], a[0:3]
	s_add_u32 s10, s10, s2
	s_addc_u32 s11, s11, s3
	s_lshl_b64 s[2:3], s[34:35], 2
	s_mul_i32 s0, s14, s30
	s_add_u32 s10, s10, s2
	s_addc_u32 s11, s11, s3
	s_lshl_b64 s[0:1], s[0:1], 2
	s_waitcnt lgkmcnt(1)
	v_mfma_f32_16x16x16_bf16 a[0:3], v[22:23], v[14:15], a[0:3]
	s_add_u32 s0, s10, s0
	s_addc_u32 s1, s11, s1
	s_load_dword s12, s[0:1], 0x0
	s_waitcnt lgkmcnt(0)
	v_mfma_f32_16x16x16_bf16 a[0:3], v[24:25], v[16:17], a[0:3]
	s_and_b64 vcc, exec, s[26:27]
	s_cbranch_vccz .LBB730_42
; %bb.32:
	v_lshlrev_b32_e32 v27, 1, v44
	s_and_b64 vcc, exec, s[6:7]
	s_cbranch_vccz .LBB730_43
; %bb.33:
	v_cmp_gt_i32_e32 vcc, s46, v27
	v_mov_b32_e32 v14, 0
	v_mov_b32_e32 v10, 0
	v_mov_b32_e32 v11, 0
	v_mov_b32_e32 v12, 0
	v_mov_b32_e32 v13, 0
	s_and_saveexec_b64 s[0:1], vcc
	s_cbranch_execz .LBB730_35
; %bb.34:
	v_mad_i64_i32 v[10:11], s[2:3], s15, v27, 0
	v_lshl_add_u64 v[10:11], v[10:11], 1, s[4:5]
	v_lshlrev_b32_e32 v12, 1, v26
	v_mov_b32_e32 v13, 0
	v_lshl_add_u64 v[10:11], v[10:11], 0, v[12:13]
	global_load_dwordx4 v[10:13], v[10:11], off
.LBB730_35:
	s_or_b64 exec, exec, s[0:1]
	v_or_b32_e32 v28, 1, v27
	v_cmp_gt_i32_e64 s[0:1], s46, v28
	v_mov_b32_e32 v15, 0
	v_mov_b32_e32 v16, 0
	;; [unrolled: 1-line block ×3, first 2 shown]
	s_and_saveexec_b64 s[2:3], s[0:1]
	s_cbranch_execz .LBB730_37
; %bb.36:
	v_mad_i64_i32 v[14:15], s[20:21], s15, v28, 0
	v_lshl_add_u64 v[14:15], v[14:15], 1, s[4:5]
	v_lshlrev_b32_e32 v16, 1, v26
	v_mov_b32_e32 v17, 0
	v_lshl_add_u64 v[14:15], v[14:15], 0, v[16:17]
	global_load_dwordx4 v[14:17], v[14:15], off
.LBB730_37:
	s_or_b64 exec, exec, s[2:3]
	v_mov_b32_e32 v25, 0
	v_mov_b32_e32 v18, 0
	;; [unrolled: 1-line block ×5, first 2 shown]
	s_and_saveexec_b64 s[2:3], vcc
	s_cbranch_execz .LBB730_39
; %bb.38:
	v_mad_i64_i32 v[18:19], s[20:21], s15, v27, 0
	v_lshl_add_u64 v[18:19], v[18:19], 1, s[4:5]
	v_lshlrev_b32_e32 v20, 1, v26
	v_mov_b32_e32 v21, 0
	v_lshl_add_u64 v[18:19], v[18:19], 0, v[20:21]
	global_load_dwordx4 v[18:21], v[18:19], off offset:128
.LBB730_39:
	s_or_b64 exec, exec, s[2:3]
	v_mov_b32_e32 v24, 0
	v_mov_b32_e32 v23, 0
	;; [unrolled: 1-line block ×3, first 2 shown]
	s_and_saveexec_b64 s[2:3], s[0:1]
	s_cbranch_execz .LBB730_41
; %bb.40:
	v_mad_i64_i32 v[22:23], s[0:1], s15, v28, 0
	v_lshl_add_u64 v[22:23], v[22:23], 1, s[4:5]
	v_lshlrev_b32_e32 v24, 1, v26
	v_mov_b32_e32 v25, 0
	v_lshl_add_u64 v[22:23], v[22:23], 0, v[24:25]
	global_load_dwordx4 v[22:25], v[22:23], off offset:128
.LBB730_41:
	s_or_b64 exec, exec, s[2:3]
	s_branch .LBB730_45
.LBB730_42:
                                        ; implicit-def: $vgpr13
                                        ; implicit-def: $vgpr17
                                        ; implicit-def: $vgpr21
                                        ; implicit-def: $vgpr25
	v_lshrrev_b32_e32 v27, 2, v57
	s_branch .LBB730_46
.LBB730_43:
                                        ; implicit-def: $vgpr13
                                        ; implicit-def: $vgpr17
                                        ; implicit-def: $vgpr21
                                        ; implicit-def: $vgpr25
	s_cbranch_execz .LBB730_45
; %bb.44:
	s_waitcnt vmcnt(0)
	v_mad_u64_u32 v[10:11], s[0:1], v27, s15, v[26:27]
	v_lshlrev_b32_e32 v27, 1, v10
	s_lshl_b32 s2, s15, 7
	s_and_b32 s1, s5, 0xffff
	s_mov_b32 s3, 0x20000
	s_mov_b32 s0, s4
	v_add_lshl_u32 v28, v10, s15, 1
	s_movk_i32 s15, 0x80
	buffer_load_dwordx4 v[10:13], v27, s[0:3], 0 offen
	buffer_load_dwordx4 v[18:21], v27, s[0:3], s15 offen
	;; [unrolled: 1-line block ×4, first 2 shown]
.LBB730_45:
	v_lshrrev_b32_e32 v27, 2, v57
	s_cbranch_execnz .LBB730_58
.LBB730_46:
	s_and_b64 vcc, exec, s[6:7]
	s_cbranch_vccz .LBB730_56
; %bb.47:
	s_waitcnt vmcnt(0)
	v_lshlrev_b32_e32 v15, 1, v44
	v_cmp_gt_i32_e32 vcc, s46, v15
	v_mov_b32_e32 v14, 0
	v_lshlrev_b32_e32 v22, 9, v44
	v_mov_b32_e32 v10, 0
	v_mov_b32_e32 v11, 0
	;; [unrolled: 1-line block ×4, first 2 shown]
	s_and_saveexec_b64 s[0:1], vcc
	s_cbranch_execz .LBB730_49
; %bb.48:
	v_mov_b32_e32 v23, 0
	v_lshl_add_u64 v[10:11], s[4:5], 0, v[22:23]
	v_lshlrev_b32_e32 v12, 1, v26
	v_mov_b32_e32 v13, v23
	v_lshl_add_u64 v[10:11], v[10:11], 0, v[12:13]
	global_load_dwordx4 v[10:13], v[10:11], off
.LBB730_49:
	s_or_b64 exec, exec, s[0:1]
	v_or_b32_e32 v15, 1, v15
	v_cmp_gt_i32_e64 s[0:1], s46, v15
	v_lshlrev_b32_e32 v28, 8, v15
	v_mov_b32_e32 v15, 0
	v_mov_b32_e32 v16, 0
	;; [unrolled: 1-line block ×3, first 2 shown]
	s_and_saveexec_b64 s[2:3], s[0:1]
	s_cbranch_execz .LBB730_51
; %bb.50:
	v_mov_b32_e32 v29, 0
	v_lshl_add_u64 v[14:15], s[4:5], 0, v[28:29]
	v_lshlrev_b32_e32 v16, 1, v26
	v_mov_b32_e32 v17, v29
	v_lshl_add_u64 v[14:15], v[14:15], 0, v[16:17]
	global_load_dwordx4 v[14:17], v[14:15], off
.LBB730_51:
	s_or_b64 exec, exec, s[2:3]
	v_mov_b32_e32 v25, 0
	v_mov_b32_e32 v18, 0
	;; [unrolled: 1-line block ×5, first 2 shown]
	s_and_saveexec_b64 s[2:3], vcc
	s_cbranch_execz .LBB730_53
; %bb.52:
	v_mov_b32_e32 v23, 0
	v_lshl_add_u64 v[18:19], s[4:5], 0, v[22:23]
	v_lshlrev_b32_e32 v22, 1, v26
	v_lshl_add_u64 v[18:19], v[18:19], 0, v[22:23]
	global_load_dwordx4 v[18:21], v[18:19], off offset:128
.LBB730_53:
	s_or_b64 exec, exec, s[2:3]
	v_mov_b32_e32 v24, 0
	v_mov_b32_e32 v23, 0
	;; [unrolled: 1-line block ×3, first 2 shown]
	s_and_saveexec_b64 s[2:3], s[0:1]
	s_cbranch_execz .LBB730_55
; %bb.54:
	v_mov_b32_e32 v29, 0
	v_lshl_add_u64 v[22:23], s[4:5], 0, v[28:29]
	v_lshlrev_b32_e32 v28, 1, v26
	v_lshl_add_u64 v[22:23], v[22:23], 0, v[28:29]
	global_load_dwordx4 v[22:25], v[22:23], off offset:128
.LBB730_55:
	s_or_b64 exec, exec, s[2:3]
	s_branch .LBB730_58
.LBB730_56:
                                        ; implicit-def: $vgpr13
                                        ; implicit-def: $vgpr17
                                        ; implicit-def: $vgpr21
                                        ; implicit-def: $vgpr25
	s_cbranch_execz .LBB730_58
; %bb.57:
	s_waitcnt vmcnt(0)
	v_lshlrev_b32_e32 v10, 1, v26
	v_lshl_or_b32 v26, v44, 9, v10
	s_and_b32 s5, s5, 0xffff
	s_mov_b32 s7, 0x20000
	s_movk_i32 s6, 0x4000
	s_movk_i32 s0, 0x80
	buffer_load_dwordx4 v[10:13], v26, s[4:7], 0 offen
	buffer_load_dwordx4 v[14:17], v26, s[4:7], 0 offen offset:256
	buffer_load_dwordx4 v[18:21], v26, s[4:7], s0 offen
	buffer_load_dwordx4 v[22:25], v26, s[4:7], s0 offen offset:256
.LBB730_58:
	v_and_b32_e32 v47, 12, v27
	ds_read2st64_b64 v[30:33], v45 offset0:76 offset1:77
	ds_read2st64_b64 v[26:29], v45 offset0:78 offset1:79
	ds_read_b64 v[38:39], v34 offset:24576
	ds_read_b64 v[40:41], v35 offset:24576
	;; [unrolled: 1-line block ×4, first 2 shown]
	v_and_b32_e32 v46, 6, v0
	v_xor_b32_e32 v44, v44, v46
	v_lshlrev_b32_e32 v44, 2, v44
	v_and_b32_e32 v48, 1, v0
	v_xor_b32_e32 v49, 0x440, v44
	v_cmp_eq_u32_e32 vcc, 0, v48
	s_mov_b32 s0, 0x1000504
	s_waitcnt vmcnt(0)
	v_perm_b32 v48, v18, v22, s0
	v_cndmask_b32_e32 v44, v49, v44, vcc
	v_lshl_or_b32 v44, v46, 10, v44
	v_perm_b32 v46, v10, v14, s0
	ds_write2st64_b32 v44, v46, v48 offset1:32
	v_xor_b32_e32 v46, 8, v44
	s_mov_b32 s1, 0x3020706
	v_perm_b32 v10, v10, v14, s1
	v_perm_b32 v14, v18, v22, s1
	v_add_u32_e32 v18, 0x80, v46
	ds_write2st64_b32 v18, v10, v14 offset1:32
	v_xor_b32_e32 v10, 16, v44
	v_perm_b32 v14, v11, v15, s0
	v_perm_b32 v18, v19, v23, s0
	ds_write2st64_b32 v10, v14, v18 offset0:1 offset1:33
	v_xor_b32_e32 v10, 24, v44
	v_perm_b32 v11, v11, v15, s1
	v_perm_b32 v14, v19, v23, s1
	v_add_u32_e32 v10, 0x80, v10
	ds_write2st64_b32 v10, v11, v14 offset0:1 offset1:33
	v_xor_b32_e32 v10, 32, v44
	v_perm_b32 v11, v12, v16, s0
	v_perm_b32 v14, v20, v24, s0
	ds_write2st64_b32 v10, v11, v14 offset0:2 offset1:34
	v_xor_b32_e32 v10, 40, v44
	v_perm_b32 v11, v12, v16, s1
	v_perm_b32 v12, v20, v24, s1
	v_add_u32_e32 v10, 0x80, v10
	ds_write2st64_b32 v10, v11, v12 offset0:2 offset1:34
	v_xor_b32_e32 v10, 48, v44
	v_perm_b32 v11, v13, v17, s0
	v_perm_b32 v12, v21, v25, s0
	ds_write2st64_b32 v10, v11, v12 offset0:3 offset1:35
	v_xor_b32_e32 v10, 56, v44
	v_or_b32_e32 v16, v47, v53
	v_perm_b32 v11, v13, v17, s1
	v_perm_b32 v12, v21, v25, s1
	v_add_u32_e32 v10, 0x80, v10
	v_cmp_gt_i32_e32 vcc, s46, v16
	v_mov_b32_e32 v17, 0
	v_mov_b32_e32 v21, 0
	ds_write2st64_b32 v10, v11, v12 offset0:3 offset1:35
	s_and_saveexec_b64 s[0:1], vcc
	s_cbranch_execz .LBB730_60
; %bb.59:
	v_add_u32_e32 v10, s43, v16
	v_ashrrev_i32_e32 v11, 31, v10
	v_mul_lo_u32 v12, v11, s30
	v_mul_lo_u32 v13, v10, s31
	v_mad_u64_u32 v[10:11], s[2:3], v10, s30, 0
	v_add3_u32 v11, v11, v13, v12
	v_lshl_add_u64 v[10:11], v[10:11], 2, s[10:11]
	global_load_dword v10, v[10:11], off
	s_waitcnt vmcnt(0)
	v_sub_f32_e32 v10, s12, v10
	v_mul_f32_e32 v10, 0x3fb8aa3b, v10
	v_exp_f32_e32 v21, v10
.LBB730_60:
	s_or_b64 exec, exec, s[0:1]
	v_or_b32_e32 v19, 1, v16
	v_cmp_gt_i32_e64 s[0:1], s46, v19
	s_and_saveexec_b64 s[2:3], s[0:1]
	s_cbranch_execz .LBB730_62
; %bb.61:
	v_add_u32_e32 v10, s43, v19
	v_ashrrev_i32_e32 v11, 31, v10
	v_mul_lo_u32 v12, v11, s30
	v_mul_lo_u32 v13, v10, s31
	v_mad_u64_u32 v[10:11], s[4:5], v10, s30, 0
	v_add3_u32 v11, v11, v13, v12
	v_lshl_add_u64 v[10:11], v[10:11], 2, s[10:11]
	global_load_dword v10, v[10:11], off
	s_waitcnt vmcnt(0)
	v_sub_f32_e32 v10, s12, v10
	v_mul_f32_e32 v10, 0x3fb8aa3b, v10
	v_exp_f32_e32 v17, v10
.LBB730_62:
	s_or_b64 exec, exec, s[2:3]
	v_or_b32_e32 v20, 2, v16
	v_cmp_gt_i32_e64 s[2:3], s46, v20
	v_mov_b32_e32 v18, 0
	v_mov_b32_e32 v23, 0
	s_and_saveexec_b64 s[4:5], s[2:3]
	s_cbranch_execz .LBB730_64
; %bb.63:
	v_add_u32_e32 v10, s43, v20
	v_ashrrev_i32_e32 v11, 31, v10
	v_mul_lo_u32 v12, v11, s30
	v_mul_lo_u32 v13, v10, s31
	v_mad_u64_u32 v[10:11], s[6:7], v10, s30, 0
	v_add3_u32 v11, v11, v13, v12
	v_lshl_add_u64 v[10:11], v[10:11], 2, s[10:11]
	global_load_dword v10, v[10:11], off
	s_waitcnt vmcnt(0)
	v_sub_f32_e32 v10, s12, v10
	v_mul_f32_e32 v10, 0x3fb8aa3b, v10
	v_exp_f32_e32 v23, v10
.LBB730_64:
	s_or_b64 exec, exec, s[4:5]
	v_or_b32_e32 v22, 3, v16
	v_cmp_gt_i32_e64 s[4:5], s46, v22
	s_and_saveexec_b64 s[6:7], s[4:5]
	s_cbranch_execz .LBB730_66
; %bb.65:
	v_add_u32_e32 v10, s43, v22
	v_ashrrev_i32_e32 v11, 31, v10
	v_mul_lo_u32 v12, v11, s30
	v_mul_lo_u32 v13, v10, s31
	v_mad_u64_u32 v[10:11], s[20:21], v10, s30, 0
	v_add3_u32 v11, v11, v13, v12
	v_lshl_add_u64 v[10:11], v[10:11], 2, s[10:11]
	global_load_dword v10, v[10:11], off
	s_waitcnt vmcnt(0)
	v_sub_f32_e32 v10, s12, v10
	v_mul_f32_e32 v10, 0x3fb8aa3b, v10
	v_exp_f32_e32 v18, v10
.LBB730_66:
	s_or_b64 exec, exec, s[6:7]
	s_waitcnt lgkmcnt(11)
	v_mfma_f32_16x16x16_bf16 a[0:3], v[38:39], v[30:31], a[0:3]
	s_add_u32 s6, s8, s24
	v_ashrrev_i32_e32 v59, 31, v58
	s_addc_u32 s7, s9, s25
	s_waitcnt lgkmcnt(10)
	v_mfma_f32_16x16x16_bf16 a[0:3], v[40:41], v[32:33], a[0:3]
	v_mov_b32_e32 v24, 0
	v_lshl_add_u64 v[14:15], v[58:59], 1, s[6:7]
	v_mov_b32_e32 v25, 0
	s_waitcnt lgkmcnt(9)
	v_mfma_f32_16x16x16_bf16 a[0:3], v[36:37], v[26:27], a[0:3]
	s_waitcnt lgkmcnt(8)
	v_mfma_f32_16x16x16_bf16 a[0:3], v[34:35], v[28:29], a[0:3]
	s_nop 6
	v_accvgpr_read_b32 v13, a3
	v_accvgpr_read_b32 v12, a2
	v_accvgpr_read_b32 v11, a1
	v_accvgpr_read_b32 v10, a0
	s_and_saveexec_b64 s[6:7], vcc
	s_cbranch_execz .LBB730_68
; %bb.67:
	v_lshlrev_b32_e32 v26, 8, v16
	v_mov_b32_e32 v27, 0
	v_lshl_add_u64 v[26:27], v[14:15], 0, v[26:27]
	global_load_ushort v25, v[26:27], off
	s_waitcnt vmcnt(0)
	v_lshlrev_b32_e32 v25, 16, v25
	v_sub_f32_e32 v10, v25, v10
	v_mul_f32_e32 v10, v21, v10
	v_lshrrev_b32_e32 v25, 16, v10
.LBB730_68:
	s_or_b64 exec, exec, s[6:7]
	s_and_saveexec_b64 s[6:7], s[0:1]
	s_cbranch_execz .LBB730_70
; %bb.69:
	v_lshlrev_b32_e32 v26, 8, v19
	v_mov_b32_e32 v27, 0
	v_lshl_add_u64 v[26:27], v[14:15], 0, v[26:27]
	global_load_ushort v10, v[26:27], off
	s_waitcnt vmcnt(0)
	v_lshlrev_b32_e32 v10, 16, v10
	v_sub_f32_e32 v10, v10, v11
	v_mul_f32_e32 v10, v17, v10
	v_lshrrev_b32_e32 v24, 16, v10
.LBB730_70:
	s_or_b64 exec, exec, s[6:7]
	v_mov_b32_e32 v11, 0
	v_mov_b32_e32 v17, 0
	s_and_saveexec_b64 s[0:1], s[2:3]
	s_cbranch_execz .LBB730_72
; %bb.71:
	v_lshlrev_b32_e32 v20, 8, v20
	v_mov_b32_e32 v21, 0
	v_lshl_add_u64 v[20:21], v[14:15], 0, v[20:21]
	global_load_ushort v10, v[20:21], off
	s_waitcnt vmcnt(0)
	v_lshlrev_b32_e32 v10, 16, v10
	v_sub_f32_e32 v10, v10, v12
	v_mul_f32_e32 v10, v23, v10
	v_lshrrev_b32_e32 v17, 16, v10
.LBB730_72:
	s_or_b64 exec, exec, s[0:1]
	v_or_b32_e32 v10, 0x9800, v45
	s_and_saveexec_b64 s[0:1], s[4:5]
	s_cbranch_execz .LBB730_74
; %bb.73:
	v_lshlrev_b32_e32 v20, 8, v22
	v_mov_b32_e32 v21, 0
	v_lshl_add_u64 v[14:15], v[14:15], 0, v[20:21]
	global_load_ushort v11, v[14:15], off
	s_waitcnt vmcnt(0)
	v_lshlrev_b32_e32 v11, 16, v11
	v_sub_f32_e32 v11, v11, v13
	v_mul_f32_e32 v11, v18, v11
	v_lshrrev_b32_e32 v11, 16, v11
.LBB730_74:
	s_or_b64 exec, exec, s[0:1]
	s_mov_b32 s0, 0x5040100
	v_perm_b32 v13, v11, v17, s0
	v_lshlrev_b32_e32 v11, 1, v42
	v_perm_b32 v12, v24, v25, s0
	v_lshl_or_b32 v11, v16, 5, v11
	s_movk_i32 s2, 0xff
	ds_write_b64 v11, v[12:13] offset:38912
	v_and_b32_e32 v11, 7, v0
	v_cmp_lt_u32_e32 vcc, s2, v0
	v_and_b32_e32 v12, 8, v0
	v_lshlrev_b32_e32 v20, 3, v11
	v_lshlrev_b32_e32 v32, 7, v11
	v_cndmask_b32_e64 v11, 0, 1, vcc
	v_lshrrev_b32_e32 v0, 1, v0
	v_lshlrev_b32_e32 v22, 13, v11
	v_lshlrev_b32_e32 v11, 3, v1
	v_and_b32_e32 v0, 24, v0
	v_xor_b32_e32 v13, v11, v0
	v_or_b32_e32 v14, 0x440, v13
	v_cmp_eq_u32_e32 vcc, 0, v12
	s_add_i32 s0, s14, s49
	s_mul_hi_i32 s1, s0, s13
	v_cndmask_b32_e32 v12, v14, v13, vcc
	v_or_b32_e32 v12, v12, v43
	v_xor_b32_e32 v33, v12, v20
	v_or_b32_e32 v12, 32, v0
	v_xor_b32_e32 v12, v11, v12
	v_or_b32_e32 v13, 0x440, v12
	v_cndmask_b32_e32 v12, v13, v12, vcc
	v_or_b32_e32 v12, v12, v43
	v_xor_b32_e32 v34, v12, v20
	v_or_b32_e32 v12, 64, v0
	v_xor_b32_e32 v12, v11, v12
	v_xor_b32_e32 v13, 0x440, v12
	s_mul_i32 s0, s0, s13
	v_cndmask_b32_e32 v12, v13, v12, vcc
	v_or_b32_e32 v0, 0x60, v0
	s_add_u32 s0, s0, s33
	v_add3_u32 v23, v22, v33, v32
	v_or_b32_e32 v12, v12, v43
	v_xor_b32_e32 v0, v11, v0
	s_waitcnt lgkmcnt(0)
	s_barrier
	s_addc_u32 s1, s1, s48
	v_lshlrev_b32_e32 v21, 2, v16
	v_xor_b32_e32 v35, v12, v20
	ds_read2st64_b64 v[12:15], v10 offset1:1
	ds_read2st64_b64 v[16:19], v10 offset0:2 offset1:3
	ds_read_b64 v[10:11], v23
	v_xor_b32_e32 v23, 0x440, v0
	s_lshl_b64 s[0:1], s[0:1], 9
	v_cndmask_b32_e32 v0, v23, v0, vcc
	s_add_u32 s0, s16, s0
	v_or_b32_e32 v0, v0, v43
	s_addc_u32 s1, s17, s1
	v_add3_u32 v24, v22, v34, v32
	v_xor_b32_e32 v36, v0, v20
	v_add3_u32 v26, v22, v35, v32
	v_add3_u32 v0, v22, v36, v32
	ds_read_b64 v[24:25], v24
	ds_read_b64 v[28:29], v26
	;; [unrolled: 1-line block ×3, first 2 shown]
	global_load_dwordx4 v[20:23], v21, s[0:1]
	s_waitcnt lgkmcnt(3)
	v_mfma_f32_16x16x16_bf16 a[0:3], v[10:11], v[12:13], 0
	v_lshlrev_b32_e32 v0, 6, v1
	v_lshlrev_b32_e32 v1, 2, v47
	s_movk_i32 s2, 0x100
	v_or3_b32 v0, v0, v1, s2
	s_waitcnt lgkmcnt(2)
	v_mfma_f32_16x16x16_bf16 a[0:3], v[24:25], v[14:15], a[0:3]
	global_load_dwordx4 v[24:27], v0, s[0:1]
	v_mov_b32_e32 v0, 0x3fb8aa3b
	v_mul_f32_e32 v0, s12, v0
	s_waitcnt lgkmcnt(1)
	v_mfma_f32_16x16x16_bf16 a[0:3], v[28:29], v[16:17], a[0:3]
	v_exp_f32_e32 v0, v0
	v_add_u32_e32 v1, v33, v32
	v_add_u32_e32 v33, v34, v32
	s_waitcnt lgkmcnt(0)
	v_mfma_f32_16x16x16_bf16 a[0:3], v[30:31], v[18:19], a[0:3]
	ds_read_b64 v[30:31], v1 offset:8192
	s_waitcnt vmcnt(1)
	v_mul_f32_e32 v20, 0x3fb8aa3b, v20
	v_mul_f32_e32 v21, 0x3fb8aa3b, v21
	v_exp_f32_e32 v20, v20
	v_exp_f32_e32 v21, v21
	s_nop 0
	v_accvgpr_read_b32 v29, a1
	v_accvgpr_read_b32 v28, a0
	v_mul_f32_e32 v22, 0x3fb8aa3b, v22
	v_pk_mul_f32 v[20:21], v[0:1], v[20:21] op_sel_hi:[0,1]
	v_pk_fma_f32 v[6:7], v[6:7], v[20:21], v[28:29]
	ds_read_b64 v[20:21], v33 offset:8192
	v_mul_f32_e32 v23, 0x3fb8aa3b, v23
	v_exp_f32_e32 v22, v22
	v_exp_f32_e32 v23, v23
	v_accvgpr_read_b32 v11, a3
	v_accvgpr_read_b32 v10, a2
	s_waitcnt lgkmcnt(1)
	v_mfma_f32_16x16x16_bf16 a[0:3], v[30:31], v[12:13], 0
	v_pk_mul_f32 v[22:23], v[0:1], v[22:23] op_sel_hi:[0,1]
	v_add_u32_e32 v1, v35, v32
	v_pk_fma_f32 v[8:9], v[8:9], v[22:23], v[10:11]
	v_add_u32_e32 v10, v36, v32
	ds_read_b64 v[22:23], v1 offset:8192
	ds_read_b64 v[28:29], v10 offset:8192
	s_waitcnt lgkmcnt(2)
	v_mfma_f32_16x16x16_bf16 a[0:3], v[20:21], v[14:15], a[0:3]
	s_waitcnt vmcnt(0)
	v_mov_b32_e32 v10, v25
	v_mul_f32_e32 v1, 0x3fb8aa3b, v24
	v_mov_b32_e32 v11, v26
	s_waitcnt lgkmcnt(1)
	v_mfma_f32_16x16x16_bf16 a[0:3], v[22:23], v[16:17], a[0:3]
	v_exp_f32_e32 v24, v1
	v_mul_f32_e32 v1, 0x3fb8aa3b, v10
	v_mov_b32_e32 v12, v27
	v_exp_f32_e32 v25, v1
	v_mul_f32_e32 v1, 0x3fb8aa3b, v11
	v_exp_f32_e32 v10, v1
	v_mul_f32_e32 v1, 0x3fb8aa3b, v12
	s_waitcnt lgkmcnt(0)
	v_mfma_f32_16x16x16_bf16 a[0:3], v[28:29], v[18:19], a[0:3]
	v_exp_f32_e32 v11, v1
	v_pk_mul_f32 v[14:15], v[0:1], v[24:25] op_sel_hi:[0,1]
	v_pk_mul_f32 v[0:1], v[0:1], v[10:11] op_sel_hi:[0,1]
	s_nop 3
	v_accvgpr_read_b32 v17, a1
	v_accvgpr_read_b32 v13, a3
	;; [unrolled: 1-line block ×4, first 2 shown]
	v_pk_fma_f32 v[2:3], v[2:3], v[14:15], v[16:17]
	v_pk_fma_f32 v[4:5], v[4:5], v[0:1], v[12:13]
.LBB730_75:
	s_add_u32 s0, s18, s28
	s_addc_u32 s1, s19, s29
	v_lshl_add_u64 v[0:1], v[54:55], 2, s[0:1]
	v_mov_b32_e32 v57, 0
	v_lshl_add_u64 v[0:1], v[0:1], 0, v[56:57]
	s_waitcnt vmcnt(1)
	global_store_dwordx4 v[0:1], v[6:9], off
	s_waitcnt vmcnt(1)
	global_store_dwordx4 v[0:1], v[2:5], off offset:256
	s_endpgm
	.section	.rodata,"a",@progbits
	.p2align	6, 0x0
	.amdhsa_kernel _ZN12_GLOBAL__N_139chunk_gated_delta_rule_fwd_h_hip_kernelILi16ELb1ELb1ELb0ELb0ELb0ELb1ELb0ELb0EEEvPK12hip_bfloat16S3_S3_PKfS5_PKvPS1_S8_PvPKiSB_iiiiilll
		.amdhsa_group_segment_fixed_size 40960
		.amdhsa_private_segment_fixed_size 0
		.amdhsa_kernarg_size 136
		.amdhsa_user_sgpr_count 2
		.amdhsa_user_sgpr_dispatch_ptr 0
		.amdhsa_user_sgpr_queue_ptr 0
		.amdhsa_user_sgpr_kernarg_segment_ptr 1
		.amdhsa_user_sgpr_dispatch_id 0
		.amdhsa_user_sgpr_kernarg_preload_length 0
		.amdhsa_user_sgpr_kernarg_preload_offset 0
		.amdhsa_user_sgpr_private_segment_size 0
		.amdhsa_uses_dynamic_stack 0
		.amdhsa_enable_private_segment 0
		.amdhsa_system_sgpr_workgroup_id_x 1
		.amdhsa_system_sgpr_workgroup_id_y 1
		.amdhsa_system_sgpr_workgroup_id_z 0
		.amdhsa_system_sgpr_workgroup_info 0
		.amdhsa_system_vgpr_workitem_id 0
		.amdhsa_next_free_vgpr 128
		.amdhsa_next_free_sgpr 71
		.amdhsa_accum_offset 116
		.amdhsa_reserve_vcc 1
		.amdhsa_float_round_mode_32 0
		.amdhsa_float_round_mode_16_64 0
		.amdhsa_float_denorm_mode_32 3
		.amdhsa_float_denorm_mode_16_64 3
		.amdhsa_dx10_clamp 1
		.amdhsa_ieee_mode 1
		.amdhsa_fp16_overflow 0
		.amdhsa_tg_split 0
		.amdhsa_exception_fp_ieee_invalid_op 0
		.amdhsa_exception_fp_denorm_src 0
		.amdhsa_exception_fp_ieee_div_zero 0
		.amdhsa_exception_fp_ieee_overflow 0
		.amdhsa_exception_fp_ieee_underflow 0
		.amdhsa_exception_fp_ieee_inexact 0
		.amdhsa_exception_int_div_zero 0
	.end_amdhsa_kernel
	.section	.text._ZN12_GLOBAL__N_139chunk_gated_delta_rule_fwd_h_hip_kernelILi16ELb1ELb1ELb0ELb0ELb0ELb1ELb0ELb0EEEvPK12hip_bfloat16S3_S3_PKfS5_PKvPS1_S8_PvPKiSB_iiiiilll,"axG",@progbits,_ZN12_GLOBAL__N_139chunk_gated_delta_rule_fwd_h_hip_kernelILi16ELb1ELb1ELb0ELb0ELb0ELb1ELb0ELb0EEEvPK12hip_bfloat16S3_S3_PKfS5_PKvPS1_S8_PvPKiSB_iiiiilll,comdat
.Lfunc_end730:
	.size	_ZN12_GLOBAL__N_139chunk_gated_delta_rule_fwd_h_hip_kernelILi16ELb1ELb1ELb0ELb0ELb0ELb1ELb0ELb0EEEvPK12hip_bfloat16S3_S3_PKfS5_PKvPS1_S8_PvPKiSB_iiiiilll, .Lfunc_end730-_ZN12_GLOBAL__N_139chunk_gated_delta_rule_fwd_h_hip_kernelILi16ELb1ELb1ELb0ELb0ELb0ELb1ELb0ELb0EEEvPK12hip_bfloat16S3_S3_PKfS5_PKvPS1_S8_PvPKiSB_iiiiilll
                                        ; -- End function
	.section	.AMDGPU.csdata,"",@progbits
; Kernel info:
; codeLenInByte = 8208
; NumSgprs: 77
; NumVgprs: 116
; NumAgprs: 12
; TotalNumVgprs: 128
; ScratchSize: 0
; MemoryBound: 0
; FloatMode: 240
; IeeeMode: 1
; LDSByteSize: 40960 bytes/workgroup (compile time only)
; SGPRBlocks: 9
; VGPRBlocks: 15
; NumSGPRsForWavesPerEU: 77
; NumVGPRsForWavesPerEU: 128
; AccumOffset: 116
; Occupancy: 1
; WaveLimiterHint : 1
; COMPUTE_PGM_RSRC2:SCRATCH_EN: 0
; COMPUTE_PGM_RSRC2:USER_SGPR: 2
; COMPUTE_PGM_RSRC2:TRAP_HANDLER: 0
; COMPUTE_PGM_RSRC2:TGID_X_EN: 1
; COMPUTE_PGM_RSRC2:TGID_Y_EN: 1
; COMPUTE_PGM_RSRC2:TGID_Z_EN: 0
; COMPUTE_PGM_RSRC2:TIDIG_COMP_CNT: 0
; COMPUTE_PGM_RSRC3_GFX90A:ACCUM_OFFSET: 28
; COMPUTE_PGM_RSRC3_GFX90A:TG_SPLIT: 0
	.section	.text._ZN12_GLOBAL__N_139chunk_gated_delta_rule_fwd_h_hip_kernelILi16ELb1ELb0ELb1ELb0ELb0ELb1ELb0ELb0EEEvPK12hip_bfloat16S3_S3_PKfS5_PKvPS1_S8_PvPKiSB_iiiiilll,"axG",@progbits,_ZN12_GLOBAL__N_139chunk_gated_delta_rule_fwd_h_hip_kernelILi16ELb1ELb0ELb1ELb0ELb0ELb1ELb0ELb0EEEvPK12hip_bfloat16S3_S3_PKfS5_PKvPS1_S8_PvPKiSB_iiiiilll,comdat
	.globl	_ZN12_GLOBAL__N_139chunk_gated_delta_rule_fwd_h_hip_kernelILi16ELb1ELb0ELb1ELb0ELb0ELb1ELb0ELb0EEEvPK12hip_bfloat16S3_S3_PKfS5_PKvPS1_S8_PvPKiSB_iiiiilll ; -- Begin function _ZN12_GLOBAL__N_139chunk_gated_delta_rule_fwd_h_hip_kernelILi16ELb1ELb0ELb1ELb0ELb0ELb1ELb0ELb0EEEvPK12hip_bfloat16S3_S3_PKfS5_PKvPS1_S8_PvPKiSB_iiiiilll
	.p2align	8
	.type	_ZN12_GLOBAL__N_139chunk_gated_delta_rule_fwd_h_hip_kernelILi16ELb1ELb0ELb1ELb0ELb0ELb1ELb0ELb0EEEvPK12hip_bfloat16S3_S3_PKfS5_PKvPS1_S8_PvPKiSB_iiiiilll,@function
_ZN12_GLOBAL__N_139chunk_gated_delta_rule_fwd_h_hip_kernelILi16ELb1ELb0ELb1ELb0ELb0ELb1ELb0ELb0EEEvPK12hip_bfloat16S3_S3_PKfS5_PKvPS1_S8_PvPKiSB_iiiiilll: ; @_ZN12_GLOBAL__N_139chunk_gated_delta_rule_fwd_h_hip_kernelILi16ELb1ELb0ELb1ELb0ELb0ELb1ELb0ELb0EEEvPK12hip_bfloat16S3_S3_PKfS5_PKvPS1_S8_PvPKiSB_iiiiilll
; %bb.0:
	s_load_dwordx4 s[12:15], s[0:1], 0x5c
	s_load_dwordx4 s[20:23], s[0:1], 0x70
	s_abs_i32 s6, s3
	s_ashr_i32 s5, s3, 31
	s_load_dwordx4 s[16:19], s[0:1], 0x28
	s_load_dwordx2 s[28:29], s[0:1], 0x38
	s_waitcnt lgkmcnt(0)
	s_abs_i32 s4, s13
	v_cvt_f32_u32_e32 v1, s4
	s_sub_i32 s8, 0, s4
	s_ashr_i32 s7, s13, 31
	s_xor_b32 s5, s5, s7
	v_rcp_iflag_f32_e32 v1, v1
	v_and_b32_e32 v64, 15, v0
	v_lshrrev_b32_e32 v62, 6, v0
	v_bfe_u32 v63, v0, 4, 2
	v_mul_f32_e32 v1, 0x4f7ffffe, v1
	v_cvt_u32_f32_e32 v1, v1
	v_mov_b32_e32 v5, 0
	v_and_b32_e32 v53, 63, v0
	v_lshrrev_b32_e32 v66, 3, v53
	v_readfirstlane_b32 s9, v1
	s_mul_i32 s8, s8, s9
	s_mul_hi_u32 s8, s9, s8
	s_add_i32 s9, s9, s8
	s_mul_hi_u32 s8, s6, s9
	s_mul_i32 s9, s8, s4
	s_sub_i32 s6, s6, s9
	s_add_i32 s10, s8, 1
	s_sub_i32 s9, s6, s4
	s_cmp_ge_u32 s6, s4
	s_cselect_b32 s8, s10, s8
	s_cselect_b32 s6, s9, s6
	s_add_i32 s9, s8, 1
	s_cmp_ge_u32 s6, s4
	s_cselect_b32 s6, s9, s8
	s_xor_b32 s6, s6, s5
	s_add_i32 s8, s12, 63
	s_sub_i32 s52, s6, s5
	s_ashr_i32 s9, s8, 31
	s_mul_i32 s5, s52, s13
	s_sub_i32 s50, s3, s5
	s_lshr_b32 s3, s9, 26
	s_add_i32 s8, s8, s3
	s_abs_i32 s3, s14
	v_cvt_f32_u32_e32 v1, s3
	s_ashr_i32 s51, s12, 31
	s_lshr_b32 s6, s51, 26
	s_add_i32 s6, s12, s6
	v_rcp_iflag_f32_e32 v1, v1
	s_ashr_i32 s55, s14, 31
	s_ashr_i32 s53, s6, 6
	s_lshl_b32 s38, s2, 4
	v_mul_f32_e32 v1, 0x4f7ffffe, v1
	v_cvt_u32_f32_e32 v1, v1
	s_xor_b32 s2, s7, s55
	s_sub_i32 s6, 0, s3
	s_ashr_i32 s25, s8, 6
	v_readfirstlane_b32 s7, v1
	s_mul_i32 s6, s6, s7
	s_mul_hi_u32 s6, s7, s6
	s_add_i32 s7, s7, s6
	s_mul_hi_u32 s6, s4, s7
	s_mul_i32 s7, s6, s3
	s_sub_i32 s4, s4, s7
	s_add_i32 s7, s6, 1
	s_sub_i32 s8, s4, s3
	s_cmp_ge_u32 s4, s3
	s_cselect_b32 s6, s7, s6
	s_cselect_b32 s4, s8, s4
	s_add_i32 s7, s6, 1
	s_cmp_ge_u32 s4, s3
	s_cselect_b32 s3, s7, s6
	s_xor_b32 s3, s3, s2
	s_sub_i32 s2, s3, s2
	s_abs_i32 s3, s2
	v_cvt_f32_u32_e32 v1, s3
	s_sub_i32 s6, 0, s3
	s_abs_i32 s4, s50
	s_xor_b32 s2, s50, s2
	v_rcp_iflag_f32_e32 v1, v1
	s_ashr_i32 s2, s2, 31
	v_or_b32_e32 v54, s38, v64
	v_lshlrev_b32_e32 v2, 7, v54
	v_mul_f32_e32 v1, 0x4f7ffffe, v1
	v_cvt_u32_f32_e32 v1, v1
	v_ashrrev_i32_e32 v3, 31, v2
	s_mul_i32 s57, s52, s25
	v_lshlrev_b32_e32 v65, 3, v0
	v_readfirstlane_b32 s7, v1
	s_mul_i32 s6, s6, s7
	s_mul_hi_u32 s6, s7, s6
	s_add_i32 s7, s7, s6
	s_mul_hi_u32 s6, s4, s7
	s_mul_i32 s7, s6, s3
	s_sub_i32 s4, s4, s7
	s_add_i32 s7, s6, 1
	s_sub_i32 s8, s4, s3
	s_cmp_ge_u32 s4, s3
	s_cselect_b32 s6, s7, s6
	s_cselect_b32 s4, s8, s4
	s_add_i32 s7, s6, 1
	s_cmp_ge_u32 s4, s3
	s_cselect_b32 s3, s7, s6
	s_xor_b32 s3, s3, s2
	s_sub_i32 s56, s3, s2
	s_ashr_i32 s24, s52, 31
	s_ashr_i32 s54, s50, 31
	s_mul_hi_i32 s2, s52, s13
	s_add_u32 s40, s5, s50
	s_addc_u32 s41, s2, s54
	s_lshl_b64 s[2:3], s[40:41], 16
	v_lshlrev_b32_e32 v1, 4, v62
	s_add_u32 s2, s16, s2
	v_lshl_or_b32 v67, v63, 2, v1
	s_addc_u32 s3, s17, s3
	v_lshl_add_u64 v[2:3], v[2:3], 2, s[2:3]
	v_lshlrev_b32_e32 v4, 2, v67
	v_lshl_add_u64 v[10:11], v[2:3], 0, v[4:5]
	global_load_dwordx4 v[6:9], v[10:11], off
	global_load_dwordx4 v[2:5], v[10:11], off offset:256
	s_load_dwordx8 s[4:11], s[0:1], 0x0
	s_load_dwordx2 s[30:31], s[0:1], 0x80
	v_or_b32_e32 v68, 64, v67
	s_cmp_lt_i32 s12, 64
	s_mul_i32 s58, s41, s12
	s_mul_hi_u32 s59, s40, s12
	s_mul_i32 s16, s40, s12
	s_mul_i32 s33, s52, s21
	s_mul_hi_u32 s46, s52, s20
	s_mul_i32 s47, s24, s20
	s_mul_i32 s36, s52, s20
	;; [unrolled: 1-line block ×3, first 2 shown]
	s_mul_hi_u32 s48, s50, s22
	s_mul_i32 s49, s54, s22
	s_mul_i32 s34, s50, s22
	s_cbranch_scc1 .LBB731_18
; %bb.1:
	s_add_i32 s17, s59, s58
	s_lshl_b64 s[2:3], s[16:17], 8
	v_and_b32_e32 v70, 56, v65
	s_waitcnt lgkmcnt(0)
	s_add_u32 s20, s6, s2
	v_lshl_or_b32 v69, v62, 3, v66
	v_lshlrev_b32_e32 v10, 1, v70
	s_addc_u32 s2, s7, s3
	v_lshl_or_b32 v71, v69, 8, v10
	s_and_b32 s21, s2, 0xffff
	s_mov_b32 s23, 0x20000
	s_movk_i32 s22, 0x4000
	s_movk_i32 s2, 0x80
	v_or_b32_e32 v72, 0x2000, v71
	buffer_load_dwordx4 v[12:15], v71, s[20:23], 0 offen
	buffer_load_dwordx4 v[16:19], v71, s[20:23], s2 offen
	;; [unrolled: 1-line block ×4, first 2 shown]
	v_lshlrev_b32_e32 v11, 3, v69
	v_and_or_b32 v29, v0, 7, v11
	v_and_b32_e32 v11, 0x78, v11
	v_lshlrev_b32_e32 v29, 4, v29
	v_xor_b32_e32 v73, v29, v11
	v_mul_lo_u32 v28, v69, s15
	v_or_b32_e32 v74, 0x1000, v73
	v_xor_b32_e32 v11, 8, v73
	s_cmpk_eq_i32 s15, 0x80
	s_mov_b32 s60, s14
	v_xor_b32_e32 v29, 8, v74
	s_cselect_b64 s[2:3], -1, 0
	s_cmpk_lg_i32 s15, 0x80
	s_waitcnt vmcnt(3)
	ds_write_b64 v73, v[12:13] offset:16384
	ds_write_b64 v11, v[14:15] offset:16384
	s_waitcnt vmcnt(2)
	ds_write_b64 v73, v[16:17] offset:24576
	ds_write_b64 v11, v[18:19] offset:24576
	;; [unrolled: 3-line block ×4, first 2 shown]
	v_lshl_add_u32 v11, v28, 1, v70
	s_cbranch_scc0 .LBB731_3
; %bb.2:
	v_lshlrev_b32_e32 v13, 1, v11
	v_add_lshl_u32 v12, v11, s15, 1
	s_lshl_b32 s22, s15, 7
	s_load_dwordx2 s[42:43], s[0:1], 0x20
	v_lshl_or_b32 v10, v69, 9, v10
	s_cbranch_execz .LBB731_4
	s_branch .LBB731_5
.LBB731_3:
                                        ; implicit-def: $vgpr12
                                        ; implicit-def: $vgpr13
                                        ; implicit-def: $sgpr22
	s_load_dwordx2 s[42:43], s[0:1], 0x20
	v_lshl_or_b32 v10, v69, 9, v10
.LBB731_4:
	v_or_b32_e32 v12, 0x100, v10
	s_movk_i32 s22, 0x4000
	v_mov_b32_e32 v13, v10
.LBB731_5:
	s_mul_hi_u32 s0, s14, s12
	s_mul_i32 s1, s55, s12
	s_add_i32 s0, s0, s1
	s_mul_i32 s1, s14, s12
	s_mul_i32 s20, s1, s24
	s_mul_hi_u32 s21, s1, s52
	s_add_i32 s20, s21, s20
	s_mul_i32 s0, s0, s52
	s_add_i32 s20, s20, s0
	s_mul_i32 s1, s1, s52
	s_ashr_i32 s61, s56, 31
	s_add_u32 s0, s1, s56
	s_addc_u32 s1, s20, s61
	s_lshl_b64 s[0:1], s[0:1], 8
	s_add_u32 s20, s4, s0
	s_addc_u32 s0, s5, s1
	s_and_b32 s21, s0, 0xffff
	s_movk_i32 s62, 0x80
	buffer_load_dwordx4 v[14:17], v13, s[20:23], 0 offen
	buffer_load_dwordx4 v[18:21], v13, s[20:23], s62 offen
	;; [unrolled: 1-line block ×4, first 2 shown]
	v_and_b32_e32 v12, 6, v0
	v_lshlrev_b32_e32 v30, 2, v64
	v_lshlrev_b32_e32 v31, 3, v64
	v_xor_b32_e32 v33, v69, v12
	v_and_b32_e32 v13, 1, v0
	s_mul_i32 s24, s24, s12
	s_mul_hi_u32 s0, s52, s12
	v_lshl_or_b32 v31, v67, 5, v31
	v_xor_b32_e32 v34, v67, v30
	v_lshlrev_b32_e32 v33, 2, v33
	v_or_b32_e32 v75, 0x9000, v31
	v_or_b32_e32 v76, 0x9800, v31
	v_lshlrev_b32_e32 v31, 1, v34
	v_xor_b32_e32 v34, 0x440, v33
	v_cmp_eq_u32_e32 vcc, 0, v13
	s_add_i32 s67, s0, s24
	s_add_i32 s0, s46, s33
	v_cndmask_b32_e32 v13, v34, v33, vcc
	s_add_i32 s1, s48, s41
	s_add_i32 s37, s0, s47
	s_mov_b32 s65, 0x1000504
	v_lshlrev_b32_e32 v32, 8, v64
	s_mov_b32 s20, 0x8000
	v_xor_b32_e32 v30, v68, v30
	v_lshl_or_b32 v12, v12, 10, v13
	s_add_i32 s35, s1, s49
	s_lshl_b64 s[0:1], s[36:37], 2
	s_mov_b32 s66, 0x3020706
	v_lshlrev_b32_e32 v30, 1, v30
	v_or3_b32 v77, v31, v32, s20
	v_xor_b32_e32 v13, 8, v12
	v_xor_b32_e32 v31, 24, v12
	;; [unrolled: 1-line block ×4, first 2 shown]
	s_add_u32 s21, s10, s0
	v_or3_b32 v78, v30, v32, s20
	v_xor_b32_e32 v30, 16, v12
	v_xor_b32_e32 v32, 32, v12
	;; [unrolled: 1-line block ×3, first 2 shown]
	v_add_u32_e32 v13, 0x80, v13
	v_add_u32_e32 v31, 0x80, v31
	;; [unrolled: 1-line block ×4, first 2 shown]
	s_addc_u32 s22, s11, s1
	s_lshl_b64 s[0:1], s[34:35], 2
	s_add_u32 s44, s21, s0
	s_movk_i32 s0, 0xf8
	s_addc_u32 s45, s22, s1
	s_ashr_i32 s39, s38, 31
	v_ashrrev_i32_e32 v55, 31, v54
	s_lshl_b32 s26, s15, 7
	s_mul_i32 s63, s52, s12
	s_mov_b32 s64, 0
	s_mov_b32 s37, 0x7060302
	s_movk_i32 s22, 0x4000
	v_mov_b32_e32 v98, 0x3fb8aa3b
	s_mov_b32 s68, 0
	s_waitcnt vmcnt(1)
	v_perm_b32 v36, v14, v22, s65
	s_waitcnt vmcnt(0)
	v_perm_b32 v37, v18, v26, s65
	v_perm_b32 v14, v14, v22, s66
	;; [unrolled: 1-line block ×15, first 2 shown]
	ds_write2st64_b32 v12, v36, v37 offset1:32
	ds_write2st64_b32 v13, v14, v18 offset1:32
	ds_write2st64_b32 v30, v22, v26 offset0:1 offset1:33
	ds_write2st64_b32 v31, v15, v19 offset0:1 offset1:33
	;; [unrolled: 1-line block ×6, first 2 shown]
	v_or_b32_e32 v12, v1, v64
	v_lshlrev_b32_e32 v12, 3, v12
	v_lshrrev_b32_e32 v14, 5, v53
	v_and_or_b32 v14, v12, s0, v14
	v_lshlrev_b32_e32 v14, 4, v14
	v_lshrrev_b32_e32 v13, 2, v53
	v_lshlrev_b32_e32 v21, 11, v62
	v_and_b32_e32 v12, 0x78, v12
	v_or_b32_e32 v17, 32, v14
	v_and_b32_e32 v20, 12, v13
	v_and_b32_e32 v13, 0x1000, v21
	v_lshrrev_b32_e32 v16, 1, v53
	v_xor_b32_e32 v17, v17, v12
	v_and_b32_e32 v16, 8, v16
	v_or_b32_e32 v17, v17, v13
	v_xor_b32_e32 v15, v14, v12
	v_xor_b32_e32 v81, v17, v16
	v_or_b32_e32 v17, 64, v14
	v_or_b32_e32 v14, 0x60, v14
	v_xor_b32_e32 v17, v17, v12
	v_xor_b32_e32 v12, v14, v12
	v_or_b32_e32 v15, v15, v13
	v_or_b32_e32 v17, v17, v13
	;; [unrolled: 1-line block ×3, first 2 shown]
	v_xor_b32_e32 v79, v15, v16
	v_xor_b32_e32 v82, v17, v16
	;; [unrolled: 1-line block ×3, first 2 shown]
	v_lshrrev_b32_e32 v16, 4, v0
	v_lshlrev_b32_e32 v17, 1, v64
	v_or_b32_e32 v18, 1, v17
	v_xor_b32_e32 v17, v16, v17
	s_lshl_b64 s[0:1], s[38:39], 8
	v_xor_b32_e32 v18, v18, v16
	v_lshlrev_b32_e32 v17, 3, v17
	v_lshlrev_b32_e32 v16, 8, v16
	v_lshlrev_b64 v[12:13], 1, v[54:55]
	s_add_u32 s0, s18, s0
	v_or3_b32 v55, v17, v16, s20
	v_lshlrev_b32_e32 v17, 3, v18
	s_addc_u32 s1, s19, s1
	v_or3_b32 v85, v17, v16, s20
	v_mov_b32_e32 v17, 0
	v_lshrrev_b32_e32 v27, 1, v0
	v_lshl_add_u64 v[18:19], s[0:1], 0, v[16:17]
	v_lshlrev_b32_e32 v16, 4, v64
	s_movk_i32 s0, 0xff
	v_lshlrev_b32_e32 v26, 3, v62
	v_and_b32_e32 v27, 24, v27
	v_lshl_add_u64 v[56:57], v[18:19], 0, v[16:17]
	v_and_b32_e32 v16, 7, v0
	v_and_b32_e32 v19, 8, v0
	v_cmp_lt_u32_e32 vcc, s0, v0
	v_xor_b32_e32 v28, v26, v27
	v_lshlrev_b32_e32 v24, 3, v16
	v_lshlrev_b32_e32 v25, 7, v16
	v_cndmask_b32_e64 v16, 0, 1, vcc
	v_or_b32_e32 v29, 0x440, v28
	v_cmp_eq_u32_e32 vcc, 0, v19
	v_or_b32_e32 v31, 64, v27
	v_xor_b32_e32 v31, v26, v31
	v_cndmask_b32_e32 v19, v29, v28, vcc
	v_or_b32_e32 v29, 32, v27
	v_or_b32_e32 v27, 0x60, v27
	v_xor_b32_e32 v29, v26, v29
	v_xor_b32_e32 v26, v26, v27
	v_or_b32_e32 v30, 0x440, v29
	v_xor_b32_e32 v32, 0x440, v31
	v_xor_b32_e32 v27, 0x440, v26
	v_cndmask_b32_e32 v29, v30, v29, vcc
	v_cndmask_b32_e32 v31, v32, v31, vcc
	;; [unrolled: 1-line block ×3, first 2 shown]
	v_and_b32_e32 v15, 0x78, v65
	v_or_b32_e32 v19, v19, v21
	v_or_b32_e32 v29, v29, v21
	;; [unrolled: 1-line block ×4, first 2 shown]
	v_lshl_or_b32 v15, v63, 7, v15
	v_lshlrev_b32_e32 v16, 13, v16
	v_xor_b32_e32 v19, v19, v24
	v_xor_b32_e32 v29, v29, v24
	;; [unrolled: 1-line block ×4, first 2 shown]
	v_or_b32_e32 v80, 0x9000, v15
	v_or_b32_e32 v84, 0x9800, v15
	v_lshl_add_u64 v[14:15], s[8:9], 0, v[12:13]
	v_lshl_add_u64 v[12:13], s[28:29], 0, v[12:13]
	v_lshlrev_b32_e32 v22, 1, v11
	v_add_lshl_u32 v11, v11, s15, 1
	v_or_b32_e32 v23, 0x100, v10
	v_or_b32_e32 v18, v20, v1
	v_add_u32_e32 v28, v16, v19
	v_add_u32_e32 v30, v16, v29
	v_add_u32_e32 v32, v16, v31
	v_add_u32_e32 v24, v16, v21
	v_or3_b32 v20, v1, v20, 64
	v_add_u32_e32 v19, 0x2000, v19
	v_add_u32_e32 v26, 0x2000, v29
	v_add_u32_e32 v27, 0x2000, v31
	v_add_u32_e32 v21, 0x2000, v21
	v_lshlrev_b32_e32 v16, 8, v67
	v_cndmask_b32_e64 v86, v22, v10, s[2:3]
	v_cndmask_b32_e64 v87, v11, v23, s[2:3]
	v_lshl_add_u64 v[58:59], v[14:15], 0, v[16:17]
	v_lshl_add_u64 v[60:61], v[12:13], 0, v[16:17]
	s_add_i32 s35, s63, 63
	v_lshlrev_b32_e32 v88, 2, v18
	v_add_u32_e32 v89, v28, v25
	v_add_u32_e32 v90, v30, v25
	;; [unrolled: 1-line block ×4, first 2 shown]
	v_lshlrev_b32_e32 v93, 2, v20
	v_add_u32_e32 v94, v19, v25
	v_add_u32_e32 v95, v26, v25
	v_add_u32_e32 v96, v27, v25
	v_add_u32_e32 v97, v21, v25
	s_waitcnt lgkmcnt(0)
	s_barrier
.LBB731_6:                              ; =>This Inner Loop Header: Depth=1
	s_add_i32 s39, s68, 1
	s_cmp_lt_i32 s39, s53
	s_mov_b64 s[24:25], 0
	s_cselect_b64 s[2:3], -1, 0
	s_cmp_ge_i32 s39, s53
	s_mov_b64 s[20:21], 0
	s_cbranch_scc1 .LBB731_8
; %bb.7:                                ;   in Loop: Header=BB731_6 Depth=1
	s_add_i32 s0, s64, 64
	s_add_u32 s0, s16, s0
	s_addc_u32 s1, s17, 0
	s_lshl_b64 s[0:1], s[0:1], 8
	s_add_u32 s20, s6, s0
	s_addc_u32 s21, s7, s1
.LBB731_8:                              ;   in Loop: Header=BB731_6 Depth=1
	v_cndmask_b32_e64 v10, 0, 1, s[2:3]
	v_cmp_ne_u32_e64 s[0:1], 1, v10
	s_andn2_b64 vcc, exec, s[2:3]
	s_cbranch_vccnz .LBB731_10
; %bb.9:                                ;   in Loop: Header=BB731_6 Depth=1
	s_add_i32 s2, s64, 64
	s_add_u32 s2, s63, s2
	s_addc_u32 s3, s67, 0
	s_mul_i32 s24, s2, s55
	s_mul_hi_u32 s25, s2, s60
	s_add_i32 s24, s25, s24
	s_mul_i32 s3, s3, s60
	s_add_i32 s24, s24, s3
	s_mul_i32 s2, s2, s60
	s_add_u32 s2, s2, s56
	s_addc_u32 s3, s24, s61
	s_lshl_b64 s[2:3], s[2:3], 8
	s_add_u32 s24, s4, s2
	s_addc_u32 s25, s5, s3
.LBB731_10:                             ;   in Loop: Header=BB731_6 Depth=1
	v_perm_b32 v11, v9, v8, s37
	v_perm_b32 v10, v7, v6, s37
	;; [unrolled: 1-line block ×4, first 2 shown]
	ds_write_b64 v75, v[10:11]
	ds_write_b64 v76, v[12:13]
	;; [unrolled: 1-line block ×4, first 2 shown]
	s_waitcnt lgkmcnt(0)
	s_barrier
	ds_read_b64 v[18:19], v79 offset:16384
	ds_read_b64 v[20:21], v81 offset:16384
	ds_read2st64_b64 v[10:13], v80 offset1:1
	ds_read2st64_b64 v[14:17], v80 offset0:2 offset1:3
	ds_read_b64 v[22:23], v82 offset:16384
	s_waitcnt lgkmcnt(2)
	v_mfma_f32_16x16x16_bf16 a[0:3], v[18:19], v[10:11], 0
	ds_read_b64 v[10:11], v83 offset:16384
	s_add_i32 s2, s64, 63
	s_mul_i32 s3, s2, s31
	v_mfma_f32_16x16x16_bf16 a[0:3], v[20:21], v[12:13], a[0:3]
	s_mul_hi_u32 s27, s2, s30
	s_add_i32 s3, s27, s3
	s_mul_i32 s2, s2, s30
	s_waitcnt lgkmcnt(1)
	v_mfma_f32_16x16x16_bf16 a[0:3], v[22:23], v[14:15], a[0:3]
	s_lshl_b64 s[2:3], s[2:3], 2
	s_add_u32 s2, s44, s2
	s_addc_u32 s3, s45, s3
	s_waitcnt lgkmcnt(0)
	v_mfma_f32_16x16x16_bf16 a[0:3], v[10:11], v[16:17], a[0:3]
	s_and_b64 vcc, exec, s[0:1]
	v_mov_b32_e32 v101, 0
	v_mov_b32_e32 v100, 0
	;; [unrolled: 1-line block ×19, first 2 shown]
	s_cbranch_vccnz .LBB731_12
; %bb.11:                               ;   in Loop: Header=BB731_6 Depth=1
	s_and_b32 s21, s21, 0xffff
	buffer_load_dwordx4 v[22:25], v71, s[20:23], 0 offen
	buffer_load_dwordx4 v[18:21], v71, s[20:23], s62 offen
	;; [unrolled: 1-line block ×4, first 2 shown]
	v_mov_b32_e32 v100, v73
	v_mov_b32_e32 v99, v74
.LBB731_12:                             ;   in Loop: Header=BB731_6 Depth=1
	v_add_u32_e32 v32, s64, v67
	v_ashrrev_i32_e32 v26, 31, v32
	v_mul_lo_u32 v28, v26, s30
	v_mul_lo_u32 v29, v32, s31
	v_mad_u64_u32 v[26:27], s[20:21], v32, s30, 0
	v_add3_u32 v27, v27, v29, v28
	v_add_u32_e32 v28, 1, v32
	v_ashrrev_i32_e32 v29, 31, v28
	v_mul_lo_u32 v30, v29, s30
	v_mul_lo_u32 v31, v28, s31
	v_mad_u64_u32 v[28:29], s[20:21], v28, s30, 0
	v_add3_u32 v29, v29, v31, v30
	v_add_u32_e32 v30, 2, v32
	v_ashrrev_i32_e32 v31, 31, v30
	v_mul_lo_u32 v33, v31, s30
	v_mul_lo_u32 v34, v30, s31
	v_mad_u64_u32 v[30:31], s[20:21], v30, s30, 0
	s_add_u32 s20, s16, s64
	v_add3_u32 v31, v31, v34, v33
	v_add_u32_e32 v34, 3, v32
	s_addc_u32 s21, s17, 0
	v_ashrrev_i32_e32 v32, 31, v34
	s_lshl_b64 s[20:21], s[20:21], 8
	v_lshl_add_u64 v[26:27], v[26:27], 2, s[44:45]
	v_mul_lo_u32 v35, v32, s30
	v_lshl_add_u64 v[32:33], v[58:59], 0, s[20:21]
	v_mul_lo_u32 v36, v34, s31
	global_load_ushort v42, v[32:33], off
	global_load_ushort v43, v[32:33], off offset:256
	global_load_ushort v44, v[32:33], off offset:512
	;; [unrolled: 1-line block ×3, first 2 shown]
	global_load_dword v46, v[26:27], off
	v_mad_u64_u32 v[26:27], s[70:71], v34, s30, 0
	v_lshl_add_u64 v[28:29], v[28:29], 2, s[44:45]
	v_add3_u32 v27, v27, v36, v35
	v_lshl_add_u64 v[30:31], v[30:31], 2, s[44:45]
	v_lshl_add_u64 v[26:27], v[26:27], 2, s[44:45]
	global_load_dword v47, v[28:29], off
	global_load_dword v48, v[30:31], off
	;; [unrolled: 1-line block ×3, first 2 shown]
	ds_read_b64 v[26:27], v79 offset:24576
	s_load_dword s2, s[2:3], 0x0
	ds_read_b64 v[36:37], v81 offset:24576
	ds_read2st64_b64 v[28:31], v84 offset1:1
	ds_read2st64_b64 v[32:35], v84 offset0:2 offset1:3
	ds_read_b64 v[38:39], v82 offset:24576
	ds_read_b64 v[40:41], v83 offset:24576
	s_waitcnt lgkmcnt(0)
	v_mfma_f32_16x16x16_bf16 a[0:3], v[26:27], v[28:29], a[0:3]
	v_mov_b32_e32 v102, 0
	v_mov_b32_e32 v26, 0
	;; [unrolled: 1-line block ×3, first 2 shown]
	v_mfma_f32_16x16x16_bf16 a[0:3], v[36:37], v[30:31], a[0:3]
	v_lshl_add_u64 v[36:37], v[60:61], 0, s[20:21]
	v_mov_b32_e32 v28, 0
	v_mov_b32_e32 v29, 0
	v_mfma_f32_16x16x16_bf16 a[0:3], v[38:39], v[32:33], a[0:3]
	v_mov_b32_e32 v30, 0
	v_mov_b32_e32 v31, 0
	v_mov_b32_e32 v32, 0
	v_mfma_f32_16x16x16_bf16 a[0:3], v[40:41], v[34:35], a[0:3]
	s_and_b64 vcc, exec, s[0:1]
	s_waitcnt vmcnt(7)
	v_lshlrev_b32_e32 v40, 16, v42
	s_nop 3
	v_accvgpr_read_b32 v39, a1
	v_accvgpr_read_b32 v35, a3
	;; [unrolled: 1-line block ×4, first 2 shown]
	s_waitcnt vmcnt(6)
	v_lshlrev_b32_e32 v41, 16, v43
	s_waitcnt vmcnt(4)
	v_lshlrev_b32_e32 v43, 16, v45
	v_lshlrev_b32_e32 v42, 16, v44
	s_waitcnt vmcnt(3)
	v_sub_f32_e32 v33, s2, v46
	v_pk_add_f32 v[38:39], v[40:41], v[38:39] neg_lo:[0,1] neg_hi:[0,1]
	v_pk_add_f32 v[34:35], v[42:43], v[34:35] neg_lo:[0,1] neg_hi:[0,1]
	v_mul_f32_e32 v33, 0x3fb8aa3b, v33
	s_waitcnt vmcnt(2)
	v_sub_f32_e32 v41, s2, v47
	s_waitcnt vmcnt(1)
	v_sub_f32_e32 v42, s2, v48
	;; [unrolled: 2-line block ×3, first 2 shown]
	v_exp_f32_e32 v40, v33
	v_mul_f32_e32 v33, 0x3fb8aa3b, v41
	v_mul_f32_e32 v42, 0x3fb8aa3b, v42
	;; [unrolled: 1-line block ×3, first 2 shown]
	v_exp_f32_e32 v41, v33
	v_exp_f32_e32 v42, v42
	;; [unrolled: 1-line block ×3, first 2 shown]
	global_store_short_d16_hi v[36:37], v38, off
	global_store_short_d16_hi v[36:37], v39, off offset:256
	global_store_short_d16_hi v[36:37], v34, off offset:512
	;; [unrolled: 1-line block ×3, first 2 shown]
	v_pk_mul_f32 v[36:37], v[40:41], v[38:39]
	v_pk_mul_f32 v[34:35], v[42:43], v[34:35]
	v_mov_b32_e32 v33, 0
	v_perm_b32 v35, v35, v34, s37
	v_perm_b32 v34, v37, v36, s37
	ds_write_b64 v76, v[34:35]
	v_mov_b32_e32 v34, 0
	v_mov_b32_e32 v35, 0
	;; [unrolled: 1-line block ×8, first 2 shown]
	s_cbranch_vccnz .LBB731_14
; %bb.13:                               ;   in Loop: Header=BB731_6 Depth=1
	s_and_b32 s25, s25, 0xffff
	s_mov_b32 s27, s23
	buffer_load_dwordx4 v[38:41], v86, s[24:27], 0 offen
	buffer_load_dwordx4 v[30:33], v86, s[24:27], s62 offen
	;; [unrolled: 1-line block ×4, first 2 shown]
	v_mov_b32_e32 v101, v70
	v_mov_b32_e32 v102, v69
.LBB731_14:                             ;   in Loop: Header=BB731_6 Depth=1
	s_waitcnt lgkmcnt(0)
	s_barrier
	ds_read_b64 v[42:43], v89
	ds_read_b64 v[48:49], v90
	ds_read2st64_b64 v[44:47], v84 offset1:1
	ds_read2st64_b64 v[104:107], v84 offset0:2 offset1:3
	ds_read_b64 v[50:51], v91
	ds_read_b64 v[112:113], v92
	s_add_i32 s3, s57, s68
	s_mul_hi_i32 s21, s3, s13
	s_mul_i32 s3, s3, s13
	s_waitcnt lgkmcnt(3)
	v_mfma_f32_16x16x16_bf16 a[0:3], v[42:43], v[44:45], 0
	ds_read_b64 v[42:43], v94
	s_add_u32 s20, s3, s50
	s_addc_u32 s21, s21, s54
	s_add_i32 s3, s35, s64
	v_mfma_f32_16x16x16_bf16 a[0:3], v[48:49], v[46:47], a[0:3]
	ds_read_b64 v[48:49], v95
	s_lshl_b64 s[20:21], s[20:21], 15
	s_mul_hi_i32 s25, s3, s13
	s_mul_i32 s3, s3, s13
	s_add_u32 s24, s3, s50
	s_addc_u32 s25, s25, s54
	s_lshl_b64 s[24:25], s[24:25], 9
	s_add_u32 s24, s42, s24
	s_waitcnt lgkmcnt(1)
	v_mfma_f32_16x16x16_bf16 a[4:7], v[42:43], v[44:45], 0
	s_addc_u32 s25, s43, s25
	s_and_b64 vcc, exec, s[0:1]
	v_mfma_f32_16x16x16_bf16 a[0:3], v[50:51], v[104:105], a[0:3]
	ds_read_b64 v[50:51], v96
	ds_read_b64 v[114:115], v97
	global_load_dwordx4 v[42:45], v93, s[24:25]
	s_waitcnt lgkmcnt(2)
	v_mfma_f32_16x16x16_bf16 a[4:7], v[48:49], v[46:47], a[4:7]
	global_load_dwordx4 v[46:49], v88, s[24:25]
	ds_read_b64 v[108:109], v55
	ds_read_b64 v[110:111], v85
	s_waitcnt lgkmcnt(3)
	v_mfma_f32_16x16x16_bf16 a[8:11], v[50:51], v[104:105], a[4:7]
	v_lshl_add_u64 v[50:51], v[56:57], 0, s[20:21]
	s_waitcnt lgkmcnt(0)
	global_store_dwordx4 v[50:51], v[108:111], off
	v_mfma_f32_16x16x16_bf16 a[4:7], v[112:113], v[106:107], a[0:3]
	s_waitcnt vmcnt(2)
	v_mov_b32_e32 v52, v45
	v_mfma_f32_16x16x16_bf16 a[0:3], v[114:115], v[106:107], a[8:11]
	v_mov_b32_e32 v51, v44
	v_mov_b32_e32 v50, v43
	s_cbranch_vccnz .LBB731_16
; %bb.15:                               ;   in Loop: Header=BB731_6 Depth=1
	v_lshrrev_b32_e32 v43, 3, v101
	v_and_b32_e32 v43, 6, v43
	v_xor_b32_e32 v44, v43, v102
	v_lshlrev_b32_e32 v44, 2, v44
	v_and_b32_e32 v45, 8, v101
	v_xor_b32_e32 v101, 0x440, v44
	v_cmp_eq_u32_e32 vcc, 0, v45
	v_perm_b32 v45, v30, v26, s65
	s_nop 0
	v_cndmask_b32_e32 v44, v101, v44, vcc
	v_lshl_or_b32 v43, v43, 10, v44
	v_perm_b32 v44, v38, v34, s65
	s_barrier
	ds_write2st64_b32 v43, v44, v45 offset1:32
	v_xor_b32_e32 v44, 8, v43
	v_perm_b32 v34, v38, v34, s66
	v_perm_b32 v26, v30, v26, s66
	v_add_u32_e32 v30, 0x80, v44
	ds_write2st64_b32 v30, v34, v26 offset1:32
	v_xor_b32_e32 v26, 16, v43
	v_perm_b32 v30, v39, v35, s65
	v_perm_b32 v34, v31, v27, s65
	ds_write2st64_b32 v26, v30, v34 offset0:1 offset1:33
	v_xor_b32_e32 v26, 24, v43
	v_perm_b32 v30, v39, v35, s66
	v_perm_b32 v27, v31, v27, s66
	v_add_u32_e32 v26, 0x80, v26
	ds_write2st64_b32 v26, v30, v27 offset0:1 offset1:33
	v_xor_b32_e32 v26, 32, v43
	v_perm_b32 v27, v40, v36, s65
	v_perm_b32 v30, v32, v28, s65
	ds_write2st64_b32 v26, v27, v30 offset0:2 offset1:34
	v_xor_b32_e32 v26, 40, v43
	v_perm_b32 v27, v40, v36, s66
	v_perm_b32 v28, v32, v28, s66
	v_add_u32_e32 v26, 0x80, v26
	ds_write2st64_b32 v26, v27, v28 offset0:2 offset1:34
	v_xor_b32_e32 v26, 48, v43
	v_perm_b32 v27, v41, v37, s65
	v_perm_b32 v28, v33, v29, s65
	ds_write2st64_b32 v26, v27, v28 offset0:3 offset1:35
	v_xor_b32_e32 v26, 56, v43
	v_perm_b32 v27, v41, v37, s66
	v_perm_b32 v28, v33, v29, s66
	v_add_u32_e32 v26, 0x80, v26
	ds_write2st64_b32 v26, v27, v28 offset0:3 offset1:35
	ds_write_b64 v100, v[22:23] offset:16384
	v_xor_b32_e32 v22, 8, v100
	ds_write_b64 v22, v[24:25] offset:16384
	ds_write_b64 v100, v[18:19] offset:24576
	;; [unrolled: 1-line block ×4, first 2 shown]
	v_xor_b32_e32 v14, 8, v99
	ds_write_b64 v14, v[16:17] offset:16384
	ds_write_b64 v99, v[10:11] offset:24576
	;; [unrolled: 1-line block ×3, first 2 shown]
.LBB731_16:                             ;   in Loop: Header=BB731_6 Depth=1
	v_mul_f32_e32 v14, s2, v98
	v_exp_f32_e32 v18, v14
	s_waitcnt vmcnt(1)
	v_mul_f32_e32 v14, 0x3fb8aa3b, v46
	v_exp_f32_e32 v20, v14
	v_mul_f32_e32 v14, 0x3fb8aa3b, v47
	v_exp_f32_e32 v21, v14
	;; [unrolled: 2-line block ×4, first 2 shown]
	v_accvgpr_read_b32 v13, a7
	v_accvgpr_read_b32 v11, a5
	;; [unrolled: 1-line block ×3, first 2 shown]
	v_pk_mul_f32 v[20:21], v[18:19], v[20:21] op_sel_hi:[0,1]
	v_pk_fma_f32 v[6:7], v[6:7], v[20:21], v[10:11]
	v_pk_mul_f32 v[10:11], v[18:19], v[22:23] op_sel_hi:[0,1]
	v_mul_f32_e32 v19, 0x3fb8aa3b, v42
	v_exp_f32_e32 v20, v19
	v_mul_f32_e32 v19, 0x3fb8aa3b, v50
	v_exp_f32_e32 v21, v19
	;; [unrolled: 2-line block ×4, first 2 shown]
	v_accvgpr_read_b32 v12, a6
	v_accvgpr_read_b32 v17, a3
	;; [unrolled: 1-line block ×4, first 2 shown]
	v_pk_fma_f32 v[8:9], v[8:9], v[10:11], v[12:13]
	v_pk_mul_f32 v[10:11], v[18:19], v[20:21] op_sel_hi:[0,1]
	v_accvgpr_read_b32 v16, a2
	v_pk_fma_f32 v[2:3], v[2:3], v[10:11], v[14:15]
	v_pk_mul_f32 v[10:11], v[18:19], v[22:23] op_sel_hi:[0,1]
	s_add_i32 s64, s64, 64
	s_cmp_eq_u32 s53, s39
	v_pk_fma_f32 v[4:5], v[4:5], v[10:11], v[16:17]
	s_cbranch_scc1 .LBB731_18
; %bb.17:                               ;   in Loop: Header=BB731_6 Depth=1
	s_mov_b32 s68, s39
	s_branch .LBB731_6
.LBB731_18:
	s_lshl_b32 s26, s53, 6
	s_sub_i32 s27, s12, s26
	s_cmp_gt_i32 s27, 0
	s_cbranch_scc0 .LBB731_75
; %bb.19:
	s_ashr_i32 s2, s26, 31
	s_cmpk_lg_i32 s15, 0x80
	s_cselect_b64 s[22:23], -1, 0
	s_and_b64 vcc, exec, s[22:23]
	s_cbranch_vccz .LBB731_21
; %bb.20:
	s_mul_i32 s1, s52, s12
	s_mul_hi_i32 s0, s52, s12
	s_add_u32 s1, s1, s26
	s_addc_u32 s0, s0, s2
	s_mul_i32 s3, s1, s55
	s_mul_hi_u32 s17, s1, s14
	s_add_i32 s3, s17, s3
	s_mul_i32 s0, s0, s14
	s_add_i32 s3, s3, s0
	s_mul_i32 s1, s1, s14
	s_ashr_i32 s0, s56, 31
	s_add_u32 s24, s1, s56
	s_addc_u32 s25, s3, s0
	s_cbranch_execz .LBB731_22
	s_branch .LBB731_23
.LBB731_21:
                                        ; implicit-def: $sgpr24_sgpr25
.LBB731_22:
	s_mul_hi_i32 s0, s52, s14
	s_mul_i32 s52, s52, s14
	s_ashr_i32 s1, s56, 31
	s_add_u32 s3, s52, s56
	s_addc_u32 s0, s0, s1
	s_mul_i32 s1, s3, s51
	s_mul_hi_u32 s14, s3, s12
	s_add_i32 s1, s14, s1
	s_mul_i32 s0, s0, s12
	s_add_i32 s1, s1, s0
	s_mul_i32 s3, s3, s12
	s_add_u32 s24, s3, s26
	s_addc_u32 s25, s1, s2
.LBB731_23:
	s_mul_i32 s0, s40, s51
	s_add_i32 s0, s59, s0
	s_add_i32 s3, s57, s53
	;; [unrolled: 1-line block ×3, first 2 shown]
	s_add_u32 s0, s16, s26
	s_addc_u32 s1, s1, s2
	s_mov_b32 s2, 0x7060302
	s_waitcnt vmcnt(0)
	v_perm_b32 v5, v5, v4, s2
	v_perm_b32 v4, v3, v2, s2
	v_lshlrev_b32_e32 v2, 3, v64
	s_lshl_b64 s[20:21], s[0:1], 8
	v_perm_b32 v9, v9, v8, s2
	v_perm_b32 v8, v7, v6, s2
	v_lshlrev_b32_e32 v34, 2, v64
	v_lshl_or_b32 v2, v67, 5, v2
	s_waitcnt lgkmcnt(0)
	s_add_u32 s0, s6, s20
	ds_write2st64_b64 v2, v[8:9], v[4:5] offset0:72 offset1:76
	v_xor_b32_e32 v2, v67, v34
	v_lshlrev_b32_e32 v3, 8, v64
	s_addc_u32 s1, s7, s21
	v_lshl_or_b32 v2, v2, 1, v3
	s_mul_hi_i32 s6, s3, s13
	s_mul_i32 s3, s3, s13
	ds_write_b64 v2, v[8:9] offset:32768
	v_xor_b32_e32 v2, v68, v34
	s_add_u32 s2, s3, s50
	v_lshl_or_b32 v2, v2, 1, v3
	s_addc_u32 s3, s6, s54
	v_lshlrev_b32_e32 v3, 1, v64
	ds_write_b64 v2, v[4:5] offset:32768
	v_lshrrev_b32_e32 v2, 4, v0
	s_ashr_i32 s39, s38, 31
	s_lshl_b64 s[2:3], s[2:3], 15
	v_or_b32_e32 v4, 1, v3
	s_add_u32 s6, s18, s2
	v_xor_b32_e32 v3, v2, v3
	v_xor_b32_e32 v4, v4, v2
	v_lshlrev_b32_e32 v6, 8, v2
	s_addc_u32 s7, s19, s3
	s_lshl_b64 s[2:3], s[38:39], 8
	v_lshl_or_b32 v2, v3, 3, v6
	v_lshl_or_b32 v4, v4, 3, v6
	s_waitcnt lgkmcnt(0)
	s_barrier
	s_add_u32 s2, s6, s2
	ds_read_b64 v[2:3], v2 offset:32768
	ds_read_b64 v[4:5], v4 offset:32768
	s_addc_u32 s3, s7, s3
	v_mov_b32_e32 v7, 0
	s_cmp_lg_u32 s27, 64
	v_lshl_add_u64 v[8:9], s[2:3], 0, v[6:7]
	v_lshlrev_b32_e32 v6, 4, v64
	s_cselect_b64 s[6:7], -1, 0
	v_lshl_or_b32 v35, v62, 3, v66
	s_mov_b32 s16, 0
	v_lshl_add_u64 v[6:7], v[8:9], 0, v[6:7]
	v_or_b32_e32 v19, 32, v35
	v_and_b32_e32 v18, 56, v65
	s_and_b64 vcc, exec, s[6:7]
	s_waitcnt lgkmcnt(0)
	global_store_dwordx4 v[6:7], v[2:5], off
	s_cbranch_vccz .LBB731_29
; %bb.24:
	s_mov_b32 s17, s16
	s_mov_b32 s18, s16
	;; [unrolled: 1-line block ×3, first 2 shown]
	v_mov_b64_e32 v[6:7], s[16:17]
	v_mov_b64_e32 v[8:9], s[18:19]
	v_mov_b64_e32 v[2:3], v[6:7]
	v_cmp_gt_i32_e32 vcc, s27, v35
	v_mov_b64_e32 v[4:5], v[8:9]
	s_and_saveexec_b64 s[2:3], vcc
	s_cbranch_execz .LBB731_26
; %bb.25:
	v_lshlrev_b32_e32 v2, 8, v35
	v_mov_b32_e32 v3, 0
	v_lshl_add_u64 v[4:5], s[0:1], 0, v[2:3]
	v_lshlrev_b32_e32 v2, 1, v18
	v_lshl_add_u64 v[10:11], v[4:5], 0, v[2:3]
	global_load_dwordx4 v[6:9], v[10:11], off
	global_load_dwordx4 v[2:5], v[10:11], off offset:128
.LBB731_26:
	s_or_b64 exec, exec, s[2:3]
	s_mov_b32 s17, s16
	s_mov_b32 s18, s16
	;; [unrolled: 1-line block ×3, first 2 shown]
	v_mov_b64_e32 v[14:15], s[16:17]
	v_mov_b64_e32 v[16:17], s[18:19]
	;; [unrolled: 1-line block ×3, first 2 shown]
	v_cmp_gt_i32_e32 vcc, s27, v19
	v_lshlrev_b32_e32 v20, 7, v19
	v_mov_b64_e32 v[12:13], v[16:17]
	s_and_saveexec_b64 s[2:3], vcc
	s_cbranch_execz .LBB731_28
; %bb.27:
	v_lshlrev_b32_e32 v10, 1, v20
	v_mov_b32_e32 v11, 0
	v_lshl_add_u64 v[12:13], s[0:1], 0, v[10:11]
	v_lshlrev_b32_e32 v10, 1, v18
	v_lshl_add_u64 v[22:23], v[12:13], 0, v[10:11]
	global_load_dwordx4 v[14:17], v[22:23], off
	global_load_dwordx4 v[10:13], v[22:23], off offset:128
.LBB731_28:
	s_or_b64 exec, exec, s[2:3]
	v_lshrrev_b32_e32 v21, 3, v18
	v_lshlrev_b32_e32 v22, 3, v35
	v_or_b32_e32 v21, v22, v21
	v_lshlrev_b32_e32 v21, 4, v21
	v_and_b32_e32 v22, 0x78, v22
	v_xor_b32_e32 v21, v21, v22
	s_branch .LBB731_31
.LBB731_29:
                                        ; implicit-def: $vgpr21
                                        ; implicit-def: $vgpr20
                                        ; implicit-def: $vgpr6_vgpr7_vgpr8_vgpr9
                                        ; implicit-def: $vgpr2_vgpr3_vgpr4_vgpr5
                                        ; implicit-def: $vgpr14_vgpr15_vgpr16_vgpr17
                                        ; implicit-def: $vgpr10_vgpr11_vgpr12_vgpr13
	s_cbranch_execz .LBB731_31
; %bb.30:
	s_waitcnt vmcnt(0)
	v_lshlrev_b32_e32 v2, 1, v18
	v_lshl_or_b32 v20, v35, 8, v2
	s_and_b32 s1, s1, 0xffff
	s_mov_b32 s3, 0x20000
	s_movk_i32 s2, 0x4000
	v_lshl_or_b32 v21, v19, 8, v2
	s_movk_i32 s13, 0x80
	buffer_load_dwordx4 v[6:9], v20, s[0:3], 0 offen
	buffer_load_dwordx4 v[2:5], v20, s[0:3], s13 offen
	;; [unrolled: 1-line block ×4, first 2 shown]
	v_lshrrev_b32_e32 v20, 3, v18
	v_lshlrev_b32_e32 v21, 3, v35
	v_or_b32_e32 v20, v21, v20
	v_lshlrev_b32_e32 v20, 4, v20
	v_and_b32_e32 v21, 0x78, v21
	v_xor_b32_e32 v21, v20, v21
	v_lshlrev_b32_e32 v20, 7, v19
.LBB731_31:
	s_lshl_b64 s[0:1], s[24:25], 8
	s_add_u32 s4, s4, s0
	s_movk_i32 s0, 0x1000
	v_and_or_b32 v19, v20, s0, v21
	s_waitcnt vmcnt(1)
	ds_write_b64 v21, v[6:7] offset:16384
	v_xor_b32_e32 v6, 8, v21
	ds_write_b64 v6, v[8:9] offset:16384
	s_waitcnt vmcnt(0)
	ds_write_b64 v21, v[2:3] offset:24576
	ds_write_b64 v6, v[4:5] offset:24576
	;; [unrolled: 1-line block ×3, first 2 shown]
	v_xor_b32_e32 v2, 8, v19
	ds_write_b64 v2, v[16:17] offset:16384
	ds_write_b64 v19, v[10:11] offset:24576
	;; [unrolled: 1-line block ×3, first 2 shown]
	v_or_b32_e32 v2, v1, v64
	s_addc_u32 s5, s5, s1
	s_add_i32 s0, s12, -1
	v_lshlrev_b32_e32 v2, 3, v2
	v_lshrrev_b32_e32 v4, 5, v53
	s_movk_i32 s12, 0xf8
	v_and_or_b32 v4, v2, s12, v4
	v_lshlrev_b32_e32 v3, 11, v62
	v_lshlrev_b32_e32 v12, 4, v4
	v_and_b32_e32 v13, 0x78, v2
	v_and_b32_e32 v14, 0x1000, v3
	v_lshlrev_b32_e32 v3, 2, v0
	v_xor_b32_e32 v2, v12, v13
	v_lshrrev_b32_e32 v4, 1, v53
	v_and_b32_e32 v3, 60, v3
	v_or_b32_e32 v2, v2, v14
	v_and_b32_e32 v15, 8, v4
	v_xor_b32_e32 v26, v2, v15
	v_lshl_or_b32 v2, v63, 6, v3
	v_lshlrev_b32_e32 v19, 1, v2
	v_or_b32_e32 v2, 32, v12
	v_xor_b32_e32 v2, v2, v13
	s_waitcnt lgkmcnt(0)
	s_barrier
	ds_read_b64 v[10:11], v26 offset:16384
	v_or_b32_e32 v2, v2, v14
	v_xor_b32_e32 v27, v2, v15
	v_or_b32_e32 v2, 64, v12
	v_xor_b32_e32 v2, v2, v13
	v_or_b32_e32 v2, v2, v14
	v_or_b32_e32 v12, 0x60, v12
	v_xor_b32_e32 v28, v2, v15
	ds_read2st64_b64 v[2:5], v19 offset0:72 offset1:73
	ds_read2st64_b64 v[6:9], v19 offset0:74 offset1:75
	v_xor_b32_e32 v16, v12, v13
	ds_read_b64 v[12:13], v27 offset:16384
	s_add_i32 s1, s46, s33
	s_waitcnt lgkmcnt(2)
	v_mfma_f32_16x16x16_bf16 a[0:3], v[10:11], v[2:3], 0
	s_add_i32 s37, s1, s47
	s_add_i32 s1, s48, s41
	;; [unrolled: 1-line block ×3, first 2 shown]
	s_ashr_i32 s1, s0, 31
	s_mul_i32 s2, s0, s31
	s_mul_hi_u32 s3, s0, s30
	s_add_i32 s2, s3, s2
	s_mul_i32 s1, s1, s30
	v_or_b32_e32 v14, v16, v14
	s_add_i32 s1, s2, s1
	s_lshl_b64 s[2:3], s[36:37], 2
	v_xor_b32_e32 v36, v14, v15
	ds_read_b64 v[14:15], v28 offset:16384
	ds_read_b64 v[16:17], v36 offset:16384
	s_waitcnt lgkmcnt(2)
	v_mfma_f32_16x16x16_bf16 a[0:3], v[12:13], v[4:5], a[0:3]
	s_add_u32 s10, s10, s2
	s_addc_u32 s11, s11, s3
	s_lshl_b64 s[2:3], s[34:35], 2
	s_mul_i32 s0, s0, s30
	s_add_u32 s10, s10, s2
	s_addc_u32 s11, s11, s3
	s_lshl_b64 s[0:1], s[0:1], 2
	s_waitcnt lgkmcnt(1)
	v_mfma_f32_16x16x16_bf16 a[0:3], v[14:15], v[6:7], a[0:3]
	s_add_u32 s0, s10, s0
	s_addc_u32 s1, s11, s1
	s_load_dword s12, s[0:1], 0x0
	s_waitcnt lgkmcnt(0)
	v_mfma_f32_16x16x16_bf16 a[0:3], v[16:17], v[8:9], a[0:3]
	s_and_b64 vcc, exec, s[22:23]
	s_cbranch_vccz .LBB731_42
; %bb.32:
	v_lshlrev_b32_e32 v20, 1, v35
	s_and_b64 vcc, exec, s[6:7]
	s_cbranch_vccz .LBB731_43
; %bb.33:
	v_cmp_gt_i32_e32 vcc, s27, v20
	v_mov_b32_e32 v6, 0
	v_mov_b32_e32 v2, 0
	;; [unrolled: 1-line block ×5, first 2 shown]
	s_and_saveexec_b64 s[0:1], vcc
	s_cbranch_execz .LBB731_35
; %bb.34:
	v_mad_i64_i32 v[2:3], s[2:3], s15, v20, 0
	v_lshl_add_u64 v[2:3], v[2:3], 1, s[4:5]
	v_lshlrev_b32_e32 v4, 1, v18
	v_mov_b32_e32 v5, 0
	v_lshl_add_u64 v[2:3], v[2:3], 0, v[4:5]
	global_load_dwordx4 v[2:5], v[2:3], off
.LBB731_35:
	s_or_b64 exec, exec, s[0:1]
	v_or_b32_e32 v21, 1, v20
	v_cmp_gt_i32_e64 s[0:1], s27, v21
	v_mov_b32_e32 v7, 0
	v_mov_b32_e32 v8, 0
	;; [unrolled: 1-line block ×3, first 2 shown]
	s_and_saveexec_b64 s[2:3], s[0:1]
	s_cbranch_execz .LBB731_37
; %bb.36:
	v_mad_i64_i32 v[6:7], s[16:17], s15, v21, 0
	v_lshl_add_u64 v[6:7], v[6:7], 1, s[4:5]
	v_lshlrev_b32_e32 v8, 1, v18
	v_mov_b32_e32 v9, 0
	v_lshl_add_u64 v[6:7], v[6:7], 0, v[8:9]
	global_load_dwordx4 v[6:9], v[6:7], off
.LBB731_37:
	s_or_b64 exec, exec, s[2:3]
	v_mov_b32_e32 v17, 0
	v_mov_b32_e32 v10, 0
	;; [unrolled: 1-line block ×5, first 2 shown]
	s_and_saveexec_b64 s[2:3], vcc
	s_cbranch_execz .LBB731_39
; %bb.38:
	v_mad_i64_i32 v[10:11], s[16:17], s15, v20, 0
	v_lshl_add_u64 v[10:11], v[10:11], 1, s[4:5]
	v_lshlrev_b32_e32 v12, 1, v18
	v_mov_b32_e32 v13, 0
	v_lshl_add_u64 v[10:11], v[10:11], 0, v[12:13]
	global_load_dwordx4 v[10:13], v[10:11], off offset:128
.LBB731_39:
	s_or_b64 exec, exec, s[2:3]
	v_mov_b32_e32 v16, 0
	v_mov_b32_e32 v15, 0
	;; [unrolled: 1-line block ×3, first 2 shown]
	s_and_saveexec_b64 s[2:3], s[0:1]
	s_cbranch_execz .LBB731_41
; %bb.40:
	v_mad_i64_i32 v[14:15], s[0:1], s15, v21, 0
	v_lshl_add_u64 v[14:15], v[14:15], 1, s[4:5]
	v_lshlrev_b32_e32 v16, 1, v18
	v_mov_b32_e32 v17, 0
	v_lshl_add_u64 v[14:15], v[14:15], 0, v[16:17]
	global_load_dwordx4 v[14:17], v[14:15], off offset:128
.LBB731_41:
	s_or_b64 exec, exec, s[2:3]
	s_branch .LBB731_45
.LBB731_42:
                                        ; implicit-def: $vgpr5
                                        ; implicit-def: $vgpr9
                                        ; implicit-def: $vgpr13
                                        ; implicit-def: $vgpr17
	v_lshrrev_b32_e32 v37, 2, v53
	s_branch .LBB731_46
.LBB731_43:
                                        ; implicit-def: $vgpr5
                                        ; implicit-def: $vgpr9
                                        ; implicit-def: $vgpr13
                                        ; implicit-def: $vgpr17
	s_cbranch_execz .LBB731_45
; %bb.44:
	s_waitcnt vmcnt(0)
	v_mad_u64_u32 v[2:3], s[0:1], v20, s15, v[18:19]
	v_lshlrev_b32_e32 v20, 1, v2
	s_lshl_b32 s2, s15, 7
	s_and_b32 s1, s5, 0xffff
	s_mov_b32 s3, 0x20000
	s_mov_b32 s0, s4
	v_add_lshl_u32 v21, v2, s15, 1
	s_movk_i32 s13, 0x80
	buffer_load_dwordx4 v[2:5], v20, s[0:3], 0 offen
	buffer_load_dwordx4 v[10:13], v20, s[0:3], s13 offen
	;; [unrolled: 1-line block ×4, first 2 shown]
.LBB731_45:
	v_lshrrev_b32_e32 v37, 2, v53
	s_cbranch_execnz .LBB731_58
.LBB731_46:
	s_and_b64 vcc, exec, s[6:7]
	s_cbranch_vccz .LBB731_56
; %bb.47:
	s_waitcnt vmcnt(0)
	v_lshlrev_b32_e32 v7, 1, v35
	v_cmp_gt_i32_e32 vcc, s27, v7
	v_mov_b32_e32 v6, 0
	v_lshlrev_b32_e32 v14, 9, v35
	v_mov_b32_e32 v2, 0
	v_mov_b32_e32 v3, 0
	;; [unrolled: 1-line block ×4, first 2 shown]
	s_and_saveexec_b64 s[0:1], vcc
	s_cbranch_execz .LBB731_49
; %bb.48:
	v_mov_b32_e32 v15, 0
	v_lshl_add_u64 v[2:3], s[4:5], 0, v[14:15]
	v_lshlrev_b32_e32 v4, 1, v18
	v_mov_b32_e32 v5, v15
	v_lshl_add_u64 v[2:3], v[2:3], 0, v[4:5]
	global_load_dwordx4 v[2:5], v[2:3], off
.LBB731_49:
	s_or_b64 exec, exec, s[0:1]
	v_or_b32_e32 v7, 1, v7
	v_cmp_gt_i32_e64 s[0:1], s27, v7
	v_lshlrev_b32_e32 v20, 8, v7
	v_mov_b32_e32 v7, 0
	v_mov_b32_e32 v8, 0
	;; [unrolled: 1-line block ×3, first 2 shown]
	s_and_saveexec_b64 s[2:3], s[0:1]
	s_cbranch_execz .LBB731_51
; %bb.50:
	v_mov_b32_e32 v21, 0
	v_lshl_add_u64 v[6:7], s[4:5], 0, v[20:21]
	v_lshlrev_b32_e32 v8, 1, v18
	v_mov_b32_e32 v9, v21
	v_lshl_add_u64 v[6:7], v[6:7], 0, v[8:9]
	global_load_dwordx4 v[6:9], v[6:7], off
.LBB731_51:
	s_or_b64 exec, exec, s[2:3]
	v_mov_b32_e32 v17, 0
	v_mov_b32_e32 v10, 0
	;; [unrolled: 1-line block ×5, first 2 shown]
	s_and_saveexec_b64 s[2:3], vcc
	s_cbranch_execz .LBB731_53
; %bb.52:
	v_mov_b32_e32 v15, 0
	v_lshl_add_u64 v[10:11], s[4:5], 0, v[14:15]
	v_lshlrev_b32_e32 v14, 1, v18
	v_lshl_add_u64 v[10:11], v[10:11], 0, v[14:15]
	global_load_dwordx4 v[10:13], v[10:11], off offset:128
.LBB731_53:
	s_or_b64 exec, exec, s[2:3]
	v_mov_b32_e32 v16, 0
	v_mov_b32_e32 v15, 0
	;; [unrolled: 1-line block ×3, first 2 shown]
	s_and_saveexec_b64 s[2:3], s[0:1]
	s_cbranch_execz .LBB731_55
; %bb.54:
	v_mov_b32_e32 v21, 0
	v_lshl_add_u64 v[14:15], s[4:5], 0, v[20:21]
	v_lshlrev_b32_e32 v20, 1, v18
	v_lshl_add_u64 v[14:15], v[14:15], 0, v[20:21]
	global_load_dwordx4 v[14:17], v[14:15], off offset:128
.LBB731_55:
	s_or_b64 exec, exec, s[2:3]
	s_branch .LBB731_58
.LBB731_56:
                                        ; implicit-def: $vgpr5
                                        ; implicit-def: $vgpr9
                                        ; implicit-def: $vgpr13
                                        ; implicit-def: $vgpr17
	s_cbranch_execz .LBB731_58
; %bb.57:
	s_waitcnt vmcnt(0)
	v_lshlrev_b32_e32 v2, 1, v18
	v_lshl_or_b32 v18, v35, 9, v2
	s_and_b32 s5, s5, 0xffff
	s_mov_b32 s7, 0x20000
	s_movk_i32 s6, 0x4000
	s_movk_i32 s0, 0x80
	buffer_load_dwordx4 v[2:5], v18, s[4:7], 0 offen
	buffer_load_dwordx4 v[6:9], v18, s[4:7], 0 offen offset:256
	buffer_load_dwordx4 v[10:13], v18, s[4:7], s0 offen
	buffer_load_dwordx4 v[14:17], v18, s[4:7], s0 offen offset:256
.LBB731_58:
	ds_read2st64_b64 v[22:25], v19 offset0:76 offset1:77
	ds_read2st64_b64 v[18:21], v19 offset0:78 offset1:79
	ds_read_b64 v[32:33], v26 offset:24576
	ds_read_b64 v[30:31], v27 offset:24576
	;; [unrolled: 1-line block ×4, first 2 shown]
	v_and_b32_e32 v36, 6, v0
	v_xor_b32_e32 v35, v35, v36
	v_lshlrev_b32_e32 v35, 2, v35
	v_and_b32_e32 v0, 1, v0
	v_xor_b32_e32 v38, 0x440, v35
	v_cmp_eq_u32_e32 vcc, 0, v0
	s_mov_b32 s0, 0x1000504
	s_mov_b32 s1, 0x3020706
	v_cndmask_b32_e32 v0, v38, v35, vcc
	v_lshl_or_b32 v0, v36, 10, v0
	s_waitcnt vmcnt(0)
	v_perm_b32 v35, v2, v6, s0
	v_perm_b32 v36, v10, v14, s0
	ds_write2st64_b32 v0, v35, v36 offset1:32
	v_xor_b32_e32 v35, 8, v0
	v_perm_b32 v2, v2, v6, s1
	v_perm_b32 v6, v10, v14, s1
	v_add_u32_e32 v10, 0x80, v35
	ds_write2st64_b32 v10, v2, v6 offset1:32
	v_xor_b32_e32 v2, 16, v0
	v_perm_b32 v6, v3, v7, s0
	v_perm_b32 v10, v11, v15, s0
	ds_write2st64_b32 v2, v6, v10 offset0:1 offset1:33
	v_xor_b32_e32 v2, 24, v0
	v_perm_b32 v3, v3, v7, s1
	v_perm_b32 v6, v11, v15, s1
	v_add_u32_e32 v2, 0x80, v2
	ds_write2st64_b32 v2, v3, v6 offset0:1 offset1:33
	v_xor_b32_e32 v2, 32, v0
	v_perm_b32 v3, v4, v8, s0
	v_perm_b32 v6, v12, v16, s0
	ds_write2st64_b32 v2, v3, v6 offset0:2 offset1:34
	v_xor_b32_e32 v2, 40, v0
	v_perm_b32 v3, v4, v8, s1
	v_perm_b32 v4, v12, v16, s1
	v_add_u32_e32 v2, 0x80, v2
	ds_write2st64_b32 v2, v3, v4 offset0:2 offset1:34
	v_xor_b32_e32 v2, 48, v0
	v_perm_b32 v3, v5, v9, s0
	v_perm_b32 v4, v13, v17, s0
	v_xor_b32_e32 v0, 56, v0
	v_and_or_b32 v8, v37, 12, v1
	ds_write2st64_b32 v2, v3, v4 offset0:3 offset1:35
	v_perm_b32 v2, v5, v9, s1
	v_perm_b32 v3, v13, v17, s1
	v_add_u32_e32 v0, 0x80, v0
	v_cmp_gt_i32_e32 vcc, s27, v8
	v_mov_b32_e32 v9, 0
	v_mov_b32_e32 v14, 0
	ds_write2st64_b32 v0, v2, v3 offset0:3 offset1:35
	s_and_saveexec_b64 s[0:1], vcc
	s_cbranch_execz .LBB731_60
; %bb.59:
	v_add_u32_e32 v0, s26, v8
	v_ashrrev_i32_e32 v1, 31, v0
	v_mul_lo_u32 v2, v1, s30
	v_mul_lo_u32 v3, v0, s31
	v_mad_u64_u32 v[0:1], s[2:3], v0, s30, 0
	v_add3_u32 v1, v1, v3, v2
	v_lshl_add_u64 v[0:1], v[0:1], 2, s[10:11]
	global_load_dword v0, v[0:1], off
	s_waitcnt vmcnt(0)
	v_sub_f32_e32 v0, s12, v0
	v_mul_f32_e32 v0, 0x3fb8aa3b, v0
	v_exp_f32_e32 v14, v0
.LBB731_60:
	s_or_b64 exec, exec, s[0:1]
	v_or_b32_e32 v12, 1, v8
	v_cmp_gt_i32_e64 s[2:3], s27, v12
	s_and_saveexec_b64 s[0:1], s[2:3]
	s_cbranch_execz .LBB731_62
; %bb.61:
	v_add_u32_e32 v0, s26, v12
	v_ashrrev_i32_e32 v1, 31, v0
	v_mul_lo_u32 v2, v1, s30
	v_mul_lo_u32 v3, v0, s31
	v_mad_u64_u32 v[0:1], s[4:5], v0, s30, 0
	v_add3_u32 v1, v1, v3, v2
	v_lshl_add_u64 v[0:1], v[0:1], 2, s[10:11]
	global_load_dword v0, v[0:1], off
	s_waitcnt vmcnt(0)
	v_sub_f32_e32 v0, s12, v0
	v_mul_f32_e32 v0, 0x3fb8aa3b, v0
	v_exp_f32_e32 v9, v0
.LBB731_62:
	s_or_b64 exec, exec, s[0:1]
	v_or_b32_e32 v11, 2, v8
	v_cmp_gt_i32_e64 s[0:1], s27, v11
	v_mov_b32_e32 v10, 0
	v_mov_b32_e32 v15, 0
	s_and_saveexec_b64 s[4:5], s[0:1]
	s_cbranch_execz .LBB731_64
; %bb.63:
	v_add_u32_e32 v0, s26, v11
	v_ashrrev_i32_e32 v1, 31, v0
	v_mul_lo_u32 v2, v1, s30
	v_mul_lo_u32 v3, v0, s31
	v_mad_u64_u32 v[0:1], s[6:7], v0, s30, 0
	v_add3_u32 v1, v1, v3, v2
	v_lshl_add_u64 v[0:1], v[0:1], 2, s[10:11]
	global_load_dword v0, v[0:1], off
	s_waitcnt vmcnt(0)
	v_sub_f32_e32 v0, s12, v0
	v_mul_f32_e32 v0, 0x3fb8aa3b, v0
	v_exp_f32_e32 v15, v0
.LBB731_64:
	s_or_b64 exec, exec, s[4:5]
	v_or_b32_e32 v13, 3, v8
	v_cmp_gt_i32_e64 s[4:5], s27, v13
	s_and_saveexec_b64 s[6:7], s[4:5]
	s_cbranch_execz .LBB731_66
; %bb.65:
	v_add_u32_e32 v0, s26, v13
	v_ashrrev_i32_e32 v1, 31, v0
	v_mul_lo_u32 v2, v1, s30
	v_mul_lo_u32 v3, v0, s31
	v_mad_u64_u32 v[0:1], s[14:15], v0, s30, 0
	v_add3_u32 v1, v1, v3, v2
	v_lshl_add_u64 v[0:1], v[0:1], 2, s[10:11]
	global_load_dword v0, v[0:1], off
	s_waitcnt vmcnt(0)
	v_sub_f32_e32 v0, s12, v0
	v_mul_f32_e32 v0, 0x3fb8aa3b, v0
	v_exp_f32_e32 v10, v0
.LBB731_66:
	s_or_b64 exec, exec, s[6:7]
	s_waitcnt lgkmcnt(11)
	v_mfma_f32_16x16x16_bf16 a[0:3], v[32:33], v[22:23], a[0:3]
	s_add_u32 s6, s8, s20
	v_ashrrev_i32_e32 v55, 31, v54
	s_addc_u32 s7, s9, s21
	s_waitcnt lgkmcnt(10)
	v_mfma_f32_16x16x16_bf16 a[0:3], v[30:31], v[24:25], a[0:3]
	v_lshlrev_b64 v[0:1], 1, v[54:55]
	v_lshl_add_u64 v[4:5], s[6:7], 0, v[0:1]
	s_add_u32 s6, s28, s20
	s_waitcnt lgkmcnt(9)
	v_mfma_f32_16x16x16_bf16 a[0:3], v[28:29], v[18:19], a[0:3]
	s_addc_u32 s7, s29, s21
	v_lshl_add_u64 v[6:7], s[6:7], 0, v[0:1]
	v_mov_b32_e32 v16, 0
	s_waitcnt lgkmcnt(8)
	v_mfma_f32_16x16x16_bf16 a[0:3], v[26:27], v[20:21], a[0:3]
	v_mov_b32_e32 v17, 0
	s_nop 5
	v_accvgpr_read_b32 v0, a0
	v_accvgpr_read_b32 v1, a1
	;; [unrolled: 1-line block ×4, first 2 shown]
	s_and_saveexec_b64 s[6:7], vcc
	s_cbranch_execz .LBB731_68
; %bb.67:
	v_lshlrev_b32_e32 v18, 8, v8
	v_mov_b32_e32 v19, 0
	v_lshl_add_u64 v[20:21], v[4:5], 0, v[18:19]
	global_load_ushort v17, v[20:21], off
	v_lshl_add_u64 v[18:19], v[6:7], 0, v[18:19]
	s_waitcnt vmcnt(0)
	v_lshlrev_b32_e32 v17, 16, v17
	v_sub_f32_e32 v0, v17, v0
	global_store_short_d16_hi v[18:19], v0, off
	v_mul_f32_e32 v0, v14, v0
	v_lshrrev_b32_e32 v17, 16, v0
.LBB731_68:
	s_or_b64 exec, exec, s[6:7]
	s_and_saveexec_b64 s[6:7], s[2:3]
	s_cbranch_execz .LBB731_70
; %bb.69:
	v_lshlrev_b32_e32 v18, 8, v12
	v_mov_b32_e32 v19, 0
	v_lshl_add_u64 v[20:21], v[4:5], 0, v[18:19]
	global_load_ushort v0, v[20:21], off
	v_lshl_add_u64 v[18:19], v[6:7], 0, v[18:19]
	s_waitcnt vmcnt(0)
	v_lshlrev_b32_e32 v0, 16, v0
	v_sub_f32_e32 v0, v0, v1
	global_store_short_d16_hi v[18:19], v0, off
	v_mul_f32_e32 v0, v9, v0
	v_lshrrev_b32_e32 v16, 16, v0
.LBB731_70:
	s_or_b64 exec, exec, s[6:7]
	v_mov_b32_e32 v0, 0
	v_mov_b32_e32 v1, 0
	s_and_saveexec_b64 s[2:3], s[0:1]
	s_cbranch_execz .LBB731_72
; %bb.71:
	v_lshlrev_b32_e32 v18, 8, v11
	v_mov_b32_e32 v19, 0
	v_lshl_add_u64 v[20:21], v[4:5], 0, v[18:19]
	global_load_ushort v1, v[20:21], off
	v_lshl_add_u64 v[18:19], v[6:7], 0, v[18:19]
	s_waitcnt vmcnt(0)
	v_lshlrev_b32_e32 v1, 16, v1
	v_sub_f32_e32 v1, v1, v2
	global_store_short_d16_hi v[18:19], v1, off
	v_mul_f32_e32 v1, v15, v1
	v_lshrrev_b32_e32 v1, 16, v1
.LBB731_72:
	s_or_b64 exec, exec, s[2:3]
	s_and_saveexec_b64 s[0:1], s[4:5]
	s_cbranch_execz .LBB731_74
; %bb.73:
	v_lshlrev_b32_e32 v12, 8, v13
	v_mov_b32_e32 v13, 0
	v_lshl_add_u64 v[4:5], v[4:5], 0, v[12:13]
	global_load_ushort v0, v[4:5], off
	v_lshl_add_u64 v[4:5], v[6:7], 0, v[12:13]
	s_waitcnt vmcnt(0)
	v_lshlrev_b32_e32 v0, 16, v0
	v_sub_f32_e32 v0, v0, v3
	global_store_short_d16_hi v[4:5], v0, off
	v_mul_f32_e32 v0, v10, v0
	v_lshrrev_b32_e32 v0, 16, v0
.LBB731_74:
	s_or_b64 exec, exec, s[0:1]
	s_mov_b32 s0, 0x5040100
	v_lshlrev_b32_e32 v2, 1, v34
	v_perm_b32 v1, v0, v1, s0
	v_perm_b32 v0, v16, v17, s0
	v_lshl_or_b32 v2, v8, 5, v2
	ds_write_b64 v2, v[0:1] offset:38912
	s_waitcnt lgkmcnt(0)
	s_barrier
.LBB731_75:
	s_endpgm
	.section	.rodata,"a",@progbits
	.p2align	6, 0x0
	.amdhsa_kernel _ZN12_GLOBAL__N_139chunk_gated_delta_rule_fwd_h_hip_kernelILi16ELb1ELb0ELb1ELb0ELb0ELb1ELb0ELb0EEEvPK12hip_bfloat16S3_S3_PKfS5_PKvPS1_S8_PvPKiSB_iiiiilll
		.amdhsa_group_segment_fixed_size 40960
		.amdhsa_private_segment_fixed_size 0
		.amdhsa_kernarg_size 136
		.amdhsa_user_sgpr_count 2
		.amdhsa_user_sgpr_dispatch_ptr 0
		.amdhsa_user_sgpr_queue_ptr 0
		.amdhsa_user_sgpr_kernarg_segment_ptr 1
		.amdhsa_user_sgpr_dispatch_id 0
		.amdhsa_user_sgpr_kernarg_preload_length 0
		.amdhsa_user_sgpr_kernarg_preload_offset 0
		.amdhsa_user_sgpr_private_segment_size 0
		.amdhsa_uses_dynamic_stack 0
		.amdhsa_enable_private_segment 0
		.amdhsa_system_sgpr_workgroup_id_x 1
		.amdhsa_system_sgpr_workgroup_id_y 1
		.amdhsa_system_sgpr_workgroup_id_z 0
		.amdhsa_system_sgpr_workgroup_info 0
		.amdhsa_system_vgpr_workitem_id 0
		.amdhsa_next_free_vgpr 128
		.amdhsa_next_free_sgpr 72
		.amdhsa_accum_offset 116
		.amdhsa_reserve_vcc 1
		.amdhsa_float_round_mode_32 0
		.amdhsa_float_round_mode_16_64 0
		.amdhsa_float_denorm_mode_32 3
		.amdhsa_float_denorm_mode_16_64 3
		.amdhsa_dx10_clamp 1
		.amdhsa_ieee_mode 1
		.amdhsa_fp16_overflow 0
		.amdhsa_tg_split 0
		.amdhsa_exception_fp_ieee_invalid_op 0
		.amdhsa_exception_fp_denorm_src 0
		.amdhsa_exception_fp_ieee_div_zero 0
		.amdhsa_exception_fp_ieee_overflow 0
		.amdhsa_exception_fp_ieee_underflow 0
		.amdhsa_exception_fp_ieee_inexact 0
		.amdhsa_exception_int_div_zero 0
	.end_amdhsa_kernel
	.section	.text._ZN12_GLOBAL__N_139chunk_gated_delta_rule_fwd_h_hip_kernelILi16ELb1ELb0ELb1ELb0ELb0ELb1ELb0ELb0EEEvPK12hip_bfloat16S3_S3_PKfS5_PKvPS1_S8_PvPKiSB_iiiiilll,"axG",@progbits,_ZN12_GLOBAL__N_139chunk_gated_delta_rule_fwd_h_hip_kernelILi16ELb1ELb0ELb1ELb0ELb0ELb1ELb0ELb0EEEvPK12hip_bfloat16S3_S3_PKfS5_PKvPS1_S8_PvPKiSB_iiiiilll,comdat
.Lfunc_end731:
	.size	_ZN12_GLOBAL__N_139chunk_gated_delta_rule_fwd_h_hip_kernelILi16ELb1ELb0ELb1ELb0ELb0ELb1ELb0ELb0EEEvPK12hip_bfloat16S3_S3_PKfS5_PKvPS1_S8_PvPKiSB_iiiiilll, .Lfunc_end731-_ZN12_GLOBAL__N_139chunk_gated_delta_rule_fwd_h_hip_kernelILi16ELb1ELb0ELb1ELb0ELb0ELb1ELb0ELb0EEEvPK12hip_bfloat16S3_S3_PKfS5_PKvPS1_S8_PvPKiSB_iiiiilll
                                        ; -- End function
	.section	.AMDGPU.csdata,"",@progbits
; Kernel info:
; codeLenInByte = 7568
; NumSgprs: 78
; NumVgprs: 116
; NumAgprs: 12
; TotalNumVgprs: 128
; ScratchSize: 0
; MemoryBound: 0
; FloatMode: 240
; IeeeMode: 1
; LDSByteSize: 40960 bytes/workgroup (compile time only)
; SGPRBlocks: 9
; VGPRBlocks: 15
; NumSGPRsForWavesPerEU: 78
; NumVGPRsForWavesPerEU: 128
; AccumOffset: 116
; Occupancy: 1
; WaveLimiterHint : 1
; COMPUTE_PGM_RSRC2:SCRATCH_EN: 0
; COMPUTE_PGM_RSRC2:USER_SGPR: 2
; COMPUTE_PGM_RSRC2:TRAP_HANDLER: 0
; COMPUTE_PGM_RSRC2:TGID_X_EN: 1
; COMPUTE_PGM_RSRC2:TGID_Y_EN: 1
; COMPUTE_PGM_RSRC2:TGID_Z_EN: 0
; COMPUTE_PGM_RSRC2:TIDIG_COMP_CNT: 0
; COMPUTE_PGM_RSRC3_GFX90A:ACCUM_OFFSET: 28
; COMPUTE_PGM_RSRC3_GFX90A:TG_SPLIT: 0
	.section	.text._ZN12_GLOBAL__N_139chunk_gated_delta_rule_fwd_h_hip_kernelILi16ELb1ELb0ELb0ELb0ELb0ELb1ELb0ELb0EEEvPK12hip_bfloat16S3_S3_PKfS5_PKvPS1_S8_PvPKiSB_iiiiilll,"axG",@progbits,_ZN12_GLOBAL__N_139chunk_gated_delta_rule_fwd_h_hip_kernelILi16ELb1ELb0ELb0ELb0ELb0ELb1ELb0ELb0EEEvPK12hip_bfloat16S3_S3_PKfS5_PKvPS1_S8_PvPKiSB_iiiiilll,comdat
	.globl	_ZN12_GLOBAL__N_139chunk_gated_delta_rule_fwd_h_hip_kernelILi16ELb1ELb0ELb0ELb0ELb0ELb1ELb0ELb0EEEvPK12hip_bfloat16S3_S3_PKfS5_PKvPS1_S8_PvPKiSB_iiiiilll ; -- Begin function _ZN12_GLOBAL__N_139chunk_gated_delta_rule_fwd_h_hip_kernelILi16ELb1ELb0ELb0ELb0ELb0ELb1ELb0ELb0EEEvPK12hip_bfloat16S3_S3_PKfS5_PKvPS1_S8_PvPKiSB_iiiiilll
	.p2align	8
	.type	_ZN12_GLOBAL__N_139chunk_gated_delta_rule_fwd_h_hip_kernelILi16ELb1ELb0ELb0ELb0ELb0ELb1ELb0ELb0EEEvPK12hip_bfloat16S3_S3_PKfS5_PKvPS1_S8_PvPKiSB_iiiiilll,@function
_ZN12_GLOBAL__N_139chunk_gated_delta_rule_fwd_h_hip_kernelILi16ELb1ELb0ELb0ELb0ELb0ELb1ELb0ELb0EEEvPK12hip_bfloat16S3_S3_PKfS5_PKvPS1_S8_PvPKiSB_iiiiilll: ; @_ZN12_GLOBAL__N_139chunk_gated_delta_rule_fwd_h_hip_kernelILi16ELb1ELb0ELb0ELb0ELb0ELb1ELb0ELb0EEEvPK12hip_bfloat16S3_S3_PKfS5_PKvPS1_S8_PvPKiSB_iiiiilll
; %bb.0:
	s_load_dwordx4 s[12:15], s[0:1], 0x5c
	s_load_dwordx4 s[16:19], s[0:1], 0x28
	s_abs_i32 s6, s3
	s_ashr_i32 s5, s3, 31
	v_and_b32_e32 v62, 15, v0
	s_waitcnt lgkmcnt(0)
	s_abs_i32 s4, s13
	v_cvt_f32_u32_e32 v1, s4
	s_sub_i32 s8, 0, s4
	s_ashr_i32 s7, s13, 31
	s_xor_b32 s5, s5, s7
	v_rcp_iflag_f32_e32 v1, v1
	v_lshrrev_b32_e32 v60, 6, v0
	v_bfe_u32 v61, v0, 4, 2
	v_mov_b32_e32 v5, 0
	v_mul_f32_e32 v1, 0x4f7ffffe, v1
	v_cvt_u32_f32_e32 v1, v1
	v_and_b32_e32 v53, 63, v0
	v_lshrrev_b32_e32 v64, 3, v53
	v_lshlrev_b32_e32 v63, 3, v0
	v_readfirstlane_b32 s9, v1
	s_mul_i32 s8, s8, s9
	s_mul_hi_u32 s8, s9, s8
	s_add_i32 s9, s9, s8
	s_mul_hi_u32 s8, s6, s9
	s_mul_i32 s9, s8, s4
	s_sub_i32 s6, s6, s9
	s_add_i32 s10, s8, 1
	s_sub_i32 s9, s6, s4
	s_cmp_ge_u32 s6, s4
	s_cselect_b32 s8, s10, s8
	s_cselect_b32 s6, s9, s6
	s_add_i32 s9, s8, 1
	s_cmp_ge_u32 s6, s4
	s_cselect_b32 s6, s9, s8
	s_xor_b32 s6, s6, s5
	s_sub_i32 s50, s6, s5
	s_mul_i32 s6, s50, s13
	s_sub_i32 s48, s3, s6
	s_abs_i32 s3, s14
	v_cvt_f32_u32_e32 v1, s3
	s_add_i32 s8, s12, 63
	s_ashr_i32 s9, s8, 31
	s_lshr_b32 s5, s9, 26
	v_rcp_iflag_f32_e32 v1, v1
	s_ashr_i32 s49, s12, 31
	s_add_i32 s8, s8, s5
	s_lshr_b32 s5, s49, 26
	v_mul_f32_e32 v1, 0x4f7ffffe, v1
	v_cvt_u32_f32_e32 v1, v1
	s_add_i32 s5, s12, s5
	s_ashr_i32 s53, s14, 31
	s_ashr_i32 s51, s5, 6
	s_lshl_b32 s36, s2, 4
	s_xor_b32 s2, s7, s53
	s_sub_i32 s5, 0, s3
	v_readfirstlane_b32 s7, v1
	s_mul_i32 s5, s5, s7
	s_mul_hi_u32 s5, s7, s5
	s_add_i32 s7, s7, s5
	s_mul_hi_u32 s5, s4, s7
	s_mul_i32 s7, s5, s3
	s_sub_i32 s4, s4, s7
	s_ashr_i32 s25, s8, 6
	s_add_i32 s7, s5, 1
	s_sub_i32 s8, s4, s3
	s_cmp_ge_u32 s4, s3
	s_cselect_b32 s5, s7, s5
	s_cselect_b32 s4, s8, s4
	s_add_i32 s7, s5, 1
	s_cmp_ge_u32 s4, s3
	s_cselect_b32 s3, s7, s5
	s_xor_b32 s3, s3, s2
	s_sub_i32 s2, s3, s2
	s_abs_i32 s3, s2
	v_cvt_f32_u32_e32 v1, s3
	s_sub_i32 s5, 0, s3
	s_abs_i32 s4, s48
	s_xor_b32 s2, s48, s2
	v_rcp_iflag_f32_e32 v1, v1
	s_ashr_i32 s2, s2, 31
	v_or_b32_e32 v54, s36, v62
	v_lshlrev_b32_e32 v2, 7, v54
	v_mul_f32_e32 v1, 0x4f7ffffe, v1
	v_cvt_u32_f32_e32 v1, v1
	v_ashrrev_i32_e32 v3, 31, v2
	s_mul_i32 s55, s50, s25
	v_readfirstlane_b32 s7, v1
	s_mul_i32 s5, s5, s7
	s_mul_hi_u32 s5, s7, s5
	s_add_i32 s7, s7, s5
	s_mul_hi_u32 s5, s4, s7
	s_mul_i32 s7, s5, s3
	s_sub_i32 s4, s4, s7
	s_add_i32 s7, s5, 1
	s_sub_i32 s8, s4, s3
	s_cmp_ge_u32 s4, s3
	s_cselect_b32 s5, s7, s5
	s_cselect_b32 s4, s8, s4
	s_add_i32 s7, s5, 1
	s_cmp_ge_u32 s4, s3
	s_cselect_b32 s3, s7, s5
	s_xor_b32 s3, s3, s2
	s_sub_i32 s54, s3, s2
	s_ashr_i32 s24, s50, 31
	s_ashr_i32 s52, s48, 31
	s_mul_hi_i32 s2, s50, s13
	s_add_u32 s38, s6, s48
	s_addc_u32 s39, s2, s52
	s_lshl_b64 s[2:3], s[38:39], 16
	v_lshlrev_b32_e32 v1, 4, v60
	s_add_u32 s2, s16, s2
	v_lshl_or_b32 v65, v61, 2, v1
	s_addc_u32 s3, s17, s3
	v_lshl_add_u64 v[2:3], v[2:3], 2, s[2:3]
	v_lshlrev_b32_e32 v4, 2, v65
	v_lshl_add_u64 v[10:11], v[2:3], 0, v[4:5]
	global_load_dwordx4 v[6:9], v[10:11], off
	global_load_dwordx4 v[2:5], v[10:11], off offset:256
	s_load_dwordx8 s[4:11], s[0:1], 0x0
	s_load_dwordx2 s[28:29], s[0:1], 0x80
	s_load_dwordx4 s[20:23], s[0:1], 0x70
	v_or_b32_e32 v66, 64, v65
	s_cmp_lt_i32 s12, 64
	s_mul_i32 s56, s39, s12
	s_mul_hi_u32 s57, s38, s12
	s_mul_i32 s16, s38, s12
	s_waitcnt lgkmcnt(0)
	s_mul_i32 s33, s50, s21
	s_mul_hi_u32 s44, s50, s20
	s_mul_i32 s45, s24, s20
	s_mul_i32 s34, s50, s20
	;; [unrolled: 1-line block ×3, first 2 shown]
	s_mul_hi_u32 s46, s48, s22
	s_mul_i32 s47, s52, s22
	s_mul_i32 s30, s48, s22
	s_cbranch_scc1 .LBB732_18
; %bb.1:
	s_add_i32 s17, s57, s56
	s_lshl_b64 s[2:3], s[16:17], 8
	v_and_b32_e32 v68, 56, v63
	s_add_u32 s20, s6, s2
	v_lshl_or_b32 v67, v60, 3, v64
	v_lshlrev_b32_e32 v10, 1, v68
	s_addc_u32 s2, s7, s3
	v_lshl_or_b32 v69, v67, 8, v10
	s_and_b32 s21, s2, 0xffff
	s_mov_b32 s23, 0x20000
	s_movk_i32 s22, 0x4000
	s_movk_i32 s2, 0x80
	v_or_b32_e32 v70, 0x2000, v69
	buffer_load_dwordx4 v[12:15], v69, s[20:23], 0 offen
	buffer_load_dwordx4 v[16:19], v69, s[20:23], s2 offen
	;; [unrolled: 1-line block ×4, first 2 shown]
	v_lshlrev_b32_e32 v11, 3, v67
	v_and_or_b32 v29, v0, 7, v11
	v_and_b32_e32 v11, 0x78, v11
	v_lshlrev_b32_e32 v29, 4, v29
	v_xor_b32_e32 v71, v29, v11
	v_mul_lo_u32 v28, v67, s15
	v_or_b32_e32 v72, 0x1000, v71
	v_xor_b32_e32 v11, 8, v71
	s_cmpk_eq_i32 s15, 0x80
	s_mov_b32 s58, s14
	v_xor_b32_e32 v29, 8, v72
	s_cselect_b64 s[2:3], -1, 0
	s_cmpk_lg_i32 s15, 0x80
	s_waitcnt vmcnt(3)
	ds_write_b64 v71, v[12:13] offset:16384
	ds_write_b64 v11, v[14:15] offset:16384
	s_waitcnt vmcnt(2)
	ds_write_b64 v71, v[16:17] offset:24576
	ds_write_b64 v11, v[18:19] offset:24576
	;; [unrolled: 3-line block ×4, first 2 shown]
	v_lshl_add_u32 v11, v28, 1, v68
	s_cbranch_scc0 .LBB732_3
; %bb.2:
	v_lshlrev_b32_e32 v13, 1, v11
	v_add_lshl_u32 v12, v11, s15, 1
	s_lshl_b32 s22, s15, 7
	s_load_dwordx2 s[40:41], s[0:1], 0x20
	v_lshl_or_b32 v10, v67, 9, v10
	s_cbranch_execz .LBB732_4
	s_branch .LBB732_5
.LBB732_3:
                                        ; implicit-def: $vgpr12
                                        ; implicit-def: $vgpr13
                                        ; implicit-def: $sgpr22
	s_load_dwordx2 s[40:41], s[0:1], 0x20
	v_lshl_or_b32 v10, v67, 9, v10
.LBB732_4:
	v_or_b32_e32 v12, 0x100, v10
	s_movk_i32 s22, 0x4000
	v_mov_b32_e32 v13, v10
.LBB732_5:
	s_mul_hi_u32 s0, s14, s12
	s_mul_i32 s1, s53, s12
	s_add_i32 s0, s0, s1
	s_mul_i32 s1, s14, s12
	s_mul_i32 s20, s1, s24
	s_mul_hi_u32 s21, s1, s50
	s_add_i32 s20, s21, s20
	s_mul_i32 s0, s0, s50
	s_add_i32 s20, s20, s0
	s_mul_i32 s1, s1, s50
	s_ashr_i32 s59, s54, 31
	s_add_u32 s0, s1, s54
	s_addc_u32 s1, s20, s59
	s_lshl_b64 s[0:1], s[0:1], 8
	s_add_u32 s20, s4, s0
	s_addc_u32 s0, s5, s1
	s_and_b32 s21, s0, 0xffff
	s_movk_i32 s60, 0x80
	buffer_load_dwordx4 v[14:17], v13, s[20:23], 0 offen
	buffer_load_dwordx4 v[18:21], v13, s[20:23], s60 offen
	;; [unrolled: 1-line block ×4, first 2 shown]
	v_and_b32_e32 v12, 6, v0
	v_lshlrev_b32_e32 v30, 2, v62
	v_lshlrev_b32_e32 v31, 3, v62
	v_xor_b32_e32 v33, v67, v12
	v_and_b32_e32 v13, 1, v0
	s_mul_i32 s24, s24, s12
	s_mul_hi_u32 s0, s50, s12
	v_lshl_or_b32 v31, v65, 5, v31
	v_xor_b32_e32 v34, v65, v30
	v_lshlrev_b32_e32 v33, 2, v33
	v_or_b32_e32 v73, 0x9000, v31
	v_or_b32_e32 v74, 0x9800, v31
	v_lshlrev_b32_e32 v31, 1, v34
	v_xor_b32_e32 v34, 0x440, v33
	v_cmp_eq_u32_e32 vcc, 0, v13
	s_add_i32 s65, s0, s24
	s_add_i32 s0, s44, s33
	v_cndmask_b32_e32 v13, v34, v33, vcc
	s_add_i32 s1, s46, s39
	s_add_i32 s35, s0, s45
	s_mov_b32 s63, 0x1000504
	v_lshlrev_b32_e32 v32, 8, v62
	s_mov_b32 s20, 0x8000
	v_xor_b32_e32 v30, v66, v30
	v_lshl_or_b32 v12, v12, 10, v13
	s_add_i32 s31, s1, s47
	s_lshl_b64 s[0:1], s[34:35], 2
	s_mov_b32 s64, 0x3020706
	v_lshlrev_b32_e32 v30, 1, v30
	v_or3_b32 v75, v31, v32, s20
	v_xor_b32_e32 v13, 8, v12
	v_xor_b32_e32 v31, 24, v12
	v_xor_b32_e32 v33, 40, v12
	v_xor_b32_e32 v35, 56, v12
	s_add_u32 s21, s10, s0
	v_or3_b32 v76, v30, v32, s20
	v_xor_b32_e32 v30, 16, v12
	v_xor_b32_e32 v32, 32, v12
	;; [unrolled: 1-line block ×3, first 2 shown]
	v_add_u32_e32 v13, 0x80, v13
	v_add_u32_e32 v31, 0x80, v31
	;; [unrolled: 1-line block ×4, first 2 shown]
	s_addc_u32 s22, s11, s1
	s_lshl_b64 s[0:1], s[30:31], 2
	s_add_u32 s42, s21, s0
	s_movk_i32 s0, 0xf8
	s_addc_u32 s43, s22, s1
	s_ashr_i32 s37, s36, 31
	v_ashrrev_i32_e32 v55, 31, v54
	s_lshl_b32 s26, s15, 7
	s_mul_i32 s61, s50, s12
	s_mov_b32 s62, 0
	s_mov_b32 s35, 0x7060302
	s_movk_i32 s22, 0x4000
	v_mov_b32_e32 v96, 0x3fb8aa3b
	s_mov_b32 s66, 0
	s_waitcnt vmcnt(1)
	v_perm_b32 v36, v14, v22, s63
	s_waitcnt vmcnt(0)
	v_perm_b32 v37, v18, v26, s63
	v_perm_b32 v14, v14, v22, s64
	;; [unrolled: 1-line block ×15, first 2 shown]
	ds_write2st64_b32 v12, v36, v37 offset1:32
	ds_write2st64_b32 v13, v14, v18 offset1:32
	ds_write2st64_b32 v30, v22, v26 offset0:1 offset1:33
	ds_write2st64_b32 v31, v15, v19 offset0:1 offset1:33
	ds_write2st64_b32 v32, v23, v27 offset0:2 offset1:34
	ds_write2st64_b32 v33, v16, v20 offset0:2 offset1:34
	ds_write2st64_b32 v34, v24, v28 offset0:3 offset1:35
	ds_write2st64_b32 v35, v17, v21 offset0:3 offset1:35
	v_or_b32_e32 v12, v1, v62
	v_lshlrev_b32_e32 v12, 3, v12
	v_lshrrev_b32_e32 v14, 5, v53
	v_and_or_b32 v14, v12, s0, v14
	v_lshlrev_b32_e32 v14, 4, v14
	v_lshrrev_b32_e32 v13, 2, v53
	v_lshlrev_b32_e32 v19, 11, v60
	v_and_b32_e32 v12, 0x78, v12
	v_or_b32_e32 v17, 32, v14
	v_and_b32_e32 v18, 12, v13
	v_and_b32_e32 v13, 0x1000, v19
	v_xor_b32_e32 v15, v14, v12
	v_lshrrev_b32_e32 v16, 1, v53
	v_xor_b32_e32 v17, v17, v12
	v_or_b32_e32 v15, v15, v13
	v_and_b32_e32 v16, 8, v16
	v_or_b32_e32 v17, v17, v13
	v_xor_b32_e32 v77, v15, v16
	v_and_b32_e32 v15, 0x78, v63
	v_xor_b32_e32 v79, v17, v16
	v_or_b32_e32 v17, 64, v14
	v_or_b32_e32 v14, 0x60, v14
	v_lshl_or_b32 v15, v61, 7, v15
	v_xor_b32_e32 v17, v17, v12
	v_xor_b32_e32 v12, v14, v12
	v_or_b32_e32 v78, 0x9000, v15
	v_or_b32_e32 v17, v17, v13
	;; [unrolled: 1-line block ×4, first 2 shown]
	v_lshrrev_b32_e32 v14, 4, v0
	v_lshlrev_b32_e32 v15, 1, v62
	v_xor_b32_e32 v80, v17, v16
	v_xor_b32_e32 v81, v12, v16
	v_or_b32_e32 v16, 1, v15
	v_xor_b32_e32 v15, v14, v15
	s_lshl_b64 s[0:1], s[36:37], 8
	v_xor_b32_e32 v16, v16, v14
	v_lshlrev_b32_e32 v15, 3, v15
	v_lshlrev_b32_e32 v14, 8, v14
	v_lshl_add_u64 v[12:13], v[54:55], 1, s[8:9]
	s_add_u32 s0, s18, s0
	v_or3_b32 v55, v15, v14, s20
	v_lshlrev_b32_e32 v15, 3, v16
	s_addc_u32 s1, s19, s1
	v_or3_b32 v83, v15, v14, s20
	v_mov_b32_e32 v15, 0
	v_lshrrev_b32_e32 v25, 1, v0
	v_lshl_add_u64 v[16:17], s[0:1], 0, v[14:15]
	v_lshlrev_b32_e32 v14, 4, v62
	s_movk_i32 s0, 0xff
	v_lshlrev_b32_e32 v24, 3, v60
	v_and_b32_e32 v25, 24, v25
	v_lshl_add_u64 v[56:57], v[16:17], 0, v[14:15]
	v_and_b32_e32 v14, 7, v0
	v_and_b32_e32 v17, 8, v0
	v_cmp_lt_u32_e32 vcc, s0, v0
	v_xor_b32_e32 v26, v24, v25
	v_lshlrev_b32_e32 v22, 3, v14
	v_lshlrev_b32_e32 v23, 7, v14
	v_cndmask_b32_e64 v14, 0, 1, vcc
	v_or_b32_e32 v27, 0x440, v26
	v_cmp_eq_u32_e32 vcc, 0, v17
	v_or_b32_e32 v29, 64, v25
	v_xor_b32_e32 v29, v24, v29
	v_cndmask_b32_e32 v17, v27, v26, vcc
	v_or_b32_e32 v27, 32, v25
	v_or_b32_e32 v25, 0x60, v25
	v_xor_b32_e32 v27, v24, v27
	v_xor_b32_e32 v24, v24, v25
	v_or_b32_e32 v28, 0x440, v27
	v_xor_b32_e32 v30, 0x440, v29
	v_xor_b32_e32 v25, 0x440, v24
	v_cndmask_b32_e32 v27, v28, v27, vcc
	v_cndmask_b32_e32 v29, v30, v29, vcc
	v_cndmask_b32_e32 v24, v25, v24, vcc
	v_or_b32_e32 v17, v17, v19
	v_or_b32_e32 v27, v27, v19
	;; [unrolled: 1-line block ×4, first 2 shown]
	v_lshlrev_b32_e32 v14, 13, v14
	v_xor_b32_e32 v17, v17, v22
	v_xor_b32_e32 v27, v27, v22
	v_xor_b32_e32 v29, v29, v22
	v_xor_b32_e32 v19, v19, v22
	v_lshlrev_b32_e32 v20, 1, v11
	v_add_lshl_u32 v11, v11, s15, 1
	v_or_b32_e32 v21, 0x100, v10
	v_or_b32_e32 v16, v18, v1
	v_add_u32_e32 v26, v14, v17
	v_add_u32_e32 v28, v14, v27
	;; [unrolled: 1-line block ×4, first 2 shown]
	v_or3_b32 v18, v1, v18, 64
	v_add_u32_e32 v17, 0x2000, v17
	v_add_u32_e32 v24, 0x2000, v27
	;; [unrolled: 1-line block ×4, first 2 shown]
	v_lshlrev_b32_e32 v14, 8, v65
	v_cndmask_b32_e64 v84, v20, v10, s[2:3]
	v_cndmask_b32_e64 v85, v11, v21, s[2:3]
	v_lshl_add_u64 v[58:59], v[12:13], 0, v[14:15]
	s_add_i32 s31, s61, 63
	v_lshlrev_b32_e32 v86, 2, v16
	v_add_u32_e32 v87, v26, v23
	v_add_u32_e32 v88, v28, v23
	;; [unrolled: 1-line block ×4, first 2 shown]
	v_lshlrev_b32_e32 v91, 2, v18
	v_add_u32_e32 v92, v17, v23
	v_add_u32_e32 v93, v24, v23
	;; [unrolled: 1-line block ×4, first 2 shown]
	s_waitcnt lgkmcnt(0)
	s_barrier
.LBB732_6:                              ; =>This Inner Loop Header: Depth=1
	s_add_i32 s37, s66, 1
	s_cmp_lt_i32 s37, s51
	s_mov_b64 s[24:25], 0
	s_cselect_b64 s[2:3], -1, 0
	s_cmp_ge_i32 s37, s51
	s_mov_b64 s[20:21], 0
	s_cbranch_scc1 .LBB732_8
; %bb.7:                                ;   in Loop: Header=BB732_6 Depth=1
	s_add_i32 s0, s62, 64
	s_add_u32 s0, s16, s0
	s_addc_u32 s1, s17, 0
	s_lshl_b64 s[0:1], s[0:1], 8
	s_add_u32 s20, s6, s0
	s_addc_u32 s21, s7, s1
.LBB732_8:                              ;   in Loop: Header=BB732_6 Depth=1
	v_cndmask_b32_e64 v10, 0, 1, s[2:3]
	v_cmp_ne_u32_e64 s[0:1], 1, v10
	s_andn2_b64 vcc, exec, s[2:3]
	s_cbranch_vccnz .LBB732_10
; %bb.9:                                ;   in Loop: Header=BB732_6 Depth=1
	s_add_i32 s2, s62, 64
	s_add_u32 s2, s61, s2
	s_addc_u32 s3, s65, 0
	s_mul_i32 s24, s2, s53
	s_mul_hi_u32 s25, s2, s58
	s_add_i32 s24, s25, s24
	s_mul_i32 s3, s3, s58
	s_add_i32 s24, s24, s3
	s_mul_i32 s2, s2, s58
	s_add_u32 s2, s2, s54
	s_addc_u32 s3, s24, s59
	s_lshl_b64 s[2:3], s[2:3], 8
	s_add_u32 s24, s4, s2
	s_addc_u32 s25, s5, s3
.LBB732_10:                             ;   in Loop: Header=BB732_6 Depth=1
	v_perm_b32 v11, v9, v8, s35
	v_perm_b32 v10, v7, v6, s35
	;; [unrolled: 1-line block ×4, first 2 shown]
	ds_write_b64 v73, v[10:11]
	ds_write_b64 v74, v[12:13]
	;; [unrolled: 1-line block ×4, first 2 shown]
	s_waitcnt lgkmcnt(0)
	s_barrier
	ds_read_b64 v[18:19], v77 offset:16384
	ds_read_b64 v[20:21], v79 offset:16384
	ds_read2st64_b64 v[10:13], v78 offset1:1
	ds_read2st64_b64 v[14:17], v78 offset0:2 offset1:3
	ds_read_b64 v[22:23], v80 offset:16384
	s_waitcnt lgkmcnt(2)
	v_mfma_f32_16x16x16_bf16 a[0:3], v[18:19], v[10:11], 0
	ds_read_b64 v[10:11], v81 offset:16384
	s_add_i32 s2, s62, 63
	s_mul_i32 s3, s2, s29
	v_mfma_f32_16x16x16_bf16 a[0:3], v[20:21], v[12:13], a[0:3]
	s_mul_hi_u32 s27, s2, s28
	s_add_i32 s3, s27, s3
	s_mul_i32 s2, s2, s28
	s_waitcnt lgkmcnt(1)
	v_mfma_f32_16x16x16_bf16 a[0:3], v[22:23], v[14:15], a[0:3]
	s_lshl_b64 s[2:3], s[2:3], 2
	s_add_u32 s2, s42, s2
	s_addc_u32 s3, s43, s3
	s_waitcnt lgkmcnt(0)
	v_mfma_f32_16x16x16_bf16 a[0:3], v[10:11], v[16:17], a[0:3]
	s_and_b64 vcc, exec, s[0:1]
	v_mov_b32_e32 v99, 0
	v_mov_b32_e32 v98, 0
	;; [unrolled: 1-line block ×19, first 2 shown]
	s_cbranch_vccnz .LBB732_12
; %bb.11:                               ;   in Loop: Header=BB732_6 Depth=1
	s_and_b32 s21, s21, 0xffff
	buffer_load_dwordx4 v[22:25], v69, s[20:23], 0 offen
	buffer_load_dwordx4 v[18:21], v69, s[20:23], s60 offen
	;; [unrolled: 1-line block ×4, first 2 shown]
	v_mov_b32_e32 v98, v71
	v_mov_b32_e32 v97, v72
.LBB732_12:                             ;   in Loop: Header=BB732_6 Depth=1
	v_add_u32_e32 v32, s62, v65
	v_ashrrev_i32_e32 v26, 31, v32
	v_mul_lo_u32 v28, v26, s28
	v_mul_lo_u32 v29, v32, s29
	v_mad_u64_u32 v[26:27], s[20:21], v32, s28, 0
	v_add3_u32 v27, v27, v29, v28
	v_add_u32_e32 v28, 1, v32
	v_ashrrev_i32_e32 v29, 31, v28
	v_mul_lo_u32 v30, v29, s28
	v_mul_lo_u32 v31, v28, s29
	v_mad_u64_u32 v[28:29], s[20:21], v28, s28, 0
	v_add3_u32 v29, v29, v31, v30
	v_add_u32_e32 v30, 2, v32
	v_ashrrev_i32_e32 v31, 31, v30
	v_mul_lo_u32 v33, v31, s28
	v_mul_lo_u32 v34, v30, s29
	v_mad_u64_u32 v[30:31], s[20:21], v30, s28, 0
	v_add_u32_e32 v32, 3, v32
	v_add3_u32 v31, v31, v34, v33
	v_ashrrev_i32_e32 v33, 31, v32
	v_mul_lo_u32 v36, v33, s28
	v_mul_lo_u32 v37, v32, s29
	v_mad_u64_u32 v[32:33], s[20:21], v32, s28, 0
	s_add_u32 s20, s16, s62
	s_addc_u32 s21, s17, 0
	s_lshl_b64 s[20:21], s[20:21], 8
	v_lshl_add_u64 v[26:27], v[26:27], 2, s[42:43]
	v_lshl_add_u64 v[28:29], v[28:29], 2, s[42:43]
	;; [unrolled: 1-line block ×3, first 2 shown]
	v_add3_u32 v33, v33, v37, v36
	v_lshl_add_u64 v[30:31], v[30:31], 2, s[42:43]
	global_load_ushort v46, v[34:35], off
	global_load_ushort v47, v[34:35], off offset:256
	global_load_ushort v48, v[34:35], off offset:512
	;; [unrolled: 1-line block ×3, first 2 shown]
	global_load_dword v50, v[26:27], off
	v_lshl_add_u64 v[26:27], v[32:33], 2, s[42:43]
	global_load_dword v51, v[28:29], off
	global_load_dword v52, v[30:31], off
	;; [unrolled: 1-line block ×3, first 2 shown]
	s_load_dword s2, s[2:3], 0x0
	ds_read2st64_b64 v[32:35], v82 offset1:1
	ds_read2st64_b64 v[36:39], v82 offset0:2 offset1:3
	ds_read_b64 v[30:31], v77 offset:24576
	ds_read_b64 v[40:41], v79 offset:24576
	;; [unrolled: 1-line block ×4, first 2 shown]
	s_waitcnt lgkmcnt(0)
	v_mfma_f32_16x16x16_bf16 a[0:3], v[30:31], v[32:33], a[0:3]
	v_mov_b32_e32 v100, 0
	v_mov_b32_e32 v26, 0
	v_mov_b32_e32 v27, 0
	v_mfma_f32_16x16x16_bf16 a[0:3], v[40:41], v[34:35], a[0:3]
	v_mov_b32_e32 v28, 0
	v_mov_b32_e32 v29, 0
	v_mov_b32_e32 v30, 0
	;; [unrolled: 4-line block ×4, first 2 shown]
	v_mov_b32_e32 v37, 0
	s_and_b64 vcc, exec, s[0:1]
	s_waitcnt vmcnt(7)
	v_lshlrev_b32_e32 v42, 16, v46
	s_waitcnt vmcnt(6)
	v_lshlrev_b32_e32 v43, 16, v47
	;; [unrolled: 2-line block ×4, first 2 shown]
	s_waitcnt vmcnt(3)
	v_sub_f32_e32 v46, s2, v50
	s_waitcnt vmcnt(2)
	v_sub_f32_e32 v47, s2, v51
	;; [unrolled: 2-line block ×4, first 2 shown]
	v_mul_f32_e32 v46, 0x3fb8aa3b, v46
	v_mul_f32_e32 v47, 0x3fb8aa3b, v47
	;; [unrolled: 1-line block ×4, first 2 shown]
	v_exp_f32_e32 v46, v46
	v_exp_f32_e32 v47, v47
	;; [unrolled: 1-line block ×4, first 2 shown]
	v_accvgpr_read_b32 v41, a1
	v_accvgpr_read_b32 v39, a3
	;; [unrolled: 1-line block ×4, first 2 shown]
	v_pk_add_f32 v[40:41], v[42:43], v[40:41] neg_lo:[0,1] neg_hi:[0,1]
	v_pk_add_f32 v[38:39], v[44:45], v[38:39] neg_lo:[0,1] neg_hi:[0,1]
	v_pk_mul_f32 v[40:41], v[46:47], v[40:41]
	v_pk_mul_f32 v[38:39], v[48:49], v[38:39]
	s_nop 0
	v_perm_b32 v39, v39, v38, s35
	v_perm_b32 v38, v41, v40, s35
	ds_write_b64 v74, v[38:39]
	v_mov_b32_e32 v38, 0
	v_mov_b32_e32 v39, 0
	;; [unrolled: 1-line block ×4, first 2 shown]
	s_cbranch_vccnz .LBB732_14
; %bb.13:                               ;   in Loop: Header=BB732_6 Depth=1
	s_and_b32 s25, s25, 0xffff
	s_mov_b32 s27, s23
	buffer_load_dwordx4 v[38:41], v84, s[24:27], 0 offen
	buffer_load_dwordx4 v[30:33], v84, s[24:27], s60 offen
	;; [unrolled: 1-line block ×4, first 2 shown]
	v_mov_b32_e32 v99, v68
	v_mov_b32_e32 v100, v67
.LBB732_14:                             ;   in Loop: Header=BB732_6 Depth=1
	s_waitcnt lgkmcnt(0)
	s_barrier
	ds_read_b64 v[42:43], v87
	ds_read_b64 v[48:49], v88
	ds_read2st64_b64 v[44:47], v82 offset1:1
	ds_read2st64_b64 v[102:105], v82 offset0:2 offset1:3
	ds_read_b64 v[50:51], v89
	ds_read_b64 v[110:111], v90
	s_add_i32 s3, s55, s66
	s_mul_hi_i32 s21, s3, s13
	s_mul_i32 s3, s3, s13
	s_waitcnt lgkmcnt(3)
	v_mfma_f32_16x16x16_bf16 a[0:3], v[42:43], v[44:45], 0
	ds_read_b64 v[42:43], v92
	s_add_u32 s20, s3, s48
	s_addc_u32 s21, s21, s52
	s_add_i32 s3, s31, s62
	v_mfma_f32_16x16x16_bf16 a[0:3], v[48:49], v[46:47], a[0:3]
	ds_read_b64 v[48:49], v93
	s_lshl_b64 s[20:21], s[20:21], 15
	s_mul_hi_i32 s25, s3, s13
	s_mul_i32 s3, s3, s13
	s_add_u32 s24, s3, s48
	s_addc_u32 s25, s25, s52
	s_lshl_b64 s[24:25], s[24:25], 9
	s_add_u32 s24, s40, s24
	s_waitcnt lgkmcnt(1)
	v_mfma_f32_16x16x16_bf16 a[4:7], v[42:43], v[44:45], 0
	s_addc_u32 s25, s41, s25
	s_and_b64 vcc, exec, s[0:1]
	v_mfma_f32_16x16x16_bf16 a[0:3], v[50:51], v[102:103], a[0:3]
	ds_read_b64 v[50:51], v94
	ds_read_b64 v[112:113], v95
	global_load_dwordx4 v[42:45], v91, s[24:25]
	s_waitcnt lgkmcnt(2)
	v_mfma_f32_16x16x16_bf16 a[4:7], v[48:49], v[46:47], a[4:7]
	global_load_dwordx4 v[46:49], v86, s[24:25]
	ds_read_b64 v[106:107], v55
	ds_read_b64 v[108:109], v83
	s_waitcnt lgkmcnt(3)
	v_mfma_f32_16x16x16_bf16 a[8:11], v[50:51], v[102:103], a[4:7]
	v_lshl_add_u64 v[50:51], v[56:57], 0, s[20:21]
	s_waitcnt lgkmcnt(0)
	global_store_dwordx4 v[50:51], v[106:109], off
	v_mfma_f32_16x16x16_bf16 a[4:7], v[110:111], v[104:105], a[0:3]
	s_waitcnt vmcnt(2)
	v_mov_b32_e32 v52, v45
	v_mfma_f32_16x16x16_bf16 a[0:3], v[112:113], v[104:105], a[8:11]
	v_mov_b32_e32 v51, v44
	v_mov_b32_e32 v50, v43
	s_cbranch_vccnz .LBB732_16
; %bb.15:                               ;   in Loop: Header=BB732_6 Depth=1
	v_lshrrev_b32_e32 v43, 3, v99
	v_and_b32_e32 v43, 6, v43
	v_xor_b32_e32 v44, v43, v100
	v_lshlrev_b32_e32 v44, 2, v44
	v_and_b32_e32 v45, 8, v99
	v_xor_b32_e32 v99, 0x440, v44
	v_cmp_eq_u32_e32 vcc, 0, v45
	v_perm_b32 v45, v30, v26, s63
	s_nop 0
	v_cndmask_b32_e32 v44, v99, v44, vcc
	v_lshl_or_b32 v43, v43, 10, v44
	v_perm_b32 v44, v38, v34, s63
	s_barrier
	ds_write2st64_b32 v43, v44, v45 offset1:32
	v_xor_b32_e32 v44, 8, v43
	v_perm_b32 v34, v38, v34, s64
	v_perm_b32 v26, v30, v26, s64
	v_add_u32_e32 v30, 0x80, v44
	ds_write2st64_b32 v30, v34, v26 offset1:32
	v_xor_b32_e32 v26, 16, v43
	v_perm_b32 v30, v39, v35, s63
	v_perm_b32 v34, v31, v27, s63
	ds_write2st64_b32 v26, v30, v34 offset0:1 offset1:33
	v_xor_b32_e32 v26, 24, v43
	v_perm_b32 v30, v39, v35, s64
	v_perm_b32 v27, v31, v27, s64
	v_add_u32_e32 v26, 0x80, v26
	ds_write2st64_b32 v26, v30, v27 offset0:1 offset1:33
	v_xor_b32_e32 v26, 32, v43
	v_perm_b32 v27, v40, v36, s63
	v_perm_b32 v30, v32, v28, s63
	ds_write2st64_b32 v26, v27, v30 offset0:2 offset1:34
	v_xor_b32_e32 v26, 40, v43
	v_perm_b32 v27, v40, v36, s64
	v_perm_b32 v28, v32, v28, s64
	v_add_u32_e32 v26, 0x80, v26
	ds_write2st64_b32 v26, v27, v28 offset0:2 offset1:34
	;; [unrolled: 9-line block ×3, first 2 shown]
	ds_write_b64 v98, v[22:23] offset:16384
	v_xor_b32_e32 v22, 8, v98
	ds_write_b64 v22, v[24:25] offset:16384
	ds_write_b64 v98, v[18:19] offset:24576
	;; [unrolled: 1-line block ×4, first 2 shown]
	v_xor_b32_e32 v14, 8, v97
	ds_write_b64 v14, v[16:17] offset:16384
	ds_write_b64 v97, v[10:11] offset:24576
	;; [unrolled: 1-line block ×3, first 2 shown]
.LBB732_16:                             ;   in Loop: Header=BB732_6 Depth=1
	v_mul_f32_e32 v14, s2, v96
	v_exp_f32_e32 v18, v14
	s_waitcnt vmcnt(1)
	v_mul_f32_e32 v14, 0x3fb8aa3b, v46
	v_exp_f32_e32 v20, v14
	v_mul_f32_e32 v14, 0x3fb8aa3b, v47
	v_exp_f32_e32 v21, v14
	;; [unrolled: 2-line block ×4, first 2 shown]
	v_accvgpr_read_b32 v13, a7
	v_accvgpr_read_b32 v11, a5
	;; [unrolled: 1-line block ×3, first 2 shown]
	v_pk_mul_f32 v[20:21], v[18:19], v[20:21] op_sel_hi:[0,1]
	v_pk_fma_f32 v[6:7], v[6:7], v[20:21], v[10:11]
	v_pk_mul_f32 v[10:11], v[18:19], v[22:23] op_sel_hi:[0,1]
	v_mul_f32_e32 v19, 0x3fb8aa3b, v42
	v_exp_f32_e32 v20, v19
	v_mul_f32_e32 v19, 0x3fb8aa3b, v50
	v_exp_f32_e32 v21, v19
	;; [unrolled: 2-line block ×4, first 2 shown]
	v_accvgpr_read_b32 v12, a6
	v_accvgpr_read_b32 v17, a3
	v_accvgpr_read_b32 v15, a1
	v_accvgpr_read_b32 v14, a0
	v_pk_fma_f32 v[8:9], v[8:9], v[10:11], v[12:13]
	v_pk_mul_f32 v[10:11], v[18:19], v[20:21] op_sel_hi:[0,1]
	v_accvgpr_read_b32 v16, a2
	v_pk_fma_f32 v[2:3], v[2:3], v[10:11], v[14:15]
	v_pk_mul_f32 v[10:11], v[18:19], v[22:23] op_sel_hi:[0,1]
	s_add_i32 s62, s62, 64
	s_cmp_eq_u32 s51, s37
	v_pk_fma_f32 v[4:5], v[4:5], v[10:11], v[16:17]
	s_cbranch_scc1 .LBB732_18
; %bb.17:                               ;   in Loop: Header=BB732_6 Depth=1
	s_mov_b32 s66, s37
	s_branch .LBB732_6
.LBB732_18:
	s_lshl_b32 s26, s51, 6
	s_sub_i32 s27, s12, s26
	s_cmp_gt_i32 s27, 0
	s_cbranch_scc0 .LBB732_75
; %bb.19:
	s_ashr_i32 s2, s26, 31
	s_cmpk_lg_i32 s15, 0x80
	s_cselect_b64 s[22:23], -1, 0
	s_and_b64 vcc, exec, s[22:23]
	s_cbranch_vccz .LBB732_21
; %bb.20:
	s_mul_i32 s1, s50, s12
	s_mul_hi_i32 s0, s50, s12
	s_add_u32 s1, s1, s26
	s_addc_u32 s0, s0, s2
	s_mul_i32 s3, s1, s53
	s_mul_hi_u32 s17, s1, s14
	s_add_i32 s3, s17, s3
	s_mul_i32 s0, s0, s14
	s_add_i32 s3, s3, s0
	s_mul_i32 s1, s1, s14
	s_ashr_i32 s0, s54, 31
	s_add_u32 s24, s1, s54
	s_addc_u32 s25, s3, s0
	s_cbranch_execz .LBB732_22
	s_branch .LBB732_23
.LBB732_21:
                                        ; implicit-def: $sgpr24_sgpr25
.LBB732_22:
	s_mul_hi_i32 s0, s50, s14
	s_mul_i32 s50, s50, s14
	s_ashr_i32 s1, s54, 31
	s_add_u32 s3, s50, s54
	s_addc_u32 s0, s0, s1
	s_mul_i32 s1, s3, s49
	s_mul_hi_u32 s14, s3, s12
	s_add_i32 s1, s14, s1
	s_mul_i32 s0, s0, s12
	s_add_i32 s1, s1, s0
	s_mul_i32 s3, s3, s12
	s_add_u32 s24, s3, s26
	s_addc_u32 s25, s1, s2
.LBB732_23:
	s_mul_i32 s0, s38, s49
	s_add_i32 s0, s57, s0
	s_add_i32 s3, s55, s51
	;; [unrolled: 1-line block ×3, first 2 shown]
	s_add_u32 s0, s16, s26
	s_addc_u32 s1, s1, s2
	s_mov_b32 s2, 0x7060302
	s_waitcnt vmcnt(0)
	v_perm_b32 v5, v5, v4, s2
	v_perm_b32 v4, v3, v2, s2
	v_lshlrev_b32_e32 v2, 3, v62
	s_lshl_b64 s[20:21], s[0:1], 8
	v_perm_b32 v9, v9, v8, s2
	v_perm_b32 v8, v7, v6, s2
	v_lshlrev_b32_e32 v34, 2, v62
	v_lshl_or_b32 v2, v65, 5, v2
	s_add_u32 s0, s6, s20
	ds_write2st64_b64 v2, v[8:9], v[4:5] offset0:72 offset1:76
	v_xor_b32_e32 v2, v65, v34
	v_lshlrev_b32_e32 v3, 8, v62
	s_addc_u32 s1, s7, s21
	v_lshl_or_b32 v2, v2, 1, v3
	s_mul_hi_i32 s6, s3, s13
	s_mul_i32 s3, s3, s13
	ds_write_b64 v2, v[8:9] offset:32768
	v_xor_b32_e32 v2, v66, v34
	s_add_u32 s2, s3, s48
	v_lshl_or_b32 v2, v2, 1, v3
	s_addc_u32 s3, s6, s52
	v_lshlrev_b32_e32 v3, 1, v62
	ds_write_b64 v2, v[4:5] offset:32768
	v_lshrrev_b32_e32 v2, 4, v0
	s_ashr_i32 s37, s36, 31
	s_lshl_b64 s[2:3], s[2:3], 15
	v_or_b32_e32 v4, 1, v3
	s_add_u32 s6, s18, s2
	v_xor_b32_e32 v3, v2, v3
	v_xor_b32_e32 v4, v4, v2
	v_lshlrev_b32_e32 v6, 8, v2
	s_addc_u32 s7, s19, s3
	s_lshl_b64 s[2:3], s[36:37], 8
	v_lshl_or_b32 v2, v3, 3, v6
	v_lshl_or_b32 v4, v4, 3, v6
	s_waitcnt lgkmcnt(0)
	s_barrier
	s_add_u32 s2, s6, s2
	ds_read_b64 v[2:3], v2 offset:32768
	ds_read_b64 v[4:5], v4 offset:32768
	s_addc_u32 s3, s7, s3
	v_mov_b32_e32 v7, 0
	s_cmp_lg_u32 s27, 64
	v_lshl_add_u64 v[8:9], s[2:3], 0, v[6:7]
	v_lshlrev_b32_e32 v6, 4, v62
	s_cselect_b64 s[6:7], -1, 0
	v_lshl_or_b32 v35, v60, 3, v64
	s_mov_b32 s16, 0
	v_lshl_add_u64 v[6:7], v[8:9], 0, v[6:7]
	v_or_b32_e32 v19, 32, v35
	v_and_b32_e32 v18, 56, v63
	s_and_b64 vcc, exec, s[6:7]
	s_waitcnt lgkmcnt(0)
	global_store_dwordx4 v[6:7], v[2:5], off
	s_cbranch_vccz .LBB732_29
; %bb.24:
	s_mov_b32 s17, s16
	s_mov_b32 s18, s16
	s_mov_b32 s19, s16
	v_mov_b64_e32 v[6:7], s[16:17]
	v_mov_b64_e32 v[8:9], s[18:19]
	;; [unrolled: 1-line block ×3, first 2 shown]
	v_cmp_gt_i32_e32 vcc, s27, v35
	v_mov_b64_e32 v[4:5], v[8:9]
	s_and_saveexec_b64 s[2:3], vcc
	s_cbranch_execz .LBB732_26
; %bb.25:
	v_lshlrev_b32_e32 v2, 8, v35
	v_mov_b32_e32 v3, 0
	v_lshl_add_u64 v[4:5], s[0:1], 0, v[2:3]
	v_lshlrev_b32_e32 v2, 1, v18
	v_lshl_add_u64 v[10:11], v[4:5], 0, v[2:3]
	global_load_dwordx4 v[6:9], v[10:11], off
	global_load_dwordx4 v[2:5], v[10:11], off offset:128
.LBB732_26:
	s_or_b64 exec, exec, s[2:3]
	s_mov_b32 s17, s16
	s_mov_b32 s18, s16
	;; [unrolled: 1-line block ×3, first 2 shown]
	v_mov_b64_e32 v[14:15], s[16:17]
	v_mov_b64_e32 v[16:17], s[18:19]
	;; [unrolled: 1-line block ×3, first 2 shown]
	v_cmp_gt_i32_e32 vcc, s27, v19
	v_lshlrev_b32_e32 v20, 7, v19
	v_mov_b64_e32 v[12:13], v[16:17]
	s_and_saveexec_b64 s[2:3], vcc
	s_cbranch_execz .LBB732_28
; %bb.27:
	v_lshlrev_b32_e32 v10, 1, v20
	v_mov_b32_e32 v11, 0
	v_lshl_add_u64 v[12:13], s[0:1], 0, v[10:11]
	v_lshlrev_b32_e32 v10, 1, v18
	v_lshl_add_u64 v[22:23], v[12:13], 0, v[10:11]
	global_load_dwordx4 v[14:17], v[22:23], off
	global_load_dwordx4 v[10:13], v[22:23], off offset:128
.LBB732_28:
	s_or_b64 exec, exec, s[2:3]
	v_lshrrev_b32_e32 v21, 3, v18
	v_lshlrev_b32_e32 v22, 3, v35
	v_or_b32_e32 v21, v22, v21
	v_lshlrev_b32_e32 v21, 4, v21
	v_and_b32_e32 v22, 0x78, v22
	v_xor_b32_e32 v21, v21, v22
	s_branch .LBB732_31
.LBB732_29:
                                        ; implicit-def: $vgpr21
                                        ; implicit-def: $vgpr20
                                        ; implicit-def: $vgpr6_vgpr7_vgpr8_vgpr9
                                        ; implicit-def: $vgpr2_vgpr3_vgpr4_vgpr5
                                        ; implicit-def: $vgpr14_vgpr15_vgpr16_vgpr17
                                        ; implicit-def: $vgpr10_vgpr11_vgpr12_vgpr13
	s_cbranch_execz .LBB732_31
; %bb.30:
	s_waitcnt vmcnt(0)
	v_lshlrev_b32_e32 v2, 1, v18
	v_lshl_or_b32 v20, v35, 8, v2
	s_and_b32 s1, s1, 0xffff
	s_mov_b32 s3, 0x20000
	s_movk_i32 s2, 0x4000
	v_lshl_or_b32 v21, v19, 8, v2
	s_movk_i32 s13, 0x80
	buffer_load_dwordx4 v[6:9], v20, s[0:3], 0 offen
	buffer_load_dwordx4 v[2:5], v20, s[0:3], s13 offen
	;; [unrolled: 1-line block ×4, first 2 shown]
	v_lshrrev_b32_e32 v20, 3, v18
	v_lshlrev_b32_e32 v21, 3, v35
	v_or_b32_e32 v20, v21, v20
	v_lshlrev_b32_e32 v20, 4, v20
	v_and_b32_e32 v21, 0x78, v21
	v_xor_b32_e32 v21, v20, v21
	v_lshlrev_b32_e32 v20, 7, v19
.LBB732_31:
	s_lshl_b64 s[0:1], s[24:25], 8
	s_add_u32 s4, s4, s0
	s_movk_i32 s0, 0x1000
	v_and_or_b32 v19, v20, s0, v21
	s_waitcnt vmcnt(1)
	ds_write_b64 v21, v[6:7] offset:16384
	v_xor_b32_e32 v6, 8, v21
	ds_write_b64 v6, v[8:9] offset:16384
	s_waitcnt vmcnt(0)
	ds_write_b64 v21, v[2:3] offset:24576
	ds_write_b64 v6, v[4:5] offset:24576
	;; [unrolled: 1-line block ×3, first 2 shown]
	v_xor_b32_e32 v2, 8, v19
	ds_write_b64 v2, v[16:17] offset:16384
	ds_write_b64 v19, v[10:11] offset:24576
	ds_write_b64 v2, v[12:13] offset:24576
	v_or_b32_e32 v2, v1, v62
	s_addc_u32 s5, s5, s1
	s_add_i32 s0, s12, -1
	v_lshlrev_b32_e32 v2, 3, v2
	v_lshrrev_b32_e32 v4, 5, v53
	s_movk_i32 s12, 0xf8
	v_and_or_b32 v4, v2, s12, v4
	v_lshlrev_b32_e32 v3, 11, v60
	v_lshlrev_b32_e32 v12, 4, v4
	v_and_b32_e32 v13, 0x78, v2
	v_and_b32_e32 v14, 0x1000, v3
	v_lshlrev_b32_e32 v3, 2, v0
	v_xor_b32_e32 v2, v12, v13
	v_lshrrev_b32_e32 v4, 1, v53
	v_and_b32_e32 v3, 60, v3
	v_or_b32_e32 v2, v2, v14
	v_and_b32_e32 v15, 8, v4
	v_xor_b32_e32 v26, v2, v15
	v_lshl_or_b32 v2, v61, 6, v3
	v_lshlrev_b32_e32 v19, 1, v2
	v_or_b32_e32 v2, 32, v12
	v_xor_b32_e32 v2, v2, v13
	s_waitcnt lgkmcnt(0)
	s_barrier
	ds_read_b64 v[10:11], v26 offset:16384
	v_or_b32_e32 v2, v2, v14
	v_xor_b32_e32 v27, v2, v15
	v_or_b32_e32 v2, 64, v12
	v_xor_b32_e32 v2, v2, v13
	v_or_b32_e32 v2, v2, v14
	v_or_b32_e32 v12, 0x60, v12
	v_xor_b32_e32 v28, v2, v15
	ds_read2st64_b64 v[2:5], v19 offset0:72 offset1:73
	ds_read2st64_b64 v[6:9], v19 offset0:74 offset1:75
	v_xor_b32_e32 v16, v12, v13
	ds_read_b64 v[12:13], v27 offset:16384
	s_add_i32 s1, s44, s33
	s_waitcnt lgkmcnt(2)
	v_mfma_f32_16x16x16_bf16 a[0:3], v[10:11], v[2:3], 0
	s_add_i32 s35, s1, s45
	s_add_i32 s1, s46, s39
	;; [unrolled: 1-line block ×3, first 2 shown]
	s_ashr_i32 s1, s0, 31
	s_mul_i32 s2, s0, s29
	s_mul_hi_u32 s3, s0, s28
	s_add_i32 s2, s3, s2
	s_mul_i32 s1, s1, s28
	v_or_b32_e32 v14, v16, v14
	s_add_i32 s1, s2, s1
	s_lshl_b64 s[2:3], s[34:35], 2
	v_xor_b32_e32 v36, v14, v15
	ds_read_b64 v[14:15], v28 offset:16384
	ds_read_b64 v[16:17], v36 offset:16384
	s_waitcnt lgkmcnt(2)
	v_mfma_f32_16x16x16_bf16 a[0:3], v[12:13], v[4:5], a[0:3]
	s_add_u32 s10, s10, s2
	s_addc_u32 s11, s11, s3
	s_lshl_b64 s[2:3], s[30:31], 2
	s_mul_i32 s0, s0, s28
	s_add_u32 s10, s10, s2
	s_addc_u32 s11, s11, s3
	s_lshl_b64 s[0:1], s[0:1], 2
	s_waitcnt lgkmcnt(1)
	v_mfma_f32_16x16x16_bf16 a[0:3], v[14:15], v[6:7], a[0:3]
	s_add_u32 s0, s10, s0
	s_addc_u32 s1, s11, s1
	s_load_dword s12, s[0:1], 0x0
	s_waitcnt lgkmcnt(0)
	v_mfma_f32_16x16x16_bf16 a[0:3], v[16:17], v[8:9], a[0:3]
	s_and_b64 vcc, exec, s[22:23]
	s_cbranch_vccz .LBB732_42
; %bb.32:
	v_lshlrev_b32_e32 v20, 1, v35
	s_and_b64 vcc, exec, s[6:7]
	s_cbranch_vccz .LBB732_43
; %bb.33:
	v_cmp_gt_i32_e32 vcc, s27, v20
	v_mov_b32_e32 v6, 0
	v_mov_b32_e32 v2, 0
	;; [unrolled: 1-line block ×5, first 2 shown]
	s_and_saveexec_b64 s[0:1], vcc
	s_cbranch_execz .LBB732_35
; %bb.34:
	v_mad_i64_i32 v[2:3], s[2:3], s15, v20, 0
	v_lshl_add_u64 v[2:3], v[2:3], 1, s[4:5]
	v_lshlrev_b32_e32 v4, 1, v18
	v_mov_b32_e32 v5, 0
	v_lshl_add_u64 v[2:3], v[2:3], 0, v[4:5]
	global_load_dwordx4 v[2:5], v[2:3], off
.LBB732_35:
	s_or_b64 exec, exec, s[0:1]
	v_or_b32_e32 v21, 1, v20
	v_cmp_gt_i32_e64 s[0:1], s27, v21
	v_mov_b32_e32 v7, 0
	v_mov_b32_e32 v8, 0
	;; [unrolled: 1-line block ×3, first 2 shown]
	s_and_saveexec_b64 s[2:3], s[0:1]
	s_cbranch_execz .LBB732_37
; %bb.36:
	v_mad_i64_i32 v[6:7], s[16:17], s15, v21, 0
	v_lshl_add_u64 v[6:7], v[6:7], 1, s[4:5]
	v_lshlrev_b32_e32 v8, 1, v18
	v_mov_b32_e32 v9, 0
	v_lshl_add_u64 v[6:7], v[6:7], 0, v[8:9]
	global_load_dwordx4 v[6:9], v[6:7], off
.LBB732_37:
	s_or_b64 exec, exec, s[2:3]
	v_mov_b32_e32 v17, 0
	v_mov_b32_e32 v10, 0
	v_mov_b32_e32 v11, 0
	v_mov_b32_e32 v12, 0
	v_mov_b32_e32 v13, 0
	s_and_saveexec_b64 s[2:3], vcc
	s_cbranch_execz .LBB732_39
; %bb.38:
	v_mad_i64_i32 v[10:11], s[16:17], s15, v20, 0
	v_lshl_add_u64 v[10:11], v[10:11], 1, s[4:5]
	v_lshlrev_b32_e32 v12, 1, v18
	v_mov_b32_e32 v13, 0
	v_lshl_add_u64 v[10:11], v[10:11], 0, v[12:13]
	global_load_dwordx4 v[10:13], v[10:11], off offset:128
.LBB732_39:
	s_or_b64 exec, exec, s[2:3]
	v_mov_b32_e32 v16, 0
	v_mov_b32_e32 v15, 0
	;; [unrolled: 1-line block ×3, first 2 shown]
	s_and_saveexec_b64 s[2:3], s[0:1]
	s_cbranch_execz .LBB732_41
; %bb.40:
	v_mad_i64_i32 v[14:15], s[0:1], s15, v21, 0
	v_lshl_add_u64 v[14:15], v[14:15], 1, s[4:5]
	v_lshlrev_b32_e32 v16, 1, v18
	v_mov_b32_e32 v17, 0
	v_lshl_add_u64 v[14:15], v[14:15], 0, v[16:17]
	global_load_dwordx4 v[14:17], v[14:15], off offset:128
.LBB732_41:
	s_or_b64 exec, exec, s[2:3]
	s_branch .LBB732_45
.LBB732_42:
                                        ; implicit-def: $vgpr5
                                        ; implicit-def: $vgpr9
                                        ; implicit-def: $vgpr13
                                        ; implicit-def: $vgpr17
	v_lshrrev_b32_e32 v37, 2, v53
	s_branch .LBB732_46
.LBB732_43:
                                        ; implicit-def: $vgpr5
                                        ; implicit-def: $vgpr9
                                        ; implicit-def: $vgpr13
                                        ; implicit-def: $vgpr17
	s_cbranch_execz .LBB732_45
; %bb.44:
	s_waitcnt vmcnt(0)
	v_mad_u64_u32 v[2:3], s[0:1], v20, s15, v[18:19]
	v_lshlrev_b32_e32 v20, 1, v2
	s_lshl_b32 s2, s15, 7
	s_and_b32 s1, s5, 0xffff
	s_mov_b32 s3, 0x20000
	s_mov_b32 s0, s4
	v_add_lshl_u32 v21, v2, s15, 1
	s_movk_i32 s13, 0x80
	buffer_load_dwordx4 v[2:5], v20, s[0:3], 0 offen
	buffer_load_dwordx4 v[10:13], v20, s[0:3], s13 offen
	;; [unrolled: 1-line block ×4, first 2 shown]
.LBB732_45:
	v_lshrrev_b32_e32 v37, 2, v53
	s_cbranch_execnz .LBB732_58
.LBB732_46:
	s_and_b64 vcc, exec, s[6:7]
	s_cbranch_vccz .LBB732_56
; %bb.47:
	s_waitcnt vmcnt(0)
	v_lshlrev_b32_e32 v7, 1, v35
	v_cmp_gt_i32_e32 vcc, s27, v7
	v_mov_b32_e32 v6, 0
	v_lshlrev_b32_e32 v14, 9, v35
	v_mov_b32_e32 v2, 0
	v_mov_b32_e32 v3, 0
	;; [unrolled: 1-line block ×4, first 2 shown]
	s_and_saveexec_b64 s[0:1], vcc
	s_cbranch_execz .LBB732_49
; %bb.48:
	v_mov_b32_e32 v15, 0
	v_lshl_add_u64 v[2:3], s[4:5], 0, v[14:15]
	v_lshlrev_b32_e32 v4, 1, v18
	v_mov_b32_e32 v5, v15
	v_lshl_add_u64 v[2:3], v[2:3], 0, v[4:5]
	global_load_dwordx4 v[2:5], v[2:3], off
.LBB732_49:
	s_or_b64 exec, exec, s[0:1]
	v_or_b32_e32 v7, 1, v7
	v_cmp_gt_i32_e64 s[0:1], s27, v7
	v_lshlrev_b32_e32 v20, 8, v7
	v_mov_b32_e32 v7, 0
	v_mov_b32_e32 v8, 0
	;; [unrolled: 1-line block ×3, first 2 shown]
	s_and_saveexec_b64 s[2:3], s[0:1]
	s_cbranch_execz .LBB732_51
; %bb.50:
	v_mov_b32_e32 v21, 0
	v_lshl_add_u64 v[6:7], s[4:5], 0, v[20:21]
	v_lshlrev_b32_e32 v8, 1, v18
	v_mov_b32_e32 v9, v21
	v_lshl_add_u64 v[6:7], v[6:7], 0, v[8:9]
	global_load_dwordx4 v[6:9], v[6:7], off
.LBB732_51:
	s_or_b64 exec, exec, s[2:3]
	v_mov_b32_e32 v17, 0
	v_mov_b32_e32 v10, 0
	;; [unrolled: 1-line block ×5, first 2 shown]
	s_and_saveexec_b64 s[2:3], vcc
	s_cbranch_execz .LBB732_53
; %bb.52:
	v_mov_b32_e32 v15, 0
	v_lshl_add_u64 v[10:11], s[4:5], 0, v[14:15]
	v_lshlrev_b32_e32 v14, 1, v18
	v_lshl_add_u64 v[10:11], v[10:11], 0, v[14:15]
	global_load_dwordx4 v[10:13], v[10:11], off offset:128
.LBB732_53:
	s_or_b64 exec, exec, s[2:3]
	v_mov_b32_e32 v16, 0
	v_mov_b32_e32 v15, 0
	v_mov_b32_e32 v14, 0
	s_and_saveexec_b64 s[2:3], s[0:1]
	s_cbranch_execz .LBB732_55
; %bb.54:
	v_mov_b32_e32 v21, 0
	v_lshl_add_u64 v[14:15], s[4:5], 0, v[20:21]
	v_lshlrev_b32_e32 v20, 1, v18
	v_lshl_add_u64 v[14:15], v[14:15], 0, v[20:21]
	global_load_dwordx4 v[14:17], v[14:15], off offset:128
.LBB732_55:
	s_or_b64 exec, exec, s[2:3]
	s_branch .LBB732_58
.LBB732_56:
                                        ; implicit-def: $vgpr5
                                        ; implicit-def: $vgpr9
                                        ; implicit-def: $vgpr13
                                        ; implicit-def: $vgpr17
	s_cbranch_execz .LBB732_58
; %bb.57:
	s_waitcnt vmcnt(0)
	v_lshlrev_b32_e32 v2, 1, v18
	v_lshl_or_b32 v18, v35, 9, v2
	s_and_b32 s5, s5, 0xffff
	s_mov_b32 s7, 0x20000
	s_movk_i32 s6, 0x4000
	s_movk_i32 s0, 0x80
	buffer_load_dwordx4 v[2:5], v18, s[4:7], 0 offen
	buffer_load_dwordx4 v[6:9], v18, s[4:7], 0 offen offset:256
	buffer_load_dwordx4 v[10:13], v18, s[4:7], s0 offen
	buffer_load_dwordx4 v[14:17], v18, s[4:7], s0 offen offset:256
.LBB732_58:
	ds_read2st64_b64 v[22:25], v19 offset0:76 offset1:77
	ds_read2st64_b64 v[18:21], v19 offset0:78 offset1:79
	ds_read_b64 v[30:31], v26 offset:24576
	ds_read_b64 v[32:33], v27 offset:24576
	;; [unrolled: 1-line block ×4, first 2 shown]
	v_and_b32_e32 v36, 6, v0
	v_xor_b32_e32 v35, v35, v36
	v_lshlrev_b32_e32 v35, 2, v35
	v_and_b32_e32 v0, 1, v0
	v_xor_b32_e32 v38, 0x440, v35
	v_cmp_eq_u32_e32 vcc, 0, v0
	s_mov_b32 s0, 0x1000504
	s_mov_b32 s1, 0x3020706
	v_cndmask_b32_e32 v0, v38, v35, vcc
	v_lshl_or_b32 v0, v36, 10, v0
	s_waitcnt vmcnt(0)
	v_perm_b32 v35, v2, v6, s0
	v_perm_b32 v36, v10, v14, s0
	ds_write2st64_b32 v0, v35, v36 offset1:32
	v_xor_b32_e32 v35, 8, v0
	v_perm_b32 v2, v2, v6, s1
	v_perm_b32 v6, v10, v14, s1
	v_add_u32_e32 v10, 0x80, v35
	ds_write2st64_b32 v10, v2, v6 offset1:32
	v_xor_b32_e32 v2, 16, v0
	v_perm_b32 v6, v3, v7, s0
	v_perm_b32 v10, v11, v15, s0
	ds_write2st64_b32 v2, v6, v10 offset0:1 offset1:33
	v_xor_b32_e32 v2, 24, v0
	v_perm_b32 v3, v3, v7, s1
	v_perm_b32 v6, v11, v15, s1
	v_add_u32_e32 v2, 0x80, v2
	ds_write2st64_b32 v2, v3, v6 offset0:1 offset1:33
	v_xor_b32_e32 v2, 32, v0
	v_perm_b32 v3, v4, v8, s0
	v_perm_b32 v6, v12, v16, s0
	ds_write2st64_b32 v2, v3, v6 offset0:2 offset1:34
	v_xor_b32_e32 v2, 40, v0
	v_perm_b32 v3, v4, v8, s1
	v_perm_b32 v4, v12, v16, s1
	v_add_u32_e32 v2, 0x80, v2
	ds_write2st64_b32 v2, v3, v4 offset0:2 offset1:34
	v_xor_b32_e32 v2, 48, v0
	v_perm_b32 v3, v5, v9, s0
	v_perm_b32 v4, v13, v17, s0
	v_xor_b32_e32 v0, 56, v0
	v_and_or_b32 v6, v37, 12, v1
	ds_write2st64_b32 v2, v3, v4 offset0:3 offset1:35
	v_perm_b32 v2, v5, v9, s1
	v_perm_b32 v3, v13, v17, s1
	v_add_u32_e32 v0, 0x80, v0
	v_cmp_gt_i32_e32 vcc, s27, v6
	v_mov_b32_e32 v7, 0
	v_mov_b32_e32 v11, 0
	ds_write2st64_b32 v0, v2, v3 offset0:3 offset1:35
	s_and_saveexec_b64 s[0:1], vcc
	s_cbranch_execz .LBB732_60
; %bb.59:
	v_add_u32_e32 v0, s26, v6
	v_ashrrev_i32_e32 v1, 31, v0
	v_mul_lo_u32 v2, v1, s28
	v_mul_lo_u32 v3, v0, s29
	v_mad_u64_u32 v[0:1], s[2:3], v0, s28, 0
	v_add3_u32 v1, v1, v3, v2
	v_lshl_add_u64 v[0:1], v[0:1], 2, s[10:11]
	global_load_dword v0, v[0:1], off
	s_waitcnt vmcnt(0)
	v_sub_f32_e32 v0, s12, v0
	v_mul_f32_e32 v0, 0x3fb8aa3b, v0
	v_exp_f32_e32 v11, v0
.LBB732_60:
	s_or_b64 exec, exec, s[0:1]
	v_or_b32_e32 v9, 1, v6
	v_cmp_gt_i32_e64 s[0:1], s27, v9
	s_and_saveexec_b64 s[2:3], s[0:1]
	s_cbranch_execz .LBB732_62
; %bb.61:
	v_add_u32_e32 v0, s26, v9
	v_ashrrev_i32_e32 v1, 31, v0
	v_mul_lo_u32 v2, v1, s28
	v_mul_lo_u32 v3, v0, s29
	v_mad_u64_u32 v[0:1], s[4:5], v0, s28, 0
	v_add3_u32 v1, v1, v3, v2
	v_lshl_add_u64 v[0:1], v[0:1], 2, s[10:11]
	global_load_dword v0, v[0:1], off
	s_waitcnt vmcnt(0)
	v_sub_f32_e32 v0, s12, v0
	v_mul_f32_e32 v0, 0x3fb8aa3b, v0
	v_exp_f32_e32 v7, v0
.LBB732_62:
	s_or_b64 exec, exec, s[2:3]
	v_or_b32_e32 v10, 2, v6
	v_cmp_gt_i32_e64 s[2:3], s27, v10
	v_mov_b32_e32 v8, 0
	v_mov_b32_e32 v13, 0
	s_and_saveexec_b64 s[4:5], s[2:3]
	s_cbranch_execz .LBB732_64
; %bb.63:
	v_add_u32_e32 v0, s26, v10
	v_ashrrev_i32_e32 v1, 31, v0
	v_mul_lo_u32 v2, v1, s28
	v_mul_lo_u32 v3, v0, s29
	v_mad_u64_u32 v[0:1], s[6:7], v0, s28, 0
	v_add3_u32 v1, v1, v3, v2
	v_lshl_add_u64 v[0:1], v[0:1], 2, s[10:11]
	global_load_dword v0, v[0:1], off
	s_waitcnt vmcnt(0)
	v_sub_f32_e32 v0, s12, v0
	v_mul_f32_e32 v0, 0x3fb8aa3b, v0
	v_exp_f32_e32 v13, v0
.LBB732_64:
	s_or_b64 exec, exec, s[4:5]
	v_or_b32_e32 v12, 3, v6
	v_cmp_gt_i32_e64 s[4:5], s27, v12
	s_and_saveexec_b64 s[6:7], s[4:5]
	s_cbranch_execz .LBB732_66
; %bb.65:
	v_add_u32_e32 v0, s26, v12
	v_ashrrev_i32_e32 v1, 31, v0
	v_mul_lo_u32 v2, v1, s28
	v_mul_lo_u32 v3, v0, s29
	v_mad_u64_u32 v[0:1], s[14:15], v0, s28, 0
	v_add3_u32 v1, v1, v3, v2
	v_lshl_add_u64 v[0:1], v[0:1], 2, s[10:11]
	global_load_dword v0, v[0:1], off
	s_waitcnt vmcnt(0)
	v_sub_f32_e32 v0, s12, v0
	v_mul_f32_e32 v0, 0x3fb8aa3b, v0
	v_exp_f32_e32 v8, v0
.LBB732_66:
	s_or_b64 exec, exec, s[6:7]
	s_waitcnt lgkmcnt(11)
	v_mfma_f32_16x16x16_bf16 a[0:3], v[30:31], v[22:23], a[0:3]
	s_add_u32 s6, s8, s20
	v_ashrrev_i32_e32 v55, 31, v54
	s_addc_u32 s7, s9, s21
	s_waitcnt lgkmcnt(10)
	v_mfma_f32_16x16x16_bf16 a[0:3], v[32:33], v[24:25], a[0:3]
	v_mov_b32_e32 v14, 0
	v_lshl_add_u64 v[4:5], v[54:55], 1, s[6:7]
	v_mov_b32_e32 v15, 0
	s_waitcnt lgkmcnt(9)
	v_mfma_f32_16x16x16_bf16 a[0:3], v[28:29], v[18:19], a[0:3]
	s_waitcnt lgkmcnt(8)
	v_mfma_f32_16x16x16_bf16 a[0:3], v[26:27], v[20:21], a[0:3]
	s_nop 6
	v_accvgpr_read_b32 v0, a0
	v_accvgpr_read_b32 v1, a1
	;; [unrolled: 1-line block ×4, first 2 shown]
	s_and_saveexec_b64 s[6:7], vcc
	s_cbranch_execz .LBB732_68
; %bb.67:
	v_lshlrev_b32_e32 v16, 8, v6
	v_mov_b32_e32 v17, 0
	v_lshl_add_u64 v[16:17], v[4:5], 0, v[16:17]
	global_load_ushort v15, v[16:17], off
	s_waitcnt vmcnt(0)
	v_lshlrev_b32_e32 v15, 16, v15
	v_sub_f32_e32 v0, v15, v0
	v_mul_f32_e32 v0, v11, v0
	v_lshrrev_b32_e32 v15, 16, v0
.LBB732_68:
	s_or_b64 exec, exec, s[6:7]
	s_and_saveexec_b64 s[6:7], s[0:1]
	s_cbranch_execz .LBB732_70
; %bb.69:
	v_lshlrev_b32_e32 v16, 8, v9
	v_mov_b32_e32 v17, 0
	v_lshl_add_u64 v[16:17], v[4:5], 0, v[16:17]
	global_load_ushort v0, v[16:17], off
	s_waitcnt vmcnt(0)
	v_lshlrev_b32_e32 v0, 16, v0
	v_sub_f32_e32 v0, v0, v1
	v_mul_f32_e32 v0, v7, v0
	v_lshrrev_b32_e32 v14, 16, v0
.LBB732_70:
	s_or_b64 exec, exec, s[6:7]
	v_mov_b32_e32 v0, 0
	v_mov_b32_e32 v1, 0
	s_and_saveexec_b64 s[0:1], s[2:3]
	s_cbranch_execz .LBB732_72
; %bb.71:
	v_lshlrev_b32_e32 v10, 8, v10
	v_mov_b32_e32 v11, 0
	v_lshl_add_u64 v[10:11], v[4:5], 0, v[10:11]
	global_load_ushort v1, v[10:11], off
	s_waitcnt vmcnt(0)
	v_lshlrev_b32_e32 v1, 16, v1
	v_sub_f32_e32 v1, v1, v2
	v_mul_f32_e32 v1, v13, v1
	v_lshrrev_b32_e32 v1, 16, v1
.LBB732_72:
	s_or_b64 exec, exec, s[0:1]
	s_and_saveexec_b64 s[0:1], s[4:5]
	s_cbranch_execz .LBB732_74
; %bb.73:
	v_lshlrev_b32_e32 v10, 8, v12
	v_mov_b32_e32 v11, 0
	v_lshl_add_u64 v[4:5], v[4:5], 0, v[10:11]
	global_load_ushort v0, v[4:5], off
	s_waitcnt vmcnt(0)
	v_lshlrev_b32_e32 v0, 16, v0
	v_sub_f32_e32 v0, v0, v3
	v_mul_f32_e32 v0, v8, v0
	v_lshrrev_b32_e32 v0, 16, v0
.LBB732_74:
	s_or_b64 exec, exec, s[0:1]
	s_mov_b32 s0, 0x5040100
	v_lshlrev_b32_e32 v2, 1, v34
	v_perm_b32 v1, v0, v1, s0
	v_perm_b32 v0, v14, v15, s0
	v_lshl_or_b32 v2, v6, 5, v2
	ds_write_b64 v2, v[0:1] offset:38912
	s_waitcnt lgkmcnt(0)
	s_barrier
.LBB732_75:
	s_endpgm
	.section	.rodata,"a",@progbits
	.p2align	6, 0x0
	.amdhsa_kernel _ZN12_GLOBAL__N_139chunk_gated_delta_rule_fwd_h_hip_kernelILi16ELb1ELb0ELb0ELb0ELb0ELb1ELb0ELb0EEEvPK12hip_bfloat16S3_S3_PKfS5_PKvPS1_S8_PvPKiSB_iiiiilll
		.amdhsa_group_segment_fixed_size 40960
		.amdhsa_private_segment_fixed_size 0
		.amdhsa_kernarg_size 136
		.amdhsa_user_sgpr_count 2
		.amdhsa_user_sgpr_dispatch_ptr 0
		.amdhsa_user_sgpr_queue_ptr 0
		.amdhsa_user_sgpr_kernarg_segment_ptr 1
		.amdhsa_user_sgpr_dispatch_id 0
		.amdhsa_user_sgpr_kernarg_preload_length 0
		.amdhsa_user_sgpr_kernarg_preload_offset 0
		.amdhsa_user_sgpr_private_segment_size 0
		.amdhsa_uses_dynamic_stack 0
		.amdhsa_enable_private_segment 0
		.amdhsa_system_sgpr_workgroup_id_x 1
		.amdhsa_system_sgpr_workgroup_id_y 1
		.amdhsa_system_sgpr_workgroup_id_z 0
		.amdhsa_system_sgpr_workgroup_info 0
		.amdhsa_system_vgpr_workitem_id 0
		.amdhsa_next_free_vgpr 128
		.amdhsa_next_free_sgpr 67
		.amdhsa_accum_offset 116
		.amdhsa_reserve_vcc 1
		.amdhsa_float_round_mode_32 0
		.amdhsa_float_round_mode_16_64 0
		.amdhsa_float_denorm_mode_32 3
		.amdhsa_float_denorm_mode_16_64 3
		.amdhsa_dx10_clamp 1
		.amdhsa_ieee_mode 1
		.amdhsa_fp16_overflow 0
		.amdhsa_tg_split 0
		.amdhsa_exception_fp_ieee_invalid_op 0
		.amdhsa_exception_fp_denorm_src 0
		.amdhsa_exception_fp_ieee_div_zero 0
		.amdhsa_exception_fp_ieee_overflow 0
		.amdhsa_exception_fp_ieee_underflow 0
		.amdhsa_exception_fp_ieee_inexact 0
		.amdhsa_exception_int_div_zero 0
	.end_amdhsa_kernel
	.section	.text._ZN12_GLOBAL__N_139chunk_gated_delta_rule_fwd_h_hip_kernelILi16ELb1ELb0ELb0ELb0ELb0ELb1ELb0ELb0EEEvPK12hip_bfloat16S3_S3_PKfS5_PKvPS1_S8_PvPKiSB_iiiiilll,"axG",@progbits,_ZN12_GLOBAL__N_139chunk_gated_delta_rule_fwd_h_hip_kernelILi16ELb1ELb0ELb0ELb0ELb0ELb1ELb0ELb0EEEvPK12hip_bfloat16S3_S3_PKfS5_PKvPS1_S8_PvPKiSB_iiiiilll,comdat
.Lfunc_end732:
	.size	_ZN12_GLOBAL__N_139chunk_gated_delta_rule_fwd_h_hip_kernelILi16ELb1ELb0ELb0ELb0ELb0ELb1ELb0ELb0EEEvPK12hip_bfloat16S3_S3_PKfS5_PKvPS1_S8_PvPKiSB_iiiiilll, .Lfunc_end732-_ZN12_GLOBAL__N_139chunk_gated_delta_rule_fwd_h_hip_kernelILi16ELb1ELb0ELb0ELb0ELb0ELb1ELb0ELb0EEEvPK12hip_bfloat16S3_S3_PKfS5_PKvPS1_S8_PvPKiSB_iiiiilll
                                        ; -- End function
	.section	.AMDGPU.csdata,"",@progbits
; Kernel info:
; codeLenInByte = 7408
; NumSgprs: 73
; NumVgprs: 114
; NumAgprs: 12
; TotalNumVgprs: 128
; ScratchSize: 0
; MemoryBound: 0
; FloatMode: 240
; IeeeMode: 1
; LDSByteSize: 40960 bytes/workgroup (compile time only)
; SGPRBlocks: 9
; VGPRBlocks: 15
; NumSGPRsForWavesPerEU: 73
; NumVGPRsForWavesPerEU: 128
; AccumOffset: 116
; Occupancy: 1
; WaveLimiterHint : 1
; COMPUTE_PGM_RSRC2:SCRATCH_EN: 0
; COMPUTE_PGM_RSRC2:USER_SGPR: 2
; COMPUTE_PGM_RSRC2:TRAP_HANDLER: 0
; COMPUTE_PGM_RSRC2:TGID_X_EN: 1
; COMPUTE_PGM_RSRC2:TGID_Y_EN: 1
; COMPUTE_PGM_RSRC2:TGID_Z_EN: 0
; COMPUTE_PGM_RSRC2:TIDIG_COMP_CNT: 0
; COMPUTE_PGM_RSRC3_GFX90A:ACCUM_OFFSET: 28
; COMPUTE_PGM_RSRC3_GFX90A:TG_SPLIT: 0
	.section	.text._ZN12_GLOBAL__N_139chunk_gated_delta_rule_fwd_h_hip_kernelILi16ELb0ELb1ELb1ELb0ELb0ELb1ELb0ELb0EEEvPK12hip_bfloat16S3_S3_PKfS5_PKvPS1_S8_PvPKiSB_iiiiilll,"axG",@progbits,_ZN12_GLOBAL__N_139chunk_gated_delta_rule_fwd_h_hip_kernelILi16ELb0ELb1ELb1ELb0ELb0ELb1ELb0ELb0EEEvPK12hip_bfloat16S3_S3_PKfS5_PKvPS1_S8_PvPKiSB_iiiiilll,comdat
	.globl	_ZN12_GLOBAL__N_139chunk_gated_delta_rule_fwd_h_hip_kernelILi16ELb0ELb1ELb1ELb0ELb0ELb1ELb0ELb0EEEvPK12hip_bfloat16S3_S3_PKfS5_PKvPS1_S8_PvPKiSB_iiiiilll ; -- Begin function _ZN12_GLOBAL__N_139chunk_gated_delta_rule_fwd_h_hip_kernelILi16ELb0ELb1ELb1ELb0ELb0ELb1ELb0ELb0EEEvPK12hip_bfloat16S3_S3_PKfS5_PKvPS1_S8_PvPKiSB_iiiiilll
	.p2align	8
	.type	_ZN12_GLOBAL__N_139chunk_gated_delta_rule_fwd_h_hip_kernelILi16ELb0ELb1ELb1ELb0ELb0ELb1ELb0ELb0EEEvPK12hip_bfloat16S3_S3_PKfS5_PKvPS1_S8_PvPKiSB_iiiiilll,@function
_ZN12_GLOBAL__N_139chunk_gated_delta_rule_fwd_h_hip_kernelILi16ELb0ELb1ELb1ELb0ELb0ELb1ELb0ELb0EEEvPK12hip_bfloat16S3_S3_PKfS5_PKvPS1_S8_PvPKiSB_iiiiilll: ; @_ZN12_GLOBAL__N_139chunk_gated_delta_rule_fwd_h_hip_kernelILi16ELb0ELb1ELb1ELb0ELb0ELb1ELb0ELb0EEEvPK12hip_bfloat16S3_S3_PKfS5_PKvPS1_S8_PvPKiSB_iiiiilll
; %bb.0:
	s_load_dwordx4 s[12:15], s[0:1], 0x5c
	s_load_dwordx2 s[34:35], s[0:1], 0x40
	s_abs_i32 s22, s3
	s_ashr_i32 s21, s3, 31
	s_load_dwordx8 s[4:11], s[0:1], 0x0
	s_load_dwordx2 s[36:37], s[0:1], 0x20
	s_load_dwordx4 s[16:19], s[0:1], 0x30
	s_waitcnt lgkmcnt(0)
	s_abs_i32 s20, s13
	v_cvt_f32_u32_e32 v1, s20
	s_sub_i32 s24, 0, s20
	s_ashr_i32 s23, s13, 31
	s_xor_b32 s21, s21, s23
	v_rcp_iflag_f32_e32 v1, v1
	v_lshrrev_b32_e32 v53, 6, v0
	v_bfe_u32 v62, v0, 4, 2
	v_lshlrev_b32_e32 v60, 4, v53
	v_mul_f32_e32 v1, 0x4f7ffffe, v1
	v_cvt_u32_f32_e32 v1, v1
	v_lshlrev_b32_e32 v10, 2, v62
	v_and_b32_e32 v61, 63, v0
	v_mov_b32_e32 v9, 0
	v_readfirstlane_b32 s25, v1
	s_mul_i32 s24, s24, s25
	s_mul_hi_u32 s24, s25, s24
	s_add_i32 s25, s25, s24
	s_mul_hi_u32 s24, s22, s25
	s_mul_i32 s25, s24, s20
	s_sub_i32 s22, s22, s25
	s_add_i32 s25, s24, 1
	s_sub_i32 s26, s22, s20
	s_cmp_ge_u32 s22, s20
	s_cselect_b32 s24, s25, s24
	s_cselect_b32 s22, s26, s22
	s_add_i32 s25, s24, 1
	s_cmp_ge_u32 s22, s20
	s_cselect_b32 s22, s25, s24
	s_xor_b32 s22, s22, s21
	s_sub_i32 s52, s22, s21
	s_abs_i32 s21, s14
	v_cvt_f32_u32_e32 v1, s21
	s_ashr_i32 s51, s12, 31
	s_lshr_b32 s22, s51, 26
	s_add_i32 s22, s12, s22
	v_rcp_iflag_f32_e32 v1, v1
	s_ashr_i32 s54, s14, 31
	s_ashr_i32 s53, s22, 6
	s_xor_b32 s22, s23, s54
	v_mul_f32_e32 v1, 0x4f7ffffe, v1
	v_cvt_u32_f32_e32 v1, v1
	s_sub_i32 s23, 0, s21
	s_mul_i32 s50, s52, s13
	s_sub_i32 s33, s3, s50
	v_readfirstlane_b32 s24, v1
	s_mul_i32 s23, s23, s24
	s_mul_hi_u32 s23, s24, s23
	s_add_i32 s24, s24, s23
	s_mul_hi_u32 s23, s20, s24
	s_mul_i32 s24, s23, s21
	s_sub_i32 s20, s20, s24
	s_add_i32 s3, s12, 63
	s_add_i32 s24, s23, 1
	s_sub_i32 s25, s20, s21
	s_cmp_ge_u32 s20, s21
	s_cselect_b32 s23, s24, s23
	s_cselect_b32 s20, s25, s20
	s_add_i32 s24, s23, 1
	s_cmp_ge_u32 s20, s21
	s_cselect_b32 s20, s24, s23
	s_xor_b32 s20, s20, s22
	s_sub_i32 s24, s20, s22
	s_abs_i32 s25, s24
	v_cvt_f32_u32_e32 v1, s25
	s_load_dwordx2 s[38:39], s[0:1], 0x80
	s_load_dwordx4 s[20:23], s[0:1], 0x70
	s_xor_b32 s0, s33, s24
	s_sub_i32 s24, 0, s25
	v_rcp_iflag_f32_e32 v1, v1
	s_abs_i32 s1, s33
	s_ashr_i32 s0, s0, 31
	s_mul_i32 s48, s52, s12
	v_mul_f32_e32 v1, 0x4f7ffffe, v1
	v_cvt_u32_f32_e32 v1, v1
	v_and_b32_e32 v63, 15, v0
	s_mul_hi_i32 s56, s52, s13
	v_lshrrev_b32_e32 v65, 3, v61
	v_readfirstlane_b32 s26, v1
	s_mul_i32 s24, s24, s26
	s_mul_hi_u32 s24, s26, s24
	s_add_i32 s26, s26, s24
	s_mul_hi_u32 s24, s1, s26
	s_mul_i32 s26, s24, s25
	s_sub_i32 s1, s1, s26
	s_add_i32 s26, s24, 1
	s_sub_i32 s27, s1, s25
	s_cmp_ge_u32 s1, s25
	s_cselect_b32 s24, s26, s24
	s_cselect_b32 s1, s27, s1
	s_add_i32 s26, s24, 1
	s_cmp_ge_u32 s1, s25
	s_cselect_b32 s1, s26, s24
	s_xor_b32 s1, s1, s0
	s_sub_i32 s57, s1, s0
	s_ashr_i32 s0, s3, 31
	s_lshr_b32 s0, s0, 26
	s_add_i32 s3, s3, s0
	v_or_b32_e32 v1, v10, v60
	s_ashr_i32 s0, s3, 6
	s_lshl_b32 s2, s2, 4
	s_mul_i32 s55, s52, s0
	v_or_b32_e32 v66, 64, v1
	s_cmp_lt_i32 s12, 64
	v_lshlrev_b32_e32 v64, 3, v0
	s_waitcnt lgkmcnt(0)
	s_mul_i32 s21, s52, s21
	s_mul_hi_u32 s49, s52, s20
	s_mul_i32 s40, s52, s20
	v_mov_b32_e32 v8, v9
	v_mov_b32_e32 v7, v9
	;; [unrolled: 1-line block ×7, first 2 shown]
	s_cbranch_scc1 .LBB733_18
; %bb.1:
	s_ashr_i32 s3, s52, 31
	s_ashr_i32 s59, s33, 31
	s_add_u32 s0, s50, s33
	s_addc_u32 s1, s56, s59
	s_mul_i32 s1, s12, s1
	s_mul_hi_u32 s24, s12, s0
	s_add_i32 s43, s24, s1
	s_mul_i32 s42, s12, s0
	s_lshl_b64 s[0:1], s[42:43], 8
	v_and_b32_e32 v68, 56, v64
	s_add_u32 s24, s6, s0
	v_lshl_or_b32 v67, v53, 3, v65
	v_lshlrev_b32_e32 v3, 1, v68
	s_addc_u32 s0, s7, s1
	v_lshl_or_b32 v69, v67, 8, v3
	s_and_b32 s25, s0, 0xffff
	s_mov_b32 s27, 0x20000
	s_movk_i32 s26, 0x4000
	s_movk_i32 s0, 0x80
	v_or_b32_e32 v70, 0x2000, v69
	buffer_load_dwordx4 v[4:7], v69, s[24:27], 0 offen
	buffer_load_dwordx4 v[12:15], v69, s[24:27], s0 offen
	;; [unrolled: 1-line block ×4, first 2 shown]
	v_lshlrev_b32_e32 v2, 3, v67
	v_and_or_b32 v9, v0, 7, v2
	v_and_b32_e32 v2, 0x78, v2
	v_lshlrev_b32_e32 v9, 4, v9
	v_xor_b32_e32 v71, v9, v2
	v_mul_lo_u32 v8, v67, s15
	v_or_b32_e32 v72, 0x1000, v71
	v_xor_b32_e32 v2, 8, v71
	s_cmpk_eq_i32 s15, 0x80
	s_mov_b32 s58, s14
	v_xor_b32_e32 v9, 8, v72
	s_cselect_b64 s[0:1], -1, 0
	s_cmpk_lg_i32 s15, 0x80
	s_waitcnt vmcnt(3)
	ds_write_b64 v71, v[4:5] offset:16384
	ds_write_b64 v2, v[6:7] offset:16384
	s_waitcnt vmcnt(2)
	ds_write_b64 v71, v[12:13] offset:24576
	ds_write_b64 v2, v[14:15] offset:24576
	;; [unrolled: 3-line block ×4, first 2 shown]
	v_lshl_add_u32 v2, v8, 1, v68
	s_cbranch_scc0 .LBB733_3
; %bb.2:
	v_lshlrev_b32_e32 v6, 1, v2
	v_add_lshl_u32 v5, v2, s15, 1
	s_lshl_b32 s26, s15, 7
	v_lshl_or_b32 v4, v67, 9, v3
	s_cbranch_execz .LBB733_4
	s_branch .LBB733_5
.LBB733_3:
                                        ; implicit-def: $vgpr5
                                        ; implicit-def: $vgpr6
                                        ; implicit-def: $sgpr26
	v_lshl_or_b32 v4, v67, 9, v3
.LBB733_4:
	v_or_b32_e32 v5, 0x100, v4
	s_movk_i32 s26, 0x4000
	v_mov_b32_e32 v6, v4
.LBB733_5:
	s_mul_hi_u32 s24, s14, s12
	s_mul_i32 s25, s54, s12
	s_add_i32 s24, s24, s25
	s_mul_i32 s25, s14, s12
	s_mul_i32 s27, s25, s3
	s_mul_hi_u32 s28, s25, s52
	s_add_i32 s27, s28, s27
	s_mul_i32 s24, s24, s52
	s_add_i32 s27, s27, s24
	s_mul_i32 s25, s25, s52
	s_ashr_i32 s60, s57, 31
	s_add_u32 s24, s25, s57
	s_addc_u32 s25, s27, s60
	s_lshl_b64 s[24:25], s[24:25], 8
	s_add_u32 s24, s4, s24
	s_addc_u32 s25, s5, s25
	s_and_b32 s25, s25, 0xffff
	s_mov_b32 s27, 0x20000
	s_movk_i32 s61, 0x80
	buffer_load_dwordx4 v[12:15], v6, s[24:27], 0 offen
	s_nop 0
	buffer_load_dwordx4 v[6:9], v6, s[24:27], s61 offen
	s_nop 0
	buffer_load_dwordx4 v[16:19], v5, s[24:27], 0 offen
	buffer_load_dwordx4 v[20:23], v5, s[24:27], s61 offen
	v_and_b32_e32 v3, 6, v0
	s_mul_i32 s24, s3, s12
	s_mul_hi_u32 s25, s52, s12
	v_lshlrev_b32_e32 v11, 2, v63
	v_lshlrev_b32_e32 v24, 3, v63
	v_xor_b32_e32 v26, v67, v3
	v_and_b32_e32 v5, 1, v0
	s_mul_i32 s3, s3, s20
	v_lshl_or_b32 v24, v1, 5, v24
	v_xor_b32_e32 v27, v1, v11
	v_lshlrev_b32_e32 v26, 2, v26
	s_add_i32 s65, s25, s24
	s_add_i32 s24, s49, s21
	s_mul_i32 s28, s33, s23
	v_or_b32_e32 v73, 0x9000, v24
	v_or_b32_e32 v74, 0x9800, v24
	v_lshlrev_b32_e32 v24, 1, v27
	v_xor_b32_e32 v27, 0x440, v26
	v_cmp_eq_u32_e32 vcc, 0, v5
	s_add_i32 s41, s24, s3
	s_mul_hi_u32 s3, s33, s22
	v_cndmask_b32_e32 v5, v27, v26, vcc
	s_add_i32 s3, s3, s28
	s_mul_i32 s24, s59, s22
	s_mov_b32 s63, 0x1000504
	v_lshlrev_b32_e32 v25, 8, v63
	s_mov_b32 s26, 0x8000
	v_xor_b32_e32 v11, v66, v11
	v_lshl_or_b32 v3, v3, 10, v5
	s_add_i32 s25, s3, s24
	s_lshl_b64 s[28:29], s[40:41], 2
	s_mov_b32 s64, 0x3020706
	v_lshlrev_b32_e32 v11, 1, v11
	v_or3_b32 v75, v24, v25, s26
	v_xor_b32_e32 v5, 8, v3
	v_xor_b32_e32 v24, 24, v3
	;; [unrolled: 1-line block ×4, first 2 shown]
	s_mul_i32 s24, s33, s22
	s_add_u32 s3, s10, s28
	v_or3_b32 v76, v11, v25, s26
	v_xor_b32_e32 v11, 16, v3
	v_xor_b32_e32 v25, 32, v3
	;; [unrolled: 1-line block ×3, first 2 shown]
	v_add_u32_e32 v5, 0x80, v5
	v_add_u32_e32 v24, 0x80, v24
	;; [unrolled: 1-line block ×4, first 2 shown]
	s_addc_u32 s28, s11, s29
	s_lshl_b64 s[24:25], s[24:25], 2
	s_add_u32 s44, s3, s24
	s_movk_i32 s3, 0xf8
	s_addc_u32 s45, s28, s25
	s_lshl_b32 s30, s15, 7
	s_mov_b32 s62, 0
	v_add_u32_e32 v87, v60, v10
	s_mov_b32 s41, 0x7060302
	v_mov_b32_e32 v98, 0x3fb8aa3b
	s_mov_b32 s67, 0
	s_waitcnt vmcnt(1)
	v_perm_b32 v29, v12, v16, s63
	s_waitcnt vmcnt(0)
	v_perm_b32 v30, v6, v20, s63
	v_perm_b32 v12, v12, v16, s64
	;; [unrolled: 1-line block ×15, first 2 shown]
	ds_write2st64_b32 v3, v29, v30 offset1:32
	ds_write2st64_b32 v5, v12, v6 offset1:32
	ds_write2st64_b32 v11, v16, v20 offset0:1 offset1:33
	ds_write2st64_b32 v24, v13, v7 offset0:1 offset1:33
	;; [unrolled: 1-line block ×6, first 2 shown]
	v_or_b32_e32 v3, v60, v63
	v_lshlrev_b32_e32 v3, 3, v3
	v_lshrrev_b32_e32 v7, 5, v61
	v_and_or_b32 v7, v3, s3, v7
	v_lshlrev_b32_e32 v7, 4, v7
	v_lshlrev_b32_e32 v11, 11, v53
	v_and_b32_e32 v3, 0x78, v3
	v_or_b32_e32 v12, 32, v7
	v_and_b32_e32 v6, 0x1000, v11
	v_lshrrev_b32_e32 v9, 1, v61
	v_xor_b32_e32 v12, v12, v3
	v_and_b32_e32 v9, 8, v9
	v_or_b32_e32 v12, v12, v6
	v_xor_b32_e32 v8, v7, v3
	v_xor_b32_e32 v79, v12, v9
	v_or_b32_e32 v12, 64, v7
	v_or_b32_e32 v7, 0x60, v7
	v_xor_b32_e32 v12, v12, v3
	v_xor_b32_e32 v3, v7, v3
	v_or_b32_e32 v3, v3, v6
	v_or_b32_e32 v12, v12, v6
	v_xor_b32_e32 v81, v3, v9
	v_lshlrev_b32_e32 v15, 1, v2
	v_add_lshl_u32 v16, v2, s15, 1
	v_lshrrev_b32_e32 v2, 4, v0
	v_lshlrev_b32_e32 v3, 1, v63
	v_xor_b32_e32 v80, v12, v9
	s_ashr_i32 s3, s2, 31
	v_or_b32_e32 v12, 1, v3
	v_xor_b32_e32 v3, v2, v3
	s_lshl_b64 s[24:25], s[2:3], 8
	v_xor_b32_e32 v12, v12, v2
	v_lshlrev_b32_e32 v3, 3, v3
	v_lshlrev_b32_e32 v2, 8, v2
	s_add_u32 s24, s16, s24
	v_or3_b32 v83, v3, v2, s26
	v_lshlrev_b32_e32 v3, 3, v12
	s_addc_u32 s25, s17, s25
	v_or3_b32 v84, v3, v2, s26
	v_mov_b32_e32 v3, 0
	v_lshrrev_b32_e32 v20, 1, v0
	v_lshl_add_u64 v[12:13], s[24:25], 0, v[2:3]
	v_lshlrev_b32_e32 v2, 4, v63
	s_movk_i32 s3, 0xff
	v_lshlrev_b32_e32 v19, 3, v53
	v_and_b32_e32 v20, 24, v20
	v_lshl_add_u64 v[54:55], v[12:13], 0, v[2:3]
	v_and_b32_e32 v2, 7, v0
	v_and_b32_e32 v13, 8, v0
	v_cmp_lt_u32_e32 vcc, s3, v0
	v_xor_b32_e32 v21, v19, v20
	v_lshlrev_b32_e32 v14, 3, v2
	v_lshlrev_b32_e32 v18, 7, v2
	v_cndmask_b32_e64 v2, 0, 1, vcc
	v_or_b32_e32 v22, 0x440, v21
	v_cmp_eq_u32_e32 vcc, 0, v13
	v_or_b32_e32 v24, 64, v20
	v_xor_b32_e32 v24, v19, v24
	v_cndmask_b32_e32 v13, v22, v21, vcc
	v_or_b32_e32 v22, 32, v20
	v_or_b32_e32 v20, 0x60, v20
	v_xor_b32_e32 v22, v19, v22
	v_xor_b32_e32 v19, v19, v20
	v_or_b32_e32 v23, 0x440, v22
	v_xor_b32_e32 v25, 0x440, v24
	v_xor_b32_e32 v20, 0x440, v19
	v_or_b32_e32 v8, v8, v6
	v_or_b32_e32 v6, s2, v63
	v_cndmask_b32_e32 v22, v23, v22, vcc
	v_cndmask_b32_e32 v24, v25, v24, vcc
	;; [unrolled: 1-line block ×3, first 2 shown]
	v_lshrrev_b32_e32 v5, 2, v61
	v_xor_b32_e32 v77, v8, v9
	v_and_b32_e32 v8, 0x78, v64
	v_ashrrev_i32_e32 v7, 31, v6
	v_or_b32_e32 v13, v13, v11
	v_or_b32_e32 v22, v22, v11
	;; [unrolled: 1-line block ×4, first 2 shown]
	v_and_b32_e32 v5, 12, v5
	v_lshl_or_b32 v8, v62, 7, v8
	v_lshlrev_b64 v[6:7], 1, v[6:7]
	v_lshlrev_b32_e32 v2, 13, v2
	v_xor_b32_e32 v13, v13, v14
	v_xor_b32_e32 v22, v22, v14
	;; [unrolled: 1-line block ×4, first 2 shown]
	v_or_b32_e32 v78, 0x9000, v8
	v_or_b32_e32 v82, 0x9800, v8
	v_lshl_add_u64 v[8:9], s[8:9], 0, v[6:7]
	v_lshl_add_u64 v[6:7], s[18:19], 0, v[6:7]
	v_or_b32_e32 v17, 0x100, v4
	v_or_b32_e32 v12, v5, v60
	v_add_u32_e32 v21, v2, v13
	v_add_u32_e32 v23, v2, v22
	;; [unrolled: 1-line block ×4, first 2 shown]
	v_or3_b32 v14, v60, v5, 64
	v_add_u32_e32 v5, 0x2000, v13
	v_add_u32_e32 v13, 0x2000, v22
	;; [unrolled: 1-line block ×4, first 2 shown]
	v_lshlrev_b32_e32 v2, 8, v1
	v_cndmask_b32_e64 v85, v15, v4, s[0:1]
	v_cndmask_b32_e64 v86, v16, v17, s[0:1]
	v_lshl_add_u64 v[56:57], v[8:9], 0, v[2:3]
	v_lshl_add_u64 v[58:59], v[6:7], 0, v[2:3]
	s_add_i32 s3, s48, 63
	s_movk_i32 s26, 0x4000
	v_lshlrev_b32_e32 v88, 2, v12
	v_add_u32_e32 v89, v21, v18
	v_add_u32_e32 v90, v23, v18
	;; [unrolled: 1-line block ×4, first 2 shown]
	v_lshlrev_b32_e32 v93, 2, v14
	v_add_u32_e32 v94, v5, v18
	v_add_u32_e32 v95, v13, v18
	;; [unrolled: 1-line block ×4, first 2 shown]
	v_mov_b32_e32 v2, v3
	v_mov_b32_e32 v4, v3
	;; [unrolled: 1-line block ×7, first 2 shown]
	s_waitcnt lgkmcnt(0)
	s_barrier
.LBB733_6:                              ; =>This Inner Loop Header: Depth=1
	s_add_i32 s66, s67, 1
	s_cmp_lt_i32 s66, s53
	s_mov_b64 s[28:29], 0
	s_cselect_b64 s[46:47], -1, 0
	s_cmp_ge_i32 s66, s53
	s_mov_b64 s[24:25], 0
	s_cbranch_scc1 .LBB733_8
; %bb.7:                                ;   in Loop: Header=BB733_6 Depth=1
	s_add_i32 s0, s62, 64
	s_add_u32 s0, s42, s0
	s_addc_u32 s1, s43, 0
	s_lshl_b64 s[0:1], s[0:1], 8
	s_add_u32 s24, s6, s0
	s_addc_u32 s25, s7, s1
.LBB733_8:                              ;   in Loop: Header=BB733_6 Depth=1
	v_cndmask_b32_e64 v10, 0, 1, s[46:47]
	v_cmp_ne_u32_e64 s[0:1], 1, v10
	s_andn2_b64 vcc, exec, s[46:47]
	s_cbranch_vccnz .LBB733_10
; %bb.9:                                ;   in Loop: Header=BB733_6 Depth=1
	s_add_i32 s28, s62, 64
	s_add_u32 s28, s48, s28
	s_addc_u32 s29, s65, 0
	s_mul_i32 s31, s28, s54
	s_mul_hi_u32 s46, s28, s58
	s_add_i32 s31, s46, s31
	s_mul_i32 s29, s29, s58
	s_add_i32 s31, s31, s29
	s_mul_i32 s28, s28, s58
	s_add_u32 s28, s28, s57
	s_addc_u32 s29, s31, s60
	s_lshl_b64 s[28:29], s[28:29], 8
	s_add_u32 s28, s4, s28
	s_addc_u32 s29, s5, s29
.LBB733_10:                             ;   in Loop: Header=BB733_6 Depth=1
	v_perm_b32 v11, v5, v4, s41
	v_perm_b32 v10, v3, v2, s41
	;; [unrolled: 1-line block ×4, first 2 shown]
	ds_write_b64 v73, v[10:11]
	ds_write_b64 v74, v[12:13]
	;; [unrolled: 1-line block ×4, first 2 shown]
	s_waitcnt lgkmcnt(0)
	s_barrier
	ds_read_b64 v[18:19], v77 offset:16384
	ds_read_b64 v[20:21], v79 offset:16384
	ds_read2st64_b64 v[10:13], v78 offset1:1
	ds_read2st64_b64 v[14:17], v78 offset0:2 offset1:3
	ds_read_b64 v[22:23], v80 offset:16384
	s_waitcnt lgkmcnt(2)
	v_mfma_f32_16x16x16_bf16 a[0:3], v[18:19], v[10:11], 0
	ds_read_b64 v[10:11], v81 offset:16384
	s_add_i32 s31, s62, 63
	s_mul_i32 s46, s31, s39
	v_mfma_f32_16x16x16_bf16 a[0:3], v[20:21], v[12:13], a[0:3]
	s_mul_hi_u32 s47, s31, s38
	s_add_i32 s47, s47, s46
	s_mul_i32 s46, s31, s38
	s_waitcnt lgkmcnt(1)
	v_mfma_f32_16x16x16_bf16 a[0:3], v[22:23], v[14:15], a[0:3]
	s_lshl_b64 s[46:47], s[46:47], 2
	s_add_u32 s46, s44, s46
	s_addc_u32 s47, s45, s47
	s_waitcnt lgkmcnt(0)
	v_mfma_f32_16x16x16_bf16 a[0:3], v[10:11], v[16:17], a[0:3]
	s_and_b64 vcc, exec, s[0:1]
	v_mov_b32_e32 v101, 0
	v_mov_b32_e32 v100, 0
	;; [unrolled: 1-line block ×19, first 2 shown]
	s_cbranch_vccnz .LBB733_12
; %bb.11:                               ;   in Loop: Header=BB733_6 Depth=1
	s_and_b32 s25, s25, 0xffff
	buffer_load_dwordx4 v[22:25], v69, s[24:27], 0 offen
	buffer_load_dwordx4 v[18:21], v69, s[24:27], s61 offen
	;; [unrolled: 1-line block ×4, first 2 shown]
	v_mov_b32_e32 v100, v71
	v_mov_b32_e32 v99, v72
.LBB733_12:                             ;   in Loop: Header=BB733_6 Depth=1
	v_add_u32_e32 v32, s62, v87
	v_ashrrev_i32_e32 v26, 31, v32
	v_mul_lo_u32 v28, v26, s38
	v_mul_lo_u32 v29, v32, s39
	v_mad_u64_u32 v[26:27], s[24:25], v32, s38, 0
	v_add3_u32 v27, v27, v29, v28
	v_add_u32_e32 v28, 1, v32
	v_ashrrev_i32_e32 v29, 31, v28
	v_mul_lo_u32 v30, v29, s38
	v_mul_lo_u32 v31, v28, s39
	v_mad_u64_u32 v[28:29], s[24:25], v28, s38, 0
	v_add3_u32 v29, v29, v31, v30
	v_add_u32_e32 v30, 2, v32
	v_ashrrev_i32_e32 v31, 31, v30
	v_mul_lo_u32 v33, v31, s38
	v_mul_lo_u32 v34, v30, s39
	v_mad_u64_u32 v[30:31], s[24:25], v30, s38, 0
	s_add_u32 s24, s42, s62
	v_add3_u32 v31, v31, v34, v33
	v_add_u32_e32 v34, 3, v32
	s_addc_u32 s25, s43, 0
	v_ashrrev_i32_e32 v32, 31, v34
	s_lshl_b64 s[68:69], s[24:25], 8
	v_lshl_add_u64 v[26:27], v[26:27], 2, s[44:45]
	v_mul_lo_u32 v35, v32, s38
	v_lshl_add_u64 v[32:33], v[56:57], 0, s[68:69]
	v_mul_lo_u32 v36, v34, s39
	global_load_ushort v42, v[32:33], off
	global_load_ushort v43, v[32:33], off offset:256
	global_load_ushort v44, v[32:33], off offset:512
	;; [unrolled: 1-line block ×3, first 2 shown]
	global_load_dword v46, v[26:27], off
	v_mad_u64_u32 v[26:27], s[24:25], v34, s38, 0
	v_lshl_add_u64 v[28:29], v[28:29], 2, s[44:45]
	v_add3_u32 v27, v27, v36, v35
	v_lshl_add_u64 v[30:31], v[30:31], 2, s[44:45]
	v_lshl_add_u64 v[26:27], v[26:27], 2, s[44:45]
	global_load_dword v47, v[28:29], off
	global_load_dword v48, v[30:31], off
	;; [unrolled: 1-line block ×3, first 2 shown]
	ds_read_b64 v[26:27], v77 offset:24576
	s_load_dword s24, s[46:47], 0x0
	ds_read_b64 v[36:37], v79 offset:24576
	ds_read2st64_b64 v[28:31], v82 offset1:1
	ds_read2st64_b64 v[32:35], v82 offset0:2 offset1:3
	ds_read_b64 v[38:39], v80 offset:24576
	ds_read_b64 v[40:41], v81 offset:24576
	s_waitcnt lgkmcnt(0)
	v_mfma_f32_16x16x16_bf16 a[0:3], v[26:27], v[28:29], a[0:3]
	v_mov_b32_e32 v102, 0
	v_mov_b32_e32 v26, 0
	;; [unrolled: 1-line block ×3, first 2 shown]
	v_mfma_f32_16x16x16_bf16 a[0:3], v[36:37], v[30:31], a[0:3]
	v_lshl_add_u64 v[36:37], v[58:59], 0, s[68:69]
	v_mov_b32_e32 v28, 0
	v_mov_b32_e32 v29, 0
	v_mfma_f32_16x16x16_bf16 a[0:3], v[38:39], v[32:33], a[0:3]
	v_mov_b32_e32 v30, 0
	v_mov_b32_e32 v31, 0
	;; [unrolled: 1-line block ×3, first 2 shown]
	v_mfma_f32_16x16x16_bf16 a[0:3], v[40:41], v[34:35], a[0:3]
	s_and_b64 vcc, exec, s[0:1]
	s_waitcnt vmcnt(7)
	v_lshlrev_b32_e32 v40, 16, v42
	s_nop 3
	v_accvgpr_read_b32 v39, a1
	v_accvgpr_read_b32 v35, a3
	;; [unrolled: 1-line block ×4, first 2 shown]
	s_waitcnt vmcnt(6)
	v_lshlrev_b32_e32 v41, 16, v43
	s_waitcnt vmcnt(4)
	v_lshlrev_b32_e32 v43, 16, v45
	v_lshlrev_b32_e32 v42, 16, v44
	s_waitcnt vmcnt(3)
	v_sub_f32_e32 v33, s24, v46
	v_pk_add_f32 v[38:39], v[40:41], v[38:39] neg_lo:[0,1] neg_hi:[0,1]
	v_pk_add_f32 v[34:35], v[42:43], v[34:35] neg_lo:[0,1] neg_hi:[0,1]
	v_mul_f32_e32 v33, 0x3fb8aa3b, v33
	s_waitcnt vmcnt(2)
	v_sub_f32_e32 v41, s24, v47
	s_waitcnt vmcnt(1)
	v_sub_f32_e32 v42, s24, v48
	;; [unrolled: 2-line block ×3, first 2 shown]
	v_exp_f32_e32 v40, v33
	v_mul_f32_e32 v33, 0x3fb8aa3b, v41
	v_mul_f32_e32 v42, 0x3fb8aa3b, v42
	;; [unrolled: 1-line block ×3, first 2 shown]
	v_exp_f32_e32 v41, v33
	v_exp_f32_e32 v42, v42
	;; [unrolled: 1-line block ×3, first 2 shown]
	global_store_short_d16_hi v[36:37], v38, off
	global_store_short_d16_hi v[36:37], v39, off offset:256
	global_store_short_d16_hi v[36:37], v34, off offset:512
	;; [unrolled: 1-line block ×3, first 2 shown]
	v_pk_mul_f32 v[36:37], v[40:41], v[38:39]
	v_pk_mul_f32 v[34:35], v[42:43], v[34:35]
	v_mov_b32_e32 v33, 0
	v_perm_b32 v35, v35, v34, s41
	v_perm_b32 v34, v37, v36, s41
	ds_write_b64 v74, v[34:35]
	v_mov_b32_e32 v34, 0
	v_mov_b32_e32 v35, 0
	;; [unrolled: 1-line block ×8, first 2 shown]
	s_cbranch_vccnz .LBB733_14
; %bb.13:                               ;   in Loop: Header=BB733_6 Depth=1
	s_and_b32 s29, s29, 0xffff
	s_mov_b32 s31, s27
	buffer_load_dwordx4 v[38:41], v85, s[28:31], 0 offen
	buffer_load_dwordx4 v[30:33], v85, s[28:31], s61 offen
	;; [unrolled: 1-line block ×4, first 2 shown]
	v_mov_b32_e32 v101, v68
	v_mov_b32_e32 v102, v67
.LBB733_14:                             ;   in Loop: Header=BB733_6 Depth=1
	s_waitcnt lgkmcnt(0)
	s_barrier
	ds_read_b64 v[42:43], v89
	ds_read_b64 v[48:49], v90
	ds_read2st64_b64 v[44:47], v82 offset1:1
	ds_read2st64_b64 v[104:107], v82 offset0:2 offset1:3
	ds_read_b64 v[50:51], v91
	ds_read_b64 v[112:113], v92
	s_add_i32 s25, s55, s67
	s_mul_hi_i32 s29, s25, s13
	s_mul_i32 s25, s25, s13
	s_waitcnt lgkmcnt(3)
	v_mfma_f32_16x16x16_bf16 a[0:3], v[42:43], v[44:45], 0
	ds_read_b64 v[42:43], v94
	s_add_u32 s28, s25, s33
	s_addc_u32 s29, s29, s59
	s_add_i32 s25, s3, s62
	v_mfma_f32_16x16x16_bf16 a[0:3], v[48:49], v[46:47], a[0:3]
	ds_read_b64 v[48:49], v95
	s_lshl_b64 s[28:29], s[28:29], 15
	s_mul_hi_i32 s31, s25, s13
	s_mul_i32 s25, s25, s13
	s_add_u32 s46, s25, s33
	s_addc_u32 s47, s31, s59
	s_lshl_b64 s[46:47], s[46:47], 9
	s_add_u32 s46, s36, s46
	s_waitcnt lgkmcnt(1)
	v_mfma_f32_16x16x16_bf16 a[4:7], v[42:43], v[44:45], 0
	s_addc_u32 s47, s37, s47
	s_and_b64 vcc, exec, s[0:1]
	v_mfma_f32_16x16x16_bf16 a[0:3], v[50:51], v[104:105], a[0:3]
	ds_read_b64 v[50:51], v96
	ds_read_b64 v[114:115], v97
	global_load_dwordx4 v[42:45], v93, s[46:47]
	s_waitcnt lgkmcnt(2)
	v_mfma_f32_16x16x16_bf16 a[4:7], v[48:49], v[46:47], a[4:7]
	global_load_dwordx4 v[46:49], v88, s[46:47]
	ds_read_b64 v[108:109], v83
	ds_read_b64 v[110:111], v84
	s_waitcnt lgkmcnt(3)
	v_mfma_f32_16x16x16_bf16 a[8:11], v[50:51], v[104:105], a[4:7]
	v_lshl_add_u64 v[50:51], v[54:55], 0, s[28:29]
	s_waitcnt lgkmcnt(0)
	global_store_dwordx4 v[50:51], v[108:111], off
	v_mfma_f32_16x16x16_bf16 a[4:7], v[112:113], v[106:107], a[0:3]
	s_waitcnt vmcnt(2)
	v_mov_b32_e32 v52, v45
	v_mfma_f32_16x16x16_bf16 a[0:3], v[114:115], v[106:107], a[8:11]
	v_mov_b32_e32 v51, v44
	v_mov_b32_e32 v50, v43
	s_cbranch_vccnz .LBB733_16
; %bb.15:                               ;   in Loop: Header=BB733_6 Depth=1
	v_lshrrev_b32_e32 v43, 3, v101
	v_and_b32_e32 v43, 6, v43
	v_xor_b32_e32 v44, v43, v102
	v_lshlrev_b32_e32 v44, 2, v44
	v_and_b32_e32 v45, 8, v101
	v_xor_b32_e32 v101, 0x440, v44
	v_cmp_eq_u32_e32 vcc, 0, v45
	v_perm_b32 v45, v30, v26, s63
	s_nop 0
	v_cndmask_b32_e32 v44, v101, v44, vcc
	v_lshl_or_b32 v43, v43, 10, v44
	v_perm_b32 v44, v38, v34, s63
	s_barrier
	ds_write2st64_b32 v43, v44, v45 offset1:32
	v_xor_b32_e32 v44, 8, v43
	v_perm_b32 v34, v38, v34, s64
	v_perm_b32 v26, v30, v26, s64
	v_add_u32_e32 v30, 0x80, v44
	ds_write2st64_b32 v30, v34, v26 offset1:32
	v_xor_b32_e32 v26, 16, v43
	v_perm_b32 v30, v39, v35, s63
	v_perm_b32 v34, v31, v27, s63
	ds_write2st64_b32 v26, v30, v34 offset0:1 offset1:33
	v_xor_b32_e32 v26, 24, v43
	v_perm_b32 v30, v39, v35, s64
	v_perm_b32 v27, v31, v27, s64
	v_add_u32_e32 v26, 0x80, v26
	ds_write2st64_b32 v26, v30, v27 offset0:1 offset1:33
	v_xor_b32_e32 v26, 32, v43
	v_perm_b32 v27, v40, v36, s63
	v_perm_b32 v30, v32, v28, s63
	ds_write2st64_b32 v26, v27, v30 offset0:2 offset1:34
	v_xor_b32_e32 v26, 40, v43
	v_perm_b32 v27, v40, v36, s64
	v_perm_b32 v28, v32, v28, s64
	v_add_u32_e32 v26, 0x80, v26
	ds_write2st64_b32 v26, v27, v28 offset0:2 offset1:34
	;; [unrolled: 9-line block ×3, first 2 shown]
	ds_write_b64 v100, v[22:23] offset:16384
	v_xor_b32_e32 v22, 8, v100
	ds_write_b64 v22, v[24:25] offset:16384
	ds_write_b64 v100, v[18:19] offset:24576
	;; [unrolled: 1-line block ×4, first 2 shown]
	v_xor_b32_e32 v14, 8, v99
	ds_write_b64 v14, v[16:17] offset:16384
	ds_write_b64 v99, v[10:11] offset:24576
	;; [unrolled: 1-line block ×3, first 2 shown]
.LBB733_16:                             ;   in Loop: Header=BB733_6 Depth=1
	v_mul_f32_e32 v14, s24, v98
	v_exp_f32_e32 v18, v14
	s_waitcnt vmcnt(1)
	v_mul_f32_e32 v14, 0x3fb8aa3b, v46
	v_exp_f32_e32 v20, v14
	v_mul_f32_e32 v14, 0x3fb8aa3b, v47
	v_exp_f32_e32 v21, v14
	;; [unrolled: 2-line block ×4, first 2 shown]
	v_accvgpr_read_b32 v13, a7
	v_accvgpr_read_b32 v11, a5
	;; [unrolled: 1-line block ×3, first 2 shown]
	v_pk_mul_f32 v[20:21], v[18:19], v[20:21] op_sel_hi:[0,1]
	v_pk_fma_f32 v[2:3], v[2:3], v[20:21], v[10:11]
	v_pk_mul_f32 v[10:11], v[18:19], v[22:23] op_sel_hi:[0,1]
	v_mul_f32_e32 v19, 0x3fb8aa3b, v42
	v_exp_f32_e32 v20, v19
	v_mul_f32_e32 v19, 0x3fb8aa3b, v50
	v_exp_f32_e32 v21, v19
	;; [unrolled: 2-line block ×4, first 2 shown]
	v_accvgpr_read_b32 v12, a6
	v_accvgpr_read_b32 v17, a3
	;; [unrolled: 1-line block ×4, first 2 shown]
	v_pk_fma_f32 v[4:5], v[4:5], v[10:11], v[12:13]
	v_pk_mul_f32 v[10:11], v[18:19], v[20:21] op_sel_hi:[0,1]
	v_accvgpr_read_b32 v16, a2
	v_pk_fma_f32 v[6:7], v[6:7], v[10:11], v[14:15]
	v_pk_mul_f32 v[10:11], v[18:19], v[22:23] op_sel_hi:[0,1]
	s_add_i32 s62, s62, 64
	s_cmp_eq_u32 s53, s66
	v_pk_fma_f32 v[8:9], v[8:9], v[10:11], v[16:17]
	s_cbranch_scc1 .LBB733_18
; %bb.17:                               ;   in Loop: Header=BB733_6 Depth=1
	s_mov_b32 s67, s66
	s_branch .LBB733_6
.LBB733_18:
	s_lshl_b32 s46, s53, 6
	s_sub_i32 s47, s12, s46
	s_cmp_gt_i32 s47, 0
	v_or_b32_e32 v34, s2, v63
	s_cbranch_scc1 .LBB733_20
; %bb.19:
	s_ashr_i32 s0, s33, 31
	s_add_u32 s28, s50, s33
	s_addc_u32 s29, s56, s0
	v_or_b32_e32 v10, s2, v63
	s_cbranch_execz .LBB733_21
	s_branch .LBB733_77
.LBB733_20:
                                        ; implicit-def: $sgpr28_sgpr29
                                        ; implicit-def: $vgpr10
.LBB733_21:
	s_ashr_i32 s41, s52, 31
	s_ashr_i32 s3, s46, 31
	s_cmpk_lg_i32 s15, 0x80
	s_cselect_b64 s[42:43], -1, 0
	s_and_b64 vcc, exec, s[42:43]
	s_cbranch_vccz .LBB733_23
; %bb.22:
	s_mul_hi_i32 s0, s52, s12
	s_add_u32 s1, s48, s46
	s_addc_u32 s0, s0, s3
	s_mul_i32 s24, s1, s54
	s_mul_hi_u32 s25, s1, s14
	s_add_i32 s24, s25, s24
	s_mul_i32 s0, s0, s14
	s_add_i32 s24, s24, s0
	s_mul_i32 s1, s1, s14
	s_ashr_i32 s0, s57, 31
	s_add_u32 s44, s1, s57
	s_addc_u32 s45, s24, s0
	s_cbranch_execz .LBB733_24
	s_branch .LBB733_25
.LBB733_23:
                                        ; implicit-def: $sgpr44_sgpr45
.LBB733_24:
	s_mul_hi_i32 s0, s52, s14
	s_mul_i32 s52, s52, s14
	s_ashr_i32 s1, s57, 31
	s_add_u32 s14, s52, s57
	s_addc_u32 s0, s0, s1
	s_mul_i32 s1, s14, s51
	s_mul_hi_u32 s24, s14, s12
	s_add_i32 s1, s24, s1
	s_mul_i32 s0, s0, s12
	s_add_i32 s1, s1, s0
	s_mul_i32 s14, s14, s12
	s_add_u32 s44, s14, s46
	s_addc_u32 s45, s1, s3
.LBB733_25:
	s_add_i32 s24, s55, s53
	s_ashr_i32 s14, s33, 31
	s_add_u32 s28, s50, s33
	s_addc_u32 s29, s56, s14
	s_mul_i32 s0, s28, s51
	s_mul_hi_u32 s1, s28, s12
	s_add_i32 s0, s1, s0
	s_mul_i32 s1, s29, s12
	s_add_i32 s1, s0, s1
	s_mul_i32 s0, s28, s12
	s_add_u32 s0, s0, s46
	s_addc_u32 s1, s1, s3
	s_mov_b32 s3, 0x7060302
	v_lshlrev_b32_e32 v14, 3, v63
	s_lshl_b64 s[30:31], s[0:1], 8
	v_perm_b32 v11, v5, v4, s3
	v_perm_b32 v10, v3, v2, s3
	;; [unrolled: 1-line block ×4, first 2 shown]
	v_lshlrev_b32_e32 v44, 2, v63
	v_lshl_or_b32 v14, v1, 5, v14
	s_add_u32 s0, s6, s30
	ds_write2st64_b64 v14, v[10:11], v[12:13] offset0:72 offset1:76
	v_xor_b32_e32 v14, v1, v44
	v_lshlrev_b32_e32 v15, 8, v63
	s_addc_u32 s1, s7, s31
	v_lshl_or_b32 v14, v14, 1, v15
	s_mul_hi_i32 s3, s24, s13
	s_mul_i32 s24, s24, s13
	ds_write_b64 v14, v[10:11] offset:32768
	v_xor_b32_e32 v10, v66, v44
	s_add_u32 s6, s24, s33
	v_lshl_or_b32 v10, v10, 1, v15
	s_addc_u32 s7, s3, s14
	v_lshlrev_b32_e32 v11, 1, v63
	ds_write_b64 v10, v[12:13] offset:32768
	v_lshrrev_b32_e32 v10, 4, v0
	s_ashr_i32 s3, s2, 31
	s_lshl_b64 s[6:7], s[6:7], 15
	v_or_b32_e32 v12, 1, v11
	s_add_u32 s6, s16, s6
	v_xor_b32_e32 v11, v10, v11
	v_xor_b32_e32 v12, v12, v10
	v_lshlrev_b32_e32 v14, 8, v10
	s_addc_u32 s7, s17, s7
	s_lshl_b64 s[2:3], s[2:3], 8
	v_lshl_or_b32 v10, v11, 3, v14
	v_lshl_or_b32 v12, v12, 3, v14
	s_waitcnt lgkmcnt(0)
	s_barrier
	s_add_u32 s2, s6, s2
	ds_read_b64 v[10:11], v10 offset:32768
	ds_read_b64 v[12:13], v12 offset:32768
	s_addc_u32 s3, s7, s3
	v_mov_b32_e32 v15, 0
	s_cmp_lg_u32 s47, 64
	v_lshl_add_u64 v[16:17], s[2:3], 0, v[14:15]
	v_lshlrev_b32_e32 v14, 4, v63
	s_cselect_b64 s[6:7], -1, 0
	v_lshl_or_b32 v35, v53, 3, v65
	s_mov_b32 s24, 0
	v_lshl_add_u64 v[14:15], v[16:17], 0, v[14:15]
	v_or_b32_e32 v27, 32, v35
	v_and_b32_e32 v26, 56, v64
	s_and_b64 vcc, exec, s[6:7]
	s_waitcnt lgkmcnt(0)
	global_store_dwordx4 v[14:15], v[10:13], off
	s_cbranch_vccz .LBB733_31
; %bb.26:
	s_mov_b32 s25, s24
	s_mov_b32 s26, s24
	;; [unrolled: 1-line block ×3, first 2 shown]
	v_mov_b64_e32 v[14:15], s[24:25]
	v_mov_b64_e32 v[16:17], s[26:27]
	;; [unrolled: 1-line block ×3, first 2 shown]
	v_cmp_gt_i32_e32 vcc, s47, v35
	v_mov_b64_e32 v[12:13], v[16:17]
	s_and_saveexec_b64 s[2:3], vcc
	s_cbranch_execz .LBB733_28
; %bb.27:
	v_lshlrev_b32_e32 v10, 8, v35
	v_mov_b32_e32 v11, 0
	v_lshl_add_u64 v[12:13], s[0:1], 0, v[10:11]
	v_lshlrev_b32_e32 v10, 1, v26
	v_lshl_add_u64 v[18:19], v[12:13], 0, v[10:11]
	global_load_dwordx4 v[14:17], v[18:19], off
	global_load_dwordx4 v[10:13], v[18:19], off offset:128
.LBB733_28:
	s_or_b64 exec, exec, s[2:3]
	s_mov_b32 s25, s24
	s_mov_b32 s26, s24
	;; [unrolled: 1-line block ×3, first 2 shown]
	v_mov_b64_e32 v[22:23], s[24:25]
	v_mov_b64_e32 v[24:25], s[26:27]
	v_mov_b64_e32 v[18:19], v[22:23]
	v_cmp_gt_i32_e32 vcc, s47, v27
	v_lshlrev_b32_e32 v28, 7, v27
	v_mov_b64_e32 v[20:21], v[24:25]
	s_and_saveexec_b64 s[2:3], vcc
	s_cbranch_execz .LBB733_30
; %bb.29:
	v_lshlrev_b32_e32 v18, 1, v28
	v_mov_b32_e32 v19, 0
	v_lshl_add_u64 v[20:21], s[0:1], 0, v[18:19]
	v_lshlrev_b32_e32 v18, 1, v26
	v_lshl_add_u64 v[30:31], v[20:21], 0, v[18:19]
	global_load_dwordx4 v[22:25], v[30:31], off
	global_load_dwordx4 v[18:21], v[30:31], off offset:128
.LBB733_30:
	s_or_b64 exec, exec, s[2:3]
	v_lshrrev_b32_e32 v29, 3, v26
	v_lshlrev_b32_e32 v30, 3, v35
	v_or_b32_e32 v29, v30, v29
	v_lshlrev_b32_e32 v29, 4, v29
	v_and_b32_e32 v30, 0x78, v30
	v_xor_b32_e32 v29, v29, v30
	s_branch .LBB733_33
.LBB733_31:
                                        ; implicit-def: $vgpr29
                                        ; implicit-def: $vgpr28
                                        ; implicit-def: $vgpr14_vgpr15_vgpr16_vgpr17
                                        ; implicit-def: $vgpr10_vgpr11_vgpr12_vgpr13
                                        ; implicit-def: $vgpr22_vgpr23_vgpr24_vgpr25
                                        ; implicit-def: $vgpr18_vgpr19_vgpr20_vgpr21
	s_cbranch_execz .LBB733_33
; %bb.32:
	s_waitcnt vmcnt(0)
	v_lshlrev_b32_e32 v10, 1, v26
	v_lshl_or_b32 v28, v35, 8, v10
	s_and_b32 s1, s1, 0xffff
	s_mov_b32 s3, 0x20000
	s_movk_i32 s2, 0x4000
	v_lshl_or_b32 v29, v27, 8, v10
	s_movk_i32 s16, 0x80
	buffer_load_dwordx4 v[14:17], v28, s[0:3], 0 offen
	buffer_load_dwordx4 v[10:13], v28, s[0:3], s16 offen
	;; [unrolled: 1-line block ×4, first 2 shown]
	v_lshrrev_b32_e32 v28, 3, v26
	v_lshlrev_b32_e32 v29, 3, v35
	v_or_b32_e32 v28, v29, v28
	v_lshlrev_b32_e32 v28, 4, v28
	v_and_b32_e32 v29, 0x78, v29
	v_xor_b32_e32 v29, v28, v29
	v_lshlrev_b32_e32 v28, 7, v27
.LBB733_33:
	s_lshl_b64 s[0:1], s[44:45], 8
	s_add_u32 s4, s4, s0
	s_movk_i32 s0, 0x1000
	v_and_or_b32 v27, v28, s0, v29
	s_waitcnt vmcnt(1)
	ds_write_b64 v29, v[14:15] offset:16384
	v_xor_b32_e32 v14, 8, v29
	s_addc_u32 s5, s5, s1
	ds_write_b64 v14, v[16:17] offset:16384
	s_waitcnt vmcnt(0)
	ds_write_b64 v29, v[10:11] offset:24576
	ds_write_b64 v14, v[12:13] offset:24576
	ds_write_b64 v27, v[22:23] offset:16384
	v_xor_b32_e32 v10, 8, v27
	s_add_i32 s16, s12, -1
	ds_write_b64 v10, v[24:25] offset:16384
	ds_write_b64 v27, v[18:19] offset:24576
	;; [unrolled: 1-line block ×3, first 2 shown]
	s_mul_i32 s3, s16, s39
	s_mul_hi_u32 s12, s16, s38
	v_or_b32_e32 v10, v60, v63
	s_add_i32 s3, s12, s3
	v_lshlrev_b32_e32 v10, 3, v10
	v_lshrrev_b32_e32 v12, 5, v61
	s_movk_i32 s12, 0xf8
	v_and_or_b32 v12, v10, s12, v12
	v_lshlrev_b32_e32 v45, 11, v53
	v_lshlrev_b32_e32 v20, 4, v12
	v_and_b32_e32 v21, 0x78, v10
	v_and_b32_e32 v22, 0x1000, v45
	v_lshlrev_b32_e32 v11, 2, v0
	v_xor_b32_e32 v10, v20, v21
	v_lshrrev_b32_e32 v12, 1, v61
	v_and_b32_e32 v11, 60, v11
	v_or_b32_e32 v10, v10, v22
	v_and_b32_e32 v23, 8, v12
	v_xor_b32_e32 v36, v10, v23
	v_lshl_or_b32 v10, v62, 6, v11
	v_lshlrev_b32_e32 v46, 1, v10
	v_or_b32_e32 v10, 32, v20
	v_xor_b32_e32 v10, v10, v21
	s_waitcnt lgkmcnt(0)
	s_barrier
	ds_read_b64 v[18:19], v36 offset:16384
	v_or_b32_e32 v10, v10, v22
	v_xor_b32_e32 v37, v10, v23
	v_or_b32_e32 v10, 64, v20
	v_xor_b32_e32 v10, v10, v21
	v_or_b32_e32 v10, v10, v22
	v_or_b32_e32 v20, 0x60, v20
	v_xor_b32_e32 v38, v10, v23
	ds_read2st64_b64 v[10:13], v46 offset0:72 offset1:73
	ds_read2st64_b64 v[14:17], v46 offset0:74 offset1:75
	v_xor_b32_e32 v24, v20, v21
	ds_read_b64 v[20:21], v37 offset:16384
	s_waitcnt lgkmcnt(2)
	v_mfma_f32_16x16x16_bf16 a[0:3], v[18:19], v[10:11], 0
	s_add_i32 s0, s49, s21
	s_mul_i32 s41, s41, s20
	s_add_i32 s41, s0, s41
	s_mul_i32 s0, s33, s23
	s_mul_hi_u32 s1, s33, s22
	s_ashr_i32 s2, s16, 31
	s_add_i32 s0, s1, s0
	s_mul_i32 s1, s14, s22
	s_mul_i32 s2, s2, s38
	v_or_b32_e32 v22, v24, v22
	s_add_i32 s1, s0, s1
	s_add_i32 s3, s3, s2
	s_lshl_b64 s[20:21], s[40:41], 2
	v_xor_b32_e32 v47, v22, v23
	ds_read_b64 v[22:23], v38 offset:16384
	ds_read_b64 v[24:25], v47 offset:16384
	s_waitcnt lgkmcnt(2)
	v_mfma_f32_16x16x16_bf16 a[0:3], v[20:21], v[12:13], a[0:3]
	s_mul_i32 s0, s33, s22
	s_add_u32 s10, s10, s20
	s_addc_u32 s11, s11, s21
	s_lshl_b64 s[0:1], s[0:1], 2
	s_mul_i32 s2, s16, s38
	s_add_u32 s10, s10, s0
	s_addc_u32 s11, s11, s1
	s_lshl_b64 s[0:1], s[2:3], 2
	s_waitcnt lgkmcnt(1)
	v_mfma_f32_16x16x16_bf16 a[0:3], v[22:23], v[14:15], a[0:3]
	s_add_u32 s0, s10, s0
	s_addc_u32 s1, s11, s1
	s_load_dword s12, s[0:1], 0x0
	s_waitcnt lgkmcnt(0)
	v_mfma_f32_16x16x16_bf16 a[0:3], v[24:25], v[16:17], a[0:3]
	s_and_b64 vcc, exec, s[42:43]
	s_cbranch_vccz .LBB733_44
; %bb.34:
	v_lshlrev_b32_e32 v27, 1, v35
	s_and_b64 vcc, exec, s[6:7]
	s_cbranch_vccz .LBB733_45
; %bb.35:
	v_cmp_gt_i32_e32 vcc, s47, v27
	v_mov_b32_e32 v14, 0
	v_mov_b32_e32 v10, 0
	;; [unrolled: 1-line block ×5, first 2 shown]
	s_and_saveexec_b64 s[0:1], vcc
	s_cbranch_execz .LBB733_37
; %bb.36:
	v_mad_i64_i32 v[10:11], s[2:3], s15, v27, 0
	v_lshl_add_u64 v[10:11], v[10:11], 1, s[4:5]
	v_lshlrev_b32_e32 v12, 1, v26
	v_mov_b32_e32 v13, 0
	v_lshl_add_u64 v[10:11], v[10:11], 0, v[12:13]
	global_load_dwordx4 v[10:13], v[10:11], off
.LBB733_37:
	s_or_b64 exec, exec, s[0:1]
	v_or_b32_e32 v28, 1, v27
	v_cmp_gt_i32_e64 s[0:1], s47, v28
	v_mov_b32_e32 v15, 0
	v_mov_b32_e32 v16, 0
	;; [unrolled: 1-line block ×3, first 2 shown]
	s_and_saveexec_b64 s[2:3], s[0:1]
	s_cbranch_execz .LBB733_39
; %bb.38:
	v_mad_i64_i32 v[14:15], s[20:21], s15, v28, 0
	v_lshl_add_u64 v[14:15], v[14:15], 1, s[4:5]
	v_lshlrev_b32_e32 v16, 1, v26
	v_mov_b32_e32 v17, 0
	v_lshl_add_u64 v[14:15], v[14:15], 0, v[16:17]
	global_load_dwordx4 v[14:17], v[14:15], off
.LBB733_39:
	s_or_b64 exec, exec, s[2:3]
	v_mov_b32_e32 v25, 0
	v_mov_b32_e32 v18, 0
	;; [unrolled: 1-line block ×5, first 2 shown]
	s_and_saveexec_b64 s[2:3], vcc
	s_cbranch_execz .LBB733_41
; %bb.40:
	v_mad_i64_i32 v[18:19], s[20:21], s15, v27, 0
	v_lshl_add_u64 v[18:19], v[18:19], 1, s[4:5]
	v_lshlrev_b32_e32 v20, 1, v26
	v_mov_b32_e32 v21, 0
	v_lshl_add_u64 v[18:19], v[18:19], 0, v[20:21]
	global_load_dwordx4 v[18:21], v[18:19], off offset:128
.LBB733_41:
	s_or_b64 exec, exec, s[2:3]
	v_mov_b32_e32 v24, 0
	v_mov_b32_e32 v23, 0
	;; [unrolled: 1-line block ×3, first 2 shown]
	s_and_saveexec_b64 s[2:3], s[0:1]
	s_cbranch_execz .LBB733_43
; %bb.42:
	v_mad_i64_i32 v[22:23], s[0:1], s15, v28, 0
	v_lshl_add_u64 v[22:23], v[22:23], 1, s[4:5]
	v_lshlrev_b32_e32 v24, 1, v26
	v_mov_b32_e32 v25, 0
	v_lshl_add_u64 v[22:23], v[22:23], 0, v[24:25]
	global_load_dwordx4 v[22:25], v[22:23], off offset:128
.LBB733_43:
	s_or_b64 exec, exec, s[2:3]
	s_branch .LBB733_47
.LBB733_44:
                                        ; implicit-def: $vgpr13
                                        ; implicit-def: $vgpr17
                                        ; implicit-def: $vgpr21
                                        ; implicit-def: $vgpr25
	v_lshrrev_b32_e32 v27, 2, v61
	s_branch .LBB733_48
.LBB733_45:
                                        ; implicit-def: $vgpr13
                                        ; implicit-def: $vgpr17
                                        ; implicit-def: $vgpr21
                                        ; implicit-def: $vgpr25
	s_cbranch_execz .LBB733_47
; %bb.46:
	s_waitcnt vmcnt(0)
	v_mad_u64_u32 v[10:11], s[0:1], v27, s15, v[26:27]
	v_lshlrev_b32_e32 v27, 1, v10
	s_lshl_b32 s2, s15, 7
	s_and_b32 s1, s5, 0xffff
	s_mov_b32 s3, 0x20000
	s_mov_b32 s0, s4
	v_add_lshl_u32 v28, v10, s15, 1
	s_movk_i32 s15, 0x80
	buffer_load_dwordx4 v[10:13], v27, s[0:3], 0 offen
	buffer_load_dwordx4 v[18:21], v27, s[0:3], s15 offen
	;; [unrolled: 1-line block ×4, first 2 shown]
.LBB733_47:
	v_lshrrev_b32_e32 v27, 2, v61
	s_cbranch_execnz .LBB733_60
.LBB733_48:
	s_and_b64 vcc, exec, s[6:7]
	s_cbranch_vccz .LBB733_58
; %bb.49:
	s_waitcnt vmcnt(0)
	v_lshlrev_b32_e32 v15, 1, v35
	v_cmp_gt_i32_e32 vcc, s47, v15
	v_mov_b32_e32 v14, 0
	v_lshlrev_b32_e32 v22, 9, v35
	v_mov_b32_e32 v10, 0
	v_mov_b32_e32 v11, 0
	v_mov_b32_e32 v12, 0
	v_mov_b32_e32 v13, 0
	s_and_saveexec_b64 s[0:1], vcc
	s_cbranch_execz .LBB733_51
; %bb.50:
	v_mov_b32_e32 v23, 0
	v_lshl_add_u64 v[10:11], s[4:5], 0, v[22:23]
	v_lshlrev_b32_e32 v12, 1, v26
	v_mov_b32_e32 v13, v23
	v_lshl_add_u64 v[10:11], v[10:11], 0, v[12:13]
	global_load_dwordx4 v[10:13], v[10:11], off
.LBB733_51:
	s_or_b64 exec, exec, s[0:1]
	v_or_b32_e32 v15, 1, v15
	v_cmp_gt_i32_e64 s[0:1], s47, v15
	v_lshlrev_b32_e32 v28, 8, v15
	v_mov_b32_e32 v15, 0
	v_mov_b32_e32 v16, 0
	;; [unrolled: 1-line block ×3, first 2 shown]
	s_and_saveexec_b64 s[2:3], s[0:1]
	s_cbranch_execz .LBB733_53
; %bb.52:
	v_mov_b32_e32 v29, 0
	v_lshl_add_u64 v[14:15], s[4:5], 0, v[28:29]
	v_lshlrev_b32_e32 v16, 1, v26
	v_mov_b32_e32 v17, v29
	v_lshl_add_u64 v[14:15], v[14:15], 0, v[16:17]
	global_load_dwordx4 v[14:17], v[14:15], off
.LBB733_53:
	s_or_b64 exec, exec, s[2:3]
	v_mov_b32_e32 v25, 0
	v_mov_b32_e32 v18, 0
	;; [unrolled: 1-line block ×5, first 2 shown]
	s_and_saveexec_b64 s[2:3], vcc
	s_cbranch_execz .LBB733_55
; %bb.54:
	v_mov_b32_e32 v23, 0
	v_lshl_add_u64 v[18:19], s[4:5], 0, v[22:23]
	v_lshlrev_b32_e32 v22, 1, v26
	v_lshl_add_u64 v[18:19], v[18:19], 0, v[22:23]
	global_load_dwordx4 v[18:21], v[18:19], off offset:128
.LBB733_55:
	s_or_b64 exec, exec, s[2:3]
	v_mov_b32_e32 v24, 0
	v_mov_b32_e32 v23, 0
	v_mov_b32_e32 v22, 0
	s_and_saveexec_b64 s[2:3], s[0:1]
	s_cbranch_execz .LBB733_57
; %bb.56:
	v_mov_b32_e32 v29, 0
	v_lshl_add_u64 v[22:23], s[4:5], 0, v[28:29]
	v_lshlrev_b32_e32 v28, 1, v26
	v_lshl_add_u64 v[22:23], v[22:23], 0, v[28:29]
	global_load_dwordx4 v[22:25], v[22:23], off offset:128
.LBB733_57:
	s_or_b64 exec, exec, s[2:3]
	s_branch .LBB733_60
.LBB733_58:
                                        ; implicit-def: $vgpr13
                                        ; implicit-def: $vgpr17
                                        ; implicit-def: $vgpr21
                                        ; implicit-def: $vgpr25
	s_cbranch_execz .LBB733_60
; %bb.59:
	s_waitcnt vmcnt(0)
	v_lshlrev_b32_e32 v10, 1, v26
	v_lshl_or_b32 v26, v35, 9, v10
	s_and_b32 s5, s5, 0xffff
	s_mov_b32 s7, 0x20000
	s_movk_i32 s6, 0x4000
	s_movk_i32 s0, 0x80
	buffer_load_dwordx4 v[10:13], v26, s[4:7], 0 offen
	buffer_load_dwordx4 v[14:17], v26, s[4:7], 0 offen offset:256
	buffer_load_dwordx4 v[18:21], v26, s[4:7], s0 offen
	buffer_load_dwordx4 v[22:25], v26, s[4:7], s0 offen offset:256
.LBB733_60:
	v_and_b32_e32 v48, 12, v27
	ds_read2st64_b64 v[30:33], v46 offset0:76 offset1:77
	ds_read2st64_b64 v[26:29], v46 offset0:78 offset1:79
	ds_read_b64 v[42:43], v36 offset:24576
	ds_read_b64 v[40:41], v37 offset:24576
	;; [unrolled: 1-line block ×4, first 2 shown]
	v_and_b32_e32 v47, 6, v0
	v_xor_b32_e32 v35, v35, v47
	v_lshlrev_b32_e32 v35, 2, v35
	v_and_b32_e32 v49, 1, v0
	v_xor_b32_e32 v50, 0x440, v35
	v_cmp_eq_u32_e32 vcc, 0, v49
	s_mov_b32 s0, 0x1000504
	s_waitcnt vmcnt(0)
	v_perm_b32 v49, v18, v22, s0
	v_cndmask_b32_e32 v35, v50, v35, vcc
	v_lshl_or_b32 v35, v47, 10, v35
	v_perm_b32 v47, v10, v14, s0
	ds_write2st64_b32 v35, v47, v49 offset1:32
	v_xor_b32_e32 v47, 8, v35
	s_mov_b32 s1, 0x3020706
	v_perm_b32 v10, v10, v14, s1
	v_perm_b32 v14, v18, v22, s1
	v_add_u32_e32 v18, 0x80, v47
	ds_write2st64_b32 v18, v10, v14 offset1:32
	v_xor_b32_e32 v10, 16, v35
	v_perm_b32 v14, v11, v15, s0
	v_perm_b32 v18, v19, v23, s0
	ds_write2st64_b32 v10, v14, v18 offset0:1 offset1:33
	v_xor_b32_e32 v10, 24, v35
	v_perm_b32 v11, v11, v15, s1
	v_perm_b32 v14, v19, v23, s1
	v_add_u32_e32 v10, 0x80, v10
	ds_write2st64_b32 v10, v11, v14 offset0:1 offset1:33
	v_xor_b32_e32 v10, 32, v35
	v_perm_b32 v11, v12, v16, s0
	v_perm_b32 v14, v20, v24, s0
	ds_write2st64_b32 v10, v11, v14 offset0:2 offset1:34
	v_xor_b32_e32 v10, 40, v35
	v_perm_b32 v11, v12, v16, s1
	v_perm_b32 v12, v20, v24, s1
	v_add_u32_e32 v10, 0x80, v10
	ds_write2st64_b32 v10, v11, v12 offset0:2 offset1:34
	v_xor_b32_e32 v10, 48, v35
	v_perm_b32 v11, v13, v17, s0
	v_perm_b32 v12, v21, v25, s0
	ds_write2st64_b32 v10, v11, v12 offset0:3 offset1:35
	v_xor_b32_e32 v10, 56, v35
	v_or_b32_e32 v18, v48, v60
	v_perm_b32 v11, v13, v17, s1
	v_perm_b32 v12, v21, v25, s1
	v_add_u32_e32 v10, 0x80, v10
	v_cmp_gt_i32_e32 vcc, s47, v18
	v_mov_b32_e32 v20, 0
	v_mov_b32_e32 v24, 0
	ds_write2st64_b32 v10, v11, v12 offset0:3 offset1:35
	s_and_saveexec_b64 s[0:1], vcc
	s_cbranch_execz .LBB733_62
; %bb.61:
	v_add_u32_e32 v10, s46, v18
	v_ashrrev_i32_e32 v11, 31, v10
	v_mul_lo_u32 v12, v11, s38
	v_mul_lo_u32 v13, v10, s39
	v_mad_u64_u32 v[10:11], s[2:3], v10, s38, 0
	v_add3_u32 v11, v11, v13, v12
	v_lshl_add_u64 v[10:11], v[10:11], 2, s[10:11]
	global_load_dword v10, v[10:11], off
	s_waitcnt vmcnt(0)
	v_sub_f32_e32 v10, s12, v10
	v_mul_f32_e32 v10, 0x3fb8aa3b, v10
	v_exp_f32_e32 v24, v10
.LBB733_62:
	s_or_b64 exec, exec, s[0:1]
	v_or_b32_e32 v23, 1, v18
	v_cmp_gt_i32_e64 s[4:5], s47, v23
	s_and_saveexec_b64 s[0:1], s[4:5]
	s_cbranch_execz .LBB733_64
; %bb.63:
	v_add_u32_e32 v10, s46, v23
	v_ashrrev_i32_e32 v11, 31, v10
	v_mul_lo_u32 v12, v11, s38
	v_mul_lo_u32 v13, v10, s39
	v_mad_u64_u32 v[10:11], s[2:3], v10, s38, 0
	v_add3_u32 v11, v11, v13, v12
	v_lshl_add_u64 v[10:11], v[10:11], 2, s[10:11]
	global_load_dword v10, v[10:11], off
	s_waitcnt vmcnt(0)
	v_sub_f32_e32 v10, s12, v10
	v_mul_f32_e32 v10, 0x3fb8aa3b, v10
	v_exp_f32_e32 v20, v10
.LBB733_64:
	s_or_b64 exec, exec, s[0:1]
	v_or_b32_e32 v21, 2, v18
	v_cmp_gt_i32_e64 s[0:1], s47, v21
	v_mov_b32_e32 v19, 0
	v_mov_b32_e32 v25, 0
	s_and_saveexec_b64 s[2:3], s[0:1]
	s_cbranch_execz .LBB733_66
; %bb.65:
	v_add_u32_e32 v10, s46, v21
	v_ashrrev_i32_e32 v11, 31, v10
	v_mul_lo_u32 v12, v11, s38
	v_mul_lo_u32 v13, v10, s39
	v_mad_u64_u32 v[10:11], s[6:7], v10, s38, 0
	v_add3_u32 v11, v11, v13, v12
	v_lshl_add_u64 v[10:11], v[10:11], 2, s[10:11]
	global_load_dword v10, v[10:11], off
	s_waitcnt vmcnt(0)
	v_sub_f32_e32 v10, s12, v10
	v_mul_f32_e32 v10, 0x3fb8aa3b, v10
	v_exp_f32_e32 v25, v10
.LBB733_66:
	s_or_b64 exec, exec, s[2:3]
	v_or_b32_e32 v22, 3, v18
	v_cmp_gt_i32_e64 s[2:3], s47, v22
	s_and_saveexec_b64 s[6:7], s[2:3]
	s_cbranch_execz .LBB733_68
; %bb.67:
	v_add_u32_e32 v10, s46, v22
	v_ashrrev_i32_e32 v11, 31, v10
	v_mul_lo_u32 v12, v11, s38
	v_mul_lo_u32 v13, v10, s39
	v_mad_u64_u32 v[10:11], s[20:21], v10, s38, 0
	v_add3_u32 v11, v11, v13, v12
	v_lshl_add_u64 v[10:11], v[10:11], 2, s[10:11]
	global_load_dword v10, v[10:11], off
	s_waitcnt vmcnt(0)
	v_sub_f32_e32 v10, s12, v10
	v_mul_f32_e32 v10, 0x3fb8aa3b, v10
	v_exp_f32_e32 v19, v10
.LBB733_68:
	s_or_b64 exec, exec, s[6:7]
	s_waitcnt lgkmcnt(11)
	v_mfma_f32_16x16x16_bf16 a[0:3], v[42:43], v[30:31], a[0:3]
	s_add_u32 s6, s8, s30
	v_ashrrev_i32_e32 v35, 31, v34
	s_addc_u32 s7, s9, s31
	s_waitcnt lgkmcnt(10)
	v_mfma_f32_16x16x16_bf16 a[0:3], v[40:41], v[32:33], a[0:3]
	v_lshlrev_b64 v[10:11], 1, v[34:35]
	v_lshl_add_u64 v[14:15], s[6:7], 0, v[10:11]
	s_add_u32 s6, s18, s30
	s_waitcnt lgkmcnt(9)
	v_mfma_f32_16x16x16_bf16 a[0:3], v[38:39], v[26:27], a[0:3]
	s_addc_u32 s7, s19, s31
	v_lshl_add_u64 v[16:17], s[6:7], 0, v[10:11]
	v_mov_b32_e32 v26, 0
	s_waitcnt lgkmcnt(8)
	v_mfma_f32_16x16x16_bf16 a[0:3], v[36:37], v[28:29], a[0:3]
	v_mov_b32_e32 v27, 0
	s_nop 5
	v_accvgpr_read_b32 v13, a3
	v_accvgpr_read_b32 v12, a2
	;; [unrolled: 1-line block ×4, first 2 shown]
	s_and_saveexec_b64 s[6:7], vcc
	s_cbranch_execz .LBB733_70
; %bb.69:
	v_lshlrev_b32_e32 v28, 8, v18
	v_mov_b32_e32 v29, 0
	v_lshl_add_u64 v[30:31], v[14:15], 0, v[28:29]
	global_load_ushort v27, v[30:31], off
	v_lshl_add_u64 v[28:29], v[16:17], 0, v[28:29]
	s_waitcnt vmcnt(0)
	v_lshlrev_b32_e32 v27, 16, v27
	v_sub_f32_e32 v10, v27, v10
	global_store_short_d16_hi v[28:29], v10, off
	v_mul_f32_e32 v10, v24, v10
	v_lshrrev_b32_e32 v27, 16, v10
.LBB733_70:
	s_or_b64 exec, exec, s[6:7]
	s_and_saveexec_b64 s[6:7], s[4:5]
	s_cbranch_execz .LBB733_72
; %bb.71:
	v_lshlrev_b32_e32 v28, 8, v23
	v_mov_b32_e32 v29, 0
	v_lshl_add_u64 v[30:31], v[14:15], 0, v[28:29]
	global_load_ushort v10, v[30:31], off
	v_lshl_add_u64 v[28:29], v[16:17], 0, v[28:29]
	s_waitcnt vmcnt(0)
	v_lshlrev_b32_e32 v10, 16, v10
	v_sub_f32_e32 v10, v10, v11
	global_store_short_d16_hi v[28:29], v10, off
	v_mul_f32_e32 v10, v20, v10
	v_lshrrev_b32_e32 v26, 16, v10
.LBB733_72:
	s_or_b64 exec, exec, s[6:7]
	v_mov_b32_e32 v11, 0
	v_mov_b32_e32 v20, 0
	s_and_saveexec_b64 s[4:5], s[0:1]
	s_cbranch_execz .LBB733_74
; %bb.73:
	v_lshlrev_b32_e32 v20, 8, v21
	v_mov_b32_e32 v21, 0
	v_lshl_add_u64 v[28:29], v[14:15], 0, v[20:21]
	global_load_ushort v10, v[28:29], off
	v_lshl_add_u64 v[20:21], v[16:17], 0, v[20:21]
	s_waitcnt vmcnt(0)
	v_lshlrev_b32_e32 v10, 16, v10
	v_sub_f32_e32 v10, v10, v12
	global_store_short_d16_hi v[20:21], v10, off
	v_mul_f32_e32 v10, v25, v10
	v_lshrrev_b32_e32 v20, 16, v10
.LBB733_74:
	s_or_b64 exec, exec, s[4:5]
	v_or_b32_e32 v10, 0x9800, v46
	s_and_saveexec_b64 s[0:1], s[2:3]
	s_cbranch_execz .LBB733_76
; %bb.75:
	v_lshlrev_b32_e32 v22, 8, v22
	v_mov_b32_e32 v23, 0
	v_lshl_add_u64 v[14:15], v[14:15], 0, v[22:23]
	global_load_ushort v11, v[14:15], off
	v_lshl_add_u64 v[14:15], v[16:17], 0, v[22:23]
	s_waitcnt vmcnt(0)
	v_lshlrev_b32_e32 v11, 16, v11
	v_sub_f32_e32 v11, v11, v13
	global_store_short_d16_hi v[14:15], v11, off
	v_mul_f32_e32 v11, v19, v11
	v_lshrrev_b32_e32 v11, 16, v11
.LBB733_76:
	s_or_b64 exec, exec, s[0:1]
	s_mov_b32 s0, 0x5040100
	v_perm_b32 v13, v11, v20, s0
	v_lshlrev_b32_e32 v11, 1, v44
	v_perm_b32 v12, v26, v27, s0
	v_lshl_or_b32 v11, v18, 5, v11
	s_movk_i32 s2, 0xff
	ds_write_b64 v11, v[12:13] offset:38912
	v_and_b32_e32 v11, 7, v0
	v_cmp_lt_u32_e32 vcc, s2, v0
	v_and_b32_e32 v12, 8, v0
	v_lshlrev_b32_e32 v20, 3, v11
	v_lshlrev_b32_e32 v32, 7, v11
	v_cndmask_b32_e64 v11, 0, 1, vcc
	v_lshrrev_b32_e32 v0, 1, v0
	v_lshlrev_b32_e32 v22, 13, v11
	v_lshlrev_b32_e32 v11, 3, v53
	v_and_b32_e32 v0, 24, v0
	v_xor_b32_e32 v13, v11, v0
	v_or_b32_e32 v14, 0x440, v13
	v_cmp_eq_u32_e32 vcc, 0, v12
	s_add_i32 s0, s16, s48
	s_mul_hi_i32 s1, s0, s13
	v_cndmask_b32_e32 v12, v14, v13, vcc
	v_or_b32_e32 v12, v12, v45
	v_xor_b32_e32 v33, v12, v20
	v_or_b32_e32 v12, 32, v0
	v_xor_b32_e32 v12, v11, v12
	v_or_b32_e32 v13, 0x440, v12
	v_cndmask_b32_e32 v12, v13, v12, vcc
	v_or_b32_e32 v12, v12, v45
	v_xor_b32_e32 v35, v12, v20
	v_or_b32_e32 v12, 64, v0
	v_xor_b32_e32 v12, v11, v12
	v_xor_b32_e32 v13, 0x440, v12
	s_mul_i32 s0, s0, s13
	v_cndmask_b32_e32 v12, v13, v12, vcc
	v_or_b32_e32 v0, 0x60, v0
	s_add_u32 s0, s0, s33
	v_add3_u32 v23, v22, v33, v32
	v_or_b32_e32 v12, v12, v45
	v_xor_b32_e32 v0, v11, v0
	s_waitcnt lgkmcnt(0)
	s_barrier
	s_addc_u32 s1, s1, s14
	v_lshlrev_b32_e32 v21, 2, v18
	v_xor_b32_e32 v36, v12, v20
	ds_read2st64_b64 v[12:15], v10 offset1:1
	ds_read2st64_b64 v[16:19], v10 offset0:2 offset1:3
	ds_read_b64 v[10:11], v23
	v_xor_b32_e32 v23, 0x440, v0
	s_lshl_b64 s[0:1], s[0:1], 9
	v_cndmask_b32_e32 v0, v23, v0, vcc
	s_add_u32 s0, s36, s0
	v_or_b32_e32 v0, v0, v45
	s_addc_u32 s1, s37, s1
	v_add3_u32 v24, v22, v35, v32
	v_xor_b32_e32 v37, v0, v20
	v_add3_u32 v26, v22, v36, v32
	v_add3_u32 v0, v22, v37, v32
	ds_read_b64 v[24:25], v24
	ds_read_b64 v[28:29], v26
	;; [unrolled: 1-line block ×3, first 2 shown]
	global_load_dwordx4 v[20:23], v21, s[0:1]
	s_waitcnt lgkmcnt(3)
	v_mfma_f32_16x16x16_bf16 a[0:3], v[10:11], v[12:13], 0
	v_lshlrev_b32_e32 v0, 6, v53
	v_lshlrev_b32_e32 v10, 2, v48
	s_movk_i32 s2, 0x100
	v_or3_b32 v0, v0, v10, s2
	s_waitcnt lgkmcnt(2)
	v_mfma_f32_16x16x16_bf16 a[0:3], v[24:25], v[14:15], a[0:3]
	global_load_dwordx4 v[24:27], v0, s[0:1]
	v_mov_b32_e32 v0, 0x3fb8aa3b
	v_mul_f32_e32 v0, s12, v0
	s_waitcnt lgkmcnt(1)
	v_mfma_f32_16x16x16_bf16 a[0:3], v[28:29], v[16:17], a[0:3]
	v_exp_f32_e32 v0, v0
	v_add_u32_e32 v33, v33, v32
	v_add_u32_e32 v35, v35, v32
	s_waitcnt lgkmcnt(0)
	v_mfma_f32_16x16x16_bf16 a[0:3], v[30:31], v[18:19], a[0:3]
	ds_read_b64 v[30:31], v33 offset:8192
	s_waitcnt vmcnt(1)
	v_mul_f32_e32 v20, 0x3fb8aa3b, v20
	v_mul_f32_e32 v21, 0x3fb8aa3b, v21
	v_exp_f32_e32 v20, v20
	v_exp_f32_e32 v21, v21
	s_nop 0
	v_accvgpr_read_b32 v29, a1
	v_accvgpr_read_b32 v28, a0
	v_mul_f32_e32 v22, 0x3fb8aa3b, v22
	v_pk_mul_f32 v[20:21], v[0:1], v[20:21] op_sel_hi:[0,1]
	v_pk_fma_f32 v[2:3], v[2:3], v[20:21], v[28:29]
	ds_read_b64 v[20:21], v35 offset:8192
	v_mul_f32_e32 v23, 0x3fb8aa3b, v23
	v_exp_f32_e32 v22, v22
	v_exp_f32_e32 v23, v23
	v_accvgpr_read_b32 v11, a3
	v_accvgpr_read_b32 v10, a2
	s_waitcnt lgkmcnt(1)
	v_mfma_f32_16x16x16_bf16 a[0:3], v[30:31], v[12:13], 0
	v_pk_mul_f32 v[22:23], v[0:1], v[22:23] op_sel_hi:[0,1]
	v_pk_fma_f32 v[4:5], v[4:5], v[22:23], v[10:11]
	v_add_u32_e32 v10, v36, v32
	v_add_u32_e32 v11, v37, v32
	ds_read_b64 v[22:23], v10 offset:8192
	ds_read_b64 v[28:29], v11 offset:8192
	s_waitcnt lgkmcnt(2)
	v_mfma_f32_16x16x16_bf16 a[0:3], v[20:21], v[14:15], a[0:3]
	s_waitcnt vmcnt(0)
	v_mov_b32_e32 v10, v25
	v_mov_b32_e32 v11, v26
	;; [unrolled: 1-line block ×3, first 2 shown]
	s_waitcnt lgkmcnt(1)
	v_mfma_f32_16x16x16_bf16 a[0:3], v[22:23], v[16:17], a[0:3]
	v_mul_f32_e32 v10, 0x3fb8aa3b, v10
	v_mul_f32_e32 v13, 0x3fb8aa3b, v24
	v_exp_f32_e32 v25, v10
	v_mul_f32_e32 v10, 0x3fb8aa3b, v11
	v_mul_f32_e32 v11, 0x3fb8aa3b, v12
	s_waitcnt lgkmcnt(0)
	v_mfma_f32_16x16x16_bf16 a[0:3], v[28:29], v[18:19], a[0:3]
	v_exp_f32_e32 v24, v13
	v_exp_f32_e32 v10, v10
	;; [unrolled: 1-line block ×3, first 2 shown]
	v_pk_mul_f32 v[14:15], v[0:1], v[24:25] op_sel_hi:[0,1]
	v_pk_mul_f32 v[10:11], v[0:1], v[10:11] op_sel_hi:[0,1]
	s_nop 1
	v_accvgpr_read_b32 v17, a1
	v_accvgpr_read_b32 v13, a3
	;; [unrolled: 1-line block ×4, first 2 shown]
	v_pk_fma_f32 v[6:7], v[6:7], v[14:15], v[16:17]
	v_pk_fma_f32 v[8:9], v[8:9], v[10:11], v[12:13]
	v_mov_b32_e32 v10, v34
.LBB733_77:
	s_lshl_b64 s[0:1], s[28:29], 16
	s_add_u32 s0, s34, s0
	v_lshlrev_b32_e32 v10, 7, v10
	s_addc_u32 s1, s35, s1
	v_ashrrev_i32_e32 v11, 31, v10
	v_lshl_add_u64 v[10:11], v[10:11], 2, s[0:1]
	v_lshlrev_b32_e32 v0, 2, v1
	v_mov_b32_e32 v1, 0
	v_lshl_add_u64 v[0:1], v[10:11], 0, v[0:1]
	global_store_dwordx4 v[0:1], v[2:5], off
	global_store_dwordx4 v[0:1], v[6:9], off offset:256
	s_endpgm
	.section	.rodata,"a",@progbits
	.p2align	6, 0x0
	.amdhsa_kernel _ZN12_GLOBAL__N_139chunk_gated_delta_rule_fwd_h_hip_kernelILi16ELb0ELb1ELb1ELb0ELb0ELb1ELb0ELb0EEEvPK12hip_bfloat16S3_S3_PKfS5_PKvPS1_S8_PvPKiSB_iiiiilll
		.amdhsa_group_segment_fixed_size 40960
		.amdhsa_private_segment_fixed_size 0
		.amdhsa_kernarg_size 136
		.amdhsa_user_sgpr_count 2
		.amdhsa_user_sgpr_dispatch_ptr 0
		.amdhsa_user_sgpr_queue_ptr 0
		.amdhsa_user_sgpr_kernarg_segment_ptr 1
		.amdhsa_user_sgpr_dispatch_id 0
		.amdhsa_user_sgpr_kernarg_preload_length 0
		.amdhsa_user_sgpr_kernarg_preload_offset 0
		.amdhsa_user_sgpr_private_segment_size 0
		.amdhsa_uses_dynamic_stack 0
		.amdhsa_enable_private_segment 0
		.amdhsa_system_sgpr_workgroup_id_x 1
		.amdhsa_system_sgpr_workgroup_id_y 1
		.amdhsa_system_sgpr_workgroup_id_z 0
		.amdhsa_system_sgpr_workgroup_info 0
		.amdhsa_system_vgpr_workitem_id 0
		.amdhsa_next_free_vgpr 128
		.amdhsa_next_free_sgpr 70
		.amdhsa_accum_offset 116
		.amdhsa_reserve_vcc 1
		.amdhsa_float_round_mode_32 0
		.amdhsa_float_round_mode_16_64 0
		.amdhsa_float_denorm_mode_32 3
		.amdhsa_float_denorm_mode_16_64 3
		.amdhsa_dx10_clamp 1
		.amdhsa_ieee_mode 1
		.amdhsa_fp16_overflow 0
		.amdhsa_tg_split 0
		.amdhsa_exception_fp_ieee_invalid_op 0
		.amdhsa_exception_fp_denorm_src 0
		.amdhsa_exception_fp_ieee_div_zero 0
		.amdhsa_exception_fp_ieee_overflow 0
		.amdhsa_exception_fp_ieee_underflow 0
		.amdhsa_exception_fp_ieee_inexact 0
		.amdhsa_exception_int_div_zero 0
	.end_amdhsa_kernel
	.section	.text._ZN12_GLOBAL__N_139chunk_gated_delta_rule_fwd_h_hip_kernelILi16ELb0ELb1ELb1ELb0ELb0ELb1ELb0ELb0EEEvPK12hip_bfloat16S3_S3_PKfS5_PKvPS1_S8_PvPKiSB_iiiiilll,"axG",@progbits,_ZN12_GLOBAL__N_139chunk_gated_delta_rule_fwd_h_hip_kernelILi16ELb0ELb1ELb1ELb0ELb0ELb1ELb0ELb0EEEvPK12hip_bfloat16S3_S3_PKfS5_PKvPS1_S8_PvPKiSB_iiiiilll,comdat
.Lfunc_end733:
	.size	_ZN12_GLOBAL__N_139chunk_gated_delta_rule_fwd_h_hip_kernelILi16ELb0ELb1ELb1ELb0ELb0ELb1ELb0ELb0EEEvPK12hip_bfloat16S3_S3_PKfS5_PKvPS1_S8_PvPKiSB_iiiiilll, .Lfunc_end733-_ZN12_GLOBAL__N_139chunk_gated_delta_rule_fwd_h_hip_kernelILi16ELb0ELb1ELb1ELb0ELb0ELb1ELb0ELb0EEEvPK12hip_bfloat16S3_S3_PKfS5_PKvPS1_S8_PvPKiSB_iiiiilll
                                        ; -- End function
	.section	.AMDGPU.csdata,"",@progbits
; Kernel info:
; codeLenInByte = 8444
; NumSgprs: 76
; NumVgprs: 116
; NumAgprs: 12
; TotalNumVgprs: 128
; ScratchSize: 0
; MemoryBound: 0
; FloatMode: 240
; IeeeMode: 1
; LDSByteSize: 40960 bytes/workgroup (compile time only)
; SGPRBlocks: 9
; VGPRBlocks: 15
; NumSGPRsForWavesPerEU: 76
; NumVGPRsForWavesPerEU: 128
; AccumOffset: 116
; Occupancy: 1
; WaveLimiterHint : 1
; COMPUTE_PGM_RSRC2:SCRATCH_EN: 0
; COMPUTE_PGM_RSRC2:USER_SGPR: 2
; COMPUTE_PGM_RSRC2:TRAP_HANDLER: 0
; COMPUTE_PGM_RSRC2:TGID_X_EN: 1
; COMPUTE_PGM_RSRC2:TGID_Y_EN: 1
; COMPUTE_PGM_RSRC2:TGID_Z_EN: 0
; COMPUTE_PGM_RSRC2:TIDIG_COMP_CNT: 0
; COMPUTE_PGM_RSRC3_GFX90A:ACCUM_OFFSET: 28
; COMPUTE_PGM_RSRC3_GFX90A:TG_SPLIT: 0
	.section	.text._ZN12_GLOBAL__N_139chunk_gated_delta_rule_fwd_h_hip_kernelILi16ELb0ELb1ELb0ELb0ELb0ELb1ELb0ELb0EEEvPK12hip_bfloat16S3_S3_PKfS5_PKvPS1_S8_PvPKiSB_iiiiilll,"axG",@progbits,_ZN12_GLOBAL__N_139chunk_gated_delta_rule_fwd_h_hip_kernelILi16ELb0ELb1ELb0ELb0ELb0ELb1ELb0ELb0EEEvPK12hip_bfloat16S3_S3_PKfS5_PKvPS1_S8_PvPKiSB_iiiiilll,comdat
	.globl	_ZN12_GLOBAL__N_139chunk_gated_delta_rule_fwd_h_hip_kernelILi16ELb0ELb1ELb0ELb0ELb0ELb1ELb0ELb0EEEvPK12hip_bfloat16S3_S3_PKfS5_PKvPS1_S8_PvPKiSB_iiiiilll ; -- Begin function _ZN12_GLOBAL__N_139chunk_gated_delta_rule_fwd_h_hip_kernelILi16ELb0ELb1ELb0ELb0ELb0ELb1ELb0ELb0EEEvPK12hip_bfloat16S3_S3_PKfS5_PKvPS1_S8_PvPKiSB_iiiiilll
	.p2align	8
	.type	_ZN12_GLOBAL__N_139chunk_gated_delta_rule_fwd_h_hip_kernelILi16ELb0ELb1ELb0ELb0ELb0ELb1ELb0ELb0EEEvPK12hip_bfloat16S3_S3_PKfS5_PKvPS1_S8_PvPKiSB_iiiiilll,@function
_ZN12_GLOBAL__N_139chunk_gated_delta_rule_fwd_h_hip_kernelILi16ELb0ELb1ELb0ELb0ELb0ELb1ELb0ELb0EEEvPK12hip_bfloat16S3_S3_PKfS5_PKvPS1_S8_PvPKiSB_iiiiilll: ; @_ZN12_GLOBAL__N_139chunk_gated_delta_rule_fwd_h_hip_kernelILi16ELb0ELb1ELb0ELb0ELb0ELb1ELb0ELb0EEEvPK12hip_bfloat16S3_S3_PKfS5_PKvPS1_S8_PvPKiSB_iiiiilll
; %bb.0:
	s_load_dwordx4 s[12:15], s[0:1], 0x5c
	s_load_dwordx4 s[16:19], s[0:1], 0x70
	s_abs_i32 s22, s3
	s_ashr_i32 s21, s3, 31
	s_load_dwordx8 s[4:11], s[0:1], 0x0
	s_load_dwordx2 s[30:31], s[0:1], 0x20
	s_waitcnt lgkmcnt(0)
	s_abs_i32 s20, s13
	v_cvt_f32_u32_e32 v1, s20
	s_sub_i32 s24, 0, s20
	s_ashr_i32 s23, s13, 31
	s_xor_b32 s21, s21, s23
	v_rcp_iflag_f32_e32 v1, v1
	s_load_dwordx2 s[28:29], s[0:1], 0x40
	s_load_dwordx2 s[38:39], s[0:1], 0x30
	;; [unrolled: 1-line block ×3, first 2 shown]
	v_lshrrev_b32_e32 v53, 6, v0
	v_mul_f32_e32 v1, 0x4f7ffffe, v1
	v_cvt_u32_f32_e32 v1, v1
	v_bfe_u32 v60, v0, 4, 2
	v_lshlrev_b32_e32 v58, 4, v53
	v_lshlrev_b32_e32 v10, 2, v60
	v_readfirstlane_b32 s25, v1
	s_mul_i32 s24, s24, s25
	s_mul_hi_u32 s24, s25, s24
	s_add_i32 s25, s25, s24
	s_mul_hi_u32 s24, s22, s25
	s_mul_i32 s25, s24, s20
	s_sub_i32 s22, s22, s25
	s_add_i32 s25, s24, 1
	s_sub_i32 s26, s22, s20
	s_cmp_ge_u32 s22, s20
	s_cselect_b32 s24, s25, s24
	s_cselect_b32 s22, s26, s22
	s_add_i32 s25, s24, 1
	s_cmp_ge_u32 s22, s20
	s_cselect_b32 s22, s25, s24
	s_xor_b32 s22, s22, s21
	s_sub_i32 s50, s22, s21
	s_abs_i32 s21, s14
	v_cvt_f32_u32_e32 v1, s21
	s_ashr_i32 s49, s12, 31
	s_lshr_b32 s22, s49, 26
	s_add_i32 s22, s12, s22
	v_rcp_iflag_f32_e32 v1, v1
	s_ashr_i32 s52, s14, 31
	s_ashr_i32 s51, s22, 6
	s_xor_b32 s22, s23, s52
	v_mul_f32_e32 v1, 0x4f7ffffe, v1
	v_cvt_u32_f32_e32 v1, v1
	s_sub_i32 s23, 0, s21
	s_mul_i32 s48, s50, s13
	s_sub_i32 s33, s3, s48
	v_readfirstlane_b32 s24, v1
	s_mul_i32 s23, s23, s24
	s_mul_hi_u32 s23, s24, s23
	s_add_i32 s24, s24, s23
	s_mul_hi_u32 s23, s20, s24
	s_mul_i32 s24, s23, s21
	s_sub_i32 s20, s20, s24
	s_add_i32 s3, s12, 63
	s_add_i32 s24, s23, 1
	s_sub_i32 s25, s20, s21
	s_cmp_ge_u32 s20, s21
	s_cselect_b32 s23, s24, s23
	s_cselect_b32 s20, s25, s20
	s_add_i32 s24, s23, 1
	s_cmp_ge_u32 s20, s21
	s_cselect_b32 s20, s24, s23
	s_xor_b32 s20, s20, s22
	s_sub_i32 s20, s20, s22
	s_abs_i32 s21, s20
	v_cvt_f32_u32_e32 v1, s21
	s_xor_b32 s0, s33, s20
	s_sub_i32 s20, 0, s21
	s_abs_i32 s1, s33
	v_rcp_iflag_f32_e32 v1, v1
	s_ashr_i32 s0, s0, 31
	v_and_b32_e32 v59, 63, v0
	v_mov_b32_e32 v9, 0
	v_mul_f32_e32 v1, 0x4f7ffffe, v1
	v_cvt_u32_f32_e32 v1, v1
	s_mul_i32 s46, s50, s12
	v_and_b32_e32 v61, 15, v0
	s_mul_hi_i32 s54, s50, s13
	v_readfirstlane_b32 s22, v1
	s_mul_i32 s20, s20, s22
	s_mul_hi_u32 s20, s22, s20
	s_add_i32 s22, s22, s20
	s_mul_hi_u32 s20, s1, s22
	s_mul_i32 s22, s20, s21
	s_sub_i32 s1, s1, s22
	s_add_i32 s22, s20, 1
	s_sub_i32 s23, s1, s21
	s_cmp_ge_u32 s1, s21
	s_cselect_b32 s20, s22, s20
	s_cselect_b32 s1, s23, s1
	s_add_i32 s22, s20, 1
	s_cmp_ge_u32 s1, s21
	s_cselect_b32 s1, s22, s20
	s_xor_b32 s1, s1, s0
	s_sub_i32 s55, s1, s0
	s_ashr_i32 s0, s3, 31
	s_lshr_b32 s0, s0, 26
	s_add_i32 s3, s3, s0
	v_or_b32_e32 v1, v10, v58
	s_ashr_i32 s0, s3, 6
	s_lshl_b32 s2, s2, 4
	s_mul_i32 s53, s50, s0
	v_or_b32_e32 v64, 64, v1
	s_cmp_lt_i32 s12, 64
	v_lshrrev_b32_e32 v63, 3, v59
	v_lshlrev_b32_e32 v62, 3, v0
	s_mul_i32 s17, s50, s17
	s_mul_hi_u32 s47, s50, s16
	s_mul_i32 s36, s50, s16
	v_mov_b32_e32 v8, v9
	v_mov_b32_e32 v7, v9
	;; [unrolled: 1-line block ×7, first 2 shown]
	s_cbranch_scc1 .LBB734_18
; %bb.1:
	s_ashr_i32 s3, s50, 31
	s_ashr_i32 s57, s33, 31
	s_add_u32 s0, s48, s33
	s_addc_u32 s1, s54, s57
	s_mul_i32 s1, s12, s1
	s_mul_hi_u32 s20, s12, s0
	s_add_i32 s41, s20, s1
	s_mul_i32 s40, s12, s0
	s_lshl_b64 s[0:1], s[40:41], 8
	v_and_b32_e32 v66, 56, v62
	s_add_u32 s20, s6, s0
	v_lshl_or_b32 v65, v53, 3, v63
	v_lshlrev_b32_e32 v3, 1, v66
	s_addc_u32 s0, s7, s1
	v_lshl_or_b32 v67, v65, 8, v3
	s_and_b32 s21, s0, 0xffff
	s_mov_b32 s23, 0x20000
	s_movk_i32 s22, 0x4000
	s_movk_i32 s0, 0x80
	v_or_b32_e32 v68, 0x2000, v67
	buffer_load_dwordx4 v[4:7], v67, s[20:23], 0 offen
	buffer_load_dwordx4 v[12:15], v67, s[20:23], s0 offen
	;; [unrolled: 1-line block ×4, first 2 shown]
	v_lshlrev_b32_e32 v2, 3, v65
	v_and_or_b32 v9, v0, 7, v2
	v_and_b32_e32 v2, 0x78, v2
	v_lshlrev_b32_e32 v9, 4, v9
	v_xor_b32_e32 v69, v9, v2
	v_mul_lo_u32 v8, v65, s15
	v_or_b32_e32 v70, 0x1000, v69
	v_xor_b32_e32 v2, 8, v69
	s_cmpk_eq_i32 s15, 0x80
	s_mov_b32 s56, s14
	v_xor_b32_e32 v9, 8, v70
	s_cselect_b64 s[0:1], -1, 0
	s_cmpk_lg_i32 s15, 0x80
	s_waitcnt vmcnt(3)
	ds_write_b64 v69, v[4:5] offset:16384
	ds_write_b64 v2, v[6:7] offset:16384
	s_waitcnt vmcnt(2)
	ds_write_b64 v69, v[12:13] offset:24576
	ds_write_b64 v2, v[14:15] offset:24576
	;; [unrolled: 3-line block ×4, first 2 shown]
	v_lshl_add_u32 v2, v8, 1, v66
	s_cbranch_scc0 .LBB734_3
; %bb.2:
	v_lshlrev_b32_e32 v6, 1, v2
	v_add_lshl_u32 v5, v2, s15, 1
	s_lshl_b32 s22, s15, 7
	v_lshl_or_b32 v4, v65, 9, v3
	s_cbranch_execz .LBB734_4
	s_branch .LBB734_5
.LBB734_3:
                                        ; implicit-def: $vgpr5
                                        ; implicit-def: $vgpr6
                                        ; implicit-def: $sgpr22
	v_lshl_or_b32 v4, v65, 9, v3
.LBB734_4:
	v_or_b32_e32 v5, 0x100, v4
	s_movk_i32 s22, 0x4000
	v_mov_b32_e32 v6, v4
.LBB734_5:
	s_mul_hi_u32 s20, s14, s12
	s_mul_i32 s21, s52, s12
	s_add_i32 s20, s20, s21
	s_mul_i32 s21, s14, s12
	s_mul_i32 s23, s21, s3
	s_mul_hi_u32 s24, s21, s50
	s_add_i32 s23, s24, s23
	s_mul_i32 s20, s20, s50
	s_add_i32 s23, s23, s20
	s_mul_i32 s21, s21, s50
	s_ashr_i32 s58, s55, 31
	s_add_u32 s20, s21, s55
	s_addc_u32 s21, s23, s58
	s_lshl_b64 s[20:21], s[20:21], 8
	s_add_u32 s20, s4, s20
	s_addc_u32 s21, s5, s21
	s_and_b32 s21, s21, 0xffff
	s_mov_b32 s23, 0x20000
	s_movk_i32 s59, 0x80
	buffer_load_dwordx4 v[12:15], v6, s[20:23], 0 offen
	s_nop 0
	buffer_load_dwordx4 v[6:9], v6, s[20:23], s59 offen
	s_nop 0
	buffer_load_dwordx4 v[16:19], v5, s[20:23], 0 offen
	buffer_load_dwordx4 v[20:23], v5, s[20:23], s59 offen
	v_and_b32_e32 v3, 6, v0
	s_mul_i32 s20, s3, s12
	s_mul_hi_u32 s21, s50, s12
	v_lshlrev_b32_e32 v11, 2, v61
	v_lshlrev_b32_e32 v24, 3, v61
	v_xor_b32_e32 v26, v65, v3
	v_and_b32_e32 v5, 1, v0
	s_mul_i32 s3, s3, s16
	v_lshl_or_b32 v24, v1, 5, v24
	v_xor_b32_e32 v27, v1, v11
	v_lshlrev_b32_e32 v26, 2, v26
	s_add_i32 s63, s21, s20
	s_add_i32 s20, s47, s17
	s_mul_i32 s24, s33, s19
	v_or_b32_e32 v71, 0x9000, v24
	v_or_b32_e32 v72, 0x9800, v24
	v_lshlrev_b32_e32 v24, 1, v27
	v_xor_b32_e32 v27, 0x440, v26
	v_cmp_eq_u32_e32 vcc, 0, v5
	s_add_i32 s37, s20, s3
	s_mul_hi_u32 s3, s33, s18
	v_cndmask_b32_e32 v5, v27, v26, vcc
	s_add_i32 s3, s3, s24
	s_mul_i32 s20, s57, s18
	s_mov_b32 s61, 0x1000504
	v_lshlrev_b32_e32 v25, 8, v61
	s_mov_b32 s22, 0x8000
	v_xor_b32_e32 v11, v64, v11
	v_lshl_or_b32 v3, v3, 10, v5
	s_add_i32 s21, s3, s20
	s_lshl_b64 s[24:25], s[36:37], 2
	s_mov_b32 s62, 0x3020706
	v_lshlrev_b32_e32 v11, 1, v11
	v_or3_b32 v73, v24, v25, s22
	v_xor_b32_e32 v5, 8, v3
	v_xor_b32_e32 v24, 24, v3
	;; [unrolled: 1-line block ×4, first 2 shown]
	s_mul_i32 s20, s33, s18
	s_add_u32 s3, s10, s24
	v_or3_b32 v74, v11, v25, s22
	v_xor_b32_e32 v11, 16, v3
	v_xor_b32_e32 v25, 32, v3
	;; [unrolled: 1-line block ×3, first 2 shown]
	v_add_u32_e32 v5, 0x80, v5
	v_add_u32_e32 v24, 0x80, v24
	;; [unrolled: 1-line block ×4, first 2 shown]
	s_addc_u32 s24, s11, s25
	s_lshl_b64 s[20:21], s[20:21], 2
	s_add_u32 s42, s3, s20
	s_movk_i32 s3, 0xf8
	s_addc_u32 s43, s24, s21
	s_lshl_b32 s26, s15, 7
	s_mov_b32 s60, 0
	v_add_u32_e32 v85, v58, v10
	s_mov_b32 s37, 0x7060302
	v_mov_b32_e32 v96, 0x3fb8aa3b
	s_mov_b32 s65, 0
	s_waitcnt vmcnt(1)
	v_perm_b32 v29, v12, v16, s61
	s_waitcnt vmcnt(0)
	v_perm_b32 v30, v6, v20, s61
	v_perm_b32 v12, v12, v16, s62
	;; [unrolled: 1-line block ×15, first 2 shown]
	ds_write2st64_b32 v3, v29, v30 offset1:32
	ds_write2st64_b32 v5, v12, v6 offset1:32
	ds_write2st64_b32 v11, v16, v20 offset0:1 offset1:33
	ds_write2st64_b32 v24, v13, v7 offset0:1 offset1:33
	;; [unrolled: 1-line block ×6, first 2 shown]
	v_or_b32_e32 v3, v58, v61
	v_lshlrev_b32_e32 v3, 3, v3
	v_lshrrev_b32_e32 v7, 5, v59
	v_and_or_b32 v7, v3, s3, v7
	v_lshlrev_b32_e32 v7, 4, v7
	v_lshlrev_b32_e32 v11, 11, v53
	v_and_b32_e32 v3, 0x78, v3
	v_or_b32_e32 v12, 32, v7
	v_and_b32_e32 v6, 0x1000, v11
	v_lshrrev_b32_e32 v9, 1, v59
	v_xor_b32_e32 v12, v12, v3
	v_and_b32_e32 v9, 8, v9
	v_or_b32_e32 v12, v12, v6
	v_xor_b32_e32 v8, v7, v3
	v_xor_b32_e32 v77, v12, v9
	v_or_b32_e32 v12, 64, v7
	v_or_b32_e32 v7, 0x60, v7
	;; [unrolled: 1-line block ×3, first 2 shown]
	v_xor_b32_e32 v12, v12, v3
	v_xor_b32_e32 v3, v7, v3
	;; [unrolled: 1-line block ×3, first 2 shown]
	v_and_b32_e32 v8, 0x78, v62
	v_or_b32_e32 v3, v3, v6
	v_lshl_or_b32 v8, v60, 7, v8
	v_xor_b32_e32 v79, v3, v9
	v_lshlrev_b32_e32 v13, 1, v2
	v_add_lshl_u32 v14, v2, s15, 1
	v_lshrrev_b32_e32 v2, 4, v0
	v_lshlrev_b32_e32 v3, 1, v61
	v_or_b32_e32 v76, 0x9000, v8
	v_or_b32_e32 v80, 0x9800, v8
	s_ashr_i32 s3, s2, 31
	v_or_b32_e32 v8, 1, v3
	v_xor_b32_e32 v3, v2, v3
	s_lshl_b64 s[20:21], s[2:3], 8
	v_xor_b32_e32 v8, v8, v2
	v_lshlrev_b32_e32 v3, 3, v3
	v_lshlrev_b32_e32 v2, 8, v2
	s_waitcnt lgkmcnt(0)
	s_add_u32 s20, s38, s20
	v_or3_b32 v81, v3, v2, s22
	v_lshlrev_b32_e32 v3, 3, v8
	v_or_b32_e32 v12, v12, v6
	s_addc_u32 s21, s39, s21
	v_or3_b32 v82, v3, v2, s22
	v_mov_b32_e32 v3, 0
	v_lshrrev_b32_e32 v18, 1, v0
	v_xor_b32_e32 v78, v12, v9
	v_lshl_add_u64 v[8:9], s[20:21], 0, v[2:3]
	v_lshlrev_b32_e32 v2, 4, v61
	s_movk_i32 s3, 0xff
	v_lshlrev_b32_e32 v17, 3, v53
	v_and_b32_e32 v18, 24, v18
	v_lshl_add_u64 v[54:55], v[8:9], 0, v[2:3]
	v_and_b32_e32 v2, 7, v0
	v_and_b32_e32 v9, 8, v0
	v_cmp_lt_u32_e32 vcc, s3, v0
	v_xor_b32_e32 v19, v17, v18
	v_lshlrev_b32_e32 v12, 3, v2
	v_lshlrev_b32_e32 v16, 7, v2
	v_cndmask_b32_e64 v2, 0, 1, vcc
	v_or_b32_e32 v20, 0x440, v19
	v_cmp_eq_u32_e32 vcc, 0, v9
	v_or_b32_e32 v22, 64, v18
	v_xor_b32_e32 v22, v17, v22
	v_cndmask_b32_e32 v9, v20, v19, vcc
	v_or_b32_e32 v20, 32, v18
	v_or_b32_e32 v18, 0x60, v18
	v_xor_b32_e32 v20, v17, v20
	v_xor_b32_e32 v17, v17, v18
	v_or_b32_e32 v21, 0x440, v20
	v_xor_b32_e32 v23, 0x440, v22
	v_xor_b32_e32 v18, 0x440, v17
	v_cndmask_b32_e32 v20, v21, v20, vcc
	v_cndmask_b32_e32 v22, v23, v22, vcc
	;; [unrolled: 1-line block ×3, first 2 shown]
	v_lshrrev_b32_e32 v5, 2, v59
	v_or_b32_e32 v6, s2, v61
	v_or_b32_e32 v9, v9, v11
	;; [unrolled: 1-line block ×5, first 2 shown]
	v_and_b32_e32 v5, 12, v5
	v_ashrrev_i32_e32 v7, 31, v6
	v_lshlrev_b32_e32 v2, 13, v2
	v_xor_b32_e32 v9, v9, v12
	v_xor_b32_e32 v20, v20, v12
	;; [unrolled: 1-line block ×4, first 2 shown]
	v_lshl_add_u64 v[6:7], v[6:7], 1, s[8:9]
	v_or_b32_e32 v15, 0x100, v4
	v_or_b32_e32 v8, v5, v58
	v_add_u32_e32 v19, v2, v9
	v_add_u32_e32 v21, v2, v20
	;; [unrolled: 1-line block ×4, first 2 shown]
	v_or3_b32 v12, v58, v5, 64
	v_add_u32_e32 v5, 0x2000, v9
	v_add_u32_e32 v9, 0x2000, v20
	;; [unrolled: 1-line block ×4, first 2 shown]
	v_lshlrev_b32_e32 v2, 8, v1
	v_cndmask_b32_e64 v83, v13, v4, s[0:1]
	v_cndmask_b32_e64 v84, v14, v15, s[0:1]
	v_lshl_add_u64 v[56:57], v[6:7], 0, v[2:3]
	s_add_i32 s3, s46, 63
	s_movk_i32 s22, 0x4000
	v_lshlrev_b32_e32 v86, 2, v8
	v_add_u32_e32 v87, v19, v16
	v_add_u32_e32 v88, v21, v16
	;; [unrolled: 1-line block ×4, first 2 shown]
	v_lshlrev_b32_e32 v91, 2, v12
	v_add_u32_e32 v92, v5, v16
	v_add_u32_e32 v93, v9, v16
	;; [unrolled: 1-line block ×4, first 2 shown]
	v_mov_b32_e32 v2, v3
	v_mov_b32_e32 v4, v3
	;; [unrolled: 1-line block ×7, first 2 shown]
	s_barrier
.LBB734_6:                              ; =>This Inner Loop Header: Depth=1
	s_add_i32 s64, s65, 1
	s_cmp_lt_i32 s64, s51
	s_mov_b64 s[24:25], 0
	s_cselect_b64 s[44:45], -1, 0
	s_cmp_ge_i32 s64, s51
	s_mov_b64 s[20:21], 0
	s_cbranch_scc1 .LBB734_8
; %bb.7:                                ;   in Loop: Header=BB734_6 Depth=1
	s_add_i32 s0, s60, 64
	s_add_u32 s0, s40, s0
	s_addc_u32 s1, s41, 0
	s_lshl_b64 s[0:1], s[0:1], 8
	s_add_u32 s20, s6, s0
	s_addc_u32 s21, s7, s1
.LBB734_8:                              ;   in Loop: Header=BB734_6 Depth=1
	v_cndmask_b32_e64 v10, 0, 1, s[44:45]
	v_cmp_ne_u32_e64 s[0:1], 1, v10
	s_andn2_b64 vcc, exec, s[44:45]
	s_cbranch_vccnz .LBB734_10
; %bb.9:                                ;   in Loop: Header=BB734_6 Depth=1
	s_add_i32 s24, s60, 64
	s_add_u32 s24, s46, s24
	s_addc_u32 s25, s63, 0
	s_mul_i32 s27, s24, s52
	s_mul_hi_u32 s44, s24, s56
	s_add_i32 s27, s44, s27
	s_mul_i32 s25, s25, s56
	s_add_i32 s27, s27, s25
	s_mul_i32 s24, s24, s56
	s_add_u32 s24, s24, s55
	s_addc_u32 s25, s27, s58
	s_lshl_b64 s[24:25], s[24:25], 8
	s_add_u32 s24, s4, s24
	s_addc_u32 s25, s5, s25
.LBB734_10:                             ;   in Loop: Header=BB734_6 Depth=1
	v_perm_b32 v11, v5, v4, s37
	v_perm_b32 v10, v3, v2, s37
	;; [unrolled: 1-line block ×4, first 2 shown]
	ds_write_b64 v71, v[10:11]
	ds_write_b64 v72, v[12:13]
	;; [unrolled: 1-line block ×4, first 2 shown]
	s_waitcnt lgkmcnt(0)
	s_barrier
	ds_read_b64 v[18:19], v75 offset:16384
	ds_read_b64 v[20:21], v77 offset:16384
	ds_read2st64_b64 v[10:13], v76 offset1:1
	ds_read2st64_b64 v[14:17], v76 offset0:2 offset1:3
	ds_read_b64 v[22:23], v78 offset:16384
	s_waitcnt lgkmcnt(2)
	v_mfma_f32_16x16x16_bf16 a[0:3], v[18:19], v[10:11], 0
	ds_read_b64 v[10:11], v79 offset:16384
	s_add_i32 s27, s60, 63
	s_mul_i32 s44, s27, s35
	v_mfma_f32_16x16x16_bf16 a[0:3], v[20:21], v[12:13], a[0:3]
	s_mul_hi_u32 s45, s27, s34
	s_add_i32 s45, s45, s44
	s_mul_i32 s44, s27, s34
	s_waitcnt lgkmcnt(1)
	v_mfma_f32_16x16x16_bf16 a[0:3], v[22:23], v[14:15], a[0:3]
	s_lshl_b64 s[44:45], s[44:45], 2
	s_add_u32 s44, s42, s44
	s_addc_u32 s45, s43, s45
	s_waitcnt lgkmcnt(0)
	v_mfma_f32_16x16x16_bf16 a[0:3], v[10:11], v[16:17], a[0:3]
	s_and_b64 vcc, exec, s[0:1]
	v_mov_b32_e32 v99, 0
	v_mov_b32_e32 v98, 0
	;; [unrolled: 1-line block ×19, first 2 shown]
	s_cbranch_vccnz .LBB734_12
; %bb.11:                               ;   in Loop: Header=BB734_6 Depth=1
	s_and_b32 s21, s21, 0xffff
	buffer_load_dwordx4 v[22:25], v67, s[20:23], 0 offen
	buffer_load_dwordx4 v[18:21], v67, s[20:23], s59 offen
	;; [unrolled: 1-line block ×4, first 2 shown]
	v_mov_b32_e32 v98, v69
	v_mov_b32_e32 v97, v70
.LBB734_12:                             ;   in Loop: Header=BB734_6 Depth=1
	v_add_u32_e32 v32, s60, v85
	v_ashrrev_i32_e32 v26, 31, v32
	v_mul_lo_u32 v28, v26, s34
	v_mul_lo_u32 v29, v32, s35
	v_mad_u64_u32 v[26:27], s[20:21], v32, s34, 0
	v_add3_u32 v27, v27, v29, v28
	v_add_u32_e32 v28, 1, v32
	v_ashrrev_i32_e32 v29, 31, v28
	v_mul_lo_u32 v30, v29, s34
	v_mul_lo_u32 v31, v28, s35
	v_mad_u64_u32 v[28:29], s[20:21], v28, s34, 0
	v_add3_u32 v29, v29, v31, v30
	v_add_u32_e32 v30, 2, v32
	v_ashrrev_i32_e32 v31, 31, v30
	v_mul_lo_u32 v33, v31, s34
	v_mul_lo_u32 v34, v30, s35
	v_mad_u64_u32 v[30:31], s[20:21], v30, s34, 0
	v_add_u32_e32 v32, 3, v32
	v_add3_u32 v31, v31, v34, v33
	v_ashrrev_i32_e32 v33, 31, v32
	v_mul_lo_u32 v36, v33, s34
	v_mul_lo_u32 v37, v32, s35
	v_mad_u64_u32 v[32:33], s[20:21], v32, s34, 0
	s_add_u32 s20, s40, s60
	s_addc_u32 s21, s41, 0
	s_lshl_b64 s[20:21], s[20:21], 8
	v_lshl_add_u64 v[26:27], v[26:27], 2, s[42:43]
	v_lshl_add_u64 v[28:29], v[28:29], 2, s[42:43]
	;; [unrolled: 1-line block ×3, first 2 shown]
	v_add3_u32 v33, v33, v37, v36
	v_lshl_add_u64 v[30:31], v[30:31], 2, s[42:43]
	global_load_ushort v46, v[34:35], off
	global_load_ushort v47, v[34:35], off offset:256
	global_load_ushort v48, v[34:35], off offset:512
	;; [unrolled: 1-line block ×3, first 2 shown]
	global_load_dword v50, v[26:27], off
	v_lshl_add_u64 v[26:27], v[32:33], 2, s[42:43]
	global_load_dword v51, v[28:29], off
	global_load_dword v52, v[30:31], off
	;; [unrolled: 1-line block ×3, first 2 shown]
	s_load_dword s20, s[44:45], 0x0
	ds_read2st64_b64 v[32:35], v80 offset1:1
	ds_read2st64_b64 v[36:39], v80 offset0:2 offset1:3
	ds_read_b64 v[30:31], v75 offset:24576
	ds_read_b64 v[40:41], v77 offset:24576
	;; [unrolled: 1-line block ×4, first 2 shown]
	s_waitcnt lgkmcnt(0)
	v_mfma_f32_16x16x16_bf16 a[0:3], v[30:31], v[32:33], a[0:3]
	v_mov_b32_e32 v100, 0
	v_mov_b32_e32 v26, 0
	v_mov_b32_e32 v27, 0
	v_mfma_f32_16x16x16_bf16 a[0:3], v[40:41], v[34:35], a[0:3]
	v_mov_b32_e32 v28, 0
	v_mov_b32_e32 v29, 0
	v_mov_b32_e32 v30, 0
	;; [unrolled: 4-line block ×4, first 2 shown]
	v_mov_b32_e32 v37, 0
	s_and_b64 vcc, exec, s[0:1]
	s_waitcnt vmcnt(7)
	v_lshlrev_b32_e32 v42, 16, v46
	s_waitcnt vmcnt(6)
	v_lshlrev_b32_e32 v43, 16, v47
	;; [unrolled: 2-line block ×4, first 2 shown]
	s_waitcnt vmcnt(3)
	v_sub_f32_e32 v46, s20, v50
	s_waitcnt vmcnt(2)
	v_sub_f32_e32 v47, s20, v51
	;; [unrolled: 2-line block ×4, first 2 shown]
	v_mul_f32_e32 v46, 0x3fb8aa3b, v46
	v_mul_f32_e32 v47, 0x3fb8aa3b, v47
	;; [unrolled: 1-line block ×4, first 2 shown]
	v_exp_f32_e32 v46, v46
	v_exp_f32_e32 v47, v47
	;; [unrolled: 1-line block ×4, first 2 shown]
	v_accvgpr_read_b32 v41, a1
	v_accvgpr_read_b32 v39, a3
	;; [unrolled: 1-line block ×4, first 2 shown]
	v_pk_add_f32 v[40:41], v[42:43], v[40:41] neg_lo:[0,1] neg_hi:[0,1]
	v_pk_add_f32 v[38:39], v[44:45], v[38:39] neg_lo:[0,1] neg_hi:[0,1]
	v_pk_mul_f32 v[40:41], v[46:47], v[40:41]
	v_pk_mul_f32 v[38:39], v[48:49], v[38:39]
	s_nop 0
	v_perm_b32 v39, v39, v38, s37
	v_perm_b32 v38, v41, v40, s37
	ds_write_b64 v72, v[38:39]
	v_mov_b32_e32 v38, 0
	v_mov_b32_e32 v39, 0
	v_mov_b32_e32 v40, 0
	v_mov_b32_e32 v41, 0
	s_cbranch_vccnz .LBB734_14
; %bb.13:                               ;   in Loop: Header=BB734_6 Depth=1
	s_and_b32 s25, s25, 0xffff
	s_mov_b32 s27, s23
	buffer_load_dwordx4 v[38:41], v83, s[24:27], 0 offen
	buffer_load_dwordx4 v[30:33], v83, s[24:27], s59 offen
	;; [unrolled: 1-line block ×4, first 2 shown]
	v_mov_b32_e32 v99, v66
	v_mov_b32_e32 v100, v65
.LBB734_14:                             ;   in Loop: Header=BB734_6 Depth=1
	s_waitcnt lgkmcnt(0)
	s_barrier
	ds_read_b64 v[42:43], v87
	ds_read_b64 v[48:49], v88
	ds_read2st64_b64 v[44:47], v80 offset1:1
	ds_read2st64_b64 v[102:105], v80 offset0:2 offset1:3
	ds_read_b64 v[50:51], v89
	ds_read_b64 v[110:111], v90
	s_add_i32 s21, s53, s65
	s_mul_hi_i32 s25, s21, s13
	s_mul_i32 s21, s21, s13
	s_waitcnt lgkmcnt(3)
	v_mfma_f32_16x16x16_bf16 a[0:3], v[42:43], v[44:45], 0
	ds_read_b64 v[42:43], v92
	s_add_u32 s24, s21, s33
	s_addc_u32 s25, s25, s57
	s_add_i32 s21, s3, s60
	v_mfma_f32_16x16x16_bf16 a[0:3], v[48:49], v[46:47], a[0:3]
	ds_read_b64 v[48:49], v93
	s_lshl_b64 s[24:25], s[24:25], 15
	s_mul_hi_i32 s27, s21, s13
	s_mul_i32 s21, s21, s13
	s_add_u32 s44, s21, s33
	s_addc_u32 s45, s27, s57
	s_lshl_b64 s[44:45], s[44:45], 9
	s_add_u32 s44, s30, s44
	s_waitcnt lgkmcnt(1)
	v_mfma_f32_16x16x16_bf16 a[4:7], v[42:43], v[44:45], 0
	s_addc_u32 s45, s31, s45
	s_and_b64 vcc, exec, s[0:1]
	v_mfma_f32_16x16x16_bf16 a[0:3], v[50:51], v[102:103], a[0:3]
	ds_read_b64 v[50:51], v94
	ds_read_b64 v[112:113], v95
	global_load_dwordx4 v[42:45], v91, s[44:45]
	s_waitcnt lgkmcnt(2)
	v_mfma_f32_16x16x16_bf16 a[4:7], v[48:49], v[46:47], a[4:7]
	global_load_dwordx4 v[46:49], v86, s[44:45]
	ds_read_b64 v[106:107], v81
	ds_read_b64 v[108:109], v82
	s_waitcnt lgkmcnt(3)
	v_mfma_f32_16x16x16_bf16 a[8:11], v[50:51], v[102:103], a[4:7]
	v_lshl_add_u64 v[50:51], v[54:55], 0, s[24:25]
	s_waitcnt lgkmcnt(0)
	global_store_dwordx4 v[50:51], v[106:109], off
	v_mfma_f32_16x16x16_bf16 a[4:7], v[110:111], v[104:105], a[0:3]
	s_waitcnt vmcnt(2)
	v_mov_b32_e32 v52, v45
	v_mfma_f32_16x16x16_bf16 a[0:3], v[112:113], v[104:105], a[8:11]
	v_mov_b32_e32 v51, v44
	v_mov_b32_e32 v50, v43
	s_cbranch_vccnz .LBB734_16
; %bb.15:                               ;   in Loop: Header=BB734_6 Depth=1
	v_lshrrev_b32_e32 v43, 3, v99
	v_and_b32_e32 v43, 6, v43
	v_xor_b32_e32 v44, v43, v100
	v_lshlrev_b32_e32 v44, 2, v44
	v_and_b32_e32 v45, 8, v99
	v_xor_b32_e32 v99, 0x440, v44
	v_cmp_eq_u32_e32 vcc, 0, v45
	v_perm_b32 v45, v30, v26, s61
	s_nop 0
	v_cndmask_b32_e32 v44, v99, v44, vcc
	v_lshl_or_b32 v43, v43, 10, v44
	v_perm_b32 v44, v38, v34, s61
	s_barrier
	ds_write2st64_b32 v43, v44, v45 offset1:32
	v_xor_b32_e32 v44, 8, v43
	v_perm_b32 v34, v38, v34, s62
	v_perm_b32 v26, v30, v26, s62
	v_add_u32_e32 v30, 0x80, v44
	ds_write2st64_b32 v30, v34, v26 offset1:32
	v_xor_b32_e32 v26, 16, v43
	v_perm_b32 v30, v39, v35, s61
	v_perm_b32 v34, v31, v27, s61
	ds_write2st64_b32 v26, v30, v34 offset0:1 offset1:33
	v_xor_b32_e32 v26, 24, v43
	v_perm_b32 v30, v39, v35, s62
	v_perm_b32 v27, v31, v27, s62
	v_add_u32_e32 v26, 0x80, v26
	ds_write2st64_b32 v26, v30, v27 offset0:1 offset1:33
	v_xor_b32_e32 v26, 32, v43
	v_perm_b32 v27, v40, v36, s61
	v_perm_b32 v30, v32, v28, s61
	ds_write2st64_b32 v26, v27, v30 offset0:2 offset1:34
	v_xor_b32_e32 v26, 40, v43
	v_perm_b32 v27, v40, v36, s62
	v_perm_b32 v28, v32, v28, s62
	v_add_u32_e32 v26, 0x80, v26
	ds_write2st64_b32 v26, v27, v28 offset0:2 offset1:34
	;; [unrolled: 9-line block ×3, first 2 shown]
	ds_write_b64 v98, v[22:23] offset:16384
	v_xor_b32_e32 v22, 8, v98
	ds_write_b64 v22, v[24:25] offset:16384
	ds_write_b64 v98, v[18:19] offset:24576
	;; [unrolled: 1-line block ×4, first 2 shown]
	v_xor_b32_e32 v14, 8, v97
	ds_write_b64 v14, v[16:17] offset:16384
	ds_write_b64 v97, v[10:11] offset:24576
	;; [unrolled: 1-line block ×3, first 2 shown]
.LBB734_16:                             ;   in Loop: Header=BB734_6 Depth=1
	v_mul_f32_e32 v14, s20, v96
	v_exp_f32_e32 v18, v14
	s_waitcnt vmcnt(1)
	v_mul_f32_e32 v14, 0x3fb8aa3b, v46
	v_exp_f32_e32 v20, v14
	v_mul_f32_e32 v14, 0x3fb8aa3b, v47
	v_exp_f32_e32 v21, v14
	;; [unrolled: 2-line block ×4, first 2 shown]
	v_accvgpr_read_b32 v13, a7
	v_accvgpr_read_b32 v11, a5
	;; [unrolled: 1-line block ×3, first 2 shown]
	v_pk_mul_f32 v[20:21], v[18:19], v[20:21] op_sel_hi:[0,1]
	v_pk_fma_f32 v[2:3], v[2:3], v[20:21], v[10:11]
	v_pk_mul_f32 v[10:11], v[18:19], v[22:23] op_sel_hi:[0,1]
	v_mul_f32_e32 v19, 0x3fb8aa3b, v42
	v_exp_f32_e32 v20, v19
	v_mul_f32_e32 v19, 0x3fb8aa3b, v50
	v_exp_f32_e32 v21, v19
	;; [unrolled: 2-line block ×4, first 2 shown]
	v_accvgpr_read_b32 v12, a6
	v_accvgpr_read_b32 v17, a3
	v_accvgpr_read_b32 v15, a1
	v_accvgpr_read_b32 v14, a0
	v_pk_fma_f32 v[4:5], v[4:5], v[10:11], v[12:13]
	v_pk_mul_f32 v[10:11], v[18:19], v[20:21] op_sel_hi:[0,1]
	v_accvgpr_read_b32 v16, a2
	v_pk_fma_f32 v[6:7], v[6:7], v[10:11], v[14:15]
	v_pk_mul_f32 v[10:11], v[18:19], v[22:23] op_sel_hi:[0,1]
	s_add_i32 s60, s60, 64
	s_cmp_eq_u32 s51, s64
	v_pk_fma_f32 v[8:9], v[8:9], v[10:11], v[16:17]
	s_cbranch_scc1 .LBB734_18
; %bb.17:                               ;   in Loop: Header=BB734_6 Depth=1
	s_mov_b32 s65, s64
	s_branch .LBB734_6
.LBB734_18:
	s_lshl_b32 s44, s51, 6
	s_sub_i32 s45, s12, s44
	s_cmp_gt_i32 s45, 0
	v_or_b32_e32 v34, s2, v61
	s_cbranch_scc1 .LBB734_20
; %bb.19:
	s_ashr_i32 s0, s33, 31
	s_add_u32 s24, s48, s33
	s_addc_u32 s25, s54, s0
	v_or_b32_e32 v10, s2, v61
	s_cbranch_execz .LBB734_21
	s_branch .LBB734_77
.LBB734_20:
                                        ; implicit-def: $sgpr24_sgpr25
                                        ; implicit-def: $vgpr10
.LBB734_21:
	s_ashr_i32 s37, s50, 31
	s_ashr_i32 s3, s44, 31
	s_cmpk_lg_i32 s15, 0x80
	s_cselect_b64 s[40:41], -1, 0
	s_and_b64 vcc, exec, s[40:41]
	s_cbranch_vccz .LBB734_23
; %bb.22:
	s_mul_hi_i32 s0, s50, s12
	s_add_u32 s1, s46, s44
	s_addc_u32 s0, s0, s3
	s_mul_i32 s20, s1, s52
	s_mul_hi_u32 s21, s1, s14
	s_add_i32 s20, s21, s20
	s_mul_i32 s0, s0, s14
	s_add_i32 s20, s20, s0
	s_mul_i32 s1, s1, s14
	s_ashr_i32 s0, s55, 31
	s_add_u32 s42, s1, s55
	s_addc_u32 s43, s20, s0
	s_cbranch_execz .LBB734_24
	s_branch .LBB734_25
.LBB734_23:
                                        ; implicit-def: $sgpr42_sgpr43
.LBB734_24:
	s_mul_hi_i32 s0, s50, s14
	s_mul_i32 s50, s50, s14
	s_ashr_i32 s1, s55, 31
	s_add_u32 s14, s50, s55
	s_addc_u32 s0, s0, s1
	s_mul_i32 s1, s14, s49
	s_mul_hi_u32 s20, s14, s12
	s_add_i32 s1, s20, s1
	s_mul_i32 s0, s0, s12
	s_add_i32 s1, s1, s0
	s_mul_i32 s14, s14, s12
	s_add_u32 s42, s14, s44
	s_addc_u32 s43, s1, s3
.LBB734_25:
	s_add_i32 s20, s53, s51
	s_ashr_i32 s14, s33, 31
	s_add_u32 s24, s48, s33
	s_addc_u32 s25, s54, s14
	s_mul_i32 s0, s24, s49
	s_mul_hi_u32 s1, s24, s12
	s_add_i32 s0, s1, s0
	s_mul_i32 s1, s25, s12
	s_add_i32 s1, s0, s1
	s_mul_i32 s0, s24, s12
	s_add_u32 s0, s0, s44
	s_addc_u32 s1, s1, s3
	s_mov_b32 s3, 0x7060302
	v_lshlrev_b32_e32 v14, 3, v61
	s_lshl_b64 s[26:27], s[0:1], 8
	v_perm_b32 v11, v5, v4, s3
	v_perm_b32 v10, v3, v2, s3
	;; [unrolled: 1-line block ×4, first 2 shown]
	v_lshlrev_b32_e32 v44, 2, v61
	v_lshl_or_b32 v14, v1, 5, v14
	s_add_u32 s0, s6, s26
	ds_write2st64_b64 v14, v[10:11], v[12:13] offset0:72 offset1:76
	v_xor_b32_e32 v14, v1, v44
	v_lshlrev_b32_e32 v15, 8, v61
	s_addc_u32 s1, s7, s27
	v_lshl_or_b32 v14, v14, 1, v15
	s_mul_hi_i32 s3, s20, s13
	s_mul_i32 s20, s20, s13
	ds_write_b64 v14, v[10:11] offset:32768
	v_xor_b32_e32 v10, v64, v44
	s_add_u32 s6, s20, s33
	v_lshl_or_b32 v10, v10, 1, v15
	s_addc_u32 s7, s3, s14
	v_lshlrev_b32_e32 v11, 1, v61
	ds_write_b64 v10, v[12:13] offset:32768
	v_lshrrev_b32_e32 v10, 4, v0
	s_ashr_i32 s3, s2, 31
	s_lshl_b64 s[6:7], s[6:7], 15
	v_or_b32_e32 v12, 1, v11
	s_waitcnt lgkmcnt(0)
	s_add_u32 s6, s38, s6
	v_xor_b32_e32 v11, v10, v11
	v_xor_b32_e32 v12, v12, v10
	v_lshlrev_b32_e32 v14, 8, v10
	s_addc_u32 s7, s39, s7
	s_lshl_b64 s[2:3], s[2:3], 8
	v_lshl_or_b32 v10, v11, 3, v14
	v_lshl_or_b32 v12, v12, 3, v14
	s_barrier
	s_add_u32 s2, s6, s2
	ds_read_b64 v[10:11], v10 offset:32768
	ds_read_b64 v[12:13], v12 offset:32768
	s_addc_u32 s3, s7, s3
	v_mov_b32_e32 v15, 0
	s_cmp_lg_u32 s45, 64
	v_lshl_add_u64 v[16:17], s[2:3], 0, v[14:15]
	v_lshlrev_b32_e32 v14, 4, v61
	s_cselect_b64 s[6:7], -1, 0
	v_lshl_or_b32 v35, v53, 3, v63
	s_mov_b32 s20, 0
	v_lshl_add_u64 v[14:15], v[16:17], 0, v[14:15]
	v_or_b32_e32 v27, 32, v35
	v_and_b32_e32 v26, 56, v62
	s_and_b64 vcc, exec, s[6:7]
	s_waitcnt lgkmcnt(0)
	global_store_dwordx4 v[14:15], v[10:13], off
	s_cbranch_vccz .LBB734_31
; %bb.26:
	s_mov_b32 s21, s20
	s_mov_b32 s22, s20
	;; [unrolled: 1-line block ×3, first 2 shown]
	v_mov_b64_e32 v[14:15], s[20:21]
	v_mov_b64_e32 v[16:17], s[22:23]
	;; [unrolled: 1-line block ×3, first 2 shown]
	v_cmp_gt_i32_e32 vcc, s45, v35
	v_mov_b64_e32 v[12:13], v[16:17]
	s_and_saveexec_b64 s[2:3], vcc
	s_cbranch_execz .LBB734_28
; %bb.27:
	v_lshlrev_b32_e32 v10, 8, v35
	v_mov_b32_e32 v11, 0
	v_lshl_add_u64 v[12:13], s[0:1], 0, v[10:11]
	v_lshlrev_b32_e32 v10, 1, v26
	v_lshl_add_u64 v[18:19], v[12:13], 0, v[10:11]
	global_load_dwordx4 v[14:17], v[18:19], off
	global_load_dwordx4 v[10:13], v[18:19], off offset:128
.LBB734_28:
	s_or_b64 exec, exec, s[2:3]
	s_mov_b32 s22, s20
	s_mov_b32 s23, s20
	;; [unrolled: 1-line block ×3, first 2 shown]
	v_mov_b64_e32 v[24:25], s[22:23]
	v_mov_b64_e32 v[22:23], s[20:21]
	;; [unrolled: 1-line block ×3, first 2 shown]
	v_cmp_gt_i32_e32 vcc, s45, v27
	v_lshlrev_b32_e32 v28, 7, v27
	v_mov_b64_e32 v[20:21], v[24:25]
	s_and_saveexec_b64 s[2:3], vcc
	s_cbranch_execz .LBB734_30
; %bb.29:
	v_lshlrev_b32_e32 v18, 1, v28
	v_mov_b32_e32 v19, 0
	v_lshl_add_u64 v[20:21], s[0:1], 0, v[18:19]
	v_lshlrev_b32_e32 v18, 1, v26
	v_lshl_add_u64 v[30:31], v[20:21], 0, v[18:19]
	global_load_dwordx4 v[22:25], v[30:31], off
	global_load_dwordx4 v[18:21], v[30:31], off offset:128
.LBB734_30:
	s_or_b64 exec, exec, s[2:3]
	v_lshrrev_b32_e32 v29, 3, v26
	v_lshlrev_b32_e32 v30, 3, v35
	v_or_b32_e32 v29, v30, v29
	v_lshlrev_b32_e32 v29, 4, v29
	v_and_b32_e32 v30, 0x78, v30
	v_xor_b32_e32 v29, v29, v30
	s_branch .LBB734_33
.LBB734_31:
                                        ; implicit-def: $vgpr29
                                        ; implicit-def: $vgpr28
                                        ; implicit-def: $vgpr14_vgpr15_vgpr16_vgpr17
                                        ; implicit-def: $vgpr10_vgpr11_vgpr12_vgpr13
                                        ; implicit-def: $vgpr22_vgpr23_vgpr24_vgpr25
                                        ; implicit-def: $vgpr18_vgpr19_vgpr20_vgpr21
	s_cbranch_execz .LBB734_33
; %bb.32:
	s_waitcnt vmcnt(0)
	v_lshlrev_b32_e32 v10, 1, v26
	v_lshl_or_b32 v28, v35, 8, v10
	s_and_b32 s1, s1, 0xffff
	s_mov_b32 s3, 0x20000
	s_movk_i32 s2, 0x4000
	v_lshl_or_b32 v29, v27, 8, v10
	s_movk_i32 s20, 0x80
	buffer_load_dwordx4 v[14:17], v28, s[0:3], 0 offen
	buffer_load_dwordx4 v[10:13], v28, s[0:3], s20 offen
	;; [unrolled: 1-line block ×4, first 2 shown]
	v_lshrrev_b32_e32 v28, 3, v26
	v_lshlrev_b32_e32 v29, 3, v35
	v_or_b32_e32 v28, v29, v28
	v_lshlrev_b32_e32 v28, 4, v28
	v_and_b32_e32 v29, 0x78, v29
	v_xor_b32_e32 v29, v28, v29
	v_lshlrev_b32_e32 v28, 7, v27
.LBB734_33:
	s_lshl_b64 s[0:1], s[42:43], 8
	s_add_u32 s4, s4, s0
	s_movk_i32 s0, 0x1000
	v_and_or_b32 v27, v28, s0, v29
	s_waitcnt vmcnt(1)
	ds_write_b64 v29, v[14:15] offset:16384
	v_xor_b32_e32 v14, 8, v29
	s_addc_u32 s5, s5, s1
	ds_write_b64 v14, v[16:17] offset:16384
	s_waitcnt vmcnt(0)
	ds_write_b64 v29, v[10:11] offset:24576
	ds_write_b64 v14, v[12:13] offset:24576
	;; [unrolled: 1-line block ×3, first 2 shown]
	v_xor_b32_e32 v10, 8, v27
	s_add_i32 s20, s12, -1
	ds_write_b64 v10, v[24:25] offset:16384
	ds_write_b64 v27, v[18:19] offset:24576
	;; [unrolled: 1-line block ×3, first 2 shown]
	s_mul_i32 s3, s20, s35
	s_mul_hi_u32 s12, s20, s34
	v_or_b32_e32 v10, v58, v61
	s_add_i32 s3, s12, s3
	v_lshlrev_b32_e32 v10, 3, v10
	v_lshrrev_b32_e32 v12, 5, v59
	s_movk_i32 s12, 0xf8
	v_and_or_b32 v12, v10, s12, v12
	v_lshlrev_b32_e32 v45, 11, v53
	v_lshlrev_b32_e32 v20, 4, v12
	v_and_b32_e32 v21, 0x78, v10
	v_and_b32_e32 v22, 0x1000, v45
	v_lshlrev_b32_e32 v11, 2, v0
	v_xor_b32_e32 v10, v20, v21
	v_lshrrev_b32_e32 v12, 1, v59
	v_and_b32_e32 v11, 60, v11
	v_or_b32_e32 v10, v10, v22
	v_and_b32_e32 v23, 8, v12
	v_xor_b32_e32 v36, v10, v23
	v_lshl_or_b32 v10, v60, 6, v11
	v_lshlrev_b32_e32 v46, 1, v10
	v_or_b32_e32 v10, 32, v20
	v_xor_b32_e32 v10, v10, v21
	s_waitcnt lgkmcnt(0)
	s_barrier
	ds_read_b64 v[18:19], v36 offset:16384
	v_or_b32_e32 v10, v10, v22
	v_xor_b32_e32 v37, v10, v23
	v_or_b32_e32 v10, 64, v20
	v_xor_b32_e32 v10, v10, v21
	v_or_b32_e32 v10, v10, v22
	v_or_b32_e32 v20, 0x60, v20
	v_xor_b32_e32 v38, v10, v23
	ds_read2st64_b64 v[10:13], v46 offset0:72 offset1:73
	ds_read2st64_b64 v[14:17], v46 offset0:74 offset1:75
	v_xor_b32_e32 v24, v20, v21
	ds_read_b64 v[20:21], v37 offset:16384
	s_waitcnt lgkmcnt(2)
	v_mfma_f32_16x16x16_bf16 a[0:3], v[18:19], v[10:11], 0
	s_add_i32 s0, s47, s17
	s_mul_i32 s37, s37, s16
	s_add_i32 s37, s0, s37
	s_mul_i32 s0, s33, s19
	s_mul_hi_u32 s1, s33, s18
	s_ashr_i32 s2, s20, 31
	s_add_i32 s0, s1, s0
	s_mul_i32 s1, s14, s18
	s_mul_i32 s2, s2, s34
	v_or_b32_e32 v22, v24, v22
	s_add_i32 s1, s0, s1
	s_add_i32 s3, s3, s2
	s_lshl_b64 s[16:17], s[36:37], 2
	v_xor_b32_e32 v47, v22, v23
	ds_read_b64 v[22:23], v38 offset:16384
	ds_read_b64 v[24:25], v47 offset:16384
	s_waitcnt lgkmcnt(2)
	v_mfma_f32_16x16x16_bf16 a[0:3], v[20:21], v[12:13], a[0:3]
	s_mul_i32 s0, s33, s18
	s_add_u32 s10, s10, s16
	s_addc_u32 s11, s11, s17
	s_lshl_b64 s[0:1], s[0:1], 2
	s_mul_i32 s2, s20, s34
	s_add_u32 s10, s10, s0
	s_addc_u32 s11, s11, s1
	s_lshl_b64 s[0:1], s[2:3], 2
	s_waitcnt lgkmcnt(1)
	v_mfma_f32_16x16x16_bf16 a[0:3], v[22:23], v[14:15], a[0:3]
	s_add_u32 s0, s10, s0
	s_addc_u32 s1, s11, s1
	s_load_dword s12, s[0:1], 0x0
	s_waitcnt lgkmcnt(0)
	v_mfma_f32_16x16x16_bf16 a[0:3], v[24:25], v[16:17], a[0:3]
	s_and_b64 vcc, exec, s[40:41]
	s_cbranch_vccz .LBB734_44
; %bb.34:
	v_lshlrev_b32_e32 v27, 1, v35
	s_and_b64 vcc, exec, s[6:7]
	s_cbranch_vccz .LBB734_45
; %bb.35:
	v_cmp_gt_i32_e32 vcc, s45, v27
	v_mov_b32_e32 v14, 0
	v_mov_b32_e32 v10, 0
	;; [unrolled: 1-line block ×5, first 2 shown]
	s_and_saveexec_b64 s[0:1], vcc
	s_cbranch_execz .LBB734_37
; %bb.36:
	v_mad_i64_i32 v[10:11], s[2:3], s15, v27, 0
	v_lshl_add_u64 v[10:11], v[10:11], 1, s[4:5]
	v_lshlrev_b32_e32 v12, 1, v26
	v_mov_b32_e32 v13, 0
	v_lshl_add_u64 v[10:11], v[10:11], 0, v[12:13]
	global_load_dwordx4 v[10:13], v[10:11], off
.LBB734_37:
	s_or_b64 exec, exec, s[0:1]
	v_or_b32_e32 v28, 1, v27
	v_cmp_gt_i32_e64 s[0:1], s45, v28
	v_mov_b32_e32 v15, 0
	v_mov_b32_e32 v16, 0
	;; [unrolled: 1-line block ×3, first 2 shown]
	s_and_saveexec_b64 s[2:3], s[0:1]
	s_cbranch_execz .LBB734_39
; %bb.38:
	v_mad_i64_i32 v[14:15], s[16:17], s15, v28, 0
	v_lshl_add_u64 v[14:15], v[14:15], 1, s[4:5]
	v_lshlrev_b32_e32 v16, 1, v26
	v_mov_b32_e32 v17, 0
	v_lshl_add_u64 v[14:15], v[14:15], 0, v[16:17]
	global_load_dwordx4 v[14:17], v[14:15], off
.LBB734_39:
	s_or_b64 exec, exec, s[2:3]
	v_mov_b32_e32 v25, 0
	v_mov_b32_e32 v18, 0
	;; [unrolled: 1-line block ×5, first 2 shown]
	s_and_saveexec_b64 s[2:3], vcc
	s_cbranch_execz .LBB734_41
; %bb.40:
	v_mad_i64_i32 v[18:19], s[16:17], s15, v27, 0
	v_lshl_add_u64 v[18:19], v[18:19], 1, s[4:5]
	v_lshlrev_b32_e32 v20, 1, v26
	v_mov_b32_e32 v21, 0
	v_lshl_add_u64 v[18:19], v[18:19], 0, v[20:21]
	global_load_dwordx4 v[18:21], v[18:19], off offset:128
.LBB734_41:
	s_or_b64 exec, exec, s[2:3]
	v_mov_b32_e32 v24, 0
	v_mov_b32_e32 v23, 0
	;; [unrolled: 1-line block ×3, first 2 shown]
	s_and_saveexec_b64 s[2:3], s[0:1]
	s_cbranch_execz .LBB734_43
; %bb.42:
	v_mad_i64_i32 v[22:23], s[0:1], s15, v28, 0
	v_lshl_add_u64 v[22:23], v[22:23], 1, s[4:5]
	v_lshlrev_b32_e32 v24, 1, v26
	v_mov_b32_e32 v25, 0
	v_lshl_add_u64 v[22:23], v[22:23], 0, v[24:25]
	global_load_dwordx4 v[22:25], v[22:23], off offset:128
.LBB734_43:
	s_or_b64 exec, exec, s[2:3]
	s_branch .LBB734_47
.LBB734_44:
                                        ; implicit-def: $vgpr13
                                        ; implicit-def: $vgpr17
                                        ; implicit-def: $vgpr21
                                        ; implicit-def: $vgpr25
	v_lshrrev_b32_e32 v27, 2, v59
	s_branch .LBB734_48
.LBB734_45:
                                        ; implicit-def: $vgpr13
                                        ; implicit-def: $vgpr17
                                        ; implicit-def: $vgpr21
                                        ; implicit-def: $vgpr25
	s_cbranch_execz .LBB734_47
; %bb.46:
	s_waitcnt vmcnt(0)
	v_mad_u64_u32 v[10:11], s[0:1], v27, s15, v[26:27]
	v_lshlrev_b32_e32 v27, 1, v10
	s_lshl_b32 s2, s15, 7
	s_and_b32 s1, s5, 0xffff
	s_mov_b32 s3, 0x20000
	s_mov_b32 s0, s4
	v_add_lshl_u32 v28, v10, s15, 1
	s_movk_i32 s15, 0x80
	buffer_load_dwordx4 v[10:13], v27, s[0:3], 0 offen
	buffer_load_dwordx4 v[18:21], v27, s[0:3], s15 offen
	buffer_load_dwordx4 v[14:17], v28, s[0:3], 0 offen
	buffer_load_dwordx4 v[22:25], v28, s[0:3], s15 offen
.LBB734_47:
	v_lshrrev_b32_e32 v27, 2, v59
	s_cbranch_execnz .LBB734_60
.LBB734_48:
	s_and_b64 vcc, exec, s[6:7]
	s_cbranch_vccz .LBB734_58
; %bb.49:
	s_waitcnt vmcnt(0)
	v_lshlrev_b32_e32 v15, 1, v35
	v_cmp_gt_i32_e32 vcc, s45, v15
	v_mov_b32_e32 v14, 0
	v_lshlrev_b32_e32 v22, 9, v35
	v_mov_b32_e32 v10, 0
	v_mov_b32_e32 v11, 0
	;; [unrolled: 1-line block ×4, first 2 shown]
	s_and_saveexec_b64 s[0:1], vcc
	s_cbranch_execz .LBB734_51
; %bb.50:
	v_mov_b32_e32 v23, 0
	v_lshl_add_u64 v[10:11], s[4:5], 0, v[22:23]
	v_lshlrev_b32_e32 v12, 1, v26
	v_mov_b32_e32 v13, v23
	v_lshl_add_u64 v[10:11], v[10:11], 0, v[12:13]
	global_load_dwordx4 v[10:13], v[10:11], off
.LBB734_51:
	s_or_b64 exec, exec, s[0:1]
	v_or_b32_e32 v15, 1, v15
	v_cmp_gt_i32_e64 s[0:1], s45, v15
	v_lshlrev_b32_e32 v28, 8, v15
	v_mov_b32_e32 v15, 0
	v_mov_b32_e32 v16, 0
	;; [unrolled: 1-line block ×3, first 2 shown]
	s_and_saveexec_b64 s[2:3], s[0:1]
	s_cbranch_execz .LBB734_53
; %bb.52:
	v_mov_b32_e32 v29, 0
	v_lshl_add_u64 v[14:15], s[4:5], 0, v[28:29]
	v_lshlrev_b32_e32 v16, 1, v26
	v_mov_b32_e32 v17, v29
	v_lshl_add_u64 v[14:15], v[14:15], 0, v[16:17]
	global_load_dwordx4 v[14:17], v[14:15], off
.LBB734_53:
	s_or_b64 exec, exec, s[2:3]
	v_mov_b32_e32 v25, 0
	v_mov_b32_e32 v18, 0
	;; [unrolled: 1-line block ×5, first 2 shown]
	s_and_saveexec_b64 s[2:3], vcc
	s_cbranch_execz .LBB734_55
; %bb.54:
	v_mov_b32_e32 v23, 0
	v_lshl_add_u64 v[18:19], s[4:5], 0, v[22:23]
	v_lshlrev_b32_e32 v22, 1, v26
	v_lshl_add_u64 v[18:19], v[18:19], 0, v[22:23]
	global_load_dwordx4 v[18:21], v[18:19], off offset:128
.LBB734_55:
	s_or_b64 exec, exec, s[2:3]
	v_mov_b32_e32 v24, 0
	v_mov_b32_e32 v23, 0
	v_mov_b32_e32 v22, 0
	s_and_saveexec_b64 s[2:3], s[0:1]
	s_cbranch_execz .LBB734_57
; %bb.56:
	v_mov_b32_e32 v29, 0
	v_lshl_add_u64 v[22:23], s[4:5], 0, v[28:29]
	v_lshlrev_b32_e32 v28, 1, v26
	v_lshl_add_u64 v[22:23], v[22:23], 0, v[28:29]
	global_load_dwordx4 v[22:25], v[22:23], off offset:128
.LBB734_57:
	s_or_b64 exec, exec, s[2:3]
	s_branch .LBB734_60
.LBB734_58:
                                        ; implicit-def: $vgpr13
                                        ; implicit-def: $vgpr17
                                        ; implicit-def: $vgpr21
                                        ; implicit-def: $vgpr25
	s_cbranch_execz .LBB734_60
; %bb.59:
	s_waitcnt vmcnt(0)
	v_lshlrev_b32_e32 v10, 1, v26
	v_lshl_or_b32 v26, v35, 9, v10
	s_and_b32 s5, s5, 0xffff
	s_mov_b32 s7, 0x20000
	s_movk_i32 s6, 0x4000
	s_movk_i32 s0, 0x80
	buffer_load_dwordx4 v[10:13], v26, s[4:7], 0 offen
	buffer_load_dwordx4 v[14:17], v26, s[4:7], 0 offen offset:256
	buffer_load_dwordx4 v[18:21], v26, s[4:7], s0 offen
	buffer_load_dwordx4 v[22:25], v26, s[4:7], s0 offen offset:256
.LBB734_60:
	v_and_b32_e32 v48, 12, v27
	ds_read2st64_b64 v[30:33], v46 offset0:76 offset1:77
	ds_read2st64_b64 v[26:29], v46 offset0:78 offset1:79
	ds_read_b64 v[40:41], v36 offset:24576
	ds_read_b64 v[42:43], v37 offset:24576
	;; [unrolled: 1-line block ×4, first 2 shown]
	v_and_b32_e32 v47, 6, v0
	v_xor_b32_e32 v35, v35, v47
	v_lshlrev_b32_e32 v35, 2, v35
	v_and_b32_e32 v49, 1, v0
	v_xor_b32_e32 v50, 0x440, v35
	v_cmp_eq_u32_e32 vcc, 0, v49
	s_mov_b32 s0, 0x1000504
	s_waitcnt vmcnt(0)
	v_perm_b32 v49, v18, v22, s0
	v_cndmask_b32_e32 v35, v50, v35, vcc
	v_lshl_or_b32 v35, v47, 10, v35
	v_perm_b32 v47, v10, v14, s0
	ds_write2st64_b32 v35, v47, v49 offset1:32
	v_xor_b32_e32 v47, 8, v35
	s_mov_b32 s1, 0x3020706
	v_perm_b32 v10, v10, v14, s1
	v_perm_b32 v14, v18, v22, s1
	v_add_u32_e32 v18, 0x80, v47
	ds_write2st64_b32 v18, v10, v14 offset1:32
	v_xor_b32_e32 v10, 16, v35
	v_perm_b32 v14, v11, v15, s0
	v_perm_b32 v18, v19, v23, s0
	ds_write2st64_b32 v10, v14, v18 offset0:1 offset1:33
	v_xor_b32_e32 v10, 24, v35
	v_perm_b32 v11, v11, v15, s1
	v_perm_b32 v14, v19, v23, s1
	v_add_u32_e32 v10, 0x80, v10
	ds_write2st64_b32 v10, v11, v14 offset0:1 offset1:33
	v_xor_b32_e32 v10, 32, v35
	v_perm_b32 v11, v12, v16, s0
	v_perm_b32 v14, v20, v24, s0
	ds_write2st64_b32 v10, v11, v14 offset0:2 offset1:34
	v_xor_b32_e32 v10, 40, v35
	v_perm_b32 v11, v12, v16, s1
	v_perm_b32 v12, v20, v24, s1
	v_add_u32_e32 v10, 0x80, v10
	ds_write2st64_b32 v10, v11, v12 offset0:2 offset1:34
	v_xor_b32_e32 v10, 48, v35
	v_perm_b32 v11, v13, v17, s0
	v_perm_b32 v12, v21, v25, s0
	ds_write2st64_b32 v10, v11, v12 offset0:3 offset1:35
	v_xor_b32_e32 v10, 56, v35
	v_or_b32_e32 v16, v48, v58
	v_perm_b32 v11, v13, v17, s1
	v_perm_b32 v12, v21, v25, s1
	v_add_u32_e32 v10, 0x80, v10
	v_cmp_gt_i32_e32 vcc, s45, v16
	v_mov_b32_e32 v17, 0
	v_mov_b32_e32 v21, 0
	ds_write2st64_b32 v10, v11, v12 offset0:3 offset1:35
	s_and_saveexec_b64 s[0:1], vcc
	s_cbranch_execz .LBB734_62
; %bb.61:
	v_add_u32_e32 v10, s44, v16
	v_ashrrev_i32_e32 v11, 31, v10
	v_mul_lo_u32 v12, v11, s34
	v_mul_lo_u32 v13, v10, s35
	v_mad_u64_u32 v[10:11], s[2:3], v10, s34, 0
	v_add3_u32 v11, v11, v13, v12
	v_lshl_add_u64 v[10:11], v[10:11], 2, s[10:11]
	global_load_dword v10, v[10:11], off
	s_waitcnt vmcnt(0)
	v_sub_f32_e32 v10, s12, v10
	v_mul_f32_e32 v10, 0x3fb8aa3b, v10
	v_exp_f32_e32 v21, v10
.LBB734_62:
	s_or_b64 exec, exec, s[0:1]
	v_or_b32_e32 v19, 1, v16
	v_cmp_gt_i32_e64 s[0:1], s45, v19
	s_and_saveexec_b64 s[2:3], s[0:1]
	s_cbranch_execz .LBB734_64
; %bb.63:
	v_add_u32_e32 v10, s44, v19
	v_ashrrev_i32_e32 v11, 31, v10
	v_mul_lo_u32 v12, v11, s34
	v_mul_lo_u32 v13, v10, s35
	v_mad_u64_u32 v[10:11], s[4:5], v10, s34, 0
	v_add3_u32 v11, v11, v13, v12
	v_lshl_add_u64 v[10:11], v[10:11], 2, s[10:11]
	global_load_dword v10, v[10:11], off
	s_waitcnt vmcnt(0)
	v_sub_f32_e32 v10, s12, v10
	v_mul_f32_e32 v10, 0x3fb8aa3b, v10
	v_exp_f32_e32 v17, v10
.LBB734_64:
	s_or_b64 exec, exec, s[2:3]
	v_or_b32_e32 v20, 2, v16
	v_cmp_gt_i32_e64 s[2:3], s45, v20
	v_mov_b32_e32 v18, 0
	v_mov_b32_e32 v23, 0
	s_and_saveexec_b64 s[4:5], s[2:3]
	s_cbranch_execz .LBB734_66
; %bb.65:
	v_add_u32_e32 v10, s44, v20
	v_ashrrev_i32_e32 v11, 31, v10
	v_mul_lo_u32 v12, v11, s34
	v_mul_lo_u32 v13, v10, s35
	v_mad_u64_u32 v[10:11], s[6:7], v10, s34, 0
	v_add3_u32 v11, v11, v13, v12
	v_lshl_add_u64 v[10:11], v[10:11], 2, s[10:11]
	global_load_dword v10, v[10:11], off
	s_waitcnt vmcnt(0)
	v_sub_f32_e32 v10, s12, v10
	v_mul_f32_e32 v10, 0x3fb8aa3b, v10
	v_exp_f32_e32 v23, v10
.LBB734_66:
	s_or_b64 exec, exec, s[4:5]
	v_or_b32_e32 v22, 3, v16
	v_cmp_gt_i32_e64 s[4:5], s45, v22
	s_and_saveexec_b64 s[6:7], s[4:5]
	s_cbranch_execz .LBB734_68
; %bb.67:
	v_add_u32_e32 v10, s44, v22
	v_ashrrev_i32_e32 v11, 31, v10
	v_mul_lo_u32 v12, v11, s34
	v_mul_lo_u32 v13, v10, s35
	v_mad_u64_u32 v[10:11], s[16:17], v10, s34, 0
	v_add3_u32 v11, v11, v13, v12
	v_lshl_add_u64 v[10:11], v[10:11], 2, s[10:11]
	global_load_dword v10, v[10:11], off
	s_waitcnt vmcnt(0)
	v_sub_f32_e32 v10, s12, v10
	v_mul_f32_e32 v10, 0x3fb8aa3b, v10
	v_exp_f32_e32 v18, v10
.LBB734_68:
	s_or_b64 exec, exec, s[6:7]
	s_waitcnt lgkmcnt(11)
	v_mfma_f32_16x16x16_bf16 a[0:3], v[40:41], v[30:31], a[0:3]
	s_add_u32 s6, s8, s26
	v_ashrrev_i32_e32 v35, 31, v34
	s_addc_u32 s7, s9, s27
	s_waitcnt lgkmcnt(10)
	v_mfma_f32_16x16x16_bf16 a[0:3], v[42:43], v[32:33], a[0:3]
	v_mov_b32_e32 v24, 0
	v_lshl_add_u64 v[14:15], v[34:35], 1, s[6:7]
	v_mov_b32_e32 v25, 0
	s_waitcnt lgkmcnt(9)
	v_mfma_f32_16x16x16_bf16 a[0:3], v[38:39], v[26:27], a[0:3]
	s_waitcnt lgkmcnt(8)
	v_mfma_f32_16x16x16_bf16 a[0:3], v[36:37], v[28:29], a[0:3]
	s_nop 6
	v_accvgpr_read_b32 v13, a3
	v_accvgpr_read_b32 v12, a2
	;; [unrolled: 1-line block ×4, first 2 shown]
	s_and_saveexec_b64 s[6:7], vcc
	s_cbranch_execz .LBB734_70
; %bb.69:
	v_lshlrev_b32_e32 v26, 8, v16
	v_mov_b32_e32 v27, 0
	v_lshl_add_u64 v[26:27], v[14:15], 0, v[26:27]
	global_load_ushort v25, v[26:27], off
	s_waitcnt vmcnt(0)
	v_lshlrev_b32_e32 v25, 16, v25
	v_sub_f32_e32 v10, v25, v10
	v_mul_f32_e32 v10, v21, v10
	v_lshrrev_b32_e32 v25, 16, v10
.LBB734_70:
	s_or_b64 exec, exec, s[6:7]
	s_and_saveexec_b64 s[6:7], s[0:1]
	s_cbranch_execz .LBB734_72
; %bb.71:
	v_lshlrev_b32_e32 v26, 8, v19
	v_mov_b32_e32 v27, 0
	v_lshl_add_u64 v[26:27], v[14:15], 0, v[26:27]
	global_load_ushort v10, v[26:27], off
	s_waitcnt vmcnt(0)
	v_lshlrev_b32_e32 v10, 16, v10
	v_sub_f32_e32 v10, v10, v11
	v_mul_f32_e32 v10, v17, v10
	v_lshrrev_b32_e32 v24, 16, v10
.LBB734_72:
	s_or_b64 exec, exec, s[6:7]
	v_mov_b32_e32 v11, 0
	v_mov_b32_e32 v17, 0
	s_and_saveexec_b64 s[0:1], s[2:3]
	s_cbranch_execz .LBB734_74
; %bb.73:
	v_lshlrev_b32_e32 v20, 8, v20
	v_mov_b32_e32 v21, 0
	v_lshl_add_u64 v[20:21], v[14:15], 0, v[20:21]
	global_load_ushort v10, v[20:21], off
	s_waitcnt vmcnt(0)
	v_lshlrev_b32_e32 v10, 16, v10
	v_sub_f32_e32 v10, v10, v12
	v_mul_f32_e32 v10, v23, v10
	v_lshrrev_b32_e32 v17, 16, v10
.LBB734_74:
	s_or_b64 exec, exec, s[0:1]
	v_or_b32_e32 v10, 0x9800, v46
	s_and_saveexec_b64 s[0:1], s[4:5]
	s_cbranch_execz .LBB734_76
; %bb.75:
	v_lshlrev_b32_e32 v20, 8, v22
	v_mov_b32_e32 v21, 0
	v_lshl_add_u64 v[14:15], v[14:15], 0, v[20:21]
	global_load_ushort v11, v[14:15], off
	s_waitcnt vmcnt(0)
	v_lshlrev_b32_e32 v11, 16, v11
	v_sub_f32_e32 v11, v11, v13
	v_mul_f32_e32 v11, v18, v11
	v_lshrrev_b32_e32 v11, 16, v11
.LBB734_76:
	s_or_b64 exec, exec, s[0:1]
	s_mov_b32 s0, 0x5040100
	v_perm_b32 v13, v11, v17, s0
	v_lshlrev_b32_e32 v11, 1, v44
	v_perm_b32 v12, v24, v25, s0
	v_lshl_or_b32 v11, v16, 5, v11
	s_movk_i32 s2, 0xff
	ds_write_b64 v11, v[12:13] offset:38912
	v_and_b32_e32 v11, 7, v0
	v_cmp_lt_u32_e32 vcc, s2, v0
	v_and_b32_e32 v12, 8, v0
	v_lshlrev_b32_e32 v20, 3, v11
	v_lshlrev_b32_e32 v32, 7, v11
	v_cndmask_b32_e64 v11, 0, 1, vcc
	v_lshrrev_b32_e32 v0, 1, v0
	v_lshlrev_b32_e32 v22, 13, v11
	v_lshlrev_b32_e32 v11, 3, v53
	v_and_b32_e32 v0, 24, v0
	v_xor_b32_e32 v13, v11, v0
	v_or_b32_e32 v14, 0x440, v13
	v_cmp_eq_u32_e32 vcc, 0, v12
	s_add_i32 s0, s20, s46
	s_mul_hi_i32 s1, s0, s13
	v_cndmask_b32_e32 v12, v14, v13, vcc
	v_or_b32_e32 v12, v12, v45
	v_xor_b32_e32 v33, v12, v20
	v_or_b32_e32 v12, 32, v0
	v_xor_b32_e32 v12, v11, v12
	v_or_b32_e32 v13, 0x440, v12
	v_cndmask_b32_e32 v12, v13, v12, vcc
	v_or_b32_e32 v12, v12, v45
	v_xor_b32_e32 v35, v12, v20
	v_or_b32_e32 v12, 64, v0
	v_xor_b32_e32 v12, v11, v12
	v_xor_b32_e32 v13, 0x440, v12
	s_mul_i32 s0, s0, s13
	v_cndmask_b32_e32 v12, v13, v12, vcc
	v_or_b32_e32 v0, 0x60, v0
	s_add_u32 s0, s0, s33
	v_add3_u32 v23, v22, v33, v32
	v_or_b32_e32 v12, v12, v45
	v_xor_b32_e32 v0, v11, v0
	s_waitcnt lgkmcnt(0)
	s_barrier
	s_addc_u32 s1, s1, s14
	v_lshlrev_b32_e32 v21, 2, v16
	v_xor_b32_e32 v36, v12, v20
	ds_read2st64_b64 v[12:15], v10 offset1:1
	ds_read2st64_b64 v[16:19], v10 offset0:2 offset1:3
	ds_read_b64 v[10:11], v23
	v_xor_b32_e32 v23, 0x440, v0
	s_lshl_b64 s[0:1], s[0:1], 9
	v_cndmask_b32_e32 v0, v23, v0, vcc
	s_add_u32 s0, s30, s0
	v_or_b32_e32 v0, v0, v45
	s_addc_u32 s1, s31, s1
	v_add3_u32 v24, v22, v35, v32
	v_xor_b32_e32 v37, v0, v20
	v_add3_u32 v26, v22, v36, v32
	v_add3_u32 v0, v22, v37, v32
	ds_read_b64 v[24:25], v24
	ds_read_b64 v[28:29], v26
	;; [unrolled: 1-line block ×3, first 2 shown]
	global_load_dwordx4 v[20:23], v21, s[0:1]
	s_waitcnt lgkmcnt(3)
	v_mfma_f32_16x16x16_bf16 a[0:3], v[10:11], v[12:13], 0
	v_lshlrev_b32_e32 v0, 6, v53
	v_lshlrev_b32_e32 v10, 2, v48
	s_movk_i32 s2, 0x100
	v_or3_b32 v0, v0, v10, s2
	s_waitcnt lgkmcnt(2)
	v_mfma_f32_16x16x16_bf16 a[0:3], v[24:25], v[14:15], a[0:3]
	global_load_dwordx4 v[24:27], v0, s[0:1]
	v_mov_b32_e32 v0, 0x3fb8aa3b
	v_mul_f32_e32 v0, s12, v0
	s_waitcnt lgkmcnt(1)
	v_mfma_f32_16x16x16_bf16 a[0:3], v[28:29], v[16:17], a[0:3]
	v_exp_f32_e32 v0, v0
	v_add_u32_e32 v33, v33, v32
	v_add_u32_e32 v35, v35, v32
	s_waitcnt lgkmcnt(0)
	v_mfma_f32_16x16x16_bf16 a[0:3], v[30:31], v[18:19], a[0:3]
	ds_read_b64 v[30:31], v33 offset:8192
	s_waitcnt vmcnt(1)
	v_mul_f32_e32 v20, 0x3fb8aa3b, v20
	v_mul_f32_e32 v21, 0x3fb8aa3b, v21
	v_exp_f32_e32 v20, v20
	v_exp_f32_e32 v21, v21
	s_nop 0
	v_accvgpr_read_b32 v29, a1
	v_accvgpr_read_b32 v28, a0
	v_mul_f32_e32 v22, 0x3fb8aa3b, v22
	v_pk_mul_f32 v[20:21], v[0:1], v[20:21] op_sel_hi:[0,1]
	v_pk_fma_f32 v[2:3], v[2:3], v[20:21], v[28:29]
	ds_read_b64 v[20:21], v35 offset:8192
	v_mul_f32_e32 v23, 0x3fb8aa3b, v23
	v_exp_f32_e32 v22, v22
	v_exp_f32_e32 v23, v23
	v_accvgpr_read_b32 v11, a3
	v_accvgpr_read_b32 v10, a2
	s_waitcnt lgkmcnt(1)
	v_mfma_f32_16x16x16_bf16 a[0:3], v[30:31], v[12:13], 0
	v_pk_mul_f32 v[22:23], v[0:1], v[22:23] op_sel_hi:[0,1]
	v_pk_fma_f32 v[4:5], v[4:5], v[22:23], v[10:11]
	v_add_u32_e32 v10, v36, v32
	v_add_u32_e32 v11, v37, v32
	ds_read_b64 v[22:23], v10 offset:8192
	ds_read_b64 v[28:29], v11 offset:8192
	s_waitcnt lgkmcnt(2)
	v_mfma_f32_16x16x16_bf16 a[0:3], v[20:21], v[14:15], a[0:3]
	s_waitcnt vmcnt(0)
	v_mov_b32_e32 v10, v25
	v_mov_b32_e32 v11, v26
	;; [unrolled: 1-line block ×3, first 2 shown]
	s_waitcnt lgkmcnt(1)
	v_mfma_f32_16x16x16_bf16 a[0:3], v[22:23], v[16:17], a[0:3]
	v_mul_f32_e32 v10, 0x3fb8aa3b, v10
	v_mul_f32_e32 v13, 0x3fb8aa3b, v24
	v_exp_f32_e32 v25, v10
	v_mul_f32_e32 v10, 0x3fb8aa3b, v11
	v_mul_f32_e32 v11, 0x3fb8aa3b, v12
	s_waitcnt lgkmcnt(0)
	v_mfma_f32_16x16x16_bf16 a[0:3], v[28:29], v[18:19], a[0:3]
	v_exp_f32_e32 v24, v13
	v_exp_f32_e32 v10, v10
	;; [unrolled: 1-line block ×3, first 2 shown]
	v_pk_mul_f32 v[14:15], v[0:1], v[24:25] op_sel_hi:[0,1]
	v_pk_mul_f32 v[10:11], v[0:1], v[10:11] op_sel_hi:[0,1]
	s_nop 1
	v_accvgpr_read_b32 v17, a1
	v_accvgpr_read_b32 v13, a3
	;; [unrolled: 1-line block ×4, first 2 shown]
	v_pk_fma_f32 v[6:7], v[6:7], v[14:15], v[16:17]
	v_pk_fma_f32 v[8:9], v[8:9], v[10:11], v[12:13]
	v_mov_b32_e32 v10, v34
.LBB734_77:
	s_lshl_b64 s[0:1], s[24:25], 16
	s_waitcnt lgkmcnt(0)
	s_add_u32 s0, s28, s0
	v_lshlrev_b32_e32 v10, 7, v10
	s_addc_u32 s1, s29, s1
	v_ashrrev_i32_e32 v11, 31, v10
	v_lshl_add_u64 v[10:11], v[10:11], 2, s[0:1]
	v_lshlrev_b32_e32 v0, 2, v1
	v_mov_b32_e32 v1, 0
	v_lshl_add_u64 v[0:1], v[10:11], 0, v[0:1]
	global_store_dwordx4 v[0:1], v[2:5], off
	global_store_dwordx4 v[0:1], v[6:9], off offset:256
	s_endpgm
	.section	.rodata,"a",@progbits
	.p2align	6, 0x0
	.amdhsa_kernel _ZN12_GLOBAL__N_139chunk_gated_delta_rule_fwd_h_hip_kernelILi16ELb0ELb1ELb0ELb0ELb0ELb1ELb0ELb0EEEvPK12hip_bfloat16S3_S3_PKfS5_PKvPS1_S8_PvPKiSB_iiiiilll
		.amdhsa_group_segment_fixed_size 40960
		.amdhsa_private_segment_fixed_size 0
		.amdhsa_kernarg_size 136
		.amdhsa_user_sgpr_count 2
		.amdhsa_user_sgpr_dispatch_ptr 0
		.amdhsa_user_sgpr_queue_ptr 0
		.amdhsa_user_sgpr_kernarg_segment_ptr 1
		.amdhsa_user_sgpr_dispatch_id 0
		.amdhsa_user_sgpr_kernarg_preload_length 0
		.amdhsa_user_sgpr_kernarg_preload_offset 0
		.amdhsa_user_sgpr_private_segment_size 0
		.amdhsa_uses_dynamic_stack 0
		.amdhsa_enable_private_segment 0
		.amdhsa_system_sgpr_workgroup_id_x 1
		.amdhsa_system_sgpr_workgroup_id_y 1
		.amdhsa_system_sgpr_workgroup_id_z 0
		.amdhsa_system_sgpr_workgroup_info 0
		.amdhsa_system_vgpr_workitem_id 0
		.amdhsa_next_free_vgpr 128
		.amdhsa_next_free_sgpr 66
		.amdhsa_accum_offset 116
		.amdhsa_reserve_vcc 1
		.amdhsa_float_round_mode_32 0
		.amdhsa_float_round_mode_16_64 0
		.amdhsa_float_denorm_mode_32 3
		.amdhsa_float_denorm_mode_16_64 3
		.amdhsa_dx10_clamp 1
		.amdhsa_ieee_mode 1
		.amdhsa_fp16_overflow 0
		.amdhsa_tg_split 0
		.amdhsa_exception_fp_ieee_invalid_op 0
		.amdhsa_exception_fp_denorm_src 0
		.amdhsa_exception_fp_ieee_div_zero 0
		.amdhsa_exception_fp_ieee_overflow 0
		.amdhsa_exception_fp_ieee_underflow 0
		.amdhsa_exception_fp_ieee_inexact 0
		.amdhsa_exception_int_div_zero 0
	.end_amdhsa_kernel
	.section	.text._ZN12_GLOBAL__N_139chunk_gated_delta_rule_fwd_h_hip_kernelILi16ELb0ELb1ELb0ELb0ELb0ELb1ELb0ELb0EEEvPK12hip_bfloat16S3_S3_PKfS5_PKvPS1_S8_PvPKiSB_iiiiilll,"axG",@progbits,_ZN12_GLOBAL__N_139chunk_gated_delta_rule_fwd_h_hip_kernelILi16ELb0ELb1ELb0ELb0ELb0ELb1ELb0ELb0EEEvPK12hip_bfloat16S3_S3_PKfS5_PKvPS1_S8_PvPKiSB_iiiiilll,comdat
.Lfunc_end734:
	.size	_ZN12_GLOBAL__N_139chunk_gated_delta_rule_fwd_h_hip_kernelILi16ELb0ELb1ELb0ELb0ELb0ELb1ELb0ELb0EEEvPK12hip_bfloat16S3_S3_PKfS5_PKvPS1_S8_PvPKiSB_iiiiilll, .Lfunc_end734-_ZN12_GLOBAL__N_139chunk_gated_delta_rule_fwd_h_hip_kernelILi16ELb0ELb1ELb0ELb0ELb0ELb1ELb0ELb0EEEvPK12hip_bfloat16S3_S3_PKfS5_PKvPS1_S8_PvPKiSB_iiiiilll
                                        ; -- End function
	.section	.AMDGPU.csdata,"",@progbits
; Kernel info:
; codeLenInByte = 8296
; NumSgprs: 72
; NumVgprs: 114
; NumAgprs: 12
; TotalNumVgprs: 128
; ScratchSize: 0
; MemoryBound: 0
; FloatMode: 240
; IeeeMode: 1
; LDSByteSize: 40960 bytes/workgroup (compile time only)
; SGPRBlocks: 8
; VGPRBlocks: 15
; NumSGPRsForWavesPerEU: 72
; NumVGPRsForWavesPerEU: 128
; AccumOffset: 116
; Occupancy: 1
; WaveLimiterHint : 1
; COMPUTE_PGM_RSRC2:SCRATCH_EN: 0
; COMPUTE_PGM_RSRC2:USER_SGPR: 2
; COMPUTE_PGM_RSRC2:TRAP_HANDLER: 0
; COMPUTE_PGM_RSRC2:TGID_X_EN: 1
; COMPUTE_PGM_RSRC2:TGID_Y_EN: 1
; COMPUTE_PGM_RSRC2:TGID_Z_EN: 0
; COMPUTE_PGM_RSRC2:TIDIG_COMP_CNT: 0
; COMPUTE_PGM_RSRC3_GFX90A:ACCUM_OFFSET: 28
; COMPUTE_PGM_RSRC3_GFX90A:TG_SPLIT: 0
	.section	.text._ZN12_GLOBAL__N_139chunk_gated_delta_rule_fwd_h_hip_kernelILi16ELb0ELb0ELb1ELb0ELb0ELb1ELb0ELb0EEEvPK12hip_bfloat16S3_S3_PKfS5_PKvPS1_S8_PvPKiSB_iiiiilll,"axG",@progbits,_ZN12_GLOBAL__N_139chunk_gated_delta_rule_fwd_h_hip_kernelILi16ELb0ELb0ELb1ELb0ELb0ELb1ELb0ELb0EEEvPK12hip_bfloat16S3_S3_PKfS5_PKvPS1_S8_PvPKiSB_iiiiilll,comdat
	.globl	_ZN12_GLOBAL__N_139chunk_gated_delta_rule_fwd_h_hip_kernelILi16ELb0ELb0ELb1ELb0ELb0ELb1ELb0ELb0EEEvPK12hip_bfloat16S3_S3_PKfS5_PKvPS1_S8_PvPKiSB_iiiiilll ; -- Begin function _ZN12_GLOBAL__N_139chunk_gated_delta_rule_fwd_h_hip_kernelILi16ELb0ELb0ELb1ELb0ELb0ELb1ELb0ELb0EEEvPK12hip_bfloat16S3_S3_PKfS5_PKvPS1_S8_PvPKiSB_iiiiilll
	.p2align	8
	.type	_ZN12_GLOBAL__N_139chunk_gated_delta_rule_fwd_h_hip_kernelILi16ELb0ELb0ELb1ELb0ELb0ELb1ELb0ELb0EEEvPK12hip_bfloat16S3_S3_PKfS5_PKvPS1_S8_PvPKiSB_iiiiilll,@function
_ZN12_GLOBAL__N_139chunk_gated_delta_rule_fwd_h_hip_kernelILi16ELb0ELb0ELb1ELb0ELb0ELb1ELb0ELb0EEEvPK12hip_bfloat16S3_S3_PKfS5_PKvPS1_S8_PvPKiSB_iiiiilll: ; @_ZN12_GLOBAL__N_139chunk_gated_delta_rule_fwd_h_hip_kernelILi16ELb0ELb0ELb1ELb0ELb0ELb1ELb0ELb0EEEvPK12hip_bfloat16S3_S3_PKfS5_PKvPS1_S8_PvPKiSB_iiiiilll
; %bb.0:
	s_load_dwordx4 s[16:19], s[0:1], 0x5c
	s_load_dwordx4 s[12:15], s[0:1], 0x30
	s_abs_i32 s22, s3
	s_ashr_i32 s21, s3, 31
	s_load_dwordx8 s[4:11], s[0:1], 0x0
	s_waitcnt lgkmcnt(0)
	s_abs_i32 s20, s17
	v_cvt_f32_u32_e32 v1, s20
	s_sub_i32 s24, 0, s20
	s_ashr_i32 s23, s17, 31
	s_xor_b32 s21, s21, s23
	v_rcp_iflag_f32_e32 v1, v1
	v_lshrrev_b32_e32 v61, 6, v0
	v_bfe_u32 v62, v0, 4, 2
	v_lshlrev_b32_e32 v45, 4, v61
	v_mul_f32_e32 v1, 0x4f7ffffe, v1
	v_cvt_u32_f32_e32 v1, v1
	v_lshlrev_b32_e32 v2, 2, v62
	v_and_b32_e32 v60, 63, v0
	v_or_b32_e32 v65, v2, v45
	v_readfirstlane_b32 s25, v1
	s_mul_i32 s24, s24, s25
	s_mul_hi_u32 s24, s25, s24
	s_add_i32 s25, s25, s24
	s_mul_hi_u32 s24, s22, s25
	s_mul_i32 s25, s24, s20
	s_sub_i32 s22, s22, s25
	s_add_i32 s26, s24, 1
	s_sub_i32 s25, s22, s20
	s_cmp_ge_u32 s22, s20
	s_cselect_b32 s24, s26, s24
	s_cselect_b32 s22, s25, s22
	s_add_i32 s25, s24, 1
	s_cmp_ge_u32 s22, s20
	s_cselect_b32 s22, s25, s24
	s_abs_i32 s24, s18
	v_cvt_f32_u32_e32 v1, s24
	s_xor_b32 s22, s22, s21
	s_ashr_i32 s48, s16, 31
	s_sub_i32 s50, s22, s21
	v_rcp_iflag_f32_e32 v1, v1
	s_lshr_b32 s21, s48, 26
	s_add_i32 s21, s16, s21
	s_ashr_i32 s51, s18, 31
	v_mul_f32_e32 v1, 0x4f7ffffe, v1
	v_cvt_u32_f32_e32 v1, v1
	s_ashr_i32 s49, s21, 6
	s_xor_b32 s21, s23, s51
	s_sub_i32 s22, 0, s24
	v_readfirstlane_b32 s23, v1
	s_mul_i32 s22, s22, s23
	s_mul_hi_u32 s22, s23, s22
	s_add_i32 s23, s23, s22
	s_mul_hi_u32 s22, s20, s23
	s_mul_i32 s23, s22, s24
	s_mul_i32 s47, s50, s17
	s_sub_i32 s20, s20, s23
	s_sub_i32 s33, s3, s47
	s_add_i32 s3, s16, 63
	s_add_i32 s23, s22, 1
	s_sub_i32 s25, s20, s24
	s_cmp_ge_u32 s20, s24
	s_cselect_b32 s22, s23, s22
	s_cselect_b32 s20, s25, s20
	s_add_i32 s23, s22, 1
	s_cmp_ge_u32 s20, s24
	s_cselect_b32 s20, s23, s22
	s_xor_b32 s20, s20, s21
	s_sub_i32 s24, s20, s21
	s_abs_i32 s25, s24
	v_cvt_f32_u32_e32 v1, s25
	s_sub_i32 s27, 0, s25
	s_abs_i32 s26, s33
	s_xor_b32 s24, s33, s24
	v_rcp_iflag_f32_e32 v1, v1
	s_ashr_i32 s24, s24, 31
	s_load_dwordx2 s[34:35], s[0:1], 0x80
	s_load_dwordx4 s[20:23], s[0:1], 0x70
	v_mov_b32_e32 v49, 0
	v_mul_f32_e32 v1, 0x4f7ffffe, v1
	v_cvt_u32_f32_e32 v1, v1
	v_or_b32_e32 v66, 64, v65
	s_mul_hi_i32 s53, s50, s17
	v_lshrrev_b32_e32 v64, 3, v60
	v_readfirstlane_b32 s28, v1
	s_mul_i32 s27, s27, s28
	s_mul_hi_u32 s27, s28, s27
	s_add_i32 s28, s28, s27
	s_mul_hi_u32 s27, s26, s28
	s_mul_i32 s28, s27, s25
	s_sub_i32 s26, s26, s28
	s_add_i32 s28, s27, 1
	s_sub_i32 s29, s26, s25
	s_cmp_ge_u32 s26, s25
	s_cselect_b32 s27, s28, s27
	s_cselect_b32 s26, s29, s26
	s_add_i32 s28, s27, 1
	s_cmp_ge_u32 s26, s25
	s_cselect_b32 s25, s28, s27
	s_xor_b32 s25, s25, s24
	s_sub_i32 s54, s25, s24
	s_ashr_i32 s24, s3, 31
	s_lshr_b32 s24, s24, 26
	s_add_i32 s3, s3, s24
	s_ashr_i32 s3, s3, 6
	s_lshl_b32 s36, s2, 4
	s_mul_i32 s52, s50, s3
	v_and_b32_e32 v1, 15, v0
	s_cmp_lt_i32 s16, 64
	v_lshlrev_b32_e32 v63, 3, v0
	s_waitcnt lgkmcnt(0)
	s_mul_i32 s21, s50, s21
	s_mul_hi_u32 s46, s50, s20
	s_mul_i32 s38, s50, s20
	v_mov_b32_e32 v48, v49
	v_mov_b32_e32 v51, v49
	;; [unrolled: 1-line block ×7, first 2 shown]
	s_cbranch_scc1 .LBB735_18
; %bb.1:
	s_ashr_i32 s28, s50, 31
	s_ashr_i32 s56, s33, 31
	s_add_u32 s2, s47, s33
	s_addc_u32 s3, s53, s56
	s_mul_i32 s3, s16, s3
	s_mul_hi_u32 s24, s16, s2
	s_add_i32 s41, s24, s3
	s_mul_i32 s40, s16, s2
	s_lshl_b64 s[2:3], s[40:41], 8
	v_and_b32_e32 v68, 56, v63
	s_add_u32 s24, s6, s2
	v_lshl_or_b32 v67, v61, 3, v64
	v_lshlrev_b32_e32 v3, 1, v68
	s_addc_u32 s2, s7, s3
	v_lshl_or_b32 v69, v67, 8, v3
	s_and_b32 s25, s2, 0xffff
	s_mov_b32 s27, 0x20000
	s_movk_i32 s26, 0x4000
	s_movk_i32 s2, 0x80
	v_or_b32_e32 v70, 0x2000, v69
	buffer_load_dwordx4 v[4:7], v69, s[24:27], 0 offen
	buffer_load_dwordx4 v[8:11], v69, s[24:27], s2 offen
	;; [unrolled: 1-line block ×4, first 2 shown]
	v_lshlrev_b32_e32 v20, 3, v67
	v_and_or_b32 v22, v0, 7, v20
	v_and_b32_e32 v20, 0x78, v20
	v_lshlrev_b32_e32 v22, 4, v22
	v_xor_b32_e32 v71, v22, v20
	v_mul_lo_u32 v21, v67, s19
	v_or_b32_e32 v72, 0x1000, v71
	s_cmpk_eq_i32 s19, 0x80
	s_mov_b32 s55, s18
	v_xor_b32_e32 v20, 8, v71
	v_xor_b32_e32 v22, 8, v72
	s_cselect_b64 s[2:3], -1, 0
	s_cmpk_lg_i32 s19, 0x80
	s_waitcnt vmcnt(3)
	ds_write_b64 v71, v[4:5] offset:16384
	ds_write_b64 v20, v[6:7] offset:16384
	s_waitcnt vmcnt(2)
	ds_write_b64 v71, v[8:9] offset:24576
	ds_write_b64 v20, v[10:11] offset:24576
	s_waitcnt vmcnt(1)
	ds_write_b64 v71, v[12:13] offset:20480
	ds_write_b64 v22, v[14:15] offset:16384
	s_waitcnt vmcnt(0)
	ds_write_b64 v71, v[16:17] offset:28672
	ds_write_b64 v22, v[18:19] offset:24576
	v_lshl_add_u32 v4, v21, 1, v68
	s_cbranch_scc0 .LBB735_3
; %bb.2:
	v_lshlrev_b32_e32 v6, 1, v4
	v_add_lshl_u32 v5, v4, s19, 1
	s_lshl_b32 s26, s19, 7
	s_load_dwordx2 s[42:43], s[0:1], 0x20
	v_lshl_or_b32 v3, v67, 9, v3
	s_cbranch_execz .LBB735_4
	s_branch .LBB735_5
.LBB735_3:
                                        ; implicit-def: $vgpr5
                                        ; implicit-def: $vgpr6
                                        ; implicit-def: $sgpr26
	s_load_dwordx2 s[42:43], s[0:1], 0x20
	v_lshl_or_b32 v3, v67, 9, v3
.LBB735_4:
	v_or_b32_e32 v5, 0x100, v3
	s_movk_i32 s26, 0x4000
	v_mov_b32_e32 v6, v3
.LBB735_5:
	s_mul_hi_u32 s0, s18, s16
	s_mul_i32 s1, s51, s16
	s_add_i32 s0, s0, s1
	s_mul_i32 s1, s18, s16
	s_mul_i32 s24, s1, s28
	s_mul_hi_u32 s25, s1, s50
	s_add_i32 s24, s25, s24
	s_mul_i32 s0, s0, s50
	s_add_i32 s24, s24, s0
	s_mul_i32 s1, s1, s50
	s_ashr_i32 s57, s54, 31
	s_add_u32 s0, s1, s54
	s_addc_u32 s1, s24, s57
	s_lshl_b64 s[0:1], s[0:1], 8
	s_add_u32 s24, s4, s0
	s_addc_u32 s0, s5, s1
	s_and_b32 s25, s0, 0xffff
	s_movk_i32 s58, 0x80
	buffer_load_dwordx4 v[8:11], v6, s[24:27], 0 offen
	buffer_load_dwordx4 v[12:15], v6, s[24:27], s58 offen
	;; [unrolled: 1-line block ×4, first 2 shown]
	v_and_b32_e32 v5, 6, v0
	s_mul_i32 s0, s28, s16
	s_mul_hi_u32 s1, s50, s16
	v_lshlrev_b32_e32 v7, 2, v1
	v_lshlrev_b32_e32 v24, 3, v1
	v_xor_b32_e32 v26, v67, v5
	v_and_b32_e32 v6, 1, v0
	s_mul_i32 s28, s28, s20
	v_lshl_or_b32 v24, v65, 5, v24
	v_xor_b32_e32 v27, v65, v7
	v_lshlrev_b32_e32 v26, 2, v26
	s_add_i32 s63, s1, s0
	s_add_i32 s0, s46, s21
	v_or_b32_e32 v73, 0x9000, v24
	v_or_b32_e32 v74, 0x9800, v24
	v_lshlrev_b32_e32 v24, 1, v27
	v_xor_b32_e32 v27, 0x440, v26
	v_cmp_eq_u32_e32 vcc, 0, v6
	s_add_i32 s39, s0, s28
	s_mul_i32 s0, s33, s23
	s_mul_hi_u32 s1, s33, s22
	v_cndmask_b32_e32 v6, v27, v26, vcc
	s_add_i32 s0, s1, s0
	s_mul_i32 s1, s56, s22
	s_mov_b32 s61, 0x1000504
	v_lshlrev_b32_e32 v25, 8, v1
	s_mov_b32 s26, 0x8000
	v_xor_b32_e32 v7, v66, v7
	v_lshl_or_b32 v5, v5, 10, v6
	s_add_i32 s1, s0, s1
	s_lshl_b64 s[24:25], s[38:39], 2
	s_mov_b32 s62, 0x3020706
	v_lshlrev_b32_e32 v7, 1, v7
	v_or3_b32 v75, v24, v25, s26
	v_xor_b32_e32 v6, 8, v5
	v_xor_b32_e32 v24, 24, v5
	;; [unrolled: 1-line block ×4, first 2 shown]
	s_mul_i32 s0, s33, s22
	s_add_u32 s24, s10, s24
	v_or3_b32 v76, v7, v25, s26
	v_xor_b32_e32 v7, 16, v5
	v_xor_b32_e32 v25, 32, v5
	;; [unrolled: 1-line block ×3, first 2 shown]
	v_add_u32_e32 v6, 0x80, v6
	v_add_u32_e32 v24, 0x80, v24
	;; [unrolled: 1-line block ×4, first 2 shown]
	s_addc_u32 s25, s11, s25
	s_lshl_b64 s[0:1], s[0:1], 2
	s_add_u32 s44, s24, s0
	s_movk_i32 s0, 0xf8
	s_addc_u32 s45, s25, s1
	s_ashr_i32 s37, s36, 31
	s_lshl_b32 s30, s19, 7
	v_mov_b32_e32 v47, 0
	s_mul_i32 s59, s50, s16
	s_mov_b32 s60, 0
	v_add_u32_e32 v87, v45, v2
	s_mov_b32 s39, 0x7060302
	v_mov_b32_e32 v98, 0x3fb8aa3b
	s_mov_b32 s65, 0
	v_mov_b32_e32 v52, v47
	v_mov_b32_e32 v53, v47
	;; [unrolled: 1-line block ×6, first 2 shown]
	s_waitcnt vmcnt(1)
	v_perm_b32 v29, v8, v16, s61
	s_waitcnt vmcnt(0)
	v_perm_b32 v30, v12, v20, s61
	v_perm_b32 v8, v8, v16, s62
	;; [unrolled: 1-line block ×15, first 2 shown]
	ds_write2st64_b32 v5, v29, v30 offset1:32
	ds_write2st64_b32 v6, v8, v12 offset1:32
	ds_write2st64_b32 v7, v16, v20 offset0:1 offset1:33
	ds_write2st64_b32 v24, v9, v13 offset0:1 offset1:33
	;; [unrolled: 1-line block ×6, first 2 shown]
	v_or_b32_e32 v5, v45, v1
	v_lshlrev_b32_e32 v5, 3, v5
	v_lshrrev_b32_e32 v7, 5, v60
	v_and_or_b32 v7, v5, s0, v7
	v_lshlrev_b32_e32 v7, 4, v7
	v_lshrrev_b32_e32 v6, 2, v60
	v_lshlrev_b32_e32 v11, 11, v61
	v_and_b32_e32 v5, 0x78, v5
	v_or_b32_e32 v12, 32, v7
	v_and_b32_e32 v10, 12, v6
	v_and_b32_e32 v6, 0x1000, v11
	v_lshrrev_b32_e32 v9, 1, v60
	v_xor_b32_e32 v12, v12, v5
	v_and_b32_e32 v9, 8, v9
	v_or_b32_e32 v12, v12, v6
	v_xor_b32_e32 v8, v7, v5
	v_xor_b32_e32 v79, v12, v9
	v_or_b32_e32 v12, 64, v7
	v_or_b32_e32 v7, 0x60, v7
	v_xor_b32_e32 v12, v12, v5
	v_xor_b32_e32 v5, v7, v5
	v_or_b32_e32 v5, v5, v6
	v_or_b32_e32 v12, v12, v6
	v_xor_b32_e32 v81, v5, v9
	v_lshlrev_b32_e32 v5, 1, v1
	v_xor_b32_e32 v80, v12, v9
	v_lshlrev_b32_e32 v12, 1, v4
	v_add_lshl_u32 v13, v4, s19, 1
	v_lshrrev_b32_e32 v4, 4, v0
	s_lshl_b64 s[0:1], s[36:37], 8
	v_or_b32_e32 v15, 1, v5
	s_add_u32 s0, s12, s0
	v_xor_b32_e32 v5, v4, v5
	v_xor_b32_e32 v15, v15, v4
	s_addc_u32 s1, s13, s1
	v_lshlrev_b32_e32 v5, 3, v5
	v_lshlrev_b32_e32 v46, 8, v4
	;; [unrolled: 1-line block ×3, first 2 shown]
	v_lshrrev_b32_e32 v19, 1, v0
	v_or3_b32 v83, v5, v46, s26
	v_or3_b32 v84, v4, v46, s26
	v_lshl_add_u64 v[4:5], s[0:1], 0, v[46:47]
	v_lshlrev_b32_e32 v46, 4, v1
	s_movk_i32 s0, 0xff
	v_lshlrev_b32_e32 v18, 3, v61
	v_and_b32_e32 v19, 24, v19
	v_lshl_add_u64 v[54:55], v[4:5], 0, v[46:47]
	v_and_b32_e32 v5, 8, v0
	v_cmp_lt_u32_e32 vcc, s0, v0
	v_xor_b32_e32 v20, v18, v19
	v_or_b32_e32 v21, 0x440, v20
	v_cndmask_b32_e64 v17, 0, 1, vcc
	v_cmp_eq_u32_e32 vcc, 0, v5
	v_or_b32_e32 v23, 64, v19
	v_xor_b32_e32 v23, v18, v23
	v_cndmask_b32_e32 v5, v21, v20, vcc
	v_or_b32_e32 v21, 32, v19
	v_or_b32_e32 v19, 0x60, v19
	v_xor_b32_e32 v21, v18, v21
	v_xor_b32_e32 v18, v18, v19
	v_or_b32_e32 v22, 0x440, v21
	v_xor_b32_e32 v24, 0x440, v23
	v_xor_b32_e32 v19, 0x440, v18
	v_or_b32_e32 v8, v8, v6
	v_or_b32_e32 v6, s36, v1
	v_and_b32_e32 v4, 7, v0
	v_cndmask_b32_e32 v21, v22, v21, vcc
	v_cndmask_b32_e32 v23, v24, v23, vcc
	v_cndmask_b32_e32 v18, v19, v18, vcc
	v_xor_b32_e32 v77, v8, v9
	v_and_b32_e32 v8, 0x78, v63
	v_ashrrev_i32_e32 v7, 31, v6
	v_lshlrev_b32_e32 v15, 3, v4
	v_or_b32_e32 v5, v5, v11
	v_or_b32_e32 v21, v21, v11
	;; [unrolled: 1-line block ×4, first 2 shown]
	v_lshl_or_b32 v8, v62, 7, v8
	v_lshlrev_b64 v[6:7], 1, v[6:7]
	v_lshlrev_b32_e32 v17, 13, v17
	v_xor_b32_e32 v5, v5, v15
	v_xor_b32_e32 v21, v21, v15
	;; [unrolled: 1-line block ×4, first 2 shown]
	v_or_b32_e32 v78, 0x9000, v8
	v_or_b32_e32 v82, 0x9800, v8
	v_lshl_add_u64 v[8:9], s[8:9], 0, v[6:7]
	v_lshl_add_u64 v[6:7], s[14:15], 0, v[6:7]
	v_or_b32_e32 v14, 0x100, v3
	v_lshlrev_b32_e32 v16, 7, v4
	v_or_b32_e32 v4, v10, v45
	v_add_u32_e32 v20, v17, v5
	v_add_u32_e32 v22, v17, v21
	;; [unrolled: 1-line block ×4, first 2 shown]
	v_or3_b32 v10, v45, v10, 64
	v_add_u32_e32 v5, 0x2000, v5
	v_add_u32_e32 v17, 0x2000, v21
	;; [unrolled: 1-line block ×4, first 2 shown]
	v_lshlrev_b32_e32 v46, 8, v65
	v_cndmask_b32_e64 v85, v12, v3, s[2:3]
	v_cndmask_b32_e64 v86, v13, v14, s[2:3]
	v_lshl_add_u64 v[56:57], v[8:9], 0, v[46:47]
	v_lshl_add_u64 v[58:59], v[6:7], 0, v[46:47]
	s_add_i32 s37, s59, 63
	s_movk_i32 s26, 0x4000
	v_lshlrev_b32_e32 v88, 2, v4
	v_add_u32_e32 v89, v20, v16
	v_add_u32_e32 v90, v22, v16
	;; [unrolled: 1-line block ×4, first 2 shown]
	v_lshlrev_b32_e32 v93, 2, v10
	v_add_u32_e32 v94, v5, v16
	v_add_u32_e32 v95, v17, v16
	;; [unrolled: 1-line block ×4, first 2 shown]
	v_mov_b32_e32 v46, v47
	s_waitcnt lgkmcnt(0)
	s_barrier
.LBB735_6:                              ; =>This Inner Loop Header: Depth=1
	s_add_i32 s64, s65, 1
	s_cmp_lt_i32 s64, s49
	s_mov_b64 s[28:29], 0
	s_cselect_b64 s[2:3], -1, 0
	s_cmp_ge_i32 s64, s49
	s_mov_b64 s[24:25], 0
	s_cbranch_scc1 .LBB735_8
; %bb.7:                                ;   in Loop: Header=BB735_6 Depth=1
	s_add_i32 s0, s60, 64
	s_add_u32 s0, s40, s0
	s_addc_u32 s1, s41, 0
	s_lshl_b64 s[0:1], s[0:1], 8
	s_add_u32 s24, s6, s0
	s_addc_u32 s25, s7, s1
.LBB735_8:                              ;   in Loop: Header=BB735_6 Depth=1
	v_cndmask_b32_e64 v2, 0, 1, s[2:3]
	v_cmp_ne_u32_e64 s[0:1], 1, v2
	s_andn2_b64 vcc, exec, s[2:3]
	s_cbranch_vccnz .LBB735_10
; %bb.9:                                ;   in Loop: Header=BB735_6 Depth=1
	s_add_i32 s2, s60, 64
	s_add_u32 s2, s59, s2
	s_addc_u32 s3, s63, 0
	s_mul_i32 s28, s2, s51
	s_mul_hi_u32 s29, s2, s55
	s_add_i32 s28, s29, s28
	s_mul_i32 s3, s3, s55
	s_add_i32 s28, s28, s3
	s_mul_i32 s2, s2, s55
	s_add_u32 s2, s2, s54
	s_addc_u32 s3, s28, s57
	s_lshl_b64 s[2:3], s[2:3], 8
	s_add_u32 s28, s4, s2
	s_addc_u32 s29, s5, s3
.LBB735_10:                             ;   in Loop: Header=BB735_6 Depth=1
	v_perm_b32 v3, v53, v52, s39
	v_perm_b32 v2, v47, v46, s39
	;; [unrolled: 1-line block ×4, first 2 shown]
	ds_write_b64 v73, v[2:3]
	ds_write_b64 v74, v[4:5]
	;; [unrolled: 1-line block ×4, first 2 shown]
	s_waitcnt lgkmcnt(0)
	s_barrier
	ds_read_b64 v[10:11], v77 offset:16384
	ds_read_b64 v[12:13], v79 offset:16384
	ds_read2st64_b64 v[2:5], v78 offset1:1
	ds_read2st64_b64 v[6:9], v78 offset0:2 offset1:3
	ds_read_b64 v[14:15], v80 offset:16384
	s_waitcnt lgkmcnt(2)
	v_mfma_f32_16x16x16_bf16 a[0:3], v[10:11], v[2:3], 0
	ds_read_b64 v[2:3], v81 offset:16384
	s_add_i32 s2, s60, 63
	s_mul_i32 s3, s2, s35
	v_mfma_f32_16x16x16_bf16 a[0:3], v[12:13], v[4:5], a[0:3]
	s_mul_hi_u32 s31, s2, s34
	s_add_i32 s3, s31, s3
	s_mul_i32 s2, s2, s34
	s_waitcnt lgkmcnt(1)
	v_mfma_f32_16x16x16_bf16 a[0:3], v[14:15], v[6:7], a[0:3]
	s_lshl_b64 s[2:3], s[2:3], 2
	s_add_u32 s2, s44, s2
	s_addc_u32 s3, s45, s3
	s_waitcnt lgkmcnt(0)
	v_mfma_f32_16x16x16_bf16 a[0:3], v[2:3], v[8:9], a[0:3]
	s_and_b64 vcc, exec, s[0:1]
	v_mov_b32_e32 v101, 0
	v_mov_b32_e32 v100, 0
	;; [unrolled: 1-line block ×19, first 2 shown]
	s_cbranch_vccnz .LBB735_12
; %bb.11:                               ;   in Loop: Header=BB735_6 Depth=1
	s_and_b32 s25, s25, 0xffff
	buffer_load_dwordx4 v[14:17], v69, s[24:27], 0 offen
	buffer_load_dwordx4 v[10:13], v69, s[24:27], s58 offen
	;; [unrolled: 1-line block ×4, first 2 shown]
	v_mov_b32_e32 v100, v71
	v_mov_b32_e32 v99, v72
.LBB735_12:                             ;   in Loop: Header=BB735_6 Depth=1
	v_add_u32_e32 v24, s60, v87
	v_ashrrev_i32_e32 v18, 31, v24
	v_mul_lo_u32 v20, v18, s34
	v_mul_lo_u32 v21, v24, s35
	v_mad_u64_u32 v[18:19], s[24:25], v24, s34, 0
	v_add3_u32 v19, v19, v21, v20
	v_add_u32_e32 v20, 1, v24
	v_ashrrev_i32_e32 v21, 31, v20
	v_mul_lo_u32 v22, v21, s34
	v_mul_lo_u32 v23, v20, s35
	v_mad_u64_u32 v[20:21], s[24:25], v20, s34, 0
	v_add3_u32 v21, v21, v23, v22
	v_add_u32_e32 v22, 2, v24
	v_ashrrev_i32_e32 v23, 31, v22
	v_mul_lo_u32 v25, v23, s34
	v_mul_lo_u32 v26, v22, s35
	v_mad_u64_u32 v[22:23], s[24:25], v22, s34, 0
	s_add_u32 s24, s40, s60
	v_add3_u32 v23, v23, v26, v25
	v_add_u32_e32 v26, 3, v24
	s_addc_u32 s25, s41, 0
	v_ashrrev_i32_e32 v24, 31, v26
	s_lshl_b64 s[24:25], s[24:25], 8
	v_lshl_add_u64 v[18:19], v[18:19], 2, s[44:45]
	v_mul_lo_u32 v27, v24, s34
	v_lshl_add_u64 v[24:25], v[56:57], 0, s[24:25]
	v_mul_lo_u32 v28, v26, s35
	global_load_ushort v34, v[24:25], off
	global_load_ushort v35, v[24:25], off offset:256
	global_load_ushort v36, v[24:25], off offset:512
	;; [unrolled: 1-line block ×3, first 2 shown]
	global_load_dword v38, v[18:19], off
	v_mad_u64_u32 v[18:19], s[66:67], v26, s34, 0
	v_lshl_add_u64 v[20:21], v[20:21], 2, s[44:45]
	v_add3_u32 v19, v19, v28, v27
	v_lshl_add_u64 v[22:23], v[22:23], 2, s[44:45]
	v_lshl_add_u64 v[18:19], v[18:19], 2, s[44:45]
	global_load_dword v39, v[20:21], off
	global_load_dword v40, v[22:23], off
	;; [unrolled: 1-line block ×3, first 2 shown]
	ds_read_b64 v[18:19], v77 offset:24576
	s_load_dword s2, s[2:3], 0x0
	ds_read_b64 v[28:29], v79 offset:24576
	ds_read2st64_b64 v[20:23], v82 offset1:1
	ds_read2st64_b64 v[24:27], v82 offset0:2 offset1:3
	ds_read_b64 v[30:31], v80 offset:24576
	ds_read_b64 v[32:33], v81 offset:24576
	s_waitcnt lgkmcnt(0)
	v_mfma_f32_16x16x16_bf16 a[0:3], v[18:19], v[20:21], a[0:3]
	v_mov_b32_e32 v102, 0
	v_mov_b32_e32 v18, 0
	;; [unrolled: 1-line block ×3, first 2 shown]
	v_mfma_f32_16x16x16_bf16 a[0:3], v[28:29], v[22:23], a[0:3]
	v_lshl_add_u64 v[28:29], v[58:59], 0, s[24:25]
	v_mov_b32_e32 v20, 0
	v_mov_b32_e32 v21, 0
	v_mfma_f32_16x16x16_bf16 a[0:3], v[30:31], v[24:25], a[0:3]
	v_mov_b32_e32 v22, 0
	v_mov_b32_e32 v23, 0
	;; [unrolled: 1-line block ×3, first 2 shown]
	v_mfma_f32_16x16x16_bf16 a[0:3], v[32:33], v[26:27], a[0:3]
	s_and_b64 vcc, exec, s[0:1]
	s_waitcnt vmcnt(7)
	v_lshlrev_b32_e32 v32, 16, v34
	s_nop 3
	v_accvgpr_read_b32 v31, a1
	v_accvgpr_read_b32 v27, a3
	v_accvgpr_read_b32 v26, a2
	v_accvgpr_read_b32 v30, a0
	s_waitcnt vmcnt(6)
	v_lshlrev_b32_e32 v33, 16, v35
	s_waitcnt vmcnt(4)
	v_lshlrev_b32_e32 v35, 16, v37
	v_lshlrev_b32_e32 v34, 16, v36
	s_waitcnt vmcnt(3)
	v_sub_f32_e32 v25, s2, v38
	v_pk_add_f32 v[30:31], v[32:33], v[30:31] neg_lo:[0,1] neg_hi:[0,1]
	v_pk_add_f32 v[26:27], v[34:35], v[26:27] neg_lo:[0,1] neg_hi:[0,1]
	v_mul_f32_e32 v25, 0x3fb8aa3b, v25
	s_waitcnt vmcnt(2)
	v_sub_f32_e32 v33, s2, v39
	s_waitcnt vmcnt(1)
	v_sub_f32_e32 v34, s2, v40
	;; [unrolled: 2-line block ×3, first 2 shown]
	v_exp_f32_e32 v32, v25
	v_mul_f32_e32 v25, 0x3fb8aa3b, v33
	v_mul_f32_e32 v34, 0x3fb8aa3b, v34
	;; [unrolled: 1-line block ×3, first 2 shown]
	v_exp_f32_e32 v33, v25
	v_exp_f32_e32 v34, v34
	v_exp_f32_e32 v35, v35
	global_store_short_d16_hi v[28:29], v30, off
	global_store_short_d16_hi v[28:29], v31, off offset:256
	global_store_short_d16_hi v[28:29], v26, off offset:512
	;; [unrolled: 1-line block ×3, first 2 shown]
	v_pk_mul_f32 v[28:29], v[32:33], v[30:31]
	v_pk_mul_f32 v[26:27], v[34:35], v[26:27]
	v_mov_b32_e32 v25, 0
	v_perm_b32 v27, v27, v26, s39
	v_perm_b32 v26, v29, v28, s39
	ds_write_b64 v74, v[26:27]
	v_mov_b32_e32 v26, 0
	v_mov_b32_e32 v27, 0
	;; [unrolled: 1-line block ×8, first 2 shown]
	s_cbranch_vccnz .LBB735_14
; %bb.13:                               ;   in Loop: Header=BB735_6 Depth=1
	s_and_b32 s29, s29, 0xffff
	s_mov_b32 s31, s27
	buffer_load_dwordx4 v[30:33], v85, s[28:31], 0 offen
	buffer_load_dwordx4 v[22:25], v85, s[28:31], s58 offen
	;; [unrolled: 1-line block ×4, first 2 shown]
	v_mov_b32_e32 v101, v68
	v_mov_b32_e32 v102, v67
.LBB735_14:                             ;   in Loop: Header=BB735_6 Depth=1
	s_waitcnt lgkmcnt(0)
	s_barrier
	ds_read_b64 v[34:35], v89
	ds_read_b64 v[40:41], v90
	ds_read2st64_b64 v[36:39], v82 offset1:1
	ds_read2st64_b64 v[104:107], v82 offset0:2 offset1:3
	ds_read_b64 v[42:43], v91
	ds_read_b64 v[112:113], v92
	s_add_i32 s3, s52, s65
	s_mul_hi_i32 s25, s3, s17
	s_mul_i32 s3, s3, s17
	s_waitcnt lgkmcnt(3)
	v_mfma_f32_16x16x16_bf16 a[0:3], v[34:35], v[36:37], 0
	ds_read_b64 v[34:35], v94
	s_add_u32 s24, s3, s33
	s_addc_u32 s25, s25, s56
	s_add_i32 s3, s37, s60
	v_mfma_f32_16x16x16_bf16 a[0:3], v[40:41], v[38:39], a[0:3]
	ds_read_b64 v[40:41], v95
	s_lshl_b64 s[24:25], s[24:25], 15
	s_mul_hi_i32 s29, s3, s17
	s_mul_i32 s3, s3, s17
	s_add_u32 s28, s3, s33
	s_addc_u32 s29, s29, s56
	s_lshl_b64 s[28:29], s[28:29], 9
	s_add_u32 s28, s42, s28
	s_waitcnt lgkmcnt(1)
	v_mfma_f32_16x16x16_bf16 a[4:7], v[34:35], v[36:37], 0
	s_addc_u32 s29, s43, s29
	s_and_b64 vcc, exec, s[0:1]
	v_mfma_f32_16x16x16_bf16 a[0:3], v[42:43], v[104:105], a[0:3]
	ds_read_b64 v[42:43], v96
	ds_read_b64 v[114:115], v97
	global_load_dwordx4 v[34:37], v93, s[28:29]
	s_waitcnt lgkmcnt(2)
	v_mfma_f32_16x16x16_bf16 a[4:7], v[40:41], v[38:39], a[4:7]
	global_load_dwordx4 v[38:41], v88, s[28:29]
	ds_read_b64 v[108:109], v83
	ds_read_b64 v[110:111], v84
	s_waitcnt lgkmcnt(3)
	v_mfma_f32_16x16x16_bf16 a[8:11], v[42:43], v[104:105], a[4:7]
	v_lshl_add_u64 v[42:43], v[54:55], 0, s[24:25]
	s_waitcnt lgkmcnt(0)
	global_store_dwordx4 v[42:43], v[108:111], off
	v_mfma_f32_16x16x16_bf16 a[4:7], v[112:113], v[106:107], a[0:3]
	s_waitcnt vmcnt(2)
	v_mov_b32_e32 v44, v37
	v_mfma_f32_16x16x16_bf16 a[0:3], v[114:115], v[106:107], a[8:11]
	v_mov_b32_e32 v43, v36
	v_mov_b32_e32 v42, v35
	s_cbranch_vccnz .LBB735_16
; %bb.15:                               ;   in Loop: Header=BB735_6 Depth=1
	v_lshrrev_b32_e32 v35, 3, v101
	v_and_b32_e32 v35, 6, v35
	v_xor_b32_e32 v36, v35, v102
	v_lshlrev_b32_e32 v36, 2, v36
	v_and_b32_e32 v37, 8, v101
	v_xor_b32_e32 v101, 0x440, v36
	v_cmp_eq_u32_e32 vcc, 0, v37
	v_perm_b32 v37, v22, v18, s61
	s_nop 0
	v_cndmask_b32_e32 v36, v101, v36, vcc
	v_lshl_or_b32 v35, v35, 10, v36
	v_perm_b32 v36, v30, v26, s61
	s_barrier
	ds_write2st64_b32 v35, v36, v37 offset1:32
	v_xor_b32_e32 v36, 8, v35
	v_perm_b32 v26, v30, v26, s62
	v_perm_b32 v18, v22, v18, s62
	v_add_u32_e32 v22, 0x80, v36
	ds_write2st64_b32 v22, v26, v18 offset1:32
	v_xor_b32_e32 v18, 16, v35
	v_perm_b32 v22, v31, v27, s61
	v_perm_b32 v26, v23, v19, s61
	ds_write2st64_b32 v18, v22, v26 offset0:1 offset1:33
	v_xor_b32_e32 v18, 24, v35
	v_perm_b32 v22, v31, v27, s62
	v_perm_b32 v19, v23, v19, s62
	v_add_u32_e32 v18, 0x80, v18
	ds_write2st64_b32 v18, v22, v19 offset0:1 offset1:33
	v_xor_b32_e32 v18, 32, v35
	v_perm_b32 v19, v32, v28, s61
	v_perm_b32 v22, v24, v20, s61
	ds_write2st64_b32 v18, v19, v22 offset0:2 offset1:34
	v_xor_b32_e32 v18, 40, v35
	v_perm_b32 v19, v32, v28, s62
	v_perm_b32 v20, v24, v20, s62
	v_add_u32_e32 v18, 0x80, v18
	ds_write2st64_b32 v18, v19, v20 offset0:2 offset1:34
	;; [unrolled: 9-line block ×3, first 2 shown]
	ds_write_b64 v100, v[14:15] offset:16384
	v_xor_b32_e32 v14, 8, v100
	ds_write_b64 v14, v[16:17] offset:16384
	ds_write_b64 v100, v[10:11] offset:24576
	ds_write_b64 v14, v[12:13] offset:24576
	ds_write_b64 v99, v[6:7] offset:16384
	v_xor_b32_e32 v6, 8, v99
	ds_write_b64 v6, v[8:9] offset:16384
	ds_write_b64 v99, v[2:3] offset:24576
	;; [unrolled: 1-line block ×3, first 2 shown]
.LBB735_16:                             ;   in Loop: Header=BB735_6 Depth=1
	v_mul_f32_e32 v6, s2, v98
	v_exp_f32_e32 v10, v6
	s_waitcnt vmcnt(1)
	v_mul_f32_e32 v6, 0x3fb8aa3b, v38
	v_exp_f32_e32 v12, v6
	v_mul_f32_e32 v6, 0x3fb8aa3b, v39
	v_exp_f32_e32 v13, v6
	;; [unrolled: 2-line block ×4, first 2 shown]
	v_accvgpr_read_b32 v2, a4
	v_accvgpr_read_b32 v3, a5
	v_pk_mul_f32 v[12:13], v[10:11], v[12:13] op_sel_hi:[0,1]
	v_pk_fma_f32 v[46:47], v[46:47], v[12:13], v[2:3]
	v_pk_mul_f32 v[2:3], v[10:11], v[14:15] op_sel_hi:[0,1]
	v_mul_f32_e32 v11, 0x3fb8aa3b, v34
	v_exp_f32_e32 v12, v11
	v_mul_f32_e32 v11, 0x3fb8aa3b, v42
	v_exp_f32_e32 v13, v11
	v_mul_f32_e32 v11, 0x3fb8aa3b, v43
	v_exp_f32_e32 v14, v11
	v_mul_f32_e32 v11, 0x3fb8aa3b, v44
	v_exp_f32_e32 v15, v11
	v_accvgpr_read_b32 v4, a6
	v_accvgpr_read_b32 v5, a7
	;; [unrolled: 1-line block ×5, first 2 shown]
	v_pk_fma_f32 v[52:53], v[52:53], v[2:3], v[4:5]
	v_pk_mul_f32 v[2:3], v[10:11], v[12:13] op_sel_hi:[0,1]
	v_accvgpr_read_b32 v8, a2
	v_pk_fma_f32 v[50:51], v[50:51], v[2:3], v[6:7]
	v_pk_mul_f32 v[2:3], v[10:11], v[14:15] op_sel_hi:[0,1]
	s_add_i32 s60, s60, 64
	s_cmp_eq_u32 s49, s64
	v_pk_fma_f32 v[48:49], v[48:49], v[2:3], v[8:9]
	s_cbranch_scc1 .LBB735_18
; %bb.17:                               ;   in Loop: Header=BB735_6 Depth=1
	s_mov_b32 s65, s64
	s_branch .LBB735_6
.LBB735_18:
	s_lshl_b32 s42, s49, 6
	s_sub_i32 s43, s16, s42
	s_cmp_gt_i32 s43, 0
	s_cbranch_scc0 .LBB735_75
; %bb.19:
	s_ashr_i32 s39, s50, 31
	s_ashr_i32 s2, s42, 31
	s_cmpk_lg_i32 s19, 0x80
	s_cselect_b64 s[30:31], -1, 0
	s_and_b64 vcc, exec, s[30:31]
	s_cbranch_vccz .LBB735_21
; %bb.20:
	s_mul_i32 s1, s50, s16
	s_mul_hi_i32 s0, s50, s16
	s_add_u32 s1, s1, s42
	s_addc_u32 s0, s0, s2
	s_mul_i32 s3, s1, s51
	s_mul_hi_u32 s24, s1, s18
	s_add_i32 s3, s24, s3
	s_mul_i32 s0, s0, s18
	s_add_i32 s3, s3, s0
	s_mul_i32 s1, s1, s18
	s_ashr_i32 s0, s54, 31
	s_add_u32 s40, s1, s54
	s_addc_u32 s41, s3, s0
	s_cbranch_execz .LBB735_22
	s_branch .LBB735_23
.LBB735_21:
                                        ; implicit-def: $sgpr40_sgpr41
.LBB735_22:
	s_mul_hi_i32 s0, s50, s18
	s_mul_i32 s50, s50, s18
	s_ashr_i32 s1, s54, 31
	s_add_u32 s3, s50, s54
	s_addc_u32 s0, s0, s1
	s_mul_i32 s1, s3, s48
	s_mul_hi_u32 s18, s3, s16
	s_add_i32 s1, s18, s1
	s_mul_i32 s0, s0, s16
	s_add_i32 s1, s1, s0
	s_mul_i32 s3, s3, s16
	s_add_u32 s40, s3, s42
	s_addc_u32 s41, s1, s2
.LBB735_23:
	s_add_i32 s3, s52, s49
	s_ashr_i32 s18, s33, 31
	s_add_u32 s0, s47, s33
	s_addc_u32 s1, s53, s18
	s_mul_i32 s24, s0, s48
	s_mul_hi_u32 s25, s0, s16
	s_add_i32 s24, s25, s24
	s_mul_i32 s1, s1, s16
	s_add_i32 s24, s24, s1
	s_mul_i32 s0, s0, s16
	s_add_u32 s0, s0, s42
	s_addc_u32 s1, s24, s2
	s_mov_b32 s2, 0x7060302
	v_lshlrev_b32_e32 v6, 3, v1
	s_lshl_b64 s[28:29], s[0:1], 8
	v_perm_b32 v3, v53, v52, s2
	v_perm_b32 v2, v47, v46, s2
	v_perm_b32 v5, v49, v48, s2
	v_perm_b32 v4, v51, v50, s2
	v_lshlrev_b32_e32 v34, 2, v1
	v_lshl_or_b32 v6, v65, 5, v6
	s_add_u32 s0, s6, s28
	ds_write2st64_b64 v6, v[2:3], v[4:5] offset0:72 offset1:76
	v_xor_b32_e32 v6, v65, v34
	v_lshlrev_b32_e32 v7, 8, v1
	s_addc_u32 s1, s7, s29
	v_lshl_or_b32 v6, v6, 1, v7
	s_mul_hi_i32 s6, s3, s17
	s_mul_i32 s3, s3, s17
	ds_write_b64 v6, v[2:3] offset:32768
	v_xor_b32_e32 v2, v66, v34
	s_add_u32 s2, s3, s33
	v_lshl_or_b32 v2, v2, 1, v7
	s_addc_u32 s3, s6, s18
	v_lshlrev_b32_e32 v3, 1, v1
	ds_write_b64 v2, v[4:5] offset:32768
	v_lshrrev_b32_e32 v2, 4, v0
	s_ashr_i32 s37, s36, 31
	s_lshl_b64 s[2:3], s[2:3], 15
	v_or_b32_e32 v4, 1, v3
	s_add_u32 s6, s12, s2
	v_xor_b32_e32 v3, v2, v3
	v_xor_b32_e32 v4, v4, v2
	v_lshlrev_b32_e32 v6, 8, v2
	s_addc_u32 s7, s13, s3
	s_lshl_b64 s[2:3], s[36:37], 8
	v_lshl_or_b32 v2, v3, 3, v6
	v_lshl_or_b32 v4, v4, 3, v6
	s_waitcnt lgkmcnt(0)
	s_barrier
	s_add_u32 s2, s6, s2
	ds_read_b64 v[2:3], v2 offset:32768
	ds_read_b64 v[4:5], v4 offset:32768
	s_addc_u32 s3, s7, s3
	v_mov_b32_e32 v7, 0
	s_cmp_lg_u32 s43, 64
	v_lshl_add_u64 v[8:9], s[2:3], 0, v[6:7]
	v_lshlrev_b32_e32 v6, 4, v1
	s_cselect_b64 s[6:7], -1, 0
	v_lshl_or_b32 v35, v61, 3, v64
	s_mov_b32 s24, 0
	v_lshl_add_u64 v[6:7], v[8:9], 0, v[6:7]
	v_or_b32_e32 v19, 32, v35
	v_and_b32_e32 v18, 56, v63
	s_and_b64 vcc, exec, s[6:7]
	s_waitcnt lgkmcnt(0)
	global_store_dwordx4 v[6:7], v[2:5], off
	s_cbranch_vccz .LBB735_29
; %bb.24:
	s_mov_b32 s25, s24
	s_mov_b32 s26, s24
	;; [unrolled: 1-line block ×3, first 2 shown]
	v_mov_b64_e32 v[6:7], s[24:25]
	v_mov_b64_e32 v[8:9], s[26:27]
	;; [unrolled: 1-line block ×3, first 2 shown]
	v_cmp_gt_i32_e32 vcc, s43, v35
	v_mov_b64_e32 v[4:5], v[8:9]
	s_and_saveexec_b64 s[2:3], vcc
	s_cbranch_execz .LBB735_26
; %bb.25:
	v_lshlrev_b32_e32 v2, 8, v35
	v_mov_b32_e32 v3, 0
	v_lshl_add_u64 v[4:5], s[0:1], 0, v[2:3]
	v_lshlrev_b32_e32 v2, 1, v18
	v_lshl_add_u64 v[10:11], v[4:5], 0, v[2:3]
	global_load_dwordx4 v[6:9], v[10:11], off
	global_load_dwordx4 v[2:5], v[10:11], off offset:128
.LBB735_26:
	s_or_b64 exec, exec, s[2:3]
	s_mov_b32 s25, s24
	s_mov_b32 s26, s24
	;; [unrolled: 1-line block ×3, first 2 shown]
	v_mov_b64_e32 v[14:15], s[24:25]
	v_mov_b64_e32 v[16:17], s[26:27]
	;; [unrolled: 1-line block ×3, first 2 shown]
	v_cmp_gt_i32_e32 vcc, s43, v19
	v_lshlrev_b32_e32 v20, 7, v19
	v_mov_b64_e32 v[12:13], v[16:17]
	s_and_saveexec_b64 s[2:3], vcc
	s_cbranch_execz .LBB735_28
; %bb.27:
	v_lshlrev_b32_e32 v10, 1, v20
	v_mov_b32_e32 v11, 0
	v_lshl_add_u64 v[12:13], s[0:1], 0, v[10:11]
	v_lshlrev_b32_e32 v10, 1, v18
	v_lshl_add_u64 v[22:23], v[12:13], 0, v[10:11]
	global_load_dwordx4 v[14:17], v[22:23], off
	global_load_dwordx4 v[10:13], v[22:23], off offset:128
.LBB735_28:
	s_or_b64 exec, exec, s[2:3]
	v_lshrrev_b32_e32 v21, 3, v18
	v_lshlrev_b32_e32 v22, 3, v35
	v_or_b32_e32 v21, v22, v21
	v_lshlrev_b32_e32 v21, 4, v21
	v_and_b32_e32 v22, 0x78, v22
	v_xor_b32_e32 v21, v21, v22
	s_branch .LBB735_31
.LBB735_29:
                                        ; implicit-def: $vgpr21
                                        ; implicit-def: $vgpr20
                                        ; implicit-def: $vgpr6_vgpr7_vgpr8_vgpr9
                                        ; implicit-def: $vgpr2_vgpr3_vgpr4_vgpr5
                                        ; implicit-def: $vgpr14_vgpr15_vgpr16_vgpr17
                                        ; implicit-def: $vgpr10_vgpr11_vgpr12_vgpr13
	s_cbranch_execz .LBB735_31
; %bb.30:
	s_waitcnt vmcnt(0)
	v_lshlrev_b32_e32 v2, 1, v18
	v_lshl_or_b32 v20, v35, 8, v2
	s_and_b32 s1, s1, 0xffff
	s_mov_b32 s3, 0x20000
	s_movk_i32 s2, 0x4000
	v_lshl_or_b32 v21, v19, 8, v2
	s_movk_i32 s12, 0x80
	buffer_load_dwordx4 v[6:9], v20, s[0:3], 0 offen
	buffer_load_dwordx4 v[2:5], v20, s[0:3], s12 offen
	;; [unrolled: 1-line block ×4, first 2 shown]
	v_lshrrev_b32_e32 v20, 3, v18
	v_lshlrev_b32_e32 v21, 3, v35
	v_or_b32_e32 v20, v21, v20
	v_lshlrev_b32_e32 v20, 4, v20
	v_and_b32_e32 v21, 0x78, v21
	v_xor_b32_e32 v21, v20, v21
	v_lshlrev_b32_e32 v20, 7, v19
.LBB735_31:
	s_lshl_b64 s[0:1], s[40:41], 8
	s_add_u32 s4, s4, s0
	s_movk_i32 s0, 0x1000
	v_and_or_b32 v19, v20, s0, v21
	s_waitcnt vmcnt(1)
	ds_write_b64 v21, v[6:7] offset:16384
	v_xor_b32_e32 v6, 8, v21
	ds_write_b64 v6, v[8:9] offset:16384
	s_waitcnt vmcnt(0)
	ds_write_b64 v21, v[2:3] offset:24576
	ds_write_b64 v6, v[4:5] offset:24576
	;; [unrolled: 1-line block ×3, first 2 shown]
	v_xor_b32_e32 v2, 8, v19
	ds_write_b64 v2, v[16:17] offset:16384
	ds_write_b64 v19, v[10:11] offset:24576
	;; [unrolled: 1-line block ×3, first 2 shown]
	v_or_b32_e32 v2, v45, v1
	s_addc_u32 s5, s5, s1
	s_add_i32 s2, s16, -1
	v_lshlrev_b32_e32 v2, 3, v2
	v_lshrrev_b32_e32 v4, 5, v60
	s_movk_i32 s16, 0xf8
	v_and_or_b32 v4, v2, s16, v4
	v_lshlrev_b32_e32 v3, 11, v61
	v_lshlrev_b32_e32 v12, 4, v4
	v_and_b32_e32 v13, 0x78, v2
	v_and_b32_e32 v14, 0x1000, v3
	v_lshlrev_b32_e32 v3, 2, v0
	v_xor_b32_e32 v2, v12, v13
	v_lshrrev_b32_e32 v4, 1, v60
	v_and_b32_e32 v3, 60, v3
	v_or_b32_e32 v2, v2, v14
	v_and_b32_e32 v15, 8, v4
	v_xor_b32_e32 v26, v2, v15
	v_lshl_or_b32 v2, v62, 6, v3
	v_lshlrev_b32_e32 v19, 1, v2
	v_or_b32_e32 v2, 32, v12
	v_xor_b32_e32 v2, v2, v13
	s_waitcnt lgkmcnt(0)
	s_barrier
	ds_read_b64 v[10:11], v26 offset:16384
	v_or_b32_e32 v2, v2, v14
	v_xor_b32_e32 v27, v2, v15
	v_or_b32_e32 v2, 64, v12
	v_xor_b32_e32 v2, v2, v13
	v_or_b32_e32 v2, v2, v14
	v_or_b32_e32 v12, 0x60, v12
	v_xor_b32_e32 v28, v2, v15
	ds_read2st64_b64 v[2:5], v19 offset0:72 offset1:73
	ds_read2st64_b64 v[6:9], v19 offset0:74 offset1:75
	v_xor_b32_e32 v16, v12, v13
	ds_read_b64 v[12:13], v27 offset:16384
	s_waitcnt lgkmcnt(2)
	v_mfma_f32_16x16x16_bf16 a[0:3], v[10:11], v[2:3], 0
	s_add_i32 s0, s46, s21
	s_mul_i32 s39, s39, s20
	s_add_i32 s39, s0, s39
	s_mul_i32 s0, s33, s23
	s_mul_hi_u32 s1, s33, s22
	s_ashr_i32 s3, s2, 31
	s_mul_i32 s12, s2, s35
	s_mul_hi_u32 s13, s2, s34
	s_add_i32 s0, s1, s0
	s_mul_i32 s1, s18, s22
	s_add_i32 s12, s13, s12
	s_mul_i32 s3, s3, s34
	v_or_b32_e32 v14, v16, v14
	s_add_i32 s1, s0, s1
	s_add_i32 s3, s12, s3
	s_lshl_b64 s[12:13], s[38:39], 2
	v_xor_b32_e32 v36, v14, v15
	ds_read_b64 v[14:15], v28 offset:16384
	ds_read_b64 v[16:17], v36 offset:16384
	s_waitcnt lgkmcnt(2)
	v_mfma_f32_16x16x16_bf16 a[0:3], v[12:13], v[4:5], a[0:3]
	s_mul_i32 s0, s33, s22
	s_add_u32 s10, s10, s12
	s_addc_u32 s11, s11, s13
	s_lshl_b64 s[0:1], s[0:1], 2
	s_mul_i32 s2, s2, s34
	s_add_u32 s10, s10, s0
	s_addc_u32 s11, s11, s1
	s_lshl_b64 s[0:1], s[2:3], 2
	s_waitcnt lgkmcnt(1)
	v_mfma_f32_16x16x16_bf16 a[0:3], v[14:15], v[6:7], a[0:3]
	s_add_u32 s0, s10, s0
	s_addc_u32 s1, s11, s1
	s_load_dword s12, s[0:1], 0x0
	s_waitcnt lgkmcnt(0)
	v_mfma_f32_16x16x16_bf16 a[0:3], v[16:17], v[8:9], a[0:3]
	s_and_b64 vcc, exec, s[30:31]
	s_cbranch_vccz .LBB735_42
; %bb.32:
	v_lshlrev_b32_e32 v20, 1, v35
	s_and_b64 vcc, exec, s[6:7]
	s_cbranch_vccz .LBB735_43
; %bb.33:
	v_cmp_gt_i32_e32 vcc, s43, v20
	v_mov_b32_e32 v6, 0
	v_mov_b32_e32 v2, 0
	;; [unrolled: 1-line block ×5, first 2 shown]
	s_and_saveexec_b64 s[0:1], vcc
	s_cbranch_execz .LBB735_35
; %bb.34:
	v_mad_i64_i32 v[2:3], s[2:3], s19, v20, 0
	v_lshl_add_u64 v[2:3], v[2:3], 1, s[4:5]
	v_lshlrev_b32_e32 v4, 1, v18
	v_mov_b32_e32 v5, 0
	v_lshl_add_u64 v[2:3], v[2:3], 0, v[4:5]
	global_load_dwordx4 v[2:5], v[2:3], off
.LBB735_35:
	s_or_b64 exec, exec, s[0:1]
	v_or_b32_e32 v21, 1, v20
	v_cmp_gt_i32_e64 s[0:1], s43, v21
	v_mov_b32_e32 v7, 0
	v_mov_b32_e32 v8, 0
	;; [unrolled: 1-line block ×3, first 2 shown]
	s_and_saveexec_b64 s[2:3], s[0:1]
	s_cbranch_execz .LBB735_37
; %bb.36:
	v_mad_i64_i32 v[6:7], s[16:17], s19, v21, 0
	v_lshl_add_u64 v[6:7], v[6:7], 1, s[4:5]
	v_lshlrev_b32_e32 v8, 1, v18
	v_mov_b32_e32 v9, 0
	v_lshl_add_u64 v[6:7], v[6:7], 0, v[8:9]
	global_load_dwordx4 v[6:9], v[6:7], off
.LBB735_37:
	s_or_b64 exec, exec, s[2:3]
	v_mov_b32_e32 v17, 0
	v_mov_b32_e32 v10, 0
	;; [unrolled: 1-line block ×5, first 2 shown]
	s_and_saveexec_b64 s[2:3], vcc
	s_cbranch_execz .LBB735_39
; %bb.38:
	v_mad_i64_i32 v[10:11], s[16:17], s19, v20, 0
	v_lshl_add_u64 v[10:11], v[10:11], 1, s[4:5]
	v_lshlrev_b32_e32 v12, 1, v18
	v_mov_b32_e32 v13, 0
	v_lshl_add_u64 v[10:11], v[10:11], 0, v[12:13]
	global_load_dwordx4 v[10:13], v[10:11], off offset:128
.LBB735_39:
	s_or_b64 exec, exec, s[2:3]
	v_mov_b32_e32 v16, 0
	v_mov_b32_e32 v15, 0
	;; [unrolled: 1-line block ×3, first 2 shown]
	s_and_saveexec_b64 s[2:3], s[0:1]
	s_cbranch_execz .LBB735_41
; %bb.40:
	v_mad_i64_i32 v[14:15], s[0:1], s19, v21, 0
	v_lshl_add_u64 v[14:15], v[14:15], 1, s[4:5]
	v_lshlrev_b32_e32 v16, 1, v18
	v_mov_b32_e32 v17, 0
	v_lshl_add_u64 v[14:15], v[14:15], 0, v[16:17]
	global_load_dwordx4 v[14:17], v[14:15], off offset:128
.LBB735_41:
	s_or_b64 exec, exec, s[2:3]
	s_branch .LBB735_45
.LBB735_42:
                                        ; implicit-def: $vgpr5
                                        ; implicit-def: $vgpr9
                                        ; implicit-def: $vgpr13
                                        ; implicit-def: $vgpr17
	v_lshrrev_b32_e32 v37, 2, v60
	s_branch .LBB735_46
.LBB735_43:
                                        ; implicit-def: $vgpr5
                                        ; implicit-def: $vgpr9
                                        ; implicit-def: $vgpr13
                                        ; implicit-def: $vgpr17
	s_cbranch_execz .LBB735_45
; %bb.44:
	s_waitcnt vmcnt(0)
	v_mad_u64_u32 v[2:3], s[0:1], v20, s19, v[18:19]
	v_lshlrev_b32_e32 v20, 1, v2
	s_lshl_b32 s2, s19, 7
	s_and_b32 s1, s5, 0xffff
	s_mov_b32 s3, 0x20000
	s_mov_b32 s0, s4
	v_add_lshl_u32 v21, v2, s19, 1
	s_movk_i32 s13, 0x80
	buffer_load_dwordx4 v[2:5], v20, s[0:3], 0 offen
	buffer_load_dwordx4 v[10:13], v20, s[0:3], s13 offen
	;; [unrolled: 1-line block ×4, first 2 shown]
.LBB735_45:
	v_lshrrev_b32_e32 v37, 2, v60
	s_cbranch_execnz .LBB735_58
.LBB735_46:
	s_and_b64 vcc, exec, s[6:7]
	s_cbranch_vccz .LBB735_56
; %bb.47:
	s_waitcnt vmcnt(0)
	v_lshlrev_b32_e32 v7, 1, v35
	v_cmp_gt_i32_e32 vcc, s43, v7
	v_mov_b32_e32 v6, 0
	v_lshlrev_b32_e32 v14, 9, v35
	v_mov_b32_e32 v2, 0
	v_mov_b32_e32 v3, 0
	;; [unrolled: 1-line block ×4, first 2 shown]
	s_and_saveexec_b64 s[0:1], vcc
	s_cbranch_execz .LBB735_49
; %bb.48:
	v_mov_b32_e32 v15, 0
	v_lshl_add_u64 v[2:3], s[4:5], 0, v[14:15]
	v_lshlrev_b32_e32 v4, 1, v18
	v_mov_b32_e32 v5, v15
	v_lshl_add_u64 v[2:3], v[2:3], 0, v[4:5]
	global_load_dwordx4 v[2:5], v[2:3], off
.LBB735_49:
	s_or_b64 exec, exec, s[0:1]
	v_or_b32_e32 v7, 1, v7
	v_cmp_gt_i32_e64 s[0:1], s43, v7
	v_lshlrev_b32_e32 v20, 8, v7
	v_mov_b32_e32 v7, 0
	v_mov_b32_e32 v8, 0
	v_mov_b32_e32 v9, 0
	s_and_saveexec_b64 s[2:3], s[0:1]
	s_cbranch_execz .LBB735_51
; %bb.50:
	v_mov_b32_e32 v21, 0
	v_lshl_add_u64 v[6:7], s[4:5], 0, v[20:21]
	v_lshlrev_b32_e32 v8, 1, v18
	v_mov_b32_e32 v9, v21
	v_lshl_add_u64 v[6:7], v[6:7], 0, v[8:9]
	global_load_dwordx4 v[6:9], v[6:7], off
.LBB735_51:
	s_or_b64 exec, exec, s[2:3]
	v_mov_b32_e32 v17, 0
	v_mov_b32_e32 v10, 0
	;; [unrolled: 1-line block ×5, first 2 shown]
	s_and_saveexec_b64 s[2:3], vcc
	s_cbranch_execz .LBB735_53
; %bb.52:
	v_mov_b32_e32 v15, 0
	v_lshl_add_u64 v[10:11], s[4:5], 0, v[14:15]
	v_lshlrev_b32_e32 v14, 1, v18
	v_lshl_add_u64 v[10:11], v[10:11], 0, v[14:15]
	global_load_dwordx4 v[10:13], v[10:11], off offset:128
.LBB735_53:
	s_or_b64 exec, exec, s[2:3]
	v_mov_b32_e32 v16, 0
	v_mov_b32_e32 v15, 0
	;; [unrolled: 1-line block ×3, first 2 shown]
	s_and_saveexec_b64 s[2:3], s[0:1]
	s_cbranch_execz .LBB735_55
; %bb.54:
	v_mov_b32_e32 v21, 0
	v_lshl_add_u64 v[14:15], s[4:5], 0, v[20:21]
	v_lshlrev_b32_e32 v20, 1, v18
	v_lshl_add_u64 v[14:15], v[14:15], 0, v[20:21]
	global_load_dwordx4 v[14:17], v[14:15], off offset:128
.LBB735_55:
	s_or_b64 exec, exec, s[2:3]
	s_branch .LBB735_58
.LBB735_56:
                                        ; implicit-def: $vgpr5
                                        ; implicit-def: $vgpr9
                                        ; implicit-def: $vgpr13
                                        ; implicit-def: $vgpr17
	s_cbranch_execz .LBB735_58
; %bb.57:
	s_waitcnt vmcnt(0)
	v_lshlrev_b32_e32 v2, 1, v18
	v_lshl_or_b32 v18, v35, 9, v2
	s_and_b32 s5, s5, 0xffff
	s_mov_b32 s7, 0x20000
	s_movk_i32 s6, 0x4000
	s_movk_i32 s0, 0x80
	buffer_load_dwordx4 v[2:5], v18, s[4:7], 0 offen
	buffer_load_dwordx4 v[6:9], v18, s[4:7], 0 offen offset:256
	buffer_load_dwordx4 v[10:13], v18, s[4:7], s0 offen
	buffer_load_dwordx4 v[14:17], v18, s[4:7], s0 offen offset:256
.LBB735_58:
	ds_read2st64_b64 v[22:25], v19 offset0:76 offset1:77
	ds_read2st64_b64 v[18:21], v19 offset0:78 offset1:79
	ds_read_b64 v[32:33], v26 offset:24576
	ds_read_b64 v[30:31], v27 offset:24576
	;; [unrolled: 1-line block ×4, first 2 shown]
	v_and_b32_e32 v36, 6, v0
	v_xor_b32_e32 v35, v35, v36
	v_lshlrev_b32_e32 v35, 2, v35
	v_and_b32_e32 v0, 1, v0
	v_xor_b32_e32 v38, 0x440, v35
	v_cmp_eq_u32_e32 vcc, 0, v0
	s_mov_b32 s0, 0x1000504
	s_mov_b32 s1, 0x3020706
	v_cndmask_b32_e32 v0, v38, v35, vcc
	v_lshl_or_b32 v0, v36, 10, v0
	s_waitcnt vmcnt(0)
	v_perm_b32 v35, v2, v6, s0
	v_perm_b32 v36, v10, v14, s0
	ds_write2st64_b32 v0, v35, v36 offset1:32
	v_xor_b32_e32 v35, 8, v0
	v_perm_b32 v2, v2, v6, s1
	v_perm_b32 v6, v10, v14, s1
	v_add_u32_e32 v10, 0x80, v35
	ds_write2st64_b32 v10, v2, v6 offset1:32
	v_xor_b32_e32 v2, 16, v0
	v_perm_b32 v6, v3, v7, s0
	v_perm_b32 v10, v11, v15, s0
	ds_write2st64_b32 v2, v6, v10 offset0:1 offset1:33
	v_xor_b32_e32 v2, 24, v0
	v_perm_b32 v3, v3, v7, s1
	v_perm_b32 v6, v11, v15, s1
	v_add_u32_e32 v2, 0x80, v2
	ds_write2st64_b32 v2, v3, v6 offset0:1 offset1:33
	v_xor_b32_e32 v2, 32, v0
	v_perm_b32 v3, v4, v8, s0
	v_perm_b32 v6, v12, v16, s0
	ds_write2st64_b32 v2, v3, v6 offset0:2 offset1:34
	v_xor_b32_e32 v2, 40, v0
	v_perm_b32 v3, v4, v8, s1
	v_perm_b32 v4, v12, v16, s1
	v_add_u32_e32 v2, 0x80, v2
	ds_write2st64_b32 v2, v3, v4 offset0:2 offset1:34
	v_xor_b32_e32 v2, 48, v0
	v_perm_b32 v3, v5, v9, s0
	v_perm_b32 v4, v13, v17, s0
	v_xor_b32_e32 v0, 56, v0
	v_and_or_b32 v8, v37, 12, v45
	ds_write2st64_b32 v2, v3, v4 offset0:3 offset1:35
	v_perm_b32 v2, v5, v9, s1
	v_perm_b32 v3, v13, v17, s1
	v_add_u32_e32 v0, 0x80, v0
	v_cmp_gt_i32_e32 vcc, s43, v8
	v_mov_b32_e32 v9, 0
	v_mov_b32_e32 v14, 0
	ds_write2st64_b32 v0, v2, v3 offset0:3 offset1:35
	s_and_saveexec_b64 s[0:1], vcc
	s_cbranch_execz .LBB735_60
; %bb.59:
	v_add_u32_e32 v0, s42, v8
	v_ashrrev_i32_e32 v2, 31, v0
	v_mul_lo_u32 v4, v2, s34
	v_mul_lo_u32 v5, v0, s35
	v_mad_u64_u32 v[2:3], s[2:3], v0, s34, 0
	v_add3_u32 v3, v3, v5, v4
	v_lshl_add_u64 v[2:3], v[2:3], 2, s[10:11]
	global_load_dword v0, v[2:3], off
	s_waitcnt vmcnt(0)
	v_sub_f32_e32 v0, s12, v0
	v_mul_f32_e32 v0, 0x3fb8aa3b, v0
	v_exp_f32_e32 v14, v0
.LBB735_60:
	s_or_b64 exec, exec, s[0:1]
	v_or_b32_e32 v12, 1, v8
	v_cmp_gt_i32_e64 s[2:3], s43, v12
	s_and_saveexec_b64 s[0:1], s[2:3]
	s_cbranch_execz .LBB735_62
; %bb.61:
	v_add_u32_e32 v0, s42, v12
	v_ashrrev_i32_e32 v2, 31, v0
	v_mul_lo_u32 v4, v2, s34
	v_mul_lo_u32 v5, v0, s35
	v_mad_u64_u32 v[2:3], s[4:5], v0, s34, 0
	v_add3_u32 v3, v3, v5, v4
	v_lshl_add_u64 v[2:3], v[2:3], 2, s[10:11]
	global_load_dword v0, v[2:3], off
	s_waitcnt vmcnt(0)
	v_sub_f32_e32 v0, s12, v0
	v_mul_f32_e32 v0, 0x3fb8aa3b, v0
	v_exp_f32_e32 v9, v0
.LBB735_62:
	s_or_b64 exec, exec, s[0:1]
	v_or_b32_e32 v11, 2, v8
	v_cmp_gt_i32_e64 s[0:1], s43, v11
	v_mov_b32_e32 v10, 0
	v_mov_b32_e32 v15, 0
	s_and_saveexec_b64 s[4:5], s[0:1]
	s_cbranch_execz .LBB735_64
; %bb.63:
	v_add_u32_e32 v0, s42, v11
	v_ashrrev_i32_e32 v2, 31, v0
	v_mul_lo_u32 v4, v2, s34
	v_mul_lo_u32 v5, v0, s35
	v_mad_u64_u32 v[2:3], s[6:7], v0, s34, 0
	v_add3_u32 v3, v3, v5, v4
	v_lshl_add_u64 v[2:3], v[2:3], 2, s[10:11]
	global_load_dword v0, v[2:3], off
	s_waitcnt vmcnt(0)
	v_sub_f32_e32 v0, s12, v0
	v_mul_f32_e32 v0, 0x3fb8aa3b, v0
	v_exp_f32_e32 v15, v0
.LBB735_64:
	s_or_b64 exec, exec, s[4:5]
	v_or_b32_e32 v13, 3, v8
	v_cmp_gt_i32_e64 s[4:5], s43, v13
	s_and_saveexec_b64 s[6:7], s[4:5]
	s_cbranch_execz .LBB735_66
; %bb.65:
	v_add_u32_e32 v0, s42, v13
	v_ashrrev_i32_e32 v2, 31, v0
	v_mul_lo_u32 v4, v2, s34
	v_mul_lo_u32 v5, v0, s35
	v_mad_u64_u32 v[2:3], s[16:17], v0, s34, 0
	v_add3_u32 v3, v3, v5, v4
	v_lshl_add_u64 v[2:3], v[2:3], 2, s[10:11]
	global_load_dword v0, v[2:3], off
	s_waitcnt vmcnt(0)
	v_sub_f32_e32 v0, s12, v0
	v_mul_f32_e32 v0, 0x3fb8aa3b, v0
	v_exp_f32_e32 v10, v0
.LBB735_66:
	s_or_b64 exec, exec, s[6:7]
	s_waitcnt lgkmcnt(11)
	v_mfma_f32_16x16x16_bf16 a[0:3], v[32:33], v[22:23], a[0:3]
	v_or_b32_e32 v0, s36, v1
	s_add_u32 s6, s8, s28
	v_ashrrev_i32_e32 v1, 31, v0
	s_waitcnt lgkmcnt(10)
	v_mfma_f32_16x16x16_bf16 a[0:3], v[30:31], v[24:25], a[0:3]
	s_addc_u32 s7, s9, s29
	v_lshlrev_b64 v[0:1], 1, v[0:1]
	v_lshl_add_u64 v[4:5], s[6:7], 0, v[0:1]
	s_waitcnt lgkmcnt(9)
	v_mfma_f32_16x16x16_bf16 a[0:3], v[28:29], v[18:19], a[0:3]
	s_add_u32 s6, s14, s28
	s_addc_u32 s7, s15, s29
	v_lshl_add_u64 v[6:7], s[6:7], 0, v[0:1]
	s_waitcnt lgkmcnt(8)
	v_mfma_f32_16x16x16_bf16 a[0:3], v[26:27], v[20:21], a[0:3]
	v_mov_b32_e32 v16, 0
	v_mov_b32_e32 v17, 0
	s_nop 4
	v_accvgpr_read_b32 v0, a0
	v_accvgpr_read_b32 v1, a1
	;; [unrolled: 1-line block ×4, first 2 shown]
	s_and_saveexec_b64 s[6:7], vcc
	s_cbranch_execz .LBB735_68
; %bb.67:
	v_lshlrev_b32_e32 v18, 8, v8
	v_mov_b32_e32 v19, 0
	v_lshl_add_u64 v[20:21], v[4:5], 0, v[18:19]
	global_load_ushort v17, v[20:21], off
	v_lshl_add_u64 v[18:19], v[6:7], 0, v[18:19]
	s_waitcnt vmcnt(0)
	v_lshlrev_b32_e32 v17, 16, v17
	v_sub_f32_e32 v0, v17, v0
	global_store_short_d16_hi v[18:19], v0, off
	v_mul_f32_e32 v0, v14, v0
	v_lshrrev_b32_e32 v17, 16, v0
.LBB735_68:
	s_or_b64 exec, exec, s[6:7]
	s_and_saveexec_b64 s[6:7], s[2:3]
	s_cbranch_execz .LBB735_70
; %bb.69:
	v_lshlrev_b32_e32 v18, 8, v12
	v_mov_b32_e32 v19, 0
	v_lshl_add_u64 v[20:21], v[4:5], 0, v[18:19]
	global_load_ushort v0, v[20:21], off
	v_lshl_add_u64 v[18:19], v[6:7], 0, v[18:19]
	s_waitcnt vmcnt(0)
	v_lshlrev_b32_e32 v0, 16, v0
	v_sub_f32_e32 v0, v0, v1
	global_store_short_d16_hi v[18:19], v0, off
	v_mul_f32_e32 v0, v9, v0
	v_lshrrev_b32_e32 v16, 16, v0
.LBB735_70:
	s_or_b64 exec, exec, s[6:7]
	v_mov_b32_e32 v0, 0
	v_mov_b32_e32 v1, 0
	s_and_saveexec_b64 s[2:3], s[0:1]
	s_cbranch_execz .LBB735_72
; %bb.71:
	v_lshlrev_b32_e32 v18, 8, v11
	v_mov_b32_e32 v19, 0
	v_lshl_add_u64 v[20:21], v[4:5], 0, v[18:19]
	global_load_ushort v1, v[20:21], off
	v_lshl_add_u64 v[18:19], v[6:7], 0, v[18:19]
	s_waitcnt vmcnt(0)
	v_lshlrev_b32_e32 v1, 16, v1
	v_sub_f32_e32 v1, v1, v2
	global_store_short_d16_hi v[18:19], v1, off
	v_mul_f32_e32 v1, v15, v1
	v_lshrrev_b32_e32 v1, 16, v1
.LBB735_72:
	s_or_b64 exec, exec, s[2:3]
	s_and_saveexec_b64 s[0:1], s[4:5]
	s_cbranch_execz .LBB735_74
; %bb.73:
	v_lshlrev_b32_e32 v12, 8, v13
	v_mov_b32_e32 v13, 0
	v_lshl_add_u64 v[4:5], v[4:5], 0, v[12:13]
	global_load_ushort v0, v[4:5], off
	v_lshl_add_u64 v[4:5], v[6:7], 0, v[12:13]
	s_waitcnt vmcnt(0)
	v_lshlrev_b32_e32 v0, 16, v0
	v_sub_f32_e32 v0, v0, v3
	global_store_short_d16_hi v[4:5], v0, off
	v_mul_f32_e32 v0, v10, v0
	v_lshrrev_b32_e32 v0, 16, v0
.LBB735_74:
	s_or_b64 exec, exec, s[0:1]
	s_mov_b32 s0, 0x5040100
	v_lshlrev_b32_e32 v2, 1, v34
	v_perm_b32 v1, v0, v1, s0
	v_perm_b32 v0, v16, v17, s0
	v_lshl_or_b32 v2, v8, 5, v2
	ds_write_b64 v2, v[0:1] offset:38912
	s_waitcnt lgkmcnt(0)
	s_barrier
.LBB735_75:
	s_endpgm
	.section	.rodata,"a",@progbits
	.p2align	6, 0x0
	.amdhsa_kernel _ZN12_GLOBAL__N_139chunk_gated_delta_rule_fwd_h_hip_kernelILi16ELb0ELb0ELb1ELb0ELb0ELb1ELb0ELb0EEEvPK12hip_bfloat16S3_S3_PKfS5_PKvPS1_S8_PvPKiSB_iiiiilll
		.amdhsa_group_segment_fixed_size 40960
		.amdhsa_private_segment_fixed_size 0
		.amdhsa_kernarg_size 136
		.amdhsa_user_sgpr_count 2
		.amdhsa_user_sgpr_dispatch_ptr 0
		.amdhsa_user_sgpr_queue_ptr 0
		.amdhsa_user_sgpr_kernarg_segment_ptr 1
		.amdhsa_user_sgpr_dispatch_id 0
		.amdhsa_user_sgpr_kernarg_preload_length 0
		.amdhsa_user_sgpr_kernarg_preload_offset 0
		.amdhsa_user_sgpr_private_segment_size 0
		.amdhsa_uses_dynamic_stack 0
		.amdhsa_enable_private_segment 0
		.amdhsa_system_sgpr_workgroup_id_x 1
		.amdhsa_system_sgpr_workgroup_id_y 1
		.amdhsa_system_sgpr_workgroup_id_z 0
		.amdhsa_system_sgpr_workgroup_info 0
		.amdhsa_system_vgpr_workitem_id 0
		.amdhsa_next_free_vgpr 128
		.amdhsa_next_free_sgpr 68
		.amdhsa_accum_offset 116
		.amdhsa_reserve_vcc 1
		.amdhsa_float_round_mode_32 0
		.amdhsa_float_round_mode_16_64 0
		.amdhsa_float_denorm_mode_32 3
		.amdhsa_float_denorm_mode_16_64 3
		.amdhsa_dx10_clamp 1
		.amdhsa_ieee_mode 1
		.amdhsa_fp16_overflow 0
		.amdhsa_tg_split 0
		.amdhsa_exception_fp_ieee_invalid_op 0
		.amdhsa_exception_fp_denorm_src 0
		.amdhsa_exception_fp_ieee_div_zero 0
		.amdhsa_exception_fp_ieee_overflow 0
		.amdhsa_exception_fp_ieee_underflow 0
		.amdhsa_exception_fp_ieee_inexact 0
		.amdhsa_exception_int_div_zero 0
	.end_amdhsa_kernel
	.section	.text._ZN12_GLOBAL__N_139chunk_gated_delta_rule_fwd_h_hip_kernelILi16ELb0ELb0ELb1ELb0ELb0ELb1ELb0ELb0EEEvPK12hip_bfloat16S3_S3_PKfS5_PKvPS1_S8_PvPKiSB_iiiiilll,"axG",@progbits,_ZN12_GLOBAL__N_139chunk_gated_delta_rule_fwd_h_hip_kernelILi16ELb0ELb0ELb1ELb0ELb0ELb1ELb0ELb0EEEvPK12hip_bfloat16S3_S3_PKfS5_PKvPS1_S8_PvPKiSB_iiiiilll,comdat
.Lfunc_end735:
	.size	_ZN12_GLOBAL__N_139chunk_gated_delta_rule_fwd_h_hip_kernelILi16ELb0ELb0ELb1ELb0ELb0ELb1ELb0ELb0EEEvPK12hip_bfloat16S3_S3_PKfS5_PKvPS1_S8_PvPKiSB_iiiiilll, .Lfunc_end735-_ZN12_GLOBAL__N_139chunk_gated_delta_rule_fwd_h_hip_kernelILi16ELb0ELb0ELb1ELb0ELb0ELb1ELb0ELb0EEEvPK12hip_bfloat16S3_S3_PKfS5_PKvPS1_S8_PvPKiSB_iiiiilll
                                        ; -- End function
	.section	.AMDGPU.csdata,"",@progbits
; Kernel info:
; codeLenInByte = 7608
; NumSgprs: 74
; NumVgprs: 116
; NumAgprs: 12
; TotalNumVgprs: 128
; ScratchSize: 0
; MemoryBound: 0
; FloatMode: 240
; IeeeMode: 1
; LDSByteSize: 40960 bytes/workgroup (compile time only)
; SGPRBlocks: 9
; VGPRBlocks: 15
; NumSGPRsForWavesPerEU: 74
; NumVGPRsForWavesPerEU: 128
; AccumOffset: 116
; Occupancy: 1
; WaveLimiterHint : 1
; COMPUTE_PGM_RSRC2:SCRATCH_EN: 0
; COMPUTE_PGM_RSRC2:USER_SGPR: 2
; COMPUTE_PGM_RSRC2:TRAP_HANDLER: 0
; COMPUTE_PGM_RSRC2:TGID_X_EN: 1
; COMPUTE_PGM_RSRC2:TGID_Y_EN: 1
; COMPUTE_PGM_RSRC2:TGID_Z_EN: 0
; COMPUTE_PGM_RSRC2:TIDIG_COMP_CNT: 0
; COMPUTE_PGM_RSRC3_GFX90A:ACCUM_OFFSET: 28
; COMPUTE_PGM_RSRC3_GFX90A:TG_SPLIT: 0
	.section	.text._ZN12_GLOBAL__N_139chunk_gated_delta_rule_fwd_h_hip_kernelILi16ELb0ELb0ELb0ELb0ELb0ELb1ELb0ELb0EEEvPK12hip_bfloat16S3_S3_PKfS5_PKvPS1_S8_PvPKiSB_iiiiilll,"axG",@progbits,_ZN12_GLOBAL__N_139chunk_gated_delta_rule_fwd_h_hip_kernelILi16ELb0ELb0ELb0ELb0ELb0ELb1ELb0ELb0EEEvPK12hip_bfloat16S3_S3_PKfS5_PKvPS1_S8_PvPKiSB_iiiiilll,comdat
	.globl	_ZN12_GLOBAL__N_139chunk_gated_delta_rule_fwd_h_hip_kernelILi16ELb0ELb0ELb0ELb0ELb0ELb1ELb0ELb0EEEvPK12hip_bfloat16S3_S3_PKfS5_PKvPS1_S8_PvPKiSB_iiiiilll ; -- Begin function _ZN12_GLOBAL__N_139chunk_gated_delta_rule_fwd_h_hip_kernelILi16ELb0ELb0ELb0ELb0ELb0ELb1ELb0ELb0EEEvPK12hip_bfloat16S3_S3_PKfS5_PKvPS1_S8_PvPKiSB_iiiiilll
	.p2align	8
	.type	_ZN12_GLOBAL__N_139chunk_gated_delta_rule_fwd_h_hip_kernelILi16ELb0ELb0ELb0ELb0ELb0ELb1ELb0ELb0EEEvPK12hip_bfloat16S3_S3_PKfS5_PKvPS1_S8_PvPKiSB_iiiiilll,@function
_ZN12_GLOBAL__N_139chunk_gated_delta_rule_fwd_h_hip_kernelILi16ELb0ELb0ELb0ELb0ELb0ELb1ELb0ELb0EEEvPK12hip_bfloat16S3_S3_PKfS5_PKvPS1_S8_PvPKiSB_iiiiilll: ; @_ZN12_GLOBAL__N_139chunk_gated_delta_rule_fwd_h_hip_kernelILi16ELb0ELb0ELb0ELb0ELb0ELb1ELb0ELb0EEEvPK12hip_bfloat16S3_S3_PKfS5_PKvPS1_S8_PvPKiSB_iiiiilll
; %bb.0:
	s_load_dwordx4 s[12:15], s[0:1], 0x5c
	s_load_dwordx2 s[36:37], s[0:1], 0x30
	s_abs_i32 s18, s3
	s_ashr_i32 s17, s3, 31
	s_load_dwordx8 s[4:11], s[0:1], 0x0
	s_waitcnt lgkmcnt(0)
	s_abs_i32 s16, s13
	v_cvt_f32_u32_e32 v1, s16
	s_sub_i32 s20, 0, s16
	s_ashr_i32 s19, s13, 31
	s_xor_b32 s17, s17, s19
	v_rcp_iflag_f32_e32 v1, v1
	v_lshrrev_b32_e32 v59, 6, v0
	v_bfe_u32 v60, v0, 4, 2
	v_lshlrev_b32_e32 v45, 4, v59
	v_mul_f32_e32 v1, 0x4f7ffffe, v1
	v_cvt_u32_f32_e32 v1, v1
	v_lshlrev_b32_e32 v2, 2, v60
	v_and_b32_e32 v58, 63, v0
	v_or_b32_e32 v63, v2, v45
	v_readfirstlane_b32 s21, v1
	s_mul_i32 s20, s20, s21
	s_mul_hi_u32 s20, s21, s20
	s_add_i32 s21, s21, s20
	s_mul_hi_u32 s20, s18, s21
	s_mul_i32 s21, s20, s16
	s_sub_i32 s18, s18, s21
	s_add_i32 s22, s20, 1
	s_sub_i32 s21, s18, s16
	s_cmp_ge_u32 s18, s16
	s_cselect_b32 s20, s22, s20
	s_cselect_b32 s18, s21, s18
	s_add_i32 s21, s20, 1
	s_cmp_ge_u32 s18, s16
	s_cselect_b32 s18, s21, s20
	s_abs_i32 s20, s14
	v_cvt_f32_u32_e32 v1, s20
	s_xor_b32 s18, s18, s17
	s_ashr_i32 s46, s12, 31
	s_sub_i32 s48, s18, s17
	v_rcp_iflag_f32_e32 v1, v1
	s_lshr_b32 s17, s46, 26
	s_add_i32 s17, s12, s17
	s_ashr_i32 s49, s14, 31
	v_mul_f32_e32 v1, 0x4f7ffffe, v1
	v_cvt_u32_f32_e32 v1, v1
	s_ashr_i32 s47, s17, 6
	s_xor_b32 s17, s19, s49
	s_sub_i32 s18, 0, s20
	v_readfirstlane_b32 s19, v1
	s_mul_i32 s18, s18, s19
	s_mul_hi_u32 s18, s19, s18
	s_add_i32 s19, s19, s18
	s_mul_hi_u32 s18, s16, s19
	s_mul_i32 s19, s18, s20
	s_mul_i32 s45, s48, s13
	s_sub_i32 s16, s16, s19
	s_sub_i32 s33, s3, s45
	s_add_i32 s3, s12, 63
	s_add_i32 s19, s18, 1
	s_sub_i32 s21, s16, s20
	s_cmp_ge_u32 s16, s20
	s_cselect_b32 s18, s19, s18
	s_cselect_b32 s16, s21, s16
	s_add_i32 s19, s18, 1
	s_cmp_ge_u32 s16, s20
	s_cselect_b32 s16, s19, s18
	s_xor_b32 s16, s16, s17
	s_sub_i32 s20, s16, s17
	s_abs_i32 s21, s20
	v_cvt_f32_u32_e32 v1, s21
	s_sub_i32 s23, 0, s21
	s_abs_i32 s22, s33
	s_xor_b32 s20, s33, s20
	v_rcp_iflag_f32_e32 v1, v1
	s_ashr_i32 s20, s20, 31
	s_load_dwordx2 s[28:29], s[0:1], 0x80
	s_load_dwordx4 s[16:19], s[0:1], 0x70
	v_mov_b32_e32 v49, 0
	v_mul_f32_e32 v1, 0x4f7ffffe, v1
	v_cvt_u32_f32_e32 v1, v1
	v_or_b32_e32 v64, 64, v63
	s_mul_hi_i32 s51, s48, s13
	v_lshrrev_b32_e32 v62, 3, v58
	v_readfirstlane_b32 s24, v1
	s_mul_i32 s23, s23, s24
	s_mul_hi_u32 s23, s24, s23
	s_add_i32 s24, s24, s23
	s_mul_hi_u32 s23, s22, s24
	s_mul_i32 s24, s23, s21
	s_sub_i32 s22, s22, s24
	s_add_i32 s24, s23, 1
	s_sub_i32 s25, s22, s21
	s_cmp_ge_u32 s22, s21
	s_cselect_b32 s23, s24, s23
	s_cselect_b32 s22, s25, s22
	s_add_i32 s24, s23, 1
	s_cmp_ge_u32 s22, s21
	s_cselect_b32 s21, s24, s23
	s_xor_b32 s21, s21, s20
	s_sub_i32 s52, s21, s20
	s_ashr_i32 s20, s3, 31
	s_lshr_b32 s20, s20, 26
	s_add_i32 s3, s3, s20
	s_ashr_i32 s3, s3, 6
	s_lshl_b32 s30, s2, 4
	s_mul_i32 s50, s48, s3
	v_and_b32_e32 v1, 15, v0
	s_cmp_lt_i32 s12, 64
	v_lshlrev_b32_e32 v61, 3, v0
	s_waitcnt lgkmcnt(0)
	s_mul_i32 s17, s48, s17
	s_mul_hi_u32 s44, s48, s16
	s_mul_i32 s34, s48, s16
	v_mov_b32_e32 v48, v49
	v_mov_b32_e32 v51, v49
	;; [unrolled: 1-line block ×7, first 2 shown]
	s_cbranch_scc1 .LBB736_18
; %bb.1:
	s_ashr_i32 s24, s48, 31
	s_ashr_i32 s54, s33, 31
	s_add_u32 s2, s45, s33
	s_addc_u32 s3, s51, s54
	s_mul_i32 s3, s12, s3
	s_mul_hi_u32 s20, s12, s2
	s_add_i32 s39, s20, s3
	s_mul_i32 s38, s12, s2
	s_lshl_b64 s[2:3], s[38:39], 8
	v_and_b32_e32 v66, 56, v61
	s_add_u32 s20, s6, s2
	v_lshl_or_b32 v65, v59, 3, v62
	v_lshlrev_b32_e32 v3, 1, v66
	s_addc_u32 s2, s7, s3
	v_lshl_or_b32 v67, v65, 8, v3
	s_and_b32 s21, s2, 0xffff
	s_mov_b32 s23, 0x20000
	s_movk_i32 s22, 0x4000
	s_movk_i32 s2, 0x80
	v_or_b32_e32 v68, 0x2000, v67
	buffer_load_dwordx4 v[4:7], v67, s[20:23], 0 offen
	buffer_load_dwordx4 v[8:11], v67, s[20:23], s2 offen
	;; [unrolled: 1-line block ×4, first 2 shown]
	v_lshlrev_b32_e32 v20, 3, v65
	v_and_or_b32 v22, v0, 7, v20
	v_and_b32_e32 v20, 0x78, v20
	v_lshlrev_b32_e32 v22, 4, v22
	v_xor_b32_e32 v69, v22, v20
	v_mul_lo_u32 v21, v65, s15
	v_or_b32_e32 v70, 0x1000, v69
	s_cmpk_eq_i32 s15, 0x80
	s_mov_b32 s53, s14
	v_xor_b32_e32 v20, 8, v69
	v_xor_b32_e32 v22, 8, v70
	s_cselect_b64 s[2:3], -1, 0
	s_cmpk_lg_i32 s15, 0x80
	s_waitcnt vmcnt(3)
	ds_write_b64 v69, v[4:5] offset:16384
	ds_write_b64 v20, v[6:7] offset:16384
	s_waitcnt vmcnt(2)
	ds_write_b64 v69, v[8:9] offset:24576
	ds_write_b64 v20, v[10:11] offset:24576
	;; [unrolled: 3-line block ×4, first 2 shown]
	v_lshl_add_u32 v4, v21, 1, v66
	s_cbranch_scc0 .LBB736_3
; %bb.2:
	v_lshlrev_b32_e32 v6, 1, v4
	v_add_lshl_u32 v5, v4, s15, 1
	s_lshl_b32 s22, s15, 7
	s_load_dwordx2 s[40:41], s[0:1], 0x20
	v_lshl_or_b32 v3, v65, 9, v3
	s_cbranch_execz .LBB736_4
	s_branch .LBB736_5
.LBB736_3:
                                        ; implicit-def: $vgpr5
                                        ; implicit-def: $vgpr6
                                        ; implicit-def: $sgpr22
	s_load_dwordx2 s[40:41], s[0:1], 0x20
	v_lshl_or_b32 v3, v65, 9, v3
.LBB736_4:
	v_or_b32_e32 v5, 0x100, v3
	s_movk_i32 s22, 0x4000
	v_mov_b32_e32 v6, v3
.LBB736_5:
	s_mul_hi_u32 s0, s14, s12
	s_mul_i32 s1, s49, s12
	s_add_i32 s0, s0, s1
	s_mul_i32 s1, s14, s12
	s_mul_i32 s20, s1, s24
	s_mul_hi_u32 s21, s1, s48
	s_add_i32 s20, s21, s20
	s_mul_i32 s0, s0, s48
	s_add_i32 s20, s20, s0
	s_mul_i32 s1, s1, s48
	s_ashr_i32 s55, s52, 31
	s_add_u32 s0, s1, s52
	s_addc_u32 s1, s20, s55
	s_lshl_b64 s[0:1], s[0:1], 8
	s_add_u32 s20, s4, s0
	s_addc_u32 s0, s5, s1
	s_and_b32 s21, s0, 0xffff
	s_movk_i32 s56, 0x80
	buffer_load_dwordx4 v[8:11], v6, s[20:23], 0 offen
	buffer_load_dwordx4 v[12:15], v6, s[20:23], s56 offen
	;; [unrolled: 1-line block ×4, first 2 shown]
	v_and_b32_e32 v5, 6, v0
	s_mul_i32 s0, s24, s12
	s_mul_hi_u32 s1, s48, s12
	v_lshlrev_b32_e32 v7, 2, v1
	v_lshlrev_b32_e32 v24, 3, v1
	v_xor_b32_e32 v26, v65, v5
	v_and_b32_e32 v6, 1, v0
	s_mul_i32 s24, s24, s16
	v_lshl_or_b32 v24, v63, 5, v24
	v_xor_b32_e32 v27, v63, v7
	v_lshlrev_b32_e32 v26, 2, v26
	s_add_i32 s61, s1, s0
	s_add_i32 s0, s44, s17
	v_or_b32_e32 v71, 0x9000, v24
	v_or_b32_e32 v72, 0x9800, v24
	v_lshlrev_b32_e32 v24, 1, v27
	v_xor_b32_e32 v27, 0x440, v26
	v_cmp_eq_u32_e32 vcc, 0, v6
	s_add_i32 s35, s0, s24
	s_mul_i32 s0, s33, s19
	s_mul_hi_u32 s1, s33, s18
	v_cndmask_b32_e32 v6, v27, v26, vcc
	s_add_i32 s0, s1, s0
	s_mul_i32 s1, s54, s18
	s_mov_b32 s59, 0x1000504
	v_lshlrev_b32_e32 v25, 8, v1
	s_mov_b32 s22, 0x8000
	v_xor_b32_e32 v7, v64, v7
	v_lshl_or_b32 v5, v5, 10, v6
	s_add_i32 s1, s0, s1
	s_lshl_b64 s[20:21], s[34:35], 2
	s_mov_b32 s60, 0x3020706
	v_lshlrev_b32_e32 v7, 1, v7
	v_or3_b32 v73, v24, v25, s22
	v_xor_b32_e32 v6, 8, v5
	v_xor_b32_e32 v24, 24, v5
	;; [unrolled: 1-line block ×4, first 2 shown]
	s_mul_i32 s0, s33, s18
	s_add_u32 s20, s10, s20
	v_or3_b32 v74, v7, v25, s22
	v_xor_b32_e32 v7, 16, v5
	v_xor_b32_e32 v25, 32, v5
	;; [unrolled: 1-line block ×3, first 2 shown]
	v_add_u32_e32 v6, 0x80, v6
	v_add_u32_e32 v24, 0x80, v24
	;; [unrolled: 1-line block ×4, first 2 shown]
	s_addc_u32 s21, s11, s21
	s_lshl_b64 s[0:1], s[0:1], 2
	s_add_u32 s42, s20, s0
	s_movk_i32 s0, 0xf8
	s_addc_u32 s43, s21, s1
	s_ashr_i32 s31, s30, 31
	s_lshl_b32 s26, s15, 7
	v_mov_b32_e32 v47, 0
	s_mul_i32 s57, s48, s12
	s_mov_b32 s58, 0
	v_add_u32_e32 v85, v45, v2
	s_mov_b32 s35, 0x7060302
	v_mov_b32_e32 v96, 0x3fb8aa3b
	s_mov_b32 s63, 0
	v_mov_b32_e32 v52, v47
	v_mov_b32_e32 v53, v47
	;; [unrolled: 1-line block ×6, first 2 shown]
	s_waitcnt vmcnt(1)
	v_perm_b32 v29, v8, v16, s59
	s_waitcnt vmcnt(0)
	v_perm_b32 v30, v12, v20, s59
	v_perm_b32 v8, v8, v16, s60
	;; [unrolled: 1-line block ×15, first 2 shown]
	ds_write2st64_b32 v5, v29, v30 offset1:32
	ds_write2st64_b32 v6, v8, v12 offset1:32
	ds_write2st64_b32 v7, v16, v20 offset0:1 offset1:33
	ds_write2st64_b32 v24, v9, v13 offset0:1 offset1:33
	;; [unrolled: 1-line block ×6, first 2 shown]
	v_or_b32_e32 v5, v45, v1
	v_lshlrev_b32_e32 v5, 3, v5
	v_lshrrev_b32_e32 v7, 5, v58
	v_and_or_b32 v7, v5, s0, v7
	v_lshlrev_b32_e32 v7, 4, v7
	v_lshrrev_b32_e32 v6, 2, v58
	v_lshlrev_b32_e32 v9, 11, v59
	v_and_b32_e32 v5, 0x78, v5
	v_or_b32_e32 v12, 32, v7
	v_and_b32_e32 v8, 12, v6
	v_and_b32_e32 v6, 0x1000, v9
	v_lshrrev_b32_e32 v11, 1, v58
	v_xor_b32_e32 v12, v12, v5
	v_and_b32_e32 v11, 8, v11
	v_or_b32_e32 v12, v12, v6
	v_xor_b32_e32 v10, v7, v5
	v_xor_b32_e32 v77, v12, v11
	v_or_b32_e32 v12, 64, v7
	v_or_b32_e32 v7, 0x60, v7
	;; [unrolled: 1-line block ×3, first 2 shown]
	v_xor_b32_e32 v12, v12, v5
	v_xor_b32_e32 v5, v7, v5
	;; [unrolled: 1-line block ×3, first 2 shown]
	v_and_b32_e32 v10, 0x78, v61
	v_or_b32_e32 v5, v5, v6
	v_lshl_or_b32 v10, v60, 7, v10
	v_or_b32_e32 v12, v12, v6
	v_xor_b32_e32 v79, v5, v11
	v_lshlrev_b32_e32 v5, 1, v1
	v_or_b32_e32 v76, 0x9000, v10
	v_xor_b32_e32 v78, v12, v11
	v_or_b32_e32 v80, 0x9800, v10
	v_lshlrev_b32_e32 v10, 1, v4
	v_add_lshl_u32 v11, v4, s15, 1
	v_lshrrev_b32_e32 v4, 4, v0
	s_lshl_b64 s[0:1], s[30:31], 8
	v_or_b32_e32 v13, 1, v5
	s_add_u32 s0, s36, s0
	v_xor_b32_e32 v5, v4, v5
	v_xor_b32_e32 v13, v13, v4
	s_addc_u32 s1, s37, s1
	v_lshlrev_b32_e32 v5, 3, v5
	v_lshlrev_b32_e32 v46, 8, v4
	;; [unrolled: 1-line block ×3, first 2 shown]
	v_lshrrev_b32_e32 v17, 1, v0
	v_or3_b32 v81, v5, v46, s22
	v_or3_b32 v82, v4, v46, s22
	v_lshl_add_u64 v[4:5], s[0:1], 0, v[46:47]
	v_lshlrev_b32_e32 v46, 4, v1
	s_movk_i32 s0, 0xff
	v_lshlrev_b32_e32 v16, 3, v59
	v_and_b32_e32 v17, 24, v17
	v_lshl_add_u64 v[54:55], v[4:5], 0, v[46:47]
	v_and_b32_e32 v5, 8, v0
	v_cmp_lt_u32_e32 vcc, s0, v0
	v_xor_b32_e32 v18, v16, v17
	v_or_b32_e32 v19, 0x440, v18
	v_cndmask_b32_e64 v15, 0, 1, vcc
	v_cmp_eq_u32_e32 vcc, 0, v5
	v_or_b32_e32 v21, 64, v17
	v_xor_b32_e32 v21, v16, v21
	v_cndmask_b32_e32 v5, v19, v18, vcc
	v_or_b32_e32 v19, 32, v17
	v_or_b32_e32 v17, 0x60, v17
	v_xor_b32_e32 v19, v16, v19
	v_xor_b32_e32 v16, v16, v17
	v_or_b32_e32 v20, 0x440, v19
	v_xor_b32_e32 v22, 0x440, v21
	v_xor_b32_e32 v17, 0x440, v16
	v_and_b32_e32 v4, 7, v0
	v_cndmask_b32_e32 v19, v20, v19, vcc
	v_cndmask_b32_e32 v21, v22, v21, vcc
	;; [unrolled: 1-line block ×3, first 2 shown]
	v_or_b32_e32 v6, s30, v1
	v_lshlrev_b32_e32 v13, 3, v4
	v_or_b32_e32 v5, v5, v9
	v_or_b32_e32 v19, v19, v9
	;; [unrolled: 1-line block ×4, first 2 shown]
	v_ashrrev_i32_e32 v7, 31, v6
	v_lshlrev_b32_e32 v15, 13, v15
	v_xor_b32_e32 v5, v5, v13
	v_xor_b32_e32 v19, v19, v13
	;; [unrolled: 1-line block ×4, first 2 shown]
	v_lshl_add_u64 v[6:7], v[6:7], 1, s[8:9]
	v_or_b32_e32 v12, 0x100, v3
	v_lshlrev_b32_e32 v14, 7, v4
	v_or_b32_e32 v4, v8, v45
	v_add_u32_e32 v18, v15, v5
	v_add_u32_e32 v20, v15, v19
	;; [unrolled: 1-line block ×4, first 2 shown]
	v_or3_b32 v8, v45, v8, 64
	v_add_u32_e32 v5, 0x2000, v5
	v_add_u32_e32 v15, 0x2000, v19
	;; [unrolled: 1-line block ×4, first 2 shown]
	v_lshlrev_b32_e32 v46, 8, v63
	v_cndmask_b32_e64 v83, v10, v3, s[2:3]
	v_cndmask_b32_e64 v84, v11, v12, s[2:3]
	v_lshl_add_u64 v[56:57], v[6:7], 0, v[46:47]
	s_add_i32 s31, s57, 63
	s_movk_i32 s22, 0x4000
	v_lshlrev_b32_e32 v86, 2, v4
	v_add_u32_e32 v87, v18, v14
	v_add_u32_e32 v88, v20, v14
	;; [unrolled: 1-line block ×4, first 2 shown]
	v_lshlrev_b32_e32 v91, 2, v8
	v_add_u32_e32 v92, v5, v14
	v_add_u32_e32 v93, v15, v14
	;; [unrolled: 1-line block ×4, first 2 shown]
	v_mov_b32_e32 v46, v47
	s_waitcnt lgkmcnt(0)
	s_barrier
.LBB736_6:                              ; =>This Inner Loop Header: Depth=1
	s_add_i32 s62, s63, 1
	s_cmp_lt_i32 s62, s47
	s_mov_b64 s[24:25], 0
	s_cselect_b64 s[2:3], -1, 0
	s_cmp_ge_i32 s62, s47
	s_mov_b64 s[20:21], 0
	s_cbranch_scc1 .LBB736_8
; %bb.7:                                ;   in Loop: Header=BB736_6 Depth=1
	s_add_i32 s0, s58, 64
	s_add_u32 s0, s38, s0
	s_addc_u32 s1, s39, 0
	s_lshl_b64 s[0:1], s[0:1], 8
	s_add_u32 s20, s6, s0
	s_addc_u32 s21, s7, s1
.LBB736_8:                              ;   in Loop: Header=BB736_6 Depth=1
	v_cndmask_b32_e64 v2, 0, 1, s[2:3]
	v_cmp_ne_u32_e64 s[0:1], 1, v2
	s_andn2_b64 vcc, exec, s[2:3]
	s_cbranch_vccnz .LBB736_10
; %bb.9:                                ;   in Loop: Header=BB736_6 Depth=1
	s_add_i32 s2, s58, 64
	s_add_u32 s2, s57, s2
	s_addc_u32 s3, s61, 0
	s_mul_i32 s24, s2, s49
	s_mul_hi_u32 s25, s2, s53
	s_add_i32 s24, s25, s24
	s_mul_i32 s3, s3, s53
	s_add_i32 s24, s24, s3
	s_mul_i32 s2, s2, s53
	s_add_u32 s2, s2, s52
	s_addc_u32 s3, s24, s55
	s_lshl_b64 s[2:3], s[2:3], 8
	s_add_u32 s24, s4, s2
	s_addc_u32 s25, s5, s3
.LBB736_10:                             ;   in Loop: Header=BB736_6 Depth=1
	v_perm_b32 v3, v53, v52, s35
	v_perm_b32 v2, v47, v46, s35
	;; [unrolled: 1-line block ×4, first 2 shown]
	ds_write_b64 v71, v[2:3]
	ds_write_b64 v72, v[4:5]
	;; [unrolled: 1-line block ×4, first 2 shown]
	s_waitcnt lgkmcnt(0)
	s_barrier
	ds_read_b64 v[10:11], v75 offset:16384
	ds_read_b64 v[12:13], v77 offset:16384
	ds_read2st64_b64 v[2:5], v76 offset1:1
	ds_read2st64_b64 v[6:9], v76 offset0:2 offset1:3
	ds_read_b64 v[14:15], v78 offset:16384
	s_waitcnt lgkmcnt(2)
	v_mfma_f32_16x16x16_bf16 a[0:3], v[10:11], v[2:3], 0
	ds_read_b64 v[2:3], v79 offset:16384
	s_add_i32 s2, s58, 63
	s_mul_i32 s3, s2, s29
	v_mfma_f32_16x16x16_bf16 a[0:3], v[12:13], v[4:5], a[0:3]
	s_mul_hi_u32 s27, s2, s28
	s_add_i32 s3, s27, s3
	s_mul_i32 s2, s2, s28
	s_waitcnt lgkmcnt(1)
	v_mfma_f32_16x16x16_bf16 a[0:3], v[14:15], v[6:7], a[0:3]
	s_lshl_b64 s[2:3], s[2:3], 2
	s_add_u32 s2, s42, s2
	s_addc_u32 s3, s43, s3
	s_waitcnt lgkmcnt(0)
	v_mfma_f32_16x16x16_bf16 a[0:3], v[2:3], v[8:9], a[0:3]
	s_and_b64 vcc, exec, s[0:1]
	v_mov_b32_e32 v99, 0
	v_mov_b32_e32 v98, 0
	;; [unrolled: 1-line block ×19, first 2 shown]
	s_cbranch_vccnz .LBB736_12
; %bb.11:                               ;   in Loop: Header=BB736_6 Depth=1
	s_and_b32 s21, s21, 0xffff
	buffer_load_dwordx4 v[14:17], v67, s[20:23], 0 offen
	buffer_load_dwordx4 v[10:13], v67, s[20:23], s56 offen
	;; [unrolled: 1-line block ×4, first 2 shown]
	v_mov_b32_e32 v98, v69
	v_mov_b32_e32 v97, v70
.LBB736_12:                             ;   in Loop: Header=BB736_6 Depth=1
	v_add_u32_e32 v24, s58, v85
	v_ashrrev_i32_e32 v18, 31, v24
	v_mul_lo_u32 v20, v18, s28
	v_mul_lo_u32 v21, v24, s29
	v_mad_u64_u32 v[18:19], s[20:21], v24, s28, 0
	v_add3_u32 v19, v19, v21, v20
	v_add_u32_e32 v20, 1, v24
	v_ashrrev_i32_e32 v21, 31, v20
	v_mul_lo_u32 v22, v21, s28
	v_mul_lo_u32 v23, v20, s29
	v_mad_u64_u32 v[20:21], s[20:21], v20, s28, 0
	v_add3_u32 v21, v21, v23, v22
	v_add_u32_e32 v22, 2, v24
	v_ashrrev_i32_e32 v23, 31, v22
	v_mul_lo_u32 v25, v23, s28
	v_mul_lo_u32 v26, v22, s29
	v_mad_u64_u32 v[22:23], s[20:21], v22, s28, 0
	v_add_u32_e32 v24, 3, v24
	v_add3_u32 v23, v23, v26, v25
	v_ashrrev_i32_e32 v25, 31, v24
	v_mul_lo_u32 v28, v25, s28
	v_mul_lo_u32 v29, v24, s29
	v_mad_u64_u32 v[24:25], s[20:21], v24, s28, 0
	s_add_u32 s20, s38, s58
	s_addc_u32 s21, s39, 0
	s_lshl_b64 s[20:21], s[20:21], 8
	v_lshl_add_u64 v[18:19], v[18:19], 2, s[42:43]
	v_lshl_add_u64 v[20:21], v[20:21], 2, s[42:43]
	;; [unrolled: 1-line block ×3, first 2 shown]
	v_add3_u32 v25, v25, v29, v28
	v_lshl_add_u64 v[22:23], v[22:23], 2, s[42:43]
	global_load_ushort v38, v[26:27], off
	global_load_ushort v39, v[26:27], off offset:256
	global_load_ushort v40, v[26:27], off offset:512
	;; [unrolled: 1-line block ×3, first 2 shown]
	global_load_dword v42, v[18:19], off
	v_lshl_add_u64 v[18:19], v[24:25], 2, s[42:43]
	global_load_dword v43, v[20:21], off
	global_load_dword v44, v[22:23], off
	;; [unrolled: 1-line block ×3, first 2 shown]
	s_load_dword s2, s[2:3], 0x0
	ds_read2st64_b64 v[24:27], v80 offset1:1
	ds_read2st64_b64 v[28:31], v80 offset0:2 offset1:3
	ds_read_b64 v[22:23], v75 offset:24576
	ds_read_b64 v[32:33], v77 offset:24576
	;; [unrolled: 1-line block ×4, first 2 shown]
	s_waitcnt lgkmcnt(0)
	v_mfma_f32_16x16x16_bf16 a[0:3], v[22:23], v[24:25], a[0:3]
	v_mov_b32_e32 v100, 0
	v_mov_b32_e32 v18, 0
	v_mov_b32_e32 v19, 0
	v_mfma_f32_16x16x16_bf16 a[0:3], v[32:33], v[26:27], a[0:3]
	v_mov_b32_e32 v20, 0
	v_mov_b32_e32 v21, 0
	v_mov_b32_e32 v22, 0
	;; [unrolled: 4-line block ×4, first 2 shown]
	v_mov_b32_e32 v29, 0
	s_and_b64 vcc, exec, s[0:1]
	s_waitcnt vmcnt(7)
	v_lshlrev_b32_e32 v34, 16, v38
	s_waitcnt vmcnt(6)
	v_lshlrev_b32_e32 v35, 16, v39
	;; [unrolled: 2-line block ×4, first 2 shown]
	s_waitcnt vmcnt(3)
	v_sub_f32_e32 v38, s2, v42
	s_waitcnt vmcnt(2)
	v_sub_f32_e32 v39, s2, v43
	;; [unrolled: 2-line block ×4, first 2 shown]
	v_mul_f32_e32 v38, 0x3fb8aa3b, v38
	v_mul_f32_e32 v39, 0x3fb8aa3b, v39
	;; [unrolled: 1-line block ×4, first 2 shown]
	v_exp_f32_e32 v38, v38
	v_exp_f32_e32 v39, v39
	;; [unrolled: 1-line block ×4, first 2 shown]
	v_accvgpr_read_b32 v33, a1
	v_accvgpr_read_b32 v31, a3
	;; [unrolled: 1-line block ×4, first 2 shown]
	v_pk_add_f32 v[32:33], v[34:35], v[32:33] neg_lo:[0,1] neg_hi:[0,1]
	v_pk_add_f32 v[30:31], v[36:37], v[30:31] neg_lo:[0,1] neg_hi:[0,1]
	v_pk_mul_f32 v[32:33], v[38:39], v[32:33]
	v_pk_mul_f32 v[30:31], v[40:41], v[30:31]
	s_nop 0
	v_perm_b32 v31, v31, v30, s35
	v_perm_b32 v30, v33, v32, s35
	ds_write_b64 v72, v[30:31]
	v_mov_b32_e32 v30, 0
	v_mov_b32_e32 v31, 0
	v_mov_b32_e32 v32, 0
	v_mov_b32_e32 v33, 0
	s_cbranch_vccnz .LBB736_14
; %bb.13:                               ;   in Loop: Header=BB736_6 Depth=1
	s_and_b32 s25, s25, 0xffff
	s_mov_b32 s27, s23
	buffer_load_dwordx4 v[30:33], v83, s[24:27], 0 offen
	buffer_load_dwordx4 v[22:25], v83, s[24:27], s56 offen
	;; [unrolled: 1-line block ×4, first 2 shown]
	v_mov_b32_e32 v99, v66
	v_mov_b32_e32 v100, v65
.LBB736_14:                             ;   in Loop: Header=BB736_6 Depth=1
	s_waitcnt lgkmcnt(0)
	s_barrier
	ds_read_b64 v[34:35], v87
	ds_read_b64 v[40:41], v88
	ds_read2st64_b64 v[36:39], v80 offset1:1
	ds_read2st64_b64 v[102:105], v80 offset0:2 offset1:3
	ds_read_b64 v[42:43], v89
	ds_read_b64 v[110:111], v90
	s_add_i32 s3, s50, s63
	s_mul_hi_i32 s21, s3, s13
	s_mul_i32 s3, s3, s13
	s_waitcnt lgkmcnt(3)
	v_mfma_f32_16x16x16_bf16 a[0:3], v[34:35], v[36:37], 0
	ds_read_b64 v[34:35], v92
	s_add_u32 s20, s3, s33
	s_addc_u32 s21, s21, s54
	s_add_i32 s3, s31, s58
	v_mfma_f32_16x16x16_bf16 a[0:3], v[40:41], v[38:39], a[0:3]
	ds_read_b64 v[40:41], v93
	s_lshl_b64 s[20:21], s[20:21], 15
	s_mul_hi_i32 s25, s3, s13
	s_mul_i32 s3, s3, s13
	s_add_u32 s24, s3, s33
	s_addc_u32 s25, s25, s54
	s_lshl_b64 s[24:25], s[24:25], 9
	s_add_u32 s24, s40, s24
	s_waitcnt lgkmcnt(1)
	v_mfma_f32_16x16x16_bf16 a[4:7], v[34:35], v[36:37], 0
	s_addc_u32 s25, s41, s25
	s_and_b64 vcc, exec, s[0:1]
	v_mfma_f32_16x16x16_bf16 a[0:3], v[42:43], v[102:103], a[0:3]
	ds_read_b64 v[42:43], v94
	ds_read_b64 v[112:113], v95
	global_load_dwordx4 v[34:37], v91, s[24:25]
	s_waitcnt lgkmcnt(2)
	v_mfma_f32_16x16x16_bf16 a[4:7], v[40:41], v[38:39], a[4:7]
	global_load_dwordx4 v[38:41], v86, s[24:25]
	ds_read_b64 v[106:107], v81
	ds_read_b64 v[108:109], v82
	s_waitcnt lgkmcnt(3)
	v_mfma_f32_16x16x16_bf16 a[8:11], v[42:43], v[102:103], a[4:7]
	v_lshl_add_u64 v[42:43], v[54:55], 0, s[20:21]
	s_waitcnt lgkmcnt(0)
	global_store_dwordx4 v[42:43], v[106:109], off
	v_mfma_f32_16x16x16_bf16 a[4:7], v[110:111], v[104:105], a[0:3]
	s_waitcnt vmcnt(2)
	v_mov_b32_e32 v44, v37
	v_mfma_f32_16x16x16_bf16 a[0:3], v[112:113], v[104:105], a[8:11]
	v_mov_b32_e32 v43, v36
	v_mov_b32_e32 v42, v35
	s_cbranch_vccnz .LBB736_16
; %bb.15:                               ;   in Loop: Header=BB736_6 Depth=1
	v_lshrrev_b32_e32 v35, 3, v99
	v_and_b32_e32 v35, 6, v35
	v_xor_b32_e32 v36, v35, v100
	v_lshlrev_b32_e32 v36, 2, v36
	v_and_b32_e32 v37, 8, v99
	v_xor_b32_e32 v99, 0x440, v36
	v_cmp_eq_u32_e32 vcc, 0, v37
	v_perm_b32 v37, v22, v18, s59
	s_nop 0
	v_cndmask_b32_e32 v36, v99, v36, vcc
	v_lshl_or_b32 v35, v35, 10, v36
	v_perm_b32 v36, v30, v26, s59
	s_barrier
	ds_write2st64_b32 v35, v36, v37 offset1:32
	v_xor_b32_e32 v36, 8, v35
	v_perm_b32 v26, v30, v26, s60
	v_perm_b32 v18, v22, v18, s60
	v_add_u32_e32 v22, 0x80, v36
	ds_write2st64_b32 v22, v26, v18 offset1:32
	v_xor_b32_e32 v18, 16, v35
	v_perm_b32 v22, v31, v27, s59
	v_perm_b32 v26, v23, v19, s59
	ds_write2st64_b32 v18, v22, v26 offset0:1 offset1:33
	v_xor_b32_e32 v18, 24, v35
	v_perm_b32 v22, v31, v27, s60
	v_perm_b32 v19, v23, v19, s60
	v_add_u32_e32 v18, 0x80, v18
	ds_write2st64_b32 v18, v22, v19 offset0:1 offset1:33
	v_xor_b32_e32 v18, 32, v35
	v_perm_b32 v19, v32, v28, s59
	v_perm_b32 v22, v24, v20, s59
	ds_write2st64_b32 v18, v19, v22 offset0:2 offset1:34
	v_xor_b32_e32 v18, 40, v35
	v_perm_b32 v19, v32, v28, s60
	v_perm_b32 v20, v24, v20, s60
	v_add_u32_e32 v18, 0x80, v18
	ds_write2st64_b32 v18, v19, v20 offset0:2 offset1:34
	;; [unrolled: 9-line block ×3, first 2 shown]
	ds_write_b64 v98, v[14:15] offset:16384
	v_xor_b32_e32 v14, 8, v98
	ds_write_b64 v14, v[16:17] offset:16384
	ds_write_b64 v98, v[10:11] offset:24576
	;; [unrolled: 1-line block ×4, first 2 shown]
	v_xor_b32_e32 v6, 8, v97
	ds_write_b64 v6, v[8:9] offset:16384
	ds_write_b64 v97, v[2:3] offset:24576
	;; [unrolled: 1-line block ×3, first 2 shown]
.LBB736_16:                             ;   in Loop: Header=BB736_6 Depth=1
	v_mul_f32_e32 v6, s2, v96
	v_exp_f32_e32 v10, v6
	s_waitcnt vmcnt(1)
	v_mul_f32_e32 v6, 0x3fb8aa3b, v38
	v_exp_f32_e32 v12, v6
	v_mul_f32_e32 v6, 0x3fb8aa3b, v39
	v_exp_f32_e32 v13, v6
	;; [unrolled: 2-line block ×4, first 2 shown]
	v_accvgpr_read_b32 v2, a4
	v_accvgpr_read_b32 v3, a5
	v_pk_mul_f32 v[12:13], v[10:11], v[12:13] op_sel_hi:[0,1]
	v_pk_fma_f32 v[46:47], v[46:47], v[12:13], v[2:3]
	v_pk_mul_f32 v[2:3], v[10:11], v[14:15] op_sel_hi:[0,1]
	v_mul_f32_e32 v11, 0x3fb8aa3b, v34
	v_exp_f32_e32 v12, v11
	v_mul_f32_e32 v11, 0x3fb8aa3b, v42
	v_exp_f32_e32 v13, v11
	v_mul_f32_e32 v11, 0x3fb8aa3b, v43
	v_exp_f32_e32 v14, v11
	v_mul_f32_e32 v11, 0x3fb8aa3b, v44
	v_exp_f32_e32 v15, v11
	v_accvgpr_read_b32 v4, a6
	v_accvgpr_read_b32 v5, a7
	;; [unrolled: 1-line block ×5, first 2 shown]
	v_pk_fma_f32 v[52:53], v[52:53], v[2:3], v[4:5]
	v_pk_mul_f32 v[2:3], v[10:11], v[12:13] op_sel_hi:[0,1]
	v_accvgpr_read_b32 v8, a2
	v_pk_fma_f32 v[50:51], v[50:51], v[2:3], v[6:7]
	v_pk_mul_f32 v[2:3], v[10:11], v[14:15] op_sel_hi:[0,1]
	s_add_i32 s58, s58, 64
	s_cmp_eq_u32 s47, s62
	v_pk_fma_f32 v[48:49], v[48:49], v[2:3], v[8:9]
	s_cbranch_scc1 .LBB736_18
; %bb.17:                               ;   in Loop: Header=BB736_6 Depth=1
	s_mov_b32 s63, s62
	s_branch .LBB736_6
.LBB736_18:
	s_lshl_b32 s40, s47, 6
	s_sub_i32 s41, s12, s40
	s_cmp_gt_i32 s41, 0
	s_cbranch_scc0 .LBB736_75
; %bb.19:
	s_ashr_i32 s35, s48, 31
	s_ashr_i32 s2, s40, 31
	s_cmpk_lg_i32 s15, 0x80
	s_cselect_b64 s[26:27], -1, 0
	s_and_b64 vcc, exec, s[26:27]
	s_cbranch_vccz .LBB736_21
; %bb.20:
	s_mul_i32 s1, s48, s12
	s_mul_hi_i32 s0, s48, s12
	s_add_u32 s1, s1, s40
	s_addc_u32 s0, s0, s2
	s_mul_i32 s3, s1, s49
	s_mul_hi_u32 s20, s1, s14
	s_add_i32 s3, s20, s3
	s_mul_i32 s0, s0, s14
	s_add_i32 s3, s3, s0
	s_mul_i32 s1, s1, s14
	s_ashr_i32 s0, s52, 31
	s_add_u32 s38, s1, s52
	s_addc_u32 s39, s3, s0
	s_cbranch_execz .LBB736_22
	s_branch .LBB736_23
.LBB736_21:
                                        ; implicit-def: $sgpr38_sgpr39
.LBB736_22:
	s_mul_hi_i32 s0, s48, s14
	s_mul_i32 s48, s48, s14
	s_ashr_i32 s1, s52, 31
	s_add_u32 s3, s48, s52
	s_addc_u32 s0, s0, s1
	s_mul_i32 s1, s3, s46
	s_mul_hi_u32 s14, s3, s12
	s_add_i32 s1, s14, s1
	s_mul_i32 s0, s0, s12
	s_add_i32 s1, s1, s0
	s_mul_i32 s3, s3, s12
	s_add_u32 s38, s3, s40
	s_addc_u32 s39, s1, s2
.LBB736_23:
	s_add_i32 s3, s50, s47
	s_ashr_i32 s14, s33, 31
	s_add_u32 s0, s45, s33
	s_addc_u32 s1, s51, s14
	s_mul_i32 s20, s0, s46
	s_mul_hi_u32 s21, s0, s12
	s_add_i32 s20, s21, s20
	s_mul_i32 s1, s1, s12
	s_add_i32 s20, s20, s1
	s_mul_i32 s0, s0, s12
	s_add_u32 s0, s0, s40
	s_addc_u32 s1, s20, s2
	s_mov_b32 s2, 0x7060302
	v_lshlrev_b32_e32 v6, 3, v1
	s_lshl_b64 s[24:25], s[0:1], 8
	v_perm_b32 v3, v53, v52, s2
	v_perm_b32 v2, v47, v46, s2
	;; [unrolled: 1-line block ×4, first 2 shown]
	v_lshlrev_b32_e32 v34, 2, v1
	v_lshl_or_b32 v6, v63, 5, v6
	s_add_u32 s0, s6, s24
	ds_write2st64_b64 v6, v[2:3], v[4:5] offset0:72 offset1:76
	v_xor_b32_e32 v6, v63, v34
	v_lshlrev_b32_e32 v7, 8, v1
	s_addc_u32 s1, s7, s25
	v_lshl_or_b32 v6, v6, 1, v7
	s_mul_hi_i32 s6, s3, s13
	s_mul_i32 s3, s3, s13
	ds_write_b64 v6, v[2:3] offset:32768
	v_xor_b32_e32 v2, v64, v34
	s_add_u32 s2, s3, s33
	v_lshl_or_b32 v2, v2, 1, v7
	s_addc_u32 s3, s6, s14
	v_lshlrev_b32_e32 v3, 1, v1
	ds_write_b64 v2, v[4:5] offset:32768
	v_lshrrev_b32_e32 v2, 4, v0
	s_ashr_i32 s31, s30, 31
	s_lshl_b64 s[2:3], s[2:3], 15
	v_or_b32_e32 v4, 1, v3
	s_add_u32 s6, s36, s2
	v_xor_b32_e32 v3, v2, v3
	v_xor_b32_e32 v4, v4, v2
	v_lshlrev_b32_e32 v6, 8, v2
	s_addc_u32 s7, s37, s3
	s_lshl_b64 s[2:3], s[30:31], 8
	v_lshl_or_b32 v2, v3, 3, v6
	v_lshl_or_b32 v4, v4, 3, v6
	s_waitcnt lgkmcnt(0)
	s_barrier
	s_add_u32 s2, s6, s2
	ds_read_b64 v[2:3], v2 offset:32768
	ds_read_b64 v[4:5], v4 offset:32768
	s_addc_u32 s3, s7, s3
	v_mov_b32_e32 v7, 0
	s_cmp_lg_u32 s41, 64
	v_lshl_add_u64 v[8:9], s[2:3], 0, v[6:7]
	v_lshlrev_b32_e32 v6, 4, v1
	s_cselect_b64 s[6:7], -1, 0
	v_lshl_or_b32 v35, v59, 3, v62
	s_mov_b32 s20, 0
	v_lshl_add_u64 v[6:7], v[8:9], 0, v[6:7]
	v_or_b32_e32 v19, 32, v35
	v_and_b32_e32 v18, 56, v61
	s_and_b64 vcc, exec, s[6:7]
	s_waitcnt lgkmcnt(0)
	global_store_dwordx4 v[6:7], v[2:5], off
	s_cbranch_vccz .LBB736_29
; %bb.24:
	s_mov_b32 s21, s20
	s_mov_b32 s22, s20
	;; [unrolled: 1-line block ×3, first 2 shown]
	v_mov_b64_e32 v[6:7], s[20:21]
	v_mov_b64_e32 v[8:9], s[22:23]
	;; [unrolled: 1-line block ×3, first 2 shown]
	v_cmp_gt_i32_e32 vcc, s41, v35
	v_mov_b64_e32 v[4:5], v[8:9]
	s_and_saveexec_b64 s[2:3], vcc
	s_cbranch_execz .LBB736_26
; %bb.25:
	v_lshlrev_b32_e32 v2, 8, v35
	v_mov_b32_e32 v3, 0
	v_lshl_add_u64 v[4:5], s[0:1], 0, v[2:3]
	v_lshlrev_b32_e32 v2, 1, v18
	v_lshl_add_u64 v[10:11], v[4:5], 0, v[2:3]
	global_load_dwordx4 v[6:9], v[10:11], off
	global_load_dwordx4 v[2:5], v[10:11], off offset:128
.LBB736_26:
	s_or_b64 exec, exec, s[2:3]
	s_mov_b32 s21, s20
	s_mov_b32 s22, s20
	;; [unrolled: 1-line block ×3, first 2 shown]
	v_mov_b64_e32 v[14:15], s[20:21]
	v_mov_b64_e32 v[16:17], s[22:23]
	;; [unrolled: 1-line block ×3, first 2 shown]
	v_cmp_gt_i32_e32 vcc, s41, v19
	v_lshlrev_b32_e32 v20, 7, v19
	v_mov_b64_e32 v[12:13], v[16:17]
	s_and_saveexec_b64 s[2:3], vcc
	s_cbranch_execz .LBB736_28
; %bb.27:
	v_lshlrev_b32_e32 v10, 1, v20
	v_mov_b32_e32 v11, 0
	v_lshl_add_u64 v[12:13], s[0:1], 0, v[10:11]
	v_lshlrev_b32_e32 v10, 1, v18
	v_lshl_add_u64 v[22:23], v[12:13], 0, v[10:11]
	global_load_dwordx4 v[14:17], v[22:23], off
	global_load_dwordx4 v[10:13], v[22:23], off offset:128
.LBB736_28:
	s_or_b64 exec, exec, s[2:3]
	v_lshrrev_b32_e32 v21, 3, v18
	v_lshlrev_b32_e32 v22, 3, v35
	v_or_b32_e32 v21, v22, v21
	v_lshlrev_b32_e32 v21, 4, v21
	v_and_b32_e32 v22, 0x78, v22
	v_xor_b32_e32 v21, v21, v22
	s_branch .LBB736_31
.LBB736_29:
                                        ; implicit-def: $vgpr21
                                        ; implicit-def: $vgpr20
                                        ; implicit-def: $vgpr6_vgpr7_vgpr8_vgpr9
                                        ; implicit-def: $vgpr2_vgpr3_vgpr4_vgpr5
                                        ; implicit-def: $vgpr14_vgpr15_vgpr16_vgpr17
                                        ; implicit-def: $vgpr10_vgpr11_vgpr12_vgpr13
	s_cbranch_execz .LBB736_31
; %bb.30:
	s_waitcnt vmcnt(0)
	v_lshlrev_b32_e32 v2, 1, v18
	v_lshl_or_b32 v20, v35, 8, v2
	s_and_b32 s1, s1, 0xffff
	s_mov_b32 s3, 0x20000
	s_movk_i32 s2, 0x4000
	v_lshl_or_b32 v21, v19, 8, v2
	s_movk_i32 s13, 0x80
	buffer_load_dwordx4 v[6:9], v20, s[0:3], 0 offen
	buffer_load_dwordx4 v[2:5], v20, s[0:3], s13 offen
	;; [unrolled: 1-line block ×4, first 2 shown]
	v_lshrrev_b32_e32 v20, 3, v18
	v_lshlrev_b32_e32 v21, 3, v35
	v_or_b32_e32 v20, v21, v20
	v_lshlrev_b32_e32 v20, 4, v20
	v_and_b32_e32 v21, 0x78, v21
	v_xor_b32_e32 v21, v20, v21
	v_lshlrev_b32_e32 v20, 7, v19
.LBB736_31:
	s_lshl_b64 s[0:1], s[38:39], 8
	s_add_u32 s4, s4, s0
	s_movk_i32 s0, 0x1000
	v_and_or_b32 v19, v20, s0, v21
	s_waitcnt vmcnt(1)
	ds_write_b64 v21, v[6:7] offset:16384
	v_xor_b32_e32 v6, 8, v21
	s_addc_u32 s5, s5, s1
	ds_write_b64 v6, v[8:9] offset:16384
	s_waitcnt vmcnt(0)
	ds_write_b64 v21, v[2:3] offset:24576
	ds_write_b64 v6, v[4:5] offset:24576
	;; [unrolled: 1-line block ×3, first 2 shown]
	v_xor_b32_e32 v2, 8, v19
	s_add_i32 s0, s44, s17
	s_mul_i32 s35, s35, s16
	ds_write_b64 v2, v[16:17] offset:16384
	ds_write_b64 v19, v[10:11] offset:24576
	;; [unrolled: 1-line block ×3, first 2 shown]
	s_add_i32 s35, s0, s35
	s_mul_i32 s0, s33, s19
	s_mul_hi_u32 s1, s33, s18
	v_or_b32_e32 v2, v45, v1
	s_add_i32 s0, s1, s0
	s_mul_i32 s1, s14, s18
	v_lshlrev_b32_e32 v2, 3, v2
	v_lshrrev_b32_e32 v4, 5, v58
	s_movk_i32 s14, 0xf8
	v_and_or_b32 v4, v2, s14, v4
	v_lshlrev_b32_e32 v3, 11, v59
	v_lshlrev_b32_e32 v12, 4, v4
	v_and_b32_e32 v13, 0x78, v2
	v_and_b32_e32 v14, 0x1000, v3
	v_lshlrev_b32_e32 v3, 2, v0
	v_xor_b32_e32 v2, v12, v13
	v_lshrrev_b32_e32 v4, 1, v58
	v_and_b32_e32 v3, 60, v3
	v_or_b32_e32 v2, v2, v14
	v_and_b32_e32 v15, 8, v4
	v_xor_b32_e32 v26, v2, v15
	v_lshl_or_b32 v2, v60, 6, v3
	v_lshlrev_b32_e32 v19, 1, v2
	v_or_b32_e32 v2, 32, v12
	v_xor_b32_e32 v2, v2, v13
	s_waitcnt lgkmcnt(0)
	s_barrier
	ds_read_b64 v[10:11], v26 offset:16384
	v_or_b32_e32 v2, v2, v14
	v_xor_b32_e32 v27, v2, v15
	v_or_b32_e32 v2, 64, v12
	v_xor_b32_e32 v2, v2, v13
	v_or_b32_e32 v2, v2, v14
	v_or_b32_e32 v12, 0x60, v12
	v_xor_b32_e32 v28, v2, v15
	ds_read2st64_b64 v[2:5], v19 offset0:72 offset1:73
	ds_read2st64_b64 v[6:9], v19 offset0:74 offset1:75
	v_xor_b32_e32 v16, v12, v13
	ds_read_b64 v[12:13], v27 offset:16384
	s_waitcnt lgkmcnt(2)
	v_mfma_f32_16x16x16_bf16 a[0:3], v[10:11], v[2:3], 0
	s_add_i32 s2, s12, -1
	s_ashr_i32 s3, s2, 31
	s_mul_i32 s12, s2, s29
	s_mul_hi_u32 s13, s2, s28
	s_add_i32 s12, s13, s12
	s_mul_i32 s3, s3, s28
	v_or_b32_e32 v14, v16, v14
	s_add_i32 s1, s0, s1
	s_add_i32 s3, s12, s3
	s_lshl_b64 s[12:13], s[34:35], 2
	v_xor_b32_e32 v36, v14, v15
	ds_read_b64 v[14:15], v28 offset:16384
	ds_read_b64 v[16:17], v36 offset:16384
	s_waitcnt lgkmcnt(2)
	v_mfma_f32_16x16x16_bf16 a[0:3], v[12:13], v[4:5], a[0:3]
	s_mul_i32 s0, s33, s18
	s_add_u32 s10, s10, s12
	s_addc_u32 s11, s11, s13
	s_lshl_b64 s[0:1], s[0:1], 2
	s_mul_i32 s2, s2, s28
	s_add_u32 s10, s10, s0
	s_addc_u32 s11, s11, s1
	s_lshl_b64 s[0:1], s[2:3], 2
	s_waitcnt lgkmcnt(1)
	v_mfma_f32_16x16x16_bf16 a[0:3], v[14:15], v[6:7], a[0:3]
	s_add_u32 s0, s10, s0
	s_addc_u32 s1, s11, s1
	s_load_dword s12, s[0:1], 0x0
	s_waitcnt lgkmcnt(0)
	v_mfma_f32_16x16x16_bf16 a[0:3], v[16:17], v[8:9], a[0:3]
	s_and_b64 vcc, exec, s[26:27]
	s_cbranch_vccz .LBB736_42
; %bb.32:
	v_lshlrev_b32_e32 v20, 1, v35
	s_and_b64 vcc, exec, s[6:7]
	s_cbranch_vccz .LBB736_43
; %bb.33:
	v_cmp_gt_i32_e32 vcc, s41, v20
	v_mov_b32_e32 v6, 0
	v_mov_b32_e32 v2, 0
	v_mov_b32_e32 v3, 0
	v_mov_b32_e32 v4, 0
	v_mov_b32_e32 v5, 0
	s_and_saveexec_b64 s[0:1], vcc
	s_cbranch_execz .LBB736_35
; %bb.34:
	v_mad_i64_i32 v[2:3], s[2:3], s15, v20, 0
	v_lshl_add_u64 v[2:3], v[2:3], 1, s[4:5]
	v_lshlrev_b32_e32 v4, 1, v18
	v_mov_b32_e32 v5, 0
	v_lshl_add_u64 v[2:3], v[2:3], 0, v[4:5]
	global_load_dwordx4 v[2:5], v[2:3], off
.LBB736_35:
	s_or_b64 exec, exec, s[0:1]
	v_or_b32_e32 v21, 1, v20
	v_cmp_gt_i32_e64 s[0:1], s41, v21
	v_mov_b32_e32 v7, 0
	v_mov_b32_e32 v8, 0
	v_mov_b32_e32 v9, 0
	s_and_saveexec_b64 s[2:3], s[0:1]
	s_cbranch_execz .LBB736_37
; %bb.36:
	v_mad_i64_i32 v[6:7], s[16:17], s15, v21, 0
	v_lshl_add_u64 v[6:7], v[6:7], 1, s[4:5]
	v_lshlrev_b32_e32 v8, 1, v18
	v_mov_b32_e32 v9, 0
	v_lshl_add_u64 v[6:7], v[6:7], 0, v[8:9]
	global_load_dwordx4 v[6:9], v[6:7], off
.LBB736_37:
	s_or_b64 exec, exec, s[2:3]
	v_mov_b32_e32 v17, 0
	v_mov_b32_e32 v10, 0
	;; [unrolled: 1-line block ×5, first 2 shown]
	s_and_saveexec_b64 s[2:3], vcc
	s_cbranch_execz .LBB736_39
; %bb.38:
	v_mad_i64_i32 v[10:11], s[16:17], s15, v20, 0
	v_lshl_add_u64 v[10:11], v[10:11], 1, s[4:5]
	v_lshlrev_b32_e32 v12, 1, v18
	v_mov_b32_e32 v13, 0
	v_lshl_add_u64 v[10:11], v[10:11], 0, v[12:13]
	global_load_dwordx4 v[10:13], v[10:11], off offset:128
.LBB736_39:
	s_or_b64 exec, exec, s[2:3]
	v_mov_b32_e32 v16, 0
	v_mov_b32_e32 v15, 0
	v_mov_b32_e32 v14, 0
	s_and_saveexec_b64 s[2:3], s[0:1]
	s_cbranch_execz .LBB736_41
; %bb.40:
	v_mad_i64_i32 v[14:15], s[0:1], s15, v21, 0
	v_lshl_add_u64 v[14:15], v[14:15], 1, s[4:5]
	v_lshlrev_b32_e32 v16, 1, v18
	v_mov_b32_e32 v17, 0
	v_lshl_add_u64 v[14:15], v[14:15], 0, v[16:17]
	global_load_dwordx4 v[14:17], v[14:15], off offset:128
.LBB736_41:
	s_or_b64 exec, exec, s[2:3]
	s_branch .LBB736_45
.LBB736_42:
                                        ; implicit-def: $vgpr5
                                        ; implicit-def: $vgpr9
                                        ; implicit-def: $vgpr13
                                        ; implicit-def: $vgpr17
	v_lshrrev_b32_e32 v37, 2, v58
	s_branch .LBB736_46
.LBB736_43:
                                        ; implicit-def: $vgpr5
                                        ; implicit-def: $vgpr9
                                        ; implicit-def: $vgpr13
                                        ; implicit-def: $vgpr17
	s_cbranch_execz .LBB736_45
; %bb.44:
	s_waitcnt vmcnt(0)
	v_mad_u64_u32 v[2:3], s[0:1], v20, s15, v[18:19]
	v_lshlrev_b32_e32 v20, 1, v2
	s_lshl_b32 s2, s15, 7
	s_and_b32 s1, s5, 0xffff
	s_mov_b32 s3, 0x20000
	s_mov_b32 s0, s4
	v_add_lshl_u32 v21, v2, s15, 1
	s_movk_i32 s13, 0x80
	buffer_load_dwordx4 v[2:5], v20, s[0:3], 0 offen
	buffer_load_dwordx4 v[10:13], v20, s[0:3], s13 offen
	;; [unrolled: 1-line block ×4, first 2 shown]
.LBB736_45:
	v_lshrrev_b32_e32 v37, 2, v58
	s_cbranch_execnz .LBB736_58
.LBB736_46:
	s_and_b64 vcc, exec, s[6:7]
	s_cbranch_vccz .LBB736_56
; %bb.47:
	s_waitcnt vmcnt(0)
	v_lshlrev_b32_e32 v7, 1, v35
	v_cmp_gt_i32_e32 vcc, s41, v7
	v_mov_b32_e32 v6, 0
	v_lshlrev_b32_e32 v14, 9, v35
	v_mov_b32_e32 v2, 0
	v_mov_b32_e32 v3, 0
	;; [unrolled: 1-line block ×4, first 2 shown]
	s_and_saveexec_b64 s[0:1], vcc
	s_cbranch_execz .LBB736_49
; %bb.48:
	v_mov_b32_e32 v15, 0
	v_lshl_add_u64 v[2:3], s[4:5], 0, v[14:15]
	v_lshlrev_b32_e32 v4, 1, v18
	v_mov_b32_e32 v5, v15
	v_lshl_add_u64 v[2:3], v[2:3], 0, v[4:5]
	global_load_dwordx4 v[2:5], v[2:3], off
.LBB736_49:
	s_or_b64 exec, exec, s[0:1]
	v_or_b32_e32 v7, 1, v7
	v_cmp_gt_i32_e64 s[0:1], s41, v7
	v_lshlrev_b32_e32 v20, 8, v7
	v_mov_b32_e32 v7, 0
	v_mov_b32_e32 v8, 0
	;; [unrolled: 1-line block ×3, first 2 shown]
	s_and_saveexec_b64 s[2:3], s[0:1]
	s_cbranch_execz .LBB736_51
; %bb.50:
	v_mov_b32_e32 v21, 0
	v_lshl_add_u64 v[6:7], s[4:5], 0, v[20:21]
	v_lshlrev_b32_e32 v8, 1, v18
	v_mov_b32_e32 v9, v21
	v_lshl_add_u64 v[6:7], v[6:7], 0, v[8:9]
	global_load_dwordx4 v[6:9], v[6:7], off
.LBB736_51:
	s_or_b64 exec, exec, s[2:3]
	v_mov_b32_e32 v17, 0
	v_mov_b32_e32 v10, 0
	;; [unrolled: 1-line block ×5, first 2 shown]
	s_and_saveexec_b64 s[2:3], vcc
	s_cbranch_execz .LBB736_53
; %bb.52:
	v_mov_b32_e32 v15, 0
	v_lshl_add_u64 v[10:11], s[4:5], 0, v[14:15]
	v_lshlrev_b32_e32 v14, 1, v18
	v_lshl_add_u64 v[10:11], v[10:11], 0, v[14:15]
	global_load_dwordx4 v[10:13], v[10:11], off offset:128
.LBB736_53:
	s_or_b64 exec, exec, s[2:3]
	v_mov_b32_e32 v16, 0
	v_mov_b32_e32 v15, 0
	;; [unrolled: 1-line block ×3, first 2 shown]
	s_and_saveexec_b64 s[2:3], s[0:1]
	s_cbranch_execz .LBB736_55
; %bb.54:
	v_mov_b32_e32 v21, 0
	v_lshl_add_u64 v[14:15], s[4:5], 0, v[20:21]
	v_lshlrev_b32_e32 v20, 1, v18
	v_lshl_add_u64 v[14:15], v[14:15], 0, v[20:21]
	global_load_dwordx4 v[14:17], v[14:15], off offset:128
.LBB736_55:
	s_or_b64 exec, exec, s[2:3]
	s_branch .LBB736_58
.LBB736_56:
                                        ; implicit-def: $vgpr5
                                        ; implicit-def: $vgpr9
                                        ; implicit-def: $vgpr13
                                        ; implicit-def: $vgpr17
	s_cbranch_execz .LBB736_58
; %bb.57:
	s_waitcnt vmcnt(0)
	v_lshlrev_b32_e32 v2, 1, v18
	v_lshl_or_b32 v18, v35, 9, v2
	s_and_b32 s5, s5, 0xffff
	s_mov_b32 s7, 0x20000
	s_movk_i32 s6, 0x4000
	s_movk_i32 s0, 0x80
	buffer_load_dwordx4 v[2:5], v18, s[4:7], 0 offen
	buffer_load_dwordx4 v[6:9], v18, s[4:7], 0 offen offset:256
	buffer_load_dwordx4 v[10:13], v18, s[4:7], s0 offen
	buffer_load_dwordx4 v[14:17], v18, s[4:7], s0 offen offset:256
.LBB736_58:
	ds_read2st64_b64 v[22:25], v19 offset0:76 offset1:77
	ds_read2st64_b64 v[18:21], v19 offset0:78 offset1:79
	ds_read_b64 v[30:31], v26 offset:24576
	ds_read_b64 v[32:33], v27 offset:24576
	;; [unrolled: 1-line block ×4, first 2 shown]
	v_and_b32_e32 v36, 6, v0
	v_xor_b32_e32 v35, v35, v36
	v_lshlrev_b32_e32 v35, 2, v35
	v_and_b32_e32 v0, 1, v0
	v_xor_b32_e32 v38, 0x440, v35
	v_cmp_eq_u32_e32 vcc, 0, v0
	s_mov_b32 s0, 0x1000504
	s_mov_b32 s1, 0x3020706
	v_cndmask_b32_e32 v0, v38, v35, vcc
	v_lshl_or_b32 v0, v36, 10, v0
	s_waitcnt vmcnt(0)
	v_perm_b32 v35, v2, v6, s0
	v_perm_b32 v36, v10, v14, s0
	ds_write2st64_b32 v0, v35, v36 offset1:32
	v_xor_b32_e32 v35, 8, v0
	v_perm_b32 v2, v2, v6, s1
	v_perm_b32 v6, v10, v14, s1
	v_add_u32_e32 v10, 0x80, v35
	ds_write2st64_b32 v10, v2, v6 offset1:32
	v_xor_b32_e32 v2, 16, v0
	v_perm_b32 v6, v3, v7, s0
	v_perm_b32 v10, v11, v15, s0
	ds_write2st64_b32 v2, v6, v10 offset0:1 offset1:33
	v_xor_b32_e32 v2, 24, v0
	v_perm_b32 v3, v3, v7, s1
	v_perm_b32 v6, v11, v15, s1
	v_add_u32_e32 v2, 0x80, v2
	ds_write2st64_b32 v2, v3, v6 offset0:1 offset1:33
	v_xor_b32_e32 v2, 32, v0
	v_perm_b32 v3, v4, v8, s0
	v_perm_b32 v6, v12, v16, s0
	ds_write2st64_b32 v2, v3, v6 offset0:2 offset1:34
	v_xor_b32_e32 v2, 40, v0
	v_perm_b32 v3, v4, v8, s1
	v_perm_b32 v4, v12, v16, s1
	v_add_u32_e32 v2, 0x80, v2
	ds_write2st64_b32 v2, v3, v4 offset0:2 offset1:34
	v_xor_b32_e32 v2, 48, v0
	v_perm_b32 v3, v5, v9, s0
	v_perm_b32 v4, v13, v17, s0
	v_xor_b32_e32 v0, 56, v0
	v_and_or_b32 v6, v37, 12, v45
	ds_write2st64_b32 v2, v3, v4 offset0:3 offset1:35
	v_perm_b32 v2, v5, v9, s1
	v_perm_b32 v3, v13, v17, s1
	v_add_u32_e32 v0, 0x80, v0
	v_cmp_gt_i32_e32 vcc, s41, v6
	v_mov_b32_e32 v7, 0
	v_mov_b32_e32 v11, 0
	ds_write2st64_b32 v0, v2, v3 offset0:3 offset1:35
	s_and_saveexec_b64 s[0:1], vcc
	s_cbranch_execz .LBB736_60
; %bb.59:
	v_add_u32_e32 v0, s40, v6
	v_ashrrev_i32_e32 v2, 31, v0
	v_mul_lo_u32 v4, v2, s28
	v_mul_lo_u32 v5, v0, s29
	v_mad_u64_u32 v[2:3], s[2:3], v0, s28, 0
	v_add3_u32 v3, v3, v5, v4
	v_lshl_add_u64 v[2:3], v[2:3], 2, s[10:11]
	global_load_dword v0, v[2:3], off
	s_waitcnt vmcnt(0)
	v_sub_f32_e32 v0, s12, v0
	v_mul_f32_e32 v0, 0x3fb8aa3b, v0
	v_exp_f32_e32 v11, v0
.LBB736_60:
	s_or_b64 exec, exec, s[0:1]
	v_or_b32_e32 v9, 1, v6
	v_cmp_gt_i32_e64 s[0:1], s41, v9
	s_and_saveexec_b64 s[2:3], s[0:1]
	s_cbranch_execz .LBB736_62
; %bb.61:
	v_add_u32_e32 v0, s40, v9
	v_ashrrev_i32_e32 v2, 31, v0
	v_mul_lo_u32 v4, v2, s28
	v_mul_lo_u32 v5, v0, s29
	v_mad_u64_u32 v[2:3], s[4:5], v0, s28, 0
	v_add3_u32 v3, v3, v5, v4
	v_lshl_add_u64 v[2:3], v[2:3], 2, s[10:11]
	global_load_dword v0, v[2:3], off
	s_waitcnt vmcnt(0)
	v_sub_f32_e32 v0, s12, v0
	v_mul_f32_e32 v0, 0x3fb8aa3b, v0
	v_exp_f32_e32 v7, v0
.LBB736_62:
	s_or_b64 exec, exec, s[2:3]
	v_or_b32_e32 v10, 2, v6
	v_cmp_gt_i32_e64 s[2:3], s41, v10
	v_mov_b32_e32 v8, 0
	v_mov_b32_e32 v13, 0
	s_and_saveexec_b64 s[4:5], s[2:3]
	s_cbranch_execz .LBB736_64
; %bb.63:
	v_add_u32_e32 v0, s40, v10
	v_ashrrev_i32_e32 v2, 31, v0
	v_mul_lo_u32 v4, v2, s28
	v_mul_lo_u32 v5, v0, s29
	v_mad_u64_u32 v[2:3], s[6:7], v0, s28, 0
	v_add3_u32 v3, v3, v5, v4
	v_lshl_add_u64 v[2:3], v[2:3], 2, s[10:11]
	global_load_dword v0, v[2:3], off
	s_waitcnt vmcnt(0)
	v_sub_f32_e32 v0, s12, v0
	v_mul_f32_e32 v0, 0x3fb8aa3b, v0
	v_exp_f32_e32 v13, v0
.LBB736_64:
	s_or_b64 exec, exec, s[4:5]
	v_or_b32_e32 v12, 3, v6
	v_cmp_gt_i32_e64 s[4:5], s41, v12
	s_and_saveexec_b64 s[6:7], s[4:5]
	s_cbranch_execz .LBB736_66
; %bb.65:
	v_add_u32_e32 v0, s40, v12
	v_ashrrev_i32_e32 v2, 31, v0
	v_mul_lo_u32 v4, v2, s28
	v_mul_lo_u32 v5, v0, s29
	v_mad_u64_u32 v[2:3], s[14:15], v0, s28, 0
	v_add3_u32 v3, v3, v5, v4
	v_lshl_add_u64 v[2:3], v[2:3], 2, s[10:11]
	global_load_dword v0, v[2:3], off
	s_waitcnt vmcnt(0)
	v_sub_f32_e32 v0, s12, v0
	v_mul_f32_e32 v0, 0x3fb8aa3b, v0
	v_exp_f32_e32 v8, v0
.LBB736_66:
	s_or_b64 exec, exec, s[6:7]
	s_waitcnt lgkmcnt(11)
	v_mfma_f32_16x16x16_bf16 a[0:3], v[30:31], v[22:23], a[0:3]
	v_or_b32_e32 v0, s30, v1
	s_add_u32 s6, s8, s24
	s_addc_u32 s7, s9, s25
	s_waitcnt lgkmcnt(10)
	v_mfma_f32_16x16x16_bf16 a[0:3], v[32:33], v[24:25], a[0:3]
	v_ashrrev_i32_e32 v1, 31, v0
	v_lshl_add_u64 v[4:5], v[0:1], 1, s[6:7]
	v_mov_b32_e32 v14, 0
	s_waitcnt lgkmcnt(9)
	v_mfma_f32_16x16x16_bf16 a[0:3], v[28:29], v[18:19], a[0:3]
	v_mov_b32_e32 v15, 0
	s_waitcnt lgkmcnt(8)
	v_mfma_f32_16x16x16_bf16 a[0:3], v[26:27], v[20:21], a[0:3]
	s_nop 6
	v_accvgpr_read_b32 v0, a0
	v_accvgpr_read_b32 v1, a1
	;; [unrolled: 1-line block ×4, first 2 shown]
	s_and_saveexec_b64 s[6:7], vcc
	s_cbranch_execz .LBB736_68
; %bb.67:
	v_lshlrev_b32_e32 v16, 8, v6
	v_mov_b32_e32 v17, 0
	v_lshl_add_u64 v[16:17], v[4:5], 0, v[16:17]
	global_load_ushort v15, v[16:17], off
	s_waitcnt vmcnt(0)
	v_lshlrev_b32_e32 v15, 16, v15
	v_sub_f32_e32 v0, v15, v0
	v_mul_f32_e32 v0, v11, v0
	v_lshrrev_b32_e32 v15, 16, v0
.LBB736_68:
	s_or_b64 exec, exec, s[6:7]
	s_and_saveexec_b64 s[6:7], s[0:1]
	s_cbranch_execz .LBB736_70
; %bb.69:
	v_lshlrev_b32_e32 v16, 8, v9
	v_mov_b32_e32 v17, 0
	v_lshl_add_u64 v[16:17], v[4:5], 0, v[16:17]
	global_load_ushort v0, v[16:17], off
	s_waitcnt vmcnt(0)
	v_lshlrev_b32_e32 v0, 16, v0
	v_sub_f32_e32 v0, v0, v1
	v_mul_f32_e32 v0, v7, v0
	v_lshrrev_b32_e32 v14, 16, v0
.LBB736_70:
	s_or_b64 exec, exec, s[6:7]
	v_mov_b32_e32 v0, 0
	v_mov_b32_e32 v1, 0
	s_and_saveexec_b64 s[0:1], s[2:3]
	s_cbranch_execz .LBB736_72
; %bb.71:
	v_lshlrev_b32_e32 v10, 8, v10
	v_mov_b32_e32 v11, 0
	v_lshl_add_u64 v[10:11], v[4:5], 0, v[10:11]
	global_load_ushort v1, v[10:11], off
	s_waitcnt vmcnt(0)
	v_lshlrev_b32_e32 v1, 16, v1
	v_sub_f32_e32 v1, v1, v2
	v_mul_f32_e32 v1, v13, v1
	v_lshrrev_b32_e32 v1, 16, v1
.LBB736_72:
	s_or_b64 exec, exec, s[0:1]
	s_and_saveexec_b64 s[0:1], s[4:5]
	s_cbranch_execz .LBB736_74
; %bb.73:
	v_lshlrev_b32_e32 v10, 8, v12
	v_mov_b32_e32 v11, 0
	v_lshl_add_u64 v[4:5], v[4:5], 0, v[10:11]
	global_load_ushort v0, v[4:5], off
	s_waitcnt vmcnt(0)
	v_lshlrev_b32_e32 v0, 16, v0
	v_sub_f32_e32 v0, v0, v3
	v_mul_f32_e32 v0, v8, v0
	v_lshrrev_b32_e32 v0, 16, v0
.LBB736_74:
	s_or_b64 exec, exec, s[0:1]
	s_mov_b32 s0, 0x5040100
	v_lshlrev_b32_e32 v2, 1, v34
	v_perm_b32 v1, v0, v1, s0
	v_perm_b32 v0, v14, v15, s0
	v_lshl_or_b32 v2, v6, 5, v2
	ds_write_b64 v2, v[0:1] offset:38912
	s_waitcnt lgkmcnt(0)
	s_barrier
.LBB736_75:
	s_endpgm
	.section	.rodata,"a",@progbits
	.p2align	6, 0x0
	.amdhsa_kernel _ZN12_GLOBAL__N_139chunk_gated_delta_rule_fwd_h_hip_kernelILi16ELb0ELb0ELb0ELb0ELb0ELb1ELb0ELb0EEEvPK12hip_bfloat16S3_S3_PKfS5_PKvPS1_S8_PvPKiSB_iiiiilll
		.amdhsa_group_segment_fixed_size 40960
		.amdhsa_private_segment_fixed_size 0
		.amdhsa_kernarg_size 136
		.amdhsa_user_sgpr_count 2
		.amdhsa_user_sgpr_dispatch_ptr 0
		.amdhsa_user_sgpr_queue_ptr 0
		.amdhsa_user_sgpr_kernarg_segment_ptr 1
		.amdhsa_user_sgpr_dispatch_id 0
		.amdhsa_user_sgpr_kernarg_preload_length 0
		.amdhsa_user_sgpr_kernarg_preload_offset 0
		.amdhsa_user_sgpr_private_segment_size 0
		.amdhsa_uses_dynamic_stack 0
		.amdhsa_enable_private_segment 0
		.amdhsa_system_sgpr_workgroup_id_x 1
		.amdhsa_system_sgpr_workgroup_id_y 1
		.amdhsa_system_sgpr_workgroup_id_z 0
		.amdhsa_system_sgpr_workgroup_info 0
		.amdhsa_system_vgpr_workitem_id 0
		.amdhsa_next_free_vgpr 128
		.amdhsa_next_free_sgpr 64
		.amdhsa_accum_offset 116
		.amdhsa_reserve_vcc 1
		.amdhsa_float_round_mode_32 0
		.amdhsa_float_round_mode_16_64 0
		.amdhsa_float_denorm_mode_32 3
		.amdhsa_float_denorm_mode_16_64 3
		.amdhsa_dx10_clamp 1
		.amdhsa_ieee_mode 1
		.amdhsa_fp16_overflow 0
		.amdhsa_tg_split 0
		.amdhsa_exception_fp_ieee_invalid_op 0
		.amdhsa_exception_fp_denorm_src 0
		.amdhsa_exception_fp_ieee_div_zero 0
		.amdhsa_exception_fp_ieee_overflow 0
		.amdhsa_exception_fp_ieee_underflow 0
		.amdhsa_exception_fp_ieee_inexact 0
		.amdhsa_exception_int_div_zero 0
	.end_amdhsa_kernel
	.section	.text._ZN12_GLOBAL__N_139chunk_gated_delta_rule_fwd_h_hip_kernelILi16ELb0ELb0ELb0ELb0ELb0ELb1ELb0ELb0EEEvPK12hip_bfloat16S3_S3_PKfS5_PKvPS1_S8_PvPKiSB_iiiiilll,"axG",@progbits,_ZN12_GLOBAL__N_139chunk_gated_delta_rule_fwd_h_hip_kernelILi16ELb0ELb0ELb0ELb0ELb0ELb1ELb0ELb0EEEvPK12hip_bfloat16S3_S3_PKfS5_PKvPS1_S8_PvPKiSB_iiiiilll,comdat
.Lfunc_end736:
	.size	_ZN12_GLOBAL__N_139chunk_gated_delta_rule_fwd_h_hip_kernelILi16ELb0ELb0ELb0ELb0ELb0ELb1ELb0ELb0EEEvPK12hip_bfloat16S3_S3_PKfS5_PKvPS1_S8_PvPKiSB_iiiiilll, .Lfunc_end736-_ZN12_GLOBAL__N_139chunk_gated_delta_rule_fwd_h_hip_kernelILi16ELb0ELb0ELb0ELb0ELb0ELb1ELb0ELb0EEEvPK12hip_bfloat16S3_S3_PKfS5_PKvPS1_S8_PvPKiSB_iiiiilll
                                        ; -- End function
	.section	.AMDGPU.csdata,"",@progbits
; Kernel info:
; codeLenInByte = 7460
; NumSgprs: 70
; NumVgprs: 114
; NumAgprs: 12
; TotalNumVgprs: 128
; ScratchSize: 0
; MemoryBound: 0
; FloatMode: 240
; IeeeMode: 1
; LDSByteSize: 40960 bytes/workgroup (compile time only)
; SGPRBlocks: 8
; VGPRBlocks: 15
; NumSGPRsForWavesPerEU: 70
; NumVGPRsForWavesPerEU: 128
; AccumOffset: 116
; Occupancy: 1
; WaveLimiterHint : 1
; COMPUTE_PGM_RSRC2:SCRATCH_EN: 0
; COMPUTE_PGM_RSRC2:USER_SGPR: 2
; COMPUTE_PGM_RSRC2:TRAP_HANDLER: 0
; COMPUTE_PGM_RSRC2:TGID_X_EN: 1
; COMPUTE_PGM_RSRC2:TGID_Y_EN: 1
; COMPUTE_PGM_RSRC2:TGID_Z_EN: 0
; COMPUTE_PGM_RSRC2:TIDIG_COMP_CNT: 0
; COMPUTE_PGM_RSRC3_GFX90A:ACCUM_OFFSET: 28
; COMPUTE_PGM_RSRC3_GFX90A:TG_SPLIT: 0
	.section	.text._ZN12_GLOBAL__N_139chunk_gated_delta_rule_fwd_h_hip_kernelILi16ELb1ELb1ELb1ELb1ELb0ELb0ELb1ELb0EEEvPK12hip_bfloat16S3_S3_PKfS5_PKvPS1_S8_PvPKiSB_iiiiilll,"axG",@progbits,_ZN12_GLOBAL__N_139chunk_gated_delta_rule_fwd_h_hip_kernelILi16ELb1ELb1ELb1ELb1ELb0ELb0ELb1ELb0EEEvPK12hip_bfloat16S3_S3_PKfS5_PKvPS1_S8_PvPKiSB_iiiiilll,comdat
	.globl	_ZN12_GLOBAL__N_139chunk_gated_delta_rule_fwd_h_hip_kernelILi16ELb1ELb1ELb1ELb1ELb0ELb0ELb1ELb0EEEvPK12hip_bfloat16S3_S3_PKfS5_PKvPS1_S8_PvPKiSB_iiiiilll ; -- Begin function _ZN12_GLOBAL__N_139chunk_gated_delta_rule_fwd_h_hip_kernelILi16ELb1ELb1ELb1ELb1ELb0ELb0ELb1ELb0EEEvPK12hip_bfloat16S3_S3_PKfS5_PKvPS1_S8_PvPKiSB_iiiiilll
	.p2align	8
	.type	_ZN12_GLOBAL__N_139chunk_gated_delta_rule_fwd_h_hip_kernelILi16ELb1ELb1ELb1ELb1ELb0ELb0ELb1ELb0EEEvPK12hip_bfloat16S3_S3_PKfS5_PKvPS1_S8_PvPKiSB_iiiiilll,@function
_ZN12_GLOBAL__N_139chunk_gated_delta_rule_fwd_h_hip_kernelILi16ELb1ELb1ELb1ELb1ELb0ELb0ELb1ELb0EEEvPK12hip_bfloat16S3_S3_PKfS5_PKvPS1_S8_PvPKiSB_iiiiilll: ; @_ZN12_GLOBAL__N_139chunk_gated_delta_rule_fwd_h_hip_kernelILi16ELb1ELb1ELb1ELb1ELb0ELb0ELb1ELb0EEEvPK12hip_bfloat16S3_S3_PKfS5_PKvPS1_S8_PvPKiSB_iiiiilll
; %bb.0:
	s_load_dwordx4 s[20:23], s[0:1], 0x5c
	s_load_dwordx4 s[4:7], s[0:1], 0x48
	s_abs_i32 s9, s3
	s_ashr_i32 s8, s3, 31
	v_and_b32_e32 v56, 15, v0
	s_waitcnt lgkmcnt(0)
	s_abs_i32 s10, s21
	v_cvt_f32_u32_e32 v1, s10
	s_sub_i32 s12, 0, s10
	s_ashr_i32 s11, s21, 31
	s_xor_b32 s8, s8, s11
	v_rcp_iflag_f32_e32 v1, v1
	v_bfe_u32 v55, v0, 4, 2
	v_mov_b32_e32 v45, 0
	v_lshlrev_b32_e32 v57, 3, v0
	v_mul_f32_e32 v1, 0x4f7ffffe, v1
	v_cvt_u32_f32_e32 v1, v1
	s_nop 0
	v_readfirstlane_b32 s13, v1
	s_mul_i32 s12, s12, s13
	s_mul_hi_u32 s12, s13, s12
	s_add_i32 s13, s13, s12
	s_mul_hi_u32 s12, s9, s13
	s_mul_i32 s13, s12, s10
	s_sub_i32 s9, s9, s13
	s_add_i32 s14, s12, 1
	s_sub_i32 s13, s9, s10
	s_cmp_ge_u32 s9, s10
	s_cselect_b32 s12, s14, s12
	s_cselect_b32 s9, s13, s9
	s_add_i32 s13, s12, 1
	s_cmp_ge_u32 s9, s10
	s_cselect_b32 s9, s13, s12
	s_xor_b32 s9, s9, s8
	s_sub_i32 s24, s9, s8
	s_mul_i32 s12, s24, s21
	s_ashr_i32 s25, s24, 31
	s_sub_i32 s51, s3, s12
	s_lshl_b64 s[8:9], s[24:25], 2
	s_add_u32 s4, s4, s8
	s_addc_u32 s5, s5, s9
	s_add_u32 s26, s6, s8
	s_addc_u32 s27, s7, s9
	s_abs_i32 s3, s22
	v_cvt_f32_u32_e32 v1, s3
	s_load_dwordx2 s[38:39], s[4:5], 0x0
	s_sub_i32 s5, 0, s3
	s_lshl_b32 s2, s2, 4
	v_rcp_iflag_f32_e32 v1, v1
	v_or_b32_e32 v46, s2, v56
	s_waitcnt lgkmcnt(0)
	s_sub_i32 s54, s39, s38
	s_ashr_i32 s4, s54, 31
	v_mul_f32_e32 v1, 0x4f7ffffe, v1
	v_cvt_u32_f32_e32 v1, v1
	s_lshr_b32 s4, s4, 26
	s_add_i32 s4, s54, s4
	s_ashr_i32 s52, s4, 6
	v_readfirstlane_b32 s6, v1
	s_mul_i32 s5, s5, s6
	s_mul_hi_u32 s5, s6, s5
	s_add_i32 s6, s6, s5
	s_mul_hi_u32 s5, s10, s6
	s_mul_i32 s6, s5, s3
	s_ashr_i32 s4, s22, 31
	s_sub_i32 s6, s10, s6
	s_xor_b32 s4, s11, s4
	s_add_i32 s7, s5, 1
	s_sub_i32 s8, s6, s3
	s_cmp_ge_u32 s6, s3
	s_cselect_b32 s5, s7, s5
	s_cselect_b32 s6, s8, s6
	s_add_i32 s7, s5, 1
	s_cmp_ge_u32 s6, s3
	s_cselect_b32 s3, s7, s5
	s_xor_b32 s3, s3, s4
	s_sub_i32 s3, s3, s4
	s_abs_i32 s13, s3
	v_cvt_f32_u32_e32 v1, s13
	s_sub_i32 s15, 0, s13
	s_abs_i32 s14, s51
	s_xor_b32 s3, s51, s3
	v_rcp_iflag_f32_e32 v2, v1
	s_ashr_i32 s3, s3, 31
	s_load_dwordx8 s[4:11], s[0:1], 0x28
	v_lshrrev_b32_e32 v1, 6, v0
	v_mul_f32_e32 v2, 0x4f7ffffe, v2
	v_cvt_u32_f32_e32 v2, v2
	v_lshlrev_b32_e32 v54, 4, v1
	v_lshlrev_b32_e32 v42, 7, v46
	v_lshl_or_b32 v59, v55, 2, v54
	v_readfirstlane_b32 s16, v2
	s_mul_i32 s15, s15, s16
	s_mul_hi_u32 s15, s16, s15
	s_add_i32 s16, s16, s15
	s_mul_hi_u32 s15, s14, s16
	s_mul_i32 s16, s15, s13
	s_sub_i32 s14, s14, s16
	s_add_i32 s16, s15, 1
	s_sub_i32 s17, s14, s13
	s_cmp_ge_u32 s14, s13
	s_cselect_b32 s15, s16, s15
	s_cselect_b32 s14, s17, s14
	s_add_i32 s16, s15, 1
	s_cmp_ge_u32 s14, s13
	s_cselect_b32 s13, s16, s15
	s_xor_b32 s13, s13, s3
	s_sub_i32 s55, s13, s3
	s_ashr_i32 s53, s51, 31
	s_mul_hi_i32 s3, s24, s21
	s_add_u32 s12, s12, s51
	s_addc_u32 s13, s3, s53
	s_lshl_b64 s[34:35], s[12:13], 16
	s_waitcnt lgkmcnt(0)
	s_add_u32 s4, s4, s34
	s_addc_u32 s5, s5, s35
	v_ashrrev_i32_e32 v43, 31, v42
	v_lshl_add_u64 v[2:3], v[42:43], 2, s[4:5]
	v_lshlrev_b32_e32 v44, 2, v59
	v_lshl_add_u64 v[10:11], v[2:3], 0, v[44:45]
	global_load_dwordx4 v[2:5], v[10:11], off
	global_load_dwordx4 v[6:9], v[10:11], off offset:256
	s_load_dwordx8 s[12:19], s[0:1], 0x0
	s_load_dwordx2 s[36:37], s[0:1], 0x80
	s_load_dwordx4 s[28:31], s[0:1], 0x70
	s_load_dword s58, s[26:27], 0x0
	v_and_b32_e32 v45, 63, v0
	v_lshrrev_b32_e32 v58, 3, v45
	v_or_b32_e32 v60, 64, v59
	s_waitcnt lgkmcnt(0)
	s_mul_i32 s33, s24, s29
	s_mul_hi_u32 s46, s24, s28
	s_mul_i32 s42, s24, s28
	s_mul_i32 s47, s25, s28
	s_mul_hi_i32 s56, s51, s20
	s_mul_i32 s57, s51, s20
	s_mul_i32 s48, s51, s31
	s_mul_hi_u32 s49, s51, s30
	s_mul_i32 s50, s53, s30
	s_cmp_lt_i32 s54, 64
	s_mul_i32 s40, s51, s30
	s_waitcnt vmcnt(1)
	v_mov_b32_e32 v62, v5
	s_waitcnt vmcnt(0)
	v_mov_b32_e32 v61, v9
	s_cbranch_scc1 .LBB737_3
; %bb.1:
	s_ashr_i32 s1, s38, 31
	s_add_u32 s0, s57, s38
	s_addc_u32 s1, s56, s1
	s_lshl_b64 s[0:1], s[0:1], 8
	v_and_b32_e32 v64, 56, v57
	s_add_u32 s24, s14, s0
	v_lshl_or_b32 v63, v1, 3, v58
	v_lshlrev_b32_e32 v5, 1, v64
	s_addc_u32 s0, s15, s1
	v_lshl_or_b32 v65, v63, 8, v5
	s_and_b32 s25, s0, 0xffff
	s_mov_b32 s27, 0x20000
	s_movk_i32 s26, 0x4000
	s_movk_i32 s0, 0x80
	v_or_b32_e32 v66, 0x2000, v65
	buffer_load_dwordx4 v[10:13], v65, s[24:27], 0 offen
	buffer_load_dwordx4 v[14:17], v65, s[24:27], s0 offen
	;; [unrolled: 1-line block ×4, first 2 shown]
	v_lshlrev_b32_e32 v9, 3, v63
	v_and_or_b32 v27, v0, 7, v9
	v_and_b32_e32 v9, 0x78, v9
	v_lshlrev_b32_e32 v27, 4, v27
	v_xor_b32_e32 v67, v27, v9
	v_mul_lo_u32 v26, v63, s23
	v_or_b32_e32 v68, 0x1000, v67
	v_xor_b32_e32 v9, 8, v67
	s_cmpk_eq_i32 s23, 0x80
	s_mov_b32 s59, s38
	v_xor_b32_e32 v27, 8, v68
	s_cselect_b64 s[0:1], -1, 0
	s_cmpk_lg_i32 s23, 0x80
	s_waitcnt vmcnt(3)
	ds_write_b64 v67, v[10:11] offset:16384
	ds_write_b64 v9, v[12:13] offset:16384
	s_waitcnt vmcnt(2)
	ds_write_b64 v67, v[14:15] offset:24576
	ds_write_b64 v9, v[16:17] offset:24576
	;; [unrolled: 3-line block ×4, first 2 shown]
	v_lshl_add_u32 v9, v26, 1, v64
	s_cbranch_scc0 .LBB737_29
; %bb.2:
	v_lshlrev_b32_e32 v11, 1, v9
	v_add_lshl_u32 v10, v9, s23, 1
	s_lshl_b32 s26, s23, 7
	v_lshl_or_b32 v5, v63, 9, v5
	s_cbranch_execz .LBB737_30
	s_branch .LBB737_31
.LBB737_3:
	v_mov_b32_e32 v9, v61
	v_mov_b32_e32 v5, v62
.LBB737_4:
	s_lshl_b32 s31, s52, 6
	s_sub_i32 s30, s54, s31
	s_cmp_gt_i32 s30, 0
	s_cbranch_scc0 .LBB737_76
; %bb.5:
	s_add_i32 s31, s31, s38
	s_ashr_i32 s3, s31, 31
	s_cmpk_lg_i32 s23, 0x80
	s_cselect_b64 s[26:27], -1, 0
	s_and_b64 vcc, exec, s[26:27]
	s_cbranch_vccz .LBB737_7
; %bb.6:
	s_mul_i32 s1, s31, s22
	s_ashr_i32 s4, s55, 31
	s_mul_hi_i32 s0, s31, s22
	s_add_u32 s28, s1, s55
	s_addc_u32 s29, s0, s4
	s_cbranch_execz .LBB737_8
	s_branch .LBB737_9
.LBB737_7:
                                        ; implicit-def: $sgpr28_sgpr29
.LBB737_8:
	s_mul_i32 s1, s55, s20
	s_mul_hi_i32 s0, s55, s20
	s_add_u32 s28, s1, s31
	s_addc_u32 s29, s0, s3
.LBB737_9:
	s_add_i32 s4, s52, s58
	s_add_u32 s0, s57, s31
	s_addc_u32 s1, s56, s3
	s_mov_b32 s3, 0x7060302
	v_lshlrev_b32_e32 v14, 3, v56
	s_lshl_b64 s[24:25], s[0:1], 8
	v_perm_b32 v11, v5, v4, s3
	v_perm_b32 v10, v3, v2, s3
	;; [unrolled: 1-line block ×4, first 2 shown]
	v_lshlrev_b32_e32 v48, 2, v56
	v_lshl_or_b32 v14, v59, 5, v14
	s_add_u32 s0, s14, s24
	ds_write2st64_b64 v14, v[10:11], v[12:13] offset0:72 offset1:76
	v_xor_b32_e32 v14, v59, v48
	v_lshlrev_b32_e32 v15, 8, v56
	s_addc_u32 s1, s15, s25
	v_lshl_or_b32 v14, v14, 1, v15
	s_mul_hi_i32 s3, s4, s21
	s_mul_i32 s4, s4, s21
	ds_write_b64 v14, v[10:11] offset:32768
	v_xor_b32_e32 v10, v60, v48
	s_add_u32 s4, s4, s51
	v_lshl_or_b32 v10, v10, 1, v15
	s_addc_u32 s5, s3, s53
	v_lshlrev_b32_e32 v11, 1, v56
	ds_write_b64 v10, v[12:13] offset:32768
	v_lshrrev_b32_e32 v10, 4, v0
	s_ashr_i32 s3, s2, 31
	s_lshl_b64 s[4:5], s[4:5], 15
	v_or_b32_e32 v12, 1, v11
	s_add_u32 s4, s6, s4
	v_xor_b32_e32 v11, v10, v11
	v_xor_b32_e32 v12, v12, v10
	v_lshlrev_b32_e32 v14, 8, v10
	s_addc_u32 s5, s7, s5
	s_lshl_b64 s[2:3], s[2:3], 8
	v_lshl_or_b32 v10, v11, 3, v14
	v_lshl_or_b32 v12, v12, 3, v14
	s_waitcnt lgkmcnt(0)
	s_barrier
	s_add_u32 s2, s4, s2
	ds_read_b64 v[10:11], v10 offset:32768
	ds_read_b64 v[12:13], v12 offset:32768
	s_addc_u32 s3, s5, s3
	v_mov_b32_e32 v15, 0
	s_cmp_lg_u32 s30, 64
	v_lshl_add_u64 v[16:17], s[2:3], 0, v[14:15]
	v_lshlrev_b32_e32 v14, 4, v56
	s_cselect_b64 s[14:15], -1, 0
	v_lshl_or_b32 v47, v1, 3, v58
	s_mov_b32 s4, 0
	v_lshl_add_u64 v[14:15], v[16:17], 0, v[14:15]
	s_waitcnt vmcnt(1)
	v_or_b32_e32 v27, 32, v47
	v_and_b32_e32 v26, 56, v57
	s_and_b64 vcc, exec, s[14:15]
	s_waitcnt lgkmcnt(0)
	global_store_dwordx4 v[14:15], v[10:13], off
	s_cbranch_vccz .LBB737_15
; %bb.10:
	s_mov_b32 s6, s4
	s_mov_b32 s7, s4
	;; [unrolled: 1-line block ×3, first 2 shown]
	v_mov_b64_e32 v[16:17], s[6:7]
	v_mov_b64_e32 v[14:15], s[4:5]
	;; [unrolled: 1-line block ×3, first 2 shown]
	v_cmp_gt_i32_e32 vcc, s30, v47
	v_mov_b64_e32 v[12:13], v[16:17]
	s_and_saveexec_b64 s[2:3], vcc
	s_cbranch_execz .LBB737_12
; %bb.11:
	v_lshlrev_b32_e32 v10, 8, v47
	v_mov_b32_e32 v11, 0
	v_lshl_add_u64 v[12:13], s[0:1], 0, v[10:11]
	v_lshlrev_b32_e32 v10, 1, v26
	v_lshl_add_u64 v[18:19], v[12:13], 0, v[10:11]
	global_load_dwordx4 v[14:17], v[18:19], off
	global_load_dwordx4 v[10:13], v[18:19], off offset:128
.LBB737_12:
	s_or_b64 exec, exec, s[2:3]
	s_mov_b32 s6, s4
	s_mov_b32 s7, s4
	;; [unrolled: 1-line block ×3, first 2 shown]
	v_mov_b64_e32 v[24:25], s[6:7]
	v_mov_b64_e32 v[22:23], s[4:5]
	;; [unrolled: 1-line block ×3, first 2 shown]
	v_cmp_gt_i32_e32 vcc, s30, v27
	v_lshlrev_b32_e32 v28, 7, v27
	v_mov_b64_e32 v[20:21], v[24:25]
	s_and_saveexec_b64 s[2:3], vcc
	s_cbranch_execz .LBB737_14
; %bb.13:
	v_lshlrev_b32_e32 v18, 1, v28
	v_mov_b32_e32 v19, 0
	v_lshl_add_u64 v[20:21], s[0:1], 0, v[18:19]
	v_lshlrev_b32_e32 v18, 1, v26
	v_lshl_add_u64 v[30:31], v[20:21], 0, v[18:19]
	global_load_dwordx4 v[22:25], v[30:31], off
	global_load_dwordx4 v[18:21], v[30:31], off offset:128
.LBB737_14:
	s_or_b64 exec, exec, s[2:3]
	v_lshrrev_b32_e32 v29, 3, v26
	v_lshlrev_b32_e32 v30, 3, v47
	v_or_b32_e32 v29, v30, v29
	v_lshlrev_b32_e32 v29, 4, v29
	v_and_b32_e32 v30, 0x78, v30
	v_xor_b32_e32 v29, v29, v30
	s_branch .LBB737_17
.LBB737_15:
                                        ; implicit-def: $vgpr29
                                        ; implicit-def: $vgpr28
                                        ; implicit-def: $vgpr14_vgpr15_vgpr16_vgpr17
                                        ; implicit-def: $vgpr10_vgpr11_vgpr12_vgpr13
                                        ; implicit-def: $vgpr22_vgpr23_vgpr24_vgpr25
                                        ; implicit-def: $vgpr18_vgpr19_vgpr20_vgpr21
	s_cbranch_execz .LBB737_17
; %bb.16:
	s_waitcnt vmcnt(0)
	v_lshlrev_b32_e32 v10, 1, v26
	v_lshl_or_b32 v28, v47, 8, v10
	s_and_b32 s1, s1, 0xffff
	s_mov_b32 s3, 0x20000
	s_movk_i32 s2, 0x4000
	v_lshl_or_b32 v29, v27, 8, v10
	s_movk_i32 s4, 0x80
	buffer_load_dwordx4 v[14:17], v28, s[0:3], 0 offen
	buffer_load_dwordx4 v[10:13], v28, s[0:3], s4 offen
	;; [unrolled: 1-line block ×4, first 2 shown]
	v_lshrrev_b32_e32 v28, 3, v26
	v_lshlrev_b32_e32 v29, 3, v47
	v_or_b32_e32 v28, v29, v28
	v_lshlrev_b32_e32 v28, 4, v28
	v_and_b32_e32 v29, 0x78, v29
	v_xor_b32_e32 v29, v28, v29
	v_lshlrev_b32_e32 v28, 7, v27
.LBB737_17:
	s_lshl_b64 s[0:1], s[28:29], 8
	s_add_u32 s4, s12, s0
	s_movk_i32 s0, 0x1000
	v_and_or_b32 v27, v28, s0, v29
	s_waitcnt vmcnt(1)
	ds_write_b64 v29, v[14:15] offset:16384
	v_xor_b32_e32 v14, 8, v29
	ds_write_b64 v14, v[16:17] offset:16384
	s_waitcnt vmcnt(0)
	ds_write_b64 v29, v[10:11] offset:24576
	ds_write_b64 v14, v[12:13] offset:24576
	;; [unrolled: 1-line block ×3, first 2 shown]
	v_xor_b32_e32 v10, 8, v27
	ds_write_b64 v10, v[24:25] offset:16384
	ds_write_b64 v27, v[18:19] offset:24576
	;; [unrolled: 1-line block ×3, first 2 shown]
	v_or_b32_e32 v10, v54, v56
	v_lshlrev_b32_e32 v10, 3, v10
	v_lshrrev_b32_e32 v12, 5, v45
	s_movk_i32 s6, 0xf8
	v_and_or_b32 v12, v10, s6, v12
	v_lshlrev_b32_e32 v49, 11, v1
	v_lshlrev_b32_e32 v20, 4, v12
	v_and_b32_e32 v21, 0x78, v10
	v_and_b32_e32 v22, 0x1000, v49
	v_lshlrev_b32_e32 v11, 2, v0
	v_xor_b32_e32 v10, v20, v21
	v_lshrrev_b32_e32 v12, 1, v45
	v_and_b32_e32 v11, 60, v11
	v_or_b32_e32 v10, v10, v22
	v_and_b32_e32 v23, 8, v12
	v_xor_b32_e32 v34, v10, v23
	v_lshl_or_b32 v10, v55, 6, v11
	v_lshlrev_b32_e32 v50, 1, v10
	v_or_b32_e32 v10, 32, v20
	v_xor_b32_e32 v10, v10, v21
	s_waitcnt lgkmcnt(0)
	s_barrier
	ds_read_b64 v[18:19], v34 offset:16384
	v_or_b32_e32 v10, v10, v22
	v_xor_b32_e32 v35, v10, v23
	v_or_b32_e32 v10, 64, v20
	v_xor_b32_e32 v10, v10, v21
	v_or_b32_e32 v10, v10, v22
	v_or_b32_e32 v20, 0x60, v20
	v_xor_b32_e32 v36, v10, v23
	ds_read2st64_b64 v[10:13], v50 offset0:72 offset1:73
	ds_read2st64_b64 v[14:17], v50 offset0:74 offset1:75
	v_xor_b32_e32 v24, v20, v21
	ds_read_b64 v[20:21], v35 offset:16384
	s_addc_u32 s5, s13, s1
	s_add_i32 s1, s46, s33
	s_waitcnt lgkmcnt(2)
	v_mfma_f32_16x16x16_bf16 a[0:3], v[18:19], v[10:11], 0
	s_add_i32 s0, s39, -1
	s_add_i32 s43, s1, s47
	s_add_i32 s1, s49, s48
	;; [unrolled: 1-line block ×3, first 2 shown]
	s_ashr_i32 s1, s0, 31
	s_mul_i32 s2, s0, s37
	s_mul_hi_u32 s3, s0, s36
	s_add_i32 s2, s3, s2
	s_mul_i32 s1, s1, s36
	v_or_b32_e32 v22, v24, v22
	s_add_i32 s1, s2, s1
	s_lshl_b64 s[2:3], s[42:43], 2
	v_xor_b32_e32 v51, v22, v23
	ds_read_b64 v[22:23], v36 offset:16384
	ds_read_b64 v[24:25], v51 offset:16384
	s_waitcnt lgkmcnt(2)
	v_mfma_f32_16x16x16_bf16 a[0:3], v[20:21], v[12:13], a[0:3]
	s_add_u32 s6, s18, s2
	s_addc_u32 s7, s19, s3
	s_lshl_b64 s[2:3], s[40:41], 2
	s_mul_i32 s0, s0, s36
	s_add_u32 s12, s6, s2
	s_addc_u32 s13, s7, s3
	s_lshl_b64 s[0:1], s[0:1], 2
	s_waitcnt lgkmcnt(1)
	v_mfma_f32_16x16x16_bf16 a[0:3], v[22:23], v[14:15], a[0:3]
	s_add_u32 s0, s12, s0
	s_addc_u32 s1, s13, s1
	s_load_dword s18, s[0:1], 0x0
	s_waitcnt lgkmcnt(0)
	v_mfma_f32_16x16x16_bf16 a[0:3], v[24:25], v[16:17], a[0:3]
	s_and_b64 vcc, exec, s[26:27]
	s_cbranch_vccz .LBB737_28
; %bb.18:
	v_lshlrev_b32_e32 v27, 1, v47
	s_and_b64 vcc, exec, s[14:15]
	s_cbranch_vccz .LBB737_44
; %bb.19:
	v_cmp_gt_i32_e32 vcc, s30, v27
	v_mov_b32_e32 v14, 0
	v_mov_b32_e32 v10, 0
	;; [unrolled: 1-line block ×5, first 2 shown]
	s_and_saveexec_b64 s[0:1], vcc
	s_cbranch_execz .LBB737_21
; %bb.20:
	v_mad_i64_i32 v[10:11], s[2:3], s23, v27, 0
	v_lshl_add_u64 v[10:11], v[10:11], 1, s[4:5]
	v_lshlrev_b32_e32 v12, 1, v26
	v_mov_b32_e32 v13, 0
	v_lshl_add_u64 v[10:11], v[10:11], 0, v[12:13]
	global_load_dwordx4 v[10:13], v[10:11], off
.LBB737_21:
	s_or_b64 exec, exec, s[0:1]
	v_or_b32_e32 v28, 1, v27
	v_cmp_gt_i32_e64 s[0:1], s30, v28
	v_mov_b32_e32 v15, 0
	v_mov_b32_e32 v16, 0
	;; [unrolled: 1-line block ×3, first 2 shown]
	s_and_saveexec_b64 s[2:3], s[0:1]
	s_cbranch_execz .LBB737_23
; %bb.22:
	v_mad_i64_i32 v[14:15], s[6:7], s23, v28, 0
	v_lshl_add_u64 v[14:15], v[14:15], 1, s[4:5]
	v_lshlrev_b32_e32 v16, 1, v26
	v_mov_b32_e32 v17, 0
	v_lshl_add_u64 v[14:15], v[14:15], 0, v[16:17]
	global_load_dwordx4 v[14:17], v[14:15], off
.LBB737_23:
	s_or_b64 exec, exec, s[2:3]
	v_mov_b32_e32 v25, 0
	v_mov_b32_e32 v18, 0
	;; [unrolled: 1-line block ×5, first 2 shown]
	s_and_saveexec_b64 s[2:3], vcc
	s_cbranch_execz .LBB737_25
; %bb.24:
	v_mad_i64_i32 v[18:19], s[6:7], s23, v27, 0
	v_lshl_add_u64 v[18:19], v[18:19], 1, s[4:5]
	v_lshlrev_b32_e32 v20, 1, v26
	v_mov_b32_e32 v21, 0
	v_lshl_add_u64 v[18:19], v[18:19], 0, v[20:21]
	global_load_dwordx4 v[18:21], v[18:19], off offset:128
.LBB737_25:
	s_or_b64 exec, exec, s[2:3]
	v_mov_b32_e32 v24, 0
	v_mov_b32_e32 v23, 0
	;; [unrolled: 1-line block ×3, first 2 shown]
	s_and_saveexec_b64 s[2:3], s[0:1]
	s_cbranch_execz .LBB737_27
; %bb.26:
	v_mad_i64_i32 v[22:23], s[0:1], s23, v28, 0
	v_lshl_add_u64 v[22:23], v[22:23], 1, s[4:5]
	v_lshlrev_b32_e32 v24, 1, v26
	v_mov_b32_e32 v25, 0
	v_lshl_add_u64 v[22:23], v[22:23], 0, v[24:25]
	global_load_dwordx4 v[22:25], v[22:23], off offset:128
.LBB737_27:
	s_or_b64 exec, exec, s[2:3]
	s_branch .LBB737_46
.LBB737_28:
                                        ; implicit-def: $vgpr13
                                        ; implicit-def: $vgpr17
                                        ; implicit-def: $vgpr21
                                        ; implicit-def: $vgpr25
	v_lshrrev_b32_e32 v45, 2, v45
	s_branch .LBB737_47
.LBB737_29:
                                        ; implicit-def: $vgpr10
                                        ; implicit-def: $vgpr11
                                        ; implicit-def: $sgpr26
	v_lshl_or_b32 v5, v63, 9, v5
.LBB737_30:
	v_or_b32_e32 v10, 0x100, v5
	s_movk_i32 s26, 0x4000
	v_mov_b32_e32 v11, v5
.LBB737_31:
	s_mul_i32 s4, s38, s22
	s_ashr_i32 s60, s55, 31
	s_mul_hi_i32 s3, s38, s22
	s_add_u32 s4, s4, s55
	s_addc_u32 s5, s3, s60
	s_lshl_b64 s[4:5], s[4:5], 8
	s_add_u32 s24, s12, s4
	s_addc_u32 s3, s13, s5
	s_and_b32 s25, s3, 0xffff
	s_movk_i32 s61, 0x80
	buffer_load_dwordx4 v[12:15], v11, s[24:27], 0 offen
	buffer_load_dwordx4 v[16:19], v11, s[24:27], s61 offen
	;; [unrolled: 1-line block ×4, first 2 shown]
	v_and_b32_e32 v10, 6, v0
	v_lshlrev_b32_e32 v28, 2, v56
	v_lshlrev_b32_e32 v29, 3, v56
	v_xor_b32_e32 v32, v63, v10
	v_and_b32_e32 v11, 1, v0
	v_lshl_or_b32 v29, v59, 5, v29
	v_xor_b32_e32 v33, v59, v28
	v_lshlrev_b32_e32 v32, 2, v32
	v_or_b32_e32 v69, 0x9000, v29
	v_or_b32_e32 v70, 0x9800, v29
	v_lshlrev_b32_e32 v29, 1, v33
	v_xor_b32_e32 v33, 0x440, v32
	v_cmp_eq_u32_e32 vcc, 0, v11
	s_add_i32 s3, s46, s33
	s_add_i32 s4, s49, s48
	v_cndmask_b32_e32 v11, v33, v32, vcc
	s_add_i32 s43, s3, s47
	v_lshl_or_b32 v10, v10, 10, v11
	s_add_i32 s41, s4, s50
	s_lshl_b64 s[4:5], s[42:43], 2
	s_mov_b32 s62, 0x1000504
	v_lshlrev_b32_e32 v30, 8, v56
	s_mov_b32 s26, 0x8000
	v_xor_b32_e32 v28, v60, v28
	v_xor_b32_e32 v11, 8, v10
	s_add_u32 s3, s18, s4
	s_mov_b32 s63, 0x3020706
	v_or_b32_e32 v31, v54, v56
	v_lshlrev_b32_e32 v28, 1, v28
	v_or3_b32 v71, v29, v30, s26
	v_xor_b32_e32 v29, 24, v10
	v_xor_b32_e32 v32, 40, v10
	;; [unrolled: 1-line block ×3, first 2 shown]
	v_add_u32_e32 v11, 0x80, v11
	s_addc_u32 s24, s19, s5
	s_lshl_b64 s[4:5], s[40:41], 2
	v_lshlrev_b32_e32 v31, 3, v31
	v_or3_b32 v72, v28, v30, s26
	v_xor_b32_e32 v28, 16, v10
	v_xor_b32_e32 v30, 32, v10
	;; [unrolled: 1-line block ×3, first 2 shown]
	v_add_u32_e32 v29, 0x80, v29
	v_add_u32_e32 v32, 0x80, v32
	;; [unrolled: 1-line block ×3, first 2 shown]
	s_add_u32 s4, s3, s4
	s_movk_i32 s3, 0xf8
	s_addc_u32 s5, s24, s5
	v_ashrrev_i32_e32 v47, 31, v46
	s_lshl_b32 s30, s23, 7
	s_mov_b32 s64, 0
	v_mov_b32_e32 v86, 0x3fb8aa3b
	s_waitcnt vmcnt(1)
	v_perm_b32 v35, v12, v20, s62
	s_waitcnt vmcnt(0)
	v_perm_b32 v36, v16, v24, s62
	v_perm_b32 v12, v12, v20, s63
	;; [unrolled: 1-line block ×15, first 2 shown]
	ds_write2st64_b32 v10, v35, v36 offset1:32
	ds_write2st64_b32 v11, v12, v16 offset1:32
	ds_write2st64_b32 v28, v20, v24 offset0:1 offset1:33
	ds_write2st64_b32 v29, v13, v17 offset0:1 offset1:33
	;; [unrolled: 1-line block ×6, first 2 shown]
	v_lshrrev_b32_e32 v11, 5, v45
	v_and_or_b32 v11, v31, s3, v11
	v_lshlrev_b32_e32 v11, 4, v11
	v_lshlrev_b32_e32 v18, 11, v1
	v_and_b32_e32 v12, 0x78, v31
	v_or_b32_e32 v15, 32, v11
	v_and_b32_e32 v10, 0x1000, v18
	v_lshrrev_b32_e32 v19, 1, v0
	v_xor_b32_e32 v15, v15, v12
	v_and_b32_e32 v14, 8, v19
	v_or_b32_e32 v15, v15, v10
	v_xor_b32_e32 v13, v11, v12
	v_xor_b32_e32 v75, v15, v14
	v_or_b32_e32 v15, 64, v11
	v_or_b32_e32 v11, 0x60, v11
	v_xor_b32_e32 v15, v15, v12
	v_xor_b32_e32 v11, v11, v12
	v_or_b32_e32 v13, v13, v10
	v_or_b32_e32 v15, v15, v10
	;; [unrolled: 1-line block ×3, first 2 shown]
	v_xor_b32_e32 v73, v13, v14
	v_xor_b32_e32 v76, v15, v14
	;; [unrolled: 1-line block ×3, first 2 shown]
	v_lshrrev_b32_e32 v14, 4, v0
	v_lshlrev_b32_e32 v15, 1, v56
	s_ashr_i32 s3, s2, 31
	v_or_b32_e32 v16, 1, v15
	v_xor_b32_e32 v15, v14, v15
	s_lshl_b64 s[24:25], s[2:3], 8
	v_xor_b32_e32 v16, v16, v14
	v_lshlrev_b32_e32 v15, 3, v15
	v_lshlrev_b32_e32 v14, 8, v14
	v_lshlrev_b64 v[10:11], 1, v[46:47]
	s_add_u32 s24, s6, s24
	v_or3_b32 v47, v15, v14, s26
	v_lshlrev_b32_e32 v15, 3, v16
	s_addc_u32 s25, s7, s25
	v_or3_b32 v79, v15, v14, s26
	v_mov_b32_e32 v15, 0
	v_lshl_add_u64 v[16:17], s[24:25], 0, v[14:15]
	v_lshlrev_b32_e32 v14, 4, v56
	s_movk_i32 s3, 0xff
	v_lshlrev_b32_e32 v23, 3, v1
	v_and_b32_e32 v19, 24, v19
	v_lshl_add_u64 v[48:49], v[16:17], 0, v[14:15]
	v_and_b32_e32 v16, 8, v0
	v_cmp_lt_u32_e32 vcc, s3, v0
	v_xor_b32_e32 v24, v23, v19
	v_or_b32_e32 v25, 0x440, v24
	v_cndmask_b32_e64 v22, 0, 1, vcc
	v_cmp_eq_u32_e32 vcc, 0, v16
	v_and_b32_e32 v14, 7, v0
	v_lshlrev_b32_e32 v17, 3, v14
	v_cndmask_b32_e32 v16, v25, v24, vcc
	v_lshlrev_b32_e32 v14, 7, v14
	v_or_b32_e32 v16, v16, v18
	v_xad_u32 v80, v16, v17, v14
	v_or_b32_e32 v16, 32, v19
	v_xor_b32_e32 v16, v23, v16
	v_or_b32_e32 v24, 0x440, v16
	v_cndmask_b32_e32 v16, v24, v16, vcc
	v_or_b32_e32 v16, v16, v18
	v_xad_u32 v81, v16, v17, v14
	v_or_b32_e32 v16, 64, v19
	v_xor_b32_e32 v16, v23, v16
	v_xor_b32_e32 v24, 0x440, v16
	v_cndmask_b32_e32 v16, v24, v16, vcc
	v_or_b32_e32 v16, v16, v18
	v_xad_u32 v82, v16, v17, v14
	v_or_b32_e32 v16, 0x60, v19
	v_xor_b32_e32 v16, v23, v16
	v_xor_b32_e32 v19, 0x440, v16
	v_and_b32_e32 v13, 0x78, v57
	v_cndmask_b32_e32 v16, v19, v16, vcc
	v_lshl_or_b32 v13, v55, 7, v13
	v_or_b32_e32 v16, v16, v18
	v_or_b32_e32 v74, 0x9000, v13
	;; [unrolled: 1-line block ×3, first 2 shown]
	v_lshl_add_u64 v[12:13], s[16:17], 0, v[10:11]
	v_lshl_add_u64 v[10:11], s[8:9], 0, v[10:11]
	v_lshlrev_b32_e32 v20, 1, v9
	v_add_lshl_u32 v9, v9, s23, 1
	v_or_b32_e32 v21, 0x100, v5
	v_lshlrev_b32_e32 v22, 13, v22
	v_xad_u32 v83, v16, v17, v14
	v_lshlrev_b32_e32 v14, 8, v59
	v_cndmask_b32_e64 v84, v20, v5, s[0:1]
	v_cndmask_b32_e64 v85, v9, v21, s[0:1]
	v_lshl_add_u64 v[50:51], v[12:13], 0, v[14:15]
	v_lshl_add_u64 v[52:53], v[10:11], 0, v[14:15]
	s_mov_b32 s3, 0x7060302
	s_movk_i32 s26, 0x4000
	v_add_u32_e32 v87, v22, v80
	v_add_u32_e32 v88, v22, v81
	;; [unrolled: 1-line block ×4, first 2 shown]
	s_waitcnt lgkmcnt(0)
	s_barrier
.LBB737_32:                             ; =>This Inner Loop Header: Depth=1
	s_add_i32 s41, s64, 1
	s_cmp_lt_i32 s41, s52
	s_mov_b64 s[28:29], 0
	s_cselect_b64 s[44:45], -1, 0
	s_cmp_ge_i32 s41, s52
	s_mov_b64 s[24:25], 0
	s_cbranch_scc1 .LBB737_34
; %bb.33:                               ;   in Loop: Header=BB737_32 Depth=1
	s_add_i32 s0, s59, 64
	s_ashr_i32 s1, s0, 31
	s_add_u32 s0, s57, s0
	s_addc_u32 s1, s56, s1
	s_lshl_b64 s[0:1], s[0:1], 8
	s_add_u32 s24, s14, s0
	s_addc_u32 s25, s15, s1
.LBB737_34:                             ;   in Loop: Header=BB737_32 Depth=1
	v_cndmask_b32_e64 v5, 0, 1, s[44:45]
	v_cmp_ne_u32_e64 s[0:1], 1, v5
	s_andn2_b64 vcc, exec, s[44:45]
	s_cbranch_vccnz .LBB737_36
; %bb.35:                               ;   in Loop: Header=BB737_32 Depth=1
	s_add_i32 s28, s59, 64
	s_mul_hi_i32 s29, s28, s22
	s_mul_i32 s28, s28, s22
	s_add_u32 s28, s28, s55
	s_addc_u32 s29, s29, s60
	s_lshl_b64 s[28:29], s[28:29], 8
	s_add_u32 s28, s12, s28
	s_addc_u32 s29, s13, s29
.LBB737_36:                             ;   in Loop: Header=BB737_32 Depth=1
	v_perm_b32 v11, v62, v4, s3
	v_perm_b32 v10, v3, v2, s3
	;; [unrolled: 1-line block ×4, first 2 shown]
	ds_write_b64 v69, v[10:11]
	ds_write_b64 v70, v[12:13]
	;; [unrolled: 1-line block ×4, first 2 shown]
	s_waitcnt lgkmcnt(0)
	s_barrier
	ds_read_b64 v[18:19], v73 offset:16384
	ds_read_b64 v[20:21], v75 offset:16384
	ds_read2st64_b64 v[10:13], v74 offset1:1
	s_waitcnt lgkmcnt(0)
	v_mfma_f32_16x16x16_bf16 a[0:3], v[18:19], v[10:11], 0
	ds_read2st64_b64 v[14:17], v74 offset0:2 offset1:3
	ds_read_b64 v[22:23], v76 offset:16384
	ds_read_b64 v[10:11], v77 offset:16384
	s_add_i32 s31, s59, 63
	v_mfma_f32_16x16x16_bf16 a[0:3], v[20:21], v[12:13], a[0:3]
	s_ashr_i32 s43, s31, 31
	s_mul_i32 s44, s31, s37
	s_mul_hi_u32 s45, s31, s36
	s_waitcnt lgkmcnt(1)
	v_mfma_f32_16x16x16_bf16 a[0:3], v[22:23], v[14:15], a[0:3]
	s_add_i32 s44, s45, s44
	s_mul_i32 s43, s43, s36
	s_add_i32 s45, s44, s43
	s_mul_i32 s44, s31, s36
	s_waitcnt lgkmcnt(0)
	v_mfma_f32_16x16x16_bf16 a[0:3], v[10:11], v[16:17], a[0:3]
	s_lshl_b64 s[44:45], s[44:45], 2
	s_add_u32 s44, s4, s44
	s_addc_u32 s45, s5, s45
	s_and_b64 vcc, exec, s[0:1]
	v_mov_b32_e32 v91, 0
	v_mov_b32_e32 v9, 0
	;; [unrolled: 1-line block ×19, first 2 shown]
	s_cbranch_vccnz .LBB737_38
; %bb.37:                               ;   in Loop: Header=BB737_32 Depth=1
	s_and_b32 s25, s25, 0xffff
	buffer_load_dwordx4 v[22:25], v65, s[24:27], 0 offen
	buffer_load_dwordx4 v[18:21], v65, s[24:27], s61 offen
	;; [unrolled: 1-line block ×4, first 2 shown]
	v_mov_b32_e32 v9, v67
	v_mov_b32_e32 v5, v68
.LBB737_38:                             ;   in Loop: Header=BB737_32 Depth=1
	s_waitcnt vmcnt(3)
	v_add_u32_e32 v30, s59, v59
	s_waitcnt vmcnt(1)
	v_ashrrev_i32_e32 v26, 31, v30
	v_mul_lo_u32 v28, v26, s36
	v_mul_lo_u32 v29, v30, s37
	v_mad_u64_u32 v[26:27], s[24:25], v30, s36, 0
	v_add3_u32 v27, v27, v29, v28
	v_lshl_add_u64 v[26:27], v[26:27], 2, s[4:5]
	global_load_dword v93, v[26:27], off
	v_add_u32_e32 v26, 1, v30
	v_ashrrev_i32_e32 v27, 31, v26
	v_mul_lo_u32 v28, v27, s36
	v_mul_lo_u32 v29, v26, s37
	v_mad_u64_u32 v[26:27], s[24:25], v26, s36, 0
	v_add3_u32 v27, v27, v29, v28
	v_add_u32_e32 v28, 2, v30
	v_ashrrev_i32_e32 v29, 31, v28
	v_mul_lo_u32 v31, v29, s36
	v_mul_lo_u32 v32, v28, s37
	v_mad_u64_u32 v[28:29], s[24:25], v28, s36, 0
	v_add_u32_e32 v30, 3, v30
	v_add3_u32 v29, v29, v32, v31
	v_ashrrev_i32_e32 v31, 31, v30
	v_mul_lo_u32 v34, v31, s36
	v_mul_lo_u32 v35, v30, s37
	v_mad_u64_u32 v[30:31], s[24:25], v30, s36, 0
	s_ashr_i32 s25, s59, 31
	s_add_u32 s24, s57, s59
	s_addc_u32 s25, s56, s25
	s_lshl_b64 s[66:67], s[24:25], 8
	v_lshl_add_u64 v[26:27], v[26:27], 2, s[4:5]
	v_lshl_add_u64 v[32:33], v[50:51], 0, s[66:67]
	v_add3_u32 v31, v31, v35, v34
	v_lshl_add_u64 v[28:29], v[28:29], 2, s[4:5]
	global_load_ushort v94, v[32:33], off
	global_load_ushort v95, v[32:33], off offset:256
	global_load_ushort v96, v[32:33], off offset:512
	;; [unrolled: 1-line block ×3, first 2 shown]
	v_lshl_add_u64 v[30:31], v[30:31], 2, s[4:5]
	global_load_dword v98, v[26:27], off
	global_load_dword v99, v[28:29], off
	;; [unrolled: 1-line block ×3, first 2 shown]
	ds_read_b64 v[30:31], v73 offset:24576
	ds_read_b64 v[36:37], v75 offset:24576
	ds_read2st64_b64 v[26:29], v78 offset1:1
	s_waitcnt lgkmcnt(0)
	v_mfma_f32_16x16x16_bf16 a[0:3], v[30:31], v[26:27], a[0:3]
	s_load_dword s24, s[44:45], 0x0
	ds_read2st64_b64 v[32:35], v78 offset0:2 offset1:3
	ds_read_b64 v[38:39], v76 offset:24576
	ds_read_b64 v[40:41], v77 offset:24576
	v_mov_b32_e32 v92, 0
	v_mfma_f32_16x16x16_bf16 a[0:3], v[36:37], v[28:29], a[0:3]
	v_mov_b32_e32 v26, 0
	v_mov_b32_e32 v27, 0
	;; [unrolled: 1-line block ×3, first 2 shown]
	s_waitcnt lgkmcnt(0)
	v_mfma_f32_16x16x16_bf16 a[0:3], v[38:39], v[32:33], a[0:3]
	v_lshl_add_u64 v[32:33], v[52:53], 0, s[66:67]
	v_mov_b32_e32 v29, 0
	v_mov_b32_e32 v30, 0
	v_mfma_f32_16x16x16_bf16 a[0:3], v[40:41], v[34:35], a[0:3]
	v_mov_b32_e32 v31, 0
	s_and_b64 vcc, exec, s[0:1]
	s_waitcnt vmcnt(7)
	v_sub_f32_e32 v93, s24, v93
	s_nop 2
	v_accvgpr_read_b32 v37, a1
	v_accvgpr_read_b32 v35, a3
	;; [unrolled: 1-line block ×4, first 2 shown]
	v_mul_f32_e32 v93, 0x3fb8aa3b, v93
	s_waitcnt vmcnt(6)
	v_lshlrev_b32_e32 v38, 16, v94
	s_waitcnt vmcnt(5)
	v_lshlrev_b32_e32 v39, 16, v95
	;; [unrolled: 2-line block ×4, first 2 shown]
	s_waitcnt vmcnt(2)
	v_sub_f32_e32 v94, s24, v98
	s_waitcnt vmcnt(1)
	v_sub_f32_e32 v95, s24, v99
	s_waitcnt vmcnt(0)
	v_sub_f32_e32 v96, s24, v100
	v_pk_add_f32 v[36:37], v[38:39], v[36:37] neg_lo:[0,1] neg_hi:[0,1]
	v_pk_add_f32 v[34:35], v[40:41], v[34:35] neg_lo:[0,1] neg_hi:[0,1]
	v_mul_f32_e32 v39, 0x3fb8aa3b, v94
	v_mul_f32_e32 v40, 0x3fb8aa3b, v95
	;; [unrolled: 1-line block ×3, first 2 shown]
	v_exp_f32_e32 v38, v93
	v_exp_f32_e32 v39, v39
	;; [unrolled: 1-line block ×4, first 2 shown]
	global_store_short_d16_hi v[32:33], v36, off
	global_store_short_d16_hi v[32:33], v37, off offset:256
	global_store_short_d16_hi v[32:33], v34, off offset:512
	;; [unrolled: 1-line block ×3, first 2 shown]
	v_pk_mul_f32 v[32:33], v[38:39], v[36:37]
	v_pk_mul_f32 v[34:35], v[40:41], v[34:35]
	v_mov_b32_e32 v36, 0
	v_perm_b32 v35, v35, v34, s3
	v_perm_b32 v34, v33, v32, s3
	ds_write_b64 v70, v[34:35]
	v_mov_b32_e32 v32, 0
	v_mov_b32_e32 v33, 0
	;; [unrolled: 1-line block ×9, first 2 shown]
	s_cbranch_vccnz .LBB737_40
; %bb.39:                               ;   in Loop: Header=BB737_32 Depth=1
	s_and_b32 s29, s29, 0xffff
	s_mov_b32 s31, s27
	buffer_load_dwordx4 v[38:41], v84, s[28:31], 0 offen
	buffer_load_dwordx4 v[30:33], v84, s[28:31], s61 offen
	;; [unrolled: 1-line block ×4, first 2 shown]
	v_mov_b32_e32 v91, v64
	v_mov_b32_e32 v92, v63
.LBB737_40:                             ;   in Loop: Header=BB737_32 Depth=1
	s_waitcnt lgkmcnt(0)
	s_barrier
	ds_read_b64 v[102:103], v87
	ds_read2st64_b64 v[94:97], v78 offset1:1
	ds_read2st64_b64 v[98:101], v78 offset0:2 offset1:3
	ds_read_b64 v[104:105], v88
	ds_read_b64 v[106:107], v89
	;; [unrolled: 1-line block ×3, first 2 shown]
	s_waitcnt lgkmcnt(4)
	v_mfma_f32_16x16x16_bf16 a[0:3], v[102:103], v[94:95], 0
	ds_read_b64 v[102:103], v80 offset:8192
	ds_read_b64 v[110:111], v81 offset:8192
	s_add_i32 s25, s58, s64
	s_mul_hi_i32 s29, s25, s21
	s_waitcnt lgkmcnt(1)
	v_mfma_f32_16x16x16_bf16 a[4:7], v[102:103], v[94:95], 0
	s_mul_i32 s25, s25, s21
	s_add_u32 s28, s25, s51
	s_addc_u32 s29, s29, s53
	v_mfma_f32_16x16x16_bf16 a[0:3], v[104:105], v[96:97], a[0:3]
	ds_read_b64 v[102:103], v47
	ds_read_b64 v[104:105], v79
	ds_read_b64 v[94:95], v82 offset:8192
	s_lshl_b64 s[28:29], s[28:29], 15
	v_mfma_f32_16x16x16_bf16 a[0:3], v[106:107], v[98:99], a[0:3]
	ds_read_b64 v[106:107], v83 offset:8192
	s_and_b64 vcc, exec, s[0:1]
	s_waitcnt lgkmcnt(4)
	v_mfma_f32_16x16x16_bf16 a[4:7], v[110:111], v[96:97], a[4:7]
	s_waitcnt lgkmcnt(1)
	v_mfma_f32_16x16x16_bf16 a[4:7], v[94:95], v[98:99], a[4:7]
	v_lshl_add_u64 v[94:95], v[48:49], 0, s[28:29]
	global_store_dwordx4 v[94:95], v[102:105], off
	v_mfma_f32_16x16x16_bf16 a[0:3], v[108:109], v[100:101], a[0:3]
	s_waitcnt lgkmcnt(0)
	v_mfma_f32_16x16x16_bf16 a[4:7], v[106:107], v[100:101], a[4:7]
	s_cbranch_vccnz .LBB737_42
; %bb.41:                               ;   in Loop: Header=BB737_32 Depth=1
	v_lshrrev_b32_e32 v93, 3, v91
	v_and_b32_e32 v93, 6, v93
	v_xor_b32_e32 v92, v93, v92
	v_lshlrev_b32_e32 v92, 2, v92
	v_and_b32_e32 v91, 8, v91
	v_xor_b32_e32 v94, 0x440, v92
	v_cmp_eq_u32_e32 vcc, 0, v91
	s_barrier
	s_nop 0
	v_cndmask_b32_e32 v91, v94, v92, vcc
	v_lshl_or_b32 v91, v93, 10, v91
	s_waitcnt vmcnt(2)
	v_perm_b32 v92, v38, v34, s62
	s_waitcnt vmcnt(1)
	v_perm_b32 v93, v30, v26, s62
	ds_write2st64_b32 v91, v92, v93 offset1:32
	v_xor_b32_e32 v92, 8, v91
	v_perm_b32 v34, v38, v34, s63
	v_perm_b32 v26, v30, v26, s63
	v_add_u32_e32 v30, 0x80, v92
	ds_write2st64_b32 v30, v34, v26 offset1:32
	v_xor_b32_e32 v26, 16, v91
	v_perm_b32 v30, v39, v35, s62
	v_perm_b32 v34, v31, v27, s62
	ds_write2st64_b32 v26, v30, v34 offset0:1 offset1:33
	v_xor_b32_e32 v26, 24, v91
	v_perm_b32 v30, v39, v35, s63
	v_perm_b32 v27, v31, v27, s63
	v_add_u32_e32 v26, 0x80, v26
	ds_write2st64_b32 v26, v30, v27 offset0:1 offset1:33
	v_xor_b32_e32 v26, 32, v91
	v_perm_b32 v27, v40, v36, s62
	v_perm_b32 v30, v32, v28, s62
	ds_write2st64_b32 v26, v27, v30 offset0:2 offset1:34
	v_xor_b32_e32 v26, 40, v91
	v_perm_b32 v27, v40, v36, s63
	v_perm_b32 v28, v32, v28, s63
	v_add_u32_e32 v26, 0x80, v26
	ds_write2st64_b32 v26, v27, v28 offset0:2 offset1:34
	v_xor_b32_e32 v26, 48, v91
	v_perm_b32 v27, v41, v37, s62
	v_perm_b32 v28, v33, v29, s62
	ds_write2st64_b32 v26, v27, v28 offset0:3 offset1:35
	v_xor_b32_e32 v26, 56, v91
	v_perm_b32 v27, v41, v37, s63
	v_perm_b32 v28, v33, v29, s63
	v_add_u32_e32 v26, 0x80, v26
	ds_write2st64_b32 v26, v27, v28 offset0:3 offset1:35
	ds_write_b64 v9, v[22:23] offset:16384
	v_xor_b32_e32 v22, 8, v9
	ds_write_b64 v22, v[24:25] offset:16384
	ds_write_b64 v9, v[18:19] offset:24576
	;; [unrolled: 1-line block ×4, first 2 shown]
	v_xor_b32_e32 v9, 8, v5
	ds_write_b64 v9, v[16:17] offset:16384
	ds_write_b64 v5, v[10:11] offset:24576
	;; [unrolled: 1-line block ×3, first 2 shown]
.LBB737_42:                             ;   in Loop: Header=BB737_32 Depth=1
	v_mul_f32_e32 v5, s24, v86
	v_exp_f32_e32 v10, v5
	s_nop 1
	v_accvgpr_read_b32 v9, a1
	v_accvgpr_read_b32 v5, a0
	s_add_i32 s59, s59, 64
	v_fma_f32 v3, v3, v10, v9
	v_accvgpr_read_b32 v9, a4
	v_fma_f32 v6, v6, v10, v9
	v_accvgpr_read_b32 v9, a5
	;; [unrolled: 2-line block ×6, first 2 shown]
	v_fmac_f32_e32 v5, v62, v10
	s_cmp_eq_u32 s52, s41
	v_fmac_f32_e32 v9, v61, v10
	s_cbranch_scc1 .LBB737_4
; %bb.43:                               ;   in Loop: Header=BB737_32 Depth=1
	s_mov_b32 s64, s41
	v_mov_b32_e32 v62, v5
	v_mov_b32_e32 v61, v9
	s_branch .LBB737_32
.LBB737_44:
                                        ; implicit-def: $vgpr13
                                        ; implicit-def: $vgpr17
                                        ; implicit-def: $vgpr21
                                        ; implicit-def: $vgpr25
	s_cbranch_execz .LBB737_46
; %bb.45:
	s_waitcnt vmcnt(0)
	v_mad_u64_u32 v[10:11], s[0:1], v27, s23, v[26:27]
	v_lshlrev_b32_e32 v27, 1, v10
	s_lshl_b32 s2, s23, 7
	s_and_b32 s1, s5, 0xffff
	s_mov_b32 s3, 0x20000
	s_mov_b32 s0, s4
	v_add_lshl_u32 v28, v10, s23, 1
	s_movk_i32 s6, 0x80
	buffer_load_dwordx4 v[10:13], v27, s[0:3], 0 offen
	buffer_load_dwordx4 v[18:21], v27, s[0:3], s6 offen
	buffer_load_dwordx4 v[14:17], v28, s[0:3], 0 offen
	buffer_load_dwordx4 v[22:25], v28, s[0:3], s6 offen
.LBB737_46:
	v_lshrrev_b32_e32 v45, 2, v45
	s_cbranch_execnz .LBB737_59
.LBB737_47:
	s_and_b64 vcc, exec, s[14:15]
	s_cbranch_vccz .LBB737_57
; %bb.48:
	s_waitcnt vmcnt(0)
	v_lshlrev_b32_e32 v15, 1, v47
	v_cmp_gt_i32_e32 vcc, s30, v15
	v_mov_b32_e32 v14, 0
	v_lshlrev_b32_e32 v22, 9, v47
	v_mov_b32_e32 v10, 0
	v_mov_b32_e32 v11, 0
	;; [unrolled: 1-line block ×4, first 2 shown]
	s_and_saveexec_b64 s[0:1], vcc
	s_cbranch_execz .LBB737_50
; %bb.49:
	v_mov_b32_e32 v23, 0
	v_lshl_add_u64 v[10:11], s[4:5], 0, v[22:23]
	v_lshlrev_b32_e32 v12, 1, v26
	v_mov_b32_e32 v13, v23
	v_lshl_add_u64 v[10:11], v[10:11], 0, v[12:13]
	global_load_dwordx4 v[10:13], v[10:11], off
.LBB737_50:
	s_or_b64 exec, exec, s[0:1]
	v_or_b32_e32 v15, 1, v15
	v_cmp_gt_i32_e64 s[0:1], s30, v15
	v_lshlrev_b32_e32 v28, 8, v15
	v_mov_b32_e32 v15, 0
	v_mov_b32_e32 v16, 0
	;; [unrolled: 1-line block ×3, first 2 shown]
	s_and_saveexec_b64 s[2:3], s[0:1]
	s_cbranch_execz .LBB737_52
; %bb.51:
	v_mov_b32_e32 v29, 0
	v_lshl_add_u64 v[14:15], s[4:5], 0, v[28:29]
	v_lshlrev_b32_e32 v16, 1, v26
	v_mov_b32_e32 v17, v29
	v_lshl_add_u64 v[14:15], v[14:15], 0, v[16:17]
	global_load_dwordx4 v[14:17], v[14:15], off
.LBB737_52:
	s_or_b64 exec, exec, s[2:3]
	v_mov_b32_e32 v25, 0
	v_mov_b32_e32 v18, 0
	;; [unrolled: 1-line block ×5, first 2 shown]
	s_and_saveexec_b64 s[2:3], vcc
	s_cbranch_execz .LBB737_54
; %bb.53:
	v_mov_b32_e32 v23, 0
	v_lshl_add_u64 v[18:19], s[4:5], 0, v[22:23]
	v_lshlrev_b32_e32 v22, 1, v26
	v_lshl_add_u64 v[18:19], v[18:19], 0, v[22:23]
	global_load_dwordx4 v[18:21], v[18:19], off offset:128
.LBB737_54:
	s_or_b64 exec, exec, s[2:3]
	v_mov_b32_e32 v24, 0
	v_mov_b32_e32 v23, 0
	v_mov_b32_e32 v22, 0
	s_and_saveexec_b64 s[2:3], s[0:1]
	s_cbranch_execz .LBB737_56
; %bb.55:
	v_mov_b32_e32 v29, 0
	v_lshl_add_u64 v[22:23], s[4:5], 0, v[28:29]
	v_lshlrev_b32_e32 v28, 1, v26
	v_lshl_add_u64 v[22:23], v[22:23], 0, v[28:29]
	global_load_dwordx4 v[22:25], v[22:23], off offset:128
.LBB737_56:
	s_or_b64 exec, exec, s[2:3]
	s_branch .LBB737_59
.LBB737_57:
                                        ; implicit-def: $vgpr13
                                        ; implicit-def: $vgpr17
                                        ; implicit-def: $vgpr21
                                        ; implicit-def: $vgpr25
	s_cbranch_execz .LBB737_59
; %bb.58:
	s_waitcnt vmcnt(0)
	v_lshlrev_b32_e32 v10, 1, v26
	v_lshl_or_b32 v26, v47, 9, v10
	s_and_b32 s5, s5, 0xffff
	s_mov_b32 s7, 0x20000
	s_movk_i32 s6, 0x4000
	s_movk_i32 s0, 0x80
	buffer_load_dwordx4 v[10:13], v26, s[4:7], 0 offen
	buffer_load_dwordx4 v[14:17], v26, s[4:7], 0 offen offset:256
	buffer_load_dwordx4 v[18:21], v26, s[4:7], s0 offen
	buffer_load_dwordx4 v[22:25], v26, s[4:7], s0 offen offset:256
.LBB737_59:
	ds_read2st64_b64 v[30:33], v50 offset0:76 offset1:77
	ds_read2st64_b64 v[26:29], v50 offset0:78 offset1:79
	ds_read_b64 v[40:41], v34 offset:24576
	ds_read_b64 v[38:39], v35 offset:24576
	ds_read_b64 v[36:37], v36 offset:24576
	ds_read_b64 v[34:35], v51 offset:24576
	v_and_b32_e32 v51, 6, v0
	v_xor_b32_e32 v47, v47, v51
	v_lshlrev_b32_e32 v47, 2, v47
	v_and_b32_e32 v52, 1, v0
	v_xor_b32_e32 v53, 0x440, v47
	v_cmp_eq_u32_e32 vcc, 0, v52
	s_mov_b32 s0, 0x1000504
	s_waitcnt vmcnt(0)
	v_perm_b32 v52, v18, v22, s0
	v_cndmask_b32_e32 v47, v53, v47, vcc
	v_lshl_or_b32 v47, v51, 10, v47
	v_perm_b32 v51, v10, v14, s0
	ds_write2st64_b32 v47, v51, v52 offset1:32
	v_xor_b32_e32 v51, 8, v47
	s_mov_b32 s1, 0x3020706
	v_perm_b32 v10, v10, v14, s1
	v_perm_b32 v14, v18, v22, s1
	v_add_u32_e32 v18, 0x80, v51
	ds_write2st64_b32 v18, v10, v14 offset1:32
	v_xor_b32_e32 v10, 16, v47
	v_perm_b32 v14, v11, v15, s0
	v_perm_b32 v18, v19, v23, s0
	ds_write2st64_b32 v10, v14, v18 offset0:1 offset1:33
	v_xor_b32_e32 v10, 24, v47
	v_perm_b32 v11, v11, v15, s1
	v_perm_b32 v14, v19, v23, s1
	v_add_u32_e32 v10, 0x80, v10
	ds_write2st64_b32 v10, v11, v14 offset0:1 offset1:33
	v_xor_b32_e32 v10, 32, v47
	v_perm_b32 v11, v12, v16, s0
	v_perm_b32 v14, v20, v24, s0
	ds_write2st64_b32 v10, v11, v14 offset0:2 offset1:34
	v_xor_b32_e32 v10, 40, v47
	v_perm_b32 v11, v12, v16, s1
	v_perm_b32 v12, v20, v24, s1
	v_add_u32_e32 v10, 0x80, v10
	ds_write2st64_b32 v10, v11, v12 offset0:2 offset1:34
	v_xor_b32_e32 v10, 48, v47
	v_perm_b32 v11, v13, v17, s0
	v_perm_b32 v12, v21, v25, s0
	ds_write2st64_b32 v10, v11, v12 offset0:3 offset1:35
	v_xor_b32_e32 v10, 56, v47
	v_and_or_b32 v18, v45, 12, v54
	v_perm_b32 v11, v13, v17, s1
	v_perm_b32 v12, v21, v25, s1
	v_add_u32_e32 v10, 0x80, v10
	v_cmp_gt_i32_e32 vcc, s30, v18
	v_mov_b32_e32 v20, 0
	v_mov_b32_e32 v24, 0
	ds_write2st64_b32 v10, v11, v12 offset0:3 offset1:35
	s_and_saveexec_b64 s[0:1], vcc
	s_cbranch_execz .LBB737_61
; %bb.60:
	v_add_u32_e32 v10, s31, v18
	v_ashrrev_i32_e32 v11, 31, v10
	v_mul_lo_u32 v12, v11, s36
	v_mul_lo_u32 v13, v10, s37
	v_mad_u64_u32 v[10:11], s[2:3], v10, s36, 0
	v_add3_u32 v11, v11, v13, v12
	v_lshl_add_u64 v[10:11], v[10:11], 2, s[12:13]
	global_load_dword v10, v[10:11], off
	s_waitcnt vmcnt(0)
	v_sub_f32_e32 v10, s18, v10
	v_mul_f32_e32 v10, 0x3fb8aa3b, v10
	v_exp_f32_e32 v24, v10
.LBB737_61:
	s_or_b64 exec, exec, s[0:1]
	v_or_b32_e32 v23, 1, v18
	v_cmp_gt_i32_e64 s[4:5], s30, v23
	s_and_saveexec_b64 s[0:1], s[4:5]
	s_cbranch_execz .LBB737_63
; %bb.62:
	v_add_u32_e32 v10, s31, v23
	v_ashrrev_i32_e32 v11, 31, v10
	v_mul_lo_u32 v12, v11, s36
	v_mul_lo_u32 v13, v10, s37
	v_mad_u64_u32 v[10:11], s[2:3], v10, s36, 0
	v_add3_u32 v11, v11, v13, v12
	v_lshl_add_u64 v[10:11], v[10:11], 2, s[12:13]
	global_load_dword v10, v[10:11], off
	s_waitcnt vmcnt(0)
	v_sub_f32_e32 v10, s18, v10
	v_mul_f32_e32 v10, 0x3fb8aa3b, v10
	v_exp_f32_e32 v20, v10
.LBB737_63:
	s_or_b64 exec, exec, s[0:1]
	v_or_b32_e32 v21, 2, v18
	v_cmp_gt_i32_e64 s[0:1], s30, v21
	v_mov_b32_e32 v19, 0
	v_mov_b32_e32 v25, 0
	s_and_saveexec_b64 s[2:3], s[0:1]
	s_cbranch_execz .LBB737_65
; %bb.64:
	v_add_u32_e32 v10, s31, v21
	v_ashrrev_i32_e32 v11, 31, v10
	v_mul_lo_u32 v12, v11, s36
	v_mul_lo_u32 v13, v10, s37
	v_mad_u64_u32 v[10:11], s[6:7], v10, s36, 0
	v_add3_u32 v11, v11, v13, v12
	v_lshl_add_u64 v[10:11], v[10:11], 2, s[12:13]
	global_load_dword v10, v[10:11], off
	s_waitcnt vmcnt(0)
	v_sub_f32_e32 v10, s18, v10
	v_mul_f32_e32 v10, 0x3fb8aa3b, v10
	v_exp_f32_e32 v25, v10
.LBB737_65:
	s_or_b64 exec, exec, s[2:3]
	v_or_b32_e32 v22, 3, v18
	v_cmp_gt_i32_e64 s[2:3], s30, v22
	s_and_saveexec_b64 s[6:7], s[2:3]
	s_cbranch_execz .LBB737_67
; %bb.66:
	v_add_u32_e32 v10, s31, v22
	v_ashrrev_i32_e32 v11, 31, v10
	v_mul_lo_u32 v12, v11, s36
	v_mul_lo_u32 v13, v10, s37
	v_mad_u64_u32 v[10:11], s[14:15], v10, s36, 0
	v_add3_u32 v11, v11, v13, v12
	v_lshl_add_u64 v[10:11], v[10:11], 2, s[12:13]
	global_load_dword v10, v[10:11], off
	s_waitcnt vmcnt(0)
	v_sub_f32_e32 v10, s18, v10
	v_mul_f32_e32 v10, 0x3fb8aa3b, v10
	v_exp_f32_e32 v19, v10
.LBB737_67:
	s_or_b64 exec, exec, s[6:7]
	s_waitcnt lgkmcnt(11)
	v_mfma_f32_16x16x16_bf16 a[0:3], v[40:41], v[30:31], a[0:3]
	s_add_u32 s6, s16, s24
	v_ashrrev_i32_e32 v47, 31, v46
	s_addc_u32 s7, s17, s25
	s_waitcnt lgkmcnt(10)
	v_mfma_f32_16x16x16_bf16 a[0:3], v[38:39], v[32:33], a[0:3]
	v_lshlrev_b64 v[10:11], 1, v[46:47]
	v_lshl_add_u64 v[14:15], s[6:7], 0, v[10:11]
	s_add_u32 s6, s8, s24
	s_waitcnt lgkmcnt(9)
	v_mfma_f32_16x16x16_bf16 a[0:3], v[36:37], v[26:27], a[0:3]
	s_addc_u32 s7, s9, s25
	v_lshl_add_u64 v[16:17], s[6:7], 0, v[10:11]
	v_mov_b32_e32 v26, 0
	s_waitcnt lgkmcnt(8)
	v_mfma_f32_16x16x16_bf16 a[0:3], v[34:35], v[28:29], a[0:3]
	v_mov_b32_e32 v27, 0
	s_nop 5
	v_accvgpr_read_b32 v13, a3
	v_accvgpr_read_b32 v12, a2
	;; [unrolled: 1-line block ×4, first 2 shown]
	s_and_saveexec_b64 s[6:7], vcc
	s_cbranch_execz .LBB737_69
; %bb.68:
	v_lshlrev_b32_e32 v28, 8, v18
	v_mov_b32_e32 v29, 0
	v_lshl_add_u64 v[30:31], v[14:15], 0, v[28:29]
	global_load_ushort v27, v[30:31], off
	v_lshl_add_u64 v[28:29], v[16:17], 0, v[28:29]
	s_waitcnt vmcnt(0)
	v_lshlrev_b32_e32 v27, 16, v27
	v_sub_f32_e32 v10, v27, v10
	global_store_short_d16_hi v[28:29], v10, off
	v_mul_f32_e32 v10, v24, v10
	v_lshrrev_b32_e32 v27, 16, v10
.LBB737_69:
	s_or_b64 exec, exec, s[6:7]
	s_and_saveexec_b64 s[6:7], s[4:5]
	s_cbranch_execz .LBB737_71
; %bb.70:
	v_lshlrev_b32_e32 v28, 8, v23
	v_mov_b32_e32 v29, 0
	v_lshl_add_u64 v[30:31], v[14:15], 0, v[28:29]
	global_load_ushort v10, v[30:31], off
	v_lshl_add_u64 v[28:29], v[16:17], 0, v[28:29]
	s_waitcnt vmcnt(0)
	v_lshlrev_b32_e32 v10, 16, v10
	v_sub_f32_e32 v10, v10, v11
	global_store_short_d16_hi v[28:29], v10, off
	v_mul_f32_e32 v10, v20, v10
	v_lshrrev_b32_e32 v26, 16, v10
.LBB737_71:
	s_or_b64 exec, exec, s[6:7]
	v_mov_b32_e32 v11, 0
	v_mov_b32_e32 v20, 0
	s_and_saveexec_b64 s[4:5], s[0:1]
	s_cbranch_execz .LBB737_73
; %bb.72:
	v_lshlrev_b32_e32 v20, 8, v21
	v_mov_b32_e32 v21, 0
	v_lshl_add_u64 v[28:29], v[14:15], 0, v[20:21]
	global_load_ushort v10, v[28:29], off
	v_lshl_add_u64 v[20:21], v[16:17], 0, v[20:21]
	s_waitcnt vmcnt(0)
	v_lshlrev_b32_e32 v10, 16, v10
	v_sub_f32_e32 v10, v10, v12
	global_store_short_d16_hi v[20:21], v10, off
	v_mul_f32_e32 v10, v25, v10
	v_lshrrev_b32_e32 v20, 16, v10
.LBB737_73:
	s_or_b64 exec, exec, s[4:5]
	v_or_b32_e32 v10, 0x9800, v50
	s_and_saveexec_b64 s[0:1], s[2:3]
	s_cbranch_execz .LBB737_75
; %bb.74:
	v_lshlrev_b32_e32 v22, 8, v22
	v_mov_b32_e32 v23, 0
	v_lshl_add_u64 v[14:15], v[14:15], 0, v[22:23]
	global_load_ushort v11, v[14:15], off
	v_lshl_add_u64 v[14:15], v[16:17], 0, v[22:23]
	s_waitcnt vmcnt(0)
	v_lshlrev_b32_e32 v11, 16, v11
	v_sub_f32_e32 v11, v11, v13
	global_store_short_d16_hi v[14:15], v11, off
	v_mul_f32_e32 v11, v19, v11
	v_lshrrev_b32_e32 v11, 16, v11
.LBB737_75:
	s_or_b64 exec, exec, s[0:1]
	s_mov_b32 s0, 0x5040100
	v_perm_b32 v13, v11, v20, s0
	v_lshlrev_b32_e32 v11, 1, v48
	v_perm_b32 v12, v26, v27, s0
	v_lshl_or_b32 v11, v18, 5, v11
	s_movk_i32 s0, 0xff
	ds_write_b64 v11, v[12:13] offset:38912
	v_and_b32_e32 v11, 7, v0
	v_and_b32_e32 v12, 8, v0
	v_cmp_lt_u32_e32 vcc, s0, v0
	v_lshrrev_b32_e32 v0, 1, v0
	v_lshlrev_b32_e32 v22, 3, v1
	v_and_b32_e32 v23, 24, v0
	v_xor_b32_e32 v0, v22, v23
	v_cndmask_b32_e64 v13, 0, 1, vcc
	v_or_b32_e32 v1, 0x440, v0
	v_cmp_eq_u32_e32 vcc, 0, v12
	v_lshlrev_b32_e32 v20, 3, v11
	v_lshlrev_b32_e32 v11, 7, v11
	v_cndmask_b32_e32 v0, v1, v0, vcc
	v_or_b32_e32 v0, v0, v49
	v_lshlrev_b32_e32 v21, 13, v13
	v_xad_u32 v24, v0, v20, v11
	v_add_u32_e32 v0, v21, v24
	s_waitcnt lgkmcnt(0)
	s_barrier
	ds_read_b64 v[0:1], v0
	ds_read2st64_b64 v[12:15], v10 offset1:1
	ds_read2st64_b64 v[16:19], v10 offset0:2 offset1:3
	s_waitcnt lgkmcnt(1)
	v_mfma_f32_16x16x16_bf16 a[0:3], v[0:1], v[12:13], 0
	v_or_b32_e32 v0, 32, v23
	v_xor_b32_e32 v0, v22, v0
	v_or_b32_e32 v1, 0x440, v0
	v_cndmask_b32_e32 v0, v1, v0, vcc
	v_or_b32_e32 v0, v0, v49
	v_xad_u32 v25, v0, v20, v11
	v_add_u32_e32 v0, v21, v25
	ds_read_b64 v[0:1], v0
	v_or_b32_e32 v10, 0x60, v23
	s_waitcnt lgkmcnt(0)
	v_mfma_f32_16x16x16_bf16 a[0:3], v[0:1], v[14:15], a[0:3]
	v_or_b32_e32 v0, 64, v23
	v_xor_b32_e32 v0, v22, v0
	v_xor_b32_e32 v1, 0x440, v0
	v_cndmask_b32_e32 v0, v1, v0, vcc
	v_or_b32_e32 v0, v0, v49
	v_xad_u32 v26, v0, v20, v11
	v_add_u32_e32 v0, v21, v26
	ds_read_b64 v[0:1], v0
	v_xor_b32_e32 v10, v22, v10
	v_xor_b32_e32 v22, 0x440, v10
	v_cndmask_b32_e32 v10, v22, v10, vcc
	v_or_b32_e32 v10, v10, v49
	v_xad_u32 v22, v10, v20, v11
	v_add_u32_e32 v10, v21, v22
	ds_read_b64 v[10:11], v10
	s_waitcnt lgkmcnt(1)
	v_mfma_f32_16x16x16_bf16 a[0:3], v[0:1], v[16:17], a[0:3]
	ds_read_b64 v[0:1], v24 offset:8192
	ds_read_b64 v[20:21], v25 offset:8192
	v_mov_b32_e32 v23, 0x3fb8aa3b
	s_waitcnt lgkmcnt(2)
	v_mfma_f32_16x16x16_bf16 a[0:3], v[10:11], v[18:19], a[0:3]
	v_mul_f32_e32 v10, s18, v23
	v_exp_f32_e32 v23, v10
	ds_read_b64 v[10:11], v26 offset:8192
	s_waitcnt lgkmcnt(2)
	v_mfma_f32_16x16x16_bf16 a[4:7], v[0:1], v[12:13], 0
	ds_read_b64 v[12:13], v22 offset:8192
	s_nop 0
	v_accvgpr_read_b32 v0, a0
	v_accvgpr_read_b32 v1, a1
	s_waitcnt lgkmcnt(2)
	v_mfma_f32_16x16x16_bf16 a[4:7], v[20:21], v[14:15], a[4:7]
	v_fma_f32 v0, v2, v23, v0
	v_fma_f32 v1, v3, v23, v1
	v_accvgpr_read_b32 v2, a2
	s_waitcnt lgkmcnt(1)
	v_mfma_f32_16x16x16_bf16 a[4:7], v[10:11], v[16:17], a[4:7]
	v_accvgpr_read_b32 v3, a3
	v_fma_f32 v2, v4, v23, v2
	v_fmac_f32_e32 v3, v5, v23
	s_waitcnt lgkmcnt(0)
	v_mfma_f32_16x16x16_bf16 a[0:3], v[12:13], v[18:19], a[4:7]
	s_nop 6
	v_accvgpr_read_b32 v4, a0
	v_accvgpr_read_b32 v5, a1
	v_fma_f32 v4, v6, v23, v4
	v_fma_f32 v5, v7, v23, v5
	v_accvgpr_read_b32 v6, a2
	v_accvgpr_read_b32 v7, a3
	v_fma_f32 v6, v8, v23, v6
	v_fmac_f32_e32 v7, v9, v23
	v_mov_b64_e32 v[8:9], v[6:7]
	v_mov_b64_e32 v[6:7], v[4:5]
	;; [unrolled: 1-line block ×4, first 2 shown]
.LBB737_76:
	s_add_u32 s0, s10, s34
	s_addc_u32 s1, s11, s35
	v_lshl_add_u64 v[0:1], v[42:43], 2, s[0:1]
	v_mov_b32_e32 v45, 0
	v_lshl_add_u64 v[0:1], v[0:1], 0, v[44:45]
	global_store_dwordx4 v[0:1], v[2:5], off
	global_store_dwordx4 v[0:1], v[6:9], off offset:256
	s_endpgm
	.section	.rodata,"a",@progbits
	.p2align	6, 0x0
	.amdhsa_kernel _ZN12_GLOBAL__N_139chunk_gated_delta_rule_fwd_h_hip_kernelILi16ELb1ELb1ELb1ELb1ELb0ELb0ELb1ELb0EEEvPK12hip_bfloat16S3_S3_PKfS5_PKvPS1_S8_PvPKiSB_iiiiilll
		.amdhsa_group_segment_fixed_size 40960
		.amdhsa_private_segment_fixed_size 0
		.amdhsa_kernarg_size 136
		.amdhsa_user_sgpr_count 2
		.amdhsa_user_sgpr_dispatch_ptr 0
		.amdhsa_user_sgpr_queue_ptr 0
		.amdhsa_user_sgpr_kernarg_segment_ptr 1
		.amdhsa_user_sgpr_dispatch_id 0
		.amdhsa_user_sgpr_kernarg_preload_length 0
		.amdhsa_user_sgpr_kernarg_preload_offset 0
		.amdhsa_user_sgpr_private_segment_size 0
		.amdhsa_uses_dynamic_stack 0
		.amdhsa_enable_private_segment 0
		.amdhsa_system_sgpr_workgroup_id_x 1
		.amdhsa_system_sgpr_workgroup_id_y 1
		.amdhsa_system_sgpr_workgroup_id_z 0
		.amdhsa_system_sgpr_workgroup_info 0
		.amdhsa_system_vgpr_workitem_id 0
		.amdhsa_next_free_vgpr 120
		.amdhsa_next_free_sgpr 68
		.amdhsa_accum_offset 112
		.amdhsa_reserve_vcc 1
		.amdhsa_float_round_mode_32 0
		.amdhsa_float_round_mode_16_64 0
		.amdhsa_float_denorm_mode_32 3
		.amdhsa_float_denorm_mode_16_64 3
		.amdhsa_dx10_clamp 1
		.amdhsa_ieee_mode 1
		.amdhsa_fp16_overflow 0
		.amdhsa_tg_split 0
		.amdhsa_exception_fp_ieee_invalid_op 0
		.amdhsa_exception_fp_denorm_src 0
		.amdhsa_exception_fp_ieee_div_zero 0
		.amdhsa_exception_fp_ieee_overflow 0
		.amdhsa_exception_fp_ieee_underflow 0
		.amdhsa_exception_fp_ieee_inexact 0
		.amdhsa_exception_int_div_zero 0
	.end_amdhsa_kernel
	.section	.text._ZN12_GLOBAL__N_139chunk_gated_delta_rule_fwd_h_hip_kernelILi16ELb1ELb1ELb1ELb1ELb0ELb0ELb1ELb0EEEvPK12hip_bfloat16S3_S3_PKfS5_PKvPS1_S8_PvPKiSB_iiiiilll,"axG",@progbits,_ZN12_GLOBAL__N_139chunk_gated_delta_rule_fwd_h_hip_kernelILi16ELb1ELb1ELb1ELb1ELb0ELb0ELb1ELb0EEEvPK12hip_bfloat16S3_S3_PKfS5_PKvPS1_S8_PvPKiSB_iiiiilll,comdat
.Lfunc_end737:
	.size	_ZN12_GLOBAL__N_139chunk_gated_delta_rule_fwd_h_hip_kernelILi16ELb1ELb1ELb1ELb1ELb0ELb0ELb1ELb0EEEvPK12hip_bfloat16S3_S3_PKfS5_PKvPS1_S8_PvPKiSB_iiiiilll, .Lfunc_end737-_ZN12_GLOBAL__N_139chunk_gated_delta_rule_fwd_h_hip_kernelILi16ELb1ELb1ELb1ELb1ELb0ELb0ELb1ELb0EEEvPK12hip_bfloat16S3_S3_PKfS5_PKvPS1_S8_PvPKiSB_iiiiilll
                                        ; -- End function
	.section	.AMDGPU.csdata,"",@progbits
; Kernel info:
; codeLenInByte = 7836
; NumSgprs: 74
; NumVgprs: 112
; NumAgprs: 8
; TotalNumVgprs: 120
; ScratchSize: 0
; MemoryBound: 0
; FloatMode: 240
; IeeeMode: 1
; LDSByteSize: 40960 bytes/workgroup (compile time only)
; SGPRBlocks: 9
; VGPRBlocks: 14
; NumSGPRsForWavesPerEU: 74
; NumVGPRsForWavesPerEU: 120
; AccumOffset: 112
; Occupancy: 1
; WaveLimiterHint : 1
; COMPUTE_PGM_RSRC2:SCRATCH_EN: 0
; COMPUTE_PGM_RSRC2:USER_SGPR: 2
; COMPUTE_PGM_RSRC2:TRAP_HANDLER: 0
; COMPUTE_PGM_RSRC2:TGID_X_EN: 1
; COMPUTE_PGM_RSRC2:TGID_Y_EN: 1
; COMPUTE_PGM_RSRC2:TGID_Z_EN: 0
; COMPUTE_PGM_RSRC2:TIDIG_COMP_CNT: 0
; COMPUTE_PGM_RSRC3_GFX90A:ACCUM_OFFSET: 27
; COMPUTE_PGM_RSRC3_GFX90A:TG_SPLIT: 0
	.section	.text._ZN12_GLOBAL__N_139chunk_gated_delta_rule_fwd_h_hip_kernelILi16ELb1ELb1ELb0ELb1ELb0ELb0ELb1ELb0EEEvPK12hip_bfloat16S3_S3_PKfS5_PKvPS1_S8_PvPKiSB_iiiiilll,"axG",@progbits,_ZN12_GLOBAL__N_139chunk_gated_delta_rule_fwd_h_hip_kernelILi16ELb1ELb1ELb0ELb1ELb0ELb0ELb1ELb0EEEvPK12hip_bfloat16S3_S3_PKfS5_PKvPS1_S8_PvPKiSB_iiiiilll,comdat
	.globl	_ZN12_GLOBAL__N_139chunk_gated_delta_rule_fwd_h_hip_kernelILi16ELb1ELb1ELb0ELb1ELb0ELb0ELb1ELb0EEEvPK12hip_bfloat16S3_S3_PKfS5_PKvPS1_S8_PvPKiSB_iiiiilll ; -- Begin function _ZN12_GLOBAL__N_139chunk_gated_delta_rule_fwd_h_hip_kernelILi16ELb1ELb1ELb0ELb1ELb0ELb0ELb1ELb0EEEvPK12hip_bfloat16S3_S3_PKfS5_PKvPS1_S8_PvPKiSB_iiiiilll
	.p2align	8
	.type	_ZN12_GLOBAL__N_139chunk_gated_delta_rule_fwd_h_hip_kernelILi16ELb1ELb1ELb0ELb1ELb0ELb0ELb1ELb0EEEvPK12hip_bfloat16S3_S3_PKfS5_PKvPS1_S8_PvPKiSB_iiiiilll,@function
_ZN12_GLOBAL__N_139chunk_gated_delta_rule_fwd_h_hip_kernelILi16ELb1ELb1ELb0ELb1ELb0ELb0ELb1ELb0EEEvPK12hip_bfloat16S3_S3_PKfS5_PKvPS1_S8_PvPKiSB_iiiiilll: ; @_ZN12_GLOBAL__N_139chunk_gated_delta_rule_fwd_h_hip_kernelILi16ELb1ELb1ELb0ELb1ELb0ELb0ELb1ELb0EEEvPK12hip_bfloat16S3_S3_PKfS5_PKvPS1_S8_PvPKiSB_iiiiilll
; %bb.0:
	s_load_dwordx4 s[16:19], s[0:1], 0x5c
	s_load_dwordx2 s[4:5], s[0:1], 0x50
	s_abs_i32 s7, s3
	s_ashr_i32 s6, s3, 31
	s_load_dwordx4 s[12:15], s[0:1], 0x40
	s_load_dwordx4 s[20:23], s[0:1], 0x28
	s_waitcnt lgkmcnt(0)
	s_abs_i32 s10, s17
	v_cvt_f32_u32_e32 v1, s10
	s_sub_i32 s8, 0, s10
	s_ashr_i32 s11, s17, 31
	s_xor_b32 s6, s6, s11
	v_rcp_iflag_f32_e32 v1, v1
	v_and_b32_e32 v54, 15, v0
	v_bfe_u32 v53, v0, 4, 2
	v_mov_b32_e32 v45, 0
	v_mul_f32_e32 v1, 0x4f7ffffe, v1
	v_cvt_u32_f32_e32 v1, v1
	v_lshlrev_b32_e32 v55, 3, v0
	v_readfirstlane_b32 s9, v1
	s_mul_i32 s8, s8, s9
	s_mul_hi_u32 s8, s9, s8
	s_add_i32 s9, s9, s8
	s_mul_hi_u32 s8, s7, s9
	s_mul_i32 s9, s8, s10
	s_sub_i32 s7, s7, s9
	s_add_i32 s24, s8, 1
	s_sub_i32 s9, s7, s10
	s_cmp_ge_u32 s7, s10
	s_cselect_b32 s8, s24, s8
	s_cselect_b32 s7, s9, s7
	s_add_i32 s9, s8, 1
	s_cmp_ge_u32 s7, s10
	s_cselect_b32 s7, s9, s8
	s_xor_b32 s7, s7, s6
	s_sub_i32 s24, s7, s6
	s_mul_i32 s28, s24, s17
	s_ashr_i32 s25, s24, 31
	s_sub_i32 s49, s3, s28
	s_lshl_b64 s[6:7], s[24:25], 2
	s_add_u32 s8, s14, s6
	s_addc_u32 s9, s15, s7
	s_add_u32 s26, s4, s6
	s_addc_u32 s27, s5, s7
	s_abs_i32 s3, s18
	v_cvt_f32_u32_e32 v1, s3
	s_load_dwordx2 s[36:37], s[8:9], 0x0
	s_sub_i32 s5, 0, s3
	s_lshl_b32 s2, s2, 4
	v_rcp_iflag_f32_e32 v1, v1
	v_or_b32_e32 v46, s2, v54
	s_waitcnt lgkmcnt(0)
	s_sub_i32 s52, s37, s36
	s_ashr_i32 s4, s52, 31
	v_mul_f32_e32 v1, 0x4f7ffffe, v1
	v_cvt_u32_f32_e32 v1, v1
	s_lshr_b32 s4, s4, 26
	s_add_i32 s4, s52, s4
	s_ashr_i32 s50, s4, 6
	v_readfirstlane_b32 s6, v1
	s_mul_i32 s5, s5, s6
	s_mul_hi_u32 s5, s6, s5
	s_add_i32 s6, s6, s5
	s_mul_hi_u32 s5, s10, s6
	s_mul_i32 s6, s5, s3
	s_ashr_i32 s4, s18, 31
	s_sub_i32 s6, s10, s6
	s_xor_b32 s4, s11, s4
	s_add_i32 s7, s5, 1
	s_sub_i32 s8, s6, s3
	s_cmp_ge_u32 s6, s3
	s_cselect_b32 s5, s7, s5
	s_cselect_b32 s6, s8, s6
	s_add_i32 s7, s5, 1
	s_cmp_ge_u32 s6, s3
	s_cselect_b32 s3, s7, s5
	s_xor_b32 s3, s3, s4
	s_sub_i32 s3, s3, s4
	s_abs_i32 s4, s3
	v_cvt_f32_u32_e32 v1, s4
	s_sub_i32 s6, 0, s4
	s_abs_i32 s5, s49
	s_xor_b32 s3, s49, s3
	v_rcp_iflag_f32_e32 v2, v1
	s_ashr_i32 s3, s3, 31
	v_lshrrev_b32_e32 v1, 6, v0
	v_lshlrev_b32_e32 v52, 4, v1
	v_mul_f32_e32 v2, 0x4f7ffffe, v2
	v_cvt_u32_f32_e32 v2, v2
	v_lshlrev_b32_e32 v42, 7, v46
	v_lshl_or_b32 v57, v53, 2, v52
	v_ashrrev_i32_e32 v43, 31, v42
	v_readfirstlane_b32 s7, v2
	s_mul_i32 s6, s6, s7
	s_mul_hi_u32 s6, s7, s6
	s_add_i32 s7, s7, s6
	s_mul_hi_u32 s6, s5, s7
	s_mul_i32 s7, s6, s4
	s_sub_i32 s5, s5, s7
	s_add_i32 s7, s6, 1
	s_sub_i32 s8, s5, s4
	s_cmp_ge_u32 s5, s4
	s_cselect_b32 s6, s7, s6
	s_cselect_b32 s5, s8, s5
	s_add_i32 s7, s6, 1
	s_cmp_ge_u32 s5, s4
	s_cselect_b32 s4, s7, s6
	s_xor_b32 s4, s4, s3
	s_sub_i32 s53, s4, s3
	s_ashr_i32 s51, s49, 31
	s_mul_hi_i32 s3, s24, s17
	s_add_u32 s4, s28, s49
	s_addc_u32 s5, s3, s51
	s_lshl_b64 s[14:15], s[4:5], 16
	s_add_u32 s4, s20, s14
	s_addc_u32 s5, s21, s15
	v_lshl_add_u64 v[2:3], v[42:43], 2, s[4:5]
	v_lshlrev_b32_e32 v44, 2, v57
	v_lshl_add_u64 v[10:11], v[2:3], 0, v[44:45]
	global_load_dwordx4 v[2:5], v[10:11], off
	global_load_dwordx4 v[6:9], v[10:11], off offset:256
	s_load_dwordx8 s[4:11], s[0:1], 0x0
	s_load_dwordx2 s[34:35], s[0:1], 0x80
	s_load_dwordx4 s[28:31], s[0:1], 0x70
	s_load_dword s56, s[26:27], 0x0
	v_and_b32_e32 v45, 63, v0
	v_lshrrev_b32_e32 v56, 3, v45
	v_or_b32_e32 v58, 64, v57
	s_waitcnt lgkmcnt(0)
	s_mul_i32 s33, s24, s29
	s_mul_hi_u32 s44, s24, s28
	s_mul_i32 s40, s24, s28
	s_mul_i32 s45, s25, s28
	s_mul_hi_i32 s54, s49, s16
	s_mul_i32 s55, s49, s16
	s_mul_i32 s46, s49, s31
	s_mul_hi_u32 s47, s49, s30
	s_mul_i32 s48, s51, s30
	s_cmp_lt_i32 s52, 64
	s_mul_i32 s38, s49, s30
	s_waitcnt vmcnt(1)
	v_mov_b32_e32 v60, v5
	s_waitcnt vmcnt(0)
	v_mov_b32_e32 v59, v9
	s_cbranch_scc1 .LBB738_3
; %bb.1:
	s_ashr_i32 s1, s36, 31
	s_add_u32 s0, s55, s36
	s_addc_u32 s1, s54, s1
	s_lshl_b64 s[0:1], s[0:1], 8
	v_and_b32_e32 v62, 56, v55
	s_add_u32 s24, s6, s0
	v_lshl_or_b32 v61, v1, 3, v56
	v_lshlrev_b32_e32 v5, 1, v62
	s_addc_u32 s0, s7, s1
	v_lshl_or_b32 v63, v61, 8, v5
	s_and_b32 s25, s0, 0xffff
	s_mov_b32 s27, 0x20000
	s_movk_i32 s26, 0x4000
	s_movk_i32 s0, 0x80
	v_or_b32_e32 v64, 0x2000, v63
	buffer_load_dwordx4 v[10:13], v63, s[24:27], 0 offen
	buffer_load_dwordx4 v[14:17], v63, s[24:27], s0 offen
	;; [unrolled: 1-line block ×4, first 2 shown]
	v_lshlrev_b32_e32 v9, 3, v61
	v_and_or_b32 v27, v0, 7, v9
	v_and_b32_e32 v9, 0x78, v9
	v_lshlrev_b32_e32 v27, 4, v27
	v_xor_b32_e32 v65, v27, v9
	v_mul_lo_u32 v26, v61, s19
	v_or_b32_e32 v66, 0x1000, v65
	v_xor_b32_e32 v9, 8, v65
	s_cmpk_eq_i32 s19, 0x80
	s_mov_b32 s57, s36
	v_xor_b32_e32 v27, 8, v66
	s_cselect_b64 s[0:1], -1, 0
	s_cmpk_lg_i32 s19, 0x80
	s_waitcnt vmcnt(3)
	ds_write_b64 v65, v[10:11] offset:16384
	ds_write_b64 v9, v[12:13] offset:16384
	s_waitcnt vmcnt(2)
	ds_write_b64 v65, v[14:15] offset:24576
	ds_write_b64 v9, v[16:17] offset:24576
	;; [unrolled: 3-line block ×4, first 2 shown]
	v_lshl_add_u32 v9, v26, 1, v62
	s_cbranch_scc0 .LBB738_29
; %bb.2:
	v_lshlrev_b32_e32 v11, 1, v9
	v_add_lshl_u32 v10, v9, s19, 1
	s_lshl_b32 s26, s19, 7
	v_lshl_or_b32 v5, v61, 9, v5
	s_cbranch_execz .LBB738_30
	s_branch .LBB738_31
.LBB738_3:
	v_mov_b32_e32 v9, v59
	v_mov_b32_e32 v5, v60
.LBB738_4:
	s_lshl_b32 s31, s50, 6
	s_sub_i32 s30, s52, s31
	s_cmp_gt_i32 s30, 0
	s_cbranch_scc0 .LBB738_76
; %bb.5:
	s_add_i32 s31, s31, s36
	s_ashr_i32 s3, s31, 31
	s_cmpk_lg_i32 s19, 0x80
	s_cselect_b64 s[26:27], -1, 0
	s_and_b64 vcc, exec, s[26:27]
	s_cbranch_vccz .LBB738_7
; %bb.6:
	s_mul_hi_i32 s0, s31, s18
	s_mul_i32 s1, s31, s18
	s_ashr_i32 s18, s53, 31
	s_add_u32 s28, s1, s53
	s_addc_u32 s29, s0, s18
	s_cbranch_execz .LBB738_8
	s_branch .LBB738_9
.LBB738_7:
                                        ; implicit-def: $sgpr28_sgpr29
.LBB738_8:
	s_mul_i32 s1, s53, s16
	s_mul_hi_i32 s0, s53, s16
	s_add_u32 s28, s1, s31
	s_addc_u32 s29, s0, s3
.LBB738_9:
	s_add_i32 s16, s50, s56
	s_add_u32 s0, s55, s31
	s_addc_u32 s1, s54, s3
	s_mov_b32 s3, 0x7060302
	v_lshlrev_b32_e32 v14, 3, v54
	s_lshl_b64 s[24:25], s[0:1], 8
	v_perm_b32 v11, v5, v4, s3
	v_perm_b32 v10, v3, v2, s3
	;; [unrolled: 1-line block ×4, first 2 shown]
	v_lshlrev_b32_e32 v48, 2, v54
	v_lshl_or_b32 v14, v57, 5, v14
	s_add_u32 s0, s6, s24
	ds_write2st64_b64 v14, v[10:11], v[12:13] offset0:72 offset1:76
	v_xor_b32_e32 v14, v57, v48
	v_lshlrev_b32_e32 v15, 8, v54
	s_addc_u32 s1, s7, s25
	v_lshl_or_b32 v14, v14, 1, v15
	s_mul_hi_i32 s3, s16, s17
	s_mul_i32 s16, s16, s17
	ds_write_b64 v14, v[10:11] offset:32768
	v_xor_b32_e32 v10, v58, v48
	s_add_u32 s6, s16, s49
	v_lshl_or_b32 v10, v10, 1, v15
	s_addc_u32 s7, s3, s51
	v_lshlrev_b32_e32 v11, 1, v54
	ds_write_b64 v10, v[12:13] offset:32768
	v_lshrrev_b32_e32 v10, 4, v0
	s_ashr_i32 s3, s2, 31
	s_lshl_b64 s[6:7], s[6:7], 15
	v_or_b32_e32 v12, 1, v11
	s_add_u32 s6, s22, s6
	v_xor_b32_e32 v11, v10, v11
	v_xor_b32_e32 v12, v12, v10
	v_lshlrev_b32_e32 v14, 8, v10
	s_addc_u32 s7, s23, s7
	s_lshl_b64 s[2:3], s[2:3], 8
	v_lshl_or_b32 v10, v11, 3, v14
	v_lshl_or_b32 v12, v12, 3, v14
	s_waitcnt lgkmcnt(0)
	s_barrier
	s_add_u32 s2, s6, s2
	ds_read_b64 v[10:11], v10 offset:32768
	ds_read_b64 v[12:13], v12 offset:32768
	s_addc_u32 s3, s7, s3
	v_mov_b32_e32 v15, 0
	s_cmp_lg_u32 s30, 64
	v_lshl_add_u64 v[16:17], s[2:3], 0, v[14:15]
	v_lshlrev_b32_e32 v14, 4, v54
	s_cselect_b64 s[6:7], -1, 0
	v_lshl_or_b32 v47, v1, 3, v56
	s_mov_b32 s20, 0
	v_lshl_add_u64 v[14:15], v[16:17], 0, v[14:15]
	s_waitcnt vmcnt(1)
	v_or_b32_e32 v27, 32, v47
	v_and_b32_e32 v26, 56, v55
	s_and_b64 vcc, exec, s[6:7]
	s_waitcnt lgkmcnt(0)
	global_store_dwordx4 v[14:15], v[10:13], off
	s_cbranch_vccz .LBB738_15
; %bb.10:
	s_mov_b32 s21, s20
	s_mov_b32 s22, s20
	;; [unrolled: 1-line block ×3, first 2 shown]
	v_mov_b64_e32 v[14:15], s[20:21]
	v_mov_b64_e32 v[16:17], s[22:23]
	;; [unrolled: 1-line block ×3, first 2 shown]
	v_cmp_gt_i32_e32 vcc, s30, v47
	v_mov_b64_e32 v[12:13], v[16:17]
	s_and_saveexec_b64 s[2:3], vcc
	s_cbranch_execz .LBB738_12
; %bb.11:
	v_lshlrev_b32_e32 v10, 8, v47
	v_mov_b32_e32 v11, 0
	v_lshl_add_u64 v[12:13], s[0:1], 0, v[10:11]
	v_lshlrev_b32_e32 v10, 1, v26
	v_lshl_add_u64 v[18:19], v[12:13], 0, v[10:11]
	global_load_dwordx4 v[14:17], v[18:19], off
	global_load_dwordx4 v[10:13], v[18:19], off offset:128
.LBB738_12:
	s_or_b64 exec, exec, s[2:3]
	s_mov_b32 s22, s20
	s_mov_b32 s23, s20
	s_mov_b32 s21, s20
	v_mov_b64_e32 v[24:25], s[22:23]
	v_mov_b64_e32 v[22:23], s[20:21]
	;; [unrolled: 1-line block ×3, first 2 shown]
	v_cmp_gt_i32_e32 vcc, s30, v27
	v_lshlrev_b32_e32 v28, 7, v27
	v_mov_b64_e32 v[20:21], v[24:25]
	s_and_saveexec_b64 s[2:3], vcc
	s_cbranch_execz .LBB738_14
; %bb.13:
	v_lshlrev_b32_e32 v18, 1, v28
	v_mov_b32_e32 v19, 0
	v_lshl_add_u64 v[20:21], s[0:1], 0, v[18:19]
	v_lshlrev_b32_e32 v18, 1, v26
	v_lshl_add_u64 v[30:31], v[20:21], 0, v[18:19]
	global_load_dwordx4 v[22:25], v[30:31], off
	global_load_dwordx4 v[18:21], v[30:31], off offset:128
.LBB738_14:
	s_or_b64 exec, exec, s[2:3]
	v_lshrrev_b32_e32 v29, 3, v26
	v_lshlrev_b32_e32 v30, 3, v47
	v_or_b32_e32 v29, v30, v29
	v_lshlrev_b32_e32 v29, 4, v29
	v_and_b32_e32 v30, 0x78, v30
	v_xor_b32_e32 v29, v29, v30
	s_branch .LBB738_17
.LBB738_15:
                                        ; implicit-def: $vgpr29
                                        ; implicit-def: $vgpr28
                                        ; implicit-def: $vgpr14_vgpr15_vgpr16_vgpr17
                                        ; implicit-def: $vgpr10_vgpr11_vgpr12_vgpr13
                                        ; implicit-def: $vgpr22_vgpr23_vgpr24_vgpr25
                                        ; implicit-def: $vgpr18_vgpr19_vgpr20_vgpr21
	s_cbranch_execz .LBB738_17
; %bb.16:
	s_waitcnt vmcnt(0)
	v_lshlrev_b32_e32 v10, 1, v26
	v_lshl_or_b32 v28, v47, 8, v10
	s_and_b32 s1, s1, 0xffff
	s_mov_b32 s3, 0x20000
	s_movk_i32 s2, 0x4000
	v_lshl_or_b32 v29, v27, 8, v10
	s_movk_i32 s16, 0x80
	buffer_load_dwordx4 v[14:17], v28, s[0:3], 0 offen
	buffer_load_dwordx4 v[10:13], v28, s[0:3], s16 offen
	;; [unrolled: 1-line block ×4, first 2 shown]
	v_lshrrev_b32_e32 v28, 3, v26
	v_lshlrev_b32_e32 v29, 3, v47
	v_or_b32_e32 v28, v29, v28
	v_lshlrev_b32_e32 v28, 4, v28
	v_and_b32_e32 v29, 0x78, v29
	v_xor_b32_e32 v29, v28, v29
	v_lshlrev_b32_e32 v28, 7, v27
.LBB738_17:
	s_lshl_b64 s[0:1], s[28:29], 8
	s_add_u32 s4, s4, s0
	s_movk_i32 s0, 0x1000
	v_and_or_b32 v27, v28, s0, v29
	s_waitcnt vmcnt(1)
	ds_write_b64 v29, v[14:15] offset:16384
	v_xor_b32_e32 v14, 8, v29
	ds_write_b64 v14, v[16:17] offset:16384
	s_waitcnt vmcnt(0)
	ds_write_b64 v29, v[10:11] offset:24576
	ds_write_b64 v14, v[12:13] offset:24576
	;; [unrolled: 1-line block ×3, first 2 shown]
	v_xor_b32_e32 v10, 8, v27
	ds_write_b64 v10, v[24:25] offset:16384
	ds_write_b64 v27, v[18:19] offset:24576
	ds_write_b64 v10, v[20:21] offset:24576
	v_or_b32_e32 v10, v52, v54
	v_lshlrev_b32_e32 v10, 3, v10
	v_lshrrev_b32_e32 v12, 5, v45
	s_movk_i32 s16, 0xf8
	v_and_or_b32 v12, v10, s16, v12
	v_lshlrev_b32_e32 v49, 11, v1
	v_lshlrev_b32_e32 v20, 4, v12
	v_and_b32_e32 v21, 0x78, v10
	v_and_b32_e32 v22, 0x1000, v49
	v_lshlrev_b32_e32 v11, 2, v0
	v_xor_b32_e32 v10, v20, v21
	v_lshrrev_b32_e32 v12, 1, v45
	v_and_b32_e32 v11, 60, v11
	v_or_b32_e32 v10, v10, v22
	v_and_b32_e32 v23, 8, v12
	v_xor_b32_e32 v34, v10, v23
	v_lshl_or_b32 v10, v53, 6, v11
	v_lshlrev_b32_e32 v50, 1, v10
	v_or_b32_e32 v10, 32, v20
	v_xor_b32_e32 v10, v10, v21
	s_waitcnt lgkmcnt(0)
	s_barrier
	ds_read_b64 v[18:19], v34 offset:16384
	v_or_b32_e32 v10, v10, v22
	v_xor_b32_e32 v35, v10, v23
	v_or_b32_e32 v10, 64, v20
	v_xor_b32_e32 v10, v10, v21
	v_or_b32_e32 v10, v10, v22
	v_or_b32_e32 v20, 0x60, v20
	v_xor_b32_e32 v36, v10, v23
	ds_read2st64_b64 v[10:13], v50 offset0:72 offset1:73
	ds_read2st64_b64 v[14:17], v50 offset0:74 offset1:75
	v_xor_b32_e32 v24, v20, v21
	ds_read_b64 v[20:21], v35 offset:16384
	s_addc_u32 s5, s5, s1
	s_add_i32 s1, s44, s33
	s_waitcnt lgkmcnt(2)
	v_mfma_f32_16x16x16_bf16 a[0:3], v[18:19], v[10:11], 0
	s_add_i32 s0, s37, -1
	s_add_i32 s41, s1, s45
	s_add_i32 s1, s47, s46
	;; [unrolled: 1-line block ×3, first 2 shown]
	s_ashr_i32 s1, s0, 31
	s_mul_i32 s2, s0, s35
	s_mul_hi_u32 s3, s0, s34
	s_add_i32 s2, s3, s2
	s_mul_i32 s1, s1, s34
	v_or_b32_e32 v22, v24, v22
	s_add_i32 s1, s2, s1
	s_lshl_b64 s[2:3], s[40:41], 2
	v_xor_b32_e32 v51, v22, v23
	ds_read_b64 v[22:23], v36 offset:16384
	ds_read_b64 v[24:25], v51 offset:16384
	s_waitcnt lgkmcnt(2)
	v_mfma_f32_16x16x16_bf16 a[0:3], v[20:21], v[12:13], a[0:3]
	s_add_u32 s10, s10, s2
	s_addc_u32 s11, s11, s3
	s_lshl_b64 s[2:3], s[38:39], 2
	s_mul_i32 s0, s0, s34
	s_add_u32 s10, s10, s2
	s_addc_u32 s11, s11, s3
	s_lshl_b64 s[0:1], s[0:1], 2
	s_waitcnt lgkmcnt(1)
	v_mfma_f32_16x16x16_bf16 a[0:3], v[22:23], v[14:15], a[0:3]
	s_add_u32 s0, s10, s0
	s_addc_u32 s1, s11, s1
	s_load_dword s16, s[0:1], 0x0
	s_waitcnt lgkmcnt(0)
	v_mfma_f32_16x16x16_bf16 a[0:3], v[24:25], v[16:17], a[0:3]
	s_and_b64 vcc, exec, s[26:27]
	s_cbranch_vccz .LBB738_28
; %bb.18:
	v_lshlrev_b32_e32 v27, 1, v47
	s_and_b64 vcc, exec, s[6:7]
	s_cbranch_vccz .LBB738_44
; %bb.19:
	v_cmp_gt_i32_e32 vcc, s30, v27
	v_mov_b32_e32 v14, 0
	v_mov_b32_e32 v10, 0
	;; [unrolled: 1-line block ×5, first 2 shown]
	s_and_saveexec_b64 s[0:1], vcc
	s_cbranch_execz .LBB738_21
; %bb.20:
	v_mad_i64_i32 v[10:11], s[2:3], s19, v27, 0
	v_lshl_add_u64 v[10:11], v[10:11], 1, s[4:5]
	v_lshlrev_b32_e32 v12, 1, v26
	v_mov_b32_e32 v13, 0
	v_lshl_add_u64 v[10:11], v[10:11], 0, v[12:13]
	global_load_dwordx4 v[10:13], v[10:11], off
.LBB738_21:
	s_or_b64 exec, exec, s[0:1]
	v_or_b32_e32 v28, 1, v27
	v_cmp_gt_i32_e64 s[0:1], s30, v28
	v_mov_b32_e32 v15, 0
	v_mov_b32_e32 v16, 0
	;; [unrolled: 1-line block ×3, first 2 shown]
	s_and_saveexec_b64 s[2:3], s[0:1]
	s_cbranch_execz .LBB738_23
; %bb.22:
	v_mad_i64_i32 v[14:15], s[20:21], s19, v28, 0
	v_lshl_add_u64 v[14:15], v[14:15], 1, s[4:5]
	v_lshlrev_b32_e32 v16, 1, v26
	v_mov_b32_e32 v17, 0
	v_lshl_add_u64 v[14:15], v[14:15], 0, v[16:17]
	global_load_dwordx4 v[14:17], v[14:15], off
.LBB738_23:
	s_or_b64 exec, exec, s[2:3]
	v_mov_b32_e32 v25, 0
	v_mov_b32_e32 v18, 0
	v_mov_b32_e32 v19, 0
	v_mov_b32_e32 v20, 0
	v_mov_b32_e32 v21, 0
	s_and_saveexec_b64 s[2:3], vcc
	s_cbranch_execz .LBB738_25
; %bb.24:
	v_mad_i64_i32 v[18:19], s[20:21], s19, v27, 0
	v_lshl_add_u64 v[18:19], v[18:19], 1, s[4:5]
	v_lshlrev_b32_e32 v20, 1, v26
	v_mov_b32_e32 v21, 0
	v_lshl_add_u64 v[18:19], v[18:19], 0, v[20:21]
	global_load_dwordx4 v[18:21], v[18:19], off offset:128
.LBB738_25:
	s_or_b64 exec, exec, s[2:3]
	v_mov_b32_e32 v24, 0
	v_mov_b32_e32 v23, 0
	;; [unrolled: 1-line block ×3, first 2 shown]
	s_and_saveexec_b64 s[2:3], s[0:1]
	s_cbranch_execz .LBB738_27
; %bb.26:
	v_mad_i64_i32 v[22:23], s[0:1], s19, v28, 0
	v_lshl_add_u64 v[22:23], v[22:23], 1, s[4:5]
	v_lshlrev_b32_e32 v24, 1, v26
	v_mov_b32_e32 v25, 0
	v_lshl_add_u64 v[22:23], v[22:23], 0, v[24:25]
	global_load_dwordx4 v[22:25], v[22:23], off offset:128
.LBB738_27:
	s_or_b64 exec, exec, s[2:3]
	s_branch .LBB738_46
.LBB738_28:
                                        ; implicit-def: $vgpr13
                                        ; implicit-def: $vgpr17
                                        ; implicit-def: $vgpr21
                                        ; implicit-def: $vgpr25
	v_lshrrev_b32_e32 v45, 2, v45
	s_branch .LBB738_47
.LBB738_29:
                                        ; implicit-def: $vgpr10
                                        ; implicit-def: $vgpr11
                                        ; implicit-def: $sgpr26
	v_lshl_or_b32 v5, v61, 9, v5
.LBB738_30:
	v_or_b32_e32 v10, 0x100, v5
	s_movk_i32 s26, 0x4000
	v_mov_b32_e32 v11, v5
.LBB738_31:
	s_mul_i32 s20, s36, s18
	s_ashr_i32 s58, s53, 31
	s_mul_hi_i32 s3, s36, s18
	s_add_u32 s20, s20, s53
	s_addc_u32 s21, s3, s58
	s_lshl_b64 s[20:21], s[20:21], 8
	s_add_u32 s24, s4, s20
	s_addc_u32 s3, s5, s21
	s_and_b32 s25, s3, 0xffff
	s_movk_i32 s59, 0x80
	buffer_load_dwordx4 v[12:15], v11, s[24:27], 0 offen
	buffer_load_dwordx4 v[16:19], v11, s[24:27], s59 offen
	;; [unrolled: 1-line block ×4, first 2 shown]
	v_and_b32_e32 v10, 6, v0
	v_lshlrev_b32_e32 v28, 2, v54
	v_lshlrev_b32_e32 v29, 3, v54
	v_xor_b32_e32 v32, v61, v10
	v_and_b32_e32 v11, 1, v0
	v_lshl_or_b32 v29, v57, 5, v29
	v_xor_b32_e32 v33, v57, v28
	v_lshlrev_b32_e32 v32, 2, v32
	v_or_b32_e32 v67, 0x9000, v29
	v_or_b32_e32 v68, 0x9800, v29
	v_lshlrev_b32_e32 v29, 1, v33
	v_xor_b32_e32 v33, 0x440, v32
	v_cmp_eq_u32_e32 vcc, 0, v11
	s_add_i32 s3, s44, s33
	s_add_i32 s20, s47, s46
	v_cndmask_b32_e32 v11, v33, v32, vcc
	s_add_i32 s41, s3, s45
	v_lshl_or_b32 v10, v10, 10, v11
	s_add_i32 s39, s20, s48
	s_lshl_b64 s[20:21], s[40:41], 2
	s_mov_b32 s60, 0x1000504
	v_lshlrev_b32_e32 v30, 8, v54
	s_mov_b32 s26, 0x8000
	v_xor_b32_e32 v28, v58, v28
	v_xor_b32_e32 v11, 8, v10
	s_add_u32 s3, s10, s20
	s_mov_b32 s61, 0x3020706
	v_or_b32_e32 v31, v52, v54
	v_lshlrev_b32_e32 v28, 1, v28
	v_or3_b32 v69, v29, v30, s26
	v_xor_b32_e32 v29, 24, v10
	v_xor_b32_e32 v32, 40, v10
	;; [unrolled: 1-line block ×3, first 2 shown]
	v_add_u32_e32 v11, 0x80, v11
	s_addc_u32 s24, s11, s21
	s_lshl_b64 s[20:21], s[38:39], 2
	v_lshlrev_b32_e32 v31, 3, v31
	v_or3_b32 v70, v28, v30, s26
	v_xor_b32_e32 v28, 16, v10
	v_xor_b32_e32 v30, 32, v10
	;; [unrolled: 1-line block ×3, first 2 shown]
	v_add_u32_e32 v29, 0x80, v29
	v_add_u32_e32 v32, 0x80, v32
	;; [unrolled: 1-line block ×3, first 2 shown]
	s_add_u32 s20, s3, s20
	s_movk_i32 s3, 0xf8
	s_addc_u32 s21, s24, s21
	v_ashrrev_i32_e32 v47, 31, v46
	s_lshl_b32 s30, s19, 7
	s_mov_b32 s62, 0
	v_mov_b32_e32 v84, 0x3fb8aa3b
	s_waitcnt vmcnt(1)
	v_perm_b32 v35, v12, v20, s60
	s_waitcnt vmcnt(0)
	v_perm_b32 v36, v16, v24, s60
	v_perm_b32 v12, v12, v20, s61
	;; [unrolled: 1-line block ×15, first 2 shown]
	ds_write2st64_b32 v10, v35, v36 offset1:32
	ds_write2st64_b32 v11, v12, v16 offset1:32
	ds_write2st64_b32 v28, v20, v24 offset0:1 offset1:33
	ds_write2st64_b32 v29, v13, v17 offset0:1 offset1:33
	;; [unrolled: 1-line block ×6, first 2 shown]
	v_lshrrev_b32_e32 v11, 5, v45
	v_and_or_b32 v11, v31, s3, v11
	v_lshlrev_b32_e32 v11, 4, v11
	v_lshlrev_b32_e32 v16, 11, v1
	v_and_b32_e32 v12, 0x78, v31
	v_or_b32_e32 v15, 32, v11
	v_and_b32_e32 v10, 0x1000, v16
	v_xor_b32_e32 v13, v11, v12
	v_lshrrev_b32_e32 v17, 1, v0
	v_xor_b32_e32 v15, v15, v12
	v_or_b32_e32 v13, v13, v10
	v_and_b32_e32 v14, 8, v17
	v_or_b32_e32 v15, v15, v10
	v_xor_b32_e32 v71, v13, v14
	v_and_b32_e32 v13, 0x78, v55
	v_xor_b32_e32 v73, v15, v14
	v_or_b32_e32 v15, 64, v11
	v_or_b32_e32 v11, 0x60, v11
	v_lshl_or_b32 v13, v53, 7, v13
	v_xor_b32_e32 v15, v15, v12
	v_xor_b32_e32 v11, v11, v12
	v_or_b32_e32 v72, 0x9000, v13
	v_or_b32_e32 v15, v15, v10
	;; [unrolled: 1-line block ×4, first 2 shown]
	v_lshrrev_b32_e32 v12, 4, v0
	v_lshlrev_b32_e32 v13, 1, v54
	v_xor_b32_e32 v74, v15, v14
	v_xor_b32_e32 v75, v10, v14
	s_ashr_i32 s3, s2, 31
	v_or_b32_e32 v14, 1, v13
	v_xor_b32_e32 v13, v12, v13
	s_lshl_b64 s[24:25], s[2:3], 8
	v_xor_b32_e32 v14, v14, v12
	v_lshlrev_b32_e32 v13, 3, v13
	v_lshlrev_b32_e32 v12, 8, v12
	v_lshl_add_u64 v[10:11], v[46:47], 1, s[8:9]
	s_add_u32 s24, s22, s24
	v_or3_b32 v47, v13, v12, s26
	v_lshlrev_b32_e32 v13, 3, v14
	s_addc_u32 s25, s23, s25
	v_or3_b32 v77, v13, v12, s26
	v_mov_b32_e32 v13, 0
	v_lshl_add_u64 v[14:15], s[24:25], 0, v[12:13]
	v_lshlrev_b32_e32 v12, 4, v54
	s_movk_i32 s3, 0xff
	v_lshlrev_b32_e32 v21, 3, v1
	v_and_b32_e32 v17, 24, v17
	v_lshl_add_u64 v[48:49], v[14:15], 0, v[12:13]
	v_and_b32_e32 v14, 8, v0
	v_cmp_lt_u32_e32 vcc, s3, v0
	v_xor_b32_e32 v22, v21, v17
	v_or_b32_e32 v23, 0x440, v22
	v_cndmask_b32_e64 v20, 0, 1, vcc
	v_cmp_eq_u32_e32 vcc, 0, v14
	v_and_b32_e32 v12, 7, v0
	v_lshlrev_b32_e32 v15, 3, v12
	v_cndmask_b32_e32 v14, v23, v22, vcc
	v_lshlrev_b32_e32 v12, 7, v12
	v_or_b32_e32 v14, v14, v16
	v_xad_u32 v78, v14, v15, v12
	v_or_b32_e32 v14, 32, v17
	v_xor_b32_e32 v14, v21, v14
	v_or_b32_e32 v22, 0x440, v14
	v_cndmask_b32_e32 v14, v22, v14, vcc
	v_or_b32_e32 v14, v14, v16
	v_xad_u32 v79, v14, v15, v12
	v_or_b32_e32 v14, 64, v17
	v_xor_b32_e32 v14, v21, v14
	v_xor_b32_e32 v22, 0x440, v14
	v_cndmask_b32_e32 v14, v22, v14, vcc
	v_or_b32_e32 v14, v14, v16
	v_xad_u32 v80, v14, v15, v12
	v_or_b32_e32 v14, 0x60, v17
	v_xor_b32_e32 v14, v21, v14
	v_xor_b32_e32 v17, 0x440, v14
	v_cndmask_b32_e32 v14, v17, v14, vcc
	v_or_b32_e32 v14, v14, v16
	v_lshlrev_b32_e32 v18, 1, v9
	v_add_lshl_u32 v9, v9, s19, 1
	v_or_b32_e32 v19, 0x100, v5
	v_lshlrev_b32_e32 v20, 13, v20
	v_xad_u32 v81, v14, v15, v12
	v_lshlrev_b32_e32 v12, 8, v57
	v_cndmask_b32_e64 v82, v18, v5, s[0:1]
	v_cndmask_b32_e64 v83, v9, v19, s[0:1]
	v_lshl_add_u64 v[50:51], v[10:11], 0, v[12:13]
	s_mov_b32 s3, 0x7060302
	s_movk_i32 s26, 0x4000
	v_add_u32_e32 v85, v20, v78
	v_add_u32_e32 v86, v20, v79
	;; [unrolled: 1-line block ×4, first 2 shown]
	s_waitcnt lgkmcnt(0)
	s_barrier
.LBB738_32:                             ; =>This Inner Loop Header: Depth=1
	s_add_i32 s39, s62, 1
	s_cmp_lt_i32 s39, s50
	s_mov_b64 s[28:29], 0
	s_cselect_b64 s[42:43], -1, 0
	s_cmp_ge_i32 s39, s50
	s_mov_b64 s[24:25], 0
	s_cbranch_scc1 .LBB738_34
; %bb.33:                               ;   in Loop: Header=BB738_32 Depth=1
	s_add_i32 s0, s57, 64
	s_ashr_i32 s1, s0, 31
	s_add_u32 s0, s55, s0
	s_addc_u32 s1, s54, s1
	s_lshl_b64 s[0:1], s[0:1], 8
	s_add_u32 s24, s6, s0
	s_addc_u32 s25, s7, s1
.LBB738_34:                             ;   in Loop: Header=BB738_32 Depth=1
	v_cndmask_b32_e64 v5, 0, 1, s[42:43]
	v_cmp_ne_u32_e64 s[0:1], 1, v5
	s_andn2_b64 vcc, exec, s[42:43]
	s_cbranch_vccnz .LBB738_36
; %bb.35:                               ;   in Loop: Header=BB738_32 Depth=1
	s_add_i32 s28, s57, 64
	s_mul_hi_i32 s29, s28, s18
	s_mul_i32 s28, s28, s18
	s_add_u32 s28, s28, s53
	s_addc_u32 s29, s29, s58
	s_lshl_b64 s[28:29], s[28:29], 8
	s_add_u32 s28, s4, s28
	s_addc_u32 s29, s5, s29
.LBB738_36:                             ;   in Loop: Header=BB738_32 Depth=1
	v_perm_b32 v11, v60, v4, s3
	v_perm_b32 v10, v3, v2, s3
	;; [unrolled: 1-line block ×4, first 2 shown]
	ds_write_b64 v67, v[10:11]
	ds_write_b64 v68, v[12:13]
	;; [unrolled: 1-line block ×4, first 2 shown]
	s_waitcnt lgkmcnt(0)
	s_barrier
	ds_read_b64 v[18:19], v71 offset:16384
	ds_read_b64 v[20:21], v73 offset:16384
	ds_read2st64_b64 v[10:13], v72 offset1:1
	s_waitcnt lgkmcnt(0)
	v_mfma_f32_16x16x16_bf16 a[0:3], v[18:19], v[10:11], 0
	ds_read2st64_b64 v[14:17], v72 offset0:2 offset1:3
	ds_read_b64 v[22:23], v74 offset:16384
	ds_read_b64 v[10:11], v75 offset:16384
	s_add_i32 s31, s57, 63
	v_mfma_f32_16x16x16_bf16 a[0:3], v[20:21], v[12:13], a[0:3]
	s_ashr_i32 s41, s31, 31
	s_mul_i32 s42, s31, s35
	s_mul_hi_u32 s43, s31, s34
	s_waitcnt lgkmcnt(1)
	v_mfma_f32_16x16x16_bf16 a[0:3], v[22:23], v[14:15], a[0:3]
	s_add_i32 s42, s43, s42
	s_mul_i32 s41, s41, s34
	s_add_i32 s43, s42, s41
	s_mul_i32 s42, s31, s34
	s_waitcnt lgkmcnt(0)
	v_mfma_f32_16x16x16_bf16 a[0:3], v[10:11], v[16:17], a[0:3]
	s_lshl_b64 s[42:43], s[42:43], 2
	s_add_u32 s42, s20, s42
	s_addc_u32 s43, s21, s43
	s_and_b64 vcc, exec, s[0:1]
	v_mov_b32_e32 v89, 0
	v_mov_b32_e32 v9, 0
	;; [unrolled: 1-line block ×19, first 2 shown]
	s_cbranch_vccnz .LBB738_38
; %bb.37:                               ;   in Loop: Header=BB738_32 Depth=1
	s_and_b32 s25, s25, 0xffff
	buffer_load_dwordx4 v[22:25], v63, s[24:27], 0 offen
	buffer_load_dwordx4 v[18:21], v63, s[24:27], s59 offen
	;; [unrolled: 1-line block ×4, first 2 shown]
	v_mov_b32_e32 v9, v65
	v_mov_b32_e32 v5, v66
.LBB738_38:                             ;   in Loop: Header=BB738_32 Depth=1
	s_waitcnt vmcnt(3)
	v_add_u32_e32 v30, s57, v57
	s_waitcnt vmcnt(1)
	v_ashrrev_i32_e32 v26, 31, v30
	v_mul_lo_u32 v28, v26, s34
	v_mul_lo_u32 v29, v30, s35
	v_mad_u64_u32 v[26:27], s[24:25], v30, s34, 0
	v_add3_u32 v27, v27, v29, v28
	v_lshl_add_u64 v[26:27], v[26:27], 2, s[20:21]
	global_load_dword v91, v[26:27], off
	v_add_u32_e32 v26, 1, v30
	v_ashrrev_i32_e32 v27, 31, v26
	v_mul_lo_u32 v28, v27, s34
	v_mul_lo_u32 v29, v26, s35
	v_mad_u64_u32 v[26:27], s[24:25], v26, s34, 0
	v_add3_u32 v27, v27, v29, v28
	v_add_u32_e32 v28, 2, v30
	v_ashrrev_i32_e32 v29, 31, v28
	v_mul_lo_u32 v31, v29, s34
	v_mul_lo_u32 v32, v28, s35
	v_mad_u64_u32 v[28:29], s[24:25], v28, s34, 0
	v_add_u32_e32 v30, 3, v30
	v_add3_u32 v29, v29, v32, v31
	v_ashrrev_i32_e32 v31, 31, v30
	v_mul_lo_u32 v34, v31, s34
	v_mul_lo_u32 v35, v30, s35
	v_mad_u64_u32 v[30:31], s[24:25], v30, s34, 0
	s_ashr_i32 s25, s57, 31
	s_add_u32 s24, s55, s57
	s_addc_u32 s25, s54, s25
	s_lshl_b64 s[24:25], s[24:25], 8
	v_lshl_add_u64 v[26:27], v[26:27], 2, s[20:21]
	v_lshl_add_u64 v[32:33], v[50:51], 0, s[24:25]
	v_add3_u32 v31, v31, v35, v34
	v_lshl_add_u64 v[28:29], v[28:29], 2, s[20:21]
	global_load_ushort v96, v[32:33], off
	global_load_ushort v97, v[32:33], off offset:256
	global_load_ushort v98, v[32:33], off offset:512
	;; [unrolled: 1-line block ×3, first 2 shown]
	v_lshl_add_u64 v[30:31], v[30:31], 2, s[20:21]
	global_load_dword v100, v[26:27], off
	global_load_dword v101, v[28:29], off
	;; [unrolled: 1-line block ×3, first 2 shown]
	s_load_dword s24, s[42:43], 0x0
	ds_read_b64 v[34:35], v71 offset:24576
	ds_read2st64_b64 v[30:33], v76 offset1:1
	ds_read2st64_b64 v[36:39], v76 offset0:2 offset1:3
	ds_read_b64 v[40:41], v73 offset:24576
	ds_read_b64 v[92:93], v74 offset:24576
	;; [unrolled: 1-line block ×3, first 2 shown]
	s_waitcnt lgkmcnt(0)
	v_mfma_f32_16x16x16_bf16 a[0:3], v[34:35], v[30:31], a[0:3]
	v_mov_b32_e32 v90, 0
	v_mov_b32_e32 v26, 0
	v_mov_b32_e32 v27, 0
	v_mfma_f32_16x16x16_bf16 a[0:3], v[40:41], v[32:33], a[0:3]
	v_mov_b32_e32 v28, 0
	v_mov_b32_e32 v29, 0
	v_mov_b32_e32 v30, 0
	;; [unrolled: 4-line block ×4, first 2 shown]
	s_and_b64 vcc, exec, s[0:1]
	s_waitcnt vmcnt(7)
	v_sub_f32_e32 v37, s24, v91
	v_mul_f32_e32 v37, 0x3fb8aa3b, v37
	v_accvgpr_read_b32 v41, a1
	v_accvgpr_read_b32 v39, a3
	;; [unrolled: 1-line block ×4, first 2 shown]
	s_waitcnt vmcnt(6)
	v_lshlrev_b32_e32 v92, 16, v96
	s_waitcnt vmcnt(5)
	v_lshlrev_b32_e32 v93, 16, v97
	s_waitcnt vmcnt(4)
	v_lshlrev_b32_e32 v94, 16, v98
	s_waitcnt vmcnt(2)
	v_sub_f32_e32 v91, s24, v100
	s_waitcnt vmcnt(1)
	v_sub_f32_e32 v97, s24, v101
	;; [unrolled: 2-line block ×3, first 2 shown]
	v_lshlrev_b32_e32 v95, 16, v99
	v_exp_f32_e32 v96, v37
	v_mul_f32_e32 v37, 0x3fb8aa3b, v91
	v_mul_f32_e32 v91, 0x3fb8aa3b, v97
	;; [unrolled: 1-line block ×3, first 2 shown]
	v_exp_f32_e32 v97, v37
	v_exp_f32_e32 v98, v91
	;; [unrolled: 1-line block ×3, first 2 shown]
	v_pk_add_f32 v[40:41], v[92:93], v[40:41] neg_lo:[0,1] neg_hi:[0,1]
	v_pk_add_f32 v[38:39], v[94:95], v[38:39] neg_lo:[0,1] neg_hi:[0,1]
	v_pk_mul_f32 v[40:41], v[96:97], v[40:41]
	v_pk_mul_f32 v[38:39], v[98:99], v[38:39]
	v_mov_b32_e32 v37, 0
	v_perm_b32 v39, v39, v38, s3
	v_perm_b32 v38, v41, v40, s3
	ds_write_b64 v68, v[38:39]
	v_mov_b32_e32 v38, 0
	v_mov_b32_e32 v39, 0
	;; [unrolled: 1-line block ×4, first 2 shown]
	s_cbranch_vccnz .LBB738_40
; %bb.39:                               ;   in Loop: Header=BB738_32 Depth=1
	s_and_b32 s29, s29, 0xffff
	s_mov_b32 s31, s27
	buffer_load_dwordx4 v[38:41], v82, s[28:31], 0 offen
	buffer_load_dwordx4 v[30:33], v82, s[28:31], s59 offen
	;; [unrolled: 1-line block ×4, first 2 shown]
	v_mov_b32_e32 v89, v62
	v_mov_b32_e32 v90, v61
.LBB738_40:                             ;   in Loop: Header=BB738_32 Depth=1
	s_waitcnt lgkmcnt(0)
	s_barrier
	ds_read_b64 v[100:101], v85
	ds_read2st64_b64 v[92:95], v76 offset1:1
	ds_read2st64_b64 v[96:99], v76 offset0:2 offset1:3
	ds_read_b64 v[102:103], v86
	ds_read_b64 v[104:105], v87
	;; [unrolled: 1-line block ×3, first 2 shown]
	s_waitcnt lgkmcnt(4)
	v_mfma_f32_16x16x16_bf16 a[0:3], v[100:101], v[92:93], 0
	ds_read_b64 v[100:101], v78 offset:8192
	ds_read_b64 v[108:109], v79 offset:8192
	s_add_i32 s25, s56, s62
	s_mul_hi_i32 s29, s25, s17
	s_waitcnt lgkmcnt(1)
	v_mfma_f32_16x16x16_bf16 a[4:7], v[100:101], v[92:93], 0
	s_mul_i32 s25, s25, s17
	s_add_u32 s28, s25, s49
	s_addc_u32 s29, s29, s51
	v_mfma_f32_16x16x16_bf16 a[0:3], v[102:103], v[94:95], a[0:3]
	ds_read_b64 v[100:101], v47
	ds_read_b64 v[102:103], v77
	ds_read_b64 v[92:93], v80 offset:8192
	s_lshl_b64 s[28:29], s[28:29], 15
	v_mfma_f32_16x16x16_bf16 a[0:3], v[104:105], v[96:97], a[0:3]
	ds_read_b64 v[104:105], v81 offset:8192
	s_and_b64 vcc, exec, s[0:1]
	s_waitcnt lgkmcnt(4)
	v_mfma_f32_16x16x16_bf16 a[4:7], v[108:109], v[94:95], a[4:7]
	s_waitcnt lgkmcnt(1)
	v_mfma_f32_16x16x16_bf16 a[4:7], v[92:93], v[96:97], a[4:7]
	v_lshl_add_u64 v[92:93], v[48:49], 0, s[28:29]
	global_store_dwordx4 v[92:93], v[100:103], off
	v_mfma_f32_16x16x16_bf16 a[0:3], v[106:107], v[98:99], a[0:3]
	s_waitcnt lgkmcnt(0)
	v_mfma_f32_16x16x16_bf16 a[4:7], v[104:105], v[98:99], a[4:7]
	s_cbranch_vccnz .LBB738_42
; %bb.41:                               ;   in Loop: Header=BB738_32 Depth=1
	v_lshrrev_b32_e32 v91, 3, v89
	v_and_b32_e32 v91, 6, v91
	v_xor_b32_e32 v90, v91, v90
	v_lshlrev_b32_e32 v90, 2, v90
	v_and_b32_e32 v89, 8, v89
	v_xor_b32_e32 v92, 0x440, v90
	v_cmp_eq_u32_e32 vcc, 0, v89
	s_barrier
	s_nop 0
	v_cndmask_b32_e32 v89, v92, v90, vcc
	v_lshl_or_b32 v89, v91, 10, v89
	s_waitcnt vmcnt(2)
	v_perm_b32 v90, v38, v34, s60
	s_waitcnt vmcnt(1)
	v_perm_b32 v91, v30, v26, s60
	ds_write2st64_b32 v89, v90, v91 offset1:32
	v_xor_b32_e32 v90, 8, v89
	v_perm_b32 v34, v38, v34, s61
	v_perm_b32 v26, v30, v26, s61
	v_add_u32_e32 v30, 0x80, v90
	ds_write2st64_b32 v30, v34, v26 offset1:32
	v_xor_b32_e32 v26, 16, v89
	v_perm_b32 v30, v39, v35, s60
	v_perm_b32 v34, v31, v27, s60
	ds_write2st64_b32 v26, v30, v34 offset0:1 offset1:33
	v_xor_b32_e32 v26, 24, v89
	v_perm_b32 v30, v39, v35, s61
	v_perm_b32 v27, v31, v27, s61
	v_add_u32_e32 v26, 0x80, v26
	ds_write2st64_b32 v26, v30, v27 offset0:1 offset1:33
	v_xor_b32_e32 v26, 32, v89
	v_perm_b32 v27, v40, v36, s60
	v_perm_b32 v30, v32, v28, s60
	ds_write2st64_b32 v26, v27, v30 offset0:2 offset1:34
	v_xor_b32_e32 v26, 40, v89
	v_perm_b32 v27, v40, v36, s61
	v_perm_b32 v28, v32, v28, s61
	v_add_u32_e32 v26, 0x80, v26
	ds_write2st64_b32 v26, v27, v28 offset0:2 offset1:34
	;; [unrolled: 9-line block ×3, first 2 shown]
	ds_write_b64 v9, v[22:23] offset:16384
	v_xor_b32_e32 v22, 8, v9
	ds_write_b64 v22, v[24:25] offset:16384
	ds_write_b64 v9, v[18:19] offset:24576
	;; [unrolled: 1-line block ×4, first 2 shown]
	v_xor_b32_e32 v9, 8, v5
	ds_write_b64 v9, v[16:17] offset:16384
	ds_write_b64 v5, v[10:11] offset:24576
	ds_write_b64 v9, v[12:13] offset:24576
.LBB738_42:                             ;   in Loop: Header=BB738_32 Depth=1
	v_mul_f32_e32 v5, s24, v84
	v_exp_f32_e32 v10, v5
	s_nop 1
	v_accvgpr_read_b32 v9, a1
	v_accvgpr_read_b32 v5, a0
	s_add_i32 s57, s57, 64
	v_fma_f32 v3, v3, v10, v9
	v_accvgpr_read_b32 v9, a4
	v_fma_f32 v6, v6, v10, v9
	v_accvgpr_read_b32 v9, a5
	;; [unrolled: 2-line block ×6, first 2 shown]
	v_fmac_f32_e32 v5, v60, v10
	s_cmp_eq_u32 s50, s39
	v_fmac_f32_e32 v9, v59, v10
	s_cbranch_scc1 .LBB738_4
; %bb.43:                               ;   in Loop: Header=BB738_32 Depth=1
	s_mov_b32 s62, s39
	v_mov_b32_e32 v60, v5
	v_mov_b32_e32 v59, v9
	s_branch .LBB738_32
.LBB738_44:
                                        ; implicit-def: $vgpr13
                                        ; implicit-def: $vgpr17
                                        ; implicit-def: $vgpr21
                                        ; implicit-def: $vgpr25
	s_cbranch_execz .LBB738_46
; %bb.45:
	s_waitcnt vmcnt(0)
	v_mad_u64_u32 v[10:11], s[0:1], v27, s19, v[26:27]
	v_lshlrev_b32_e32 v27, 1, v10
	s_lshl_b32 s2, s19, 7
	s_and_b32 s1, s5, 0xffff
	s_mov_b32 s3, 0x20000
	s_mov_b32 s0, s4
	v_add_lshl_u32 v28, v10, s19, 1
	s_movk_i32 s17, 0x80
	buffer_load_dwordx4 v[10:13], v27, s[0:3], 0 offen
	buffer_load_dwordx4 v[18:21], v27, s[0:3], s17 offen
	;; [unrolled: 1-line block ×4, first 2 shown]
.LBB738_46:
	v_lshrrev_b32_e32 v45, 2, v45
	s_cbranch_execnz .LBB738_59
.LBB738_47:
	s_and_b64 vcc, exec, s[6:7]
	s_cbranch_vccz .LBB738_57
; %bb.48:
	s_waitcnt vmcnt(0)
	v_lshlrev_b32_e32 v15, 1, v47
	v_cmp_gt_i32_e32 vcc, s30, v15
	v_mov_b32_e32 v14, 0
	v_lshlrev_b32_e32 v22, 9, v47
	v_mov_b32_e32 v10, 0
	v_mov_b32_e32 v11, 0
	;; [unrolled: 1-line block ×4, first 2 shown]
	s_and_saveexec_b64 s[0:1], vcc
	s_cbranch_execz .LBB738_50
; %bb.49:
	v_mov_b32_e32 v23, 0
	v_lshl_add_u64 v[10:11], s[4:5], 0, v[22:23]
	v_lshlrev_b32_e32 v12, 1, v26
	v_mov_b32_e32 v13, v23
	v_lshl_add_u64 v[10:11], v[10:11], 0, v[12:13]
	global_load_dwordx4 v[10:13], v[10:11], off
.LBB738_50:
	s_or_b64 exec, exec, s[0:1]
	v_or_b32_e32 v15, 1, v15
	v_cmp_gt_i32_e64 s[0:1], s30, v15
	v_lshlrev_b32_e32 v28, 8, v15
	v_mov_b32_e32 v15, 0
	v_mov_b32_e32 v16, 0
	;; [unrolled: 1-line block ×3, first 2 shown]
	s_and_saveexec_b64 s[2:3], s[0:1]
	s_cbranch_execz .LBB738_52
; %bb.51:
	v_mov_b32_e32 v29, 0
	v_lshl_add_u64 v[14:15], s[4:5], 0, v[28:29]
	v_lshlrev_b32_e32 v16, 1, v26
	v_mov_b32_e32 v17, v29
	v_lshl_add_u64 v[14:15], v[14:15], 0, v[16:17]
	global_load_dwordx4 v[14:17], v[14:15], off
.LBB738_52:
	s_or_b64 exec, exec, s[2:3]
	v_mov_b32_e32 v25, 0
	v_mov_b32_e32 v18, 0
	;; [unrolled: 1-line block ×5, first 2 shown]
	s_and_saveexec_b64 s[2:3], vcc
	s_cbranch_execz .LBB738_54
; %bb.53:
	v_mov_b32_e32 v23, 0
	v_lshl_add_u64 v[18:19], s[4:5], 0, v[22:23]
	v_lshlrev_b32_e32 v22, 1, v26
	v_lshl_add_u64 v[18:19], v[18:19], 0, v[22:23]
	global_load_dwordx4 v[18:21], v[18:19], off offset:128
.LBB738_54:
	s_or_b64 exec, exec, s[2:3]
	v_mov_b32_e32 v24, 0
	v_mov_b32_e32 v23, 0
	;; [unrolled: 1-line block ×3, first 2 shown]
	s_and_saveexec_b64 s[2:3], s[0:1]
	s_cbranch_execz .LBB738_56
; %bb.55:
	v_mov_b32_e32 v29, 0
	v_lshl_add_u64 v[22:23], s[4:5], 0, v[28:29]
	v_lshlrev_b32_e32 v28, 1, v26
	v_lshl_add_u64 v[22:23], v[22:23], 0, v[28:29]
	global_load_dwordx4 v[22:25], v[22:23], off offset:128
.LBB738_56:
	s_or_b64 exec, exec, s[2:3]
	s_branch .LBB738_59
.LBB738_57:
                                        ; implicit-def: $vgpr13
                                        ; implicit-def: $vgpr17
                                        ; implicit-def: $vgpr21
                                        ; implicit-def: $vgpr25
	s_cbranch_execz .LBB738_59
; %bb.58:
	s_waitcnt vmcnt(0)
	v_lshlrev_b32_e32 v10, 1, v26
	v_lshl_or_b32 v26, v47, 9, v10
	s_and_b32 s5, s5, 0xffff
	s_mov_b32 s7, 0x20000
	s_movk_i32 s6, 0x4000
	s_movk_i32 s0, 0x80
	buffer_load_dwordx4 v[10:13], v26, s[4:7], 0 offen
	buffer_load_dwordx4 v[14:17], v26, s[4:7], 0 offen offset:256
	buffer_load_dwordx4 v[18:21], v26, s[4:7], s0 offen
	buffer_load_dwordx4 v[22:25], v26, s[4:7], s0 offen offset:256
.LBB738_59:
	ds_read2st64_b64 v[30:33], v50 offset0:76 offset1:77
	ds_read2st64_b64 v[26:29], v50 offset0:78 offset1:79
	ds_read_b64 v[38:39], v34 offset:24576
	ds_read_b64 v[40:41], v35 offset:24576
	;; [unrolled: 1-line block ×4, first 2 shown]
	v_and_b32_e32 v51, 6, v0
	v_xor_b32_e32 v47, v47, v51
	v_lshlrev_b32_e32 v47, 2, v47
	v_and_b32_e32 v53, 1, v0
	v_xor_b32_e32 v54, 0x440, v47
	v_cmp_eq_u32_e32 vcc, 0, v53
	s_mov_b32 s0, 0x1000504
	s_waitcnt vmcnt(0)
	v_perm_b32 v53, v18, v22, s0
	v_cndmask_b32_e32 v47, v54, v47, vcc
	v_lshl_or_b32 v47, v51, 10, v47
	v_perm_b32 v51, v10, v14, s0
	ds_write2st64_b32 v47, v51, v53 offset1:32
	v_xor_b32_e32 v51, 8, v47
	s_mov_b32 s1, 0x3020706
	v_perm_b32 v10, v10, v14, s1
	v_perm_b32 v14, v18, v22, s1
	v_add_u32_e32 v18, 0x80, v51
	ds_write2st64_b32 v18, v10, v14 offset1:32
	v_xor_b32_e32 v10, 16, v47
	v_perm_b32 v14, v11, v15, s0
	v_perm_b32 v18, v19, v23, s0
	ds_write2st64_b32 v10, v14, v18 offset0:1 offset1:33
	v_xor_b32_e32 v10, 24, v47
	v_perm_b32 v11, v11, v15, s1
	v_perm_b32 v14, v19, v23, s1
	v_add_u32_e32 v10, 0x80, v10
	ds_write2st64_b32 v10, v11, v14 offset0:1 offset1:33
	v_xor_b32_e32 v10, 32, v47
	v_perm_b32 v11, v12, v16, s0
	v_perm_b32 v14, v20, v24, s0
	ds_write2st64_b32 v10, v11, v14 offset0:2 offset1:34
	v_xor_b32_e32 v10, 40, v47
	v_perm_b32 v11, v12, v16, s1
	v_perm_b32 v12, v20, v24, s1
	v_add_u32_e32 v10, 0x80, v10
	ds_write2st64_b32 v10, v11, v12 offset0:2 offset1:34
	v_xor_b32_e32 v10, 48, v47
	v_perm_b32 v11, v13, v17, s0
	v_perm_b32 v12, v21, v25, s0
	ds_write2st64_b32 v10, v11, v12 offset0:3 offset1:35
	v_xor_b32_e32 v10, 56, v47
	v_and_or_b32 v16, v45, 12, v52
	v_perm_b32 v11, v13, v17, s1
	v_perm_b32 v12, v21, v25, s1
	v_add_u32_e32 v10, 0x80, v10
	v_cmp_gt_i32_e32 vcc, s30, v16
	v_mov_b32_e32 v17, 0
	v_mov_b32_e32 v21, 0
	ds_write2st64_b32 v10, v11, v12 offset0:3 offset1:35
	s_and_saveexec_b64 s[0:1], vcc
	s_cbranch_execz .LBB738_61
; %bb.60:
	v_add_u32_e32 v10, s31, v16
	v_ashrrev_i32_e32 v11, 31, v10
	v_mul_lo_u32 v12, v11, s34
	v_mul_lo_u32 v13, v10, s35
	v_mad_u64_u32 v[10:11], s[2:3], v10, s34, 0
	v_add3_u32 v11, v11, v13, v12
	v_lshl_add_u64 v[10:11], v[10:11], 2, s[10:11]
	global_load_dword v10, v[10:11], off
	s_waitcnt vmcnt(0)
	v_sub_f32_e32 v10, s16, v10
	v_mul_f32_e32 v10, 0x3fb8aa3b, v10
	v_exp_f32_e32 v21, v10
.LBB738_61:
	s_or_b64 exec, exec, s[0:1]
	v_or_b32_e32 v19, 1, v16
	v_cmp_gt_i32_e64 s[0:1], s30, v19
	s_and_saveexec_b64 s[2:3], s[0:1]
	s_cbranch_execz .LBB738_63
; %bb.62:
	v_add_u32_e32 v10, s31, v19
	v_ashrrev_i32_e32 v11, 31, v10
	v_mul_lo_u32 v12, v11, s34
	v_mul_lo_u32 v13, v10, s35
	v_mad_u64_u32 v[10:11], s[4:5], v10, s34, 0
	v_add3_u32 v11, v11, v13, v12
	v_lshl_add_u64 v[10:11], v[10:11], 2, s[10:11]
	global_load_dword v10, v[10:11], off
	s_waitcnt vmcnt(0)
	v_sub_f32_e32 v10, s16, v10
	v_mul_f32_e32 v10, 0x3fb8aa3b, v10
	v_exp_f32_e32 v17, v10
.LBB738_63:
	s_or_b64 exec, exec, s[2:3]
	v_or_b32_e32 v20, 2, v16
	v_cmp_gt_i32_e64 s[2:3], s30, v20
	v_mov_b32_e32 v18, 0
	v_mov_b32_e32 v23, 0
	s_and_saveexec_b64 s[4:5], s[2:3]
	s_cbranch_execz .LBB738_65
; %bb.64:
	v_add_u32_e32 v10, s31, v20
	v_ashrrev_i32_e32 v11, 31, v10
	v_mul_lo_u32 v12, v11, s34
	v_mul_lo_u32 v13, v10, s35
	v_mad_u64_u32 v[10:11], s[6:7], v10, s34, 0
	v_add3_u32 v11, v11, v13, v12
	v_lshl_add_u64 v[10:11], v[10:11], 2, s[10:11]
	global_load_dword v10, v[10:11], off
	s_waitcnt vmcnt(0)
	v_sub_f32_e32 v10, s16, v10
	v_mul_f32_e32 v10, 0x3fb8aa3b, v10
	v_exp_f32_e32 v23, v10
.LBB738_65:
	s_or_b64 exec, exec, s[4:5]
	v_or_b32_e32 v22, 3, v16
	v_cmp_gt_i32_e64 s[4:5], s30, v22
	s_and_saveexec_b64 s[6:7], s[4:5]
	s_cbranch_execz .LBB738_67
; %bb.66:
	v_add_u32_e32 v10, s31, v22
	v_ashrrev_i32_e32 v11, 31, v10
	v_mul_lo_u32 v12, v11, s34
	v_mul_lo_u32 v13, v10, s35
	v_mad_u64_u32 v[10:11], s[18:19], v10, s34, 0
	v_add3_u32 v11, v11, v13, v12
	v_lshl_add_u64 v[10:11], v[10:11], 2, s[10:11]
	global_load_dword v10, v[10:11], off
	s_waitcnt vmcnt(0)
	v_sub_f32_e32 v10, s16, v10
	v_mul_f32_e32 v10, 0x3fb8aa3b, v10
	v_exp_f32_e32 v18, v10
.LBB738_67:
	s_or_b64 exec, exec, s[6:7]
	s_waitcnt lgkmcnt(11)
	v_mfma_f32_16x16x16_bf16 a[0:3], v[38:39], v[30:31], a[0:3]
	s_add_u32 s6, s8, s24
	v_ashrrev_i32_e32 v47, 31, v46
	s_addc_u32 s7, s9, s25
	s_waitcnt lgkmcnt(10)
	v_mfma_f32_16x16x16_bf16 a[0:3], v[40:41], v[32:33], a[0:3]
	v_mov_b32_e32 v24, 0
	v_lshl_add_u64 v[14:15], v[46:47], 1, s[6:7]
	v_mov_b32_e32 v25, 0
	s_waitcnt lgkmcnt(9)
	v_mfma_f32_16x16x16_bf16 a[0:3], v[36:37], v[26:27], a[0:3]
	s_waitcnt lgkmcnt(8)
	v_mfma_f32_16x16x16_bf16 a[0:3], v[34:35], v[28:29], a[0:3]
	s_nop 6
	v_accvgpr_read_b32 v13, a3
	v_accvgpr_read_b32 v12, a2
	;; [unrolled: 1-line block ×4, first 2 shown]
	s_and_saveexec_b64 s[6:7], vcc
	s_cbranch_execz .LBB738_69
; %bb.68:
	v_lshlrev_b32_e32 v26, 8, v16
	v_mov_b32_e32 v27, 0
	v_lshl_add_u64 v[26:27], v[14:15], 0, v[26:27]
	global_load_ushort v25, v[26:27], off
	s_waitcnt vmcnt(0)
	v_lshlrev_b32_e32 v25, 16, v25
	v_sub_f32_e32 v10, v25, v10
	v_mul_f32_e32 v10, v21, v10
	v_lshrrev_b32_e32 v25, 16, v10
.LBB738_69:
	s_or_b64 exec, exec, s[6:7]
	s_and_saveexec_b64 s[6:7], s[0:1]
	s_cbranch_execz .LBB738_71
; %bb.70:
	v_lshlrev_b32_e32 v26, 8, v19
	v_mov_b32_e32 v27, 0
	v_lshl_add_u64 v[26:27], v[14:15], 0, v[26:27]
	global_load_ushort v10, v[26:27], off
	s_waitcnt vmcnt(0)
	v_lshlrev_b32_e32 v10, 16, v10
	v_sub_f32_e32 v10, v10, v11
	v_mul_f32_e32 v10, v17, v10
	v_lshrrev_b32_e32 v24, 16, v10
.LBB738_71:
	s_or_b64 exec, exec, s[6:7]
	v_mov_b32_e32 v11, 0
	v_mov_b32_e32 v17, 0
	s_and_saveexec_b64 s[0:1], s[2:3]
	s_cbranch_execz .LBB738_73
; %bb.72:
	v_lshlrev_b32_e32 v20, 8, v20
	v_mov_b32_e32 v21, 0
	v_lshl_add_u64 v[20:21], v[14:15], 0, v[20:21]
	global_load_ushort v10, v[20:21], off
	s_waitcnt vmcnt(0)
	v_lshlrev_b32_e32 v10, 16, v10
	v_sub_f32_e32 v10, v10, v12
	v_mul_f32_e32 v10, v23, v10
	v_lshrrev_b32_e32 v17, 16, v10
.LBB738_73:
	s_or_b64 exec, exec, s[0:1]
	v_or_b32_e32 v10, 0x9800, v50
	s_and_saveexec_b64 s[0:1], s[4:5]
	s_cbranch_execz .LBB738_75
; %bb.74:
	v_lshlrev_b32_e32 v20, 8, v22
	v_mov_b32_e32 v21, 0
	v_lshl_add_u64 v[14:15], v[14:15], 0, v[20:21]
	global_load_ushort v11, v[14:15], off
	s_waitcnt vmcnt(0)
	v_lshlrev_b32_e32 v11, 16, v11
	v_sub_f32_e32 v11, v11, v13
	v_mul_f32_e32 v11, v18, v11
	v_lshrrev_b32_e32 v11, 16, v11
.LBB738_75:
	s_or_b64 exec, exec, s[0:1]
	s_mov_b32 s0, 0x5040100
	v_perm_b32 v13, v11, v17, s0
	v_lshlrev_b32_e32 v11, 1, v48
	v_perm_b32 v12, v24, v25, s0
	v_lshl_or_b32 v11, v16, 5, v11
	s_movk_i32 s0, 0xff
	ds_write_b64 v11, v[12:13] offset:38912
	v_and_b32_e32 v11, 7, v0
	v_and_b32_e32 v12, 8, v0
	v_cmp_lt_u32_e32 vcc, s0, v0
	v_lshrrev_b32_e32 v0, 1, v0
	v_lshlrev_b32_e32 v22, 3, v1
	v_and_b32_e32 v23, 24, v0
	v_xor_b32_e32 v0, v22, v23
	v_cndmask_b32_e64 v13, 0, 1, vcc
	v_or_b32_e32 v1, 0x440, v0
	v_cmp_eq_u32_e32 vcc, 0, v12
	v_lshlrev_b32_e32 v20, 3, v11
	v_lshlrev_b32_e32 v11, 7, v11
	v_cndmask_b32_e32 v0, v1, v0, vcc
	v_or_b32_e32 v0, v0, v49
	v_lshlrev_b32_e32 v21, 13, v13
	v_xad_u32 v24, v0, v20, v11
	v_add_u32_e32 v0, v21, v24
	s_waitcnt lgkmcnt(0)
	s_barrier
	ds_read_b64 v[0:1], v0
	ds_read2st64_b64 v[12:15], v10 offset1:1
	ds_read2st64_b64 v[16:19], v10 offset0:2 offset1:3
	s_waitcnt lgkmcnt(1)
	v_mfma_f32_16x16x16_bf16 a[0:3], v[0:1], v[12:13], 0
	v_or_b32_e32 v0, 32, v23
	v_xor_b32_e32 v0, v22, v0
	v_or_b32_e32 v1, 0x440, v0
	v_cndmask_b32_e32 v0, v1, v0, vcc
	v_or_b32_e32 v0, v0, v49
	v_xad_u32 v25, v0, v20, v11
	v_add_u32_e32 v0, v21, v25
	ds_read_b64 v[0:1], v0
	v_or_b32_e32 v10, 0x60, v23
	s_waitcnt lgkmcnt(0)
	v_mfma_f32_16x16x16_bf16 a[0:3], v[0:1], v[14:15], a[0:3]
	v_or_b32_e32 v0, 64, v23
	v_xor_b32_e32 v0, v22, v0
	v_xor_b32_e32 v1, 0x440, v0
	v_cndmask_b32_e32 v0, v1, v0, vcc
	v_or_b32_e32 v0, v0, v49
	v_xad_u32 v26, v0, v20, v11
	v_add_u32_e32 v0, v21, v26
	ds_read_b64 v[0:1], v0
	v_xor_b32_e32 v10, v22, v10
	v_xor_b32_e32 v22, 0x440, v10
	v_cndmask_b32_e32 v10, v22, v10, vcc
	v_or_b32_e32 v10, v10, v49
	v_xad_u32 v22, v10, v20, v11
	v_add_u32_e32 v10, v21, v22
	ds_read_b64 v[10:11], v10
	s_waitcnt lgkmcnt(1)
	v_mfma_f32_16x16x16_bf16 a[0:3], v[0:1], v[16:17], a[0:3]
	ds_read_b64 v[0:1], v24 offset:8192
	ds_read_b64 v[20:21], v25 offset:8192
	v_mov_b32_e32 v23, 0x3fb8aa3b
	s_waitcnt lgkmcnt(2)
	v_mfma_f32_16x16x16_bf16 a[0:3], v[10:11], v[18:19], a[0:3]
	v_mul_f32_e32 v10, s16, v23
	v_exp_f32_e32 v23, v10
	ds_read_b64 v[10:11], v26 offset:8192
	s_waitcnt lgkmcnt(2)
	v_mfma_f32_16x16x16_bf16 a[4:7], v[0:1], v[12:13], 0
	ds_read_b64 v[12:13], v22 offset:8192
	s_nop 0
	v_accvgpr_read_b32 v0, a0
	v_accvgpr_read_b32 v1, a1
	s_waitcnt lgkmcnt(2)
	v_mfma_f32_16x16x16_bf16 a[4:7], v[20:21], v[14:15], a[4:7]
	v_fma_f32 v0, v2, v23, v0
	v_fma_f32 v1, v3, v23, v1
	v_accvgpr_read_b32 v2, a2
	s_waitcnt lgkmcnt(1)
	v_mfma_f32_16x16x16_bf16 a[4:7], v[10:11], v[16:17], a[4:7]
	v_accvgpr_read_b32 v3, a3
	v_fma_f32 v2, v4, v23, v2
	v_fmac_f32_e32 v3, v5, v23
	s_waitcnt lgkmcnt(0)
	v_mfma_f32_16x16x16_bf16 a[0:3], v[12:13], v[18:19], a[4:7]
	s_nop 6
	v_accvgpr_read_b32 v4, a0
	v_accvgpr_read_b32 v5, a1
	v_fma_f32 v4, v6, v23, v4
	v_fma_f32 v5, v7, v23, v5
	v_accvgpr_read_b32 v6, a2
	v_accvgpr_read_b32 v7, a3
	v_fma_f32 v6, v8, v23, v6
	v_fmac_f32_e32 v7, v9, v23
	v_mov_b64_e32 v[8:9], v[6:7]
	v_mov_b64_e32 v[6:7], v[4:5]
	;; [unrolled: 1-line block ×4, first 2 shown]
.LBB738_76:
	s_add_u32 s0, s12, s14
	s_addc_u32 s1, s13, s15
	v_lshl_add_u64 v[0:1], v[42:43], 2, s[0:1]
	v_mov_b32_e32 v45, 0
	v_lshl_add_u64 v[0:1], v[0:1], 0, v[44:45]
	global_store_dwordx4 v[0:1], v[2:5], off
	global_store_dwordx4 v[0:1], v[6:9], off offset:256
	s_endpgm
	.section	.rodata,"a",@progbits
	.p2align	6, 0x0
	.amdhsa_kernel _ZN12_GLOBAL__N_139chunk_gated_delta_rule_fwd_h_hip_kernelILi16ELb1ELb1ELb0ELb1ELb0ELb0ELb1ELb0EEEvPK12hip_bfloat16S3_S3_PKfS5_PKvPS1_S8_PvPKiSB_iiiiilll
		.amdhsa_group_segment_fixed_size 40960
		.amdhsa_private_segment_fixed_size 0
		.amdhsa_kernarg_size 136
		.amdhsa_user_sgpr_count 2
		.amdhsa_user_sgpr_dispatch_ptr 0
		.amdhsa_user_sgpr_queue_ptr 0
		.amdhsa_user_sgpr_kernarg_segment_ptr 1
		.amdhsa_user_sgpr_dispatch_id 0
		.amdhsa_user_sgpr_kernarg_preload_length 0
		.amdhsa_user_sgpr_kernarg_preload_offset 0
		.amdhsa_user_sgpr_private_segment_size 0
		.amdhsa_uses_dynamic_stack 0
		.amdhsa_enable_private_segment 0
		.amdhsa_system_sgpr_workgroup_id_x 1
		.amdhsa_system_sgpr_workgroup_id_y 1
		.amdhsa_system_sgpr_workgroup_id_z 0
		.amdhsa_system_sgpr_workgroup_info 0
		.amdhsa_system_vgpr_workitem_id 0
		.amdhsa_next_free_vgpr 120
		.amdhsa_next_free_sgpr 63
		.amdhsa_accum_offset 112
		.amdhsa_reserve_vcc 1
		.amdhsa_float_round_mode_32 0
		.amdhsa_float_round_mode_16_64 0
		.amdhsa_float_denorm_mode_32 3
		.amdhsa_float_denorm_mode_16_64 3
		.amdhsa_dx10_clamp 1
		.amdhsa_ieee_mode 1
		.amdhsa_fp16_overflow 0
		.amdhsa_tg_split 0
		.amdhsa_exception_fp_ieee_invalid_op 0
		.amdhsa_exception_fp_denorm_src 0
		.amdhsa_exception_fp_ieee_div_zero 0
		.amdhsa_exception_fp_ieee_overflow 0
		.amdhsa_exception_fp_ieee_underflow 0
		.amdhsa_exception_fp_ieee_inexact 0
		.amdhsa_exception_int_div_zero 0
	.end_amdhsa_kernel
	.section	.text._ZN12_GLOBAL__N_139chunk_gated_delta_rule_fwd_h_hip_kernelILi16ELb1ELb1ELb0ELb1ELb0ELb0ELb1ELb0EEEvPK12hip_bfloat16S3_S3_PKfS5_PKvPS1_S8_PvPKiSB_iiiiilll,"axG",@progbits,_ZN12_GLOBAL__N_139chunk_gated_delta_rule_fwd_h_hip_kernelILi16ELb1ELb1ELb0ELb1ELb0ELb0ELb1ELb0EEEvPK12hip_bfloat16S3_S3_PKfS5_PKvPS1_S8_PvPKiSB_iiiiilll,comdat
.Lfunc_end738:
	.size	_ZN12_GLOBAL__N_139chunk_gated_delta_rule_fwd_h_hip_kernelILi16ELb1ELb1ELb0ELb1ELb0ELb0ELb1ELb0EEEvPK12hip_bfloat16S3_S3_PKfS5_PKvPS1_S8_PvPKiSB_iiiiilll, .Lfunc_end738-_ZN12_GLOBAL__N_139chunk_gated_delta_rule_fwd_h_hip_kernelILi16ELb1ELb1ELb0ELb1ELb0ELb0ELb1ELb0EEEvPK12hip_bfloat16S3_S3_PKfS5_PKvPS1_S8_PvPKiSB_iiiiilll
                                        ; -- End function
	.section	.AMDGPU.csdata,"",@progbits
; Kernel info:
; codeLenInByte = 7672
; NumSgprs: 69
; NumVgprs: 110
; NumAgprs: 8
; TotalNumVgprs: 120
; ScratchSize: 0
; MemoryBound: 0
; FloatMode: 240
; IeeeMode: 1
; LDSByteSize: 40960 bytes/workgroup (compile time only)
; SGPRBlocks: 8
; VGPRBlocks: 14
; NumSGPRsForWavesPerEU: 69
; NumVGPRsForWavesPerEU: 120
; AccumOffset: 112
; Occupancy: 1
; WaveLimiterHint : 1
; COMPUTE_PGM_RSRC2:SCRATCH_EN: 0
; COMPUTE_PGM_RSRC2:USER_SGPR: 2
; COMPUTE_PGM_RSRC2:TRAP_HANDLER: 0
; COMPUTE_PGM_RSRC2:TGID_X_EN: 1
; COMPUTE_PGM_RSRC2:TGID_Y_EN: 1
; COMPUTE_PGM_RSRC2:TGID_Z_EN: 0
; COMPUTE_PGM_RSRC2:TIDIG_COMP_CNT: 0
; COMPUTE_PGM_RSRC3_GFX90A:ACCUM_OFFSET: 27
; COMPUTE_PGM_RSRC3_GFX90A:TG_SPLIT: 0
	.section	.text._ZN12_GLOBAL__N_139chunk_gated_delta_rule_fwd_h_hip_kernelILi16ELb1ELb0ELb1ELb1ELb0ELb0ELb1ELb0EEEvPK12hip_bfloat16S3_S3_PKfS5_PKvPS1_S8_PvPKiSB_iiiiilll,"axG",@progbits,_ZN12_GLOBAL__N_139chunk_gated_delta_rule_fwd_h_hip_kernelILi16ELb1ELb0ELb1ELb1ELb0ELb0ELb1ELb0EEEvPK12hip_bfloat16S3_S3_PKfS5_PKvPS1_S8_PvPKiSB_iiiiilll,comdat
	.globl	_ZN12_GLOBAL__N_139chunk_gated_delta_rule_fwd_h_hip_kernelILi16ELb1ELb0ELb1ELb1ELb0ELb0ELb1ELb0EEEvPK12hip_bfloat16S3_S3_PKfS5_PKvPS1_S8_PvPKiSB_iiiiilll ; -- Begin function _ZN12_GLOBAL__N_139chunk_gated_delta_rule_fwd_h_hip_kernelILi16ELb1ELb0ELb1ELb1ELb0ELb0ELb1ELb0EEEvPK12hip_bfloat16S3_S3_PKfS5_PKvPS1_S8_PvPKiSB_iiiiilll
	.p2align	8
	.type	_ZN12_GLOBAL__N_139chunk_gated_delta_rule_fwd_h_hip_kernelILi16ELb1ELb0ELb1ELb1ELb0ELb0ELb1ELb0EEEvPK12hip_bfloat16S3_S3_PKfS5_PKvPS1_S8_PvPKiSB_iiiiilll,@function
_ZN12_GLOBAL__N_139chunk_gated_delta_rule_fwd_h_hip_kernelILi16ELb1ELb0ELb1ELb1ELb0ELb0ELb1ELb0EEEvPK12hip_bfloat16S3_S3_PKfS5_PKvPS1_S8_PvPKiSB_iiiiilll: ; @_ZN12_GLOBAL__N_139chunk_gated_delta_rule_fwd_h_hip_kernelILi16ELb1ELb0ELb1ELb1ELb0ELb0ELb1ELb0EEEvPK12hip_bfloat16S3_S3_PKfS5_PKvPS1_S8_PvPKiSB_iiiiilll
; %bb.0:
	s_load_dwordx4 s[12:15], s[0:1], 0x5c
	s_load_dwordx4 s[4:7], s[0:1], 0x48
	s_abs_i32 s9, s3
	s_ashr_i32 s8, s3, 31
	v_and_b32_e32 v53, 15, v0
	s_waitcnt lgkmcnt(0)
	s_abs_i32 s10, s13
	v_cvt_f32_u32_e32 v1, s10
	s_sub_i32 s16, 0, s10
	s_ashr_i32 s11, s13, 31
	s_xor_b32 s8, s8, s11
	v_rcp_iflag_f32_e32 v1, v1
	v_lshrrev_b32_e32 v51, 6, v0
	v_bfe_u32 v52, v0, 4, 2
	v_mov_b32_e32 v5, 0
	v_mul_f32_e32 v1, 0x4f7ffffe, v1
	v_cvt_u32_f32_e32 v1, v1
	v_and_b32_e32 v50, 63, v0
	v_lshrrev_b32_e32 v55, 3, v50
	v_lshlrev_b32_e32 v54, 3, v0
	v_readfirstlane_b32 s17, v1
	s_mul_i32 s16, s16, s17
	s_mul_hi_u32 s16, s17, s16
	s_add_i32 s17, s17, s16
	s_mul_hi_u32 s16, s9, s17
	s_mul_i32 s17, s16, s10
	s_sub_i32 s9, s9, s17
	s_add_i32 s18, s16, 1
	s_sub_i32 s17, s9, s10
	s_cmp_ge_u32 s9, s10
	s_cselect_b32 s16, s18, s16
	s_cselect_b32 s9, s17, s9
	s_add_i32 s17, s16, 1
	s_cmp_ge_u32 s9, s10
	s_cselect_b32 s9, s17, s16
	s_xor_b32 s9, s9, s8
	s_sub_i32 s20, s9, s8
	s_mul_i32 s24, s20, s13
	s_ashr_i32 s21, s20, 31
	s_sub_i32 s47, s3, s24
	s_lshl_b64 s[8:9], s[20:21], 2
	s_add_u32 s4, s4, s8
	s_addc_u32 s5, s5, s9
	s_add_u32 s22, s6, s8
	s_addc_u32 s23, s7, s9
	s_abs_i32 s3, s14
	v_cvt_f32_u32_e32 v1, s3
	s_load_dwordx2 s[34:35], s[4:5], 0x0
	s_sub_i32 s5, 0, s3
	s_lshl_b32 s2, s2, 4
	v_rcp_iflag_f32_e32 v1, v1
	s_load_dwordx4 s[16:19], s[0:1], 0x28
	s_load_dwordx2 s[28:29], s[0:1], 0x38
	s_waitcnt lgkmcnt(0)
	s_sub_i32 s50, s35, s34
	s_ashr_i32 s4, s50, 31
	v_mul_f32_e32 v1, 0x4f7ffffe, v1
	v_cvt_u32_f32_e32 v1, v1
	s_lshr_b32 s4, s4, 26
	s_add_i32 s4, s50, s4
	s_ashr_i32 s48, s4, 6
	v_readfirstlane_b32 s6, v1
	s_mul_i32 s5, s5, s6
	s_mul_hi_u32 s5, s6, s5
	s_add_i32 s6, s6, s5
	s_mul_hi_u32 s5, s10, s6
	s_mul_i32 s6, s5, s3
	s_ashr_i32 s4, s14, 31
	s_sub_i32 s6, s10, s6
	s_xor_b32 s4, s11, s4
	s_add_i32 s7, s5, 1
	s_sub_i32 s8, s6, s3
	s_cmp_ge_u32 s6, s3
	s_cselect_b32 s5, s7, s5
	s_cselect_b32 s6, s8, s6
	s_add_i32 s7, s5, 1
	s_cmp_ge_u32 s6, s3
	s_cselect_b32 s3, s7, s5
	s_xor_b32 s3, s3, s4
	s_sub_i32 s3, s3, s4
	s_abs_i32 s4, s3
	v_cvt_f32_u32_e32 v1, s4
	s_sub_i32 s6, 0, s4
	s_abs_i32 s5, s47
	s_xor_b32 s3, s47, s3
	v_rcp_iflag_f32_e32 v1, v1
	s_ashr_i32 s3, s3, 31
	v_or_b32_e32 v42, s2, v53
	v_lshlrev_b32_e32 v2, 7, v42
	v_mul_f32_e32 v1, 0x4f7ffffe, v1
	v_cvt_u32_f32_e32 v1, v1
	v_ashrrev_i32_e32 v3, 31, v2
	s_mul_hi_i32 s53, s47, s12
	s_mul_i32 s54, s47, s12
	v_readfirstlane_b32 s7, v1
	s_mul_i32 s6, s6, s7
	s_mul_hi_u32 s6, s7, s6
	s_add_i32 s7, s7, s6
	s_mul_hi_u32 s6, s5, s7
	s_mul_i32 s7, s6, s4
	s_sub_i32 s5, s5, s7
	s_add_i32 s7, s6, 1
	s_sub_i32 s8, s5, s4
	s_cmp_ge_u32 s5, s4
	s_cselect_b32 s6, s7, s6
	s_cselect_b32 s5, s8, s5
	s_add_i32 s7, s6, 1
	s_cmp_ge_u32 s5, s4
	s_cselect_b32 s4, s7, s6
	s_xor_b32 s4, s4, s3
	s_sub_i32 s51, s4, s3
	s_ashr_i32 s49, s47, 31
	s_mul_hi_i32 s3, s20, s13
	s_add_u32 s4, s24, s47
	s_addc_u32 s5, s3, s49
	s_lshl_b64 s[4:5], s[4:5], 16
	v_lshlrev_b32_e32 v1, 4, v51
	s_add_u32 s4, s16, s4
	v_lshl_or_b32 v56, v52, 2, v1
	s_addc_u32 s5, s17, s5
	v_lshl_add_u64 v[2:3], v[2:3], 2, s[4:5]
	v_lshlrev_b32_e32 v4, 2, v56
	v_lshl_add_u64 v[10:11], v[2:3], 0, v[4:5]
	global_load_dwordx4 v[6:9], v[10:11], off
	global_load_dwordx4 v[2:5], v[10:11], off offset:256
	s_load_dwordx8 s[4:11], s[0:1], 0x0
	s_load_dwordx2 s[30:31], s[0:1], 0x80
	s_load_dwordx4 s[24:27], s[0:1], 0x70
	s_load_dword s52, s[22:23], 0x0
	v_or_b32_e32 v57, 64, v56
	s_cmp_lt_i32 s50, 64
	s_waitcnt lgkmcnt(0)
	s_mul_i32 s33, s20, s25
	s_mul_hi_u32 s43, s20, s24
	s_mul_i32 s44, s21, s24
	s_mul_i32 s38, s20, s24
	;; [unrolled: 1-line block ×3, first 2 shown]
	s_mul_hi_u32 s45, s47, s26
	s_mul_i32 s46, s49, s26
	s_mul_i32 s36, s47, s26
	s_cbranch_scc1 .LBB739_3
; %bb.1:
	s_ashr_i32 s1, s34, 31
	s_add_u32 s0, s54, s34
	s_addc_u32 s1, s53, s1
	s_lshl_b64 s[0:1], s[0:1], 8
	v_and_b32_e32 v59, 56, v54
	s_add_u32 s20, s6, s0
	v_lshl_or_b32 v58, v51, 3, v55
	v_lshlrev_b32_e32 v10, 1, v59
	s_addc_u32 s0, s7, s1
	v_lshl_or_b32 v60, v58, 8, v10
	s_and_b32 s21, s0, 0xffff
	s_mov_b32 s23, 0x20000
	s_movk_i32 s22, 0x4000
	s_movk_i32 s0, 0x80
	v_or_b32_e32 v61, 0x2000, v60
	buffer_load_dwordx4 v[12:15], v60, s[20:23], 0 offen
	buffer_load_dwordx4 v[16:19], v60, s[20:23], s0 offen
	;; [unrolled: 1-line block ×4, first 2 shown]
	v_lshlrev_b32_e32 v11, 3, v58
	v_and_or_b32 v29, v0, 7, v11
	v_and_b32_e32 v11, 0x78, v11
	v_lshlrev_b32_e32 v29, 4, v29
	v_xor_b32_e32 v62, v29, v11
	v_mul_lo_u32 v28, v58, s15
	v_or_b32_e32 v63, 0x1000, v62
	v_xor_b32_e32 v11, 8, v62
	s_cmpk_eq_i32 s15, 0x80
	s_mov_b32 s55, s34
	v_xor_b32_e32 v29, 8, v63
	s_cselect_b64 s[0:1], -1, 0
	s_cmpk_lg_i32 s15, 0x80
	s_waitcnt vmcnt(3)
	ds_write_b64 v62, v[12:13] offset:16384
	ds_write_b64 v11, v[14:15] offset:16384
	s_waitcnt vmcnt(2)
	ds_write_b64 v62, v[16:17] offset:24576
	ds_write_b64 v11, v[18:19] offset:24576
	;; [unrolled: 3-line block ×4, first 2 shown]
	v_lshl_add_u32 v11, v28, 1, v59
	s_cbranch_scc0 .LBB739_29
; %bb.2:
	v_lshlrev_b32_e32 v13, 1, v11
	v_add_lshl_u32 v12, v11, s15, 1
	s_lshl_b32 s22, s15, 7
	v_lshl_or_b32 v10, v58, 9, v10
	s_cbranch_execz .LBB739_30
	s_branch .LBB739_31
.LBB739_3:
	s_waitcnt vmcnt(0)
	v_mov_b32_e32 v10, v5
	v_mov_b32_e32 v11, v9
.LBB739_4:
	s_lshl_b32 s26, s48, 6
	s_sub_i32 s27, s50, s26
	s_cmp_gt_i32 s27, 0
	s_cbranch_scc0 .LBB739_76
; %bb.5:
	s_add_i32 s26, s26, s34
	s_ashr_i32 s3, s26, 31
	s_cmpk_lg_i32 s15, 0x80
	s_cselect_b64 s[22:23], -1, 0
	s_and_b64 vcc, exec, s[22:23]
	s_cbranch_vccz .LBB739_7
; %bb.6:
	s_mul_hi_i32 s0, s26, s14
	s_mul_i32 s1, s26, s14
	s_ashr_i32 s14, s51, 31
	s_add_u32 s24, s1, s51
	s_addc_u32 s25, s0, s14
	s_cbranch_execz .LBB739_8
	s_branch .LBB739_9
.LBB739_7:
                                        ; implicit-def: $sgpr24_sgpr25
.LBB739_8:
	s_mul_i32 s1, s51, s12
	s_mul_hi_i32 s0, s51, s12
	s_add_u32 s24, s1, s26
	s_addc_u32 s25, s0, s3
.LBB739_9:
	s_add_i32 s12, s48, s52
	s_add_u32 s0, s54, s26
	s_addc_u32 s1, s53, s3
	s_mov_b32 s3, 0x7060302
	v_perm_b32 v5, v10, v4, s3
	v_perm_b32 v4, v3, v2, s3
	v_lshlrev_b32_e32 v2, 3, v53
	s_lshl_b64 s[20:21], s[0:1], 8
	v_perm_b32 v9, v11, v8, s3
	v_perm_b32 v8, v7, v6, s3
	s_waitcnt vmcnt(2)
	v_lshlrev_b32_e32 v34, 2, v53
	v_lshl_or_b32 v2, v56, 5, v2
	s_add_u32 s0, s6, s20
	ds_write2st64_b64 v2, v[8:9], v[4:5] offset0:72 offset1:76
	v_xor_b32_e32 v2, v56, v34
	v_lshlrev_b32_e32 v3, 8, v53
	s_addc_u32 s1, s7, s21
	v_lshl_or_b32 v2, v2, 1, v3
	s_mul_hi_i32 s3, s12, s13
	s_mul_i32 s12, s12, s13
	ds_write_b64 v2, v[8:9] offset:32768
	v_xor_b32_e32 v2, v57, v34
	s_add_u32 s6, s12, s47
	v_lshl_or_b32 v2, v2, 1, v3
	s_addc_u32 s7, s3, s49
	v_lshlrev_b32_e32 v3, 1, v53
	ds_write_b64 v2, v[4:5] offset:32768
	v_lshrrev_b32_e32 v2, 4, v0
	s_ashr_i32 s3, s2, 31
	s_lshl_b64 s[6:7], s[6:7], 15
	v_or_b32_e32 v4, 1, v3
	s_add_u32 s6, s18, s6
	v_xor_b32_e32 v3, v2, v3
	v_xor_b32_e32 v4, v4, v2
	v_lshlrev_b32_e32 v6, 8, v2
	s_addc_u32 s7, s19, s7
	s_lshl_b64 s[2:3], s[2:3], 8
	v_lshl_or_b32 v2, v3, 3, v6
	v_lshl_or_b32 v4, v4, 3, v6
	s_waitcnt lgkmcnt(0)
	s_barrier
	s_add_u32 s2, s6, s2
	ds_read_b64 v[2:3], v2 offset:32768
	ds_read_b64 v[4:5], v4 offset:32768
	s_addc_u32 s3, s7, s3
	v_mov_b32_e32 v7, 0
	s_cmp_lg_u32 s27, 64
	v_lshl_add_u64 v[8:9], s[2:3], 0, v[6:7]
	v_lshlrev_b32_e32 v6, 4, v53
	s_cselect_b64 s[6:7], -1, 0
	v_lshl_or_b32 v35, v51, 3, v55
	s_mov_b32 s16, 0
	v_lshl_add_u64 v[6:7], v[8:9], 0, v[6:7]
	v_or_b32_e32 v19, 32, v35
	v_and_b32_e32 v18, 56, v54
	s_and_b64 vcc, exec, s[6:7]
	s_waitcnt lgkmcnt(0)
	global_store_dwordx4 v[6:7], v[2:5], off
	s_cbranch_vccz .LBB739_15
; %bb.10:
	s_mov_b32 s17, s16
	s_mov_b32 s18, s16
	;; [unrolled: 1-line block ×3, first 2 shown]
	v_mov_b64_e32 v[6:7], s[16:17]
	v_mov_b64_e32 v[8:9], s[18:19]
	;; [unrolled: 1-line block ×3, first 2 shown]
	v_cmp_gt_i32_e32 vcc, s27, v35
	v_mov_b64_e32 v[4:5], v[8:9]
	s_and_saveexec_b64 s[2:3], vcc
	s_cbranch_execz .LBB739_12
; %bb.11:
	v_lshlrev_b32_e32 v2, 8, v35
	v_mov_b32_e32 v3, 0
	v_lshl_add_u64 v[4:5], s[0:1], 0, v[2:3]
	v_lshlrev_b32_e32 v2, 1, v18
	v_lshl_add_u64 v[10:11], v[4:5], 0, v[2:3]
	global_load_dwordx4 v[6:9], v[10:11], off
	global_load_dwordx4 v[2:5], v[10:11], off offset:128
.LBB739_12:
	s_or_b64 exec, exec, s[2:3]
	s_mov_b32 s17, s16
	s_mov_b32 s18, s16
	;; [unrolled: 1-line block ×3, first 2 shown]
	v_mov_b64_e32 v[14:15], s[16:17]
	v_mov_b64_e32 v[16:17], s[18:19]
	;; [unrolled: 1-line block ×3, first 2 shown]
	v_cmp_gt_i32_e32 vcc, s27, v19
	v_lshlrev_b32_e32 v20, 7, v19
	v_mov_b64_e32 v[12:13], v[16:17]
	s_and_saveexec_b64 s[2:3], vcc
	s_cbranch_execz .LBB739_14
; %bb.13:
	v_lshlrev_b32_e32 v10, 1, v20
	v_mov_b32_e32 v11, 0
	v_lshl_add_u64 v[12:13], s[0:1], 0, v[10:11]
	v_lshlrev_b32_e32 v10, 1, v18
	v_lshl_add_u64 v[22:23], v[12:13], 0, v[10:11]
	global_load_dwordx4 v[14:17], v[22:23], off
	global_load_dwordx4 v[10:13], v[22:23], off offset:128
.LBB739_14:
	s_or_b64 exec, exec, s[2:3]
	v_lshrrev_b32_e32 v21, 3, v18
	v_lshlrev_b32_e32 v22, 3, v35
	v_or_b32_e32 v21, v22, v21
	v_lshlrev_b32_e32 v21, 4, v21
	v_and_b32_e32 v22, 0x78, v22
	v_xor_b32_e32 v21, v21, v22
	s_branch .LBB739_17
.LBB739_15:
                                        ; implicit-def: $vgpr21
                                        ; implicit-def: $vgpr20
                                        ; implicit-def: $vgpr6_vgpr7_vgpr8_vgpr9
                                        ; implicit-def: $vgpr2_vgpr3_vgpr4_vgpr5
                                        ; implicit-def: $vgpr14_vgpr15_vgpr16_vgpr17
                                        ; implicit-def: $vgpr10_vgpr11_vgpr12_vgpr13
	s_cbranch_execz .LBB739_17
; %bb.16:
	s_waitcnt vmcnt(0)
	v_lshlrev_b32_e32 v2, 1, v18
	v_lshl_or_b32 v20, v35, 8, v2
	s_and_b32 s1, s1, 0xffff
	s_mov_b32 s3, 0x20000
	s_movk_i32 s2, 0x4000
	v_lshl_or_b32 v21, v19, 8, v2
	s_movk_i32 s12, 0x80
	buffer_load_dwordx4 v[6:9], v20, s[0:3], 0 offen
	buffer_load_dwordx4 v[2:5], v20, s[0:3], s12 offen
	;; [unrolled: 1-line block ×4, first 2 shown]
	v_lshrrev_b32_e32 v20, 3, v18
	v_lshlrev_b32_e32 v21, 3, v35
	v_or_b32_e32 v20, v21, v20
	v_lshlrev_b32_e32 v20, 4, v20
	v_and_b32_e32 v21, 0x78, v21
	v_xor_b32_e32 v21, v20, v21
	v_lshlrev_b32_e32 v20, 7, v19
.LBB739_17:
	s_lshl_b64 s[0:1], s[24:25], 8
	s_add_u32 s4, s4, s0
	s_movk_i32 s0, 0x1000
	v_and_or_b32 v19, v20, s0, v21
	s_waitcnt vmcnt(1)
	ds_write_b64 v21, v[6:7] offset:16384
	v_xor_b32_e32 v6, 8, v21
	ds_write_b64 v6, v[8:9] offset:16384
	s_waitcnt vmcnt(0)
	ds_write_b64 v21, v[2:3] offset:24576
	ds_write_b64 v6, v[4:5] offset:24576
	;; [unrolled: 1-line block ×3, first 2 shown]
	v_xor_b32_e32 v2, 8, v19
	ds_write_b64 v2, v[16:17] offset:16384
	ds_write_b64 v19, v[10:11] offset:24576
	;; [unrolled: 1-line block ×3, first 2 shown]
	v_or_b32_e32 v2, v1, v53
	v_lshlrev_b32_e32 v2, 3, v2
	v_lshrrev_b32_e32 v4, 5, v50
	s_movk_i32 s12, 0xf8
	v_and_or_b32 v4, v2, s12, v4
	v_lshlrev_b32_e32 v3, 11, v51
	v_lshlrev_b32_e32 v12, 4, v4
	v_and_b32_e32 v13, 0x78, v2
	v_and_b32_e32 v14, 0x1000, v3
	v_lshlrev_b32_e32 v3, 2, v0
	v_xor_b32_e32 v2, v12, v13
	v_lshrrev_b32_e32 v4, 1, v50
	v_and_b32_e32 v3, 60, v3
	v_or_b32_e32 v2, v2, v14
	v_and_b32_e32 v15, 8, v4
	v_xor_b32_e32 v26, v2, v15
	v_lshl_or_b32 v2, v52, 6, v3
	v_lshlrev_b32_e32 v19, 1, v2
	v_or_b32_e32 v2, 32, v12
	v_xor_b32_e32 v2, v2, v13
	s_waitcnt lgkmcnt(0)
	s_barrier
	ds_read_b64 v[10:11], v26 offset:16384
	v_or_b32_e32 v2, v2, v14
	v_xor_b32_e32 v27, v2, v15
	v_or_b32_e32 v2, 64, v12
	v_xor_b32_e32 v2, v2, v13
	v_or_b32_e32 v2, v2, v14
	v_or_b32_e32 v12, 0x60, v12
	v_xor_b32_e32 v28, v2, v15
	ds_read2st64_b64 v[2:5], v19 offset0:72 offset1:73
	ds_read2st64_b64 v[6:9], v19 offset0:74 offset1:75
	v_xor_b32_e32 v16, v12, v13
	ds_read_b64 v[12:13], v27 offset:16384
	s_addc_u32 s5, s5, s1
	s_add_i32 s1, s43, s33
	s_waitcnt lgkmcnt(2)
	v_mfma_f32_16x16x16_bf16 a[0:3], v[10:11], v[2:3], 0
	s_add_i32 s0, s35, -1
	s_add_i32 s39, s1, s44
	s_add_i32 s1, s45, s42
	;; [unrolled: 1-line block ×3, first 2 shown]
	s_ashr_i32 s1, s0, 31
	s_mul_i32 s2, s0, s31
	s_mul_hi_u32 s3, s0, s30
	s_add_i32 s2, s3, s2
	s_mul_i32 s1, s1, s30
	v_or_b32_e32 v14, v16, v14
	s_add_i32 s1, s2, s1
	s_lshl_b64 s[2:3], s[38:39], 2
	v_xor_b32_e32 v36, v14, v15
	ds_read_b64 v[14:15], v28 offset:16384
	ds_read_b64 v[16:17], v36 offset:16384
	s_waitcnt lgkmcnt(2)
	v_mfma_f32_16x16x16_bf16 a[0:3], v[12:13], v[4:5], a[0:3]
	s_add_u32 s10, s10, s2
	s_addc_u32 s11, s11, s3
	s_lshl_b64 s[2:3], s[36:37], 2
	s_mul_i32 s0, s0, s30
	s_add_u32 s10, s10, s2
	s_addc_u32 s11, s11, s3
	s_lshl_b64 s[0:1], s[0:1], 2
	s_waitcnt lgkmcnt(1)
	v_mfma_f32_16x16x16_bf16 a[0:3], v[14:15], v[6:7], a[0:3]
	s_add_u32 s0, s10, s0
	s_addc_u32 s1, s11, s1
	s_load_dword s12, s[0:1], 0x0
	s_waitcnt lgkmcnt(0)
	v_mfma_f32_16x16x16_bf16 a[0:3], v[16:17], v[8:9], a[0:3]
	s_and_b64 vcc, exec, s[22:23]
	s_cbranch_vccz .LBB739_28
; %bb.18:
	v_lshlrev_b32_e32 v20, 1, v35
	s_and_b64 vcc, exec, s[6:7]
	s_cbranch_vccz .LBB739_44
; %bb.19:
	v_cmp_gt_i32_e32 vcc, s27, v20
	v_mov_b32_e32 v6, 0
	v_mov_b32_e32 v2, 0
	;; [unrolled: 1-line block ×5, first 2 shown]
	s_and_saveexec_b64 s[0:1], vcc
	s_cbranch_execz .LBB739_21
; %bb.20:
	v_mad_i64_i32 v[2:3], s[2:3], s15, v20, 0
	v_lshl_add_u64 v[2:3], v[2:3], 1, s[4:5]
	v_lshlrev_b32_e32 v4, 1, v18
	v_mov_b32_e32 v5, 0
	v_lshl_add_u64 v[2:3], v[2:3], 0, v[4:5]
	global_load_dwordx4 v[2:5], v[2:3], off
.LBB739_21:
	s_or_b64 exec, exec, s[0:1]
	v_or_b32_e32 v21, 1, v20
	v_cmp_gt_i32_e64 s[0:1], s27, v21
	v_mov_b32_e32 v7, 0
	v_mov_b32_e32 v8, 0
	;; [unrolled: 1-line block ×3, first 2 shown]
	s_and_saveexec_b64 s[2:3], s[0:1]
	s_cbranch_execz .LBB739_23
; %bb.22:
	v_mad_i64_i32 v[6:7], s[16:17], s15, v21, 0
	v_lshl_add_u64 v[6:7], v[6:7], 1, s[4:5]
	v_lshlrev_b32_e32 v8, 1, v18
	v_mov_b32_e32 v9, 0
	v_lshl_add_u64 v[6:7], v[6:7], 0, v[8:9]
	global_load_dwordx4 v[6:9], v[6:7], off
.LBB739_23:
	s_or_b64 exec, exec, s[2:3]
	v_mov_b32_e32 v17, 0
	v_mov_b32_e32 v10, 0
	;; [unrolled: 1-line block ×5, first 2 shown]
	s_and_saveexec_b64 s[2:3], vcc
	s_cbranch_execz .LBB739_25
; %bb.24:
	v_mad_i64_i32 v[10:11], s[16:17], s15, v20, 0
	v_lshl_add_u64 v[10:11], v[10:11], 1, s[4:5]
	v_lshlrev_b32_e32 v12, 1, v18
	v_mov_b32_e32 v13, 0
	v_lshl_add_u64 v[10:11], v[10:11], 0, v[12:13]
	global_load_dwordx4 v[10:13], v[10:11], off offset:128
.LBB739_25:
	s_or_b64 exec, exec, s[2:3]
	v_mov_b32_e32 v16, 0
	v_mov_b32_e32 v15, 0
	;; [unrolled: 1-line block ×3, first 2 shown]
	s_and_saveexec_b64 s[2:3], s[0:1]
	s_cbranch_execz .LBB739_27
; %bb.26:
	v_mad_i64_i32 v[14:15], s[0:1], s15, v21, 0
	v_lshl_add_u64 v[14:15], v[14:15], 1, s[4:5]
	v_lshlrev_b32_e32 v16, 1, v18
	v_mov_b32_e32 v17, 0
	v_lshl_add_u64 v[14:15], v[14:15], 0, v[16:17]
	global_load_dwordx4 v[14:17], v[14:15], off offset:128
.LBB739_27:
	s_or_b64 exec, exec, s[2:3]
	s_branch .LBB739_46
.LBB739_28:
                                        ; implicit-def: $vgpr5
                                        ; implicit-def: $vgpr9
                                        ; implicit-def: $vgpr13
                                        ; implicit-def: $vgpr17
	v_lshrrev_b32_e32 v37, 2, v50
	s_branch .LBB739_47
.LBB739_29:
                                        ; implicit-def: $vgpr12
                                        ; implicit-def: $vgpr13
                                        ; implicit-def: $sgpr22
	v_lshl_or_b32 v10, v58, 9, v10
.LBB739_30:
	v_or_b32_e32 v12, 0x100, v10
	s_movk_i32 s22, 0x4000
	v_mov_b32_e32 v13, v10
.LBB739_31:
	s_mul_i32 s16, s34, s14
	s_ashr_i32 s56, s51, 31
	s_mul_hi_i32 s3, s34, s14
	s_add_u32 s16, s16, s51
	s_addc_u32 s17, s3, s56
	s_lshl_b64 s[16:17], s[16:17], 8
	s_add_u32 s20, s4, s16
	s_addc_u32 s3, s5, s17
	s_and_b32 s21, s3, 0xffff
	s_movk_i32 s57, 0x80
	buffer_load_dwordx4 v[14:17], v13, s[20:23], 0 offen
	buffer_load_dwordx4 v[18:21], v13, s[20:23], s57 offen
	;; [unrolled: 1-line block ×4, first 2 shown]
	v_and_b32_e32 v12, 6, v0
	v_lshlrev_b32_e32 v30, 2, v53
	v_lshlrev_b32_e32 v31, 3, v53
	v_xor_b32_e32 v34, v58, v12
	v_and_b32_e32 v13, 1, v0
	v_lshl_or_b32 v31, v56, 5, v31
	v_xor_b32_e32 v35, v56, v30
	v_lshlrev_b32_e32 v34, 2, v34
	v_or_b32_e32 v64, 0x9000, v31
	v_or_b32_e32 v65, 0x9800, v31
	v_lshlrev_b32_e32 v31, 1, v35
	v_xor_b32_e32 v35, 0x440, v34
	v_cmp_eq_u32_e32 vcc, 0, v13
	s_add_i32 s3, s43, s33
	s_add_i32 s16, s45, s42
	v_cndmask_b32_e32 v13, v35, v34, vcc
	s_add_i32 s39, s3, s44
	v_lshl_or_b32 v12, v12, 10, v13
	s_add_i32 s37, s16, s46
	s_lshl_b64 s[16:17], s[38:39], 2
	s_mov_b32 s58, 0x1000504
	v_lshlrev_b32_e32 v32, 8, v53
	s_mov_b32 s22, 0x8000
	v_xor_b32_e32 v30, v57, v30
	v_xor_b32_e32 v13, 8, v12
	s_add_u32 s3, s10, s16
	s_mov_b32 s59, 0x3020706
	v_or_b32_e32 v33, v1, v53
	v_lshlrev_b32_e32 v30, 1, v30
	v_or3_b32 v66, v31, v32, s22
	v_xor_b32_e32 v31, 24, v12
	v_xor_b32_e32 v34, 40, v12
	;; [unrolled: 1-line block ×3, first 2 shown]
	v_add_u32_e32 v13, 0x80, v13
	s_addc_u32 s20, s11, s17
	s_lshl_b64 s[16:17], s[36:37], 2
	v_lshlrev_b32_e32 v33, 3, v33
	v_or3_b32 v67, v30, v32, s22
	v_xor_b32_e32 v30, 16, v12
	v_xor_b32_e32 v32, 32, v12
	;; [unrolled: 1-line block ×3, first 2 shown]
	v_add_u32_e32 v31, 0x80, v31
	v_add_u32_e32 v34, 0x80, v34
	;; [unrolled: 1-line block ×3, first 2 shown]
	s_add_u32 s16, s3, s16
	s_movk_i32 s3, 0xf8
	s_addc_u32 s17, s20, s17
	v_ashrrev_i32_e32 v43, 31, v42
	s_lshl_b32 s26, s15, 7
	s_mov_b32 s60, 0
	v_mov_b32_e32 v81, 0x3fb8aa3b
	s_waitcnt vmcnt(1)
	v_perm_b32 v37, v14, v22, s58
	s_waitcnt vmcnt(0)
	v_perm_b32 v38, v18, v26, s58
	v_perm_b32 v14, v14, v22, s59
	;; [unrolled: 1-line block ×15, first 2 shown]
	ds_write2st64_b32 v12, v37, v38 offset1:32
	ds_write2st64_b32 v13, v14, v18 offset1:32
	ds_write2st64_b32 v30, v22, v26 offset0:1 offset1:33
	ds_write2st64_b32 v31, v15, v19 offset0:1 offset1:33
	;; [unrolled: 1-line block ×6, first 2 shown]
	v_lshrrev_b32_e32 v13, 5, v50
	v_and_or_b32 v13, v33, s3, v13
	v_lshlrev_b32_e32 v13, 4, v13
	v_lshlrev_b32_e32 v20, 11, v51
	v_and_b32_e32 v14, 0x78, v33
	v_or_b32_e32 v17, 32, v13
	v_and_b32_e32 v12, 0x1000, v20
	v_lshrrev_b32_e32 v21, 1, v0
	v_xor_b32_e32 v17, v17, v14
	v_and_b32_e32 v16, 8, v21
	v_or_b32_e32 v17, v17, v12
	v_xor_b32_e32 v15, v13, v14
	v_xor_b32_e32 v70, v17, v16
	v_or_b32_e32 v17, 64, v13
	v_or_b32_e32 v13, 0x60, v13
	v_xor_b32_e32 v17, v17, v14
	v_xor_b32_e32 v13, v13, v14
	v_or_b32_e32 v15, v15, v12
	v_or_b32_e32 v17, v17, v12
	;; [unrolled: 1-line block ×3, first 2 shown]
	v_xor_b32_e32 v68, v15, v16
	v_xor_b32_e32 v71, v17, v16
	;; [unrolled: 1-line block ×3, first 2 shown]
	v_lshrrev_b32_e32 v16, 4, v0
	v_lshlrev_b32_e32 v17, 1, v53
	s_ashr_i32 s3, s2, 31
	v_or_b32_e32 v18, 1, v17
	v_xor_b32_e32 v17, v16, v17
	s_lshl_b64 s[20:21], s[2:3], 8
	v_xor_b32_e32 v18, v18, v16
	v_lshlrev_b32_e32 v17, 3, v17
	v_lshlrev_b32_e32 v16, 8, v16
	v_lshlrev_b64 v[12:13], 1, v[42:43]
	s_add_u32 s20, s18, s20
	v_or3_b32 v43, v17, v16, s22
	v_lshlrev_b32_e32 v17, 3, v18
	s_addc_u32 s21, s19, s21
	v_or3_b32 v74, v17, v16, s22
	v_mov_b32_e32 v17, 0
	v_lshl_add_u64 v[18:19], s[20:21], 0, v[16:17]
	v_lshlrev_b32_e32 v16, 4, v53
	s_movk_i32 s3, 0xff
	v_lshlrev_b32_e32 v25, 3, v51
	v_and_b32_e32 v21, 24, v21
	v_lshl_add_u64 v[44:45], v[18:19], 0, v[16:17]
	v_and_b32_e32 v18, 8, v0
	v_cmp_lt_u32_e32 vcc, s3, v0
	v_xor_b32_e32 v26, v25, v21
	v_or_b32_e32 v27, 0x440, v26
	v_cndmask_b32_e64 v24, 0, 1, vcc
	v_cmp_eq_u32_e32 vcc, 0, v18
	v_and_b32_e32 v16, 7, v0
	v_lshlrev_b32_e32 v19, 3, v16
	v_cndmask_b32_e32 v18, v27, v26, vcc
	v_lshlrev_b32_e32 v16, 7, v16
	v_or_b32_e32 v18, v18, v20
	v_xad_u32 v75, v18, v19, v16
	v_or_b32_e32 v18, 32, v21
	v_xor_b32_e32 v18, v25, v18
	v_or_b32_e32 v26, 0x440, v18
	v_cndmask_b32_e32 v18, v26, v18, vcc
	v_or_b32_e32 v18, v18, v20
	v_xad_u32 v76, v18, v19, v16
	v_or_b32_e32 v18, 64, v21
	v_xor_b32_e32 v18, v25, v18
	v_xor_b32_e32 v26, 0x440, v18
	v_cndmask_b32_e32 v18, v26, v18, vcc
	v_or_b32_e32 v18, v18, v20
	v_xad_u32 v77, v18, v19, v16
	v_or_b32_e32 v18, 0x60, v21
	v_xor_b32_e32 v18, v25, v18
	v_xor_b32_e32 v21, 0x440, v18
	v_and_b32_e32 v15, 0x78, v54
	v_cndmask_b32_e32 v18, v21, v18, vcc
	v_lshl_or_b32 v15, v52, 7, v15
	v_or_b32_e32 v18, v18, v20
	v_or_b32_e32 v69, 0x9000, v15
	;; [unrolled: 1-line block ×3, first 2 shown]
	v_lshl_add_u64 v[14:15], s[8:9], 0, v[12:13]
	v_lshl_add_u64 v[12:13], s[28:29], 0, v[12:13]
	v_lshlrev_b32_e32 v22, 1, v11
	v_add_lshl_u32 v11, v11, s15, 1
	v_or_b32_e32 v23, 0x100, v10
	v_lshlrev_b32_e32 v24, 13, v24
	v_xad_u32 v78, v18, v19, v16
	v_lshlrev_b32_e32 v16, 8, v56
	v_cndmask_b32_e64 v79, v22, v10, s[0:1]
	v_cndmask_b32_e64 v80, v11, v23, s[0:1]
	v_lshl_add_u64 v[46:47], v[14:15], 0, v[16:17]
	v_lshl_add_u64 v[48:49], v[12:13], 0, v[16:17]
	s_mov_b32 s3, 0x7060302
	s_movk_i32 s22, 0x4000
	v_add_u32_e32 v82, v24, v75
	v_add_u32_e32 v83, v24, v76
	;; [unrolled: 1-line block ×4, first 2 shown]
	s_waitcnt lgkmcnt(0)
	s_barrier
.LBB739_32:                             ; =>This Inner Loop Header: Depth=1
	s_add_i32 s37, s60, 1
	s_cmp_lt_i32 s37, s48
	s_mov_b64 s[24:25], 0
	s_cselect_b64 s[40:41], -1, 0
	s_cmp_ge_i32 s37, s48
	s_mov_b64 s[20:21], 0
	s_cbranch_scc1 .LBB739_34
; %bb.33:                               ;   in Loop: Header=BB739_32 Depth=1
	s_add_i32 s0, s55, 64
	s_ashr_i32 s1, s0, 31
	s_add_u32 s0, s54, s0
	s_addc_u32 s1, s53, s1
	s_lshl_b64 s[0:1], s[0:1], 8
	s_add_u32 s20, s6, s0
	s_addc_u32 s21, s7, s1
.LBB739_34:                             ;   in Loop: Header=BB739_32 Depth=1
	v_cndmask_b32_e64 v10, 0, 1, s[40:41]
	v_cmp_ne_u32_e64 s[0:1], 1, v10
	s_andn2_b64 vcc, exec, s[40:41]
	s_cbranch_vccnz .LBB739_36
; %bb.35:                               ;   in Loop: Header=BB739_32 Depth=1
	s_add_i32 s24, s55, 64
	s_mul_hi_i32 s25, s24, s14
	s_mul_i32 s24, s24, s14
	s_add_u32 s24, s24, s51
	s_addc_u32 s25, s25, s56
	s_lshl_b64 s[24:25], s[24:25], 8
	s_add_u32 s24, s4, s24
	s_addc_u32 s25, s5, s25
.LBB739_36:                             ;   in Loop: Header=BB739_32 Depth=1
	v_perm_b32 v11, v9, v8, s3
	v_perm_b32 v10, v7, v6, s3
	;; [unrolled: 1-line block ×4, first 2 shown]
	ds_write_b64 v64, v[10:11]
	ds_write_b64 v65, v[12:13]
	;; [unrolled: 1-line block ×4, first 2 shown]
	s_waitcnt lgkmcnt(0)
	s_barrier
	ds_read_b64 v[18:19], v68 offset:16384
	ds_read_b64 v[20:21], v70 offset:16384
	ds_read2st64_b64 v[10:13], v69 offset1:1
	s_waitcnt lgkmcnt(0)
	v_mfma_f32_16x16x16_bf16 a[0:3], v[18:19], v[10:11], 0
	ds_read2st64_b64 v[14:17], v69 offset0:2 offset1:3
	ds_read_b64 v[22:23], v71 offset:16384
	ds_read_b64 v[10:11], v72 offset:16384
	s_add_i32 s27, s55, 63
	v_mfma_f32_16x16x16_bf16 a[0:3], v[20:21], v[12:13], a[0:3]
	s_ashr_i32 s39, s27, 31
	s_mul_i32 s40, s27, s31
	s_mul_hi_u32 s41, s27, s30
	s_waitcnt lgkmcnt(1)
	v_mfma_f32_16x16x16_bf16 a[0:3], v[22:23], v[14:15], a[0:3]
	s_add_i32 s40, s41, s40
	s_mul_i32 s39, s39, s30
	s_add_i32 s41, s40, s39
	s_mul_i32 s40, s27, s30
	s_waitcnt lgkmcnt(0)
	v_mfma_f32_16x16x16_bf16 a[0:3], v[10:11], v[16:17], a[0:3]
	s_lshl_b64 s[40:41], s[40:41], 2
	s_add_u32 s40, s16, s40
	s_addc_u32 s41, s17, s41
	s_and_b64 vcc, exec, s[0:1]
	v_mov_b32_e32 v88, 0
	v_mov_b32_e32 v87, 0
	;; [unrolled: 1-line block ×19, first 2 shown]
	s_cbranch_vccnz .LBB739_38
; %bb.37:                               ;   in Loop: Header=BB739_32 Depth=1
	s_and_b32 s21, s21, 0xffff
	buffer_load_dwordx4 v[22:25], v60, s[20:23], 0 offen
	buffer_load_dwordx4 v[18:21], v60, s[20:23], s57 offen
	;; [unrolled: 1-line block ×4, first 2 shown]
	v_mov_b32_e32 v87, v62
	v_mov_b32_e32 v86, v63
.LBB739_38:                             ;   in Loop: Header=BB739_32 Depth=1
	s_waitcnt vmcnt(3)
	v_add_u32_e32 v30, s55, v56
	s_waitcnt vmcnt(1)
	v_ashrrev_i32_e32 v26, 31, v30
	v_mul_lo_u32 v28, v26, s30
	v_mul_lo_u32 v29, v30, s31
	v_mad_u64_u32 v[26:27], s[20:21], v30, s30, 0
	v_add3_u32 v27, v27, v29, v28
	v_lshl_add_u64 v[26:27], v[26:27], 2, s[16:17]
	global_load_dword v90, v[26:27], off
	v_add_u32_e32 v26, 1, v30
	v_ashrrev_i32_e32 v27, 31, v26
	v_mul_lo_u32 v28, v27, s30
	v_mul_lo_u32 v29, v26, s31
	v_mad_u64_u32 v[26:27], s[20:21], v26, s30, 0
	v_add3_u32 v27, v27, v29, v28
	v_add_u32_e32 v28, 2, v30
	v_ashrrev_i32_e32 v29, 31, v28
	v_mul_lo_u32 v31, v29, s30
	v_mul_lo_u32 v32, v28, s31
	v_mad_u64_u32 v[28:29], s[20:21], v28, s30, 0
	v_add_u32_e32 v30, 3, v30
	v_add3_u32 v29, v29, v32, v31
	v_ashrrev_i32_e32 v31, 31, v30
	v_mul_lo_u32 v34, v31, s30
	v_mul_lo_u32 v35, v30, s31
	v_mad_u64_u32 v[30:31], s[20:21], v30, s30, 0
	s_ashr_i32 s21, s55, 31
	s_add_u32 s20, s54, s55
	s_addc_u32 s21, s53, s21
	s_lshl_b64 s[62:63], s[20:21], 8
	v_lshl_add_u64 v[26:27], v[26:27], 2, s[16:17]
	v_lshl_add_u64 v[32:33], v[46:47], 0, s[62:63]
	v_add3_u32 v31, v31, v35, v34
	v_lshl_add_u64 v[28:29], v[28:29], 2, s[16:17]
	global_load_ushort v91, v[32:33], off
	global_load_ushort v92, v[32:33], off offset:256
	global_load_ushort v93, v[32:33], off offset:512
	;; [unrolled: 1-line block ×3, first 2 shown]
	v_lshl_add_u64 v[30:31], v[30:31], 2, s[16:17]
	global_load_dword v95, v[26:27], off
	global_load_dword v96, v[28:29], off
	;; [unrolled: 1-line block ×3, first 2 shown]
	ds_read_b64 v[30:31], v68 offset:24576
	ds_read_b64 v[36:37], v70 offset:24576
	ds_read2st64_b64 v[26:29], v73 offset1:1
	s_waitcnt lgkmcnt(0)
	v_mfma_f32_16x16x16_bf16 a[0:3], v[30:31], v[26:27], a[0:3]
	s_load_dword s20, s[40:41], 0x0
	ds_read2st64_b64 v[32:35], v73 offset0:2 offset1:3
	ds_read_b64 v[38:39], v71 offset:24576
	ds_read_b64 v[40:41], v72 offset:24576
	v_mov_b32_e32 v89, 0
	v_mfma_f32_16x16x16_bf16 a[0:3], v[36:37], v[28:29], a[0:3]
	v_mov_b32_e32 v26, 0
	v_mov_b32_e32 v27, 0
	;; [unrolled: 1-line block ×3, first 2 shown]
	s_waitcnt lgkmcnt(0)
	v_mfma_f32_16x16x16_bf16 a[0:3], v[38:39], v[32:33], a[0:3]
	v_lshl_add_u64 v[32:33], v[48:49], 0, s[62:63]
	v_mov_b32_e32 v29, 0
	v_mov_b32_e32 v30, 0
	v_mfma_f32_16x16x16_bf16 a[0:3], v[40:41], v[34:35], a[0:3]
	v_mov_b32_e32 v31, 0
	s_and_b64 vcc, exec, s[0:1]
	s_waitcnt vmcnt(7)
	v_sub_f32_e32 v90, s20, v90
	s_nop 2
	v_accvgpr_read_b32 v37, a1
	v_accvgpr_read_b32 v35, a3
	;; [unrolled: 1-line block ×4, first 2 shown]
	v_mul_f32_e32 v90, 0x3fb8aa3b, v90
	s_waitcnt vmcnt(6)
	v_lshlrev_b32_e32 v38, 16, v91
	s_waitcnt vmcnt(5)
	v_lshlrev_b32_e32 v39, 16, v92
	;; [unrolled: 2-line block ×4, first 2 shown]
	s_waitcnt vmcnt(2)
	v_sub_f32_e32 v91, s20, v95
	s_waitcnt vmcnt(1)
	v_sub_f32_e32 v92, s20, v96
	;; [unrolled: 2-line block ×3, first 2 shown]
	v_pk_add_f32 v[36:37], v[38:39], v[36:37] neg_lo:[0,1] neg_hi:[0,1]
	v_pk_add_f32 v[34:35], v[40:41], v[34:35] neg_lo:[0,1] neg_hi:[0,1]
	v_mul_f32_e32 v39, 0x3fb8aa3b, v91
	v_mul_f32_e32 v40, 0x3fb8aa3b, v92
	;; [unrolled: 1-line block ×3, first 2 shown]
	v_exp_f32_e32 v38, v90
	v_exp_f32_e32 v39, v39
	;; [unrolled: 1-line block ×4, first 2 shown]
	global_store_short_d16_hi v[32:33], v36, off
	global_store_short_d16_hi v[32:33], v37, off offset:256
	global_store_short_d16_hi v[32:33], v34, off offset:512
	global_store_short_d16_hi v[32:33], v35, off offset:768
	v_pk_mul_f32 v[32:33], v[38:39], v[36:37]
	v_pk_mul_f32 v[34:35], v[40:41], v[34:35]
	v_perm_b32 v32, v33, v32, s3
	v_perm_b32 v33, v35, v34, s3
	ds_write_b64 v65, v[32:33]
	v_mov_b32_e32 v32, 0
	v_mov_b32_e32 v33, 0
	;; [unrolled: 1-line block ×10, first 2 shown]
	s_cbranch_vccnz .LBB739_40
; %bb.39:                               ;   in Loop: Header=BB739_32 Depth=1
	s_and_b32 s25, s25, 0xffff
	s_mov_b32 s27, s23
	buffer_load_dwordx4 v[38:41], v79, s[24:27], 0 offen
	buffer_load_dwordx4 v[30:33], v79, s[24:27], s57 offen
	;; [unrolled: 1-line block ×4, first 2 shown]
	v_mov_b32_e32 v88, v59
	v_mov_b32_e32 v89, v58
.LBB739_40:                             ;   in Loop: Header=BB739_32 Depth=1
	s_waitcnt lgkmcnt(0)
	s_barrier
	ds_read_b64 v[98:99], v82
	ds_read2st64_b64 v[90:93], v73 offset1:1
	ds_read2st64_b64 v[94:97], v73 offset0:2 offset1:3
	ds_read_b64 v[100:101], v83
	ds_read_b64 v[102:103], v84
	;; [unrolled: 1-line block ×3, first 2 shown]
	s_waitcnt lgkmcnt(4)
	v_mfma_f32_16x16x16_bf16 a[0:3], v[98:99], v[90:91], 0
	ds_read_b64 v[98:99], v75 offset:8192
	ds_read_b64 v[106:107], v76 offset:8192
	s_add_i32 s21, s52, s60
	s_mul_hi_i32 s25, s21, s13
	s_waitcnt lgkmcnt(1)
	v_mfma_f32_16x16x16_bf16 a[4:7], v[98:99], v[90:91], 0
	s_mul_i32 s21, s21, s13
	s_add_u32 s24, s21, s47
	s_addc_u32 s25, s25, s49
	v_mfma_f32_16x16x16_bf16 a[0:3], v[100:101], v[92:93], a[0:3]
	ds_read_b64 v[98:99], v43
	ds_read_b64 v[100:101], v74
	ds_read_b64 v[90:91], v77 offset:8192
	s_lshl_b64 s[24:25], s[24:25], 15
	v_mfma_f32_16x16x16_bf16 a[0:3], v[102:103], v[94:95], a[0:3]
	ds_read_b64 v[102:103], v78 offset:8192
	s_and_b64 vcc, exec, s[0:1]
	s_waitcnt lgkmcnt(4)
	v_mfma_f32_16x16x16_bf16 a[4:7], v[106:107], v[92:93], a[4:7]
	s_waitcnt lgkmcnt(1)
	v_mfma_f32_16x16x16_bf16 a[4:7], v[90:91], v[94:95], a[4:7]
	v_lshl_add_u64 v[90:91], v[44:45], 0, s[24:25]
	global_store_dwordx4 v[90:91], v[98:101], off
	v_mfma_f32_16x16x16_bf16 a[0:3], v[104:105], v[96:97], a[0:3]
	s_waitcnt lgkmcnt(0)
	v_mfma_f32_16x16x16_bf16 a[4:7], v[102:103], v[96:97], a[4:7]
	s_cbranch_vccnz .LBB739_42
; %bb.41:                               ;   in Loop: Header=BB739_32 Depth=1
	v_lshrrev_b32_e32 v90, 3, v88
	v_and_b32_e32 v90, 6, v90
	v_xor_b32_e32 v89, v90, v89
	v_lshlrev_b32_e32 v89, 2, v89
	v_and_b32_e32 v88, 8, v88
	v_xor_b32_e32 v91, 0x440, v89
	v_cmp_eq_u32_e32 vcc, 0, v88
	s_barrier
	s_nop 0
	v_cndmask_b32_e32 v88, v91, v89, vcc
	v_lshl_or_b32 v88, v90, 10, v88
	s_waitcnt vmcnt(2)
	v_perm_b32 v89, v38, v34, s58
	s_waitcnt vmcnt(1)
	v_perm_b32 v90, v30, v26, s58
	ds_write2st64_b32 v88, v89, v90 offset1:32
	v_xor_b32_e32 v89, 8, v88
	v_perm_b32 v34, v38, v34, s59
	v_perm_b32 v26, v30, v26, s59
	v_add_u32_e32 v30, 0x80, v89
	ds_write2st64_b32 v30, v34, v26 offset1:32
	v_xor_b32_e32 v26, 16, v88
	v_perm_b32 v30, v39, v35, s58
	v_perm_b32 v34, v31, v27, s58
	ds_write2st64_b32 v26, v30, v34 offset0:1 offset1:33
	v_xor_b32_e32 v26, 24, v88
	v_perm_b32 v30, v39, v35, s59
	v_perm_b32 v27, v31, v27, s59
	v_add_u32_e32 v26, 0x80, v26
	ds_write2st64_b32 v26, v30, v27 offset0:1 offset1:33
	v_xor_b32_e32 v26, 32, v88
	v_perm_b32 v27, v40, v36, s58
	v_perm_b32 v30, v32, v28, s58
	ds_write2st64_b32 v26, v27, v30 offset0:2 offset1:34
	v_xor_b32_e32 v26, 40, v88
	v_perm_b32 v27, v40, v36, s59
	v_perm_b32 v28, v32, v28, s59
	v_add_u32_e32 v26, 0x80, v26
	ds_write2st64_b32 v26, v27, v28 offset0:2 offset1:34
	;; [unrolled: 9-line block ×3, first 2 shown]
	ds_write_b64 v87, v[22:23] offset:16384
	v_xor_b32_e32 v22, 8, v87
	ds_write_b64 v22, v[24:25] offset:16384
	ds_write_b64 v87, v[18:19] offset:24576
	ds_write_b64 v22, v[20:21] offset:24576
	ds_write_b64 v86, v[14:15] offset:16384
	v_xor_b32_e32 v14, 8, v86
	ds_write_b64 v14, v[16:17] offset:16384
	ds_write_b64 v86, v[10:11] offset:24576
	;; [unrolled: 1-line block ×3, first 2 shown]
.LBB739_42:                             ;   in Loop: Header=BB739_32 Depth=1
	v_mul_f32_e32 v10, s20, v81
	v_exp_f32_e32 v12, v10
	s_nop 1
	v_accvgpr_read_b32 v11, a1
	v_accvgpr_read_b32 v10, a0
	s_add_i32 s55, s55, 64
	v_fma_f32 v7, v7, v12, v11
	v_accvgpr_read_b32 v11, a3
	v_fmac_f32_e32 v11, v9, v12
	v_accvgpr_read_b32 v9, a4
	v_fma_f32 v6, v6, v12, v10
	v_accvgpr_read_b32 v10, a2
	v_fma_f32 v2, v2, v12, v9
	;; [unrolled: 2-line block ×3, first 2 shown]
	v_fma_f32 v3, v3, v12, v9
	v_accvgpr_read_b32 v9, a6
	v_accvgpr_read_b32 v10, a7
	v_fma_f32 v4, v4, v12, v9
	s_cmp_eq_u32 s48, s37
	v_fmac_f32_e32 v10, v5, v12
	s_cbranch_scc1 .LBB739_4
; %bb.43:                               ;   in Loop: Header=BB739_32 Depth=1
	s_mov_b32 s60, s37
	v_mov_b32_e32 v9, v11
	v_mov_b32_e32 v5, v10
	s_branch .LBB739_32
.LBB739_44:
                                        ; implicit-def: $vgpr5
                                        ; implicit-def: $vgpr9
                                        ; implicit-def: $vgpr13
                                        ; implicit-def: $vgpr17
	s_cbranch_execz .LBB739_46
; %bb.45:
	s_waitcnt vmcnt(0)
	v_mad_u64_u32 v[2:3], s[0:1], v20, s15, v[18:19]
	v_lshlrev_b32_e32 v20, 1, v2
	s_lshl_b32 s2, s15, 7
	s_and_b32 s1, s5, 0xffff
	s_mov_b32 s3, 0x20000
	s_mov_b32 s0, s4
	v_add_lshl_u32 v21, v2, s15, 1
	s_movk_i32 s13, 0x80
	buffer_load_dwordx4 v[2:5], v20, s[0:3], 0 offen
	buffer_load_dwordx4 v[10:13], v20, s[0:3], s13 offen
	;; [unrolled: 1-line block ×4, first 2 shown]
.LBB739_46:
	v_lshrrev_b32_e32 v37, 2, v50
	s_cbranch_execnz .LBB739_59
.LBB739_47:
	s_and_b64 vcc, exec, s[6:7]
	s_cbranch_vccz .LBB739_57
; %bb.48:
	s_waitcnt vmcnt(0)
	v_lshlrev_b32_e32 v7, 1, v35
	v_cmp_gt_i32_e32 vcc, s27, v7
	v_mov_b32_e32 v6, 0
	v_lshlrev_b32_e32 v14, 9, v35
	v_mov_b32_e32 v2, 0
	v_mov_b32_e32 v3, 0
	;; [unrolled: 1-line block ×4, first 2 shown]
	s_and_saveexec_b64 s[0:1], vcc
	s_cbranch_execz .LBB739_50
; %bb.49:
	v_mov_b32_e32 v15, 0
	v_lshl_add_u64 v[2:3], s[4:5], 0, v[14:15]
	v_lshlrev_b32_e32 v4, 1, v18
	v_mov_b32_e32 v5, v15
	v_lshl_add_u64 v[2:3], v[2:3], 0, v[4:5]
	global_load_dwordx4 v[2:5], v[2:3], off
.LBB739_50:
	s_or_b64 exec, exec, s[0:1]
	v_or_b32_e32 v7, 1, v7
	v_cmp_gt_i32_e64 s[0:1], s27, v7
	v_lshlrev_b32_e32 v20, 8, v7
	v_mov_b32_e32 v7, 0
	v_mov_b32_e32 v8, 0
	;; [unrolled: 1-line block ×3, first 2 shown]
	s_and_saveexec_b64 s[2:3], s[0:1]
	s_cbranch_execz .LBB739_52
; %bb.51:
	v_mov_b32_e32 v21, 0
	v_lshl_add_u64 v[6:7], s[4:5], 0, v[20:21]
	v_lshlrev_b32_e32 v8, 1, v18
	v_mov_b32_e32 v9, v21
	v_lshl_add_u64 v[6:7], v[6:7], 0, v[8:9]
	global_load_dwordx4 v[6:9], v[6:7], off
.LBB739_52:
	s_or_b64 exec, exec, s[2:3]
	v_mov_b32_e32 v17, 0
	v_mov_b32_e32 v10, 0
	;; [unrolled: 1-line block ×5, first 2 shown]
	s_and_saveexec_b64 s[2:3], vcc
	s_cbranch_execz .LBB739_54
; %bb.53:
	v_mov_b32_e32 v15, 0
	v_lshl_add_u64 v[10:11], s[4:5], 0, v[14:15]
	v_lshlrev_b32_e32 v14, 1, v18
	v_lshl_add_u64 v[10:11], v[10:11], 0, v[14:15]
	global_load_dwordx4 v[10:13], v[10:11], off offset:128
.LBB739_54:
	s_or_b64 exec, exec, s[2:3]
	v_mov_b32_e32 v16, 0
	v_mov_b32_e32 v15, 0
	;; [unrolled: 1-line block ×3, first 2 shown]
	s_and_saveexec_b64 s[2:3], s[0:1]
	s_cbranch_execz .LBB739_56
; %bb.55:
	v_mov_b32_e32 v21, 0
	v_lshl_add_u64 v[14:15], s[4:5], 0, v[20:21]
	v_lshlrev_b32_e32 v20, 1, v18
	v_lshl_add_u64 v[14:15], v[14:15], 0, v[20:21]
	global_load_dwordx4 v[14:17], v[14:15], off offset:128
.LBB739_56:
	s_or_b64 exec, exec, s[2:3]
	s_branch .LBB739_59
.LBB739_57:
                                        ; implicit-def: $vgpr5
                                        ; implicit-def: $vgpr9
                                        ; implicit-def: $vgpr13
                                        ; implicit-def: $vgpr17
	s_cbranch_execz .LBB739_59
; %bb.58:
	s_waitcnt vmcnt(0)
	v_lshlrev_b32_e32 v2, 1, v18
	v_lshl_or_b32 v18, v35, 9, v2
	s_and_b32 s5, s5, 0xffff
	s_mov_b32 s7, 0x20000
	s_movk_i32 s6, 0x4000
	s_movk_i32 s0, 0x80
	buffer_load_dwordx4 v[2:5], v18, s[4:7], 0 offen
	buffer_load_dwordx4 v[6:9], v18, s[4:7], 0 offen offset:256
	buffer_load_dwordx4 v[10:13], v18, s[4:7], s0 offen
	buffer_load_dwordx4 v[14:17], v18, s[4:7], s0 offen offset:256
.LBB739_59:
	ds_read2st64_b64 v[22:25], v19 offset0:76 offset1:77
	ds_read2st64_b64 v[18:21], v19 offset0:78 offset1:79
	ds_read_b64 v[32:33], v26 offset:24576
	ds_read_b64 v[30:31], v27 offset:24576
	;; [unrolled: 1-line block ×4, first 2 shown]
	v_and_b32_e32 v36, 6, v0
	v_xor_b32_e32 v35, v35, v36
	v_lshlrev_b32_e32 v35, 2, v35
	v_and_b32_e32 v0, 1, v0
	v_xor_b32_e32 v38, 0x440, v35
	v_cmp_eq_u32_e32 vcc, 0, v0
	s_mov_b32 s0, 0x1000504
	s_mov_b32 s1, 0x3020706
	v_cndmask_b32_e32 v0, v38, v35, vcc
	v_lshl_or_b32 v0, v36, 10, v0
	s_waitcnt vmcnt(0)
	v_perm_b32 v35, v2, v6, s0
	v_perm_b32 v36, v10, v14, s0
	ds_write2st64_b32 v0, v35, v36 offset1:32
	v_xor_b32_e32 v35, 8, v0
	v_perm_b32 v2, v2, v6, s1
	v_perm_b32 v6, v10, v14, s1
	v_add_u32_e32 v10, 0x80, v35
	ds_write2st64_b32 v10, v2, v6 offset1:32
	v_xor_b32_e32 v2, 16, v0
	v_perm_b32 v6, v3, v7, s0
	v_perm_b32 v10, v11, v15, s0
	ds_write2st64_b32 v2, v6, v10 offset0:1 offset1:33
	v_xor_b32_e32 v2, 24, v0
	v_perm_b32 v3, v3, v7, s1
	v_perm_b32 v6, v11, v15, s1
	v_add_u32_e32 v2, 0x80, v2
	ds_write2st64_b32 v2, v3, v6 offset0:1 offset1:33
	v_xor_b32_e32 v2, 32, v0
	v_perm_b32 v3, v4, v8, s0
	v_perm_b32 v6, v12, v16, s0
	ds_write2st64_b32 v2, v3, v6 offset0:2 offset1:34
	v_xor_b32_e32 v2, 40, v0
	v_perm_b32 v3, v4, v8, s1
	v_perm_b32 v4, v12, v16, s1
	v_add_u32_e32 v2, 0x80, v2
	ds_write2st64_b32 v2, v3, v4 offset0:2 offset1:34
	v_xor_b32_e32 v2, 48, v0
	v_perm_b32 v3, v5, v9, s0
	v_perm_b32 v4, v13, v17, s0
	v_xor_b32_e32 v0, 56, v0
	v_and_or_b32 v8, v37, 12, v1
	ds_write2st64_b32 v2, v3, v4 offset0:3 offset1:35
	v_perm_b32 v2, v5, v9, s1
	v_perm_b32 v3, v13, v17, s1
	v_add_u32_e32 v0, 0x80, v0
	v_cmp_gt_i32_e32 vcc, s27, v8
	v_mov_b32_e32 v9, 0
	v_mov_b32_e32 v14, 0
	ds_write2st64_b32 v0, v2, v3 offset0:3 offset1:35
	s_and_saveexec_b64 s[0:1], vcc
	s_cbranch_execz .LBB739_61
; %bb.60:
	v_add_u32_e32 v0, s26, v8
	v_ashrrev_i32_e32 v1, 31, v0
	v_mul_lo_u32 v2, v1, s30
	v_mul_lo_u32 v3, v0, s31
	v_mad_u64_u32 v[0:1], s[2:3], v0, s30, 0
	v_add3_u32 v1, v1, v3, v2
	v_lshl_add_u64 v[0:1], v[0:1], 2, s[10:11]
	global_load_dword v0, v[0:1], off
	s_waitcnt vmcnt(0)
	v_sub_f32_e32 v0, s12, v0
	v_mul_f32_e32 v0, 0x3fb8aa3b, v0
	v_exp_f32_e32 v14, v0
.LBB739_61:
	s_or_b64 exec, exec, s[0:1]
	v_or_b32_e32 v12, 1, v8
	v_cmp_gt_i32_e64 s[2:3], s27, v12
	s_and_saveexec_b64 s[0:1], s[2:3]
	s_cbranch_execz .LBB739_63
; %bb.62:
	v_add_u32_e32 v0, s26, v12
	v_ashrrev_i32_e32 v1, 31, v0
	v_mul_lo_u32 v2, v1, s30
	v_mul_lo_u32 v3, v0, s31
	v_mad_u64_u32 v[0:1], s[4:5], v0, s30, 0
	v_add3_u32 v1, v1, v3, v2
	v_lshl_add_u64 v[0:1], v[0:1], 2, s[10:11]
	global_load_dword v0, v[0:1], off
	s_waitcnt vmcnt(0)
	v_sub_f32_e32 v0, s12, v0
	v_mul_f32_e32 v0, 0x3fb8aa3b, v0
	v_exp_f32_e32 v9, v0
.LBB739_63:
	s_or_b64 exec, exec, s[0:1]
	v_or_b32_e32 v11, 2, v8
	v_cmp_gt_i32_e64 s[0:1], s27, v11
	v_mov_b32_e32 v10, 0
	v_mov_b32_e32 v15, 0
	s_and_saveexec_b64 s[4:5], s[0:1]
	s_cbranch_execz .LBB739_65
; %bb.64:
	v_add_u32_e32 v0, s26, v11
	v_ashrrev_i32_e32 v1, 31, v0
	v_mul_lo_u32 v2, v1, s30
	v_mul_lo_u32 v3, v0, s31
	v_mad_u64_u32 v[0:1], s[6:7], v0, s30, 0
	v_add3_u32 v1, v1, v3, v2
	v_lshl_add_u64 v[0:1], v[0:1], 2, s[10:11]
	global_load_dword v0, v[0:1], off
	s_waitcnt vmcnt(0)
	v_sub_f32_e32 v0, s12, v0
	v_mul_f32_e32 v0, 0x3fb8aa3b, v0
	v_exp_f32_e32 v15, v0
.LBB739_65:
	s_or_b64 exec, exec, s[4:5]
	v_or_b32_e32 v13, 3, v8
	v_cmp_gt_i32_e64 s[4:5], s27, v13
	s_and_saveexec_b64 s[6:7], s[4:5]
	s_cbranch_execz .LBB739_67
; %bb.66:
	v_add_u32_e32 v0, s26, v13
	v_ashrrev_i32_e32 v1, 31, v0
	v_mul_lo_u32 v2, v1, s30
	v_mul_lo_u32 v3, v0, s31
	v_mad_u64_u32 v[0:1], s[14:15], v0, s30, 0
	v_add3_u32 v1, v1, v3, v2
	v_lshl_add_u64 v[0:1], v[0:1], 2, s[10:11]
	global_load_dword v0, v[0:1], off
	s_waitcnt vmcnt(0)
	v_sub_f32_e32 v0, s12, v0
	v_mul_f32_e32 v0, 0x3fb8aa3b, v0
	v_exp_f32_e32 v10, v0
.LBB739_67:
	s_or_b64 exec, exec, s[6:7]
	s_waitcnt lgkmcnt(11)
	v_mfma_f32_16x16x16_bf16 a[0:3], v[32:33], v[22:23], a[0:3]
	s_add_u32 s6, s8, s20
	v_ashrrev_i32_e32 v43, 31, v42
	s_addc_u32 s7, s9, s21
	s_waitcnt lgkmcnt(10)
	v_mfma_f32_16x16x16_bf16 a[0:3], v[30:31], v[24:25], a[0:3]
	v_lshlrev_b64 v[0:1], 1, v[42:43]
	v_lshl_add_u64 v[4:5], s[6:7], 0, v[0:1]
	s_add_u32 s6, s28, s20
	s_waitcnt lgkmcnt(9)
	v_mfma_f32_16x16x16_bf16 a[0:3], v[28:29], v[18:19], a[0:3]
	s_addc_u32 s7, s29, s21
	v_lshl_add_u64 v[6:7], s[6:7], 0, v[0:1]
	v_mov_b32_e32 v16, 0
	s_waitcnt lgkmcnt(8)
	v_mfma_f32_16x16x16_bf16 a[0:3], v[26:27], v[20:21], a[0:3]
	v_mov_b32_e32 v17, 0
	s_nop 5
	v_accvgpr_read_b32 v0, a0
	v_accvgpr_read_b32 v1, a1
	;; [unrolled: 1-line block ×4, first 2 shown]
	s_and_saveexec_b64 s[6:7], vcc
	s_cbranch_execz .LBB739_69
; %bb.68:
	v_lshlrev_b32_e32 v18, 8, v8
	v_mov_b32_e32 v19, 0
	v_lshl_add_u64 v[20:21], v[4:5], 0, v[18:19]
	global_load_ushort v17, v[20:21], off
	v_lshl_add_u64 v[18:19], v[6:7], 0, v[18:19]
	s_waitcnt vmcnt(0)
	v_lshlrev_b32_e32 v17, 16, v17
	v_sub_f32_e32 v0, v17, v0
	global_store_short_d16_hi v[18:19], v0, off
	v_mul_f32_e32 v0, v14, v0
	v_lshrrev_b32_e32 v17, 16, v0
.LBB739_69:
	s_or_b64 exec, exec, s[6:7]
	s_and_saveexec_b64 s[6:7], s[2:3]
	s_cbranch_execz .LBB739_71
; %bb.70:
	v_lshlrev_b32_e32 v18, 8, v12
	v_mov_b32_e32 v19, 0
	v_lshl_add_u64 v[20:21], v[4:5], 0, v[18:19]
	global_load_ushort v0, v[20:21], off
	v_lshl_add_u64 v[18:19], v[6:7], 0, v[18:19]
	s_waitcnt vmcnt(0)
	v_lshlrev_b32_e32 v0, 16, v0
	v_sub_f32_e32 v0, v0, v1
	global_store_short_d16_hi v[18:19], v0, off
	v_mul_f32_e32 v0, v9, v0
	v_lshrrev_b32_e32 v16, 16, v0
.LBB739_71:
	s_or_b64 exec, exec, s[6:7]
	v_mov_b32_e32 v0, 0
	v_mov_b32_e32 v1, 0
	s_and_saveexec_b64 s[2:3], s[0:1]
	s_cbranch_execz .LBB739_73
; %bb.72:
	v_lshlrev_b32_e32 v18, 8, v11
	v_mov_b32_e32 v19, 0
	v_lshl_add_u64 v[20:21], v[4:5], 0, v[18:19]
	global_load_ushort v1, v[20:21], off
	v_lshl_add_u64 v[18:19], v[6:7], 0, v[18:19]
	s_waitcnt vmcnt(0)
	v_lshlrev_b32_e32 v1, 16, v1
	v_sub_f32_e32 v1, v1, v2
	global_store_short_d16_hi v[18:19], v1, off
	v_mul_f32_e32 v1, v15, v1
	v_lshrrev_b32_e32 v1, 16, v1
.LBB739_73:
	s_or_b64 exec, exec, s[2:3]
	s_and_saveexec_b64 s[0:1], s[4:5]
	s_cbranch_execz .LBB739_75
; %bb.74:
	v_lshlrev_b32_e32 v12, 8, v13
	v_mov_b32_e32 v13, 0
	v_lshl_add_u64 v[4:5], v[4:5], 0, v[12:13]
	global_load_ushort v0, v[4:5], off
	v_lshl_add_u64 v[4:5], v[6:7], 0, v[12:13]
	s_waitcnt vmcnt(0)
	v_lshlrev_b32_e32 v0, 16, v0
	v_sub_f32_e32 v0, v0, v3
	global_store_short_d16_hi v[4:5], v0, off
	v_mul_f32_e32 v0, v10, v0
	v_lshrrev_b32_e32 v0, 16, v0
.LBB739_75:
	s_or_b64 exec, exec, s[0:1]
	s_mov_b32 s0, 0x5040100
	v_lshlrev_b32_e32 v2, 1, v34
	v_perm_b32 v1, v0, v1, s0
	v_perm_b32 v0, v16, v17, s0
	v_lshl_or_b32 v2, v8, 5, v2
	ds_write_b64 v2, v[0:1] offset:38912
	s_waitcnt lgkmcnt(0)
	s_barrier
.LBB739_76:
	s_endpgm
	.section	.rodata,"a",@progbits
	.p2align	6, 0x0
	.amdhsa_kernel _ZN12_GLOBAL__N_139chunk_gated_delta_rule_fwd_h_hip_kernelILi16ELb1ELb0ELb1ELb1ELb0ELb0ELb1ELb0EEEvPK12hip_bfloat16S3_S3_PKfS5_PKvPS1_S8_PvPKiSB_iiiiilll
		.amdhsa_group_segment_fixed_size 40960
		.amdhsa_private_segment_fixed_size 0
		.amdhsa_kernarg_size 136
		.amdhsa_user_sgpr_count 2
		.amdhsa_user_sgpr_dispatch_ptr 0
		.amdhsa_user_sgpr_queue_ptr 0
		.amdhsa_user_sgpr_kernarg_segment_ptr 1
		.amdhsa_user_sgpr_dispatch_id 0
		.amdhsa_user_sgpr_kernarg_preload_length 0
		.amdhsa_user_sgpr_kernarg_preload_offset 0
		.amdhsa_user_sgpr_private_segment_size 0
		.amdhsa_uses_dynamic_stack 0
		.amdhsa_enable_private_segment 0
		.amdhsa_system_sgpr_workgroup_id_x 1
		.amdhsa_system_sgpr_workgroup_id_y 1
		.amdhsa_system_sgpr_workgroup_id_z 0
		.amdhsa_system_sgpr_workgroup_info 0
		.amdhsa_system_vgpr_workitem_id 0
		.amdhsa_next_free_vgpr 116
		.amdhsa_next_free_sgpr 64
		.amdhsa_accum_offset 108
		.amdhsa_reserve_vcc 1
		.amdhsa_float_round_mode_32 0
		.amdhsa_float_round_mode_16_64 0
		.amdhsa_float_denorm_mode_32 3
		.amdhsa_float_denorm_mode_16_64 3
		.amdhsa_dx10_clamp 1
		.amdhsa_ieee_mode 1
		.amdhsa_fp16_overflow 0
		.amdhsa_tg_split 0
		.amdhsa_exception_fp_ieee_invalid_op 0
		.amdhsa_exception_fp_denorm_src 0
		.amdhsa_exception_fp_ieee_div_zero 0
		.amdhsa_exception_fp_ieee_overflow 0
		.amdhsa_exception_fp_ieee_underflow 0
		.amdhsa_exception_fp_ieee_inexact 0
		.amdhsa_exception_int_div_zero 0
	.end_amdhsa_kernel
	.section	.text._ZN12_GLOBAL__N_139chunk_gated_delta_rule_fwd_h_hip_kernelILi16ELb1ELb0ELb1ELb1ELb0ELb0ELb1ELb0EEEvPK12hip_bfloat16S3_S3_PKfS5_PKvPS1_S8_PvPKiSB_iiiiilll,"axG",@progbits,_ZN12_GLOBAL__N_139chunk_gated_delta_rule_fwd_h_hip_kernelILi16ELb1ELb0ELb1ELb1ELb0ELb0ELb1ELb0EEEvPK12hip_bfloat16S3_S3_PKfS5_PKvPS1_S8_PvPKiSB_iiiiilll,comdat
.Lfunc_end739:
	.size	_ZN12_GLOBAL__N_139chunk_gated_delta_rule_fwd_h_hip_kernelILi16ELb1ELb0ELb1ELb1ELb0ELb0ELb1ELb0EEEvPK12hip_bfloat16S3_S3_PKfS5_PKvPS1_S8_PvPKiSB_iiiiilll, .Lfunc_end739-_ZN12_GLOBAL__N_139chunk_gated_delta_rule_fwd_h_hip_kernelILi16ELb1ELb0ELb1ELb1ELb0ELb0ELb1ELb0EEEvPK12hip_bfloat16S3_S3_PKfS5_PKvPS1_S8_PvPKiSB_iiiiilll
                                        ; -- End function
	.section	.AMDGPU.csdata,"",@progbits
; Kernel info:
; codeLenInByte = 7240
; NumSgprs: 70
; NumVgprs: 108
; NumAgprs: 8
; TotalNumVgprs: 116
; ScratchSize: 0
; MemoryBound: 0
; FloatMode: 240
; IeeeMode: 1
; LDSByteSize: 40960 bytes/workgroup (compile time only)
; SGPRBlocks: 8
; VGPRBlocks: 14
; NumSGPRsForWavesPerEU: 70
; NumVGPRsForWavesPerEU: 116
; AccumOffset: 108
; Occupancy: 1
; WaveLimiterHint : 1
; COMPUTE_PGM_RSRC2:SCRATCH_EN: 0
; COMPUTE_PGM_RSRC2:USER_SGPR: 2
; COMPUTE_PGM_RSRC2:TRAP_HANDLER: 0
; COMPUTE_PGM_RSRC2:TGID_X_EN: 1
; COMPUTE_PGM_RSRC2:TGID_Y_EN: 1
; COMPUTE_PGM_RSRC2:TGID_Z_EN: 0
; COMPUTE_PGM_RSRC2:TIDIG_COMP_CNT: 0
; COMPUTE_PGM_RSRC3_GFX90A:ACCUM_OFFSET: 26
; COMPUTE_PGM_RSRC3_GFX90A:TG_SPLIT: 0
	.section	.text._ZN12_GLOBAL__N_139chunk_gated_delta_rule_fwd_h_hip_kernelILi16ELb1ELb0ELb0ELb1ELb0ELb0ELb1ELb0EEEvPK12hip_bfloat16S3_S3_PKfS5_PKvPS1_S8_PvPKiSB_iiiiilll,"axG",@progbits,_ZN12_GLOBAL__N_139chunk_gated_delta_rule_fwd_h_hip_kernelILi16ELb1ELb0ELb0ELb1ELb0ELb0ELb1ELb0EEEvPK12hip_bfloat16S3_S3_PKfS5_PKvPS1_S8_PvPKiSB_iiiiilll,comdat
	.globl	_ZN12_GLOBAL__N_139chunk_gated_delta_rule_fwd_h_hip_kernelILi16ELb1ELb0ELb0ELb1ELb0ELb0ELb1ELb0EEEvPK12hip_bfloat16S3_S3_PKfS5_PKvPS1_S8_PvPKiSB_iiiiilll ; -- Begin function _ZN12_GLOBAL__N_139chunk_gated_delta_rule_fwd_h_hip_kernelILi16ELb1ELb0ELb0ELb1ELb0ELb0ELb1ELb0EEEvPK12hip_bfloat16S3_S3_PKfS5_PKvPS1_S8_PvPKiSB_iiiiilll
	.p2align	8
	.type	_ZN12_GLOBAL__N_139chunk_gated_delta_rule_fwd_h_hip_kernelILi16ELb1ELb0ELb0ELb1ELb0ELb0ELb1ELb0EEEvPK12hip_bfloat16S3_S3_PKfS5_PKvPS1_S8_PvPKiSB_iiiiilll,@function
_ZN12_GLOBAL__N_139chunk_gated_delta_rule_fwd_h_hip_kernelILi16ELb1ELb0ELb0ELb1ELb0ELb0ELb1ELb0EEEvPK12hip_bfloat16S3_S3_PKfS5_PKvPS1_S8_PvPKiSB_iiiiilll: ; @_ZN12_GLOBAL__N_139chunk_gated_delta_rule_fwd_h_hip_kernelILi16ELb1ELb0ELb0ELb1ELb0ELb0ELb1ELb0EEEvPK12hip_bfloat16S3_S3_PKfS5_PKvPS1_S8_PvPKiSB_iiiiilll
; %bb.0:
	s_load_dwordx4 s[12:15], s[0:1], 0x5c
	s_load_dwordx4 s[20:23], s[0:1], 0x70
	s_abs_i32 s9, s3
	s_ashr_i32 s8, s3, 31
	s_load_dwordx4 s[4:7], s[0:1], 0x48
	s_waitcnt lgkmcnt(0)
	s_abs_i32 s10, s13
	v_cvt_f32_u32_e32 v1, s10
	s_sub_i32 s16, 0, s10
	s_ashr_i32 s11, s13, 31
	s_xor_b32 s8, s8, s11
	v_rcp_iflag_f32_e32 v1, v1
	v_and_b32_e32 v51, 15, v0
	v_lshrrev_b32_e32 v49, 6, v0
	v_bfe_u32 v50, v0, 4, 2
	v_mul_f32_e32 v1, 0x4f7ffffe, v1
	v_cvt_u32_f32_e32 v1, v1
	v_mov_b32_e32 v5, 0
	v_and_b32_e32 v48, 63, v0
	v_lshrrev_b32_e32 v53, 3, v48
	v_readfirstlane_b32 s17, v1
	s_mul_i32 s16, s16, s17
	s_mul_hi_u32 s16, s17, s16
	s_add_i32 s17, s17, s16
	s_mul_hi_u32 s16, s9, s17
	s_mul_i32 s17, s16, s10
	s_sub_i32 s9, s9, s17
	s_add_i32 s18, s16, 1
	s_sub_i32 s17, s9, s10
	s_cmp_ge_u32 s9, s10
	s_cselect_b32 s16, s18, s16
	s_cselect_b32 s9, s17, s9
	s_add_i32 s17, s16, 1
	s_cmp_ge_u32 s9, s10
	s_cselect_b32 s9, s17, s16
	s_load_dwordx4 s[16:19], s[0:1], 0x28
	s_xor_b32 s9, s9, s8
	s_sub_i32 s24, s9, s8
	s_mul_i32 s28, s24, s13
	s_ashr_i32 s25, s24, 31
	s_sub_i32 s45, s3, s28
	s_lshl_b64 s[8:9], s[24:25], 2
	s_add_u32 s4, s4, s8
	s_addc_u32 s5, s5, s9
	s_add_u32 s26, s6, s8
	s_addc_u32 s27, s7, s9
	s_abs_i32 s3, s14
	v_cvt_f32_u32_e32 v1, s3
	s_load_dwordx2 s[30:31], s[4:5], 0x0
	s_sub_i32 s5, 0, s3
	s_lshl_b32 s2, s2, 4
	v_rcp_iflag_f32_e32 v1, v1
	v_or_b32_e32 v42, s2, v51
	s_waitcnt lgkmcnt(0)
	s_sub_i32 s48, s31, s30
	s_ashr_i32 s4, s48, 31
	v_mul_f32_e32 v1, 0x4f7ffffe, v1
	v_cvt_u32_f32_e32 v1, v1
	s_lshr_b32 s4, s4, 26
	s_add_i32 s4, s48, s4
	s_ashr_i32 s46, s4, 6
	v_readfirstlane_b32 s6, v1
	s_mul_i32 s5, s5, s6
	s_mul_hi_u32 s5, s6, s5
	s_add_i32 s6, s6, s5
	s_mul_hi_u32 s5, s10, s6
	s_mul_i32 s6, s5, s3
	s_ashr_i32 s4, s14, 31
	s_sub_i32 s6, s10, s6
	s_xor_b32 s4, s11, s4
	s_add_i32 s7, s5, 1
	s_sub_i32 s8, s6, s3
	s_cmp_ge_u32 s6, s3
	s_cselect_b32 s5, s7, s5
	s_cselect_b32 s6, s8, s6
	s_add_i32 s7, s5, 1
	s_cmp_ge_u32 s6, s3
	s_cselect_b32 s3, s7, s5
	s_xor_b32 s3, s3, s4
	s_sub_i32 s3, s3, s4
	s_abs_i32 s4, s3
	v_cvt_f32_u32_e32 v1, s4
	s_sub_i32 s6, 0, s4
	s_abs_i32 s5, s45
	s_xor_b32 s3, s45, s3
	v_rcp_iflag_f32_e32 v1, v1
	s_ashr_i32 s3, s3, 31
	v_lshlrev_b32_e32 v2, 7, v42
	v_ashrrev_i32_e32 v3, 31, v2
	v_mul_f32_e32 v1, 0x4f7ffffe, v1
	v_cvt_u32_f32_e32 v1, v1
	s_mul_hi_i32 s51, s45, s12
	s_mul_i32 s52, s45, s12
	v_lshlrev_b32_e32 v52, 3, v0
	v_readfirstlane_b32 s7, v1
	s_mul_i32 s6, s6, s7
	s_mul_hi_u32 s6, s7, s6
	s_add_i32 s7, s7, s6
	s_mul_hi_u32 s6, s5, s7
	s_mul_i32 s7, s6, s4
	s_sub_i32 s5, s5, s7
	s_add_i32 s7, s6, 1
	s_sub_i32 s8, s5, s4
	s_cmp_ge_u32 s5, s4
	s_cselect_b32 s6, s7, s6
	s_cselect_b32 s5, s8, s5
	s_add_i32 s7, s6, 1
	s_cmp_ge_u32 s5, s4
	s_cselect_b32 s4, s7, s6
	s_xor_b32 s4, s4, s3
	s_sub_i32 s49, s4, s3
	s_ashr_i32 s47, s45, 31
	s_mul_hi_i32 s3, s24, s13
	s_add_u32 s4, s28, s45
	s_addc_u32 s5, s3, s47
	s_lshl_b64 s[4:5], s[4:5], 16
	v_lshlrev_b32_e32 v1, 4, v49
	s_add_u32 s4, s16, s4
	v_lshl_or_b32 v54, v50, 2, v1
	s_addc_u32 s5, s17, s5
	v_lshl_add_u64 v[2:3], v[2:3], 2, s[4:5]
	v_lshlrev_b32_e32 v4, 2, v54
	v_lshl_add_u64 v[10:11], v[2:3], 0, v[4:5]
	global_load_dwordx4 v[6:9], v[10:11], off
	global_load_dwordx4 v[2:5], v[10:11], off offset:256
	s_load_dwordx8 s[4:11], s[0:1], 0x0
	s_load_dwordx2 s[28:29], s[0:1], 0x80
	s_load_dword s50, s[26:27], 0x0
	v_or_b32_e32 v55, 64, v54
	s_cmp_lt_i32 s48, 64
	s_mul_i32 s33, s24, s21
	s_mul_hi_u32 s41, s24, s20
	s_mul_i32 s42, s25, s20
	s_mul_i32 s36, s24, s20
	s_mul_i32 s40, s45, s23
	s_mul_hi_u32 s43, s45, s22
	s_mul_i32 s44, s47, s22
	s_mul_i32 s34, s45, s22
	s_cbranch_scc1 .LBB740_3
; %bb.1:
	s_ashr_i32 s1, s30, 31
	s_add_u32 s0, s52, s30
	s_addc_u32 s1, s51, s1
	s_lshl_b64 s[0:1], s[0:1], 8
	v_and_b32_e32 v57, 56, v52
	s_waitcnt lgkmcnt(0)
	s_add_u32 s20, s6, s0
	v_lshl_or_b32 v56, v49, 3, v53
	v_lshlrev_b32_e32 v10, 1, v57
	s_addc_u32 s0, s7, s1
	v_lshl_or_b32 v58, v56, 8, v10
	s_and_b32 s21, s0, 0xffff
	s_mov_b32 s23, 0x20000
	s_movk_i32 s22, 0x4000
	s_movk_i32 s0, 0x80
	v_or_b32_e32 v59, 0x2000, v58
	buffer_load_dwordx4 v[12:15], v58, s[20:23], 0 offen
	buffer_load_dwordx4 v[16:19], v58, s[20:23], s0 offen
	;; [unrolled: 1-line block ×4, first 2 shown]
	v_lshlrev_b32_e32 v11, 3, v56
	v_and_or_b32 v29, v0, 7, v11
	v_and_b32_e32 v11, 0x78, v11
	v_lshlrev_b32_e32 v29, 4, v29
	v_xor_b32_e32 v60, v29, v11
	v_mul_lo_u32 v28, v56, s15
	v_or_b32_e32 v61, 0x1000, v60
	v_xor_b32_e32 v11, 8, v60
	s_cmpk_eq_i32 s15, 0x80
	s_mov_b32 s53, s30
	v_xor_b32_e32 v29, 8, v61
	s_cselect_b64 s[0:1], -1, 0
	s_cmpk_lg_i32 s15, 0x80
	s_waitcnt vmcnt(3)
	ds_write_b64 v60, v[12:13] offset:16384
	ds_write_b64 v11, v[14:15] offset:16384
	s_waitcnt vmcnt(2)
	ds_write_b64 v60, v[16:17] offset:24576
	ds_write_b64 v11, v[18:19] offset:24576
	;; [unrolled: 3-line block ×4, first 2 shown]
	v_lshl_add_u32 v11, v28, 1, v57
	s_cbranch_scc0 .LBB740_29
; %bb.2:
	v_lshlrev_b32_e32 v13, 1, v11
	v_add_lshl_u32 v12, v11, s15, 1
	s_lshl_b32 s22, s15, 7
	v_lshl_or_b32 v10, v56, 9, v10
	s_cbranch_execz .LBB740_30
	s_branch .LBB740_31
.LBB740_3:
	s_waitcnt vmcnt(0)
	v_mov_b32_e32 v10, v5
	v_mov_b32_e32 v11, v9
.LBB740_4:
	s_lshl_b32 s26, s46, 6
	s_sub_i32 s27, s48, s26
	s_cmp_gt_i32 s27, 0
	s_cbranch_scc0 .LBB740_76
; %bb.5:
	s_add_i32 s26, s26, s30
	s_ashr_i32 s3, s26, 31
	s_cmpk_lg_i32 s15, 0x80
	s_cselect_b64 s[22:23], -1, 0
	s_and_b64 vcc, exec, s[22:23]
	s_cbranch_vccz .LBB740_7
; %bb.6:
	s_mul_hi_i32 s0, s26, s14
	s_mul_i32 s1, s26, s14
	s_ashr_i32 s14, s49, 31
	s_add_u32 s24, s1, s49
	s_addc_u32 s25, s0, s14
	s_cbranch_execz .LBB740_8
	s_branch .LBB740_9
.LBB740_7:
                                        ; implicit-def: $sgpr24_sgpr25
.LBB740_8:
	s_mul_i32 s1, s49, s12
	s_mul_hi_i32 s0, s49, s12
	s_add_u32 s24, s1, s26
	s_addc_u32 s25, s0, s3
.LBB740_9:
	s_waitcnt lgkmcnt(0)
	s_add_i32 s12, s46, s50
	s_add_u32 s0, s52, s26
	s_addc_u32 s1, s51, s3
	s_mov_b32 s3, 0x7060302
	v_perm_b32 v5, v10, v4, s3
	v_perm_b32 v4, v3, v2, s3
	v_lshlrev_b32_e32 v2, 3, v51
	s_lshl_b64 s[20:21], s[0:1], 8
	v_perm_b32 v9, v11, v8, s3
	v_perm_b32 v8, v7, v6, s3
	s_waitcnt vmcnt(2)
	v_lshlrev_b32_e32 v34, 2, v51
	v_lshl_or_b32 v2, v54, 5, v2
	s_add_u32 s0, s6, s20
	ds_write2st64_b64 v2, v[8:9], v[4:5] offset0:72 offset1:76
	v_xor_b32_e32 v2, v54, v34
	v_lshlrev_b32_e32 v3, 8, v51
	s_addc_u32 s1, s7, s21
	v_lshl_or_b32 v2, v2, 1, v3
	s_mul_hi_i32 s3, s12, s13
	s_mul_i32 s12, s12, s13
	ds_write_b64 v2, v[8:9] offset:32768
	v_xor_b32_e32 v2, v55, v34
	s_add_u32 s6, s12, s45
	v_lshl_or_b32 v2, v2, 1, v3
	s_addc_u32 s7, s3, s47
	v_lshlrev_b32_e32 v3, 1, v51
	ds_write_b64 v2, v[4:5] offset:32768
	v_lshrrev_b32_e32 v2, 4, v0
	s_ashr_i32 s3, s2, 31
	s_lshl_b64 s[6:7], s[6:7], 15
	v_or_b32_e32 v4, 1, v3
	s_add_u32 s6, s18, s6
	v_xor_b32_e32 v3, v2, v3
	v_xor_b32_e32 v4, v4, v2
	v_lshlrev_b32_e32 v6, 8, v2
	s_addc_u32 s7, s19, s7
	s_lshl_b64 s[2:3], s[2:3], 8
	v_lshl_or_b32 v2, v3, 3, v6
	v_lshl_or_b32 v4, v4, 3, v6
	s_waitcnt lgkmcnt(0)
	s_barrier
	s_add_u32 s2, s6, s2
	ds_read_b64 v[2:3], v2 offset:32768
	ds_read_b64 v[4:5], v4 offset:32768
	s_addc_u32 s3, s7, s3
	v_mov_b32_e32 v7, 0
	s_cmp_lg_u32 s27, 64
	v_lshl_add_u64 v[8:9], s[2:3], 0, v[6:7]
	v_lshlrev_b32_e32 v6, 4, v51
	s_cselect_b64 s[6:7], -1, 0
	v_lshl_or_b32 v35, v49, 3, v53
	s_mov_b32 s16, 0
	v_lshl_add_u64 v[6:7], v[8:9], 0, v[6:7]
	v_or_b32_e32 v19, 32, v35
	v_and_b32_e32 v18, 56, v52
	s_and_b64 vcc, exec, s[6:7]
	s_waitcnt lgkmcnt(0)
	global_store_dwordx4 v[6:7], v[2:5], off
	s_cbranch_vccz .LBB740_15
; %bb.10:
	s_mov_b32 s17, s16
	s_mov_b32 s18, s16
	s_mov_b32 s19, s16
	v_mov_b64_e32 v[6:7], s[16:17]
	v_mov_b64_e32 v[8:9], s[18:19]
	;; [unrolled: 1-line block ×3, first 2 shown]
	v_cmp_gt_i32_e32 vcc, s27, v35
	v_mov_b64_e32 v[4:5], v[8:9]
	s_and_saveexec_b64 s[2:3], vcc
	s_cbranch_execz .LBB740_12
; %bb.11:
	v_lshlrev_b32_e32 v2, 8, v35
	v_mov_b32_e32 v3, 0
	v_lshl_add_u64 v[4:5], s[0:1], 0, v[2:3]
	v_lshlrev_b32_e32 v2, 1, v18
	v_lshl_add_u64 v[10:11], v[4:5], 0, v[2:3]
	global_load_dwordx4 v[6:9], v[10:11], off
	global_load_dwordx4 v[2:5], v[10:11], off offset:128
.LBB740_12:
	s_or_b64 exec, exec, s[2:3]
	s_mov_b32 s17, s16
	s_mov_b32 s18, s16
	;; [unrolled: 1-line block ×3, first 2 shown]
	v_mov_b64_e32 v[14:15], s[16:17]
	v_mov_b64_e32 v[16:17], s[18:19]
	;; [unrolled: 1-line block ×3, first 2 shown]
	v_cmp_gt_i32_e32 vcc, s27, v19
	v_lshlrev_b32_e32 v20, 7, v19
	v_mov_b64_e32 v[12:13], v[16:17]
	s_and_saveexec_b64 s[2:3], vcc
	s_cbranch_execz .LBB740_14
; %bb.13:
	v_lshlrev_b32_e32 v10, 1, v20
	v_mov_b32_e32 v11, 0
	v_lshl_add_u64 v[12:13], s[0:1], 0, v[10:11]
	v_lshlrev_b32_e32 v10, 1, v18
	v_lshl_add_u64 v[22:23], v[12:13], 0, v[10:11]
	global_load_dwordx4 v[14:17], v[22:23], off
	global_load_dwordx4 v[10:13], v[22:23], off offset:128
.LBB740_14:
	s_or_b64 exec, exec, s[2:3]
	v_lshrrev_b32_e32 v21, 3, v18
	v_lshlrev_b32_e32 v22, 3, v35
	v_or_b32_e32 v21, v22, v21
	v_lshlrev_b32_e32 v21, 4, v21
	v_and_b32_e32 v22, 0x78, v22
	v_xor_b32_e32 v21, v21, v22
	s_branch .LBB740_17
.LBB740_15:
                                        ; implicit-def: $vgpr21
                                        ; implicit-def: $vgpr20
                                        ; implicit-def: $vgpr6_vgpr7_vgpr8_vgpr9
                                        ; implicit-def: $vgpr2_vgpr3_vgpr4_vgpr5
                                        ; implicit-def: $vgpr14_vgpr15_vgpr16_vgpr17
                                        ; implicit-def: $vgpr10_vgpr11_vgpr12_vgpr13
	s_cbranch_execz .LBB740_17
; %bb.16:
	s_waitcnt vmcnt(0)
	v_lshlrev_b32_e32 v2, 1, v18
	v_lshl_or_b32 v20, v35, 8, v2
	s_and_b32 s1, s1, 0xffff
	s_mov_b32 s3, 0x20000
	s_movk_i32 s2, 0x4000
	v_lshl_or_b32 v21, v19, 8, v2
	s_movk_i32 s12, 0x80
	buffer_load_dwordx4 v[6:9], v20, s[0:3], 0 offen
	buffer_load_dwordx4 v[2:5], v20, s[0:3], s12 offen
	;; [unrolled: 1-line block ×4, first 2 shown]
	v_lshrrev_b32_e32 v20, 3, v18
	v_lshlrev_b32_e32 v21, 3, v35
	v_or_b32_e32 v20, v21, v20
	v_lshlrev_b32_e32 v20, 4, v20
	v_and_b32_e32 v21, 0x78, v21
	v_xor_b32_e32 v21, v20, v21
	v_lshlrev_b32_e32 v20, 7, v19
.LBB740_17:
	s_lshl_b64 s[0:1], s[24:25], 8
	s_add_u32 s4, s4, s0
	s_movk_i32 s0, 0x1000
	v_and_or_b32 v19, v20, s0, v21
	s_waitcnt vmcnt(1)
	ds_write_b64 v21, v[6:7] offset:16384
	v_xor_b32_e32 v6, 8, v21
	ds_write_b64 v6, v[8:9] offset:16384
	s_waitcnt vmcnt(0)
	ds_write_b64 v21, v[2:3] offset:24576
	ds_write_b64 v6, v[4:5] offset:24576
	;; [unrolled: 1-line block ×3, first 2 shown]
	v_xor_b32_e32 v2, 8, v19
	ds_write_b64 v2, v[16:17] offset:16384
	ds_write_b64 v19, v[10:11] offset:24576
	;; [unrolled: 1-line block ×3, first 2 shown]
	v_or_b32_e32 v2, v1, v51
	v_lshlrev_b32_e32 v2, 3, v2
	v_lshrrev_b32_e32 v4, 5, v48
	s_movk_i32 s12, 0xf8
	v_and_or_b32 v4, v2, s12, v4
	v_lshlrev_b32_e32 v3, 11, v49
	v_lshlrev_b32_e32 v12, 4, v4
	v_and_b32_e32 v13, 0x78, v2
	v_and_b32_e32 v14, 0x1000, v3
	v_lshlrev_b32_e32 v3, 2, v0
	v_xor_b32_e32 v2, v12, v13
	v_lshrrev_b32_e32 v4, 1, v48
	v_and_b32_e32 v3, 60, v3
	v_or_b32_e32 v2, v2, v14
	v_and_b32_e32 v15, 8, v4
	v_xor_b32_e32 v26, v2, v15
	v_lshl_or_b32 v2, v50, 6, v3
	v_lshlrev_b32_e32 v19, 1, v2
	v_or_b32_e32 v2, 32, v12
	v_xor_b32_e32 v2, v2, v13
	s_waitcnt lgkmcnt(0)
	s_barrier
	ds_read_b64 v[10:11], v26 offset:16384
	v_or_b32_e32 v2, v2, v14
	v_xor_b32_e32 v27, v2, v15
	v_or_b32_e32 v2, 64, v12
	v_xor_b32_e32 v2, v2, v13
	v_or_b32_e32 v2, v2, v14
	v_or_b32_e32 v12, 0x60, v12
	v_xor_b32_e32 v28, v2, v15
	ds_read2st64_b64 v[2:5], v19 offset0:72 offset1:73
	ds_read2st64_b64 v[6:9], v19 offset0:74 offset1:75
	v_xor_b32_e32 v16, v12, v13
	ds_read_b64 v[12:13], v27 offset:16384
	s_addc_u32 s5, s5, s1
	s_add_i32 s1, s41, s33
	s_waitcnt lgkmcnt(2)
	v_mfma_f32_16x16x16_bf16 a[0:3], v[10:11], v[2:3], 0
	s_add_i32 s0, s31, -1
	s_add_i32 s37, s1, s42
	s_add_i32 s1, s43, s40
	;; [unrolled: 1-line block ×3, first 2 shown]
	s_ashr_i32 s1, s0, 31
	s_mul_i32 s2, s0, s29
	s_mul_hi_u32 s3, s0, s28
	s_add_i32 s2, s3, s2
	s_mul_i32 s1, s1, s28
	v_or_b32_e32 v14, v16, v14
	s_add_i32 s1, s2, s1
	s_lshl_b64 s[2:3], s[36:37], 2
	v_xor_b32_e32 v36, v14, v15
	ds_read_b64 v[14:15], v28 offset:16384
	ds_read_b64 v[16:17], v36 offset:16384
	s_waitcnt lgkmcnt(2)
	v_mfma_f32_16x16x16_bf16 a[0:3], v[12:13], v[4:5], a[0:3]
	s_add_u32 s10, s10, s2
	s_addc_u32 s11, s11, s3
	s_lshl_b64 s[2:3], s[34:35], 2
	s_mul_i32 s0, s0, s28
	s_add_u32 s10, s10, s2
	s_addc_u32 s11, s11, s3
	s_lshl_b64 s[0:1], s[0:1], 2
	s_waitcnt lgkmcnt(1)
	v_mfma_f32_16x16x16_bf16 a[0:3], v[14:15], v[6:7], a[0:3]
	s_add_u32 s0, s10, s0
	s_addc_u32 s1, s11, s1
	s_load_dword s12, s[0:1], 0x0
	s_waitcnt lgkmcnt(0)
	v_mfma_f32_16x16x16_bf16 a[0:3], v[16:17], v[8:9], a[0:3]
	s_and_b64 vcc, exec, s[22:23]
	s_cbranch_vccz .LBB740_28
; %bb.18:
	v_lshlrev_b32_e32 v20, 1, v35
	s_and_b64 vcc, exec, s[6:7]
	s_cbranch_vccz .LBB740_44
; %bb.19:
	v_cmp_gt_i32_e32 vcc, s27, v20
	v_mov_b32_e32 v6, 0
	v_mov_b32_e32 v2, 0
	;; [unrolled: 1-line block ×5, first 2 shown]
	s_and_saveexec_b64 s[0:1], vcc
	s_cbranch_execz .LBB740_21
; %bb.20:
	v_mad_i64_i32 v[2:3], s[2:3], s15, v20, 0
	v_lshl_add_u64 v[2:3], v[2:3], 1, s[4:5]
	v_lshlrev_b32_e32 v4, 1, v18
	v_mov_b32_e32 v5, 0
	v_lshl_add_u64 v[2:3], v[2:3], 0, v[4:5]
	global_load_dwordx4 v[2:5], v[2:3], off
.LBB740_21:
	s_or_b64 exec, exec, s[0:1]
	v_or_b32_e32 v21, 1, v20
	v_cmp_gt_i32_e64 s[0:1], s27, v21
	v_mov_b32_e32 v7, 0
	v_mov_b32_e32 v8, 0
	;; [unrolled: 1-line block ×3, first 2 shown]
	s_and_saveexec_b64 s[2:3], s[0:1]
	s_cbranch_execz .LBB740_23
; %bb.22:
	v_mad_i64_i32 v[6:7], s[16:17], s15, v21, 0
	v_lshl_add_u64 v[6:7], v[6:7], 1, s[4:5]
	v_lshlrev_b32_e32 v8, 1, v18
	v_mov_b32_e32 v9, 0
	v_lshl_add_u64 v[6:7], v[6:7], 0, v[8:9]
	global_load_dwordx4 v[6:9], v[6:7], off
.LBB740_23:
	s_or_b64 exec, exec, s[2:3]
	v_mov_b32_e32 v17, 0
	v_mov_b32_e32 v10, 0
	;; [unrolled: 1-line block ×5, first 2 shown]
	s_and_saveexec_b64 s[2:3], vcc
	s_cbranch_execz .LBB740_25
; %bb.24:
	v_mad_i64_i32 v[10:11], s[16:17], s15, v20, 0
	v_lshl_add_u64 v[10:11], v[10:11], 1, s[4:5]
	v_lshlrev_b32_e32 v12, 1, v18
	v_mov_b32_e32 v13, 0
	v_lshl_add_u64 v[10:11], v[10:11], 0, v[12:13]
	global_load_dwordx4 v[10:13], v[10:11], off offset:128
.LBB740_25:
	s_or_b64 exec, exec, s[2:3]
	v_mov_b32_e32 v16, 0
	v_mov_b32_e32 v15, 0
	;; [unrolled: 1-line block ×3, first 2 shown]
	s_and_saveexec_b64 s[2:3], s[0:1]
	s_cbranch_execz .LBB740_27
; %bb.26:
	v_mad_i64_i32 v[14:15], s[0:1], s15, v21, 0
	v_lshl_add_u64 v[14:15], v[14:15], 1, s[4:5]
	v_lshlrev_b32_e32 v16, 1, v18
	v_mov_b32_e32 v17, 0
	v_lshl_add_u64 v[14:15], v[14:15], 0, v[16:17]
	global_load_dwordx4 v[14:17], v[14:15], off offset:128
.LBB740_27:
	s_or_b64 exec, exec, s[2:3]
	s_branch .LBB740_46
.LBB740_28:
                                        ; implicit-def: $vgpr5
                                        ; implicit-def: $vgpr9
                                        ; implicit-def: $vgpr13
                                        ; implicit-def: $vgpr17
	v_lshrrev_b32_e32 v37, 2, v48
	s_branch .LBB740_47
.LBB740_29:
                                        ; implicit-def: $vgpr12
                                        ; implicit-def: $vgpr13
                                        ; implicit-def: $sgpr22
	v_lshl_or_b32 v10, v56, 9, v10
.LBB740_30:
	v_or_b32_e32 v12, 0x100, v10
	s_movk_i32 s22, 0x4000
	v_mov_b32_e32 v13, v10
.LBB740_31:
	s_mul_i32 s16, s30, s14
	s_ashr_i32 s54, s49, 31
	s_mul_hi_i32 s3, s30, s14
	s_add_u32 s16, s16, s49
	s_addc_u32 s17, s3, s54
	s_lshl_b64 s[16:17], s[16:17], 8
	s_add_u32 s20, s4, s16
	s_addc_u32 s3, s5, s17
	s_and_b32 s21, s3, 0xffff
	s_movk_i32 s55, 0x80
	buffer_load_dwordx4 v[14:17], v13, s[20:23], 0 offen
	buffer_load_dwordx4 v[18:21], v13, s[20:23], s55 offen
	;; [unrolled: 1-line block ×4, first 2 shown]
	v_and_b32_e32 v12, 6, v0
	v_lshlrev_b32_e32 v30, 2, v51
	v_lshlrev_b32_e32 v31, 3, v51
	v_xor_b32_e32 v34, v56, v12
	v_and_b32_e32 v13, 1, v0
	v_lshl_or_b32 v31, v54, 5, v31
	v_xor_b32_e32 v35, v54, v30
	v_lshlrev_b32_e32 v34, 2, v34
	v_or_b32_e32 v62, 0x9000, v31
	v_or_b32_e32 v63, 0x9800, v31
	v_lshlrev_b32_e32 v31, 1, v35
	v_xor_b32_e32 v35, 0x440, v34
	v_cmp_eq_u32_e32 vcc, 0, v13
	s_add_i32 s3, s41, s33
	s_add_i32 s16, s43, s40
	v_cndmask_b32_e32 v13, v35, v34, vcc
	s_add_i32 s37, s3, s42
	v_lshl_or_b32 v12, v12, 10, v13
	s_add_i32 s35, s16, s44
	s_lshl_b64 s[16:17], s[36:37], 2
	s_mov_b32 s56, 0x1000504
	v_lshlrev_b32_e32 v32, 8, v51
	s_mov_b32 s22, 0x8000
	v_xor_b32_e32 v30, v55, v30
	v_xor_b32_e32 v13, 8, v12
	s_add_u32 s3, s10, s16
	s_mov_b32 s57, 0x3020706
	v_or_b32_e32 v33, v1, v51
	v_lshlrev_b32_e32 v30, 1, v30
	v_or3_b32 v64, v31, v32, s22
	v_xor_b32_e32 v31, 24, v12
	v_xor_b32_e32 v34, 40, v12
	;; [unrolled: 1-line block ×3, first 2 shown]
	v_add_u32_e32 v13, 0x80, v13
	s_addc_u32 s20, s11, s17
	s_lshl_b64 s[16:17], s[34:35], 2
	v_lshlrev_b32_e32 v33, 3, v33
	v_or3_b32 v65, v30, v32, s22
	v_xor_b32_e32 v30, 16, v12
	v_xor_b32_e32 v32, 32, v12
	;; [unrolled: 1-line block ×3, first 2 shown]
	v_add_u32_e32 v31, 0x80, v31
	v_add_u32_e32 v34, 0x80, v34
	;; [unrolled: 1-line block ×3, first 2 shown]
	s_add_u32 s16, s3, s16
	s_movk_i32 s3, 0xf8
	s_addc_u32 s17, s20, s17
	v_ashrrev_i32_e32 v43, 31, v42
	s_lshl_b32 s26, s15, 7
	s_mov_b32 s58, 0
	v_mov_b32_e32 v79, 0x3fb8aa3b
	s_waitcnt vmcnt(1)
	v_perm_b32 v37, v14, v22, s56
	s_waitcnt vmcnt(0)
	v_perm_b32 v38, v18, v26, s56
	v_perm_b32 v14, v14, v22, s57
	;; [unrolled: 1-line block ×15, first 2 shown]
	ds_write2st64_b32 v12, v37, v38 offset1:32
	ds_write2st64_b32 v13, v14, v18 offset1:32
	ds_write2st64_b32 v30, v22, v26 offset0:1 offset1:33
	ds_write2st64_b32 v31, v15, v19 offset0:1 offset1:33
	;; [unrolled: 1-line block ×6, first 2 shown]
	v_lshrrev_b32_e32 v13, 5, v48
	v_and_or_b32 v13, v33, s3, v13
	v_lshlrev_b32_e32 v13, 4, v13
	v_lshlrev_b32_e32 v18, 11, v49
	v_and_b32_e32 v14, 0x78, v33
	v_or_b32_e32 v17, 32, v13
	v_and_b32_e32 v12, 0x1000, v18
	v_xor_b32_e32 v15, v13, v14
	v_lshrrev_b32_e32 v19, 1, v0
	v_xor_b32_e32 v17, v17, v14
	v_or_b32_e32 v15, v15, v12
	v_and_b32_e32 v16, 8, v19
	v_or_b32_e32 v17, v17, v12
	v_xor_b32_e32 v66, v15, v16
	v_and_b32_e32 v15, 0x78, v52
	v_xor_b32_e32 v68, v17, v16
	v_or_b32_e32 v17, 64, v13
	v_or_b32_e32 v13, 0x60, v13
	v_lshl_or_b32 v15, v50, 7, v15
	v_xor_b32_e32 v17, v17, v14
	v_xor_b32_e32 v13, v13, v14
	v_or_b32_e32 v67, 0x9000, v15
	v_or_b32_e32 v17, v17, v12
	;; [unrolled: 1-line block ×4, first 2 shown]
	v_lshrrev_b32_e32 v14, 4, v0
	v_lshlrev_b32_e32 v15, 1, v51
	v_xor_b32_e32 v69, v17, v16
	v_xor_b32_e32 v70, v12, v16
	s_ashr_i32 s3, s2, 31
	v_or_b32_e32 v16, 1, v15
	v_xor_b32_e32 v15, v14, v15
	s_lshl_b64 s[20:21], s[2:3], 8
	v_xor_b32_e32 v16, v16, v14
	v_lshlrev_b32_e32 v15, 3, v15
	v_lshlrev_b32_e32 v14, 8, v14
	v_lshl_add_u64 v[12:13], v[42:43], 1, s[8:9]
	s_add_u32 s20, s18, s20
	v_or3_b32 v43, v15, v14, s22
	v_lshlrev_b32_e32 v15, 3, v16
	s_addc_u32 s21, s19, s21
	v_or3_b32 v72, v15, v14, s22
	v_mov_b32_e32 v15, 0
	v_lshl_add_u64 v[16:17], s[20:21], 0, v[14:15]
	v_lshlrev_b32_e32 v14, 4, v51
	s_movk_i32 s3, 0xff
	v_lshlrev_b32_e32 v23, 3, v49
	v_and_b32_e32 v19, 24, v19
	v_lshl_add_u64 v[44:45], v[16:17], 0, v[14:15]
	v_and_b32_e32 v16, 8, v0
	v_cmp_lt_u32_e32 vcc, s3, v0
	v_xor_b32_e32 v24, v23, v19
	v_or_b32_e32 v25, 0x440, v24
	v_cndmask_b32_e64 v22, 0, 1, vcc
	v_cmp_eq_u32_e32 vcc, 0, v16
	v_and_b32_e32 v14, 7, v0
	v_lshlrev_b32_e32 v17, 3, v14
	v_cndmask_b32_e32 v16, v25, v24, vcc
	v_lshlrev_b32_e32 v14, 7, v14
	v_or_b32_e32 v16, v16, v18
	v_xad_u32 v73, v16, v17, v14
	v_or_b32_e32 v16, 32, v19
	v_xor_b32_e32 v16, v23, v16
	v_or_b32_e32 v24, 0x440, v16
	v_cndmask_b32_e32 v16, v24, v16, vcc
	v_or_b32_e32 v16, v16, v18
	v_xad_u32 v74, v16, v17, v14
	v_or_b32_e32 v16, 64, v19
	v_xor_b32_e32 v16, v23, v16
	v_xor_b32_e32 v24, 0x440, v16
	v_cndmask_b32_e32 v16, v24, v16, vcc
	v_or_b32_e32 v16, v16, v18
	v_xad_u32 v75, v16, v17, v14
	v_or_b32_e32 v16, 0x60, v19
	v_xor_b32_e32 v16, v23, v16
	v_xor_b32_e32 v19, 0x440, v16
	v_cndmask_b32_e32 v16, v19, v16, vcc
	v_or_b32_e32 v16, v16, v18
	v_lshlrev_b32_e32 v20, 1, v11
	v_add_lshl_u32 v11, v11, s15, 1
	v_or_b32_e32 v21, 0x100, v10
	v_lshlrev_b32_e32 v22, 13, v22
	v_xad_u32 v76, v16, v17, v14
	v_lshlrev_b32_e32 v14, 8, v54
	v_cndmask_b32_e64 v77, v20, v10, s[0:1]
	v_cndmask_b32_e64 v78, v11, v21, s[0:1]
	v_lshl_add_u64 v[46:47], v[12:13], 0, v[14:15]
	s_mov_b32 s3, 0x7060302
	s_movk_i32 s22, 0x4000
	v_add_u32_e32 v80, v22, v73
	v_add_u32_e32 v81, v22, v74
	;; [unrolled: 1-line block ×4, first 2 shown]
	s_waitcnt lgkmcnt(0)
	s_barrier
.LBB740_32:                             ; =>This Inner Loop Header: Depth=1
	s_add_i32 s35, s58, 1
	s_cmp_lt_i32 s35, s46
	s_mov_b64 s[24:25], 0
	s_cselect_b64 s[38:39], -1, 0
	s_cmp_ge_i32 s35, s46
	s_mov_b64 s[20:21], 0
	s_cbranch_scc1 .LBB740_34
; %bb.33:                               ;   in Loop: Header=BB740_32 Depth=1
	s_add_i32 s0, s53, 64
	s_ashr_i32 s1, s0, 31
	s_add_u32 s0, s52, s0
	s_addc_u32 s1, s51, s1
	s_lshl_b64 s[0:1], s[0:1], 8
	s_add_u32 s20, s6, s0
	s_addc_u32 s21, s7, s1
.LBB740_34:                             ;   in Loop: Header=BB740_32 Depth=1
	v_cndmask_b32_e64 v10, 0, 1, s[38:39]
	v_cmp_ne_u32_e64 s[0:1], 1, v10
	s_andn2_b64 vcc, exec, s[38:39]
	s_cbranch_vccnz .LBB740_36
; %bb.35:                               ;   in Loop: Header=BB740_32 Depth=1
	s_add_i32 s24, s53, 64
	s_mul_hi_i32 s25, s24, s14
	s_mul_i32 s24, s24, s14
	s_add_u32 s24, s24, s49
	s_addc_u32 s25, s25, s54
	s_lshl_b64 s[24:25], s[24:25], 8
	s_add_u32 s24, s4, s24
	s_addc_u32 s25, s5, s25
.LBB740_36:                             ;   in Loop: Header=BB740_32 Depth=1
	v_perm_b32 v11, v9, v8, s3
	v_perm_b32 v10, v7, v6, s3
	;; [unrolled: 1-line block ×4, first 2 shown]
	ds_write_b64 v62, v[10:11]
	ds_write_b64 v63, v[12:13]
	;; [unrolled: 1-line block ×4, first 2 shown]
	s_waitcnt lgkmcnt(0)
	s_barrier
	ds_read_b64 v[18:19], v66 offset:16384
	ds_read_b64 v[20:21], v68 offset:16384
	ds_read2st64_b64 v[10:13], v67 offset1:1
	s_waitcnt lgkmcnt(0)
	v_mfma_f32_16x16x16_bf16 a[0:3], v[18:19], v[10:11], 0
	ds_read2st64_b64 v[14:17], v67 offset0:2 offset1:3
	ds_read_b64 v[22:23], v69 offset:16384
	ds_read_b64 v[10:11], v70 offset:16384
	s_add_i32 s27, s53, 63
	v_mfma_f32_16x16x16_bf16 a[0:3], v[20:21], v[12:13], a[0:3]
	s_ashr_i32 s37, s27, 31
	s_mul_i32 s38, s27, s29
	s_mul_hi_u32 s39, s27, s28
	s_waitcnt lgkmcnt(1)
	v_mfma_f32_16x16x16_bf16 a[0:3], v[22:23], v[14:15], a[0:3]
	s_add_i32 s38, s39, s38
	s_mul_i32 s37, s37, s28
	s_add_i32 s39, s38, s37
	s_mul_i32 s38, s27, s28
	s_waitcnt lgkmcnt(0)
	v_mfma_f32_16x16x16_bf16 a[0:3], v[10:11], v[16:17], a[0:3]
	s_lshl_b64 s[38:39], s[38:39], 2
	s_add_u32 s38, s16, s38
	s_addc_u32 s39, s17, s39
	s_and_b64 vcc, exec, s[0:1]
	v_mov_b32_e32 v86, 0
	v_mov_b32_e32 v85, 0
	;; [unrolled: 1-line block ×19, first 2 shown]
	s_cbranch_vccnz .LBB740_38
; %bb.37:                               ;   in Loop: Header=BB740_32 Depth=1
	s_and_b32 s21, s21, 0xffff
	buffer_load_dwordx4 v[22:25], v58, s[20:23], 0 offen
	buffer_load_dwordx4 v[18:21], v58, s[20:23], s55 offen
	;; [unrolled: 1-line block ×4, first 2 shown]
	v_mov_b32_e32 v85, v60
	v_mov_b32_e32 v84, v61
.LBB740_38:                             ;   in Loop: Header=BB740_32 Depth=1
	s_waitcnt vmcnt(3)
	v_add_u32_e32 v30, s53, v54
	s_waitcnt vmcnt(1)
	v_ashrrev_i32_e32 v26, 31, v30
	v_mul_lo_u32 v28, v26, s28
	v_mul_lo_u32 v29, v30, s29
	v_mad_u64_u32 v[26:27], s[20:21], v30, s28, 0
	v_add3_u32 v27, v27, v29, v28
	v_lshl_add_u64 v[26:27], v[26:27], 2, s[16:17]
	global_load_dword v92, v[26:27], off
	v_add_u32_e32 v26, 1, v30
	v_ashrrev_i32_e32 v27, 31, v26
	v_mul_lo_u32 v28, v27, s28
	v_mul_lo_u32 v29, v26, s29
	v_mad_u64_u32 v[26:27], s[20:21], v26, s28, 0
	v_add3_u32 v27, v27, v29, v28
	v_add_u32_e32 v28, 2, v30
	v_ashrrev_i32_e32 v29, 31, v28
	v_mul_lo_u32 v31, v29, s28
	v_mul_lo_u32 v32, v28, s29
	v_mad_u64_u32 v[28:29], s[20:21], v28, s28, 0
	v_add_u32_e32 v30, 3, v30
	v_add3_u32 v29, v29, v32, v31
	v_ashrrev_i32_e32 v31, 31, v30
	v_mul_lo_u32 v34, v31, s28
	v_mul_lo_u32 v35, v30, s29
	v_mad_u64_u32 v[30:31], s[20:21], v30, s28, 0
	s_ashr_i32 s21, s53, 31
	s_add_u32 s20, s52, s53
	s_addc_u32 s21, s51, s21
	s_lshl_b64 s[20:21], s[20:21], 8
	v_lshl_add_u64 v[26:27], v[26:27], 2, s[16:17]
	v_lshl_add_u64 v[32:33], v[46:47], 0, s[20:21]
	v_add3_u32 v31, v31, v35, v34
	v_lshl_add_u64 v[28:29], v[28:29], 2, s[16:17]
	global_load_ushort v93, v[32:33], off
	global_load_ushort v94, v[32:33], off offset:256
	global_load_ushort v95, v[32:33], off offset:512
	;; [unrolled: 1-line block ×3, first 2 shown]
	v_lshl_add_u64 v[30:31], v[30:31], 2, s[16:17]
	global_load_dword v97, v[26:27], off
	global_load_dword v98, v[28:29], off
	;; [unrolled: 1-line block ×3, first 2 shown]
	s_load_dword s20, s[38:39], 0x0
	ds_read_b64 v[34:35], v66 offset:24576
	ds_read2st64_b64 v[30:33], v71 offset1:1
	ds_read2st64_b64 v[36:39], v71 offset0:2 offset1:3
	ds_read_b64 v[40:41], v68 offset:24576
	ds_read_b64 v[88:89], v69 offset:24576
	;; [unrolled: 1-line block ×3, first 2 shown]
	s_waitcnt lgkmcnt(0)
	v_mfma_f32_16x16x16_bf16 a[0:3], v[34:35], v[30:31], a[0:3]
	v_mov_b32_e32 v87, 0
	v_mov_b32_e32 v26, 0
	v_mov_b32_e32 v27, 0
	v_mfma_f32_16x16x16_bf16 a[0:3], v[40:41], v[32:33], a[0:3]
	v_mov_b32_e32 v28, 0
	v_mov_b32_e32 v29, 0
	v_mov_b32_e32 v30, 0
	;; [unrolled: 4-line block ×4, first 2 shown]
	s_and_b64 vcc, exec, s[0:1]
	s_waitcnt vmcnt(7)
	v_sub_f32_e32 v37, s20, v92
	v_mul_f32_e32 v37, 0x3fb8aa3b, v37
	v_exp_f32_e32 v92, v37
	v_accvgpr_read_b32 v41, a1
	v_accvgpr_read_b32 v39, a3
	;; [unrolled: 1-line block ×4, first 2 shown]
	s_waitcnt vmcnt(6)
	v_lshlrev_b32_e32 v88, 16, v93
	s_waitcnt vmcnt(5)
	v_lshlrev_b32_e32 v89, 16, v94
	;; [unrolled: 2-line block ×3, first 2 shown]
	s_waitcnt vmcnt(2)
	v_sub_f32_e32 v93, s20, v97
	s_waitcnt vmcnt(1)
	v_sub_f32_e32 v94, s20, v98
	s_waitcnt vmcnt(0)
	v_sub_f32_e32 v95, s20, v99
	v_mul_f32_e32 v37, 0x3fb8aa3b, v93
	v_mul_f32_e32 v94, 0x3fb8aa3b, v94
	;; [unrolled: 1-line block ×3, first 2 shown]
	v_exp_f32_e32 v93, v37
	v_exp_f32_e32 v94, v94
	;; [unrolled: 1-line block ×3, first 2 shown]
	v_lshlrev_b32_e32 v91, 16, v96
	v_pk_add_f32 v[40:41], v[88:89], v[40:41] neg_lo:[0,1] neg_hi:[0,1]
	v_pk_add_f32 v[38:39], v[90:91], v[38:39] neg_lo:[0,1] neg_hi:[0,1]
	v_pk_mul_f32 v[40:41], v[92:93], v[40:41]
	v_pk_mul_f32 v[38:39], v[94:95], v[38:39]
	v_mov_b32_e32 v37, 0
	v_perm_b32 v39, v39, v38, s3
	v_perm_b32 v38, v41, v40, s3
	ds_write_b64 v63, v[38:39]
	v_mov_b32_e32 v38, 0
	v_mov_b32_e32 v39, 0
	;; [unrolled: 1-line block ×4, first 2 shown]
	s_cbranch_vccnz .LBB740_40
; %bb.39:                               ;   in Loop: Header=BB740_32 Depth=1
	s_and_b32 s25, s25, 0xffff
	s_mov_b32 s27, s23
	buffer_load_dwordx4 v[38:41], v77, s[24:27], 0 offen
	buffer_load_dwordx4 v[30:33], v77, s[24:27], s55 offen
	buffer_load_dwordx4 v[34:37], v78, s[24:27], 0 offen
	buffer_load_dwordx4 v[26:29], v78, s[24:27], s55 offen
	v_mov_b32_e32 v86, v57
	v_mov_b32_e32 v87, v56
.LBB740_40:                             ;   in Loop: Header=BB740_32 Depth=1
	s_waitcnt lgkmcnt(0)
	s_barrier
	ds_read_b64 v[96:97], v80
	ds_read2st64_b64 v[88:91], v71 offset1:1
	ds_read2st64_b64 v[92:95], v71 offset0:2 offset1:3
	ds_read_b64 v[98:99], v81
	ds_read_b64 v[100:101], v82
	;; [unrolled: 1-line block ×3, first 2 shown]
	s_waitcnt lgkmcnt(4)
	v_mfma_f32_16x16x16_bf16 a[0:3], v[96:97], v[88:89], 0
	ds_read_b64 v[96:97], v73 offset:8192
	ds_read_b64 v[104:105], v74 offset:8192
	s_add_i32 s21, s50, s58
	s_mul_hi_i32 s25, s21, s13
	s_waitcnt lgkmcnt(1)
	v_mfma_f32_16x16x16_bf16 a[4:7], v[96:97], v[88:89], 0
	s_mul_i32 s21, s21, s13
	s_add_u32 s24, s21, s45
	s_addc_u32 s25, s25, s47
	v_mfma_f32_16x16x16_bf16 a[0:3], v[98:99], v[90:91], a[0:3]
	ds_read_b64 v[96:97], v43
	ds_read_b64 v[98:99], v72
	ds_read_b64 v[88:89], v75 offset:8192
	s_lshl_b64 s[24:25], s[24:25], 15
	v_mfma_f32_16x16x16_bf16 a[0:3], v[100:101], v[92:93], a[0:3]
	ds_read_b64 v[100:101], v76 offset:8192
	s_and_b64 vcc, exec, s[0:1]
	s_waitcnt lgkmcnt(4)
	v_mfma_f32_16x16x16_bf16 a[4:7], v[104:105], v[90:91], a[4:7]
	s_waitcnt lgkmcnt(1)
	v_mfma_f32_16x16x16_bf16 a[4:7], v[88:89], v[92:93], a[4:7]
	v_lshl_add_u64 v[88:89], v[44:45], 0, s[24:25]
	global_store_dwordx4 v[88:89], v[96:99], off
	v_mfma_f32_16x16x16_bf16 a[0:3], v[102:103], v[94:95], a[0:3]
	s_waitcnt lgkmcnt(0)
	v_mfma_f32_16x16x16_bf16 a[4:7], v[100:101], v[94:95], a[4:7]
	s_cbranch_vccnz .LBB740_42
; %bb.41:                               ;   in Loop: Header=BB740_32 Depth=1
	v_lshrrev_b32_e32 v88, 3, v86
	v_and_b32_e32 v88, 6, v88
	v_xor_b32_e32 v87, v88, v87
	v_lshlrev_b32_e32 v87, 2, v87
	v_and_b32_e32 v86, 8, v86
	v_xor_b32_e32 v89, 0x440, v87
	v_cmp_eq_u32_e32 vcc, 0, v86
	s_barrier
	s_nop 0
	v_cndmask_b32_e32 v86, v89, v87, vcc
	v_lshl_or_b32 v86, v88, 10, v86
	s_waitcnt vmcnt(2)
	v_perm_b32 v87, v38, v34, s56
	s_waitcnt vmcnt(1)
	v_perm_b32 v88, v30, v26, s56
	ds_write2st64_b32 v86, v87, v88 offset1:32
	v_xor_b32_e32 v87, 8, v86
	v_perm_b32 v34, v38, v34, s57
	v_perm_b32 v26, v30, v26, s57
	v_add_u32_e32 v30, 0x80, v87
	ds_write2st64_b32 v30, v34, v26 offset1:32
	v_xor_b32_e32 v26, 16, v86
	v_perm_b32 v30, v39, v35, s56
	v_perm_b32 v34, v31, v27, s56
	ds_write2st64_b32 v26, v30, v34 offset0:1 offset1:33
	v_xor_b32_e32 v26, 24, v86
	v_perm_b32 v30, v39, v35, s57
	v_perm_b32 v27, v31, v27, s57
	v_add_u32_e32 v26, 0x80, v26
	ds_write2st64_b32 v26, v30, v27 offset0:1 offset1:33
	v_xor_b32_e32 v26, 32, v86
	v_perm_b32 v27, v40, v36, s56
	v_perm_b32 v30, v32, v28, s56
	ds_write2st64_b32 v26, v27, v30 offset0:2 offset1:34
	v_xor_b32_e32 v26, 40, v86
	v_perm_b32 v27, v40, v36, s57
	v_perm_b32 v28, v32, v28, s57
	v_add_u32_e32 v26, 0x80, v26
	ds_write2st64_b32 v26, v27, v28 offset0:2 offset1:34
	;; [unrolled: 9-line block ×3, first 2 shown]
	ds_write_b64 v85, v[22:23] offset:16384
	v_xor_b32_e32 v22, 8, v85
	ds_write_b64 v22, v[24:25] offset:16384
	ds_write_b64 v85, v[18:19] offset:24576
	;; [unrolled: 1-line block ×4, first 2 shown]
	v_xor_b32_e32 v14, 8, v84
	ds_write_b64 v14, v[16:17] offset:16384
	ds_write_b64 v84, v[10:11] offset:24576
	;; [unrolled: 1-line block ×3, first 2 shown]
.LBB740_42:                             ;   in Loop: Header=BB740_32 Depth=1
	v_mul_f32_e32 v10, s20, v79
	v_exp_f32_e32 v12, v10
	s_nop 1
	v_accvgpr_read_b32 v11, a1
	v_accvgpr_read_b32 v10, a0
	s_add_i32 s53, s53, 64
	v_fma_f32 v7, v7, v12, v11
	v_accvgpr_read_b32 v11, a3
	v_fmac_f32_e32 v11, v9, v12
	v_accvgpr_read_b32 v9, a4
	v_fma_f32 v6, v6, v12, v10
	v_accvgpr_read_b32 v10, a2
	v_fma_f32 v2, v2, v12, v9
	;; [unrolled: 2-line block ×3, first 2 shown]
	v_fma_f32 v3, v3, v12, v9
	v_accvgpr_read_b32 v9, a6
	v_accvgpr_read_b32 v10, a7
	v_fma_f32 v4, v4, v12, v9
	s_cmp_eq_u32 s46, s35
	v_fmac_f32_e32 v10, v5, v12
	s_cbranch_scc1 .LBB740_4
; %bb.43:                               ;   in Loop: Header=BB740_32 Depth=1
	s_mov_b32 s58, s35
	v_mov_b32_e32 v9, v11
	v_mov_b32_e32 v5, v10
	s_branch .LBB740_32
.LBB740_44:
                                        ; implicit-def: $vgpr5
                                        ; implicit-def: $vgpr9
                                        ; implicit-def: $vgpr13
                                        ; implicit-def: $vgpr17
	s_cbranch_execz .LBB740_46
; %bb.45:
	s_waitcnt vmcnt(0)
	v_mad_u64_u32 v[2:3], s[0:1], v20, s15, v[18:19]
	v_lshlrev_b32_e32 v20, 1, v2
	s_lshl_b32 s2, s15, 7
	s_and_b32 s1, s5, 0xffff
	s_mov_b32 s3, 0x20000
	s_mov_b32 s0, s4
	v_add_lshl_u32 v21, v2, s15, 1
	s_movk_i32 s13, 0x80
	buffer_load_dwordx4 v[2:5], v20, s[0:3], 0 offen
	buffer_load_dwordx4 v[10:13], v20, s[0:3], s13 offen
	;; [unrolled: 1-line block ×4, first 2 shown]
.LBB740_46:
	v_lshrrev_b32_e32 v37, 2, v48
	s_cbranch_execnz .LBB740_59
.LBB740_47:
	s_and_b64 vcc, exec, s[6:7]
	s_cbranch_vccz .LBB740_57
; %bb.48:
	s_waitcnt vmcnt(0)
	v_lshlrev_b32_e32 v7, 1, v35
	v_cmp_gt_i32_e32 vcc, s27, v7
	v_mov_b32_e32 v6, 0
	v_lshlrev_b32_e32 v14, 9, v35
	v_mov_b32_e32 v2, 0
	v_mov_b32_e32 v3, 0
	v_mov_b32_e32 v4, 0
	v_mov_b32_e32 v5, 0
	s_and_saveexec_b64 s[0:1], vcc
	s_cbranch_execz .LBB740_50
; %bb.49:
	v_mov_b32_e32 v15, 0
	v_lshl_add_u64 v[2:3], s[4:5], 0, v[14:15]
	v_lshlrev_b32_e32 v4, 1, v18
	v_mov_b32_e32 v5, v15
	v_lshl_add_u64 v[2:3], v[2:3], 0, v[4:5]
	global_load_dwordx4 v[2:5], v[2:3], off
.LBB740_50:
	s_or_b64 exec, exec, s[0:1]
	v_or_b32_e32 v7, 1, v7
	v_cmp_gt_i32_e64 s[0:1], s27, v7
	v_lshlrev_b32_e32 v20, 8, v7
	v_mov_b32_e32 v7, 0
	v_mov_b32_e32 v8, 0
	;; [unrolled: 1-line block ×3, first 2 shown]
	s_and_saveexec_b64 s[2:3], s[0:1]
	s_cbranch_execz .LBB740_52
; %bb.51:
	v_mov_b32_e32 v21, 0
	v_lshl_add_u64 v[6:7], s[4:5], 0, v[20:21]
	v_lshlrev_b32_e32 v8, 1, v18
	v_mov_b32_e32 v9, v21
	v_lshl_add_u64 v[6:7], v[6:7], 0, v[8:9]
	global_load_dwordx4 v[6:9], v[6:7], off
.LBB740_52:
	s_or_b64 exec, exec, s[2:3]
	v_mov_b32_e32 v17, 0
	v_mov_b32_e32 v10, 0
	;; [unrolled: 1-line block ×5, first 2 shown]
	s_and_saveexec_b64 s[2:3], vcc
	s_cbranch_execz .LBB740_54
; %bb.53:
	v_mov_b32_e32 v15, 0
	v_lshl_add_u64 v[10:11], s[4:5], 0, v[14:15]
	v_lshlrev_b32_e32 v14, 1, v18
	v_lshl_add_u64 v[10:11], v[10:11], 0, v[14:15]
	global_load_dwordx4 v[10:13], v[10:11], off offset:128
.LBB740_54:
	s_or_b64 exec, exec, s[2:3]
	v_mov_b32_e32 v16, 0
	v_mov_b32_e32 v15, 0
	;; [unrolled: 1-line block ×3, first 2 shown]
	s_and_saveexec_b64 s[2:3], s[0:1]
	s_cbranch_execz .LBB740_56
; %bb.55:
	v_mov_b32_e32 v21, 0
	v_lshl_add_u64 v[14:15], s[4:5], 0, v[20:21]
	v_lshlrev_b32_e32 v20, 1, v18
	v_lshl_add_u64 v[14:15], v[14:15], 0, v[20:21]
	global_load_dwordx4 v[14:17], v[14:15], off offset:128
.LBB740_56:
	s_or_b64 exec, exec, s[2:3]
	s_branch .LBB740_59
.LBB740_57:
                                        ; implicit-def: $vgpr5
                                        ; implicit-def: $vgpr9
                                        ; implicit-def: $vgpr13
                                        ; implicit-def: $vgpr17
	s_cbranch_execz .LBB740_59
; %bb.58:
	s_waitcnt vmcnt(0)
	v_lshlrev_b32_e32 v2, 1, v18
	v_lshl_or_b32 v18, v35, 9, v2
	s_and_b32 s5, s5, 0xffff
	s_mov_b32 s7, 0x20000
	s_movk_i32 s6, 0x4000
	s_movk_i32 s0, 0x80
	buffer_load_dwordx4 v[2:5], v18, s[4:7], 0 offen
	buffer_load_dwordx4 v[6:9], v18, s[4:7], 0 offen offset:256
	buffer_load_dwordx4 v[10:13], v18, s[4:7], s0 offen
	buffer_load_dwordx4 v[14:17], v18, s[4:7], s0 offen offset:256
.LBB740_59:
	ds_read2st64_b64 v[22:25], v19 offset0:76 offset1:77
	ds_read2st64_b64 v[18:21], v19 offset0:78 offset1:79
	ds_read_b64 v[30:31], v26 offset:24576
	ds_read_b64 v[32:33], v27 offset:24576
	;; [unrolled: 1-line block ×4, first 2 shown]
	v_and_b32_e32 v36, 6, v0
	v_xor_b32_e32 v35, v35, v36
	v_lshlrev_b32_e32 v35, 2, v35
	v_and_b32_e32 v0, 1, v0
	v_xor_b32_e32 v38, 0x440, v35
	v_cmp_eq_u32_e32 vcc, 0, v0
	s_mov_b32 s0, 0x1000504
	s_mov_b32 s1, 0x3020706
	v_cndmask_b32_e32 v0, v38, v35, vcc
	v_lshl_or_b32 v0, v36, 10, v0
	s_waitcnt vmcnt(0)
	v_perm_b32 v35, v2, v6, s0
	v_perm_b32 v36, v10, v14, s0
	ds_write2st64_b32 v0, v35, v36 offset1:32
	v_xor_b32_e32 v35, 8, v0
	v_perm_b32 v2, v2, v6, s1
	v_perm_b32 v6, v10, v14, s1
	v_add_u32_e32 v10, 0x80, v35
	ds_write2st64_b32 v10, v2, v6 offset1:32
	v_xor_b32_e32 v2, 16, v0
	v_perm_b32 v6, v3, v7, s0
	v_perm_b32 v10, v11, v15, s0
	ds_write2st64_b32 v2, v6, v10 offset0:1 offset1:33
	v_xor_b32_e32 v2, 24, v0
	v_perm_b32 v3, v3, v7, s1
	v_perm_b32 v6, v11, v15, s1
	v_add_u32_e32 v2, 0x80, v2
	ds_write2st64_b32 v2, v3, v6 offset0:1 offset1:33
	v_xor_b32_e32 v2, 32, v0
	v_perm_b32 v3, v4, v8, s0
	v_perm_b32 v6, v12, v16, s0
	ds_write2st64_b32 v2, v3, v6 offset0:2 offset1:34
	v_xor_b32_e32 v2, 40, v0
	v_perm_b32 v3, v4, v8, s1
	v_perm_b32 v4, v12, v16, s1
	v_add_u32_e32 v2, 0x80, v2
	ds_write2st64_b32 v2, v3, v4 offset0:2 offset1:34
	v_xor_b32_e32 v2, 48, v0
	v_perm_b32 v3, v5, v9, s0
	v_perm_b32 v4, v13, v17, s0
	v_xor_b32_e32 v0, 56, v0
	v_and_or_b32 v6, v37, 12, v1
	ds_write2st64_b32 v2, v3, v4 offset0:3 offset1:35
	v_perm_b32 v2, v5, v9, s1
	v_perm_b32 v3, v13, v17, s1
	v_add_u32_e32 v0, 0x80, v0
	v_cmp_gt_i32_e32 vcc, s27, v6
	v_mov_b32_e32 v7, 0
	v_mov_b32_e32 v11, 0
	ds_write2st64_b32 v0, v2, v3 offset0:3 offset1:35
	s_and_saveexec_b64 s[0:1], vcc
	s_cbranch_execz .LBB740_61
; %bb.60:
	v_add_u32_e32 v0, s26, v6
	v_ashrrev_i32_e32 v1, 31, v0
	v_mul_lo_u32 v2, v1, s28
	v_mul_lo_u32 v3, v0, s29
	v_mad_u64_u32 v[0:1], s[2:3], v0, s28, 0
	v_add3_u32 v1, v1, v3, v2
	v_lshl_add_u64 v[0:1], v[0:1], 2, s[10:11]
	global_load_dword v0, v[0:1], off
	s_waitcnt vmcnt(0)
	v_sub_f32_e32 v0, s12, v0
	v_mul_f32_e32 v0, 0x3fb8aa3b, v0
	v_exp_f32_e32 v11, v0
.LBB740_61:
	s_or_b64 exec, exec, s[0:1]
	v_or_b32_e32 v9, 1, v6
	v_cmp_gt_i32_e64 s[0:1], s27, v9
	s_and_saveexec_b64 s[2:3], s[0:1]
	s_cbranch_execz .LBB740_63
; %bb.62:
	v_add_u32_e32 v0, s26, v9
	v_ashrrev_i32_e32 v1, 31, v0
	v_mul_lo_u32 v2, v1, s28
	v_mul_lo_u32 v3, v0, s29
	v_mad_u64_u32 v[0:1], s[4:5], v0, s28, 0
	v_add3_u32 v1, v1, v3, v2
	v_lshl_add_u64 v[0:1], v[0:1], 2, s[10:11]
	global_load_dword v0, v[0:1], off
	s_waitcnt vmcnt(0)
	v_sub_f32_e32 v0, s12, v0
	v_mul_f32_e32 v0, 0x3fb8aa3b, v0
	v_exp_f32_e32 v7, v0
.LBB740_63:
	s_or_b64 exec, exec, s[2:3]
	v_or_b32_e32 v10, 2, v6
	v_cmp_gt_i32_e64 s[2:3], s27, v10
	v_mov_b32_e32 v8, 0
	v_mov_b32_e32 v13, 0
	s_and_saveexec_b64 s[4:5], s[2:3]
	s_cbranch_execz .LBB740_65
; %bb.64:
	v_add_u32_e32 v0, s26, v10
	v_ashrrev_i32_e32 v1, 31, v0
	v_mul_lo_u32 v2, v1, s28
	v_mul_lo_u32 v3, v0, s29
	v_mad_u64_u32 v[0:1], s[6:7], v0, s28, 0
	v_add3_u32 v1, v1, v3, v2
	v_lshl_add_u64 v[0:1], v[0:1], 2, s[10:11]
	global_load_dword v0, v[0:1], off
	s_waitcnt vmcnt(0)
	v_sub_f32_e32 v0, s12, v0
	v_mul_f32_e32 v0, 0x3fb8aa3b, v0
	v_exp_f32_e32 v13, v0
.LBB740_65:
	s_or_b64 exec, exec, s[4:5]
	v_or_b32_e32 v12, 3, v6
	v_cmp_gt_i32_e64 s[4:5], s27, v12
	s_and_saveexec_b64 s[6:7], s[4:5]
	s_cbranch_execz .LBB740_67
; %bb.66:
	v_add_u32_e32 v0, s26, v12
	v_ashrrev_i32_e32 v1, 31, v0
	v_mul_lo_u32 v2, v1, s28
	v_mul_lo_u32 v3, v0, s29
	v_mad_u64_u32 v[0:1], s[14:15], v0, s28, 0
	v_add3_u32 v1, v1, v3, v2
	v_lshl_add_u64 v[0:1], v[0:1], 2, s[10:11]
	global_load_dword v0, v[0:1], off
	s_waitcnt vmcnt(0)
	v_sub_f32_e32 v0, s12, v0
	v_mul_f32_e32 v0, 0x3fb8aa3b, v0
	v_exp_f32_e32 v8, v0
.LBB740_67:
	s_or_b64 exec, exec, s[6:7]
	s_waitcnt lgkmcnt(11)
	v_mfma_f32_16x16x16_bf16 a[0:3], v[30:31], v[22:23], a[0:3]
	s_add_u32 s6, s8, s20
	v_ashrrev_i32_e32 v43, 31, v42
	s_addc_u32 s7, s9, s21
	s_waitcnt lgkmcnt(10)
	v_mfma_f32_16x16x16_bf16 a[0:3], v[32:33], v[24:25], a[0:3]
	v_mov_b32_e32 v14, 0
	v_lshl_add_u64 v[4:5], v[42:43], 1, s[6:7]
	v_mov_b32_e32 v15, 0
	s_waitcnt lgkmcnt(9)
	v_mfma_f32_16x16x16_bf16 a[0:3], v[28:29], v[18:19], a[0:3]
	s_waitcnt lgkmcnt(8)
	v_mfma_f32_16x16x16_bf16 a[0:3], v[26:27], v[20:21], a[0:3]
	s_nop 6
	v_accvgpr_read_b32 v0, a0
	v_accvgpr_read_b32 v1, a1
	;; [unrolled: 1-line block ×4, first 2 shown]
	s_and_saveexec_b64 s[6:7], vcc
	s_cbranch_execz .LBB740_69
; %bb.68:
	v_lshlrev_b32_e32 v16, 8, v6
	v_mov_b32_e32 v17, 0
	v_lshl_add_u64 v[16:17], v[4:5], 0, v[16:17]
	global_load_ushort v15, v[16:17], off
	s_waitcnt vmcnt(0)
	v_lshlrev_b32_e32 v15, 16, v15
	v_sub_f32_e32 v0, v15, v0
	v_mul_f32_e32 v0, v11, v0
	v_lshrrev_b32_e32 v15, 16, v0
.LBB740_69:
	s_or_b64 exec, exec, s[6:7]
	s_and_saveexec_b64 s[6:7], s[0:1]
	s_cbranch_execz .LBB740_71
; %bb.70:
	v_lshlrev_b32_e32 v16, 8, v9
	v_mov_b32_e32 v17, 0
	v_lshl_add_u64 v[16:17], v[4:5], 0, v[16:17]
	global_load_ushort v0, v[16:17], off
	s_waitcnt vmcnt(0)
	v_lshlrev_b32_e32 v0, 16, v0
	v_sub_f32_e32 v0, v0, v1
	v_mul_f32_e32 v0, v7, v0
	v_lshrrev_b32_e32 v14, 16, v0
.LBB740_71:
	s_or_b64 exec, exec, s[6:7]
	v_mov_b32_e32 v0, 0
	v_mov_b32_e32 v1, 0
	s_and_saveexec_b64 s[0:1], s[2:3]
	s_cbranch_execz .LBB740_73
; %bb.72:
	v_lshlrev_b32_e32 v10, 8, v10
	v_mov_b32_e32 v11, 0
	v_lshl_add_u64 v[10:11], v[4:5], 0, v[10:11]
	global_load_ushort v1, v[10:11], off
	s_waitcnt vmcnt(0)
	v_lshlrev_b32_e32 v1, 16, v1
	v_sub_f32_e32 v1, v1, v2
	v_mul_f32_e32 v1, v13, v1
	v_lshrrev_b32_e32 v1, 16, v1
.LBB740_73:
	s_or_b64 exec, exec, s[0:1]
	s_and_saveexec_b64 s[0:1], s[4:5]
	s_cbranch_execz .LBB740_75
; %bb.74:
	v_lshlrev_b32_e32 v10, 8, v12
	v_mov_b32_e32 v11, 0
	v_lshl_add_u64 v[4:5], v[4:5], 0, v[10:11]
	global_load_ushort v0, v[4:5], off
	s_waitcnt vmcnt(0)
	v_lshlrev_b32_e32 v0, 16, v0
	v_sub_f32_e32 v0, v0, v3
	v_mul_f32_e32 v0, v8, v0
	v_lshrrev_b32_e32 v0, 16, v0
.LBB740_75:
	s_or_b64 exec, exec, s[0:1]
	s_mov_b32 s0, 0x5040100
	v_lshlrev_b32_e32 v2, 1, v34
	v_perm_b32 v1, v0, v1, s0
	v_perm_b32 v0, v14, v15, s0
	v_lshl_or_b32 v2, v6, 5, v2
	ds_write_b64 v2, v[0:1] offset:38912
	s_waitcnt lgkmcnt(0)
	s_barrier
.LBB740_76:
	s_endpgm
	.section	.rodata,"a",@progbits
	.p2align	6, 0x0
	.amdhsa_kernel _ZN12_GLOBAL__N_139chunk_gated_delta_rule_fwd_h_hip_kernelILi16ELb1ELb0ELb0ELb1ELb0ELb0ELb1ELb0EEEvPK12hip_bfloat16S3_S3_PKfS5_PKvPS1_S8_PvPKiSB_iiiiilll
		.amdhsa_group_segment_fixed_size 40960
		.amdhsa_private_segment_fixed_size 0
		.amdhsa_kernarg_size 136
		.amdhsa_user_sgpr_count 2
		.amdhsa_user_sgpr_dispatch_ptr 0
		.amdhsa_user_sgpr_queue_ptr 0
		.amdhsa_user_sgpr_kernarg_segment_ptr 1
		.amdhsa_user_sgpr_dispatch_id 0
		.amdhsa_user_sgpr_kernarg_preload_length 0
		.amdhsa_user_sgpr_kernarg_preload_offset 0
		.amdhsa_user_sgpr_private_segment_size 0
		.amdhsa_uses_dynamic_stack 0
		.amdhsa_enable_private_segment 0
		.amdhsa_system_sgpr_workgroup_id_x 1
		.amdhsa_system_sgpr_workgroup_id_y 1
		.amdhsa_system_sgpr_workgroup_id_z 0
		.amdhsa_system_sgpr_workgroup_info 0
		.amdhsa_system_vgpr_workitem_id 0
		.amdhsa_next_free_vgpr 116
		.amdhsa_next_free_sgpr 59
		.amdhsa_accum_offset 108
		.amdhsa_reserve_vcc 1
		.amdhsa_float_round_mode_32 0
		.amdhsa_float_round_mode_16_64 0
		.amdhsa_float_denorm_mode_32 3
		.amdhsa_float_denorm_mode_16_64 3
		.amdhsa_dx10_clamp 1
		.amdhsa_ieee_mode 1
		.amdhsa_fp16_overflow 0
		.amdhsa_tg_split 0
		.amdhsa_exception_fp_ieee_invalid_op 0
		.amdhsa_exception_fp_denorm_src 0
		.amdhsa_exception_fp_ieee_div_zero 0
		.amdhsa_exception_fp_ieee_overflow 0
		.amdhsa_exception_fp_ieee_underflow 0
		.amdhsa_exception_fp_ieee_inexact 0
		.amdhsa_exception_int_div_zero 0
	.end_amdhsa_kernel
	.section	.text._ZN12_GLOBAL__N_139chunk_gated_delta_rule_fwd_h_hip_kernelILi16ELb1ELb0ELb0ELb1ELb0ELb0ELb1ELb0EEEvPK12hip_bfloat16S3_S3_PKfS5_PKvPS1_S8_PvPKiSB_iiiiilll,"axG",@progbits,_ZN12_GLOBAL__N_139chunk_gated_delta_rule_fwd_h_hip_kernelILi16ELb1ELb0ELb0ELb1ELb0ELb0ELb1ELb0EEEvPK12hip_bfloat16S3_S3_PKfS5_PKvPS1_S8_PvPKiSB_iiiiilll,comdat
.Lfunc_end740:
	.size	_ZN12_GLOBAL__N_139chunk_gated_delta_rule_fwd_h_hip_kernelILi16ELb1ELb0ELb0ELb1ELb0ELb0ELb1ELb0EEEvPK12hip_bfloat16S3_S3_PKfS5_PKvPS1_S8_PvPKiSB_iiiiilll, .Lfunc_end740-_ZN12_GLOBAL__N_139chunk_gated_delta_rule_fwd_h_hip_kernelILi16ELb1ELb0ELb0ELb1ELb0ELb0ELb1ELb0EEEvPK12hip_bfloat16S3_S3_PKfS5_PKvPS1_S8_PvPKiSB_iiiiilll
                                        ; -- End function
	.section	.AMDGPU.csdata,"",@progbits
; Kernel info:
; codeLenInByte = 7072
; NumSgprs: 65
; NumVgprs: 106
; NumAgprs: 8
; TotalNumVgprs: 116
; ScratchSize: 0
; MemoryBound: 0
; FloatMode: 240
; IeeeMode: 1
; LDSByteSize: 40960 bytes/workgroup (compile time only)
; SGPRBlocks: 8
; VGPRBlocks: 14
; NumSGPRsForWavesPerEU: 65
; NumVGPRsForWavesPerEU: 116
; AccumOffset: 108
; Occupancy: 1
; WaveLimiterHint : 1
; COMPUTE_PGM_RSRC2:SCRATCH_EN: 0
; COMPUTE_PGM_RSRC2:USER_SGPR: 2
; COMPUTE_PGM_RSRC2:TRAP_HANDLER: 0
; COMPUTE_PGM_RSRC2:TGID_X_EN: 1
; COMPUTE_PGM_RSRC2:TGID_Y_EN: 1
; COMPUTE_PGM_RSRC2:TGID_Z_EN: 0
; COMPUTE_PGM_RSRC2:TIDIG_COMP_CNT: 0
; COMPUTE_PGM_RSRC3_GFX90A:ACCUM_OFFSET: 26
; COMPUTE_PGM_RSRC3_GFX90A:TG_SPLIT: 0
	.section	.text._ZN12_GLOBAL__N_139chunk_gated_delta_rule_fwd_h_hip_kernelILi16ELb0ELb1ELb1ELb1ELb0ELb0ELb1ELb0EEEvPK12hip_bfloat16S3_S3_PKfS5_PKvPS1_S8_PvPKiSB_iiiiilll,"axG",@progbits,_ZN12_GLOBAL__N_139chunk_gated_delta_rule_fwd_h_hip_kernelILi16ELb0ELb1ELb1ELb1ELb0ELb0ELb1ELb0EEEvPK12hip_bfloat16S3_S3_PKfS5_PKvPS1_S8_PvPKiSB_iiiiilll,comdat
	.globl	_ZN12_GLOBAL__N_139chunk_gated_delta_rule_fwd_h_hip_kernelILi16ELb0ELb1ELb1ELb1ELb0ELb0ELb1ELb0EEEvPK12hip_bfloat16S3_S3_PKfS5_PKvPS1_S8_PvPKiSB_iiiiilll ; -- Begin function _ZN12_GLOBAL__N_139chunk_gated_delta_rule_fwd_h_hip_kernelILi16ELb0ELb1ELb1ELb1ELb0ELb0ELb1ELb0EEEvPK12hip_bfloat16S3_S3_PKfS5_PKvPS1_S8_PvPKiSB_iiiiilll
	.p2align	8
	.type	_ZN12_GLOBAL__N_139chunk_gated_delta_rule_fwd_h_hip_kernelILi16ELb0ELb1ELb1ELb1ELb0ELb0ELb1ELb0EEEvPK12hip_bfloat16S3_S3_PKfS5_PKvPS1_S8_PvPKiSB_iiiiilll,@function
_ZN12_GLOBAL__N_139chunk_gated_delta_rule_fwd_h_hip_kernelILi16ELb0ELb1ELb1ELb1ELb0ELb0ELb1ELb0EEEvPK12hip_bfloat16S3_S3_PKfS5_PKvPS1_S8_PvPKiSB_iiiiilll: ; @_ZN12_GLOBAL__N_139chunk_gated_delta_rule_fwd_h_hip_kernelILi16ELb0ELb1ELb1ELb1ELb0ELb0ELb1ELb0EEEvPK12hip_bfloat16S3_S3_PKfS5_PKvPS1_S8_PvPKiSB_iiiiilll
; %bb.0:
	s_load_dwordx4 s[20:23], s[0:1], 0x5c
	s_abs_i32 s27, s3
	s_ashr_i32 s26, s3, 31
	s_load_dwordx2 s[24:25], s[0:1], 0x50
	s_load_dwordx8 s[4:11], s[0:1], 0x30
	s_load_dwordx8 s[12:19], s[0:1], 0x0
	s_waitcnt lgkmcnt(0)
	s_abs_i32 s30, s21
	v_cvt_f32_u32_e32 v1, s30
	s_sub_i32 s28, 0, s30
	s_ashr_i32 s33, s21, 31
	s_xor_b32 s26, s26, s33
	v_rcp_iflag_f32_e32 v1, v1
	v_lshrrev_b32_e32 v48, 6, v0
	v_bfe_u32 v51, v0, 4, 2
	v_lshlrev_b32_e32 v49, 4, v48
	v_mul_f32_e32 v1, 0x4f7ffffe, v1
	v_cvt_u32_f32_e32 v1, v1
	v_lshlrev_b32_e32 v10, 2, v51
	v_and_b32_e32 v50, 63, v0
	v_mov_b32_e32 v9, 0
	v_readfirstlane_b32 s29, v1
	s_mul_i32 s28, s28, s29
	s_mul_hi_u32 s28, s29, s28
	s_add_i32 s29, s29, s28
	s_mul_hi_u32 s28, s27, s29
	s_mul_i32 s29, s28, s30
	s_sub_i32 s27, s27, s29
	s_add_i32 s31, s28, 1
	s_sub_i32 s29, s27, s30
	s_cmp_ge_u32 s27, s30
	s_cselect_b32 s28, s31, s28
	s_cselect_b32 s27, s29, s27
	s_add_i32 s29, s28, 1
	s_cmp_ge_u32 s27, s30
	s_cselect_b32 s27, s29, s28
	s_xor_b32 s27, s27, s26
	s_sub_i32 s34, s27, s26
	s_mul_i32 s26, s34, s21
	s_ashr_i32 s35, s34, 31
	s_sub_i32 s46, s3, s26
	s_lshl_b64 s[26:27], s[34:35], 2
	s_add_u32 s10, s10, s26
	s_addc_u32 s11, s11, s27
	s_add_u32 s28, s24, s26
	s_addc_u32 s29, s25, s27
	s_abs_i32 s3, s22
	v_cvt_f32_u32_e32 v1, s3
	s_load_dwordx2 s[40:41], s[10:11], 0x0
	s_sub_i32 s11, 0, s3
	s_mov_b32 s47, s21
	v_rcp_iflag_f32_e32 v1, v1
	v_and_b32_e32 v52, 15, v0
	s_waitcnt lgkmcnt(0)
	s_sub_i32 s51, s41, s40
	s_ashr_i32 s10, s51, 31
	v_mul_f32_e32 v1, 0x4f7ffffe, v1
	v_cvt_u32_f32_e32 v1, v1
	s_lshr_b32 s10, s10, 26
	s_add_i32 s10, s51, s10
	s_ashr_i32 s52, s10, 6
	v_readfirstlane_b32 s24, v1
	s_mul_i32 s11, s11, s24
	s_mul_hi_u32 s11, s24, s11
	s_add_i32 s24, s24, s11
	s_mul_hi_u32 s11, s30, s24
	s_mul_i32 s24, s11, s3
	s_ashr_i32 s10, s22, 31
	s_sub_i32 s24, s30, s24
	s_xor_b32 s10, s33, s10
	s_add_i32 s25, s11, 1
	s_sub_i32 s26, s24, s3
	s_cmp_ge_u32 s24, s3
	s_cselect_b32 s11, s25, s11
	s_cselect_b32 s24, s26, s24
	s_add_i32 s25, s11, 1
	s_cmp_ge_u32 s24, s3
	s_cselect_b32 s3, s25, s11
	s_xor_b32 s3, s3, s10
	s_sub_i32 s3, s3, s10
	s_abs_i32 s30, s3
	v_cvt_f32_u32_e32 v1, s30
	s_load_dwordx2 s[10:11], s[0:1], 0x80
	s_load_dwordx4 s[24:27], s[0:1], 0x70
	s_load_dword s53, s[28:29], 0x0
	s_xor_b32 s0, s46, s3
	v_rcp_iflag_f32_e32 v1, v1
	s_sub_i32 s3, 0, s30
	s_abs_i32 s1, s46
	s_ashr_i32 s0, s0, 31
	v_mul_f32_e32 v1, 0x4f7ffffe, v1
	v_cvt_u32_f32_e32 v1, v1
	s_mul_hi_i32 s54, s46, s20
	s_mul_i32 s55, s46, s20
	v_lshrrev_b32_e32 v54, 3, v50
	v_readfirstlane_b32 s28, v1
	s_mul_i32 s3, s3, s28
	s_mul_hi_u32 s3, s28, s3
	s_add_i32 s28, s28, s3
	s_mul_hi_u32 s3, s1, s28
	s_mul_i32 s28, s3, s30
	s_sub_i32 s1, s1, s28
	s_add_i32 s28, s3, 1
	s_sub_i32 s29, s1, s30
	s_cmp_ge_u32 s1, s30
	s_cselect_b32 s3, s28, s3
	s_cselect_b32 s1, s29, s1
	s_add_i32 s28, s3, 1
	s_cmp_ge_u32 s1, s30
	s_cselect_b32 s1, s28, s3
	s_xor_b32 s1, s1, s0
	s_sub_i32 s56, s1, s0
	v_or_b32_e32 v1, v10, v49
	s_lshl_b32 s2, s2, 4
	v_or_b32_e32 v55, 64, v1
	s_cmp_lt_i32 s51, 64
	v_lshlrev_b32_e32 v53, 3, v0
	s_waitcnt lgkmcnt(0)
	s_mul_i32 s48, s34, s25
	s_mul_hi_u32 s49, s34, s24
	s_mul_i32 s50, s35, s24
	s_mul_i32 s42, s34, s24
	v_mov_b32_e32 v8, v9
	v_mov_b32_e32 v7, v9
	;; [unrolled: 1-line block ×7, first 2 shown]
	s_cbranch_scc1 .LBB741_18
; %bb.1:
	s_ashr_i32 s58, s46, 31
	s_ashr_i32 s1, s40, 31
	s_add_u32 s0, s55, s40
	s_addc_u32 s1, s54, s1
	s_lshl_b64 s[0:1], s[0:1], 8
	v_and_b32_e32 v57, 56, v53
	s_add_u32 s28, s14, s0
	v_lshl_or_b32 v56, v48, 3, v54
	v_lshlrev_b32_e32 v3, 1, v57
	s_addc_u32 s0, s15, s1
	v_lshl_or_b32 v58, v56, 8, v3
	s_and_b32 s29, s0, 0xffff
	s_mov_b32 s31, 0x20000
	s_movk_i32 s30, 0x4000
	s_movk_i32 s0, 0x80
	v_or_b32_e32 v59, 0x2000, v58
	buffer_load_dwordx4 v[4:7], v58, s[28:31], 0 offen
	buffer_load_dwordx4 v[12:15], v58, s[28:31], s0 offen
	;; [unrolled: 1-line block ×4, first 2 shown]
	v_lshlrev_b32_e32 v2, 3, v56
	v_and_or_b32 v9, v0, 7, v2
	v_and_b32_e32 v2, 0x78, v2
	v_lshlrev_b32_e32 v9, 4, v9
	v_xor_b32_e32 v60, v9, v2
	v_mul_lo_u32 v8, v56, s23
	v_or_b32_e32 v61, 0x1000, v60
	v_xor_b32_e32 v2, 8, v60
	s_cmpk_eq_i32 s23, 0x80
	s_mov_b32 s57, s40
	v_xor_b32_e32 v9, 8, v61
	s_cselect_b64 s[0:1], -1, 0
	s_cmpk_lg_i32 s23, 0x80
	s_waitcnt vmcnt(3)
	ds_write_b64 v60, v[4:5] offset:16384
	ds_write_b64 v2, v[6:7] offset:16384
	s_waitcnt vmcnt(2)
	ds_write_b64 v60, v[12:13] offset:24576
	ds_write_b64 v2, v[14:15] offset:24576
	;; [unrolled: 3-line block ×4, first 2 shown]
	v_lshl_add_u32 v2, v8, 1, v57
	s_cbranch_scc0 .LBB741_3
; %bb.2:
	v_lshlrev_b32_e32 v6, 1, v2
	v_add_lshl_u32 v5, v2, s23, 1
	s_lshl_b32 s30, s23, 7
	v_lshl_or_b32 v4, v56, 9, v3
	s_cbranch_execz .LBB741_4
	s_branch .LBB741_5
.LBB741_3:
                                        ; implicit-def: $vgpr5
                                        ; implicit-def: $vgpr6
                                        ; implicit-def: $sgpr30
	v_lshl_or_b32 v4, v56, 9, v3
.LBB741_4:
	v_or_b32_e32 v5, 0x100, v4
	s_movk_i32 s30, 0x4000
	v_mov_b32_e32 v6, v4
.LBB741_5:
	s_mul_i32 s24, s40, s22
	s_ashr_i32 s59, s56, 31
	s_mul_hi_i32 s3, s40, s22
	s_add_u32 s24, s24, s56
	s_addc_u32 s25, s3, s59
	s_lshl_b64 s[24:25], s[24:25], 8
	s_add_u32 s28, s12, s24
	s_addc_u32 s3, s13, s25
	s_and_b32 s29, s3, 0xffff
	s_movk_i32 s60, 0x80
	buffer_load_dwordx4 v[12:15], v6, s[28:31], 0 offen
	s_nop 0
	buffer_load_dwordx4 v[6:9], v6, s[28:31], s60 offen
	s_nop 0
	buffer_load_dwordx4 v[16:19], v5, s[28:31], 0 offen
	buffer_load_dwordx4 v[20:23], v5, s[28:31], s60 offen
	v_and_b32_e32 v3, 6, v0
	v_lshlrev_b32_e32 v11, 2, v52
	v_lshlrev_b32_e32 v24, 3, v52
	v_xor_b32_e32 v26, v56, v3
	v_and_b32_e32 v5, 1, v0
	v_lshl_or_b32 v24, v1, 5, v24
	v_xor_b32_e32 v27, v1, v11
	v_lshlrev_b32_e32 v26, 2, v26
	s_mul_i32 s3, s46, s27
	s_mul_hi_u32 s25, s46, s26
	v_or_b32_e32 v62, 0x9000, v24
	v_or_b32_e32 v63, 0x9800, v24
	v_lshlrev_b32_e32 v24, 1, v27
	v_xor_b32_e32 v27, 0x440, v26
	v_cmp_eq_u32_e32 vcc, 0, v5
	s_add_i32 s29, s49, s48
	s_mul_i32 s28, s58, s26
	v_cndmask_b32_e32 v5, v27, v26, vcc
	s_add_i32 s3, s25, s3
	s_add_i32 s43, s29, s50
	s_mov_b32 s61, 0x1000504
	v_lshlrev_b32_e32 v25, 8, v52
	s_mov_b32 s30, 0x8000
	v_xor_b32_e32 v11, v55, v11
	v_lshl_or_b32 v3, v3, 10, v5
	s_add_i32 s25, s3, s28
	s_lshl_b64 s[28:29], s[42:43], 2
	s_mov_b32 s62, 0x3020706
	s_mul_i32 s24, s46, s26
	v_lshlrev_b32_e32 v11, 1, v11
	v_or3_b32 v64, v24, v25, s30
	v_xor_b32_e32 v5, 8, v3
	v_xor_b32_e32 v24, 24, v3
	;; [unrolled: 1-line block ×4, first 2 shown]
	s_add_u32 s3, s18, s28
	v_or3_b32 v65, v11, v25, s30
	v_xor_b32_e32 v11, 16, v3
	v_xor_b32_e32 v25, 32, v3
	;; [unrolled: 1-line block ×3, first 2 shown]
	v_add_u32_e32 v5, 0x80, v5
	v_add_u32_e32 v24, 0x80, v24
	v_add_u32_e32 v26, 0x80, v26
	v_add_u32_e32 v28, 0x80, v28
	s_addc_u32 s28, s19, s29
	s_lshl_b64 s[24:25], s[24:25], 2
	s_add_u32 s24, s3, s24
	s_movk_i32 s3, 0xf8
	s_addc_u32 s25, s28, s25
	s_lshl_b32 s38, s23, 7
	s_mov_b32 s63, 0
	v_add_u32_e32 v80, v49, v10
	v_mov_b32_e32 v81, 0x3fb8aa3b
	s_waitcnt vmcnt(1)
	v_perm_b32 v29, v12, v16, s61
	s_waitcnt vmcnt(0)
	v_perm_b32 v30, v6, v20, s61
	v_perm_b32 v12, v12, v16, s62
	;; [unrolled: 1-line block ×15, first 2 shown]
	ds_write2st64_b32 v3, v29, v30 offset1:32
	ds_write2st64_b32 v5, v12, v6 offset1:32
	ds_write2st64_b32 v11, v16, v20 offset0:1 offset1:33
	ds_write2st64_b32 v24, v13, v7 offset0:1 offset1:33
	;; [unrolled: 1-line block ×6, first 2 shown]
	v_or_b32_e32 v3, v49, v52
	v_lshlrev_b32_e32 v3, 3, v3
	v_lshrrev_b32_e32 v7, 5, v50
	v_and_or_b32 v7, v3, s3, v7
	v_lshlrev_b32_e32 v7, 4, v7
	v_lshlrev_b32_e32 v5, 11, v48
	v_and_b32_e32 v3, 0x78, v3
	v_or_b32_e32 v12, 32, v7
	v_and_b32_e32 v6, 0x1000, v5
	v_lshrrev_b32_e32 v11, 1, v0
	v_xor_b32_e32 v12, v12, v3
	v_and_b32_e32 v9, 8, v11
	v_or_b32_e32 v12, v12, v6
	v_xor_b32_e32 v8, v7, v3
	v_xor_b32_e32 v68, v12, v9
	v_or_b32_e32 v12, 64, v7
	v_or_b32_e32 v7, 0x60, v7
	v_xor_b32_e32 v12, v12, v3
	v_xor_b32_e32 v3, v7, v3
	v_or_b32_e32 v3, v3, v6
	v_or_b32_e32 v12, v12, v6
	v_xor_b32_e32 v70, v3, v9
	v_lshlrev_b32_e32 v14, 1, v2
	v_add_lshl_u32 v15, v2, s23, 1
	v_lshrrev_b32_e32 v2, 4, v0
	v_lshlrev_b32_e32 v3, 1, v52
	v_xor_b32_e32 v69, v12, v9
	s_ashr_i32 s3, s2, 31
	v_or_b32_e32 v12, 1, v3
	v_xor_b32_e32 v3, v2, v3
	s_lshl_b64 s[28:29], s[2:3], 8
	v_xor_b32_e32 v12, v12, v2
	v_lshlrev_b32_e32 v3, 3, v3
	v_lshlrev_b32_e32 v2, 8, v2
	s_add_u32 s28, s4, s28
	v_or3_b32 v72, v3, v2, s30
	v_lshlrev_b32_e32 v3, 3, v12
	s_addc_u32 s29, s5, s29
	v_or3_b32 v73, v3, v2, s30
	v_mov_b32_e32 v3, 0
	v_lshl_add_u64 v[12:13], s[28:29], 0, v[2:3]
	v_lshlrev_b32_e32 v2, 4, v52
	s_movk_i32 s3, 0xff
	v_lshlrev_b32_e32 v18, 3, v48
	v_and_b32_e32 v11, 24, v11
	v_lshl_add_u64 v[42:43], v[12:13], 0, v[2:3]
	v_and_b32_e32 v12, 8, v0
	v_cmp_lt_u32_e32 vcc, s3, v0
	v_xor_b32_e32 v19, v18, v11
	v_or_b32_e32 v20, 0x440, v19
	v_cndmask_b32_e64 v17, 0, 1, vcc
	v_cmp_eq_u32_e32 vcc, 0, v12
	v_and_b32_e32 v2, 7, v0
	v_lshlrev_b32_e32 v13, 3, v2
	v_cndmask_b32_e32 v12, v20, v19, vcc
	v_lshlrev_b32_e32 v2, 7, v2
	v_or_b32_e32 v12, v12, v5
	v_xad_u32 v74, v12, v13, v2
	v_or_b32_e32 v12, 32, v11
	v_xor_b32_e32 v12, v18, v12
	v_or_b32_e32 v19, 0x440, v12
	v_cndmask_b32_e32 v12, v19, v12, vcc
	v_or_b32_e32 v12, v12, v5
	v_xad_u32 v75, v12, v13, v2
	v_or_b32_e32 v12, 64, v11
	v_xor_b32_e32 v12, v18, v12
	v_xor_b32_e32 v19, 0x440, v12
	v_cndmask_b32_e32 v12, v19, v12, vcc
	v_or_b32_e32 v11, 0x60, v11
	v_or_b32_e32 v12, v12, v5
	v_xor_b32_e32 v11, v18, v11
	v_or_b32_e32 v8, v8, v6
	v_or_b32_e32 v6, s2, v52
	v_xad_u32 v76, v12, v13, v2
	v_xor_b32_e32 v12, 0x440, v11
	v_xor_b32_e32 v66, v8, v9
	v_and_b32_e32 v8, 0x78, v53
	v_ashrrev_i32_e32 v7, 31, v6
	v_cndmask_b32_e32 v11, v12, v11, vcc
	v_lshl_or_b32 v8, v51, 7, v8
	v_lshlrev_b64 v[6:7], 1, v[6:7]
	v_or_b32_e32 v5, v11, v5
	v_or_b32_e32 v67, 0x9000, v8
	;; [unrolled: 1-line block ×3, first 2 shown]
	v_lshl_add_u64 v[8:9], s[16:17], 0, v[6:7]
	v_lshl_add_u64 v[6:7], s[6:7], 0, v[6:7]
	v_or_b32_e32 v16, 0x100, v4
	v_lshlrev_b32_e32 v17, 13, v17
	v_xad_u32 v77, v5, v13, v2
	v_lshlrev_b32_e32 v2, 8, v1
	v_cndmask_b32_e64 v78, v14, v4, s[0:1]
	v_cndmask_b32_e64 v79, v15, v16, s[0:1]
	v_lshl_add_u64 v[44:45], v[8:9], 0, v[2:3]
	v_lshl_add_u64 v[46:47], v[6:7], 0, v[2:3]
	s_mov_b32 s3, 0x7060302
	s_movk_i32 s30, 0x4000
	v_add_u32_e32 v82, v17, v74
	v_add_u32_e32 v83, v17, v75
	;; [unrolled: 1-line block ×4, first 2 shown]
	v_mov_b32_e32 v2, v3
	v_mov_b32_e32 v4, v3
	;; [unrolled: 1-line block ×7, first 2 shown]
	s_waitcnt lgkmcnt(0)
	s_barrier
.LBB741_6:                              ; =>This Inner Loop Header: Depth=1
	s_add_i32 s43, s63, 1
	s_cmp_lt_i32 s43, s52
	s_mov_b64 s[36:37], 0
	s_cselect_b64 s[44:45], -1, 0
	s_cmp_ge_i32 s43, s52
	s_mov_b64 s[28:29], 0
	s_cbranch_scc1 .LBB741_8
; %bb.7:                                ;   in Loop: Header=BB741_6 Depth=1
	s_add_i32 s0, s57, 64
	s_ashr_i32 s1, s0, 31
	s_add_u32 s0, s55, s0
	s_addc_u32 s1, s54, s1
	s_lshl_b64 s[0:1], s[0:1], 8
	s_add_u32 s28, s14, s0
	s_addc_u32 s29, s15, s1
.LBB741_8:                              ;   in Loop: Header=BB741_6 Depth=1
	v_cndmask_b32_e64 v5, 0, 1, s[44:45]
	v_cmp_ne_u32_e64 s[0:1], 1, v5
	s_andn2_b64 vcc, exec, s[44:45]
	s_cbranch_vccnz .LBB741_10
; %bb.9:                                ;   in Loop: Header=BB741_6 Depth=1
	s_add_i32 s36, s57, 64
	s_mul_hi_i32 s37, s36, s22
	s_mul_i32 s36, s36, s22
	s_add_u32 s36, s36, s56
	s_addc_u32 s37, s37, s59
	s_lshl_b64 s[36:37], s[36:37], 8
	s_add_u32 s36, s12, s36
	s_addc_u32 s37, s13, s37
.LBB741_10:                             ;   in Loop: Header=BB741_6 Depth=1
	v_perm_b32 v11, v87, v4, s3
	v_perm_b32 v10, v3, v2, s3
	;; [unrolled: 1-line block ×4, first 2 shown]
	ds_write_b64 v62, v[10:11]
	ds_write_b64 v63, v[12:13]
	;; [unrolled: 1-line block ×4, first 2 shown]
	s_waitcnt lgkmcnt(0)
	s_barrier
	ds_read_b64 v[18:19], v66 offset:16384
	ds_read_b64 v[20:21], v68 offset:16384
	ds_read2st64_b64 v[10:13], v67 offset1:1
	s_waitcnt lgkmcnt(0)
	v_mfma_f32_16x16x16_bf16 a[0:3], v[18:19], v[10:11], 0
	ds_read2st64_b64 v[14:17], v67 offset0:2 offset1:3
	ds_read_b64 v[22:23], v69 offset:16384
	ds_read_b64 v[10:11], v70 offset:16384
	s_add_i32 s39, s57, 63
	v_mfma_f32_16x16x16_bf16 a[0:3], v[20:21], v[12:13], a[0:3]
	s_ashr_i32 s44, s39, 31
	s_mul_i32 s45, s39, s11
	s_mul_hi_u32 s64, s39, s10
	s_waitcnt lgkmcnt(1)
	v_mfma_f32_16x16x16_bf16 a[0:3], v[22:23], v[14:15], a[0:3]
	s_add_i32 s45, s64, s45
	s_mul_i32 s44, s44, s10
	s_add_i32 s45, s45, s44
	s_mul_i32 s44, s39, s10
	s_waitcnt lgkmcnt(0)
	v_mfma_f32_16x16x16_bf16 a[0:3], v[10:11], v[16:17], a[0:3]
	s_lshl_b64 s[44:45], s[44:45], 2
	s_add_u32 s44, s24, s44
	s_addc_u32 s45, s25, s45
	s_and_b64 vcc, exec, s[0:1]
	v_mov_b32_e32 v88, 0
	v_mov_b32_e32 v9, 0
	;; [unrolled: 1-line block ×19, first 2 shown]
	s_cbranch_vccnz .LBB741_12
; %bb.11:                               ;   in Loop: Header=BB741_6 Depth=1
	s_and_b32 s29, s29, 0xffff
	buffer_load_dwordx4 v[22:25], v58, s[28:31], 0 offen
	buffer_load_dwordx4 v[18:21], v58, s[28:31], s60 offen
	;; [unrolled: 1-line block ×4, first 2 shown]
	v_mov_b32_e32 v9, v60
	v_mov_b32_e32 v5, v61
.LBB741_12:                             ;   in Loop: Header=BB741_6 Depth=1
	s_waitcnt vmcnt(3)
	v_add_u32_e32 v30, s57, v80
	s_waitcnt vmcnt(1)
	v_ashrrev_i32_e32 v26, 31, v30
	v_mul_lo_u32 v28, v26, s10
	v_mul_lo_u32 v29, v30, s11
	v_mad_u64_u32 v[26:27], s[28:29], v30, s10, 0
	v_add3_u32 v27, v27, v29, v28
	v_lshl_add_u64 v[26:27], v[26:27], 2, s[24:25]
	global_load_dword v90, v[26:27], off
	v_add_u32_e32 v26, 1, v30
	v_ashrrev_i32_e32 v27, 31, v26
	v_mul_lo_u32 v28, v27, s10
	v_mul_lo_u32 v29, v26, s11
	v_mad_u64_u32 v[26:27], s[28:29], v26, s10, 0
	v_add3_u32 v27, v27, v29, v28
	v_add_u32_e32 v28, 2, v30
	v_ashrrev_i32_e32 v29, 31, v28
	v_mul_lo_u32 v31, v29, s10
	v_mul_lo_u32 v32, v28, s11
	v_mad_u64_u32 v[28:29], s[28:29], v28, s10, 0
	v_add_u32_e32 v30, 3, v30
	v_add3_u32 v29, v29, v32, v31
	v_ashrrev_i32_e32 v31, 31, v30
	v_mul_lo_u32 v34, v31, s10
	v_mul_lo_u32 v35, v30, s11
	v_mad_u64_u32 v[30:31], s[28:29], v30, s10, 0
	s_ashr_i32 s29, s57, 31
	s_add_u32 s28, s55, s57
	s_addc_u32 s29, s54, s29
	s_lshl_b64 s[64:65], s[28:29], 8
	v_lshl_add_u64 v[26:27], v[26:27], 2, s[24:25]
	v_lshl_add_u64 v[32:33], v[44:45], 0, s[64:65]
	v_add3_u32 v31, v31, v35, v34
	v_lshl_add_u64 v[28:29], v[28:29], 2, s[24:25]
	global_load_ushort v91, v[32:33], off
	global_load_ushort v92, v[32:33], off offset:256
	global_load_ushort v93, v[32:33], off offset:512
	;; [unrolled: 1-line block ×3, first 2 shown]
	v_lshl_add_u64 v[30:31], v[30:31], 2, s[24:25]
	global_load_dword v95, v[26:27], off
	global_load_dword v96, v[28:29], off
	;; [unrolled: 1-line block ×3, first 2 shown]
	ds_read_b64 v[30:31], v66 offset:24576
	ds_read_b64 v[36:37], v68 offset:24576
	ds_read2st64_b64 v[26:29], v71 offset1:1
	s_waitcnt lgkmcnt(0)
	v_mfma_f32_16x16x16_bf16 a[0:3], v[30:31], v[26:27], a[0:3]
	s_load_dword s28, s[44:45], 0x0
	ds_read2st64_b64 v[32:35], v71 offset0:2 offset1:3
	ds_read_b64 v[38:39], v69 offset:24576
	ds_read_b64 v[40:41], v70 offset:24576
	v_mov_b32_e32 v89, 0
	v_mfma_f32_16x16x16_bf16 a[0:3], v[36:37], v[28:29], a[0:3]
	v_mov_b32_e32 v26, 0
	v_mov_b32_e32 v27, 0
	;; [unrolled: 1-line block ×3, first 2 shown]
	s_waitcnt lgkmcnt(0)
	v_mfma_f32_16x16x16_bf16 a[0:3], v[38:39], v[32:33], a[0:3]
	v_lshl_add_u64 v[32:33], v[46:47], 0, s[64:65]
	v_mov_b32_e32 v29, 0
	v_mov_b32_e32 v30, 0
	v_mfma_f32_16x16x16_bf16 a[0:3], v[40:41], v[34:35], a[0:3]
	v_mov_b32_e32 v31, 0
	s_and_b64 vcc, exec, s[0:1]
	s_waitcnt vmcnt(7)
	v_sub_f32_e32 v90, s28, v90
	s_nop 2
	v_accvgpr_read_b32 v37, a1
	v_accvgpr_read_b32 v35, a3
	v_accvgpr_read_b32 v34, a2
	v_accvgpr_read_b32 v36, a0
	v_mul_f32_e32 v90, 0x3fb8aa3b, v90
	s_waitcnt vmcnt(6)
	v_lshlrev_b32_e32 v38, 16, v91
	s_waitcnt vmcnt(5)
	v_lshlrev_b32_e32 v39, 16, v92
	s_waitcnt vmcnt(4)
	v_lshlrev_b32_e32 v40, 16, v93
	s_waitcnt vmcnt(3)
	v_lshlrev_b32_e32 v41, 16, v94
	s_waitcnt vmcnt(2)
	v_sub_f32_e32 v91, s28, v95
	s_waitcnt vmcnt(1)
	v_sub_f32_e32 v92, s28, v96
	s_waitcnt vmcnt(0)
	v_sub_f32_e32 v93, s28, v97
	v_pk_add_f32 v[36:37], v[38:39], v[36:37] neg_lo:[0,1] neg_hi:[0,1]
	v_pk_add_f32 v[34:35], v[40:41], v[34:35] neg_lo:[0,1] neg_hi:[0,1]
	v_mul_f32_e32 v39, 0x3fb8aa3b, v91
	v_mul_f32_e32 v40, 0x3fb8aa3b, v92
	;; [unrolled: 1-line block ×3, first 2 shown]
	v_exp_f32_e32 v38, v90
	v_exp_f32_e32 v39, v39
	v_exp_f32_e32 v40, v40
	v_exp_f32_e32 v41, v41
	global_store_short_d16_hi v[32:33], v36, off
	global_store_short_d16_hi v[32:33], v37, off offset:256
	global_store_short_d16_hi v[32:33], v34, off offset:512
	;; [unrolled: 1-line block ×3, first 2 shown]
	v_pk_mul_f32 v[32:33], v[38:39], v[36:37]
	v_pk_mul_f32 v[34:35], v[40:41], v[34:35]
	v_perm_b32 v32, v33, v32, s3
	v_perm_b32 v33, v35, v34, s3
	ds_write_b64 v63, v[32:33]
	v_mov_b32_e32 v32, 0
	v_mov_b32_e32 v33, 0
	;; [unrolled: 1-line block ×10, first 2 shown]
	s_cbranch_vccnz .LBB741_14
; %bb.13:                               ;   in Loop: Header=BB741_6 Depth=1
	s_and_b32 s37, s37, 0xffff
	s_mov_b32 s39, s31
	buffer_load_dwordx4 v[38:41], v78, s[36:39], 0 offen
	buffer_load_dwordx4 v[30:33], v78, s[36:39], s60 offen
	;; [unrolled: 1-line block ×4, first 2 shown]
	v_mov_b32_e32 v88, v57
	v_mov_b32_e32 v89, v56
.LBB741_14:                             ;   in Loop: Header=BB741_6 Depth=1
	s_waitcnt lgkmcnt(0)
	s_barrier
	ds_read_b64 v[98:99], v82
	ds_read2st64_b64 v[90:93], v71 offset1:1
	ds_read2st64_b64 v[94:97], v71 offset0:2 offset1:3
	ds_read_b64 v[100:101], v83
	ds_read_b64 v[102:103], v84
	;; [unrolled: 1-line block ×3, first 2 shown]
	s_waitcnt lgkmcnt(4)
	v_mfma_f32_16x16x16_bf16 a[0:3], v[98:99], v[90:91], 0
	ds_read_b64 v[98:99], v74 offset:8192
	ds_read_b64 v[106:107], v75 offset:8192
	s_add_i32 s29, s53, s63
	s_mul_hi_i32 s37, s29, s47
	s_waitcnt lgkmcnt(1)
	v_mfma_f32_16x16x16_bf16 a[4:7], v[98:99], v[90:91], 0
	s_mul_i32 s29, s29, s47
	s_add_u32 s36, s29, s46
	s_addc_u32 s37, s37, s58
	v_mfma_f32_16x16x16_bf16 a[0:3], v[100:101], v[92:93], a[0:3]
	ds_read_b64 v[98:99], v72
	ds_read_b64 v[100:101], v73
	ds_read_b64 v[90:91], v76 offset:8192
	s_lshl_b64 s[36:37], s[36:37], 15
	v_mfma_f32_16x16x16_bf16 a[0:3], v[102:103], v[94:95], a[0:3]
	ds_read_b64 v[102:103], v77 offset:8192
	s_and_b64 vcc, exec, s[0:1]
	s_waitcnt lgkmcnt(4)
	v_mfma_f32_16x16x16_bf16 a[4:7], v[106:107], v[92:93], a[4:7]
	s_waitcnt lgkmcnt(1)
	v_mfma_f32_16x16x16_bf16 a[4:7], v[90:91], v[94:95], a[4:7]
	v_lshl_add_u64 v[90:91], v[42:43], 0, s[36:37]
	global_store_dwordx4 v[90:91], v[98:101], off
	v_mfma_f32_16x16x16_bf16 a[0:3], v[104:105], v[96:97], a[0:3]
	s_waitcnt lgkmcnt(0)
	v_mfma_f32_16x16x16_bf16 a[4:7], v[102:103], v[96:97], a[4:7]
	s_cbranch_vccnz .LBB741_16
; %bb.15:                               ;   in Loop: Header=BB741_6 Depth=1
	v_lshrrev_b32_e32 v90, 3, v88
	v_and_b32_e32 v90, 6, v90
	v_xor_b32_e32 v89, v90, v89
	v_lshlrev_b32_e32 v89, 2, v89
	v_and_b32_e32 v88, 8, v88
	v_xor_b32_e32 v91, 0x440, v89
	v_cmp_eq_u32_e32 vcc, 0, v88
	s_barrier
	s_nop 0
	v_cndmask_b32_e32 v88, v91, v89, vcc
	v_lshl_or_b32 v88, v90, 10, v88
	s_waitcnt vmcnt(2)
	v_perm_b32 v89, v38, v34, s61
	s_waitcnt vmcnt(1)
	v_perm_b32 v90, v30, v26, s61
	ds_write2st64_b32 v88, v89, v90 offset1:32
	v_xor_b32_e32 v89, 8, v88
	v_perm_b32 v34, v38, v34, s62
	v_perm_b32 v26, v30, v26, s62
	v_add_u32_e32 v30, 0x80, v89
	ds_write2st64_b32 v30, v34, v26 offset1:32
	v_xor_b32_e32 v26, 16, v88
	v_perm_b32 v30, v39, v35, s61
	v_perm_b32 v34, v31, v27, s61
	ds_write2st64_b32 v26, v30, v34 offset0:1 offset1:33
	v_xor_b32_e32 v26, 24, v88
	v_perm_b32 v30, v39, v35, s62
	v_perm_b32 v27, v31, v27, s62
	v_add_u32_e32 v26, 0x80, v26
	ds_write2st64_b32 v26, v30, v27 offset0:1 offset1:33
	v_xor_b32_e32 v26, 32, v88
	v_perm_b32 v27, v40, v36, s61
	v_perm_b32 v30, v32, v28, s61
	ds_write2st64_b32 v26, v27, v30 offset0:2 offset1:34
	v_xor_b32_e32 v26, 40, v88
	v_perm_b32 v27, v40, v36, s62
	v_perm_b32 v28, v32, v28, s62
	v_add_u32_e32 v26, 0x80, v26
	ds_write2st64_b32 v26, v27, v28 offset0:2 offset1:34
	;; [unrolled: 9-line block ×3, first 2 shown]
	ds_write_b64 v9, v[22:23] offset:16384
	v_xor_b32_e32 v22, 8, v9
	ds_write_b64 v22, v[24:25] offset:16384
	ds_write_b64 v9, v[18:19] offset:24576
	;; [unrolled: 1-line block ×4, first 2 shown]
	v_xor_b32_e32 v9, 8, v5
	ds_write_b64 v9, v[16:17] offset:16384
	ds_write_b64 v5, v[10:11] offset:24576
	;; [unrolled: 1-line block ×3, first 2 shown]
.LBB741_16:                             ;   in Loop: Header=BB741_6 Depth=1
	v_mul_f32_e32 v5, s28, v81
	v_exp_f32_e32 v10, v5
	s_nop 1
	v_accvgpr_read_b32 v9, a1
	v_accvgpr_read_b32 v5, a0
	s_add_i32 s57, s57, 64
	v_fma_f32 v3, v3, v10, v9
	v_accvgpr_read_b32 v9, a4
	v_fma_f32 v6, v6, v10, v9
	v_accvgpr_read_b32 v9, a5
	;; [unrolled: 2-line block ×6, first 2 shown]
	v_fmac_f32_e32 v5, v87, v10
	s_cmp_eq_u32 s52, s43
	v_fmac_f32_e32 v9, v86, v10
	s_cbranch_scc1 .LBB741_18
; %bb.17:                               ;   in Loop: Header=BB741_6 Depth=1
	s_mov_b32 s63, s43
	v_mov_b32_e32 v87, v5
	v_mov_b32_e32 v86, v9
	s_branch .LBB741_6
.LBB741_18:
	s_lshl_b32 s3, s52, 6
	s_sub_i32 s51, s51, s3
	s_cmp_gt_i32 s51, 0
	s_waitcnt vmcnt(2)
	v_or_b32_e32 v34, s2, v52
	s_cbranch_scc1 .LBB741_20
; %bb.19:
	s_ashr_i32 s25, s46, 31
	v_or_b32_e32 v10, s2, v52
	s_cbranch_execz .LBB741_21
	s_branch .LBB741_77
.LBB741_20:
                                        ; implicit-def: $vgpr10
                                        ; implicit-def: $sgpr24_sgpr25
.LBB741_21:
	s_add_i32 s24, s3, s40
	s_ashr_i32 s3, s24, 31
	s_cmpk_lg_i32 s23, 0x80
	s_cselect_b64 s[38:39], -1, 0
	s_and_b64 vcc, exec, s[38:39]
	s_cbranch_vccz .LBB741_23
; %bb.22:
	s_mul_hi_i32 s0, s24, s22
	s_mul_i32 s1, s24, s22
	s_ashr_i32 s22, s56, 31
	s_add_u32 s44, s1, s56
	s_addc_u32 s45, s0, s22
	s_cbranch_execz .LBB741_24
	s_branch .LBB741_25
.LBB741_23:
                                        ; implicit-def: $sgpr44_sgpr45
.LBB741_24:
	s_mul_i32 s1, s56, s20
	s_mul_hi_i32 s0, s56, s20
	s_add_u32 s44, s1, s24
	s_addc_u32 s45, s0, s3
.LBB741_25:
	s_add_i32 s20, s52, s53
	s_ashr_i32 s25, s46, 31
	s_add_u32 s0, s55, s24
	s_addc_u32 s1, s54, s3
	s_mov_b32 s3, 0x7060302
	v_lshlrev_b32_e32 v14, 3, v52
	s_lshl_b64 s[36:37], s[0:1], 8
	v_perm_b32 v11, v5, v4, s3
	v_perm_b32 v10, v3, v2, s3
	;; [unrolled: 1-line block ×4, first 2 shown]
	v_lshlrev_b32_e32 v44, 2, v52
	v_lshl_or_b32 v14, v1, 5, v14
	s_add_u32 s0, s14, s36
	ds_write2st64_b64 v14, v[10:11], v[12:13] offset0:72 offset1:76
	v_xor_b32_e32 v14, v1, v44
	v_lshlrev_b32_e32 v15, 8, v52
	s_addc_u32 s1, s15, s37
	v_lshl_or_b32 v14, v14, 1, v15
	s_mul_hi_i32 s3, s20, s21
	s_mul_i32 s20, s20, s21
	ds_write_b64 v14, v[10:11] offset:32768
	v_xor_b32_e32 v10, v55, v44
	s_add_u32 s14, s20, s46
	v_lshl_or_b32 v10, v10, 1, v15
	s_addc_u32 s15, s3, s25
	v_lshlrev_b32_e32 v11, 1, v52
	ds_write_b64 v10, v[12:13] offset:32768
	v_lshrrev_b32_e32 v10, 4, v0
	s_ashr_i32 s3, s2, 31
	s_lshl_b64 s[14:15], s[14:15], 15
	v_or_b32_e32 v12, 1, v11
	s_add_u32 s4, s4, s14
	v_xor_b32_e32 v11, v10, v11
	v_xor_b32_e32 v12, v12, v10
	v_lshlrev_b32_e32 v14, 8, v10
	s_addc_u32 s5, s5, s15
	s_lshl_b64 s[2:3], s[2:3], 8
	v_lshl_or_b32 v10, v11, 3, v14
	v_lshl_or_b32 v12, v12, 3, v14
	s_waitcnt lgkmcnt(0)
	s_barrier
	s_add_u32 s2, s4, s2
	ds_read_b64 v[10:11], v10 offset:32768
	ds_read_b64 v[12:13], v12 offset:32768
	s_addc_u32 s3, s5, s3
	v_mov_b32_e32 v15, 0
	s_cmp_lg_u32 s51, 64
	v_lshl_add_u64 v[16:17], s[2:3], 0, v[14:15]
	v_lshlrev_b32_e32 v14, 4, v52
	s_cselect_b64 s[4:5], -1, 0
	v_lshl_or_b32 v35, v48, 3, v54
	s_mov_b32 s28, 0
	v_lshl_add_u64 v[14:15], v[16:17], 0, v[14:15]
	s_waitcnt vmcnt(1)
	v_or_b32_e32 v27, 32, v35
	v_and_b32_e32 v26, 56, v53
	s_and_b64 vcc, exec, s[4:5]
	s_waitcnt lgkmcnt(0)
	global_store_dwordx4 v[14:15], v[10:13], off
	s_cbranch_vccz .LBB741_31
; %bb.26:
	s_mov_b32 s29, s28
	s_mov_b32 s30, s28
	;; [unrolled: 1-line block ×3, first 2 shown]
	v_mov_b64_e32 v[14:15], s[28:29]
	v_mov_b64_e32 v[16:17], s[30:31]
	;; [unrolled: 1-line block ×3, first 2 shown]
	v_cmp_gt_i32_e32 vcc, s51, v35
	v_mov_b64_e32 v[12:13], v[16:17]
	s_and_saveexec_b64 s[2:3], vcc
	s_cbranch_execz .LBB741_28
; %bb.27:
	v_lshlrev_b32_e32 v10, 8, v35
	v_mov_b32_e32 v11, 0
	v_lshl_add_u64 v[12:13], s[0:1], 0, v[10:11]
	v_lshlrev_b32_e32 v10, 1, v26
	v_lshl_add_u64 v[18:19], v[12:13], 0, v[10:11]
	global_load_dwordx4 v[14:17], v[18:19], off
	global_load_dwordx4 v[10:13], v[18:19], off offset:128
.LBB741_28:
	s_or_b64 exec, exec, s[2:3]
	s_mov_b32 s29, s28
	s_mov_b32 s30, s28
	;; [unrolled: 1-line block ×3, first 2 shown]
	v_mov_b64_e32 v[22:23], s[28:29]
	v_mov_b64_e32 v[24:25], s[30:31]
	v_mov_b64_e32 v[18:19], v[22:23]
	v_cmp_gt_i32_e32 vcc, s51, v27
	v_lshlrev_b32_e32 v28, 7, v27
	v_mov_b64_e32 v[20:21], v[24:25]
	s_and_saveexec_b64 s[2:3], vcc
	s_cbranch_execz .LBB741_30
; %bb.29:
	v_lshlrev_b32_e32 v18, 1, v28
	v_mov_b32_e32 v19, 0
	v_lshl_add_u64 v[20:21], s[0:1], 0, v[18:19]
	v_lshlrev_b32_e32 v18, 1, v26
	v_lshl_add_u64 v[30:31], v[20:21], 0, v[18:19]
	global_load_dwordx4 v[22:25], v[30:31], off
	global_load_dwordx4 v[18:21], v[30:31], off offset:128
.LBB741_30:
	s_or_b64 exec, exec, s[2:3]
	v_lshrrev_b32_e32 v29, 3, v26
	v_lshlrev_b32_e32 v30, 3, v35
	v_or_b32_e32 v29, v30, v29
	v_lshlrev_b32_e32 v29, 4, v29
	v_and_b32_e32 v30, 0x78, v30
	v_xor_b32_e32 v29, v29, v30
	s_branch .LBB741_33
.LBB741_31:
                                        ; implicit-def: $vgpr29
                                        ; implicit-def: $vgpr28
                                        ; implicit-def: $vgpr14_vgpr15_vgpr16_vgpr17
                                        ; implicit-def: $vgpr10_vgpr11_vgpr12_vgpr13
                                        ; implicit-def: $vgpr22_vgpr23_vgpr24_vgpr25
                                        ; implicit-def: $vgpr18_vgpr19_vgpr20_vgpr21
	s_cbranch_execz .LBB741_33
; %bb.32:
	s_waitcnt vmcnt(0)
	v_lshlrev_b32_e32 v10, 1, v26
	v_lshl_or_b32 v28, v35, 8, v10
	s_and_b32 s1, s1, 0xffff
	s_mov_b32 s3, 0x20000
	s_movk_i32 s2, 0x4000
	v_lshl_or_b32 v29, v27, 8, v10
	s_movk_i32 s14, 0x80
	buffer_load_dwordx4 v[14:17], v28, s[0:3], 0 offen
	buffer_load_dwordx4 v[10:13], v28, s[0:3], s14 offen
	;; [unrolled: 1-line block ×4, first 2 shown]
	v_lshrrev_b32_e32 v28, 3, v26
	v_lshlrev_b32_e32 v29, 3, v35
	v_or_b32_e32 v28, v29, v28
	v_lshlrev_b32_e32 v28, 4, v28
	v_and_b32_e32 v29, 0x78, v29
	v_xor_b32_e32 v29, v28, v29
	v_lshlrev_b32_e32 v28, 7, v27
.LBB741_33:
	s_lshl_b64 s[0:1], s[44:45], 8
	s_add_u32 s12, s12, s0
	s_movk_i32 s0, 0x1000
	v_and_or_b32 v27, v28, s0, v29
	s_waitcnt vmcnt(1)
	ds_write_b64 v29, v[14:15] offset:16384
	v_xor_b32_e32 v14, 8, v29
	ds_write_b64 v14, v[16:17] offset:16384
	s_waitcnt vmcnt(0)
	ds_write_b64 v29, v[10:11] offset:24576
	ds_write_b64 v14, v[12:13] offset:24576
	;; [unrolled: 1-line block ×3, first 2 shown]
	v_xor_b32_e32 v10, 8, v27
	ds_write_b64 v10, v[24:25] offset:16384
	ds_write_b64 v27, v[18:19] offset:24576
	;; [unrolled: 1-line block ×3, first 2 shown]
	v_or_b32_e32 v10, v49, v52
	v_lshlrev_b32_e32 v10, 3, v10
	v_lshrrev_b32_e32 v12, 5, v50
	s_movk_i32 s20, 0xf8
	v_and_or_b32 v12, v10, s20, v12
	v_lshlrev_b32_e32 v45, 11, v48
	v_lshlrev_b32_e32 v20, 4, v12
	v_and_b32_e32 v21, 0x78, v10
	v_and_b32_e32 v22, 0x1000, v45
	v_lshlrev_b32_e32 v11, 2, v0
	v_xor_b32_e32 v10, v20, v21
	v_lshrrev_b32_e32 v12, 1, v50
	v_and_b32_e32 v11, 60, v11
	v_or_b32_e32 v10, v10, v22
	v_and_b32_e32 v23, 8, v12
	v_xor_b32_e32 v36, v10, v23
	v_lshl_or_b32 v10, v51, 6, v11
	v_lshlrev_b32_e32 v46, 1, v10
	v_or_b32_e32 v10, 32, v20
	v_xor_b32_e32 v10, v10, v21
	s_waitcnt lgkmcnt(0)
	s_barrier
	ds_read_b64 v[18:19], v36 offset:16384
	v_or_b32_e32 v10, v10, v22
	v_xor_b32_e32 v37, v10, v23
	v_or_b32_e32 v10, 64, v20
	v_xor_b32_e32 v10, v10, v21
	v_or_b32_e32 v10, v10, v22
	v_or_b32_e32 v20, 0x60, v20
	v_xor_b32_e32 v38, v10, v23
	ds_read2st64_b64 v[10:13], v46 offset0:72 offset1:73
	ds_read2st64_b64 v[14:17], v46 offset0:74 offset1:75
	v_xor_b32_e32 v24, v20, v21
	ds_read_b64 v[20:21], v37 offset:16384
	s_waitcnt lgkmcnt(2)
	v_mfma_f32_16x16x16_bf16 a[0:3], v[18:19], v[10:11], 0
	s_addc_u32 s13, s13, s1
	s_add_i32 s2, s41, -1
	s_add_i32 s0, s49, s48
	s_add_i32 s43, s0, s50
	s_mul_i32 s0, s46, s27
	s_mul_hi_u32 s1, s46, s26
	s_ashr_i32 s3, s2, 31
	s_mul_i32 s14, s2, s11
	s_mul_hi_u32 s15, s2, s10
	s_add_i32 s0, s1, s0
	s_mul_i32 s1, s25, s26
	s_add_i32 s14, s15, s14
	s_mul_i32 s3, s3, s10
	v_or_b32_e32 v22, v24, v22
	s_add_i32 s1, s0, s1
	s_add_i32 s3, s14, s3
	s_lshl_b64 s[14:15], s[42:43], 2
	v_xor_b32_e32 v47, v22, v23
	ds_read_b64 v[22:23], v38 offset:16384
	ds_read_b64 v[24:25], v47 offset:16384
	s_waitcnt lgkmcnt(2)
	v_mfma_f32_16x16x16_bf16 a[0:3], v[20:21], v[12:13], a[0:3]
	s_mul_i32 s0, s46, s26
	s_add_u32 s14, s18, s14
	s_addc_u32 s15, s19, s15
	s_lshl_b64 s[0:1], s[0:1], 2
	s_mul_i32 s2, s2, s10
	s_add_u32 s18, s14, s0
	s_addc_u32 s19, s15, s1
	s_lshl_b64 s[0:1], s[2:3], 2
	s_waitcnt lgkmcnt(1)
	v_mfma_f32_16x16x16_bf16 a[0:3], v[22:23], v[14:15], a[0:3]
	s_add_u32 s0, s18, s0
	s_addc_u32 s1, s19, s1
	s_load_dword s20, s[0:1], 0x0
	s_waitcnt lgkmcnt(0)
	v_mfma_f32_16x16x16_bf16 a[0:3], v[24:25], v[16:17], a[0:3]
	s_and_b64 vcc, exec, s[38:39]
	s_cbranch_vccz .LBB741_44
; %bb.34:
	v_lshlrev_b32_e32 v27, 1, v35
	s_and_b64 vcc, exec, s[4:5]
	s_cbranch_vccz .LBB741_45
; %bb.35:
	v_cmp_gt_i32_e32 vcc, s51, v27
	v_mov_b32_e32 v14, 0
	v_mov_b32_e32 v10, 0
	;; [unrolled: 1-line block ×5, first 2 shown]
	s_and_saveexec_b64 s[0:1], vcc
	s_cbranch_execz .LBB741_37
; %bb.36:
	v_mad_i64_i32 v[10:11], s[2:3], s23, v27, 0
	v_lshl_add_u64 v[10:11], v[10:11], 1, s[12:13]
	v_lshlrev_b32_e32 v12, 1, v26
	v_mov_b32_e32 v13, 0
	v_lshl_add_u64 v[10:11], v[10:11], 0, v[12:13]
	global_load_dwordx4 v[10:13], v[10:11], off
.LBB741_37:
	s_or_b64 exec, exec, s[0:1]
	v_or_b32_e32 v28, 1, v27
	v_cmp_gt_i32_e64 s[0:1], s51, v28
	v_mov_b32_e32 v15, 0
	v_mov_b32_e32 v16, 0
	;; [unrolled: 1-line block ×3, first 2 shown]
	s_and_saveexec_b64 s[2:3], s[0:1]
	s_cbranch_execz .LBB741_39
; %bb.38:
	v_mad_i64_i32 v[14:15], s[14:15], s23, v28, 0
	v_lshl_add_u64 v[14:15], v[14:15], 1, s[12:13]
	v_lshlrev_b32_e32 v16, 1, v26
	v_mov_b32_e32 v17, 0
	v_lshl_add_u64 v[14:15], v[14:15], 0, v[16:17]
	global_load_dwordx4 v[14:17], v[14:15], off
.LBB741_39:
	s_or_b64 exec, exec, s[2:3]
	v_mov_b32_e32 v25, 0
	v_mov_b32_e32 v18, 0
	;; [unrolled: 1-line block ×5, first 2 shown]
	s_and_saveexec_b64 s[2:3], vcc
	s_cbranch_execz .LBB741_41
; %bb.40:
	v_mad_i64_i32 v[18:19], s[14:15], s23, v27, 0
	v_lshl_add_u64 v[18:19], v[18:19], 1, s[12:13]
	v_lshlrev_b32_e32 v20, 1, v26
	v_mov_b32_e32 v21, 0
	v_lshl_add_u64 v[18:19], v[18:19], 0, v[20:21]
	global_load_dwordx4 v[18:21], v[18:19], off offset:128
.LBB741_41:
	s_or_b64 exec, exec, s[2:3]
	v_mov_b32_e32 v24, 0
	v_mov_b32_e32 v23, 0
	;; [unrolled: 1-line block ×3, first 2 shown]
	s_and_saveexec_b64 s[2:3], s[0:1]
	s_cbranch_execz .LBB741_43
; %bb.42:
	v_mad_i64_i32 v[22:23], s[0:1], s23, v28, 0
	v_lshl_add_u64 v[22:23], v[22:23], 1, s[12:13]
	v_lshlrev_b32_e32 v24, 1, v26
	v_mov_b32_e32 v25, 0
	v_lshl_add_u64 v[22:23], v[22:23], 0, v[24:25]
	global_load_dwordx4 v[22:25], v[22:23], off offset:128
.LBB741_43:
	s_or_b64 exec, exec, s[2:3]
	s_branch .LBB741_47
.LBB741_44:
                                        ; implicit-def: $vgpr13
                                        ; implicit-def: $vgpr17
                                        ; implicit-def: $vgpr21
                                        ; implicit-def: $vgpr25
	v_lshrrev_b32_e32 v50, 2, v50
	s_branch .LBB741_48
.LBB741_45:
                                        ; implicit-def: $vgpr13
                                        ; implicit-def: $vgpr17
                                        ; implicit-def: $vgpr21
                                        ; implicit-def: $vgpr25
	s_cbranch_execz .LBB741_47
; %bb.46:
	s_waitcnt vmcnt(0)
	v_mad_u64_u32 v[10:11], s[0:1], v27, s23, v[26:27]
	v_lshlrev_b32_e32 v27, 1, v10
	s_lshl_b32 s2, s23, 7
	s_and_b32 s1, s13, 0xffff
	s_mov_b32 s3, 0x20000
	s_mov_b32 s0, s12
	v_add_lshl_u32 v28, v10, s23, 1
	s_movk_i32 s14, 0x80
	buffer_load_dwordx4 v[10:13], v27, s[0:3], 0 offen
	buffer_load_dwordx4 v[18:21], v27, s[0:3], s14 offen
	;; [unrolled: 1-line block ×4, first 2 shown]
.LBB741_47:
	v_lshrrev_b32_e32 v50, 2, v50
	s_cbranch_execnz .LBB741_60
.LBB741_48:
	s_and_b64 vcc, exec, s[4:5]
	s_cbranch_vccz .LBB741_58
; %bb.49:
	s_waitcnt vmcnt(0)
	v_lshlrev_b32_e32 v15, 1, v35
	v_cmp_gt_i32_e32 vcc, s51, v15
	v_mov_b32_e32 v14, 0
	v_lshlrev_b32_e32 v22, 9, v35
	v_mov_b32_e32 v10, 0
	v_mov_b32_e32 v11, 0
	;; [unrolled: 1-line block ×4, first 2 shown]
	s_and_saveexec_b64 s[0:1], vcc
	s_cbranch_execz .LBB741_51
; %bb.50:
	v_mov_b32_e32 v23, 0
	v_lshl_add_u64 v[10:11], s[12:13], 0, v[22:23]
	v_lshlrev_b32_e32 v12, 1, v26
	v_mov_b32_e32 v13, v23
	v_lshl_add_u64 v[10:11], v[10:11], 0, v[12:13]
	global_load_dwordx4 v[10:13], v[10:11], off
.LBB741_51:
	s_or_b64 exec, exec, s[0:1]
	v_or_b32_e32 v15, 1, v15
	v_cmp_gt_i32_e64 s[0:1], s51, v15
	v_lshlrev_b32_e32 v28, 8, v15
	v_mov_b32_e32 v15, 0
	v_mov_b32_e32 v16, 0
	;; [unrolled: 1-line block ×3, first 2 shown]
	s_and_saveexec_b64 s[2:3], s[0:1]
	s_cbranch_execz .LBB741_53
; %bb.52:
	v_mov_b32_e32 v29, 0
	v_lshl_add_u64 v[14:15], s[12:13], 0, v[28:29]
	v_lshlrev_b32_e32 v16, 1, v26
	v_mov_b32_e32 v17, v29
	v_lshl_add_u64 v[14:15], v[14:15], 0, v[16:17]
	global_load_dwordx4 v[14:17], v[14:15], off
.LBB741_53:
	s_or_b64 exec, exec, s[2:3]
	v_mov_b32_e32 v25, 0
	v_mov_b32_e32 v18, 0
	v_mov_b32_e32 v19, 0
	v_mov_b32_e32 v20, 0
	v_mov_b32_e32 v21, 0
	s_and_saveexec_b64 s[2:3], vcc
	s_cbranch_execz .LBB741_55
; %bb.54:
	v_mov_b32_e32 v23, 0
	v_lshl_add_u64 v[18:19], s[12:13], 0, v[22:23]
	v_lshlrev_b32_e32 v22, 1, v26
	v_lshl_add_u64 v[18:19], v[18:19], 0, v[22:23]
	global_load_dwordx4 v[18:21], v[18:19], off offset:128
.LBB741_55:
	s_or_b64 exec, exec, s[2:3]
	v_mov_b32_e32 v24, 0
	v_mov_b32_e32 v23, 0
	;; [unrolled: 1-line block ×3, first 2 shown]
	s_and_saveexec_b64 s[2:3], s[0:1]
	s_cbranch_execz .LBB741_57
; %bb.56:
	v_mov_b32_e32 v29, 0
	v_lshl_add_u64 v[22:23], s[12:13], 0, v[28:29]
	v_lshlrev_b32_e32 v28, 1, v26
	v_lshl_add_u64 v[22:23], v[22:23], 0, v[28:29]
	global_load_dwordx4 v[22:25], v[22:23], off offset:128
.LBB741_57:
	s_or_b64 exec, exec, s[2:3]
	s_branch .LBB741_60
.LBB741_58:
                                        ; implicit-def: $vgpr13
                                        ; implicit-def: $vgpr17
                                        ; implicit-def: $vgpr21
                                        ; implicit-def: $vgpr25
	s_cbranch_execz .LBB741_60
; %bb.59:
	s_waitcnt vmcnt(0)
	v_lshlrev_b32_e32 v10, 1, v26
	v_lshl_or_b32 v26, v35, 9, v10
	s_and_b32 s13, s13, 0xffff
	s_mov_b32 s15, 0x20000
	s_movk_i32 s14, 0x4000
	s_movk_i32 s0, 0x80
	buffer_load_dwordx4 v[10:13], v26, s[12:15], 0 offen
	buffer_load_dwordx4 v[14:17], v26, s[12:15], 0 offen offset:256
	buffer_load_dwordx4 v[18:21], v26, s[12:15], s0 offen
	buffer_load_dwordx4 v[22:25], v26, s[12:15], s0 offen offset:256
.LBB741_60:
	ds_read2st64_b64 v[30:33], v46 offset0:76 offset1:77
	ds_read2st64_b64 v[26:29], v46 offset0:78 offset1:79
	ds_read_b64 v[42:43], v36 offset:24576
	ds_read_b64 v[40:41], v37 offset:24576
	;; [unrolled: 1-line block ×4, first 2 shown]
	v_and_b32_e32 v47, 6, v0
	v_xor_b32_e32 v35, v35, v47
	v_lshlrev_b32_e32 v35, 2, v35
	v_and_b32_e32 v51, 1, v0
	v_xor_b32_e32 v52, 0x440, v35
	v_cmp_eq_u32_e32 vcc, 0, v51
	s_mov_b32 s0, 0x1000504
	s_waitcnt vmcnt(0)
	v_perm_b32 v51, v18, v22, s0
	v_cndmask_b32_e32 v35, v52, v35, vcc
	v_lshl_or_b32 v35, v47, 10, v35
	v_perm_b32 v47, v10, v14, s0
	ds_write2st64_b32 v35, v47, v51 offset1:32
	v_xor_b32_e32 v47, 8, v35
	s_mov_b32 s1, 0x3020706
	v_perm_b32 v10, v10, v14, s1
	v_perm_b32 v14, v18, v22, s1
	v_add_u32_e32 v18, 0x80, v47
	ds_write2st64_b32 v18, v10, v14 offset1:32
	v_xor_b32_e32 v10, 16, v35
	v_perm_b32 v14, v11, v15, s0
	v_perm_b32 v18, v19, v23, s0
	ds_write2st64_b32 v10, v14, v18 offset0:1 offset1:33
	v_xor_b32_e32 v10, 24, v35
	v_perm_b32 v11, v11, v15, s1
	v_perm_b32 v14, v19, v23, s1
	v_add_u32_e32 v10, 0x80, v10
	ds_write2st64_b32 v10, v11, v14 offset0:1 offset1:33
	v_xor_b32_e32 v10, 32, v35
	v_perm_b32 v11, v12, v16, s0
	v_perm_b32 v14, v20, v24, s0
	ds_write2st64_b32 v10, v11, v14 offset0:2 offset1:34
	v_xor_b32_e32 v10, 40, v35
	v_perm_b32 v11, v12, v16, s1
	v_perm_b32 v12, v20, v24, s1
	v_add_u32_e32 v10, 0x80, v10
	ds_write2st64_b32 v10, v11, v12 offset0:2 offset1:34
	v_xor_b32_e32 v10, 48, v35
	v_perm_b32 v11, v13, v17, s0
	v_perm_b32 v12, v21, v25, s0
	ds_write2st64_b32 v10, v11, v12 offset0:3 offset1:35
	v_xor_b32_e32 v10, 56, v35
	v_and_or_b32 v18, v50, 12, v49
	v_perm_b32 v11, v13, v17, s1
	v_perm_b32 v12, v21, v25, s1
	v_add_u32_e32 v10, 0x80, v10
	v_cmp_gt_i32_e32 vcc, s51, v18
	v_mov_b32_e32 v20, 0
	v_mov_b32_e32 v24, 0
	ds_write2st64_b32 v10, v11, v12 offset0:3 offset1:35
	s_and_saveexec_b64 s[0:1], vcc
	s_cbranch_execz .LBB741_62
; %bb.61:
	v_add_u32_e32 v10, s24, v18
	v_ashrrev_i32_e32 v11, 31, v10
	v_mul_lo_u32 v12, v11, s10
	v_mul_lo_u32 v13, v10, s11
	v_mad_u64_u32 v[10:11], s[2:3], v10, s10, 0
	v_add3_u32 v11, v11, v13, v12
	v_lshl_add_u64 v[10:11], v[10:11], 2, s[18:19]
	global_load_dword v10, v[10:11], off
	s_waitcnt vmcnt(0)
	v_sub_f32_e32 v10, s20, v10
	v_mul_f32_e32 v10, 0x3fb8aa3b, v10
	v_exp_f32_e32 v24, v10
.LBB741_62:
	s_or_b64 exec, exec, s[0:1]
	v_or_b32_e32 v23, 1, v18
	v_cmp_gt_i32_e64 s[4:5], s51, v23
	s_and_saveexec_b64 s[0:1], s[4:5]
	s_cbranch_execz .LBB741_64
; %bb.63:
	v_add_u32_e32 v10, s24, v23
	v_ashrrev_i32_e32 v11, 31, v10
	v_mul_lo_u32 v12, v11, s10
	v_mul_lo_u32 v13, v10, s11
	v_mad_u64_u32 v[10:11], s[2:3], v10, s10, 0
	v_add3_u32 v11, v11, v13, v12
	v_lshl_add_u64 v[10:11], v[10:11], 2, s[18:19]
	global_load_dword v10, v[10:11], off
	s_waitcnt vmcnt(0)
	v_sub_f32_e32 v10, s20, v10
	v_mul_f32_e32 v10, 0x3fb8aa3b, v10
	v_exp_f32_e32 v20, v10
.LBB741_64:
	s_or_b64 exec, exec, s[0:1]
	v_or_b32_e32 v21, 2, v18
	v_cmp_gt_i32_e64 s[0:1], s51, v21
	v_mov_b32_e32 v19, 0
	v_mov_b32_e32 v25, 0
	s_and_saveexec_b64 s[2:3], s[0:1]
	s_cbranch_execz .LBB741_66
; %bb.65:
	v_add_u32_e32 v10, s24, v21
	v_ashrrev_i32_e32 v11, 31, v10
	v_mul_lo_u32 v12, v11, s10
	v_mul_lo_u32 v13, v10, s11
	v_mad_u64_u32 v[10:11], s[12:13], v10, s10, 0
	v_add3_u32 v11, v11, v13, v12
	v_lshl_add_u64 v[10:11], v[10:11], 2, s[18:19]
	global_load_dword v10, v[10:11], off
	s_waitcnt vmcnt(0)
	v_sub_f32_e32 v10, s20, v10
	v_mul_f32_e32 v10, 0x3fb8aa3b, v10
	v_exp_f32_e32 v25, v10
.LBB741_66:
	s_or_b64 exec, exec, s[2:3]
	v_or_b32_e32 v22, 3, v18
	v_cmp_gt_i32_e64 s[2:3], s51, v22
	s_and_saveexec_b64 s[12:13], s[2:3]
	s_cbranch_execz .LBB741_68
; %bb.67:
	v_add_u32_e32 v10, s24, v22
	v_ashrrev_i32_e32 v11, 31, v10
	v_mul_lo_u32 v12, v11, s10
	v_mul_lo_u32 v13, v10, s11
	v_mad_u64_u32 v[10:11], s[10:11], v10, s10, 0
	v_add3_u32 v11, v11, v13, v12
	v_lshl_add_u64 v[10:11], v[10:11], 2, s[18:19]
	global_load_dword v10, v[10:11], off
	s_waitcnt vmcnt(0)
	v_sub_f32_e32 v10, s20, v10
	v_mul_f32_e32 v10, 0x3fb8aa3b, v10
	v_exp_f32_e32 v19, v10
.LBB741_68:
	s_or_b64 exec, exec, s[12:13]
	s_waitcnt lgkmcnt(11)
	v_mfma_f32_16x16x16_bf16 a[0:3], v[42:43], v[30:31], a[0:3]
	s_add_u32 s10, s16, s36
	s_addc_u32 s11, s17, s37
	v_ashrrev_i32_e32 v35, 31, v34
	s_waitcnt lgkmcnt(10)
	v_mfma_f32_16x16x16_bf16 a[0:3], v[40:41], v[32:33], a[0:3]
	s_add_u32 s6, s6, s36
	v_lshlrev_b64 v[10:11], 1, v[34:35]
	s_addc_u32 s7, s7, s37
	s_waitcnt lgkmcnt(9)
	v_mfma_f32_16x16x16_bf16 a[0:3], v[38:39], v[26:27], a[0:3]
	v_lshl_add_u64 v[14:15], s[10:11], 0, v[10:11]
	v_lshl_add_u64 v[16:17], s[6:7], 0, v[10:11]
	v_mov_b32_e32 v26, 0
	s_waitcnt lgkmcnt(8)
	v_mfma_f32_16x16x16_bf16 a[0:3], v[36:37], v[28:29], a[0:3]
	v_mov_b32_e32 v27, 0
	s_nop 5
	v_accvgpr_read_b32 v13, a3
	v_accvgpr_read_b32 v12, a2
	;; [unrolled: 1-line block ×4, first 2 shown]
	s_and_saveexec_b64 s[6:7], vcc
	s_cbranch_execz .LBB741_70
; %bb.69:
	v_lshlrev_b32_e32 v28, 8, v18
	v_mov_b32_e32 v29, 0
	v_lshl_add_u64 v[30:31], v[14:15], 0, v[28:29]
	global_load_ushort v27, v[30:31], off
	v_lshl_add_u64 v[28:29], v[16:17], 0, v[28:29]
	s_waitcnt vmcnt(0)
	v_lshlrev_b32_e32 v27, 16, v27
	v_sub_f32_e32 v10, v27, v10
	global_store_short_d16_hi v[28:29], v10, off
	v_mul_f32_e32 v10, v24, v10
	v_lshrrev_b32_e32 v27, 16, v10
.LBB741_70:
	s_or_b64 exec, exec, s[6:7]
	s_and_saveexec_b64 s[6:7], s[4:5]
	s_cbranch_execz .LBB741_72
; %bb.71:
	v_lshlrev_b32_e32 v28, 8, v23
	v_mov_b32_e32 v29, 0
	v_lshl_add_u64 v[30:31], v[14:15], 0, v[28:29]
	global_load_ushort v10, v[30:31], off
	v_lshl_add_u64 v[28:29], v[16:17], 0, v[28:29]
	s_waitcnt vmcnt(0)
	v_lshlrev_b32_e32 v10, 16, v10
	v_sub_f32_e32 v10, v10, v11
	global_store_short_d16_hi v[28:29], v10, off
	v_mul_f32_e32 v10, v20, v10
	v_lshrrev_b32_e32 v26, 16, v10
.LBB741_72:
	s_or_b64 exec, exec, s[6:7]
	v_mov_b32_e32 v11, 0
	v_mov_b32_e32 v20, 0
	s_and_saveexec_b64 s[4:5], s[0:1]
	s_cbranch_execz .LBB741_74
; %bb.73:
	v_lshlrev_b32_e32 v20, 8, v21
	v_mov_b32_e32 v21, 0
	v_lshl_add_u64 v[28:29], v[14:15], 0, v[20:21]
	global_load_ushort v10, v[28:29], off
	v_lshl_add_u64 v[20:21], v[16:17], 0, v[20:21]
	s_waitcnt vmcnt(0)
	v_lshlrev_b32_e32 v10, 16, v10
	v_sub_f32_e32 v10, v10, v12
	global_store_short_d16_hi v[20:21], v10, off
	v_mul_f32_e32 v10, v25, v10
	v_lshrrev_b32_e32 v20, 16, v10
.LBB741_74:
	s_or_b64 exec, exec, s[4:5]
	v_or_b32_e32 v10, 0x9800, v46
	s_and_saveexec_b64 s[0:1], s[2:3]
	s_cbranch_execz .LBB741_76
; %bb.75:
	v_lshlrev_b32_e32 v22, 8, v22
	v_mov_b32_e32 v23, 0
	v_lshl_add_u64 v[14:15], v[14:15], 0, v[22:23]
	global_load_ushort v11, v[14:15], off
	v_lshl_add_u64 v[14:15], v[16:17], 0, v[22:23]
	s_waitcnt vmcnt(0)
	v_lshlrev_b32_e32 v11, 16, v11
	v_sub_f32_e32 v11, v11, v13
	global_store_short_d16_hi v[14:15], v11, off
	v_mul_f32_e32 v11, v19, v11
	v_lshrrev_b32_e32 v11, 16, v11
.LBB741_76:
	s_or_b64 exec, exec, s[0:1]
	s_mov_b32 s0, 0x5040100
	v_perm_b32 v13, v11, v20, s0
	v_lshlrev_b32_e32 v11, 1, v44
	v_perm_b32 v12, v26, v27, s0
	v_lshl_or_b32 v11, v18, 5, v11
	s_movk_i32 s0, 0xff
	ds_write_b64 v11, v[12:13] offset:38912
	v_and_b32_e32 v11, 7, v0
	v_and_b32_e32 v12, 8, v0
	v_cmp_lt_u32_e32 vcc, s0, v0
	v_lshrrev_b32_e32 v0, 1, v0
	v_lshlrev_b32_e32 v22, 3, v11
	v_lshlrev_b32_e32 v23, 7, v11
	v_cndmask_b32_e64 v11, 0, 1, vcc
	v_lshlrev_b32_e32 v25, 3, v48
	v_and_b32_e32 v0, 24, v0
	v_lshlrev_b32_e32 v24, 13, v11
	v_xor_b32_e32 v11, v25, v0
	v_or_b32_e32 v13, 0x440, v11
	v_cmp_eq_u32_e32 vcc, 0, v12
	s_waitcnt lgkmcnt(0)
	s_barrier
	v_cndmask_b32_e32 v11, v13, v11, vcc
	v_or_b32_e32 v11, v11, v45
	v_xad_u32 v26, v11, v22, v23
	v_add_u32_e32 v11, v24, v26
	ds_read_b64 v[20:21], v11
	ds_read2st64_b64 v[12:15], v10 offset1:1
	ds_read2st64_b64 v[16:19], v10 offset0:2 offset1:3
	v_or_b32_e32 v10, 32, v0
	v_xor_b32_e32 v10, v25, v10
	v_or_b32_e32 v11, 0x440, v10
	v_cndmask_b32_e32 v10, v11, v10, vcc
	v_or_b32_e32 v10, v10, v45
	v_xad_u32 v27, v10, v22, v23
	v_add_u32_e32 v10, v24, v27
	ds_read_b64 v[10:11], v10
	s_waitcnt lgkmcnt(2)
	v_mfma_f32_16x16x16_bf16 a[0:3], v[20:21], v[12:13], 0
	s_waitcnt lgkmcnt(0)
	v_mfma_f32_16x16x16_bf16 a[0:3], v[10:11], v[14:15], a[0:3]
	v_or_b32_e32 v10, 64, v0
	v_xor_b32_e32 v10, v25, v10
	v_xor_b32_e32 v11, 0x440, v10
	v_cndmask_b32_e32 v10, v11, v10, vcc
	v_or_b32_e32 v10, v10, v45
	v_xad_u32 v28, v10, v22, v23
	v_add_u32_e32 v10, v24, v28
	ds_read_b64 v[10:11], v10
	v_or_b32_e32 v0, 0x60, v0
	v_xor_b32_e32 v0, v25, v0
	v_xor_b32_e32 v20, 0x440, v0
	v_cndmask_b32_e32 v0, v20, v0, vcc
	v_or_b32_e32 v0, v0, v45
	v_xad_u32 v0, v0, v22, v23
	v_add_u32_e32 v20, v24, v0
	ds_read_b64 v[20:21], v20
	s_waitcnt lgkmcnt(1)
	v_mfma_f32_16x16x16_bf16 a[0:3], v[10:11], v[16:17], a[0:3]
	ds_read_b64 v[10:11], v26 offset:8192
	ds_read_b64 v[22:23], v27 offset:8192
	v_mov_b32_e32 v24, 0x3fb8aa3b
	s_waitcnt lgkmcnt(2)
	v_mfma_f32_16x16x16_bf16 a[0:3], v[20:21], v[18:19], a[0:3]
	v_mul_f32_e32 v20, s20, v24
	v_exp_f32_e32 v24, v20
	ds_read_b64 v[20:21], v28 offset:8192
	s_waitcnt lgkmcnt(2)
	v_mfma_f32_16x16x16_bf16 a[4:7], v[10:11], v[12:13], 0
	s_nop 1
	v_accvgpr_read_b32 v10, a0
	v_fma_f32 v12, v2, v24, v10
	ds_read_b64 v[10:11], v0 offset:8192
	s_waitcnt lgkmcnt(2)
	v_mfma_f32_16x16x16_bf16 a[4:7], v[22:23], v[14:15], a[4:7]
	v_accvgpr_read_b32 v0, a1
	v_fma_f32 v13, v3, v24, v0
	v_accvgpr_read_b32 v0, a2
	s_waitcnt lgkmcnt(1)
	v_mfma_f32_16x16x16_bf16 a[4:7], v[20:21], v[16:17], a[4:7]
	v_accvgpr_read_b32 v15, a3
	v_fma_f32 v14, v4, v24, v0
	v_fmac_f32_e32 v15, v5, v24
	s_waitcnt lgkmcnt(0)
	v_mfma_f32_16x16x16_bf16 a[0:3], v[10:11], v[18:19], a[4:7]
	v_mov_b32_e32 v10, v34
	s_nop 5
	v_accvgpr_read_b32 v0, a0
	v_fma_f32 v16, v6, v24, v0
	v_accvgpr_read_b32 v0, a1
	v_fma_f32 v17, v7, v24, v0
	v_accvgpr_read_b32 v0, a2
	v_accvgpr_read_b32 v19, a3
	v_fma_f32 v18, v8, v24, v0
	v_fmac_f32_e32 v19, v9, v24
	v_mov_b64_e32 v[2:3], v[12:13]
	v_mov_b64_e32 v[4:5], v[14:15]
	;; [unrolled: 1-line block ×4, first 2 shown]
.LBB741_77:
	s_mul_i32 s0, s47, s35
	s_mul_hi_u32 s1, s47, s34
	s_add_i32 s0, s1, s0
	s_mul_i32 s1, s33, s34
	s_add_i32 s1, s0, s1
	s_mul_i32 s0, s47, s34
	s_add_u32 s0, s0, s46
	s_addc_u32 s1, s1, s25
	s_lshl_b64 s[0:1], s[0:1], 16
	s_add_u32 s0, s8, s0
	v_lshlrev_b32_e32 v10, 7, v10
	s_addc_u32 s1, s9, s1
	v_ashrrev_i32_e32 v11, 31, v10
	v_lshl_add_u64 v[10:11], v[10:11], 2, s[0:1]
	v_lshlrev_b32_e32 v0, 2, v1
	v_mov_b32_e32 v1, 0
	v_lshl_add_u64 v[0:1], v[10:11], 0, v[0:1]
	global_store_dwordx4 v[0:1], v[2:5], off
	global_store_dwordx4 v[0:1], v[6:9], off offset:256
	s_endpgm
	.section	.rodata,"a",@progbits
	.p2align	6, 0x0
	.amdhsa_kernel _ZN12_GLOBAL__N_139chunk_gated_delta_rule_fwd_h_hip_kernelILi16ELb0ELb1ELb1ELb1ELb0ELb0ELb1ELb0EEEvPK12hip_bfloat16S3_S3_PKfS5_PKvPS1_S8_PvPKiSB_iiiiilll
		.amdhsa_group_segment_fixed_size 40960
		.amdhsa_private_segment_fixed_size 0
		.amdhsa_kernarg_size 136
		.amdhsa_user_sgpr_count 2
		.amdhsa_user_sgpr_dispatch_ptr 0
		.amdhsa_user_sgpr_queue_ptr 0
		.amdhsa_user_sgpr_kernarg_segment_ptr 1
		.amdhsa_user_sgpr_dispatch_id 0
		.amdhsa_user_sgpr_kernarg_preload_length 0
		.amdhsa_user_sgpr_kernarg_preload_offset 0
		.amdhsa_user_sgpr_private_segment_size 0
		.amdhsa_uses_dynamic_stack 0
		.amdhsa_enable_private_segment 0
		.amdhsa_system_sgpr_workgroup_id_x 1
		.amdhsa_system_sgpr_workgroup_id_y 1
		.amdhsa_system_sgpr_workgroup_id_z 0
		.amdhsa_system_sgpr_workgroup_info 0
		.amdhsa_system_vgpr_workitem_id 0
		.amdhsa_next_free_vgpr 116
		.amdhsa_next_free_sgpr 66
		.amdhsa_accum_offset 108
		.amdhsa_reserve_vcc 1
		.amdhsa_float_round_mode_32 0
		.amdhsa_float_round_mode_16_64 0
		.amdhsa_float_denorm_mode_32 3
		.amdhsa_float_denorm_mode_16_64 3
		.amdhsa_dx10_clamp 1
		.amdhsa_ieee_mode 1
		.amdhsa_fp16_overflow 0
		.amdhsa_tg_split 0
		.amdhsa_exception_fp_ieee_invalid_op 0
		.amdhsa_exception_fp_denorm_src 0
		.amdhsa_exception_fp_ieee_div_zero 0
		.amdhsa_exception_fp_ieee_overflow 0
		.amdhsa_exception_fp_ieee_underflow 0
		.amdhsa_exception_fp_ieee_inexact 0
		.amdhsa_exception_int_div_zero 0
	.end_amdhsa_kernel
	.section	.text._ZN12_GLOBAL__N_139chunk_gated_delta_rule_fwd_h_hip_kernelILi16ELb0ELb1ELb1ELb1ELb0ELb0ELb1ELb0EEEvPK12hip_bfloat16S3_S3_PKfS5_PKvPS1_S8_PvPKiSB_iiiiilll,"axG",@progbits,_ZN12_GLOBAL__N_139chunk_gated_delta_rule_fwd_h_hip_kernelILi16ELb0ELb1ELb1ELb1ELb0ELb0ELb1ELb0EEEvPK12hip_bfloat16S3_S3_PKfS5_PKvPS1_S8_PvPKiSB_iiiiilll,comdat
.Lfunc_end741:
	.size	_ZN12_GLOBAL__N_139chunk_gated_delta_rule_fwd_h_hip_kernelILi16ELb0ELb1ELb1ELb1ELb0ELb0ELb1ELb0EEEvPK12hip_bfloat16S3_S3_PKfS5_PKvPS1_S8_PvPKiSB_iiiiilll, .Lfunc_end741-_ZN12_GLOBAL__N_139chunk_gated_delta_rule_fwd_h_hip_kernelILi16ELb0ELb1ELb1ELb1ELb0ELb0ELb1ELb0EEEvPK12hip_bfloat16S3_S3_PKfS5_PKvPS1_S8_PvPKiSB_iiiiilll
                                        ; -- End function
	.section	.AMDGPU.csdata,"",@progbits
; Kernel info:
; codeLenInByte = 7904
; NumSgprs: 72
; NumVgprs: 108
; NumAgprs: 8
; TotalNumVgprs: 116
; ScratchSize: 0
; MemoryBound: 0
; FloatMode: 240
; IeeeMode: 1
; LDSByteSize: 40960 bytes/workgroup (compile time only)
; SGPRBlocks: 8
; VGPRBlocks: 14
; NumSGPRsForWavesPerEU: 72
; NumVGPRsForWavesPerEU: 116
; AccumOffset: 108
; Occupancy: 1
; WaveLimiterHint : 1
; COMPUTE_PGM_RSRC2:SCRATCH_EN: 0
; COMPUTE_PGM_RSRC2:USER_SGPR: 2
; COMPUTE_PGM_RSRC2:TRAP_HANDLER: 0
; COMPUTE_PGM_RSRC2:TGID_X_EN: 1
; COMPUTE_PGM_RSRC2:TGID_Y_EN: 1
; COMPUTE_PGM_RSRC2:TGID_Z_EN: 0
; COMPUTE_PGM_RSRC2:TIDIG_COMP_CNT: 0
; COMPUTE_PGM_RSRC3_GFX90A:ACCUM_OFFSET: 26
; COMPUTE_PGM_RSRC3_GFX90A:TG_SPLIT: 0
	.section	.text._ZN12_GLOBAL__N_139chunk_gated_delta_rule_fwd_h_hip_kernelILi16ELb0ELb1ELb0ELb1ELb0ELb0ELb1ELb0EEEvPK12hip_bfloat16S3_S3_PKfS5_PKvPS1_S8_PvPKiSB_iiiiilll,"axG",@progbits,_ZN12_GLOBAL__N_139chunk_gated_delta_rule_fwd_h_hip_kernelILi16ELb0ELb1ELb0ELb1ELb0ELb0ELb1ELb0EEEvPK12hip_bfloat16S3_S3_PKfS5_PKvPS1_S8_PvPKiSB_iiiiilll,comdat
	.globl	_ZN12_GLOBAL__N_139chunk_gated_delta_rule_fwd_h_hip_kernelILi16ELb0ELb1ELb0ELb1ELb0ELb0ELb1ELb0EEEvPK12hip_bfloat16S3_S3_PKfS5_PKvPS1_S8_PvPKiSB_iiiiilll ; -- Begin function _ZN12_GLOBAL__N_139chunk_gated_delta_rule_fwd_h_hip_kernelILi16ELb0ELb1ELb0ELb1ELb0ELb0ELb1ELb0EEEvPK12hip_bfloat16S3_S3_PKfS5_PKvPS1_S8_PvPKiSB_iiiiilll
	.p2align	8
	.type	_ZN12_GLOBAL__N_139chunk_gated_delta_rule_fwd_h_hip_kernelILi16ELb0ELb1ELb0ELb1ELb0ELb0ELb1ELb0EEEvPK12hip_bfloat16S3_S3_PKfS5_PKvPS1_S8_PvPKiSB_iiiiilll,@function
_ZN12_GLOBAL__N_139chunk_gated_delta_rule_fwd_h_hip_kernelILi16ELb0ELb1ELb0ELb1ELb0ELb0ELb1ELb0EEEvPK12hip_bfloat16S3_S3_PKfS5_PKvPS1_S8_PvPKiSB_iiiiilll: ; @_ZN12_GLOBAL__N_139chunk_gated_delta_rule_fwd_h_hip_kernelILi16ELb0ELb1ELb0ELb1ELb0ELb0ELb1ELb0EEEvPK12hip_bfloat16S3_S3_PKfS5_PKvPS1_S8_PvPKiSB_iiiiilll
; %bb.0:
	s_load_dwordx4 s[16:19], s[0:1], 0x5c
	s_abs_i32 s23, s3
	s_ashr_i32 s22, s3, 31
	s_load_dwordx2 s[20:21], s[0:1], 0x50
	s_load_dwordx8 s[4:11], s[0:1], 0x0
	s_load_dwordx4 s[12:15], s[0:1], 0x40
	s_load_dwordx2 s[40:41], s[0:1], 0x30
	s_waitcnt lgkmcnt(0)
	s_abs_i32 s26, s17
	v_cvt_f32_u32_e32 v1, s26
	s_sub_i32 s24, 0, s26
	s_ashr_i32 s33, s17, 31
	s_xor_b32 s22, s22, s33
	v_rcp_iflag_f32_e32 v1, v1
	v_lshrrev_b32_e32 v46, 6, v0
	v_bfe_u32 v49, v0, 4, 2
	v_lshlrev_b32_e32 v47, 4, v46
	v_mul_f32_e32 v1, 0x4f7ffffe, v1
	v_cvt_u32_f32_e32 v1, v1
	v_lshlrev_b32_e32 v10, 2, v49
	v_and_b32_e32 v48, 63, v0
	v_mov_b32_e32 v9, 0
	v_readfirstlane_b32 s25, v1
	s_mul_i32 s24, s24, s25
	s_mul_hi_u32 s24, s25, s24
	s_add_i32 s25, s25, s24
	s_mul_hi_u32 s24, s23, s25
	s_mul_i32 s25, s24, s26
	s_sub_i32 s23, s23, s25
	s_add_i32 s27, s24, 1
	s_sub_i32 s25, s23, s26
	s_cmp_ge_u32 s23, s26
	s_cselect_b32 s24, s27, s24
	s_cselect_b32 s23, s25, s23
	s_add_i32 s25, s24, 1
	s_cmp_ge_u32 s23, s26
	s_cselect_b32 s23, s25, s24
	s_xor_b32 s23, s23, s22
	s_sub_i32 s34, s23, s22
	s_mul_i32 s22, s34, s17
	s_ashr_i32 s35, s34, 31
	s_sub_i32 s44, s3, s22
	s_lshl_b64 s[22:23], s[34:35], 2
	s_add_u32 s14, s14, s22
	s_addc_u32 s15, s15, s23
	s_add_u32 s24, s20, s22
	s_addc_u32 s25, s21, s23
	s_abs_i32 s3, s18
	v_cvt_f32_u32_e32 v1, s3
	s_load_dwordx2 s[36:37], s[14:15], 0x0
	s_sub_i32 s15, 0, s3
	s_mov_b32 s45, s17
	v_rcp_iflag_f32_e32 v1, v1
	v_and_b32_e32 v50, 15, v0
	s_waitcnt lgkmcnt(0)
	s_sub_i32 s49, s37, s36
	s_ashr_i32 s14, s49, 31
	v_mul_f32_e32 v1, 0x4f7ffffe, v1
	v_cvt_u32_f32_e32 v1, v1
	s_lshr_b32 s14, s14, 26
	s_add_i32 s14, s49, s14
	s_ashr_i32 s50, s14, 6
	v_readfirstlane_b32 s20, v1
	s_mul_i32 s15, s15, s20
	s_mul_hi_u32 s15, s20, s15
	s_add_i32 s20, s20, s15
	s_mul_hi_u32 s15, s26, s20
	s_mul_i32 s20, s15, s3
	s_ashr_i32 s14, s18, 31
	s_sub_i32 s20, s26, s20
	s_xor_b32 s14, s33, s14
	s_add_i32 s21, s15, 1
	s_sub_i32 s22, s20, s3
	s_cmp_ge_u32 s20, s3
	s_cselect_b32 s15, s21, s15
	s_cselect_b32 s20, s22, s20
	s_add_i32 s21, s15, 1
	s_cmp_ge_u32 s20, s3
	s_cselect_b32 s3, s21, s15
	s_xor_b32 s3, s3, s14
	s_sub_i32 s3, s3, s14
	s_abs_i32 s26, s3
	v_cvt_f32_u32_e32 v1, s26
	s_load_dwordx2 s[14:15], s[0:1], 0x80
	s_load_dwordx4 s[20:23], s[0:1], 0x70
	s_load_dword s51, s[24:25], 0x0
	s_xor_b32 s0, s44, s3
	v_rcp_iflag_f32_e32 v1, v1
	s_sub_i32 s3, 0, s26
	s_abs_i32 s1, s44
	s_ashr_i32 s0, s0, 31
	v_mul_f32_e32 v1, 0x4f7ffffe, v1
	v_cvt_u32_f32_e32 v1, v1
	s_mul_hi_i32 s52, s44, s16
	s_mul_i32 s53, s44, s16
	v_lshrrev_b32_e32 v52, 3, v48
	v_readfirstlane_b32 s24, v1
	s_mul_i32 s3, s3, s24
	s_mul_hi_u32 s3, s24, s3
	s_add_i32 s24, s24, s3
	s_mul_hi_u32 s3, s1, s24
	s_mul_i32 s24, s3, s26
	s_sub_i32 s1, s1, s24
	s_add_i32 s24, s3, 1
	s_sub_i32 s25, s1, s26
	s_cmp_ge_u32 s1, s26
	s_cselect_b32 s3, s24, s3
	s_cselect_b32 s1, s25, s1
	s_add_i32 s24, s3, 1
	s_cmp_ge_u32 s1, s26
	s_cselect_b32 s1, s24, s3
	s_xor_b32 s1, s1, s0
	s_sub_i32 s54, s1, s0
	v_or_b32_e32 v1, v10, v47
	s_lshl_b32 s2, s2, 4
	v_or_b32_e32 v53, 64, v1
	s_cmp_lt_i32 s49, 64
	v_lshlrev_b32_e32 v51, 3, v0
	s_waitcnt lgkmcnt(0)
	s_mul_i32 s46, s34, s21
	s_mul_hi_u32 s47, s34, s20
	s_mul_i32 s48, s35, s20
	s_mul_i32 s38, s34, s20
	v_mov_b32_e32 v8, v9
	v_mov_b32_e32 v7, v9
	;; [unrolled: 1-line block ×7, first 2 shown]
	s_cbranch_scc1 .LBB742_18
; %bb.1:
	s_ashr_i32 s56, s44, 31
	s_ashr_i32 s1, s36, 31
	s_add_u32 s0, s53, s36
	s_addc_u32 s1, s52, s1
	s_lshl_b64 s[0:1], s[0:1], 8
	v_and_b32_e32 v55, 56, v51
	s_add_u32 s24, s6, s0
	v_lshl_or_b32 v54, v46, 3, v52
	v_lshlrev_b32_e32 v3, 1, v55
	s_addc_u32 s0, s7, s1
	v_lshl_or_b32 v56, v54, 8, v3
	s_and_b32 s25, s0, 0xffff
	s_mov_b32 s27, 0x20000
	s_movk_i32 s26, 0x4000
	s_movk_i32 s0, 0x80
	v_or_b32_e32 v57, 0x2000, v56
	buffer_load_dwordx4 v[4:7], v56, s[24:27], 0 offen
	buffer_load_dwordx4 v[12:15], v56, s[24:27], s0 offen
	;; [unrolled: 1-line block ×4, first 2 shown]
	v_lshlrev_b32_e32 v2, 3, v54
	v_and_or_b32 v9, v0, 7, v2
	v_and_b32_e32 v2, 0x78, v2
	v_lshlrev_b32_e32 v9, 4, v9
	v_xor_b32_e32 v58, v9, v2
	v_mul_lo_u32 v8, v54, s19
	v_or_b32_e32 v59, 0x1000, v58
	v_xor_b32_e32 v2, 8, v58
	s_cmpk_eq_i32 s19, 0x80
	s_mov_b32 s55, s36
	v_xor_b32_e32 v9, 8, v59
	s_cselect_b64 s[0:1], -1, 0
	s_cmpk_lg_i32 s19, 0x80
	s_waitcnt vmcnt(3)
	ds_write_b64 v58, v[4:5] offset:16384
	ds_write_b64 v2, v[6:7] offset:16384
	s_waitcnt vmcnt(2)
	ds_write_b64 v58, v[12:13] offset:24576
	ds_write_b64 v2, v[14:15] offset:24576
	s_waitcnt vmcnt(1)
	ds_write_b64 v58, v[16:17] offset:20480
	ds_write_b64 v9, v[18:19] offset:16384
	s_waitcnt vmcnt(0)
	ds_write_b64 v58, v[20:21] offset:28672
	ds_write_b64 v9, v[22:23] offset:24576
	v_lshl_add_u32 v2, v8, 1, v55
	s_cbranch_scc0 .LBB742_3
; %bb.2:
	v_lshlrev_b32_e32 v6, 1, v2
	v_add_lshl_u32 v5, v2, s19, 1
	s_lshl_b32 s26, s19, 7
	v_lshl_or_b32 v4, v54, 9, v3
	s_cbranch_execz .LBB742_4
	s_branch .LBB742_5
.LBB742_3:
                                        ; implicit-def: $vgpr5
                                        ; implicit-def: $vgpr6
                                        ; implicit-def: $sgpr26
	v_lshl_or_b32 v4, v54, 9, v3
.LBB742_4:
	v_or_b32_e32 v5, 0x100, v4
	s_movk_i32 s26, 0x4000
	v_mov_b32_e32 v6, v4
.LBB742_5:
	s_mul_i32 s20, s36, s18
	s_ashr_i32 s57, s54, 31
	s_mul_hi_i32 s3, s36, s18
	s_add_u32 s20, s20, s54
	s_addc_u32 s21, s3, s57
	s_lshl_b64 s[20:21], s[20:21], 8
	s_add_u32 s24, s4, s20
	s_addc_u32 s3, s5, s21
	s_and_b32 s25, s3, 0xffff
	s_movk_i32 s58, 0x80
	buffer_load_dwordx4 v[12:15], v6, s[24:27], 0 offen
	buffer_load_dwordx4 v[16:19], v6, s[24:27], s58 offen
	;; [unrolled: 1-line block ×4, first 2 shown]
	v_and_b32_e32 v3, 6, v0
	v_lshlrev_b32_e32 v6, 2, v50
	v_lshlrev_b32_e32 v7, 3, v50
	v_xor_b32_e32 v9, v54, v3
	v_and_b32_e32 v5, 1, v0
	v_lshl_or_b32 v7, v1, 5, v7
	v_xor_b32_e32 v11, v1, v6
	v_lshlrev_b32_e32 v9, 2, v9
	s_mul_i32 s3, s44, s23
	s_mul_hi_u32 s21, s44, s22
	v_or_b32_e32 v60, 0x9000, v7
	v_or_b32_e32 v61, 0x9800, v7
	v_lshlrev_b32_e32 v7, 1, v11
	v_xor_b32_e32 v11, 0x440, v9
	v_cmp_eq_u32_e32 vcc, 0, v5
	s_add_i32 s25, s47, s46
	s_mul_i32 s24, s56, s22
	v_cndmask_b32_e32 v5, v11, v9, vcc
	s_add_i32 s3, s21, s3
	s_add_i32 s39, s25, s48
	s_mov_b32 s59, 0x1000504
	v_lshlrev_b32_e32 v8, 8, v50
	s_mov_b32 s26, 0x8000
	v_xor_b32_e32 v6, v53, v6
	v_lshl_or_b32 v3, v3, 10, v5
	s_add_i32 s21, s3, s24
	s_lshl_b64 s[24:25], s[38:39], 2
	s_mov_b32 s60, 0x3020706
	s_mul_i32 s20, s44, s22
	v_lshlrev_b32_e32 v6, 1, v6
	v_or3_b32 v62, v7, v8, s26
	v_xor_b32_e32 v5, 8, v3
	v_xor_b32_e32 v7, 24, v3
	;; [unrolled: 1-line block ×4, first 2 shown]
	s_add_u32 s3, s10, s24
	v_or3_b32 v63, v6, v8, s26
	v_xor_b32_e32 v6, 16, v3
	v_xor_b32_e32 v8, 32, v3
	;; [unrolled: 1-line block ×3, first 2 shown]
	v_add_u32_e32 v5, 0x80, v5
	v_add_u32_e32 v7, 0x80, v7
	;; [unrolled: 1-line block ×4, first 2 shown]
	s_addc_u32 s24, s11, s25
	s_lshl_b64 s[20:21], s[20:21], 2
	s_add_u32 s20, s3, s20
	s_movk_i32 s3, 0xf8
	s_addc_u32 s21, s24, s21
	s_lshl_b32 s30, s19, 7
	s_mov_b32 s61, 0
	v_add_u32_e32 v78, v47, v10
	v_mov_b32_e32 v79, 0x3fb8aa3b
	s_waitcnt vmcnt(1)
	v_perm_b32 v29, v12, v20, s59
	s_waitcnt vmcnt(0)
	v_perm_b32 v30, v16, v24, s59
	v_perm_b32 v12, v12, v20, s60
	;; [unrolled: 1-line block ×15, first 2 shown]
	ds_write2st64_b32 v3, v29, v30 offset1:32
	ds_write2st64_b32 v5, v12, v16 offset1:32
	ds_write2st64_b32 v6, v20, v24 offset0:1 offset1:33
	ds_write2st64_b32 v7, v13, v17 offset0:1 offset1:33
	;; [unrolled: 1-line block ×6, first 2 shown]
	v_or_b32_e32 v3, v47, v50
	v_lshlrev_b32_e32 v3, 3, v3
	v_lshrrev_b32_e32 v7, 5, v48
	v_and_or_b32 v7, v3, s3, v7
	v_lshlrev_b32_e32 v7, 4, v7
	v_lshlrev_b32_e32 v5, 11, v46
	v_and_b32_e32 v3, 0x78, v3
	v_or_b32_e32 v12, 32, v7
	v_and_b32_e32 v6, 0x1000, v5
	v_lshrrev_b32_e32 v11, 1, v0
	v_xor_b32_e32 v12, v12, v3
	v_and_b32_e32 v9, 8, v11
	v_or_b32_e32 v12, v12, v6
	v_xor_b32_e32 v8, v7, v3
	v_xor_b32_e32 v66, v12, v9
	v_or_b32_e32 v12, 64, v7
	v_or_b32_e32 v7, 0x60, v7
	;; [unrolled: 1-line block ×3, first 2 shown]
	v_xor_b32_e32 v12, v12, v3
	v_xor_b32_e32 v3, v7, v3
	;; [unrolled: 1-line block ×3, first 2 shown]
	v_and_b32_e32 v8, 0x78, v51
	v_or_b32_e32 v12, v12, v6
	v_or_b32_e32 v3, v3, v6
	v_lshl_or_b32 v8, v49, 7, v8
	v_xor_b32_e32 v67, v12, v9
	v_xor_b32_e32 v68, v3, v9
	v_lshlrev_b32_e32 v12, 1, v2
	v_add_lshl_u32 v13, v2, s19, 1
	v_lshrrev_b32_e32 v2, 4, v0
	v_lshlrev_b32_e32 v3, 1, v50
	v_or_b32_e32 v65, 0x9000, v8
	v_or_b32_e32 v69, 0x9800, v8
	s_ashr_i32 s3, s2, 31
	v_or_b32_e32 v8, 1, v3
	v_xor_b32_e32 v3, v2, v3
	s_lshl_b64 s[24:25], s[2:3], 8
	v_xor_b32_e32 v8, v8, v2
	v_lshlrev_b32_e32 v3, 3, v3
	v_lshlrev_b32_e32 v2, 8, v2
	s_add_u32 s24, s40, s24
	v_or3_b32 v70, v3, v2, s26
	v_lshlrev_b32_e32 v3, 3, v8
	s_addc_u32 s25, s41, s25
	v_or3_b32 v71, v3, v2, s26
	v_mov_b32_e32 v3, 0
	v_lshl_add_u64 v[8:9], s[24:25], 0, v[2:3]
	v_lshlrev_b32_e32 v2, 4, v50
	s_movk_i32 s3, 0xff
	v_lshlrev_b32_e32 v16, 3, v46
	v_and_b32_e32 v11, 24, v11
	v_lshl_add_u64 v[42:43], v[8:9], 0, v[2:3]
	v_and_b32_e32 v8, 8, v0
	v_cmp_lt_u32_e32 vcc, s3, v0
	v_xor_b32_e32 v17, v16, v11
	v_or_b32_e32 v18, 0x440, v17
	v_cndmask_b32_e64 v15, 0, 1, vcc
	v_cmp_eq_u32_e32 vcc, 0, v8
	v_and_b32_e32 v2, 7, v0
	v_lshlrev_b32_e32 v9, 3, v2
	v_cndmask_b32_e32 v8, v18, v17, vcc
	v_lshlrev_b32_e32 v2, 7, v2
	v_or_b32_e32 v8, v8, v5
	v_xad_u32 v72, v8, v9, v2
	v_or_b32_e32 v8, 32, v11
	v_xor_b32_e32 v8, v16, v8
	v_or_b32_e32 v17, 0x440, v8
	v_cndmask_b32_e32 v8, v17, v8, vcc
	v_or_b32_e32 v8, v8, v5
	v_xad_u32 v73, v8, v9, v2
	v_or_b32_e32 v8, 64, v11
	v_xor_b32_e32 v8, v16, v8
	v_xor_b32_e32 v17, 0x440, v8
	v_cndmask_b32_e32 v8, v17, v8, vcc
	v_or_b32_e32 v8, v8, v5
	v_xad_u32 v74, v8, v9, v2
	v_or_b32_e32 v8, 0x60, v11
	v_xor_b32_e32 v8, v16, v8
	v_xor_b32_e32 v11, 0x440, v8
	v_or_b32_e32 v6, s2, v50
	v_cndmask_b32_e32 v8, v11, v8, vcc
	v_ashrrev_i32_e32 v7, 31, v6
	v_or_b32_e32 v5, v8, v5
	v_lshl_add_u64 v[6:7], v[6:7], 1, s[8:9]
	v_or_b32_e32 v14, 0x100, v4
	v_lshlrev_b32_e32 v15, 13, v15
	v_xad_u32 v75, v5, v9, v2
	v_lshlrev_b32_e32 v2, 8, v1
	v_cndmask_b32_e64 v76, v12, v4, s[0:1]
	v_cndmask_b32_e64 v77, v13, v14, s[0:1]
	v_lshl_add_u64 v[44:45], v[6:7], 0, v[2:3]
	s_mov_b32 s3, 0x7060302
	s_movk_i32 s26, 0x4000
	v_add_u32_e32 v80, v15, v72
	v_add_u32_e32 v81, v15, v73
	;; [unrolled: 1-line block ×4, first 2 shown]
	v_mov_b32_e32 v2, v3
	v_mov_b32_e32 v4, v3
	;; [unrolled: 1-line block ×7, first 2 shown]
	s_waitcnt lgkmcnt(0)
	s_barrier
.LBB742_6:                              ; =>This Inner Loop Header: Depth=1
	s_add_i32 s39, s61, 1
	s_cmp_lt_i32 s39, s50
	s_mov_b64 s[28:29], 0
	s_cselect_b64 s[42:43], -1, 0
	s_cmp_ge_i32 s39, s50
	s_mov_b64 s[24:25], 0
	s_cbranch_scc1 .LBB742_8
; %bb.7:                                ;   in Loop: Header=BB742_6 Depth=1
	s_add_i32 s0, s55, 64
	s_ashr_i32 s1, s0, 31
	s_add_u32 s0, s53, s0
	s_addc_u32 s1, s52, s1
	s_lshl_b64 s[0:1], s[0:1], 8
	s_add_u32 s24, s6, s0
	s_addc_u32 s25, s7, s1
.LBB742_8:                              ;   in Loop: Header=BB742_6 Depth=1
	v_cndmask_b32_e64 v5, 0, 1, s[42:43]
	v_cmp_ne_u32_e64 s[0:1], 1, v5
	s_andn2_b64 vcc, exec, s[42:43]
	s_cbranch_vccnz .LBB742_10
; %bb.9:                                ;   in Loop: Header=BB742_6 Depth=1
	s_add_i32 s28, s55, 64
	s_mul_hi_i32 s29, s28, s18
	s_mul_i32 s28, s28, s18
	s_add_u32 s28, s28, s54
	s_addc_u32 s29, s29, s57
	s_lshl_b64 s[28:29], s[28:29], 8
	s_add_u32 s28, s4, s28
	s_addc_u32 s29, s5, s29
.LBB742_10:                             ;   in Loop: Header=BB742_6 Depth=1
	v_perm_b32 v11, v85, v4, s3
	v_perm_b32 v10, v3, v2, s3
	;; [unrolled: 1-line block ×4, first 2 shown]
	ds_write_b64 v60, v[10:11]
	ds_write_b64 v61, v[12:13]
	;; [unrolled: 1-line block ×4, first 2 shown]
	s_waitcnt lgkmcnt(0)
	s_barrier
	ds_read_b64 v[18:19], v64 offset:16384
	ds_read_b64 v[20:21], v66 offset:16384
	ds_read2st64_b64 v[10:13], v65 offset1:1
	s_waitcnt lgkmcnt(0)
	v_mfma_f32_16x16x16_bf16 a[0:3], v[18:19], v[10:11], 0
	ds_read2st64_b64 v[14:17], v65 offset0:2 offset1:3
	ds_read_b64 v[22:23], v67 offset:16384
	ds_read_b64 v[10:11], v68 offset:16384
	s_add_i32 s31, s55, 63
	v_mfma_f32_16x16x16_bf16 a[0:3], v[20:21], v[12:13], a[0:3]
	s_ashr_i32 s42, s31, 31
	s_mul_i32 s43, s31, s15
	s_mul_hi_u32 s62, s31, s14
	s_waitcnt lgkmcnt(1)
	v_mfma_f32_16x16x16_bf16 a[0:3], v[22:23], v[14:15], a[0:3]
	s_add_i32 s43, s62, s43
	s_mul_i32 s42, s42, s14
	s_add_i32 s43, s43, s42
	s_mul_i32 s42, s31, s14
	s_waitcnt lgkmcnt(0)
	v_mfma_f32_16x16x16_bf16 a[0:3], v[10:11], v[16:17], a[0:3]
	s_lshl_b64 s[42:43], s[42:43], 2
	s_add_u32 s42, s20, s42
	s_addc_u32 s43, s21, s43
	s_and_b64 vcc, exec, s[0:1]
	v_mov_b32_e32 v86, 0
	v_mov_b32_e32 v9, 0
	;; [unrolled: 1-line block ×19, first 2 shown]
	s_cbranch_vccnz .LBB742_12
; %bb.11:                               ;   in Loop: Header=BB742_6 Depth=1
	s_and_b32 s25, s25, 0xffff
	buffer_load_dwordx4 v[22:25], v56, s[24:27], 0 offen
	buffer_load_dwordx4 v[18:21], v56, s[24:27], s58 offen
	;; [unrolled: 1-line block ×4, first 2 shown]
	v_mov_b32_e32 v9, v58
	v_mov_b32_e32 v5, v59
.LBB742_12:                             ;   in Loop: Header=BB742_6 Depth=1
	s_waitcnt vmcnt(3)
	v_add_u32_e32 v30, s55, v78
	s_waitcnt vmcnt(1)
	v_ashrrev_i32_e32 v26, 31, v30
	v_mul_lo_u32 v28, v26, s14
	v_mul_lo_u32 v29, v30, s15
	v_mad_u64_u32 v[26:27], s[24:25], v30, s14, 0
	v_add3_u32 v27, v27, v29, v28
	v_lshl_add_u64 v[26:27], v[26:27], 2, s[20:21]
	global_load_dword v92, v[26:27], off
	v_add_u32_e32 v26, 1, v30
	v_ashrrev_i32_e32 v27, 31, v26
	v_mul_lo_u32 v28, v27, s14
	v_mul_lo_u32 v29, v26, s15
	v_mad_u64_u32 v[26:27], s[24:25], v26, s14, 0
	v_add3_u32 v27, v27, v29, v28
	v_add_u32_e32 v28, 2, v30
	v_ashrrev_i32_e32 v29, 31, v28
	v_mul_lo_u32 v31, v29, s14
	v_mul_lo_u32 v32, v28, s15
	v_mad_u64_u32 v[28:29], s[24:25], v28, s14, 0
	v_add_u32_e32 v30, 3, v30
	v_add3_u32 v29, v29, v32, v31
	v_ashrrev_i32_e32 v31, 31, v30
	v_mul_lo_u32 v34, v31, s14
	v_mul_lo_u32 v35, v30, s15
	v_mad_u64_u32 v[30:31], s[24:25], v30, s14, 0
	s_ashr_i32 s25, s55, 31
	s_add_u32 s24, s53, s55
	s_addc_u32 s25, s52, s25
	s_lshl_b64 s[24:25], s[24:25], 8
	v_lshl_add_u64 v[26:27], v[26:27], 2, s[20:21]
	v_lshl_add_u64 v[32:33], v[44:45], 0, s[24:25]
	v_add3_u32 v31, v31, v35, v34
	v_lshl_add_u64 v[28:29], v[28:29], 2, s[20:21]
	global_load_ushort v93, v[32:33], off
	global_load_ushort v94, v[32:33], off offset:256
	global_load_ushort v95, v[32:33], off offset:512
	;; [unrolled: 1-line block ×3, first 2 shown]
	v_lshl_add_u64 v[30:31], v[30:31], 2, s[20:21]
	global_load_dword v97, v[26:27], off
	global_load_dword v98, v[28:29], off
	;; [unrolled: 1-line block ×3, first 2 shown]
	s_load_dword s24, s[42:43], 0x0
	ds_read_b64 v[34:35], v64 offset:24576
	ds_read2st64_b64 v[30:33], v69 offset1:1
	ds_read2st64_b64 v[36:39], v69 offset0:2 offset1:3
	ds_read_b64 v[40:41], v66 offset:24576
	ds_read_b64 v[88:89], v67 offset:24576
	;; [unrolled: 1-line block ×3, first 2 shown]
	s_waitcnt lgkmcnt(0)
	v_mfma_f32_16x16x16_bf16 a[0:3], v[34:35], v[30:31], a[0:3]
	v_mov_b32_e32 v87, 0
	v_mov_b32_e32 v26, 0
	v_mov_b32_e32 v27, 0
	v_mfma_f32_16x16x16_bf16 a[0:3], v[40:41], v[32:33], a[0:3]
	v_mov_b32_e32 v28, 0
	v_mov_b32_e32 v29, 0
	v_mov_b32_e32 v30, 0
	;; [unrolled: 4-line block ×4, first 2 shown]
	s_and_b64 vcc, exec, s[0:1]
	s_waitcnt vmcnt(7)
	v_sub_f32_e32 v37, s24, v92
	v_mul_f32_e32 v37, 0x3fb8aa3b, v37
	v_exp_f32_e32 v92, v37
	v_accvgpr_read_b32 v41, a1
	v_accvgpr_read_b32 v39, a3
	;; [unrolled: 1-line block ×4, first 2 shown]
	s_waitcnt vmcnt(6)
	v_lshlrev_b32_e32 v88, 16, v93
	s_waitcnt vmcnt(5)
	v_lshlrev_b32_e32 v89, 16, v94
	;; [unrolled: 2-line block ×3, first 2 shown]
	s_waitcnt vmcnt(2)
	v_sub_f32_e32 v93, s24, v97
	s_waitcnt vmcnt(1)
	v_sub_f32_e32 v94, s24, v98
	;; [unrolled: 2-line block ×3, first 2 shown]
	v_mul_f32_e32 v37, 0x3fb8aa3b, v93
	v_mul_f32_e32 v94, 0x3fb8aa3b, v94
	;; [unrolled: 1-line block ×3, first 2 shown]
	v_exp_f32_e32 v93, v37
	v_exp_f32_e32 v94, v94
	;; [unrolled: 1-line block ×3, first 2 shown]
	v_lshlrev_b32_e32 v91, 16, v96
	v_pk_add_f32 v[40:41], v[88:89], v[40:41] neg_lo:[0,1] neg_hi:[0,1]
	v_pk_add_f32 v[38:39], v[90:91], v[38:39] neg_lo:[0,1] neg_hi:[0,1]
	v_pk_mul_f32 v[40:41], v[92:93], v[40:41]
	v_pk_mul_f32 v[38:39], v[94:95], v[38:39]
	v_mov_b32_e32 v37, 0
	v_perm_b32 v39, v39, v38, s3
	v_perm_b32 v38, v41, v40, s3
	ds_write_b64 v61, v[38:39]
	v_mov_b32_e32 v38, 0
	v_mov_b32_e32 v39, 0
	;; [unrolled: 1-line block ×4, first 2 shown]
	s_cbranch_vccnz .LBB742_14
; %bb.13:                               ;   in Loop: Header=BB742_6 Depth=1
	s_and_b32 s29, s29, 0xffff
	s_mov_b32 s31, s27
	buffer_load_dwordx4 v[38:41], v76, s[28:31], 0 offen
	buffer_load_dwordx4 v[30:33], v76, s[28:31], s58 offen
	;; [unrolled: 1-line block ×4, first 2 shown]
	v_mov_b32_e32 v86, v55
	v_mov_b32_e32 v87, v54
.LBB742_14:                             ;   in Loop: Header=BB742_6 Depth=1
	s_waitcnt lgkmcnt(0)
	s_barrier
	ds_read_b64 v[96:97], v80
	ds_read2st64_b64 v[88:91], v69 offset1:1
	ds_read2st64_b64 v[92:95], v69 offset0:2 offset1:3
	ds_read_b64 v[98:99], v81
	ds_read_b64 v[100:101], v82
	;; [unrolled: 1-line block ×3, first 2 shown]
	s_waitcnt lgkmcnt(4)
	v_mfma_f32_16x16x16_bf16 a[0:3], v[96:97], v[88:89], 0
	ds_read_b64 v[96:97], v72 offset:8192
	ds_read_b64 v[104:105], v73 offset:8192
	s_add_i32 s25, s51, s61
	s_mul_hi_i32 s29, s25, s45
	s_waitcnt lgkmcnt(1)
	v_mfma_f32_16x16x16_bf16 a[4:7], v[96:97], v[88:89], 0
	s_mul_i32 s25, s25, s45
	s_add_u32 s28, s25, s44
	s_addc_u32 s29, s29, s56
	v_mfma_f32_16x16x16_bf16 a[0:3], v[98:99], v[90:91], a[0:3]
	ds_read_b64 v[96:97], v70
	ds_read_b64 v[98:99], v71
	ds_read_b64 v[88:89], v74 offset:8192
	s_lshl_b64 s[28:29], s[28:29], 15
	v_mfma_f32_16x16x16_bf16 a[0:3], v[100:101], v[92:93], a[0:3]
	ds_read_b64 v[100:101], v75 offset:8192
	s_and_b64 vcc, exec, s[0:1]
	s_waitcnt lgkmcnt(4)
	v_mfma_f32_16x16x16_bf16 a[4:7], v[104:105], v[90:91], a[4:7]
	s_waitcnt lgkmcnt(1)
	v_mfma_f32_16x16x16_bf16 a[4:7], v[88:89], v[92:93], a[4:7]
	v_lshl_add_u64 v[88:89], v[42:43], 0, s[28:29]
	global_store_dwordx4 v[88:89], v[96:99], off
	v_mfma_f32_16x16x16_bf16 a[0:3], v[102:103], v[94:95], a[0:3]
	s_waitcnt lgkmcnt(0)
	v_mfma_f32_16x16x16_bf16 a[4:7], v[100:101], v[94:95], a[4:7]
	s_cbranch_vccnz .LBB742_16
; %bb.15:                               ;   in Loop: Header=BB742_6 Depth=1
	v_lshrrev_b32_e32 v88, 3, v86
	v_and_b32_e32 v88, 6, v88
	v_xor_b32_e32 v87, v88, v87
	v_lshlrev_b32_e32 v87, 2, v87
	v_and_b32_e32 v86, 8, v86
	v_xor_b32_e32 v89, 0x440, v87
	v_cmp_eq_u32_e32 vcc, 0, v86
	s_barrier
	s_nop 0
	v_cndmask_b32_e32 v86, v89, v87, vcc
	v_lshl_or_b32 v86, v88, 10, v86
	s_waitcnt vmcnt(2)
	v_perm_b32 v87, v38, v34, s59
	s_waitcnt vmcnt(1)
	v_perm_b32 v88, v30, v26, s59
	ds_write2st64_b32 v86, v87, v88 offset1:32
	v_xor_b32_e32 v87, 8, v86
	v_perm_b32 v34, v38, v34, s60
	v_perm_b32 v26, v30, v26, s60
	v_add_u32_e32 v30, 0x80, v87
	ds_write2st64_b32 v30, v34, v26 offset1:32
	v_xor_b32_e32 v26, 16, v86
	v_perm_b32 v30, v39, v35, s59
	v_perm_b32 v34, v31, v27, s59
	ds_write2st64_b32 v26, v30, v34 offset0:1 offset1:33
	v_xor_b32_e32 v26, 24, v86
	v_perm_b32 v30, v39, v35, s60
	v_perm_b32 v27, v31, v27, s60
	v_add_u32_e32 v26, 0x80, v26
	ds_write2st64_b32 v26, v30, v27 offset0:1 offset1:33
	v_xor_b32_e32 v26, 32, v86
	v_perm_b32 v27, v40, v36, s59
	v_perm_b32 v30, v32, v28, s59
	ds_write2st64_b32 v26, v27, v30 offset0:2 offset1:34
	v_xor_b32_e32 v26, 40, v86
	v_perm_b32 v27, v40, v36, s60
	v_perm_b32 v28, v32, v28, s60
	v_add_u32_e32 v26, 0x80, v26
	ds_write2st64_b32 v26, v27, v28 offset0:2 offset1:34
	;; [unrolled: 9-line block ×3, first 2 shown]
	ds_write_b64 v9, v[22:23] offset:16384
	v_xor_b32_e32 v22, 8, v9
	ds_write_b64 v22, v[24:25] offset:16384
	ds_write_b64 v9, v[18:19] offset:24576
	;; [unrolled: 1-line block ×4, first 2 shown]
	v_xor_b32_e32 v9, 8, v5
	ds_write_b64 v9, v[16:17] offset:16384
	ds_write_b64 v5, v[10:11] offset:24576
	;; [unrolled: 1-line block ×3, first 2 shown]
.LBB742_16:                             ;   in Loop: Header=BB742_6 Depth=1
	v_mul_f32_e32 v5, s24, v79
	v_exp_f32_e32 v10, v5
	s_nop 1
	v_accvgpr_read_b32 v9, a1
	v_accvgpr_read_b32 v5, a0
	s_add_i32 s55, s55, 64
	v_fma_f32 v3, v3, v10, v9
	v_accvgpr_read_b32 v9, a4
	v_fma_f32 v6, v6, v10, v9
	v_accvgpr_read_b32 v9, a5
	;; [unrolled: 2-line block ×6, first 2 shown]
	v_fmac_f32_e32 v5, v85, v10
	s_cmp_eq_u32 s50, s39
	v_fmac_f32_e32 v9, v84, v10
	s_cbranch_scc1 .LBB742_18
; %bb.17:                               ;   in Loop: Header=BB742_6 Depth=1
	s_mov_b32 s61, s39
	v_mov_b32_e32 v85, v5
	v_mov_b32_e32 v84, v9
	s_branch .LBB742_6
.LBB742_18:
	s_lshl_b32 s3, s50, 6
	s_sub_i32 s49, s49, s3
	s_cmp_gt_i32 s49, 0
	s_waitcnt vmcnt(2)
	v_or_b32_e32 v34, s2, v50
	s_cbranch_scc1 .LBB742_20
; %bb.19:
	s_ashr_i32 s21, s44, 31
	v_or_b32_e32 v10, s2, v50
	s_cbranch_execz .LBB742_21
	s_branch .LBB742_77
.LBB742_20:
                                        ; implicit-def: $vgpr10
                                        ; implicit-def: $sgpr20_sgpr21
.LBB742_21:
	s_add_i32 s20, s3, s36
	s_ashr_i32 s3, s20, 31
	s_cmpk_lg_i32 s19, 0x80
	s_cselect_b64 s[30:31], -1, 0
	s_and_b64 vcc, exec, s[30:31]
	s_cbranch_vccz .LBB742_23
; %bb.22:
	s_mul_hi_i32 s0, s20, s18
	s_mul_i32 s1, s20, s18
	s_ashr_i32 s18, s54, 31
	s_add_u32 s42, s1, s54
	s_addc_u32 s43, s0, s18
	s_cbranch_execz .LBB742_24
	s_branch .LBB742_25
.LBB742_23:
                                        ; implicit-def: $sgpr42_sgpr43
.LBB742_24:
	s_mul_i32 s1, s54, s16
	s_mul_hi_i32 s0, s54, s16
	s_add_u32 s42, s1, s20
	s_addc_u32 s43, s0, s3
.LBB742_25:
	s_add_i32 s16, s50, s51
	s_ashr_i32 s21, s44, 31
	s_add_u32 s0, s53, s20
	s_addc_u32 s1, s52, s3
	s_mov_b32 s3, 0x7060302
	v_lshlrev_b32_e32 v14, 3, v50
	s_lshl_b64 s[28:29], s[0:1], 8
	v_perm_b32 v11, v5, v4, s3
	v_perm_b32 v10, v3, v2, s3
	;; [unrolled: 1-line block ×4, first 2 shown]
	v_lshlrev_b32_e32 v44, 2, v50
	v_lshl_or_b32 v14, v1, 5, v14
	s_add_u32 s0, s6, s28
	ds_write2st64_b64 v14, v[10:11], v[12:13] offset0:72 offset1:76
	v_xor_b32_e32 v14, v1, v44
	v_lshlrev_b32_e32 v15, 8, v50
	s_addc_u32 s1, s7, s29
	v_lshl_or_b32 v14, v14, 1, v15
	s_mul_hi_i32 s3, s16, s17
	s_mul_i32 s16, s16, s17
	ds_write_b64 v14, v[10:11] offset:32768
	v_xor_b32_e32 v10, v53, v44
	s_add_u32 s6, s16, s44
	v_lshl_or_b32 v10, v10, 1, v15
	s_addc_u32 s7, s3, s21
	v_lshlrev_b32_e32 v11, 1, v50
	ds_write_b64 v10, v[12:13] offset:32768
	v_lshrrev_b32_e32 v10, 4, v0
	s_ashr_i32 s3, s2, 31
	s_lshl_b64 s[6:7], s[6:7], 15
	v_or_b32_e32 v12, 1, v11
	s_add_u32 s6, s40, s6
	v_xor_b32_e32 v11, v10, v11
	v_xor_b32_e32 v12, v12, v10
	v_lshlrev_b32_e32 v14, 8, v10
	s_addc_u32 s7, s41, s7
	s_lshl_b64 s[2:3], s[2:3], 8
	v_lshl_or_b32 v10, v11, 3, v14
	v_lshl_or_b32 v12, v12, 3, v14
	s_waitcnt lgkmcnt(0)
	s_barrier
	s_add_u32 s2, s6, s2
	ds_read_b64 v[10:11], v10 offset:32768
	ds_read_b64 v[12:13], v12 offset:32768
	s_addc_u32 s3, s7, s3
	v_mov_b32_e32 v15, 0
	s_cmp_lg_u32 s49, 64
	v_lshl_add_u64 v[16:17], s[2:3], 0, v[14:15]
	v_lshlrev_b32_e32 v14, 4, v50
	s_cselect_b64 s[6:7], -1, 0
	v_lshl_or_b32 v35, v46, 3, v52
	s_mov_b32 s24, 0
	v_lshl_add_u64 v[14:15], v[16:17], 0, v[14:15]
	s_waitcnt vmcnt(1)
	v_or_b32_e32 v27, 32, v35
	v_and_b32_e32 v26, 56, v51
	s_and_b64 vcc, exec, s[6:7]
	s_waitcnt lgkmcnt(0)
	global_store_dwordx4 v[14:15], v[10:13], off
	s_cbranch_vccz .LBB742_31
; %bb.26:
	s_mov_b32 s25, s24
	s_mov_b32 s26, s24
	;; [unrolled: 1-line block ×3, first 2 shown]
	v_mov_b64_e32 v[14:15], s[24:25]
	v_mov_b64_e32 v[16:17], s[26:27]
	;; [unrolled: 1-line block ×3, first 2 shown]
	v_cmp_gt_i32_e32 vcc, s49, v35
	v_mov_b64_e32 v[12:13], v[16:17]
	s_and_saveexec_b64 s[2:3], vcc
	s_cbranch_execz .LBB742_28
; %bb.27:
	v_lshlrev_b32_e32 v10, 8, v35
	v_mov_b32_e32 v11, 0
	v_lshl_add_u64 v[12:13], s[0:1], 0, v[10:11]
	v_lshlrev_b32_e32 v10, 1, v26
	v_lshl_add_u64 v[18:19], v[12:13], 0, v[10:11]
	global_load_dwordx4 v[14:17], v[18:19], off
	global_load_dwordx4 v[10:13], v[18:19], off offset:128
.LBB742_28:
	s_or_b64 exec, exec, s[2:3]
	s_mov_b32 s25, s24
	s_mov_b32 s26, s24
	;; [unrolled: 1-line block ×3, first 2 shown]
	v_mov_b64_e32 v[22:23], s[24:25]
	v_mov_b64_e32 v[24:25], s[26:27]
	;; [unrolled: 1-line block ×3, first 2 shown]
	v_cmp_gt_i32_e32 vcc, s49, v27
	v_lshlrev_b32_e32 v28, 7, v27
	v_mov_b64_e32 v[20:21], v[24:25]
	s_and_saveexec_b64 s[2:3], vcc
	s_cbranch_execz .LBB742_30
; %bb.29:
	v_lshlrev_b32_e32 v18, 1, v28
	v_mov_b32_e32 v19, 0
	v_lshl_add_u64 v[20:21], s[0:1], 0, v[18:19]
	v_lshlrev_b32_e32 v18, 1, v26
	v_lshl_add_u64 v[30:31], v[20:21], 0, v[18:19]
	global_load_dwordx4 v[22:25], v[30:31], off
	global_load_dwordx4 v[18:21], v[30:31], off offset:128
.LBB742_30:
	s_or_b64 exec, exec, s[2:3]
	v_lshrrev_b32_e32 v29, 3, v26
	v_lshlrev_b32_e32 v30, 3, v35
	v_or_b32_e32 v29, v30, v29
	v_lshlrev_b32_e32 v29, 4, v29
	v_and_b32_e32 v30, 0x78, v30
	v_xor_b32_e32 v29, v29, v30
	s_branch .LBB742_33
.LBB742_31:
                                        ; implicit-def: $vgpr29
                                        ; implicit-def: $vgpr28
                                        ; implicit-def: $vgpr14_vgpr15_vgpr16_vgpr17
                                        ; implicit-def: $vgpr10_vgpr11_vgpr12_vgpr13
                                        ; implicit-def: $vgpr22_vgpr23_vgpr24_vgpr25
                                        ; implicit-def: $vgpr18_vgpr19_vgpr20_vgpr21
	s_cbranch_execz .LBB742_33
; %bb.32:
	s_waitcnt vmcnt(0)
	v_lshlrev_b32_e32 v10, 1, v26
	v_lshl_or_b32 v28, v35, 8, v10
	s_and_b32 s1, s1, 0xffff
	s_mov_b32 s3, 0x20000
	s_movk_i32 s2, 0x4000
	v_lshl_or_b32 v29, v27, 8, v10
	s_movk_i32 s16, 0x80
	buffer_load_dwordx4 v[14:17], v28, s[0:3], 0 offen
	buffer_load_dwordx4 v[10:13], v28, s[0:3], s16 offen
	;; [unrolled: 1-line block ×4, first 2 shown]
	v_lshrrev_b32_e32 v28, 3, v26
	v_lshlrev_b32_e32 v29, 3, v35
	v_or_b32_e32 v28, v29, v28
	v_lshlrev_b32_e32 v28, 4, v28
	v_and_b32_e32 v29, 0x78, v29
	v_xor_b32_e32 v29, v28, v29
	v_lshlrev_b32_e32 v28, 7, v27
.LBB742_33:
	s_lshl_b64 s[0:1], s[42:43], 8
	s_add_u32 s4, s4, s0
	s_movk_i32 s0, 0x1000
	v_and_or_b32 v27, v28, s0, v29
	s_waitcnt vmcnt(1)
	ds_write_b64 v29, v[14:15] offset:16384
	v_xor_b32_e32 v14, 8, v29
	ds_write_b64 v14, v[16:17] offset:16384
	s_waitcnt vmcnt(0)
	ds_write_b64 v29, v[10:11] offset:24576
	ds_write_b64 v14, v[12:13] offset:24576
	;; [unrolled: 1-line block ×3, first 2 shown]
	v_xor_b32_e32 v10, 8, v27
	ds_write_b64 v10, v[24:25] offset:16384
	ds_write_b64 v27, v[18:19] offset:24576
	;; [unrolled: 1-line block ×3, first 2 shown]
	v_or_b32_e32 v10, v47, v50
	v_lshlrev_b32_e32 v10, 3, v10
	v_lshrrev_b32_e32 v12, 5, v48
	s_movk_i32 s18, 0xf8
	v_and_or_b32 v12, v10, s18, v12
	v_lshlrev_b32_e32 v45, 11, v46
	v_lshlrev_b32_e32 v20, 4, v12
	v_and_b32_e32 v21, 0x78, v10
	v_and_b32_e32 v22, 0x1000, v45
	v_lshlrev_b32_e32 v11, 2, v0
	v_xor_b32_e32 v10, v20, v21
	v_lshrrev_b32_e32 v12, 1, v48
	v_and_b32_e32 v11, 60, v11
	v_or_b32_e32 v10, v10, v22
	v_and_b32_e32 v23, 8, v12
	v_xor_b32_e32 v36, v10, v23
	v_lshl_or_b32 v10, v49, 6, v11
	v_lshlrev_b32_e32 v49, 1, v10
	v_or_b32_e32 v10, 32, v20
	v_xor_b32_e32 v10, v10, v21
	s_waitcnt lgkmcnt(0)
	s_barrier
	ds_read_b64 v[18:19], v36 offset:16384
	v_or_b32_e32 v10, v10, v22
	v_xor_b32_e32 v37, v10, v23
	v_or_b32_e32 v10, 64, v20
	v_xor_b32_e32 v10, v10, v21
	v_or_b32_e32 v10, v10, v22
	v_or_b32_e32 v20, 0x60, v20
	v_xor_b32_e32 v38, v10, v23
	ds_read2st64_b64 v[10:13], v49 offset0:72 offset1:73
	ds_read2st64_b64 v[14:17], v49 offset0:74 offset1:75
	v_xor_b32_e32 v24, v20, v21
	ds_read_b64 v[20:21], v37 offset:16384
	s_waitcnt lgkmcnt(2)
	v_mfma_f32_16x16x16_bf16 a[0:3], v[18:19], v[10:11], 0
	s_addc_u32 s5, s5, s1
	s_add_i32 s2, s37, -1
	s_add_i32 s0, s47, s46
	s_add_i32 s39, s0, s48
	s_mul_i32 s0, s44, s23
	s_mul_hi_u32 s1, s44, s22
	s_ashr_i32 s3, s2, 31
	s_mul_i32 s16, s2, s15
	s_mul_hi_u32 s17, s2, s14
	s_add_i32 s0, s1, s0
	s_mul_i32 s1, s21, s22
	s_add_i32 s16, s17, s16
	s_mul_i32 s3, s3, s14
	v_or_b32_e32 v22, v24, v22
	s_add_i32 s1, s0, s1
	s_add_i32 s3, s16, s3
	s_lshl_b64 s[16:17], s[38:39], 2
	v_xor_b32_e32 v50, v22, v23
	ds_read_b64 v[22:23], v38 offset:16384
	ds_read_b64 v[24:25], v50 offset:16384
	s_waitcnt lgkmcnt(2)
	v_mfma_f32_16x16x16_bf16 a[0:3], v[20:21], v[12:13], a[0:3]
	s_mul_i32 s0, s44, s22
	s_add_u32 s10, s10, s16
	s_addc_u32 s11, s11, s17
	s_lshl_b64 s[0:1], s[0:1], 2
	s_mul_i32 s2, s2, s14
	s_add_u32 s10, s10, s0
	s_addc_u32 s11, s11, s1
	s_lshl_b64 s[0:1], s[2:3], 2
	s_waitcnt lgkmcnt(1)
	v_mfma_f32_16x16x16_bf16 a[0:3], v[22:23], v[14:15], a[0:3]
	s_add_u32 s0, s10, s0
	s_addc_u32 s1, s11, s1
	s_load_dword s16, s[0:1], 0x0
	s_waitcnt lgkmcnt(0)
	v_mfma_f32_16x16x16_bf16 a[0:3], v[24:25], v[16:17], a[0:3]
	s_and_b64 vcc, exec, s[30:31]
	s_cbranch_vccz .LBB742_44
; %bb.34:
	v_lshlrev_b32_e32 v27, 1, v35
	s_and_b64 vcc, exec, s[6:7]
	s_cbranch_vccz .LBB742_45
; %bb.35:
	v_cmp_gt_i32_e32 vcc, s49, v27
	v_mov_b32_e32 v14, 0
	v_mov_b32_e32 v10, 0
	v_mov_b32_e32 v11, 0
	v_mov_b32_e32 v12, 0
	v_mov_b32_e32 v13, 0
	s_and_saveexec_b64 s[0:1], vcc
	s_cbranch_execz .LBB742_37
; %bb.36:
	v_mad_i64_i32 v[10:11], s[2:3], s19, v27, 0
	v_lshl_add_u64 v[10:11], v[10:11], 1, s[4:5]
	v_lshlrev_b32_e32 v12, 1, v26
	v_mov_b32_e32 v13, 0
	v_lshl_add_u64 v[10:11], v[10:11], 0, v[12:13]
	global_load_dwordx4 v[10:13], v[10:11], off
.LBB742_37:
	s_or_b64 exec, exec, s[0:1]
	v_or_b32_e32 v28, 1, v27
	v_cmp_gt_i32_e64 s[0:1], s49, v28
	v_mov_b32_e32 v15, 0
	v_mov_b32_e32 v16, 0
	;; [unrolled: 1-line block ×3, first 2 shown]
	s_and_saveexec_b64 s[2:3], s[0:1]
	s_cbranch_execz .LBB742_39
; %bb.38:
	v_mad_i64_i32 v[14:15], s[22:23], s19, v28, 0
	v_lshl_add_u64 v[14:15], v[14:15], 1, s[4:5]
	v_lshlrev_b32_e32 v16, 1, v26
	v_mov_b32_e32 v17, 0
	v_lshl_add_u64 v[14:15], v[14:15], 0, v[16:17]
	global_load_dwordx4 v[14:17], v[14:15], off
.LBB742_39:
	s_or_b64 exec, exec, s[2:3]
	v_mov_b32_e32 v25, 0
	v_mov_b32_e32 v18, 0
	;; [unrolled: 1-line block ×5, first 2 shown]
	s_and_saveexec_b64 s[2:3], vcc
	s_cbranch_execz .LBB742_41
; %bb.40:
	v_mad_i64_i32 v[18:19], s[22:23], s19, v27, 0
	v_lshl_add_u64 v[18:19], v[18:19], 1, s[4:5]
	v_lshlrev_b32_e32 v20, 1, v26
	v_mov_b32_e32 v21, 0
	v_lshl_add_u64 v[18:19], v[18:19], 0, v[20:21]
	global_load_dwordx4 v[18:21], v[18:19], off offset:128
.LBB742_41:
	s_or_b64 exec, exec, s[2:3]
	v_mov_b32_e32 v24, 0
	v_mov_b32_e32 v23, 0
	;; [unrolled: 1-line block ×3, first 2 shown]
	s_and_saveexec_b64 s[2:3], s[0:1]
	s_cbranch_execz .LBB742_43
; %bb.42:
	v_mad_i64_i32 v[22:23], s[0:1], s19, v28, 0
	v_lshl_add_u64 v[22:23], v[22:23], 1, s[4:5]
	v_lshlrev_b32_e32 v24, 1, v26
	v_mov_b32_e32 v25, 0
	v_lshl_add_u64 v[22:23], v[22:23], 0, v[24:25]
	global_load_dwordx4 v[22:25], v[22:23], off offset:128
.LBB742_43:
	s_or_b64 exec, exec, s[2:3]
	s_branch .LBB742_47
.LBB742_44:
                                        ; implicit-def: $vgpr13
                                        ; implicit-def: $vgpr17
                                        ; implicit-def: $vgpr21
                                        ; implicit-def: $vgpr25
	v_lshrrev_b32_e32 v48, 2, v48
	s_branch .LBB742_48
.LBB742_45:
                                        ; implicit-def: $vgpr13
                                        ; implicit-def: $vgpr17
                                        ; implicit-def: $vgpr21
                                        ; implicit-def: $vgpr25
	s_cbranch_execz .LBB742_47
; %bb.46:
	s_waitcnt vmcnt(0)
	v_mad_u64_u32 v[10:11], s[0:1], v27, s19, v[26:27]
	v_lshlrev_b32_e32 v27, 1, v10
	s_lshl_b32 s2, s19, 7
	s_and_b32 s1, s5, 0xffff
	s_mov_b32 s3, 0x20000
	s_mov_b32 s0, s4
	v_add_lshl_u32 v28, v10, s19, 1
	s_movk_i32 s17, 0x80
	buffer_load_dwordx4 v[10:13], v27, s[0:3], 0 offen
	buffer_load_dwordx4 v[18:21], v27, s[0:3], s17 offen
	;; [unrolled: 1-line block ×4, first 2 shown]
.LBB742_47:
	v_lshrrev_b32_e32 v48, 2, v48
	s_cbranch_execnz .LBB742_60
.LBB742_48:
	s_and_b64 vcc, exec, s[6:7]
	s_cbranch_vccz .LBB742_58
; %bb.49:
	s_waitcnt vmcnt(0)
	v_lshlrev_b32_e32 v15, 1, v35
	v_cmp_gt_i32_e32 vcc, s49, v15
	v_mov_b32_e32 v14, 0
	v_lshlrev_b32_e32 v22, 9, v35
	v_mov_b32_e32 v10, 0
	v_mov_b32_e32 v11, 0
	v_mov_b32_e32 v12, 0
	v_mov_b32_e32 v13, 0
	s_and_saveexec_b64 s[0:1], vcc
	s_cbranch_execz .LBB742_51
; %bb.50:
	v_mov_b32_e32 v23, 0
	v_lshl_add_u64 v[10:11], s[4:5], 0, v[22:23]
	v_lshlrev_b32_e32 v12, 1, v26
	v_mov_b32_e32 v13, v23
	v_lshl_add_u64 v[10:11], v[10:11], 0, v[12:13]
	global_load_dwordx4 v[10:13], v[10:11], off
.LBB742_51:
	s_or_b64 exec, exec, s[0:1]
	v_or_b32_e32 v15, 1, v15
	v_cmp_gt_i32_e64 s[0:1], s49, v15
	v_lshlrev_b32_e32 v28, 8, v15
	v_mov_b32_e32 v15, 0
	v_mov_b32_e32 v16, 0
	;; [unrolled: 1-line block ×3, first 2 shown]
	s_and_saveexec_b64 s[2:3], s[0:1]
	s_cbranch_execz .LBB742_53
; %bb.52:
	v_mov_b32_e32 v29, 0
	v_lshl_add_u64 v[14:15], s[4:5], 0, v[28:29]
	v_lshlrev_b32_e32 v16, 1, v26
	v_mov_b32_e32 v17, v29
	v_lshl_add_u64 v[14:15], v[14:15], 0, v[16:17]
	global_load_dwordx4 v[14:17], v[14:15], off
.LBB742_53:
	s_or_b64 exec, exec, s[2:3]
	v_mov_b32_e32 v25, 0
	v_mov_b32_e32 v18, 0
	;; [unrolled: 1-line block ×5, first 2 shown]
	s_and_saveexec_b64 s[2:3], vcc
	s_cbranch_execz .LBB742_55
; %bb.54:
	v_mov_b32_e32 v23, 0
	v_lshl_add_u64 v[18:19], s[4:5], 0, v[22:23]
	v_lshlrev_b32_e32 v22, 1, v26
	v_lshl_add_u64 v[18:19], v[18:19], 0, v[22:23]
	global_load_dwordx4 v[18:21], v[18:19], off offset:128
.LBB742_55:
	s_or_b64 exec, exec, s[2:3]
	v_mov_b32_e32 v24, 0
	v_mov_b32_e32 v23, 0
	;; [unrolled: 1-line block ×3, first 2 shown]
	s_and_saveexec_b64 s[2:3], s[0:1]
	s_cbranch_execz .LBB742_57
; %bb.56:
	v_mov_b32_e32 v29, 0
	v_lshl_add_u64 v[22:23], s[4:5], 0, v[28:29]
	v_lshlrev_b32_e32 v28, 1, v26
	v_lshl_add_u64 v[22:23], v[22:23], 0, v[28:29]
	global_load_dwordx4 v[22:25], v[22:23], off offset:128
.LBB742_57:
	s_or_b64 exec, exec, s[2:3]
	s_branch .LBB742_60
.LBB742_58:
                                        ; implicit-def: $vgpr13
                                        ; implicit-def: $vgpr17
                                        ; implicit-def: $vgpr21
                                        ; implicit-def: $vgpr25
	s_cbranch_execz .LBB742_60
; %bb.59:
	s_waitcnt vmcnt(0)
	v_lshlrev_b32_e32 v10, 1, v26
	v_lshl_or_b32 v26, v35, 9, v10
	s_and_b32 s5, s5, 0xffff
	s_mov_b32 s7, 0x20000
	s_movk_i32 s6, 0x4000
	s_movk_i32 s0, 0x80
	buffer_load_dwordx4 v[10:13], v26, s[4:7], 0 offen
	buffer_load_dwordx4 v[14:17], v26, s[4:7], 0 offen offset:256
	buffer_load_dwordx4 v[18:21], v26, s[4:7], s0 offen
	buffer_load_dwordx4 v[22:25], v26, s[4:7], s0 offen offset:256
.LBB742_60:
	ds_read2st64_b64 v[30:33], v49 offset0:76 offset1:77
	ds_read2st64_b64 v[26:29], v49 offset0:78 offset1:79
	ds_read_b64 v[40:41], v36 offset:24576
	ds_read_b64 v[42:43], v37 offset:24576
	;; [unrolled: 1-line block ×4, first 2 shown]
	v_and_b32_e32 v50, 6, v0
	v_xor_b32_e32 v35, v35, v50
	v_lshlrev_b32_e32 v35, 2, v35
	v_and_b32_e32 v51, 1, v0
	v_xor_b32_e32 v52, 0x440, v35
	v_cmp_eq_u32_e32 vcc, 0, v51
	s_mov_b32 s0, 0x1000504
	s_waitcnt vmcnt(0)
	v_perm_b32 v51, v18, v22, s0
	v_cndmask_b32_e32 v35, v52, v35, vcc
	v_lshl_or_b32 v35, v50, 10, v35
	v_perm_b32 v50, v10, v14, s0
	ds_write2st64_b32 v35, v50, v51 offset1:32
	v_xor_b32_e32 v50, 8, v35
	s_mov_b32 s1, 0x3020706
	v_perm_b32 v10, v10, v14, s1
	v_perm_b32 v14, v18, v22, s1
	v_add_u32_e32 v18, 0x80, v50
	ds_write2st64_b32 v18, v10, v14 offset1:32
	v_xor_b32_e32 v10, 16, v35
	v_perm_b32 v14, v11, v15, s0
	v_perm_b32 v18, v19, v23, s0
	ds_write2st64_b32 v10, v14, v18 offset0:1 offset1:33
	v_xor_b32_e32 v10, 24, v35
	v_perm_b32 v11, v11, v15, s1
	v_perm_b32 v14, v19, v23, s1
	v_add_u32_e32 v10, 0x80, v10
	ds_write2st64_b32 v10, v11, v14 offset0:1 offset1:33
	v_xor_b32_e32 v10, 32, v35
	v_perm_b32 v11, v12, v16, s0
	v_perm_b32 v14, v20, v24, s0
	ds_write2st64_b32 v10, v11, v14 offset0:2 offset1:34
	v_xor_b32_e32 v10, 40, v35
	v_perm_b32 v11, v12, v16, s1
	v_perm_b32 v12, v20, v24, s1
	v_add_u32_e32 v10, 0x80, v10
	ds_write2st64_b32 v10, v11, v12 offset0:2 offset1:34
	v_xor_b32_e32 v10, 48, v35
	v_perm_b32 v11, v13, v17, s0
	v_perm_b32 v12, v21, v25, s0
	ds_write2st64_b32 v10, v11, v12 offset0:3 offset1:35
	v_xor_b32_e32 v10, 56, v35
	v_and_or_b32 v16, v48, 12, v47
	v_perm_b32 v11, v13, v17, s1
	v_perm_b32 v12, v21, v25, s1
	v_add_u32_e32 v10, 0x80, v10
	v_cmp_gt_i32_e32 vcc, s49, v16
	v_mov_b32_e32 v17, 0
	v_mov_b32_e32 v21, 0
	ds_write2st64_b32 v10, v11, v12 offset0:3 offset1:35
	s_and_saveexec_b64 s[0:1], vcc
	s_cbranch_execz .LBB742_62
; %bb.61:
	v_add_u32_e32 v10, s20, v16
	v_ashrrev_i32_e32 v11, 31, v10
	v_mul_lo_u32 v12, v11, s14
	v_mul_lo_u32 v13, v10, s15
	v_mad_u64_u32 v[10:11], s[2:3], v10, s14, 0
	v_add3_u32 v11, v11, v13, v12
	v_lshl_add_u64 v[10:11], v[10:11], 2, s[10:11]
	global_load_dword v10, v[10:11], off
	s_waitcnt vmcnt(0)
	v_sub_f32_e32 v10, s16, v10
	v_mul_f32_e32 v10, 0x3fb8aa3b, v10
	v_exp_f32_e32 v21, v10
.LBB742_62:
	s_or_b64 exec, exec, s[0:1]
	v_or_b32_e32 v19, 1, v16
	v_cmp_gt_i32_e64 s[0:1], s49, v19
	s_and_saveexec_b64 s[2:3], s[0:1]
	s_cbranch_execz .LBB742_64
; %bb.63:
	v_add_u32_e32 v10, s20, v19
	v_ashrrev_i32_e32 v11, 31, v10
	v_mul_lo_u32 v12, v11, s14
	v_mul_lo_u32 v13, v10, s15
	v_mad_u64_u32 v[10:11], s[4:5], v10, s14, 0
	v_add3_u32 v11, v11, v13, v12
	v_lshl_add_u64 v[10:11], v[10:11], 2, s[10:11]
	global_load_dword v10, v[10:11], off
	s_waitcnt vmcnt(0)
	v_sub_f32_e32 v10, s16, v10
	v_mul_f32_e32 v10, 0x3fb8aa3b, v10
	v_exp_f32_e32 v17, v10
.LBB742_64:
	s_or_b64 exec, exec, s[2:3]
	v_or_b32_e32 v20, 2, v16
	v_cmp_gt_i32_e64 s[2:3], s49, v20
	v_mov_b32_e32 v18, 0
	v_mov_b32_e32 v23, 0
	s_and_saveexec_b64 s[4:5], s[2:3]
	s_cbranch_execz .LBB742_66
; %bb.65:
	v_add_u32_e32 v10, s20, v20
	v_ashrrev_i32_e32 v11, 31, v10
	v_mul_lo_u32 v12, v11, s14
	v_mul_lo_u32 v13, v10, s15
	v_mad_u64_u32 v[10:11], s[6:7], v10, s14, 0
	v_add3_u32 v11, v11, v13, v12
	v_lshl_add_u64 v[10:11], v[10:11], 2, s[10:11]
	global_load_dword v10, v[10:11], off
	s_waitcnt vmcnt(0)
	v_sub_f32_e32 v10, s16, v10
	v_mul_f32_e32 v10, 0x3fb8aa3b, v10
	v_exp_f32_e32 v23, v10
.LBB742_66:
	s_or_b64 exec, exec, s[4:5]
	v_or_b32_e32 v22, 3, v16
	v_cmp_gt_i32_e64 s[4:5], s49, v22
	s_and_saveexec_b64 s[6:7], s[4:5]
	s_cbranch_execz .LBB742_68
; %bb.67:
	v_add_u32_e32 v10, s20, v22
	v_ashrrev_i32_e32 v11, 31, v10
	v_mul_lo_u32 v12, v11, s14
	v_mul_lo_u32 v13, v10, s15
	v_mad_u64_u32 v[10:11], s[14:15], v10, s14, 0
	v_add3_u32 v11, v11, v13, v12
	v_lshl_add_u64 v[10:11], v[10:11], 2, s[10:11]
	global_load_dword v10, v[10:11], off
	s_waitcnt vmcnt(0)
	v_sub_f32_e32 v10, s16, v10
	v_mul_f32_e32 v10, 0x3fb8aa3b, v10
	v_exp_f32_e32 v18, v10
.LBB742_68:
	s_or_b64 exec, exec, s[6:7]
	s_waitcnt lgkmcnt(11)
	v_mfma_f32_16x16x16_bf16 a[0:3], v[40:41], v[30:31], a[0:3]
	s_add_u32 s6, s8, s28
	v_ashrrev_i32_e32 v35, 31, v34
	s_addc_u32 s7, s9, s29
	s_waitcnt lgkmcnt(10)
	v_mfma_f32_16x16x16_bf16 a[0:3], v[42:43], v[32:33], a[0:3]
	v_mov_b32_e32 v24, 0
	v_lshl_add_u64 v[14:15], v[34:35], 1, s[6:7]
	v_mov_b32_e32 v25, 0
	s_waitcnt lgkmcnt(9)
	v_mfma_f32_16x16x16_bf16 a[0:3], v[38:39], v[26:27], a[0:3]
	s_waitcnt lgkmcnt(8)
	v_mfma_f32_16x16x16_bf16 a[0:3], v[36:37], v[28:29], a[0:3]
	s_nop 6
	v_accvgpr_read_b32 v13, a3
	v_accvgpr_read_b32 v12, a2
	;; [unrolled: 1-line block ×4, first 2 shown]
	s_and_saveexec_b64 s[6:7], vcc
	s_cbranch_execz .LBB742_70
; %bb.69:
	v_lshlrev_b32_e32 v26, 8, v16
	v_mov_b32_e32 v27, 0
	v_lshl_add_u64 v[26:27], v[14:15], 0, v[26:27]
	global_load_ushort v25, v[26:27], off
	s_waitcnt vmcnt(0)
	v_lshlrev_b32_e32 v25, 16, v25
	v_sub_f32_e32 v10, v25, v10
	v_mul_f32_e32 v10, v21, v10
	v_lshrrev_b32_e32 v25, 16, v10
.LBB742_70:
	s_or_b64 exec, exec, s[6:7]
	s_and_saveexec_b64 s[6:7], s[0:1]
	s_cbranch_execz .LBB742_72
; %bb.71:
	v_lshlrev_b32_e32 v26, 8, v19
	v_mov_b32_e32 v27, 0
	v_lshl_add_u64 v[26:27], v[14:15], 0, v[26:27]
	global_load_ushort v10, v[26:27], off
	s_waitcnt vmcnt(0)
	v_lshlrev_b32_e32 v10, 16, v10
	v_sub_f32_e32 v10, v10, v11
	v_mul_f32_e32 v10, v17, v10
	v_lshrrev_b32_e32 v24, 16, v10
.LBB742_72:
	s_or_b64 exec, exec, s[6:7]
	v_mov_b32_e32 v11, 0
	v_mov_b32_e32 v17, 0
	s_and_saveexec_b64 s[0:1], s[2:3]
	s_cbranch_execz .LBB742_74
; %bb.73:
	v_lshlrev_b32_e32 v20, 8, v20
	v_mov_b32_e32 v21, 0
	v_lshl_add_u64 v[20:21], v[14:15], 0, v[20:21]
	global_load_ushort v10, v[20:21], off
	s_waitcnt vmcnt(0)
	v_lshlrev_b32_e32 v10, 16, v10
	v_sub_f32_e32 v10, v10, v12
	v_mul_f32_e32 v10, v23, v10
	v_lshrrev_b32_e32 v17, 16, v10
.LBB742_74:
	s_or_b64 exec, exec, s[0:1]
	v_or_b32_e32 v10, 0x9800, v49
	s_and_saveexec_b64 s[0:1], s[4:5]
	s_cbranch_execz .LBB742_76
; %bb.75:
	v_lshlrev_b32_e32 v20, 8, v22
	v_mov_b32_e32 v21, 0
	v_lshl_add_u64 v[14:15], v[14:15], 0, v[20:21]
	global_load_ushort v11, v[14:15], off
	s_waitcnt vmcnt(0)
	v_lshlrev_b32_e32 v11, 16, v11
	v_sub_f32_e32 v11, v11, v13
	v_mul_f32_e32 v11, v18, v11
	v_lshrrev_b32_e32 v11, 16, v11
.LBB742_76:
	s_or_b64 exec, exec, s[0:1]
	s_mov_b32 s0, 0x5040100
	v_perm_b32 v13, v11, v17, s0
	v_lshlrev_b32_e32 v11, 1, v44
	v_perm_b32 v12, v24, v25, s0
	v_lshl_or_b32 v11, v16, 5, v11
	s_movk_i32 s0, 0xff
	ds_write_b64 v11, v[12:13] offset:38912
	v_and_b32_e32 v11, 7, v0
	v_and_b32_e32 v12, 8, v0
	v_cmp_lt_u32_e32 vcc, s0, v0
	v_lshrrev_b32_e32 v0, 1, v0
	v_lshlrev_b32_e32 v22, 3, v11
	v_lshlrev_b32_e32 v23, 7, v11
	v_cndmask_b32_e64 v11, 0, 1, vcc
	v_lshlrev_b32_e32 v25, 3, v46
	v_and_b32_e32 v0, 24, v0
	v_lshlrev_b32_e32 v24, 13, v11
	v_xor_b32_e32 v11, v25, v0
	v_or_b32_e32 v13, 0x440, v11
	v_cmp_eq_u32_e32 vcc, 0, v12
	s_waitcnt lgkmcnt(0)
	s_barrier
	v_cndmask_b32_e32 v11, v13, v11, vcc
	v_or_b32_e32 v11, v11, v45
	v_xad_u32 v26, v11, v22, v23
	v_add_u32_e32 v11, v24, v26
	ds_read_b64 v[20:21], v11
	ds_read2st64_b64 v[12:15], v10 offset1:1
	ds_read2st64_b64 v[16:19], v10 offset0:2 offset1:3
	v_or_b32_e32 v10, 32, v0
	v_xor_b32_e32 v10, v25, v10
	v_or_b32_e32 v11, 0x440, v10
	v_cndmask_b32_e32 v10, v11, v10, vcc
	v_or_b32_e32 v10, v10, v45
	v_xad_u32 v27, v10, v22, v23
	v_add_u32_e32 v10, v24, v27
	ds_read_b64 v[10:11], v10
	s_waitcnt lgkmcnt(2)
	v_mfma_f32_16x16x16_bf16 a[0:3], v[20:21], v[12:13], 0
	s_waitcnt lgkmcnt(0)
	v_mfma_f32_16x16x16_bf16 a[0:3], v[10:11], v[14:15], a[0:3]
	v_or_b32_e32 v10, 64, v0
	v_xor_b32_e32 v10, v25, v10
	v_xor_b32_e32 v11, 0x440, v10
	v_cndmask_b32_e32 v10, v11, v10, vcc
	v_or_b32_e32 v10, v10, v45
	v_xad_u32 v28, v10, v22, v23
	v_add_u32_e32 v10, v24, v28
	ds_read_b64 v[10:11], v10
	v_or_b32_e32 v0, 0x60, v0
	v_xor_b32_e32 v0, v25, v0
	v_xor_b32_e32 v20, 0x440, v0
	v_cndmask_b32_e32 v0, v20, v0, vcc
	v_or_b32_e32 v0, v0, v45
	v_xad_u32 v0, v0, v22, v23
	v_add_u32_e32 v20, v24, v0
	ds_read_b64 v[20:21], v20
	s_waitcnt lgkmcnt(1)
	v_mfma_f32_16x16x16_bf16 a[0:3], v[10:11], v[16:17], a[0:3]
	ds_read_b64 v[10:11], v26 offset:8192
	ds_read_b64 v[22:23], v27 offset:8192
	v_mov_b32_e32 v24, 0x3fb8aa3b
	s_waitcnt lgkmcnt(2)
	v_mfma_f32_16x16x16_bf16 a[0:3], v[20:21], v[18:19], a[0:3]
	v_mul_f32_e32 v20, s16, v24
	v_exp_f32_e32 v24, v20
	ds_read_b64 v[20:21], v28 offset:8192
	s_waitcnt lgkmcnt(2)
	v_mfma_f32_16x16x16_bf16 a[4:7], v[10:11], v[12:13], 0
	s_nop 1
	v_accvgpr_read_b32 v10, a0
	v_fma_f32 v12, v2, v24, v10
	ds_read_b64 v[10:11], v0 offset:8192
	s_waitcnt lgkmcnt(2)
	v_mfma_f32_16x16x16_bf16 a[4:7], v[22:23], v[14:15], a[4:7]
	v_accvgpr_read_b32 v0, a1
	v_fma_f32 v13, v3, v24, v0
	v_accvgpr_read_b32 v0, a2
	s_waitcnt lgkmcnt(1)
	v_mfma_f32_16x16x16_bf16 a[4:7], v[20:21], v[16:17], a[4:7]
	v_accvgpr_read_b32 v15, a3
	v_fma_f32 v14, v4, v24, v0
	v_fmac_f32_e32 v15, v5, v24
	s_waitcnt lgkmcnt(0)
	v_mfma_f32_16x16x16_bf16 a[0:3], v[10:11], v[18:19], a[4:7]
	v_mov_b32_e32 v10, v34
	s_nop 5
	v_accvgpr_read_b32 v0, a0
	v_fma_f32 v16, v6, v24, v0
	v_accvgpr_read_b32 v0, a1
	v_fma_f32 v17, v7, v24, v0
	v_accvgpr_read_b32 v0, a2
	v_accvgpr_read_b32 v19, a3
	v_fma_f32 v18, v8, v24, v0
	v_fmac_f32_e32 v19, v9, v24
	v_mov_b64_e32 v[2:3], v[12:13]
	v_mov_b64_e32 v[4:5], v[14:15]
	;; [unrolled: 1-line block ×4, first 2 shown]
.LBB742_77:
	s_mul_i32 s0, s45, s35
	s_mul_hi_u32 s1, s45, s34
	s_add_i32 s0, s1, s0
	s_mul_i32 s1, s33, s34
	s_add_i32 s1, s0, s1
	s_mul_i32 s0, s45, s34
	s_add_u32 s0, s0, s44
	s_addc_u32 s1, s1, s21
	s_lshl_b64 s[0:1], s[0:1], 16
	s_add_u32 s0, s12, s0
	v_lshlrev_b32_e32 v10, 7, v10
	s_addc_u32 s1, s13, s1
	v_ashrrev_i32_e32 v11, 31, v10
	v_lshl_add_u64 v[10:11], v[10:11], 2, s[0:1]
	v_lshlrev_b32_e32 v0, 2, v1
	v_mov_b32_e32 v1, 0
	v_lshl_add_u64 v[0:1], v[10:11], 0, v[0:1]
	global_store_dwordx4 v[0:1], v[2:5], off
	global_store_dwordx4 v[0:1], v[6:9], off offset:256
	s_endpgm
	.section	.rodata,"a",@progbits
	.p2align	6, 0x0
	.amdhsa_kernel _ZN12_GLOBAL__N_139chunk_gated_delta_rule_fwd_h_hip_kernelILi16ELb0ELb1ELb0ELb1ELb0ELb0ELb1ELb0EEEvPK12hip_bfloat16S3_S3_PKfS5_PKvPS1_S8_PvPKiSB_iiiiilll
		.amdhsa_group_segment_fixed_size 40960
		.amdhsa_private_segment_fixed_size 0
		.amdhsa_kernarg_size 136
		.amdhsa_user_sgpr_count 2
		.amdhsa_user_sgpr_dispatch_ptr 0
		.amdhsa_user_sgpr_queue_ptr 0
		.amdhsa_user_sgpr_kernarg_segment_ptr 1
		.amdhsa_user_sgpr_dispatch_id 0
		.amdhsa_user_sgpr_kernarg_preload_length 0
		.amdhsa_user_sgpr_kernarg_preload_offset 0
		.amdhsa_user_sgpr_private_segment_size 0
		.amdhsa_uses_dynamic_stack 0
		.amdhsa_enable_private_segment 0
		.amdhsa_system_sgpr_workgroup_id_x 1
		.amdhsa_system_sgpr_workgroup_id_y 1
		.amdhsa_system_sgpr_workgroup_id_z 0
		.amdhsa_system_sgpr_workgroup_info 0
		.amdhsa_system_vgpr_workitem_id 0
		.amdhsa_next_free_vgpr 116
		.amdhsa_next_free_sgpr 63
		.amdhsa_accum_offset 108
		.amdhsa_reserve_vcc 1
		.amdhsa_float_round_mode_32 0
		.amdhsa_float_round_mode_16_64 0
		.amdhsa_float_denorm_mode_32 3
		.amdhsa_float_denorm_mode_16_64 3
		.amdhsa_dx10_clamp 1
		.amdhsa_ieee_mode 1
		.amdhsa_fp16_overflow 0
		.amdhsa_tg_split 0
		.amdhsa_exception_fp_ieee_invalid_op 0
		.amdhsa_exception_fp_denorm_src 0
		.amdhsa_exception_fp_ieee_div_zero 0
		.amdhsa_exception_fp_ieee_overflow 0
		.amdhsa_exception_fp_ieee_underflow 0
		.amdhsa_exception_fp_ieee_inexact 0
		.amdhsa_exception_int_div_zero 0
	.end_amdhsa_kernel
	.section	.text._ZN12_GLOBAL__N_139chunk_gated_delta_rule_fwd_h_hip_kernelILi16ELb0ELb1ELb0ELb1ELb0ELb0ELb1ELb0EEEvPK12hip_bfloat16S3_S3_PKfS5_PKvPS1_S8_PvPKiSB_iiiiilll,"axG",@progbits,_ZN12_GLOBAL__N_139chunk_gated_delta_rule_fwd_h_hip_kernelILi16ELb0ELb1ELb0ELb1ELb0ELb0ELb1ELb0EEEvPK12hip_bfloat16S3_S3_PKfS5_PKvPS1_S8_PvPKiSB_iiiiilll,comdat
.Lfunc_end742:
	.size	_ZN12_GLOBAL__N_139chunk_gated_delta_rule_fwd_h_hip_kernelILi16ELb0ELb1ELb0ELb1ELb0ELb0ELb1ELb0EEEvPK12hip_bfloat16S3_S3_PKfS5_PKvPS1_S8_PvPKiSB_iiiiilll, .Lfunc_end742-_ZN12_GLOBAL__N_139chunk_gated_delta_rule_fwd_h_hip_kernelILi16ELb0ELb1ELb0ELb1ELb0ELb0ELb1ELb0EEEvPK12hip_bfloat16S3_S3_PKfS5_PKvPS1_S8_PvPKiSB_iiiiilll
                                        ; -- End function
	.section	.AMDGPU.csdata,"",@progbits
; Kernel info:
; codeLenInByte = 7740
; NumSgprs: 69
; NumVgprs: 106
; NumAgprs: 8
; TotalNumVgprs: 116
; ScratchSize: 0
; MemoryBound: 0
; FloatMode: 240
; IeeeMode: 1
; LDSByteSize: 40960 bytes/workgroup (compile time only)
; SGPRBlocks: 8
; VGPRBlocks: 14
; NumSGPRsForWavesPerEU: 69
; NumVGPRsForWavesPerEU: 116
; AccumOffset: 108
; Occupancy: 1
; WaveLimiterHint : 1
; COMPUTE_PGM_RSRC2:SCRATCH_EN: 0
; COMPUTE_PGM_RSRC2:USER_SGPR: 2
; COMPUTE_PGM_RSRC2:TRAP_HANDLER: 0
; COMPUTE_PGM_RSRC2:TGID_X_EN: 1
; COMPUTE_PGM_RSRC2:TGID_Y_EN: 1
; COMPUTE_PGM_RSRC2:TGID_Z_EN: 0
; COMPUTE_PGM_RSRC2:TIDIG_COMP_CNT: 0
; COMPUTE_PGM_RSRC3_GFX90A:ACCUM_OFFSET: 26
; COMPUTE_PGM_RSRC3_GFX90A:TG_SPLIT: 0
	.section	.text._ZN12_GLOBAL__N_139chunk_gated_delta_rule_fwd_h_hip_kernelILi16ELb0ELb0ELb1ELb1ELb0ELb0ELb1ELb0EEEvPK12hip_bfloat16S3_S3_PKfS5_PKvPS1_S8_PvPKiSB_iiiiilll,"axG",@progbits,_ZN12_GLOBAL__N_139chunk_gated_delta_rule_fwd_h_hip_kernelILi16ELb0ELb0ELb1ELb1ELb0ELb0ELb1ELb0EEEvPK12hip_bfloat16S3_S3_PKfS5_PKvPS1_S8_PvPKiSB_iiiiilll,comdat
	.globl	_ZN12_GLOBAL__N_139chunk_gated_delta_rule_fwd_h_hip_kernelILi16ELb0ELb0ELb1ELb1ELb0ELb0ELb1ELb0EEEvPK12hip_bfloat16S3_S3_PKfS5_PKvPS1_S8_PvPKiSB_iiiiilll ; -- Begin function _ZN12_GLOBAL__N_139chunk_gated_delta_rule_fwd_h_hip_kernelILi16ELb0ELb0ELb1ELb1ELb0ELb0ELb1ELb0EEEvPK12hip_bfloat16S3_S3_PKfS5_PKvPS1_S8_PvPKiSB_iiiiilll
	.p2align	8
	.type	_ZN12_GLOBAL__N_139chunk_gated_delta_rule_fwd_h_hip_kernelILi16ELb0ELb0ELb1ELb1ELb0ELb0ELb1ELb0EEEvPK12hip_bfloat16S3_S3_PKfS5_PKvPS1_S8_PvPKiSB_iiiiilll,@function
_ZN12_GLOBAL__N_139chunk_gated_delta_rule_fwd_h_hip_kernelILi16ELb0ELb0ELb1ELb1ELb0ELb0ELb1ELb0EEEvPK12hip_bfloat16S3_S3_PKfS5_PKvPS1_S8_PvPKiSB_iiiiilll: ; @_ZN12_GLOBAL__N_139chunk_gated_delta_rule_fwd_h_hip_kernelILi16ELb0ELb0ELb1ELb1ELb0ELb0ELb1ELb0EEEvPK12hip_bfloat16S3_S3_PKfS5_PKvPS1_S8_PvPKiSB_iiiiilll
; %bb.0:
	s_load_dwordx4 s[16:19], s[0:1], 0x5c
	s_load_dwordx4 s[20:23], s[0:1], 0x70
	s_abs_i32 s25, s3
	s_ashr_i32 s24, s3, 31
	s_load_dwordx4 s[12:15], s[0:1], 0x30
	s_load_dwordx4 s[28:31], s[0:1], 0x48
	s_waitcnt lgkmcnt(0)
	s_abs_i32 s34, s17
	v_cvt_f32_u32_e32 v1, s34
	s_sub_i32 s26, 0, s34
	s_ashr_i32 s35, s17, 31
	s_xor_b32 s24, s24, s35
	v_rcp_iflag_f32_e32 v1, v1
	s_load_dwordx8 s[4:11], s[0:1], 0x0
	v_lshrrev_b32_e32 v44, 6, v0
	v_bfe_u32 v45, v0, 4, 2
	v_mul_f32_e32 v1, 0x4f7ffffe, v1
	v_cvt_u32_f32_e32 v1, v1
	v_lshlrev_b32_e32 v42, 4, v44
	v_lshlrev_b32_e32 v2, 2, v45
	v_and_b32_e32 v43, 63, v0
	v_readfirstlane_b32 s27, v1
	s_mul_i32 s26, s26, s27
	s_mul_hi_u32 s26, s27, s26
	s_add_i32 s27, s27, s26
	s_mul_hi_u32 s26, s25, s27
	s_mul_i32 s27, s26, s34
	s_sub_i32 s25, s25, s27
	s_add_i32 s33, s26, 1
	s_sub_i32 s27, s25, s34
	s_cmp_ge_u32 s25, s34
	s_cselect_b32 s26, s33, s26
	s_cselect_b32 s25, s27, s25
	s_add_i32 s27, s26, 1
	s_cmp_ge_u32 s25, s34
	s_cselect_b32 s25, s27, s26
	s_xor_b32 s25, s25, s24
	s_sub_i32 s24, s25, s24
	s_mul_i32 s25, s24, s17
	s_sub_i32 s33, s3, s25
	s_ashr_i32 s25, s24, 31
	s_lshl_b64 s[26:27], s[24:25], 2
	s_add_u32 s28, s28, s26
	s_addc_u32 s29, s29, s27
	s_add_u32 s26, s30, s26
	s_addc_u32 s27, s31, s27
	s_abs_i32 s3, s18
	v_cvt_f32_u32_e32 v1, s3
	s_load_dwordx2 s[38:39], s[28:29], 0x0
	s_sub_i32 s29, 0, s3
	s_load_dword s47, s[26:27], 0x0
	v_rcp_iflag_f32_e32 v1, v1
	v_or_b32_e32 v49, v2, v42
	s_waitcnt lgkmcnt(0)
	s_sub_i32 s45, s39, s38
	s_ashr_i32 s28, s45, 31
	v_mul_f32_e32 v1, 0x4f7ffffe, v1
	v_cvt_u32_f32_e32 v1, v1
	s_lshr_b32 s28, s28, 26
	s_add_i32 s28, s45, s28
	s_ashr_i32 s46, s28, 6
	v_readfirstlane_b32 s30, v1
	s_mul_i32 s29, s29, s30
	s_mul_hi_u32 s29, s30, s29
	s_add_i32 s30, s30, s29
	s_mul_hi_u32 s29, s34, s30
	s_mul_i32 s30, s29, s3
	s_ashr_i32 s28, s18, 31
	s_sub_i32 s30, s34, s30
	s_xor_b32 s28, s35, s28
	s_add_i32 s31, s29, 1
	s_sub_i32 s34, s30, s3
	s_cmp_ge_u32 s30, s3
	s_cselect_b32 s29, s31, s29
	s_cselect_b32 s30, s34, s30
	s_add_i32 s31, s29, 1
	s_cmp_ge_u32 s30, s3
	s_cselect_b32 s3, s31, s29
	s_xor_b32 s3, s3, s28
	s_sub_i32 s3, s3, s28
	s_abs_i32 s28, s3
	v_cvt_f32_u32_e32 v1, s28
	s_load_dwordx2 s[34:35], s[0:1], 0x80
	s_xor_b32 s0, s33, s3
	s_sub_i32 s3, 0, s28
	v_rcp_iflag_f32_e32 v1, v1
	s_abs_i32 s1, s33
	s_ashr_i32 s0, s0, 31
	v_or_b32_e32 v48, 64, v49
	v_mul_f32_e32 v1, 0x4f7ffffe, v1
	v_cvt_u32_f32_e32 v1, v1
	v_mov_b32_e32 v3, 0
	s_mul_hi_i32 s48, s33, s16
	s_mul_i32 s49, s33, s16
	v_readfirstlane_b32 s26, v1
	s_mul_i32 s3, s3, s26
	s_mul_hi_u32 s3, s26, s3
	s_add_i32 s26, s26, s3
	s_mul_hi_u32 s3, s1, s26
	s_mul_i32 s26, s3, s28
	s_sub_i32 s1, s1, s26
	s_add_i32 s26, s3, 1
	s_sub_i32 s27, s1, s28
	s_cmp_ge_u32 s1, s28
	s_cselect_b32 s3, s26, s3
	s_cselect_b32 s1, s27, s1
	s_add_i32 s26, s3, 1
	s_cmp_ge_u32 s1, s28
	s_cselect_b32 s1, s26, s3
	s_xor_b32 s1, s1, s0
	s_sub_i32 s51, s1, s0
	s_lshl_b32 s36, s2, 4
	v_and_b32_e32 v1, 15, v0
	s_cmp_lt_i32 s45, 64
	v_lshrrev_b32_e32 v47, 3, v43
	v_lshlrev_b32_e32 v46, 3, v0
	s_mul_i32 s42, s24, s21
	s_mul_hi_u32 s43, s24, s20
	s_mul_i32 s44, s25, s20
	s_mul_i32 s20, s24, s20
	v_mov_b32_e32 v66, 0
	v_mov_b32_e32 v34, 0
	;; [unrolled: 1-line block ×7, first 2 shown]
	s_cbranch_scc1 .LBB743_18
; %bb.1:
	s_ashr_i32 s53, s33, 31
	s_ashr_i32 s1, s38, 31
	s_add_u32 s0, s49, s38
	s_addc_u32 s1, s48, s1
	s_lshl_b64 s[0:1], s[0:1], 8
	v_and_b32_e32 v51, 56, v46
	s_add_u32 s0, s6, s0
	v_lshl_or_b32 v50, v44, 3, v47
	v_lshlrev_b32_e32 v3, 1, v51
	s_addc_u32 s1, s7, s1
	v_lshl_or_b32 v52, v50, 8, v3
	s_and_b32 s1, s1, 0xffff
	s_mov_b32 s3, 0x20000
	s_movk_i32 s2, 0x4000
	s_movk_i32 s21, 0x80
	v_or_b32_e32 v53, 0x2000, v52
	buffer_load_dwordx4 v[4:7], v52, s[0:3], 0 offen
	buffer_load_dwordx4 v[8:11], v52, s[0:3], s21 offen
	;; [unrolled: 1-line block ×4, first 2 shown]
	v_lshlrev_b32_e32 v20, 3, v50
	v_and_or_b32 v22, v0, 7, v20
	v_and_b32_e32 v20, 0x78, v20
	v_lshlrev_b32_e32 v22, 4, v22
	v_xor_b32_e32 v54, v22, v20
	v_mul_lo_u32 v21, v50, s19
	v_or_b32_e32 v55, 0x1000, v54
	s_cmpk_eq_i32 s19, 0x80
	s_mov_b32 s50, s17
	s_mov_b32 s52, s38
	v_xor_b32_e32 v20, 8, v54
	v_xor_b32_e32 v22, 8, v55
	s_cselect_b64 s[0:1], -1, 0
	s_cmpk_lg_i32 s19, 0x80
	s_waitcnt vmcnt(3)
	ds_write_b64 v54, v[4:5] offset:16384
	ds_write_b64 v20, v[6:7] offset:16384
	s_waitcnt vmcnt(2)
	ds_write_b64 v54, v[8:9] offset:24576
	ds_write_b64 v20, v[10:11] offset:24576
	;; [unrolled: 3-line block ×4, first 2 shown]
	v_lshl_add_u32 v4, v21, 1, v51
	s_cbranch_scc0 .LBB743_3
; %bb.2:
	v_lshlrev_b32_e32 v6, 1, v4
	v_add_lshl_u32 v5, v4, s19, 1
	s_lshl_b32 s26, s19, 7
	v_lshl_or_b32 v3, v50, 9, v3
	s_cbranch_execz .LBB743_4
	s_branch .LBB743_5
.LBB743_3:
                                        ; implicit-def: $vgpr5
                                        ; implicit-def: $vgpr6
                                        ; implicit-def: $sgpr26
	v_lshl_or_b32 v3, v50, 9, v3
.LBB743_4:
	v_or_b32_e32 v5, 0x100, v3
	s_movk_i32 s26, 0x4000
	v_mov_b32_e32 v6, v3
.LBB743_5:
	s_mul_i32 s2, s38, s18
	s_ashr_i32 s54, s51, 31
	s_mul_hi_i32 s3, s38, s18
	s_add_u32 s2, s2, s51
	s_addc_u32 s3, s3, s54
	s_lshl_b64 s[2:3], s[2:3], 8
	s_add_u32 s24, s4, s2
	s_addc_u32 s2, s5, s3
	s_and_b32 s25, s2, 0xffff
	s_mov_b32 s27, 0x20000
	s_movk_i32 s55, 0x80
	buffer_load_dwordx4 v[8:11], v6, s[24:27], 0 offen
	buffer_load_dwordx4 v[12:15], v6, s[24:27], s55 offen
	;; [unrolled: 1-line block ×4, first 2 shown]
	v_and_b32_e32 v5, 6, v0
	v_lshlrev_b32_e32 v7, 2, v1
	v_lshlrev_b32_e32 v24, 3, v1
	v_xor_b32_e32 v26, v50, v5
	v_and_b32_e32 v6, 1, v0
	v_lshl_or_b32 v24, v49, 5, v24
	v_xor_b32_e32 v27, v49, v7
	v_lshlrev_b32_e32 v26, 2, v26
	s_mul_i32 s3, s33, s23
	s_mul_hi_u32 s21, s33, s22
	v_or_b32_e32 v56, 0x9000, v24
	v_or_b32_e32 v57, 0x9800, v24
	v_lshlrev_b32_e32 v24, 1, v27
	v_xor_b32_e32 v27, 0x440, v26
	v_cmp_eq_u32_e32 vcc, 0, v6
	s_add_i32 s25, s43, s42
	s_mul_i32 s24, s53, s22
	v_cndmask_b32_e32 v6, v27, v26, vcc
	s_add_i32 s3, s21, s3
	s_add_i32 s21, s25, s44
	s_mov_b32 s56, 0x1000504
	v_lshlrev_b32_e32 v25, 8, v1
	s_mov_b32 s26, 0x8000
	v_xor_b32_e32 v7, v48, v7
	v_lshl_or_b32 v5, v5, 10, v6
	s_add_i32 s3, s3, s24
	s_lshl_b64 s[24:25], s[20:21], 2
	s_mov_b32 s57, 0x3020706
	s_mul_i32 s2, s33, s22
	v_lshlrev_b32_e32 v7, 1, v7
	v_or3_b32 v58, v24, v25, s26
	v_xor_b32_e32 v6, 8, v5
	v_xor_b32_e32 v24, 24, v5
	;; [unrolled: 1-line block ×4, first 2 shown]
	s_add_u32 s21, s10, s24
	v_or3_b32 v59, v7, v25, s26
	v_xor_b32_e32 v7, 16, v5
	v_xor_b32_e32 v25, 32, v5
	;; [unrolled: 1-line block ×3, first 2 shown]
	v_add_u32_e32 v6, 0x80, v6
	v_add_u32_e32 v24, 0x80, v24
	;; [unrolled: 1-line block ×4, first 2 shown]
	s_addc_u32 s24, s11, s25
	s_lshl_b64 s[2:3], s[2:3], 2
	s_add_u32 s2, s21, s2
	s_movk_i32 s21, 0xf8
	s_addc_u32 s3, s24, s3
	s_ashr_i32 s37, s36, 31
	s_lshl_b32 s30, s19, 7
	s_lshl_b64 s[24:25], s[36:37], 8
	s_add_u32 s24, s12, s24
	s_addc_u32 s25, s13, s25
	v_mov_b32_e32 v35, 0
	s_mov_b32 s58, 0
	v_add_u32_e32 v78, v42, v2
	v_mov_b32_e32 v79, 0x3fb8aa3b
	v_mov_b32_e32 v68, v35
	;; [unrolled: 1-line block ×7, first 2 shown]
	s_waitcnt vmcnt(1)
	v_perm_b32 v29, v8, v16, s56
	s_waitcnt vmcnt(0)
	v_perm_b32 v30, v12, v20, s56
	v_perm_b32 v8, v8, v16, s57
	v_perm_b32 v12, v12, v20, s57
	v_perm_b32 v16, v9, v17, s56
	v_perm_b32 v20, v13, v21, s56
	v_perm_b32 v9, v9, v17, s57
	v_perm_b32 v13, v13, v21, s57
	v_perm_b32 v17, v10, v18, s56
	v_perm_b32 v21, v14, v22, s56
	v_perm_b32 v10, v10, v18, s57
	v_perm_b32 v14, v14, v22, s57
	v_perm_b32 v18, v11, v19, s56
	v_perm_b32 v22, v15, v23, s56
	v_perm_b32 v11, v11, v19, s57
	v_perm_b32 v15, v15, v23, s57
	ds_write2st64_b32 v5, v29, v30 offset1:32
	ds_write2st64_b32 v6, v8, v12 offset1:32
	ds_write2st64_b32 v7, v16, v20 offset0:1 offset1:33
	ds_write2st64_b32 v24, v9, v13 offset0:1 offset1:33
	;; [unrolled: 1-line block ×6, first 2 shown]
	v_or_b32_e32 v5, v42, v1
	v_lshlrev_b32_e32 v5, 3, v5
	v_lshrrev_b32_e32 v7, 5, v43
	v_and_or_b32 v7, v5, s21, v7
	v_lshlrev_b32_e32 v7, 4, v7
	v_lshlrev_b32_e32 v10, 11, v44
	v_and_b32_e32 v5, 0x78, v5
	v_or_b32_e32 v12, 32, v7
	v_and_b32_e32 v6, 0x1000, v10
	v_lshrrev_b32_e32 v11, 1, v0
	v_xor_b32_e32 v12, v12, v5
	v_and_b32_e32 v9, 8, v11
	v_or_b32_e32 v12, v12, v6
	v_xor_b32_e32 v8, v7, v5
	v_xor_b32_e32 v62, v12, v9
	v_or_b32_e32 v12, 64, v7
	v_or_b32_e32 v7, 0x60, v7
	v_xor_b32_e32 v12, v12, v5
	v_xor_b32_e32 v5, v7, v5
	v_or_b32_e32 v5, v5, v6
	v_or_b32_e32 v12, v12, v6
	v_xor_b32_e32 v65, v5, v9
	v_lshlrev_b32_e32 v5, 1, v1
	v_xor_b32_e32 v63, v12, v9
	v_lshlrev_b32_e32 v12, 1, v4
	v_add_lshl_u32 v13, v4, s19, 1
	v_lshrrev_b32_e32 v4, 4, v0
	v_or_b32_e32 v15, 1, v5
	v_xor_b32_e32 v5, v4, v5
	v_xor_b32_e32 v15, v15, v4
	v_lshlrev_b32_e32 v5, 3, v5
	v_lshlrev_b32_e32 v34, 8, v4
	;; [unrolled: 1-line block ×3, first 2 shown]
	v_or3_b32 v70, v5, v34, s26
	v_or3_b32 v71, v4, v34, s26
	v_lshl_add_u64 v[4:5], s[24:25], 0, v[34:35]
	v_lshlrev_b32_e32 v34, 4, v1
	s_movk_i32 s21, 0xff
	v_lshlrev_b32_e32 v17, 3, v44
	v_and_b32_e32 v11, 24, v11
	v_lshl_add_u64 v[36:37], v[4:5], 0, v[34:35]
	v_and_b32_e32 v5, 8, v0
	v_cmp_lt_u32_e32 vcc, s21, v0
	v_xor_b32_e32 v18, v17, v11
	v_or_b32_e32 v19, 0x440, v18
	v_cndmask_b32_e64 v16, 0, 1, vcc
	v_cmp_eq_u32_e32 vcc, 0, v5
	v_and_b32_e32 v4, 7, v0
	v_lshlrev_b32_e32 v15, 3, v4
	v_cndmask_b32_e32 v5, v19, v18, vcc
	v_lshlrev_b32_e32 v4, 7, v4
	v_or_b32_e32 v5, v5, v10
	v_xad_u32 v72, v5, v15, v4
	v_or_b32_e32 v5, 32, v11
	v_xor_b32_e32 v5, v17, v5
	v_or_b32_e32 v18, 0x440, v5
	v_cndmask_b32_e32 v5, v18, v5, vcc
	v_or_b32_e32 v5, v5, v10
	v_xad_u32 v73, v5, v15, v4
	v_or_b32_e32 v5, 64, v11
	v_xor_b32_e32 v5, v17, v5
	v_xor_b32_e32 v18, 0x440, v5
	v_cndmask_b32_e32 v5, v18, v5, vcc
	v_or_b32_e32 v5, v5, v10
	v_xad_u32 v74, v5, v15, v4
	v_or_b32_e32 v5, 0x60, v11
	v_xor_b32_e32 v5, v17, v5
	v_or_b32_e32 v8, v8, v6
	v_or_b32_e32 v6, s36, v1
	v_xor_b32_e32 v11, 0x440, v5
	v_xor_b32_e32 v60, v8, v9
	v_and_b32_e32 v8, 0x78, v46
	v_ashrrev_i32_e32 v7, 31, v6
	v_cndmask_b32_e32 v5, v11, v5, vcc
	v_lshl_or_b32 v8, v45, 7, v8
	v_lshlrev_b64 v[6:7], 1, v[6:7]
	v_or_b32_e32 v5, v5, v10
	v_or_b32_e32 v61, 0x9000, v8
	;; [unrolled: 1-line block ×3, first 2 shown]
	v_lshl_add_u64 v[8:9], s[8:9], 0, v[6:7]
	v_lshl_add_u64 v[6:7], s[14:15], 0, v[6:7]
	v_or_b32_e32 v14, 0x100, v3
	v_lshlrev_b32_e32 v16, 13, v16
	v_xad_u32 v75, v5, v15, v4
	v_lshlrev_b32_e32 v34, 8, v49
	v_cndmask_b32_e64 v76, v12, v3, s[0:1]
	v_cndmask_b32_e64 v77, v13, v14, s[0:1]
	v_lshl_add_u64 v[38:39], v[8:9], 0, v[34:35]
	v_lshl_add_u64 v[40:41], v[6:7], 0, v[34:35]
	s_mov_b32 s21, 0x7060302
	s_movk_i32 s26, 0x4000
	v_add_u32_e32 v80, v16, v72
	v_add_u32_e32 v81, v16, v73
	;; [unrolled: 1-line block ×4, first 2 shown]
	v_mov_b32_e32 v34, v35
	s_waitcnt lgkmcnt(0)
	s_barrier
.LBB743_6:                              ; =>This Inner Loop Header: Depth=1
	s_add_i32 s37, s58, 1
	s_cmp_lt_i32 s37, s46
	s_mov_b64 s[28:29], 0
	s_cselect_b64 s[40:41], -1, 0
	s_cmp_ge_i32 s37, s46
	s_mov_b64 s[24:25], 0
	s_cbranch_scc1 .LBB743_8
; %bb.7:                                ;   in Loop: Header=BB743_6 Depth=1
	s_add_i32 s0, s52, 64
	s_ashr_i32 s1, s0, 31
	s_add_u32 s0, s49, s0
	s_addc_u32 s1, s48, s1
	s_lshl_b64 s[0:1], s[0:1], 8
	s_add_u32 s24, s6, s0
	s_addc_u32 s25, s7, s1
.LBB743_8:                              ;   in Loop: Header=BB743_6 Depth=1
	v_cndmask_b32_e64 v2, 0, 1, s[40:41]
	v_cmp_ne_u32_e64 s[0:1], 1, v2
	s_andn2_b64 vcc, exec, s[40:41]
	s_cbranch_vccnz .LBB743_10
; %bb.9:                                ;   in Loop: Header=BB743_6 Depth=1
	s_add_i32 s28, s52, 64
	s_mul_hi_i32 s29, s28, s18
	s_mul_i32 s28, s28, s18
	s_add_u32 s28, s28, s51
	s_addc_u32 s29, s29, s54
	s_lshl_b64 s[28:29], s[28:29], 8
	s_add_u32 s28, s4, s28
	s_addc_u32 s29, s5, s29
.LBB743_10:                             ;   in Loop: Header=BB743_6 Depth=1
	v_perm_b32 v3, v85, v69, s21
	v_perm_b32 v2, v68, v35, s21
	;; [unrolled: 1-line block ×4, first 2 shown]
	ds_write_b64 v56, v[2:3]
	ds_write_b64 v57, v[4:5]
	;; [unrolled: 1-line block ×4, first 2 shown]
	s_waitcnt lgkmcnt(0)
	s_barrier
	ds_read_b64 v[10:11], v60 offset:16384
	ds_read_b64 v[12:13], v62 offset:16384
	ds_read2st64_b64 v[2:5], v61 offset1:1
	s_waitcnt lgkmcnt(0)
	v_mfma_f32_16x16x16_bf16 a[0:3], v[10:11], v[2:3], 0
	ds_read2st64_b64 v[6:9], v61 offset0:2 offset1:3
	ds_read_b64 v[14:15], v63 offset:16384
	ds_read_b64 v[2:3], v65 offset:16384
	s_add_i32 s31, s52, 63
	v_mfma_f32_16x16x16_bf16 a[0:3], v[12:13], v[4:5], a[0:3]
	s_ashr_i32 s40, s31, 31
	s_mul_i32 s41, s31, s35
	s_mul_hi_u32 s59, s31, s34
	s_waitcnt lgkmcnt(1)
	v_mfma_f32_16x16x16_bf16 a[0:3], v[14:15], v[6:7], a[0:3]
	s_add_i32 s41, s59, s41
	s_mul_i32 s40, s40, s34
	s_add_i32 s41, s41, s40
	s_mul_i32 s40, s31, s34
	s_waitcnt lgkmcnt(0)
	v_mfma_f32_16x16x16_bf16 a[0:3], v[2:3], v[8:9], a[0:3]
	s_lshl_b64 s[40:41], s[40:41], 2
	s_add_u32 s40, s2, s40
	s_addc_u32 s41, s3, s41
	s_and_b64 vcc, exec, s[0:1]
	v_mov_b32_e32 v88, 0
	v_mov_b32_e32 v87, 0
	;; [unrolled: 1-line block ×19, first 2 shown]
	s_cbranch_vccnz .LBB743_12
; %bb.11:                               ;   in Loop: Header=BB743_6 Depth=1
	s_and_b32 s25, s25, 0xffff
	buffer_load_dwordx4 v[14:17], v52, s[24:27], 0 offen
	buffer_load_dwordx4 v[10:13], v52, s[24:27], s55 offen
	;; [unrolled: 1-line block ×4, first 2 shown]
	v_mov_b32_e32 v87, v54
	v_mov_b32_e32 v86, v55
.LBB743_12:                             ;   in Loop: Header=BB743_6 Depth=1
	s_waitcnt vmcnt(3)
	v_add_u32_e32 v22, s52, v78
	s_waitcnt vmcnt(1)
	v_ashrrev_i32_e32 v18, 31, v22
	v_mul_lo_u32 v20, v18, s34
	v_mul_lo_u32 v21, v22, s35
	v_mad_u64_u32 v[18:19], s[24:25], v22, s34, 0
	v_add3_u32 v19, v19, v21, v20
	v_lshl_add_u64 v[18:19], v[18:19], 2, s[2:3]
	global_load_dword v90, v[18:19], off
	v_add_u32_e32 v18, 1, v22
	v_ashrrev_i32_e32 v19, 31, v18
	v_mul_lo_u32 v20, v19, s34
	v_mul_lo_u32 v21, v18, s35
	v_mad_u64_u32 v[18:19], s[24:25], v18, s34, 0
	v_add3_u32 v19, v19, v21, v20
	v_add_u32_e32 v20, 2, v22
	v_ashrrev_i32_e32 v21, 31, v20
	v_mul_lo_u32 v23, v21, s34
	v_mul_lo_u32 v24, v20, s35
	v_mad_u64_u32 v[20:21], s[24:25], v20, s34, 0
	v_add_u32_e32 v22, 3, v22
	v_add3_u32 v21, v21, v24, v23
	v_ashrrev_i32_e32 v23, 31, v22
	v_mul_lo_u32 v26, v23, s34
	v_mul_lo_u32 v27, v22, s35
	v_mad_u64_u32 v[22:23], s[24:25], v22, s34, 0
	s_ashr_i32 s25, s52, 31
	s_add_u32 s24, s49, s52
	s_addc_u32 s25, s48, s25
	s_lshl_b64 s[60:61], s[24:25], 8
	v_lshl_add_u64 v[18:19], v[18:19], 2, s[2:3]
	v_lshl_add_u64 v[24:25], v[38:39], 0, s[60:61]
	v_add3_u32 v23, v23, v27, v26
	v_lshl_add_u64 v[20:21], v[20:21], 2, s[2:3]
	global_load_ushort v91, v[24:25], off
	global_load_ushort v92, v[24:25], off offset:256
	global_load_ushort v93, v[24:25], off offset:512
	;; [unrolled: 1-line block ×3, first 2 shown]
	v_lshl_add_u64 v[22:23], v[22:23], 2, s[2:3]
	global_load_dword v95, v[18:19], off
	global_load_dword v96, v[20:21], off
	;; [unrolled: 1-line block ×3, first 2 shown]
	ds_read_b64 v[22:23], v60 offset:24576
	ds_read_b64 v[28:29], v62 offset:24576
	ds_read2st64_b64 v[18:21], v67 offset1:1
	s_waitcnt lgkmcnt(0)
	v_mfma_f32_16x16x16_bf16 a[0:3], v[22:23], v[18:19], a[0:3]
	s_load_dword s24, s[40:41], 0x0
	ds_read2st64_b64 v[24:27], v67 offset0:2 offset1:3
	ds_read_b64 v[30:31], v63 offset:24576
	ds_read_b64 v[32:33], v65 offset:24576
	v_mov_b32_e32 v89, 0
	v_mfma_f32_16x16x16_bf16 a[0:3], v[28:29], v[20:21], a[0:3]
	v_mov_b32_e32 v18, 0
	v_mov_b32_e32 v19, 0
	;; [unrolled: 1-line block ×3, first 2 shown]
	s_waitcnt lgkmcnt(0)
	v_mfma_f32_16x16x16_bf16 a[0:3], v[30:31], v[24:25], a[0:3]
	v_lshl_add_u64 v[24:25], v[40:41], 0, s[60:61]
	v_mov_b32_e32 v21, 0
	v_mov_b32_e32 v22, 0
	v_mfma_f32_16x16x16_bf16 a[0:3], v[32:33], v[26:27], a[0:3]
	v_mov_b32_e32 v23, 0
	s_and_b64 vcc, exec, s[0:1]
	s_waitcnt vmcnt(7)
	v_sub_f32_e32 v90, s24, v90
	s_nop 2
	v_accvgpr_read_b32 v29, a1
	v_accvgpr_read_b32 v27, a3
	;; [unrolled: 1-line block ×4, first 2 shown]
	v_mul_f32_e32 v90, 0x3fb8aa3b, v90
	s_waitcnt vmcnt(6)
	v_lshlrev_b32_e32 v30, 16, v91
	s_waitcnt vmcnt(5)
	v_lshlrev_b32_e32 v31, 16, v92
	;; [unrolled: 2-line block ×4, first 2 shown]
	s_waitcnt vmcnt(2)
	v_sub_f32_e32 v91, s24, v95
	s_waitcnt vmcnt(1)
	v_sub_f32_e32 v92, s24, v96
	;; [unrolled: 2-line block ×3, first 2 shown]
	v_pk_add_f32 v[28:29], v[30:31], v[28:29] neg_lo:[0,1] neg_hi:[0,1]
	v_pk_add_f32 v[26:27], v[32:33], v[26:27] neg_lo:[0,1] neg_hi:[0,1]
	v_mul_f32_e32 v31, 0x3fb8aa3b, v91
	v_mul_f32_e32 v32, 0x3fb8aa3b, v92
	;; [unrolled: 1-line block ×3, first 2 shown]
	v_exp_f32_e32 v30, v90
	v_exp_f32_e32 v31, v31
	;; [unrolled: 1-line block ×4, first 2 shown]
	global_store_short_d16_hi v[24:25], v28, off
	global_store_short_d16_hi v[24:25], v29, off offset:256
	global_store_short_d16_hi v[24:25], v26, off offset:512
	;; [unrolled: 1-line block ×3, first 2 shown]
	v_pk_mul_f32 v[24:25], v[30:31], v[28:29]
	v_pk_mul_f32 v[26:27], v[32:33], v[26:27]
	v_perm_b32 v24, v25, v24, s21
	v_perm_b32 v25, v27, v26, s21
	ds_write_b64 v57, v[24:25]
	v_mov_b32_e32 v24, 0
	v_mov_b32_e32 v25, 0
	;; [unrolled: 1-line block ×10, first 2 shown]
	s_cbranch_vccnz .LBB743_14
; %bb.13:                               ;   in Loop: Header=BB743_6 Depth=1
	s_and_b32 s29, s29, 0xffff
	s_mov_b32 s31, s27
	buffer_load_dwordx4 v[30:33], v76, s[28:31], 0 offen
	buffer_load_dwordx4 v[22:25], v76, s[28:31], s55 offen
	;; [unrolled: 1-line block ×4, first 2 shown]
	v_mov_b32_e32 v88, v51
	v_mov_b32_e32 v89, v50
.LBB743_14:                             ;   in Loop: Header=BB743_6 Depth=1
	s_waitcnt lgkmcnt(0)
	s_barrier
	ds_read_b64 v[98:99], v80
	ds_read2st64_b64 v[90:93], v67 offset1:1
	ds_read2st64_b64 v[94:97], v67 offset0:2 offset1:3
	ds_read_b64 v[100:101], v81
	ds_read_b64 v[102:103], v82
	;; [unrolled: 1-line block ×3, first 2 shown]
	s_waitcnt lgkmcnt(4)
	v_mfma_f32_16x16x16_bf16 a[0:3], v[98:99], v[90:91], 0
	ds_read_b64 v[98:99], v72 offset:8192
	ds_read_b64 v[106:107], v73 offset:8192
	s_add_i32 s25, s47, s58
	s_mul_hi_i32 s29, s25, s50
	s_waitcnt lgkmcnt(1)
	v_mfma_f32_16x16x16_bf16 a[4:7], v[98:99], v[90:91], 0
	s_mul_i32 s25, s25, s50
	s_add_u32 s28, s25, s33
	s_addc_u32 s29, s29, s53
	v_mfma_f32_16x16x16_bf16 a[0:3], v[100:101], v[92:93], a[0:3]
	ds_read_b64 v[98:99], v70
	ds_read_b64 v[100:101], v71
	ds_read_b64 v[90:91], v74 offset:8192
	s_lshl_b64 s[28:29], s[28:29], 15
	v_mfma_f32_16x16x16_bf16 a[0:3], v[102:103], v[94:95], a[0:3]
	ds_read_b64 v[102:103], v75 offset:8192
	s_and_b64 vcc, exec, s[0:1]
	s_waitcnt lgkmcnt(4)
	v_mfma_f32_16x16x16_bf16 a[4:7], v[106:107], v[92:93], a[4:7]
	s_waitcnt lgkmcnt(1)
	v_mfma_f32_16x16x16_bf16 a[4:7], v[90:91], v[94:95], a[4:7]
	v_lshl_add_u64 v[90:91], v[36:37], 0, s[28:29]
	global_store_dwordx4 v[90:91], v[98:101], off
	v_mfma_f32_16x16x16_bf16 a[0:3], v[104:105], v[96:97], a[0:3]
	s_waitcnt lgkmcnt(0)
	v_mfma_f32_16x16x16_bf16 a[4:7], v[102:103], v[96:97], a[4:7]
	s_cbranch_vccnz .LBB743_16
; %bb.15:                               ;   in Loop: Header=BB743_6 Depth=1
	v_lshrrev_b32_e32 v90, 3, v88
	v_and_b32_e32 v90, 6, v90
	v_xor_b32_e32 v89, v90, v89
	v_lshlrev_b32_e32 v89, 2, v89
	v_and_b32_e32 v88, 8, v88
	v_xor_b32_e32 v91, 0x440, v89
	v_cmp_eq_u32_e32 vcc, 0, v88
	s_barrier
	s_nop 0
	v_cndmask_b32_e32 v88, v91, v89, vcc
	v_lshl_or_b32 v88, v90, 10, v88
	s_waitcnt vmcnt(2)
	v_perm_b32 v89, v30, v26, s56
	s_waitcnt vmcnt(1)
	v_perm_b32 v90, v22, v18, s56
	ds_write2st64_b32 v88, v89, v90 offset1:32
	v_xor_b32_e32 v89, 8, v88
	v_perm_b32 v26, v30, v26, s57
	v_perm_b32 v18, v22, v18, s57
	v_add_u32_e32 v22, 0x80, v89
	ds_write2st64_b32 v22, v26, v18 offset1:32
	v_xor_b32_e32 v18, 16, v88
	v_perm_b32 v22, v31, v27, s56
	v_perm_b32 v26, v23, v19, s56
	ds_write2st64_b32 v18, v22, v26 offset0:1 offset1:33
	v_xor_b32_e32 v18, 24, v88
	v_perm_b32 v22, v31, v27, s57
	v_perm_b32 v19, v23, v19, s57
	v_add_u32_e32 v18, 0x80, v18
	ds_write2st64_b32 v18, v22, v19 offset0:1 offset1:33
	v_xor_b32_e32 v18, 32, v88
	v_perm_b32 v19, v32, v28, s56
	v_perm_b32 v22, v24, v20, s56
	ds_write2st64_b32 v18, v19, v22 offset0:2 offset1:34
	v_xor_b32_e32 v18, 40, v88
	v_perm_b32 v19, v32, v28, s57
	v_perm_b32 v20, v24, v20, s57
	v_add_u32_e32 v18, 0x80, v18
	ds_write2st64_b32 v18, v19, v20 offset0:2 offset1:34
	;; [unrolled: 9-line block ×3, first 2 shown]
	ds_write_b64 v87, v[14:15] offset:16384
	v_xor_b32_e32 v14, 8, v87
	ds_write_b64 v14, v[16:17] offset:16384
	ds_write_b64 v87, v[10:11] offset:24576
	;; [unrolled: 1-line block ×4, first 2 shown]
	v_xor_b32_e32 v6, 8, v86
	ds_write_b64 v6, v[8:9] offset:16384
	ds_write_b64 v86, v[2:3] offset:24576
	;; [unrolled: 1-line block ×3, first 2 shown]
.LBB743_16:                             ;   in Loop: Header=BB743_6 Depth=1
	v_mul_f32_e32 v2, s24, v79
	v_exp_f32_e32 v2, v2
	s_nop 1
	v_accvgpr_read_b32 v3, a0
	v_accvgpr_read_b32 v4, a1
	s_add_i32 s52, s52, 64
	v_fma_f32 v35, v35, v2, v3
	v_accvgpr_read_b32 v3, a2
	v_fma_f32 v69, v69, v2, v3
	v_accvgpr_read_b32 v3, a4
	;; [unrolled: 2-line block ×6, first 2 shown]
	v_fmac_f32_e32 v4, v85, v2
	s_cmp_eq_u32 s46, s37
	v_fmac_f32_e32 v3, v84, v2
	s_cbranch_scc1 .LBB743_18
; %bb.17:                               ;   in Loop: Header=BB743_6 Depth=1
	s_mov_b32 s58, s37
	v_mov_b32_e32 v85, v4
	v_mov_b32_e32 v84, v3
	s_branch .LBB743_6
.LBB743_18:
	s_lshl_b32 s0, s46, 6
	s_sub_i32 s45, s45, s0
	s_cmp_gt_i32 s45, 0
	s_cbranch_scc0 .LBB743_75
; %bb.19:
	s_add_i32 s38, s0, s38
	s_ashr_i32 s2, s38, 31
	s_cmpk_lg_i32 s19, 0x80
	s_cselect_b64 s[30:31], -1, 0
	s_and_b64 vcc, exec, s[30:31]
	s_cbranch_vccz .LBB743_21
; %bb.20:
	s_mul_i32 s1, s38, s18
	s_ashr_i32 s3, s51, 31
	s_mul_hi_i32 s0, s38, s18
	s_add_u32 s40, s1, s51
	s_addc_u32 s41, s0, s3
	s_cbranch_execz .LBB743_22
	s_branch .LBB743_23
.LBB743_21:
                                        ; implicit-def: $sgpr40_sgpr41
.LBB743_22:
	s_mul_i32 s1, s51, s16
	s_mul_hi_i32 s0, s51, s16
	s_add_u32 s40, s1, s38
	s_addc_u32 s41, s0, s2
.LBB743_23:
	s_add_i32 s3, s46, s47
	s_ashr_i32 s16, s33, 31
	s_add_u32 s0, s49, s38
	s_addc_u32 s1, s48, s2
	s_mov_b32 s2, 0x7060302
	v_lshlrev_b32_e32 v6, 3, v1
	v_perm_b32 v5, v4, v69, s2
	v_perm_b32 v4, v68, v35, s2
	;; [unrolled: 1-line block ×4, first 2 shown]
	v_lshlrev_b32_e32 v34, 2, v1
	v_lshl_or_b32 v6, v49, 5, v6
	s_lshl_b64 s[28:29], s[0:1], 8
	ds_write2st64_b64 v6, v[4:5], v[2:3] offset0:72 offset1:76
	v_xor_b32_e32 v6, v49, v34
	v_lshlrev_b32_e32 v7, 8, v1
	s_add_u32 s0, s6, s28
	v_lshl_or_b32 v6, v6, 1, v7
	s_addc_u32 s1, s7, s29
	ds_write_b64 v6, v[4:5] offset:32768
	v_xor_b32_e32 v4, v48, v34
	s_mul_hi_i32 s6, s3, s17
	s_mul_i32 s3, s3, s17
	v_lshl_or_b32 v4, v4, 1, v7
	s_add_u32 s2, s3, s33
	ds_write_b64 v4, v[2:3] offset:32768
	s_addc_u32 s3, s6, s16
	v_lshlrev_b32_e32 v3, 1, v1
	v_lshrrev_b32_e32 v2, 4, v0
	s_ashr_i32 s37, s36, 31
	s_lshl_b64 s[2:3], s[2:3], 15
	v_or_b32_e32 v4, 1, v3
	s_add_u32 s6, s12, s2
	v_xor_b32_e32 v3, v2, v3
	v_xor_b32_e32 v4, v4, v2
	v_lshlrev_b32_e32 v6, 8, v2
	s_addc_u32 s7, s13, s3
	s_lshl_b64 s[2:3], s[36:37], 8
	v_lshl_or_b32 v2, v3, 3, v6
	v_lshl_or_b32 v4, v4, 3, v6
	s_waitcnt lgkmcnt(0)
	s_barrier
	s_add_u32 s2, s6, s2
	ds_read_b64 v[2:3], v2 offset:32768
	ds_read_b64 v[4:5], v4 offset:32768
	s_addc_u32 s3, s7, s3
	v_mov_b32_e32 v7, 0
	s_cmp_lg_u32 s45, 64
	v_lshl_add_u64 v[8:9], s[2:3], 0, v[6:7]
	v_lshlrev_b32_e32 v6, 4, v1
	s_cselect_b64 s[6:7], -1, 0
	v_lshl_or_b32 v35, v44, 3, v47
	s_mov_b32 s24, 0
	v_lshl_add_u64 v[6:7], v[8:9], 0, v[6:7]
	s_waitcnt vmcnt(1)
	v_or_b32_e32 v19, 32, v35
	v_and_b32_e32 v18, 56, v46
	s_and_b64 vcc, exec, s[6:7]
	s_waitcnt lgkmcnt(0)
	global_store_dwordx4 v[6:7], v[2:5], off
	s_cbranch_vccz .LBB743_29
; %bb.24:
	s_mov_b32 s25, s24
	s_mov_b32 s26, s24
	;; [unrolled: 1-line block ×3, first 2 shown]
	v_mov_b64_e32 v[6:7], s[24:25]
	v_mov_b64_e32 v[8:9], s[26:27]
	;; [unrolled: 1-line block ×3, first 2 shown]
	v_cmp_gt_i32_e32 vcc, s45, v35
	v_mov_b64_e32 v[4:5], v[8:9]
	s_and_saveexec_b64 s[2:3], vcc
	s_cbranch_execz .LBB743_26
; %bb.25:
	v_lshlrev_b32_e32 v2, 8, v35
	v_mov_b32_e32 v3, 0
	v_lshl_add_u64 v[4:5], s[0:1], 0, v[2:3]
	v_lshlrev_b32_e32 v2, 1, v18
	v_lshl_add_u64 v[10:11], v[4:5], 0, v[2:3]
	global_load_dwordx4 v[6:9], v[10:11], off
	global_load_dwordx4 v[2:5], v[10:11], off offset:128
.LBB743_26:
	s_or_b64 exec, exec, s[2:3]
	s_mov_b32 s25, s24
	s_mov_b32 s26, s24
	;; [unrolled: 1-line block ×3, first 2 shown]
	v_mov_b64_e32 v[14:15], s[24:25]
	v_mov_b64_e32 v[16:17], s[26:27]
	;; [unrolled: 1-line block ×3, first 2 shown]
	v_cmp_gt_i32_e32 vcc, s45, v19
	v_lshlrev_b32_e32 v20, 7, v19
	v_mov_b64_e32 v[12:13], v[16:17]
	s_and_saveexec_b64 s[2:3], vcc
	s_cbranch_execz .LBB743_28
; %bb.27:
	v_lshlrev_b32_e32 v10, 1, v20
	v_mov_b32_e32 v11, 0
	v_lshl_add_u64 v[12:13], s[0:1], 0, v[10:11]
	v_lshlrev_b32_e32 v10, 1, v18
	v_lshl_add_u64 v[22:23], v[12:13], 0, v[10:11]
	global_load_dwordx4 v[14:17], v[22:23], off
	global_load_dwordx4 v[10:13], v[22:23], off offset:128
.LBB743_28:
	s_or_b64 exec, exec, s[2:3]
	v_lshrrev_b32_e32 v21, 3, v18
	v_lshlrev_b32_e32 v22, 3, v35
	v_or_b32_e32 v21, v22, v21
	v_lshlrev_b32_e32 v21, 4, v21
	v_and_b32_e32 v22, 0x78, v22
	v_xor_b32_e32 v21, v21, v22
	s_branch .LBB743_31
.LBB743_29:
                                        ; implicit-def: $vgpr21
                                        ; implicit-def: $vgpr20
                                        ; implicit-def: $vgpr6_vgpr7_vgpr8_vgpr9
                                        ; implicit-def: $vgpr2_vgpr3_vgpr4_vgpr5
                                        ; implicit-def: $vgpr14_vgpr15_vgpr16_vgpr17
                                        ; implicit-def: $vgpr10_vgpr11_vgpr12_vgpr13
	s_cbranch_execz .LBB743_31
; %bb.30:
	s_waitcnt vmcnt(0)
	v_lshlrev_b32_e32 v2, 1, v18
	v_lshl_or_b32 v20, v35, 8, v2
	s_and_b32 s1, s1, 0xffff
	s_mov_b32 s3, 0x20000
	s_movk_i32 s2, 0x4000
	v_lshl_or_b32 v21, v19, 8, v2
	s_movk_i32 s12, 0x80
	buffer_load_dwordx4 v[6:9], v20, s[0:3], 0 offen
	buffer_load_dwordx4 v[2:5], v20, s[0:3], s12 offen
	;; [unrolled: 1-line block ×4, first 2 shown]
	v_lshrrev_b32_e32 v20, 3, v18
	v_lshlrev_b32_e32 v21, 3, v35
	v_or_b32_e32 v20, v21, v20
	v_lshlrev_b32_e32 v20, 4, v20
	v_and_b32_e32 v21, 0x78, v21
	v_xor_b32_e32 v21, v20, v21
	v_lshlrev_b32_e32 v20, 7, v19
.LBB743_31:
	s_lshl_b64 s[0:1], s[40:41], 8
	s_add_u32 s4, s4, s0
	s_movk_i32 s0, 0x1000
	v_and_or_b32 v19, v20, s0, v21
	s_waitcnt vmcnt(1)
	ds_write_b64 v21, v[6:7] offset:16384
	v_xor_b32_e32 v6, 8, v21
	s_addc_u32 s5, s5, s1
	ds_write_b64 v6, v[8:9] offset:16384
	s_waitcnt vmcnt(0)
	ds_write_b64 v21, v[2:3] offset:24576
	ds_write_b64 v6, v[4:5] offset:24576
	;; [unrolled: 1-line block ×3, first 2 shown]
	v_xor_b32_e32 v2, 8, v19
	s_add_i32 s0, s43, s42
	ds_write_b64 v2, v[16:17] offset:16384
	ds_write_b64 v19, v[10:11] offset:24576
	;; [unrolled: 1-line block ×3, first 2 shown]
	s_add_i32 s21, s0, s44
	s_mul_i32 s0, s33, s23
	s_mul_hi_u32 s1, s33, s22
	v_or_b32_e32 v2, v42, v1
	s_add_i32 s0, s1, s0
	s_mul_i32 s1, s16, s22
	v_lshlrev_b32_e32 v2, 3, v2
	v_lshrrev_b32_e32 v4, 5, v43
	s_movk_i32 s16, 0xf8
	v_and_or_b32 v4, v2, s16, v4
	v_lshlrev_b32_e32 v3, 11, v44
	v_lshlrev_b32_e32 v12, 4, v4
	v_and_b32_e32 v13, 0x78, v2
	v_and_b32_e32 v14, 0x1000, v3
	v_lshlrev_b32_e32 v3, 2, v0
	v_xor_b32_e32 v2, v12, v13
	v_lshrrev_b32_e32 v4, 1, v43
	v_and_b32_e32 v3, 60, v3
	v_or_b32_e32 v2, v2, v14
	v_and_b32_e32 v15, 8, v4
	v_xor_b32_e32 v26, v2, v15
	v_lshl_or_b32 v2, v45, 6, v3
	v_lshlrev_b32_e32 v19, 1, v2
	v_or_b32_e32 v2, 32, v12
	v_xor_b32_e32 v2, v2, v13
	s_waitcnt lgkmcnt(0)
	s_barrier
	ds_read_b64 v[10:11], v26 offset:16384
	v_or_b32_e32 v2, v2, v14
	v_xor_b32_e32 v27, v2, v15
	v_or_b32_e32 v2, 64, v12
	v_xor_b32_e32 v2, v2, v13
	v_or_b32_e32 v2, v2, v14
	v_or_b32_e32 v12, 0x60, v12
	v_xor_b32_e32 v28, v2, v15
	ds_read2st64_b64 v[2:5], v19 offset0:72 offset1:73
	ds_read2st64_b64 v[6:9], v19 offset0:74 offset1:75
	v_xor_b32_e32 v16, v12, v13
	ds_read_b64 v[12:13], v27 offset:16384
	s_waitcnt lgkmcnt(2)
	v_mfma_f32_16x16x16_bf16 a[0:3], v[10:11], v[2:3], 0
	s_add_i32 s2, s39, -1
	s_ashr_i32 s3, s2, 31
	s_mul_i32 s12, s2, s35
	s_mul_hi_u32 s13, s2, s34
	s_add_i32 s12, s13, s12
	s_mul_i32 s3, s3, s34
	v_or_b32_e32 v14, v16, v14
	s_add_i32 s1, s0, s1
	s_add_i32 s3, s12, s3
	s_lshl_b64 s[12:13], s[20:21], 2
	v_xor_b32_e32 v36, v14, v15
	ds_read_b64 v[14:15], v28 offset:16384
	ds_read_b64 v[16:17], v36 offset:16384
	s_waitcnt lgkmcnt(2)
	v_mfma_f32_16x16x16_bf16 a[0:3], v[12:13], v[4:5], a[0:3]
	s_mul_i32 s0, s33, s22
	s_add_u32 s10, s10, s12
	s_addc_u32 s11, s11, s13
	s_lshl_b64 s[0:1], s[0:1], 2
	s_mul_i32 s2, s2, s34
	s_add_u32 s10, s10, s0
	s_addc_u32 s11, s11, s1
	s_lshl_b64 s[0:1], s[2:3], 2
	s_waitcnt lgkmcnt(1)
	v_mfma_f32_16x16x16_bf16 a[0:3], v[14:15], v[6:7], a[0:3]
	s_add_u32 s0, s10, s0
	s_addc_u32 s1, s11, s1
	s_load_dword s12, s[0:1], 0x0
	s_waitcnt lgkmcnt(0)
	v_mfma_f32_16x16x16_bf16 a[0:3], v[16:17], v[8:9], a[0:3]
	s_and_b64 vcc, exec, s[30:31]
	s_cbranch_vccz .LBB743_42
; %bb.32:
	v_lshlrev_b32_e32 v20, 1, v35
	s_and_b64 vcc, exec, s[6:7]
	s_cbranch_vccz .LBB743_43
; %bb.33:
	v_cmp_gt_i32_e32 vcc, s45, v20
	v_mov_b32_e32 v6, 0
	v_mov_b32_e32 v2, 0
	;; [unrolled: 1-line block ×5, first 2 shown]
	s_and_saveexec_b64 s[0:1], vcc
	s_cbranch_execz .LBB743_35
; %bb.34:
	v_mad_i64_i32 v[2:3], s[2:3], s19, v20, 0
	v_lshl_add_u64 v[2:3], v[2:3], 1, s[4:5]
	v_lshlrev_b32_e32 v4, 1, v18
	v_mov_b32_e32 v5, 0
	v_lshl_add_u64 v[2:3], v[2:3], 0, v[4:5]
	global_load_dwordx4 v[2:5], v[2:3], off
.LBB743_35:
	s_or_b64 exec, exec, s[0:1]
	v_or_b32_e32 v21, 1, v20
	v_cmp_gt_i32_e64 s[0:1], s45, v21
	v_mov_b32_e32 v7, 0
	v_mov_b32_e32 v8, 0
	;; [unrolled: 1-line block ×3, first 2 shown]
	s_and_saveexec_b64 s[2:3], s[0:1]
	s_cbranch_execz .LBB743_37
; %bb.36:
	v_mad_i64_i32 v[6:7], s[16:17], s19, v21, 0
	v_lshl_add_u64 v[6:7], v[6:7], 1, s[4:5]
	v_lshlrev_b32_e32 v8, 1, v18
	v_mov_b32_e32 v9, 0
	v_lshl_add_u64 v[6:7], v[6:7], 0, v[8:9]
	global_load_dwordx4 v[6:9], v[6:7], off
.LBB743_37:
	s_or_b64 exec, exec, s[2:3]
	v_mov_b32_e32 v17, 0
	v_mov_b32_e32 v10, 0
	;; [unrolled: 1-line block ×5, first 2 shown]
	s_and_saveexec_b64 s[2:3], vcc
	s_cbranch_execz .LBB743_39
; %bb.38:
	v_mad_i64_i32 v[10:11], s[16:17], s19, v20, 0
	v_lshl_add_u64 v[10:11], v[10:11], 1, s[4:5]
	v_lshlrev_b32_e32 v12, 1, v18
	v_mov_b32_e32 v13, 0
	v_lshl_add_u64 v[10:11], v[10:11], 0, v[12:13]
	global_load_dwordx4 v[10:13], v[10:11], off offset:128
.LBB743_39:
	s_or_b64 exec, exec, s[2:3]
	v_mov_b32_e32 v16, 0
	v_mov_b32_e32 v15, 0
	;; [unrolled: 1-line block ×3, first 2 shown]
	s_and_saveexec_b64 s[2:3], s[0:1]
	s_cbranch_execz .LBB743_41
; %bb.40:
	v_mad_i64_i32 v[14:15], s[0:1], s19, v21, 0
	v_lshl_add_u64 v[14:15], v[14:15], 1, s[4:5]
	v_lshlrev_b32_e32 v16, 1, v18
	v_mov_b32_e32 v17, 0
	v_lshl_add_u64 v[14:15], v[14:15], 0, v[16:17]
	global_load_dwordx4 v[14:17], v[14:15], off offset:128
.LBB743_41:
	s_or_b64 exec, exec, s[2:3]
	s_branch .LBB743_45
.LBB743_42:
                                        ; implicit-def: $vgpr5
                                        ; implicit-def: $vgpr9
                                        ; implicit-def: $vgpr13
                                        ; implicit-def: $vgpr17
	v_lshrrev_b32_e32 v37, 2, v43
	s_branch .LBB743_46
.LBB743_43:
                                        ; implicit-def: $vgpr5
                                        ; implicit-def: $vgpr9
                                        ; implicit-def: $vgpr13
                                        ; implicit-def: $vgpr17
	s_cbranch_execz .LBB743_45
; %bb.44:
	s_waitcnt vmcnt(0)
	v_mad_u64_u32 v[2:3], s[0:1], v20, s19, v[18:19]
	v_lshlrev_b32_e32 v20, 1, v2
	s_lshl_b32 s2, s19, 7
	s_and_b32 s1, s5, 0xffff
	s_mov_b32 s3, 0x20000
	s_mov_b32 s0, s4
	v_add_lshl_u32 v21, v2, s19, 1
	s_movk_i32 s13, 0x80
	buffer_load_dwordx4 v[2:5], v20, s[0:3], 0 offen
	buffer_load_dwordx4 v[10:13], v20, s[0:3], s13 offen
	;; [unrolled: 1-line block ×4, first 2 shown]
.LBB743_45:
	v_lshrrev_b32_e32 v37, 2, v43
	s_cbranch_execnz .LBB743_58
.LBB743_46:
	s_and_b64 vcc, exec, s[6:7]
	s_cbranch_vccz .LBB743_56
; %bb.47:
	s_waitcnt vmcnt(0)
	v_lshlrev_b32_e32 v7, 1, v35
	v_cmp_gt_i32_e32 vcc, s45, v7
	v_mov_b32_e32 v6, 0
	v_lshlrev_b32_e32 v14, 9, v35
	v_mov_b32_e32 v2, 0
	v_mov_b32_e32 v3, 0
	;; [unrolled: 1-line block ×4, first 2 shown]
	s_and_saveexec_b64 s[0:1], vcc
	s_cbranch_execz .LBB743_49
; %bb.48:
	v_mov_b32_e32 v15, 0
	v_lshl_add_u64 v[2:3], s[4:5], 0, v[14:15]
	v_lshlrev_b32_e32 v4, 1, v18
	v_mov_b32_e32 v5, v15
	v_lshl_add_u64 v[2:3], v[2:3], 0, v[4:5]
	global_load_dwordx4 v[2:5], v[2:3], off
.LBB743_49:
	s_or_b64 exec, exec, s[0:1]
	v_or_b32_e32 v7, 1, v7
	v_cmp_gt_i32_e64 s[0:1], s45, v7
	v_lshlrev_b32_e32 v20, 8, v7
	v_mov_b32_e32 v7, 0
	v_mov_b32_e32 v8, 0
	;; [unrolled: 1-line block ×3, first 2 shown]
	s_and_saveexec_b64 s[2:3], s[0:1]
	s_cbranch_execz .LBB743_51
; %bb.50:
	v_mov_b32_e32 v21, 0
	v_lshl_add_u64 v[6:7], s[4:5], 0, v[20:21]
	v_lshlrev_b32_e32 v8, 1, v18
	v_mov_b32_e32 v9, v21
	v_lshl_add_u64 v[6:7], v[6:7], 0, v[8:9]
	global_load_dwordx4 v[6:9], v[6:7], off
.LBB743_51:
	s_or_b64 exec, exec, s[2:3]
	v_mov_b32_e32 v17, 0
	v_mov_b32_e32 v10, 0
	;; [unrolled: 1-line block ×5, first 2 shown]
	s_and_saveexec_b64 s[2:3], vcc
	s_cbranch_execz .LBB743_53
; %bb.52:
	v_mov_b32_e32 v15, 0
	v_lshl_add_u64 v[10:11], s[4:5], 0, v[14:15]
	v_lshlrev_b32_e32 v14, 1, v18
	v_lshl_add_u64 v[10:11], v[10:11], 0, v[14:15]
	global_load_dwordx4 v[10:13], v[10:11], off offset:128
.LBB743_53:
	s_or_b64 exec, exec, s[2:3]
	v_mov_b32_e32 v16, 0
	v_mov_b32_e32 v15, 0
	;; [unrolled: 1-line block ×3, first 2 shown]
	s_and_saveexec_b64 s[2:3], s[0:1]
	s_cbranch_execz .LBB743_55
; %bb.54:
	v_mov_b32_e32 v21, 0
	v_lshl_add_u64 v[14:15], s[4:5], 0, v[20:21]
	v_lshlrev_b32_e32 v20, 1, v18
	v_lshl_add_u64 v[14:15], v[14:15], 0, v[20:21]
	global_load_dwordx4 v[14:17], v[14:15], off offset:128
.LBB743_55:
	s_or_b64 exec, exec, s[2:3]
	s_branch .LBB743_58
.LBB743_56:
                                        ; implicit-def: $vgpr5
                                        ; implicit-def: $vgpr9
                                        ; implicit-def: $vgpr13
                                        ; implicit-def: $vgpr17
	s_cbranch_execz .LBB743_58
; %bb.57:
	s_waitcnt vmcnt(0)
	v_lshlrev_b32_e32 v2, 1, v18
	v_lshl_or_b32 v18, v35, 9, v2
	s_and_b32 s5, s5, 0xffff
	s_mov_b32 s7, 0x20000
	s_movk_i32 s6, 0x4000
	s_movk_i32 s0, 0x80
	buffer_load_dwordx4 v[2:5], v18, s[4:7], 0 offen
	buffer_load_dwordx4 v[6:9], v18, s[4:7], 0 offen offset:256
	buffer_load_dwordx4 v[10:13], v18, s[4:7], s0 offen
	buffer_load_dwordx4 v[14:17], v18, s[4:7], s0 offen offset:256
.LBB743_58:
	ds_read2st64_b64 v[22:25], v19 offset0:76 offset1:77
	ds_read2st64_b64 v[18:21], v19 offset0:78 offset1:79
	ds_read_b64 v[32:33], v26 offset:24576
	ds_read_b64 v[30:31], v27 offset:24576
	;; [unrolled: 1-line block ×4, first 2 shown]
	v_and_b32_e32 v36, 6, v0
	v_xor_b32_e32 v35, v35, v36
	v_lshlrev_b32_e32 v35, 2, v35
	v_and_b32_e32 v0, 1, v0
	v_xor_b32_e32 v38, 0x440, v35
	v_cmp_eq_u32_e32 vcc, 0, v0
	s_mov_b32 s0, 0x1000504
	s_mov_b32 s1, 0x3020706
	v_cndmask_b32_e32 v0, v38, v35, vcc
	v_lshl_or_b32 v0, v36, 10, v0
	s_waitcnt vmcnt(0)
	v_perm_b32 v35, v2, v6, s0
	v_perm_b32 v36, v10, v14, s0
	ds_write2st64_b32 v0, v35, v36 offset1:32
	v_xor_b32_e32 v35, 8, v0
	v_perm_b32 v2, v2, v6, s1
	v_perm_b32 v6, v10, v14, s1
	v_add_u32_e32 v10, 0x80, v35
	ds_write2st64_b32 v10, v2, v6 offset1:32
	v_xor_b32_e32 v2, 16, v0
	v_perm_b32 v6, v3, v7, s0
	v_perm_b32 v10, v11, v15, s0
	ds_write2st64_b32 v2, v6, v10 offset0:1 offset1:33
	v_xor_b32_e32 v2, 24, v0
	v_perm_b32 v3, v3, v7, s1
	v_perm_b32 v6, v11, v15, s1
	v_add_u32_e32 v2, 0x80, v2
	ds_write2st64_b32 v2, v3, v6 offset0:1 offset1:33
	v_xor_b32_e32 v2, 32, v0
	v_perm_b32 v3, v4, v8, s0
	v_perm_b32 v6, v12, v16, s0
	ds_write2st64_b32 v2, v3, v6 offset0:2 offset1:34
	v_xor_b32_e32 v2, 40, v0
	v_perm_b32 v3, v4, v8, s1
	v_perm_b32 v4, v12, v16, s1
	v_add_u32_e32 v2, 0x80, v2
	ds_write2st64_b32 v2, v3, v4 offset0:2 offset1:34
	v_xor_b32_e32 v2, 48, v0
	v_perm_b32 v3, v5, v9, s0
	v_perm_b32 v4, v13, v17, s0
	v_xor_b32_e32 v0, 56, v0
	v_and_or_b32 v8, v37, 12, v42
	ds_write2st64_b32 v2, v3, v4 offset0:3 offset1:35
	v_perm_b32 v2, v5, v9, s1
	v_perm_b32 v3, v13, v17, s1
	v_add_u32_e32 v0, 0x80, v0
	v_cmp_gt_i32_e32 vcc, s45, v8
	v_mov_b32_e32 v9, 0
	v_mov_b32_e32 v14, 0
	ds_write2st64_b32 v0, v2, v3 offset0:3 offset1:35
	s_and_saveexec_b64 s[0:1], vcc
	s_cbranch_execz .LBB743_60
; %bb.59:
	v_add_u32_e32 v0, s38, v8
	v_ashrrev_i32_e32 v2, 31, v0
	v_mul_lo_u32 v4, v2, s34
	v_mul_lo_u32 v5, v0, s35
	v_mad_u64_u32 v[2:3], s[2:3], v0, s34, 0
	v_add3_u32 v3, v3, v5, v4
	v_lshl_add_u64 v[2:3], v[2:3], 2, s[10:11]
	global_load_dword v0, v[2:3], off
	s_waitcnt vmcnt(0)
	v_sub_f32_e32 v0, s12, v0
	v_mul_f32_e32 v0, 0x3fb8aa3b, v0
	v_exp_f32_e32 v14, v0
.LBB743_60:
	s_or_b64 exec, exec, s[0:1]
	v_or_b32_e32 v12, 1, v8
	v_cmp_gt_i32_e64 s[2:3], s45, v12
	s_and_saveexec_b64 s[0:1], s[2:3]
	s_cbranch_execz .LBB743_62
; %bb.61:
	v_add_u32_e32 v0, s38, v12
	v_ashrrev_i32_e32 v2, 31, v0
	v_mul_lo_u32 v4, v2, s34
	v_mul_lo_u32 v5, v0, s35
	v_mad_u64_u32 v[2:3], s[4:5], v0, s34, 0
	v_add3_u32 v3, v3, v5, v4
	v_lshl_add_u64 v[2:3], v[2:3], 2, s[10:11]
	global_load_dword v0, v[2:3], off
	s_waitcnt vmcnt(0)
	v_sub_f32_e32 v0, s12, v0
	v_mul_f32_e32 v0, 0x3fb8aa3b, v0
	v_exp_f32_e32 v9, v0
.LBB743_62:
	s_or_b64 exec, exec, s[0:1]
	v_or_b32_e32 v11, 2, v8
	v_cmp_gt_i32_e64 s[0:1], s45, v11
	v_mov_b32_e32 v10, 0
	v_mov_b32_e32 v15, 0
	s_and_saveexec_b64 s[4:5], s[0:1]
	s_cbranch_execz .LBB743_64
; %bb.63:
	v_add_u32_e32 v0, s38, v11
	v_ashrrev_i32_e32 v2, 31, v0
	v_mul_lo_u32 v4, v2, s34
	v_mul_lo_u32 v5, v0, s35
	v_mad_u64_u32 v[2:3], s[6:7], v0, s34, 0
	v_add3_u32 v3, v3, v5, v4
	v_lshl_add_u64 v[2:3], v[2:3], 2, s[10:11]
	global_load_dword v0, v[2:3], off
	s_waitcnt vmcnt(0)
	v_sub_f32_e32 v0, s12, v0
	v_mul_f32_e32 v0, 0x3fb8aa3b, v0
	v_exp_f32_e32 v15, v0
.LBB743_64:
	s_or_b64 exec, exec, s[4:5]
	v_or_b32_e32 v13, 3, v8
	v_cmp_gt_i32_e64 s[4:5], s45, v13
	s_and_saveexec_b64 s[6:7], s[4:5]
	s_cbranch_execz .LBB743_66
; %bb.65:
	v_add_u32_e32 v0, s38, v13
	v_ashrrev_i32_e32 v2, 31, v0
	v_mul_lo_u32 v4, v2, s34
	v_mul_lo_u32 v5, v0, s35
	v_mad_u64_u32 v[2:3], s[16:17], v0, s34, 0
	v_add3_u32 v3, v3, v5, v4
	v_lshl_add_u64 v[2:3], v[2:3], 2, s[10:11]
	global_load_dword v0, v[2:3], off
	s_waitcnt vmcnt(0)
	v_sub_f32_e32 v0, s12, v0
	v_mul_f32_e32 v0, 0x3fb8aa3b, v0
	v_exp_f32_e32 v10, v0
.LBB743_66:
	s_or_b64 exec, exec, s[6:7]
	s_waitcnt lgkmcnt(11)
	v_mfma_f32_16x16x16_bf16 a[0:3], v[32:33], v[22:23], a[0:3]
	v_or_b32_e32 v0, s36, v1
	s_add_u32 s6, s8, s28
	v_ashrrev_i32_e32 v1, 31, v0
	s_waitcnt lgkmcnt(10)
	v_mfma_f32_16x16x16_bf16 a[0:3], v[30:31], v[24:25], a[0:3]
	s_addc_u32 s7, s9, s29
	v_lshlrev_b64 v[0:1], 1, v[0:1]
	v_lshl_add_u64 v[4:5], s[6:7], 0, v[0:1]
	s_waitcnt lgkmcnt(9)
	v_mfma_f32_16x16x16_bf16 a[0:3], v[28:29], v[18:19], a[0:3]
	s_add_u32 s6, s14, s28
	s_addc_u32 s7, s15, s29
	v_lshl_add_u64 v[6:7], s[6:7], 0, v[0:1]
	s_waitcnt lgkmcnt(8)
	v_mfma_f32_16x16x16_bf16 a[0:3], v[26:27], v[20:21], a[0:3]
	v_mov_b32_e32 v16, 0
	v_mov_b32_e32 v17, 0
	s_nop 4
	v_accvgpr_read_b32 v0, a0
	v_accvgpr_read_b32 v1, a1
	;; [unrolled: 1-line block ×4, first 2 shown]
	s_and_saveexec_b64 s[6:7], vcc
	s_cbranch_execz .LBB743_68
; %bb.67:
	v_lshlrev_b32_e32 v18, 8, v8
	v_mov_b32_e32 v19, 0
	v_lshl_add_u64 v[20:21], v[4:5], 0, v[18:19]
	global_load_ushort v17, v[20:21], off
	v_lshl_add_u64 v[18:19], v[6:7], 0, v[18:19]
	s_waitcnt vmcnt(0)
	v_lshlrev_b32_e32 v17, 16, v17
	v_sub_f32_e32 v0, v17, v0
	global_store_short_d16_hi v[18:19], v0, off
	v_mul_f32_e32 v0, v14, v0
	v_lshrrev_b32_e32 v17, 16, v0
.LBB743_68:
	s_or_b64 exec, exec, s[6:7]
	s_and_saveexec_b64 s[6:7], s[2:3]
	s_cbranch_execz .LBB743_70
; %bb.69:
	v_lshlrev_b32_e32 v18, 8, v12
	v_mov_b32_e32 v19, 0
	v_lshl_add_u64 v[20:21], v[4:5], 0, v[18:19]
	global_load_ushort v0, v[20:21], off
	v_lshl_add_u64 v[18:19], v[6:7], 0, v[18:19]
	s_waitcnt vmcnt(0)
	v_lshlrev_b32_e32 v0, 16, v0
	v_sub_f32_e32 v0, v0, v1
	global_store_short_d16_hi v[18:19], v0, off
	v_mul_f32_e32 v0, v9, v0
	v_lshrrev_b32_e32 v16, 16, v0
.LBB743_70:
	s_or_b64 exec, exec, s[6:7]
	v_mov_b32_e32 v0, 0
	v_mov_b32_e32 v1, 0
	s_and_saveexec_b64 s[2:3], s[0:1]
	s_cbranch_execz .LBB743_72
; %bb.71:
	v_lshlrev_b32_e32 v18, 8, v11
	v_mov_b32_e32 v19, 0
	v_lshl_add_u64 v[20:21], v[4:5], 0, v[18:19]
	global_load_ushort v1, v[20:21], off
	v_lshl_add_u64 v[18:19], v[6:7], 0, v[18:19]
	s_waitcnt vmcnt(0)
	v_lshlrev_b32_e32 v1, 16, v1
	v_sub_f32_e32 v1, v1, v2
	global_store_short_d16_hi v[18:19], v1, off
	v_mul_f32_e32 v1, v15, v1
	v_lshrrev_b32_e32 v1, 16, v1
.LBB743_72:
	s_or_b64 exec, exec, s[2:3]
	s_and_saveexec_b64 s[0:1], s[4:5]
	s_cbranch_execz .LBB743_74
; %bb.73:
	v_lshlrev_b32_e32 v12, 8, v13
	v_mov_b32_e32 v13, 0
	v_lshl_add_u64 v[4:5], v[4:5], 0, v[12:13]
	global_load_ushort v0, v[4:5], off
	v_lshl_add_u64 v[4:5], v[6:7], 0, v[12:13]
	s_waitcnt vmcnt(0)
	v_lshlrev_b32_e32 v0, 16, v0
	v_sub_f32_e32 v0, v0, v3
	global_store_short_d16_hi v[4:5], v0, off
	v_mul_f32_e32 v0, v10, v0
	v_lshrrev_b32_e32 v0, 16, v0
.LBB743_74:
	s_or_b64 exec, exec, s[0:1]
	s_mov_b32 s0, 0x5040100
	v_lshlrev_b32_e32 v2, 1, v34
	v_perm_b32 v1, v0, v1, s0
	v_perm_b32 v0, v16, v17, s0
	v_lshl_or_b32 v2, v8, 5, v2
	ds_write_b64 v2, v[0:1] offset:38912
	s_waitcnt lgkmcnt(0)
	s_barrier
.LBB743_75:
	s_endpgm
	.section	.rodata,"a",@progbits
	.p2align	6, 0x0
	.amdhsa_kernel _ZN12_GLOBAL__N_139chunk_gated_delta_rule_fwd_h_hip_kernelILi16ELb0ELb0ELb1ELb1ELb0ELb0ELb1ELb0EEEvPK12hip_bfloat16S3_S3_PKfS5_PKvPS1_S8_PvPKiSB_iiiiilll
		.amdhsa_group_segment_fixed_size 40960
		.amdhsa_private_segment_fixed_size 0
		.amdhsa_kernarg_size 136
		.amdhsa_user_sgpr_count 2
		.amdhsa_user_sgpr_dispatch_ptr 0
		.amdhsa_user_sgpr_queue_ptr 0
		.amdhsa_user_sgpr_kernarg_segment_ptr 1
		.amdhsa_user_sgpr_dispatch_id 0
		.amdhsa_user_sgpr_kernarg_preload_length 0
		.amdhsa_user_sgpr_kernarg_preload_offset 0
		.amdhsa_user_sgpr_private_segment_size 0
		.amdhsa_uses_dynamic_stack 0
		.amdhsa_enable_private_segment 0
		.amdhsa_system_sgpr_workgroup_id_x 1
		.amdhsa_system_sgpr_workgroup_id_y 1
		.amdhsa_system_sgpr_workgroup_id_z 0
		.amdhsa_system_sgpr_workgroup_info 0
		.amdhsa_system_vgpr_workitem_id 0
		.amdhsa_next_free_vgpr 116
		.amdhsa_next_free_sgpr 62
		.amdhsa_accum_offset 108
		.amdhsa_reserve_vcc 1
		.amdhsa_float_round_mode_32 0
		.amdhsa_float_round_mode_16_64 0
		.amdhsa_float_denorm_mode_32 3
		.amdhsa_float_denorm_mode_16_64 3
		.amdhsa_dx10_clamp 1
		.amdhsa_ieee_mode 1
		.amdhsa_fp16_overflow 0
		.amdhsa_tg_split 0
		.amdhsa_exception_fp_ieee_invalid_op 0
		.amdhsa_exception_fp_denorm_src 0
		.amdhsa_exception_fp_ieee_div_zero 0
		.amdhsa_exception_fp_ieee_overflow 0
		.amdhsa_exception_fp_ieee_underflow 0
		.amdhsa_exception_fp_ieee_inexact 0
		.amdhsa_exception_int_div_zero 0
	.end_amdhsa_kernel
	.section	.text._ZN12_GLOBAL__N_139chunk_gated_delta_rule_fwd_h_hip_kernelILi16ELb0ELb0ELb1ELb1ELb0ELb0ELb1ELb0EEEvPK12hip_bfloat16S3_S3_PKfS5_PKvPS1_S8_PvPKiSB_iiiiilll,"axG",@progbits,_ZN12_GLOBAL__N_139chunk_gated_delta_rule_fwd_h_hip_kernelILi16ELb0ELb0ELb1ELb1ELb0ELb0ELb1ELb0EEEvPK12hip_bfloat16S3_S3_PKfS5_PKvPS1_S8_PvPKiSB_iiiiilll,comdat
.Lfunc_end743:
	.size	_ZN12_GLOBAL__N_139chunk_gated_delta_rule_fwd_h_hip_kernelILi16ELb0ELb0ELb1ELb1ELb0ELb0ELb1ELb0EEEvPK12hip_bfloat16S3_S3_PKfS5_PKvPS1_S8_PvPKiSB_iiiiilll, .Lfunc_end743-_ZN12_GLOBAL__N_139chunk_gated_delta_rule_fwd_h_hip_kernelILi16ELb0ELb0ELb1ELb1ELb0ELb0ELb1ELb0EEEvPK12hip_bfloat16S3_S3_PKfS5_PKvPS1_S8_PvPKiSB_iiiiilll
                                        ; -- End function
	.section	.AMDGPU.csdata,"",@progbits
; Kernel info:
; codeLenInByte = 7244
; NumSgprs: 68
; NumVgprs: 108
; NumAgprs: 8
; TotalNumVgprs: 116
; ScratchSize: 0
; MemoryBound: 0
; FloatMode: 240
; IeeeMode: 1
; LDSByteSize: 40960 bytes/workgroup (compile time only)
; SGPRBlocks: 8
; VGPRBlocks: 14
; NumSGPRsForWavesPerEU: 68
; NumVGPRsForWavesPerEU: 116
; AccumOffset: 108
; Occupancy: 1
; WaveLimiterHint : 1
; COMPUTE_PGM_RSRC2:SCRATCH_EN: 0
; COMPUTE_PGM_RSRC2:USER_SGPR: 2
; COMPUTE_PGM_RSRC2:TRAP_HANDLER: 0
; COMPUTE_PGM_RSRC2:TGID_X_EN: 1
; COMPUTE_PGM_RSRC2:TGID_Y_EN: 1
; COMPUTE_PGM_RSRC2:TGID_Z_EN: 0
; COMPUTE_PGM_RSRC2:TIDIG_COMP_CNT: 0
; COMPUTE_PGM_RSRC3_GFX90A:ACCUM_OFFSET: 26
; COMPUTE_PGM_RSRC3_GFX90A:TG_SPLIT: 0
	.section	.text._ZN12_GLOBAL__N_139chunk_gated_delta_rule_fwd_h_hip_kernelILi16ELb0ELb0ELb0ELb1ELb0ELb0ELb1ELb0EEEvPK12hip_bfloat16S3_S3_PKfS5_PKvPS1_S8_PvPKiSB_iiiiilll,"axG",@progbits,_ZN12_GLOBAL__N_139chunk_gated_delta_rule_fwd_h_hip_kernelILi16ELb0ELb0ELb0ELb1ELb0ELb0ELb1ELb0EEEvPK12hip_bfloat16S3_S3_PKfS5_PKvPS1_S8_PvPKiSB_iiiiilll,comdat
	.globl	_ZN12_GLOBAL__N_139chunk_gated_delta_rule_fwd_h_hip_kernelILi16ELb0ELb0ELb0ELb1ELb0ELb0ELb1ELb0EEEvPK12hip_bfloat16S3_S3_PKfS5_PKvPS1_S8_PvPKiSB_iiiiilll ; -- Begin function _ZN12_GLOBAL__N_139chunk_gated_delta_rule_fwd_h_hip_kernelILi16ELb0ELb0ELb0ELb1ELb0ELb0ELb1ELb0EEEvPK12hip_bfloat16S3_S3_PKfS5_PKvPS1_S8_PvPKiSB_iiiiilll
	.p2align	8
	.type	_ZN12_GLOBAL__N_139chunk_gated_delta_rule_fwd_h_hip_kernelILi16ELb0ELb0ELb0ELb1ELb0ELb0ELb1ELb0EEEvPK12hip_bfloat16S3_S3_PKfS5_PKvPS1_S8_PvPKiSB_iiiiilll,@function
_ZN12_GLOBAL__N_139chunk_gated_delta_rule_fwd_h_hip_kernelILi16ELb0ELb0ELb0ELb1ELb0ELb0ELb1ELb0EEEvPK12hip_bfloat16S3_S3_PKfS5_PKvPS1_S8_PvPKiSB_iiiiilll: ; @_ZN12_GLOBAL__N_139chunk_gated_delta_rule_fwd_h_hip_kernelILi16ELb0ELb0ELb0ELb1ELb0ELb0ELb1ELb0EEEvPK12hip_bfloat16S3_S3_PKfS5_PKvPS1_S8_PvPKiSB_iiiiilll
; %bb.0:
	s_load_dwordx4 s[12:15], s[0:1], 0x5c
	s_load_dwordx4 s[16:19], s[0:1], 0x70
	s_abs_i32 s21, s3
	s_ashr_i32 s20, s3, 31
	s_load_dwordx2 s[36:37], s[0:1], 0x30
	s_load_dwordx4 s[24:27], s[0:1], 0x48
	s_waitcnt lgkmcnt(0)
	s_abs_i32 s28, s13
	v_cvt_f32_u32_e32 v1, s28
	s_sub_i32 s22, 0, s28
	s_ashr_i32 s29, s13, 31
	s_xor_b32 s20, s20, s29
	v_rcp_iflag_f32_e32 v1, v1
	s_load_dwordx8 s[4:11], s[0:1], 0x0
	v_lshrrev_b32_e32 v42, 6, v0
	v_bfe_u32 v43, v0, 4, 2
	v_mul_f32_e32 v1, 0x4f7ffffe, v1
	v_cvt_u32_f32_e32 v1, v1
	v_lshlrev_b32_e32 v40, 4, v42
	v_lshlrev_b32_e32 v2, 2, v43
	v_and_b32_e32 v41, 63, v0
	v_readfirstlane_b32 s23, v1
	s_mul_i32 s22, s22, s23
	s_mul_hi_u32 s22, s23, s22
	s_add_i32 s23, s23, s22
	s_mul_hi_u32 s22, s21, s23
	s_mul_i32 s23, s22, s28
	s_sub_i32 s21, s21, s23
	s_add_i32 s30, s22, 1
	s_sub_i32 s23, s21, s28
	s_cmp_ge_u32 s21, s28
	s_cselect_b32 s22, s30, s22
	s_cselect_b32 s21, s23, s21
	s_add_i32 s23, s22, 1
	s_cmp_ge_u32 s21, s28
	s_cselect_b32 s21, s23, s22
	s_xor_b32 s21, s21, s20
	s_sub_i32 s20, s21, s20
	s_mul_i32 s21, s20, s13
	s_sub_i32 s33, s3, s21
	s_ashr_i32 s21, s20, 31
	s_lshl_b64 s[22:23], s[20:21], 2
	s_add_u32 s24, s24, s22
	s_addc_u32 s25, s25, s23
	s_add_u32 s22, s26, s22
	s_addc_u32 s23, s27, s23
	s_abs_i32 s3, s14
	v_cvt_f32_u32_e32 v1, s3
	s_load_dwordx2 s[34:35], s[24:25], 0x0
	s_sub_i32 s25, 0, s3
	s_load_dword s45, s[22:23], 0x0
	v_rcp_iflag_f32_e32 v1, v1
	v_or_b32_e32 v47, v2, v40
	s_waitcnt lgkmcnt(0)
	s_sub_i32 s43, s35, s34
	s_ashr_i32 s24, s43, 31
	v_mul_f32_e32 v1, 0x4f7ffffe, v1
	v_cvt_u32_f32_e32 v1, v1
	s_lshr_b32 s24, s24, 26
	s_add_i32 s24, s43, s24
	s_ashr_i32 s44, s24, 6
	v_readfirstlane_b32 s26, v1
	s_mul_i32 s25, s25, s26
	s_mul_hi_u32 s25, s26, s25
	s_add_i32 s26, s26, s25
	s_mul_hi_u32 s25, s28, s26
	s_mul_i32 s26, s25, s3
	s_ashr_i32 s24, s14, 31
	s_sub_i32 s26, s28, s26
	s_xor_b32 s24, s29, s24
	s_add_i32 s27, s25, 1
	s_sub_i32 s28, s26, s3
	s_cmp_ge_u32 s26, s3
	s_cselect_b32 s25, s27, s25
	s_cselect_b32 s26, s28, s26
	s_add_i32 s27, s25, 1
	s_cmp_ge_u32 s26, s3
	s_cselect_b32 s3, s27, s25
	s_xor_b32 s3, s3, s24
	s_sub_i32 s3, s3, s24
	s_abs_i32 s24, s3
	v_cvt_f32_u32_e32 v1, s24
	s_load_dwordx2 s[28:29], s[0:1], 0x80
	s_xor_b32 s0, s33, s3
	s_sub_i32 s3, 0, s24
	v_rcp_iflag_f32_e32 v1, v1
	s_abs_i32 s1, s33
	s_ashr_i32 s0, s0, 31
	v_or_b32_e32 v46, 64, v47
	v_mul_f32_e32 v1, 0x4f7ffffe, v1
	v_cvt_u32_f32_e32 v1, v1
	v_mov_b32_e32 v3, 0
	s_mul_hi_i32 s46, s33, s12
	s_mul_i32 s47, s33, s12
	v_readfirstlane_b32 s22, v1
	s_mul_i32 s3, s3, s22
	s_mul_hi_u32 s3, s22, s3
	s_add_i32 s22, s22, s3
	s_mul_hi_u32 s3, s1, s22
	s_mul_i32 s22, s3, s24
	s_sub_i32 s1, s1, s22
	s_add_i32 s22, s3, 1
	s_sub_i32 s23, s1, s24
	s_cmp_ge_u32 s1, s24
	s_cselect_b32 s3, s22, s3
	s_cselect_b32 s1, s23, s1
	s_add_i32 s22, s3, 1
	s_cmp_ge_u32 s1, s24
	s_cselect_b32 s1, s22, s3
	s_xor_b32 s1, s1, s0
	s_sub_i32 s49, s1, s0
	s_lshl_b32 s30, s2, 4
	v_and_b32_e32 v1, 15, v0
	s_cmp_lt_i32 s43, 64
	v_lshrrev_b32_e32 v45, 3, v41
	v_lshlrev_b32_e32 v44, 3, v0
	s_mul_i32 s40, s20, s17
	s_mul_hi_u32 s41, s20, s16
	s_mul_i32 s42, s21, s16
	s_mul_i32 s16, s20, s16
	v_mov_b32_e32 v63, 0
	v_mov_b32_e32 v34, 0
	;; [unrolled: 1-line block ×7, first 2 shown]
	s_cbranch_scc1 .LBB744_18
; %bb.1:
	s_ashr_i32 s51, s33, 31
	s_ashr_i32 s1, s34, 31
	s_add_u32 s0, s47, s34
	s_addc_u32 s1, s46, s1
	s_lshl_b64 s[0:1], s[0:1], 8
	v_and_b32_e32 v49, 56, v44
	s_add_u32 s0, s6, s0
	v_lshl_or_b32 v48, v42, 3, v45
	v_lshlrev_b32_e32 v3, 1, v49
	s_addc_u32 s1, s7, s1
	v_lshl_or_b32 v50, v48, 8, v3
	s_and_b32 s1, s1, 0xffff
	s_mov_b32 s3, 0x20000
	s_movk_i32 s2, 0x4000
	s_movk_i32 s17, 0x80
	v_or_b32_e32 v51, 0x2000, v50
	buffer_load_dwordx4 v[4:7], v50, s[0:3], 0 offen
	buffer_load_dwordx4 v[8:11], v50, s[0:3], s17 offen
	;; [unrolled: 1-line block ×4, first 2 shown]
	v_lshlrev_b32_e32 v20, 3, v48
	v_and_or_b32 v22, v0, 7, v20
	v_and_b32_e32 v20, 0x78, v20
	v_lshlrev_b32_e32 v22, 4, v22
	v_xor_b32_e32 v52, v22, v20
	v_mul_lo_u32 v21, v48, s15
	v_or_b32_e32 v53, 0x1000, v52
	s_cmpk_eq_i32 s15, 0x80
	s_mov_b32 s48, s13
	s_mov_b32 s50, s34
	v_xor_b32_e32 v20, 8, v52
	v_xor_b32_e32 v22, 8, v53
	s_cselect_b64 s[0:1], -1, 0
	s_cmpk_lg_i32 s15, 0x80
	s_waitcnt vmcnt(3)
	ds_write_b64 v52, v[4:5] offset:16384
	ds_write_b64 v20, v[6:7] offset:16384
	s_waitcnt vmcnt(2)
	ds_write_b64 v52, v[8:9] offset:24576
	ds_write_b64 v20, v[10:11] offset:24576
	;; [unrolled: 3-line block ×4, first 2 shown]
	v_lshl_add_u32 v4, v21, 1, v49
	s_cbranch_scc0 .LBB744_3
; %bb.2:
	v_lshlrev_b32_e32 v6, 1, v4
	v_add_lshl_u32 v5, v4, s15, 1
	s_lshl_b32 s22, s15, 7
	v_lshl_or_b32 v3, v48, 9, v3
	s_cbranch_execz .LBB744_4
	s_branch .LBB744_5
.LBB744_3:
                                        ; implicit-def: $vgpr5
                                        ; implicit-def: $vgpr6
                                        ; implicit-def: $sgpr22
	v_lshl_or_b32 v3, v48, 9, v3
.LBB744_4:
	v_or_b32_e32 v5, 0x100, v3
	s_movk_i32 s22, 0x4000
	v_mov_b32_e32 v6, v3
.LBB744_5:
	s_mul_i32 s2, s34, s14
	s_ashr_i32 s52, s49, 31
	s_mul_hi_i32 s3, s34, s14
	s_add_u32 s2, s2, s49
	s_addc_u32 s3, s3, s52
	s_lshl_b64 s[2:3], s[2:3], 8
	s_add_u32 s20, s4, s2
	s_addc_u32 s2, s5, s3
	s_and_b32 s21, s2, 0xffff
	s_mov_b32 s23, 0x20000
	s_movk_i32 s53, 0x80
	buffer_load_dwordx4 v[8:11], v6, s[20:23], 0 offen
	buffer_load_dwordx4 v[12:15], v6, s[20:23], s53 offen
	;; [unrolled: 1-line block ×4, first 2 shown]
	v_and_b32_e32 v5, 6, v0
	v_lshlrev_b32_e32 v7, 2, v1
	v_lshlrev_b32_e32 v24, 3, v1
	v_xor_b32_e32 v26, v48, v5
	v_and_b32_e32 v6, 1, v0
	v_lshl_or_b32 v24, v47, 5, v24
	v_xor_b32_e32 v27, v47, v7
	v_lshlrev_b32_e32 v26, 2, v26
	s_mul_i32 s3, s33, s19
	s_mul_hi_u32 s17, s33, s18
	v_or_b32_e32 v54, 0x9000, v24
	v_or_b32_e32 v55, 0x9800, v24
	v_lshlrev_b32_e32 v24, 1, v27
	v_xor_b32_e32 v27, 0x440, v26
	v_cmp_eq_u32_e32 vcc, 0, v6
	s_add_i32 s21, s41, s40
	s_mul_i32 s20, s51, s18
	v_cndmask_b32_e32 v6, v27, v26, vcc
	s_add_i32 s3, s17, s3
	s_add_i32 s17, s21, s42
	s_mov_b32 s54, 0x1000504
	v_lshlrev_b32_e32 v25, 8, v1
	s_mov_b32 s22, 0x8000
	v_xor_b32_e32 v7, v46, v7
	v_lshl_or_b32 v5, v5, 10, v6
	s_add_i32 s3, s3, s20
	s_lshl_b64 s[20:21], s[16:17], 2
	s_mov_b32 s55, 0x3020706
	s_mul_i32 s2, s33, s18
	v_lshlrev_b32_e32 v7, 1, v7
	v_or3_b32 v56, v24, v25, s22
	v_xor_b32_e32 v6, 8, v5
	v_xor_b32_e32 v24, 24, v5
	;; [unrolled: 1-line block ×4, first 2 shown]
	s_add_u32 s17, s10, s20
	v_or3_b32 v57, v7, v25, s22
	v_xor_b32_e32 v7, 16, v5
	v_xor_b32_e32 v25, 32, v5
	;; [unrolled: 1-line block ×3, first 2 shown]
	v_add_u32_e32 v6, 0x80, v6
	v_add_u32_e32 v24, 0x80, v24
	;; [unrolled: 1-line block ×4, first 2 shown]
	s_addc_u32 s20, s11, s21
	s_lshl_b64 s[2:3], s[2:3], 2
	s_add_u32 s2, s17, s2
	s_movk_i32 s17, 0xf8
	s_addc_u32 s3, s20, s3
	s_ashr_i32 s31, s30, 31
	s_lshl_b32 s26, s15, 7
	s_lshl_b64 s[20:21], s[30:31], 8
	s_add_u32 s20, s36, s20
	s_addc_u32 s21, s37, s21
	v_mov_b32_e32 v35, 0
	s_mov_b32 s56, 0
	v_add_u32_e32 v76, v40, v2
	v_mov_b32_e32 v77, 0x3fb8aa3b
	v_mov_b32_e32 v65, v35
	;; [unrolled: 1-line block ×7, first 2 shown]
	s_waitcnt vmcnt(1)
	v_perm_b32 v29, v8, v16, s54
	s_waitcnt vmcnt(0)
	v_perm_b32 v30, v12, v20, s54
	v_perm_b32 v8, v8, v16, s55
	;; [unrolled: 1-line block ×15, first 2 shown]
	ds_write2st64_b32 v5, v29, v30 offset1:32
	ds_write2st64_b32 v6, v8, v12 offset1:32
	ds_write2st64_b32 v7, v16, v20 offset0:1 offset1:33
	ds_write2st64_b32 v24, v9, v13 offset0:1 offset1:33
	;; [unrolled: 1-line block ×6, first 2 shown]
	v_or_b32_e32 v5, v40, v1
	v_lshlrev_b32_e32 v5, 3, v5
	v_lshrrev_b32_e32 v7, 5, v41
	v_and_or_b32 v7, v5, s17, v7
	v_lshlrev_b32_e32 v7, 4, v7
	v_lshlrev_b32_e32 v8, 11, v42
	v_and_b32_e32 v5, 0x78, v5
	v_or_b32_e32 v12, 32, v7
	v_and_b32_e32 v6, 0x1000, v8
	v_lshrrev_b32_e32 v10, 1, v0
	v_xor_b32_e32 v12, v12, v5
	v_and_b32_e32 v11, 8, v10
	v_or_b32_e32 v12, v12, v6
	v_xor_b32_e32 v9, v7, v5
	v_xor_b32_e32 v60, v12, v11
	v_or_b32_e32 v12, 64, v7
	v_or_b32_e32 v7, 0x60, v7
	;; [unrolled: 1-line block ×3, first 2 shown]
	v_xor_b32_e32 v12, v12, v5
	v_xor_b32_e32 v5, v7, v5
	;; [unrolled: 1-line block ×3, first 2 shown]
	v_and_b32_e32 v9, 0x78, v44
	v_or_b32_e32 v5, v5, v6
	v_lshl_or_b32 v9, v43, 7, v9
	v_or_b32_e32 v12, v12, v6
	v_xor_b32_e32 v64, v5, v11
	v_lshlrev_b32_e32 v5, 1, v1
	v_or_b32_e32 v59, 0x9000, v9
	v_xor_b32_e32 v61, v12, v11
	v_or_b32_e32 v66, 0x9800, v9
	v_lshlrev_b32_e32 v9, 1, v4
	v_add_lshl_u32 v11, v4, s15, 1
	v_lshrrev_b32_e32 v4, 4, v0
	v_or_b32_e32 v13, 1, v5
	v_xor_b32_e32 v5, v4, v5
	v_xor_b32_e32 v13, v13, v4
	v_lshlrev_b32_e32 v5, 3, v5
	v_lshlrev_b32_e32 v34, 8, v4
	;; [unrolled: 1-line block ×3, first 2 shown]
	v_or3_b32 v68, v5, v34, s22
	v_or3_b32 v69, v4, v34, s22
	v_lshl_add_u64 v[4:5], s[20:21], 0, v[34:35]
	v_lshlrev_b32_e32 v34, 4, v1
	s_movk_i32 s17, 0xff
	v_lshlrev_b32_e32 v15, 3, v42
	v_and_b32_e32 v10, 24, v10
	v_lshl_add_u64 v[36:37], v[4:5], 0, v[34:35]
	v_and_b32_e32 v5, 8, v0
	v_cmp_lt_u32_e32 vcc, s17, v0
	v_xor_b32_e32 v16, v15, v10
	v_or_b32_e32 v17, 0x440, v16
	v_cndmask_b32_e64 v14, 0, 1, vcc
	v_cmp_eq_u32_e32 vcc, 0, v5
	v_and_b32_e32 v4, 7, v0
	v_lshlrev_b32_e32 v13, 3, v4
	v_cndmask_b32_e32 v5, v17, v16, vcc
	v_lshlrev_b32_e32 v4, 7, v4
	v_or_b32_e32 v5, v5, v8
	v_xad_u32 v70, v5, v13, v4
	v_or_b32_e32 v5, 32, v10
	v_xor_b32_e32 v5, v15, v5
	v_or_b32_e32 v16, 0x440, v5
	v_cndmask_b32_e32 v5, v16, v5, vcc
	v_or_b32_e32 v5, v5, v8
	v_xad_u32 v71, v5, v13, v4
	v_or_b32_e32 v5, 64, v10
	v_xor_b32_e32 v5, v15, v5
	v_xor_b32_e32 v16, 0x440, v5
	v_cndmask_b32_e32 v5, v16, v5, vcc
	v_or_b32_e32 v5, v5, v8
	v_xad_u32 v72, v5, v13, v4
	v_or_b32_e32 v5, 0x60, v10
	v_xor_b32_e32 v5, v15, v5
	v_xor_b32_e32 v10, 0x440, v5
	v_or_b32_e32 v6, s30, v1
	v_cndmask_b32_e32 v5, v10, v5, vcc
	v_ashrrev_i32_e32 v7, 31, v6
	v_or_b32_e32 v5, v5, v8
	v_lshl_add_u64 v[6:7], v[6:7], 1, s[8:9]
	v_or_b32_e32 v12, 0x100, v3
	v_lshlrev_b32_e32 v14, 13, v14
	v_xad_u32 v73, v5, v13, v4
	v_lshlrev_b32_e32 v34, 8, v47
	v_cndmask_b32_e64 v74, v9, v3, s[0:1]
	v_cndmask_b32_e64 v75, v11, v12, s[0:1]
	v_lshl_add_u64 v[38:39], v[6:7], 0, v[34:35]
	s_mov_b32 s17, 0x7060302
	s_movk_i32 s22, 0x4000
	v_add_u32_e32 v78, v14, v70
	v_add_u32_e32 v79, v14, v71
	;; [unrolled: 1-line block ×4, first 2 shown]
	v_mov_b32_e32 v34, v35
	s_waitcnt lgkmcnt(0)
	s_barrier
.LBB744_6:                              ; =>This Inner Loop Header: Depth=1
	s_add_i32 s31, s56, 1
	s_cmp_lt_i32 s31, s44
	s_mov_b64 s[24:25], 0
	s_cselect_b64 s[38:39], -1, 0
	s_cmp_ge_i32 s31, s44
	s_mov_b64 s[20:21], 0
	s_cbranch_scc1 .LBB744_8
; %bb.7:                                ;   in Loop: Header=BB744_6 Depth=1
	s_add_i32 s0, s50, 64
	s_ashr_i32 s1, s0, 31
	s_add_u32 s0, s47, s0
	s_addc_u32 s1, s46, s1
	s_lshl_b64 s[0:1], s[0:1], 8
	s_add_u32 s20, s6, s0
	s_addc_u32 s21, s7, s1
.LBB744_8:                              ;   in Loop: Header=BB744_6 Depth=1
	v_cndmask_b32_e64 v2, 0, 1, s[38:39]
	v_cmp_ne_u32_e64 s[0:1], 1, v2
	s_andn2_b64 vcc, exec, s[38:39]
	s_cbranch_vccnz .LBB744_10
; %bb.9:                                ;   in Loop: Header=BB744_6 Depth=1
	s_add_i32 s24, s50, 64
	s_mul_hi_i32 s25, s24, s14
	s_mul_i32 s24, s24, s14
	s_add_u32 s24, s24, s49
	s_addc_u32 s25, s25, s52
	s_lshl_b64 s[24:25], s[24:25], 8
	s_add_u32 s24, s4, s24
	s_addc_u32 s25, s5, s25
.LBB744_10:                             ;   in Loop: Header=BB744_6 Depth=1
	v_perm_b32 v3, v83, v67, s17
	v_perm_b32 v2, v65, v35, s17
	;; [unrolled: 1-line block ×4, first 2 shown]
	ds_write_b64 v54, v[2:3]
	ds_write_b64 v55, v[4:5]
	;; [unrolled: 1-line block ×4, first 2 shown]
	s_waitcnt lgkmcnt(0)
	s_barrier
	ds_read_b64 v[10:11], v58 offset:16384
	ds_read_b64 v[12:13], v60 offset:16384
	ds_read2st64_b64 v[2:5], v59 offset1:1
	s_waitcnt lgkmcnt(0)
	v_mfma_f32_16x16x16_bf16 a[0:3], v[10:11], v[2:3], 0
	ds_read2st64_b64 v[6:9], v59 offset0:2 offset1:3
	ds_read_b64 v[14:15], v61 offset:16384
	ds_read_b64 v[2:3], v64 offset:16384
	s_add_i32 s27, s50, 63
	v_mfma_f32_16x16x16_bf16 a[0:3], v[12:13], v[4:5], a[0:3]
	s_ashr_i32 s38, s27, 31
	s_mul_i32 s39, s27, s29
	s_mul_hi_u32 s57, s27, s28
	s_waitcnt lgkmcnt(1)
	v_mfma_f32_16x16x16_bf16 a[0:3], v[14:15], v[6:7], a[0:3]
	s_add_i32 s39, s57, s39
	s_mul_i32 s38, s38, s28
	s_add_i32 s39, s39, s38
	s_mul_i32 s38, s27, s28
	s_waitcnt lgkmcnt(0)
	v_mfma_f32_16x16x16_bf16 a[0:3], v[2:3], v[8:9], a[0:3]
	s_lshl_b64 s[38:39], s[38:39], 2
	s_add_u32 s38, s2, s38
	s_addc_u32 s39, s3, s39
	s_and_b64 vcc, exec, s[0:1]
	v_mov_b32_e32 v86, 0
	v_mov_b32_e32 v85, 0
	;; [unrolled: 1-line block ×19, first 2 shown]
	s_cbranch_vccnz .LBB744_12
; %bb.11:                               ;   in Loop: Header=BB744_6 Depth=1
	s_and_b32 s21, s21, 0xffff
	buffer_load_dwordx4 v[14:17], v50, s[20:23], 0 offen
	buffer_load_dwordx4 v[10:13], v50, s[20:23], s53 offen
	;; [unrolled: 1-line block ×4, first 2 shown]
	v_mov_b32_e32 v85, v52
	v_mov_b32_e32 v84, v53
.LBB744_12:                             ;   in Loop: Header=BB744_6 Depth=1
	s_waitcnt vmcnt(3)
	v_add_u32_e32 v22, s50, v76
	s_waitcnt vmcnt(1)
	v_ashrrev_i32_e32 v18, 31, v22
	v_mul_lo_u32 v20, v18, s28
	v_mul_lo_u32 v21, v22, s29
	v_mad_u64_u32 v[18:19], s[20:21], v22, s28, 0
	v_add3_u32 v19, v19, v21, v20
	v_lshl_add_u64 v[18:19], v[18:19], 2, s[2:3]
	global_load_dword v92, v[18:19], off
	v_add_u32_e32 v18, 1, v22
	v_ashrrev_i32_e32 v19, 31, v18
	v_mul_lo_u32 v20, v19, s28
	v_mul_lo_u32 v21, v18, s29
	v_mad_u64_u32 v[18:19], s[20:21], v18, s28, 0
	v_add3_u32 v19, v19, v21, v20
	v_add_u32_e32 v20, 2, v22
	v_ashrrev_i32_e32 v21, 31, v20
	v_mul_lo_u32 v23, v21, s28
	v_mul_lo_u32 v24, v20, s29
	v_mad_u64_u32 v[20:21], s[20:21], v20, s28, 0
	v_add_u32_e32 v22, 3, v22
	v_add3_u32 v21, v21, v24, v23
	v_ashrrev_i32_e32 v23, 31, v22
	v_mul_lo_u32 v26, v23, s28
	v_mul_lo_u32 v27, v22, s29
	v_mad_u64_u32 v[22:23], s[20:21], v22, s28, 0
	s_ashr_i32 s21, s50, 31
	s_add_u32 s20, s47, s50
	s_addc_u32 s21, s46, s21
	s_lshl_b64 s[20:21], s[20:21], 8
	v_lshl_add_u64 v[18:19], v[18:19], 2, s[2:3]
	v_lshl_add_u64 v[24:25], v[38:39], 0, s[20:21]
	v_add3_u32 v23, v23, v27, v26
	v_lshl_add_u64 v[20:21], v[20:21], 2, s[2:3]
	global_load_ushort v93, v[24:25], off
	global_load_ushort v94, v[24:25], off offset:256
	global_load_ushort v95, v[24:25], off offset:512
	global_load_ushort v96, v[24:25], off offset:768
	v_lshl_add_u64 v[22:23], v[22:23], 2, s[2:3]
	global_load_dword v97, v[18:19], off
	global_load_dword v98, v[20:21], off
	;; [unrolled: 1-line block ×3, first 2 shown]
	s_load_dword s20, s[38:39], 0x0
	ds_read_b64 v[26:27], v58 offset:24576
	ds_read2st64_b64 v[22:25], v66 offset1:1
	ds_read2st64_b64 v[28:31], v66 offset0:2 offset1:3
	ds_read_b64 v[32:33], v60 offset:24576
	ds_read_b64 v[88:89], v61 offset:24576
	;; [unrolled: 1-line block ×3, first 2 shown]
	s_waitcnt lgkmcnt(0)
	v_mfma_f32_16x16x16_bf16 a[0:3], v[26:27], v[22:23], a[0:3]
	v_mov_b32_e32 v87, 0
	v_mov_b32_e32 v18, 0
	v_mov_b32_e32 v19, 0
	v_mfma_f32_16x16x16_bf16 a[0:3], v[32:33], v[24:25], a[0:3]
	v_mov_b32_e32 v20, 0
	v_mov_b32_e32 v21, 0
	v_mov_b32_e32 v22, 0
	;; [unrolled: 4-line block ×4, first 2 shown]
	s_and_b64 vcc, exec, s[0:1]
	s_waitcnt vmcnt(7)
	v_sub_f32_e32 v29, s20, v92
	v_mul_f32_e32 v29, 0x3fb8aa3b, v29
	v_exp_f32_e32 v92, v29
	v_accvgpr_read_b32 v33, a1
	v_accvgpr_read_b32 v31, a3
	;; [unrolled: 1-line block ×4, first 2 shown]
	s_waitcnt vmcnt(6)
	v_lshlrev_b32_e32 v88, 16, v93
	s_waitcnt vmcnt(5)
	v_lshlrev_b32_e32 v89, 16, v94
	;; [unrolled: 2-line block ×3, first 2 shown]
	s_waitcnt vmcnt(2)
	v_sub_f32_e32 v93, s20, v97
	s_waitcnt vmcnt(1)
	v_sub_f32_e32 v94, s20, v98
	;; [unrolled: 2-line block ×3, first 2 shown]
	v_mul_f32_e32 v29, 0x3fb8aa3b, v93
	v_mul_f32_e32 v94, 0x3fb8aa3b, v94
	;; [unrolled: 1-line block ×3, first 2 shown]
	v_exp_f32_e32 v93, v29
	v_exp_f32_e32 v94, v94
	;; [unrolled: 1-line block ×3, first 2 shown]
	v_lshlrev_b32_e32 v91, 16, v96
	v_pk_add_f32 v[32:33], v[88:89], v[32:33] neg_lo:[0,1] neg_hi:[0,1]
	v_pk_add_f32 v[30:31], v[90:91], v[30:31] neg_lo:[0,1] neg_hi:[0,1]
	v_pk_mul_f32 v[32:33], v[92:93], v[32:33]
	v_pk_mul_f32 v[30:31], v[94:95], v[30:31]
	v_mov_b32_e32 v29, 0
	v_perm_b32 v31, v31, v30, s17
	v_perm_b32 v30, v33, v32, s17
	ds_write_b64 v55, v[30:31]
	v_mov_b32_e32 v30, 0
	v_mov_b32_e32 v31, 0
	;; [unrolled: 1-line block ×4, first 2 shown]
	s_cbranch_vccnz .LBB744_14
; %bb.13:                               ;   in Loop: Header=BB744_6 Depth=1
	s_and_b32 s25, s25, 0xffff
	s_mov_b32 s27, s23
	buffer_load_dwordx4 v[30:33], v74, s[24:27], 0 offen
	buffer_load_dwordx4 v[22:25], v74, s[24:27], s53 offen
	;; [unrolled: 1-line block ×4, first 2 shown]
	v_mov_b32_e32 v86, v49
	v_mov_b32_e32 v87, v48
.LBB744_14:                             ;   in Loop: Header=BB744_6 Depth=1
	s_waitcnt lgkmcnt(0)
	s_barrier
	ds_read_b64 v[96:97], v78
	ds_read2st64_b64 v[88:91], v66 offset1:1
	ds_read2st64_b64 v[92:95], v66 offset0:2 offset1:3
	ds_read_b64 v[98:99], v79
	ds_read_b64 v[100:101], v80
	;; [unrolled: 1-line block ×3, first 2 shown]
	s_waitcnt lgkmcnt(4)
	v_mfma_f32_16x16x16_bf16 a[0:3], v[96:97], v[88:89], 0
	ds_read_b64 v[96:97], v70 offset:8192
	ds_read_b64 v[104:105], v71 offset:8192
	s_add_i32 s21, s45, s56
	s_mul_hi_i32 s25, s21, s48
	s_waitcnt lgkmcnt(1)
	v_mfma_f32_16x16x16_bf16 a[4:7], v[96:97], v[88:89], 0
	s_mul_i32 s21, s21, s48
	s_add_u32 s24, s21, s33
	s_addc_u32 s25, s25, s51
	v_mfma_f32_16x16x16_bf16 a[0:3], v[98:99], v[90:91], a[0:3]
	ds_read_b64 v[96:97], v68
	ds_read_b64 v[98:99], v69
	ds_read_b64 v[88:89], v72 offset:8192
	s_lshl_b64 s[24:25], s[24:25], 15
	v_mfma_f32_16x16x16_bf16 a[0:3], v[100:101], v[92:93], a[0:3]
	ds_read_b64 v[100:101], v73 offset:8192
	s_and_b64 vcc, exec, s[0:1]
	s_waitcnt lgkmcnt(4)
	v_mfma_f32_16x16x16_bf16 a[4:7], v[104:105], v[90:91], a[4:7]
	s_waitcnt lgkmcnt(1)
	v_mfma_f32_16x16x16_bf16 a[4:7], v[88:89], v[92:93], a[4:7]
	v_lshl_add_u64 v[88:89], v[36:37], 0, s[24:25]
	global_store_dwordx4 v[88:89], v[96:99], off
	v_mfma_f32_16x16x16_bf16 a[0:3], v[102:103], v[94:95], a[0:3]
	s_waitcnt lgkmcnt(0)
	v_mfma_f32_16x16x16_bf16 a[4:7], v[100:101], v[94:95], a[4:7]
	s_cbranch_vccnz .LBB744_16
; %bb.15:                               ;   in Loop: Header=BB744_6 Depth=1
	v_lshrrev_b32_e32 v88, 3, v86
	v_and_b32_e32 v88, 6, v88
	v_xor_b32_e32 v87, v88, v87
	v_lshlrev_b32_e32 v87, 2, v87
	v_and_b32_e32 v86, 8, v86
	v_xor_b32_e32 v89, 0x440, v87
	v_cmp_eq_u32_e32 vcc, 0, v86
	s_barrier
	s_nop 0
	v_cndmask_b32_e32 v86, v89, v87, vcc
	v_lshl_or_b32 v86, v88, 10, v86
	s_waitcnt vmcnt(2)
	v_perm_b32 v87, v30, v26, s54
	s_waitcnt vmcnt(1)
	v_perm_b32 v88, v22, v18, s54
	ds_write2st64_b32 v86, v87, v88 offset1:32
	v_xor_b32_e32 v87, 8, v86
	v_perm_b32 v26, v30, v26, s55
	v_perm_b32 v18, v22, v18, s55
	v_add_u32_e32 v22, 0x80, v87
	ds_write2st64_b32 v22, v26, v18 offset1:32
	v_xor_b32_e32 v18, 16, v86
	v_perm_b32 v22, v31, v27, s54
	v_perm_b32 v26, v23, v19, s54
	ds_write2st64_b32 v18, v22, v26 offset0:1 offset1:33
	v_xor_b32_e32 v18, 24, v86
	v_perm_b32 v22, v31, v27, s55
	v_perm_b32 v19, v23, v19, s55
	v_add_u32_e32 v18, 0x80, v18
	ds_write2st64_b32 v18, v22, v19 offset0:1 offset1:33
	v_xor_b32_e32 v18, 32, v86
	v_perm_b32 v19, v32, v28, s54
	v_perm_b32 v22, v24, v20, s54
	ds_write2st64_b32 v18, v19, v22 offset0:2 offset1:34
	v_xor_b32_e32 v18, 40, v86
	v_perm_b32 v19, v32, v28, s55
	v_perm_b32 v20, v24, v20, s55
	v_add_u32_e32 v18, 0x80, v18
	ds_write2st64_b32 v18, v19, v20 offset0:2 offset1:34
	;; [unrolled: 9-line block ×3, first 2 shown]
	ds_write_b64 v85, v[14:15] offset:16384
	v_xor_b32_e32 v14, 8, v85
	ds_write_b64 v14, v[16:17] offset:16384
	ds_write_b64 v85, v[10:11] offset:24576
	;; [unrolled: 1-line block ×4, first 2 shown]
	v_xor_b32_e32 v6, 8, v84
	ds_write_b64 v6, v[8:9] offset:16384
	ds_write_b64 v84, v[2:3] offset:24576
	;; [unrolled: 1-line block ×3, first 2 shown]
.LBB744_16:                             ;   in Loop: Header=BB744_6 Depth=1
	v_mul_f32_e32 v2, s20, v77
	v_exp_f32_e32 v2, v2
	s_nop 1
	v_accvgpr_read_b32 v3, a0
	v_accvgpr_read_b32 v4, a1
	s_add_i32 s50, s50, 64
	v_fma_f32 v35, v35, v2, v3
	v_accvgpr_read_b32 v3, a2
	v_fma_f32 v67, v67, v2, v3
	v_accvgpr_read_b32 v3, a4
	;; [unrolled: 2-line block ×6, first 2 shown]
	v_fmac_f32_e32 v4, v83, v2
	s_cmp_eq_u32 s44, s31
	v_fmac_f32_e32 v3, v82, v2
	s_cbranch_scc1 .LBB744_18
; %bb.17:                               ;   in Loop: Header=BB744_6 Depth=1
	s_mov_b32 s56, s31
	v_mov_b32_e32 v83, v4
	v_mov_b32_e32 v82, v3
	s_branch .LBB744_6
.LBB744_18:
	s_lshl_b32 s0, s44, 6
	s_sub_i32 s43, s43, s0
	s_cmp_gt_i32 s43, 0
	s_cbranch_scc0 .LBB744_75
; %bb.19:
	s_add_i32 s34, s0, s34
	s_ashr_i32 s2, s34, 31
	s_cmpk_lg_i32 s15, 0x80
	s_cselect_b64 s[26:27], -1, 0
	s_and_b64 vcc, exec, s[26:27]
	s_cbranch_vccz .LBB744_21
; %bb.20:
	s_mul_i32 s1, s34, s14
	s_ashr_i32 s3, s49, 31
	s_mul_hi_i32 s0, s34, s14
	s_add_u32 s38, s1, s49
	s_addc_u32 s39, s0, s3
	s_cbranch_execz .LBB744_22
	s_branch .LBB744_23
.LBB744_21:
                                        ; implicit-def: $sgpr38_sgpr39
.LBB744_22:
	s_mul_i32 s1, s49, s12
	s_mul_hi_i32 s0, s49, s12
	s_add_u32 s38, s1, s34
	s_addc_u32 s39, s0, s2
.LBB744_23:
	s_add_i32 s3, s44, s45
	s_ashr_i32 s12, s33, 31
	s_add_u32 s0, s47, s34
	s_addc_u32 s1, s46, s2
	s_mov_b32 s2, 0x7060302
	v_lshlrev_b32_e32 v6, 3, v1
	v_perm_b32 v5, v4, v67, s2
	v_perm_b32 v4, v65, v35, s2
	;; [unrolled: 1-line block ×4, first 2 shown]
	v_lshlrev_b32_e32 v34, 2, v1
	v_lshl_or_b32 v6, v47, 5, v6
	s_lshl_b64 s[24:25], s[0:1], 8
	ds_write2st64_b64 v6, v[4:5], v[2:3] offset0:72 offset1:76
	v_xor_b32_e32 v6, v47, v34
	v_lshlrev_b32_e32 v7, 8, v1
	s_add_u32 s0, s6, s24
	v_lshl_or_b32 v6, v6, 1, v7
	s_addc_u32 s1, s7, s25
	ds_write_b64 v6, v[4:5] offset:32768
	v_xor_b32_e32 v4, v46, v34
	s_mul_hi_i32 s6, s3, s13
	s_mul_i32 s3, s3, s13
	v_lshl_or_b32 v4, v4, 1, v7
	s_add_u32 s2, s3, s33
	ds_write_b64 v4, v[2:3] offset:32768
	s_addc_u32 s3, s6, s12
	v_lshlrev_b32_e32 v3, 1, v1
	v_lshrrev_b32_e32 v2, 4, v0
	s_ashr_i32 s31, s30, 31
	s_lshl_b64 s[2:3], s[2:3], 15
	v_or_b32_e32 v4, 1, v3
	s_add_u32 s6, s36, s2
	v_xor_b32_e32 v3, v2, v3
	v_xor_b32_e32 v4, v4, v2
	v_lshlrev_b32_e32 v6, 8, v2
	s_addc_u32 s7, s37, s3
	s_lshl_b64 s[2:3], s[30:31], 8
	v_lshl_or_b32 v2, v3, 3, v6
	v_lshl_or_b32 v4, v4, 3, v6
	s_waitcnt lgkmcnt(0)
	s_barrier
	s_add_u32 s2, s6, s2
	ds_read_b64 v[2:3], v2 offset:32768
	ds_read_b64 v[4:5], v4 offset:32768
	s_addc_u32 s3, s7, s3
	v_mov_b32_e32 v7, 0
	s_cmp_lg_u32 s43, 64
	v_lshl_add_u64 v[8:9], s[2:3], 0, v[6:7]
	v_lshlrev_b32_e32 v6, 4, v1
	s_cselect_b64 s[6:7], -1, 0
	v_lshl_or_b32 v35, v42, 3, v45
	s_mov_b32 s20, 0
	v_lshl_add_u64 v[6:7], v[8:9], 0, v[6:7]
	s_waitcnt vmcnt(1)
	v_or_b32_e32 v19, 32, v35
	v_and_b32_e32 v18, 56, v44
	s_and_b64 vcc, exec, s[6:7]
	s_waitcnt lgkmcnt(0)
	global_store_dwordx4 v[6:7], v[2:5], off
	s_cbranch_vccz .LBB744_29
; %bb.24:
	s_mov_b32 s21, s20
	s_mov_b32 s22, s20
	;; [unrolled: 1-line block ×3, first 2 shown]
	v_mov_b64_e32 v[6:7], s[20:21]
	v_mov_b64_e32 v[8:9], s[22:23]
	;; [unrolled: 1-line block ×3, first 2 shown]
	v_cmp_gt_i32_e32 vcc, s43, v35
	v_mov_b64_e32 v[4:5], v[8:9]
	s_and_saveexec_b64 s[2:3], vcc
	s_cbranch_execz .LBB744_26
; %bb.25:
	v_lshlrev_b32_e32 v2, 8, v35
	v_mov_b32_e32 v3, 0
	v_lshl_add_u64 v[4:5], s[0:1], 0, v[2:3]
	v_lshlrev_b32_e32 v2, 1, v18
	v_lshl_add_u64 v[10:11], v[4:5], 0, v[2:3]
	global_load_dwordx4 v[6:9], v[10:11], off
	global_load_dwordx4 v[2:5], v[10:11], off offset:128
.LBB744_26:
	s_or_b64 exec, exec, s[2:3]
	s_mov_b32 s21, s20
	s_mov_b32 s22, s20
	;; [unrolled: 1-line block ×3, first 2 shown]
	v_mov_b64_e32 v[14:15], s[20:21]
	v_mov_b64_e32 v[16:17], s[22:23]
	;; [unrolled: 1-line block ×3, first 2 shown]
	v_cmp_gt_i32_e32 vcc, s43, v19
	v_lshlrev_b32_e32 v20, 7, v19
	v_mov_b64_e32 v[12:13], v[16:17]
	s_and_saveexec_b64 s[2:3], vcc
	s_cbranch_execz .LBB744_28
; %bb.27:
	v_lshlrev_b32_e32 v10, 1, v20
	v_mov_b32_e32 v11, 0
	v_lshl_add_u64 v[12:13], s[0:1], 0, v[10:11]
	v_lshlrev_b32_e32 v10, 1, v18
	v_lshl_add_u64 v[22:23], v[12:13], 0, v[10:11]
	global_load_dwordx4 v[14:17], v[22:23], off
	global_load_dwordx4 v[10:13], v[22:23], off offset:128
.LBB744_28:
	s_or_b64 exec, exec, s[2:3]
	v_lshrrev_b32_e32 v21, 3, v18
	v_lshlrev_b32_e32 v22, 3, v35
	v_or_b32_e32 v21, v22, v21
	v_lshlrev_b32_e32 v21, 4, v21
	v_and_b32_e32 v22, 0x78, v22
	v_xor_b32_e32 v21, v21, v22
	s_branch .LBB744_31
.LBB744_29:
                                        ; implicit-def: $vgpr21
                                        ; implicit-def: $vgpr20
                                        ; implicit-def: $vgpr6_vgpr7_vgpr8_vgpr9
                                        ; implicit-def: $vgpr2_vgpr3_vgpr4_vgpr5
                                        ; implicit-def: $vgpr14_vgpr15_vgpr16_vgpr17
                                        ; implicit-def: $vgpr10_vgpr11_vgpr12_vgpr13
	s_cbranch_execz .LBB744_31
; %bb.30:
	s_waitcnt vmcnt(0)
	v_lshlrev_b32_e32 v2, 1, v18
	v_lshl_or_b32 v20, v35, 8, v2
	s_and_b32 s1, s1, 0xffff
	s_mov_b32 s3, 0x20000
	s_movk_i32 s2, 0x4000
	v_lshl_or_b32 v21, v19, 8, v2
	s_movk_i32 s13, 0x80
	buffer_load_dwordx4 v[6:9], v20, s[0:3], 0 offen
	buffer_load_dwordx4 v[2:5], v20, s[0:3], s13 offen
	;; [unrolled: 1-line block ×4, first 2 shown]
	v_lshrrev_b32_e32 v20, 3, v18
	v_lshlrev_b32_e32 v21, 3, v35
	v_or_b32_e32 v20, v21, v20
	v_lshlrev_b32_e32 v20, 4, v20
	v_and_b32_e32 v21, 0x78, v21
	v_xor_b32_e32 v21, v20, v21
	v_lshlrev_b32_e32 v20, 7, v19
.LBB744_31:
	s_lshl_b64 s[0:1], s[38:39], 8
	s_add_u32 s4, s4, s0
	s_movk_i32 s0, 0x1000
	v_and_or_b32 v19, v20, s0, v21
	s_waitcnt vmcnt(1)
	ds_write_b64 v21, v[6:7] offset:16384
	v_xor_b32_e32 v6, 8, v21
	ds_write_b64 v6, v[8:9] offset:16384
	s_waitcnt vmcnt(0)
	ds_write_b64 v21, v[2:3] offset:24576
	ds_write_b64 v6, v[4:5] offset:24576
	;; [unrolled: 1-line block ×3, first 2 shown]
	v_xor_b32_e32 v2, 8, v19
	ds_write_b64 v2, v[16:17] offset:16384
	ds_write_b64 v19, v[10:11] offset:24576
	;; [unrolled: 1-line block ×3, first 2 shown]
	v_or_b32_e32 v2, v40, v1
	v_lshlrev_b32_e32 v2, 3, v2
	v_lshrrev_b32_e32 v4, 5, v41
	s_movk_i32 s14, 0xf8
	v_and_or_b32 v4, v2, s14, v4
	v_lshlrev_b32_e32 v3, 11, v42
	v_lshlrev_b32_e32 v12, 4, v4
	v_and_b32_e32 v13, 0x78, v2
	v_and_b32_e32 v14, 0x1000, v3
	v_lshlrev_b32_e32 v3, 2, v0
	v_xor_b32_e32 v2, v12, v13
	v_lshrrev_b32_e32 v4, 1, v41
	v_and_b32_e32 v3, 60, v3
	v_or_b32_e32 v2, v2, v14
	v_and_b32_e32 v15, 8, v4
	v_xor_b32_e32 v26, v2, v15
	v_lshl_or_b32 v2, v43, 6, v3
	v_lshlrev_b32_e32 v19, 1, v2
	v_or_b32_e32 v2, 32, v12
	v_xor_b32_e32 v2, v2, v13
	s_waitcnt lgkmcnt(0)
	s_barrier
	ds_read_b64 v[10:11], v26 offset:16384
	v_or_b32_e32 v2, v2, v14
	v_xor_b32_e32 v27, v2, v15
	v_or_b32_e32 v2, 64, v12
	v_xor_b32_e32 v2, v2, v13
	v_or_b32_e32 v2, v2, v14
	v_or_b32_e32 v12, 0x60, v12
	v_xor_b32_e32 v28, v2, v15
	ds_read2st64_b64 v[2:5], v19 offset0:72 offset1:73
	ds_read2st64_b64 v[6:9], v19 offset0:74 offset1:75
	v_xor_b32_e32 v16, v12, v13
	ds_read_b64 v[12:13], v27 offset:16384
	s_addc_u32 s5, s5, s1
	s_add_i32 s0, s41, s40
	s_waitcnt lgkmcnt(2)
	v_mfma_f32_16x16x16_bf16 a[0:3], v[10:11], v[2:3], 0
	s_add_i32 s2, s35, -1
	s_add_i32 s17, s0, s42
	s_mul_i32 s0, s33, s19
	s_mul_hi_u32 s1, s33, s18
	s_add_i32 s0, s1, s0
	s_mul_i32 s1, s12, s18
	s_ashr_i32 s3, s2, 31
	s_mul_i32 s12, s2, s29
	s_mul_hi_u32 s13, s2, s28
	s_add_i32 s12, s13, s12
	s_mul_i32 s3, s3, s28
	v_or_b32_e32 v14, v16, v14
	s_add_i32 s1, s0, s1
	s_add_i32 s3, s12, s3
	s_lshl_b64 s[12:13], s[16:17], 2
	v_xor_b32_e32 v36, v14, v15
	ds_read_b64 v[14:15], v28 offset:16384
	ds_read_b64 v[16:17], v36 offset:16384
	s_waitcnt lgkmcnt(2)
	v_mfma_f32_16x16x16_bf16 a[0:3], v[12:13], v[4:5], a[0:3]
	s_mul_i32 s0, s33, s18
	s_add_u32 s10, s10, s12
	s_addc_u32 s11, s11, s13
	s_lshl_b64 s[0:1], s[0:1], 2
	s_mul_i32 s2, s2, s28
	s_add_u32 s10, s10, s0
	s_addc_u32 s11, s11, s1
	s_lshl_b64 s[0:1], s[2:3], 2
	s_waitcnt lgkmcnt(1)
	v_mfma_f32_16x16x16_bf16 a[0:3], v[14:15], v[6:7], a[0:3]
	s_add_u32 s0, s10, s0
	s_addc_u32 s1, s11, s1
	s_load_dword s12, s[0:1], 0x0
	s_waitcnt lgkmcnt(0)
	v_mfma_f32_16x16x16_bf16 a[0:3], v[16:17], v[8:9], a[0:3]
	s_and_b64 vcc, exec, s[26:27]
	s_cbranch_vccz .LBB744_42
; %bb.32:
	v_lshlrev_b32_e32 v20, 1, v35
	s_and_b64 vcc, exec, s[6:7]
	s_cbranch_vccz .LBB744_43
; %bb.33:
	v_cmp_gt_i32_e32 vcc, s43, v20
	v_mov_b32_e32 v6, 0
	v_mov_b32_e32 v2, 0
	;; [unrolled: 1-line block ×5, first 2 shown]
	s_and_saveexec_b64 s[0:1], vcc
	s_cbranch_execz .LBB744_35
; %bb.34:
	v_mad_i64_i32 v[2:3], s[2:3], s15, v20, 0
	v_lshl_add_u64 v[2:3], v[2:3], 1, s[4:5]
	v_lshlrev_b32_e32 v4, 1, v18
	v_mov_b32_e32 v5, 0
	v_lshl_add_u64 v[2:3], v[2:3], 0, v[4:5]
	global_load_dwordx4 v[2:5], v[2:3], off
.LBB744_35:
	s_or_b64 exec, exec, s[0:1]
	v_or_b32_e32 v21, 1, v20
	v_cmp_gt_i32_e64 s[0:1], s43, v21
	v_mov_b32_e32 v7, 0
	v_mov_b32_e32 v8, 0
	;; [unrolled: 1-line block ×3, first 2 shown]
	s_and_saveexec_b64 s[2:3], s[0:1]
	s_cbranch_execz .LBB744_37
; %bb.36:
	v_mad_i64_i32 v[6:7], s[16:17], s15, v21, 0
	v_lshl_add_u64 v[6:7], v[6:7], 1, s[4:5]
	v_lshlrev_b32_e32 v8, 1, v18
	v_mov_b32_e32 v9, 0
	v_lshl_add_u64 v[6:7], v[6:7], 0, v[8:9]
	global_load_dwordx4 v[6:9], v[6:7], off
.LBB744_37:
	s_or_b64 exec, exec, s[2:3]
	v_mov_b32_e32 v17, 0
	v_mov_b32_e32 v10, 0
	;; [unrolled: 1-line block ×5, first 2 shown]
	s_and_saveexec_b64 s[2:3], vcc
	s_cbranch_execz .LBB744_39
; %bb.38:
	v_mad_i64_i32 v[10:11], s[16:17], s15, v20, 0
	v_lshl_add_u64 v[10:11], v[10:11], 1, s[4:5]
	v_lshlrev_b32_e32 v12, 1, v18
	v_mov_b32_e32 v13, 0
	v_lshl_add_u64 v[10:11], v[10:11], 0, v[12:13]
	global_load_dwordx4 v[10:13], v[10:11], off offset:128
.LBB744_39:
	s_or_b64 exec, exec, s[2:3]
	v_mov_b32_e32 v16, 0
	v_mov_b32_e32 v15, 0
	;; [unrolled: 1-line block ×3, first 2 shown]
	s_and_saveexec_b64 s[2:3], s[0:1]
	s_cbranch_execz .LBB744_41
; %bb.40:
	v_mad_i64_i32 v[14:15], s[0:1], s15, v21, 0
	v_lshl_add_u64 v[14:15], v[14:15], 1, s[4:5]
	v_lshlrev_b32_e32 v16, 1, v18
	v_mov_b32_e32 v17, 0
	v_lshl_add_u64 v[14:15], v[14:15], 0, v[16:17]
	global_load_dwordx4 v[14:17], v[14:15], off offset:128
.LBB744_41:
	s_or_b64 exec, exec, s[2:3]
	s_branch .LBB744_45
.LBB744_42:
                                        ; implicit-def: $vgpr5
                                        ; implicit-def: $vgpr9
                                        ; implicit-def: $vgpr13
                                        ; implicit-def: $vgpr17
	v_lshrrev_b32_e32 v37, 2, v41
	s_branch .LBB744_46
.LBB744_43:
                                        ; implicit-def: $vgpr5
                                        ; implicit-def: $vgpr9
                                        ; implicit-def: $vgpr13
                                        ; implicit-def: $vgpr17
	s_cbranch_execz .LBB744_45
; %bb.44:
	s_waitcnt vmcnt(0)
	v_mad_u64_u32 v[2:3], s[0:1], v20, s15, v[18:19]
	v_lshlrev_b32_e32 v20, 1, v2
	s_lshl_b32 s2, s15, 7
	s_and_b32 s1, s5, 0xffff
	s_mov_b32 s3, 0x20000
	s_mov_b32 s0, s4
	v_add_lshl_u32 v21, v2, s15, 1
	s_movk_i32 s13, 0x80
	buffer_load_dwordx4 v[2:5], v20, s[0:3], 0 offen
	buffer_load_dwordx4 v[10:13], v20, s[0:3], s13 offen
	;; [unrolled: 1-line block ×4, first 2 shown]
.LBB744_45:
	v_lshrrev_b32_e32 v37, 2, v41
	s_cbranch_execnz .LBB744_58
.LBB744_46:
	s_and_b64 vcc, exec, s[6:7]
	s_cbranch_vccz .LBB744_56
; %bb.47:
	s_waitcnt vmcnt(0)
	v_lshlrev_b32_e32 v7, 1, v35
	v_cmp_gt_i32_e32 vcc, s43, v7
	v_mov_b32_e32 v6, 0
	v_lshlrev_b32_e32 v14, 9, v35
	v_mov_b32_e32 v2, 0
	v_mov_b32_e32 v3, 0
	;; [unrolled: 1-line block ×4, first 2 shown]
	s_and_saveexec_b64 s[0:1], vcc
	s_cbranch_execz .LBB744_49
; %bb.48:
	v_mov_b32_e32 v15, 0
	v_lshl_add_u64 v[2:3], s[4:5], 0, v[14:15]
	v_lshlrev_b32_e32 v4, 1, v18
	v_mov_b32_e32 v5, v15
	v_lshl_add_u64 v[2:3], v[2:3], 0, v[4:5]
	global_load_dwordx4 v[2:5], v[2:3], off
.LBB744_49:
	s_or_b64 exec, exec, s[0:1]
	v_or_b32_e32 v7, 1, v7
	v_cmp_gt_i32_e64 s[0:1], s43, v7
	v_lshlrev_b32_e32 v20, 8, v7
	v_mov_b32_e32 v7, 0
	v_mov_b32_e32 v8, 0
	;; [unrolled: 1-line block ×3, first 2 shown]
	s_and_saveexec_b64 s[2:3], s[0:1]
	s_cbranch_execz .LBB744_51
; %bb.50:
	v_mov_b32_e32 v21, 0
	v_lshl_add_u64 v[6:7], s[4:5], 0, v[20:21]
	v_lshlrev_b32_e32 v8, 1, v18
	v_mov_b32_e32 v9, v21
	v_lshl_add_u64 v[6:7], v[6:7], 0, v[8:9]
	global_load_dwordx4 v[6:9], v[6:7], off
.LBB744_51:
	s_or_b64 exec, exec, s[2:3]
	v_mov_b32_e32 v17, 0
	v_mov_b32_e32 v10, 0
	;; [unrolled: 1-line block ×5, first 2 shown]
	s_and_saveexec_b64 s[2:3], vcc
	s_cbranch_execz .LBB744_53
; %bb.52:
	v_mov_b32_e32 v15, 0
	v_lshl_add_u64 v[10:11], s[4:5], 0, v[14:15]
	v_lshlrev_b32_e32 v14, 1, v18
	v_lshl_add_u64 v[10:11], v[10:11], 0, v[14:15]
	global_load_dwordx4 v[10:13], v[10:11], off offset:128
.LBB744_53:
	s_or_b64 exec, exec, s[2:3]
	v_mov_b32_e32 v16, 0
	v_mov_b32_e32 v15, 0
	;; [unrolled: 1-line block ×3, first 2 shown]
	s_and_saveexec_b64 s[2:3], s[0:1]
	s_cbranch_execz .LBB744_55
; %bb.54:
	v_mov_b32_e32 v21, 0
	v_lshl_add_u64 v[14:15], s[4:5], 0, v[20:21]
	v_lshlrev_b32_e32 v20, 1, v18
	v_lshl_add_u64 v[14:15], v[14:15], 0, v[20:21]
	global_load_dwordx4 v[14:17], v[14:15], off offset:128
.LBB744_55:
	s_or_b64 exec, exec, s[2:3]
	s_branch .LBB744_58
.LBB744_56:
                                        ; implicit-def: $vgpr5
                                        ; implicit-def: $vgpr9
                                        ; implicit-def: $vgpr13
                                        ; implicit-def: $vgpr17
	s_cbranch_execz .LBB744_58
; %bb.57:
	s_waitcnt vmcnt(0)
	v_lshlrev_b32_e32 v2, 1, v18
	v_lshl_or_b32 v18, v35, 9, v2
	s_and_b32 s5, s5, 0xffff
	s_mov_b32 s7, 0x20000
	s_movk_i32 s6, 0x4000
	s_movk_i32 s0, 0x80
	buffer_load_dwordx4 v[2:5], v18, s[4:7], 0 offen
	buffer_load_dwordx4 v[6:9], v18, s[4:7], 0 offen offset:256
	buffer_load_dwordx4 v[10:13], v18, s[4:7], s0 offen
	buffer_load_dwordx4 v[14:17], v18, s[4:7], s0 offen offset:256
.LBB744_58:
	ds_read2st64_b64 v[22:25], v19 offset0:76 offset1:77
	ds_read2st64_b64 v[18:21], v19 offset0:78 offset1:79
	ds_read_b64 v[30:31], v26 offset:24576
	ds_read_b64 v[32:33], v27 offset:24576
	ds_read_b64 v[28:29], v28 offset:24576
	ds_read_b64 v[26:27], v36 offset:24576
	v_and_b32_e32 v36, 6, v0
	v_xor_b32_e32 v35, v35, v36
	v_lshlrev_b32_e32 v35, 2, v35
	v_and_b32_e32 v0, 1, v0
	v_xor_b32_e32 v38, 0x440, v35
	v_cmp_eq_u32_e32 vcc, 0, v0
	s_mov_b32 s0, 0x1000504
	s_mov_b32 s1, 0x3020706
	v_cndmask_b32_e32 v0, v38, v35, vcc
	v_lshl_or_b32 v0, v36, 10, v0
	s_waitcnt vmcnt(0)
	v_perm_b32 v35, v2, v6, s0
	v_perm_b32 v36, v10, v14, s0
	ds_write2st64_b32 v0, v35, v36 offset1:32
	v_xor_b32_e32 v35, 8, v0
	v_perm_b32 v2, v2, v6, s1
	v_perm_b32 v6, v10, v14, s1
	v_add_u32_e32 v10, 0x80, v35
	ds_write2st64_b32 v10, v2, v6 offset1:32
	v_xor_b32_e32 v2, 16, v0
	v_perm_b32 v6, v3, v7, s0
	v_perm_b32 v10, v11, v15, s0
	ds_write2st64_b32 v2, v6, v10 offset0:1 offset1:33
	v_xor_b32_e32 v2, 24, v0
	v_perm_b32 v3, v3, v7, s1
	v_perm_b32 v6, v11, v15, s1
	v_add_u32_e32 v2, 0x80, v2
	ds_write2st64_b32 v2, v3, v6 offset0:1 offset1:33
	v_xor_b32_e32 v2, 32, v0
	v_perm_b32 v3, v4, v8, s0
	v_perm_b32 v6, v12, v16, s0
	ds_write2st64_b32 v2, v3, v6 offset0:2 offset1:34
	v_xor_b32_e32 v2, 40, v0
	v_perm_b32 v3, v4, v8, s1
	v_perm_b32 v4, v12, v16, s1
	v_add_u32_e32 v2, 0x80, v2
	ds_write2st64_b32 v2, v3, v4 offset0:2 offset1:34
	v_xor_b32_e32 v2, 48, v0
	v_perm_b32 v3, v5, v9, s0
	v_perm_b32 v4, v13, v17, s0
	v_xor_b32_e32 v0, 56, v0
	v_and_or_b32 v6, v37, 12, v40
	ds_write2st64_b32 v2, v3, v4 offset0:3 offset1:35
	v_perm_b32 v2, v5, v9, s1
	v_perm_b32 v3, v13, v17, s1
	v_add_u32_e32 v0, 0x80, v0
	v_cmp_gt_i32_e32 vcc, s43, v6
	v_mov_b32_e32 v7, 0
	v_mov_b32_e32 v11, 0
	ds_write2st64_b32 v0, v2, v3 offset0:3 offset1:35
	s_and_saveexec_b64 s[0:1], vcc
	s_cbranch_execz .LBB744_60
; %bb.59:
	v_add_u32_e32 v0, s34, v6
	v_ashrrev_i32_e32 v2, 31, v0
	v_mul_lo_u32 v4, v2, s28
	v_mul_lo_u32 v5, v0, s29
	v_mad_u64_u32 v[2:3], s[2:3], v0, s28, 0
	v_add3_u32 v3, v3, v5, v4
	v_lshl_add_u64 v[2:3], v[2:3], 2, s[10:11]
	global_load_dword v0, v[2:3], off
	s_waitcnt vmcnt(0)
	v_sub_f32_e32 v0, s12, v0
	v_mul_f32_e32 v0, 0x3fb8aa3b, v0
	v_exp_f32_e32 v11, v0
.LBB744_60:
	s_or_b64 exec, exec, s[0:1]
	v_or_b32_e32 v9, 1, v6
	v_cmp_gt_i32_e64 s[0:1], s43, v9
	s_and_saveexec_b64 s[2:3], s[0:1]
	s_cbranch_execz .LBB744_62
; %bb.61:
	v_add_u32_e32 v0, s34, v9
	v_ashrrev_i32_e32 v2, 31, v0
	v_mul_lo_u32 v4, v2, s28
	v_mul_lo_u32 v5, v0, s29
	v_mad_u64_u32 v[2:3], s[4:5], v0, s28, 0
	v_add3_u32 v3, v3, v5, v4
	v_lshl_add_u64 v[2:3], v[2:3], 2, s[10:11]
	global_load_dword v0, v[2:3], off
	s_waitcnt vmcnt(0)
	v_sub_f32_e32 v0, s12, v0
	v_mul_f32_e32 v0, 0x3fb8aa3b, v0
	v_exp_f32_e32 v7, v0
.LBB744_62:
	s_or_b64 exec, exec, s[2:3]
	v_or_b32_e32 v10, 2, v6
	v_cmp_gt_i32_e64 s[2:3], s43, v10
	v_mov_b32_e32 v8, 0
	v_mov_b32_e32 v13, 0
	s_and_saveexec_b64 s[4:5], s[2:3]
	s_cbranch_execz .LBB744_64
; %bb.63:
	v_add_u32_e32 v0, s34, v10
	v_ashrrev_i32_e32 v2, 31, v0
	v_mul_lo_u32 v4, v2, s28
	v_mul_lo_u32 v5, v0, s29
	v_mad_u64_u32 v[2:3], s[6:7], v0, s28, 0
	v_add3_u32 v3, v3, v5, v4
	v_lshl_add_u64 v[2:3], v[2:3], 2, s[10:11]
	global_load_dword v0, v[2:3], off
	s_waitcnt vmcnt(0)
	v_sub_f32_e32 v0, s12, v0
	v_mul_f32_e32 v0, 0x3fb8aa3b, v0
	v_exp_f32_e32 v13, v0
.LBB744_64:
	s_or_b64 exec, exec, s[4:5]
	v_or_b32_e32 v12, 3, v6
	v_cmp_gt_i32_e64 s[4:5], s43, v12
	s_and_saveexec_b64 s[6:7], s[4:5]
	s_cbranch_execz .LBB744_66
; %bb.65:
	v_add_u32_e32 v0, s34, v12
	v_ashrrev_i32_e32 v2, 31, v0
	v_mul_lo_u32 v4, v2, s28
	v_mul_lo_u32 v5, v0, s29
	v_mad_u64_u32 v[2:3], s[14:15], v0, s28, 0
	v_add3_u32 v3, v3, v5, v4
	v_lshl_add_u64 v[2:3], v[2:3], 2, s[10:11]
	global_load_dword v0, v[2:3], off
	s_waitcnt vmcnt(0)
	v_sub_f32_e32 v0, s12, v0
	v_mul_f32_e32 v0, 0x3fb8aa3b, v0
	v_exp_f32_e32 v8, v0
.LBB744_66:
	s_or_b64 exec, exec, s[6:7]
	s_waitcnt lgkmcnt(11)
	v_mfma_f32_16x16x16_bf16 a[0:3], v[30:31], v[22:23], a[0:3]
	v_or_b32_e32 v0, s30, v1
	s_add_u32 s6, s8, s24
	s_addc_u32 s7, s9, s25
	s_waitcnt lgkmcnt(10)
	v_mfma_f32_16x16x16_bf16 a[0:3], v[32:33], v[24:25], a[0:3]
	v_ashrrev_i32_e32 v1, 31, v0
	v_lshl_add_u64 v[4:5], v[0:1], 1, s[6:7]
	v_mov_b32_e32 v14, 0
	s_waitcnt lgkmcnt(9)
	v_mfma_f32_16x16x16_bf16 a[0:3], v[28:29], v[18:19], a[0:3]
	v_mov_b32_e32 v15, 0
	s_waitcnt lgkmcnt(8)
	v_mfma_f32_16x16x16_bf16 a[0:3], v[26:27], v[20:21], a[0:3]
	s_nop 6
	v_accvgpr_read_b32 v0, a0
	v_accvgpr_read_b32 v1, a1
	;; [unrolled: 1-line block ×4, first 2 shown]
	s_and_saveexec_b64 s[6:7], vcc
	s_cbranch_execz .LBB744_68
; %bb.67:
	v_lshlrev_b32_e32 v16, 8, v6
	v_mov_b32_e32 v17, 0
	v_lshl_add_u64 v[16:17], v[4:5], 0, v[16:17]
	global_load_ushort v15, v[16:17], off
	s_waitcnt vmcnt(0)
	v_lshlrev_b32_e32 v15, 16, v15
	v_sub_f32_e32 v0, v15, v0
	v_mul_f32_e32 v0, v11, v0
	v_lshrrev_b32_e32 v15, 16, v0
.LBB744_68:
	s_or_b64 exec, exec, s[6:7]
	s_and_saveexec_b64 s[6:7], s[0:1]
	s_cbranch_execz .LBB744_70
; %bb.69:
	v_lshlrev_b32_e32 v16, 8, v9
	v_mov_b32_e32 v17, 0
	v_lshl_add_u64 v[16:17], v[4:5], 0, v[16:17]
	global_load_ushort v0, v[16:17], off
	s_waitcnt vmcnt(0)
	v_lshlrev_b32_e32 v0, 16, v0
	v_sub_f32_e32 v0, v0, v1
	v_mul_f32_e32 v0, v7, v0
	v_lshrrev_b32_e32 v14, 16, v0
.LBB744_70:
	s_or_b64 exec, exec, s[6:7]
	v_mov_b32_e32 v0, 0
	v_mov_b32_e32 v1, 0
	s_and_saveexec_b64 s[0:1], s[2:3]
	s_cbranch_execz .LBB744_72
; %bb.71:
	v_lshlrev_b32_e32 v10, 8, v10
	v_mov_b32_e32 v11, 0
	v_lshl_add_u64 v[10:11], v[4:5], 0, v[10:11]
	global_load_ushort v1, v[10:11], off
	s_waitcnt vmcnt(0)
	v_lshlrev_b32_e32 v1, 16, v1
	v_sub_f32_e32 v1, v1, v2
	v_mul_f32_e32 v1, v13, v1
	v_lshrrev_b32_e32 v1, 16, v1
.LBB744_72:
	s_or_b64 exec, exec, s[0:1]
	s_and_saveexec_b64 s[0:1], s[4:5]
	s_cbranch_execz .LBB744_74
; %bb.73:
	v_lshlrev_b32_e32 v10, 8, v12
	v_mov_b32_e32 v11, 0
	v_lshl_add_u64 v[4:5], v[4:5], 0, v[10:11]
	global_load_ushort v0, v[4:5], off
	s_waitcnt vmcnt(0)
	v_lshlrev_b32_e32 v0, 16, v0
	v_sub_f32_e32 v0, v0, v3
	v_mul_f32_e32 v0, v8, v0
	v_lshrrev_b32_e32 v0, 16, v0
.LBB744_74:
	s_or_b64 exec, exec, s[0:1]
	s_mov_b32 s0, 0x5040100
	v_lshlrev_b32_e32 v2, 1, v34
	v_perm_b32 v1, v0, v1, s0
	v_perm_b32 v0, v14, v15, s0
	v_lshl_or_b32 v2, v6, 5, v2
	ds_write_b64 v2, v[0:1] offset:38912
	s_waitcnt lgkmcnt(0)
	s_barrier
.LBB744_75:
	s_endpgm
	.section	.rodata,"a",@progbits
	.p2align	6, 0x0
	.amdhsa_kernel _ZN12_GLOBAL__N_139chunk_gated_delta_rule_fwd_h_hip_kernelILi16ELb0ELb0ELb0ELb1ELb0ELb0ELb1ELb0EEEvPK12hip_bfloat16S3_S3_PKfS5_PKvPS1_S8_PvPKiSB_iiiiilll
		.amdhsa_group_segment_fixed_size 40960
		.amdhsa_private_segment_fixed_size 0
		.amdhsa_kernarg_size 136
		.amdhsa_user_sgpr_count 2
		.amdhsa_user_sgpr_dispatch_ptr 0
		.amdhsa_user_sgpr_queue_ptr 0
		.amdhsa_user_sgpr_kernarg_segment_ptr 1
		.amdhsa_user_sgpr_dispatch_id 0
		.amdhsa_user_sgpr_kernarg_preload_length 0
		.amdhsa_user_sgpr_kernarg_preload_offset 0
		.amdhsa_user_sgpr_private_segment_size 0
		.amdhsa_uses_dynamic_stack 0
		.amdhsa_enable_private_segment 0
		.amdhsa_system_sgpr_workgroup_id_x 1
		.amdhsa_system_sgpr_workgroup_id_y 1
		.amdhsa_system_sgpr_workgroup_id_z 0
		.amdhsa_system_sgpr_workgroup_info 0
		.amdhsa_system_vgpr_workitem_id 0
		.amdhsa_next_free_vgpr 116
		.amdhsa_next_free_sgpr 58
		.amdhsa_accum_offset 108
		.amdhsa_reserve_vcc 1
		.amdhsa_float_round_mode_32 0
		.amdhsa_float_round_mode_16_64 0
		.amdhsa_float_denorm_mode_32 3
		.amdhsa_float_denorm_mode_16_64 3
		.amdhsa_dx10_clamp 1
		.amdhsa_ieee_mode 1
		.amdhsa_fp16_overflow 0
		.amdhsa_tg_split 0
		.amdhsa_exception_fp_ieee_invalid_op 0
		.amdhsa_exception_fp_denorm_src 0
		.amdhsa_exception_fp_ieee_div_zero 0
		.amdhsa_exception_fp_ieee_overflow 0
		.amdhsa_exception_fp_ieee_underflow 0
		.amdhsa_exception_fp_ieee_inexact 0
		.amdhsa_exception_int_div_zero 0
	.end_amdhsa_kernel
	.section	.text._ZN12_GLOBAL__N_139chunk_gated_delta_rule_fwd_h_hip_kernelILi16ELb0ELb0ELb0ELb1ELb0ELb0ELb1ELb0EEEvPK12hip_bfloat16S3_S3_PKfS5_PKvPS1_S8_PvPKiSB_iiiiilll,"axG",@progbits,_ZN12_GLOBAL__N_139chunk_gated_delta_rule_fwd_h_hip_kernelILi16ELb0ELb0ELb0ELb1ELb0ELb0ELb1ELb0EEEvPK12hip_bfloat16S3_S3_PKfS5_PKvPS1_S8_PvPKiSB_iiiiilll,comdat
.Lfunc_end744:
	.size	_ZN12_GLOBAL__N_139chunk_gated_delta_rule_fwd_h_hip_kernelILi16ELb0ELb0ELb0ELb1ELb0ELb0ELb1ELb0EEEvPK12hip_bfloat16S3_S3_PKfS5_PKvPS1_S8_PvPKiSB_iiiiilll, .Lfunc_end744-_ZN12_GLOBAL__N_139chunk_gated_delta_rule_fwd_h_hip_kernelILi16ELb0ELb0ELb0ELb1ELb0ELb0ELb1ELb0EEEvPK12hip_bfloat16S3_S3_PKfS5_PKvPS1_S8_PvPKiSB_iiiiilll
                                        ; -- End function
	.section	.AMDGPU.csdata,"",@progbits
; Kernel info:
; codeLenInByte = 7080
; NumSgprs: 64
; NumVgprs: 106
; NumAgprs: 8
; TotalNumVgprs: 116
; ScratchSize: 0
; MemoryBound: 0
; FloatMode: 240
; IeeeMode: 1
; LDSByteSize: 40960 bytes/workgroup (compile time only)
; SGPRBlocks: 7
; VGPRBlocks: 14
; NumSGPRsForWavesPerEU: 64
; NumVGPRsForWavesPerEU: 116
; AccumOffset: 108
; Occupancy: 1
; WaveLimiterHint : 1
; COMPUTE_PGM_RSRC2:SCRATCH_EN: 0
; COMPUTE_PGM_RSRC2:USER_SGPR: 2
; COMPUTE_PGM_RSRC2:TRAP_HANDLER: 0
; COMPUTE_PGM_RSRC2:TGID_X_EN: 1
; COMPUTE_PGM_RSRC2:TGID_Y_EN: 1
; COMPUTE_PGM_RSRC2:TGID_Z_EN: 0
; COMPUTE_PGM_RSRC2:TIDIG_COMP_CNT: 0
; COMPUTE_PGM_RSRC3_GFX90A:ACCUM_OFFSET: 26
; COMPUTE_PGM_RSRC3_GFX90A:TG_SPLIT: 0
	.section	.text._ZN12_GLOBAL__N_139chunk_gated_delta_rule_fwd_h_hip_kernelILi16ELb1ELb1ELb1ELb0ELb0ELb0ELb1ELb0EEEvPK12hip_bfloat16S3_S3_PKfS5_PKvPS1_S8_PvPKiSB_iiiiilll,"axG",@progbits,_ZN12_GLOBAL__N_139chunk_gated_delta_rule_fwd_h_hip_kernelILi16ELb1ELb1ELb1ELb0ELb0ELb0ELb1ELb0EEEvPK12hip_bfloat16S3_S3_PKfS5_PKvPS1_S8_PvPKiSB_iiiiilll,comdat
	.globl	_ZN12_GLOBAL__N_139chunk_gated_delta_rule_fwd_h_hip_kernelILi16ELb1ELb1ELb1ELb0ELb0ELb0ELb1ELb0EEEvPK12hip_bfloat16S3_S3_PKfS5_PKvPS1_S8_PvPKiSB_iiiiilll ; -- Begin function _ZN12_GLOBAL__N_139chunk_gated_delta_rule_fwd_h_hip_kernelILi16ELb1ELb1ELb1ELb0ELb0ELb0ELb1ELb0EEEvPK12hip_bfloat16S3_S3_PKfS5_PKvPS1_S8_PvPKiSB_iiiiilll
	.p2align	8
	.type	_ZN12_GLOBAL__N_139chunk_gated_delta_rule_fwd_h_hip_kernelILi16ELb1ELb1ELb1ELb0ELb0ELb0ELb1ELb0EEEvPK12hip_bfloat16S3_S3_PKfS5_PKvPS1_S8_PvPKiSB_iiiiilll,@function
_ZN12_GLOBAL__N_139chunk_gated_delta_rule_fwd_h_hip_kernelILi16ELb1ELb1ELb1ELb0ELb0ELb0ELb1ELb0EEEvPK12hip_bfloat16S3_S3_PKfS5_PKvPS1_S8_PvPKiSB_iiiiilll: ; @_ZN12_GLOBAL__N_139chunk_gated_delta_rule_fwd_h_hip_kernelILi16ELb1ELb1ELb1ELb0ELb0ELb0ELb1ELb0EEEvPK12hip_bfloat16S3_S3_PKfS5_PKvPS1_S8_PvPKiSB_iiiiilll
; %bb.0:
	s_load_dwordx4 s[20:23], s[0:1], 0x5c
	s_load_dwordx4 s[24:27], s[0:1], 0x70
	s_abs_i32 s6, s3
	s_ashr_i32 s5, s3, 31
	v_and_b32_e32 v56, 15, v0
	s_waitcnt lgkmcnt(0)
	s_abs_i32 s4, s21
	v_cvt_f32_u32_e32 v1, s4
	s_sub_i32 s8, 0, s4
	s_ashr_i32 s7, s21, 31
	s_xor_b32 s5, s5, s7
	v_rcp_iflag_f32_e32 v1, v1
	v_bfe_u32 v55, v0, 4, 2
	v_mov_b32_e32 v45, 0
	v_lshlrev_b32_e32 v57, 3, v0
	v_mul_f32_e32 v1, 0x4f7ffffe, v1
	v_cvt_u32_f32_e32 v1, v1
	s_nop 0
	v_readfirstlane_b32 s9, v1
	s_mul_i32 s8, s8, s9
	s_mul_hi_u32 s8, s9, s8
	s_add_i32 s9, s9, s8
	s_mul_hi_u32 s8, s6, s9
	s_mul_i32 s9, s8, s4
	s_sub_i32 s6, s6, s9
	s_add_i32 s10, s8, 1
	s_sub_i32 s9, s6, s4
	s_cmp_ge_u32 s6, s4
	s_cselect_b32 s8, s10, s8
	s_cselect_b32 s6, s9, s6
	s_add_i32 s9, s8, 1
	s_cmp_ge_u32 s6, s4
	s_cselect_b32 s6, s9, s8
	s_xor_b32 s6, s6, s5
	s_add_i32 s8, s20, 63
	s_sub_i32 s55, s6, s5
	s_ashr_i32 s9, s8, 31
	s_mul_i32 s12, s55, s21
	s_sub_i32 s53, s3, s12
	s_lshr_b32 s3, s9, 26
	s_add_i32 s8, s8, s3
	s_abs_i32 s3, s22
	v_cvt_f32_u32_e32 v1, s3
	s_ashr_i32 s54, s20, 31
	s_lshr_b32 s5, s54, 26
	s_add_i32 s5, s20, s5
	v_rcp_iflag_f32_e32 v1, v1
	s_ashr_i32 s58, s22, 31
	s_ashr_i32 s56, s5, 6
	s_xor_b32 s5, s7, s58
	v_mul_f32_e32 v1, 0x4f7ffffe, v1
	v_cvt_u32_f32_e32 v1, v1
	s_sub_i32 s6, 0, s3
	s_ashr_i32 s28, s8, 6
	s_lshl_b32 s2, s2, 4
	v_readfirstlane_b32 s7, v1
	s_mul_i32 s6, s6, s7
	s_mul_hi_u32 s6, s7, s6
	s_add_i32 s7, s7, s6
	s_mul_hi_u32 s6, s4, s7
	s_mul_i32 s7, s6, s3
	s_sub_i32 s4, s4, s7
	s_add_i32 s7, s6, 1
	s_sub_i32 s8, s4, s3
	s_cmp_ge_u32 s4, s3
	s_cselect_b32 s6, s7, s6
	s_cselect_b32 s4, s8, s4
	s_add_i32 s7, s6, 1
	s_cmp_ge_u32 s4, s3
	s_cselect_b32 s3, s7, s6
	s_xor_b32 s3, s3, s5
	s_sub_i32 s3, s3, s5
	s_abs_i32 s13, s3
	v_cvt_f32_u32_e32 v1, s13
	s_sub_i32 s15, 0, s13
	s_abs_i32 s14, s53
	s_xor_b32 s3, s53, s3
	v_rcp_iflag_f32_e32 v2, v1
	s_ashr_i32 s3, s3, 31
	s_load_dwordx8 s[4:11], s[0:1], 0x28
	v_lshrrev_b32_e32 v1, 6, v0
	v_mul_f32_e32 v2, 0x4f7ffffe, v2
	v_cvt_u32_f32_e32 v2, v2
	v_or_b32_e32 v46, s2, v56
	v_lshlrev_b32_e32 v54, 4, v1
	v_lshlrev_b32_e32 v42, 7, v46
	v_readfirstlane_b32 s16, v2
	s_mul_i32 s15, s15, s16
	s_mul_hi_u32 s15, s16, s15
	s_add_i32 s16, s16, s15
	s_mul_hi_u32 s15, s14, s16
	s_mul_i32 s16, s15, s13
	s_sub_i32 s14, s14, s16
	s_add_i32 s16, s15, 1
	s_sub_i32 s17, s14, s13
	s_cmp_ge_u32 s14, s13
	s_cselect_b32 s15, s16, s15
	s_cselect_b32 s14, s17, s14
	s_add_i32 s16, s15, 1
	s_cmp_ge_u32 s14, s13
	s_cselect_b32 s13, s16, s15
	s_xor_b32 s13, s13, s3
	s_sub_i32 s59, s13, s3
	s_ashr_i32 s3, s55, 31
	s_ashr_i32 s57, s53, 31
	s_mul_hi_i32 s13, s55, s21
	s_add_u32 s42, s12, s53
	s_addc_u32 s43, s13, s57
	s_lshl_b64 s[34:35], s[42:43], 16
	s_waitcnt lgkmcnt(0)
	s_add_u32 s4, s4, s34
	v_lshl_or_b32 v59, v55, 2, v54
	s_addc_u32 s5, s5, s35
	v_ashrrev_i32_e32 v43, 31, v42
	v_lshl_add_u64 v[2:3], v[42:43], 2, s[4:5]
	v_lshlrev_b32_e32 v44, 2, v59
	v_lshl_add_u64 v[10:11], v[2:3], 0, v[44:45]
	global_load_dwordx4 v[2:5], v[10:11], off
	global_load_dwordx4 v[6:9], v[10:11], off offset:256
	s_load_dwordx8 s[12:19], s[0:1], 0x0
	s_load_dwordx2 s[36:37], s[0:1], 0x80
	v_and_b32_e32 v45, 63, v0
	v_lshrrev_b32_e32 v58, 3, v45
	v_or_b32_e32 v60, 64, v59
	s_mul_i32 s33, s55, s25
	s_mul_hi_u32 s48, s55, s24
	s_mul_i32 s40, s55, s24
	s_mul_i32 s60, s55, s28
	;; [unrolled: 1-line block ×3, first 2 shown]
	s_mul_hi_u32 s50, s53, s26
	s_mul_i32 s52, s3, s24
	s_mul_i32 s51, s57, s26
	s_mul_hi_u32 s61, s42, s20
	s_mul_i32 s4, s42, s20
	s_mul_i32 s43, s43, s20
	s_cmp_lt_i32 s20, 64
	s_mul_i32 s38, s53, s26
	s_waitcnt vmcnt(1)
	v_mov_b32_e32 v65, v5
	s_waitcnt vmcnt(0)
	v_mov_b32_e32 v62, v9
	s_cbranch_scc1 .LBB745_3
; %bb.1:
	s_add_i32 s5, s61, s43
	s_lshl_b64 s[0:1], s[4:5], 8
	v_and_b32_e32 v63, 56, v57
	s_waitcnt lgkmcnt(0)
	s_add_u32 s24, s14, s0
	v_lshl_or_b32 v61, v1, 3, v58
	v_lshlrev_b32_e32 v5, 1, v63
	s_addc_u32 s0, s15, s1
	v_lshl_or_b32 v64, v61, 8, v5
	s_and_b32 s25, s0, 0xffff
	s_mov_b32 s27, 0x20000
	s_movk_i32 s26, 0x4000
	s_movk_i32 s0, 0x80
	v_or_b32_e32 v66, 0x2000, v64
	buffer_load_dwordx4 v[10:13], v64, s[24:27], 0 offen
	buffer_load_dwordx4 v[14:17], v64, s[24:27], s0 offen
	;; [unrolled: 1-line block ×4, first 2 shown]
	v_lshlrev_b32_e32 v9, 3, v61
	v_and_or_b32 v27, v0, 7, v9
	v_and_b32_e32 v9, 0x78, v9
	v_lshlrev_b32_e32 v27, 4, v27
	v_xor_b32_e32 v67, v27, v9
	v_mul_lo_u32 v26, v61, s23
	v_or_b32_e32 v68, 0x1000, v67
	v_xor_b32_e32 v9, 8, v67
	s_cmpk_eq_i32 s23, 0x80
	s_mov_b32 s62, s22
	v_xor_b32_e32 v27, 8, v68
	s_cselect_b64 s[0:1], -1, 0
	s_cmpk_lg_i32 s23, 0x80
	s_waitcnt vmcnt(3)
	ds_write_b64 v67, v[10:11] offset:16384
	ds_write_b64 v9, v[12:13] offset:16384
	s_waitcnt vmcnt(2)
	ds_write_b64 v67, v[14:15] offset:24576
	ds_write_b64 v9, v[16:17] offset:24576
	;; [unrolled: 3-line block ×4, first 2 shown]
	v_lshl_add_u32 v9, v26, 1, v63
	s_cbranch_scc0 .LBB745_29
; %bb.2:
	v_lshlrev_b32_e32 v11, 1, v9
	v_add_lshl_u32 v10, v9, s23, 1
	s_lshl_b32 s26, s23, 7
	v_lshl_or_b32 v5, v61, 9, v5
	s_cbranch_execz .LBB745_30
	s_branch .LBB745_31
.LBB745_3:
	v_mov_b32_e32 v9, v62
	v_mov_b32_e32 v5, v65
.LBB745_4:
	s_lshl_b32 s30, s56, 6
	s_sub_i32 s31, s20, s30
	s_cmp_gt_i32 s31, 0
	s_cbranch_scc0 .LBB745_76
; %bb.5:
	s_ashr_i32 s3, s30, 31
	s_cmpk_lg_i32 s23, 0x80
	s_cselect_b64 s[26:27], -1, 0
	s_and_b64 vcc, exec, s[26:27]
	s_cbranch_vccz .LBB745_7
; %bb.6:
	s_mul_i32 s1, s55, s20
	s_mul_hi_i32 s0, s55, s20
	s_add_u32 s1, s1, s30
	s_addc_u32 s0, s0, s3
	s_mul_i32 s5, s1, s58
	s_mul_hi_u32 s24, s1, s22
	s_add_i32 s5, s24, s5
	s_mul_i32 s0, s0, s22
	s_add_i32 s5, s5, s0
	s_mul_i32 s1, s1, s22
	s_ashr_i32 s0, s59, 31
	s_add_u32 s28, s1, s59
	s_addc_u32 s29, s5, s0
	s_cbranch_execz .LBB745_8
	s_branch .LBB745_9
.LBB745_7:
                                        ; implicit-def: $sgpr28_sgpr29
.LBB745_8:
	s_mul_hi_i32 s0, s55, s22
	s_mul_i32 s55, s55, s22
	s_ashr_i32 s1, s59, 31
	s_add_u32 s5, s55, s59
	s_addc_u32 s0, s0, s1
	s_mul_i32 s1, s5, s54
	s_mul_hi_u32 s22, s5, s20
	s_add_i32 s1, s22, s1
	s_mul_i32 s0, s0, s20
	s_add_i32 s1, s1, s0
	s_mul_i32 s5, s5, s20
	s_add_u32 s28, s5, s30
	s_addc_u32 s29, s1, s3
.LBB745_9:
	s_mul_i32 s0, s42, s54
	s_add_i32 s0, s61, s0
	s_add_i32 s5, s60, s56
	;; [unrolled: 1-line block ×3, first 2 shown]
	s_add_u32 s0, s4, s30
	s_addc_u32 s1, s1, s3
	s_mov_b32 s3, 0x7060302
	v_lshlrev_b32_e32 v14, 3, v56
	s_lshl_b64 s[24:25], s[0:1], 8
	v_perm_b32 v11, v5, v4, s3
	v_perm_b32 v10, v3, v2, s3
	;; [unrolled: 1-line block ×4, first 2 shown]
	v_lshlrev_b32_e32 v48, 2, v56
	v_lshl_or_b32 v14, v59, 5, v14
	s_waitcnt lgkmcnt(0)
	s_add_u32 s0, s14, s24
	ds_write2st64_b64 v14, v[10:11], v[12:13] offset0:72 offset1:76
	v_xor_b32_e32 v14, v59, v48
	v_lshlrev_b32_e32 v15, 8, v56
	s_addc_u32 s1, s15, s25
	v_lshl_or_b32 v14, v14, 1, v15
	s_mul_hi_i32 s3, s5, s21
	s_mul_i32 s5, s5, s21
	ds_write_b64 v14, v[10:11] offset:32768
	v_xor_b32_e32 v10, v60, v48
	s_add_u32 s4, s5, s53
	v_lshl_or_b32 v10, v10, 1, v15
	s_addc_u32 s5, s3, s57
	v_lshlrev_b32_e32 v11, 1, v56
	ds_write_b64 v10, v[12:13] offset:32768
	v_lshrrev_b32_e32 v10, 4, v0
	s_ashr_i32 s3, s2, 31
	s_lshl_b64 s[4:5], s[4:5], 15
	v_or_b32_e32 v12, 1, v11
	s_add_u32 s4, s6, s4
	v_xor_b32_e32 v11, v10, v11
	v_xor_b32_e32 v12, v12, v10
	v_lshlrev_b32_e32 v14, 8, v10
	s_addc_u32 s5, s7, s5
	s_lshl_b64 s[2:3], s[2:3], 8
	v_lshl_or_b32 v10, v11, 3, v14
	v_lshl_or_b32 v12, v12, 3, v14
	s_waitcnt lgkmcnt(0)
	s_barrier
	s_add_u32 s2, s4, s2
	ds_read_b64 v[10:11], v10 offset:32768
	ds_read_b64 v[12:13], v12 offset:32768
	s_addc_u32 s3, s5, s3
	v_mov_b32_e32 v15, 0
	s_cmp_lg_u32 s31, 64
	v_lshl_add_u64 v[16:17], s[2:3], 0, v[14:15]
	v_lshlrev_b32_e32 v14, 4, v56
	s_cselect_b64 s[14:15], -1, 0
	v_lshl_or_b32 v47, v1, 3, v58
	s_mov_b32 s4, 0
	v_lshl_add_u64 v[14:15], v[16:17], 0, v[14:15]
	s_waitcnt vmcnt(1)
	v_or_b32_e32 v27, 32, v47
	v_and_b32_e32 v26, 56, v57
	s_and_b64 vcc, exec, s[14:15]
	s_waitcnt lgkmcnt(0)
	global_store_dwordx4 v[14:15], v[10:13], off
	s_cbranch_vccz .LBB745_15
; %bb.10:
	s_mov_b32 s6, s4
	s_mov_b32 s7, s4
	;; [unrolled: 1-line block ×3, first 2 shown]
	v_mov_b64_e32 v[16:17], s[6:7]
	v_mov_b64_e32 v[14:15], s[4:5]
	;; [unrolled: 1-line block ×3, first 2 shown]
	v_cmp_gt_i32_e32 vcc, s31, v47
	v_mov_b64_e32 v[12:13], v[16:17]
	s_and_saveexec_b64 s[2:3], vcc
	s_cbranch_execz .LBB745_12
; %bb.11:
	v_lshlrev_b32_e32 v10, 8, v47
	v_mov_b32_e32 v11, 0
	v_lshl_add_u64 v[12:13], s[0:1], 0, v[10:11]
	v_lshlrev_b32_e32 v10, 1, v26
	v_lshl_add_u64 v[18:19], v[12:13], 0, v[10:11]
	global_load_dwordx4 v[14:17], v[18:19], off
	global_load_dwordx4 v[10:13], v[18:19], off offset:128
.LBB745_12:
	s_or_b64 exec, exec, s[2:3]
	s_mov_b32 s6, s4
	s_mov_b32 s7, s4
	;; [unrolled: 1-line block ×3, first 2 shown]
	v_mov_b64_e32 v[24:25], s[6:7]
	v_mov_b64_e32 v[22:23], s[4:5]
	;; [unrolled: 1-line block ×3, first 2 shown]
	v_cmp_gt_i32_e32 vcc, s31, v27
	v_lshlrev_b32_e32 v28, 7, v27
	v_mov_b64_e32 v[20:21], v[24:25]
	s_and_saveexec_b64 s[2:3], vcc
	s_cbranch_execz .LBB745_14
; %bb.13:
	v_lshlrev_b32_e32 v18, 1, v28
	v_mov_b32_e32 v19, 0
	v_lshl_add_u64 v[20:21], s[0:1], 0, v[18:19]
	v_lshlrev_b32_e32 v18, 1, v26
	v_lshl_add_u64 v[30:31], v[20:21], 0, v[18:19]
	global_load_dwordx4 v[22:25], v[30:31], off
	global_load_dwordx4 v[18:21], v[30:31], off offset:128
.LBB745_14:
	s_or_b64 exec, exec, s[2:3]
	v_lshrrev_b32_e32 v29, 3, v26
	v_lshlrev_b32_e32 v30, 3, v47
	v_or_b32_e32 v29, v30, v29
	v_lshlrev_b32_e32 v29, 4, v29
	v_and_b32_e32 v30, 0x78, v30
	v_xor_b32_e32 v29, v29, v30
	s_branch .LBB745_17
.LBB745_15:
                                        ; implicit-def: $vgpr29
                                        ; implicit-def: $vgpr28
                                        ; implicit-def: $vgpr14_vgpr15_vgpr16_vgpr17
                                        ; implicit-def: $vgpr10_vgpr11_vgpr12_vgpr13
                                        ; implicit-def: $vgpr22_vgpr23_vgpr24_vgpr25
                                        ; implicit-def: $vgpr18_vgpr19_vgpr20_vgpr21
	s_cbranch_execz .LBB745_17
; %bb.16:
	s_waitcnt vmcnt(0)
	v_lshlrev_b32_e32 v10, 1, v26
	v_lshl_or_b32 v28, v47, 8, v10
	s_and_b32 s1, s1, 0xffff
	s_mov_b32 s3, 0x20000
	s_movk_i32 s2, 0x4000
	v_lshl_or_b32 v29, v27, 8, v10
	s_movk_i32 s4, 0x80
	buffer_load_dwordx4 v[14:17], v28, s[0:3], 0 offen
	buffer_load_dwordx4 v[10:13], v28, s[0:3], s4 offen
	;; [unrolled: 1-line block ×4, first 2 shown]
	v_lshrrev_b32_e32 v28, 3, v26
	v_lshlrev_b32_e32 v29, 3, v47
	v_or_b32_e32 v28, v29, v28
	v_lshlrev_b32_e32 v28, 4, v28
	v_and_b32_e32 v29, 0x78, v29
	v_xor_b32_e32 v29, v28, v29
	v_lshlrev_b32_e32 v28, 7, v27
.LBB745_17:
	s_lshl_b64 s[0:1], s[28:29], 8
	s_add_u32 s4, s12, s0
	s_movk_i32 s0, 0x1000
	v_and_or_b32 v27, v28, s0, v29
	s_waitcnt vmcnt(1)
	ds_write_b64 v29, v[14:15] offset:16384
	v_xor_b32_e32 v14, 8, v29
	ds_write_b64 v14, v[16:17] offset:16384
	s_waitcnt vmcnt(0)
	ds_write_b64 v29, v[10:11] offset:24576
	ds_write_b64 v14, v[12:13] offset:24576
	;; [unrolled: 1-line block ×3, first 2 shown]
	v_xor_b32_e32 v10, 8, v27
	ds_write_b64 v10, v[24:25] offset:16384
	ds_write_b64 v27, v[18:19] offset:24576
	;; [unrolled: 1-line block ×3, first 2 shown]
	v_or_b32_e32 v10, v54, v56
	v_lshlrev_b32_e32 v10, 3, v10
	v_lshrrev_b32_e32 v12, 5, v45
	s_movk_i32 s6, 0xf8
	v_and_or_b32 v12, v10, s6, v12
	v_lshlrev_b32_e32 v49, 11, v1
	v_lshlrev_b32_e32 v20, 4, v12
	v_and_b32_e32 v21, 0x78, v10
	v_and_b32_e32 v22, 0x1000, v49
	v_lshlrev_b32_e32 v11, 2, v0
	v_xor_b32_e32 v10, v20, v21
	v_lshrrev_b32_e32 v12, 1, v45
	v_and_b32_e32 v11, 60, v11
	v_or_b32_e32 v10, v10, v22
	v_and_b32_e32 v23, 8, v12
	v_xor_b32_e32 v34, v10, v23
	v_lshl_or_b32 v10, v55, 6, v11
	v_lshlrev_b32_e32 v50, 1, v10
	v_or_b32_e32 v10, 32, v20
	v_xor_b32_e32 v10, v10, v21
	s_waitcnt lgkmcnt(0)
	s_barrier
	ds_read_b64 v[18:19], v34 offset:16384
	v_or_b32_e32 v10, v10, v22
	v_xor_b32_e32 v35, v10, v23
	v_or_b32_e32 v10, 64, v20
	v_xor_b32_e32 v10, v10, v21
	v_or_b32_e32 v10, v10, v22
	v_or_b32_e32 v20, 0x60, v20
	v_xor_b32_e32 v36, v10, v23
	ds_read2st64_b64 v[10:13], v50 offset0:72 offset1:73
	ds_read2st64_b64 v[14:17], v50 offset0:74 offset1:75
	v_xor_b32_e32 v24, v20, v21
	ds_read_b64 v[20:21], v35 offset:16384
	s_addc_u32 s5, s13, s1
	s_add_i32 s1, s48, s33
	s_waitcnt lgkmcnt(2)
	v_mfma_f32_16x16x16_bf16 a[0:3], v[18:19], v[10:11], 0
	s_add_i32 s0, s20, -1
	s_add_i32 s41, s1, s52
	s_add_i32 s1, s50, s49
	;; [unrolled: 1-line block ×3, first 2 shown]
	s_ashr_i32 s1, s0, 31
	s_mul_i32 s2, s0, s37
	s_mul_hi_u32 s3, s0, s36
	s_add_i32 s2, s3, s2
	s_mul_i32 s1, s1, s36
	v_or_b32_e32 v22, v24, v22
	s_add_i32 s1, s2, s1
	s_lshl_b64 s[2:3], s[40:41], 2
	v_xor_b32_e32 v51, v22, v23
	ds_read_b64 v[22:23], v36 offset:16384
	ds_read_b64 v[24:25], v51 offset:16384
	s_waitcnt lgkmcnt(2)
	v_mfma_f32_16x16x16_bf16 a[0:3], v[20:21], v[12:13], a[0:3]
	s_add_u32 s6, s18, s2
	s_addc_u32 s7, s19, s3
	s_lshl_b64 s[2:3], s[38:39], 2
	s_mul_i32 s0, s0, s36
	s_add_u32 s12, s6, s2
	s_addc_u32 s13, s7, s3
	s_lshl_b64 s[0:1], s[0:1], 2
	s_waitcnt lgkmcnt(1)
	v_mfma_f32_16x16x16_bf16 a[0:3], v[22:23], v[14:15], a[0:3]
	s_add_u32 s0, s12, s0
	s_addc_u32 s1, s13, s1
	s_load_dword s18, s[0:1], 0x0
	s_waitcnt lgkmcnt(0)
	v_mfma_f32_16x16x16_bf16 a[0:3], v[24:25], v[16:17], a[0:3]
	s_and_b64 vcc, exec, s[26:27]
	s_cbranch_vccz .LBB745_28
; %bb.18:
	v_lshlrev_b32_e32 v27, 1, v47
	s_and_b64 vcc, exec, s[14:15]
	s_cbranch_vccz .LBB745_44
; %bb.19:
	v_cmp_gt_i32_e32 vcc, s31, v27
	v_mov_b32_e32 v14, 0
	v_mov_b32_e32 v10, 0
	;; [unrolled: 1-line block ×5, first 2 shown]
	s_and_saveexec_b64 s[0:1], vcc
	s_cbranch_execz .LBB745_21
; %bb.20:
	v_mad_i64_i32 v[10:11], s[2:3], s23, v27, 0
	v_lshl_add_u64 v[10:11], v[10:11], 1, s[4:5]
	v_lshlrev_b32_e32 v12, 1, v26
	v_mov_b32_e32 v13, 0
	v_lshl_add_u64 v[10:11], v[10:11], 0, v[12:13]
	global_load_dwordx4 v[10:13], v[10:11], off
.LBB745_21:
	s_or_b64 exec, exec, s[0:1]
	v_or_b32_e32 v28, 1, v27
	v_cmp_gt_i32_e64 s[0:1], s31, v28
	v_mov_b32_e32 v15, 0
	v_mov_b32_e32 v16, 0
	v_mov_b32_e32 v17, 0
	s_and_saveexec_b64 s[2:3], s[0:1]
	s_cbranch_execz .LBB745_23
; %bb.22:
	v_mad_i64_i32 v[14:15], s[6:7], s23, v28, 0
	v_lshl_add_u64 v[14:15], v[14:15], 1, s[4:5]
	v_lshlrev_b32_e32 v16, 1, v26
	v_mov_b32_e32 v17, 0
	v_lshl_add_u64 v[14:15], v[14:15], 0, v[16:17]
	global_load_dwordx4 v[14:17], v[14:15], off
.LBB745_23:
	s_or_b64 exec, exec, s[2:3]
	v_mov_b32_e32 v25, 0
	v_mov_b32_e32 v18, 0
	;; [unrolled: 1-line block ×5, first 2 shown]
	s_and_saveexec_b64 s[2:3], vcc
	s_cbranch_execz .LBB745_25
; %bb.24:
	v_mad_i64_i32 v[18:19], s[6:7], s23, v27, 0
	v_lshl_add_u64 v[18:19], v[18:19], 1, s[4:5]
	v_lshlrev_b32_e32 v20, 1, v26
	v_mov_b32_e32 v21, 0
	v_lshl_add_u64 v[18:19], v[18:19], 0, v[20:21]
	global_load_dwordx4 v[18:21], v[18:19], off offset:128
.LBB745_25:
	s_or_b64 exec, exec, s[2:3]
	v_mov_b32_e32 v24, 0
	v_mov_b32_e32 v23, 0
	;; [unrolled: 1-line block ×3, first 2 shown]
	s_and_saveexec_b64 s[2:3], s[0:1]
	s_cbranch_execz .LBB745_27
; %bb.26:
	v_mad_i64_i32 v[22:23], s[0:1], s23, v28, 0
	v_lshl_add_u64 v[22:23], v[22:23], 1, s[4:5]
	v_lshlrev_b32_e32 v24, 1, v26
	v_mov_b32_e32 v25, 0
	v_lshl_add_u64 v[22:23], v[22:23], 0, v[24:25]
	global_load_dwordx4 v[22:25], v[22:23], off offset:128
.LBB745_27:
	s_or_b64 exec, exec, s[2:3]
	s_branch .LBB745_46
.LBB745_28:
                                        ; implicit-def: $vgpr13
                                        ; implicit-def: $vgpr17
                                        ; implicit-def: $vgpr21
                                        ; implicit-def: $vgpr25
	v_lshrrev_b32_e32 v45, 2, v45
	s_branch .LBB745_47
.LBB745_29:
                                        ; implicit-def: $vgpr10
                                        ; implicit-def: $vgpr11
                                        ; implicit-def: $sgpr26
	v_lshl_or_b32 v5, v61, 9, v5
.LBB745_30:
	v_or_b32_e32 v10, 0x100, v5
	s_movk_i32 s26, 0x4000
	v_mov_b32_e32 v11, v5
.LBB745_31:
	s_mul_hi_u32 s24, s22, s20
	s_mul_i32 s25, s58, s20
	s_add_i32 s24, s24, s25
	s_mul_i32 s25, s22, s20
	s_mul_i32 s27, s25, s3
	s_mul_hi_u32 s28, s25, s55
	s_add_i32 s27, s28, s27
	s_mul_i32 s24, s24, s55
	s_add_i32 s27, s27, s24
	s_mul_i32 s25, s25, s55
	s_ashr_i32 s63, s59, 31
	s_add_u32 s24, s25, s59
	s_addc_u32 s25, s27, s63
	s_lshl_b64 s[24:25], s[24:25], 8
	s_add_u32 s24, s12, s24
	s_addc_u32 s25, s13, s25
	s_and_b32 s25, s25, 0xffff
	s_mov_b32 s27, 0x20000
	s_movk_i32 s64, 0x80
	buffer_load_dwordx4 v[12:15], v11, s[24:27], 0 offen
	buffer_load_dwordx4 v[16:19], v11, s[24:27], s64 offen
	;; [unrolled: 1-line block ×4, first 2 shown]
	v_and_b32_e32 v10, 6, v0
	v_lshlrev_b32_e32 v28, 2, v56
	v_lshlrev_b32_e32 v29, 3, v56
	v_xor_b32_e32 v31, v61, v10
	v_and_b32_e32 v11, 1, v0
	s_mul_i32 s3, s3, s20
	s_mul_hi_u32 s24, s55, s20
	v_lshl_or_b32 v29, v59, 5, v29
	v_xor_b32_e32 v32, v59, v28
	v_lshlrev_b32_e32 v31, 2, v31
	v_or_b32_e32 v69, 0x9000, v29
	v_or_b32_e32 v70, 0x9800, v29
	v_lshlrev_b32_e32 v29, 1, v32
	v_xor_b32_e32 v32, 0x440, v31
	v_cmp_eq_u32_e32 vcc, 0, v11
	s_add_i32 s69, s24, s3
	s_add_i32 s3, s48, s33
	v_cndmask_b32_e32 v11, v32, v31, vcc
	s_add_i32 s24, s50, s49
	s_add_i32 s41, s3, s52
	s_mov_b32 s66, 0x1000504
	v_lshlrev_b32_e32 v30, 8, v56
	s_mov_b32 s26, 0x8000
	v_xor_b32_e32 v28, v60, v28
	v_lshl_or_b32 v10, v10, 10, v11
	s_add_i32 s39, s24, s51
	s_lshl_b64 s[24:25], s[40:41], 2
	s_mov_b32 s67, 0x3020706
	v_lshlrev_b32_e32 v28, 1, v28
	v_or3_b32 v71, v29, v30, s26
	v_xor_b32_e32 v11, 8, v10
	v_xor_b32_e32 v29, 24, v10
	;; [unrolled: 1-line block ×4, first 2 shown]
	s_add_u32 s3, s18, s24
	v_or3_b32 v72, v28, v30, s26
	v_xor_b32_e32 v28, 16, v10
	v_xor_b32_e32 v30, 32, v10
	;; [unrolled: 1-line block ×3, first 2 shown]
	v_add_u32_e32 v11, 0x80, v11
	v_add_u32_e32 v29, 0x80, v29
	;; [unrolled: 1-line block ×4, first 2 shown]
	s_addc_u32 s28, s19, s25
	s_lshl_b64 s[24:25], s[38:39], 2
	s_add_u32 s44, s3, s24
	s_movk_i32 s3, 0xf8
	s_addc_u32 s45, s28, s25
	v_ashrrev_i32_e32 v47, 31, v46
	s_lshl_b32 s30, s23, 7
	s_mov_b32 s65, 0
	s_mul_i32 s68, s55, s20
	v_mov_b32_e32 v86, 0x3fb8aa3b
	s_mov_b32 s41, 0
	s_waitcnt vmcnt(1)
	v_perm_b32 v34, v12, v20, s66
	s_waitcnt vmcnt(0)
	v_perm_b32 v35, v16, v24, s66
	v_perm_b32 v12, v12, v20, s67
	;; [unrolled: 1-line block ×15, first 2 shown]
	ds_write2st64_b32 v10, v34, v35 offset1:32
	ds_write2st64_b32 v11, v12, v16 offset1:32
	ds_write2st64_b32 v28, v20, v24 offset0:1 offset1:33
	ds_write2st64_b32 v29, v13, v17 offset0:1 offset1:33
	;; [unrolled: 1-line block ×6, first 2 shown]
	v_or_b32_e32 v10, v54, v56
	v_lshlrev_b32_e32 v10, 3, v10
	v_lshrrev_b32_e32 v12, 5, v45
	v_and_or_b32 v12, v10, s3, v12
	v_lshlrev_b32_e32 v12, 4, v12
	v_lshlrev_b32_e32 v18, 11, v1
	v_and_b32_e32 v10, 0x78, v10
	v_or_b32_e32 v15, 32, v12
	v_and_b32_e32 v11, 0x1000, v18
	v_lshrrev_b32_e32 v19, 1, v0
	v_xor_b32_e32 v15, v15, v10
	v_and_b32_e32 v14, 8, v19
	v_or_b32_e32 v15, v15, v11
	v_xor_b32_e32 v13, v12, v10
	v_xor_b32_e32 v75, v15, v14
	v_or_b32_e32 v15, 64, v12
	v_or_b32_e32 v12, 0x60, v12
	v_xor_b32_e32 v15, v15, v10
	v_xor_b32_e32 v10, v12, v10
	v_or_b32_e32 v13, v13, v11
	v_or_b32_e32 v15, v15, v11
	;; [unrolled: 1-line block ×3, first 2 shown]
	v_xor_b32_e32 v73, v13, v14
	v_xor_b32_e32 v76, v15, v14
	;; [unrolled: 1-line block ×3, first 2 shown]
	v_lshrrev_b32_e32 v14, 4, v0
	v_lshlrev_b32_e32 v15, 1, v56
	s_ashr_i32 s3, s2, 31
	v_or_b32_e32 v16, 1, v15
	v_xor_b32_e32 v15, v14, v15
	s_lshl_b64 s[24:25], s[2:3], 8
	v_xor_b32_e32 v16, v16, v14
	v_lshlrev_b32_e32 v15, 3, v15
	v_lshlrev_b32_e32 v14, 8, v14
	v_lshlrev_b64 v[10:11], 1, v[46:47]
	s_add_u32 s24, s6, s24
	v_or3_b32 v47, v15, v14, s26
	v_lshlrev_b32_e32 v15, 3, v16
	s_addc_u32 s25, s7, s25
	v_or3_b32 v79, v15, v14, s26
	v_mov_b32_e32 v15, 0
	v_lshl_add_u64 v[16:17], s[24:25], 0, v[14:15]
	v_lshlrev_b32_e32 v14, 4, v56
	s_movk_i32 s3, 0xff
	v_lshlrev_b32_e32 v23, 3, v1
	v_and_b32_e32 v19, 24, v19
	v_lshl_add_u64 v[48:49], v[16:17], 0, v[14:15]
	v_and_b32_e32 v16, 8, v0
	v_cmp_lt_u32_e32 vcc, s3, v0
	v_xor_b32_e32 v24, v23, v19
	v_or_b32_e32 v25, 0x440, v24
	v_cndmask_b32_e64 v22, 0, 1, vcc
	v_cmp_eq_u32_e32 vcc, 0, v16
	v_and_b32_e32 v14, 7, v0
	v_lshlrev_b32_e32 v17, 3, v14
	v_cndmask_b32_e32 v16, v25, v24, vcc
	v_lshlrev_b32_e32 v14, 7, v14
	v_or_b32_e32 v16, v16, v18
	v_xad_u32 v80, v16, v17, v14
	v_or_b32_e32 v16, 32, v19
	v_xor_b32_e32 v16, v23, v16
	v_or_b32_e32 v24, 0x440, v16
	v_cndmask_b32_e32 v16, v24, v16, vcc
	v_or_b32_e32 v16, v16, v18
	v_xad_u32 v81, v16, v17, v14
	v_or_b32_e32 v16, 64, v19
	v_xor_b32_e32 v16, v23, v16
	v_xor_b32_e32 v24, 0x440, v16
	v_cndmask_b32_e32 v16, v24, v16, vcc
	v_or_b32_e32 v16, v16, v18
	v_xad_u32 v82, v16, v17, v14
	v_or_b32_e32 v16, 0x60, v19
	v_xor_b32_e32 v16, v23, v16
	v_xor_b32_e32 v19, 0x440, v16
	v_and_b32_e32 v13, 0x78, v57
	v_cndmask_b32_e32 v16, v19, v16, vcc
	v_lshl_or_b32 v13, v55, 7, v13
	v_or_b32_e32 v16, v16, v18
	v_or_b32_e32 v74, 0x9000, v13
	v_or_b32_e32 v78, 0x9800, v13
	v_lshl_add_u64 v[12:13], s[16:17], 0, v[10:11]
	v_lshl_add_u64 v[10:11], s[8:9], 0, v[10:11]
	v_lshlrev_b32_e32 v20, 1, v9
	v_add_lshl_u32 v9, v9, s23, 1
	v_or_b32_e32 v21, 0x100, v5
	v_lshlrev_b32_e32 v22, 13, v22
	v_xad_u32 v83, v16, v17, v14
	v_lshlrev_b32_e32 v14, 8, v59
	v_cndmask_b32_e64 v84, v20, v5, s[0:1]
	v_cndmask_b32_e64 v85, v9, v21, s[0:1]
	v_lshl_add_u64 v[50:51], v[12:13], 0, v[14:15]
	v_lshl_add_u64 v[52:53], v[10:11], 0, v[14:15]
	s_mov_b32 s3, 0x7060302
	s_movk_i32 s26, 0x4000
	v_add_u32_e32 v87, v22, v80
	v_add_u32_e32 v88, v22, v81
	;; [unrolled: 1-line block ×4, first 2 shown]
	s_waitcnt lgkmcnt(0)
	s_barrier
.LBB745_32:                             ; =>This Inner Loop Header: Depth=1
	s_add_i32 s39, s41, 1
	s_cmp_lt_i32 s39, s56
	s_mov_b64 s[28:29], 0
	s_cselect_b64 s[46:47], -1, 0
	s_cmp_ge_i32 s39, s56
	s_mov_b64 s[24:25], 0
	s_cbranch_scc1 .LBB745_34
; %bb.33:                               ;   in Loop: Header=BB745_32 Depth=1
	s_add_i32 s0, s65, 64
	s_add_u32 s0, s4, s0
	s_addc_u32 s1, s5, 0
	s_lshl_b64 s[0:1], s[0:1], 8
	s_add_u32 s24, s14, s0
	s_addc_u32 s25, s15, s1
.LBB745_34:                             ;   in Loop: Header=BB745_32 Depth=1
	v_cndmask_b32_e64 v5, 0, 1, s[46:47]
	v_cmp_ne_u32_e64 s[0:1], 1, v5
	s_andn2_b64 vcc, exec, s[46:47]
	s_cbranch_vccnz .LBB745_36
; %bb.35:                               ;   in Loop: Header=BB745_32 Depth=1
	s_add_i32 s28, s65, 64
	s_add_u32 s28, s68, s28
	s_addc_u32 s29, s69, 0
	s_mul_i32 s31, s28, s58
	s_mul_hi_u32 s46, s28, s62
	s_add_i32 s31, s46, s31
	s_mul_i32 s29, s29, s62
	s_add_i32 s31, s31, s29
	s_mul_i32 s28, s28, s62
	s_add_u32 s28, s28, s59
	s_addc_u32 s29, s31, s63
	s_lshl_b64 s[28:29], s[28:29], 8
	s_add_u32 s28, s12, s28
	s_addc_u32 s29, s13, s29
.LBB745_36:                             ;   in Loop: Header=BB745_32 Depth=1
	v_perm_b32 v11, v65, v4, s3
	v_perm_b32 v10, v3, v2, s3
	;; [unrolled: 1-line block ×4, first 2 shown]
	ds_write_b64 v69, v[10:11]
	ds_write_b64 v70, v[12:13]
	;; [unrolled: 1-line block ×4, first 2 shown]
	s_waitcnt lgkmcnt(0)
	s_barrier
	ds_read_b64 v[18:19], v73 offset:16384
	ds_read_b64 v[20:21], v75 offset:16384
	ds_read2st64_b64 v[10:13], v74 offset1:1
	ds_read2st64_b64 v[14:17], v74 offset0:2 offset1:3
	ds_read_b64 v[22:23], v76 offset:16384
	s_waitcnt lgkmcnt(2)
	v_mfma_f32_16x16x16_bf16 a[0:3], v[18:19], v[10:11], 0
	ds_read_b64 v[10:11], v77 offset:16384
	s_add_i32 s31, s65, 63
	s_mul_i32 s46, s31, s37
	v_mfma_f32_16x16x16_bf16 a[0:3], v[20:21], v[12:13], a[0:3]
	s_mul_hi_u32 s47, s31, s36
	s_add_i32 s47, s47, s46
	s_mul_i32 s46, s31, s36
	s_waitcnt lgkmcnt(1)
	v_mfma_f32_16x16x16_bf16 a[0:3], v[22:23], v[14:15], a[0:3]
	s_lshl_b64 s[46:47], s[46:47], 2
	s_add_u32 s46, s44, s46
	s_addc_u32 s47, s45, s47
	s_waitcnt lgkmcnt(0)
	v_mfma_f32_16x16x16_bf16 a[0:3], v[10:11], v[16:17], a[0:3]
	s_and_b64 vcc, exec, s[0:1]
	v_mov_b32_e32 v91, 0
	v_mov_b32_e32 v9, 0
	;; [unrolled: 1-line block ×19, first 2 shown]
	s_cbranch_vccnz .LBB745_38
; %bb.37:                               ;   in Loop: Header=BB745_32 Depth=1
	s_and_b32 s25, s25, 0xffff
	buffer_load_dwordx4 v[22:25], v64, s[24:27], 0 offen
	buffer_load_dwordx4 v[18:21], v64, s[24:27], s64 offen
	;; [unrolled: 1-line block ×4, first 2 shown]
	v_mov_b32_e32 v9, v67
	v_mov_b32_e32 v5, v68
.LBB745_38:                             ;   in Loop: Header=BB745_32 Depth=1
	s_waitcnt vmcnt(3)
	v_add_u32_e32 v32, s65, v59
	s_waitcnt vmcnt(1)
	v_ashrrev_i32_e32 v26, 31, v32
	v_mul_lo_u32 v28, v26, s36
	v_mul_lo_u32 v29, v32, s37
	v_mad_u64_u32 v[26:27], s[24:25], v32, s36, 0
	v_add3_u32 v27, v27, v29, v28
	v_add_u32_e32 v28, 1, v32
	v_ashrrev_i32_e32 v29, 31, v28
	v_mul_lo_u32 v30, v29, s36
	v_mul_lo_u32 v31, v28, s37
	v_mad_u64_u32 v[28:29], s[24:25], v28, s36, 0
	v_add3_u32 v29, v29, v31, v30
	v_add_u32_e32 v30, 2, v32
	v_ashrrev_i32_e32 v31, 31, v30
	v_mul_lo_u32 v33, v31, s36
	v_mul_lo_u32 v34, v30, s37
	v_mad_u64_u32 v[30:31], s[24:25], v30, s36, 0
	s_add_u32 s24, s4, s65
	v_add3_u32 v31, v31, v34, v33
	v_add_u32_e32 v34, 3, v32
	s_addc_u32 s25, s5, 0
	v_ashrrev_i32_e32 v32, 31, v34
	s_lshl_b64 s[70:71], s[24:25], 8
	v_lshl_add_u64 v[26:27], v[26:27], 2, s[44:45]
	v_mul_lo_u32 v35, v32, s36
	v_lshl_add_u64 v[32:33], v[50:51], 0, s[70:71]
	v_mul_lo_u32 v36, v34, s37
	global_load_ushort v93, v[32:33], off
	global_load_ushort v94, v[32:33], off offset:256
	global_load_ushort v96, v[32:33], off offset:512
	global_load_ushort v95, v[32:33], off offset:768
	global_load_dword v97, v[26:27], off
	v_mad_u64_u32 v[26:27], s[24:25], v34, s36, 0
	v_lshl_add_u64 v[28:29], v[28:29], 2, s[44:45]
	v_add3_u32 v27, v27, v36, v35
	v_lshl_add_u64 v[30:31], v[30:31], 2, s[44:45]
	v_lshl_add_u64 v[26:27], v[26:27], 2, s[44:45]
	global_load_dword v98, v[28:29], off
	global_load_dword v99, v[30:31], off
	;; [unrolled: 1-line block ×3, first 2 shown]
	ds_read_b64 v[26:27], v73 offset:24576
	s_load_dword s24, s[46:47], 0x0
	ds_read_b64 v[36:37], v75 offset:24576
	ds_read2st64_b64 v[28:31], v78 offset1:1
	ds_read2st64_b64 v[32:35], v78 offset0:2 offset1:3
	ds_read_b64 v[38:39], v76 offset:24576
	ds_read_b64 v[40:41], v77 offset:24576
	s_waitcnt lgkmcnt(0)
	v_mfma_f32_16x16x16_bf16 a[0:3], v[26:27], v[28:29], a[0:3]
	v_mov_b32_e32 v92, 0
	v_mov_b32_e32 v26, 0
	;; [unrolled: 1-line block ×3, first 2 shown]
	v_mfma_f32_16x16x16_bf16 a[0:3], v[36:37], v[30:31], a[0:3]
	v_lshl_add_u64 v[36:37], v[52:53], 0, s[70:71]
	v_mov_b32_e32 v28, 0
	v_mov_b32_e32 v29, 0
	v_mfma_f32_16x16x16_bf16 a[0:3], v[38:39], v[32:33], a[0:3]
	v_mov_b32_e32 v30, 0
	v_mov_b32_e32 v31, 0
	;; [unrolled: 1-line block ×3, first 2 shown]
	v_mfma_f32_16x16x16_bf16 a[0:3], v[40:41], v[34:35], a[0:3]
	s_and_b64 vcc, exec, s[0:1]
	s_waitcnt vmcnt(7)
	v_lshlrev_b32_e32 v40, 16, v93
	s_nop 3
	v_accvgpr_read_b32 v39, a1
	v_accvgpr_read_b32 v35, a3
	;; [unrolled: 1-line block ×4, first 2 shown]
	s_waitcnt vmcnt(6)
	v_lshlrev_b32_e32 v41, 16, v94
	s_waitcnt vmcnt(4)
	v_lshlrev_b32_e32 v95, 16, v95
	v_lshlrev_b32_e32 v94, 16, v96
	s_waitcnt vmcnt(3)
	v_sub_f32_e32 v33, s24, v97
	v_pk_add_f32 v[38:39], v[40:41], v[38:39] neg_lo:[0,1] neg_hi:[0,1]
	v_pk_add_f32 v[34:35], v[94:95], v[34:35] neg_lo:[0,1] neg_hi:[0,1]
	v_mul_f32_e32 v33, 0x3fb8aa3b, v33
	s_waitcnt vmcnt(2)
	v_sub_f32_e32 v41, s24, v98
	s_waitcnt vmcnt(1)
	v_sub_f32_e32 v93, s24, v99
	;; [unrolled: 2-line block ×3, first 2 shown]
	v_exp_f32_e32 v40, v33
	v_mul_f32_e32 v33, 0x3fb8aa3b, v41
	v_mul_f32_e32 v93, 0x3fb8aa3b, v93
	;; [unrolled: 1-line block ×3, first 2 shown]
	v_exp_f32_e32 v41, v33
	v_exp_f32_e32 v94, v93
	;; [unrolled: 1-line block ×3, first 2 shown]
	global_store_short_d16_hi v[36:37], v38, off
	global_store_short_d16_hi v[36:37], v39, off offset:256
	global_store_short_d16_hi v[36:37], v34, off offset:512
	;; [unrolled: 1-line block ×3, first 2 shown]
	v_pk_mul_f32 v[36:37], v[40:41], v[38:39]
	v_pk_mul_f32 v[34:35], v[94:95], v[34:35]
	v_mov_b32_e32 v33, 0
	v_perm_b32 v35, v35, v34, s3
	v_perm_b32 v34, v37, v36, s3
	ds_write_b64 v70, v[34:35]
	v_mov_b32_e32 v34, 0
	v_mov_b32_e32 v35, 0
	;; [unrolled: 1-line block ×8, first 2 shown]
	s_cbranch_vccnz .LBB745_40
; %bb.39:                               ;   in Loop: Header=BB745_32 Depth=1
	s_and_b32 s29, s29, 0xffff
	s_mov_b32 s31, s27
	buffer_load_dwordx4 v[38:41], v84, s[28:31], 0 offen
	buffer_load_dwordx4 v[30:33], v84, s[28:31], s64 offen
	;; [unrolled: 1-line block ×4, first 2 shown]
	v_mov_b32_e32 v91, v63
	v_mov_b32_e32 v92, v61
.LBB745_40:                             ;   in Loop: Header=BB745_32 Depth=1
	s_waitcnt lgkmcnt(0)
	s_barrier
	ds_read_b64 v[102:103], v87
	ds_read2st64_b64 v[94:97], v78 offset1:1
	ds_read2st64_b64 v[98:101], v78 offset0:2 offset1:3
	ds_read_b64 v[104:105], v88
	ds_read_b64 v[106:107], v89
	;; [unrolled: 1-line block ×3, first 2 shown]
	s_waitcnt lgkmcnt(4)
	v_mfma_f32_16x16x16_bf16 a[0:3], v[102:103], v[94:95], 0
	ds_read_b64 v[102:103], v80 offset:8192
	ds_read_b64 v[110:111], v81 offset:8192
	s_add_i32 s25, s60, s41
	s_mul_hi_i32 s29, s25, s21
	s_waitcnt lgkmcnt(1)
	v_mfma_f32_16x16x16_bf16 a[4:7], v[102:103], v[94:95], 0
	s_mul_i32 s25, s25, s21
	s_add_u32 s28, s25, s53
	s_addc_u32 s29, s29, s57
	v_mfma_f32_16x16x16_bf16 a[0:3], v[104:105], v[96:97], a[0:3]
	ds_read_b64 v[102:103], v47
	ds_read_b64 v[104:105], v79
	ds_read_b64 v[94:95], v82 offset:8192
	s_lshl_b64 s[28:29], s[28:29], 15
	v_mfma_f32_16x16x16_bf16 a[0:3], v[106:107], v[98:99], a[0:3]
	ds_read_b64 v[106:107], v83 offset:8192
	s_and_b64 vcc, exec, s[0:1]
	s_waitcnt lgkmcnt(4)
	v_mfma_f32_16x16x16_bf16 a[4:7], v[110:111], v[96:97], a[4:7]
	s_waitcnt lgkmcnt(1)
	v_mfma_f32_16x16x16_bf16 a[4:7], v[94:95], v[98:99], a[4:7]
	v_lshl_add_u64 v[94:95], v[48:49], 0, s[28:29]
	global_store_dwordx4 v[94:95], v[102:105], off
	v_mfma_f32_16x16x16_bf16 a[0:3], v[108:109], v[100:101], a[0:3]
	s_waitcnt lgkmcnt(0)
	v_mfma_f32_16x16x16_bf16 a[4:7], v[106:107], v[100:101], a[4:7]
	s_cbranch_vccnz .LBB745_42
; %bb.41:                               ;   in Loop: Header=BB745_32 Depth=1
	v_lshrrev_b32_e32 v93, 3, v91
	v_and_b32_e32 v93, 6, v93
	v_xor_b32_e32 v92, v93, v92
	v_lshlrev_b32_e32 v92, 2, v92
	v_and_b32_e32 v91, 8, v91
	v_xor_b32_e32 v94, 0x440, v92
	v_cmp_eq_u32_e32 vcc, 0, v91
	s_barrier
	s_nop 0
	v_cndmask_b32_e32 v91, v94, v92, vcc
	v_lshl_or_b32 v91, v93, 10, v91
	s_waitcnt vmcnt(2)
	v_perm_b32 v92, v38, v34, s66
	s_waitcnt vmcnt(1)
	v_perm_b32 v93, v30, v26, s66
	ds_write2st64_b32 v91, v92, v93 offset1:32
	v_xor_b32_e32 v92, 8, v91
	v_perm_b32 v34, v38, v34, s67
	v_perm_b32 v26, v30, v26, s67
	v_add_u32_e32 v30, 0x80, v92
	ds_write2st64_b32 v30, v34, v26 offset1:32
	v_xor_b32_e32 v26, 16, v91
	v_perm_b32 v30, v39, v35, s66
	v_perm_b32 v34, v31, v27, s66
	ds_write2st64_b32 v26, v30, v34 offset0:1 offset1:33
	v_xor_b32_e32 v26, 24, v91
	v_perm_b32 v30, v39, v35, s67
	v_perm_b32 v27, v31, v27, s67
	v_add_u32_e32 v26, 0x80, v26
	ds_write2st64_b32 v26, v30, v27 offset0:1 offset1:33
	v_xor_b32_e32 v26, 32, v91
	v_perm_b32 v27, v40, v36, s66
	v_perm_b32 v30, v32, v28, s66
	ds_write2st64_b32 v26, v27, v30 offset0:2 offset1:34
	v_xor_b32_e32 v26, 40, v91
	v_perm_b32 v27, v40, v36, s67
	v_perm_b32 v28, v32, v28, s67
	v_add_u32_e32 v26, 0x80, v26
	ds_write2st64_b32 v26, v27, v28 offset0:2 offset1:34
	;; [unrolled: 9-line block ×3, first 2 shown]
	ds_write_b64 v9, v[22:23] offset:16384
	v_xor_b32_e32 v22, 8, v9
	ds_write_b64 v22, v[24:25] offset:16384
	ds_write_b64 v9, v[18:19] offset:24576
	;; [unrolled: 1-line block ×4, first 2 shown]
	v_xor_b32_e32 v9, 8, v5
	ds_write_b64 v9, v[16:17] offset:16384
	ds_write_b64 v5, v[10:11] offset:24576
	;; [unrolled: 1-line block ×3, first 2 shown]
.LBB745_42:                             ;   in Loop: Header=BB745_32 Depth=1
	v_mul_f32_e32 v5, s24, v86
	v_exp_f32_e32 v10, v5
	s_nop 1
	v_accvgpr_read_b32 v9, a1
	v_accvgpr_read_b32 v5, a0
	s_add_i32 s65, s65, 64
	v_fma_f32 v3, v3, v10, v9
	v_accvgpr_read_b32 v9, a4
	v_fma_f32 v6, v6, v10, v9
	v_accvgpr_read_b32 v9, a5
	;; [unrolled: 2-line block ×6, first 2 shown]
	v_fmac_f32_e32 v5, v65, v10
	s_cmp_eq_u32 s56, s39
	v_fmac_f32_e32 v9, v62, v10
	s_cbranch_scc1 .LBB745_4
; %bb.43:                               ;   in Loop: Header=BB745_32 Depth=1
	s_mov_b32 s41, s39
	v_mov_b32_e32 v65, v5
	v_mov_b32_e32 v62, v9
	s_branch .LBB745_32
.LBB745_44:
                                        ; implicit-def: $vgpr13
                                        ; implicit-def: $vgpr17
                                        ; implicit-def: $vgpr21
                                        ; implicit-def: $vgpr25
	s_cbranch_execz .LBB745_46
; %bb.45:
	s_waitcnt vmcnt(0)
	v_mad_u64_u32 v[10:11], s[0:1], v27, s23, v[26:27]
	v_lshlrev_b32_e32 v27, 1, v10
	s_lshl_b32 s2, s23, 7
	s_and_b32 s1, s5, 0xffff
	s_mov_b32 s3, 0x20000
	s_mov_b32 s0, s4
	v_add_lshl_u32 v28, v10, s23, 1
	s_movk_i32 s6, 0x80
	buffer_load_dwordx4 v[10:13], v27, s[0:3], 0 offen
	buffer_load_dwordx4 v[18:21], v27, s[0:3], s6 offen
	;; [unrolled: 1-line block ×4, first 2 shown]
.LBB745_46:
	v_lshrrev_b32_e32 v45, 2, v45
	s_cbranch_execnz .LBB745_59
.LBB745_47:
	s_and_b64 vcc, exec, s[14:15]
	s_cbranch_vccz .LBB745_57
; %bb.48:
	s_waitcnt vmcnt(0)
	v_lshlrev_b32_e32 v15, 1, v47
	v_cmp_gt_i32_e32 vcc, s31, v15
	v_mov_b32_e32 v14, 0
	v_lshlrev_b32_e32 v22, 9, v47
	v_mov_b32_e32 v10, 0
	v_mov_b32_e32 v11, 0
	;; [unrolled: 1-line block ×4, first 2 shown]
	s_and_saveexec_b64 s[0:1], vcc
	s_cbranch_execz .LBB745_50
; %bb.49:
	v_mov_b32_e32 v23, 0
	v_lshl_add_u64 v[10:11], s[4:5], 0, v[22:23]
	v_lshlrev_b32_e32 v12, 1, v26
	v_mov_b32_e32 v13, v23
	v_lshl_add_u64 v[10:11], v[10:11], 0, v[12:13]
	global_load_dwordx4 v[10:13], v[10:11], off
.LBB745_50:
	s_or_b64 exec, exec, s[0:1]
	v_or_b32_e32 v15, 1, v15
	v_cmp_gt_i32_e64 s[0:1], s31, v15
	v_lshlrev_b32_e32 v28, 8, v15
	v_mov_b32_e32 v15, 0
	v_mov_b32_e32 v16, 0
	;; [unrolled: 1-line block ×3, first 2 shown]
	s_and_saveexec_b64 s[2:3], s[0:1]
	s_cbranch_execz .LBB745_52
; %bb.51:
	v_mov_b32_e32 v29, 0
	v_lshl_add_u64 v[14:15], s[4:5], 0, v[28:29]
	v_lshlrev_b32_e32 v16, 1, v26
	v_mov_b32_e32 v17, v29
	v_lshl_add_u64 v[14:15], v[14:15], 0, v[16:17]
	global_load_dwordx4 v[14:17], v[14:15], off
.LBB745_52:
	s_or_b64 exec, exec, s[2:3]
	v_mov_b32_e32 v25, 0
	v_mov_b32_e32 v18, 0
	;; [unrolled: 1-line block ×5, first 2 shown]
	s_and_saveexec_b64 s[2:3], vcc
	s_cbranch_execz .LBB745_54
; %bb.53:
	v_mov_b32_e32 v23, 0
	v_lshl_add_u64 v[18:19], s[4:5], 0, v[22:23]
	v_lshlrev_b32_e32 v22, 1, v26
	v_lshl_add_u64 v[18:19], v[18:19], 0, v[22:23]
	global_load_dwordx4 v[18:21], v[18:19], off offset:128
.LBB745_54:
	s_or_b64 exec, exec, s[2:3]
	v_mov_b32_e32 v24, 0
	v_mov_b32_e32 v23, 0
	;; [unrolled: 1-line block ×3, first 2 shown]
	s_and_saveexec_b64 s[2:3], s[0:1]
	s_cbranch_execz .LBB745_56
; %bb.55:
	v_mov_b32_e32 v29, 0
	v_lshl_add_u64 v[22:23], s[4:5], 0, v[28:29]
	v_lshlrev_b32_e32 v28, 1, v26
	v_lshl_add_u64 v[22:23], v[22:23], 0, v[28:29]
	global_load_dwordx4 v[22:25], v[22:23], off offset:128
.LBB745_56:
	s_or_b64 exec, exec, s[2:3]
	s_branch .LBB745_59
.LBB745_57:
                                        ; implicit-def: $vgpr13
                                        ; implicit-def: $vgpr17
                                        ; implicit-def: $vgpr21
                                        ; implicit-def: $vgpr25
	s_cbranch_execz .LBB745_59
; %bb.58:
	s_waitcnt vmcnt(0)
	v_lshlrev_b32_e32 v10, 1, v26
	v_lshl_or_b32 v26, v47, 9, v10
	s_and_b32 s5, s5, 0xffff
	s_mov_b32 s7, 0x20000
	s_movk_i32 s6, 0x4000
	s_movk_i32 s0, 0x80
	buffer_load_dwordx4 v[10:13], v26, s[4:7], 0 offen
	buffer_load_dwordx4 v[14:17], v26, s[4:7], 0 offen offset:256
	buffer_load_dwordx4 v[18:21], v26, s[4:7], s0 offen
	buffer_load_dwordx4 v[22:25], v26, s[4:7], s0 offen offset:256
.LBB745_59:
	ds_read2st64_b64 v[30:33], v50 offset0:76 offset1:77
	ds_read2st64_b64 v[26:29], v50 offset0:78 offset1:79
	ds_read_b64 v[40:41], v34 offset:24576
	ds_read_b64 v[38:39], v35 offset:24576
	;; [unrolled: 1-line block ×4, first 2 shown]
	v_and_b32_e32 v51, 6, v0
	v_xor_b32_e32 v47, v47, v51
	v_lshlrev_b32_e32 v47, 2, v47
	v_and_b32_e32 v52, 1, v0
	v_xor_b32_e32 v53, 0x440, v47
	v_cmp_eq_u32_e32 vcc, 0, v52
	s_mov_b32 s0, 0x1000504
	s_waitcnt vmcnt(0)
	v_perm_b32 v52, v18, v22, s0
	v_cndmask_b32_e32 v47, v53, v47, vcc
	v_lshl_or_b32 v47, v51, 10, v47
	v_perm_b32 v51, v10, v14, s0
	ds_write2st64_b32 v47, v51, v52 offset1:32
	v_xor_b32_e32 v51, 8, v47
	s_mov_b32 s1, 0x3020706
	v_perm_b32 v10, v10, v14, s1
	v_perm_b32 v14, v18, v22, s1
	v_add_u32_e32 v18, 0x80, v51
	ds_write2st64_b32 v18, v10, v14 offset1:32
	v_xor_b32_e32 v10, 16, v47
	v_perm_b32 v14, v11, v15, s0
	v_perm_b32 v18, v19, v23, s0
	ds_write2st64_b32 v10, v14, v18 offset0:1 offset1:33
	v_xor_b32_e32 v10, 24, v47
	v_perm_b32 v11, v11, v15, s1
	v_perm_b32 v14, v19, v23, s1
	v_add_u32_e32 v10, 0x80, v10
	ds_write2st64_b32 v10, v11, v14 offset0:1 offset1:33
	v_xor_b32_e32 v10, 32, v47
	v_perm_b32 v11, v12, v16, s0
	v_perm_b32 v14, v20, v24, s0
	ds_write2st64_b32 v10, v11, v14 offset0:2 offset1:34
	v_xor_b32_e32 v10, 40, v47
	v_perm_b32 v11, v12, v16, s1
	v_perm_b32 v12, v20, v24, s1
	v_add_u32_e32 v10, 0x80, v10
	ds_write2st64_b32 v10, v11, v12 offset0:2 offset1:34
	v_xor_b32_e32 v10, 48, v47
	v_perm_b32 v11, v13, v17, s0
	v_perm_b32 v12, v21, v25, s0
	ds_write2st64_b32 v10, v11, v12 offset0:3 offset1:35
	v_xor_b32_e32 v10, 56, v47
	v_and_or_b32 v18, v45, 12, v54
	v_perm_b32 v11, v13, v17, s1
	v_perm_b32 v12, v21, v25, s1
	v_add_u32_e32 v10, 0x80, v10
	v_cmp_gt_i32_e32 vcc, s31, v18
	v_mov_b32_e32 v20, 0
	v_mov_b32_e32 v24, 0
	ds_write2st64_b32 v10, v11, v12 offset0:3 offset1:35
	s_and_saveexec_b64 s[0:1], vcc
	s_cbranch_execz .LBB745_61
; %bb.60:
	v_add_u32_e32 v10, s30, v18
	v_ashrrev_i32_e32 v11, 31, v10
	v_mul_lo_u32 v12, v11, s36
	v_mul_lo_u32 v13, v10, s37
	v_mad_u64_u32 v[10:11], s[2:3], v10, s36, 0
	v_add3_u32 v11, v11, v13, v12
	v_lshl_add_u64 v[10:11], v[10:11], 2, s[12:13]
	global_load_dword v10, v[10:11], off
	s_waitcnt vmcnt(0)
	v_sub_f32_e32 v10, s18, v10
	v_mul_f32_e32 v10, 0x3fb8aa3b, v10
	v_exp_f32_e32 v24, v10
.LBB745_61:
	s_or_b64 exec, exec, s[0:1]
	v_or_b32_e32 v23, 1, v18
	v_cmp_gt_i32_e64 s[4:5], s31, v23
	s_and_saveexec_b64 s[0:1], s[4:5]
	s_cbranch_execz .LBB745_63
; %bb.62:
	v_add_u32_e32 v10, s30, v23
	v_ashrrev_i32_e32 v11, 31, v10
	v_mul_lo_u32 v12, v11, s36
	v_mul_lo_u32 v13, v10, s37
	v_mad_u64_u32 v[10:11], s[2:3], v10, s36, 0
	v_add3_u32 v11, v11, v13, v12
	v_lshl_add_u64 v[10:11], v[10:11], 2, s[12:13]
	global_load_dword v10, v[10:11], off
	s_waitcnt vmcnt(0)
	v_sub_f32_e32 v10, s18, v10
	v_mul_f32_e32 v10, 0x3fb8aa3b, v10
	v_exp_f32_e32 v20, v10
.LBB745_63:
	s_or_b64 exec, exec, s[0:1]
	v_or_b32_e32 v21, 2, v18
	v_cmp_gt_i32_e64 s[0:1], s31, v21
	v_mov_b32_e32 v19, 0
	v_mov_b32_e32 v25, 0
	s_and_saveexec_b64 s[2:3], s[0:1]
	s_cbranch_execz .LBB745_65
; %bb.64:
	v_add_u32_e32 v10, s30, v21
	v_ashrrev_i32_e32 v11, 31, v10
	v_mul_lo_u32 v12, v11, s36
	v_mul_lo_u32 v13, v10, s37
	v_mad_u64_u32 v[10:11], s[6:7], v10, s36, 0
	v_add3_u32 v11, v11, v13, v12
	v_lshl_add_u64 v[10:11], v[10:11], 2, s[12:13]
	global_load_dword v10, v[10:11], off
	s_waitcnt vmcnt(0)
	v_sub_f32_e32 v10, s18, v10
	v_mul_f32_e32 v10, 0x3fb8aa3b, v10
	v_exp_f32_e32 v25, v10
.LBB745_65:
	s_or_b64 exec, exec, s[2:3]
	v_or_b32_e32 v22, 3, v18
	v_cmp_gt_i32_e64 s[2:3], s31, v22
	s_and_saveexec_b64 s[6:7], s[2:3]
	s_cbranch_execz .LBB745_67
; %bb.66:
	v_add_u32_e32 v10, s30, v22
	v_ashrrev_i32_e32 v11, 31, v10
	v_mul_lo_u32 v12, v11, s36
	v_mul_lo_u32 v13, v10, s37
	v_mad_u64_u32 v[10:11], s[14:15], v10, s36, 0
	v_add3_u32 v11, v11, v13, v12
	v_lshl_add_u64 v[10:11], v[10:11], 2, s[12:13]
	global_load_dword v10, v[10:11], off
	s_waitcnt vmcnt(0)
	v_sub_f32_e32 v10, s18, v10
	v_mul_f32_e32 v10, 0x3fb8aa3b, v10
	v_exp_f32_e32 v19, v10
.LBB745_67:
	s_or_b64 exec, exec, s[6:7]
	s_waitcnt lgkmcnt(11)
	v_mfma_f32_16x16x16_bf16 a[0:3], v[40:41], v[30:31], a[0:3]
	s_add_u32 s6, s16, s24
	v_ashrrev_i32_e32 v47, 31, v46
	s_addc_u32 s7, s17, s25
	s_waitcnt lgkmcnt(10)
	v_mfma_f32_16x16x16_bf16 a[0:3], v[38:39], v[32:33], a[0:3]
	v_lshlrev_b64 v[10:11], 1, v[46:47]
	v_lshl_add_u64 v[14:15], s[6:7], 0, v[10:11]
	s_add_u32 s6, s8, s24
	s_waitcnt lgkmcnt(9)
	v_mfma_f32_16x16x16_bf16 a[0:3], v[36:37], v[26:27], a[0:3]
	s_addc_u32 s7, s9, s25
	v_lshl_add_u64 v[16:17], s[6:7], 0, v[10:11]
	v_mov_b32_e32 v26, 0
	s_waitcnt lgkmcnt(8)
	v_mfma_f32_16x16x16_bf16 a[0:3], v[34:35], v[28:29], a[0:3]
	v_mov_b32_e32 v27, 0
	s_nop 5
	v_accvgpr_read_b32 v13, a3
	v_accvgpr_read_b32 v12, a2
	;; [unrolled: 1-line block ×4, first 2 shown]
	s_and_saveexec_b64 s[6:7], vcc
	s_cbranch_execz .LBB745_69
; %bb.68:
	v_lshlrev_b32_e32 v28, 8, v18
	v_mov_b32_e32 v29, 0
	v_lshl_add_u64 v[30:31], v[14:15], 0, v[28:29]
	global_load_ushort v27, v[30:31], off
	v_lshl_add_u64 v[28:29], v[16:17], 0, v[28:29]
	s_waitcnt vmcnt(0)
	v_lshlrev_b32_e32 v27, 16, v27
	v_sub_f32_e32 v10, v27, v10
	global_store_short_d16_hi v[28:29], v10, off
	v_mul_f32_e32 v10, v24, v10
	v_lshrrev_b32_e32 v27, 16, v10
.LBB745_69:
	s_or_b64 exec, exec, s[6:7]
	s_and_saveexec_b64 s[6:7], s[4:5]
	s_cbranch_execz .LBB745_71
; %bb.70:
	v_lshlrev_b32_e32 v28, 8, v23
	v_mov_b32_e32 v29, 0
	v_lshl_add_u64 v[30:31], v[14:15], 0, v[28:29]
	global_load_ushort v10, v[30:31], off
	v_lshl_add_u64 v[28:29], v[16:17], 0, v[28:29]
	s_waitcnt vmcnt(0)
	v_lshlrev_b32_e32 v10, 16, v10
	v_sub_f32_e32 v10, v10, v11
	global_store_short_d16_hi v[28:29], v10, off
	v_mul_f32_e32 v10, v20, v10
	v_lshrrev_b32_e32 v26, 16, v10
.LBB745_71:
	s_or_b64 exec, exec, s[6:7]
	v_mov_b32_e32 v11, 0
	v_mov_b32_e32 v20, 0
	s_and_saveexec_b64 s[4:5], s[0:1]
	s_cbranch_execz .LBB745_73
; %bb.72:
	v_lshlrev_b32_e32 v20, 8, v21
	v_mov_b32_e32 v21, 0
	v_lshl_add_u64 v[28:29], v[14:15], 0, v[20:21]
	global_load_ushort v10, v[28:29], off
	v_lshl_add_u64 v[20:21], v[16:17], 0, v[20:21]
	s_waitcnt vmcnt(0)
	v_lshlrev_b32_e32 v10, 16, v10
	v_sub_f32_e32 v10, v10, v12
	global_store_short_d16_hi v[20:21], v10, off
	v_mul_f32_e32 v10, v25, v10
	v_lshrrev_b32_e32 v20, 16, v10
.LBB745_73:
	s_or_b64 exec, exec, s[4:5]
	v_or_b32_e32 v10, 0x9800, v50
	s_and_saveexec_b64 s[0:1], s[2:3]
	s_cbranch_execz .LBB745_75
; %bb.74:
	v_lshlrev_b32_e32 v22, 8, v22
	v_mov_b32_e32 v23, 0
	v_lshl_add_u64 v[14:15], v[14:15], 0, v[22:23]
	global_load_ushort v11, v[14:15], off
	v_lshl_add_u64 v[14:15], v[16:17], 0, v[22:23]
	s_waitcnt vmcnt(0)
	v_lshlrev_b32_e32 v11, 16, v11
	v_sub_f32_e32 v11, v11, v13
	global_store_short_d16_hi v[14:15], v11, off
	v_mul_f32_e32 v11, v19, v11
	v_lshrrev_b32_e32 v11, 16, v11
.LBB745_75:
	s_or_b64 exec, exec, s[0:1]
	s_mov_b32 s0, 0x5040100
	v_perm_b32 v13, v11, v20, s0
	v_lshlrev_b32_e32 v11, 1, v48
	v_perm_b32 v12, v26, v27, s0
	v_lshl_or_b32 v11, v18, 5, v11
	s_movk_i32 s0, 0xff
	ds_write_b64 v11, v[12:13] offset:38912
	v_and_b32_e32 v11, 7, v0
	v_and_b32_e32 v12, 8, v0
	v_cmp_lt_u32_e32 vcc, s0, v0
	v_lshrrev_b32_e32 v0, 1, v0
	v_lshlrev_b32_e32 v22, 3, v1
	v_and_b32_e32 v23, 24, v0
	v_xor_b32_e32 v0, v22, v23
	v_cndmask_b32_e64 v13, 0, 1, vcc
	v_or_b32_e32 v1, 0x440, v0
	v_cmp_eq_u32_e32 vcc, 0, v12
	v_lshlrev_b32_e32 v20, 3, v11
	v_lshlrev_b32_e32 v11, 7, v11
	v_cndmask_b32_e32 v0, v1, v0, vcc
	v_or_b32_e32 v0, v0, v49
	v_lshlrev_b32_e32 v21, 13, v13
	v_xad_u32 v24, v0, v20, v11
	v_add_u32_e32 v0, v21, v24
	s_waitcnt lgkmcnt(0)
	s_barrier
	ds_read_b64 v[0:1], v0
	ds_read2st64_b64 v[12:15], v10 offset1:1
	ds_read2st64_b64 v[16:19], v10 offset0:2 offset1:3
	s_waitcnt lgkmcnt(1)
	v_mfma_f32_16x16x16_bf16 a[0:3], v[0:1], v[12:13], 0
	v_or_b32_e32 v0, 32, v23
	v_xor_b32_e32 v0, v22, v0
	v_or_b32_e32 v1, 0x440, v0
	v_cndmask_b32_e32 v0, v1, v0, vcc
	v_or_b32_e32 v0, v0, v49
	v_xad_u32 v25, v0, v20, v11
	v_add_u32_e32 v0, v21, v25
	ds_read_b64 v[0:1], v0
	v_or_b32_e32 v10, 0x60, v23
	s_waitcnt lgkmcnt(0)
	v_mfma_f32_16x16x16_bf16 a[0:3], v[0:1], v[14:15], a[0:3]
	v_or_b32_e32 v0, 64, v23
	v_xor_b32_e32 v0, v22, v0
	v_xor_b32_e32 v1, 0x440, v0
	v_cndmask_b32_e32 v0, v1, v0, vcc
	v_or_b32_e32 v0, v0, v49
	v_xad_u32 v26, v0, v20, v11
	v_add_u32_e32 v0, v21, v26
	ds_read_b64 v[0:1], v0
	v_xor_b32_e32 v10, v22, v10
	v_xor_b32_e32 v22, 0x440, v10
	v_cndmask_b32_e32 v10, v22, v10, vcc
	v_or_b32_e32 v10, v10, v49
	v_xad_u32 v22, v10, v20, v11
	v_add_u32_e32 v10, v21, v22
	ds_read_b64 v[10:11], v10
	s_waitcnt lgkmcnt(1)
	v_mfma_f32_16x16x16_bf16 a[0:3], v[0:1], v[16:17], a[0:3]
	ds_read_b64 v[0:1], v24 offset:8192
	ds_read_b64 v[20:21], v25 offset:8192
	v_mov_b32_e32 v23, 0x3fb8aa3b
	s_waitcnt lgkmcnt(2)
	v_mfma_f32_16x16x16_bf16 a[0:3], v[10:11], v[18:19], a[0:3]
	v_mul_f32_e32 v10, s18, v23
	v_exp_f32_e32 v23, v10
	ds_read_b64 v[10:11], v26 offset:8192
	s_waitcnt lgkmcnt(2)
	v_mfma_f32_16x16x16_bf16 a[4:7], v[0:1], v[12:13], 0
	ds_read_b64 v[12:13], v22 offset:8192
	s_nop 0
	v_accvgpr_read_b32 v0, a0
	v_accvgpr_read_b32 v1, a1
	s_waitcnt lgkmcnt(2)
	v_mfma_f32_16x16x16_bf16 a[4:7], v[20:21], v[14:15], a[4:7]
	v_fma_f32 v0, v2, v23, v0
	v_fma_f32 v1, v3, v23, v1
	v_accvgpr_read_b32 v2, a2
	s_waitcnt lgkmcnt(1)
	v_mfma_f32_16x16x16_bf16 a[4:7], v[10:11], v[16:17], a[4:7]
	v_accvgpr_read_b32 v3, a3
	v_fma_f32 v2, v4, v23, v2
	v_fmac_f32_e32 v3, v5, v23
	s_waitcnt lgkmcnt(0)
	v_mfma_f32_16x16x16_bf16 a[0:3], v[12:13], v[18:19], a[4:7]
	s_nop 6
	v_accvgpr_read_b32 v4, a0
	v_accvgpr_read_b32 v5, a1
	v_fma_f32 v4, v6, v23, v4
	v_fma_f32 v5, v7, v23, v5
	v_accvgpr_read_b32 v6, a2
	v_accvgpr_read_b32 v7, a3
	v_fma_f32 v6, v8, v23, v6
	v_fmac_f32_e32 v7, v9, v23
	v_mov_b64_e32 v[8:9], v[6:7]
	v_mov_b64_e32 v[6:7], v[4:5]
	;; [unrolled: 1-line block ×4, first 2 shown]
.LBB745_76:
	s_add_u32 s0, s10, s34
	s_addc_u32 s1, s11, s35
	v_lshl_add_u64 v[0:1], v[42:43], 2, s[0:1]
	v_mov_b32_e32 v45, 0
	v_lshl_add_u64 v[0:1], v[0:1], 0, v[44:45]
	global_store_dwordx4 v[0:1], v[2:5], off
	global_store_dwordx4 v[0:1], v[6:9], off offset:256
	s_endpgm
	.section	.rodata,"a",@progbits
	.p2align	6, 0x0
	.amdhsa_kernel _ZN12_GLOBAL__N_139chunk_gated_delta_rule_fwd_h_hip_kernelILi16ELb1ELb1ELb1ELb0ELb0ELb0ELb1ELb0EEEvPK12hip_bfloat16S3_S3_PKfS5_PKvPS1_S8_PvPKiSB_iiiiilll
		.amdhsa_group_segment_fixed_size 40960
		.amdhsa_private_segment_fixed_size 0
		.amdhsa_kernarg_size 136
		.amdhsa_user_sgpr_count 2
		.amdhsa_user_sgpr_dispatch_ptr 0
		.amdhsa_user_sgpr_queue_ptr 0
		.amdhsa_user_sgpr_kernarg_segment_ptr 1
		.amdhsa_user_sgpr_dispatch_id 0
		.amdhsa_user_sgpr_kernarg_preload_length 0
		.amdhsa_user_sgpr_kernarg_preload_offset 0
		.amdhsa_user_sgpr_private_segment_size 0
		.amdhsa_uses_dynamic_stack 0
		.amdhsa_enable_private_segment 0
		.amdhsa_system_sgpr_workgroup_id_x 1
		.amdhsa_system_sgpr_workgroup_id_y 1
		.amdhsa_system_sgpr_workgroup_id_z 0
		.amdhsa_system_sgpr_workgroup_info 0
		.amdhsa_system_vgpr_workitem_id 0
		.amdhsa_next_free_vgpr 120
		.amdhsa_next_free_sgpr 72
		.amdhsa_accum_offset 112
		.amdhsa_reserve_vcc 1
		.amdhsa_float_round_mode_32 0
		.amdhsa_float_round_mode_16_64 0
		.amdhsa_float_denorm_mode_32 3
		.amdhsa_float_denorm_mode_16_64 3
		.amdhsa_dx10_clamp 1
		.amdhsa_ieee_mode 1
		.amdhsa_fp16_overflow 0
		.amdhsa_tg_split 0
		.amdhsa_exception_fp_ieee_invalid_op 0
		.amdhsa_exception_fp_denorm_src 0
		.amdhsa_exception_fp_ieee_div_zero 0
		.amdhsa_exception_fp_ieee_overflow 0
		.amdhsa_exception_fp_ieee_underflow 0
		.amdhsa_exception_fp_ieee_inexact 0
		.amdhsa_exception_int_div_zero 0
	.end_amdhsa_kernel
	.section	.text._ZN12_GLOBAL__N_139chunk_gated_delta_rule_fwd_h_hip_kernelILi16ELb1ELb1ELb1ELb0ELb0ELb0ELb1ELb0EEEvPK12hip_bfloat16S3_S3_PKfS5_PKvPS1_S8_PvPKiSB_iiiiilll,"axG",@progbits,_ZN12_GLOBAL__N_139chunk_gated_delta_rule_fwd_h_hip_kernelILi16ELb1ELb1ELb1ELb0ELb0ELb0ELb1ELb0EEEvPK12hip_bfloat16S3_S3_PKfS5_PKvPS1_S8_PvPKiSB_iiiiilll,comdat
.Lfunc_end745:
	.size	_ZN12_GLOBAL__N_139chunk_gated_delta_rule_fwd_h_hip_kernelILi16ELb1ELb1ELb1ELb0ELb0ELb0ELb1ELb0EEEvPK12hip_bfloat16S3_S3_PKfS5_PKvPS1_S8_PvPKiSB_iiiiilll, .Lfunc_end745-_ZN12_GLOBAL__N_139chunk_gated_delta_rule_fwd_h_hip_kernelILi16ELb1ELb1ELb1ELb0ELb0ELb0ELb1ELb0EEEvPK12hip_bfloat16S3_S3_PKfS5_PKvPS1_S8_PvPKiSB_iiiiilll
                                        ; -- End function
	.section	.AMDGPU.csdata,"",@progbits
; Kernel info:
; codeLenInByte = 7940
; NumSgprs: 78
; NumVgprs: 112
; NumAgprs: 8
; TotalNumVgprs: 120
; ScratchSize: 0
; MemoryBound: 0
; FloatMode: 240
; IeeeMode: 1
; LDSByteSize: 40960 bytes/workgroup (compile time only)
; SGPRBlocks: 9
; VGPRBlocks: 14
; NumSGPRsForWavesPerEU: 78
; NumVGPRsForWavesPerEU: 120
; AccumOffset: 112
; Occupancy: 1
; WaveLimiterHint : 1
; COMPUTE_PGM_RSRC2:SCRATCH_EN: 0
; COMPUTE_PGM_RSRC2:USER_SGPR: 2
; COMPUTE_PGM_RSRC2:TRAP_HANDLER: 0
; COMPUTE_PGM_RSRC2:TGID_X_EN: 1
; COMPUTE_PGM_RSRC2:TGID_Y_EN: 1
; COMPUTE_PGM_RSRC2:TGID_Z_EN: 0
; COMPUTE_PGM_RSRC2:TIDIG_COMP_CNT: 0
; COMPUTE_PGM_RSRC3_GFX90A:ACCUM_OFFSET: 27
; COMPUTE_PGM_RSRC3_GFX90A:TG_SPLIT: 0
	.section	.text._ZN12_GLOBAL__N_139chunk_gated_delta_rule_fwd_h_hip_kernelILi16ELb1ELb1ELb0ELb0ELb0ELb0ELb1ELb0EEEvPK12hip_bfloat16S3_S3_PKfS5_PKvPS1_S8_PvPKiSB_iiiiilll,"axG",@progbits,_ZN12_GLOBAL__N_139chunk_gated_delta_rule_fwd_h_hip_kernelILi16ELb1ELb1ELb0ELb0ELb0ELb0ELb1ELb0EEEvPK12hip_bfloat16S3_S3_PKfS5_PKvPS1_S8_PvPKiSB_iiiiilll,comdat
	.globl	_ZN12_GLOBAL__N_139chunk_gated_delta_rule_fwd_h_hip_kernelILi16ELb1ELb1ELb0ELb0ELb0ELb0ELb1ELb0EEEvPK12hip_bfloat16S3_S3_PKfS5_PKvPS1_S8_PvPKiSB_iiiiilll ; -- Begin function _ZN12_GLOBAL__N_139chunk_gated_delta_rule_fwd_h_hip_kernelILi16ELb1ELb1ELb0ELb0ELb0ELb0ELb1ELb0EEEvPK12hip_bfloat16S3_S3_PKfS5_PKvPS1_S8_PvPKiSB_iiiiilll
	.p2align	8
	.type	_ZN12_GLOBAL__N_139chunk_gated_delta_rule_fwd_h_hip_kernelILi16ELb1ELb1ELb0ELb0ELb0ELb0ELb1ELb0EEEvPK12hip_bfloat16S3_S3_PKfS5_PKvPS1_S8_PvPKiSB_iiiiilll,@function
_ZN12_GLOBAL__N_139chunk_gated_delta_rule_fwd_h_hip_kernelILi16ELb1ELb1ELb0ELb0ELb0ELb0ELb1ELb0EEEvPK12hip_bfloat16S3_S3_PKfS5_PKvPS1_S8_PvPKiSB_iiiiilll: ; @_ZN12_GLOBAL__N_139chunk_gated_delta_rule_fwd_h_hip_kernelILi16ELb1ELb1ELb0ELb0ELb0ELb0ELb1ELb0EEEvPK12hip_bfloat16S3_S3_PKfS5_PKvPS1_S8_PvPKiSB_iiiiilll
; %bb.0:
	s_load_dwordx4 s[12:15], s[0:1], 0x5c
	s_load_dwordx4 s[20:23], s[0:1], 0x70
	s_abs_i32 s6, s3
	s_ashr_i32 s5, s3, 31
	s_load_dwordx4 s[16:19], s[0:1], 0x28
	s_waitcnt lgkmcnt(0)
	s_abs_i32 s4, s13
	v_cvt_f32_u32_e32 v1, s4
	s_sub_i32 s8, 0, s4
	s_ashr_i32 s7, s13, 31
	s_xor_b32 s5, s5, s7
	v_rcp_iflag_f32_e32 v1, v1
	v_and_b32_e32 v54, 15, v0
	v_bfe_u32 v53, v0, 4, 2
	v_mov_b32_e32 v45, 0
	v_mul_f32_e32 v1, 0x4f7ffffe, v1
	v_cvt_u32_f32_e32 v1, v1
	v_lshlrev_b32_e32 v55, 3, v0
	v_readfirstlane_b32 s9, v1
	s_mul_i32 s8, s8, s9
	s_mul_hi_u32 s8, s9, s8
	s_add_i32 s9, s9, s8
	s_mul_hi_u32 s8, s6, s9
	s_mul_i32 s9, s8, s4
	s_sub_i32 s6, s6, s9
	s_add_i32 s10, s8, 1
	s_sub_i32 s9, s6, s4
	s_cmp_ge_u32 s6, s4
	s_cselect_b32 s8, s10, s8
	s_cselect_b32 s6, s9, s6
	s_add_i32 s9, s8, 1
	s_cmp_ge_u32 s6, s4
	s_cselect_b32 s6, s9, s8
	s_xor_b32 s6, s6, s5
	s_add_i32 s8, s12, 63
	s_sub_i32 s53, s6, s5
	s_ashr_i32 s9, s8, 31
	s_mul_i32 s5, s53, s13
	s_sub_i32 s51, s3, s5
	s_lshr_b32 s3, s9, 26
	s_add_i32 s8, s8, s3
	s_abs_i32 s3, s14
	v_cvt_f32_u32_e32 v1, s3
	s_ashr_i32 s52, s12, 31
	s_lshr_b32 s6, s52, 26
	s_add_i32 s6, s12, s6
	v_rcp_iflag_f32_e32 v1, v1
	s_ashr_i32 s56, s14, 31
	s_ashr_i32 s24, s8, 6
	;; [unrolled: 1-line block ×3, first 2 shown]
	v_mul_f32_e32 v1, 0x4f7ffffe, v1
	v_cvt_u32_f32_e32 v1, v1
	s_xor_b32 s6, s7, s56
	s_sub_i32 s7, 0, s3
	s_lshl_b32 s2, s2, 4
	v_readfirstlane_b32 s8, v1
	s_mul_i32 s7, s7, s8
	s_mul_hi_u32 s7, s8, s7
	s_add_i32 s8, s8, s7
	s_mul_hi_u32 s7, s4, s8
	s_mul_i32 s8, s7, s3
	s_sub_i32 s4, s4, s8
	s_add_i32 s8, s7, 1
	s_sub_i32 s9, s4, s3
	s_cmp_ge_u32 s4, s3
	s_cselect_b32 s7, s8, s7
	s_cselect_b32 s4, s9, s4
	s_add_i32 s8, s7, 1
	s_cmp_ge_u32 s4, s3
	s_cselect_b32 s3, s8, s7
	s_xor_b32 s3, s3, s6
	s_sub_i32 s3, s3, s6
	s_abs_i32 s4, s3
	v_cvt_f32_u32_e32 v1, s4
	s_sub_i32 s7, 0, s4
	s_abs_i32 s6, s51
	s_xor_b32 s3, s51, s3
	v_rcp_iflag_f32_e32 v2, v1
	s_ashr_i32 s3, s3, 31
	v_lshrrev_b32_e32 v1, 6, v0
	v_or_b32_e32 v46, s2, v54
	v_mul_f32_e32 v2, 0x4f7ffffe, v2
	v_cvt_u32_f32_e32 v2, v2
	v_lshlrev_b32_e32 v52, 4, v1
	v_lshlrev_b32_e32 v42, 7, v46
	v_lshl_or_b32 v57, v53, 2, v52
	v_readfirstlane_b32 s8, v2
	s_mul_i32 s7, s7, s8
	s_mul_hi_u32 s7, s8, s7
	s_add_i32 s8, s8, s7
	s_mul_hi_u32 s7, s6, s8
	s_mul_i32 s8, s7, s4
	s_sub_i32 s6, s6, s8
	s_add_i32 s8, s7, 1
	s_sub_i32 s9, s6, s4
	s_cmp_ge_u32 s6, s4
	s_cselect_b32 s7, s8, s7
	s_cselect_b32 s6, s9, s6
	s_add_i32 s8, s7, 1
	s_cmp_ge_u32 s6, s4
	s_cselect_b32 s4, s8, s7
	s_xor_b32 s4, s4, s3
	s_sub_i32 s57, s4, s3
	s_ashr_i32 s3, s53, 31
	s_ashr_i32 s55, s51, 31
	s_mul_hi_i32 s4, s53, s13
	s_add_u32 s40, s5, s51
	s_addc_u32 s41, s4, s55
	s_lshl_b64 s[28:29], s[40:41], 16
	s_add_u32 s4, s16, s28
	s_addc_u32 s5, s17, s29
	v_ashrrev_i32_e32 v43, 31, v42
	v_lshl_add_u64 v[2:3], v[42:43], 2, s[4:5]
	v_lshlrev_b32_e32 v44, 2, v57
	v_lshl_add_u64 v[10:11], v[2:3], 0, v[44:45]
	global_load_dwordx4 v[2:5], v[10:11], off
	global_load_dwordx4 v[6:9], v[10:11], off offset:256
	s_load_dwordx2 s[30:31], s[0:1], 0x40
	s_load_dwordx8 s[4:11], s[0:1], 0x0
	s_load_dwordx2 s[34:35], s[0:1], 0x80
	v_and_b32_e32 v45, 63, v0
	v_lshrrev_b32_e32 v56, 3, v45
	v_or_b32_e32 v58, 64, v57
	s_mul_i32 s33, s53, s21
	s_mul_hi_u32 s46, s53, s20
	s_mul_i32 s38, s53, s20
	s_mul_i32 s58, s53, s24
	;; [unrolled: 1-line block ×3, first 2 shown]
	s_mul_hi_u32 s48, s51, s22
	s_mul_i32 s50, s3, s20
	s_mul_i32 s49, s55, s22
	s_mul_hi_u32 s59, s40, s12
	s_mul_i32 s16, s40, s12
	s_mul_i32 s41, s41, s12
	s_cmp_lt_i32 s12, 64
	s_mul_i32 s36, s51, s22
	s_waitcnt vmcnt(1)
	v_mov_b32_e32 v63, v5
	s_waitcnt vmcnt(0)
	v_mov_b32_e32 v60, v9
	s_cbranch_scc1 .LBB746_3
; %bb.1:
	s_add_i32 s17, s59, s41
	s_lshl_b64 s[0:1], s[16:17], 8
	v_and_b32_e32 v61, 56, v55
	s_waitcnt lgkmcnt(0)
	s_add_u32 s20, s6, s0
	v_lshl_or_b32 v59, v1, 3, v56
	v_lshlrev_b32_e32 v5, 1, v61
	s_addc_u32 s0, s7, s1
	v_lshl_or_b32 v62, v59, 8, v5
	s_and_b32 s21, s0, 0xffff
	s_mov_b32 s23, 0x20000
	s_movk_i32 s22, 0x4000
	s_movk_i32 s0, 0x80
	v_or_b32_e32 v64, 0x2000, v62
	buffer_load_dwordx4 v[10:13], v62, s[20:23], 0 offen
	buffer_load_dwordx4 v[14:17], v62, s[20:23], s0 offen
	;; [unrolled: 1-line block ×4, first 2 shown]
	v_lshlrev_b32_e32 v9, 3, v59
	v_and_or_b32 v27, v0, 7, v9
	v_and_b32_e32 v9, 0x78, v9
	v_lshlrev_b32_e32 v27, 4, v27
	v_xor_b32_e32 v65, v27, v9
	v_mul_lo_u32 v26, v59, s15
	v_or_b32_e32 v66, 0x1000, v65
	v_xor_b32_e32 v9, 8, v65
	s_cmpk_eq_i32 s15, 0x80
	s_mov_b32 s60, s14
	v_xor_b32_e32 v27, 8, v66
	s_cselect_b64 s[0:1], -1, 0
	s_cmpk_lg_i32 s15, 0x80
	s_waitcnt vmcnt(3)
	ds_write_b64 v65, v[10:11] offset:16384
	ds_write_b64 v9, v[12:13] offset:16384
	s_waitcnt vmcnt(2)
	ds_write_b64 v65, v[14:15] offset:24576
	ds_write_b64 v9, v[16:17] offset:24576
	;; [unrolled: 3-line block ×4, first 2 shown]
	v_lshl_add_u32 v9, v26, 1, v61
	s_cbranch_scc0 .LBB746_29
; %bb.2:
	v_lshlrev_b32_e32 v11, 1, v9
	v_add_lshl_u32 v10, v9, s15, 1
	s_lshl_b32 s22, s15, 7
	v_lshl_or_b32 v5, v59, 9, v5
	s_cbranch_execz .LBB746_30
	s_branch .LBB746_31
.LBB746_3:
	v_mov_b32_e32 v9, v60
	v_mov_b32_e32 v5, v63
.LBB746_4:
	s_lshl_b32 s26, s54, 6
	s_sub_i32 s27, s12, s26
	s_cmp_gt_i32 s27, 0
	s_cbranch_scc0 .LBB746_76
; %bb.5:
	s_ashr_i32 s3, s26, 31
	s_cmpk_lg_i32 s15, 0x80
	s_cselect_b64 s[22:23], -1, 0
	s_and_b64 vcc, exec, s[22:23]
	s_cbranch_vccz .LBB746_7
; %bb.6:
	s_mul_i32 s1, s53, s12
	s_mul_hi_i32 s0, s53, s12
	s_add_u32 s1, s1, s26
	s_addc_u32 s0, s0, s3
	s_mul_i32 s17, s1, s56
	s_mul_hi_u32 s20, s1, s14
	s_add_i32 s17, s20, s17
	s_mul_i32 s0, s0, s14
	s_add_i32 s17, s17, s0
	s_mul_i32 s1, s1, s14
	s_ashr_i32 s0, s57, 31
	s_add_u32 s24, s1, s57
	s_addc_u32 s25, s17, s0
	s_cbranch_execz .LBB746_8
	s_branch .LBB746_9
.LBB746_7:
                                        ; implicit-def: $sgpr24_sgpr25
.LBB746_8:
	s_mul_hi_i32 s0, s53, s14
	s_mul_i32 s53, s53, s14
	s_ashr_i32 s1, s57, 31
	s_add_u32 s14, s53, s57
	s_addc_u32 s0, s0, s1
	s_mul_i32 s1, s14, s52
	s_mul_hi_u32 s17, s14, s12
	s_add_i32 s1, s17, s1
	s_mul_i32 s0, s0, s12
	s_add_i32 s1, s1, s0
	s_mul_i32 s14, s14, s12
	s_add_u32 s24, s14, s26
	s_addc_u32 s25, s1, s3
.LBB746_9:
	s_mul_i32 s0, s40, s52
	s_add_i32 s0, s59, s0
	s_add_i32 s14, s58, s54
	;; [unrolled: 1-line block ×3, first 2 shown]
	s_add_u32 s0, s16, s26
	s_addc_u32 s1, s1, s3
	s_mov_b32 s3, 0x7060302
	v_lshlrev_b32_e32 v14, 3, v54
	s_lshl_b64 s[20:21], s[0:1], 8
	v_perm_b32 v11, v5, v4, s3
	v_perm_b32 v10, v3, v2, s3
	;; [unrolled: 1-line block ×4, first 2 shown]
	v_lshlrev_b32_e32 v48, 2, v54
	v_lshl_or_b32 v14, v57, 5, v14
	s_waitcnt lgkmcnt(0)
	s_add_u32 s0, s6, s20
	ds_write2st64_b64 v14, v[10:11], v[12:13] offset0:72 offset1:76
	v_xor_b32_e32 v14, v57, v48
	v_lshlrev_b32_e32 v15, 8, v54
	s_addc_u32 s1, s7, s21
	v_lshl_or_b32 v14, v14, 1, v15
	s_mul_hi_i32 s3, s14, s13
	s_mul_i32 s14, s14, s13
	ds_write_b64 v14, v[10:11] offset:32768
	v_xor_b32_e32 v10, v58, v48
	s_add_u32 s6, s14, s51
	v_lshl_or_b32 v10, v10, 1, v15
	s_addc_u32 s7, s3, s55
	v_lshlrev_b32_e32 v11, 1, v54
	ds_write_b64 v10, v[12:13] offset:32768
	v_lshrrev_b32_e32 v10, 4, v0
	s_ashr_i32 s3, s2, 31
	s_lshl_b64 s[6:7], s[6:7], 15
	v_or_b32_e32 v12, 1, v11
	s_add_u32 s6, s18, s6
	v_xor_b32_e32 v11, v10, v11
	v_xor_b32_e32 v12, v12, v10
	v_lshlrev_b32_e32 v14, 8, v10
	s_addc_u32 s7, s19, s7
	s_lshl_b64 s[2:3], s[2:3], 8
	v_lshl_or_b32 v10, v11, 3, v14
	v_lshl_or_b32 v12, v12, 3, v14
	s_waitcnt lgkmcnt(0)
	s_barrier
	s_add_u32 s2, s6, s2
	ds_read_b64 v[10:11], v10 offset:32768
	ds_read_b64 v[12:13], v12 offset:32768
	s_addc_u32 s3, s7, s3
	v_mov_b32_e32 v15, 0
	s_cmp_lg_u32 s27, 64
	v_lshl_add_u64 v[16:17], s[2:3], 0, v[14:15]
	v_lshlrev_b32_e32 v14, 4, v54
	s_cselect_b64 s[6:7], -1, 0
	v_lshl_or_b32 v47, v1, 3, v56
	s_mov_b32 s16, 0
	v_lshl_add_u64 v[14:15], v[16:17], 0, v[14:15]
	s_waitcnt vmcnt(1)
	v_or_b32_e32 v27, 32, v47
	v_and_b32_e32 v26, 56, v55
	s_and_b64 vcc, exec, s[6:7]
	s_waitcnt lgkmcnt(0)
	global_store_dwordx4 v[14:15], v[10:13], off
	s_cbranch_vccz .LBB746_15
; %bb.10:
	s_mov_b32 s17, s16
	s_mov_b32 s18, s16
	s_mov_b32 s19, s16
	v_mov_b64_e32 v[14:15], s[16:17]
	v_mov_b64_e32 v[16:17], s[18:19]
	;; [unrolled: 1-line block ×3, first 2 shown]
	v_cmp_gt_i32_e32 vcc, s27, v47
	v_mov_b64_e32 v[12:13], v[16:17]
	s_and_saveexec_b64 s[2:3], vcc
	s_cbranch_execz .LBB746_12
; %bb.11:
	v_lshlrev_b32_e32 v10, 8, v47
	v_mov_b32_e32 v11, 0
	v_lshl_add_u64 v[12:13], s[0:1], 0, v[10:11]
	v_lshlrev_b32_e32 v10, 1, v26
	v_lshl_add_u64 v[18:19], v[12:13], 0, v[10:11]
	global_load_dwordx4 v[14:17], v[18:19], off
	global_load_dwordx4 v[10:13], v[18:19], off offset:128
.LBB746_12:
	s_or_b64 exec, exec, s[2:3]
	s_mov_b32 s18, s16
	s_mov_b32 s19, s16
	;; [unrolled: 1-line block ×3, first 2 shown]
	v_mov_b64_e32 v[24:25], s[18:19]
	v_mov_b64_e32 v[22:23], s[16:17]
	;; [unrolled: 1-line block ×3, first 2 shown]
	v_cmp_gt_i32_e32 vcc, s27, v27
	v_lshlrev_b32_e32 v28, 7, v27
	v_mov_b64_e32 v[20:21], v[24:25]
	s_and_saveexec_b64 s[2:3], vcc
	s_cbranch_execz .LBB746_14
; %bb.13:
	v_lshlrev_b32_e32 v18, 1, v28
	v_mov_b32_e32 v19, 0
	v_lshl_add_u64 v[20:21], s[0:1], 0, v[18:19]
	v_lshlrev_b32_e32 v18, 1, v26
	v_lshl_add_u64 v[30:31], v[20:21], 0, v[18:19]
	global_load_dwordx4 v[22:25], v[30:31], off
	global_load_dwordx4 v[18:21], v[30:31], off offset:128
.LBB746_14:
	s_or_b64 exec, exec, s[2:3]
	v_lshrrev_b32_e32 v29, 3, v26
	v_lshlrev_b32_e32 v30, 3, v47
	v_or_b32_e32 v29, v30, v29
	v_lshlrev_b32_e32 v29, 4, v29
	v_and_b32_e32 v30, 0x78, v30
	v_xor_b32_e32 v29, v29, v30
	s_branch .LBB746_17
.LBB746_15:
                                        ; implicit-def: $vgpr29
                                        ; implicit-def: $vgpr28
                                        ; implicit-def: $vgpr14_vgpr15_vgpr16_vgpr17
                                        ; implicit-def: $vgpr10_vgpr11_vgpr12_vgpr13
                                        ; implicit-def: $vgpr22_vgpr23_vgpr24_vgpr25
                                        ; implicit-def: $vgpr18_vgpr19_vgpr20_vgpr21
	s_cbranch_execz .LBB746_17
; %bb.16:
	s_waitcnt vmcnt(0)
	v_lshlrev_b32_e32 v10, 1, v26
	v_lshl_or_b32 v28, v47, 8, v10
	s_and_b32 s1, s1, 0xffff
	s_mov_b32 s3, 0x20000
	s_movk_i32 s2, 0x4000
	v_lshl_or_b32 v29, v27, 8, v10
	s_movk_i32 s13, 0x80
	buffer_load_dwordx4 v[14:17], v28, s[0:3], 0 offen
	buffer_load_dwordx4 v[10:13], v28, s[0:3], s13 offen
	;; [unrolled: 1-line block ×4, first 2 shown]
	v_lshrrev_b32_e32 v28, 3, v26
	v_lshlrev_b32_e32 v29, 3, v47
	v_or_b32_e32 v28, v29, v28
	v_lshlrev_b32_e32 v28, 4, v28
	v_and_b32_e32 v29, 0x78, v29
	v_xor_b32_e32 v29, v28, v29
	v_lshlrev_b32_e32 v28, 7, v27
.LBB746_17:
	s_lshl_b64 s[0:1], s[24:25], 8
	s_add_u32 s4, s4, s0
	s_movk_i32 s0, 0x1000
	v_and_or_b32 v27, v28, s0, v29
	s_waitcnt vmcnt(1)
	ds_write_b64 v29, v[14:15] offset:16384
	v_xor_b32_e32 v14, 8, v29
	ds_write_b64 v14, v[16:17] offset:16384
	s_waitcnt vmcnt(0)
	ds_write_b64 v29, v[10:11] offset:24576
	ds_write_b64 v14, v[12:13] offset:24576
	;; [unrolled: 1-line block ×3, first 2 shown]
	v_xor_b32_e32 v10, 8, v27
	ds_write_b64 v10, v[24:25] offset:16384
	ds_write_b64 v27, v[18:19] offset:24576
	;; [unrolled: 1-line block ×3, first 2 shown]
	v_or_b32_e32 v10, v52, v54
	s_addc_u32 s5, s5, s1
	s_add_i32 s0, s12, -1
	v_lshlrev_b32_e32 v10, 3, v10
	v_lshrrev_b32_e32 v12, 5, v45
	s_movk_i32 s12, 0xf8
	v_and_or_b32 v12, v10, s12, v12
	v_lshlrev_b32_e32 v49, 11, v1
	v_lshlrev_b32_e32 v20, 4, v12
	v_and_b32_e32 v21, 0x78, v10
	v_and_b32_e32 v22, 0x1000, v49
	v_lshlrev_b32_e32 v11, 2, v0
	v_xor_b32_e32 v10, v20, v21
	v_lshrrev_b32_e32 v12, 1, v45
	v_and_b32_e32 v11, 60, v11
	v_or_b32_e32 v10, v10, v22
	v_and_b32_e32 v23, 8, v12
	v_xor_b32_e32 v34, v10, v23
	v_lshl_or_b32 v10, v53, 6, v11
	v_lshlrev_b32_e32 v50, 1, v10
	v_or_b32_e32 v10, 32, v20
	v_xor_b32_e32 v10, v10, v21
	s_waitcnt lgkmcnt(0)
	s_barrier
	ds_read_b64 v[18:19], v34 offset:16384
	v_or_b32_e32 v10, v10, v22
	v_xor_b32_e32 v35, v10, v23
	v_or_b32_e32 v10, 64, v20
	v_xor_b32_e32 v10, v10, v21
	v_or_b32_e32 v10, v10, v22
	v_or_b32_e32 v20, 0x60, v20
	v_xor_b32_e32 v36, v10, v23
	ds_read2st64_b64 v[10:13], v50 offset0:72 offset1:73
	ds_read2st64_b64 v[14:17], v50 offset0:74 offset1:75
	v_xor_b32_e32 v24, v20, v21
	ds_read_b64 v[20:21], v35 offset:16384
	s_add_i32 s1, s46, s33
	s_waitcnt lgkmcnt(2)
	v_mfma_f32_16x16x16_bf16 a[0:3], v[18:19], v[10:11], 0
	s_add_i32 s39, s1, s50
	s_add_i32 s1, s48, s47
	s_add_i32 s37, s1, s49
	s_ashr_i32 s1, s0, 31
	s_mul_i32 s2, s0, s35
	s_mul_hi_u32 s3, s0, s34
	s_add_i32 s2, s3, s2
	s_mul_i32 s1, s1, s34
	v_or_b32_e32 v22, v24, v22
	s_add_i32 s1, s2, s1
	s_lshl_b64 s[2:3], s[38:39], 2
	v_xor_b32_e32 v51, v22, v23
	ds_read_b64 v[22:23], v36 offset:16384
	ds_read_b64 v[24:25], v51 offset:16384
	s_waitcnt lgkmcnt(2)
	v_mfma_f32_16x16x16_bf16 a[0:3], v[20:21], v[12:13], a[0:3]
	s_add_u32 s10, s10, s2
	s_addc_u32 s11, s11, s3
	s_lshl_b64 s[2:3], s[36:37], 2
	s_mul_i32 s0, s0, s34
	s_add_u32 s10, s10, s2
	s_addc_u32 s11, s11, s3
	s_lshl_b64 s[0:1], s[0:1], 2
	s_waitcnt lgkmcnt(1)
	v_mfma_f32_16x16x16_bf16 a[0:3], v[22:23], v[14:15], a[0:3]
	s_add_u32 s0, s10, s0
	s_addc_u32 s1, s11, s1
	s_load_dword s12, s[0:1], 0x0
	s_waitcnt lgkmcnt(0)
	v_mfma_f32_16x16x16_bf16 a[0:3], v[24:25], v[16:17], a[0:3]
	s_and_b64 vcc, exec, s[22:23]
	s_cbranch_vccz .LBB746_28
; %bb.18:
	v_lshlrev_b32_e32 v27, 1, v47
	s_and_b64 vcc, exec, s[6:7]
	s_cbranch_vccz .LBB746_44
; %bb.19:
	v_cmp_gt_i32_e32 vcc, s27, v27
	v_mov_b32_e32 v14, 0
	v_mov_b32_e32 v10, 0
	;; [unrolled: 1-line block ×5, first 2 shown]
	s_and_saveexec_b64 s[0:1], vcc
	s_cbranch_execz .LBB746_21
; %bb.20:
	v_mad_i64_i32 v[10:11], s[2:3], s15, v27, 0
	v_lshl_add_u64 v[10:11], v[10:11], 1, s[4:5]
	v_lshlrev_b32_e32 v12, 1, v26
	v_mov_b32_e32 v13, 0
	v_lshl_add_u64 v[10:11], v[10:11], 0, v[12:13]
	global_load_dwordx4 v[10:13], v[10:11], off
.LBB746_21:
	s_or_b64 exec, exec, s[0:1]
	v_or_b32_e32 v28, 1, v27
	v_cmp_gt_i32_e64 s[0:1], s27, v28
	v_mov_b32_e32 v15, 0
	v_mov_b32_e32 v16, 0
	;; [unrolled: 1-line block ×3, first 2 shown]
	s_and_saveexec_b64 s[2:3], s[0:1]
	s_cbranch_execz .LBB746_23
; %bb.22:
	v_mad_i64_i32 v[14:15], s[16:17], s15, v28, 0
	v_lshl_add_u64 v[14:15], v[14:15], 1, s[4:5]
	v_lshlrev_b32_e32 v16, 1, v26
	v_mov_b32_e32 v17, 0
	v_lshl_add_u64 v[14:15], v[14:15], 0, v[16:17]
	global_load_dwordx4 v[14:17], v[14:15], off
.LBB746_23:
	s_or_b64 exec, exec, s[2:3]
	v_mov_b32_e32 v25, 0
	v_mov_b32_e32 v18, 0
	;; [unrolled: 1-line block ×5, first 2 shown]
	s_and_saveexec_b64 s[2:3], vcc
	s_cbranch_execz .LBB746_25
; %bb.24:
	v_mad_i64_i32 v[18:19], s[16:17], s15, v27, 0
	v_lshl_add_u64 v[18:19], v[18:19], 1, s[4:5]
	v_lshlrev_b32_e32 v20, 1, v26
	v_mov_b32_e32 v21, 0
	v_lshl_add_u64 v[18:19], v[18:19], 0, v[20:21]
	global_load_dwordx4 v[18:21], v[18:19], off offset:128
.LBB746_25:
	s_or_b64 exec, exec, s[2:3]
	v_mov_b32_e32 v24, 0
	v_mov_b32_e32 v23, 0
	;; [unrolled: 1-line block ×3, first 2 shown]
	s_and_saveexec_b64 s[2:3], s[0:1]
	s_cbranch_execz .LBB746_27
; %bb.26:
	v_mad_i64_i32 v[22:23], s[0:1], s15, v28, 0
	v_lshl_add_u64 v[22:23], v[22:23], 1, s[4:5]
	v_lshlrev_b32_e32 v24, 1, v26
	v_mov_b32_e32 v25, 0
	v_lshl_add_u64 v[22:23], v[22:23], 0, v[24:25]
	global_load_dwordx4 v[22:25], v[22:23], off offset:128
.LBB746_27:
	s_or_b64 exec, exec, s[2:3]
	s_branch .LBB746_46
.LBB746_28:
                                        ; implicit-def: $vgpr13
                                        ; implicit-def: $vgpr17
                                        ; implicit-def: $vgpr21
                                        ; implicit-def: $vgpr25
	v_lshrrev_b32_e32 v45, 2, v45
	s_branch .LBB746_47
.LBB746_29:
                                        ; implicit-def: $vgpr10
                                        ; implicit-def: $vgpr11
                                        ; implicit-def: $sgpr22
	v_lshl_or_b32 v5, v59, 9, v5
.LBB746_30:
	v_or_b32_e32 v10, 0x100, v5
	s_movk_i32 s22, 0x4000
	v_mov_b32_e32 v11, v5
.LBB746_31:
	s_mul_hi_u32 s20, s14, s12
	s_mul_i32 s21, s56, s12
	s_add_i32 s20, s20, s21
	s_mul_i32 s21, s14, s12
	s_mul_i32 s23, s21, s3
	s_mul_hi_u32 s24, s21, s53
	s_add_i32 s23, s24, s23
	s_mul_i32 s20, s20, s53
	s_add_i32 s23, s23, s20
	s_mul_i32 s21, s21, s53
	s_ashr_i32 s61, s57, 31
	s_add_u32 s20, s21, s57
	s_addc_u32 s21, s23, s61
	s_lshl_b64 s[20:21], s[20:21], 8
	s_add_u32 s20, s4, s20
	s_addc_u32 s21, s5, s21
	s_and_b32 s21, s21, 0xffff
	s_mov_b32 s23, 0x20000
	s_movk_i32 s62, 0x80
	buffer_load_dwordx4 v[12:15], v11, s[20:23], 0 offen
	buffer_load_dwordx4 v[16:19], v11, s[20:23], s62 offen
	;; [unrolled: 1-line block ×4, first 2 shown]
	v_and_b32_e32 v10, 6, v0
	v_lshlrev_b32_e32 v28, 2, v54
	v_lshlrev_b32_e32 v29, 3, v54
	v_xor_b32_e32 v31, v59, v10
	v_and_b32_e32 v11, 1, v0
	s_mul_i32 s3, s3, s12
	s_mul_hi_u32 s20, s53, s12
	v_lshl_or_b32 v29, v57, 5, v29
	v_xor_b32_e32 v32, v57, v28
	v_lshlrev_b32_e32 v31, 2, v31
	v_or_b32_e32 v67, 0x9000, v29
	v_or_b32_e32 v68, 0x9800, v29
	v_lshlrev_b32_e32 v29, 1, v32
	v_xor_b32_e32 v32, 0x440, v31
	v_cmp_eq_u32_e32 vcc, 0, v11
	s_add_i32 s67, s20, s3
	s_add_i32 s3, s46, s33
	v_cndmask_b32_e32 v11, v32, v31, vcc
	s_add_i32 s20, s48, s47
	s_add_i32 s39, s3, s50
	s_mov_b32 s64, 0x1000504
	v_lshlrev_b32_e32 v30, 8, v54
	s_mov_b32 s22, 0x8000
	v_xor_b32_e32 v28, v58, v28
	v_lshl_or_b32 v10, v10, 10, v11
	s_add_i32 s37, s20, s49
	s_lshl_b64 s[20:21], s[38:39], 2
	s_mov_b32 s65, 0x3020706
	v_lshlrev_b32_e32 v28, 1, v28
	v_or3_b32 v69, v29, v30, s22
	v_xor_b32_e32 v11, 8, v10
	v_xor_b32_e32 v29, 24, v10
	;; [unrolled: 1-line block ×4, first 2 shown]
	s_add_u32 s3, s10, s20
	v_or3_b32 v70, v28, v30, s22
	v_xor_b32_e32 v28, 16, v10
	v_xor_b32_e32 v30, 32, v10
	;; [unrolled: 1-line block ×3, first 2 shown]
	v_add_u32_e32 v11, 0x80, v11
	v_add_u32_e32 v29, 0x80, v29
	;; [unrolled: 1-line block ×4, first 2 shown]
	s_addc_u32 s24, s11, s21
	s_lshl_b64 s[20:21], s[36:37], 2
	s_add_u32 s42, s3, s20
	s_movk_i32 s3, 0xf8
	s_addc_u32 s43, s24, s21
	v_ashrrev_i32_e32 v47, 31, v46
	s_lshl_b32 s26, s15, 7
	s_mov_b32 s63, 0
	s_mul_i32 s66, s53, s12
	v_mov_b32_e32 v84, 0x3fb8aa3b
	s_mov_b32 s39, 0
	s_waitcnt vmcnt(1)
	v_perm_b32 v34, v12, v20, s64
	s_waitcnt vmcnt(0)
	v_perm_b32 v35, v16, v24, s64
	v_perm_b32 v12, v12, v20, s65
	v_perm_b32 v16, v16, v24, s65
	v_perm_b32 v20, v13, v21, s64
	v_perm_b32 v24, v17, v25, s64
	v_perm_b32 v13, v13, v21, s65
	v_perm_b32 v17, v17, v25, s65
	v_perm_b32 v21, v14, v22, s64
	v_perm_b32 v25, v18, v26, s64
	v_perm_b32 v14, v14, v22, s65
	v_perm_b32 v18, v18, v26, s65
	v_perm_b32 v22, v15, v23, s64
	v_perm_b32 v26, v19, v27, s64
	v_perm_b32 v15, v15, v23, s65
	v_perm_b32 v19, v19, v27, s65
	ds_write2st64_b32 v10, v34, v35 offset1:32
	ds_write2st64_b32 v11, v12, v16 offset1:32
	ds_write2st64_b32 v28, v20, v24 offset0:1 offset1:33
	ds_write2st64_b32 v29, v13, v17 offset0:1 offset1:33
	ds_write2st64_b32 v30, v21, v25 offset0:2 offset1:34
	ds_write2st64_b32 v31, v14, v18 offset0:2 offset1:34
	ds_write2st64_b32 v32, v22, v26 offset0:3 offset1:35
	ds_write2st64_b32 v33, v15, v19 offset0:3 offset1:35
	v_or_b32_e32 v10, v52, v54
	v_lshlrev_b32_e32 v10, 3, v10
	v_lshrrev_b32_e32 v12, 5, v45
	v_and_or_b32 v12, v10, s3, v12
	v_lshlrev_b32_e32 v12, 4, v12
	v_lshlrev_b32_e32 v16, 11, v1
	v_and_b32_e32 v10, 0x78, v10
	v_or_b32_e32 v15, 32, v12
	v_and_b32_e32 v11, 0x1000, v16
	v_xor_b32_e32 v13, v12, v10
	v_lshrrev_b32_e32 v17, 1, v0
	v_xor_b32_e32 v15, v15, v10
	v_or_b32_e32 v13, v13, v11
	v_and_b32_e32 v14, 8, v17
	v_or_b32_e32 v15, v15, v11
	v_xor_b32_e32 v71, v13, v14
	v_and_b32_e32 v13, 0x78, v55
	v_xor_b32_e32 v73, v15, v14
	v_or_b32_e32 v15, 64, v12
	v_or_b32_e32 v12, 0x60, v12
	v_lshl_or_b32 v13, v53, 7, v13
	v_xor_b32_e32 v15, v15, v10
	v_xor_b32_e32 v10, v12, v10
	v_or_b32_e32 v72, 0x9000, v13
	v_or_b32_e32 v15, v15, v11
	v_or_b32_e32 v10, v10, v11
	v_or_b32_e32 v76, 0x9800, v13
	v_lshrrev_b32_e32 v12, 4, v0
	v_lshlrev_b32_e32 v13, 1, v54
	v_xor_b32_e32 v74, v15, v14
	v_xor_b32_e32 v75, v10, v14
	s_ashr_i32 s3, s2, 31
	v_or_b32_e32 v14, 1, v13
	v_xor_b32_e32 v13, v12, v13
	s_lshl_b64 s[20:21], s[2:3], 8
	v_xor_b32_e32 v14, v14, v12
	v_lshlrev_b32_e32 v13, 3, v13
	v_lshlrev_b32_e32 v12, 8, v12
	v_lshl_add_u64 v[10:11], v[46:47], 1, s[8:9]
	s_add_u32 s20, s18, s20
	v_or3_b32 v47, v13, v12, s22
	v_lshlrev_b32_e32 v13, 3, v14
	s_addc_u32 s21, s19, s21
	v_or3_b32 v77, v13, v12, s22
	v_mov_b32_e32 v13, 0
	v_lshl_add_u64 v[14:15], s[20:21], 0, v[12:13]
	v_lshlrev_b32_e32 v12, 4, v54
	s_movk_i32 s3, 0xff
	v_lshlrev_b32_e32 v21, 3, v1
	v_and_b32_e32 v17, 24, v17
	v_lshl_add_u64 v[48:49], v[14:15], 0, v[12:13]
	v_and_b32_e32 v14, 8, v0
	v_cmp_lt_u32_e32 vcc, s3, v0
	v_xor_b32_e32 v22, v21, v17
	v_or_b32_e32 v23, 0x440, v22
	v_cndmask_b32_e64 v20, 0, 1, vcc
	v_cmp_eq_u32_e32 vcc, 0, v14
	v_and_b32_e32 v12, 7, v0
	v_lshlrev_b32_e32 v15, 3, v12
	v_cndmask_b32_e32 v14, v23, v22, vcc
	v_lshlrev_b32_e32 v12, 7, v12
	v_or_b32_e32 v14, v14, v16
	v_xad_u32 v78, v14, v15, v12
	v_or_b32_e32 v14, 32, v17
	v_xor_b32_e32 v14, v21, v14
	v_or_b32_e32 v22, 0x440, v14
	v_cndmask_b32_e32 v14, v22, v14, vcc
	v_or_b32_e32 v14, v14, v16
	v_xad_u32 v79, v14, v15, v12
	v_or_b32_e32 v14, 64, v17
	v_xor_b32_e32 v14, v21, v14
	v_xor_b32_e32 v22, 0x440, v14
	v_cndmask_b32_e32 v14, v22, v14, vcc
	v_or_b32_e32 v14, v14, v16
	v_xad_u32 v80, v14, v15, v12
	v_or_b32_e32 v14, 0x60, v17
	v_xor_b32_e32 v14, v21, v14
	v_xor_b32_e32 v17, 0x440, v14
	v_cndmask_b32_e32 v14, v17, v14, vcc
	v_or_b32_e32 v14, v14, v16
	v_lshlrev_b32_e32 v18, 1, v9
	v_add_lshl_u32 v9, v9, s15, 1
	v_or_b32_e32 v19, 0x100, v5
	v_lshlrev_b32_e32 v20, 13, v20
	v_xad_u32 v81, v14, v15, v12
	v_lshlrev_b32_e32 v12, 8, v57
	v_cndmask_b32_e64 v82, v18, v5, s[0:1]
	v_cndmask_b32_e64 v83, v9, v19, s[0:1]
	v_lshl_add_u64 v[50:51], v[10:11], 0, v[12:13]
	s_mov_b32 s3, 0x7060302
	s_movk_i32 s22, 0x4000
	v_add_u32_e32 v85, v20, v78
	v_add_u32_e32 v86, v20, v79
	;; [unrolled: 1-line block ×4, first 2 shown]
	s_waitcnt lgkmcnt(0)
	s_barrier
.LBB746_32:                             ; =>This Inner Loop Header: Depth=1
	s_add_i32 s37, s39, 1
	s_cmp_lt_i32 s37, s54
	s_mov_b64 s[24:25], 0
	s_cselect_b64 s[44:45], -1, 0
	s_cmp_ge_i32 s37, s54
	s_mov_b64 s[20:21], 0
	s_cbranch_scc1 .LBB746_34
; %bb.33:                               ;   in Loop: Header=BB746_32 Depth=1
	s_add_i32 s0, s63, 64
	s_add_u32 s0, s16, s0
	s_addc_u32 s1, s17, 0
	s_lshl_b64 s[0:1], s[0:1], 8
	s_add_u32 s20, s6, s0
	s_addc_u32 s21, s7, s1
.LBB746_34:                             ;   in Loop: Header=BB746_32 Depth=1
	v_cndmask_b32_e64 v5, 0, 1, s[44:45]
	v_cmp_ne_u32_e64 s[0:1], 1, v5
	s_andn2_b64 vcc, exec, s[44:45]
	s_cbranch_vccnz .LBB746_36
; %bb.35:                               ;   in Loop: Header=BB746_32 Depth=1
	s_add_i32 s24, s63, 64
	s_add_u32 s24, s66, s24
	s_addc_u32 s25, s67, 0
	s_mul_i32 s27, s24, s56
	s_mul_hi_u32 s44, s24, s60
	s_add_i32 s27, s44, s27
	s_mul_i32 s25, s25, s60
	s_add_i32 s27, s27, s25
	s_mul_i32 s24, s24, s60
	s_add_u32 s24, s24, s57
	s_addc_u32 s25, s27, s61
	s_lshl_b64 s[24:25], s[24:25], 8
	s_add_u32 s24, s4, s24
	s_addc_u32 s25, s5, s25
.LBB746_36:                             ;   in Loop: Header=BB746_32 Depth=1
	v_perm_b32 v11, v63, v4, s3
	v_perm_b32 v10, v3, v2, s3
	;; [unrolled: 1-line block ×4, first 2 shown]
	ds_write_b64 v67, v[10:11]
	ds_write_b64 v68, v[12:13]
	;; [unrolled: 1-line block ×4, first 2 shown]
	s_waitcnt lgkmcnt(0)
	s_barrier
	ds_read_b64 v[18:19], v71 offset:16384
	ds_read_b64 v[20:21], v73 offset:16384
	ds_read2st64_b64 v[10:13], v72 offset1:1
	ds_read2st64_b64 v[14:17], v72 offset0:2 offset1:3
	ds_read_b64 v[22:23], v74 offset:16384
	s_waitcnt lgkmcnt(2)
	v_mfma_f32_16x16x16_bf16 a[0:3], v[18:19], v[10:11], 0
	ds_read_b64 v[10:11], v75 offset:16384
	s_add_i32 s27, s63, 63
	s_mul_i32 s44, s27, s35
	v_mfma_f32_16x16x16_bf16 a[0:3], v[20:21], v[12:13], a[0:3]
	s_mul_hi_u32 s45, s27, s34
	s_add_i32 s45, s45, s44
	s_mul_i32 s44, s27, s34
	s_waitcnt lgkmcnt(1)
	v_mfma_f32_16x16x16_bf16 a[0:3], v[22:23], v[14:15], a[0:3]
	s_lshl_b64 s[44:45], s[44:45], 2
	s_add_u32 s44, s42, s44
	s_addc_u32 s45, s43, s45
	s_waitcnt lgkmcnt(0)
	v_mfma_f32_16x16x16_bf16 a[0:3], v[10:11], v[16:17], a[0:3]
	s_and_b64 vcc, exec, s[0:1]
	v_mov_b32_e32 v89, 0
	v_mov_b32_e32 v9, 0
	;; [unrolled: 1-line block ×19, first 2 shown]
	s_cbranch_vccnz .LBB746_38
; %bb.37:                               ;   in Loop: Header=BB746_32 Depth=1
	s_and_b32 s21, s21, 0xffff
	buffer_load_dwordx4 v[22:25], v62, s[20:23], 0 offen
	buffer_load_dwordx4 v[18:21], v62, s[20:23], s62 offen
	;; [unrolled: 1-line block ×4, first 2 shown]
	v_mov_b32_e32 v9, v65
	v_mov_b32_e32 v5, v66
.LBB746_38:                             ;   in Loop: Header=BB746_32 Depth=1
	s_waitcnt vmcnt(3)
	v_add_u32_e32 v32, s63, v57
	s_waitcnt vmcnt(1)
	v_ashrrev_i32_e32 v26, 31, v32
	v_mul_lo_u32 v28, v26, s34
	v_mul_lo_u32 v29, v32, s35
	v_mad_u64_u32 v[26:27], s[20:21], v32, s34, 0
	v_add3_u32 v27, v27, v29, v28
	v_add_u32_e32 v28, 1, v32
	v_ashrrev_i32_e32 v29, 31, v28
	v_mul_lo_u32 v30, v29, s34
	v_mul_lo_u32 v31, v28, s35
	v_mad_u64_u32 v[28:29], s[20:21], v28, s34, 0
	v_add3_u32 v29, v29, v31, v30
	v_add_u32_e32 v30, 2, v32
	v_ashrrev_i32_e32 v31, 31, v30
	v_mul_lo_u32 v33, v31, s34
	v_mul_lo_u32 v34, v30, s35
	v_mad_u64_u32 v[30:31], s[20:21], v30, s34, 0
	v_add_u32_e32 v32, 3, v32
	v_add3_u32 v31, v31, v34, v33
	v_ashrrev_i32_e32 v33, 31, v32
	v_mul_lo_u32 v36, v33, s34
	v_mul_lo_u32 v37, v32, s35
	v_mad_u64_u32 v[32:33], s[20:21], v32, s34, 0
	s_add_u32 s20, s16, s63
	s_addc_u32 s21, s17, 0
	s_lshl_b64 s[20:21], s[20:21], 8
	v_lshl_add_u64 v[26:27], v[26:27], 2, s[42:43]
	v_lshl_add_u64 v[34:35], v[50:51], 0, s[20:21]
	;; [unrolled: 1-line block ×3, first 2 shown]
	global_load_ushort v91, v[34:35], off
	global_load_ushort v96, v[34:35], off offset:256
	global_load_ushort v97, v[34:35], off offset:512
	;; [unrolled: 1-line block ×3, first 2 shown]
	v_add3_u32 v33, v33, v37, v36
	global_load_dword v99, v[26:27], off
	v_lshl_add_u64 v[30:31], v[30:31], 2, s[42:43]
	v_lshl_add_u64 v[26:27], v[32:33], 2, s[42:43]
	global_load_dword v100, v[28:29], off
	global_load_dword v101, v[30:31], off
	;; [unrolled: 1-line block ×3, first 2 shown]
	s_load_dword s20, s[44:45], 0x0
	ds_read2st64_b64 v[32:35], v76 offset1:1
	ds_read2st64_b64 v[36:39], v76 offset0:2 offset1:3
	ds_read_b64 v[30:31], v71 offset:24576
	ds_read_b64 v[40:41], v73 offset:24576
	;; [unrolled: 1-line block ×4, first 2 shown]
	s_waitcnt lgkmcnt(0)
	v_mfma_f32_16x16x16_bf16 a[0:3], v[30:31], v[32:33], a[0:3]
	v_mov_b32_e32 v90, 0
	v_mov_b32_e32 v26, 0
	v_mov_b32_e32 v27, 0
	v_mfma_f32_16x16x16_bf16 a[0:3], v[40:41], v[34:35], a[0:3]
	v_mov_b32_e32 v28, 0
	v_mov_b32_e32 v29, 0
	v_mov_b32_e32 v30, 0
	;; [unrolled: 4-line block ×4, first 2 shown]
	v_mov_b32_e32 v37, 0
	s_and_b64 vcc, exec, s[0:1]
	s_waitcnt vmcnt(7)
	v_lshlrev_b32_e32 v92, 16, v91
	s_waitcnt vmcnt(6)
	v_lshlrev_b32_e32 v93, 16, v96
	;; [unrolled: 2-line block ×4, first 2 shown]
	v_accvgpr_read_b32 v41, a1
	s_waitcnt vmcnt(3)
	v_sub_f32_e32 v91, s20, v99
	v_mul_f32_e32 v91, 0x3fb8aa3b, v91
	s_waitcnt vmcnt(2)
	v_sub_f32_e32 v97, s20, v100
	s_waitcnt vmcnt(1)
	v_sub_f32_e32 v98, s20, v101
	;; [unrolled: 2-line block ×3, first 2 shown]
	v_exp_f32_e32 v96, v91
	v_mul_f32_e32 v91, 0x3fb8aa3b, v97
	v_mul_f32_e32 v98, 0x3fb8aa3b, v98
	;; [unrolled: 1-line block ×3, first 2 shown]
	v_exp_f32_e32 v97, v91
	v_exp_f32_e32 v98, v98
	;; [unrolled: 1-line block ×3, first 2 shown]
	v_accvgpr_read_b32 v39, a3
	v_accvgpr_read_b32 v38, a2
	;; [unrolled: 1-line block ×3, first 2 shown]
	v_pk_add_f32 v[40:41], v[92:93], v[40:41] neg_lo:[0,1] neg_hi:[0,1]
	v_pk_add_f32 v[38:39], v[94:95], v[38:39] neg_lo:[0,1] neg_hi:[0,1]
	v_pk_mul_f32 v[40:41], v[96:97], v[40:41]
	v_pk_mul_f32 v[38:39], v[98:99], v[38:39]
	s_nop 0
	v_perm_b32 v39, v39, v38, s3
	v_perm_b32 v38, v41, v40, s3
	ds_write_b64 v68, v[38:39]
	v_mov_b32_e32 v38, 0
	v_mov_b32_e32 v39, 0
	;; [unrolled: 1-line block ×4, first 2 shown]
	s_cbranch_vccnz .LBB746_40
; %bb.39:                               ;   in Loop: Header=BB746_32 Depth=1
	s_and_b32 s25, s25, 0xffff
	s_mov_b32 s27, s23
	buffer_load_dwordx4 v[38:41], v82, s[24:27], 0 offen
	buffer_load_dwordx4 v[30:33], v82, s[24:27], s62 offen
	;; [unrolled: 1-line block ×4, first 2 shown]
	v_mov_b32_e32 v89, v61
	v_mov_b32_e32 v90, v59
.LBB746_40:                             ;   in Loop: Header=BB746_32 Depth=1
	s_waitcnt lgkmcnt(0)
	s_barrier
	ds_read_b64 v[100:101], v85
	ds_read2st64_b64 v[92:95], v76 offset1:1
	ds_read2st64_b64 v[96:99], v76 offset0:2 offset1:3
	ds_read_b64 v[102:103], v86
	ds_read_b64 v[104:105], v87
	;; [unrolled: 1-line block ×3, first 2 shown]
	s_waitcnt lgkmcnt(4)
	v_mfma_f32_16x16x16_bf16 a[0:3], v[100:101], v[92:93], 0
	ds_read_b64 v[100:101], v78 offset:8192
	ds_read_b64 v[108:109], v79 offset:8192
	s_add_i32 s21, s58, s39
	s_mul_hi_i32 s25, s21, s13
	s_waitcnt lgkmcnt(1)
	v_mfma_f32_16x16x16_bf16 a[4:7], v[100:101], v[92:93], 0
	s_mul_i32 s21, s21, s13
	s_add_u32 s24, s21, s51
	s_addc_u32 s25, s25, s55
	v_mfma_f32_16x16x16_bf16 a[0:3], v[102:103], v[94:95], a[0:3]
	ds_read_b64 v[100:101], v47
	ds_read_b64 v[102:103], v77
	ds_read_b64 v[92:93], v80 offset:8192
	s_lshl_b64 s[24:25], s[24:25], 15
	v_mfma_f32_16x16x16_bf16 a[0:3], v[104:105], v[96:97], a[0:3]
	ds_read_b64 v[104:105], v81 offset:8192
	s_and_b64 vcc, exec, s[0:1]
	s_waitcnt lgkmcnt(4)
	v_mfma_f32_16x16x16_bf16 a[4:7], v[108:109], v[94:95], a[4:7]
	s_waitcnt lgkmcnt(1)
	v_mfma_f32_16x16x16_bf16 a[4:7], v[92:93], v[96:97], a[4:7]
	v_lshl_add_u64 v[92:93], v[48:49], 0, s[24:25]
	global_store_dwordx4 v[92:93], v[100:103], off
	v_mfma_f32_16x16x16_bf16 a[0:3], v[106:107], v[98:99], a[0:3]
	s_waitcnt lgkmcnt(0)
	v_mfma_f32_16x16x16_bf16 a[4:7], v[104:105], v[98:99], a[4:7]
	s_cbranch_vccnz .LBB746_42
; %bb.41:                               ;   in Loop: Header=BB746_32 Depth=1
	v_lshrrev_b32_e32 v91, 3, v89
	v_and_b32_e32 v91, 6, v91
	v_xor_b32_e32 v90, v91, v90
	v_lshlrev_b32_e32 v90, 2, v90
	v_and_b32_e32 v89, 8, v89
	v_xor_b32_e32 v92, 0x440, v90
	v_cmp_eq_u32_e32 vcc, 0, v89
	s_barrier
	s_nop 0
	v_cndmask_b32_e32 v89, v92, v90, vcc
	v_lshl_or_b32 v89, v91, 10, v89
	s_waitcnt vmcnt(2)
	v_perm_b32 v90, v38, v34, s64
	s_waitcnt vmcnt(1)
	v_perm_b32 v91, v30, v26, s64
	ds_write2st64_b32 v89, v90, v91 offset1:32
	v_xor_b32_e32 v90, 8, v89
	v_perm_b32 v34, v38, v34, s65
	v_perm_b32 v26, v30, v26, s65
	v_add_u32_e32 v30, 0x80, v90
	ds_write2st64_b32 v30, v34, v26 offset1:32
	v_xor_b32_e32 v26, 16, v89
	v_perm_b32 v30, v39, v35, s64
	v_perm_b32 v34, v31, v27, s64
	ds_write2st64_b32 v26, v30, v34 offset0:1 offset1:33
	v_xor_b32_e32 v26, 24, v89
	v_perm_b32 v30, v39, v35, s65
	v_perm_b32 v27, v31, v27, s65
	v_add_u32_e32 v26, 0x80, v26
	ds_write2st64_b32 v26, v30, v27 offset0:1 offset1:33
	v_xor_b32_e32 v26, 32, v89
	v_perm_b32 v27, v40, v36, s64
	v_perm_b32 v30, v32, v28, s64
	ds_write2st64_b32 v26, v27, v30 offset0:2 offset1:34
	v_xor_b32_e32 v26, 40, v89
	v_perm_b32 v27, v40, v36, s65
	v_perm_b32 v28, v32, v28, s65
	v_add_u32_e32 v26, 0x80, v26
	ds_write2st64_b32 v26, v27, v28 offset0:2 offset1:34
	;; [unrolled: 9-line block ×3, first 2 shown]
	ds_write_b64 v9, v[22:23] offset:16384
	v_xor_b32_e32 v22, 8, v9
	ds_write_b64 v22, v[24:25] offset:16384
	ds_write_b64 v9, v[18:19] offset:24576
	;; [unrolled: 1-line block ×4, first 2 shown]
	v_xor_b32_e32 v9, 8, v5
	ds_write_b64 v9, v[16:17] offset:16384
	ds_write_b64 v5, v[10:11] offset:24576
	;; [unrolled: 1-line block ×3, first 2 shown]
.LBB746_42:                             ;   in Loop: Header=BB746_32 Depth=1
	v_mul_f32_e32 v5, s20, v84
	v_exp_f32_e32 v10, v5
	s_nop 1
	v_accvgpr_read_b32 v9, a1
	v_accvgpr_read_b32 v5, a0
	s_add_i32 s63, s63, 64
	v_fma_f32 v3, v3, v10, v9
	v_accvgpr_read_b32 v9, a4
	v_fma_f32 v6, v6, v10, v9
	v_accvgpr_read_b32 v9, a5
	;; [unrolled: 2-line block ×6, first 2 shown]
	v_fmac_f32_e32 v5, v63, v10
	s_cmp_eq_u32 s54, s37
	v_fmac_f32_e32 v9, v60, v10
	s_cbranch_scc1 .LBB746_4
; %bb.43:                               ;   in Loop: Header=BB746_32 Depth=1
	s_mov_b32 s39, s37
	v_mov_b32_e32 v63, v5
	v_mov_b32_e32 v60, v9
	s_branch .LBB746_32
.LBB746_44:
                                        ; implicit-def: $vgpr13
                                        ; implicit-def: $vgpr17
                                        ; implicit-def: $vgpr21
                                        ; implicit-def: $vgpr25
	s_cbranch_execz .LBB746_46
; %bb.45:
	s_waitcnt vmcnt(0)
	v_mad_u64_u32 v[10:11], s[0:1], v27, s15, v[26:27]
	v_lshlrev_b32_e32 v27, 1, v10
	s_lshl_b32 s2, s15, 7
	s_and_b32 s1, s5, 0xffff
	s_mov_b32 s3, 0x20000
	s_mov_b32 s0, s4
	v_add_lshl_u32 v28, v10, s15, 1
	s_movk_i32 s13, 0x80
	buffer_load_dwordx4 v[10:13], v27, s[0:3], 0 offen
	buffer_load_dwordx4 v[18:21], v27, s[0:3], s13 offen
	;; [unrolled: 1-line block ×4, first 2 shown]
.LBB746_46:
	v_lshrrev_b32_e32 v45, 2, v45
	s_cbranch_execnz .LBB746_59
.LBB746_47:
	s_and_b64 vcc, exec, s[6:7]
	s_cbranch_vccz .LBB746_57
; %bb.48:
	s_waitcnt vmcnt(0)
	v_lshlrev_b32_e32 v15, 1, v47
	v_cmp_gt_i32_e32 vcc, s27, v15
	v_mov_b32_e32 v14, 0
	v_lshlrev_b32_e32 v22, 9, v47
	v_mov_b32_e32 v10, 0
	v_mov_b32_e32 v11, 0
	;; [unrolled: 1-line block ×4, first 2 shown]
	s_and_saveexec_b64 s[0:1], vcc
	s_cbranch_execz .LBB746_50
; %bb.49:
	v_mov_b32_e32 v23, 0
	v_lshl_add_u64 v[10:11], s[4:5], 0, v[22:23]
	v_lshlrev_b32_e32 v12, 1, v26
	v_mov_b32_e32 v13, v23
	v_lshl_add_u64 v[10:11], v[10:11], 0, v[12:13]
	global_load_dwordx4 v[10:13], v[10:11], off
.LBB746_50:
	s_or_b64 exec, exec, s[0:1]
	v_or_b32_e32 v15, 1, v15
	v_cmp_gt_i32_e64 s[0:1], s27, v15
	v_lshlrev_b32_e32 v28, 8, v15
	v_mov_b32_e32 v15, 0
	v_mov_b32_e32 v16, 0
	;; [unrolled: 1-line block ×3, first 2 shown]
	s_and_saveexec_b64 s[2:3], s[0:1]
	s_cbranch_execz .LBB746_52
; %bb.51:
	v_mov_b32_e32 v29, 0
	v_lshl_add_u64 v[14:15], s[4:5], 0, v[28:29]
	v_lshlrev_b32_e32 v16, 1, v26
	v_mov_b32_e32 v17, v29
	v_lshl_add_u64 v[14:15], v[14:15], 0, v[16:17]
	global_load_dwordx4 v[14:17], v[14:15], off
.LBB746_52:
	s_or_b64 exec, exec, s[2:3]
	v_mov_b32_e32 v25, 0
	v_mov_b32_e32 v18, 0
	;; [unrolled: 1-line block ×5, first 2 shown]
	s_and_saveexec_b64 s[2:3], vcc
	s_cbranch_execz .LBB746_54
; %bb.53:
	v_mov_b32_e32 v23, 0
	v_lshl_add_u64 v[18:19], s[4:5], 0, v[22:23]
	v_lshlrev_b32_e32 v22, 1, v26
	v_lshl_add_u64 v[18:19], v[18:19], 0, v[22:23]
	global_load_dwordx4 v[18:21], v[18:19], off offset:128
.LBB746_54:
	s_or_b64 exec, exec, s[2:3]
	v_mov_b32_e32 v24, 0
	v_mov_b32_e32 v23, 0
	;; [unrolled: 1-line block ×3, first 2 shown]
	s_and_saveexec_b64 s[2:3], s[0:1]
	s_cbranch_execz .LBB746_56
; %bb.55:
	v_mov_b32_e32 v29, 0
	v_lshl_add_u64 v[22:23], s[4:5], 0, v[28:29]
	v_lshlrev_b32_e32 v28, 1, v26
	v_lshl_add_u64 v[22:23], v[22:23], 0, v[28:29]
	global_load_dwordx4 v[22:25], v[22:23], off offset:128
.LBB746_56:
	s_or_b64 exec, exec, s[2:3]
	s_branch .LBB746_59
.LBB746_57:
                                        ; implicit-def: $vgpr13
                                        ; implicit-def: $vgpr17
                                        ; implicit-def: $vgpr21
                                        ; implicit-def: $vgpr25
	s_cbranch_execz .LBB746_59
; %bb.58:
	s_waitcnt vmcnt(0)
	v_lshlrev_b32_e32 v10, 1, v26
	v_lshl_or_b32 v26, v47, 9, v10
	s_and_b32 s5, s5, 0xffff
	s_mov_b32 s7, 0x20000
	s_movk_i32 s6, 0x4000
	s_movk_i32 s0, 0x80
	buffer_load_dwordx4 v[10:13], v26, s[4:7], 0 offen
	buffer_load_dwordx4 v[14:17], v26, s[4:7], 0 offen offset:256
	buffer_load_dwordx4 v[18:21], v26, s[4:7], s0 offen
	buffer_load_dwordx4 v[22:25], v26, s[4:7], s0 offen offset:256
.LBB746_59:
	ds_read2st64_b64 v[30:33], v50 offset0:76 offset1:77
	ds_read2st64_b64 v[26:29], v50 offset0:78 offset1:79
	ds_read_b64 v[38:39], v34 offset:24576
	ds_read_b64 v[40:41], v35 offset:24576
	;; [unrolled: 1-line block ×4, first 2 shown]
	v_and_b32_e32 v51, 6, v0
	v_xor_b32_e32 v47, v47, v51
	v_lshlrev_b32_e32 v47, 2, v47
	v_and_b32_e32 v53, 1, v0
	v_xor_b32_e32 v54, 0x440, v47
	v_cmp_eq_u32_e32 vcc, 0, v53
	s_mov_b32 s0, 0x1000504
	s_waitcnt vmcnt(0)
	v_perm_b32 v53, v18, v22, s0
	v_cndmask_b32_e32 v47, v54, v47, vcc
	v_lshl_or_b32 v47, v51, 10, v47
	v_perm_b32 v51, v10, v14, s0
	ds_write2st64_b32 v47, v51, v53 offset1:32
	v_xor_b32_e32 v51, 8, v47
	s_mov_b32 s1, 0x3020706
	v_perm_b32 v10, v10, v14, s1
	v_perm_b32 v14, v18, v22, s1
	v_add_u32_e32 v18, 0x80, v51
	ds_write2st64_b32 v18, v10, v14 offset1:32
	v_xor_b32_e32 v10, 16, v47
	v_perm_b32 v14, v11, v15, s0
	v_perm_b32 v18, v19, v23, s0
	ds_write2st64_b32 v10, v14, v18 offset0:1 offset1:33
	v_xor_b32_e32 v10, 24, v47
	v_perm_b32 v11, v11, v15, s1
	v_perm_b32 v14, v19, v23, s1
	v_add_u32_e32 v10, 0x80, v10
	ds_write2st64_b32 v10, v11, v14 offset0:1 offset1:33
	v_xor_b32_e32 v10, 32, v47
	v_perm_b32 v11, v12, v16, s0
	v_perm_b32 v14, v20, v24, s0
	ds_write2st64_b32 v10, v11, v14 offset0:2 offset1:34
	v_xor_b32_e32 v10, 40, v47
	v_perm_b32 v11, v12, v16, s1
	v_perm_b32 v12, v20, v24, s1
	v_add_u32_e32 v10, 0x80, v10
	ds_write2st64_b32 v10, v11, v12 offset0:2 offset1:34
	v_xor_b32_e32 v10, 48, v47
	v_perm_b32 v11, v13, v17, s0
	v_perm_b32 v12, v21, v25, s0
	ds_write2st64_b32 v10, v11, v12 offset0:3 offset1:35
	v_xor_b32_e32 v10, 56, v47
	v_and_or_b32 v16, v45, 12, v52
	v_perm_b32 v11, v13, v17, s1
	v_perm_b32 v12, v21, v25, s1
	v_add_u32_e32 v10, 0x80, v10
	v_cmp_gt_i32_e32 vcc, s27, v16
	v_mov_b32_e32 v17, 0
	v_mov_b32_e32 v21, 0
	ds_write2st64_b32 v10, v11, v12 offset0:3 offset1:35
	s_and_saveexec_b64 s[0:1], vcc
	s_cbranch_execz .LBB746_61
; %bb.60:
	v_add_u32_e32 v10, s26, v16
	v_ashrrev_i32_e32 v11, 31, v10
	v_mul_lo_u32 v12, v11, s34
	v_mul_lo_u32 v13, v10, s35
	v_mad_u64_u32 v[10:11], s[2:3], v10, s34, 0
	v_add3_u32 v11, v11, v13, v12
	v_lshl_add_u64 v[10:11], v[10:11], 2, s[10:11]
	global_load_dword v10, v[10:11], off
	s_waitcnt vmcnt(0)
	v_sub_f32_e32 v10, s12, v10
	v_mul_f32_e32 v10, 0x3fb8aa3b, v10
	v_exp_f32_e32 v21, v10
.LBB746_61:
	s_or_b64 exec, exec, s[0:1]
	v_or_b32_e32 v19, 1, v16
	v_cmp_gt_i32_e64 s[0:1], s27, v19
	s_and_saveexec_b64 s[2:3], s[0:1]
	s_cbranch_execz .LBB746_63
; %bb.62:
	v_add_u32_e32 v10, s26, v19
	v_ashrrev_i32_e32 v11, 31, v10
	v_mul_lo_u32 v12, v11, s34
	v_mul_lo_u32 v13, v10, s35
	v_mad_u64_u32 v[10:11], s[4:5], v10, s34, 0
	v_add3_u32 v11, v11, v13, v12
	v_lshl_add_u64 v[10:11], v[10:11], 2, s[10:11]
	global_load_dword v10, v[10:11], off
	s_waitcnt vmcnt(0)
	v_sub_f32_e32 v10, s12, v10
	v_mul_f32_e32 v10, 0x3fb8aa3b, v10
	v_exp_f32_e32 v17, v10
.LBB746_63:
	s_or_b64 exec, exec, s[2:3]
	v_or_b32_e32 v20, 2, v16
	v_cmp_gt_i32_e64 s[2:3], s27, v20
	v_mov_b32_e32 v18, 0
	v_mov_b32_e32 v23, 0
	s_and_saveexec_b64 s[4:5], s[2:3]
	s_cbranch_execz .LBB746_65
; %bb.64:
	v_add_u32_e32 v10, s26, v20
	v_ashrrev_i32_e32 v11, 31, v10
	v_mul_lo_u32 v12, v11, s34
	v_mul_lo_u32 v13, v10, s35
	v_mad_u64_u32 v[10:11], s[6:7], v10, s34, 0
	v_add3_u32 v11, v11, v13, v12
	v_lshl_add_u64 v[10:11], v[10:11], 2, s[10:11]
	global_load_dword v10, v[10:11], off
	s_waitcnt vmcnt(0)
	v_sub_f32_e32 v10, s12, v10
	v_mul_f32_e32 v10, 0x3fb8aa3b, v10
	v_exp_f32_e32 v23, v10
.LBB746_65:
	s_or_b64 exec, exec, s[4:5]
	v_or_b32_e32 v22, 3, v16
	v_cmp_gt_i32_e64 s[4:5], s27, v22
	s_and_saveexec_b64 s[6:7], s[4:5]
	s_cbranch_execz .LBB746_67
; %bb.66:
	v_add_u32_e32 v10, s26, v22
	v_ashrrev_i32_e32 v11, 31, v10
	v_mul_lo_u32 v12, v11, s34
	v_mul_lo_u32 v13, v10, s35
	v_mad_u64_u32 v[10:11], s[14:15], v10, s34, 0
	v_add3_u32 v11, v11, v13, v12
	v_lshl_add_u64 v[10:11], v[10:11], 2, s[10:11]
	global_load_dword v10, v[10:11], off
	s_waitcnt vmcnt(0)
	v_sub_f32_e32 v10, s12, v10
	v_mul_f32_e32 v10, 0x3fb8aa3b, v10
	v_exp_f32_e32 v18, v10
.LBB746_67:
	s_or_b64 exec, exec, s[6:7]
	s_waitcnt lgkmcnt(11)
	v_mfma_f32_16x16x16_bf16 a[0:3], v[38:39], v[30:31], a[0:3]
	s_add_u32 s6, s8, s20
	v_ashrrev_i32_e32 v47, 31, v46
	s_addc_u32 s7, s9, s21
	s_waitcnt lgkmcnt(10)
	v_mfma_f32_16x16x16_bf16 a[0:3], v[40:41], v[32:33], a[0:3]
	v_mov_b32_e32 v24, 0
	v_lshl_add_u64 v[14:15], v[46:47], 1, s[6:7]
	v_mov_b32_e32 v25, 0
	s_waitcnt lgkmcnt(9)
	v_mfma_f32_16x16x16_bf16 a[0:3], v[36:37], v[26:27], a[0:3]
	s_waitcnt lgkmcnt(8)
	v_mfma_f32_16x16x16_bf16 a[0:3], v[34:35], v[28:29], a[0:3]
	s_nop 6
	v_accvgpr_read_b32 v13, a3
	v_accvgpr_read_b32 v12, a2
	v_accvgpr_read_b32 v11, a1
	v_accvgpr_read_b32 v10, a0
	s_and_saveexec_b64 s[6:7], vcc
	s_cbranch_execz .LBB746_69
; %bb.68:
	v_lshlrev_b32_e32 v26, 8, v16
	v_mov_b32_e32 v27, 0
	v_lshl_add_u64 v[26:27], v[14:15], 0, v[26:27]
	global_load_ushort v25, v[26:27], off
	s_waitcnt vmcnt(0)
	v_lshlrev_b32_e32 v25, 16, v25
	v_sub_f32_e32 v10, v25, v10
	v_mul_f32_e32 v10, v21, v10
	v_lshrrev_b32_e32 v25, 16, v10
.LBB746_69:
	s_or_b64 exec, exec, s[6:7]
	s_and_saveexec_b64 s[6:7], s[0:1]
	s_cbranch_execz .LBB746_71
; %bb.70:
	v_lshlrev_b32_e32 v26, 8, v19
	v_mov_b32_e32 v27, 0
	v_lshl_add_u64 v[26:27], v[14:15], 0, v[26:27]
	global_load_ushort v10, v[26:27], off
	s_waitcnt vmcnt(0)
	v_lshlrev_b32_e32 v10, 16, v10
	v_sub_f32_e32 v10, v10, v11
	v_mul_f32_e32 v10, v17, v10
	v_lshrrev_b32_e32 v24, 16, v10
.LBB746_71:
	s_or_b64 exec, exec, s[6:7]
	v_mov_b32_e32 v11, 0
	v_mov_b32_e32 v17, 0
	s_and_saveexec_b64 s[0:1], s[2:3]
	s_cbranch_execz .LBB746_73
; %bb.72:
	v_lshlrev_b32_e32 v20, 8, v20
	v_mov_b32_e32 v21, 0
	v_lshl_add_u64 v[20:21], v[14:15], 0, v[20:21]
	global_load_ushort v10, v[20:21], off
	s_waitcnt vmcnt(0)
	v_lshlrev_b32_e32 v10, 16, v10
	v_sub_f32_e32 v10, v10, v12
	v_mul_f32_e32 v10, v23, v10
	v_lshrrev_b32_e32 v17, 16, v10
.LBB746_73:
	s_or_b64 exec, exec, s[0:1]
	v_or_b32_e32 v10, 0x9800, v50
	s_and_saveexec_b64 s[0:1], s[4:5]
	s_cbranch_execz .LBB746_75
; %bb.74:
	v_lshlrev_b32_e32 v20, 8, v22
	v_mov_b32_e32 v21, 0
	v_lshl_add_u64 v[14:15], v[14:15], 0, v[20:21]
	global_load_ushort v11, v[14:15], off
	s_waitcnt vmcnt(0)
	v_lshlrev_b32_e32 v11, 16, v11
	v_sub_f32_e32 v11, v11, v13
	v_mul_f32_e32 v11, v18, v11
	v_lshrrev_b32_e32 v11, 16, v11
.LBB746_75:
	s_or_b64 exec, exec, s[0:1]
	s_mov_b32 s0, 0x5040100
	v_perm_b32 v13, v11, v17, s0
	v_lshlrev_b32_e32 v11, 1, v48
	v_perm_b32 v12, v24, v25, s0
	v_lshl_or_b32 v11, v16, 5, v11
	s_movk_i32 s0, 0xff
	ds_write_b64 v11, v[12:13] offset:38912
	v_and_b32_e32 v11, 7, v0
	v_and_b32_e32 v12, 8, v0
	v_cmp_lt_u32_e32 vcc, s0, v0
	v_lshrrev_b32_e32 v0, 1, v0
	v_lshlrev_b32_e32 v22, 3, v1
	v_and_b32_e32 v23, 24, v0
	v_xor_b32_e32 v0, v22, v23
	v_cndmask_b32_e64 v13, 0, 1, vcc
	v_or_b32_e32 v1, 0x440, v0
	v_cmp_eq_u32_e32 vcc, 0, v12
	v_lshlrev_b32_e32 v20, 3, v11
	v_lshlrev_b32_e32 v11, 7, v11
	v_cndmask_b32_e32 v0, v1, v0, vcc
	v_or_b32_e32 v0, v0, v49
	v_lshlrev_b32_e32 v21, 13, v13
	v_xad_u32 v24, v0, v20, v11
	v_add_u32_e32 v0, v21, v24
	s_waitcnt lgkmcnt(0)
	s_barrier
	ds_read_b64 v[0:1], v0
	ds_read2st64_b64 v[12:15], v10 offset1:1
	ds_read2st64_b64 v[16:19], v10 offset0:2 offset1:3
	s_waitcnt lgkmcnt(1)
	v_mfma_f32_16x16x16_bf16 a[0:3], v[0:1], v[12:13], 0
	v_or_b32_e32 v0, 32, v23
	v_xor_b32_e32 v0, v22, v0
	v_or_b32_e32 v1, 0x440, v0
	v_cndmask_b32_e32 v0, v1, v0, vcc
	v_or_b32_e32 v0, v0, v49
	v_xad_u32 v25, v0, v20, v11
	v_add_u32_e32 v0, v21, v25
	ds_read_b64 v[0:1], v0
	v_or_b32_e32 v10, 0x60, v23
	s_waitcnt lgkmcnt(0)
	v_mfma_f32_16x16x16_bf16 a[0:3], v[0:1], v[14:15], a[0:3]
	v_or_b32_e32 v0, 64, v23
	v_xor_b32_e32 v0, v22, v0
	v_xor_b32_e32 v1, 0x440, v0
	v_cndmask_b32_e32 v0, v1, v0, vcc
	v_or_b32_e32 v0, v0, v49
	v_xad_u32 v26, v0, v20, v11
	v_add_u32_e32 v0, v21, v26
	ds_read_b64 v[0:1], v0
	v_xor_b32_e32 v10, v22, v10
	v_xor_b32_e32 v22, 0x440, v10
	v_cndmask_b32_e32 v10, v22, v10, vcc
	v_or_b32_e32 v10, v10, v49
	v_xad_u32 v22, v10, v20, v11
	v_add_u32_e32 v10, v21, v22
	ds_read_b64 v[10:11], v10
	s_waitcnt lgkmcnt(1)
	v_mfma_f32_16x16x16_bf16 a[0:3], v[0:1], v[16:17], a[0:3]
	ds_read_b64 v[0:1], v24 offset:8192
	ds_read_b64 v[20:21], v25 offset:8192
	v_mov_b32_e32 v23, 0x3fb8aa3b
	s_waitcnt lgkmcnt(2)
	v_mfma_f32_16x16x16_bf16 a[0:3], v[10:11], v[18:19], a[0:3]
	v_mul_f32_e32 v10, s12, v23
	v_exp_f32_e32 v23, v10
	ds_read_b64 v[10:11], v26 offset:8192
	s_waitcnt lgkmcnt(2)
	v_mfma_f32_16x16x16_bf16 a[4:7], v[0:1], v[12:13], 0
	ds_read_b64 v[12:13], v22 offset:8192
	s_nop 0
	v_accvgpr_read_b32 v0, a0
	v_accvgpr_read_b32 v1, a1
	s_waitcnt lgkmcnt(2)
	v_mfma_f32_16x16x16_bf16 a[4:7], v[20:21], v[14:15], a[4:7]
	v_fma_f32 v0, v2, v23, v0
	v_fma_f32 v1, v3, v23, v1
	v_accvgpr_read_b32 v2, a2
	s_waitcnt lgkmcnt(1)
	v_mfma_f32_16x16x16_bf16 a[4:7], v[10:11], v[16:17], a[4:7]
	v_accvgpr_read_b32 v3, a3
	v_fma_f32 v2, v4, v23, v2
	v_fmac_f32_e32 v3, v5, v23
	s_waitcnt lgkmcnt(0)
	v_mfma_f32_16x16x16_bf16 a[0:3], v[12:13], v[18:19], a[4:7]
	s_nop 6
	v_accvgpr_read_b32 v4, a0
	v_accvgpr_read_b32 v5, a1
	v_fma_f32 v4, v6, v23, v4
	v_fma_f32 v5, v7, v23, v5
	v_accvgpr_read_b32 v6, a2
	v_accvgpr_read_b32 v7, a3
	v_fma_f32 v6, v8, v23, v6
	v_fmac_f32_e32 v7, v9, v23
	v_mov_b64_e32 v[8:9], v[6:7]
	v_mov_b64_e32 v[6:7], v[4:5]
	;; [unrolled: 1-line block ×4, first 2 shown]
.LBB746_76:
	s_waitcnt lgkmcnt(0)
	s_add_u32 s0, s30, s28
	s_addc_u32 s1, s31, s29
	v_lshl_add_u64 v[0:1], v[42:43], 2, s[0:1]
	v_mov_b32_e32 v45, 0
	v_lshl_add_u64 v[0:1], v[0:1], 0, v[44:45]
	global_store_dwordx4 v[0:1], v[2:5], off
	global_store_dwordx4 v[0:1], v[6:9], off offset:256
	s_endpgm
	.section	.rodata,"a",@progbits
	.p2align	6, 0x0
	.amdhsa_kernel _ZN12_GLOBAL__N_139chunk_gated_delta_rule_fwd_h_hip_kernelILi16ELb1ELb1ELb0ELb0ELb0ELb0ELb1ELb0EEEvPK12hip_bfloat16S3_S3_PKfS5_PKvPS1_S8_PvPKiSB_iiiiilll
		.amdhsa_group_segment_fixed_size 40960
		.amdhsa_private_segment_fixed_size 0
		.amdhsa_kernarg_size 136
		.amdhsa_user_sgpr_count 2
		.amdhsa_user_sgpr_dispatch_ptr 0
		.amdhsa_user_sgpr_queue_ptr 0
		.amdhsa_user_sgpr_kernarg_segment_ptr 1
		.amdhsa_user_sgpr_dispatch_id 0
		.amdhsa_user_sgpr_kernarg_preload_length 0
		.amdhsa_user_sgpr_kernarg_preload_offset 0
		.amdhsa_user_sgpr_private_segment_size 0
		.amdhsa_uses_dynamic_stack 0
		.amdhsa_enable_private_segment 0
		.amdhsa_system_sgpr_workgroup_id_x 1
		.amdhsa_system_sgpr_workgroup_id_y 1
		.amdhsa_system_sgpr_workgroup_id_z 0
		.amdhsa_system_sgpr_workgroup_info 0
		.amdhsa_system_vgpr_workitem_id 0
		.amdhsa_next_free_vgpr 120
		.amdhsa_next_free_sgpr 68
		.amdhsa_accum_offset 112
		.amdhsa_reserve_vcc 1
		.amdhsa_float_round_mode_32 0
		.amdhsa_float_round_mode_16_64 0
		.amdhsa_float_denorm_mode_32 3
		.amdhsa_float_denorm_mode_16_64 3
		.amdhsa_dx10_clamp 1
		.amdhsa_ieee_mode 1
		.amdhsa_fp16_overflow 0
		.amdhsa_tg_split 0
		.amdhsa_exception_fp_ieee_invalid_op 0
		.amdhsa_exception_fp_denorm_src 0
		.amdhsa_exception_fp_ieee_div_zero 0
		.amdhsa_exception_fp_ieee_overflow 0
		.amdhsa_exception_fp_ieee_underflow 0
		.amdhsa_exception_fp_ieee_inexact 0
		.amdhsa_exception_int_div_zero 0
	.end_amdhsa_kernel
	.section	.text._ZN12_GLOBAL__N_139chunk_gated_delta_rule_fwd_h_hip_kernelILi16ELb1ELb1ELb0ELb0ELb0ELb0ELb1ELb0EEEvPK12hip_bfloat16S3_S3_PKfS5_PKvPS1_S8_PvPKiSB_iiiiilll,"axG",@progbits,_ZN12_GLOBAL__N_139chunk_gated_delta_rule_fwd_h_hip_kernelILi16ELb1ELb1ELb0ELb0ELb0ELb0ELb1ELb0EEEvPK12hip_bfloat16S3_S3_PKfS5_PKvPS1_S8_PvPKiSB_iiiiilll,comdat
.Lfunc_end746:
	.size	_ZN12_GLOBAL__N_139chunk_gated_delta_rule_fwd_h_hip_kernelILi16ELb1ELb1ELb0ELb0ELb0ELb0ELb1ELb0EEEvPK12hip_bfloat16S3_S3_PKfS5_PKvPS1_S8_PvPKiSB_iiiiilll, .Lfunc_end746-_ZN12_GLOBAL__N_139chunk_gated_delta_rule_fwd_h_hip_kernelILi16ELb1ELb1ELb0ELb0ELb0ELb0ELb1ELb0EEEvPK12hip_bfloat16S3_S3_PKfS5_PKvPS1_S8_PvPKiSB_iiiiilll
                                        ; -- End function
	.section	.AMDGPU.csdata,"",@progbits
; Kernel info:
; codeLenInByte = 7796
; NumSgprs: 74
; NumVgprs: 110
; NumAgprs: 8
; TotalNumVgprs: 120
; ScratchSize: 0
; MemoryBound: 0
; FloatMode: 240
; IeeeMode: 1
; LDSByteSize: 40960 bytes/workgroup (compile time only)
; SGPRBlocks: 9
; VGPRBlocks: 14
; NumSGPRsForWavesPerEU: 74
; NumVGPRsForWavesPerEU: 120
; AccumOffset: 112
; Occupancy: 1
; WaveLimiterHint : 1
; COMPUTE_PGM_RSRC2:SCRATCH_EN: 0
; COMPUTE_PGM_RSRC2:USER_SGPR: 2
; COMPUTE_PGM_RSRC2:TRAP_HANDLER: 0
; COMPUTE_PGM_RSRC2:TGID_X_EN: 1
; COMPUTE_PGM_RSRC2:TGID_Y_EN: 1
; COMPUTE_PGM_RSRC2:TGID_Z_EN: 0
; COMPUTE_PGM_RSRC2:TIDIG_COMP_CNT: 0
; COMPUTE_PGM_RSRC3_GFX90A:ACCUM_OFFSET: 27
; COMPUTE_PGM_RSRC3_GFX90A:TG_SPLIT: 0
	.section	.text._ZN12_GLOBAL__N_139chunk_gated_delta_rule_fwd_h_hip_kernelILi16ELb1ELb0ELb1ELb0ELb0ELb0ELb1ELb0EEEvPK12hip_bfloat16S3_S3_PKfS5_PKvPS1_S8_PvPKiSB_iiiiilll,"axG",@progbits,_ZN12_GLOBAL__N_139chunk_gated_delta_rule_fwd_h_hip_kernelILi16ELb1ELb0ELb1ELb0ELb0ELb0ELb1ELb0EEEvPK12hip_bfloat16S3_S3_PKfS5_PKvPS1_S8_PvPKiSB_iiiiilll,comdat
	.globl	_ZN12_GLOBAL__N_139chunk_gated_delta_rule_fwd_h_hip_kernelILi16ELb1ELb0ELb1ELb0ELb0ELb0ELb1ELb0EEEvPK12hip_bfloat16S3_S3_PKfS5_PKvPS1_S8_PvPKiSB_iiiiilll ; -- Begin function _ZN12_GLOBAL__N_139chunk_gated_delta_rule_fwd_h_hip_kernelILi16ELb1ELb0ELb1ELb0ELb0ELb0ELb1ELb0EEEvPK12hip_bfloat16S3_S3_PKfS5_PKvPS1_S8_PvPKiSB_iiiiilll
	.p2align	8
	.type	_ZN12_GLOBAL__N_139chunk_gated_delta_rule_fwd_h_hip_kernelILi16ELb1ELb0ELb1ELb0ELb0ELb0ELb1ELb0EEEvPK12hip_bfloat16S3_S3_PKfS5_PKvPS1_S8_PvPKiSB_iiiiilll,@function
_ZN12_GLOBAL__N_139chunk_gated_delta_rule_fwd_h_hip_kernelILi16ELb1ELb0ELb1ELb0ELb0ELb0ELb1ELb0EEEvPK12hip_bfloat16S3_S3_PKfS5_PKvPS1_S8_PvPKiSB_iiiiilll: ; @_ZN12_GLOBAL__N_139chunk_gated_delta_rule_fwd_h_hip_kernelILi16ELb1ELb0ELb1ELb0ELb0ELb0ELb1ELb0EEEvPK12hip_bfloat16S3_S3_PKfS5_PKvPS1_S8_PvPKiSB_iiiiilll
; %bb.0:
	s_load_dwordx4 s[12:15], s[0:1], 0x5c
	s_load_dwordx4 s[20:23], s[0:1], 0x70
	s_abs_i32 s6, s3
	s_ashr_i32 s5, s3, 31
	s_load_dwordx4 s[16:19], s[0:1], 0x28
	s_load_dwordx2 s[28:29], s[0:1], 0x38
	s_waitcnt lgkmcnt(0)
	s_abs_i32 s4, s13
	v_cvt_f32_u32_e32 v1, s4
	s_sub_i32 s8, 0, s4
	s_ashr_i32 s7, s13, 31
	s_xor_b32 s5, s5, s7
	v_rcp_iflag_f32_e32 v1, v1
	v_and_b32_e32 v53, 15, v0
	v_lshrrev_b32_e32 v51, 6, v0
	v_bfe_u32 v52, v0, 4, 2
	v_mul_f32_e32 v1, 0x4f7ffffe, v1
	v_cvt_u32_f32_e32 v1, v1
	v_mov_b32_e32 v5, 0
	v_and_b32_e32 v50, 63, v0
	v_lshrrev_b32_e32 v55, 3, v50
	v_readfirstlane_b32 s9, v1
	s_mul_i32 s8, s8, s9
	s_mul_hi_u32 s8, s9, s8
	s_add_i32 s9, s9, s8
	s_mul_hi_u32 s8, s6, s9
	s_mul_i32 s9, s8, s4
	s_sub_i32 s6, s6, s9
	s_add_i32 s10, s8, 1
	s_sub_i32 s9, s6, s4
	s_cmp_ge_u32 s6, s4
	s_cselect_b32 s8, s10, s8
	s_cselect_b32 s6, s9, s6
	s_add_i32 s9, s8, 1
	s_cmp_ge_u32 s6, s4
	s_cselect_b32 s6, s9, s8
	s_xor_b32 s6, s6, s5
	s_add_i32 s8, s12, 63
	s_sub_i32 s50, s6, s5
	s_ashr_i32 s9, s8, 31
	s_mul_i32 s5, s50, s13
	s_sub_i32 s48, s3, s5
	s_lshr_b32 s3, s9, 26
	s_add_i32 s8, s8, s3
	s_abs_i32 s3, s14
	v_cvt_f32_u32_e32 v1, s3
	s_ashr_i32 s49, s12, 31
	s_lshr_b32 s6, s49, 26
	s_add_i32 s6, s12, s6
	v_rcp_iflag_f32_e32 v1, v1
	s_ashr_i32 s53, s14, 31
	s_ashr_i32 s24, s8, 6
	;; [unrolled: 1-line block ×3, first 2 shown]
	v_mul_f32_e32 v1, 0x4f7ffffe, v1
	v_cvt_u32_f32_e32 v1, v1
	s_xor_b32 s6, s7, s53
	s_sub_i32 s7, 0, s3
	s_lshl_b32 s2, s2, 4
	v_readfirstlane_b32 s8, v1
	s_mul_i32 s7, s7, s8
	s_mul_hi_u32 s7, s8, s7
	s_add_i32 s8, s8, s7
	s_mul_hi_u32 s7, s4, s8
	s_mul_i32 s8, s7, s3
	s_sub_i32 s4, s4, s8
	s_add_i32 s8, s7, 1
	s_sub_i32 s9, s4, s3
	s_cmp_ge_u32 s4, s3
	s_cselect_b32 s7, s8, s7
	s_cselect_b32 s4, s9, s4
	s_add_i32 s8, s7, 1
	s_cmp_ge_u32 s4, s3
	s_cselect_b32 s3, s8, s7
	s_xor_b32 s3, s3, s6
	s_sub_i32 s3, s3, s6
	s_abs_i32 s4, s3
	v_cvt_f32_u32_e32 v1, s4
	s_sub_i32 s7, 0, s4
	s_abs_i32 s6, s48
	s_xor_b32 s3, s48, s3
	v_rcp_iflag_f32_e32 v1, v1
	s_ashr_i32 s3, s3, 31
	v_or_b32_e32 v42, s2, v53
	v_lshlrev_b32_e32 v2, 7, v42
	v_mul_f32_e32 v1, 0x4f7ffffe, v1
	v_cvt_u32_f32_e32 v1, v1
	v_ashrrev_i32_e32 v3, 31, v2
	s_mul_i32 s55, s50, s24
	v_lshlrev_b32_e32 v54, 3, v0
	v_readfirstlane_b32 s8, v1
	s_mul_i32 s7, s7, s8
	s_mul_hi_u32 s7, s8, s7
	s_add_i32 s8, s8, s7
	s_mul_hi_u32 s7, s6, s8
	s_mul_i32 s8, s7, s4
	s_sub_i32 s6, s6, s8
	s_add_i32 s8, s7, 1
	s_sub_i32 s9, s6, s4
	s_cmp_ge_u32 s6, s4
	s_cselect_b32 s7, s8, s7
	s_cselect_b32 s6, s9, s6
	s_add_i32 s8, s7, 1
	s_cmp_ge_u32 s6, s4
	s_cselect_b32 s4, s8, s7
	s_xor_b32 s4, s4, s3
	s_sub_i32 s54, s4, s3
	s_ashr_i32 s3, s50, 31
	s_ashr_i32 s52, s48, 31
	s_mul_hi_i32 s4, s50, s13
	s_add_u32 s38, s5, s48
	s_addc_u32 s39, s4, s52
	s_lshl_b64 s[4:5], s[38:39], 16
	v_lshlrev_b32_e32 v1, 4, v51
	s_add_u32 s4, s16, s4
	v_lshl_or_b32 v56, v52, 2, v1
	s_addc_u32 s5, s17, s5
	v_lshl_add_u64 v[2:3], v[2:3], 2, s[4:5]
	v_lshlrev_b32_e32 v4, 2, v56
	v_lshl_add_u64 v[10:11], v[2:3], 0, v[4:5]
	global_load_dwordx4 v[6:9], v[10:11], off
	global_load_dwordx4 v[2:5], v[10:11], off offset:256
	s_load_dwordx8 s[4:11], s[0:1], 0x0
	s_load_dwordx2 s[30:31], s[0:1], 0x80
	v_or_b32_e32 v57, 64, v56
	s_cmp_lt_i32 s12, 64
	s_mul_i32 s56, s39, s12
	s_mul_hi_u32 s57, s38, s12
	s_mul_i32 s16, s38, s12
	s_mul_i32 s33, s50, s21
	s_mul_hi_u32 s44, s50, s20
	s_mul_i32 s45, s3, s20
	s_mul_i32 s36, s50, s20
	;; [unrolled: 1-line block ×3, first 2 shown]
	s_mul_hi_u32 s46, s48, s22
	s_mul_i32 s47, s52, s22
	s_mul_i32 s34, s48, s22
	s_cbranch_scc1 .LBB747_3
; %bb.1:
	s_add_i32 s17, s57, s56
	s_lshl_b64 s[0:1], s[16:17], 8
	v_and_b32_e32 v59, 56, v54
	s_waitcnt lgkmcnt(0)
	s_add_u32 s20, s6, s0
	v_lshl_or_b32 v58, v51, 3, v55
	v_lshlrev_b32_e32 v10, 1, v59
	s_addc_u32 s0, s7, s1
	v_lshl_or_b32 v60, v58, 8, v10
	s_and_b32 s21, s0, 0xffff
	s_mov_b32 s23, 0x20000
	s_movk_i32 s22, 0x4000
	s_movk_i32 s0, 0x80
	v_or_b32_e32 v61, 0x2000, v60
	buffer_load_dwordx4 v[12:15], v60, s[20:23], 0 offen
	buffer_load_dwordx4 v[16:19], v60, s[20:23], s0 offen
	;; [unrolled: 1-line block ×4, first 2 shown]
	v_lshlrev_b32_e32 v11, 3, v58
	v_and_or_b32 v29, v0, 7, v11
	v_and_b32_e32 v11, 0x78, v11
	v_lshlrev_b32_e32 v29, 4, v29
	v_xor_b32_e32 v62, v29, v11
	v_mul_lo_u32 v28, v58, s15
	v_or_b32_e32 v63, 0x1000, v62
	v_xor_b32_e32 v11, 8, v62
	s_cmpk_eq_i32 s15, 0x80
	s_mov_b32 s58, s14
	v_xor_b32_e32 v29, 8, v63
	s_cselect_b64 s[0:1], -1, 0
	s_cmpk_lg_i32 s15, 0x80
	s_waitcnt vmcnt(3)
	ds_write_b64 v62, v[12:13] offset:16384
	ds_write_b64 v11, v[14:15] offset:16384
	s_waitcnt vmcnt(2)
	ds_write_b64 v62, v[16:17] offset:24576
	ds_write_b64 v11, v[18:19] offset:24576
	;; [unrolled: 3-line block ×4, first 2 shown]
	v_lshl_add_u32 v11, v28, 1, v59
	s_cbranch_scc0 .LBB747_29
; %bb.2:
	v_lshlrev_b32_e32 v13, 1, v11
	v_add_lshl_u32 v12, v11, s15, 1
	s_lshl_b32 s22, s15, 7
	v_lshl_or_b32 v10, v58, 9, v10
	s_cbranch_execz .LBB747_30
	s_branch .LBB747_31
.LBB747_3:
	s_waitcnt vmcnt(0)
	v_mov_b32_e32 v10, v5
	v_mov_b32_e32 v11, v9
.LBB747_4:
	s_lshl_b32 s26, s51, 6
	s_sub_i32 s27, s12, s26
	s_cmp_gt_i32 s27, 0
	s_cbranch_scc0 .LBB747_76
; %bb.5:
	s_ashr_i32 s3, s26, 31
	s_cmpk_lg_i32 s15, 0x80
	s_cselect_b64 s[22:23], -1, 0
	s_and_b64 vcc, exec, s[22:23]
	s_cbranch_vccz .LBB747_7
; %bb.6:
	s_mul_i32 s1, s50, s12
	s_mul_hi_i32 s0, s50, s12
	s_add_u32 s1, s1, s26
	s_addc_u32 s0, s0, s3
	s_mul_i32 s17, s1, s53
	s_mul_hi_u32 s20, s1, s14
	s_add_i32 s17, s20, s17
	s_mul_i32 s0, s0, s14
	s_add_i32 s17, s17, s0
	s_mul_i32 s1, s1, s14
	s_ashr_i32 s0, s54, 31
	s_add_u32 s24, s1, s54
	s_addc_u32 s25, s17, s0
	s_cbranch_execz .LBB747_8
	s_branch .LBB747_9
.LBB747_7:
                                        ; implicit-def: $sgpr24_sgpr25
.LBB747_8:
	s_mul_hi_i32 s0, s50, s14
	s_mul_i32 s50, s50, s14
	s_ashr_i32 s1, s54, 31
	s_add_u32 s14, s50, s54
	s_addc_u32 s0, s0, s1
	s_mul_i32 s1, s14, s49
	s_mul_hi_u32 s17, s14, s12
	s_add_i32 s1, s17, s1
	s_mul_i32 s0, s0, s12
	s_add_i32 s1, s1, s0
	s_mul_i32 s14, s14, s12
	s_add_u32 s24, s14, s26
	s_addc_u32 s25, s1, s3
.LBB747_9:
	s_mul_i32 s0, s38, s49
	s_add_i32 s0, s57, s0
	s_add_i32 s14, s55, s51
	;; [unrolled: 1-line block ×3, first 2 shown]
	s_add_u32 s0, s16, s26
	s_addc_u32 s1, s1, s3
	s_mov_b32 s3, 0x7060302
	v_perm_b32 v5, v10, v4, s3
	v_perm_b32 v4, v3, v2, s3
	v_lshlrev_b32_e32 v2, 3, v53
	s_lshl_b64 s[20:21], s[0:1], 8
	v_perm_b32 v9, v11, v8, s3
	v_perm_b32 v8, v7, v6, s3
	s_waitcnt vmcnt(2)
	v_lshlrev_b32_e32 v34, 2, v53
	v_lshl_or_b32 v2, v56, 5, v2
	s_waitcnt lgkmcnt(0)
	s_add_u32 s0, s6, s20
	ds_write2st64_b64 v2, v[8:9], v[4:5] offset0:72 offset1:76
	v_xor_b32_e32 v2, v56, v34
	v_lshlrev_b32_e32 v3, 8, v53
	s_addc_u32 s1, s7, s21
	v_lshl_or_b32 v2, v2, 1, v3
	s_mul_hi_i32 s3, s14, s13
	s_mul_i32 s14, s14, s13
	ds_write_b64 v2, v[8:9] offset:32768
	v_xor_b32_e32 v2, v57, v34
	s_add_u32 s6, s14, s48
	v_lshl_or_b32 v2, v2, 1, v3
	s_addc_u32 s7, s3, s52
	v_lshlrev_b32_e32 v3, 1, v53
	ds_write_b64 v2, v[4:5] offset:32768
	v_lshrrev_b32_e32 v2, 4, v0
	s_ashr_i32 s3, s2, 31
	s_lshl_b64 s[6:7], s[6:7], 15
	v_or_b32_e32 v4, 1, v3
	s_add_u32 s6, s18, s6
	v_xor_b32_e32 v3, v2, v3
	v_xor_b32_e32 v4, v4, v2
	v_lshlrev_b32_e32 v6, 8, v2
	s_addc_u32 s7, s19, s7
	s_lshl_b64 s[2:3], s[2:3], 8
	v_lshl_or_b32 v2, v3, 3, v6
	v_lshl_or_b32 v4, v4, 3, v6
	s_waitcnt lgkmcnt(0)
	s_barrier
	s_add_u32 s2, s6, s2
	ds_read_b64 v[2:3], v2 offset:32768
	ds_read_b64 v[4:5], v4 offset:32768
	s_addc_u32 s3, s7, s3
	v_mov_b32_e32 v7, 0
	s_cmp_lg_u32 s27, 64
	v_lshl_add_u64 v[8:9], s[2:3], 0, v[6:7]
	v_lshlrev_b32_e32 v6, 4, v53
	s_cselect_b64 s[6:7], -1, 0
	v_lshl_or_b32 v35, v51, 3, v55
	s_mov_b32 s16, 0
	v_lshl_add_u64 v[6:7], v[8:9], 0, v[6:7]
	v_or_b32_e32 v19, 32, v35
	v_and_b32_e32 v18, 56, v54
	s_and_b64 vcc, exec, s[6:7]
	s_waitcnt lgkmcnt(0)
	global_store_dwordx4 v[6:7], v[2:5], off
	s_cbranch_vccz .LBB747_15
; %bb.10:
	s_mov_b32 s17, s16
	s_mov_b32 s18, s16
	;; [unrolled: 1-line block ×3, first 2 shown]
	v_mov_b64_e32 v[6:7], s[16:17]
	v_mov_b64_e32 v[8:9], s[18:19]
	;; [unrolled: 1-line block ×3, first 2 shown]
	v_cmp_gt_i32_e32 vcc, s27, v35
	v_mov_b64_e32 v[4:5], v[8:9]
	s_and_saveexec_b64 s[2:3], vcc
	s_cbranch_execz .LBB747_12
; %bb.11:
	v_lshlrev_b32_e32 v2, 8, v35
	v_mov_b32_e32 v3, 0
	v_lshl_add_u64 v[4:5], s[0:1], 0, v[2:3]
	v_lshlrev_b32_e32 v2, 1, v18
	v_lshl_add_u64 v[10:11], v[4:5], 0, v[2:3]
	global_load_dwordx4 v[6:9], v[10:11], off
	global_load_dwordx4 v[2:5], v[10:11], off offset:128
.LBB747_12:
	s_or_b64 exec, exec, s[2:3]
	s_mov_b32 s17, s16
	s_mov_b32 s18, s16
	;; [unrolled: 1-line block ×3, first 2 shown]
	v_mov_b64_e32 v[14:15], s[16:17]
	v_mov_b64_e32 v[16:17], s[18:19]
	;; [unrolled: 1-line block ×3, first 2 shown]
	v_cmp_gt_i32_e32 vcc, s27, v19
	v_lshlrev_b32_e32 v20, 7, v19
	v_mov_b64_e32 v[12:13], v[16:17]
	s_and_saveexec_b64 s[2:3], vcc
	s_cbranch_execz .LBB747_14
; %bb.13:
	v_lshlrev_b32_e32 v10, 1, v20
	v_mov_b32_e32 v11, 0
	v_lshl_add_u64 v[12:13], s[0:1], 0, v[10:11]
	v_lshlrev_b32_e32 v10, 1, v18
	v_lshl_add_u64 v[22:23], v[12:13], 0, v[10:11]
	global_load_dwordx4 v[14:17], v[22:23], off
	global_load_dwordx4 v[10:13], v[22:23], off offset:128
.LBB747_14:
	s_or_b64 exec, exec, s[2:3]
	v_lshrrev_b32_e32 v21, 3, v18
	v_lshlrev_b32_e32 v22, 3, v35
	v_or_b32_e32 v21, v22, v21
	v_lshlrev_b32_e32 v21, 4, v21
	v_and_b32_e32 v22, 0x78, v22
	v_xor_b32_e32 v21, v21, v22
	s_branch .LBB747_17
.LBB747_15:
                                        ; implicit-def: $vgpr21
                                        ; implicit-def: $vgpr20
                                        ; implicit-def: $vgpr6_vgpr7_vgpr8_vgpr9
                                        ; implicit-def: $vgpr2_vgpr3_vgpr4_vgpr5
                                        ; implicit-def: $vgpr14_vgpr15_vgpr16_vgpr17
                                        ; implicit-def: $vgpr10_vgpr11_vgpr12_vgpr13
	s_cbranch_execz .LBB747_17
; %bb.16:
	s_waitcnt vmcnt(0)
	v_lshlrev_b32_e32 v2, 1, v18
	v_lshl_or_b32 v20, v35, 8, v2
	s_and_b32 s1, s1, 0xffff
	s_mov_b32 s3, 0x20000
	s_movk_i32 s2, 0x4000
	v_lshl_or_b32 v21, v19, 8, v2
	s_movk_i32 s13, 0x80
	buffer_load_dwordx4 v[6:9], v20, s[0:3], 0 offen
	buffer_load_dwordx4 v[2:5], v20, s[0:3], s13 offen
	;; [unrolled: 1-line block ×4, first 2 shown]
	v_lshrrev_b32_e32 v20, 3, v18
	v_lshlrev_b32_e32 v21, 3, v35
	v_or_b32_e32 v20, v21, v20
	v_lshlrev_b32_e32 v20, 4, v20
	v_and_b32_e32 v21, 0x78, v21
	v_xor_b32_e32 v21, v20, v21
	v_lshlrev_b32_e32 v20, 7, v19
.LBB747_17:
	s_lshl_b64 s[0:1], s[24:25], 8
	s_add_u32 s4, s4, s0
	s_movk_i32 s0, 0x1000
	v_and_or_b32 v19, v20, s0, v21
	s_waitcnt vmcnt(1)
	ds_write_b64 v21, v[6:7] offset:16384
	v_xor_b32_e32 v6, 8, v21
	ds_write_b64 v6, v[8:9] offset:16384
	s_waitcnt vmcnt(0)
	ds_write_b64 v21, v[2:3] offset:24576
	ds_write_b64 v6, v[4:5] offset:24576
	;; [unrolled: 1-line block ×3, first 2 shown]
	v_xor_b32_e32 v2, 8, v19
	ds_write_b64 v2, v[16:17] offset:16384
	ds_write_b64 v19, v[10:11] offset:24576
	;; [unrolled: 1-line block ×3, first 2 shown]
	v_or_b32_e32 v2, v1, v53
	s_addc_u32 s5, s5, s1
	s_add_i32 s0, s12, -1
	v_lshlrev_b32_e32 v2, 3, v2
	v_lshrrev_b32_e32 v4, 5, v50
	s_movk_i32 s12, 0xf8
	v_and_or_b32 v4, v2, s12, v4
	v_lshlrev_b32_e32 v3, 11, v51
	v_lshlrev_b32_e32 v12, 4, v4
	v_and_b32_e32 v13, 0x78, v2
	v_and_b32_e32 v14, 0x1000, v3
	v_lshlrev_b32_e32 v3, 2, v0
	v_xor_b32_e32 v2, v12, v13
	v_lshrrev_b32_e32 v4, 1, v50
	v_and_b32_e32 v3, 60, v3
	v_or_b32_e32 v2, v2, v14
	v_and_b32_e32 v15, 8, v4
	v_xor_b32_e32 v26, v2, v15
	v_lshl_or_b32 v2, v52, 6, v3
	v_lshlrev_b32_e32 v19, 1, v2
	v_or_b32_e32 v2, 32, v12
	v_xor_b32_e32 v2, v2, v13
	s_waitcnt lgkmcnt(0)
	s_barrier
	ds_read_b64 v[10:11], v26 offset:16384
	v_or_b32_e32 v2, v2, v14
	v_xor_b32_e32 v27, v2, v15
	v_or_b32_e32 v2, 64, v12
	v_xor_b32_e32 v2, v2, v13
	v_or_b32_e32 v2, v2, v14
	v_or_b32_e32 v12, 0x60, v12
	v_xor_b32_e32 v28, v2, v15
	ds_read2st64_b64 v[2:5], v19 offset0:72 offset1:73
	ds_read2st64_b64 v[6:9], v19 offset0:74 offset1:75
	v_xor_b32_e32 v16, v12, v13
	ds_read_b64 v[12:13], v27 offset:16384
	s_add_i32 s1, s44, s33
	s_waitcnt lgkmcnt(2)
	v_mfma_f32_16x16x16_bf16 a[0:3], v[10:11], v[2:3], 0
	s_add_i32 s37, s1, s45
	s_add_i32 s1, s46, s39
	;; [unrolled: 1-line block ×3, first 2 shown]
	s_ashr_i32 s1, s0, 31
	s_mul_i32 s2, s0, s31
	s_mul_hi_u32 s3, s0, s30
	s_add_i32 s2, s3, s2
	s_mul_i32 s1, s1, s30
	v_or_b32_e32 v14, v16, v14
	s_add_i32 s1, s2, s1
	s_lshl_b64 s[2:3], s[36:37], 2
	v_xor_b32_e32 v36, v14, v15
	ds_read_b64 v[14:15], v28 offset:16384
	ds_read_b64 v[16:17], v36 offset:16384
	s_waitcnt lgkmcnt(2)
	v_mfma_f32_16x16x16_bf16 a[0:3], v[12:13], v[4:5], a[0:3]
	s_add_u32 s10, s10, s2
	s_addc_u32 s11, s11, s3
	s_lshl_b64 s[2:3], s[34:35], 2
	s_mul_i32 s0, s0, s30
	s_add_u32 s10, s10, s2
	s_addc_u32 s11, s11, s3
	s_lshl_b64 s[0:1], s[0:1], 2
	s_waitcnt lgkmcnt(1)
	v_mfma_f32_16x16x16_bf16 a[0:3], v[14:15], v[6:7], a[0:3]
	s_add_u32 s0, s10, s0
	s_addc_u32 s1, s11, s1
	s_load_dword s12, s[0:1], 0x0
	s_waitcnt lgkmcnt(0)
	v_mfma_f32_16x16x16_bf16 a[0:3], v[16:17], v[8:9], a[0:3]
	s_and_b64 vcc, exec, s[22:23]
	s_cbranch_vccz .LBB747_28
; %bb.18:
	v_lshlrev_b32_e32 v20, 1, v35
	s_and_b64 vcc, exec, s[6:7]
	s_cbranch_vccz .LBB747_44
; %bb.19:
	v_cmp_gt_i32_e32 vcc, s27, v20
	v_mov_b32_e32 v6, 0
	v_mov_b32_e32 v2, 0
	;; [unrolled: 1-line block ×5, first 2 shown]
	s_and_saveexec_b64 s[0:1], vcc
	s_cbranch_execz .LBB747_21
; %bb.20:
	v_mad_i64_i32 v[2:3], s[2:3], s15, v20, 0
	v_lshl_add_u64 v[2:3], v[2:3], 1, s[4:5]
	v_lshlrev_b32_e32 v4, 1, v18
	v_mov_b32_e32 v5, 0
	v_lshl_add_u64 v[2:3], v[2:3], 0, v[4:5]
	global_load_dwordx4 v[2:5], v[2:3], off
.LBB747_21:
	s_or_b64 exec, exec, s[0:1]
	v_or_b32_e32 v21, 1, v20
	v_cmp_gt_i32_e64 s[0:1], s27, v21
	v_mov_b32_e32 v7, 0
	v_mov_b32_e32 v8, 0
	;; [unrolled: 1-line block ×3, first 2 shown]
	s_and_saveexec_b64 s[2:3], s[0:1]
	s_cbranch_execz .LBB747_23
; %bb.22:
	v_mad_i64_i32 v[6:7], s[16:17], s15, v21, 0
	v_lshl_add_u64 v[6:7], v[6:7], 1, s[4:5]
	v_lshlrev_b32_e32 v8, 1, v18
	v_mov_b32_e32 v9, 0
	v_lshl_add_u64 v[6:7], v[6:7], 0, v[8:9]
	global_load_dwordx4 v[6:9], v[6:7], off
.LBB747_23:
	s_or_b64 exec, exec, s[2:3]
	v_mov_b32_e32 v17, 0
	v_mov_b32_e32 v10, 0
	;; [unrolled: 1-line block ×5, first 2 shown]
	s_and_saveexec_b64 s[2:3], vcc
	s_cbranch_execz .LBB747_25
; %bb.24:
	v_mad_i64_i32 v[10:11], s[16:17], s15, v20, 0
	v_lshl_add_u64 v[10:11], v[10:11], 1, s[4:5]
	v_lshlrev_b32_e32 v12, 1, v18
	v_mov_b32_e32 v13, 0
	v_lshl_add_u64 v[10:11], v[10:11], 0, v[12:13]
	global_load_dwordx4 v[10:13], v[10:11], off offset:128
.LBB747_25:
	s_or_b64 exec, exec, s[2:3]
	v_mov_b32_e32 v16, 0
	v_mov_b32_e32 v15, 0
	;; [unrolled: 1-line block ×3, first 2 shown]
	s_and_saveexec_b64 s[2:3], s[0:1]
	s_cbranch_execz .LBB747_27
; %bb.26:
	v_mad_i64_i32 v[14:15], s[0:1], s15, v21, 0
	v_lshl_add_u64 v[14:15], v[14:15], 1, s[4:5]
	v_lshlrev_b32_e32 v16, 1, v18
	v_mov_b32_e32 v17, 0
	v_lshl_add_u64 v[14:15], v[14:15], 0, v[16:17]
	global_load_dwordx4 v[14:17], v[14:15], off offset:128
.LBB747_27:
	s_or_b64 exec, exec, s[2:3]
	s_branch .LBB747_46
.LBB747_28:
                                        ; implicit-def: $vgpr5
                                        ; implicit-def: $vgpr9
                                        ; implicit-def: $vgpr13
                                        ; implicit-def: $vgpr17
	v_lshrrev_b32_e32 v37, 2, v50
	s_branch .LBB747_47
.LBB747_29:
                                        ; implicit-def: $vgpr12
                                        ; implicit-def: $vgpr13
                                        ; implicit-def: $sgpr22
	v_lshl_or_b32 v10, v58, 9, v10
.LBB747_30:
	v_or_b32_e32 v12, 0x100, v10
	s_movk_i32 s22, 0x4000
	v_mov_b32_e32 v13, v10
.LBB747_31:
	s_mul_hi_u32 s20, s14, s12
	s_mul_i32 s21, s53, s12
	s_add_i32 s20, s20, s21
	s_mul_i32 s21, s14, s12
	s_mul_i32 s23, s21, s3
	s_mul_hi_u32 s24, s21, s50
	s_add_i32 s23, s24, s23
	s_mul_i32 s20, s20, s50
	s_add_i32 s23, s23, s20
	s_mul_i32 s21, s21, s50
	s_ashr_i32 s59, s54, 31
	s_add_u32 s20, s21, s54
	s_addc_u32 s21, s23, s59
	s_lshl_b64 s[20:21], s[20:21], 8
	s_add_u32 s20, s4, s20
	s_addc_u32 s21, s5, s21
	s_and_b32 s21, s21, 0xffff
	s_mov_b32 s23, 0x20000
	s_movk_i32 s60, 0x80
	buffer_load_dwordx4 v[14:17], v13, s[20:23], 0 offen
	buffer_load_dwordx4 v[18:21], v13, s[20:23], s60 offen
	;; [unrolled: 1-line block ×4, first 2 shown]
	v_and_b32_e32 v12, 6, v0
	v_lshlrev_b32_e32 v30, 2, v53
	v_lshlrev_b32_e32 v31, 3, v53
	v_xor_b32_e32 v33, v58, v12
	v_and_b32_e32 v13, 1, v0
	s_mul_i32 s3, s3, s12
	s_mul_hi_u32 s20, s50, s12
	v_lshl_or_b32 v31, v56, 5, v31
	v_xor_b32_e32 v34, v56, v30
	v_lshlrev_b32_e32 v33, 2, v33
	v_or_b32_e32 v64, 0x9000, v31
	v_or_b32_e32 v65, 0x9800, v31
	v_lshlrev_b32_e32 v31, 1, v34
	v_xor_b32_e32 v34, 0x440, v33
	v_cmp_eq_u32_e32 vcc, 0, v13
	s_add_i32 s65, s20, s3
	s_add_i32 s3, s44, s33
	v_cndmask_b32_e32 v13, v34, v33, vcc
	s_add_i32 s20, s46, s39
	s_add_i32 s37, s3, s45
	s_mov_b32 s62, 0x1000504
	v_lshlrev_b32_e32 v32, 8, v53
	s_mov_b32 s22, 0x8000
	v_xor_b32_e32 v30, v57, v30
	v_lshl_or_b32 v12, v12, 10, v13
	s_add_i32 s35, s20, s47
	s_lshl_b64 s[20:21], s[36:37], 2
	s_mov_b32 s63, 0x3020706
	v_lshlrev_b32_e32 v30, 1, v30
	v_or3_b32 v66, v31, v32, s22
	v_xor_b32_e32 v13, 8, v12
	v_xor_b32_e32 v31, 24, v12
	v_xor_b32_e32 v33, 40, v12
	v_xor_b32_e32 v35, 56, v12
	s_add_u32 s3, s10, s20
	v_or3_b32 v67, v30, v32, s22
	v_xor_b32_e32 v30, 16, v12
	v_xor_b32_e32 v32, 32, v12
	;; [unrolled: 1-line block ×3, first 2 shown]
	v_add_u32_e32 v13, 0x80, v13
	v_add_u32_e32 v31, 0x80, v31
	;; [unrolled: 1-line block ×4, first 2 shown]
	s_addc_u32 s24, s11, s21
	s_lshl_b64 s[20:21], s[34:35], 2
	s_add_u32 s40, s3, s20
	s_movk_i32 s3, 0xf8
	s_addc_u32 s41, s24, s21
	v_ashrrev_i32_e32 v43, 31, v42
	s_lshl_b32 s26, s15, 7
	s_mov_b32 s61, 0
	s_mul_i32 s64, s50, s12
	v_mov_b32_e32 v81, 0x3fb8aa3b
	s_mov_b32 s37, 0
	s_waitcnt vmcnt(1)
	v_perm_b32 v36, v14, v22, s62
	s_waitcnt vmcnt(0)
	v_perm_b32 v37, v18, v26, s62
	v_perm_b32 v14, v14, v22, s63
	;; [unrolled: 1-line block ×15, first 2 shown]
	ds_write2st64_b32 v12, v36, v37 offset1:32
	ds_write2st64_b32 v13, v14, v18 offset1:32
	ds_write2st64_b32 v30, v22, v26 offset0:1 offset1:33
	ds_write2st64_b32 v31, v15, v19 offset0:1 offset1:33
	;; [unrolled: 1-line block ×6, first 2 shown]
	v_or_b32_e32 v12, v1, v53
	v_lshlrev_b32_e32 v12, 3, v12
	v_lshrrev_b32_e32 v14, 5, v50
	v_and_or_b32 v14, v12, s3, v14
	v_lshlrev_b32_e32 v14, 4, v14
	v_lshlrev_b32_e32 v20, 11, v51
	v_and_b32_e32 v12, 0x78, v12
	v_or_b32_e32 v17, 32, v14
	v_and_b32_e32 v13, 0x1000, v20
	v_lshrrev_b32_e32 v21, 1, v0
	v_xor_b32_e32 v17, v17, v12
	v_and_b32_e32 v16, 8, v21
	v_or_b32_e32 v17, v17, v13
	v_xor_b32_e32 v15, v14, v12
	v_xor_b32_e32 v70, v17, v16
	v_or_b32_e32 v17, 64, v14
	v_or_b32_e32 v14, 0x60, v14
	v_xor_b32_e32 v17, v17, v12
	v_xor_b32_e32 v12, v14, v12
	v_or_b32_e32 v15, v15, v13
	v_or_b32_e32 v17, v17, v13
	;; [unrolled: 1-line block ×3, first 2 shown]
	v_xor_b32_e32 v68, v15, v16
	v_xor_b32_e32 v71, v17, v16
	;; [unrolled: 1-line block ×3, first 2 shown]
	v_lshrrev_b32_e32 v16, 4, v0
	v_lshlrev_b32_e32 v17, 1, v53
	s_ashr_i32 s3, s2, 31
	v_or_b32_e32 v18, 1, v17
	v_xor_b32_e32 v17, v16, v17
	s_lshl_b64 s[20:21], s[2:3], 8
	v_xor_b32_e32 v18, v18, v16
	v_lshlrev_b32_e32 v17, 3, v17
	v_lshlrev_b32_e32 v16, 8, v16
	v_lshlrev_b64 v[12:13], 1, v[42:43]
	s_add_u32 s20, s18, s20
	v_or3_b32 v43, v17, v16, s22
	v_lshlrev_b32_e32 v17, 3, v18
	s_addc_u32 s21, s19, s21
	v_or3_b32 v74, v17, v16, s22
	v_mov_b32_e32 v17, 0
	v_lshl_add_u64 v[18:19], s[20:21], 0, v[16:17]
	v_lshlrev_b32_e32 v16, 4, v53
	s_movk_i32 s3, 0xff
	v_lshlrev_b32_e32 v25, 3, v51
	v_and_b32_e32 v21, 24, v21
	v_lshl_add_u64 v[44:45], v[18:19], 0, v[16:17]
	v_and_b32_e32 v18, 8, v0
	v_cmp_lt_u32_e32 vcc, s3, v0
	v_xor_b32_e32 v26, v25, v21
	v_or_b32_e32 v27, 0x440, v26
	v_cndmask_b32_e64 v24, 0, 1, vcc
	v_cmp_eq_u32_e32 vcc, 0, v18
	v_and_b32_e32 v16, 7, v0
	v_lshlrev_b32_e32 v19, 3, v16
	v_cndmask_b32_e32 v18, v27, v26, vcc
	v_lshlrev_b32_e32 v16, 7, v16
	v_or_b32_e32 v18, v18, v20
	v_xad_u32 v75, v18, v19, v16
	v_or_b32_e32 v18, 32, v21
	v_xor_b32_e32 v18, v25, v18
	v_or_b32_e32 v26, 0x440, v18
	v_cndmask_b32_e32 v18, v26, v18, vcc
	v_or_b32_e32 v18, v18, v20
	v_xad_u32 v76, v18, v19, v16
	v_or_b32_e32 v18, 64, v21
	v_xor_b32_e32 v18, v25, v18
	v_xor_b32_e32 v26, 0x440, v18
	v_cndmask_b32_e32 v18, v26, v18, vcc
	v_or_b32_e32 v18, v18, v20
	v_xad_u32 v77, v18, v19, v16
	v_or_b32_e32 v18, 0x60, v21
	v_xor_b32_e32 v18, v25, v18
	v_xor_b32_e32 v21, 0x440, v18
	v_and_b32_e32 v15, 0x78, v54
	v_cndmask_b32_e32 v18, v21, v18, vcc
	v_lshl_or_b32 v15, v52, 7, v15
	v_or_b32_e32 v18, v18, v20
	v_or_b32_e32 v69, 0x9000, v15
	v_or_b32_e32 v73, 0x9800, v15
	v_lshl_add_u64 v[14:15], s[8:9], 0, v[12:13]
	v_lshl_add_u64 v[12:13], s[28:29], 0, v[12:13]
	v_lshlrev_b32_e32 v22, 1, v11
	v_add_lshl_u32 v11, v11, s15, 1
	v_or_b32_e32 v23, 0x100, v10
	v_lshlrev_b32_e32 v24, 13, v24
	v_xad_u32 v78, v18, v19, v16
	v_lshlrev_b32_e32 v16, 8, v56
	v_cndmask_b32_e64 v79, v22, v10, s[0:1]
	v_cndmask_b32_e64 v80, v11, v23, s[0:1]
	v_lshl_add_u64 v[46:47], v[14:15], 0, v[16:17]
	v_lshl_add_u64 v[48:49], v[12:13], 0, v[16:17]
	s_mov_b32 s3, 0x7060302
	s_movk_i32 s22, 0x4000
	v_add_u32_e32 v82, v24, v75
	v_add_u32_e32 v83, v24, v76
	;; [unrolled: 1-line block ×4, first 2 shown]
	s_waitcnt lgkmcnt(0)
	s_barrier
.LBB747_32:                             ; =>This Inner Loop Header: Depth=1
	s_add_i32 s35, s37, 1
	s_cmp_lt_i32 s35, s51
	s_mov_b64 s[24:25], 0
	s_cselect_b64 s[42:43], -1, 0
	s_cmp_ge_i32 s35, s51
	s_mov_b64 s[20:21], 0
	s_cbranch_scc1 .LBB747_34
; %bb.33:                               ;   in Loop: Header=BB747_32 Depth=1
	s_add_i32 s0, s61, 64
	s_add_u32 s0, s16, s0
	s_addc_u32 s1, s17, 0
	s_lshl_b64 s[0:1], s[0:1], 8
	s_add_u32 s20, s6, s0
	s_addc_u32 s21, s7, s1
.LBB747_34:                             ;   in Loop: Header=BB747_32 Depth=1
	v_cndmask_b32_e64 v10, 0, 1, s[42:43]
	v_cmp_ne_u32_e64 s[0:1], 1, v10
	s_andn2_b64 vcc, exec, s[42:43]
	s_cbranch_vccnz .LBB747_36
; %bb.35:                               ;   in Loop: Header=BB747_32 Depth=1
	s_add_i32 s24, s61, 64
	s_add_u32 s24, s64, s24
	s_addc_u32 s25, s65, 0
	s_mul_i32 s27, s24, s53
	s_mul_hi_u32 s42, s24, s58
	s_add_i32 s27, s42, s27
	s_mul_i32 s25, s25, s58
	s_add_i32 s27, s27, s25
	s_mul_i32 s24, s24, s58
	s_add_u32 s24, s24, s54
	s_addc_u32 s25, s27, s59
	s_lshl_b64 s[24:25], s[24:25], 8
	s_add_u32 s24, s4, s24
	s_addc_u32 s25, s5, s25
.LBB747_36:                             ;   in Loop: Header=BB747_32 Depth=1
	v_perm_b32 v11, v9, v8, s3
	v_perm_b32 v10, v7, v6, s3
	;; [unrolled: 1-line block ×4, first 2 shown]
	ds_write_b64 v64, v[10:11]
	ds_write_b64 v65, v[12:13]
	;; [unrolled: 1-line block ×4, first 2 shown]
	s_waitcnt lgkmcnt(0)
	s_barrier
	ds_read_b64 v[18:19], v68 offset:16384
	ds_read_b64 v[20:21], v70 offset:16384
	ds_read2st64_b64 v[10:13], v69 offset1:1
	ds_read2st64_b64 v[14:17], v69 offset0:2 offset1:3
	ds_read_b64 v[22:23], v71 offset:16384
	s_waitcnt lgkmcnt(2)
	v_mfma_f32_16x16x16_bf16 a[0:3], v[18:19], v[10:11], 0
	ds_read_b64 v[10:11], v72 offset:16384
	s_add_i32 s27, s61, 63
	s_mul_i32 s42, s27, s31
	v_mfma_f32_16x16x16_bf16 a[0:3], v[20:21], v[12:13], a[0:3]
	s_mul_hi_u32 s43, s27, s30
	s_add_i32 s43, s43, s42
	s_mul_i32 s42, s27, s30
	s_waitcnt lgkmcnt(1)
	v_mfma_f32_16x16x16_bf16 a[0:3], v[22:23], v[14:15], a[0:3]
	s_lshl_b64 s[42:43], s[42:43], 2
	s_add_u32 s42, s40, s42
	s_addc_u32 s43, s41, s43
	s_waitcnt lgkmcnt(0)
	v_mfma_f32_16x16x16_bf16 a[0:3], v[10:11], v[16:17], a[0:3]
	s_and_b64 vcc, exec, s[0:1]
	v_mov_b32_e32 v88, 0
	v_mov_b32_e32 v87, 0
	;; [unrolled: 1-line block ×19, first 2 shown]
	s_cbranch_vccnz .LBB747_38
; %bb.37:                               ;   in Loop: Header=BB747_32 Depth=1
	s_and_b32 s21, s21, 0xffff
	buffer_load_dwordx4 v[22:25], v60, s[20:23], 0 offen
	buffer_load_dwordx4 v[18:21], v60, s[20:23], s60 offen
	;; [unrolled: 1-line block ×4, first 2 shown]
	v_mov_b32_e32 v87, v62
	v_mov_b32_e32 v86, v63
.LBB747_38:                             ;   in Loop: Header=BB747_32 Depth=1
	s_waitcnt vmcnt(3)
	v_add_u32_e32 v32, s61, v56
	s_waitcnt vmcnt(1)
	v_ashrrev_i32_e32 v26, 31, v32
	v_mul_lo_u32 v28, v26, s30
	v_mul_lo_u32 v29, v32, s31
	v_mad_u64_u32 v[26:27], s[20:21], v32, s30, 0
	v_add3_u32 v27, v27, v29, v28
	v_add_u32_e32 v28, 1, v32
	v_ashrrev_i32_e32 v29, 31, v28
	v_mul_lo_u32 v30, v29, s30
	v_mul_lo_u32 v31, v28, s31
	v_mad_u64_u32 v[28:29], s[20:21], v28, s30, 0
	v_add3_u32 v29, v29, v31, v30
	v_add_u32_e32 v30, 2, v32
	v_ashrrev_i32_e32 v31, 31, v30
	v_mul_lo_u32 v33, v31, s30
	v_mul_lo_u32 v34, v30, s31
	v_mad_u64_u32 v[30:31], s[20:21], v30, s30, 0
	s_add_u32 s20, s16, s61
	v_add3_u32 v31, v31, v34, v33
	v_add_u32_e32 v34, 3, v32
	s_addc_u32 s21, s17, 0
	v_ashrrev_i32_e32 v32, 31, v34
	s_lshl_b64 s[66:67], s[20:21], 8
	v_lshl_add_u64 v[26:27], v[26:27], 2, s[40:41]
	v_mul_lo_u32 v35, v32, s30
	v_lshl_add_u64 v[32:33], v[46:47], 0, s[66:67]
	v_mul_lo_u32 v36, v34, s31
	global_load_ushort v90, v[32:33], off
	global_load_ushort v91, v[32:33], off offset:256
	global_load_ushort v92, v[32:33], off offset:512
	;; [unrolled: 1-line block ×3, first 2 shown]
	global_load_dword v94, v[26:27], off
	v_mad_u64_u32 v[26:27], s[20:21], v34, s30, 0
	v_lshl_add_u64 v[28:29], v[28:29], 2, s[40:41]
	v_add3_u32 v27, v27, v36, v35
	v_lshl_add_u64 v[30:31], v[30:31], 2, s[40:41]
	v_lshl_add_u64 v[26:27], v[26:27], 2, s[40:41]
	global_load_dword v95, v[28:29], off
	global_load_dword v96, v[30:31], off
	;; [unrolled: 1-line block ×3, first 2 shown]
	ds_read_b64 v[26:27], v68 offset:24576
	s_load_dword s20, s[42:43], 0x0
	ds_read_b64 v[36:37], v70 offset:24576
	ds_read2st64_b64 v[28:31], v73 offset1:1
	ds_read2st64_b64 v[32:35], v73 offset0:2 offset1:3
	ds_read_b64 v[38:39], v71 offset:24576
	ds_read_b64 v[40:41], v72 offset:24576
	s_waitcnt lgkmcnt(0)
	v_mfma_f32_16x16x16_bf16 a[0:3], v[26:27], v[28:29], a[0:3]
	v_mov_b32_e32 v89, 0
	v_mov_b32_e32 v26, 0
	;; [unrolled: 1-line block ×3, first 2 shown]
	v_mfma_f32_16x16x16_bf16 a[0:3], v[36:37], v[30:31], a[0:3]
	v_lshl_add_u64 v[36:37], v[48:49], 0, s[66:67]
	v_mov_b32_e32 v28, 0
	v_mov_b32_e32 v29, 0
	v_mfma_f32_16x16x16_bf16 a[0:3], v[38:39], v[32:33], a[0:3]
	v_mov_b32_e32 v30, 0
	v_mov_b32_e32 v31, 0
	;; [unrolled: 1-line block ×3, first 2 shown]
	v_mfma_f32_16x16x16_bf16 a[0:3], v[40:41], v[34:35], a[0:3]
	s_and_b64 vcc, exec, s[0:1]
	s_waitcnt vmcnt(7)
	v_lshlrev_b32_e32 v40, 16, v90
	s_nop 3
	v_accvgpr_read_b32 v39, a1
	v_accvgpr_read_b32 v35, a3
	;; [unrolled: 1-line block ×4, first 2 shown]
	s_waitcnt vmcnt(6)
	v_lshlrev_b32_e32 v41, 16, v91
	s_waitcnt vmcnt(4)
	v_lshlrev_b32_e32 v91, 16, v93
	v_lshlrev_b32_e32 v90, 16, v92
	s_waitcnt vmcnt(3)
	v_sub_f32_e32 v33, s20, v94
	v_pk_add_f32 v[38:39], v[40:41], v[38:39] neg_lo:[0,1] neg_hi:[0,1]
	v_pk_add_f32 v[34:35], v[90:91], v[34:35] neg_lo:[0,1] neg_hi:[0,1]
	v_mul_f32_e32 v33, 0x3fb8aa3b, v33
	s_waitcnt vmcnt(2)
	v_sub_f32_e32 v41, s20, v95
	s_waitcnt vmcnt(1)
	v_sub_f32_e32 v90, s20, v96
	;; [unrolled: 2-line block ×3, first 2 shown]
	v_exp_f32_e32 v40, v33
	v_mul_f32_e32 v33, 0x3fb8aa3b, v41
	v_mul_f32_e32 v90, 0x3fb8aa3b, v90
	;; [unrolled: 1-line block ×3, first 2 shown]
	v_exp_f32_e32 v41, v33
	v_exp_f32_e32 v90, v90
	;; [unrolled: 1-line block ×3, first 2 shown]
	global_store_short_d16_hi v[36:37], v38, off
	global_store_short_d16_hi v[36:37], v39, off offset:256
	global_store_short_d16_hi v[36:37], v34, off offset:512
	;; [unrolled: 1-line block ×3, first 2 shown]
	v_pk_mul_f32 v[36:37], v[40:41], v[38:39]
	v_pk_mul_f32 v[34:35], v[90:91], v[34:35]
	v_mov_b32_e32 v33, 0
	v_perm_b32 v35, v35, v34, s3
	v_perm_b32 v34, v37, v36, s3
	ds_write_b64 v65, v[34:35]
	v_mov_b32_e32 v34, 0
	v_mov_b32_e32 v35, 0
	;; [unrolled: 1-line block ×8, first 2 shown]
	s_cbranch_vccnz .LBB747_40
; %bb.39:                               ;   in Loop: Header=BB747_32 Depth=1
	s_and_b32 s25, s25, 0xffff
	s_mov_b32 s27, s23
	buffer_load_dwordx4 v[38:41], v79, s[24:27], 0 offen
	buffer_load_dwordx4 v[30:33], v79, s[24:27], s60 offen
	;; [unrolled: 1-line block ×4, first 2 shown]
	v_mov_b32_e32 v88, v59
	v_mov_b32_e32 v89, v58
.LBB747_40:                             ;   in Loop: Header=BB747_32 Depth=1
	s_waitcnt lgkmcnt(0)
	s_barrier
	ds_read_b64 v[98:99], v82
	ds_read2st64_b64 v[90:93], v73 offset1:1
	ds_read2st64_b64 v[94:97], v73 offset0:2 offset1:3
	ds_read_b64 v[100:101], v83
	ds_read_b64 v[102:103], v84
	ds_read_b64 v[104:105], v85
	s_waitcnt lgkmcnt(4)
	v_mfma_f32_16x16x16_bf16 a[0:3], v[98:99], v[90:91], 0
	ds_read_b64 v[98:99], v75 offset:8192
	ds_read_b64 v[106:107], v76 offset:8192
	s_add_i32 s21, s55, s37
	s_mul_hi_i32 s25, s21, s13
	s_waitcnt lgkmcnt(1)
	v_mfma_f32_16x16x16_bf16 a[4:7], v[98:99], v[90:91], 0
	s_mul_i32 s21, s21, s13
	s_add_u32 s24, s21, s48
	s_addc_u32 s25, s25, s52
	v_mfma_f32_16x16x16_bf16 a[0:3], v[100:101], v[92:93], a[0:3]
	ds_read_b64 v[98:99], v43
	ds_read_b64 v[100:101], v74
	ds_read_b64 v[90:91], v77 offset:8192
	s_lshl_b64 s[24:25], s[24:25], 15
	v_mfma_f32_16x16x16_bf16 a[0:3], v[102:103], v[94:95], a[0:3]
	ds_read_b64 v[102:103], v78 offset:8192
	s_and_b64 vcc, exec, s[0:1]
	s_waitcnt lgkmcnt(4)
	v_mfma_f32_16x16x16_bf16 a[4:7], v[106:107], v[92:93], a[4:7]
	s_waitcnt lgkmcnt(1)
	v_mfma_f32_16x16x16_bf16 a[4:7], v[90:91], v[94:95], a[4:7]
	v_lshl_add_u64 v[90:91], v[44:45], 0, s[24:25]
	global_store_dwordx4 v[90:91], v[98:101], off
	v_mfma_f32_16x16x16_bf16 a[0:3], v[104:105], v[96:97], a[0:3]
	s_waitcnt lgkmcnt(0)
	v_mfma_f32_16x16x16_bf16 a[4:7], v[102:103], v[96:97], a[4:7]
	s_cbranch_vccnz .LBB747_42
; %bb.41:                               ;   in Loop: Header=BB747_32 Depth=1
	v_lshrrev_b32_e32 v90, 3, v88
	v_and_b32_e32 v90, 6, v90
	v_xor_b32_e32 v89, v90, v89
	v_lshlrev_b32_e32 v89, 2, v89
	v_and_b32_e32 v88, 8, v88
	v_xor_b32_e32 v91, 0x440, v89
	v_cmp_eq_u32_e32 vcc, 0, v88
	s_barrier
	s_nop 0
	v_cndmask_b32_e32 v88, v91, v89, vcc
	v_lshl_or_b32 v88, v90, 10, v88
	s_waitcnt vmcnt(2)
	v_perm_b32 v89, v38, v34, s62
	s_waitcnt vmcnt(1)
	v_perm_b32 v90, v30, v26, s62
	ds_write2st64_b32 v88, v89, v90 offset1:32
	v_xor_b32_e32 v89, 8, v88
	v_perm_b32 v34, v38, v34, s63
	v_perm_b32 v26, v30, v26, s63
	v_add_u32_e32 v30, 0x80, v89
	ds_write2st64_b32 v30, v34, v26 offset1:32
	v_xor_b32_e32 v26, 16, v88
	v_perm_b32 v30, v39, v35, s62
	v_perm_b32 v34, v31, v27, s62
	ds_write2st64_b32 v26, v30, v34 offset0:1 offset1:33
	v_xor_b32_e32 v26, 24, v88
	v_perm_b32 v30, v39, v35, s63
	v_perm_b32 v27, v31, v27, s63
	v_add_u32_e32 v26, 0x80, v26
	ds_write2st64_b32 v26, v30, v27 offset0:1 offset1:33
	v_xor_b32_e32 v26, 32, v88
	v_perm_b32 v27, v40, v36, s62
	v_perm_b32 v30, v32, v28, s62
	ds_write2st64_b32 v26, v27, v30 offset0:2 offset1:34
	v_xor_b32_e32 v26, 40, v88
	v_perm_b32 v27, v40, v36, s63
	v_perm_b32 v28, v32, v28, s63
	v_add_u32_e32 v26, 0x80, v26
	ds_write2st64_b32 v26, v27, v28 offset0:2 offset1:34
	;; [unrolled: 9-line block ×3, first 2 shown]
	ds_write_b64 v87, v[22:23] offset:16384
	v_xor_b32_e32 v22, 8, v87
	ds_write_b64 v22, v[24:25] offset:16384
	ds_write_b64 v87, v[18:19] offset:24576
	;; [unrolled: 1-line block ×4, first 2 shown]
	v_xor_b32_e32 v14, 8, v86
	ds_write_b64 v14, v[16:17] offset:16384
	ds_write_b64 v86, v[10:11] offset:24576
	;; [unrolled: 1-line block ×3, first 2 shown]
.LBB747_42:                             ;   in Loop: Header=BB747_32 Depth=1
	v_mul_f32_e32 v10, s20, v81
	v_exp_f32_e32 v12, v10
	s_nop 1
	v_accvgpr_read_b32 v11, a1
	v_accvgpr_read_b32 v10, a0
	s_add_i32 s61, s61, 64
	v_fma_f32 v7, v7, v12, v11
	v_accvgpr_read_b32 v11, a3
	v_fmac_f32_e32 v11, v9, v12
	v_accvgpr_read_b32 v9, a4
	v_fma_f32 v6, v6, v12, v10
	v_accvgpr_read_b32 v10, a2
	v_fma_f32 v2, v2, v12, v9
	;; [unrolled: 2-line block ×3, first 2 shown]
	v_fma_f32 v3, v3, v12, v9
	v_accvgpr_read_b32 v9, a6
	v_accvgpr_read_b32 v10, a7
	v_fma_f32 v4, v4, v12, v9
	s_cmp_eq_u32 s51, s35
	v_fmac_f32_e32 v10, v5, v12
	s_cbranch_scc1 .LBB747_4
; %bb.43:                               ;   in Loop: Header=BB747_32 Depth=1
	s_mov_b32 s37, s35
	v_mov_b32_e32 v9, v11
	v_mov_b32_e32 v5, v10
	s_branch .LBB747_32
.LBB747_44:
                                        ; implicit-def: $vgpr5
                                        ; implicit-def: $vgpr9
                                        ; implicit-def: $vgpr13
                                        ; implicit-def: $vgpr17
	s_cbranch_execz .LBB747_46
; %bb.45:
	s_waitcnt vmcnt(0)
	v_mad_u64_u32 v[2:3], s[0:1], v20, s15, v[18:19]
	v_lshlrev_b32_e32 v20, 1, v2
	s_lshl_b32 s2, s15, 7
	s_and_b32 s1, s5, 0xffff
	s_mov_b32 s3, 0x20000
	s_mov_b32 s0, s4
	v_add_lshl_u32 v21, v2, s15, 1
	s_movk_i32 s13, 0x80
	buffer_load_dwordx4 v[2:5], v20, s[0:3], 0 offen
	buffer_load_dwordx4 v[10:13], v20, s[0:3], s13 offen
	;; [unrolled: 1-line block ×4, first 2 shown]
.LBB747_46:
	v_lshrrev_b32_e32 v37, 2, v50
	s_cbranch_execnz .LBB747_59
.LBB747_47:
	s_and_b64 vcc, exec, s[6:7]
	s_cbranch_vccz .LBB747_57
; %bb.48:
	s_waitcnt vmcnt(0)
	v_lshlrev_b32_e32 v7, 1, v35
	v_cmp_gt_i32_e32 vcc, s27, v7
	v_mov_b32_e32 v6, 0
	v_lshlrev_b32_e32 v14, 9, v35
	v_mov_b32_e32 v2, 0
	v_mov_b32_e32 v3, 0
	;; [unrolled: 1-line block ×4, first 2 shown]
	s_and_saveexec_b64 s[0:1], vcc
	s_cbranch_execz .LBB747_50
; %bb.49:
	v_mov_b32_e32 v15, 0
	v_lshl_add_u64 v[2:3], s[4:5], 0, v[14:15]
	v_lshlrev_b32_e32 v4, 1, v18
	v_mov_b32_e32 v5, v15
	v_lshl_add_u64 v[2:3], v[2:3], 0, v[4:5]
	global_load_dwordx4 v[2:5], v[2:3], off
.LBB747_50:
	s_or_b64 exec, exec, s[0:1]
	v_or_b32_e32 v7, 1, v7
	v_cmp_gt_i32_e64 s[0:1], s27, v7
	v_lshlrev_b32_e32 v20, 8, v7
	v_mov_b32_e32 v7, 0
	v_mov_b32_e32 v8, 0
	;; [unrolled: 1-line block ×3, first 2 shown]
	s_and_saveexec_b64 s[2:3], s[0:1]
	s_cbranch_execz .LBB747_52
; %bb.51:
	v_mov_b32_e32 v21, 0
	v_lshl_add_u64 v[6:7], s[4:5], 0, v[20:21]
	v_lshlrev_b32_e32 v8, 1, v18
	v_mov_b32_e32 v9, v21
	v_lshl_add_u64 v[6:7], v[6:7], 0, v[8:9]
	global_load_dwordx4 v[6:9], v[6:7], off
.LBB747_52:
	s_or_b64 exec, exec, s[2:3]
	v_mov_b32_e32 v17, 0
	v_mov_b32_e32 v10, 0
	;; [unrolled: 1-line block ×5, first 2 shown]
	s_and_saveexec_b64 s[2:3], vcc
	s_cbranch_execz .LBB747_54
; %bb.53:
	v_mov_b32_e32 v15, 0
	v_lshl_add_u64 v[10:11], s[4:5], 0, v[14:15]
	v_lshlrev_b32_e32 v14, 1, v18
	v_lshl_add_u64 v[10:11], v[10:11], 0, v[14:15]
	global_load_dwordx4 v[10:13], v[10:11], off offset:128
.LBB747_54:
	s_or_b64 exec, exec, s[2:3]
	v_mov_b32_e32 v16, 0
	v_mov_b32_e32 v15, 0
	;; [unrolled: 1-line block ×3, first 2 shown]
	s_and_saveexec_b64 s[2:3], s[0:1]
	s_cbranch_execz .LBB747_56
; %bb.55:
	v_mov_b32_e32 v21, 0
	v_lshl_add_u64 v[14:15], s[4:5], 0, v[20:21]
	v_lshlrev_b32_e32 v20, 1, v18
	v_lshl_add_u64 v[14:15], v[14:15], 0, v[20:21]
	global_load_dwordx4 v[14:17], v[14:15], off offset:128
.LBB747_56:
	s_or_b64 exec, exec, s[2:3]
	s_branch .LBB747_59
.LBB747_57:
                                        ; implicit-def: $vgpr5
                                        ; implicit-def: $vgpr9
                                        ; implicit-def: $vgpr13
                                        ; implicit-def: $vgpr17
	s_cbranch_execz .LBB747_59
; %bb.58:
	s_waitcnt vmcnt(0)
	v_lshlrev_b32_e32 v2, 1, v18
	v_lshl_or_b32 v18, v35, 9, v2
	s_and_b32 s5, s5, 0xffff
	s_mov_b32 s7, 0x20000
	s_movk_i32 s6, 0x4000
	s_movk_i32 s0, 0x80
	buffer_load_dwordx4 v[2:5], v18, s[4:7], 0 offen
	buffer_load_dwordx4 v[6:9], v18, s[4:7], 0 offen offset:256
	buffer_load_dwordx4 v[10:13], v18, s[4:7], s0 offen
	buffer_load_dwordx4 v[14:17], v18, s[4:7], s0 offen offset:256
.LBB747_59:
	ds_read2st64_b64 v[22:25], v19 offset0:76 offset1:77
	ds_read2st64_b64 v[18:21], v19 offset0:78 offset1:79
	ds_read_b64 v[32:33], v26 offset:24576
	ds_read_b64 v[30:31], v27 offset:24576
	;; [unrolled: 1-line block ×4, first 2 shown]
	v_and_b32_e32 v36, 6, v0
	v_xor_b32_e32 v35, v35, v36
	v_lshlrev_b32_e32 v35, 2, v35
	v_and_b32_e32 v0, 1, v0
	v_xor_b32_e32 v38, 0x440, v35
	v_cmp_eq_u32_e32 vcc, 0, v0
	s_mov_b32 s0, 0x1000504
	s_mov_b32 s1, 0x3020706
	v_cndmask_b32_e32 v0, v38, v35, vcc
	v_lshl_or_b32 v0, v36, 10, v0
	s_waitcnt vmcnt(0)
	v_perm_b32 v35, v2, v6, s0
	v_perm_b32 v36, v10, v14, s0
	ds_write2st64_b32 v0, v35, v36 offset1:32
	v_xor_b32_e32 v35, 8, v0
	v_perm_b32 v2, v2, v6, s1
	v_perm_b32 v6, v10, v14, s1
	v_add_u32_e32 v10, 0x80, v35
	ds_write2st64_b32 v10, v2, v6 offset1:32
	v_xor_b32_e32 v2, 16, v0
	v_perm_b32 v6, v3, v7, s0
	v_perm_b32 v10, v11, v15, s0
	ds_write2st64_b32 v2, v6, v10 offset0:1 offset1:33
	v_xor_b32_e32 v2, 24, v0
	v_perm_b32 v3, v3, v7, s1
	v_perm_b32 v6, v11, v15, s1
	v_add_u32_e32 v2, 0x80, v2
	ds_write2st64_b32 v2, v3, v6 offset0:1 offset1:33
	v_xor_b32_e32 v2, 32, v0
	v_perm_b32 v3, v4, v8, s0
	v_perm_b32 v6, v12, v16, s0
	ds_write2st64_b32 v2, v3, v6 offset0:2 offset1:34
	v_xor_b32_e32 v2, 40, v0
	v_perm_b32 v3, v4, v8, s1
	v_perm_b32 v4, v12, v16, s1
	v_add_u32_e32 v2, 0x80, v2
	ds_write2st64_b32 v2, v3, v4 offset0:2 offset1:34
	v_xor_b32_e32 v2, 48, v0
	v_perm_b32 v3, v5, v9, s0
	v_perm_b32 v4, v13, v17, s0
	v_xor_b32_e32 v0, 56, v0
	v_and_or_b32 v8, v37, 12, v1
	ds_write2st64_b32 v2, v3, v4 offset0:3 offset1:35
	v_perm_b32 v2, v5, v9, s1
	v_perm_b32 v3, v13, v17, s1
	v_add_u32_e32 v0, 0x80, v0
	v_cmp_gt_i32_e32 vcc, s27, v8
	v_mov_b32_e32 v9, 0
	v_mov_b32_e32 v14, 0
	ds_write2st64_b32 v0, v2, v3 offset0:3 offset1:35
	s_and_saveexec_b64 s[0:1], vcc
	s_cbranch_execz .LBB747_61
; %bb.60:
	v_add_u32_e32 v0, s26, v8
	v_ashrrev_i32_e32 v1, 31, v0
	v_mul_lo_u32 v2, v1, s30
	v_mul_lo_u32 v3, v0, s31
	v_mad_u64_u32 v[0:1], s[2:3], v0, s30, 0
	v_add3_u32 v1, v1, v3, v2
	v_lshl_add_u64 v[0:1], v[0:1], 2, s[10:11]
	global_load_dword v0, v[0:1], off
	s_waitcnt vmcnt(0)
	v_sub_f32_e32 v0, s12, v0
	v_mul_f32_e32 v0, 0x3fb8aa3b, v0
	v_exp_f32_e32 v14, v0
.LBB747_61:
	s_or_b64 exec, exec, s[0:1]
	v_or_b32_e32 v12, 1, v8
	v_cmp_gt_i32_e64 s[2:3], s27, v12
	s_and_saveexec_b64 s[0:1], s[2:3]
	s_cbranch_execz .LBB747_63
; %bb.62:
	v_add_u32_e32 v0, s26, v12
	v_ashrrev_i32_e32 v1, 31, v0
	v_mul_lo_u32 v2, v1, s30
	v_mul_lo_u32 v3, v0, s31
	v_mad_u64_u32 v[0:1], s[4:5], v0, s30, 0
	v_add3_u32 v1, v1, v3, v2
	v_lshl_add_u64 v[0:1], v[0:1], 2, s[10:11]
	global_load_dword v0, v[0:1], off
	s_waitcnt vmcnt(0)
	v_sub_f32_e32 v0, s12, v0
	v_mul_f32_e32 v0, 0x3fb8aa3b, v0
	v_exp_f32_e32 v9, v0
.LBB747_63:
	s_or_b64 exec, exec, s[0:1]
	v_or_b32_e32 v11, 2, v8
	v_cmp_gt_i32_e64 s[0:1], s27, v11
	v_mov_b32_e32 v10, 0
	v_mov_b32_e32 v15, 0
	s_and_saveexec_b64 s[4:5], s[0:1]
	s_cbranch_execz .LBB747_65
; %bb.64:
	v_add_u32_e32 v0, s26, v11
	v_ashrrev_i32_e32 v1, 31, v0
	v_mul_lo_u32 v2, v1, s30
	v_mul_lo_u32 v3, v0, s31
	v_mad_u64_u32 v[0:1], s[6:7], v0, s30, 0
	v_add3_u32 v1, v1, v3, v2
	v_lshl_add_u64 v[0:1], v[0:1], 2, s[10:11]
	global_load_dword v0, v[0:1], off
	s_waitcnt vmcnt(0)
	v_sub_f32_e32 v0, s12, v0
	v_mul_f32_e32 v0, 0x3fb8aa3b, v0
	v_exp_f32_e32 v15, v0
.LBB747_65:
	s_or_b64 exec, exec, s[4:5]
	v_or_b32_e32 v13, 3, v8
	v_cmp_gt_i32_e64 s[4:5], s27, v13
	s_and_saveexec_b64 s[6:7], s[4:5]
	s_cbranch_execz .LBB747_67
; %bb.66:
	v_add_u32_e32 v0, s26, v13
	v_ashrrev_i32_e32 v1, 31, v0
	v_mul_lo_u32 v2, v1, s30
	v_mul_lo_u32 v3, v0, s31
	v_mad_u64_u32 v[0:1], s[14:15], v0, s30, 0
	v_add3_u32 v1, v1, v3, v2
	v_lshl_add_u64 v[0:1], v[0:1], 2, s[10:11]
	global_load_dword v0, v[0:1], off
	s_waitcnt vmcnt(0)
	v_sub_f32_e32 v0, s12, v0
	v_mul_f32_e32 v0, 0x3fb8aa3b, v0
	v_exp_f32_e32 v10, v0
.LBB747_67:
	s_or_b64 exec, exec, s[6:7]
	s_waitcnt lgkmcnt(11)
	v_mfma_f32_16x16x16_bf16 a[0:3], v[32:33], v[22:23], a[0:3]
	s_add_u32 s6, s8, s20
	v_ashrrev_i32_e32 v43, 31, v42
	s_addc_u32 s7, s9, s21
	s_waitcnt lgkmcnt(10)
	v_mfma_f32_16x16x16_bf16 a[0:3], v[30:31], v[24:25], a[0:3]
	v_lshlrev_b64 v[0:1], 1, v[42:43]
	v_lshl_add_u64 v[4:5], s[6:7], 0, v[0:1]
	s_add_u32 s6, s28, s20
	s_waitcnt lgkmcnt(9)
	v_mfma_f32_16x16x16_bf16 a[0:3], v[28:29], v[18:19], a[0:3]
	s_addc_u32 s7, s29, s21
	v_lshl_add_u64 v[6:7], s[6:7], 0, v[0:1]
	v_mov_b32_e32 v16, 0
	s_waitcnt lgkmcnt(8)
	v_mfma_f32_16x16x16_bf16 a[0:3], v[26:27], v[20:21], a[0:3]
	v_mov_b32_e32 v17, 0
	s_nop 5
	v_accvgpr_read_b32 v0, a0
	v_accvgpr_read_b32 v1, a1
	;; [unrolled: 1-line block ×4, first 2 shown]
	s_and_saveexec_b64 s[6:7], vcc
	s_cbranch_execz .LBB747_69
; %bb.68:
	v_lshlrev_b32_e32 v18, 8, v8
	v_mov_b32_e32 v19, 0
	v_lshl_add_u64 v[20:21], v[4:5], 0, v[18:19]
	global_load_ushort v17, v[20:21], off
	v_lshl_add_u64 v[18:19], v[6:7], 0, v[18:19]
	s_waitcnt vmcnt(0)
	v_lshlrev_b32_e32 v17, 16, v17
	v_sub_f32_e32 v0, v17, v0
	global_store_short_d16_hi v[18:19], v0, off
	v_mul_f32_e32 v0, v14, v0
	v_lshrrev_b32_e32 v17, 16, v0
.LBB747_69:
	s_or_b64 exec, exec, s[6:7]
	s_and_saveexec_b64 s[6:7], s[2:3]
	s_cbranch_execz .LBB747_71
; %bb.70:
	v_lshlrev_b32_e32 v18, 8, v12
	v_mov_b32_e32 v19, 0
	v_lshl_add_u64 v[20:21], v[4:5], 0, v[18:19]
	global_load_ushort v0, v[20:21], off
	v_lshl_add_u64 v[18:19], v[6:7], 0, v[18:19]
	s_waitcnt vmcnt(0)
	v_lshlrev_b32_e32 v0, 16, v0
	v_sub_f32_e32 v0, v0, v1
	global_store_short_d16_hi v[18:19], v0, off
	v_mul_f32_e32 v0, v9, v0
	v_lshrrev_b32_e32 v16, 16, v0
.LBB747_71:
	s_or_b64 exec, exec, s[6:7]
	v_mov_b32_e32 v0, 0
	v_mov_b32_e32 v1, 0
	s_and_saveexec_b64 s[2:3], s[0:1]
	s_cbranch_execz .LBB747_73
; %bb.72:
	v_lshlrev_b32_e32 v18, 8, v11
	v_mov_b32_e32 v19, 0
	v_lshl_add_u64 v[20:21], v[4:5], 0, v[18:19]
	global_load_ushort v1, v[20:21], off
	v_lshl_add_u64 v[18:19], v[6:7], 0, v[18:19]
	s_waitcnt vmcnt(0)
	v_lshlrev_b32_e32 v1, 16, v1
	v_sub_f32_e32 v1, v1, v2
	global_store_short_d16_hi v[18:19], v1, off
	v_mul_f32_e32 v1, v15, v1
	v_lshrrev_b32_e32 v1, 16, v1
.LBB747_73:
	s_or_b64 exec, exec, s[2:3]
	s_and_saveexec_b64 s[0:1], s[4:5]
	s_cbranch_execz .LBB747_75
; %bb.74:
	v_lshlrev_b32_e32 v12, 8, v13
	v_mov_b32_e32 v13, 0
	v_lshl_add_u64 v[4:5], v[4:5], 0, v[12:13]
	global_load_ushort v0, v[4:5], off
	v_lshl_add_u64 v[4:5], v[6:7], 0, v[12:13]
	s_waitcnt vmcnt(0)
	v_lshlrev_b32_e32 v0, 16, v0
	v_sub_f32_e32 v0, v0, v3
	global_store_short_d16_hi v[4:5], v0, off
	v_mul_f32_e32 v0, v10, v0
	v_lshrrev_b32_e32 v0, 16, v0
.LBB747_75:
	s_or_b64 exec, exec, s[0:1]
	s_mov_b32 s0, 0x5040100
	v_lshlrev_b32_e32 v2, 1, v34
	v_perm_b32 v1, v0, v1, s0
	v_perm_b32 v0, v16, v17, s0
	v_lshl_or_b32 v2, v8, 5, v2
	ds_write_b64 v2, v[0:1] offset:38912
	s_waitcnt lgkmcnt(0)
	s_barrier
.LBB747_76:
	s_endpgm
	.section	.rodata,"a",@progbits
	.p2align	6, 0x0
	.amdhsa_kernel _ZN12_GLOBAL__N_139chunk_gated_delta_rule_fwd_h_hip_kernelILi16ELb1ELb0ELb1ELb0ELb0ELb0ELb1ELb0EEEvPK12hip_bfloat16S3_S3_PKfS5_PKvPS1_S8_PvPKiSB_iiiiilll
		.amdhsa_group_segment_fixed_size 40960
		.amdhsa_private_segment_fixed_size 0
		.amdhsa_kernarg_size 136
		.amdhsa_user_sgpr_count 2
		.amdhsa_user_sgpr_dispatch_ptr 0
		.amdhsa_user_sgpr_queue_ptr 0
		.amdhsa_user_sgpr_kernarg_segment_ptr 1
		.amdhsa_user_sgpr_dispatch_id 0
		.amdhsa_user_sgpr_kernarg_preload_length 0
		.amdhsa_user_sgpr_kernarg_preload_offset 0
		.amdhsa_user_sgpr_private_segment_size 0
		.amdhsa_uses_dynamic_stack 0
		.amdhsa_enable_private_segment 0
		.amdhsa_system_sgpr_workgroup_id_x 1
		.amdhsa_system_sgpr_workgroup_id_y 1
		.amdhsa_system_sgpr_workgroup_id_z 0
		.amdhsa_system_sgpr_workgroup_info 0
		.amdhsa_system_vgpr_workitem_id 0
		.amdhsa_next_free_vgpr 116
		.amdhsa_next_free_sgpr 68
		.amdhsa_accum_offset 108
		.amdhsa_reserve_vcc 1
		.amdhsa_float_round_mode_32 0
		.amdhsa_float_round_mode_16_64 0
		.amdhsa_float_denorm_mode_32 3
		.amdhsa_float_denorm_mode_16_64 3
		.amdhsa_dx10_clamp 1
		.amdhsa_ieee_mode 1
		.amdhsa_fp16_overflow 0
		.amdhsa_tg_split 0
		.amdhsa_exception_fp_ieee_invalid_op 0
		.amdhsa_exception_fp_denorm_src 0
		.amdhsa_exception_fp_ieee_div_zero 0
		.amdhsa_exception_fp_ieee_overflow 0
		.amdhsa_exception_fp_ieee_underflow 0
		.amdhsa_exception_fp_ieee_inexact 0
		.amdhsa_exception_int_div_zero 0
	.end_amdhsa_kernel
	.section	.text._ZN12_GLOBAL__N_139chunk_gated_delta_rule_fwd_h_hip_kernelILi16ELb1ELb0ELb1ELb0ELb0ELb0ELb1ELb0EEEvPK12hip_bfloat16S3_S3_PKfS5_PKvPS1_S8_PvPKiSB_iiiiilll,"axG",@progbits,_ZN12_GLOBAL__N_139chunk_gated_delta_rule_fwd_h_hip_kernelILi16ELb1ELb0ELb1ELb0ELb0ELb0ELb1ELb0EEEvPK12hip_bfloat16S3_S3_PKfS5_PKvPS1_S8_PvPKiSB_iiiiilll,comdat
.Lfunc_end747:
	.size	_ZN12_GLOBAL__N_139chunk_gated_delta_rule_fwd_h_hip_kernelILi16ELb1ELb0ELb1ELb0ELb0ELb0ELb1ELb0EEEvPK12hip_bfloat16S3_S3_PKfS5_PKvPS1_S8_PvPKiSB_iiiiilll, .Lfunc_end747-_ZN12_GLOBAL__N_139chunk_gated_delta_rule_fwd_h_hip_kernelILi16ELb1ELb0ELb1ELb0ELb0ELb0ELb1ELb0EEEvPK12hip_bfloat16S3_S3_PKfS5_PKvPS1_S8_PvPKiSB_iiiiilll
                                        ; -- End function
	.section	.AMDGPU.csdata,"",@progbits
; Kernel info:
; codeLenInByte = 7344
; NumSgprs: 74
; NumVgprs: 108
; NumAgprs: 8
; TotalNumVgprs: 116
; ScratchSize: 0
; MemoryBound: 0
; FloatMode: 240
; IeeeMode: 1
; LDSByteSize: 40960 bytes/workgroup (compile time only)
; SGPRBlocks: 9
; VGPRBlocks: 14
; NumSGPRsForWavesPerEU: 74
; NumVGPRsForWavesPerEU: 116
; AccumOffset: 108
; Occupancy: 1
; WaveLimiterHint : 1
; COMPUTE_PGM_RSRC2:SCRATCH_EN: 0
; COMPUTE_PGM_RSRC2:USER_SGPR: 2
; COMPUTE_PGM_RSRC2:TRAP_HANDLER: 0
; COMPUTE_PGM_RSRC2:TGID_X_EN: 1
; COMPUTE_PGM_RSRC2:TGID_Y_EN: 1
; COMPUTE_PGM_RSRC2:TGID_Z_EN: 0
; COMPUTE_PGM_RSRC2:TIDIG_COMP_CNT: 0
; COMPUTE_PGM_RSRC3_GFX90A:ACCUM_OFFSET: 26
; COMPUTE_PGM_RSRC3_GFX90A:TG_SPLIT: 0
	.section	.text._ZN12_GLOBAL__N_139chunk_gated_delta_rule_fwd_h_hip_kernelILi16ELb1ELb0ELb0ELb0ELb0ELb0ELb1ELb0EEEvPK12hip_bfloat16S3_S3_PKfS5_PKvPS1_S8_PvPKiSB_iiiiilll,"axG",@progbits,_ZN12_GLOBAL__N_139chunk_gated_delta_rule_fwd_h_hip_kernelILi16ELb1ELb0ELb0ELb0ELb0ELb0ELb1ELb0EEEvPK12hip_bfloat16S3_S3_PKfS5_PKvPS1_S8_PvPKiSB_iiiiilll,comdat
	.globl	_ZN12_GLOBAL__N_139chunk_gated_delta_rule_fwd_h_hip_kernelILi16ELb1ELb0ELb0ELb0ELb0ELb0ELb1ELb0EEEvPK12hip_bfloat16S3_S3_PKfS5_PKvPS1_S8_PvPKiSB_iiiiilll ; -- Begin function _ZN12_GLOBAL__N_139chunk_gated_delta_rule_fwd_h_hip_kernelILi16ELb1ELb0ELb0ELb0ELb0ELb0ELb1ELb0EEEvPK12hip_bfloat16S3_S3_PKfS5_PKvPS1_S8_PvPKiSB_iiiiilll
	.p2align	8
	.type	_ZN12_GLOBAL__N_139chunk_gated_delta_rule_fwd_h_hip_kernelILi16ELb1ELb0ELb0ELb0ELb0ELb0ELb1ELb0EEEvPK12hip_bfloat16S3_S3_PKfS5_PKvPS1_S8_PvPKiSB_iiiiilll,@function
_ZN12_GLOBAL__N_139chunk_gated_delta_rule_fwd_h_hip_kernelILi16ELb1ELb0ELb0ELb0ELb0ELb0ELb1ELb0EEEvPK12hip_bfloat16S3_S3_PKfS5_PKvPS1_S8_PvPKiSB_iiiiilll: ; @_ZN12_GLOBAL__N_139chunk_gated_delta_rule_fwd_h_hip_kernelILi16ELb1ELb0ELb0ELb0ELb0ELb0ELb1ELb0EEEvPK12hip_bfloat16S3_S3_PKfS5_PKvPS1_S8_PvPKiSB_iiiiilll
; %bb.0:
	s_load_dwordx4 s[12:15], s[0:1], 0x5c
	s_load_dwordx4 s[16:19], s[0:1], 0x28
	s_abs_i32 s6, s3
	s_ashr_i32 s5, s3, 31
	v_and_b32_e32 v51, 15, v0
	s_waitcnt lgkmcnt(0)
	s_abs_i32 s4, s13
	v_cvt_f32_u32_e32 v1, s4
	s_sub_i32 s8, 0, s4
	s_ashr_i32 s7, s13, 31
	s_xor_b32 s5, s5, s7
	v_rcp_iflag_f32_e32 v1, v1
	v_lshrrev_b32_e32 v49, 6, v0
	v_bfe_u32 v50, v0, 4, 2
	v_mov_b32_e32 v5, 0
	v_mul_f32_e32 v1, 0x4f7ffffe, v1
	v_cvt_u32_f32_e32 v1, v1
	v_and_b32_e32 v48, 63, v0
	v_lshrrev_b32_e32 v53, 3, v48
	v_lshlrev_b32_e32 v52, 3, v0
	v_readfirstlane_b32 s9, v1
	s_mul_i32 s8, s8, s9
	s_mul_hi_u32 s8, s9, s8
	s_add_i32 s9, s9, s8
	s_mul_hi_u32 s8, s6, s9
	s_mul_i32 s9, s8, s4
	s_sub_i32 s6, s6, s9
	s_add_i32 s10, s8, 1
	s_sub_i32 s9, s6, s4
	s_cmp_ge_u32 s6, s4
	s_cselect_b32 s8, s10, s8
	s_cselect_b32 s6, s9, s6
	s_add_i32 s9, s8, 1
	s_cmp_ge_u32 s6, s4
	s_cselect_b32 s6, s9, s8
	s_xor_b32 s6, s6, s5
	s_sub_i32 s48, s6, s5
	s_mul_i32 s6, s48, s13
	s_sub_i32 s46, s3, s6
	s_abs_i32 s3, s14
	v_cvt_f32_u32_e32 v1, s3
	s_add_i32 s8, s12, 63
	s_ashr_i32 s9, s8, 31
	s_lshr_b32 s5, s9, 26
	v_rcp_iflag_f32_e32 v1, v1
	s_ashr_i32 s47, s12, 31
	s_add_i32 s8, s8, s5
	s_lshr_b32 s5, s47, 26
	v_mul_f32_e32 v1, 0x4f7ffffe, v1
	v_cvt_u32_f32_e32 v1, v1
	s_add_i32 s5, s12, s5
	s_ashr_i32 s51, s14, 31
	s_ashr_i32 s24, s8, 6
	;; [unrolled: 1-line block ×3, first 2 shown]
	s_xor_b32 s5, s7, s51
	s_sub_i32 s7, 0, s3
	v_readfirstlane_b32 s8, v1
	s_mul_i32 s7, s7, s8
	s_mul_hi_u32 s7, s8, s7
	s_add_i32 s8, s8, s7
	s_mul_hi_u32 s7, s4, s8
	s_mul_i32 s8, s7, s3
	s_sub_i32 s4, s4, s8
	s_lshl_b32 s2, s2, 4
	s_add_i32 s8, s7, 1
	s_sub_i32 s9, s4, s3
	s_cmp_ge_u32 s4, s3
	s_cselect_b32 s7, s8, s7
	s_cselect_b32 s4, s9, s4
	s_add_i32 s8, s7, 1
	s_cmp_ge_u32 s4, s3
	s_cselect_b32 s3, s8, s7
	s_xor_b32 s3, s3, s5
	s_sub_i32 s3, s3, s5
	s_abs_i32 s4, s3
	v_cvt_f32_u32_e32 v1, s4
	s_sub_i32 s7, 0, s4
	s_abs_i32 s5, s46
	s_xor_b32 s3, s46, s3
	v_rcp_iflag_f32_e32 v1, v1
	s_ashr_i32 s3, s3, 31
	v_or_b32_e32 v42, s2, v51
	v_lshlrev_b32_e32 v2, 7, v42
	v_mul_f32_e32 v1, 0x4f7ffffe, v1
	v_cvt_u32_f32_e32 v1, v1
	v_ashrrev_i32_e32 v3, 31, v2
	s_mul_i32 s53, s48, s24
	v_readfirstlane_b32 s8, v1
	s_mul_i32 s7, s7, s8
	s_mul_hi_u32 s7, s8, s7
	s_add_i32 s8, s8, s7
	s_mul_hi_u32 s7, s5, s8
	s_mul_i32 s8, s7, s4
	s_sub_i32 s5, s5, s8
	s_add_i32 s8, s7, 1
	s_sub_i32 s9, s5, s4
	s_cmp_ge_u32 s5, s4
	s_cselect_b32 s7, s8, s7
	s_cselect_b32 s5, s9, s5
	s_add_i32 s8, s7, 1
	s_cmp_ge_u32 s5, s4
	s_cselect_b32 s4, s8, s7
	s_xor_b32 s4, s4, s3
	s_sub_i32 s52, s4, s3
	s_ashr_i32 s3, s48, 31
	s_ashr_i32 s50, s46, 31
	s_mul_hi_i32 s4, s48, s13
	s_add_u32 s36, s6, s46
	s_addc_u32 s37, s4, s50
	s_lshl_b64 s[4:5], s[36:37], 16
	v_lshlrev_b32_e32 v1, 4, v49
	s_add_u32 s4, s16, s4
	v_lshl_or_b32 v54, v50, 2, v1
	s_addc_u32 s5, s17, s5
	v_lshl_add_u64 v[2:3], v[2:3], 2, s[4:5]
	v_lshlrev_b32_e32 v4, 2, v54
	v_lshl_add_u64 v[10:11], v[2:3], 0, v[4:5]
	global_load_dwordx4 v[6:9], v[10:11], off
	global_load_dwordx4 v[2:5], v[10:11], off offset:256
	s_load_dwordx8 s[4:11], s[0:1], 0x0
	s_load_dwordx2 s[28:29], s[0:1], 0x80
	s_load_dwordx4 s[20:23], s[0:1], 0x70
	v_or_b32_e32 v55, 64, v54
	s_cmp_lt_i32 s12, 64
	s_mul_i32 s54, s37, s12
	s_mul_hi_u32 s55, s36, s12
	s_mul_i32 s16, s36, s12
	s_waitcnt lgkmcnt(0)
	s_mul_i32 s33, s48, s21
	s_mul_hi_u32 s42, s48, s20
	s_mul_i32 s43, s3, s20
	s_mul_i32 s34, s48, s20
	;; [unrolled: 1-line block ×3, first 2 shown]
	s_mul_hi_u32 s44, s46, s22
	s_mul_i32 s45, s50, s22
	s_mul_i32 s30, s46, s22
	s_cbranch_scc1 .LBB748_3
; %bb.1:
	s_add_i32 s17, s55, s54
	s_lshl_b64 s[0:1], s[16:17], 8
	v_and_b32_e32 v57, 56, v52
	s_add_u32 s20, s6, s0
	v_lshl_or_b32 v56, v49, 3, v53
	v_lshlrev_b32_e32 v10, 1, v57
	s_addc_u32 s0, s7, s1
	v_lshl_or_b32 v58, v56, 8, v10
	s_and_b32 s21, s0, 0xffff
	s_mov_b32 s23, 0x20000
	s_movk_i32 s22, 0x4000
	s_movk_i32 s0, 0x80
	v_or_b32_e32 v59, 0x2000, v58
	buffer_load_dwordx4 v[12:15], v58, s[20:23], 0 offen
	buffer_load_dwordx4 v[16:19], v58, s[20:23], s0 offen
	;; [unrolled: 1-line block ×4, first 2 shown]
	v_lshlrev_b32_e32 v11, 3, v56
	v_and_or_b32 v29, v0, 7, v11
	v_and_b32_e32 v11, 0x78, v11
	v_lshlrev_b32_e32 v29, 4, v29
	v_xor_b32_e32 v60, v29, v11
	v_mul_lo_u32 v28, v56, s15
	v_or_b32_e32 v61, 0x1000, v60
	v_xor_b32_e32 v11, 8, v60
	s_cmpk_eq_i32 s15, 0x80
	s_mov_b32 s56, s14
	v_xor_b32_e32 v29, 8, v61
	s_cselect_b64 s[0:1], -1, 0
	s_cmpk_lg_i32 s15, 0x80
	s_waitcnt vmcnt(3)
	ds_write_b64 v60, v[12:13] offset:16384
	ds_write_b64 v11, v[14:15] offset:16384
	s_waitcnt vmcnt(2)
	ds_write_b64 v60, v[16:17] offset:24576
	ds_write_b64 v11, v[18:19] offset:24576
	;; [unrolled: 3-line block ×4, first 2 shown]
	v_lshl_add_u32 v11, v28, 1, v57
	s_cbranch_scc0 .LBB748_29
; %bb.2:
	v_lshlrev_b32_e32 v13, 1, v11
	v_add_lshl_u32 v12, v11, s15, 1
	s_lshl_b32 s22, s15, 7
	v_lshl_or_b32 v10, v56, 9, v10
	s_cbranch_execz .LBB748_30
	s_branch .LBB748_31
.LBB748_3:
	s_waitcnt vmcnt(0)
	v_mov_b32_e32 v10, v5
	v_mov_b32_e32 v11, v9
.LBB748_4:
	s_lshl_b32 s26, s49, 6
	s_sub_i32 s27, s12, s26
	s_cmp_gt_i32 s27, 0
	s_cbranch_scc0 .LBB748_76
; %bb.5:
	s_ashr_i32 s3, s26, 31
	s_cmpk_lg_i32 s15, 0x80
	s_cselect_b64 s[22:23], -1, 0
	s_and_b64 vcc, exec, s[22:23]
	s_cbranch_vccz .LBB748_7
; %bb.6:
	s_mul_i32 s1, s48, s12
	s_mul_hi_i32 s0, s48, s12
	s_add_u32 s1, s1, s26
	s_addc_u32 s0, s0, s3
	s_mul_i32 s17, s1, s51
	s_mul_hi_u32 s20, s1, s14
	s_add_i32 s17, s20, s17
	s_mul_i32 s0, s0, s14
	s_add_i32 s17, s17, s0
	s_mul_i32 s1, s1, s14
	s_ashr_i32 s0, s52, 31
	s_add_u32 s24, s1, s52
	s_addc_u32 s25, s17, s0
	s_cbranch_execz .LBB748_8
	s_branch .LBB748_9
.LBB748_7:
                                        ; implicit-def: $sgpr24_sgpr25
.LBB748_8:
	s_mul_hi_i32 s0, s48, s14
	s_mul_i32 s48, s48, s14
	s_ashr_i32 s1, s52, 31
	s_add_u32 s14, s48, s52
	s_addc_u32 s0, s0, s1
	s_mul_i32 s1, s14, s47
	s_mul_hi_u32 s17, s14, s12
	s_add_i32 s1, s17, s1
	s_mul_i32 s0, s0, s12
	s_add_i32 s1, s1, s0
	s_mul_i32 s14, s14, s12
	s_add_u32 s24, s14, s26
	s_addc_u32 s25, s1, s3
.LBB748_9:
	s_mul_i32 s0, s36, s47
	s_add_i32 s0, s55, s0
	s_add_i32 s14, s53, s49
	;; [unrolled: 1-line block ×3, first 2 shown]
	s_add_u32 s0, s16, s26
	s_addc_u32 s1, s1, s3
	s_mov_b32 s3, 0x7060302
	v_perm_b32 v5, v10, v4, s3
	v_perm_b32 v4, v3, v2, s3
	v_lshlrev_b32_e32 v2, 3, v51
	s_lshl_b64 s[20:21], s[0:1], 8
	v_perm_b32 v9, v11, v8, s3
	v_perm_b32 v8, v7, v6, s3
	s_waitcnt vmcnt(2)
	v_lshlrev_b32_e32 v34, 2, v51
	v_lshl_or_b32 v2, v54, 5, v2
	s_add_u32 s0, s6, s20
	ds_write2st64_b64 v2, v[8:9], v[4:5] offset0:72 offset1:76
	v_xor_b32_e32 v2, v54, v34
	v_lshlrev_b32_e32 v3, 8, v51
	s_addc_u32 s1, s7, s21
	v_lshl_or_b32 v2, v2, 1, v3
	s_mul_hi_i32 s3, s14, s13
	s_mul_i32 s14, s14, s13
	ds_write_b64 v2, v[8:9] offset:32768
	v_xor_b32_e32 v2, v55, v34
	s_add_u32 s6, s14, s46
	v_lshl_or_b32 v2, v2, 1, v3
	s_addc_u32 s7, s3, s50
	v_lshlrev_b32_e32 v3, 1, v51
	ds_write_b64 v2, v[4:5] offset:32768
	v_lshrrev_b32_e32 v2, 4, v0
	s_ashr_i32 s3, s2, 31
	s_lshl_b64 s[6:7], s[6:7], 15
	v_or_b32_e32 v4, 1, v3
	s_add_u32 s6, s18, s6
	v_xor_b32_e32 v3, v2, v3
	v_xor_b32_e32 v4, v4, v2
	v_lshlrev_b32_e32 v6, 8, v2
	s_addc_u32 s7, s19, s7
	s_lshl_b64 s[2:3], s[2:3], 8
	v_lshl_or_b32 v2, v3, 3, v6
	v_lshl_or_b32 v4, v4, 3, v6
	s_waitcnt lgkmcnt(0)
	s_barrier
	s_add_u32 s2, s6, s2
	ds_read_b64 v[2:3], v2 offset:32768
	ds_read_b64 v[4:5], v4 offset:32768
	s_addc_u32 s3, s7, s3
	v_mov_b32_e32 v7, 0
	s_cmp_lg_u32 s27, 64
	v_lshl_add_u64 v[8:9], s[2:3], 0, v[6:7]
	v_lshlrev_b32_e32 v6, 4, v51
	s_cselect_b64 s[6:7], -1, 0
	v_lshl_or_b32 v35, v49, 3, v53
	s_mov_b32 s16, 0
	v_lshl_add_u64 v[6:7], v[8:9], 0, v[6:7]
	v_or_b32_e32 v19, 32, v35
	v_and_b32_e32 v18, 56, v52
	s_and_b64 vcc, exec, s[6:7]
	s_waitcnt lgkmcnt(0)
	global_store_dwordx4 v[6:7], v[2:5], off
	s_cbranch_vccz .LBB748_15
; %bb.10:
	s_mov_b32 s17, s16
	s_mov_b32 s18, s16
	;; [unrolled: 1-line block ×3, first 2 shown]
	v_mov_b64_e32 v[6:7], s[16:17]
	v_mov_b64_e32 v[8:9], s[18:19]
	;; [unrolled: 1-line block ×3, first 2 shown]
	v_cmp_gt_i32_e32 vcc, s27, v35
	v_mov_b64_e32 v[4:5], v[8:9]
	s_and_saveexec_b64 s[2:3], vcc
	s_cbranch_execz .LBB748_12
; %bb.11:
	v_lshlrev_b32_e32 v2, 8, v35
	v_mov_b32_e32 v3, 0
	v_lshl_add_u64 v[4:5], s[0:1], 0, v[2:3]
	v_lshlrev_b32_e32 v2, 1, v18
	v_lshl_add_u64 v[10:11], v[4:5], 0, v[2:3]
	global_load_dwordx4 v[6:9], v[10:11], off
	global_load_dwordx4 v[2:5], v[10:11], off offset:128
.LBB748_12:
	s_or_b64 exec, exec, s[2:3]
	s_mov_b32 s17, s16
	s_mov_b32 s18, s16
	s_mov_b32 s19, s16
	v_mov_b64_e32 v[14:15], s[16:17]
	v_mov_b64_e32 v[16:17], s[18:19]
	;; [unrolled: 1-line block ×3, first 2 shown]
	v_cmp_gt_i32_e32 vcc, s27, v19
	v_lshlrev_b32_e32 v20, 7, v19
	v_mov_b64_e32 v[12:13], v[16:17]
	s_and_saveexec_b64 s[2:3], vcc
	s_cbranch_execz .LBB748_14
; %bb.13:
	v_lshlrev_b32_e32 v10, 1, v20
	v_mov_b32_e32 v11, 0
	v_lshl_add_u64 v[12:13], s[0:1], 0, v[10:11]
	v_lshlrev_b32_e32 v10, 1, v18
	v_lshl_add_u64 v[22:23], v[12:13], 0, v[10:11]
	global_load_dwordx4 v[14:17], v[22:23], off
	global_load_dwordx4 v[10:13], v[22:23], off offset:128
.LBB748_14:
	s_or_b64 exec, exec, s[2:3]
	v_lshrrev_b32_e32 v21, 3, v18
	v_lshlrev_b32_e32 v22, 3, v35
	v_or_b32_e32 v21, v22, v21
	v_lshlrev_b32_e32 v21, 4, v21
	v_and_b32_e32 v22, 0x78, v22
	v_xor_b32_e32 v21, v21, v22
	s_branch .LBB748_17
.LBB748_15:
                                        ; implicit-def: $vgpr21
                                        ; implicit-def: $vgpr20
                                        ; implicit-def: $vgpr6_vgpr7_vgpr8_vgpr9
                                        ; implicit-def: $vgpr2_vgpr3_vgpr4_vgpr5
                                        ; implicit-def: $vgpr14_vgpr15_vgpr16_vgpr17
                                        ; implicit-def: $vgpr10_vgpr11_vgpr12_vgpr13
	s_cbranch_execz .LBB748_17
; %bb.16:
	s_waitcnt vmcnt(0)
	v_lshlrev_b32_e32 v2, 1, v18
	v_lshl_or_b32 v20, v35, 8, v2
	s_and_b32 s1, s1, 0xffff
	s_mov_b32 s3, 0x20000
	s_movk_i32 s2, 0x4000
	v_lshl_or_b32 v21, v19, 8, v2
	s_movk_i32 s13, 0x80
	buffer_load_dwordx4 v[6:9], v20, s[0:3], 0 offen
	buffer_load_dwordx4 v[2:5], v20, s[0:3], s13 offen
	;; [unrolled: 1-line block ×4, first 2 shown]
	v_lshrrev_b32_e32 v20, 3, v18
	v_lshlrev_b32_e32 v21, 3, v35
	v_or_b32_e32 v20, v21, v20
	v_lshlrev_b32_e32 v20, 4, v20
	v_and_b32_e32 v21, 0x78, v21
	v_xor_b32_e32 v21, v20, v21
	v_lshlrev_b32_e32 v20, 7, v19
.LBB748_17:
	s_lshl_b64 s[0:1], s[24:25], 8
	s_add_u32 s4, s4, s0
	s_movk_i32 s0, 0x1000
	v_and_or_b32 v19, v20, s0, v21
	s_waitcnt vmcnt(1)
	ds_write_b64 v21, v[6:7] offset:16384
	v_xor_b32_e32 v6, 8, v21
	ds_write_b64 v6, v[8:9] offset:16384
	s_waitcnt vmcnt(0)
	ds_write_b64 v21, v[2:3] offset:24576
	ds_write_b64 v6, v[4:5] offset:24576
	ds_write_b64 v19, v[14:15] offset:16384
	v_xor_b32_e32 v2, 8, v19
	ds_write_b64 v2, v[16:17] offset:16384
	ds_write_b64 v19, v[10:11] offset:24576
	;; [unrolled: 1-line block ×3, first 2 shown]
	v_or_b32_e32 v2, v1, v51
	s_addc_u32 s5, s5, s1
	s_add_i32 s0, s12, -1
	v_lshlrev_b32_e32 v2, 3, v2
	v_lshrrev_b32_e32 v4, 5, v48
	s_movk_i32 s12, 0xf8
	v_and_or_b32 v4, v2, s12, v4
	v_lshlrev_b32_e32 v3, 11, v49
	v_lshlrev_b32_e32 v12, 4, v4
	v_and_b32_e32 v13, 0x78, v2
	v_and_b32_e32 v14, 0x1000, v3
	v_lshlrev_b32_e32 v3, 2, v0
	v_xor_b32_e32 v2, v12, v13
	v_lshrrev_b32_e32 v4, 1, v48
	v_and_b32_e32 v3, 60, v3
	v_or_b32_e32 v2, v2, v14
	v_and_b32_e32 v15, 8, v4
	v_xor_b32_e32 v26, v2, v15
	v_lshl_or_b32 v2, v50, 6, v3
	v_lshlrev_b32_e32 v19, 1, v2
	v_or_b32_e32 v2, 32, v12
	v_xor_b32_e32 v2, v2, v13
	s_waitcnt lgkmcnt(0)
	s_barrier
	ds_read_b64 v[10:11], v26 offset:16384
	v_or_b32_e32 v2, v2, v14
	v_xor_b32_e32 v27, v2, v15
	v_or_b32_e32 v2, 64, v12
	v_xor_b32_e32 v2, v2, v13
	v_or_b32_e32 v2, v2, v14
	v_or_b32_e32 v12, 0x60, v12
	v_xor_b32_e32 v28, v2, v15
	ds_read2st64_b64 v[2:5], v19 offset0:72 offset1:73
	ds_read2st64_b64 v[6:9], v19 offset0:74 offset1:75
	v_xor_b32_e32 v16, v12, v13
	ds_read_b64 v[12:13], v27 offset:16384
	s_add_i32 s1, s42, s33
	s_waitcnt lgkmcnt(2)
	v_mfma_f32_16x16x16_bf16 a[0:3], v[10:11], v[2:3], 0
	s_add_i32 s35, s1, s43
	s_add_i32 s1, s44, s37
	;; [unrolled: 1-line block ×3, first 2 shown]
	s_ashr_i32 s1, s0, 31
	s_mul_i32 s2, s0, s29
	s_mul_hi_u32 s3, s0, s28
	s_add_i32 s2, s3, s2
	s_mul_i32 s1, s1, s28
	v_or_b32_e32 v14, v16, v14
	s_add_i32 s1, s2, s1
	s_lshl_b64 s[2:3], s[34:35], 2
	v_xor_b32_e32 v36, v14, v15
	ds_read_b64 v[14:15], v28 offset:16384
	ds_read_b64 v[16:17], v36 offset:16384
	s_waitcnt lgkmcnt(2)
	v_mfma_f32_16x16x16_bf16 a[0:3], v[12:13], v[4:5], a[0:3]
	s_add_u32 s10, s10, s2
	s_addc_u32 s11, s11, s3
	s_lshl_b64 s[2:3], s[30:31], 2
	s_mul_i32 s0, s0, s28
	s_add_u32 s10, s10, s2
	s_addc_u32 s11, s11, s3
	s_lshl_b64 s[0:1], s[0:1], 2
	s_waitcnt lgkmcnt(1)
	v_mfma_f32_16x16x16_bf16 a[0:3], v[14:15], v[6:7], a[0:3]
	s_add_u32 s0, s10, s0
	s_addc_u32 s1, s11, s1
	s_load_dword s12, s[0:1], 0x0
	s_waitcnt lgkmcnt(0)
	v_mfma_f32_16x16x16_bf16 a[0:3], v[16:17], v[8:9], a[0:3]
	s_and_b64 vcc, exec, s[22:23]
	s_cbranch_vccz .LBB748_28
; %bb.18:
	v_lshlrev_b32_e32 v20, 1, v35
	s_and_b64 vcc, exec, s[6:7]
	s_cbranch_vccz .LBB748_44
; %bb.19:
	v_cmp_gt_i32_e32 vcc, s27, v20
	v_mov_b32_e32 v6, 0
	v_mov_b32_e32 v2, 0
	;; [unrolled: 1-line block ×5, first 2 shown]
	s_and_saveexec_b64 s[0:1], vcc
	s_cbranch_execz .LBB748_21
; %bb.20:
	v_mad_i64_i32 v[2:3], s[2:3], s15, v20, 0
	v_lshl_add_u64 v[2:3], v[2:3], 1, s[4:5]
	v_lshlrev_b32_e32 v4, 1, v18
	v_mov_b32_e32 v5, 0
	v_lshl_add_u64 v[2:3], v[2:3], 0, v[4:5]
	global_load_dwordx4 v[2:5], v[2:3], off
.LBB748_21:
	s_or_b64 exec, exec, s[0:1]
	v_or_b32_e32 v21, 1, v20
	v_cmp_gt_i32_e64 s[0:1], s27, v21
	v_mov_b32_e32 v7, 0
	v_mov_b32_e32 v8, 0
	;; [unrolled: 1-line block ×3, first 2 shown]
	s_and_saveexec_b64 s[2:3], s[0:1]
	s_cbranch_execz .LBB748_23
; %bb.22:
	v_mad_i64_i32 v[6:7], s[16:17], s15, v21, 0
	v_lshl_add_u64 v[6:7], v[6:7], 1, s[4:5]
	v_lshlrev_b32_e32 v8, 1, v18
	v_mov_b32_e32 v9, 0
	v_lshl_add_u64 v[6:7], v[6:7], 0, v[8:9]
	global_load_dwordx4 v[6:9], v[6:7], off
.LBB748_23:
	s_or_b64 exec, exec, s[2:3]
	v_mov_b32_e32 v17, 0
	v_mov_b32_e32 v10, 0
	;; [unrolled: 1-line block ×5, first 2 shown]
	s_and_saveexec_b64 s[2:3], vcc
	s_cbranch_execz .LBB748_25
; %bb.24:
	v_mad_i64_i32 v[10:11], s[16:17], s15, v20, 0
	v_lshl_add_u64 v[10:11], v[10:11], 1, s[4:5]
	v_lshlrev_b32_e32 v12, 1, v18
	v_mov_b32_e32 v13, 0
	v_lshl_add_u64 v[10:11], v[10:11], 0, v[12:13]
	global_load_dwordx4 v[10:13], v[10:11], off offset:128
.LBB748_25:
	s_or_b64 exec, exec, s[2:3]
	v_mov_b32_e32 v16, 0
	v_mov_b32_e32 v15, 0
	;; [unrolled: 1-line block ×3, first 2 shown]
	s_and_saveexec_b64 s[2:3], s[0:1]
	s_cbranch_execz .LBB748_27
; %bb.26:
	v_mad_i64_i32 v[14:15], s[0:1], s15, v21, 0
	v_lshl_add_u64 v[14:15], v[14:15], 1, s[4:5]
	v_lshlrev_b32_e32 v16, 1, v18
	v_mov_b32_e32 v17, 0
	v_lshl_add_u64 v[14:15], v[14:15], 0, v[16:17]
	global_load_dwordx4 v[14:17], v[14:15], off offset:128
.LBB748_27:
	s_or_b64 exec, exec, s[2:3]
	s_branch .LBB748_46
.LBB748_28:
                                        ; implicit-def: $vgpr5
                                        ; implicit-def: $vgpr9
                                        ; implicit-def: $vgpr13
                                        ; implicit-def: $vgpr17
	v_lshrrev_b32_e32 v37, 2, v48
	s_branch .LBB748_47
.LBB748_29:
                                        ; implicit-def: $vgpr12
                                        ; implicit-def: $vgpr13
                                        ; implicit-def: $sgpr22
	v_lshl_or_b32 v10, v56, 9, v10
.LBB748_30:
	v_or_b32_e32 v12, 0x100, v10
	s_movk_i32 s22, 0x4000
	v_mov_b32_e32 v13, v10
.LBB748_31:
	s_mul_hi_u32 s20, s14, s12
	s_mul_i32 s21, s51, s12
	s_add_i32 s20, s20, s21
	s_mul_i32 s21, s14, s12
	s_mul_i32 s23, s21, s3
	s_mul_hi_u32 s24, s21, s48
	s_add_i32 s23, s24, s23
	s_mul_i32 s20, s20, s48
	s_add_i32 s23, s23, s20
	s_mul_i32 s21, s21, s48
	s_ashr_i32 s57, s52, 31
	s_add_u32 s20, s21, s52
	s_addc_u32 s21, s23, s57
	s_lshl_b64 s[20:21], s[20:21], 8
	s_add_u32 s20, s4, s20
	s_addc_u32 s21, s5, s21
	s_and_b32 s21, s21, 0xffff
	s_mov_b32 s23, 0x20000
	s_movk_i32 s58, 0x80
	buffer_load_dwordx4 v[14:17], v13, s[20:23], 0 offen
	buffer_load_dwordx4 v[18:21], v13, s[20:23], s58 offen
	;; [unrolled: 1-line block ×4, first 2 shown]
	v_and_b32_e32 v12, 6, v0
	v_lshlrev_b32_e32 v30, 2, v51
	v_lshlrev_b32_e32 v31, 3, v51
	v_xor_b32_e32 v33, v56, v12
	v_and_b32_e32 v13, 1, v0
	s_mul_i32 s3, s3, s12
	s_mul_hi_u32 s20, s48, s12
	v_lshl_or_b32 v31, v54, 5, v31
	v_xor_b32_e32 v34, v54, v30
	v_lshlrev_b32_e32 v33, 2, v33
	v_or_b32_e32 v62, 0x9000, v31
	v_or_b32_e32 v63, 0x9800, v31
	v_lshlrev_b32_e32 v31, 1, v34
	v_xor_b32_e32 v34, 0x440, v33
	v_cmp_eq_u32_e32 vcc, 0, v13
	s_add_i32 s63, s20, s3
	s_add_i32 s3, s42, s33
	v_cndmask_b32_e32 v13, v34, v33, vcc
	s_add_i32 s20, s44, s37
	s_add_i32 s35, s3, s43
	s_mov_b32 s60, 0x1000504
	v_lshlrev_b32_e32 v32, 8, v51
	s_mov_b32 s22, 0x8000
	v_xor_b32_e32 v30, v55, v30
	v_lshl_or_b32 v12, v12, 10, v13
	s_add_i32 s31, s20, s45
	s_lshl_b64 s[20:21], s[34:35], 2
	s_mov_b32 s61, 0x3020706
	v_lshlrev_b32_e32 v30, 1, v30
	v_or3_b32 v64, v31, v32, s22
	v_xor_b32_e32 v13, 8, v12
	v_xor_b32_e32 v31, 24, v12
	;; [unrolled: 1-line block ×4, first 2 shown]
	s_add_u32 s3, s10, s20
	v_or3_b32 v65, v30, v32, s22
	v_xor_b32_e32 v30, 16, v12
	v_xor_b32_e32 v32, 32, v12
	;; [unrolled: 1-line block ×3, first 2 shown]
	v_add_u32_e32 v13, 0x80, v13
	v_add_u32_e32 v31, 0x80, v31
	;; [unrolled: 1-line block ×4, first 2 shown]
	s_addc_u32 s24, s11, s21
	s_lshl_b64 s[20:21], s[30:31], 2
	s_add_u32 s38, s3, s20
	s_movk_i32 s3, 0xf8
	s_addc_u32 s39, s24, s21
	v_ashrrev_i32_e32 v43, 31, v42
	s_lshl_b32 s26, s15, 7
	s_mov_b32 s59, 0
	s_mul_i32 s62, s48, s12
	v_mov_b32_e32 v79, 0x3fb8aa3b
	s_mov_b32 s35, 0
	s_waitcnt vmcnt(1)
	v_perm_b32 v36, v14, v22, s60
	s_waitcnt vmcnt(0)
	v_perm_b32 v37, v18, v26, s60
	v_perm_b32 v14, v14, v22, s61
	;; [unrolled: 1-line block ×15, first 2 shown]
	ds_write2st64_b32 v12, v36, v37 offset1:32
	ds_write2st64_b32 v13, v14, v18 offset1:32
	ds_write2st64_b32 v30, v22, v26 offset0:1 offset1:33
	ds_write2st64_b32 v31, v15, v19 offset0:1 offset1:33
	;; [unrolled: 1-line block ×6, first 2 shown]
	v_or_b32_e32 v12, v1, v51
	v_lshlrev_b32_e32 v12, 3, v12
	v_lshrrev_b32_e32 v14, 5, v48
	v_and_or_b32 v14, v12, s3, v14
	v_lshlrev_b32_e32 v14, 4, v14
	v_lshlrev_b32_e32 v18, 11, v49
	v_and_b32_e32 v12, 0x78, v12
	v_or_b32_e32 v17, 32, v14
	v_and_b32_e32 v13, 0x1000, v18
	v_xor_b32_e32 v15, v14, v12
	v_lshrrev_b32_e32 v19, 1, v0
	v_xor_b32_e32 v17, v17, v12
	v_or_b32_e32 v15, v15, v13
	v_and_b32_e32 v16, 8, v19
	v_or_b32_e32 v17, v17, v13
	v_xor_b32_e32 v66, v15, v16
	v_and_b32_e32 v15, 0x78, v52
	v_xor_b32_e32 v68, v17, v16
	v_or_b32_e32 v17, 64, v14
	v_or_b32_e32 v14, 0x60, v14
	v_lshl_or_b32 v15, v50, 7, v15
	v_xor_b32_e32 v17, v17, v12
	v_xor_b32_e32 v12, v14, v12
	v_or_b32_e32 v67, 0x9000, v15
	v_or_b32_e32 v17, v17, v13
	;; [unrolled: 1-line block ×4, first 2 shown]
	v_lshrrev_b32_e32 v14, 4, v0
	v_lshlrev_b32_e32 v15, 1, v51
	v_xor_b32_e32 v69, v17, v16
	v_xor_b32_e32 v70, v12, v16
	s_ashr_i32 s3, s2, 31
	v_or_b32_e32 v16, 1, v15
	v_xor_b32_e32 v15, v14, v15
	s_lshl_b64 s[20:21], s[2:3], 8
	v_xor_b32_e32 v16, v16, v14
	v_lshlrev_b32_e32 v15, 3, v15
	v_lshlrev_b32_e32 v14, 8, v14
	v_lshl_add_u64 v[12:13], v[42:43], 1, s[8:9]
	s_add_u32 s20, s18, s20
	v_or3_b32 v43, v15, v14, s22
	v_lshlrev_b32_e32 v15, 3, v16
	s_addc_u32 s21, s19, s21
	v_or3_b32 v72, v15, v14, s22
	v_mov_b32_e32 v15, 0
	v_lshl_add_u64 v[16:17], s[20:21], 0, v[14:15]
	v_lshlrev_b32_e32 v14, 4, v51
	s_movk_i32 s3, 0xff
	v_lshlrev_b32_e32 v23, 3, v49
	v_and_b32_e32 v19, 24, v19
	v_lshl_add_u64 v[44:45], v[16:17], 0, v[14:15]
	v_and_b32_e32 v16, 8, v0
	v_cmp_lt_u32_e32 vcc, s3, v0
	v_xor_b32_e32 v24, v23, v19
	v_or_b32_e32 v25, 0x440, v24
	v_cndmask_b32_e64 v22, 0, 1, vcc
	v_cmp_eq_u32_e32 vcc, 0, v16
	v_and_b32_e32 v14, 7, v0
	v_lshlrev_b32_e32 v17, 3, v14
	v_cndmask_b32_e32 v16, v25, v24, vcc
	v_lshlrev_b32_e32 v14, 7, v14
	v_or_b32_e32 v16, v16, v18
	v_xad_u32 v73, v16, v17, v14
	v_or_b32_e32 v16, 32, v19
	v_xor_b32_e32 v16, v23, v16
	v_or_b32_e32 v24, 0x440, v16
	v_cndmask_b32_e32 v16, v24, v16, vcc
	v_or_b32_e32 v16, v16, v18
	v_xad_u32 v74, v16, v17, v14
	v_or_b32_e32 v16, 64, v19
	v_xor_b32_e32 v16, v23, v16
	v_xor_b32_e32 v24, 0x440, v16
	v_cndmask_b32_e32 v16, v24, v16, vcc
	v_or_b32_e32 v16, v16, v18
	v_xad_u32 v75, v16, v17, v14
	v_or_b32_e32 v16, 0x60, v19
	v_xor_b32_e32 v16, v23, v16
	v_xor_b32_e32 v19, 0x440, v16
	v_cndmask_b32_e32 v16, v19, v16, vcc
	v_or_b32_e32 v16, v16, v18
	v_lshlrev_b32_e32 v20, 1, v11
	v_add_lshl_u32 v11, v11, s15, 1
	v_or_b32_e32 v21, 0x100, v10
	v_lshlrev_b32_e32 v22, 13, v22
	v_xad_u32 v76, v16, v17, v14
	v_lshlrev_b32_e32 v14, 8, v54
	v_cndmask_b32_e64 v77, v20, v10, s[0:1]
	v_cndmask_b32_e64 v78, v11, v21, s[0:1]
	v_lshl_add_u64 v[46:47], v[12:13], 0, v[14:15]
	s_mov_b32 s3, 0x7060302
	s_movk_i32 s22, 0x4000
	v_add_u32_e32 v80, v22, v73
	v_add_u32_e32 v81, v22, v74
	v_add_u32_e32 v82, v22, v75
	v_add_u32_e32 v83, v22, v76
	s_waitcnt lgkmcnt(0)
	s_barrier
.LBB748_32:                             ; =>This Inner Loop Header: Depth=1
	s_add_i32 s31, s35, 1
	s_cmp_lt_i32 s31, s49
	s_mov_b64 s[24:25], 0
	s_cselect_b64 s[40:41], -1, 0
	s_cmp_ge_i32 s31, s49
	s_mov_b64 s[20:21], 0
	s_cbranch_scc1 .LBB748_34
; %bb.33:                               ;   in Loop: Header=BB748_32 Depth=1
	s_add_i32 s0, s59, 64
	s_add_u32 s0, s16, s0
	s_addc_u32 s1, s17, 0
	s_lshl_b64 s[0:1], s[0:1], 8
	s_add_u32 s20, s6, s0
	s_addc_u32 s21, s7, s1
.LBB748_34:                             ;   in Loop: Header=BB748_32 Depth=1
	v_cndmask_b32_e64 v10, 0, 1, s[40:41]
	v_cmp_ne_u32_e64 s[0:1], 1, v10
	s_andn2_b64 vcc, exec, s[40:41]
	s_cbranch_vccnz .LBB748_36
; %bb.35:                               ;   in Loop: Header=BB748_32 Depth=1
	s_add_i32 s24, s59, 64
	s_add_u32 s24, s62, s24
	s_addc_u32 s25, s63, 0
	s_mul_i32 s27, s24, s51
	s_mul_hi_u32 s40, s24, s56
	s_add_i32 s27, s40, s27
	s_mul_i32 s25, s25, s56
	s_add_i32 s27, s27, s25
	s_mul_i32 s24, s24, s56
	s_add_u32 s24, s24, s52
	s_addc_u32 s25, s27, s57
	s_lshl_b64 s[24:25], s[24:25], 8
	s_add_u32 s24, s4, s24
	s_addc_u32 s25, s5, s25
.LBB748_36:                             ;   in Loop: Header=BB748_32 Depth=1
	v_perm_b32 v11, v9, v8, s3
	v_perm_b32 v10, v7, v6, s3
	;; [unrolled: 1-line block ×4, first 2 shown]
	ds_write_b64 v62, v[10:11]
	ds_write_b64 v63, v[12:13]
	ds_write_b64 v64, v[10:11]
	ds_write_b64 v65, v[12:13]
	s_waitcnt lgkmcnt(0)
	s_barrier
	ds_read_b64 v[18:19], v66 offset:16384
	ds_read_b64 v[20:21], v68 offset:16384
	ds_read2st64_b64 v[10:13], v67 offset1:1
	ds_read2st64_b64 v[14:17], v67 offset0:2 offset1:3
	ds_read_b64 v[22:23], v69 offset:16384
	s_waitcnt lgkmcnt(2)
	v_mfma_f32_16x16x16_bf16 a[0:3], v[18:19], v[10:11], 0
	ds_read_b64 v[10:11], v70 offset:16384
	s_add_i32 s27, s59, 63
	s_mul_i32 s40, s27, s29
	v_mfma_f32_16x16x16_bf16 a[0:3], v[20:21], v[12:13], a[0:3]
	s_mul_hi_u32 s41, s27, s28
	s_add_i32 s41, s41, s40
	s_mul_i32 s40, s27, s28
	s_waitcnt lgkmcnt(1)
	v_mfma_f32_16x16x16_bf16 a[0:3], v[22:23], v[14:15], a[0:3]
	s_lshl_b64 s[40:41], s[40:41], 2
	s_add_u32 s40, s38, s40
	s_addc_u32 s41, s39, s41
	s_waitcnt lgkmcnt(0)
	v_mfma_f32_16x16x16_bf16 a[0:3], v[10:11], v[16:17], a[0:3]
	s_and_b64 vcc, exec, s[0:1]
	v_mov_b32_e32 v86, 0
	v_mov_b32_e32 v85, 0
	;; [unrolled: 1-line block ×19, first 2 shown]
	s_cbranch_vccnz .LBB748_38
; %bb.37:                               ;   in Loop: Header=BB748_32 Depth=1
	s_and_b32 s21, s21, 0xffff
	buffer_load_dwordx4 v[22:25], v58, s[20:23], 0 offen
	buffer_load_dwordx4 v[18:21], v58, s[20:23], s58 offen
	;; [unrolled: 1-line block ×4, first 2 shown]
	v_mov_b32_e32 v85, v60
	v_mov_b32_e32 v84, v61
.LBB748_38:                             ;   in Loop: Header=BB748_32 Depth=1
	s_waitcnt vmcnt(3)
	v_add_u32_e32 v32, s59, v54
	s_waitcnt vmcnt(1)
	v_ashrrev_i32_e32 v26, 31, v32
	v_mul_lo_u32 v28, v26, s28
	v_mul_lo_u32 v29, v32, s29
	v_mad_u64_u32 v[26:27], s[20:21], v32, s28, 0
	v_add3_u32 v27, v27, v29, v28
	v_add_u32_e32 v28, 1, v32
	v_ashrrev_i32_e32 v29, 31, v28
	v_mul_lo_u32 v30, v29, s28
	v_mul_lo_u32 v31, v28, s29
	v_mad_u64_u32 v[28:29], s[20:21], v28, s28, 0
	v_add3_u32 v29, v29, v31, v30
	v_add_u32_e32 v30, 2, v32
	v_ashrrev_i32_e32 v31, 31, v30
	v_mul_lo_u32 v33, v31, s28
	v_mul_lo_u32 v34, v30, s29
	v_mad_u64_u32 v[30:31], s[20:21], v30, s28, 0
	v_add_u32_e32 v32, 3, v32
	v_add3_u32 v31, v31, v34, v33
	v_ashrrev_i32_e32 v33, 31, v32
	v_mul_lo_u32 v36, v33, s28
	v_mul_lo_u32 v37, v32, s29
	v_mad_u64_u32 v[32:33], s[20:21], v32, s28, 0
	s_add_u32 s20, s16, s59
	s_addc_u32 s21, s17, 0
	s_lshl_b64 s[20:21], s[20:21], 8
	v_lshl_add_u64 v[26:27], v[26:27], 2, s[38:39]
	v_lshl_add_u64 v[28:29], v[28:29], 2, s[38:39]
	;; [unrolled: 1-line block ×3, first 2 shown]
	v_add3_u32 v33, v33, v37, v36
	v_lshl_add_u64 v[30:31], v[30:31], 2, s[38:39]
	global_load_ushort v92, v[34:35], off
	global_load_ushort v93, v[34:35], off offset:256
	global_load_ushort v94, v[34:35], off offset:512
	global_load_ushort v95, v[34:35], off offset:768
	global_load_dword v96, v[26:27], off
	v_lshl_add_u64 v[26:27], v[32:33], 2, s[38:39]
	global_load_dword v97, v[28:29], off
	global_load_dword v98, v[30:31], off
	;; [unrolled: 1-line block ×3, first 2 shown]
	s_load_dword s20, s[40:41], 0x0
	ds_read2st64_b64 v[32:35], v71 offset1:1
	ds_read2st64_b64 v[36:39], v71 offset0:2 offset1:3
	ds_read_b64 v[30:31], v66 offset:24576
	ds_read_b64 v[40:41], v68 offset:24576
	;; [unrolled: 1-line block ×4, first 2 shown]
	s_waitcnt lgkmcnt(0)
	v_mfma_f32_16x16x16_bf16 a[0:3], v[30:31], v[32:33], a[0:3]
	v_mov_b32_e32 v87, 0
	v_mov_b32_e32 v26, 0
	v_mov_b32_e32 v27, 0
	v_mfma_f32_16x16x16_bf16 a[0:3], v[40:41], v[34:35], a[0:3]
	v_mov_b32_e32 v28, 0
	v_mov_b32_e32 v29, 0
	v_mov_b32_e32 v30, 0
	;; [unrolled: 4-line block ×4, first 2 shown]
	v_mov_b32_e32 v37, 0
	s_and_b64 vcc, exec, s[0:1]
	s_waitcnt vmcnt(7)
	v_lshlrev_b32_e32 v88, 16, v92
	s_waitcnt vmcnt(6)
	v_lshlrev_b32_e32 v89, 16, v93
	;; [unrolled: 2-line block ×4, first 2 shown]
	s_waitcnt vmcnt(3)
	v_sub_f32_e32 v92, s20, v96
	s_waitcnt vmcnt(2)
	v_sub_f32_e32 v93, s20, v97
	;; [unrolled: 2-line block ×4, first 2 shown]
	v_mul_f32_e32 v92, 0x3fb8aa3b, v92
	v_mul_f32_e32 v93, 0x3fb8aa3b, v93
	;; [unrolled: 1-line block ×4, first 2 shown]
	v_exp_f32_e32 v92, v92
	v_exp_f32_e32 v93, v93
	v_exp_f32_e32 v94, v94
	v_exp_f32_e32 v95, v95
	v_accvgpr_read_b32 v41, a1
	v_accvgpr_read_b32 v39, a3
	;; [unrolled: 1-line block ×4, first 2 shown]
	v_pk_add_f32 v[40:41], v[88:89], v[40:41] neg_lo:[0,1] neg_hi:[0,1]
	v_pk_add_f32 v[38:39], v[90:91], v[38:39] neg_lo:[0,1] neg_hi:[0,1]
	v_pk_mul_f32 v[40:41], v[92:93], v[40:41]
	v_pk_mul_f32 v[38:39], v[94:95], v[38:39]
	s_nop 0
	v_perm_b32 v39, v39, v38, s3
	v_perm_b32 v38, v41, v40, s3
	ds_write_b64 v63, v[38:39]
	v_mov_b32_e32 v38, 0
	v_mov_b32_e32 v39, 0
	;; [unrolled: 1-line block ×4, first 2 shown]
	s_cbranch_vccnz .LBB748_40
; %bb.39:                               ;   in Loop: Header=BB748_32 Depth=1
	s_and_b32 s25, s25, 0xffff
	s_mov_b32 s27, s23
	buffer_load_dwordx4 v[38:41], v77, s[24:27], 0 offen
	buffer_load_dwordx4 v[30:33], v77, s[24:27], s58 offen
	;; [unrolled: 1-line block ×4, first 2 shown]
	v_mov_b32_e32 v86, v57
	v_mov_b32_e32 v87, v56
.LBB748_40:                             ;   in Loop: Header=BB748_32 Depth=1
	s_waitcnt lgkmcnt(0)
	s_barrier
	ds_read_b64 v[96:97], v80
	ds_read2st64_b64 v[88:91], v71 offset1:1
	ds_read2st64_b64 v[92:95], v71 offset0:2 offset1:3
	ds_read_b64 v[98:99], v81
	ds_read_b64 v[100:101], v82
	;; [unrolled: 1-line block ×3, first 2 shown]
	s_waitcnt lgkmcnt(4)
	v_mfma_f32_16x16x16_bf16 a[0:3], v[96:97], v[88:89], 0
	ds_read_b64 v[96:97], v73 offset:8192
	ds_read_b64 v[104:105], v74 offset:8192
	s_add_i32 s21, s53, s35
	s_mul_hi_i32 s25, s21, s13
	s_waitcnt lgkmcnt(1)
	v_mfma_f32_16x16x16_bf16 a[4:7], v[96:97], v[88:89], 0
	s_mul_i32 s21, s21, s13
	s_add_u32 s24, s21, s46
	s_addc_u32 s25, s25, s50
	v_mfma_f32_16x16x16_bf16 a[0:3], v[98:99], v[90:91], a[0:3]
	ds_read_b64 v[96:97], v43
	ds_read_b64 v[98:99], v72
	ds_read_b64 v[88:89], v75 offset:8192
	s_lshl_b64 s[24:25], s[24:25], 15
	v_mfma_f32_16x16x16_bf16 a[0:3], v[100:101], v[92:93], a[0:3]
	ds_read_b64 v[100:101], v76 offset:8192
	s_and_b64 vcc, exec, s[0:1]
	s_waitcnt lgkmcnt(4)
	v_mfma_f32_16x16x16_bf16 a[4:7], v[104:105], v[90:91], a[4:7]
	s_waitcnt lgkmcnt(1)
	v_mfma_f32_16x16x16_bf16 a[4:7], v[88:89], v[92:93], a[4:7]
	v_lshl_add_u64 v[88:89], v[44:45], 0, s[24:25]
	global_store_dwordx4 v[88:89], v[96:99], off
	v_mfma_f32_16x16x16_bf16 a[0:3], v[102:103], v[94:95], a[0:3]
	s_waitcnt lgkmcnt(0)
	v_mfma_f32_16x16x16_bf16 a[4:7], v[100:101], v[94:95], a[4:7]
	s_cbranch_vccnz .LBB748_42
; %bb.41:                               ;   in Loop: Header=BB748_32 Depth=1
	v_lshrrev_b32_e32 v88, 3, v86
	v_and_b32_e32 v88, 6, v88
	v_xor_b32_e32 v87, v88, v87
	v_lshlrev_b32_e32 v87, 2, v87
	v_and_b32_e32 v86, 8, v86
	v_xor_b32_e32 v89, 0x440, v87
	v_cmp_eq_u32_e32 vcc, 0, v86
	s_barrier
	s_nop 0
	v_cndmask_b32_e32 v86, v89, v87, vcc
	v_lshl_or_b32 v86, v88, 10, v86
	s_waitcnt vmcnt(2)
	v_perm_b32 v87, v38, v34, s60
	s_waitcnt vmcnt(1)
	v_perm_b32 v88, v30, v26, s60
	ds_write2st64_b32 v86, v87, v88 offset1:32
	v_xor_b32_e32 v87, 8, v86
	v_perm_b32 v34, v38, v34, s61
	v_perm_b32 v26, v30, v26, s61
	v_add_u32_e32 v30, 0x80, v87
	ds_write2st64_b32 v30, v34, v26 offset1:32
	v_xor_b32_e32 v26, 16, v86
	v_perm_b32 v30, v39, v35, s60
	v_perm_b32 v34, v31, v27, s60
	ds_write2st64_b32 v26, v30, v34 offset0:1 offset1:33
	v_xor_b32_e32 v26, 24, v86
	v_perm_b32 v30, v39, v35, s61
	v_perm_b32 v27, v31, v27, s61
	v_add_u32_e32 v26, 0x80, v26
	ds_write2st64_b32 v26, v30, v27 offset0:1 offset1:33
	v_xor_b32_e32 v26, 32, v86
	v_perm_b32 v27, v40, v36, s60
	v_perm_b32 v30, v32, v28, s60
	ds_write2st64_b32 v26, v27, v30 offset0:2 offset1:34
	v_xor_b32_e32 v26, 40, v86
	v_perm_b32 v27, v40, v36, s61
	v_perm_b32 v28, v32, v28, s61
	v_add_u32_e32 v26, 0x80, v26
	ds_write2st64_b32 v26, v27, v28 offset0:2 offset1:34
	v_xor_b32_e32 v26, 48, v86
	v_perm_b32 v27, v41, v37, s60
	v_perm_b32 v28, v33, v29, s60
	ds_write2st64_b32 v26, v27, v28 offset0:3 offset1:35
	v_xor_b32_e32 v26, 56, v86
	v_perm_b32 v27, v41, v37, s61
	v_perm_b32 v28, v33, v29, s61
	v_add_u32_e32 v26, 0x80, v26
	ds_write2st64_b32 v26, v27, v28 offset0:3 offset1:35
	ds_write_b64 v85, v[22:23] offset:16384
	v_xor_b32_e32 v22, 8, v85
	ds_write_b64 v22, v[24:25] offset:16384
	ds_write_b64 v85, v[18:19] offset:24576
	;; [unrolled: 1-line block ×4, first 2 shown]
	v_xor_b32_e32 v14, 8, v84
	ds_write_b64 v14, v[16:17] offset:16384
	ds_write_b64 v84, v[10:11] offset:24576
	;; [unrolled: 1-line block ×3, first 2 shown]
.LBB748_42:                             ;   in Loop: Header=BB748_32 Depth=1
	v_mul_f32_e32 v10, s20, v79
	v_exp_f32_e32 v12, v10
	s_nop 1
	v_accvgpr_read_b32 v11, a1
	v_accvgpr_read_b32 v10, a0
	s_add_i32 s59, s59, 64
	v_fma_f32 v7, v7, v12, v11
	v_accvgpr_read_b32 v11, a3
	v_fmac_f32_e32 v11, v9, v12
	v_accvgpr_read_b32 v9, a4
	v_fma_f32 v6, v6, v12, v10
	v_accvgpr_read_b32 v10, a2
	v_fma_f32 v2, v2, v12, v9
	;; [unrolled: 2-line block ×3, first 2 shown]
	v_fma_f32 v3, v3, v12, v9
	v_accvgpr_read_b32 v9, a6
	v_accvgpr_read_b32 v10, a7
	v_fma_f32 v4, v4, v12, v9
	s_cmp_eq_u32 s49, s31
	v_fmac_f32_e32 v10, v5, v12
	s_cbranch_scc1 .LBB748_4
; %bb.43:                               ;   in Loop: Header=BB748_32 Depth=1
	s_mov_b32 s35, s31
	v_mov_b32_e32 v9, v11
	v_mov_b32_e32 v5, v10
	s_branch .LBB748_32
.LBB748_44:
                                        ; implicit-def: $vgpr5
                                        ; implicit-def: $vgpr9
                                        ; implicit-def: $vgpr13
                                        ; implicit-def: $vgpr17
	s_cbranch_execz .LBB748_46
; %bb.45:
	s_waitcnt vmcnt(0)
	v_mad_u64_u32 v[2:3], s[0:1], v20, s15, v[18:19]
	v_lshlrev_b32_e32 v20, 1, v2
	s_lshl_b32 s2, s15, 7
	s_and_b32 s1, s5, 0xffff
	s_mov_b32 s3, 0x20000
	s_mov_b32 s0, s4
	v_add_lshl_u32 v21, v2, s15, 1
	s_movk_i32 s13, 0x80
	buffer_load_dwordx4 v[2:5], v20, s[0:3], 0 offen
	buffer_load_dwordx4 v[10:13], v20, s[0:3], s13 offen
	;; [unrolled: 1-line block ×4, first 2 shown]
.LBB748_46:
	v_lshrrev_b32_e32 v37, 2, v48
	s_cbranch_execnz .LBB748_59
.LBB748_47:
	s_and_b64 vcc, exec, s[6:7]
	s_cbranch_vccz .LBB748_57
; %bb.48:
	s_waitcnt vmcnt(0)
	v_lshlrev_b32_e32 v7, 1, v35
	v_cmp_gt_i32_e32 vcc, s27, v7
	v_mov_b32_e32 v6, 0
	v_lshlrev_b32_e32 v14, 9, v35
	v_mov_b32_e32 v2, 0
	v_mov_b32_e32 v3, 0
	;; [unrolled: 1-line block ×4, first 2 shown]
	s_and_saveexec_b64 s[0:1], vcc
	s_cbranch_execz .LBB748_50
; %bb.49:
	v_mov_b32_e32 v15, 0
	v_lshl_add_u64 v[2:3], s[4:5], 0, v[14:15]
	v_lshlrev_b32_e32 v4, 1, v18
	v_mov_b32_e32 v5, v15
	v_lshl_add_u64 v[2:3], v[2:3], 0, v[4:5]
	global_load_dwordx4 v[2:5], v[2:3], off
.LBB748_50:
	s_or_b64 exec, exec, s[0:1]
	v_or_b32_e32 v7, 1, v7
	v_cmp_gt_i32_e64 s[0:1], s27, v7
	v_lshlrev_b32_e32 v20, 8, v7
	v_mov_b32_e32 v7, 0
	v_mov_b32_e32 v8, 0
	v_mov_b32_e32 v9, 0
	s_and_saveexec_b64 s[2:3], s[0:1]
	s_cbranch_execz .LBB748_52
; %bb.51:
	v_mov_b32_e32 v21, 0
	v_lshl_add_u64 v[6:7], s[4:5], 0, v[20:21]
	v_lshlrev_b32_e32 v8, 1, v18
	v_mov_b32_e32 v9, v21
	v_lshl_add_u64 v[6:7], v[6:7], 0, v[8:9]
	global_load_dwordx4 v[6:9], v[6:7], off
.LBB748_52:
	s_or_b64 exec, exec, s[2:3]
	v_mov_b32_e32 v17, 0
	v_mov_b32_e32 v10, 0
	;; [unrolled: 1-line block ×5, first 2 shown]
	s_and_saveexec_b64 s[2:3], vcc
	s_cbranch_execz .LBB748_54
; %bb.53:
	v_mov_b32_e32 v15, 0
	v_lshl_add_u64 v[10:11], s[4:5], 0, v[14:15]
	v_lshlrev_b32_e32 v14, 1, v18
	v_lshl_add_u64 v[10:11], v[10:11], 0, v[14:15]
	global_load_dwordx4 v[10:13], v[10:11], off offset:128
.LBB748_54:
	s_or_b64 exec, exec, s[2:3]
	v_mov_b32_e32 v16, 0
	v_mov_b32_e32 v15, 0
	;; [unrolled: 1-line block ×3, first 2 shown]
	s_and_saveexec_b64 s[2:3], s[0:1]
	s_cbranch_execz .LBB748_56
; %bb.55:
	v_mov_b32_e32 v21, 0
	v_lshl_add_u64 v[14:15], s[4:5], 0, v[20:21]
	v_lshlrev_b32_e32 v20, 1, v18
	v_lshl_add_u64 v[14:15], v[14:15], 0, v[20:21]
	global_load_dwordx4 v[14:17], v[14:15], off offset:128
.LBB748_56:
	s_or_b64 exec, exec, s[2:3]
	s_branch .LBB748_59
.LBB748_57:
                                        ; implicit-def: $vgpr5
                                        ; implicit-def: $vgpr9
                                        ; implicit-def: $vgpr13
                                        ; implicit-def: $vgpr17
	s_cbranch_execz .LBB748_59
; %bb.58:
	s_waitcnt vmcnt(0)
	v_lshlrev_b32_e32 v2, 1, v18
	v_lshl_or_b32 v18, v35, 9, v2
	s_and_b32 s5, s5, 0xffff
	s_mov_b32 s7, 0x20000
	s_movk_i32 s6, 0x4000
	s_movk_i32 s0, 0x80
	buffer_load_dwordx4 v[2:5], v18, s[4:7], 0 offen
	buffer_load_dwordx4 v[6:9], v18, s[4:7], 0 offen offset:256
	buffer_load_dwordx4 v[10:13], v18, s[4:7], s0 offen
	buffer_load_dwordx4 v[14:17], v18, s[4:7], s0 offen offset:256
.LBB748_59:
	ds_read2st64_b64 v[22:25], v19 offset0:76 offset1:77
	ds_read2st64_b64 v[18:21], v19 offset0:78 offset1:79
	ds_read_b64 v[30:31], v26 offset:24576
	ds_read_b64 v[32:33], v27 offset:24576
	;; [unrolled: 1-line block ×4, first 2 shown]
	v_and_b32_e32 v36, 6, v0
	v_xor_b32_e32 v35, v35, v36
	v_lshlrev_b32_e32 v35, 2, v35
	v_and_b32_e32 v0, 1, v0
	v_xor_b32_e32 v38, 0x440, v35
	v_cmp_eq_u32_e32 vcc, 0, v0
	s_mov_b32 s0, 0x1000504
	s_mov_b32 s1, 0x3020706
	v_cndmask_b32_e32 v0, v38, v35, vcc
	v_lshl_or_b32 v0, v36, 10, v0
	s_waitcnt vmcnt(0)
	v_perm_b32 v35, v2, v6, s0
	v_perm_b32 v36, v10, v14, s0
	ds_write2st64_b32 v0, v35, v36 offset1:32
	v_xor_b32_e32 v35, 8, v0
	v_perm_b32 v2, v2, v6, s1
	v_perm_b32 v6, v10, v14, s1
	v_add_u32_e32 v10, 0x80, v35
	ds_write2st64_b32 v10, v2, v6 offset1:32
	v_xor_b32_e32 v2, 16, v0
	v_perm_b32 v6, v3, v7, s0
	v_perm_b32 v10, v11, v15, s0
	ds_write2st64_b32 v2, v6, v10 offset0:1 offset1:33
	v_xor_b32_e32 v2, 24, v0
	v_perm_b32 v3, v3, v7, s1
	v_perm_b32 v6, v11, v15, s1
	v_add_u32_e32 v2, 0x80, v2
	ds_write2st64_b32 v2, v3, v6 offset0:1 offset1:33
	v_xor_b32_e32 v2, 32, v0
	v_perm_b32 v3, v4, v8, s0
	v_perm_b32 v6, v12, v16, s0
	ds_write2st64_b32 v2, v3, v6 offset0:2 offset1:34
	v_xor_b32_e32 v2, 40, v0
	v_perm_b32 v3, v4, v8, s1
	v_perm_b32 v4, v12, v16, s1
	v_add_u32_e32 v2, 0x80, v2
	ds_write2st64_b32 v2, v3, v4 offset0:2 offset1:34
	v_xor_b32_e32 v2, 48, v0
	v_perm_b32 v3, v5, v9, s0
	v_perm_b32 v4, v13, v17, s0
	v_xor_b32_e32 v0, 56, v0
	v_and_or_b32 v6, v37, 12, v1
	ds_write2st64_b32 v2, v3, v4 offset0:3 offset1:35
	v_perm_b32 v2, v5, v9, s1
	v_perm_b32 v3, v13, v17, s1
	v_add_u32_e32 v0, 0x80, v0
	v_cmp_gt_i32_e32 vcc, s27, v6
	v_mov_b32_e32 v7, 0
	v_mov_b32_e32 v11, 0
	ds_write2st64_b32 v0, v2, v3 offset0:3 offset1:35
	s_and_saveexec_b64 s[0:1], vcc
	s_cbranch_execz .LBB748_61
; %bb.60:
	v_add_u32_e32 v0, s26, v6
	v_ashrrev_i32_e32 v1, 31, v0
	v_mul_lo_u32 v2, v1, s28
	v_mul_lo_u32 v3, v0, s29
	v_mad_u64_u32 v[0:1], s[2:3], v0, s28, 0
	v_add3_u32 v1, v1, v3, v2
	v_lshl_add_u64 v[0:1], v[0:1], 2, s[10:11]
	global_load_dword v0, v[0:1], off
	s_waitcnt vmcnt(0)
	v_sub_f32_e32 v0, s12, v0
	v_mul_f32_e32 v0, 0x3fb8aa3b, v0
	v_exp_f32_e32 v11, v0
.LBB748_61:
	s_or_b64 exec, exec, s[0:1]
	v_or_b32_e32 v9, 1, v6
	v_cmp_gt_i32_e64 s[0:1], s27, v9
	s_and_saveexec_b64 s[2:3], s[0:1]
	s_cbranch_execz .LBB748_63
; %bb.62:
	v_add_u32_e32 v0, s26, v9
	v_ashrrev_i32_e32 v1, 31, v0
	v_mul_lo_u32 v2, v1, s28
	v_mul_lo_u32 v3, v0, s29
	v_mad_u64_u32 v[0:1], s[4:5], v0, s28, 0
	v_add3_u32 v1, v1, v3, v2
	v_lshl_add_u64 v[0:1], v[0:1], 2, s[10:11]
	global_load_dword v0, v[0:1], off
	s_waitcnt vmcnt(0)
	v_sub_f32_e32 v0, s12, v0
	v_mul_f32_e32 v0, 0x3fb8aa3b, v0
	v_exp_f32_e32 v7, v0
.LBB748_63:
	s_or_b64 exec, exec, s[2:3]
	v_or_b32_e32 v10, 2, v6
	v_cmp_gt_i32_e64 s[2:3], s27, v10
	v_mov_b32_e32 v8, 0
	v_mov_b32_e32 v13, 0
	s_and_saveexec_b64 s[4:5], s[2:3]
	s_cbranch_execz .LBB748_65
; %bb.64:
	v_add_u32_e32 v0, s26, v10
	v_ashrrev_i32_e32 v1, 31, v0
	v_mul_lo_u32 v2, v1, s28
	v_mul_lo_u32 v3, v0, s29
	v_mad_u64_u32 v[0:1], s[6:7], v0, s28, 0
	v_add3_u32 v1, v1, v3, v2
	v_lshl_add_u64 v[0:1], v[0:1], 2, s[10:11]
	global_load_dword v0, v[0:1], off
	s_waitcnt vmcnt(0)
	v_sub_f32_e32 v0, s12, v0
	v_mul_f32_e32 v0, 0x3fb8aa3b, v0
	v_exp_f32_e32 v13, v0
.LBB748_65:
	s_or_b64 exec, exec, s[4:5]
	v_or_b32_e32 v12, 3, v6
	v_cmp_gt_i32_e64 s[4:5], s27, v12
	s_and_saveexec_b64 s[6:7], s[4:5]
	s_cbranch_execz .LBB748_67
; %bb.66:
	v_add_u32_e32 v0, s26, v12
	v_ashrrev_i32_e32 v1, 31, v0
	v_mul_lo_u32 v2, v1, s28
	v_mul_lo_u32 v3, v0, s29
	v_mad_u64_u32 v[0:1], s[14:15], v0, s28, 0
	v_add3_u32 v1, v1, v3, v2
	v_lshl_add_u64 v[0:1], v[0:1], 2, s[10:11]
	global_load_dword v0, v[0:1], off
	s_waitcnt vmcnt(0)
	v_sub_f32_e32 v0, s12, v0
	v_mul_f32_e32 v0, 0x3fb8aa3b, v0
	v_exp_f32_e32 v8, v0
.LBB748_67:
	s_or_b64 exec, exec, s[6:7]
	s_waitcnt lgkmcnt(11)
	v_mfma_f32_16x16x16_bf16 a[0:3], v[30:31], v[22:23], a[0:3]
	s_add_u32 s6, s8, s20
	v_ashrrev_i32_e32 v43, 31, v42
	s_addc_u32 s7, s9, s21
	s_waitcnt lgkmcnt(10)
	v_mfma_f32_16x16x16_bf16 a[0:3], v[32:33], v[24:25], a[0:3]
	v_mov_b32_e32 v14, 0
	v_lshl_add_u64 v[4:5], v[42:43], 1, s[6:7]
	v_mov_b32_e32 v15, 0
	s_waitcnt lgkmcnt(9)
	v_mfma_f32_16x16x16_bf16 a[0:3], v[28:29], v[18:19], a[0:3]
	s_waitcnt lgkmcnt(8)
	v_mfma_f32_16x16x16_bf16 a[0:3], v[26:27], v[20:21], a[0:3]
	s_nop 6
	v_accvgpr_read_b32 v0, a0
	v_accvgpr_read_b32 v1, a1
	;; [unrolled: 1-line block ×4, first 2 shown]
	s_and_saveexec_b64 s[6:7], vcc
	s_cbranch_execz .LBB748_69
; %bb.68:
	v_lshlrev_b32_e32 v16, 8, v6
	v_mov_b32_e32 v17, 0
	v_lshl_add_u64 v[16:17], v[4:5], 0, v[16:17]
	global_load_ushort v15, v[16:17], off
	s_waitcnt vmcnt(0)
	v_lshlrev_b32_e32 v15, 16, v15
	v_sub_f32_e32 v0, v15, v0
	v_mul_f32_e32 v0, v11, v0
	v_lshrrev_b32_e32 v15, 16, v0
.LBB748_69:
	s_or_b64 exec, exec, s[6:7]
	s_and_saveexec_b64 s[6:7], s[0:1]
	s_cbranch_execz .LBB748_71
; %bb.70:
	v_lshlrev_b32_e32 v16, 8, v9
	v_mov_b32_e32 v17, 0
	v_lshl_add_u64 v[16:17], v[4:5], 0, v[16:17]
	global_load_ushort v0, v[16:17], off
	s_waitcnt vmcnt(0)
	v_lshlrev_b32_e32 v0, 16, v0
	v_sub_f32_e32 v0, v0, v1
	v_mul_f32_e32 v0, v7, v0
	v_lshrrev_b32_e32 v14, 16, v0
.LBB748_71:
	s_or_b64 exec, exec, s[6:7]
	v_mov_b32_e32 v0, 0
	v_mov_b32_e32 v1, 0
	s_and_saveexec_b64 s[0:1], s[2:3]
	s_cbranch_execz .LBB748_73
; %bb.72:
	v_lshlrev_b32_e32 v10, 8, v10
	v_mov_b32_e32 v11, 0
	v_lshl_add_u64 v[10:11], v[4:5], 0, v[10:11]
	global_load_ushort v1, v[10:11], off
	s_waitcnt vmcnt(0)
	v_lshlrev_b32_e32 v1, 16, v1
	v_sub_f32_e32 v1, v1, v2
	v_mul_f32_e32 v1, v13, v1
	v_lshrrev_b32_e32 v1, 16, v1
.LBB748_73:
	s_or_b64 exec, exec, s[0:1]
	s_and_saveexec_b64 s[0:1], s[4:5]
	s_cbranch_execz .LBB748_75
; %bb.74:
	v_lshlrev_b32_e32 v10, 8, v12
	v_mov_b32_e32 v11, 0
	v_lshl_add_u64 v[4:5], v[4:5], 0, v[10:11]
	global_load_ushort v0, v[4:5], off
	s_waitcnt vmcnt(0)
	v_lshlrev_b32_e32 v0, 16, v0
	v_sub_f32_e32 v0, v0, v3
	v_mul_f32_e32 v0, v8, v0
	v_lshrrev_b32_e32 v0, 16, v0
.LBB748_75:
	s_or_b64 exec, exec, s[0:1]
	s_mov_b32 s0, 0x5040100
	v_lshlrev_b32_e32 v2, 1, v34
	v_perm_b32 v1, v0, v1, s0
	v_perm_b32 v0, v14, v15, s0
	v_lshl_or_b32 v2, v6, 5, v2
	ds_write_b64 v2, v[0:1] offset:38912
	s_waitcnt lgkmcnt(0)
	s_barrier
.LBB748_76:
	s_endpgm
	.section	.rodata,"a",@progbits
	.p2align	6, 0x0
	.amdhsa_kernel _ZN12_GLOBAL__N_139chunk_gated_delta_rule_fwd_h_hip_kernelILi16ELb1ELb0ELb0ELb0ELb0ELb0ELb1ELb0EEEvPK12hip_bfloat16S3_S3_PKfS5_PKvPS1_S8_PvPKiSB_iiiiilll
		.amdhsa_group_segment_fixed_size 40960
		.amdhsa_private_segment_fixed_size 0
		.amdhsa_kernarg_size 136
		.amdhsa_user_sgpr_count 2
		.amdhsa_user_sgpr_dispatch_ptr 0
		.amdhsa_user_sgpr_queue_ptr 0
		.amdhsa_user_sgpr_kernarg_segment_ptr 1
		.amdhsa_user_sgpr_dispatch_id 0
		.amdhsa_user_sgpr_kernarg_preload_length 0
		.amdhsa_user_sgpr_kernarg_preload_offset 0
		.amdhsa_user_sgpr_private_segment_size 0
		.amdhsa_uses_dynamic_stack 0
		.amdhsa_enable_private_segment 0
		.amdhsa_system_sgpr_workgroup_id_x 1
		.amdhsa_system_sgpr_workgroup_id_y 1
		.amdhsa_system_sgpr_workgroup_id_z 0
		.amdhsa_system_sgpr_workgroup_info 0
		.amdhsa_system_vgpr_workitem_id 0
		.amdhsa_next_free_vgpr 116
		.amdhsa_next_free_sgpr 64
		.amdhsa_accum_offset 108
		.amdhsa_reserve_vcc 1
		.amdhsa_float_round_mode_32 0
		.amdhsa_float_round_mode_16_64 0
		.amdhsa_float_denorm_mode_32 3
		.amdhsa_float_denorm_mode_16_64 3
		.amdhsa_dx10_clamp 1
		.amdhsa_ieee_mode 1
		.amdhsa_fp16_overflow 0
		.amdhsa_tg_split 0
		.amdhsa_exception_fp_ieee_invalid_op 0
		.amdhsa_exception_fp_denorm_src 0
		.amdhsa_exception_fp_ieee_div_zero 0
		.amdhsa_exception_fp_ieee_overflow 0
		.amdhsa_exception_fp_ieee_underflow 0
		.amdhsa_exception_fp_ieee_inexact 0
		.amdhsa_exception_int_div_zero 0
	.end_amdhsa_kernel
	.section	.text._ZN12_GLOBAL__N_139chunk_gated_delta_rule_fwd_h_hip_kernelILi16ELb1ELb0ELb0ELb0ELb0ELb0ELb1ELb0EEEvPK12hip_bfloat16S3_S3_PKfS5_PKvPS1_S8_PvPKiSB_iiiiilll,"axG",@progbits,_ZN12_GLOBAL__N_139chunk_gated_delta_rule_fwd_h_hip_kernelILi16ELb1ELb0ELb0ELb0ELb0ELb0ELb1ELb0EEEvPK12hip_bfloat16S3_S3_PKfS5_PKvPS1_S8_PvPKiSB_iiiiilll,comdat
.Lfunc_end748:
	.size	_ZN12_GLOBAL__N_139chunk_gated_delta_rule_fwd_h_hip_kernelILi16ELb1ELb0ELb0ELb0ELb0ELb0ELb1ELb0EEEvPK12hip_bfloat16S3_S3_PKfS5_PKvPS1_S8_PvPKiSB_iiiiilll, .Lfunc_end748-_ZN12_GLOBAL__N_139chunk_gated_delta_rule_fwd_h_hip_kernelILi16ELb1ELb0ELb0ELb0ELb0ELb0ELb1ELb0EEEvPK12hip_bfloat16S3_S3_PKfS5_PKvPS1_S8_PvPKiSB_iiiiilll
                                        ; -- End function
	.section	.AMDGPU.csdata,"",@progbits
; Kernel info:
; codeLenInByte = 7184
; NumSgprs: 70
; NumVgprs: 106
; NumAgprs: 8
; TotalNumVgprs: 116
; ScratchSize: 0
; MemoryBound: 0
; FloatMode: 240
; IeeeMode: 1
; LDSByteSize: 40960 bytes/workgroup (compile time only)
; SGPRBlocks: 8
; VGPRBlocks: 14
; NumSGPRsForWavesPerEU: 70
; NumVGPRsForWavesPerEU: 116
; AccumOffset: 108
; Occupancy: 1
; WaveLimiterHint : 1
; COMPUTE_PGM_RSRC2:SCRATCH_EN: 0
; COMPUTE_PGM_RSRC2:USER_SGPR: 2
; COMPUTE_PGM_RSRC2:TRAP_HANDLER: 0
; COMPUTE_PGM_RSRC2:TGID_X_EN: 1
; COMPUTE_PGM_RSRC2:TGID_Y_EN: 1
; COMPUTE_PGM_RSRC2:TGID_Z_EN: 0
; COMPUTE_PGM_RSRC2:TIDIG_COMP_CNT: 0
; COMPUTE_PGM_RSRC3_GFX90A:ACCUM_OFFSET: 26
; COMPUTE_PGM_RSRC3_GFX90A:TG_SPLIT: 0
	.section	.text._ZN12_GLOBAL__N_139chunk_gated_delta_rule_fwd_h_hip_kernelILi16ELb0ELb1ELb1ELb0ELb0ELb0ELb1ELb0EEEvPK12hip_bfloat16S3_S3_PKfS5_PKvPS1_S8_PvPKiSB_iiiiilll,"axG",@progbits,_ZN12_GLOBAL__N_139chunk_gated_delta_rule_fwd_h_hip_kernelILi16ELb0ELb1ELb1ELb0ELb0ELb0ELb1ELb0EEEvPK12hip_bfloat16S3_S3_PKfS5_PKvPS1_S8_PvPKiSB_iiiiilll,comdat
	.globl	_ZN12_GLOBAL__N_139chunk_gated_delta_rule_fwd_h_hip_kernelILi16ELb0ELb1ELb1ELb0ELb0ELb0ELb1ELb0EEEvPK12hip_bfloat16S3_S3_PKfS5_PKvPS1_S8_PvPKiSB_iiiiilll ; -- Begin function _ZN12_GLOBAL__N_139chunk_gated_delta_rule_fwd_h_hip_kernelILi16ELb0ELb1ELb1ELb0ELb0ELb0ELb1ELb0EEEvPK12hip_bfloat16S3_S3_PKfS5_PKvPS1_S8_PvPKiSB_iiiiilll
	.p2align	8
	.type	_ZN12_GLOBAL__N_139chunk_gated_delta_rule_fwd_h_hip_kernelILi16ELb0ELb1ELb1ELb0ELb0ELb0ELb1ELb0EEEvPK12hip_bfloat16S3_S3_PKfS5_PKvPS1_S8_PvPKiSB_iiiiilll,@function
_ZN12_GLOBAL__N_139chunk_gated_delta_rule_fwd_h_hip_kernelILi16ELb0ELb1ELb1ELb0ELb0ELb0ELb1ELb0EEEvPK12hip_bfloat16S3_S3_PKfS5_PKvPS1_S8_PvPKiSB_iiiiilll: ; @_ZN12_GLOBAL__N_139chunk_gated_delta_rule_fwd_h_hip_kernelILi16ELb0ELb1ELb1ELb0ELb0ELb0ELb1ELb0EEEvPK12hip_bfloat16S3_S3_PKfS5_PKvPS1_S8_PvPKiSB_iiiiilll
; %bb.0:
	s_load_dwordx4 s[16:19], s[0:1], 0x5c
	s_load_dwordx4 s[20:23], s[0:1], 0x70
	s_abs_i32 s14, s3
	s_ashr_i32 s13, s3, 31
	s_load_dwordx8 s[4:11], s[0:1], 0x0
	s_waitcnt lgkmcnt(0)
	s_abs_i32 s12, s17
	v_cvt_f32_u32_e32 v1, s12
	s_sub_i32 s24, 0, s12
	s_ashr_i32 s15, s17, 31
	s_xor_b32 s13, s13, s15
	v_rcp_iflag_f32_e32 v1, v1
	v_lshrrev_b32_e32 v48, 6, v0
	v_bfe_u32 v51, v0, 4, 2
	v_lshlrev_b32_e32 v49, 4, v48
	v_mul_f32_e32 v1, 0x4f7ffffe, v1
	v_cvt_u32_f32_e32 v1, v1
	v_lshlrev_b32_e32 v10, 2, v51
	v_and_b32_e32 v50, 63, v0
	v_mov_b32_e32 v9, 0
	v_readfirstlane_b32 s25, v1
	s_mul_i32 s24, s24, s25
	s_mul_hi_u32 s24, s25, s24
	s_add_i32 s25, s25, s24
	s_mul_hi_u32 s24, s14, s25
	s_mul_i32 s25, s24, s12
	s_sub_i32 s14, s14, s25
	s_add_i32 s26, s24, 1
	s_sub_i32 s25, s14, s12
	s_cmp_ge_u32 s14, s12
	s_cselect_b32 s24, s26, s24
	s_cselect_b32 s14, s25, s14
	s_add_i32 s25, s24, 1
	s_cmp_ge_u32 s14, s12
	s_cselect_b32 s14, s25, s24
	s_xor_b32 s14, s14, s13
	s_sub_i32 s49, s14, s13
	s_abs_i32 s13, s18
	v_cvt_f32_u32_e32 v1, s13
	s_add_i32 s24, s16, 63
	s_mul_i32 s47, s49, s17
	s_sub_i32 s33, s3, s47
	v_rcp_iflag_f32_e32 v1, v1
	s_ashr_i32 s3, s24, 31
	s_ashr_i32 s48, s16, 31
	s_lshr_b32 s3, s3, 26
	v_mul_f32_e32 v1, 0x4f7ffffe, v1
	v_cvt_u32_f32_e32 v1, v1
	s_lshr_b32 s14, s48, 26
	s_add_i32 s24, s24, s3
	s_add_i32 s14, s16, s14
	s_ashr_i32 s51, s18, 31
	s_ashr_i32 s3, s24, 6
	s_ashr_i32 s50, s14, 6
	s_xor_b32 s14, s15, s51
	s_sub_i32 s15, 0, s13
	v_readfirstlane_b32 s24, v1
	s_mul_i32 s15, s15, s24
	s_mul_hi_u32 s15, s24, s15
	s_add_i32 s24, s24, s15
	s_mul_hi_u32 s15, s12, s24
	s_mul_i32 s24, s15, s13
	s_sub_i32 s12, s12, s24
	s_add_i32 s24, s15, 1
	s_sub_i32 s25, s12, s13
	s_cmp_ge_u32 s12, s13
	s_cselect_b32 s15, s24, s15
	s_cselect_b32 s12, s25, s12
	s_add_i32 s24, s15, 1
	s_cmp_ge_u32 s12, s13
	s_cselect_b32 s12, s24, s15
	s_xor_b32 s12, s12, s14
	s_sub_i32 s24, s12, s14
	s_abs_i32 s25, s24
	v_cvt_f32_u32_e32 v1, s25
	s_load_dwordx2 s[34:35], s[0:1], 0x40
	s_load_dwordx4 s[12:15], s[0:1], 0x30
	s_load_dwordx2 s[36:37], s[0:1], 0x80
	s_xor_b32 s0, s33, s24
	s_sub_i32 s24, 0, s25
	v_rcp_iflag_f32_e32 v1, v1
	s_abs_i32 s1, s33
	s_ashr_i32 s0, s0, 31
	s_mul_i32 s52, s49, s3
	v_mul_f32_e32 v1, 0x4f7ffffe, v1
	v_cvt_u32_f32_e32 v1, v1
	v_and_b32_e32 v52, 15, v0
	s_mul_hi_i32 s53, s49, s17
	v_lshrrev_b32_e32 v54, 3, v50
	v_readfirstlane_b32 s26, v1
	s_mul_i32 s24, s24, s26
	s_mul_hi_u32 s24, s26, s24
	s_add_i32 s26, s26, s24
	s_mul_hi_u32 s24, s1, s26
	s_mul_i32 s26, s24, s25
	s_sub_i32 s1, s1, s26
	s_add_i32 s26, s24, 1
	s_sub_i32 s27, s1, s25
	s_cmp_ge_u32 s1, s25
	s_cselect_b32 s24, s26, s24
	s_cselect_b32 s1, s27, s1
	s_add_i32 s26, s24, 1
	s_cmp_ge_u32 s1, s25
	s_cselect_b32 s1, s26, s24
	s_xor_b32 s1, s1, s0
	s_sub_i32 s54, s1, s0
	v_or_b32_e32 v1, v10, v49
	s_lshl_b32 s2, s2, 4
	v_or_b32_e32 v55, 64, v1
	s_cmp_lt_i32 s16, 64
	v_lshlrev_b32_e32 v53, 3, v0
	s_mul_i32 s21, s49, s21
	s_mul_hi_u32 s46, s49, s20
	s_mul_i32 s38, s49, s20
	v_mov_b32_e32 v8, v9
	v_mov_b32_e32 v7, v9
	;; [unrolled: 1-line block ×7, first 2 shown]
	s_cbranch_scc1 .LBB749_18
; %bb.1:
	s_ashr_i32 s3, s49, 31
	s_ashr_i32 s56, s33, 31
	s_add_u32 s0, s47, s33
	s_addc_u32 s1, s53, s56
	s_mul_i32 s1, s16, s1
	s_mul_hi_u32 s24, s16, s0
	s_add_i32 s41, s24, s1
	s_mul_i32 s40, s16, s0
	s_lshl_b64 s[0:1], s[40:41], 8
	v_and_b32_e32 v57, 56, v53
	s_add_u32 s24, s6, s0
	v_lshl_or_b32 v56, v48, 3, v54
	v_lshlrev_b32_e32 v3, 1, v57
	s_addc_u32 s0, s7, s1
	v_lshl_or_b32 v58, v56, 8, v3
	s_and_b32 s25, s0, 0xffff
	s_mov_b32 s27, 0x20000
	s_movk_i32 s26, 0x4000
	s_movk_i32 s0, 0x80
	v_or_b32_e32 v59, 0x2000, v58
	buffer_load_dwordx4 v[4:7], v58, s[24:27], 0 offen
	buffer_load_dwordx4 v[12:15], v58, s[24:27], s0 offen
	;; [unrolled: 1-line block ×4, first 2 shown]
	v_lshlrev_b32_e32 v2, 3, v56
	v_and_or_b32 v9, v0, 7, v2
	v_and_b32_e32 v2, 0x78, v2
	v_lshlrev_b32_e32 v9, 4, v9
	v_xor_b32_e32 v60, v9, v2
	v_mul_lo_u32 v8, v56, s19
	v_or_b32_e32 v61, 0x1000, v60
	v_xor_b32_e32 v2, 8, v60
	s_cmpk_eq_i32 s19, 0x80
	s_mov_b32 s55, s18
	v_xor_b32_e32 v9, 8, v61
	s_cselect_b64 s[0:1], -1, 0
	s_cmpk_lg_i32 s19, 0x80
	s_waitcnt vmcnt(3)
	ds_write_b64 v60, v[4:5] offset:16384
	ds_write_b64 v2, v[6:7] offset:16384
	s_waitcnt vmcnt(2)
	ds_write_b64 v60, v[12:13] offset:24576
	ds_write_b64 v2, v[14:15] offset:24576
	;; [unrolled: 3-line block ×4, first 2 shown]
	v_lshl_add_u32 v2, v8, 1, v57
	s_cbranch_scc0 .LBB749_3
; %bb.2:
	v_lshlrev_b32_e32 v6, 1, v2
	v_add_lshl_u32 v5, v2, s19, 1
	s_lshl_b32 s26, s19, 7
	v_lshl_or_b32 v4, v56, 9, v3
	s_cbranch_execz .LBB749_4
	s_branch .LBB749_5
.LBB749_3:
                                        ; implicit-def: $vgpr5
                                        ; implicit-def: $vgpr6
                                        ; implicit-def: $sgpr26
	v_lshl_or_b32 v4, v56, 9, v3
.LBB749_4:
	v_or_b32_e32 v5, 0x100, v4
	s_movk_i32 s26, 0x4000
	v_mov_b32_e32 v6, v4
.LBB749_5:
	s_mul_hi_u32 s24, s18, s16
	s_mul_i32 s25, s51, s16
	s_add_i32 s24, s24, s25
	s_mul_i32 s25, s18, s16
	s_mul_i32 s27, s25, s3
	s_mul_hi_u32 s28, s25, s49
	s_add_i32 s27, s28, s27
	s_mul_i32 s24, s24, s49
	s_add_i32 s27, s27, s24
	s_mul_i32 s25, s25, s49
	s_ashr_i32 s57, s54, 31
	s_add_u32 s24, s25, s54
	s_addc_u32 s25, s27, s57
	s_lshl_b64 s[24:25], s[24:25], 8
	s_add_u32 s24, s4, s24
	s_addc_u32 s25, s5, s25
	s_and_b32 s25, s25, 0xffff
	s_mov_b32 s27, 0x20000
	s_movk_i32 s58, 0x80
	buffer_load_dwordx4 v[12:15], v6, s[24:27], 0 offen
	buffer_load_dwordx4 v[16:19], v6, s[24:27], s58 offen
	;; [unrolled: 1-line block ×4, first 2 shown]
	v_and_b32_e32 v3, 6, v0
	s_mul_i32 s24, s3, s16
	s_mul_hi_u32 s25, s49, s16
	v_lshlrev_b32_e32 v6, 2, v52
	v_lshlrev_b32_e32 v7, 3, v52
	v_xor_b32_e32 v9, v56, v3
	v_and_b32_e32 v5, 1, v0
	s_mul_i32 s3, s3, s20
	v_lshl_or_b32 v7, v1, 5, v7
	v_xor_b32_e32 v11, v1, v6
	v_lshlrev_b32_e32 v9, 2, v9
	s_add_i32 s63, s25, s24
	s_add_i32 s24, s46, s21
	v_or_b32_e32 v62, 0x9000, v7
	v_or_b32_e32 v63, 0x9800, v7
	v_lshlrev_b32_e32 v7, 1, v11
	v_xor_b32_e32 v11, 0x440, v9
	v_cmp_eq_u32_e32 vcc, 0, v5
	s_add_i32 s39, s24, s3
	s_mul_i32 s3, s33, s23
	s_mul_hi_u32 s24, s33, s22
	v_cndmask_b32_e32 v5, v11, v9, vcc
	s_add_i32 s3, s24, s3
	s_mul_i32 s24, s56, s22
	s_mov_b32 s60, 0x1000504
	v_lshlrev_b32_e32 v8, 8, v52
	s_mov_b32 s26, 0x8000
	v_xor_b32_e32 v6, v55, v6
	v_lshl_or_b32 v3, v3, 10, v5
	s_add_i32 s25, s3, s24
	s_lshl_b64 s[28:29], s[38:39], 2
	s_mov_b32 s61, 0x3020706
	v_lshlrev_b32_e32 v6, 1, v6
	v_or3_b32 v64, v7, v8, s26
	v_xor_b32_e32 v5, 8, v3
	v_xor_b32_e32 v7, 24, v3
	;; [unrolled: 1-line block ×4, first 2 shown]
	s_mul_i32 s24, s33, s22
	s_add_u32 s3, s10, s28
	v_or3_b32 v65, v6, v8, s26
	v_xor_b32_e32 v6, 16, v3
	v_xor_b32_e32 v8, 32, v3
	;; [unrolled: 1-line block ×3, first 2 shown]
	v_add_u32_e32 v5, 0x80, v5
	v_add_u32_e32 v7, 0x80, v7
	;; [unrolled: 1-line block ×4, first 2 shown]
	s_addc_u32 s28, s11, s29
	s_lshl_b64 s[24:25], s[24:25], 2
	s_add_u32 s42, s3, s24
	s_movk_i32 s3, 0xf8
	s_addc_u32 s43, s28, s25
	s_lshl_b32 s30, s19, 7
	s_mov_b32 s59, 0
	s_mul_i32 s62, s49, s16
	v_add_u32_e32 v80, v49, v10
	v_mov_b32_e32 v81, 0x3fb8aa3b
	s_mov_b32 s64, 0
	s_waitcnt vmcnt(1)
	v_perm_b32 v29, v12, v20, s60
	s_waitcnt vmcnt(0)
	v_perm_b32 v30, v16, v24, s60
	v_perm_b32 v12, v12, v20, s61
	;; [unrolled: 1-line block ×15, first 2 shown]
	ds_write2st64_b32 v3, v29, v30 offset1:32
	ds_write2st64_b32 v5, v12, v16 offset1:32
	ds_write2st64_b32 v6, v20, v24 offset0:1 offset1:33
	ds_write2st64_b32 v7, v13, v17 offset0:1 offset1:33
	;; [unrolled: 1-line block ×6, first 2 shown]
	v_or_b32_e32 v3, v49, v52
	v_lshlrev_b32_e32 v3, 3, v3
	v_lshrrev_b32_e32 v7, 5, v50
	v_and_or_b32 v7, v3, s3, v7
	v_lshlrev_b32_e32 v7, 4, v7
	v_lshlrev_b32_e32 v5, 11, v48
	v_and_b32_e32 v3, 0x78, v3
	v_or_b32_e32 v12, 32, v7
	v_and_b32_e32 v6, 0x1000, v5
	v_lshrrev_b32_e32 v11, 1, v0
	v_xor_b32_e32 v12, v12, v3
	v_and_b32_e32 v9, 8, v11
	v_or_b32_e32 v12, v12, v6
	v_xor_b32_e32 v8, v7, v3
	v_xor_b32_e32 v68, v12, v9
	v_or_b32_e32 v12, 64, v7
	v_or_b32_e32 v7, 0x60, v7
	v_xor_b32_e32 v12, v12, v3
	v_xor_b32_e32 v3, v7, v3
	v_or_b32_e32 v3, v3, v6
	v_or_b32_e32 v12, v12, v6
	v_xor_b32_e32 v70, v3, v9
	v_lshlrev_b32_e32 v14, 1, v2
	v_add_lshl_u32 v15, v2, s19, 1
	v_lshrrev_b32_e32 v2, 4, v0
	v_lshlrev_b32_e32 v3, 1, v52
	v_xor_b32_e32 v69, v12, v9
	s_ashr_i32 s3, s2, 31
	v_or_b32_e32 v12, 1, v3
	v_xor_b32_e32 v3, v2, v3
	s_lshl_b64 s[24:25], s[2:3], 8
	v_xor_b32_e32 v12, v12, v2
	v_lshlrev_b32_e32 v3, 3, v3
	v_lshlrev_b32_e32 v2, 8, v2
	s_waitcnt lgkmcnt(0)
	s_add_u32 s24, s12, s24
	v_or3_b32 v72, v3, v2, s26
	v_lshlrev_b32_e32 v3, 3, v12
	s_addc_u32 s25, s13, s25
	v_or3_b32 v73, v3, v2, s26
	v_mov_b32_e32 v3, 0
	v_lshl_add_u64 v[12:13], s[24:25], 0, v[2:3]
	v_lshlrev_b32_e32 v2, 4, v52
	s_movk_i32 s3, 0xff
	v_lshlrev_b32_e32 v18, 3, v48
	v_and_b32_e32 v11, 24, v11
	v_lshl_add_u64 v[42:43], v[12:13], 0, v[2:3]
	v_and_b32_e32 v12, 8, v0
	v_cmp_lt_u32_e32 vcc, s3, v0
	v_xor_b32_e32 v19, v18, v11
	v_or_b32_e32 v20, 0x440, v19
	v_cndmask_b32_e64 v17, 0, 1, vcc
	v_cmp_eq_u32_e32 vcc, 0, v12
	v_and_b32_e32 v2, 7, v0
	v_lshlrev_b32_e32 v13, 3, v2
	v_cndmask_b32_e32 v12, v20, v19, vcc
	v_lshlrev_b32_e32 v2, 7, v2
	v_or_b32_e32 v12, v12, v5
	v_xad_u32 v74, v12, v13, v2
	v_or_b32_e32 v12, 32, v11
	v_xor_b32_e32 v12, v18, v12
	v_or_b32_e32 v19, 0x440, v12
	v_cndmask_b32_e32 v12, v19, v12, vcc
	v_or_b32_e32 v12, v12, v5
	v_xad_u32 v75, v12, v13, v2
	v_or_b32_e32 v12, 64, v11
	v_xor_b32_e32 v12, v18, v12
	v_xor_b32_e32 v19, 0x440, v12
	v_cndmask_b32_e32 v12, v19, v12, vcc
	v_or_b32_e32 v11, 0x60, v11
	v_or_b32_e32 v12, v12, v5
	v_xor_b32_e32 v11, v18, v11
	v_or_b32_e32 v8, v8, v6
	v_or_b32_e32 v6, s2, v52
	v_xad_u32 v76, v12, v13, v2
	v_xor_b32_e32 v12, 0x440, v11
	v_xor_b32_e32 v66, v8, v9
	v_and_b32_e32 v8, 0x78, v53
	v_ashrrev_i32_e32 v7, 31, v6
	v_cndmask_b32_e32 v11, v12, v11, vcc
	v_lshl_or_b32 v8, v51, 7, v8
	v_lshlrev_b64 v[6:7], 1, v[6:7]
	v_or_b32_e32 v5, v11, v5
	v_or_b32_e32 v67, 0x9000, v8
	;; [unrolled: 1-line block ×3, first 2 shown]
	v_lshl_add_u64 v[8:9], s[8:9], 0, v[6:7]
	v_lshl_add_u64 v[6:7], s[14:15], 0, v[6:7]
	v_or_b32_e32 v16, 0x100, v4
	v_lshlrev_b32_e32 v17, 13, v17
	v_xad_u32 v77, v5, v13, v2
	v_lshlrev_b32_e32 v2, 8, v1
	v_cndmask_b32_e64 v78, v14, v4, s[0:1]
	v_cndmask_b32_e64 v79, v15, v16, s[0:1]
	v_lshl_add_u64 v[44:45], v[8:9], 0, v[2:3]
	v_lshl_add_u64 v[46:47], v[6:7], 0, v[2:3]
	s_mov_b32 s3, 0x7060302
	s_movk_i32 s26, 0x4000
	v_add_u32_e32 v82, v17, v74
	v_add_u32_e32 v83, v17, v75
	;; [unrolled: 1-line block ×4, first 2 shown]
	v_mov_b32_e32 v2, v3
	v_mov_b32_e32 v4, v3
	;; [unrolled: 1-line block ×7, first 2 shown]
	s_barrier
.LBB749_6:                              ; =>This Inner Loop Header: Depth=1
	s_add_i32 s39, s64, 1
	s_cmp_lt_i32 s39, s50
	s_mov_b64 s[28:29], 0
	s_cselect_b64 s[44:45], -1, 0
	s_cmp_ge_i32 s39, s50
	s_mov_b64 s[24:25], 0
	s_cbranch_scc1 .LBB749_8
; %bb.7:                                ;   in Loop: Header=BB749_6 Depth=1
	s_add_i32 s0, s59, 64
	s_add_u32 s0, s40, s0
	s_addc_u32 s1, s41, 0
	s_lshl_b64 s[0:1], s[0:1], 8
	s_add_u32 s24, s6, s0
	s_addc_u32 s25, s7, s1
.LBB749_8:                              ;   in Loop: Header=BB749_6 Depth=1
	v_cndmask_b32_e64 v5, 0, 1, s[44:45]
	v_cmp_ne_u32_e64 s[0:1], 1, v5
	s_andn2_b64 vcc, exec, s[44:45]
	s_cbranch_vccnz .LBB749_10
; %bb.9:                                ;   in Loop: Header=BB749_6 Depth=1
	s_add_i32 s28, s59, 64
	s_add_u32 s28, s62, s28
	s_addc_u32 s29, s63, 0
	s_mul_i32 s31, s28, s51
	s_mul_hi_u32 s44, s28, s55
	s_add_i32 s31, s44, s31
	s_mul_i32 s29, s29, s55
	s_add_i32 s31, s31, s29
	s_mul_i32 s28, s28, s55
	s_add_u32 s28, s28, s54
	s_addc_u32 s29, s31, s57
	s_lshl_b64 s[28:29], s[28:29], 8
	s_add_u32 s28, s4, s28
	s_addc_u32 s29, s5, s29
.LBB749_10:                             ;   in Loop: Header=BB749_6 Depth=1
	v_perm_b32 v11, v87, v4, s3
	v_perm_b32 v10, v3, v2, s3
	;; [unrolled: 1-line block ×4, first 2 shown]
	ds_write_b64 v62, v[10:11]
	ds_write_b64 v63, v[12:13]
	;; [unrolled: 1-line block ×4, first 2 shown]
	s_waitcnt lgkmcnt(0)
	s_barrier
	ds_read_b64 v[18:19], v66 offset:16384
	ds_read_b64 v[20:21], v68 offset:16384
	ds_read2st64_b64 v[10:13], v67 offset1:1
	ds_read2st64_b64 v[14:17], v67 offset0:2 offset1:3
	ds_read_b64 v[22:23], v69 offset:16384
	s_waitcnt lgkmcnt(2)
	v_mfma_f32_16x16x16_bf16 a[0:3], v[18:19], v[10:11], 0
	ds_read_b64 v[10:11], v70 offset:16384
	s_add_i32 s31, s59, 63
	s_mul_i32 s44, s31, s37
	v_mfma_f32_16x16x16_bf16 a[0:3], v[20:21], v[12:13], a[0:3]
	s_mul_hi_u32 s45, s31, s36
	s_add_i32 s45, s45, s44
	s_mul_i32 s44, s31, s36
	s_waitcnt lgkmcnt(1)
	v_mfma_f32_16x16x16_bf16 a[0:3], v[22:23], v[14:15], a[0:3]
	s_lshl_b64 s[44:45], s[44:45], 2
	s_add_u32 s44, s42, s44
	s_addc_u32 s45, s43, s45
	s_waitcnt lgkmcnt(0)
	v_mfma_f32_16x16x16_bf16 a[0:3], v[10:11], v[16:17], a[0:3]
	s_and_b64 vcc, exec, s[0:1]
	v_mov_b32_e32 v88, 0
	v_mov_b32_e32 v9, 0
	;; [unrolled: 1-line block ×19, first 2 shown]
	s_cbranch_vccnz .LBB749_12
; %bb.11:                               ;   in Loop: Header=BB749_6 Depth=1
	s_and_b32 s25, s25, 0xffff
	buffer_load_dwordx4 v[22:25], v58, s[24:27], 0 offen
	buffer_load_dwordx4 v[18:21], v58, s[24:27], s58 offen
	;; [unrolled: 1-line block ×4, first 2 shown]
	v_mov_b32_e32 v9, v60
	v_mov_b32_e32 v5, v61
.LBB749_12:                             ;   in Loop: Header=BB749_6 Depth=1
	s_waitcnt vmcnt(3)
	v_add_u32_e32 v32, s59, v80
	s_waitcnt vmcnt(1)
	v_ashrrev_i32_e32 v26, 31, v32
	v_mul_lo_u32 v28, v26, s36
	v_mul_lo_u32 v29, v32, s37
	v_mad_u64_u32 v[26:27], s[24:25], v32, s36, 0
	v_add3_u32 v27, v27, v29, v28
	v_add_u32_e32 v28, 1, v32
	v_ashrrev_i32_e32 v29, 31, v28
	v_mul_lo_u32 v30, v29, s36
	v_mul_lo_u32 v31, v28, s37
	v_mad_u64_u32 v[28:29], s[24:25], v28, s36, 0
	v_add3_u32 v29, v29, v31, v30
	v_add_u32_e32 v30, 2, v32
	v_ashrrev_i32_e32 v31, 31, v30
	v_mul_lo_u32 v33, v31, s36
	v_mul_lo_u32 v34, v30, s37
	v_mad_u64_u32 v[30:31], s[24:25], v30, s36, 0
	s_add_u32 s24, s40, s59
	v_add3_u32 v31, v31, v34, v33
	v_add_u32_e32 v34, 3, v32
	s_addc_u32 s25, s41, 0
	v_ashrrev_i32_e32 v32, 31, v34
	s_lshl_b64 s[66:67], s[24:25], 8
	v_lshl_add_u64 v[26:27], v[26:27], 2, s[42:43]
	v_mul_lo_u32 v35, v32, s36
	v_lshl_add_u64 v[32:33], v[44:45], 0, s[66:67]
	v_mul_lo_u32 v36, v34, s37
	global_load_ushort v90, v[32:33], off
	global_load_ushort v91, v[32:33], off offset:256
	global_load_ushort v92, v[32:33], off offset:512
	;; [unrolled: 1-line block ×3, first 2 shown]
	global_load_dword v94, v[26:27], off
	v_mad_u64_u32 v[26:27], s[24:25], v34, s36, 0
	v_lshl_add_u64 v[28:29], v[28:29], 2, s[42:43]
	v_add3_u32 v27, v27, v36, v35
	v_lshl_add_u64 v[30:31], v[30:31], 2, s[42:43]
	v_lshl_add_u64 v[26:27], v[26:27], 2, s[42:43]
	global_load_dword v95, v[28:29], off
	global_load_dword v96, v[30:31], off
	;; [unrolled: 1-line block ×3, first 2 shown]
	ds_read_b64 v[26:27], v66 offset:24576
	s_load_dword s24, s[44:45], 0x0
	ds_read_b64 v[36:37], v68 offset:24576
	ds_read2st64_b64 v[28:31], v71 offset1:1
	ds_read2st64_b64 v[32:35], v71 offset0:2 offset1:3
	ds_read_b64 v[38:39], v69 offset:24576
	ds_read_b64 v[40:41], v70 offset:24576
	s_waitcnt lgkmcnt(0)
	v_mfma_f32_16x16x16_bf16 a[0:3], v[26:27], v[28:29], a[0:3]
	v_mov_b32_e32 v89, 0
	v_mov_b32_e32 v26, 0
	;; [unrolled: 1-line block ×3, first 2 shown]
	v_mfma_f32_16x16x16_bf16 a[0:3], v[36:37], v[30:31], a[0:3]
	v_lshl_add_u64 v[36:37], v[46:47], 0, s[66:67]
	v_mov_b32_e32 v28, 0
	v_mov_b32_e32 v29, 0
	v_mfma_f32_16x16x16_bf16 a[0:3], v[38:39], v[32:33], a[0:3]
	v_mov_b32_e32 v30, 0
	v_mov_b32_e32 v31, 0
	;; [unrolled: 1-line block ×3, first 2 shown]
	v_mfma_f32_16x16x16_bf16 a[0:3], v[40:41], v[34:35], a[0:3]
	s_and_b64 vcc, exec, s[0:1]
	s_waitcnt vmcnt(7)
	v_lshlrev_b32_e32 v40, 16, v90
	s_nop 3
	v_accvgpr_read_b32 v39, a1
	v_accvgpr_read_b32 v35, a3
	;; [unrolled: 1-line block ×4, first 2 shown]
	s_waitcnt vmcnt(6)
	v_lshlrev_b32_e32 v41, 16, v91
	s_waitcnt vmcnt(4)
	v_lshlrev_b32_e32 v91, 16, v93
	v_lshlrev_b32_e32 v90, 16, v92
	s_waitcnt vmcnt(3)
	v_sub_f32_e32 v33, s24, v94
	v_pk_add_f32 v[38:39], v[40:41], v[38:39] neg_lo:[0,1] neg_hi:[0,1]
	v_pk_add_f32 v[34:35], v[90:91], v[34:35] neg_lo:[0,1] neg_hi:[0,1]
	v_mul_f32_e32 v33, 0x3fb8aa3b, v33
	s_waitcnt vmcnt(2)
	v_sub_f32_e32 v41, s24, v95
	s_waitcnt vmcnt(1)
	v_sub_f32_e32 v90, s24, v96
	;; [unrolled: 2-line block ×3, first 2 shown]
	v_exp_f32_e32 v40, v33
	v_mul_f32_e32 v33, 0x3fb8aa3b, v41
	v_mul_f32_e32 v90, 0x3fb8aa3b, v90
	;; [unrolled: 1-line block ×3, first 2 shown]
	v_exp_f32_e32 v41, v33
	v_exp_f32_e32 v90, v90
	;; [unrolled: 1-line block ×3, first 2 shown]
	global_store_short_d16_hi v[36:37], v38, off
	global_store_short_d16_hi v[36:37], v39, off offset:256
	global_store_short_d16_hi v[36:37], v34, off offset:512
	;; [unrolled: 1-line block ×3, first 2 shown]
	v_pk_mul_f32 v[36:37], v[40:41], v[38:39]
	v_pk_mul_f32 v[34:35], v[90:91], v[34:35]
	v_mov_b32_e32 v33, 0
	v_perm_b32 v35, v35, v34, s3
	v_perm_b32 v34, v37, v36, s3
	ds_write_b64 v63, v[34:35]
	v_mov_b32_e32 v34, 0
	v_mov_b32_e32 v35, 0
	v_mov_b32_e32 v36, 0
	v_mov_b32_e32 v37, 0
	v_mov_b32_e32 v38, 0
	v_mov_b32_e32 v39, 0
	v_mov_b32_e32 v40, 0
	v_mov_b32_e32 v41, 0
	s_cbranch_vccnz .LBB749_14
; %bb.13:                               ;   in Loop: Header=BB749_6 Depth=1
	s_and_b32 s29, s29, 0xffff
	s_mov_b32 s31, s27
	buffer_load_dwordx4 v[38:41], v78, s[28:31], 0 offen
	buffer_load_dwordx4 v[30:33], v78, s[28:31], s58 offen
	;; [unrolled: 1-line block ×4, first 2 shown]
	v_mov_b32_e32 v88, v57
	v_mov_b32_e32 v89, v56
.LBB749_14:                             ;   in Loop: Header=BB749_6 Depth=1
	s_waitcnt lgkmcnt(0)
	s_barrier
	ds_read_b64 v[98:99], v82
	ds_read2st64_b64 v[90:93], v71 offset1:1
	ds_read2st64_b64 v[94:97], v71 offset0:2 offset1:3
	ds_read_b64 v[100:101], v83
	ds_read_b64 v[102:103], v84
	;; [unrolled: 1-line block ×3, first 2 shown]
	s_waitcnt lgkmcnt(4)
	v_mfma_f32_16x16x16_bf16 a[0:3], v[98:99], v[90:91], 0
	ds_read_b64 v[98:99], v74 offset:8192
	ds_read_b64 v[106:107], v75 offset:8192
	s_add_i32 s25, s52, s64
	s_mul_hi_i32 s29, s25, s17
	s_waitcnt lgkmcnt(1)
	v_mfma_f32_16x16x16_bf16 a[4:7], v[98:99], v[90:91], 0
	s_mul_i32 s25, s25, s17
	s_add_u32 s28, s25, s33
	s_addc_u32 s29, s29, s56
	v_mfma_f32_16x16x16_bf16 a[0:3], v[100:101], v[92:93], a[0:3]
	ds_read_b64 v[98:99], v72
	ds_read_b64 v[100:101], v73
	ds_read_b64 v[90:91], v76 offset:8192
	s_lshl_b64 s[28:29], s[28:29], 15
	v_mfma_f32_16x16x16_bf16 a[0:3], v[102:103], v[94:95], a[0:3]
	ds_read_b64 v[102:103], v77 offset:8192
	s_and_b64 vcc, exec, s[0:1]
	s_waitcnt lgkmcnt(4)
	v_mfma_f32_16x16x16_bf16 a[4:7], v[106:107], v[92:93], a[4:7]
	s_waitcnt lgkmcnt(1)
	v_mfma_f32_16x16x16_bf16 a[4:7], v[90:91], v[94:95], a[4:7]
	v_lshl_add_u64 v[90:91], v[42:43], 0, s[28:29]
	global_store_dwordx4 v[90:91], v[98:101], off
	v_mfma_f32_16x16x16_bf16 a[0:3], v[104:105], v[96:97], a[0:3]
	s_waitcnt lgkmcnt(0)
	v_mfma_f32_16x16x16_bf16 a[4:7], v[102:103], v[96:97], a[4:7]
	s_cbranch_vccnz .LBB749_16
; %bb.15:                               ;   in Loop: Header=BB749_6 Depth=1
	v_lshrrev_b32_e32 v90, 3, v88
	v_and_b32_e32 v90, 6, v90
	v_xor_b32_e32 v89, v90, v89
	v_lshlrev_b32_e32 v89, 2, v89
	v_and_b32_e32 v88, 8, v88
	v_xor_b32_e32 v91, 0x440, v89
	v_cmp_eq_u32_e32 vcc, 0, v88
	s_barrier
	s_nop 0
	v_cndmask_b32_e32 v88, v91, v89, vcc
	v_lshl_or_b32 v88, v90, 10, v88
	s_waitcnt vmcnt(2)
	v_perm_b32 v89, v38, v34, s60
	s_waitcnt vmcnt(1)
	v_perm_b32 v90, v30, v26, s60
	ds_write2st64_b32 v88, v89, v90 offset1:32
	v_xor_b32_e32 v89, 8, v88
	v_perm_b32 v34, v38, v34, s61
	v_perm_b32 v26, v30, v26, s61
	v_add_u32_e32 v30, 0x80, v89
	ds_write2st64_b32 v30, v34, v26 offset1:32
	v_xor_b32_e32 v26, 16, v88
	v_perm_b32 v30, v39, v35, s60
	v_perm_b32 v34, v31, v27, s60
	ds_write2st64_b32 v26, v30, v34 offset0:1 offset1:33
	v_xor_b32_e32 v26, 24, v88
	v_perm_b32 v30, v39, v35, s61
	v_perm_b32 v27, v31, v27, s61
	v_add_u32_e32 v26, 0x80, v26
	ds_write2st64_b32 v26, v30, v27 offset0:1 offset1:33
	v_xor_b32_e32 v26, 32, v88
	v_perm_b32 v27, v40, v36, s60
	v_perm_b32 v30, v32, v28, s60
	ds_write2st64_b32 v26, v27, v30 offset0:2 offset1:34
	v_xor_b32_e32 v26, 40, v88
	v_perm_b32 v27, v40, v36, s61
	v_perm_b32 v28, v32, v28, s61
	v_add_u32_e32 v26, 0x80, v26
	ds_write2st64_b32 v26, v27, v28 offset0:2 offset1:34
	;; [unrolled: 9-line block ×3, first 2 shown]
	ds_write_b64 v9, v[22:23] offset:16384
	v_xor_b32_e32 v22, 8, v9
	ds_write_b64 v22, v[24:25] offset:16384
	ds_write_b64 v9, v[18:19] offset:24576
	;; [unrolled: 1-line block ×4, first 2 shown]
	v_xor_b32_e32 v9, 8, v5
	ds_write_b64 v9, v[16:17] offset:16384
	ds_write_b64 v5, v[10:11] offset:24576
	;; [unrolled: 1-line block ×3, first 2 shown]
.LBB749_16:                             ;   in Loop: Header=BB749_6 Depth=1
	v_mul_f32_e32 v5, s24, v81
	v_exp_f32_e32 v10, v5
	s_nop 1
	v_accvgpr_read_b32 v9, a1
	v_accvgpr_read_b32 v5, a0
	s_add_i32 s59, s59, 64
	v_fma_f32 v3, v3, v10, v9
	v_accvgpr_read_b32 v9, a4
	v_fma_f32 v6, v6, v10, v9
	v_accvgpr_read_b32 v9, a5
	;; [unrolled: 2-line block ×6, first 2 shown]
	v_fmac_f32_e32 v5, v87, v10
	s_cmp_eq_u32 s50, s39
	v_fmac_f32_e32 v9, v86, v10
	s_cbranch_scc1 .LBB749_18
; %bb.17:                               ;   in Loop: Header=BB749_6 Depth=1
	s_mov_b32 s64, s39
	v_mov_b32_e32 v87, v5
	v_mov_b32_e32 v86, v9
	s_branch .LBB749_6
.LBB749_18:
	s_lshl_b32 s44, s50, 6
	s_sub_i32 s45, s16, s44
	s_cmp_gt_i32 s45, 0
	s_waitcnt vmcnt(2)
	v_or_b32_e32 v34, s2, v52
	s_cbranch_scc1 .LBB749_20
; %bb.19:
	s_ashr_i32 s0, s33, 31
	s_add_u32 s28, s47, s33
	s_addc_u32 s29, s53, s0
	v_or_b32_e32 v10, s2, v52
	s_cbranch_execz .LBB749_21
	s_branch .LBB749_77
.LBB749_20:
                                        ; implicit-def: $sgpr28_sgpr29
                                        ; implicit-def: $vgpr10
.LBB749_21:
	s_ashr_i32 s39, s49, 31
	s_ashr_i32 s3, s44, 31
	s_cmpk_lg_i32 s19, 0x80
	s_cselect_b64 s[40:41], -1, 0
	s_and_b64 vcc, exec, s[40:41]
	s_cbranch_vccz .LBB749_23
; %bb.22:
	s_mul_i32 s1, s49, s16
	s_mul_hi_i32 s0, s49, s16
	s_add_u32 s1, s1, s44
	s_addc_u32 s0, s0, s3
	s_mul_i32 s24, s1, s51
	s_mul_hi_u32 s25, s1, s18
	s_add_i32 s24, s25, s24
	s_mul_i32 s0, s0, s18
	s_add_i32 s24, s24, s0
	s_mul_i32 s1, s1, s18
	s_ashr_i32 s0, s54, 31
	s_add_u32 s42, s1, s54
	s_addc_u32 s43, s24, s0
	s_cbranch_execz .LBB749_24
	s_branch .LBB749_25
.LBB749_23:
                                        ; implicit-def: $sgpr42_sgpr43
.LBB749_24:
	s_mul_hi_i32 s0, s49, s18
	s_mul_i32 s49, s49, s18
	s_ashr_i32 s1, s54, 31
	s_add_u32 s18, s49, s54
	s_addc_u32 s0, s0, s1
	s_mul_i32 s1, s18, s48
	s_mul_hi_u32 s24, s18, s16
	s_add_i32 s1, s24, s1
	s_mul_i32 s0, s0, s16
	s_add_i32 s1, s1, s0
	s_mul_i32 s18, s18, s16
	s_add_u32 s42, s18, s44
	s_addc_u32 s43, s1, s3
.LBB749_25:
	s_add_i32 s24, s52, s50
	s_ashr_i32 s18, s33, 31
	s_add_u32 s28, s47, s33
	s_addc_u32 s29, s53, s18
	s_mul_i32 s0, s28, s48
	s_mul_hi_u32 s1, s28, s16
	s_add_i32 s0, s1, s0
	s_mul_i32 s1, s29, s16
	s_add_i32 s1, s0, s1
	s_mul_i32 s0, s28, s16
	s_add_u32 s0, s0, s44
	s_addc_u32 s1, s1, s3
	s_mov_b32 s3, 0x7060302
	v_lshlrev_b32_e32 v14, 3, v52
	s_lshl_b64 s[30:31], s[0:1], 8
	v_perm_b32 v11, v5, v4, s3
	v_perm_b32 v10, v3, v2, s3
	;; [unrolled: 1-line block ×4, first 2 shown]
	v_lshlrev_b32_e32 v44, 2, v52
	v_lshl_or_b32 v14, v1, 5, v14
	s_add_u32 s0, s6, s30
	ds_write2st64_b64 v14, v[10:11], v[12:13] offset0:72 offset1:76
	v_xor_b32_e32 v14, v1, v44
	v_lshlrev_b32_e32 v15, 8, v52
	s_addc_u32 s1, s7, s31
	v_lshl_or_b32 v14, v14, 1, v15
	s_mul_hi_i32 s3, s24, s17
	s_mul_i32 s24, s24, s17
	ds_write_b64 v14, v[10:11] offset:32768
	v_xor_b32_e32 v10, v55, v44
	s_add_u32 s6, s24, s33
	v_lshl_or_b32 v10, v10, 1, v15
	s_addc_u32 s7, s3, s18
	v_lshlrev_b32_e32 v11, 1, v52
	ds_write_b64 v10, v[12:13] offset:32768
	v_lshrrev_b32_e32 v10, 4, v0
	s_ashr_i32 s3, s2, 31
	s_lshl_b64 s[6:7], s[6:7], 15
	v_or_b32_e32 v12, 1, v11
	s_waitcnt lgkmcnt(0)
	s_add_u32 s6, s12, s6
	v_xor_b32_e32 v11, v10, v11
	v_xor_b32_e32 v12, v12, v10
	v_lshlrev_b32_e32 v14, 8, v10
	s_addc_u32 s7, s13, s7
	s_lshl_b64 s[2:3], s[2:3], 8
	v_lshl_or_b32 v10, v11, 3, v14
	v_lshl_or_b32 v12, v12, 3, v14
	s_barrier
	s_add_u32 s2, s6, s2
	ds_read_b64 v[10:11], v10 offset:32768
	ds_read_b64 v[12:13], v12 offset:32768
	s_addc_u32 s3, s7, s3
	v_mov_b32_e32 v15, 0
	s_cmp_lg_u32 s45, 64
	v_lshl_add_u64 v[16:17], s[2:3], 0, v[14:15]
	v_lshlrev_b32_e32 v14, 4, v52
	s_cselect_b64 s[6:7], -1, 0
	v_lshl_or_b32 v35, v48, 3, v54
	s_mov_b32 s24, 0
	v_lshl_add_u64 v[14:15], v[16:17], 0, v[14:15]
	s_waitcnt vmcnt(1)
	v_or_b32_e32 v27, 32, v35
	v_and_b32_e32 v26, 56, v53
	s_and_b64 vcc, exec, s[6:7]
	s_waitcnt lgkmcnt(0)
	global_store_dwordx4 v[14:15], v[10:13], off
	s_cbranch_vccz .LBB749_31
; %bb.26:
	s_mov_b32 s25, s24
	s_mov_b32 s26, s24
	;; [unrolled: 1-line block ×3, first 2 shown]
	v_mov_b64_e32 v[14:15], s[24:25]
	v_mov_b64_e32 v[16:17], s[26:27]
	;; [unrolled: 1-line block ×3, first 2 shown]
	v_cmp_gt_i32_e32 vcc, s45, v35
	v_mov_b64_e32 v[12:13], v[16:17]
	s_and_saveexec_b64 s[2:3], vcc
	s_cbranch_execz .LBB749_28
; %bb.27:
	v_lshlrev_b32_e32 v10, 8, v35
	v_mov_b32_e32 v11, 0
	v_lshl_add_u64 v[12:13], s[0:1], 0, v[10:11]
	v_lshlrev_b32_e32 v10, 1, v26
	v_lshl_add_u64 v[18:19], v[12:13], 0, v[10:11]
	global_load_dwordx4 v[14:17], v[18:19], off
	global_load_dwordx4 v[10:13], v[18:19], off offset:128
.LBB749_28:
	s_or_b64 exec, exec, s[2:3]
	s_mov_b32 s25, s24
	s_mov_b32 s26, s24
	;; [unrolled: 1-line block ×3, first 2 shown]
	v_mov_b64_e32 v[22:23], s[24:25]
	v_mov_b64_e32 v[24:25], s[26:27]
	;; [unrolled: 1-line block ×3, first 2 shown]
	v_cmp_gt_i32_e32 vcc, s45, v27
	v_lshlrev_b32_e32 v28, 7, v27
	v_mov_b64_e32 v[20:21], v[24:25]
	s_and_saveexec_b64 s[2:3], vcc
	s_cbranch_execz .LBB749_30
; %bb.29:
	v_lshlrev_b32_e32 v18, 1, v28
	v_mov_b32_e32 v19, 0
	v_lshl_add_u64 v[20:21], s[0:1], 0, v[18:19]
	v_lshlrev_b32_e32 v18, 1, v26
	v_lshl_add_u64 v[30:31], v[20:21], 0, v[18:19]
	global_load_dwordx4 v[22:25], v[30:31], off
	global_load_dwordx4 v[18:21], v[30:31], off offset:128
.LBB749_30:
	s_or_b64 exec, exec, s[2:3]
	v_lshrrev_b32_e32 v29, 3, v26
	v_lshlrev_b32_e32 v30, 3, v35
	v_or_b32_e32 v29, v30, v29
	v_lshlrev_b32_e32 v29, 4, v29
	v_and_b32_e32 v30, 0x78, v30
	v_xor_b32_e32 v29, v29, v30
	s_branch .LBB749_33
.LBB749_31:
                                        ; implicit-def: $vgpr29
                                        ; implicit-def: $vgpr28
                                        ; implicit-def: $vgpr14_vgpr15_vgpr16_vgpr17
                                        ; implicit-def: $vgpr10_vgpr11_vgpr12_vgpr13
                                        ; implicit-def: $vgpr22_vgpr23_vgpr24_vgpr25
                                        ; implicit-def: $vgpr18_vgpr19_vgpr20_vgpr21
	s_cbranch_execz .LBB749_33
; %bb.32:
	s_waitcnt vmcnt(0)
	v_lshlrev_b32_e32 v10, 1, v26
	v_lshl_or_b32 v28, v35, 8, v10
	s_and_b32 s1, s1, 0xffff
	s_mov_b32 s3, 0x20000
	s_movk_i32 s2, 0x4000
	v_lshl_or_b32 v29, v27, 8, v10
	s_movk_i32 s12, 0x80
	buffer_load_dwordx4 v[14:17], v28, s[0:3], 0 offen
	buffer_load_dwordx4 v[10:13], v28, s[0:3], s12 offen
	;; [unrolled: 1-line block ×4, first 2 shown]
	v_lshrrev_b32_e32 v28, 3, v26
	v_lshlrev_b32_e32 v29, 3, v35
	v_or_b32_e32 v28, v29, v28
	v_lshlrev_b32_e32 v28, 4, v28
	v_and_b32_e32 v29, 0x78, v29
	v_xor_b32_e32 v29, v28, v29
	v_lshlrev_b32_e32 v28, 7, v27
.LBB749_33:
	s_lshl_b64 s[0:1], s[42:43], 8
	s_add_u32 s4, s4, s0
	s_movk_i32 s0, 0x1000
	v_and_or_b32 v27, v28, s0, v29
	s_waitcnt vmcnt(1)
	ds_write_b64 v29, v[14:15] offset:16384
	v_xor_b32_e32 v14, 8, v29
	ds_write_b64 v14, v[16:17] offset:16384
	s_waitcnt vmcnt(0)
	ds_write_b64 v29, v[10:11] offset:24576
	ds_write_b64 v14, v[12:13] offset:24576
	;; [unrolled: 1-line block ×3, first 2 shown]
	v_xor_b32_e32 v10, 8, v27
	ds_write_b64 v10, v[24:25] offset:16384
	ds_write_b64 v27, v[18:19] offset:24576
	;; [unrolled: 1-line block ×3, first 2 shown]
	v_or_b32_e32 v10, v49, v52
	s_addc_u32 s5, s5, s1
	s_add_i32 s2, s16, -1
	v_lshlrev_b32_e32 v10, 3, v10
	v_lshrrev_b32_e32 v12, 5, v50
	s_movk_i32 s16, 0xf8
	v_and_or_b32 v12, v10, s16, v12
	v_lshlrev_b32_e32 v45, 11, v48
	v_lshlrev_b32_e32 v20, 4, v12
	v_and_b32_e32 v21, 0x78, v10
	v_and_b32_e32 v22, 0x1000, v45
	v_lshlrev_b32_e32 v11, 2, v0
	v_xor_b32_e32 v10, v20, v21
	v_lshrrev_b32_e32 v12, 1, v50
	v_and_b32_e32 v11, 60, v11
	v_or_b32_e32 v10, v10, v22
	v_and_b32_e32 v23, 8, v12
	v_xor_b32_e32 v36, v10, v23
	v_lshl_or_b32 v10, v51, 6, v11
	v_lshlrev_b32_e32 v46, 1, v10
	v_or_b32_e32 v10, 32, v20
	v_xor_b32_e32 v10, v10, v21
	s_waitcnt lgkmcnt(0)
	s_barrier
	ds_read_b64 v[18:19], v36 offset:16384
	v_or_b32_e32 v10, v10, v22
	v_xor_b32_e32 v37, v10, v23
	v_or_b32_e32 v10, 64, v20
	v_xor_b32_e32 v10, v10, v21
	v_or_b32_e32 v10, v10, v22
	v_or_b32_e32 v20, 0x60, v20
	v_xor_b32_e32 v38, v10, v23
	ds_read2st64_b64 v[10:13], v46 offset0:72 offset1:73
	ds_read2st64_b64 v[14:17], v46 offset0:74 offset1:75
	v_xor_b32_e32 v24, v20, v21
	ds_read_b64 v[20:21], v37 offset:16384
	s_waitcnt lgkmcnt(2)
	v_mfma_f32_16x16x16_bf16 a[0:3], v[18:19], v[10:11], 0
	s_add_i32 s0, s46, s21
	s_mul_i32 s39, s39, s20
	s_add_i32 s39, s0, s39
	s_mul_i32 s0, s33, s23
	s_mul_hi_u32 s1, s33, s22
	s_ashr_i32 s3, s2, 31
	s_mul_i32 s12, s2, s37
	s_mul_hi_u32 s13, s2, s36
	s_add_i32 s0, s1, s0
	s_mul_i32 s1, s18, s22
	s_add_i32 s12, s13, s12
	s_mul_i32 s3, s3, s36
	v_or_b32_e32 v22, v24, v22
	s_add_i32 s1, s0, s1
	s_add_i32 s3, s12, s3
	s_lshl_b64 s[12:13], s[38:39], 2
	v_xor_b32_e32 v47, v22, v23
	ds_read_b64 v[22:23], v38 offset:16384
	ds_read_b64 v[24:25], v47 offset:16384
	s_waitcnt lgkmcnt(2)
	v_mfma_f32_16x16x16_bf16 a[0:3], v[20:21], v[12:13], a[0:3]
	s_mul_i32 s0, s33, s22
	s_add_u32 s10, s10, s12
	s_addc_u32 s11, s11, s13
	s_lshl_b64 s[0:1], s[0:1], 2
	s_mul_i32 s2, s2, s36
	s_add_u32 s10, s10, s0
	s_addc_u32 s11, s11, s1
	s_lshl_b64 s[0:1], s[2:3], 2
	s_waitcnt lgkmcnt(1)
	v_mfma_f32_16x16x16_bf16 a[0:3], v[22:23], v[14:15], a[0:3]
	s_add_u32 s0, s10, s0
	s_addc_u32 s1, s11, s1
	s_load_dword s12, s[0:1], 0x0
	s_waitcnt lgkmcnt(0)
	v_mfma_f32_16x16x16_bf16 a[0:3], v[24:25], v[16:17], a[0:3]
	s_and_b64 vcc, exec, s[40:41]
	s_cbranch_vccz .LBB749_44
; %bb.34:
	v_lshlrev_b32_e32 v27, 1, v35
	s_and_b64 vcc, exec, s[6:7]
	s_cbranch_vccz .LBB749_45
; %bb.35:
	v_cmp_gt_i32_e32 vcc, s45, v27
	v_mov_b32_e32 v14, 0
	v_mov_b32_e32 v10, 0
	;; [unrolled: 1-line block ×5, first 2 shown]
	s_and_saveexec_b64 s[0:1], vcc
	s_cbranch_execz .LBB749_37
; %bb.36:
	v_mad_i64_i32 v[10:11], s[2:3], s19, v27, 0
	v_lshl_add_u64 v[10:11], v[10:11], 1, s[4:5]
	v_lshlrev_b32_e32 v12, 1, v26
	v_mov_b32_e32 v13, 0
	v_lshl_add_u64 v[10:11], v[10:11], 0, v[12:13]
	global_load_dwordx4 v[10:13], v[10:11], off
.LBB749_37:
	s_or_b64 exec, exec, s[0:1]
	v_or_b32_e32 v28, 1, v27
	v_cmp_gt_i32_e64 s[0:1], s45, v28
	v_mov_b32_e32 v15, 0
	v_mov_b32_e32 v16, 0
	;; [unrolled: 1-line block ×3, first 2 shown]
	s_and_saveexec_b64 s[2:3], s[0:1]
	s_cbranch_execz .LBB749_39
; %bb.38:
	v_mad_i64_i32 v[14:15], s[16:17], s19, v28, 0
	v_lshl_add_u64 v[14:15], v[14:15], 1, s[4:5]
	v_lshlrev_b32_e32 v16, 1, v26
	v_mov_b32_e32 v17, 0
	v_lshl_add_u64 v[14:15], v[14:15], 0, v[16:17]
	global_load_dwordx4 v[14:17], v[14:15], off
.LBB749_39:
	s_or_b64 exec, exec, s[2:3]
	v_mov_b32_e32 v25, 0
	v_mov_b32_e32 v18, 0
	;; [unrolled: 1-line block ×5, first 2 shown]
	s_and_saveexec_b64 s[2:3], vcc
	s_cbranch_execz .LBB749_41
; %bb.40:
	v_mad_i64_i32 v[18:19], s[16:17], s19, v27, 0
	v_lshl_add_u64 v[18:19], v[18:19], 1, s[4:5]
	v_lshlrev_b32_e32 v20, 1, v26
	v_mov_b32_e32 v21, 0
	v_lshl_add_u64 v[18:19], v[18:19], 0, v[20:21]
	global_load_dwordx4 v[18:21], v[18:19], off offset:128
.LBB749_41:
	s_or_b64 exec, exec, s[2:3]
	v_mov_b32_e32 v24, 0
	v_mov_b32_e32 v23, 0
	v_mov_b32_e32 v22, 0
	s_and_saveexec_b64 s[2:3], s[0:1]
	s_cbranch_execz .LBB749_43
; %bb.42:
	v_mad_i64_i32 v[22:23], s[0:1], s19, v28, 0
	v_lshl_add_u64 v[22:23], v[22:23], 1, s[4:5]
	v_lshlrev_b32_e32 v24, 1, v26
	v_mov_b32_e32 v25, 0
	v_lshl_add_u64 v[22:23], v[22:23], 0, v[24:25]
	global_load_dwordx4 v[22:25], v[22:23], off offset:128
.LBB749_43:
	s_or_b64 exec, exec, s[2:3]
	s_branch .LBB749_47
.LBB749_44:
                                        ; implicit-def: $vgpr13
                                        ; implicit-def: $vgpr17
                                        ; implicit-def: $vgpr21
                                        ; implicit-def: $vgpr25
	v_lshrrev_b32_e32 v50, 2, v50
	s_branch .LBB749_48
.LBB749_45:
                                        ; implicit-def: $vgpr13
                                        ; implicit-def: $vgpr17
                                        ; implicit-def: $vgpr21
                                        ; implicit-def: $vgpr25
	s_cbranch_execz .LBB749_47
; %bb.46:
	s_waitcnt vmcnt(0)
	v_mad_u64_u32 v[10:11], s[0:1], v27, s19, v[26:27]
	v_lshlrev_b32_e32 v27, 1, v10
	s_lshl_b32 s2, s19, 7
	s_and_b32 s1, s5, 0xffff
	s_mov_b32 s3, 0x20000
	s_mov_b32 s0, s4
	v_add_lshl_u32 v28, v10, s19, 1
	s_movk_i32 s13, 0x80
	buffer_load_dwordx4 v[10:13], v27, s[0:3], 0 offen
	buffer_load_dwordx4 v[18:21], v27, s[0:3], s13 offen
	;; [unrolled: 1-line block ×4, first 2 shown]
.LBB749_47:
	v_lshrrev_b32_e32 v50, 2, v50
	s_cbranch_execnz .LBB749_60
.LBB749_48:
	s_and_b64 vcc, exec, s[6:7]
	s_cbranch_vccz .LBB749_58
; %bb.49:
	s_waitcnt vmcnt(0)
	v_lshlrev_b32_e32 v15, 1, v35
	v_cmp_gt_i32_e32 vcc, s45, v15
	v_mov_b32_e32 v14, 0
	v_lshlrev_b32_e32 v22, 9, v35
	v_mov_b32_e32 v10, 0
	v_mov_b32_e32 v11, 0
	;; [unrolled: 1-line block ×4, first 2 shown]
	s_and_saveexec_b64 s[0:1], vcc
	s_cbranch_execz .LBB749_51
; %bb.50:
	v_mov_b32_e32 v23, 0
	v_lshl_add_u64 v[10:11], s[4:5], 0, v[22:23]
	v_lshlrev_b32_e32 v12, 1, v26
	v_mov_b32_e32 v13, v23
	v_lshl_add_u64 v[10:11], v[10:11], 0, v[12:13]
	global_load_dwordx4 v[10:13], v[10:11], off
.LBB749_51:
	s_or_b64 exec, exec, s[0:1]
	v_or_b32_e32 v15, 1, v15
	v_cmp_gt_i32_e64 s[0:1], s45, v15
	v_lshlrev_b32_e32 v28, 8, v15
	v_mov_b32_e32 v15, 0
	v_mov_b32_e32 v16, 0
	;; [unrolled: 1-line block ×3, first 2 shown]
	s_and_saveexec_b64 s[2:3], s[0:1]
	s_cbranch_execz .LBB749_53
; %bb.52:
	v_mov_b32_e32 v29, 0
	v_lshl_add_u64 v[14:15], s[4:5], 0, v[28:29]
	v_lshlrev_b32_e32 v16, 1, v26
	v_mov_b32_e32 v17, v29
	v_lshl_add_u64 v[14:15], v[14:15], 0, v[16:17]
	global_load_dwordx4 v[14:17], v[14:15], off
.LBB749_53:
	s_or_b64 exec, exec, s[2:3]
	v_mov_b32_e32 v25, 0
	v_mov_b32_e32 v18, 0
	;; [unrolled: 1-line block ×5, first 2 shown]
	s_and_saveexec_b64 s[2:3], vcc
	s_cbranch_execz .LBB749_55
; %bb.54:
	v_mov_b32_e32 v23, 0
	v_lshl_add_u64 v[18:19], s[4:5], 0, v[22:23]
	v_lshlrev_b32_e32 v22, 1, v26
	v_lshl_add_u64 v[18:19], v[18:19], 0, v[22:23]
	global_load_dwordx4 v[18:21], v[18:19], off offset:128
.LBB749_55:
	s_or_b64 exec, exec, s[2:3]
	v_mov_b32_e32 v24, 0
	v_mov_b32_e32 v23, 0
	;; [unrolled: 1-line block ×3, first 2 shown]
	s_and_saveexec_b64 s[2:3], s[0:1]
	s_cbranch_execz .LBB749_57
; %bb.56:
	v_mov_b32_e32 v29, 0
	v_lshl_add_u64 v[22:23], s[4:5], 0, v[28:29]
	v_lshlrev_b32_e32 v28, 1, v26
	v_lshl_add_u64 v[22:23], v[22:23], 0, v[28:29]
	global_load_dwordx4 v[22:25], v[22:23], off offset:128
.LBB749_57:
	s_or_b64 exec, exec, s[2:3]
	s_branch .LBB749_60
.LBB749_58:
                                        ; implicit-def: $vgpr13
                                        ; implicit-def: $vgpr17
                                        ; implicit-def: $vgpr21
                                        ; implicit-def: $vgpr25
	s_cbranch_execz .LBB749_60
; %bb.59:
	s_waitcnt vmcnt(0)
	v_lshlrev_b32_e32 v10, 1, v26
	v_lshl_or_b32 v26, v35, 9, v10
	s_and_b32 s5, s5, 0xffff
	s_mov_b32 s7, 0x20000
	s_movk_i32 s6, 0x4000
	s_movk_i32 s0, 0x80
	buffer_load_dwordx4 v[10:13], v26, s[4:7], 0 offen
	buffer_load_dwordx4 v[14:17], v26, s[4:7], 0 offen offset:256
	buffer_load_dwordx4 v[18:21], v26, s[4:7], s0 offen
	buffer_load_dwordx4 v[22:25], v26, s[4:7], s0 offen offset:256
.LBB749_60:
	ds_read2st64_b64 v[30:33], v46 offset0:76 offset1:77
	ds_read2st64_b64 v[26:29], v46 offset0:78 offset1:79
	ds_read_b64 v[42:43], v36 offset:24576
	ds_read_b64 v[40:41], v37 offset:24576
	;; [unrolled: 1-line block ×4, first 2 shown]
	v_and_b32_e32 v47, 6, v0
	v_xor_b32_e32 v35, v35, v47
	v_lshlrev_b32_e32 v35, 2, v35
	v_and_b32_e32 v51, 1, v0
	v_xor_b32_e32 v52, 0x440, v35
	v_cmp_eq_u32_e32 vcc, 0, v51
	s_mov_b32 s0, 0x1000504
	s_waitcnt vmcnt(0)
	v_perm_b32 v51, v18, v22, s0
	v_cndmask_b32_e32 v35, v52, v35, vcc
	v_lshl_or_b32 v35, v47, 10, v35
	v_perm_b32 v47, v10, v14, s0
	ds_write2st64_b32 v35, v47, v51 offset1:32
	v_xor_b32_e32 v47, 8, v35
	s_mov_b32 s1, 0x3020706
	v_perm_b32 v10, v10, v14, s1
	v_perm_b32 v14, v18, v22, s1
	v_add_u32_e32 v18, 0x80, v47
	ds_write2st64_b32 v18, v10, v14 offset1:32
	v_xor_b32_e32 v10, 16, v35
	v_perm_b32 v14, v11, v15, s0
	v_perm_b32 v18, v19, v23, s0
	ds_write2st64_b32 v10, v14, v18 offset0:1 offset1:33
	v_xor_b32_e32 v10, 24, v35
	v_perm_b32 v11, v11, v15, s1
	v_perm_b32 v14, v19, v23, s1
	v_add_u32_e32 v10, 0x80, v10
	ds_write2st64_b32 v10, v11, v14 offset0:1 offset1:33
	v_xor_b32_e32 v10, 32, v35
	v_perm_b32 v11, v12, v16, s0
	v_perm_b32 v14, v20, v24, s0
	ds_write2st64_b32 v10, v11, v14 offset0:2 offset1:34
	v_xor_b32_e32 v10, 40, v35
	v_perm_b32 v11, v12, v16, s1
	v_perm_b32 v12, v20, v24, s1
	v_add_u32_e32 v10, 0x80, v10
	ds_write2st64_b32 v10, v11, v12 offset0:2 offset1:34
	v_xor_b32_e32 v10, 48, v35
	v_perm_b32 v11, v13, v17, s0
	v_perm_b32 v12, v21, v25, s0
	ds_write2st64_b32 v10, v11, v12 offset0:3 offset1:35
	v_xor_b32_e32 v10, 56, v35
	v_and_or_b32 v18, v50, 12, v49
	v_perm_b32 v11, v13, v17, s1
	v_perm_b32 v12, v21, v25, s1
	v_add_u32_e32 v10, 0x80, v10
	v_cmp_gt_i32_e32 vcc, s45, v18
	v_mov_b32_e32 v20, 0
	v_mov_b32_e32 v24, 0
	ds_write2st64_b32 v10, v11, v12 offset0:3 offset1:35
	s_and_saveexec_b64 s[0:1], vcc
	s_cbranch_execz .LBB749_62
; %bb.61:
	v_add_u32_e32 v10, s44, v18
	v_ashrrev_i32_e32 v11, 31, v10
	v_mul_lo_u32 v12, v11, s36
	v_mul_lo_u32 v13, v10, s37
	v_mad_u64_u32 v[10:11], s[2:3], v10, s36, 0
	v_add3_u32 v11, v11, v13, v12
	v_lshl_add_u64 v[10:11], v[10:11], 2, s[10:11]
	global_load_dword v10, v[10:11], off
	s_waitcnt vmcnt(0)
	v_sub_f32_e32 v10, s12, v10
	v_mul_f32_e32 v10, 0x3fb8aa3b, v10
	v_exp_f32_e32 v24, v10
.LBB749_62:
	s_or_b64 exec, exec, s[0:1]
	v_or_b32_e32 v23, 1, v18
	v_cmp_gt_i32_e64 s[4:5], s45, v23
	s_and_saveexec_b64 s[0:1], s[4:5]
	s_cbranch_execz .LBB749_64
; %bb.63:
	v_add_u32_e32 v10, s44, v23
	v_ashrrev_i32_e32 v11, 31, v10
	v_mul_lo_u32 v12, v11, s36
	v_mul_lo_u32 v13, v10, s37
	v_mad_u64_u32 v[10:11], s[2:3], v10, s36, 0
	v_add3_u32 v11, v11, v13, v12
	v_lshl_add_u64 v[10:11], v[10:11], 2, s[10:11]
	global_load_dword v10, v[10:11], off
	s_waitcnt vmcnt(0)
	v_sub_f32_e32 v10, s12, v10
	v_mul_f32_e32 v10, 0x3fb8aa3b, v10
	v_exp_f32_e32 v20, v10
.LBB749_64:
	s_or_b64 exec, exec, s[0:1]
	v_or_b32_e32 v21, 2, v18
	v_cmp_gt_i32_e64 s[0:1], s45, v21
	v_mov_b32_e32 v19, 0
	v_mov_b32_e32 v25, 0
	s_and_saveexec_b64 s[2:3], s[0:1]
	s_cbranch_execz .LBB749_66
; %bb.65:
	v_add_u32_e32 v10, s44, v21
	v_ashrrev_i32_e32 v11, 31, v10
	v_mul_lo_u32 v12, v11, s36
	v_mul_lo_u32 v13, v10, s37
	v_mad_u64_u32 v[10:11], s[6:7], v10, s36, 0
	v_add3_u32 v11, v11, v13, v12
	v_lshl_add_u64 v[10:11], v[10:11], 2, s[10:11]
	global_load_dword v10, v[10:11], off
	s_waitcnt vmcnt(0)
	v_sub_f32_e32 v10, s12, v10
	v_mul_f32_e32 v10, 0x3fb8aa3b, v10
	v_exp_f32_e32 v25, v10
.LBB749_66:
	s_or_b64 exec, exec, s[2:3]
	v_or_b32_e32 v22, 3, v18
	v_cmp_gt_i32_e64 s[2:3], s45, v22
	s_and_saveexec_b64 s[6:7], s[2:3]
	s_cbranch_execz .LBB749_68
; %bb.67:
	v_add_u32_e32 v10, s44, v22
	v_ashrrev_i32_e32 v11, 31, v10
	v_mul_lo_u32 v12, v11, s36
	v_mul_lo_u32 v13, v10, s37
	v_mad_u64_u32 v[10:11], s[16:17], v10, s36, 0
	v_add3_u32 v11, v11, v13, v12
	v_lshl_add_u64 v[10:11], v[10:11], 2, s[10:11]
	global_load_dword v10, v[10:11], off
	s_waitcnt vmcnt(0)
	v_sub_f32_e32 v10, s12, v10
	v_mul_f32_e32 v10, 0x3fb8aa3b, v10
	v_exp_f32_e32 v19, v10
.LBB749_68:
	s_or_b64 exec, exec, s[6:7]
	s_waitcnt lgkmcnt(11)
	v_mfma_f32_16x16x16_bf16 a[0:3], v[42:43], v[30:31], a[0:3]
	s_add_u32 s6, s8, s30
	v_ashrrev_i32_e32 v35, 31, v34
	s_addc_u32 s7, s9, s31
	s_waitcnt lgkmcnt(10)
	v_mfma_f32_16x16x16_bf16 a[0:3], v[40:41], v[32:33], a[0:3]
	v_lshlrev_b64 v[10:11], 1, v[34:35]
	v_lshl_add_u64 v[14:15], s[6:7], 0, v[10:11]
	s_add_u32 s6, s14, s30
	s_waitcnt lgkmcnt(9)
	v_mfma_f32_16x16x16_bf16 a[0:3], v[38:39], v[26:27], a[0:3]
	s_addc_u32 s7, s15, s31
	v_lshl_add_u64 v[16:17], s[6:7], 0, v[10:11]
	v_mov_b32_e32 v26, 0
	s_waitcnt lgkmcnt(8)
	v_mfma_f32_16x16x16_bf16 a[0:3], v[36:37], v[28:29], a[0:3]
	v_mov_b32_e32 v27, 0
	s_nop 5
	v_accvgpr_read_b32 v13, a3
	v_accvgpr_read_b32 v12, a2
	;; [unrolled: 1-line block ×4, first 2 shown]
	s_and_saveexec_b64 s[6:7], vcc
	s_cbranch_execz .LBB749_70
; %bb.69:
	v_lshlrev_b32_e32 v28, 8, v18
	v_mov_b32_e32 v29, 0
	v_lshl_add_u64 v[30:31], v[14:15], 0, v[28:29]
	global_load_ushort v27, v[30:31], off
	v_lshl_add_u64 v[28:29], v[16:17], 0, v[28:29]
	s_waitcnt vmcnt(0)
	v_lshlrev_b32_e32 v27, 16, v27
	v_sub_f32_e32 v10, v27, v10
	global_store_short_d16_hi v[28:29], v10, off
	v_mul_f32_e32 v10, v24, v10
	v_lshrrev_b32_e32 v27, 16, v10
.LBB749_70:
	s_or_b64 exec, exec, s[6:7]
	s_and_saveexec_b64 s[6:7], s[4:5]
	s_cbranch_execz .LBB749_72
; %bb.71:
	v_lshlrev_b32_e32 v28, 8, v23
	v_mov_b32_e32 v29, 0
	v_lshl_add_u64 v[30:31], v[14:15], 0, v[28:29]
	global_load_ushort v10, v[30:31], off
	v_lshl_add_u64 v[28:29], v[16:17], 0, v[28:29]
	s_waitcnt vmcnt(0)
	v_lshlrev_b32_e32 v10, 16, v10
	v_sub_f32_e32 v10, v10, v11
	global_store_short_d16_hi v[28:29], v10, off
	v_mul_f32_e32 v10, v20, v10
	v_lshrrev_b32_e32 v26, 16, v10
.LBB749_72:
	s_or_b64 exec, exec, s[6:7]
	v_mov_b32_e32 v11, 0
	v_mov_b32_e32 v20, 0
	s_and_saveexec_b64 s[4:5], s[0:1]
	s_cbranch_execz .LBB749_74
; %bb.73:
	v_lshlrev_b32_e32 v20, 8, v21
	v_mov_b32_e32 v21, 0
	v_lshl_add_u64 v[28:29], v[14:15], 0, v[20:21]
	global_load_ushort v10, v[28:29], off
	v_lshl_add_u64 v[20:21], v[16:17], 0, v[20:21]
	s_waitcnt vmcnt(0)
	v_lshlrev_b32_e32 v10, 16, v10
	v_sub_f32_e32 v10, v10, v12
	global_store_short_d16_hi v[20:21], v10, off
	v_mul_f32_e32 v10, v25, v10
	v_lshrrev_b32_e32 v20, 16, v10
.LBB749_74:
	s_or_b64 exec, exec, s[4:5]
	v_or_b32_e32 v10, 0x9800, v46
	s_and_saveexec_b64 s[0:1], s[2:3]
	s_cbranch_execz .LBB749_76
; %bb.75:
	v_lshlrev_b32_e32 v22, 8, v22
	v_mov_b32_e32 v23, 0
	v_lshl_add_u64 v[14:15], v[14:15], 0, v[22:23]
	global_load_ushort v11, v[14:15], off
	v_lshl_add_u64 v[14:15], v[16:17], 0, v[22:23]
	s_waitcnt vmcnt(0)
	v_lshlrev_b32_e32 v11, 16, v11
	v_sub_f32_e32 v11, v11, v13
	global_store_short_d16_hi v[14:15], v11, off
	v_mul_f32_e32 v11, v19, v11
	v_lshrrev_b32_e32 v11, 16, v11
.LBB749_76:
	s_or_b64 exec, exec, s[0:1]
	s_mov_b32 s0, 0x5040100
	v_perm_b32 v13, v11, v20, s0
	v_lshlrev_b32_e32 v11, 1, v44
	v_perm_b32 v12, v26, v27, s0
	v_lshl_or_b32 v11, v18, 5, v11
	s_movk_i32 s0, 0xff
	ds_write_b64 v11, v[12:13] offset:38912
	v_and_b32_e32 v11, 7, v0
	v_and_b32_e32 v12, 8, v0
	v_cmp_lt_u32_e32 vcc, s0, v0
	v_lshrrev_b32_e32 v0, 1, v0
	v_lshlrev_b32_e32 v22, 3, v11
	v_lshlrev_b32_e32 v23, 7, v11
	v_cndmask_b32_e64 v11, 0, 1, vcc
	v_lshlrev_b32_e32 v25, 3, v48
	v_and_b32_e32 v0, 24, v0
	v_lshlrev_b32_e32 v24, 13, v11
	v_xor_b32_e32 v11, v25, v0
	v_or_b32_e32 v13, 0x440, v11
	v_cmp_eq_u32_e32 vcc, 0, v12
	s_waitcnt lgkmcnt(0)
	s_barrier
	v_cndmask_b32_e32 v11, v13, v11, vcc
	v_or_b32_e32 v11, v11, v45
	v_xad_u32 v26, v11, v22, v23
	v_add_u32_e32 v11, v24, v26
	ds_read_b64 v[20:21], v11
	ds_read2st64_b64 v[12:15], v10 offset1:1
	ds_read2st64_b64 v[16:19], v10 offset0:2 offset1:3
	v_or_b32_e32 v10, 32, v0
	v_xor_b32_e32 v10, v25, v10
	v_or_b32_e32 v11, 0x440, v10
	v_cndmask_b32_e32 v10, v11, v10, vcc
	v_or_b32_e32 v10, v10, v45
	v_xad_u32 v27, v10, v22, v23
	v_add_u32_e32 v10, v24, v27
	ds_read_b64 v[10:11], v10
	s_waitcnt lgkmcnt(2)
	v_mfma_f32_16x16x16_bf16 a[0:3], v[20:21], v[12:13], 0
	s_waitcnt lgkmcnt(0)
	v_mfma_f32_16x16x16_bf16 a[0:3], v[10:11], v[14:15], a[0:3]
	v_or_b32_e32 v10, 64, v0
	v_xor_b32_e32 v10, v25, v10
	v_xor_b32_e32 v11, 0x440, v10
	v_cndmask_b32_e32 v10, v11, v10, vcc
	v_or_b32_e32 v10, v10, v45
	v_xad_u32 v28, v10, v22, v23
	v_add_u32_e32 v10, v24, v28
	ds_read_b64 v[10:11], v10
	v_or_b32_e32 v0, 0x60, v0
	v_xor_b32_e32 v0, v25, v0
	v_xor_b32_e32 v20, 0x440, v0
	v_cndmask_b32_e32 v0, v20, v0, vcc
	v_or_b32_e32 v0, v0, v45
	v_xad_u32 v0, v0, v22, v23
	v_add_u32_e32 v20, v24, v0
	ds_read_b64 v[20:21], v20
	s_waitcnt lgkmcnt(1)
	v_mfma_f32_16x16x16_bf16 a[0:3], v[10:11], v[16:17], a[0:3]
	ds_read_b64 v[10:11], v26 offset:8192
	ds_read_b64 v[22:23], v27 offset:8192
	v_mov_b32_e32 v24, 0x3fb8aa3b
	s_waitcnt lgkmcnt(2)
	v_mfma_f32_16x16x16_bf16 a[0:3], v[20:21], v[18:19], a[0:3]
	v_mul_f32_e32 v20, s12, v24
	v_exp_f32_e32 v24, v20
	ds_read_b64 v[20:21], v28 offset:8192
	s_waitcnt lgkmcnt(2)
	v_mfma_f32_16x16x16_bf16 a[4:7], v[10:11], v[12:13], 0
	s_nop 1
	v_accvgpr_read_b32 v10, a0
	v_fma_f32 v12, v2, v24, v10
	ds_read_b64 v[10:11], v0 offset:8192
	s_waitcnt lgkmcnt(2)
	v_mfma_f32_16x16x16_bf16 a[4:7], v[22:23], v[14:15], a[4:7]
	v_accvgpr_read_b32 v0, a1
	v_fma_f32 v13, v3, v24, v0
	v_accvgpr_read_b32 v0, a2
	s_waitcnt lgkmcnt(1)
	v_mfma_f32_16x16x16_bf16 a[4:7], v[20:21], v[16:17], a[4:7]
	v_accvgpr_read_b32 v15, a3
	v_fma_f32 v14, v4, v24, v0
	v_fmac_f32_e32 v15, v5, v24
	s_waitcnt lgkmcnt(0)
	v_mfma_f32_16x16x16_bf16 a[0:3], v[10:11], v[18:19], a[4:7]
	v_mov_b32_e32 v10, v34
	s_nop 5
	v_accvgpr_read_b32 v0, a0
	v_fma_f32 v16, v6, v24, v0
	v_accvgpr_read_b32 v0, a1
	v_fma_f32 v17, v7, v24, v0
	v_accvgpr_read_b32 v0, a2
	v_accvgpr_read_b32 v19, a3
	v_fma_f32 v18, v8, v24, v0
	v_fmac_f32_e32 v19, v9, v24
	v_mov_b64_e32 v[2:3], v[12:13]
	v_mov_b64_e32 v[4:5], v[14:15]
	;; [unrolled: 1-line block ×4, first 2 shown]
.LBB749_77:
	s_lshl_b64 s[0:1], s[28:29], 16
	s_waitcnt lgkmcnt(0)
	s_add_u32 s0, s34, s0
	v_lshlrev_b32_e32 v10, 7, v10
	s_addc_u32 s1, s35, s1
	v_ashrrev_i32_e32 v11, 31, v10
	v_lshl_add_u64 v[10:11], v[10:11], 2, s[0:1]
	v_lshlrev_b32_e32 v0, 2, v1
	v_mov_b32_e32 v1, 0
	v_lshl_add_u64 v[0:1], v[10:11], 0, v[0:1]
	global_store_dwordx4 v[0:1], v[2:5], off
	global_store_dwordx4 v[0:1], v[6:9], off offset:256
	s_endpgm
	.section	.rodata,"a",@progbits
	.p2align	6, 0x0
	.amdhsa_kernel _ZN12_GLOBAL__N_139chunk_gated_delta_rule_fwd_h_hip_kernelILi16ELb0ELb1ELb1ELb0ELb0ELb0ELb1ELb0EEEvPK12hip_bfloat16S3_S3_PKfS5_PKvPS1_S8_PvPKiSB_iiiiilll
		.amdhsa_group_segment_fixed_size 40960
		.amdhsa_private_segment_fixed_size 0
		.amdhsa_kernarg_size 136
		.amdhsa_user_sgpr_count 2
		.amdhsa_user_sgpr_dispatch_ptr 0
		.amdhsa_user_sgpr_queue_ptr 0
		.amdhsa_user_sgpr_kernarg_segment_ptr 1
		.amdhsa_user_sgpr_dispatch_id 0
		.amdhsa_user_sgpr_kernarg_preload_length 0
		.amdhsa_user_sgpr_kernarg_preload_offset 0
		.amdhsa_user_sgpr_private_segment_size 0
		.amdhsa_uses_dynamic_stack 0
		.amdhsa_enable_private_segment 0
		.amdhsa_system_sgpr_workgroup_id_x 1
		.amdhsa_system_sgpr_workgroup_id_y 1
		.amdhsa_system_sgpr_workgroup_id_z 0
		.amdhsa_system_sgpr_workgroup_info 0
		.amdhsa_system_vgpr_workitem_id 0
		.amdhsa_next_free_vgpr 116
		.amdhsa_next_free_sgpr 68
		.amdhsa_accum_offset 108
		.amdhsa_reserve_vcc 1
		.amdhsa_float_round_mode_32 0
		.amdhsa_float_round_mode_16_64 0
		.amdhsa_float_denorm_mode_32 3
		.amdhsa_float_denorm_mode_16_64 3
		.amdhsa_dx10_clamp 1
		.amdhsa_ieee_mode 1
		.amdhsa_fp16_overflow 0
		.amdhsa_tg_split 0
		.amdhsa_exception_fp_ieee_invalid_op 0
		.amdhsa_exception_fp_denorm_src 0
		.amdhsa_exception_fp_ieee_div_zero 0
		.amdhsa_exception_fp_ieee_overflow 0
		.amdhsa_exception_fp_ieee_underflow 0
		.amdhsa_exception_fp_ieee_inexact 0
		.amdhsa_exception_int_div_zero 0
	.end_amdhsa_kernel
	.section	.text._ZN12_GLOBAL__N_139chunk_gated_delta_rule_fwd_h_hip_kernelILi16ELb0ELb1ELb1ELb0ELb0ELb0ELb1ELb0EEEvPK12hip_bfloat16S3_S3_PKfS5_PKvPS1_S8_PvPKiSB_iiiiilll,"axG",@progbits,_ZN12_GLOBAL__N_139chunk_gated_delta_rule_fwd_h_hip_kernelILi16ELb0ELb1ELb1ELb0ELb0ELb0ELb1ELb0EEEvPK12hip_bfloat16S3_S3_PKfS5_PKvPS1_S8_PvPKiSB_iiiiilll,comdat
.Lfunc_end749:
	.size	_ZN12_GLOBAL__N_139chunk_gated_delta_rule_fwd_h_hip_kernelILi16ELb0ELb1ELb1ELb0ELb0ELb0ELb1ELb0EEEvPK12hip_bfloat16S3_S3_PKfS5_PKvPS1_S8_PvPKiSB_iiiiilll, .Lfunc_end749-_ZN12_GLOBAL__N_139chunk_gated_delta_rule_fwd_h_hip_kernelILi16ELb0ELb1ELb1ELb0ELb0ELb0ELb1ELb0EEEvPK12hip_bfloat16S3_S3_PKfS5_PKvPS1_S8_PvPKiSB_iiiiilll
                                        ; -- End function
	.section	.AMDGPU.csdata,"",@progbits
; Kernel info:
; codeLenInByte = 8016
; NumSgprs: 74
; NumVgprs: 108
; NumAgprs: 8
; TotalNumVgprs: 116
; ScratchSize: 0
; MemoryBound: 0
; FloatMode: 240
; IeeeMode: 1
; LDSByteSize: 40960 bytes/workgroup (compile time only)
; SGPRBlocks: 9
; VGPRBlocks: 14
; NumSGPRsForWavesPerEU: 74
; NumVGPRsForWavesPerEU: 116
; AccumOffset: 108
; Occupancy: 1
; WaveLimiterHint : 1
; COMPUTE_PGM_RSRC2:SCRATCH_EN: 0
; COMPUTE_PGM_RSRC2:USER_SGPR: 2
; COMPUTE_PGM_RSRC2:TRAP_HANDLER: 0
; COMPUTE_PGM_RSRC2:TGID_X_EN: 1
; COMPUTE_PGM_RSRC2:TGID_Y_EN: 1
; COMPUTE_PGM_RSRC2:TGID_Z_EN: 0
; COMPUTE_PGM_RSRC2:TIDIG_COMP_CNT: 0
; COMPUTE_PGM_RSRC3_GFX90A:ACCUM_OFFSET: 26
; COMPUTE_PGM_RSRC3_GFX90A:TG_SPLIT: 0
	.section	.text._ZN12_GLOBAL__N_139chunk_gated_delta_rule_fwd_h_hip_kernelILi16ELb0ELb1ELb0ELb0ELb0ELb0ELb1ELb0EEEvPK12hip_bfloat16S3_S3_PKfS5_PKvPS1_S8_PvPKiSB_iiiiilll,"axG",@progbits,_ZN12_GLOBAL__N_139chunk_gated_delta_rule_fwd_h_hip_kernelILi16ELb0ELb1ELb0ELb0ELb0ELb0ELb1ELb0EEEvPK12hip_bfloat16S3_S3_PKfS5_PKvPS1_S8_PvPKiSB_iiiiilll,comdat
	.globl	_ZN12_GLOBAL__N_139chunk_gated_delta_rule_fwd_h_hip_kernelILi16ELb0ELb1ELb0ELb0ELb0ELb0ELb1ELb0EEEvPK12hip_bfloat16S3_S3_PKfS5_PKvPS1_S8_PvPKiSB_iiiiilll ; -- Begin function _ZN12_GLOBAL__N_139chunk_gated_delta_rule_fwd_h_hip_kernelILi16ELb0ELb1ELb0ELb0ELb0ELb0ELb1ELb0EEEvPK12hip_bfloat16S3_S3_PKfS5_PKvPS1_S8_PvPKiSB_iiiiilll
	.p2align	8
	.type	_ZN12_GLOBAL__N_139chunk_gated_delta_rule_fwd_h_hip_kernelILi16ELb0ELb1ELb0ELb0ELb0ELb0ELb1ELb0EEEvPK12hip_bfloat16S3_S3_PKfS5_PKvPS1_S8_PvPKiSB_iiiiilll,@function
_ZN12_GLOBAL__N_139chunk_gated_delta_rule_fwd_h_hip_kernelILi16ELb0ELb1ELb0ELb0ELb0ELb0ELb1ELb0EEEvPK12hip_bfloat16S3_S3_PKfS5_PKvPS1_S8_PvPKiSB_iiiiilll: ; @_ZN12_GLOBAL__N_139chunk_gated_delta_rule_fwd_h_hip_kernelILi16ELb0ELb1ELb0ELb0ELb0ELb0ELb1ELb0EEEvPK12hip_bfloat16S3_S3_PKfS5_PKvPS1_S8_PvPKiSB_iiiiilll
; %bb.0:
	s_load_dwordx4 s[12:15], s[0:1], 0x5c
	s_load_dwordx4 s[16:19], s[0:1], 0x70
	s_abs_i32 s22, s3
	s_ashr_i32 s21, s3, 31
	s_load_dwordx8 s[4:11], s[0:1], 0x0
	s_waitcnt lgkmcnt(0)
	s_abs_i32 s20, s13
	v_cvt_f32_u32_e32 v1, s20
	s_sub_i32 s24, 0, s20
	s_ashr_i32 s23, s13, 31
	s_xor_b32 s21, s21, s23
	v_rcp_iflag_f32_e32 v1, v1
	s_load_dwordx2 s[28:29], s[0:1], 0x40
	s_load_dwordx2 s[36:37], s[0:1], 0x30
	s_load_dwordx2 s[30:31], s[0:1], 0x80
	v_lshrrev_b32_e32 v46, 6, v0
	v_bfe_u32 v49, v0, 4, 2
	v_mul_f32_e32 v1, 0x4f7ffffe, v1
	v_cvt_u32_f32_e32 v1, v1
	v_lshlrev_b32_e32 v47, 4, v46
	v_lshlrev_b32_e32 v10, 2, v49
	v_and_b32_e32 v48, 63, v0
	v_readfirstlane_b32 s25, v1
	s_mul_i32 s24, s24, s25
	s_mul_hi_u32 s24, s25, s24
	s_add_i32 s25, s25, s24
	s_mul_hi_u32 s24, s22, s25
	s_mul_i32 s25, s24, s20
	s_sub_i32 s22, s22, s25
	s_add_i32 s26, s24, 1
	s_sub_i32 s25, s22, s20
	s_cmp_ge_u32 s22, s20
	s_cselect_b32 s24, s26, s24
	s_cselect_b32 s22, s25, s22
	s_add_i32 s25, s24, 1
	s_cmp_ge_u32 s22, s20
	s_cselect_b32 s22, s25, s24
	s_xor_b32 s22, s22, s21
	s_sub_i32 s47, s22, s21
	s_abs_i32 s21, s14
	v_cvt_f32_u32_e32 v1, s21
	s_add_i32 s24, s12, 63
	s_mul_i32 s45, s47, s13
	s_sub_i32 s33, s3, s45
	v_rcp_iflag_f32_e32 v1, v1
	s_ashr_i32 s3, s24, 31
	s_ashr_i32 s46, s12, 31
	s_lshr_b32 s3, s3, 26
	v_mul_f32_e32 v1, 0x4f7ffffe, v1
	v_cvt_u32_f32_e32 v1, v1
	s_lshr_b32 s22, s46, 26
	s_add_i32 s24, s24, s3
	s_add_i32 s22, s12, s22
	s_ashr_i32 s49, s14, 31
	s_ashr_i32 s3, s24, 6
	;; [unrolled: 1-line block ×3, first 2 shown]
	s_xor_b32 s22, s23, s49
	s_sub_i32 s23, 0, s21
	v_readfirstlane_b32 s24, v1
	s_mul_i32 s23, s23, s24
	s_mul_hi_u32 s23, s24, s23
	s_add_i32 s24, s24, s23
	s_mul_hi_u32 s23, s20, s24
	s_mul_i32 s24, s23, s21
	s_sub_i32 s20, s20, s24
	s_add_i32 s24, s23, 1
	s_sub_i32 s25, s20, s21
	s_cmp_ge_u32 s20, s21
	s_cselect_b32 s23, s24, s23
	s_cselect_b32 s20, s25, s20
	s_add_i32 s24, s23, 1
	s_cmp_ge_u32 s20, s21
	s_cselect_b32 s20, s24, s23
	s_xor_b32 s20, s20, s22
	s_sub_i32 s20, s20, s22
	s_abs_i32 s21, s20
	v_cvt_f32_u32_e32 v1, s21
	s_xor_b32 s0, s33, s20
	s_sub_i32 s20, 0, s21
	s_abs_i32 s1, s33
	v_rcp_iflag_f32_e32 v1, v1
	s_ashr_i32 s0, s0, 31
	v_mov_b32_e32 v9, 0
	s_mul_i32 s50, s47, s3
	v_mul_f32_e32 v1, 0x4f7ffffe, v1
	v_cvt_u32_f32_e32 v1, v1
	v_and_b32_e32 v50, 15, v0
	s_mul_hi_i32 s51, s47, s13
	v_lshrrev_b32_e32 v52, 3, v48
	v_readfirstlane_b32 s22, v1
	s_mul_i32 s20, s20, s22
	s_mul_hi_u32 s20, s22, s20
	s_add_i32 s22, s22, s20
	s_mul_hi_u32 s20, s1, s22
	s_mul_i32 s22, s20, s21
	s_sub_i32 s1, s1, s22
	s_add_i32 s22, s20, 1
	s_sub_i32 s23, s1, s21
	s_cmp_ge_u32 s1, s21
	s_cselect_b32 s20, s22, s20
	s_cselect_b32 s1, s23, s1
	s_add_i32 s22, s20, 1
	s_cmp_ge_u32 s1, s21
	s_cselect_b32 s1, s22, s20
	s_xor_b32 s1, s1, s0
	s_sub_i32 s52, s1, s0
	v_or_b32_e32 v1, v10, v47
	s_lshl_b32 s2, s2, 4
	v_or_b32_e32 v53, 64, v1
	s_cmp_lt_i32 s12, 64
	v_lshlrev_b32_e32 v51, 3, v0
	s_mul_i32 s17, s47, s17
	s_mul_hi_u32 s44, s47, s16
	s_mul_i32 s34, s47, s16
	v_mov_b32_e32 v8, v9
	v_mov_b32_e32 v7, v9
	;; [unrolled: 1-line block ×7, first 2 shown]
	s_cbranch_scc1 .LBB750_18
; %bb.1:
	s_ashr_i32 s3, s47, 31
	s_ashr_i32 s54, s33, 31
	s_add_u32 s0, s45, s33
	s_addc_u32 s1, s51, s54
	s_mul_i32 s1, s12, s1
	s_mul_hi_u32 s20, s12, s0
	s_add_i32 s39, s20, s1
	s_mul_i32 s38, s12, s0
	s_lshl_b64 s[0:1], s[38:39], 8
	v_and_b32_e32 v55, 56, v51
	s_add_u32 s20, s6, s0
	v_lshl_or_b32 v54, v46, 3, v52
	v_lshlrev_b32_e32 v3, 1, v55
	s_addc_u32 s0, s7, s1
	v_lshl_or_b32 v56, v54, 8, v3
	s_and_b32 s21, s0, 0xffff
	s_mov_b32 s23, 0x20000
	s_movk_i32 s22, 0x4000
	s_movk_i32 s0, 0x80
	v_or_b32_e32 v57, 0x2000, v56
	buffer_load_dwordx4 v[4:7], v56, s[20:23], 0 offen
	buffer_load_dwordx4 v[12:15], v56, s[20:23], s0 offen
	;; [unrolled: 1-line block ×4, first 2 shown]
	v_lshlrev_b32_e32 v2, 3, v54
	v_and_or_b32 v9, v0, 7, v2
	v_and_b32_e32 v2, 0x78, v2
	v_lshlrev_b32_e32 v9, 4, v9
	v_xor_b32_e32 v58, v9, v2
	v_mul_lo_u32 v8, v54, s15
	v_or_b32_e32 v59, 0x1000, v58
	v_xor_b32_e32 v2, 8, v58
	s_cmpk_eq_i32 s15, 0x80
	s_mov_b32 s53, s14
	v_xor_b32_e32 v9, 8, v59
	s_cselect_b64 s[0:1], -1, 0
	s_cmpk_lg_i32 s15, 0x80
	s_waitcnt vmcnt(3)
	ds_write_b64 v58, v[4:5] offset:16384
	ds_write_b64 v2, v[6:7] offset:16384
	s_waitcnt vmcnt(2)
	ds_write_b64 v58, v[12:13] offset:24576
	ds_write_b64 v2, v[14:15] offset:24576
	;; [unrolled: 3-line block ×4, first 2 shown]
	v_lshl_add_u32 v2, v8, 1, v55
	s_cbranch_scc0 .LBB750_3
; %bb.2:
	v_lshlrev_b32_e32 v6, 1, v2
	v_add_lshl_u32 v5, v2, s15, 1
	s_lshl_b32 s22, s15, 7
	v_lshl_or_b32 v4, v54, 9, v3
	s_cbranch_execz .LBB750_4
	s_branch .LBB750_5
.LBB750_3:
                                        ; implicit-def: $vgpr5
                                        ; implicit-def: $vgpr6
                                        ; implicit-def: $sgpr22
	v_lshl_or_b32 v4, v54, 9, v3
.LBB750_4:
	v_or_b32_e32 v5, 0x100, v4
	s_movk_i32 s22, 0x4000
	v_mov_b32_e32 v6, v4
.LBB750_5:
	s_mul_hi_u32 s20, s14, s12
	s_mul_i32 s21, s49, s12
	s_add_i32 s20, s20, s21
	s_mul_i32 s21, s14, s12
	s_mul_i32 s23, s21, s3
	s_mul_hi_u32 s24, s21, s47
	s_add_i32 s23, s24, s23
	s_mul_i32 s20, s20, s47
	s_add_i32 s23, s23, s20
	s_mul_i32 s21, s21, s47
	s_ashr_i32 s55, s52, 31
	s_add_u32 s20, s21, s52
	s_addc_u32 s21, s23, s55
	s_lshl_b64 s[20:21], s[20:21], 8
	s_add_u32 s20, s4, s20
	s_addc_u32 s21, s5, s21
	s_and_b32 s21, s21, 0xffff
	s_mov_b32 s23, 0x20000
	s_movk_i32 s56, 0x80
	buffer_load_dwordx4 v[12:15], v6, s[20:23], 0 offen
	buffer_load_dwordx4 v[16:19], v6, s[20:23], s56 offen
	buffer_load_dwordx4 v[20:23], v5, s[20:23], 0 offen
	buffer_load_dwordx4 v[24:27], v5, s[20:23], s56 offen
	v_and_b32_e32 v3, 6, v0
	s_mul_i32 s20, s3, s12
	s_mul_hi_u32 s21, s47, s12
	v_lshlrev_b32_e32 v6, 2, v50
	v_lshlrev_b32_e32 v7, 3, v50
	v_xor_b32_e32 v9, v54, v3
	v_and_b32_e32 v5, 1, v0
	s_mul_i32 s3, s3, s16
	v_lshl_or_b32 v7, v1, 5, v7
	v_xor_b32_e32 v11, v1, v6
	v_lshlrev_b32_e32 v9, 2, v9
	s_add_i32 s61, s21, s20
	s_add_i32 s20, s44, s17
	v_or_b32_e32 v60, 0x9000, v7
	v_or_b32_e32 v61, 0x9800, v7
	v_lshlrev_b32_e32 v7, 1, v11
	v_xor_b32_e32 v11, 0x440, v9
	v_cmp_eq_u32_e32 vcc, 0, v5
	s_add_i32 s35, s20, s3
	s_mul_i32 s3, s33, s19
	s_mul_hi_u32 s20, s33, s18
	v_cndmask_b32_e32 v5, v11, v9, vcc
	s_add_i32 s3, s20, s3
	s_mul_i32 s20, s54, s18
	s_mov_b32 s58, 0x1000504
	v_lshlrev_b32_e32 v8, 8, v50
	s_mov_b32 s22, 0x8000
	v_xor_b32_e32 v6, v53, v6
	v_lshl_or_b32 v3, v3, 10, v5
	s_add_i32 s21, s3, s20
	s_lshl_b64 s[24:25], s[34:35], 2
	s_mov_b32 s59, 0x3020706
	v_lshlrev_b32_e32 v6, 1, v6
	v_or3_b32 v62, v7, v8, s22
	v_xor_b32_e32 v5, 8, v3
	v_xor_b32_e32 v7, 24, v3
	v_xor_b32_e32 v9, 40, v3
	v_xor_b32_e32 v28, 56, v3
	s_mul_i32 s20, s33, s18
	s_add_u32 s3, s10, s24
	v_or3_b32 v63, v6, v8, s22
	v_xor_b32_e32 v6, 16, v3
	v_xor_b32_e32 v8, 32, v3
	;; [unrolled: 1-line block ×3, first 2 shown]
	v_add_u32_e32 v5, 0x80, v5
	v_add_u32_e32 v7, 0x80, v7
	v_add_u32_e32 v9, 0x80, v9
	v_add_u32_e32 v28, 0x80, v28
	s_addc_u32 s24, s11, s25
	s_lshl_b64 s[20:21], s[20:21], 2
	s_add_u32 s40, s3, s20
	s_movk_i32 s3, 0xf8
	s_addc_u32 s41, s24, s21
	s_lshl_b32 s26, s15, 7
	s_mov_b32 s57, 0
	s_mul_i32 s60, s47, s12
	v_add_u32_e32 v78, v47, v10
	v_mov_b32_e32 v79, 0x3fb8aa3b
	s_mov_b32 s62, 0
	s_waitcnt vmcnt(1)
	v_perm_b32 v29, v12, v20, s58
	s_waitcnt vmcnt(0)
	v_perm_b32 v30, v16, v24, s58
	v_perm_b32 v12, v12, v20, s59
	v_perm_b32 v16, v16, v24, s59
	v_perm_b32 v20, v13, v21, s58
	v_perm_b32 v24, v17, v25, s58
	v_perm_b32 v13, v13, v21, s59
	v_perm_b32 v17, v17, v25, s59
	v_perm_b32 v21, v14, v22, s58
	v_perm_b32 v25, v18, v26, s58
	v_perm_b32 v14, v14, v22, s59
	v_perm_b32 v18, v18, v26, s59
	v_perm_b32 v22, v15, v23, s58
	v_perm_b32 v26, v19, v27, s58
	v_perm_b32 v15, v15, v23, s59
	v_perm_b32 v19, v19, v27, s59
	ds_write2st64_b32 v3, v29, v30 offset1:32
	ds_write2st64_b32 v5, v12, v16 offset1:32
	ds_write2st64_b32 v6, v20, v24 offset0:1 offset1:33
	ds_write2st64_b32 v7, v13, v17 offset0:1 offset1:33
	;; [unrolled: 1-line block ×6, first 2 shown]
	v_or_b32_e32 v3, v47, v50
	v_lshlrev_b32_e32 v3, 3, v3
	v_lshrrev_b32_e32 v7, 5, v48
	v_and_or_b32 v7, v3, s3, v7
	v_lshlrev_b32_e32 v7, 4, v7
	v_lshlrev_b32_e32 v5, 11, v46
	v_and_b32_e32 v3, 0x78, v3
	v_or_b32_e32 v12, 32, v7
	v_and_b32_e32 v6, 0x1000, v5
	v_lshrrev_b32_e32 v11, 1, v0
	v_xor_b32_e32 v12, v12, v3
	v_and_b32_e32 v9, 8, v11
	v_or_b32_e32 v12, v12, v6
	v_xor_b32_e32 v8, v7, v3
	v_xor_b32_e32 v66, v12, v9
	v_or_b32_e32 v12, 64, v7
	v_or_b32_e32 v7, 0x60, v7
	;; [unrolled: 1-line block ×3, first 2 shown]
	v_xor_b32_e32 v12, v12, v3
	v_xor_b32_e32 v3, v7, v3
	;; [unrolled: 1-line block ×3, first 2 shown]
	v_and_b32_e32 v8, 0x78, v51
	v_or_b32_e32 v12, v12, v6
	v_or_b32_e32 v3, v3, v6
	v_lshl_or_b32 v8, v49, 7, v8
	v_xor_b32_e32 v67, v12, v9
	v_xor_b32_e32 v68, v3, v9
	v_lshlrev_b32_e32 v12, 1, v2
	v_add_lshl_u32 v13, v2, s15, 1
	v_lshrrev_b32_e32 v2, 4, v0
	v_lshlrev_b32_e32 v3, 1, v50
	v_or_b32_e32 v65, 0x9000, v8
	v_or_b32_e32 v69, 0x9800, v8
	s_ashr_i32 s3, s2, 31
	v_or_b32_e32 v8, 1, v3
	v_xor_b32_e32 v3, v2, v3
	s_lshl_b64 s[20:21], s[2:3], 8
	v_xor_b32_e32 v8, v8, v2
	v_lshlrev_b32_e32 v3, 3, v3
	v_lshlrev_b32_e32 v2, 8, v2
	s_waitcnt lgkmcnt(0)
	s_add_u32 s20, s36, s20
	v_or3_b32 v70, v3, v2, s22
	v_lshlrev_b32_e32 v3, 3, v8
	s_addc_u32 s21, s37, s21
	v_or3_b32 v71, v3, v2, s22
	v_mov_b32_e32 v3, 0
	v_lshl_add_u64 v[8:9], s[20:21], 0, v[2:3]
	v_lshlrev_b32_e32 v2, 4, v50
	s_movk_i32 s3, 0xff
	v_lshlrev_b32_e32 v16, 3, v46
	v_and_b32_e32 v11, 24, v11
	v_lshl_add_u64 v[42:43], v[8:9], 0, v[2:3]
	v_and_b32_e32 v8, 8, v0
	v_cmp_lt_u32_e32 vcc, s3, v0
	v_xor_b32_e32 v17, v16, v11
	v_or_b32_e32 v18, 0x440, v17
	v_cndmask_b32_e64 v15, 0, 1, vcc
	v_cmp_eq_u32_e32 vcc, 0, v8
	v_and_b32_e32 v2, 7, v0
	v_lshlrev_b32_e32 v9, 3, v2
	v_cndmask_b32_e32 v8, v18, v17, vcc
	v_lshlrev_b32_e32 v2, 7, v2
	v_or_b32_e32 v8, v8, v5
	v_xad_u32 v72, v8, v9, v2
	v_or_b32_e32 v8, 32, v11
	v_xor_b32_e32 v8, v16, v8
	v_or_b32_e32 v17, 0x440, v8
	v_cndmask_b32_e32 v8, v17, v8, vcc
	v_or_b32_e32 v8, v8, v5
	v_xad_u32 v73, v8, v9, v2
	v_or_b32_e32 v8, 64, v11
	v_xor_b32_e32 v8, v16, v8
	v_xor_b32_e32 v17, 0x440, v8
	v_cndmask_b32_e32 v8, v17, v8, vcc
	v_or_b32_e32 v8, v8, v5
	v_xad_u32 v74, v8, v9, v2
	v_or_b32_e32 v8, 0x60, v11
	v_xor_b32_e32 v8, v16, v8
	v_xor_b32_e32 v11, 0x440, v8
	v_or_b32_e32 v6, s2, v50
	v_cndmask_b32_e32 v8, v11, v8, vcc
	v_ashrrev_i32_e32 v7, 31, v6
	v_or_b32_e32 v5, v8, v5
	v_lshl_add_u64 v[6:7], v[6:7], 1, s[8:9]
	v_or_b32_e32 v14, 0x100, v4
	v_lshlrev_b32_e32 v15, 13, v15
	v_xad_u32 v75, v5, v9, v2
	v_lshlrev_b32_e32 v2, 8, v1
	v_cndmask_b32_e64 v76, v12, v4, s[0:1]
	v_cndmask_b32_e64 v77, v13, v14, s[0:1]
	v_lshl_add_u64 v[44:45], v[6:7], 0, v[2:3]
	s_mov_b32 s3, 0x7060302
	s_movk_i32 s22, 0x4000
	v_add_u32_e32 v80, v15, v72
	v_add_u32_e32 v81, v15, v73
	;; [unrolled: 1-line block ×4, first 2 shown]
	v_mov_b32_e32 v2, v3
	v_mov_b32_e32 v4, v3
	;; [unrolled: 1-line block ×7, first 2 shown]
	s_barrier
.LBB750_6:                              ; =>This Inner Loop Header: Depth=1
	s_add_i32 s35, s62, 1
	s_cmp_lt_i32 s35, s48
	s_mov_b64 s[24:25], 0
	s_cselect_b64 s[42:43], -1, 0
	s_cmp_ge_i32 s35, s48
	s_mov_b64 s[20:21], 0
	s_cbranch_scc1 .LBB750_8
; %bb.7:                                ;   in Loop: Header=BB750_6 Depth=1
	s_add_i32 s0, s57, 64
	s_add_u32 s0, s38, s0
	s_addc_u32 s1, s39, 0
	s_lshl_b64 s[0:1], s[0:1], 8
	s_add_u32 s20, s6, s0
	s_addc_u32 s21, s7, s1
.LBB750_8:                              ;   in Loop: Header=BB750_6 Depth=1
	v_cndmask_b32_e64 v5, 0, 1, s[42:43]
	v_cmp_ne_u32_e64 s[0:1], 1, v5
	s_andn2_b64 vcc, exec, s[42:43]
	s_cbranch_vccnz .LBB750_10
; %bb.9:                                ;   in Loop: Header=BB750_6 Depth=1
	s_add_i32 s24, s57, 64
	s_add_u32 s24, s60, s24
	s_addc_u32 s25, s61, 0
	s_mul_i32 s27, s24, s49
	s_mul_hi_u32 s42, s24, s53
	s_add_i32 s27, s42, s27
	s_mul_i32 s25, s25, s53
	s_add_i32 s27, s27, s25
	s_mul_i32 s24, s24, s53
	s_add_u32 s24, s24, s52
	s_addc_u32 s25, s27, s55
	s_lshl_b64 s[24:25], s[24:25], 8
	s_add_u32 s24, s4, s24
	s_addc_u32 s25, s5, s25
.LBB750_10:                             ;   in Loop: Header=BB750_6 Depth=1
	v_perm_b32 v11, v85, v4, s3
	v_perm_b32 v10, v3, v2, s3
	v_perm_b32 v13, v84, v8, s3
	v_perm_b32 v12, v7, v6, s3
	ds_write_b64 v60, v[10:11]
	ds_write_b64 v61, v[12:13]
	;; [unrolled: 1-line block ×4, first 2 shown]
	s_waitcnt lgkmcnt(0)
	s_barrier
	ds_read_b64 v[18:19], v64 offset:16384
	ds_read_b64 v[20:21], v66 offset:16384
	ds_read2st64_b64 v[10:13], v65 offset1:1
	ds_read2st64_b64 v[14:17], v65 offset0:2 offset1:3
	ds_read_b64 v[22:23], v67 offset:16384
	s_waitcnt lgkmcnt(2)
	v_mfma_f32_16x16x16_bf16 a[0:3], v[18:19], v[10:11], 0
	ds_read_b64 v[10:11], v68 offset:16384
	s_add_i32 s27, s57, 63
	s_mul_i32 s42, s27, s31
	v_mfma_f32_16x16x16_bf16 a[0:3], v[20:21], v[12:13], a[0:3]
	s_mul_hi_u32 s43, s27, s30
	s_add_i32 s43, s43, s42
	s_mul_i32 s42, s27, s30
	s_waitcnt lgkmcnt(1)
	v_mfma_f32_16x16x16_bf16 a[0:3], v[22:23], v[14:15], a[0:3]
	s_lshl_b64 s[42:43], s[42:43], 2
	s_add_u32 s42, s40, s42
	s_addc_u32 s43, s41, s43
	s_waitcnt lgkmcnt(0)
	v_mfma_f32_16x16x16_bf16 a[0:3], v[10:11], v[16:17], a[0:3]
	s_and_b64 vcc, exec, s[0:1]
	v_mov_b32_e32 v86, 0
	v_mov_b32_e32 v9, 0
	;; [unrolled: 1-line block ×19, first 2 shown]
	s_cbranch_vccnz .LBB750_12
; %bb.11:                               ;   in Loop: Header=BB750_6 Depth=1
	s_and_b32 s21, s21, 0xffff
	buffer_load_dwordx4 v[22:25], v56, s[20:23], 0 offen
	buffer_load_dwordx4 v[18:21], v56, s[20:23], s56 offen
	;; [unrolled: 1-line block ×4, first 2 shown]
	v_mov_b32_e32 v9, v58
	v_mov_b32_e32 v5, v59
.LBB750_12:                             ;   in Loop: Header=BB750_6 Depth=1
	s_waitcnt vmcnt(3)
	v_add_u32_e32 v32, s57, v78
	s_waitcnt vmcnt(1)
	v_ashrrev_i32_e32 v26, 31, v32
	v_mul_lo_u32 v28, v26, s30
	v_mul_lo_u32 v29, v32, s31
	v_mad_u64_u32 v[26:27], s[20:21], v32, s30, 0
	v_add3_u32 v27, v27, v29, v28
	v_add_u32_e32 v28, 1, v32
	v_ashrrev_i32_e32 v29, 31, v28
	v_mul_lo_u32 v30, v29, s30
	v_mul_lo_u32 v31, v28, s31
	v_mad_u64_u32 v[28:29], s[20:21], v28, s30, 0
	v_add3_u32 v29, v29, v31, v30
	v_add_u32_e32 v30, 2, v32
	v_ashrrev_i32_e32 v31, 31, v30
	v_mul_lo_u32 v33, v31, s30
	v_mul_lo_u32 v34, v30, s31
	v_mad_u64_u32 v[30:31], s[20:21], v30, s30, 0
	v_add_u32_e32 v32, 3, v32
	v_add3_u32 v31, v31, v34, v33
	v_ashrrev_i32_e32 v33, 31, v32
	v_mul_lo_u32 v36, v33, s30
	v_mul_lo_u32 v37, v32, s31
	v_mad_u64_u32 v[32:33], s[20:21], v32, s30, 0
	s_add_u32 s20, s38, s57
	s_addc_u32 s21, s39, 0
	s_lshl_b64 s[20:21], s[20:21], 8
	v_lshl_add_u64 v[26:27], v[26:27], 2, s[40:41]
	v_lshl_add_u64 v[28:29], v[28:29], 2, s[40:41]
	v_lshl_add_u64 v[34:35], v[44:45], 0, s[20:21]
	v_add3_u32 v33, v33, v37, v36
	v_lshl_add_u64 v[30:31], v[30:31], 2, s[40:41]
	global_load_ushort v92, v[34:35], off
	global_load_ushort v93, v[34:35], off offset:256
	global_load_ushort v94, v[34:35], off offset:512
	;; [unrolled: 1-line block ×3, first 2 shown]
	global_load_dword v96, v[26:27], off
	v_lshl_add_u64 v[26:27], v[32:33], 2, s[40:41]
	global_load_dword v97, v[28:29], off
	global_load_dword v98, v[30:31], off
	;; [unrolled: 1-line block ×3, first 2 shown]
	s_load_dword s20, s[42:43], 0x0
	ds_read2st64_b64 v[32:35], v69 offset1:1
	ds_read2st64_b64 v[36:39], v69 offset0:2 offset1:3
	ds_read_b64 v[30:31], v64 offset:24576
	ds_read_b64 v[40:41], v66 offset:24576
	;; [unrolled: 1-line block ×4, first 2 shown]
	s_waitcnt lgkmcnt(0)
	v_mfma_f32_16x16x16_bf16 a[0:3], v[30:31], v[32:33], a[0:3]
	v_mov_b32_e32 v87, 0
	v_mov_b32_e32 v26, 0
	v_mov_b32_e32 v27, 0
	v_mfma_f32_16x16x16_bf16 a[0:3], v[40:41], v[34:35], a[0:3]
	v_mov_b32_e32 v28, 0
	v_mov_b32_e32 v29, 0
	v_mov_b32_e32 v30, 0
	;; [unrolled: 4-line block ×4, first 2 shown]
	v_mov_b32_e32 v37, 0
	s_and_b64 vcc, exec, s[0:1]
	s_waitcnt vmcnt(7)
	v_lshlrev_b32_e32 v88, 16, v92
	s_waitcnt vmcnt(6)
	v_lshlrev_b32_e32 v89, 16, v93
	;; [unrolled: 2-line block ×4, first 2 shown]
	s_waitcnt vmcnt(3)
	v_sub_f32_e32 v92, s20, v96
	s_waitcnt vmcnt(2)
	v_sub_f32_e32 v93, s20, v97
	;; [unrolled: 2-line block ×4, first 2 shown]
	v_mul_f32_e32 v92, 0x3fb8aa3b, v92
	v_mul_f32_e32 v93, 0x3fb8aa3b, v93
	;; [unrolled: 1-line block ×4, first 2 shown]
	v_exp_f32_e32 v92, v92
	v_exp_f32_e32 v93, v93
	;; [unrolled: 1-line block ×4, first 2 shown]
	v_accvgpr_read_b32 v41, a1
	v_accvgpr_read_b32 v39, a3
	;; [unrolled: 1-line block ×4, first 2 shown]
	v_pk_add_f32 v[40:41], v[88:89], v[40:41] neg_lo:[0,1] neg_hi:[0,1]
	v_pk_add_f32 v[38:39], v[90:91], v[38:39] neg_lo:[0,1] neg_hi:[0,1]
	v_pk_mul_f32 v[40:41], v[92:93], v[40:41]
	v_pk_mul_f32 v[38:39], v[94:95], v[38:39]
	s_nop 0
	v_perm_b32 v39, v39, v38, s3
	v_perm_b32 v38, v41, v40, s3
	ds_write_b64 v61, v[38:39]
	v_mov_b32_e32 v38, 0
	v_mov_b32_e32 v39, 0
	;; [unrolled: 1-line block ×4, first 2 shown]
	s_cbranch_vccnz .LBB750_14
; %bb.13:                               ;   in Loop: Header=BB750_6 Depth=1
	s_and_b32 s25, s25, 0xffff
	s_mov_b32 s27, s23
	buffer_load_dwordx4 v[38:41], v76, s[24:27], 0 offen
	buffer_load_dwordx4 v[30:33], v76, s[24:27], s56 offen
	;; [unrolled: 1-line block ×4, first 2 shown]
	v_mov_b32_e32 v86, v55
	v_mov_b32_e32 v87, v54
.LBB750_14:                             ;   in Loop: Header=BB750_6 Depth=1
	s_waitcnt lgkmcnt(0)
	s_barrier
	ds_read_b64 v[96:97], v80
	ds_read2st64_b64 v[88:91], v69 offset1:1
	ds_read2st64_b64 v[92:95], v69 offset0:2 offset1:3
	ds_read_b64 v[98:99], v81
	ds_read_b64 v[100:101], v82
	;; [unrolled: 1-line block ×3, first 2 shown]
	s_waitcnt lgkmcnt(4)
	v_mfma_f32_16x16x16_bf16 a[0:3], v[96:97], v[88:89], 0
	ds_read_b64 v[96:97], v72 offset:8192
	ds_read_b64 v[104:105], v73 offset:8192
	s_add_i32 s21, s50, s62
	s_mul_hi_i32 s25, s21, s13
	s_waitcnt lgkmcnt(1)
	v_mfma_f32_16x16x16_bf16 a[4:7], v[96:97], v[88:89], 0
	s_mul_i32 s21, s21, s13
	s_add_u32 s24, s21, s33
	s_addc_u32 s25, s25, s54
	v_mfma_f32_16x16x16_bf16 a[0:3], v[98:99], v[90:91], a[0:3]
	ds_read_b64 v[96:97], v70
	ds_read_b64 v[98:99], v71
	ds_read_b64 v[88:89], v74 offset:8192
	s_lshl_b64 s[24:25], s[24:25], 15
	v_mfma_f32_16x16x16_bf16 a[0:3], v[100:101], v[92:93], a[0:3]
	ds_read_b64 v[100:101], v75 offset:8192
	s_and_b64 vcc, exec, s[0:1]
	s_waitcnt lgkmcnt(4)
	v_mfma_f32_16x16x16_bf16 a[4:7], v[104:105], v[90:91], a[4:7]
	s_waitcnt lgkmcnt(1)
	v_mfma_f32_16x16x16_bf16 a[4:7], v[88:89], v[92:93], a[4:7]
	v_lshl_add_u64 v[88:89], v[42:43], 0, s[24:25]
	global_store_dwordx4 v[88:89], v[96:99], off
	v_mfma_f32_16x16x16_bf16 a[0:3], v[102:103], v[94:95], a[0:3]
	s_waitcnt lgkmcnt(0)
	v_mfma_f32_16x16x16_bf16 a[4:7], v[100:101], v[94:95], a[4:7]
	s_cbranch_vccnz .LBB750_16
; %bb.15:                               ;   in Loop: Header=BB750_6 Depth=1
	v_lshrrev_b32_e32 v88, 3, v86
	v_and_b32_e32 v88, 6, v88
	v_xor_b32_e32 v87, v88, v87
	v_lshlrev_b32_e32 v87, 2, v87
	v_and_b32_e32 v86, 8, v86
	v_xor_b32_e32 v89, 0x440, v87
	v_cmp_eq_u32_e32 vcc, 0, v86
	s_barrier
	s_nop 0
	v_cndmask_b32_e32 v86, v89, v87, vcc
	v_lshl_or_b32 v86, v88, 10, v86
	s_waitcnt vmcnt(2)
	v_perm_b32 v87, v38, v34, s58
	s_waitcnt vmcnt(1)
	v_perm_b32 v88, v30, v26, s58
	ds_write2st64_b32 v86, v87, v88 offset1:32
	v_xor_b32_e32 v87, 8, v86
	v_perm_b32 v34, v38, v34, s59
	v_perm_b32 v26, v30, v26, s59
	v_add_u32_e32 v30, 0x80, v87
	ds_write2st64_b32 v30, v34, v26 offset1:32
	v_xor_b32_e32 v26, 16, v86
	v_perm_b32 v30, v39, v35, s58
	v_perm_b32 v34, v31, v27, s58
	ds_write2st64_b32 v26, v30, v34 offset0:1 offset1:33
	v_xor_b32_e32 v26, 24, v86
	v_perm_b32 v30, v39, v35, s59
	v_perm_b32 v27, v31, v27, s59
	v_add_u32_e32 v26, 0x80, v26
	ds_write2st64_b32 v26, v30, v27 offset0:1 offset1:33
	v_xor_b32_e32 v26, 32, v86
	v_perm_b32 v27, v40, v36, s58
	v_perm_b32 v30, v32, v28, s58
	ds_write2st64_b32 v26, v27, v30 offset0:2 offset1:34
	v_xor_b32_e32 v26, 40, v86
	v_perm_b32 v27, v40, v36, s59
	v_perm_b32 v28, v32, v28, s59
	v_add_u32_e32 v26, 0x80, v26
	ds_write2st64_b32 v26, v27, v28 offset0:2 offset1:34
	;; [unrolled: 9-line block ×3, first 2 shown]
	ds_write_b64 v9, v[22:23] offset:16384
	v_xor_b32_e32 v22, 8, v9
	ds_write_b64 v22, v[24:25] offset:16384
	ds_write_b64 v9, v[18:19] offset:24576
	;; [unrolled: 1-line block ×4, first 2 shown]
	v_xor_b32_e32 v9, 8, v5
	ds_write_b64 v9, v[16:17] offset:16384
	ds_write_b64 v5, v[10:11] offset:24576
	;; [unrolled: 1-line block ×3, first 2 shown]
.LBB750_16:                             ;   in Loop: Header=BB750_6 Depth=1
	v_mul_f32_e32 v5, s20, v79
	v_exp_f32_e32 v10, v5
	s_nop 1
	v_accvgpr_read_b32 v9, a1
	v_accvgpr_read_b32 v5, a0
	s_add_i32 s57, s57, 64
	v_fma_f32 v3, v3, v10, v9
	v_accvgpr_read_b32 v9, a4
	v_fma_f32 v6, v6, v10, v9
	v_accvgpr_read_b32 v9, a5
	v_fma_f32 v2, v2, v10, v5
	v_accvgpr_read_b32 v5, a2
	v_fma_f32 v7, v7, v10, v9
	v_accvgpr_read_b32 v9, a6
	v_fma_f32 v4, v4, v10, v5
	v_accvgpr_read_b32 v5, a3
	v_fma_f32 v8, v8, v10, v9
	v_accvgpr_read_b32 v9, a7
	v_fmac_f32_e32 v5, v85, v10
	s_cmp_eq_u32 s48, s35
	v_fmac_f32_e32 v9, v84, v10
	s_cbranch_scc1 .LBB750_18
; %bb.17:                               ;   in Loop: Header=BB750_6 Depth=1
	s_mov_b32 s62, s35
	v_mov_b32_e32 v85, v5
	v_mov_b32_e32 v84, v9
	s_branch .LBB750_6
.LBB750_18:
	s_lshl_b32 s42, s48, 6
	s_sub_i32 s43, s12, s42
	s_cmp_gt_i32 s43, 0
	s_waitcnt vmcnt(2)
	v_or_b32_e32 v34, s2, v50
	s_cbranch_scc1 .LBB750_20
; %bb.19:
	s_ashr_i32 s0, s33, 31
	s_add_u32 s24, s45, s33
	s_addc_u32 s25, s51, s0
	v_or_b32_e32 v10, s2, v50
	s_cbranch_execz .LBB750_21
	s_branch .LBB750_77
.LBB750_20:
                                        ; implicit-def: $sgpr24_sgpr25
                                        ; implicit-def: $vgpr10
.LBB750_21:
	s_ashr_i32 s35, s47, 31
	s_ashr_i32 s3, s42, 31
	s_cmpk_lg_i32 s15, 0x80
	s_cselect_b64 s[38:39], -1, 0
	s_and_b64 vcc, exec, s[38:39]
	s_cbranch_vccz .LBB750_23
; %bb.22:
	s_mul_i32 s1, s47, s12
	s_mul_hi_i32 s0, s47, s12
	s_add_u32 s1, s1, s42
	s_addc_u32 s0, s0, s3
	s_mul_i32 s20, s1, s49
	s_mul_hi_u32 s21, s1, s14
	s_add_i32 s20, s21, s20
	s_mul_i32 s0, s0, s14
	s_add_i32 s20, s20, s0
	s_mul_i32 s1, s1, s14
	s_ashr_i32 s0, s52, 31
	s_add_u32 s40, s1, s52
	s_addc_u32 s41, s20, s0
	s_cbranch_execz .LBB750_24
	s_branch .LBB750_25
.LBB750_23:
                                        ; implicit-def: $sgpr40_sgpr41
.LBB750_24:
	s_mul_hi_i32 s0, s47, s14
	s_mul_i32 s47, s47, s14
	s_ashr_i32 s1, s52, 31
	s_add_u32 s14, s47, s52
	s_addc_u32 s0, s0, s1
	s_mul_i32 s1, s14, s46
	s_mul_hi_u32 s20, s14, s12
	s_add_i32 s1, s20, s1
	s_mul_i32 s0, s0, s12
	s_add_i32 s1, s1, s0
	s_mul_i32 s14, s14, s12
	s_add_u32 s40, s14, s42
	s_addc_u32 s41, s1, s3
.LBB750_25:
	s_add_i32 s20, s50, s48
	s_ashr_i32 s14, s33, 31
	s_add_u32 s24, s45, s33
	s_addc_u32 s25, s51, s14
	s_mul_i32 s0, s24, s46
	s_mul_hi_u32 s1, s24, s12
	s_add_i32 s0, s1, s0
	s_mul_i32 s1, s25, s12
	s_add_i32 s1, s0, s1
	s_mul_i32 s0, s24, s12
	s_add_u32 s0, s0, s42
	s_addc_u32 s1, s1, s3
	s_mov_b32 s3, 0x7060302
	v_lshlrev_b32_e32 v14, 3, v50
	s_lshl_b64 s[26:27], s[0:1], 8
	v_perm_b32 v11, v5, v4, s3
	v_perm_b32 v10, v3, v2, s3
	;; [unrolled: 1-line block ×4, first 2 shown]
	v_lshlrev_b32_e32 v44, 2, v50
	v_lshl_or_b32 v14, v1, 5, v14
	s_add_u32 s0, s6, s26
	ds_write2st64_b64 v14, v[10:11], v[12:13] offset0:72 offset1:76
	v_xor_b32_e32 v14, v1, v44
	v_lshlrev_b32_e32 v15, 8, v50
	s_addc_u32 s1, s7, s27
	v_lshl_or_b32 v14, v14, 1, v15
	s_mul_hi_i32 s3, s20, s13
	s_mul_i32 s20, s20, s13
	ds_write_b64 v14, v[10:11] offset:32768
	v_xor_b32_e32 v10, v53, v44
	s_add_u32 s6, s20, s33
	v_lshl_or_b32 v10, v10, 1, v15
	s_addc_u32 s7, s3, s14
	v_lshlrev_b32_e32 v11, 1, v50
	ds_write_b64 v10, v[12:13] offset:32768
	v_lshrrev_b32_e32 v10, 4, v0
	s_ashr_i32 s3, s2, 31
	s_lshl_b64 s[6:7], s[6:7], 15
	v_or_b32_e32 v12, 1, v11
	s_waitcnt lgkmcnt(0)
	s_add_u32 s6, s36, s6
	v_xor_b32_e32 v11, v10, v11
	v_xor_b32_e32 v12, v12, v10
	v_lshlrev_b32_e32 v14, 8, v10
	s_addc_u32 s7, s37, s7
	s_lshl_b64 s[2:3], s[2:3], 8
	v_lshl_or_b32 v10, v11, 3, v14
	v_lshl_or_b32 v12, v12, 3, v14
	s_barrier
	s_add_u32 s2, s6, s2
	ds_read_b64 v[10:11], v10 offset:32768
	ds_read_b64 v[12:13], v12 offset:32768
	s_addc_u32 s3, s7, s3
	v_mov_b32_e32 v15, 0
	s_cmp_lg_u32 s43, 64
	v_lshl_add_u64 v[16:17], s[2:3], 0, v[14:15]
	v_lshlrev_b32_e32 v14, 4, v50
	s_cselect_b64 s[6:7], -1, 0
	v_lshl_or_b32 v35, v46, 3, v52
	s_mov_b32 s20, 0
	v_lshl_add_u64 v[14:15], v[16:17], 0, v[14:15]
	s_waitcnt vmcnt(1)
	v_or_b32_e32 v27, 32, v35
	v_and_b32_e32 v26, 56, v51
	s_and_b64 vcc, exec, s[6:7]
	s_waitcnt lgkmcnt(0)
	global_store_dwordx4 v[14:15], v[10:13], off
	s_cbranch_vccz .LBB750_31
; %bb.26:
	s_mov_b32 s21, s20
	s_mov_b32 s22, s20
	s_mov_b32 s23, s20
	v_mov_b64_e32 v[14:15], s[20:21]
	v_mov_b64_e32 v[16:17], s[22:23]
	;; [unrolled: 1-line block ×3, first 2 shown]
	v_cmp_gt_i32_e32 vcc, s43, v35
	v_mov_b64_e32 v[12:13], v[16:17]
	s_and_saveexec_b64 s[2:3], vcc
	s_cbranch_execz .LBB750_28
; %bb.27:
	v_lshlrev_b32_e32 v10, 8, v35
	v_mov_b32_e32 v11, 0
	v_lshl_add_u64 v[12:13], s[0:1], 0, v[10:11]
	v_lshlrev_b32_e32 v10, 1, v26
	v_lshl_add_u64 v[18:19], v[12:13], 0, v[10:11]
	global_load_dwordx4 v[14:17], v[18:19], off
	global_load_dwordx4 v[10:13], v[18:19], off offset:128
.LBB750_28:
	s_or_b64 exec, exec, s[2:3]
	s_mov_b32 s22, s20
	s_mov_b32 s23, s20
	;; [unrolled: 1-line block ×3, first 2 shown]
	v_mov_b64_e32 v[24:25], s[22:23]
	v_mov_b64_e32 v[22:23], s[20:21]
	;; [unrolled: 1-line block ×3, first 2 shown]
	v_cmp_gt_i32_e32 vcc, s43, v27
	v_lshlrev_b32_e32 v28, 7, v27
	v_mov_b64_e32 v[20:21], v[24:25]
	s_and_saveexec_b64 s[2:3], vcc
	s_cbranch_execz .LBB750_30
; %bb.29:
	v_lshlrev_b32_e32 v18, 1, v28
	v_mov_b32_e32 v19, 0
	v_lshl_add_u64 v[20:21], s[0:1], 0, v[18:19]
	v_lshlrev_b32_e32 v18, 1, v26
	v_lshl_add_u64 v[30:31], v[20:21], 0, v[18:19]
	global_load_dwordx4 v[22:25], v[30:31], off
	global_load_dwordx4 v[18:21], v[30:31], off offset:128
.LBB750_30:
	s_or_b64 exec, exec, s[2:3]
	v_lshrrev_b32_e32 v29, 3, v26
	v_lshlrev_b32_e32 v30, 3, v35
	v_or_b32_e32 v29, v30, v29
	v_lshlrev_b32_e32 v29, 4, v29
	v_and_b32_e32 v30, 0x78, v30
	v_xor_b32_e32 v29, v29, v30
	s_branch .LBB750_33
.LBB750_31:
                                        ; implicit-def: $vgpr29
                                        ; implicit-def: $vgpr28
                                        ; implicit-def: $vgpr14_vgpr15_vgpr16_vgpr17
                                        ; implicit-def: $vgpr10_vgpr11_vgpr12_vgpr13
                                        ; implicit-def: $vgpr22_vgpr23_vgpr24_vgpr25
                                        ; implicit-def: $vgpr18_vgpr19_vgpr20_vgpr21
	s_cbranch_execz .LBB750_33
; %bb.32:
	s_waitcnt vmcnt(0)
	v_lshlrev_b32_e32 v10, 1, v26
	v_lshl_or_b32 v28, v35, 8, v10
	s_and_b32 s1, s1, 0xffff
	s_mov_b32 s3, 0x20000
	s_movk_i32 s2, 0x4000
	v_lshl_or_b32 v29, v27, 8, v10
	s_movk_i32 s13, 0x80
	buffer_load_dwordx4 v[14:17], v28, s[0:3], 0 offen
	buffer_load_dwordx4 v[10:13], v28, s[0:3], s13 offen
	;; [unrolled: 1-line block ×4, first 2 shown]
	v_lshrrev_b32_e32 v28, 3, v26
	v_lshlrev_b32_e32 v29, 3, v35
	v_or_b32_e32 v28, v29, v28
	v_lshlrev_b32_e32 v28, 4, v28
	v_and_b32_e32 v29, 0x78, v29
	v_xor_b32_e32 v29, v28, v29
	v_lshlrev_b32_e32 v28, 7, v27
.LBB750_33:
	s_lshl_b64 s[0:1], s[40:41], 8
	s_add_u32 s4, s4, s0
	s_movk_i32 s0, 0x1000
	v_and_or_b32 v27, v28, s0, v29
	s_waitcnt vmcnt(1)
	ds_write_b64 v29, v[14:15] offset:16384
	v_xor_b32_e32 v14, 8, v29
	s_addc_u32 s5, s5, s1
	ds_write_b64 v14, v[16:17] offset:16384
	s_waitcnt vmcnt(0)
	ds_write_b64 v29, v[10:11] offset:24576
	ds_write_b64 v14, v[12:13] offset:24576
	;; [unrolled: 1-line block ×3, first 2 shown]
	v_xor_b32_e32 v10, 8, v27
	s_add_i32 s0, s44, s17
	s_mul_i32 s35, s35, s16
	ds_write_b64 v10, v[24:25] offset:16384
	ds_write_b64 v27, v[18:19] offset:24576
	;; [unrolled: 1-line block ×3, first 2 shown]
	s_add_i32 s35, s0, s35
	s_mul_i32 s0, s33, s19
	s_mul_hi_u32 s1, s33, s18
	v_or_b32_e32 v10, v47, v50
	s_add_i32 s0, s1, s0
	s_mul_i32 s1, s14, s18
	v_lshlrev_b32_e32 v10, 3, v10
	v_lshrrev_b32_e32 v12, 5, v48
	s_movk_i32 s14, 0xf8
	v_and_or_b32 v12, v10, s14, v12
	v_lshlrev_b32_e32 v45, 11, v46
	v_lshlrev_b32_e32 v20, 4, v12
	v_and_b32_e32 v21, 0x78, v10
	v_and_b32_e32 v22, 0x1000, v45
	v_lshlrev_b32_e32 v11, 2, v0
	v_xor_b32_e32 v10, v20, v21
	v_lshrrev_b32_e32 v12, 1, v48
	v_and_b32_e32 v11, 60, v11
	v_or_b32_e32 v10, v10, v22
	v_and_b32_e32 v23, 8, v12
	v_xor_b32_e32 v36, v10, v23
	v_lshl_or_b32 v10, v49, 6, v11
	v_lshlrev_b32_e32 v49, 1, v10
	v_or_b32_e32 v10, 32, v20
	v_xor_b32_e32 v10, v10, v21
	s_waitcnt lgkmcnt(0)
	s_barrier
	ds_read_b64 v[18:19], v36 offset:16384
	v_or_b32_e32 v10, v10, v22
	v_xor_b32_e32 v37, v10, v23
	v_or_b32_e32 v10, 64, v20
	v_xor_b32_e32 v10, v10, v21
	v_or_b32_e32 v10, v10, v22
	v_or_b32_e32 v20, 0x60, v20
	v_xor_b32_e32 v38, v10, v23
	ds_read2st64_b64 v[10:13], v49 offset0:72 offset1:73
	ds_read2st64_b64 v[14:17], v49 offset0:74 offset1:75
	v_xor_b32_e32 v24, v20, v21
	ds_read_b64 v[20:21], v37 offset:16384
	s_waitcnt lgkmcnt(2)
	v_mfma_f32_16x16x16_bf16 a[0:3], v[18:19], v[10:11], 0
	s_add_i32 s2, s12, -1
	s_ashr_i32 s3, s2, 31
	s_mul_i32 s12, s2, s31
	s_mul_hi_u32 s13, s2, s30
	s_add_i32 s12, s13, s12
	s_mul_i32 s3, s3, s30
	v_or_b32_e32 v22, v24, v22
	s_add_i32 s1, s0, s1
	s_add_i32 s3, s12, s3
	s_lshl_b64 s[12:13], s[34:35], 2
	v_xor_b32_e32 v50, v22, v23
	ds_read_b64 v[22:23], v38 offset:16384
	ds_read_b64 v[24:25], v50 offset:16384
	s_waitcnt lgkmcnt(2)
	v_mfma_f32_16x16x16_bf16 a[0:3], v[20:21], v[12:13], a[0:3]
	s_mul_i32 s0, s33, s18
	s_add_u32 s10, s10, s12
	s_addc_u32 s11, s11, s13
	s_lshl_b64 s[0:1], s[0:1], 2
	s_mul_i32 s2, s2, s30
	s_add_u32 s10, s10, s0
	s_addc_u32 s11, s11, s1
	s_lshl_b64 s[0:1], s[2:3], 2
	s_waitcnt lgkmcnt(1)
	v_mfma_f32_16x16x16_bf16 a[0:3], v[22:23], v[14:15], a[0:3]
	s_add_u32 s0, s10, s0
	s_addc_u32 s1, s11, s1
	s_load_dword s12, s[0:1], 0x0
	s_waitcnt lgkmcnt(0)
	v_mfma_f32_16x16x16_bf16 a[0:3], v[24:25], v[16:17], a[0:3]
	s_and_b64 vcc, exec, s[38:39]
	s_cbranch_vccz .LBB750_44
; %bb.34:
	v_lshlrev_b32_e32 v27, 1, v35
	s_and_b64 vcc, exec, s[6:7]
	s_cbranch_vccz .LBB750_45
; %bb.35:
	v_cmp_gt_i32_e32 vcc, s43, v27
	v_mov_b32_e32 v14, 0
	v_mov_b32_e32 v10, 0
	;; [unrolled: 1-line block ×5, first 2 shown]
	s_and_saveexec_b64 s[0:1], vcc
	s_cbranch_execz .LBB750_37
; %bb.36:
	v_mad_i64_i32 v[10:11], s[2:3], s15, v27, 0
	v_lshl_add_u64 v[10:11], v[10:11], 1, s[4:5]
	v_lshlrev_b32_e32 v12, 1, v26
	v_mov_b32_e32 v13, 0
	v_lshl_add_u64 v[10:11], v[10:11], 0, v[12:13]
	global_load_dwordx4 v[10:13], v[10:11], off
.LBB750_37:
	s_or_b64 exec, exec, s[0:1]
	v_or_b32_e32 v28, 1, v27
	v_cmp_gt_i32_e64 s[0:1], s43, v28
	v_mov_b32_e32 v15, 0
	v_mov_b32_e32 v16, 0
	;; [unrolled: 1-line block ×3, first 2 shown]
	s_and_saveexec_b64 s[2:3], s[0:1]
	s_cbranch_execz .LBB750_39
; %bb.38:
	v_mad_i64_i32 v[14:15], s[16:17], s15, v28, 0
	v_lshl_add_u64 v[14:15], v[14:15], 1, s[4:5]
	v_lshlrev_b32_e32 v16, 1, v26
	v_mov_b32_e32 v17, 0
	v_lshl_add_u64 v[14:15], v[14:15], 0, v[16:17]
	global_load_dwordx4 v[14:17], v[14:15], off
.LBB750_39:
	s_or_b64 exec, exec, s[2:3]
	v_mov_b32_e32 v25, 0
	v_mov_b32_e32 v18, 0
	;; [unrolled: 1-line block ×5, first 2 shown]
	s_and_saveexec_b64 s[2:3], vcc
	s_cbranch_execz .LBB750_41
; %bb.40:
	v_mad_i64_i32 v[18:19], s[16:17], s15, v27, 0
	v_lshl_add_u64 v[18:19], v[18:19], 1, s[4:5]
	v_lshlrev_b32_e32 v20, 1, v26
	v_mov_b32_e32 v21, 0
	v_lshl_add_u64 v[18:19], v[18:19], 0, v[20:21]
	global_load_dwordx4 v[18:21], v[18:19], off offset:128
.LBB750_41:
	s_or_b64 exec, exec, s[2:3]
	v_mov_b32_e32 v24, 0
	v_mov_b32_e32 v23, 0
	;; [unrolled: 1-line block ×3, first 2 shown]
	s_and_saveexec_b64 s[2:3], s[0:1]
	s_cbranch_execz .LBB750_43
; %bb.42:
	v_mad_i64_i32 v[22:23], s[0:1], s15, v28, 0
	v_lshl_add_u64 v[22:23], v[22:23], 1, s[4:5]
	v_lshlrev_b32_e32 v24, 1, v26
	v_mov_b32_e32 v25, 0
	v_lshl_add_u64 v[22:23], v[22:23], 0, v[24:25]
	global_load_dwordx4 v[22:25], v[22:23], off offset:128
.LBB750_43:
	s_or_b64 exec, exec, s[2:3]
	s_branch .LBB750_47
.LBB750_44:
                                        ; implicit-def: $vgpr13
                                        ; implicit-def: $vgpr17
                                        ; implicit-def: $vgpr21
                                        ; implicit-def: $vgpr25
	v_lshrrev_b32_e32 v48, 2, v48
	s_branch .LBB750_48
.LBB750_45:
                                        ; implicit-def: $vgpr13
                                        ; implicit-def: $vgpr17
                                        ; implicit-def: $vgpr21
                                        ; implicit-def: $vgpr25
	s_cbranch_execz .LBB750_47
; %bb.46:
	s_waitcnt vmcnt(0)
	v_mad_u64_u32 v[10:11], s[0:1], v27, s15, v[26:27]
	v_lshlrev_b32_e32 v27, 1, v10
	s_lshl_b32 s2, s15, 7
	s_and_b32 s1, s5, 0xffff
	s_mov_b32 s3, 0x20000
	s_mov_b32 s0, s4
	v_add_lshl_u32 v28, v10, s15, 1
	s_movk_i32 s13, 0x80
	buffer_load_dwordx4 v[10:13], v27, s[0:3], 0 offen
	buffer_load_dwordx4 v[18:21], v27, s[0:3], s13 offen
	;; [unrolled: 1-line block ×4, first 2 shown]
.LBB750_47:
	v_lshrrev_b32_e32 v48, 2, v48
	s_cbranch_execnz .LBB750_60
.LBB750_48:
	s_and_b64 vcc, exec, s[6:7]
	s_cbranch_vccz .LBB750_58
; %bb.49:
	s_waitcnt vmcnt(0)
	v_lshlrev_b32_e32 v15, 1, v35
	v_cmp_gt_i32_e32 vcc, s43, v15
	v_mov_b32_e32 v14, 0
	v_lshlrev_b32_e32 v22, 9, v35
	v_mov_b32_e32 v10, 0
	v_mov_b32_e32 v11, 0
	;; [unrolled: 1-line block ×4, first 2 shown]
	s_and_saveexec_b64 s[0:1], vcc
	s_cbranch_execz .LBB750_51
; %bb.50:
	v_mov_b32_e32 v23, 0
	v_lshl_add_u64 v[10:11], s[4:5], 0, v[22:23]
	v_lshlrev_b32_e32 v12, 1, v26
	v_mov_b32_e32 v13, v23
	v_lshl_add_u64 v[10:11], v[10:11], 0, v[12:13]
	global_load_dwordx4 v[10:13], v[10:11], off
.LBB750_51:
	s_or_b64 exec, exec, s[0:1]
	v_or_b32_e32 v15, 1, v15
	v_cmp_gt_i32_e64 s[0:1], s43, v15
	v_lshlrev_b32_e32 v28, 8, v15
	v_mov_b32_e32 v15, 0
	v_mov_b32_e32 v16, 0
	;; [unrolled: 1-line block ×3, first 2 shown]
	s_and_saveexec_b64 s[2:3], s[0:1]
	s_cbranch_execz .LBB750_53
; %bb.52:
	v_mov_b32_e32 v29, 0
	v_lshl_add_u64 v[14:15], s[4:5], 0, v[28:29]
	v_lshlrev_b32_e32 v16, 1, v26
	v_mov_b32_e32 v17, v29
	v_lshl_add_u64 v[14:15], v[14:15], 0, v[16:17]
	global_load_dwordx4 v[14:17], v[14:15], off
.LBB750_53:
	s_or_b64 exec, exec, s[2:3]
	v_mov_b32_e32 v25, 0
	v_mov_b32_e32 v18, 0
	v_mov_b32_e32 v19, 0
	v_mov_b32_e32 v20, 0
	v_mov_b32_e32 v21, 0
	s_and_saveexec_b64 s[2:3], vcc
	s_cbranch_execz .LBB750_55
; %bb.54:
	v_mov_b32_e32 v23, 0
	v_lshl_add_u64 v[18:19], s[4:5], 0, v[22:23]
	v_lshlrev_b32_e32 v22, 1, v26
	v_lshl_add_u64 v[18:19], v[18:19], 0, v[22:23]
	global_load_dwordx4 v[18:21], v[18:19], off offset:128
.LBB750_55:
	s_or_b64 exec, exec, s[2:3]
	v_mov_b32_e32 v24, 0
	v_mov_b32_e32 v23, 0
	;; [unrolled: 1-line block ×3, first 2 shown]
	s_and_saveexec_b64 s[2:3], s[0:1]
	s_cbranch_execz .LBB750_57
; %bb.56:
	v_mov_b32_e32 v29, 0
	v_lshl_add_u64 v[22:23], s[4:5], 0, v[28:29]
	v_lshlrev_b32_e32 v28, 1, v26
	v_lshl_add_u64 v[22:23], v[22:23], 0, v[28:29]
	global_load_dwordx4 v[22:25], v[22:23], off offset:128
.LBB750_57:
	s_or_b64 exec, exec, s[2:3]
	s_branch .LBB750_60
.LBB750_58:
                                        ; implicit-def: $vgpr13
                                        ; implicit-def: $vgpr17
                                        ; implicit-def: $vgpr21
                                        ; implicit-def: $vgpr25
	s_cbranch_execz .LBB750_60
; %bb.59:
	s_waitcnt vmcnt(0)
	v_lshlrev_b32_e32 v10, 1, v26
	v_lshl_or_b32 v26, v35, 9, v10
	s_and_b32 s5, s5, 0xffff
	s_mov_b32 s7, 0x20000
	s_movk_i32 s6, 0x4000
	s_movk_i32 s0, 0x80
	buffer_load_dwordx4 v[10:13], v26, s[4:7], 0 offen
	buffer_load_dwordx4 v[14:17], v26, s[4:7], 0 offen offset:256
	buffer_load_dwordx4 v[18:21], v26, s[4:7], s0 offen
	buffer_load_dwordx4 v[22:25], v26, s[4:7], s0 offen offset:256
.LBB750_60:
	ds_read2st64_b64 v[30:33], v49 offset0:76 offset1:77
	ds_read2st64_b64 v[26:29], v49 offset0:78 offset1:79
	ds_read_b64 v[40:41], v36 offset:24576
	ds_read_b64 v[42:43], v37 offset:24576
	;; [unrolled: 1-line block ×4, first 2 shown]
	v_and_b32_e32 v50, 6, v0
	v_xor_b32_e32 v35, v35, v50
	v_lshlrev_b32_e32 v35, 2, v35
	v_and_b32_e32 v51, 1, v0
	v_xor_b32_e32 v52, 0x440, v35
	v_cmp_eq_u32_e32 vcc, 0, v51
	s_mov_b32 s0, 0x1000504
	s_waitcnt vmcnt(0)
	v_perm_b32 v51, v18, v22, s0
	v_cndmask_b32_e32 v35, v52, v35, vcc
	v_lshl_or_b32 v35, v50, 10, v35
	v_perm_b32 v50, v10, v14, s0
	ds_write2st64_b32 v35, v50, v51 offset1:32
	v_xor_b32_e32 v50, 8, v35
	s_mov_b32 s1, 0x3020706
	v_perm_b32 v10, v10, v14, s1
	v_perm_b32 v14, v18, v22, s1
	v_add_u32_e32 v18, 0x80, v50
	ds_write2st64_b32 v18, v10, v14 offset1:32
	v_xor_b32_e32 v10, 16, v35
	v_perm_b32 v14, v11, v15, s0
	v_perm_b32 v18, v19, v23, s0
	ds_write2st64_b32 v10, v14, v18 offset0:1 offset1:33
	v_xor_b32_e32 v10, 24, v35
	v_perm_b32 v11, v11, v15, s1
	v_perm_b32 v14, v19, v23, s1
	v_add_u32_e32 v10, 0x80, v10
	ds_write2st64_b32 v10, v11, v14 offset0:1 offset1:33
	v_xor_b32_e32 v10, 32, v35
	v_perm_b32 v11, v12, v16, s0
	v_perm_b32 v14, v20, v24, s0
	ds_write2st64_b32 v10, v11, v14 offset0:2 offset1:34
	v_xor_b32_e32 v10, 40, v35
	v_perm_b32 v11, v12, v16, s1
	v_perm_b32 v12, v20, v24, s1
	v_add_u32_e32 v10, 0x80, v10
	ds_write2st64_b32 v10, v11, v12 offset0:2 offset1:34
	v_xor_b32_e32 v10, 48, v35
	v_perm_b32 v11, v13, v17, s0
	v_perm_b32 v12, v21, v25, s0
	ds_write2st64_b32 v10, v11, v12 offset0:3 offset1:35
	v_xor_b32_e32 v10, 56, v35
	v_and_or_b32 v16, v48, 12, v47
	v_perm_b32 v11, v13, v17, s1
	v_perm_b32 v12, v21, v25, s1
	v_add_u32_e32 v10, 0x80, v10
	v_cmp_gt_i32_e32 vcc, s43, v16
	v_mov_b32_e32 v17, 0
	v_mov_b32_e32 v21, 0
	ds_write2st64_b32 v10, v11, v12 offset0:3 offset1:35
	s_and_saveexec_b64 s[0:1], vcc
	s_cbranch_execz .LBB750_62
; %bb.61:
	v_add_u32_e32 v10, s42, v16
	v_ashrrev_i32_e32 v11, 31, v10
	v_mul_lo_u32 v12, v11, s30
	v_mul_lo_u32 v13, v10, s31
	v_mad_u64_u32 v[10:11], s[2:3], v10, s30, 0
	v_add3_u32 v11, v11, v13, v12
	v_lshl_add_u64 v[10:11], v[10:11], 2, s[10:11]
	global_load_dword v10, v[10:11], off
	s_waitcnt vmcnt(0)
	v_sub_f32_e32 v10, s12, v10
	v_mul_f32_e32 v10, 0x3fb8aa3b, v10
	v_exp_f32_e32 v21, v10
.LBB750_62:
	s_or_b64 exec, exec, s[0:1]
	v_or_b32_e32 v19, 1, v16
	v_cmp_gt_i32_e64 s[0:1], s43, v19
	s_and_saveexec_b64 s[2:3], s[0:1]
	s_cbranch_execz .LBB750_64
; %bb.63:
	v_add_u32_e32 v10, s42, v19
	v_ashrrev_i32_e32 v11, 31, v10
	v_mul_lo_u32 v12, v11, s30
	v_mul_lo_u32 v13, v10, s31
	v_mad_u64_u32 v[10:11], s[4:5], v10, s30, 0
	v_add3_u32 v11, v11, v13, v12
	v_lshl_add_u64 v[10:11], v[10:11], 2, s[10:11]
	global_load_dword v10, v[10:11], off
	s_waitcnt vmcnt(0)
	v_sub_f32_e32 v10, s12, v10
	v_mul_f32_e32 v10, 0x3fb8aa3b, v10
	v_exp_f32_e32 v17, v10
.LBB750_64:
	s_or_b64 exec, exec, s[2:3]
	v_or_b32_e32 v20, 2, v16
	v_cmp_gt_i32_e64 s[2:3], s43, v20
	v_mov_b32_e32 v18, 0
	v_mov_b32_e32 v23, 0
	s_and_saveexec_b64 s[4:5], s[2:3]
	s_cbranch_execz .LBB750_66
; %bb.65:
	v_add_u32_e32 v10, s42, v20
	v_ashrrev_i32_e32 v11, 31, v10
	v_mul_lo_u32 v12, v11, s30
	v_mul_lo_u32 v13, v10, s31
	v_mad_u64_u32 v[10:11], s[6:7], v10, s30, 0
	v_add3_u32 v11, v11, v13, v12
	v_lshl_add_u64 v[10:11], v[10:11], 2, s[10:11]
	global_load_dword v10, v[10:11], off
	s_waitcnt vmcnt(0)
	v_sub_f32_e32 v10, s12, v10
	v_mul_f32_e32 v10, 0x3fb8aa3b, v10
	v_exp_f32_e32 v23, v10
.LBB750_66:
	s_or_b64 exec, exec, s[4:5]
	v_or_b32_e32 v22, 3, v16
	v_cmp_gt_i32_e64 s[4:5], s43, v22
	s_and_saveexec_b64 s[6:7], s[4:5]
	s_cbranch_execz .LBB750_68
; %bb.67:
	v_add_u32_e32 v10, s42, v22
	v_ashrrev_i32_e32 v11, 31, v10
	v_mul_lo_u32 v12, v11, s30
	v_mul_lo_u32 v13, v10, s31
	v_mad_u64_u32 v[10:11], s[14:15], v10, s30, 0
	v_add3_u32 v11, v11, v13, v12
	v_lshl_add_u64 v[10:11], v[10:11], 2, s[10:11]
	global_load_dword v10, v[10:11], off
	s_waitcnt vmcnt(0)
	v_sub_f32_e32 v10, s12, v10
	v_mul_f32_e32 v10, 0x3fb8aa3b, v10
	v_exp_f32_e32 v18, v10
.LBB750_68:
	s_or_b64 exec, exec, s[6:7]
	s_waitcnt lgkmcnt(11)
	v_mfma_f32_16x16x16_bf16 a[0:3], v[40:41], v[30:31], a[0:3]
	s_add_u32 s6, s8, s26
	v_ashrrev_i32_e32 v35, 31, v34
	s_addc_u32 s7, s9, s27
	s_waitcnt lgkmcnt(10)
	v_mfma_f32_16x16x16_bf16 a[0:3], v[42:43], v[32:33], a[0:3]
	v_mov_b32_e32 v24, 0
	v_lshl_add_u64 v[14:15], v[34:35], 1, s[6:7]
	v_mov_b32_e32 v25, 0
	s_waitcnt lgkmcnt(9)
	v_mfma_f32_16x16x16_bf16 a[0:3], v[38:39], v[26:27], a[0:3]
	s_waitcnt lgkmcnt(8)
	v_mfma_f32_16x16x16_bf16 a[0:3], v[36:37], v[28:29], a[0:3]
	s_nop 6
	v_accvgpr_read_b32 v13, a3
	v_accvgpr_read_b32 v12, a2
	;; [unrolled: 1-line block ×4, first 2 shown]
	s_and_saveexec_b64 s[6:7], vcc
	s_cbranch_execz .LBB750_70
; %bb.69:
	v_lshlrev_b32_e32 v26, 8, v16
	v_mov_b32_e32 v27, 0
	v_lshl_add_u64 v[26:27], v[14:15], 0, v[26:27]
	global_load_ushort v25, v[26:27], off
	s_waitcnt vmcnt(0)
	v_lshlrev_b32_e32 v25, 16, v25
	v_sub_f32_e32 v10, v25, v10
	v_mul_f32_e32 v10, v21, v10
	v_lshrrev_b32_e32 v25, 16, v10
.LBB750_70:
	s_or_b64 exec, exec, s[6:7]
	s_and_saveexec_b64 s[6:7], s[0:1]
	s_cbranch_execz .LBB750_72
; %bb.71:
	v_lshlrev_b32_e32 v26, 8, v19
	v_mov_b32_e32 v27, 0
	v_lshl_add_u64 v[26:27], v[14:15], 0, v[26:27]
	global_load_ushort v10, v[26:27], off
	s_waitcnt vmcnt(0)
	v_lshlrev_b32_e32 v10, 16, v10
	v_sub_f32_e32 v10, v10, v11
	v_mul_f32_e32 v10, v17, v10
	v_lshrrev_b32_e32 v24, 16, v10
.LBB750_72:
	s_or_b64 exec, exec, s[6:7]
	v_mov_b32_e32 v11, 0
	v_mov_b32_e32 v17, 0
	s_and_saveexec_b64 s[0:1], s[2:3]
	s_cbranch_execz .LBB750_74
; %bb.73:
	v_lshlrev_b32_e32 v20, 8, v20
	v_mov_b32_e32 v21, 0
	v_lshl_add_u64 v[20:21], v[14:15], 0, v[20:21]
	global_load_ushort v10, v[20:21], off
	s_waitcnt vmcnt(0)
	v_lshlrev_b32_e32 v10, 16, v10
	v_sub_f32_e32 v10, v10, v12
	v_mul_f32_e32 v10, v23, v10
	v_lshrrev_b32_e32 v17, 16, v10
.LBB750_74:
	s_or_b64 exec, exec, s[0:1]
	v_or_b32_e32 v10, 0x9800, v49
	s_and_saveexec_b64 s[0:1], s[4:5]
	s_cbranch_execz .LBB750_76
; %bb.75:
	v_lshlrev_b32_e32 v20, 8, v22
	v_mov_b32_e32 v21, 0
	v_lshl_add_u64 v[14:15], v[14:15], 0, v[20:21]
	global_load_ushort v11, v[14:15], off
	s_waitcnt vmcnt(0)
	v_lshlrev_b32_e32 v11, 16, v11
	v_sub_f32_e32 v11, v11, v13
	v_mul_f32_e32 v11, v18, v11
	v_lshrrev_b32_e32 v11, 16, v11
.LBB750_76:
	s_or_b64 exec, exec, s[0:1]
	s_mov_b32 s0, 0x5040100
	v_perm_b32 v13, v11, v17, s0
	v_lshlrev_b32_e32 v11, 1, v44
	v_perm_b32 v12, v24, v25, s0
	v_lshl_or_b32 v11, v16, 5, v11
	s_movk_i32 s0, 0xff
	ds_write_b64 v11, v[12:13] offset:38912
	v_and_b32_e32 v11, 7, v0
	v_and_b32_e32 v12, 8, v0
	v_cmp_lt_u32_e32 vcc, s0, v0
	v_lshrrev_b32_e32 v0, 1, v0
	v_lshlrev_b32_e32 v22, 3, v11
	v_lshlrev_b32_e32 v23, 7, v11
	v_cndmask_b32_e64 v11, 0, 1, vcc
	v_lshlrev_b32_e32 v25, 3, v46
	v_and_b32_e32 v0, 24, v0
	v_lshlrev_b32_e32 v24, 13, v11
	v_xor_b32_e32 v11, v25, v0
	v_or_b32_e32 v13, 0x440, v11
	v_cmp_eq_u32_e32 vcc, 0, v12
	s_waitcnt lgkmcnt(0)
	s_barrier
	v_cndmask_b32_e32 v11, v13, v11, vcc
	v_or_b32_e32 v11, v11, v45
	v_xad_u32 v26, v11, v22, v23
	v_add_u32_e32 v11, v24, v26
	ds_read_b64 v[20:21], v11
	ds_read2st64_b64 v[12:15], v10 offset1:1
	ds_read2st64_b64 v[16:19], v10 offset0:2 offset1:3
	v_or_b32_e32 v10, 32, v0
	v_xor_b32_e32 v10, v25, v10
	v_or_b32_e32 v11, 0x440, v10
	v_cndmask_b32_e32 v10, v11, v10, vcc
	v_or_b32_e32 v10, v10, v45
	v_xad_u32 v27, v10, v22, v23
	v_add_u32_e32 v10, v24, v27
	ds_read_b64 v[10:11], v10
	s_waitcnt lgkmcnt(2)
	v_mfma_f32_16x16x16_bf16 a[0:3], v[20:21], v[12:13], 0
	s_waitcnt lgkmcnt(0)
	v_mfma_f32_16x16x16_bf16 a[0:3], v[10:11], v[14:15], a[0:3]
	v_or_b32_e32 v10, 64, v0
	v_xor_b32_e32 v10, v25, v10
	v_xor_b32_e32 v11, 0x440, v10
	v_cndmask_b32_e32 v10, v11, v10, vcc
	v_or_b32_e32 v10, v10, v45
	v_xad_u32 v28, v10, v22, v23
	v_add_u32_e32 v10, v24, v28
	ds_read_b64 v[10:11], v10
	v_or_b32_e32 v0, 0x60, v0
	v_xor_b32_e32 v0, v25, v0
	v_xor_b32_e32 v20, 0x440, v0
	v_cndmask_b32_e32 v0, v20, v0, vcc
	v_or_b32_e32 v0, v0, v45
	v_xad_u32 v0, v0, v22, v23
	v_add_u32_e32 v20, v24, v0
	ds_read_b64 v[20:21], v20
	s_waitcnt lgkmcnt(1)
	v_mfma_f32_16x16x16_bf16 a[0:3], v[10:11], v[16:17], a[0:3]
	ds_read_b64 v[10:11], v26 offset:8192
	ds_read_b64 v[22:23], v27 offset:8192
	v_mov_b32_e32 v24, 0x3fb8aa3b
	s_waitcnt lgkmcnt(2)
	v_mfma_f32_16x16x16_bf16 a[0:3], v[20:21], v[18:19], a[0:3]
	v_mul_f32_e32 v20, s12, v24
	v_exp_f32_e32 v24, v20
	ds_read_b64 v[20:21], v28 offset:8192
	s_waitcnt lgkmcnt(2)
	v_mfma_f32_16x16x16_bf16 a[4:7], v[10:11], v[12:13], 0
	s_nop 1
	v_accvgpr_read_b32 v10, a0
	v_fma_f32 v12, v2, v24, v10
	ds_read_b64 v[10:11], v0 offset:8192
	s_waitcnt lgkmcnt(2)
	v_mfma_f32_16x16x16_bf16 a[4:7], v[22:23], v[14:15], a[4:7]
	v_accvgpr_read_b32 v0, a1
	v_fma_f32 v13, v3, v24, v0
	v_accvgpr_read_b32 v0, a2
	s_waitcnt lgkmcnt(1)
	v_mfma_f32_16x16x16_bf16 a[4:7], v[20:21], v[16:17], a[4:7]
	v_accvgpr_read_b32 v15, a3
	v_fma_f32 v14, v4, v24, v0
	v_fmac_f32_e32 v15, v5, v24
	s_waitcnt lgkmcnt(0)
	v_mfma_f32_16x16x16_bf16 a[0:3], v[10:11], v[18:19], a[4:7]
	v_mov_b32_e32 v10, v34
	s_nop 5
	v_accvgpr_read_b32 v0, a0
	v_fma_f32 v16, v6, v24, v0
	v_accvgpr_read_b32 v0, a1
	v_fma_f32 v17, v7, v24, v0
	v_accvgpr_read_b32 v0, a2
	v_accvgpr_read_b32 v19, a3
	v_fma_f32 v18, v8, v24, v0
	v_fmac_f32_e32 v19, v9, v24
	v_mov_b64_e32 v[2:3], v[12:13]
	v_mov_b64_e32 v[4:5], v[14:15]
	;; [unrolled: 1-line block ×4, first 2 shown]
.LBB750_77:
	s_lshl_b64 s[0:1], s[24:25], 16
	s_waitcnt lgkmcnt(0)
	s_add_u32 s0, s28, s0
	v_lshlrev_b32_e32 v10, 7, v10
	s_addc_u32 s1, s29, s1
	v_ashrrev_i32_e32 v11, 31, v10
	v_lshl_add_u64 v[10:11], v[10:11], 2, s[0:1]
	v_lshlrev_b32_e32 v0, 2, v1
	v_mov_b32_e32 v1, 0
	v_lshl_add_u64 v[0:1], v[10:11], 0, v[0:1]
	global_store_dwordx4 v[0:1], v[2:5], off
	global_store_dwordx4 v[0:1], v[6:9], off offset:256
	s_endpgm
	.section	.rodata,"a",@progbits
	.p2align	6, 0x0
	.amdhsa_kernel _ZN12_GLOBAL__N_139chunk_gated_delta_rule_fwd_h_hip_kernelILi16ELb0ELb1ELb0ELb0ELb0ELb0ELb1ELb0EEEvPK12hip_bfloat16S3_S3_PKfS5_PKvPS1_S8_PvPKiSB_iiiiilll
		.amdhsa_group_segment_fixed_size 40960
		.amdhsa_private_segment_fixed_size 0
		.amdhsa_kernarg_size 136
		.amdhsa_user_sgpr_count 2
		.amdhsa_user_sgpr_dispatch_ptr 0
		.amdhsa_user_sgpr_queue_ptr 0
		.amdhsa_user_sgpr_kernarg_segment_ptr 1
		.amdhsa_user_sgpr_dispatch_id 0
		.amdhsa_user_sgpr_kernarg_preload_length 0
		.amdhsa_user_sgpr_kernarg_preload_offset 0
		.amdhsa_user_sgpr_private_segment_size 0
		.amdhsa_uses_dynamic_stack 0
		.amdhsa_enable_private_segment 0
		.amdhsa_system_sgpr_workgroup_id_x 1
		.amdhsa_system_sgpr_workgroup_id_y 1
		.amdhsa_system_sgpr_workgroup_id_z 0
		.amdhsa_system_sgpr_workgroup_info 0
		.amdhsa_system_vgpr_workitem_id 0
		.amdhsa_next_free_vgpr 116
		.amdhsa_next_free_sgpr 63
		.amdhsa_accum_offset 108
		.amdhsa_reserve_vcc 1
		.amdhsa_float_round_mode_32 0
		.amdhsa_float_round_mode_16_64 0
		.amdhsa_float_denorm_mode_32 3
		.amdhsa_float_denorm_mode_16_64 3
		.amdhsa_dx10_clamp 1
		.amdhsa_ieee_mode 1
		.amdhsa_fp16_overflow 0
		.amdhsa_tg_split 0
		.amdhsa_exception_fp_ieee_invalid_op 0
		.amdhsa_exception_fp_denorm_src 0
		.amdhsa_exception_fp_ieee_div_zero 0
		.amdhsa_exception_fp_ieee_overflow 0
		.amdhsa_exception_fp_ieee_underflow 0
		.amdhsa_exception_fp_ieee_inexact 0
		.amdhsa_exception_int_div_zero 0
	.end_amdhsa_kernel
	.section	.text._ZN12_GLOBAL__N_139chunk_gated_delta_rule_fwd_h_hip_kernelILi16ELb0ELb1ELb0ELb0ELb0ELb0ELb1ELb0EEEvPK12hip_bfloat16S3_S3_PKfS5_PKvPS1_S8_PvPKiSB_iiiiilll,"axG",@progbits,_ZN12_GLOBAL__N_139chunk_gated_delta_rule_fwd_h_hip_kernelILi16ELb0ELb1ELb0ELb0ELb0ELb0ELb1ELb0EEEvPK12hip_bfloat16S3_S3_PKfS5_PKvPS1_S8_PvPKiSB_iiiiilll,comdat
.Lfunc_end750:
	.size	_ZN12_GLOBAL__N_139chunk_gated_delta_rule_fwd_h_hip_kernelILi16ELb0ELb1ELb0ELb0ELb0ELb0ELb1ELb0EEEvPK12hip_bfloat16S3_S3_PKfS5_PKvPS1_S8_PvPKiSB_iiiiilll, .Lfunc_end750-_ZN12_GLOBAL__N_139chunk_gated_delta_rule_fwd_h_hip_kernelILi16ELb0ELb1ELb0ELb0ELb0ELb0ELb1ELb0EEEvPK12hip_bfloat16S3_S3_PKfS5_PKvPS1_S8_PvPKiSB_iiiiilll
                                        ; -- End function
	.section	.AMDGPU.csdata,"",@progbits
; Kernel info:
; codeLenInByte = 7868
; NumSgprs: 69
; NumVgprs: 106
; NumAgprs: 8
; TotalNumVgprs: 116
; ScratchSize: 0
; MemoryBound: 0
; FloatMode: 240
; IeeeMode: 1
; LDSByteSize: 40960 bytes/workgroup (compile time only)
; SGPRBlocks: 8
; VGPRBlocks: 14
; NumSGPRsForWavesPerEU: 69
; NumVGPRsForWavesPerEU: 116
; AccumOffset: 108
; Occupancy: 1
; WaveLimiterHint : 1
; COMPUTE_PGM_RSRC2:SCRATCH_EN: 0
; COMPUTE_PGM_RSRC2:USER_SGPR: 2
; COMPUTE_PGM_RSRC2:TRAP_HANDLER: 0
; COMPUTE_PGM_RSRC2:TGID_X_EN: 1
; COMPUTE_PGM_RSRC2:TGID_Y_EN: 1
; COMPUTE_PGM_RSRC2:TGID_Z_EN: 0
; COMPUTE_PGM_RSRC2:TIDIG_COMP_CNT: 0
; COMPUTE_PGM_RSRC3_GFX90A:ACCUM_OFFSET: 26
; COMPUTE_PGM_RSRC3_GFX90A:TG_SPLIT: 0
	.section	.text._ZN12_GLOBAL__N_139chunk_gated_delta_rule_fwd_h_hip_kernelILi16ELb0ELb0ELb1ELb0ELb0ELb0ELb1ELb0EEEvPK12hip_bfloat16S3_S3_PKfS5_PKvPS1_S8_PvPKiSB_iiiiilll,"axG",@progbits,_ZN12_GLOBAL__N_139chunk_gated_delta_rule_fwd_h_hip_kernelILi16ELb0ELb0ELb1ELb0ELb0ELb0ELb1ELb0EEEvPK12hip_bfloat16S3_S3_PKfS5_PKvPS1_S8_PvPKiSB_iiiiilll,comdat
	.globl	_ZN12_GLOBAL__N_139chunk_gated_delta_rule_fwd_h_hip_kernelILi16ELb0ELb0ELb1ELb0ELb0ELb0ELb1ELb0EEEvPK12hip_bfloat16S3_S3_PKfS5_PKvPS1_S8_PvPKiSB_iiiiilll ; -- Begin function _ZN12_GLOBAL__N_139chunk_gated_delta_rule_fwd_h_hip_kernelILi16ELb0ELb0ELb1ELb0ELb0ELb0ELb1ELb0EEEvPK12hip_bfloat16S3_S3_PKfS5_PKvPS1_S8_PvPKiSB_iiiiilll
	.p2align	8
	.type	_ZN12_GLOBAL__N_139chunk_gated_delta_rule_fwd_h_hip_kernelILi16ELb0ELb0ELb1ELb0ELb0ELb0ELb1ELb0EEEvPK12hip_bfloat16S3_S3_PKfS5_PKvPS1_S8_PvPKiSB_iiiiilll,@function
_ZN12_GLOBAL__N_139chunk_gated_delta_rule_fwd_h_hip_kernelILi16ELb0ELb0ELb1ELb0ELb0ELb0ELb1ELb0EEEvPK12hip_bfloat16S3_S3_PKfS5_PKvPS1_S8_PvPKiSB_iiiiilll: ; @_ZN12_GLOBAL__N_139chunk_gated_delta_rule_fwd_h_hip_kernelILi16ELb0ELb0ELb1ELb0ELb0ELb0ELb1ELb0EEEvPK12hip_bfloat16S3_S3_PKfS5_PKvPS1_S8_PvPKiSB_iiiiilll
; %bb.0:
	s_load_dwordx4 s[16:19], s[0:1], 0x5c
	s_load_dwordx4 s[12:15], s[0:1], 0x30
	s_abs_i32 s22, s3
	s_ashr_i32 s21, s3, 31
	s_load_dwordx8 s[4:11], s[0:1], 0x0
	s_waitcnt lgkmcnt(0)
	s_abs_i32 s20, s17
	v_cvt_f32_u32_e32 v1, s20
	s_sub_i32 s24, 0, s20
	s_ashr_i32 s23, s17, 31
	s_xor_b32 s21, s21, s23
	v_rcp_iflag_f32_e32 v1, v1
	v_lshrrev_b32_e32 v44, 6, v0
	v_bfe_u32 v45, v0, 4, 2
	v_lshlrev_b32_e32 v42, 4, v44
	v_mul_f32_e32 v1, 0x4f7ffffe, v1
	v_cvt_u32_f32_e32 v1, v1
	v_lshlrev_b32_e32 v2, 2, v45
	v_and_b32_e32 v43, 63, v0
	v_or_b32_e32 v48, v2, v42
	v_readfirstlane_b32 s25, v1
	s_mul_i32 s24, s24, s25
	s_mul_hi_u32 s24, s25, s24
	s_add_i32 s25, s25, s24
	s_mul_hi_u32 s24, s22, s25
	s_mul_i32 s25, s24, s20
	s_sub_i32 s22, s22, s25
	s_add_i32 s26, s24, 1
	s_sub_i32 s25, s22, s20
	s_cmp_ge_u32 s22, s20
	s_cselect_b32 s24, s26, s24
	s_cselect_b32 s22, s25, s22
	s_add_i32 s25, s24, 1
	s_cmp_ge_u32 s22, s20
	s_cselect_b32 s22, s25, s24
	s_xor_b32 s22, s22, s21
	s_sub_i32 s47, s22, s21
	s_abs_i32 s21, s18
	v_cvt_f32_u32_e32 v1, s21
	s_add_i32 s24, s16, 63
	s_mul_i32 s45, s47, s17
	s_sub_i32 s33, s3, s45
	v_rcp_iflag_f32_e32 v1, v1
	s_ashr_i32 s3, s24, 31
	s_ashr_i32 s46, s16, 31
	s_lshr_b32 s3, s3, 26
	v_mul_f32_e32 v1, 0x4f7ffffe, v1
	v_cvt_u32_f32_e32 v1, v1
	s_lshr_b32 s22, s46, 26
	s_add_i32 s24, s24, s3
	s_add_i32 s22, s16, s22
	s_ashr_i32 s49, s18, 31
	s_ashr_i32 s3, s24, 6
	;; [unrolled: 1-line block ×3, first 2 shown]
	s_xor_b32 s22, s23, s49
	s_sub_i32 s23, 0, s21
	v_readfirstlane_b32 s24, v1
	s_mul_i32 s23, s23, s24
	s_mul_hi_u32 s23, s24, s23
	s_add_i32 s24, s24, s23
	s_mul_hi_u32 s23, s20, s24
	s_mul_i32 s24, s23, s21
	s_sub_i32 s20, s20, s24
	s_add_i32 s24, s23, 1
	s_sub_i32 s25, s20, s21
	s_cmp_ge_u32 s20, s21
	s_cselect_b32 s23, s24, s23
	s_cselect_b32 s20, s25, s20
	s_add_i32 s24, s23, 1
	s_cmp_ge_u32 s20, s21
	s_cselect_b32 s20, s24, s23
	s_xor_b32 s20, s20, s22
	s_sub_i32 s24, s20, s22
	s_abs_i32 s25, s24
	v_cvt_f32_u32_e32 v1, s25
	s_load_dwordx2 s[34:35], s[0:1], 0x80
	s_load_dwordx4 s[20:23], s[0:1], 0x70
	s_xor_b32 s0, s33, s24
	s_sub_i32 s24, 0, s25
	v_rcp_iflag_f32_e32 v1, v1
	s_abs_i32 s1, s33
	s_ashr_i32 s0, s0, 31
	s_mul_i32 s50, s47, s3
	v_mul_f32_e32 v1, 0x4f7ffffe, v1
	v_cvt_u32_f32_e32 v1, v1
	v_or_b32_e32 v49, 64, v48
	v_mov_b32_e32 v3, 0
	s_mul_hi_i32 s51, s47, s17
	v_readfirstlane_b32 s26, v1
	s_mul_i32 s24, s24, s26
	s_mul_hi_u32 s24, s26, s24
	s_add_i32 s26, s26, s24
	s_mul_hi_u32 s24, s1, s26
	s_mul_i32 s26, s24, s25
	s_sub_i32 s1, s1, s26
	s_add_i32 s26, s24, 1
	s_sub_i32 s27, s1, s25
	s_cmp_ge_u32 s1, s25
	s_cselect_b32 s24, s26, s24
	s_cselect_b32 s1, s27, s1
	s_add_i32 s26, s24, 1
	s_cmp_ge_u32 s1, s25
	s_cselect_b32 s1, s26, s24
	s_xor_b32 s1, s1, s0
	s_sub_i32 s52, s1, s0
	s_lshl_b32 s36, s2, 4
	v_and_b32_e32 v1, 15, v0
	s_cmp_lt_i32 s16, 64
	v_lshrrev_b32_e32 v47, 3, v43
	v_lshlrev_b32_e32 v46, 3, v0
	s_waitcnt lgkmcnt(0)
	s_mul_i32 s21, s47, s21
	s_mul_hi_u32 s44, s47, s20
	s_mul_i32 s38, s47, s20
	v_mov_b32_e32 v61, 0
	v_mov_b32_e32 v34, 0
	;; [unrolled: 1-line block ×7, first 2 shown]
	s_cbranch_scc1 .LBB751_18
; %bb.1:
	s_ashr_i32 s28, s47, 31
	s_ashr_i32 s54, s33, 31
	s_add_u32 s0, s45, s33
	s_addc_u32 s1, s51, s54
	s_mul_i32 s1, s16, s1
	s_mul_hi_u32 s2, s16, s0
	s_add_i32 s3, s2, s1
	s_mul_i32 s2, s16, s0
	s_lshl_b64 s[0:1], s[2:3], 8
	v_and_b32_e32 v51, 56, v46
	s_add_u32 s24, s6, s0
	v_lshl_or_b32 v50, v44, 3, v47
	v_lshlrev_b32_e32 v3, 1, v51
	s_addc_u32 s0, s7, s1
	v_lshl_or_b32 v52, v50, 8, v3
	s_and_b32 s25, s0, 0xffff
	s_mov_b32 s27, 0x20000
	s_movk_i32 s26, 0x4000
	s_movk_i32 s0, 0x80
	v_or_b32_e32 v53, 0x2000, v52
	buffer_load_dwordx4 v[4:7], v52, s[24:27], 0 offen
	buffer_load_dwordx4 v[8:11], v52, s[24:27], s0 offen
	;; [unrolled: 1-line block ×4, first 2 shown]
	v_lshlrev_b32_e32 v20, 3, v50
	v_and_or_b32 v22, v0, 7, v20
	v_and_b32_e32 v20, 0x78, v20
	v_lshlrev_b32_e32 v22, 4, v22
	v_xor_b32_e32 v54, v22, v20
	v_mul_lo_u32 v21, v50, s19
	v_or_b32_e32 v55, 0x1000, v54
	s_cmpk_eq_i32 s19, 0x80
	s_mov_b32 s53, s18
	v_xor_b32_e32 v20, 8, v54
	v_xor_b32_e32 v22, 8, v55
	s_cselect_b64 s[0:1], -1, 0
	s_cmpk_lg_i32 s19, 0x80
	s_waitcnt vmcnt(3)
	ds_write_b64 v54, v[4:5] offset:16384
	ds_write_b64 v20, v[6:7] offset:16384
	s_waitcnt vmcnt(2)
	ds_write_b64 v54, v[8:9] offset:24576
	ds_write_b64 v20, v[10:11] offset:24576
	;; [unrolled: 3-line block ×4, first 2 shown]
	v_lshl_add_u32 v4, v21, 1, v51
	s_cbranch_scc0 .LBB751_3
; %bb.2:
	v_lshlrev_b32_e32 v6, 1, v4
	v_add_lshl_u32 v5, v4, s19, 1
	s_lshl_b32 s26, s19, 7
	v_lshl_or_b32 v3, v50, 9, v3
	s_cbranch_execz .LBB751_4
	s_branch .LBB751_5
.LBB751_3:
                                        ; implicit-def: $vgpr5
                                        ; implicit-def: $vgpr6
                                        ; implicit-def: $sgpr26
	v_lshl_or_b32 v3, v50, 9, v3
.LBB751_4:
	v_or_b32_e32 v5, 0x100, v3
	s_movk_i32 s26, 0x4000
	v_mov_b32_e32 v6, v3
.LBB751_5:
	s_mul_hi_u32 s24, s18, s16
	s_mul_i32 s25, s49, s16
	s_add_i32 s24, s24, s25
	s_mul_i32 s25, s18, s16
	s_mul_i32 s27, s25, s28
	s_mul_hi_u32 s29, s25, s47
	s_add_i32 s27, s29, s27
	s_mul_i32 s24, s24, s47
	s_add_i32 s27, s27, s24
	s_mul_i32 s25, s25, s47
	s_ashr_i32 s55, s52, 31
	s_add_u32 s24, s25, s52
	s_addc_u32 s25, s27, s55
	s_lshl_b64 s[24:25], s[24:25], 8
	s_add_u32 s24, s4, s24
	s_addc_u32 s25, s5, s25
	s_and_b32 s25, s25, 0xffff
	s_mov_b32 s27, 0x20000
	s_movk_i32 s56, 0x80
	buffer_load_dwordx4 v[8:11], v6, s[24:27], 0 offen
	buffer_load_dwordx4 v[12:15], v6, s[24:27], s56 offen
	;; [unrolled: 1-line block ×4, first 2 shown]
	v_and_b32_e32 v5, 6, v0
	s_mul_i32 s24, s28, s16
	s_mul_hi_u32 s25, s47, s16
	v_lshlrev_b32_e32 v7, 2, v1
	v_lshlrev_b32_e32 v24, 3, v1
	v_xor_b32_e32 v26, v50, v5
	v_and_b32_e32 v6, 1, v0
	s_mul_i32 s28, s28, s20
	v_lshl_or_b32 v24, v48, 5, v24
	v_xor_b32_e32 v27, v48, v7
	v_lshlrev_b32_e32 v26, 2, v26
	s_add_i32 s61, s25, s24
	s_add_i32 s24, s44, s21
	v_or_b32_e32 v56, 0x9000, v24
	v_or_b32_e32 v57, 0x9800, v24
	v_lshlrev_b32_e32 v24, 1, v27
	v_xor_b32_e32 v27, 0x440, v26
	v_cmp_eq_u32_e32 vcc, 0, v6
	s_add_i32 s39, s24, s28
	s_mul_i32 s24, s33, s23
	s_mul_hi_u32 s25, s33, s22
	v_cndmask_b32_e32 v6, v27, v26, vcc
	s_add_i32 s24, s25, s24
	s_mul_i32 s25, s54, s22
	s_mov_b32 s58, 0x1000504
	v_lshlrev_b32_e32 v25, 8, v1
	s_mov_b32 s26, 0x8000
	v_xor_b32_e32 v7, v49, v7
	v_lshl_or_b32 v5, v5, 10, v6
	s_add_i32 s25, s24, s25
	s_lshl_b64 s[28:29], s[38:39], 2
	s_mov_b32 s59, 0x3020706
	v_lshlrev_b32_e32 v7, 1, v7
	v_or3_b32 v58, v24, v25, s26
	v_xor_b32_e32 v6, 8, v5
	v_xor_b32_e32 v24, 24, v5
	;; [unrolled: 1-line block ×4, first 2 shown]
	s_mul_i32 s24, s33, s22
	s_add_u32 s28, s10, s28
	v_or3_b32 v59, v7, v25, s26
	v_xor_b32_e32 v7, 16, v5
	v_xor_b32_e32 v25, 32, v5
	;; [unrolled: 1-line block ×3, first 2 shown]
	v_add_u32_e32 v6, 0x80, v6
	v_add_u32_e32 v24, 0x80, v24
	v_add_u32_e32 v26, 0x80, v26
	v_add_u32_e32 v28, 0x80, v28
	s_addc_u32 s29, s11, s29
	s_lshl_b64 s[24:25], s[24:25], 2
	s_add_u32 s40, s28, s24
	s_movk_i32 s24, 0xf8
	s_addc_u32 s41, s29, s25
	s_ashr_i32 s37, s36, 31
	s_lshl_b32 s30, s19, 7
	v_mov_b32_e32 v35, 0
	s_mov_b32 s57, 0
	s_mul_i32 s60, s47, s16
	v_add_u32_e32 v78, v42, v2
	v_mov_b32_e32 v79, 0x3fb8aa3b
	s_mov_b32 s62, 0
	v_mov_b32_e32 v62, v35
	v_mov_b32_e32 v63, v35
	;; [unrolled: 1-line block ×6, first 2 shown]
	s_waitcnt vmcnt(1)
	v_perm_b32 v29, v8, v16, s58
	s_waitcnt vmcnt(0)
	v_perm_b32 v30, v12, v20, s58
	v_perm_b32 v8, v8, v16, s59
	;; [unrolled: 1-line block ×15, first 2 shown]
	ds_write2st64_b32 v5, v29, v30 offset1:32
	ds_write2st64_b32 v6, v8, v12 offset1:32
	ds_write2st64_b32 v7, v16, v20 offset0:1 offset1:33
	ds_write2st64_b32 v24, v9, v13 offset0:1 offset1:33
	;; [unrolled: 1-line block ×6, first 2 shown]
	v_or_b32_e32 v5, v42, v1
	v_lshlrev_b32_e32 v5, 3, v5
	v_lshrrev_b32_e32 v7, 5, v43
	v_and_or_b32 v7, v5, s24, v7
	v_lshlrev_b32_e32 v7, 4, v7
	v_lshlrev_b32_e32 v10, 11, v44
	v_and_b32_e32 v5, 0x78, v5
	v_or_b32_e32 v12, 32, v7
	v_and_b32_e32 v6, 0x1000, v10
	v_lshrrev_b32_e32 v11, 1, v0
	v_xor_b32_e32 v12, v12, v5
	v_and_b32_e32 v9, 8, v11
	v_or_b32_e32 v12, v12, v6
	v_xor_b32_e32 v8, v7, v5
	v_xor_b32_e32 v66, v12, v9
	v_or_b32_e32 v12, 64, v7
	v_or_b32_e32 v7, 0x60, v7
	v_xor_b32_e32 v12, v12, v5
	v_xor_b32_e32 v5, v7, v5
	v_or_b32_e32 v5, v5, v6
	v_or_b32_e32 v12, v12, v6
	v_xor_b32_e32 v68, v5, v9
	v_lshlrev_b32_e32 v5, 1, v1
	v_xor_b32_e32 v67, v12, v9
	v_lshlrev_b32_e32 v12, 1, v4
	v_add_lshl_u32 v13, v4, s19, 1
	v_lshrrev_b32_e32 v4, 4, v0
	s_lshl_b64 s[24:25], s[36:37], 8
	v_or_b32_e32 v15, 1, v5
	s_add_u32 s24, s12, s24
	v_xor_b32_e32 v5, v4, v5
	v_xor_b32_e32 v15, v15, v4
	s_addc_u32 s25, s13, s25
	v_lshlrev_b32_e32 v5, 3, v5
	v_lshlrev_b32_e32 v34, 8, v4
	;; [unrolled: 1-line block ×3, first 2 shown]
	v_or3_b32 v70, v5, v34, s26
	v_or3_b32 v71, v4, v34, s26
	v_lshl_add_u64 v[4:5], s[24:25], 0, v[34:35]
	v_lshlrev_b32_e32 v34, 4, v1
	s_movk_i32 s24, 0xff
	v_lshlrev_b32_e32 v17, 3, v44
	v_and_b32_e32 v11, 24, v11
	v_lshl_add_u64 v[36:37], v[4:5], 0, v[34:35]
	v_and_b32_e32 v5, 8, v0
	v_cmp_lt_u32_e32 vcc, s24, v0
	v_xor_b32_e32 v18, v17, v11
	v_or_b32_e32 v19, 0x440, v18
	v_cndmask_b32_e64 v16, 0, 1, vcc
	v_cmp_eq_u32_e32 vcc, 0, v5
	v_and_b32_e32 v4, 7, v0
	v_lshlrev_b32_e32 v15, 3, v4
	v_cndmask_b32_e32 v5, v19, v18, vcc
	v_lshlrev_b32_e32 v4, 7, v4
	v_or_b32_e32 v5, v5, v10
	v_xad_u32 v72, v5, v15, v4
	v_or_b32_e32 v5, 32, v11
	v_xor_b32_e32 v5, v17, v5
	v_or_b32_e32 v18, 0x440, v5
	v_cndmask_b32_e32 v5, v18, v5, vcc
	v_or_b32_e32 v5, v5, v10
	v_xad_u32 v73, v5, v15, v4
	v_or_b32_e32 v5, 64, v11
	v_xor_b32_e32 v5, v17, v5
	v_xor_b32_e32 v18, 0x440, v5
	v_cndmask_b32_e32 v5, v18, v5, vcc
	v_or_b32_e32 v5, v5, v10
	v_xad_u32 v74, v5, v15, v4
	v_or_b32_e32 v5, 0x60, v11
	v_xor_b32_e32 v5, v17, v5
	v_or_b32_e32 v8, v8, v6
	v_or_b32_e32 v6, s36, v1
	v_xor_b32_e32 v11, 0x440, v5
	v_xor_b32_e32 v64, v8, v9
	v_and_b32_e32 v8, 0x78, v46
	v_ashrrev_i32_e32 v7, 31, v6
	v_cndmask_b32_e32 v5, v11, v5, vcc
	v_lshl_or_b32 v8, v45, 7, v8
	v_lshlrev_b64 v[6:7], 1, v[6:7]
	v_or_b32_e32 v5, v5, v10
	v_or_b32_e32 v65, 0x9000, v8
	v_or_b32_e32 v69, 0x9800, v8
	v_lshl_add_u64 v[8:9], s[8:9], 0, v[6:7]
	v_lshl_add_u64 v[6:7], s[14:15], 0, v[6:7]
	v_or_b32_e32 v14, 0x100, v3
	v_lshlrev_b32_e32 v16, 13, v16
	v_xad_u32 v75, v5, v15, v4
	v_lshlrev_b32_e32 v34, 8, v48
	v_cndmask_b32_e64 v76, v12, v3, s[0:1]
	v_cndmask_b32_e64 v77, v13, v14, s[0:1]
	v_lshl_add_u64 v[38:39], v[8:9], 0, v[34:35]
	v_lshl_add_u64 v[40:41], v[6:7], 0, v[34:35]
	s_mov_b32 s37, 0x7060302
	s_movk_i32 s26, 0x4000
	v_add_u32_e32 v80, v16, v72
	v_add_u32_e32 v81, v16, v73
	;; [unrolled: 1-line block ×4, first 2 shown]
	v_mov_b32_e32 v34, v35
	s_waitcnt lgkmcnt(0)
	s_barrier
.LBB751_6:                              ; =>This Inner Loop Header: Depth=1
	s_add_i32 s39, s62, 1
	s_cmp_lt_i32 s39, s48
	s_mov_b64 s[28:29], 0
	s_cselect_b64 s[42:43], -1, 0
	s_cmp_ge_i32 s39, s48
	s_mov_b64 s[24:25], 0
	s_cbranch_scc1 .LBB751_8
; %bb.7:                                ;   in Loop: Header=BB751_6 Depth=1
	s_add_i32 s0, s57, 64
	s_add_u32 s0, s2, s0
	s_addc_u32 s1, s3, 0
	s_lshl_b64 s[0:1], s[0:1], 8
	s_add_u32 s24, s6, s0
	s_addc_u32 s25, s7, s1
.LBB751_8:                              ;   in Loop: Header=BB751_6 Depth=1
	v_cndmask_b32_e64 v2, 0, 1, s[42:43]
	v_cmp_ne_u32_e64 s[0:1], 1, v2
	s_andn2_b64 vcc, exec, s[42:43]
	s_cbranch_vccnz .LBB751_10
; %bb.9:                                ;   in Loop: Header=BB751_6 Depth=1
	s_add_i32 s28, s57, 64
	s_add_u32 s28, s60, s28
	s_addc_u32 s29, s61, 0
	s_mul_i32 s31, s28, s49
	s_mul_hi_u32 s42, s28, s53
	s_add_i32 s31, s42, s31
	s_mul_i32 s29, s29, s53
	s_add_i32 s31, s31, s29
	s_mul_i32 s28, s28, s53
	s_add_u32 s28, s28, s52
	s_addc_u32 s29, s31, s55
	s_lshl_b64 s[28:29], s[28:29], 8
	s_add_u32 s28, s4, s28
	s_addc_u32 s29, s5, s29
.LBB751_10:                             ;   in Loop: Header=BB751_6 Depth=1
	v_perm_b32 v3, v85, v63, s37
	v_perm_b32 v2, v62, v35, s37
	;; [unrolled: 1-line block ×4, first 2 shown]
	ds_write_b64 v56, v[2:3]
	ds_write_b64 v57, v[4:5]
	;; [unrolled: 1-line block ×4, first 2 shown]
	s_waitcnt lgkmcnt(0)
	s_barrier
	ds_read_b64 v[10:11], v64 offset:16384
	ds_read_b64 v[12:13], v66 offset:16384
	ds_read2st64_b64 v[2:5], v65 offset1:1
	ds_read2st64_b64 v[6:9], v65 offset0:2 offset1:3
	ds_read_b64 v[14:15], v67 offset:16384
	s_waitcnt lgkmcnt(2)
	v_mfma_f32_16x16x16_bf16 a[0:3], v[10:11], v[2:3], 0
	ds_read_b64 v[2:3], v68 offset:16384
	s_add_i32 s31, s57, 63
	s_mul_i32 s42, s31, s35
	v_mfma_f32_16x16x16_bf16 a[0:3], v[12:13], v[4:5], a[0:3]
	s_mul_hi_u32 s43, s31, s34
	s_add_i32 s43, s43, s42
	s_mul_i32 s42, s31, s34
	s_waitcnt lgkmcnt(1)
	v_mfma_f32_16x16x16_bf16 a[0:3], v[14:15], v[6:7], a[0:3]
	s_lshl_b64 s[42:43], s[42:43], 2
	s_add_u32 s42, s40, s42
	s_addc_u32 s43, s41, s43
	s_waitcnt lgkmcnt(0)
	v_mfma_f32_16x16x16_bf16 a[0:3], v[2:3], v[8:9], a[0:3]
	s_and_b64 vcc, exec, s[0:1]
	v_mov_b32_e32 v88, 0
	v_mov_b32_e32 v87, 0
	;; [unrolled: 1-line block ×19, first 2 shown]
	s_cbranch_vccnz .LBB751_12
; %bb.11:                               ;   in Loop: Header=BB751_6 Depth=1
	s_and_b32 s25, s25, 0xffff
	buffer_load_dwordx4 v[14:17], v52, s[24:27], 0 offen
	buffer_load_dwordx4 v[10:13], v52, s[24:27], s56 offen
	;; [unrolled: 1-line block ×4, first 2 shown]
	v_mov_b32_e32 v87, v54
	v_mov_b32_e32 v86, v55
.LBB751_12:                             ;   in Loop: Header=BB751_6 Depth=1
	s_waitcnt vmcnt(3)
	v_add_u32_e32 v24, s57, v78
	s_waitcnt vmcnt(1)
	v_ashrrev_i32_e32 v18, 31, v24
	v_mul_lo_u32 v20, v18, s34
	v_mul_lo_u32 v21, v24, s35
	v_mad_u64_u32 v[18:19], s[24:25], v24, s34, 0
	v_add3_u32 v19, v19, v21, v20
	v_add_u32_e32 v20, 1, v24
	v_ashrrev_i32_e32 v21, 31, v20
	v_mul_lo_u32 v22, v21, s34
	v_mul_lo_u32 v23, v20, s35
	v_mad_u64_u32 v[20:21], s[24:25], v20, s34, 0
	v_add3_u32 v21, v21, v23, v22
	v_add_u32_e32 v22, 2, v24
	v_ashrrev_i32_e32 v23, 31, v22
	v_mul_lo_u32 v25, v23, s34
	v_mul_lo_u32 v26, v22, s35
	v_mad_u64_u32 v[22:23], s[24:25], v22, s34, 0
	s_add_u32 s24, s2, s57
	v_add3_u32 v23, v23, v26, v25
	v_add_u32_e32 v26, 3, v24
	s_addc_u32 s25, s3, 0
	v_ashrrev_i32_e32 v24, 31, v26
	s_lshl_b64 s[64:65], s[24:25], 8
	v_lshl_add_u64 v[18:19], v[18:19], 2, s[40:41]
	v_mul_lo_u32 v27, v24, s34
	v_lshl_add_u64 v[24:25], v[38:39], 0, s[64:65]
	v_mul_lo_u32 v28, v26, s35
	global_load_ushort v90, v[24:25], off
	global_load_ushort v91, v[24:25], off offset:256
	global_load_ushort v92, v[24:25], off offset:512
	;; [unrolled: 1-line block ×3, first 2 shown]
	global_load_dword v94, v[18:19], off
	v_mad_u64_u32 v[18:19], s[24:25], v26, s34, 0
	v_lshl_add_u64 v[20:21], v[20:21], 2, s[40:41]
	v_add3_u32 v19, v19, v28, v27
	v_lshl_add_u64 v[22:23], v[22:23], 2, s[40:41]
	v_lshl_add_u64 v[18:19], v[18:19], 2, s[40:41]
	global_load_dword v95, v[20:21], off
	global_load_dword v96, v[22:23], off
	;; [unrolled: 1-line block ×3, first 2 shown]
	ds_read_b64 v[18:19], v64 offset:24576
	s_load_dword s24, s[42:43], 0x0
	ds_read_b64 v[28:29], v66 offset:24576
	ds_read2st64_b64 v[20:23], v69 offset1:1
	ds_read2st64_b64 v[24:27], v69 offset0:2 offset1:3
	ds_read_b64 v[30:31], v67 offset:24576
	ds_read_b64 v[32:33], v68 offset:24576
	s_waitcnt lgkmcnt(0)
	v_mfma_f32_16x16x16_bf16 a[0:3], v[18:19], v[20:21], a[0:3]
	v_mov_b32_e32 v89, 0
	v_mov_b32_e32 v18, 0
	;; [unrolled: 1-line block ×3, first 2 shown]
	v_mfma_f32_16x16x16_bf16 a[0:3], v[28:29], v[22:23], a[0:3]
	v_lshl_add_u64 v[28:29], v[40:41], 0, s[64:65]
	v_mov_b32_e32 v20, 0
	v_mov_b32_e32 v21, 0
	v_mfma_f32_16x16x16_bf16 a[0:3], v[30:31], v[24:25], a[0:3]
	v_mov_b32_e32 v22, 0
	v_mov_b32_e32 v23, 0
	;; [unrolled: 1-line block ×3, first 2 shown]
	v_mfma_f32_16x16x16_bf16 a[0:3], v[32:33], v[26:27], a[0:3]
	s_and_b64 vcc, exec, s[0:1]
	s_waitcnt vmcnt(7)
	v_lshlrev_b32_e32 v32, 16, v90
	s_nop 3
	v_accvgpr_read_b32 v31, a1
	v_accvgpr_read_b32 v27, a3
	;; [unrolled: 1-line block ×4, first 2 shown]
	s_waitcnt vmcnt(6)
	v_lshlrev_b32_e32 v33, 16, v91
	s_waitcnt vmcnt(4)
	v_lshlrev_b32_e32 v91, 16, v93
	v_lshlrev_b32_e32 v90, 16, v92
	s_waitcnt vmcnt(3)
	v_sub_f32_e32 v25, s24, v94
	v_pk_add_f32 v[30:31], v[32:33], v[30:31] neg_lo:[0,1] neg_hi:[0,1]
	v_pk_add_f32 v[26:27], v[90:91], v[26:27] neg_lo:[0,1] neg_hi:[0,1]
	v_mul_f32_e32 v25, 0x3fb8aa3b, v25
	s_waitcnt vmcnt(2)
	v_sub_f32_e32 v33, s24, v95
	s_waitcnt vmcnt(1)
	v_sub_f32_e32 v90, s24, v96
	;; [unrolled: 2-line block ×3, first 2 shown]
	v_exp_f32_e32 v32, v25
	v_mul_f32_e32 v25, 0x3fb8aa3b, v33
	v_mul_f32_e32 v90, 0x3fb8aa3b, v90
	;; [unrolled: 1-line block ×3, first 2 shown]
	v_exp_f32_e32 v33, v25
	v_exp_f32_e32 v90, v90
	;; [unrolled: 1-line block ×3, first 2 shown]
	global_store_short_d16_hi v[28:29], v30, off
	global_store_short_d16_hi v[28:29], v31, off offset:256
	global_store_short_d16_hi v[28:29], v26, off offset:512
	global_store_short_d16_hi v[28:29], v27, off offset:768
	v_pk_mul_f32 v[28:29], v[32:33], v[30:31]
	v_pk_mul_f32 v[26:27], v[90:91], v[26:27]
	v_mov_b32_e32 v25, 0
	v_perm_b32 v27, v27, v26, s37
	v_perm_b32 v26, v29, v28, s37
	ds_write_b64 v57, v[26:27]
	v_mov_b32_e32 v26, 0
	v_mov_b32_e32 v27, 0
	;; [unrolled: 1-line block ×8, first 2 shown]
	s_cbranch_vccnz .LBB751_14
; %bb.13:                               ;   in Loop: Header=BB751_6 Depth=1
	s_and_b32 s29, s29, 0xffff
	s_mov_b32 s31, s27
	buffer_load_dwordx4 v[30:33], v76, s[28:31], 0 offen
	buffer_load_dwordx4 v[22:25], v76, s[28:31], s56 offen
	;; [unrolled: 1-line block ×4, first 2 shown]
	v_mov_b32_e32 v88, v51
	v_mov_b32_e32 v89, v50
.LBB751_14:                             ;   in Loop: Header=BB751_6 Depth=1
	s_waitcnt lgkmcnt(0)
	s_barrier
	ds_read_b64 v[98:99], v80
	ds_read2st64_b64 v[90:93], v69 offset1:1
	ds_read2st64_b64 v[94:97], v69 offset0:2 offset1:3
	ds_read_b64 v[100:101], v81
	ds_read_b64 v[102:103], v82
	;; [unrolled: 1-line block ×3, first 2 shown]
	s_waitcnt lgkmcnt(4)
	v_mfma_f32_16x16x16_bf16 a[0:3], v[98:99], v[90:91], 0
	ds_read_b64 v[98:99], v72 offset:8192
	ds_read_b64 v[106:107], v73 offset:8192
	s_add_i32 s25, s50, s62
	s_mul_hi_i32 s29, s25, s17
	s_waitcnt lgkmcnt(1)
	v_mfma_f32_16x16x16_bf16 a[4:7], v[98:99], v[90:91], 0
	s_mul_i32 s25, s25, s17
	s_add_u32 s28, s25, s33
	s_addc_u32 s29, s29, s54
	v_mfma_f32_16x16x16_bf16 a[0:3], v[100:101], v[92:93], a[0:3]
	ds_read_b64 v[98:99], v70
	ds_read_b64 v[100:101], v71
	ds_read_b64 v[90:91], v74 offset:8192
	s_lshl_b64 s[28:29], s[28:29], 15
	v_mfma_f32_16x16x16_bf16 a[0:3], v[102:103], v[94:95], a[0:3]
	ds_read_b64 v[102:103], v75 offset:8192
	s_and_b64 vcc, exec, s[0:1]
	s_waitcnt lgkmcnt(4)
	v_mfma_f32_16x16x16_bf16 a[4:7], v[106:107], v[92:93], a[4:7]
	s_waitcnt lgkmcnt(1)
	v_mfma_f32_16x16x16_bf16 a[4:7], v[90:91], v[94:95], a[4:7]
	v_lshl_add_u64 v[90:91], v[36:37], 0, s[28:29]
	global_store_dwordx4 v[90:91], v[98:101], off
	v_mfma_f32_16x16x16_bf16 a[0:3], v[104:105], v[96:97], a[0:3]
	s_waitcnt lgkmcnt(0)
	v_mfma_f32_16x16x16_bf16 a[4:7], v[102:103], v[96:97], a[4:7]
	s_cbranch_vccnz .LBB751_16
; %bb.15:                               ;   in Loop: Header=BB751_6 Depth=1
	v_lshrrev_b32_e32 v90, 3, v88
	v_and_b32_e32 v90, 6, v90
	v_xor_b32_e32 v89, v90, v89
	v_lshlrev_b32_e32 v89, 2, v89
	v_and_b32_e32 v88, 8, v88
	v_xor_b32_e32 v91, 0x440, v89
	v_cmp_eq_u32_e32 vcc, 0, v88
	s_barrier
	s_nop 0
	v_cndmask_b32_e32 v88, v91, v89, vcc
	v_lshl_or_b32 v88, v90, 10, v88
	s_waitcnt vmcnt(2)
	v_perm_b32 v89, v30, v26, s58
	s_waitcnt vmcnt(1)
	v_perm_b32 v90, v22, v18, s58
	ds_write2st64_b32 v88, v89, v90 offset1:32
	v_xor_b32_e32 v89, 8, v88
	v_perm_b32 v26, v30, v26, s59
	v_perm_b32 v18, v22, v18, s59
	v_add_u32_e32 v22, 0x80, v89
	ds_write2st64_b32 v22, v26, v18 offset1:32
	v_xor_b32_e32 v18, 16, v88
	v_perm_b32 v22, v31, v27, s58
	v_perm_b32 v26, v23, v19, s58
	ds_write2st64_b32 v18, v22, v26 offset0:1 offset1:33
	v_xor_b32_e32 v18, 24, v88
	v_perm_b32 v22, v31, v27, s59
	v_perm_b32 v19, v23, v19, s59
	v_add_u32_e32 v18, 0x80, v18
	ds_write2st64_b32 v18, v22, v19 offset0:1 offset1:33
	v_xor_b32_e32 v18, 32, v88
	v_perm_b32 v19, v32, v28, s58
	v_perm_b32 v22, v24, v20, s58
	ds_write2st64_b32 v18, v19, v22 offset0:2 offset1:34
	v_xor_b32_e32 v18, 40, v88
	v_perm_b32 v19, v32, v28, s59
	v_perm_b32 v20, v24, v20, s59
	v_add_u32_e32 v18, 0x80, v18
	ds_write2st64_b32 v18, v19, v20 offset0:2 offset1:34
	;; [unrolled: 9-line block ×3, first 2 shown]
	ds_write_b64 v87, v[14:15] offset:16384
	v_xor_b32_e32 v14, 8, v87
	ds_write_b64 v14, v[16:17] offset:16384
	ds_write_b64 v87, v[10:11] offset:24576
	;; [unrolled: 1-line block ×4, first 2 shown]
	v_xor_b32_e32 v6, 8, v86
	ds_write_b64 v6, v[8:9] offset:16384
	ds_write_b64 v86, v[2:3] offset:24576
	;; [unrolled: 1-line block ×3, first 2 shown]
.LBB751_16:                             ;   in Loop: Header=BB751_6 Depth=1
	v_mul_f32_e32 v2, s24, v79
	v_exp_f32_e32 v2, v2
	s_nop 1
	v_accvgpr_read_b32 v3, a0
	v_accvgpr_read_b32 v4, a1
	s_add_i32 s57, s57, 64
	v_fma_f32 v35, v35, v2, v3
	v_accvgpr_read_b32 v3, a2
	v_fma_f32 v63, v63, v2, v3
	v_accvgpr_read_b32 v3, a4
	;; [unrolled: 2-line block ×6, first 2 shown]
	v_fmac_f32_e32 v4, v85, v2
	s_cmp_eq_u32 s48, s39
	v_fmac_f32_e32 v3, v84, v2
	s_cbranch_scc1 .LBB751_18
; %bb.17:                               ;   in Loop: Header=BB751_6 Depth=1
	s_mov_b32 s62, s39
	v_mov_b32_e32 v85, v4
	v_mov_b32_e32 v84, v3
	s_branch .LBB751_6
.LBB751_18:
	s_lshl_b32 s42, s48, 6
	s_sub_i32 s43, s16, s42
	s_cmp_gt_i32 s43, 0
	s_cbranch_scc0 .LBB751_75
; %bb.19:
	s_ashr_i32 s39, s47, 31
	s_ashr_i32 s2, s42, 31
	s_cmpk_lg_i32 s19, 0x80
	s_cselect_b64 s[30:31], -1, 0
	s_and_b64 vcc, exec, s[30:31]
	s_cbranch_vccz .LBB751_21
; %bb.20:
	s_mul_i32 s1, s47, s16
	s_mul_hi_i32 s0, s47, s16
	s_add_u32 s1, s1, s42
	s_addc_u32 s0, s0, s2
	s_mul_i32 s3, s1, s49
	s_mul_hi_u32 s24, s1, s18
	s_add_i32 s3, s24, s3
	s_mul_i32 s0, s0, s18
	s_add_i32 s3, s3, s0
	s_mul_i32 s1, s1, s18
	s_ashr_i32 s0, s52, 31
	s_add_u32 s40, s1, s52
	s_addc_u32 s41, s3, s0
	s_cbranch_execz .LBB751_22
	s_branch .LBB751_23
.LBB751_21:
                                        ; implicit-def: $sgpr40_sgpr41
.LBB751_22:
	s_mul_hi_i32 s0, s47, s18
	s_mul_i32 s47, s47, s18
	s_ashr_i32 s1, s52, 31
	s_add_u32 s3, s47, s52
	s_addc_u32 s0, s0, s1
	s_mul_i32 s1, s3, s46
	s_mul_hi_u32 s18, s3, s16
	s_add_i32 s1, s18, s1
	s_mul_i32 s0, s0, s16
	s_add_i32 s1, s1, s0
	s_mul_i32 s3, s3, s16
	s_add_u32 s40, s3, s42
	s_addc_u32 s41, s1, s2
.LBB751_23:
	s_add_i32 s3, s50, s48
	s_ashr_i32 s18, s33, 31
	s_add_u32 s0, s45, s33
	s_addc_u32 s1, s51, s18
	s_mul_i32 s24, s0, s46
	s_mul_hi_u32 s25, s0, s16
	s_add_i32 s24, s25, s24
	s_mul_i32 s1, s1, s16
	s_add_i32 s24, s24, s1
	s_mul_i32 s0, s0, s16
	s_add_u32 s0, s0, s42
	s_addc_u32 s1, s24, s2
	s_mov_b32 s2, 0x7060302
	v_lshlrev_b32_e32 v6, 3, v1
	v_perm_b32 v5, v4, v63, s2
	v_perm_b32 v4, v62, v35, s2
	;; [unrolled: 1-line block ×4, first 2 shown]
	v_lshlrev_b32_e32 v34, 2, v1
	v_lshl_or_b32 v6, v48, 5, v6
	s_lshl_b64 s[28:29], s[0:1], 8
	ds_write2st64_b64 v6, v[4:5], v[2:3] offset0:72 offset1:76
	v_xor_b32_e32 v6, v48, v34
	v_lshlrev_b32_e32 v7, 8, v1
	s_add_u32 s0, s6, s28
	v_lshl_or_b32 v6, v6, 1, v7
	s_addc_u32 s1, s7, s29
	ds_write_b64 v6, v[4:5] offset:32768
	v_xor_b32_e32 v4, v49, v34
	s_mul_hi_i32 s6, s3, s17
	s_mul_i32 s3, s3, s17
	v_lshl_or_b32 v4, v4, 1, v7
	s_add_u32 s2, s3, s33
	ds_write_b64 v4, v[2:3] offset:32768
	s_addc_u32 s3, s6, s18
	v_lshlrev_b32_e32 v3, 1, v1
	v_lshrrev_b32_e32 v2, 4, v0
	s_ashr_i32 s37, s36, 31
	s_lshl_b64 s[2:3], s[2:3], 15
	v_or_b32_e32 v4, 1, v3
	s_add_u32 s6, s12, s2
	v_xor_b32_e32 v3, v2, v3
	v_xor_b32_e32 v4, v4, v2
	v_lshlrev_b32_e32 v6, 8, v2
	s_addc_u32 s7, s13, s3
	s_lshl_b64 s[2:3], s[36:37], 8
	v_lshl_or_b32 v2, v3, 3, v6
	v_lshl_or_b32 v4, v4, 3, v6
	s_waitcnt lgkmcnt(0)
	s_barrier
	s_add_u32 s2, s6, s2
	ds_read_b64 v[2:3], v2 offset:32768
	ds_read_b64 v[4:5], v4 offset:32768
	s_addc_u32 s3, s7, s3
	v_mov_b32_e32 v7, 0
	s_cmp_lg_u32 s43, 64
	v_lshl_add_u64 v[8:9], s[2:3], 0, v[6:7]
	v_lshlrev_b32_e32 v6, 4, v1
	s_cselect_b64 s[6:7], -1, 0
	v_lshl_or_b32 v35, v44, 3, v47
	s_mov_b32 s24, 0
	v_lshl_add_u64 v[6:7], v[8:9], 0, v[6:7]
	s_waitcnt vmcnt(1)
	v_or_b32_e32 v19, 32, v35
	v_and_b32_e32 v18, 56, v46
	s_and_b64 vcc, exec, s[6:7]
	s_waitcnt lgkmcnt(0)
	global_store_dwordx4 v[6:7], v[2:5], off
	s_cbranch_vccz .LBB751_29
; %bb.24:
	s_mov_b32 s25, s24
	s_mov_b32 s26, s24
	;; [unrolled: 1-line block ×3, first 2 shown]
	v_mov_b64_e32 v[6:7], s[24:25]
	v_mov_b64_e32 v[8:9], s[26:27]
	;; [unrolled: 1-line block ×3, first 2 shown]
	v_cmp_gt_i32_e32 vcc, s43, v35
	v_mov_b64_e32 v[4:5], v[8:9]
	s_and_saveexec_b64 s[2:3], vcc
	s_cbranch_execz .LBB751_26
; %bb.25:
	v_lshlrev_b32_e32 v2, 8, v35
	v_mov_b32_e32 v3, 0
	v_lshl_add_u64 v[4:5], s[0:1], 0, v[2:3]
	v_lshlrev_b32_e32 v2, 1, v18
	v_lshl_add_u64 v[10:11], v[4:5], 0, v[2:3]
	global_load_dwordx4 v[6:9], v[10:11], off
	global_load_dwordx4 v[2:5], v[10:11], off offset:128
.LBB751_26:
	s_or_b64 exec, exec, s[2:3]
	s_mov_b32 s25, s24
	s_mov_b32 s26, s24
	;; [unrolled: 1-line block ×3, first 2 shown]
	v_mov_b64_e32 v[14:15], s[24:25]
	v_mov_b64_e32 v[16:17], s[26:27]
	;; [unrolled: 1-line block ×3, first 2 shown]
	v_cmp_gt_i32_e32 vcc, s43, v19
	v_lshlrev_b32_e32 v20, 7, v19
	v_mov_b64_e32 v[12:13], v[16:17]
	s_and_saveexec_b64 s[2:3], vcc
	s_cbranch_execz .LBB751_28
; %bb.27:
	v_lshlrev_b32_e32 v10, 1, v20
	v_mov_b32_e32 v11, 0
	v_lshl_add_u64 v[12:13], s[0:1], 0, v[10:11]
	v_lshlrev_b32_e32 v10, 1, v18
	v_lshl_add_u64 v[22:23], v[12:13], 0, v[10:11]
	global_load_dwordx4 v[14:17], v[22:23], off
	global_load_dwordx4 v[10:13], v[22:23], off offset:128
.LBB751_28:
	s_or_b64 exec, exec, s[2:3]
	v_lshrrev_b32_e32 v21, 3, v18
	v_lshlrev_b32_e32 v22, 3, v35
	v_or_b32_e32 v21, v22, v21
	v_lshlrev_b32_e32 v21, 4, v21
	v_and_b32_e32 v22, 0x78, v22
	v_xor_b32_e32 v21, v21, v22
	s_branch .LBB751_31
.LBB751_29:
                                        ; implicit-def: $vgpr21
                                        ; implicit-def: $vgpr20
                                        ; implicit-def: $vgpr6_vgpr7_vgpr8_vgpr9
                                        ; implicit-def: $vgpr2_vgpr3_vgpr4_vgpr5
                                        ; implicit-def: $vgpr14_vgpr15_vgpr16_vgpr17
                                        ; implicit-def: $vgpr10_vgpr11_vgpr12_vgpr13
	s_cbranch_execz .LBB751_31
; %bb.30:
	s_waitcnt vmcnt(0)
	v_lshlrev_b32_e32 v2, 1, v18
	v_lshl_or_b32 v20, v35, 8, v2
	s_and_b32 s1, s1, 0xffff
	s_mov_b32 s3, 0x20000
	s_movk_i32 s2, 0x4000
	v_lshl_or_b32 v21, v19, 8, v2
	s_movk_i32 s12, 0x80
	buffer_load_dwordx4 v[6:9], v20, s[0:3], 0 offen
	buffer_load_dwordx4 v[2:5], v20, s[0:3], s12 offen
	;; [unrolled: 1-line block ×4, first 2 shown]
	v_lshrrev_b32_e32 v20, 3, v18
	v_lshlrev_b32_e32 v21, 3, v35
	v_or_b32_e32 v20, v21, v20
	v_lshlrev_b32_e32 v20, 4, v20
	v_and_b32_e32 v21, 0x78, v21
	v_xor_b32_e32 v21, v20, v21
	v_lshlrev_b32_e32 v20, 7, v19
.LBB751_31:
	s_lshl_b64 s[0:1], s[40:41], 8
	s_add_u32 s4, s4, s0
	s_movk_i32 s0, 0x1000
	v_and_or_b32 v19, v20, s0, v21
	s_waitcnt vmcnt(1)
	ds_write_b64 v21, v[6:7] offset:16384
	v_xor_b32_e32 v6, 8, v21
	ds_write_b64 v6, v[8:9] offset:16384
	s_waitcnt vmcnt(0)
	ds_write_b64 v21, v[2:3] offset:24576
	ds_write_b64 v6, v[4:5] offset:24576
	;; [unrolled: 1-line block ×3, first 2 shown]
	v_xor_b32_e32 v2, 8, v19
	ds_write_b64 v2, v[16:17] offset:16384
	ds_write_b64 v19, v[10:11] offset:24576
	;; [unrolled: 1-line block ×3, first 2 shown]
	v_or_b32_e32 v2, v42, v1
	s_addc_u32 s5, s5, s1
	s_add_i32 s2, s16, -1
	v_lshlrev_b32_e32 v2, 3, v2
	v_lshrrev_b32_e32 v4, 5, v43
	s_movk_i32 s16, 0xf8
	v_and_or_b32 v4, v2, s16, v4
	v_lshlrev_b32_e32 v3, 11, v44
	v_lshlrev_b32_e32 v12, 4, v4
	v_and_b32_e32 v13, 0x78, v2
	v_and_b32_e32 v14, 0x1000, v3
	v_lshlrev_b32_e32 v3, 2, v0
	v_xor_b32_e32 v2, v12, v13
	v_lshrrev_b32_e32 v4, 1, v43
	v_and_b32_e32 v3, 60, v3
	v_or_b32_e32 v2, v2, v14
	v_and_b32_e32 v15, 8, v4
	v_xor_b32_e32 v26, v2, v15
	v_lshl_or_b32 v2, v45, 6, v3
	v_lshlrev_b32_e32 v19, 1, v2
	v_or_b32_e32 v2, 32, v12
	v_xor_b32_e32 v2, v2, v13
	s_waitcnt lgkmcnt(0)
	s_barrier
	ds_read_b64 v[10:11], v26 offset:16384
	v_or_b32_e32 v2, v2, v14
	v_xor_b32_e32 v27, v2, v15
	v_or_b32_e32 v2, 64, v12
	v_xor_b32_e32 v2, v2, v13
	v_or_b32_e32 v2, v2, v14
	v_or_b32_e32 v12, 0x60, v12
	v_xor_b32_e32 v28, v2, v15
	ds_read2st64_b64 v[2:5], v19 offset0:72 offset1:73
	ds_read2st64_b64 v[6:9], v19 offset0:74 offset1:75
	v_xor_b32_e32 v16, v12, v13
	ds_read_b64 v[12:13], v27 offset:16384
	s_waitcnt lgkmcnt(2)
	v_mfma_f32_16x16x16_bf16 a[0:3], v[10:11], v[2:3], 0
	s_add_i32 s0, s44, s21
	s_mul_i32 s39, s39, s20
	s_add_i32 s39, s0, s39
	s_mul_i32 s0, s33, s23
	s_mul_hi_u32 s1, s33, s22
	s_ashr_i32 s3, s2, 31
	s_mul_i32 s12, s2, s35
	s_mul_hi_u32 s13, s2, s34
	s_add_i32 s0, s1, s0
	s_mul_i32 s1, s18, s22
	s_add_i32 s12, s13, s12
	s_mul_i32 s3, s3, s34
	v_or_b32_e32 v14, v16, v14
	s_add_i32 s1, s0, s1
	s_add_i32 s3, s12, s3
	s_lshl_b64 s[12:13], s[38:39], 2
	v_xor_b32_e32 v36, v14, v15
	ds_read_b64 v[14:15], v28 offset:16384
	ds_read_b64 v[16:17], v36 offset:16384
	s_waitcnt lgkmcnt(2)
	v_mfma_f32_16x16x16_bf16 a[0:3], v[12:13], v[4:5], a[0:3]
	s_mul_i32 s0, s33, s22
	s_add_u32 s10, s10, s12
	s_addc_u32 s11, s11, s13
	s_lshl_b64 s[0:1], s[0:1], 2
	s_mul_i32 s2, s2, s34
	s_add_u32 s10, s10, s0
	s_addc_u32 s11, s11, s1
	s_lshl_b64 s[0:1], s[2:3], 2
	s_waitcnt lgkmcnt(1)
	v_mfma_f32_16x16x16_bf16 a[0:3], v[14:15], v[6:7], a[0:3]
	s_add_u32 s0, s10, s0
	s_addc_u32 s1, s11, s1
	s_load_dword s12, s[0:1], 0x0
	s_waitcnt lgkmcnt(0)
	v_mfma_f32_16x16x16_bf16 a[0:3], v[16:17], v[8:9], a[0:3]
	s_and_b64 vcc, exec, s[30:31]
	s_cbranch_vccz .LBB751_42
; %bb.32:
	v_lshlrev_b32_e32 v20, 1, v35
	s_and_b64 vcc, exec, s[6:7]
	s_cbranch_vccz .LBB751_43
; %bb.33:
	v_cmp_gt_i32_e32 vcc, s43, v20
	v_mov_b32_e32 v6, 0
	v_mov_b32_e32 v2, 0
	;; [unrolled: 1-line block ×5, first 2 shown]
	s_and_saveexec_b64 s[0:1], vcc
	s_cbranch_execz .LBB751_35
; %bb.34:
	v_mad_i64_i32 v[2:3], s[2:3], s19, v20, 0
	v_lshl_add_u64 v[2:3], v[2:3], 1, s[4:5]
	v_lshlrev_b32_e32 v4, 1, v18
	v_mov_b32_e32 v5, 0
	v_lshl_add_u64 v[2:3], v[2:3], 0, v[4:5]
	global_load_dwordx4 v[2:5], v[2:3], off
.LBB751_35:
	s_or_b64 exec, exec, s[0:1]
	v_or_b32_e32 v21, 1, v20
	v_cmp_gt_i32_e64 s[0:1], s43, v21
	v_mov_b32_e32 v7, 0
	v_mov_b32_e32 v8, 0
	;; [unrolled: 1-line block ×3, first 2 shown]
	s_and_saveexec_b64 s[2:3], s[0:1]
	s_cbranch_execz .LBB751_37
; %bb.36:
	v_mad_i64_i32 v[6:7], s[16:17], s19, v21, 0
	v_lshl_add_u64 v[6:7], v[6:7], 1, s[4:5]
	v_lshlrev_b32_e32 v8, 1, v18
	v_mov_b32_e32 v9, 0
	v_lshl_add_u64 v[6:7], v[6:7], 0, v[8:9]
	global_load_dwordx4 v[6:9], v[6:7], off
.LBB751_37:
	s_or_b64 exec, exec, s[2:3]
	v_mov_b32_e32 v17, 0
	v_mov_b32_e32 v10, 0
	;; [unrolled: 1-line block ×5, first 2 shown]
	s_and_saveexec_b64 s[2:3], vcc
	s_cbranch_execz .LBB751_39
; %bb.38:
	v_mad_i64_i32 v[10:11], s[16:17], s19, v20, 0
	v_lshl_add_u64 v[10:11], v[10:11], 1, s[4:5]
	v_lshlrev_b32_e32 v12, 1, v18
	v_mov_b32_e32 v13, 0
	v_lshl_add_u64 v[10:11], v[10:11], 0, v[12:13]
	global_load_dwordx4 v[10:13], v[10:11], off offset:128
.LBB751_39:
	s_or_b64 exec, exec, s[2:3]
	v_mov_b32_e32 v16, 0
	v_mov_b32_e32 v15, 0
	;; [unrolled: 1-line block ×3, first 2 shown]
	s_and_saveexec_b64 s[2:3], s[0:1]
	s_cbranch_execz .LBB751_41
; %bb.40:
	v_mad_i64_i32 v[14:15], s[0:1], s19, v21, 0
	v_lshl_add_u64 v[14:15], v[14:15], 1, s[4:5]
	v_lshlrev_b32_e32 v16, 1, v18
	v_mov_b32_e32 v17, 0
	v_lshl_add_u64 v[14:15], v[14:15], 0, v[16:17]
	global_load_dwordx4 v[14:17], v[14:15], off offset:128
.LBB751_41:
	s_or_b64 exec, exec, s[2:3]
	s_branch .LBB751_45
.LBB751_42:
                                        ; implicit-def: $vgpr5
                                        ; implicit-def: $vgpr9
                                        ; implicit-def: $vgpr13
                                        ; implicit-def: $vgpr17
	v_lshrrev_b32_e32 v37, 2, v43
	s_branch .LBB751_46
.LBB751_43:
                                        ; implicit-def: $vgpr5
                                        ; implicit-def: $vgpr9
                                        ; implicit-def: $vgpr13
                                        ; implicit-def: $vgpr17
	s_cbranch_execz .LBB751_45
; %bb.44:
	s_waitcnt vmcnt(0)
	v_mad_u64_u32 v[2:3], s[0:1], v20, s19, v[18:19]
	v_lshlrev_b32_e32 v20, 1, v2
	s_lshl_b32 s2, s19, 7
	s_and_b32 s1, s5, 0xffff
	s_mov_b32 s3, 0x20000
	s_mov_b32 s0, s4
	v_add_lshl_u32 v21, v2, s19, 1
	s_movk_i32 s13, 0x80
	buffer_load_dwordx4 v[2:5], v20, s[0:3], 0 offen
	buffer_load_dwordx4 v[10:13], v20, s[0:3], s13 offen
	;; [unrolled: 1-line block ×4, first 2 shown]
.LBB751_45:
	v_lshrrev_b32_e32 v37, 2, v43
	s_cbranch_execnz .LBB751_58
.LBB751_46:
	s_and_b64 vcc, exec, s[6:7]
	s_cbranch_vccz .LBB751_56
; %bb.47:
	s_waitcnt vmcnt(0)
	v_lshlrev_b32_e32 v7, 1, v35
	v_cmp_gt_i32_e32 vcc, s43, v7
	v_mov_b32_e32 v6, 0
	v_lshlrev_b32_e32 v14, 9, v35
	v_mov_b32_e32 v2, 0
	v_mov_b32_e32 v3, 0
	;; [unrolled: 1-line block ×4, first 2 shown]
	s_and_saveexec_b64 s[0:1], vcc
	s_cbranch_execz .LBB751_49
; %bb.48:
	v_mov_b32_e32 v15, 0
	v_lshl_add_u64 v[2:3], s[4:5], 0, v[14:15]
	v_lshlrev_b32_e32 v4, 1, v18
	v_mov_b32_e32 v5, v15
	v_lshl_add_u64 v[2:3], v[2:3], 0, v[4:5]
	global_load_dwordx4 v[2:5], v[2:3], off
.LBB751_49:
	s_or_b64 exec, exec, s[0:1]
	v_or_b32_e32 v7, 1, v7
	v_cmp_gt_i32_e64 s[0:1], s43, v7
	v_lshlrev_b32_e32 v20, 8, v7
	v_mov_b32_e32 v7, 0
	v_mov_b32_e32 v8, 0
	;; [unrolled: 1-line block ×3, first 2 shown]
	s_and_saveexec_b64 s[2:3], s[0:1]
	s_cbranch_execz .LBB751_51
; %bb.50:
	v_mov_b32_e32 v21, 0
	v_lshl_add_u64 v[6:7], s[4:5], 0, v[20:21]
	v_lshlrev_b32_e32 v8, 1, v18
	v_mov_b32_e32 v9, v21
	v_lshl_add_u64 v[6:7], v[6:7], 0, v[8:9]
	global_load_dwordx4 v[6:9], v[6:7], off
.LBB751_51:
	s_or_b64 exec, exec, s[2:3]
	v_mov_b32_e32 v17, 0
	v_mov_b32_e32 v10, 0
	;; [unrolled: 1-line block ×5, first 2 shown]
	s_and_saveexec_b64 s[2:3], vcc
	s_cbranch_execz .LBB751_53
; %bb.52:
	v_mov_b32_e32 v15, 0
	v_lshl_add_u64 v[10:11], s[4:5], 0, v[14:15]
	v_lshlrev_b32_e32 v14, 1, v18
	v_lshl_add_u64 v[10:11], v[10:11], 0, v[14:15]
	global_load_dwordx4 v[10:13], v[10:11], off offset:128
.LBB751_53:
	s_or_b64 exec, exec, s[2:3]
	v_mov_b32_e32 v16, 0
	v_mov_b32_e32 v15, 0
	;; [unrolled: 1-line block ×3, first 2 shown]
	s_and_saveexec_b64 s[2:3], s[0:1]
	s_cbranch_execz .LBB751_55
; %bb.54:
	v_mov_b32_e32 v21, 0
	v_lshl_add_u64 v[14:15], s[4:5], 0, v[20:21]
	v_lshlrev_b32_e32 v20, 1, v18
	v_lshl_add_u64 v[14:15], v[14:15], 0, v[20:21]
	global_load_dwordx4 v[14:17], v[14:15], off offset:128
.LBB751_55:
	s_or_b64 exec, exec, s[2:3]
	s_branch .LBB751_58
.LBB751_56:
                                        ; implicit-def: $vgpr5
                                        ; implicit-def: $vgpr9
                                        ; implicit-def: $vgpr13
                                        ; implicit-def: $vgpr17
	s_cbranch_execz .LBB751_58
; %bb.57:
	s_waitcnt vmcnt(0)
	v_lshlrev_b32_e32 v2, 1, v18
	v_lshl_or_b32 v18, v35, 9, v2
	s_and_b32 s5, s5, 0xffff
	s_mov_b32 s7, 0x20000
	s_movk_i32 s6, 0x4000
	s_movk_i32 s0, 0x80
	buffer_load_dwordx4 v[2:5], v18, s[4:7], 0 offen
	buffer_load_dwordx4 v[6:9], v18, s[4:7], 0 offen offset:256
	buffer_load_dwordx4 v[10:13], v18, s[4:7], s0 offen
	buffer_load_dwordx4 v[14:17], v18, s[4:7], s0 offen offset:256
.LBB751_58:
	ds_read2st64_b64 v[22:25], v19 offset0:76 offset1:77
	ds_read2st64_b64 v[18:21], v19 offset0:78 offset1:79
	ds_read_b64 v[32:33], v26 offset:24576
	ds_read_b64 v[30:31], v27 offset:24576
	;; [unrolled: 1-line block ×4, first 2 shown]
	v_and_b32_e32 v36, 6, v0
	v_xor_b32_e32 v35, v35, v36
	v_lshlrev_b32_e32 v35, 2, v35
	v_and_b32_e32 v0, 1, v0
	v_xor_b32_e32 v38, 0x440, v35
	v_cmp_eq_u32_e32 vcc, 0, v0
	s_mov_b32 s0, 0x1000504
	s_mov_b32 s1, 0x3020706
	v_cndmask_b32_e32 v0, v38, v35, vcc
	v_lshl_or_b32 v0, v36, 10, v0
	s_waitcnt vmcnt(0)
	v_perm_b32 v35, v2, v6, s0
	v_perm_b32 v36, v10, v14, s0
	ds_write2st64_b32 v0, v35, v36 offset1:32
	v_xor_b32_e32 v35, 8, v0
	v_perm_b32 v2, v2, v6, s1
	v_perm_b32 v6, v10, v14, s1
	v_add_u32_e32 v10, 0x80, v35
	ds_write2st64_b32 v10, v2, v6 offset1:32
	v_xor_b32_e32 v2, 16, v0
	v_perm_b32 v6, v3, v7, s0
	v_perm_b32 v10, v11, v15, s0
	ds_write2st64_b32 v2, v6, v10 offset0:1 offset1:33
	v_xor_b32_e32 v2, 24, v0
	v_perm_b32 v3, v3, v7, s1
	v_perm_b32 v6, v11, v15, s1
	v_add_u32_e32 v2, 0x80, v2
	ds_write2st64_b32 v2, v3, v6 offset0:1 offset1:33
	v_xor_b32_e32 v2, 32, v0
	v_perm_b32 v3, v4, v8, s0
	v_perm_b32 v6, v12, v16, s0
	ds_write2st64_b32 v2, v3, v6 offset0:2 offset1:34
	v_xor_b32_e32 v2, 40, v0
	v_perm_b32 v3, v4, v8, s1
	v_perm_b32 v4, v12, v16, s1
	v_add_u32_e32 v2, 0x80, v2
	ds_write2st64_b32 v2, v3, v4 offset0:2 offset1:34
	v_xor_b32_e32 v2, 48, v0
	v_perm_b32 v3, v5, v9, s0
	v_perm_b32 v4, v13, v17, s0
	v_xor_b32_e32 v0, 56, v0
	v_and_or_b32 v8, v37, 12, v42
	ds_write2st64_b32 v2, v3, v4 offset0:3 offset1:35
	v_perm_b32 v2, v5, v9, s1
	v_perm_b32 v3, v13, v17, s1
	v_add_u32_e32 v0, 0x80, v0
	v_cmp_gt_i32_e32 vcc, s43, v8
	v_mov_b32_e32 v9, 0
	v_mov_b32_e32 v14, 0
	ds_write2st64_b32 v0, v2, v3 offset0:3 offset1:35
	s_and_saveexec_b64 s[0:1], vcc
	s_cbranch_execz .LBB751_60
; %bb.59:
	v_add_u32_e32 v0, s42, v8
	v_ashrrev_i32_e32 v2, 31, v0
	v_mul_lo_u32 v4, v2, s34
	v_mul_lo_u32 v5, v0, s35
	v_mad_u64_u32 v[2:3], s[2:3], v0, s34, 0
	v_add3_u32 v3, v3, v5, v4
	v_lshl_add_u64 v[2:3], v[2:3], 2, s[10:11]
	global_load_dword v0, v[2:3], off
	s_waitcnt vmcnt(0)
	v_sub_f32_e32 v0, s12, v0
	v_mul_f32_e32 v0, 0x3fb8aa3b, v0
	v_exp_f32_e32 v14, v0
.LBB751_60:
	s_or_b64 exec, exec, s[0:1]
	v_or_b32_e32 v12, 1, v8
	v_cmp_gt_i32_e64 s[2:3], s43, v12
	s_and_saveexec_b64 s[0:1], s[2:3]
	s_cbranch_execz .LBB751_62
; %bb.61:
	v_add_u32_e32 v0, s42, v12
	v_ashrrev_i32_e32 v2, 31, v0
	v_mul_lo_u32 v4, v2, s34
	v_mul_lo_u32 v5, v0, s35
	v_mad_u64_u32 v[2:3], s[4:5], v0, s34, 0
	v_add3_u32 v3, v3, v5, v4
	v_lshl_add_u64 v[2:3], v[2:3], 2, s[10:11]
	global_load_dword v0, v[2:3], off
	s_waitcnt vmcnt(0)
	v_sub_f32_e32 v0, s12, v0
	v_mul_f32_e32 v0, 0x3fb8aa3b, v0
	v_exp_f32_e32 v9, v0
.LBB751_62:
	s_or_b64 exec, exec, s[0:1]
	v_or_b32_e32 v11, 2, v8
	v_cmp_gt_i32_e64 s[0:1], s43, v11
	v_mov_b32_e32 v10, 0
	v_mov_b32_e32 v15, 0
	s_and_saveexec_b64 s[4:5], s[0:1]
	s_cbranch_execz .LBB751_64
; %bb.63:
	v_add_u32_e32 v0, s42, v11
	v_ashrrev_i32_e32 v2, 31, v0
	v_mul_lo_u32 v4, v2, s34
	v_mul_lo_u32 v5, v0, s35
	v_mad_u64_u32 v[2:3], s[6:7], v0, s34, 0
	v_add3_u32 v3, v3, v5, v4
	v_lshl_add_u64 v[2:3], v[2:3], 2, s[10:11]
	global_load_dword v0, v[2:3], off
	s_waitcnt vmcnt(0)
	v_sub_f32_e32 v0, s12, v0
	v_mul_f32_e32 v0, 0x3fb8aa3b, v0
	v_exp_f32_e32 v15, v0
.LBB751_64:
	s_or_b64 exec, exec, s[4:5]
	v_or_b32_e32 v13, 3, v8
	v_cmp_gt_i32_e64 s[4:5], s43, v13
	s_and_saveexec_b64 s[6:7], s[4:5]
	s_cbranch_execz .LBB751_66
; %bb.65:
	v_add_u32_e32 v0, s42, v13
	v_ashrrev_i32_e32 v2, 31, v0
	v_mul_lo_u32 v4, v2, s34
	v_mul_lo_u32 v5, v0, s35
	v_mad_u64_u32 v[2:3], s[16:17], v0, s34, 0
	v_add3_u32 v3, v3, v5, v4
	v_lshl_add_u64 v[2:3], v[2:3], 2, s[10:11]
	global_load_dword v0, v[2:3], off
	s_waitcnt vmcnt(0)
	v_sub_f32_e32 v0, s12, v0
	v_mul_f32_e32 v0, 0x3fb8aa3b, v0
	v_exp_f32_e32 v10, v0
.LBB751_66:
	s_or_b64 exec, exec, s[6:7]
	s_waitcnt lgkmcnt(11)
	v_mfma_f32_16x16x16_bf16 a[0:3], v[32:33], v[22:23], a[0:3]
	v_or_b32_e32 v0, s36, v1
	s_add_u32 s6, s8, s28
	v_ashrrev_i32_e32 v1, 31, v0
	s_waitcnt lgkmcnt(10)
	v_mfma_f32_16x16x16_bf16 a[0:3], v[30:31], v[24:25], a[0:3]
	s_addc_u32 s7, s9, s29
	v_lshlrev_b64 v[0:1], 1, v[0:1]
	v_lshl_add_u64 v[4:5], s[6:7], 0, v[0:1]
	s_waitcnt lgkmcnt(9)
	v_mfma_f32_16x16x16_bf16 a[0:3], v[28:29], v[18:19], a[0:3]
	s_add_u32 s6, s14, s28
	s_addc_u32 s7, s15, s29
	v_lshl_add_u64 v[6:7], s[6:7], 0, v[0:1]
	s_waitcnt lgkmcnt(8)
	v_mfma_f32_16x16x16_bf16 a[0:3], v[26:27], v[20:21], a[0:3]
	v_mov_b32_e32 v16, 0
	v_mov_b32_e32 v17, 0
	s_nop 4
	v_accvgpr_read_b32 v0, a0
	v_accvgpr_read_b32 v1, a1
	;; [unrolled: 1-line block ×4, first 2 shown]
	s_and_saveexec_b64 s[6:7], vcc
	s_cbranch_execz .LBB751_68
; %bb.67:
	v_lshlrev_b32_e32 v18, 8, v8
	v_mov_b32_e32 v19, 0
	v_lshl_add_u64 v[20:21], v[4:5], 0, v[18:19]
	global_load_ushort v17, v[20:21], off
	v_lshl_add_u64 v[18:19], v[6:7], 0, v[18:19]
	s_waitcnt vmcnt(0)
	v_lshlrev_b32_e32 v17, 16, v17
	v_sub_f32_e32 v0, v17, v0
	global_store_short_d16_hi v[18:19], v0, off
	v_mul_f32_e32 v0, v14, v0
	v_lshrrev_b32_e32 v17, 16, v0
.LBB751_68:
	s_or_b64 exec, exec, s[6:7]
	s_and_saveexec_b64 s[6:7], s[2:3]
	s_cbranch_execz .LBB751_70
; %bb.69:
	v_lshlrev_b32_e32 v18, 8, v12
	v_mov_b32_e32 v19, 0
	v_lshl_add_u64 v[20:21], v[4:5], 0, v[18:19]
	global_load_ushort v0, v[20:21], off
	v_lshl_add_u64 v[18:19], v[6:7], 0, v[18:19]
	s_waitcnt vmcnt(0)
	v_lshlrev_b32_e32 v0, 16, v0
	v_sub_f32_e32 v0, v0, v1
	global_store_short_d16_hi v[18:19], v0, off
	v_mul_f32_e32 v0, v9, v0
	v_lshrrev_b32_e32 v16, 16, v0
.LBB751_70:
	s_or_b64 exec, exec, s[6:7]
	v_mov_b32_e32 v0, 0
	v_mov_b32_e32 v1, 0
	s_and_saveexec_b64 s[2:3], s[0:1]
	s_cbranch_execz .LBB751_72
; %bb.71:
	v_lshlrev_b32_e32 v18, 8, v11
	v_mov_b32_e32 v19, 0
	v_lshl_add_u64 v[20:21], v[4:5], 0, v[18:19]
	global_load_ushort v1, v[20:21], off
	v_lshl_add_u64 v[18:19], v[6:7], 0, v[18:19]
	s_waitcnt vmcnt(0)
	v_lshlrev_b32_e32 v1, 16, v1
	v_sub_f32_e32 v1, v1, v2
	global_store_short_d16_hi v[18:19], v1, off
	v_mul_f32_e32 v1, v15, v1
	v_lshrrev_b32_e32 v1, 16, v1
.LBB751_72:
	s_or_b64 exec, exec, s[2:3]
	s_and_saveexec_b64 s[0:1], s[4:5]
	s_cbranch_execz .LBB751_74
; %bb.73:
	v_lshlrev_b32_e32 v12, 8, v13
	v_mov_b32_e32 v13, 0
	v_lshl_add_u64 v[4:5], v[4:5], 0, v[12:13]
	global_load_ushort v0, v[4:5], off
	v_lshl_add_u64 v[4:5], v[6:7], 0, v[12:13]
	s_waitcnt vmcnt(0)
	v_lshlrev_b32_e32 v0, 16, v0
	v_sub_f32_e32 v0, v0, v3
	global_store_short_d16_hi v[4:5], v0, off
	v_mul_f32_e32 v0, v10, v0
	v_lshrrev_b32_e32 v0, 16, v0
.LBB751_74:
	s_or_b64 exec, exec, s[0:1]
	s_mov_b32 s0, 0x5040100
	v_lshlrev_b32_e32 v2, 1, v34
	v_perm_b32 v1, v0, v1, s0
	v_perm_b32 v0, v16, v17, s0
	v_lshl_or_b32 v2, v8, 5, v2
	ds_write_b64 v2, v[0:1] offset:38912
	s_waitcnt lgkmcnt(0)
	s_barrier
.LBB751_75:
	s_endpgm
	.section	.rodata,"a",@progbits
	.p2align	6, 0x0
	.amdhsa_kernel _ZN12_GLOBAL__N_139chunk_gated_delta_rule_fwd_h_hip_kernelILi16ELb0ELb0ELb1ELb0ELb0ELb0ELb1ELb0EEEvPK12hip_bfloat16S3_S3_PKfS5_PKvPS1_S8_PvPKiSB_iiiiilll
		.amdhsa_group_segment_fixed_size 40960
		.amdhsa_private_segment_fixed_size 0
		.amdhsa_kernarg_size 136
		.amdhsa_user_sgpr_count 2
		.amdhsa_user_sgpr_dispatch_ptr 0
		.amdhsa_user_sgpr_queue_ptr 0
		.amdhsa_user_sgpr_kernarg_segment_ptr 1
		.amdhsa_user_sgpr_dispatch_id 0
		.amdhsa_user_sgpr_kernarg_preload_length 0
		.amdhsa_user_sgpr_kernarg_preload_offset 0
		.amdhsa_user_sgpr_private_segment_size 0
		.amdhsa_uses_dynamic_stack 0
		.amdhsa_enable_private_segment 0
		.amdhsa_system_sgpr_workgroup_id_x 1
		.amdhsa_system_sgpr_workgroup_id_y 1
		.amdhsa_system_sgpr_workgroup_id_z 0
		.amdhsa_system_sgpr_workgroup_info 0
		.amdhsa_system_vgpr_workitem_id 0
		.amdhsa_next_free_vgpr 116
		.amdhsa_next_free_sgpr 66
		.amdhsa_accum_offset 108
		.amdhsa_reserve_vcc 1
		.amdhsa_float_round_mode_32 0
		.amdhsa_float_round_mode_16_64 0
		.amdhsa_float_denorm_mode_32 3
		.amdhsa_float_denorm_mode_16_64 3
		.amdhsa_dx10_clamp 1
		.amdhsa_ieee_mode 1
		.amdhsa_fp16_overflow 0
		.amdhsa_tg_split 0
		.amdhsa_exception_fp_ieee_invalid_op 0
		.amdhsa_exception_fp_denorm_src 0
		.amdhsa_exception_fp_ieee_div_zero 0
		.amdhsa_exception_fp_ieee_overflow 0
		.amdhsa_exception_fp_ieee_underflow 0
		.amdhsa_exception_fp_ieee_inexact 0
		.amdhsa_exception_int_div_zero 0
	.end_amdhsa_kernel
	.section	.text._ZN12_GLOBAL__N_139chunk_gated_delta_rule_fwd_h_hip_kernelILi16ELb0ELb0ELb1ELb0ELb0ELb0ELb1ELb0EEEvPK12hip_bfloat16S3_S3_PKfS5_PKvPS1_S8_PvPKiSB_iiiiilll,"axG",@progbits,_ZN12_GLOBAL__N_139chunk_gated_delta_rule_fwd_h_hip_kernelILi16ELb0ELb0ELb1ELb0ELb0ELb0ELb1ELb0EEEvPK12hip_bfloat16S3_S3_PKfS5_PKvPS1_S8_PvPKiSB_iiiiilll,comdat
.Lfunc_end751:
	.size	_ZN12_GLOBAL__N_139chunk_gated_delta_rule_fwd_h_hip_kernelILi16ELb0ELb0ELb1ELb0ELb0ELb0ELb1ELb0EEEvPK12hip_bfloat16S3_S3_PKfS5_PKvPS1_S8_PvPKiSB_iiiiilll, .Lfunc_end751-_ZN12_GLOBAL__N_139chunk_gated_delta_rule_fwd_h_hip_kernelILi16ELb0ELb0ELb1ELb0ELb0ELb0ELb1ELb0EEEvPK12hip_bfloat16S3_S3_PKfS5_PKvPS1_S8_PvPKiSB_iiiiilll
                                        ; -- End function
	.section	.AMDGPU.csdata,"",@progbits
; Kernel info:
; codeLenInByte = 7376
; NumSgprs: 72
; NumVgprs: 108
; NumAgprs: 8
; TotalNumVgprs: 116
; ScratchSize: 0
; MemoryBound: 0
; FloatMode: 240
; IeeeMode: 1
; LDSByteSize: 40960 bytes/workgroup (compile time only)
; SGPRBlocks: 8
; VGPRBlocks: 14
; NumSGPRsForWavesPerEU: 72
; NumVGPRsForWavesPerEU: 116
; AccumOffset: 108
; Occupancy: 1
; WaveLimiterHint : 1
; COMPUTE_PGM_RSRC2:SCRATCH_EN: 0
; COMPUTE_PGM_RSRC2:USER_SGPR: 2
; COMPUTE_PGM_RSRC2:TRAP_HANDLER: 0
; COMPUTE_PGM_RSRC2:TGID_X_EN: 1
; COMPUTE_PGM_RSRC2:TGID_Y_EN: 1
; COMPUTE_PGM_RSRC2:TGID_Z_EN: 0
; COMPUTE_PGM_RSRC2:TIDIG_COMP_CNT: 0
; COMPUTE_PGM_RSRC3_GFX90A:ACCUM_OFFSET: 26
; COMPUTE_PGM_RSRC3_GFX90A:TG_SPLIT: 0
	.section	.text._ZN12_GLOBAL__N_139chunk_gated_delta_rule_fwd_h_hip_kernelILi16ELb0ELb0ELb0ELb0ELb0ELb0ELb1ELb0EEEvPK12hip_bfloat16S3_S3_PKfS5_PKvPS1_S8_PvPKiSB_iiiiilll,"axG",@progbits,_ZN12_GLOBAL__N_139chunk_gated_delta_rule_fwd_h_hip_kernelILi16ELb0ELb0ELb0ELb0ELb0ELb0ELb1ELb0EEEvPK12hip_bfloat16S3_S3_PKfS5_PKvPS1_S8_PvPKiSB_iiiiilll,comdat
	.globl	_ZN12_GLOBAL__N_139chunk_gated_delta_rule_fwd_h_hip_kernelILi16ELb0ELb0ELb0ELb0ELb0ELb0ELb1ELb0EEEvPK12hip_bfloat16S3_S3_PKfS5_PKvPS1_S8_PvPKiSB_iiiiilll ; -- Begin function _ZN12_GLOBAL__N_139chunk_gated_delta_rule_fwd_h_hip_kernelILi16ELb0ELb0ELb0ELb0ELb0ELb0ELb1ELb0EEEvPK12hip_bfloat16S3_S3_PKfS5_PKvPS1_S8_PvPKiSB_iiiiilll
	.p2align	8
	.type	_ZN12_GLOBAL__N_139chunk_gated_delta_rule_fwd_h_hip_kernelILi16ELb0ELb0ELb0ELb0ELb0ELb0ELb1ELb0EEEvPK12hip_bfloat16S3_S3_PKfS5_PKvPS1_S8_PvPKiSB_iiiiilll,@function
_ZN12_GLOBAL__N_139chunk_gated_delta_rule_fwd_h_hip_kernelILi16ELb0ELb0ELb0ELb0ELb0ELb0ELb1ELb0EEEvPK12hip_bfloat16S3_S3_PKfS5_PKvPS1_S8_PvPKiSB_iiiiilll: ; @_ZN12_GLOBAL__N_139chunk_gated_delta_rule_fwd_h_hip_kernelILi16ELb0ELb0ELb0ELb0ELb0ELb0ELb1ELb0EEEvPK12hip_bfloat16S3_S3_PKfS5_PKvPS1_S8_PvPKiSB_iiiiilll
; %bb.0:
	s_load_dwordx4 s[12:15], s[0:1], 0x5c
	s_load_dwordx2 s[36:37], s[0:1], 0x30
	s_abs_i32 s18, s3
	s_ashr_i32 s17, s3, 31
	s_load_dwordx8 s[4:11], s[0:1], 0x0
	s_waitcnt lgkmcnt(0)
	s_abs_i32 s16, s13
	v_cvt_f32_u32_e32 v1, s16
	s_sub_i32 s20, 0, s16
	s_ashr_i32 s19, s13, 31
	s_xor_b32 s17, s17, s19
	v_rcp_iflag_f32_e32 v1, v1
	v_lshrrev_b32_e32 v42, 6, v0
	v_bfe_u32 v43, v0, 4, 2
	v_lshlrev_b32_e32 v40, 4, v42
	v_mul_f32_e32 v1, 0x4f7ffffe, v1
	v_cvt_u32_f32_e32 v1, v1
	v_lshlrev_b32_e32 v2, 2, v43
	v_and_b32_e32 v41, 63, v0
	v_or_b32_e32 v46, v2, v40
	v_readfirstlane_b32 s21, v1
	s_mul_i32 s20, s20, s21
	s_mul_hi_u32 s20, s21, s20
	s_add_i32 s21, s21, s20
	s_mul_hi_u32 s20, s18, s21
	s_mul_i32 s21, s20, s16
	s_sub_i32 s18, s18, s21
	s_add_i32 s22, s20, 1
	s_sub_i32 s21, s18, s16
	s_cmp_ge_u32 s18, s16
	s_cselect_b32 s20, s22, s20
	s_cselect_b32 s18, s21, s18
	s_add_i32 s21, s20, 1
	s_cmp_ge_u32 s18, s16
	s_cselect_b32 s18, s21, s20
	s_xor_b32 s18, s18, s17
	s_sub_i32 s45, s18, s17
	s_abs_i32 s17, s14
	v_cvt_f32_u32_e32 v1, s17
	s_add_i32 s20, s12, 63
	s_mul_i32 s43, s45, s13
	s_sub_i32 s33, s3, s43
	v_rcp_iflag_f32_e32 v1, v1
	s_ashr_i32 s3, s20, 31
	s_ashr_i32 s44, s12, 31
	s_lshr_b32 s3, s3, 26
	v_mul_f32_e32 v1, 0x4f7ffffe, v1
	v_cvt_u32_f32_e32 v1, v1
	s_lshr_b32 s18, s44, 26
	s_add_i32 s20, s20, s3
	s_add_i32 s18, s12, s18
	s_ashr_i32 s47, s14, 31
	s_ashr_i32 s3, s20, 6
	;; [unrolled: 1-line block ×3, first 2 shown]
	s_xor_b32 s18, s19, s47
	s_sub_i32 s19, 0, s17
	v_readfirstlane_b32 s20, v1
	s_mul_i32 s19, s19, s20
	s_mul_hi_u32 s19, s20, s19
	s_add_i32 s20, s20, s19
	s_mul_hi_u32 s19, s16, s20
	s_mul_i32 s20, s19, s17
	s_sub_i32 s16, s16, s20
	s_add_i32 s20, s19, 1
	s_sub_i32 s21, s16, s17
	s_cmp_ge_u32 s16, s17
	s_cselect_b32 s19, s20, s19
	s_cselect_b32 s16, s21, s16
	s_add_i32 s20, s19, 1
	s_cmp_ge_u32 s16, s17
	s_cselect_b32 s16, s20, s19
	s_xor_b32 s16, s16, s18
	s_sub_i32 s20, s16, s18
	s_abs_i32 s21, s20
	v_cvt_f32_u32_e32 v1, s21
	s_load_dwordx2 s[28:29], s[0:1], 0x80
	s_load_dwordx4 s[16:19], s[0:1], 0x70
	s_xor_b32 s0, s33, s20
	s_sub_i32 s20, 0, s21
	v_rcp_iflag_f32_e32 v1, v1
	s_abs_i32 s1, s33
	s_ashr_i32 s0, s0, 31
	s_mul_i32 s48, s45, s3
	v_mul_f32_e32 v1, 0x4f7ffffe, v1
	v_cvt_u32_f32_e32 v1, v1
	v_or_b32_e32 v47, 64, v46
	v_mov_b32_e32 v3, 0
	s_mul_hi_i32 s49, s45, s13
	v_readfirstlane_b32 s22, v1
	s_mul_i32 s20, s20, s22
	s_mul_hi_u32 s20, s22, s20
	s_add_i32 s22, s22, s20
	s_mul_hi_u32 s20, s1, s22
	s_mul_i32 s22, s20, s21
	s_sub_i32 s1, s1, s22
	s_add_i32 s22, s20, 1
	s_sub_i32 s23, s1, s21
	s_cmp_ge_u32 s1, s21
	s_cselect_b32 s20, s22, s20
	s_cselect_b32 s1, s23, s1
	s_add_i32 s22, s20, 1
	s_cmp_ge_u32 s1, s21
	s_cselect_b32 s1, s22, s20
	s_xor_b32 s1, s1, s0
	s_sub_i32 s50, s1, s0
	s_lshl_b32 s30, s2, 4
	v_and_b32_e32 v1, 15, v0
	s_cmp_lt_i32 s12, 64
	v_lshrrev_b32_e32 v45, 3, v41
	v_lshlrev_b32_e32 v44, 3, v0
	s_waitcnt lgkmcnt(0)
	s_mul_i32 s17, s45, s17
	s_mul_hi_u32 s42, s45, s16
	s_mul_i32 s34, s45, s16
	v_mov_b32_e32 v59, 0
	v_mov_b32_e32 v34, 0
	;; [unrolled: 1-line block ×7, first 2 shown]
	s_cbranch_scc1 .LBB752_18
; %bb.1:
	s_ashr_i32 s24, s45, 31
	s_ashr_i32 s52, s33, 31
	s_add_u32 s0, s43, s33
	s_addc_u32 s1, s49, s52
	s_mul_i32 s1, s12, s1
	s_mul_hi_u32 s2, s12, s0
	s_add_i32 s3, s2, s1
	s_mul_i32 s2, s12, s0
	s_lshl_b64 s[0:1], s[2:3], 8
	v_and_b32_e32 v49, 56, v44
	s_add_u32 s20, s6, s0
	v_lshl_or_b32 v48, v42, 3, v45
	v_lshlrev_b32_e32 v3, 1, v49
	s_addc_u32 s0, s7, s1
	v_lshl_or_b32 v50, v48, 8, v3
	s_and_b32 s21, s0, 0xffff
	s_mov_b32 s23, 0x20000
	s_movk_i32 s22, 0x4000
	s_movk_i32 s0, 0x80
	v_or_b32_e32 v51, 0x2000, v50
	buffer_load_dwordx4 v[4:7], v50, s[20:23], 0 offen
	buffer_load_dwordx4 v[8:11], v50, s[20:23], s0 offen
	;; [unrolled: 1-line block ×4, first 2 shown]
	v_lshlrev_b32_e32 v20, 3, v48
	v_and_or_b32 v22, v0, 7, v20
	v_and_b32_e32 v20, 0x78, v20
	v_lshlrev_b32_e32 v22, 4, v22
	v_xor_b32_e32 v52, v22, v20
	v_mul_lo_u32 v21, v48, s15
	v_or_b32_e32 v53, 0x1000, v52
	s_cmpk_eq_i32 s15, 0x80
	s_mov_b32 s51, s14
	v_xor_b32_e32 v20, 8, v52
	v_xor_b32_e32 v22, 8, v53
	s_cselect_b64 s[0:1], -1, 0
	s_cmpk_lg_i32 s15, 0x80
	s_waitcnt vmcnt(3)
	ds_write_b64 v52, v[4:5] offset:16384
	ds_write_b64 v20, v[6:7] offset:16384
	s_waitcnt vmcnt(2)
	ds_write_b64 v52, v[8:9] offset:24576
	ds_write_b64 v20, v[10:11] offset:24576
	;; [unrolled: 3-line block ×4, first 2 shown]
	v_lshl_add_u32 v4, v21, 1, v49
	s_cbranch_scc0 .LBB752_3
; %bb.2:
	v_lshlrev_b32_e32 v6, 1, v4
	v_add_lshl_u32 v5, v4, s15, 1
	s_lshl_b32 s22, s15, 7
	v_lshl_or_b32 v3, v48, 9, v3
	s_cbranch_execz .LBB752_4
	s_branch .LBB752_5
.LBB752_3:
                                        ; implicit-def: $vgpr5
                                        ; implicit-def: $vgpr6
                                        ; implicit-def: $sgpr22
	v_lshl_or_b32 v3, v48, 9, v3
.LBB752_4:
	v_or_b32_e32 v5, 0x100, v3
	s_movk_i32 s22, 0x4000
	v_mov_b32_e32 v6, v3
.LBB752_5:
	s_mul_hi_u32 s20, s14, s12
	s_mul_i32 s21, s47, s12
	s_add_i32 s20, s20, s21
	s_mul_i32 s21, s14, s12
	s_mul_i32 s23, s21, s24
	s_mul_hi_u32 s25, s21, s45
	s_add_i32 s23, s25, s23
	s_mul_i32 s20, s20, s45
	s_add_i32 s23, s23, s20
	s_mul_i32 s21, s21, s45
	s_ashr_i32 s53, s50, 31
	s_add_u32 s20, s21, s50
	s_addc_u32 s21, s23, s53
	s_lshl_b64 s[20:21], s[20:21], 8
	s_add_u32 s20, s4, s20
	s_addc_u32 s21, s5, s21
	s_and_b32 s21, s21, 0xffff
	s_mov_b32 s23, 0x20000
	s_movk_i32 s54, 0x80
	buffer_load_dwordx4 v[8:11], v6, s[20:23], 0 offen
	buffer_load_dwordx4 v[12:15], v6, s[20:23], s54 offen
	;; [unrolled: 1-line block ×4, first 2 shown]
	v_and_b32_e32 v5, 6, v0
	s_mul_i32 s20, s24, s12
	s_mul_hi_u32 s21, s45, s12
	v_lshlrev_b32_e32 v7, 2, v1
	v_lshlrev_b32_e32 v24, 3, v1
	v_xor_b32_e32 v26, v48, v5
	v_and_b32_e32 v6, 1, v0
	s_mul_i32 s24, s24, s16
	v_lshl_or_b32 v24, v46, 5, v24
	v_xor_b32_e32 v27, v46, v7
	v_lshlrev_b32_e32 v26, 2, v26
	s_add_i32 s59, s21, s20
	s_add_i32 s20, s42, s17
	v_or_b32_e32 v54, 0x9000, v24
	v_or_b32_e32 v55, 0x9800, v24
	v_lshlrev_b32_e32 v24, 1, v27
	v_xor_b32_e32 v27, 0x440, v26
	v_cmp_eq_u32_e32 vcc, 0, v6
	s_add_i32 s35, s20, s24
	s_mul_i32 s20, s33, s19
	s_mul_hi_u32 s21, s33, s18
	v_cndmask_b32_e32 v6, v27, v26, vcc
	s_add_i32 s20, s21, s20
	s_mul_i32 s21, s52, s18
	s_mov_b32 s56, 0x1000504
	v_lshlrev_b32_e32 v25, 8, v1
	s_mov_b32 s22, 0x8000
	v_xor_b32_e32 v7, v47, v7
	v_lshl_or_b32 v5, v5, 10, v6
	s_add_i32 s21, s20, s21
	s_lshl_b64 s[24:25], s[34:35], 2
	s_mov_b32 s57, 0x3020706
	v_lshlrev_b32_e32 v7, 1, v7
	v_or3_b32 v56, v24, v25, s22
	v_xor_b32_e32 v6, 8, v5
	v_xor_b32_e32 v24, 24, v5
	;; [unrolled: 1-line block ×4, first 2 shown]
	s_mul_i32 s20, s33, s18
	s_add_u32 s24, s10, s24
	v_or3_b32 v57, v7, v25, s22
	v_xor_b32_e32 v7, 16, v5
	v_xor_b32_e32 v25, 32, v5
	;; [unrolled: 1-line block ×3, first 2 shown]
	v_add_u32_e32 v6, 0x80, v6
	v_add_u32_e32 v24, 0x80, v24
	;; [unrolled: 1-line block ×4, first 2 shown]
	s_addc_u32 s25, s11, s25
	s_lshl_b64 s[20:21], s[20:21], 2
	s_add_u32 s38, s24, s20
	s_movk_i32 s20, 0xf8
	s_addc_u32 s39, s25, s21
	s_ashr_i32 s31, s30, 31
	s_lshl_b32 s26, s15, 7
	v_mov_b32_e32 v35, 0
	s_mov_b32 s55, 0
	s_mul_i32 s58, s45, s12
	v_add_u32_e32 v76, v40, v2
	v_mov_b32_e32 v77, 0x3fb8aa3b
	s_mov_b32 s60, 0
	v_mov_b32_e32 v60, v35
	v_mov_b32_e32 v61, v35
	;; [unrolled: 1-line block ×6, first 2 shown]
	s_waitcnt vmcnt(1)
	v_perm_b32 v29, v8, v16, s56
	s_waitcnt vmcnt(0)
	v_perm_b32 v30, v12, v20, s56
	v_perm_b32 v8, v8, v16, s57
	v_perm_b32 v12, v12, v20, s57
	v_perm_b32 v16, v9, v17, s56
	v_perm_b32 v20, v13, v21, s56
	v_perm_b32 v9, v9, v17, s57
	v_perm_b32 v13, v13, v21, s57
	v_perm_b32 v17, v10, v18, s56
	v_perm_b32 v21, v14, v22, s56
	v_perm_b32 v10, v10, v18, s57
	v_perm_b32 v14, v14, v22, s57
	v_perm_b32 v18, v11, v19, s56
	v_perm_b32 v22, v15, v23, s56
	v_perm_b32 v11, v11, v19, s57
	v_perm_b32 v15, v15, v23, s57
	ds_write2st64_b32 v5, v29, v30 offset1:32
	ds_write2st64_b32 v6, v8, v12 offset1:32
	ds_write2st64_b32 v7, v16, v20 offset0:1 offset1:33
	ds_write2st64_b32 v24, v9, v13 offset0:1 offset1:33
	;; [unrolled: 1-line block ×6, first 2 shown]
	v_or_b32_e32 v5, v40, v1
	v_lshlrev_b32_e32 v5, 3, v5
	v_lshrrev_b32_e32 v7, 5, v41
	v_and_or_b32 v7, v5, s20, v7
	v_lshlrev_b32_e32 v7, 4, v7
	v_lshlrev_b32_e32 v8, 11, v42
	v_and_b32_e32 v5, 0x78, v5
	v_or_b32_e32 v12, 32, v7
	v_and_b32_e32 v6, 0x1000, v8
	v_lshrrev_b32_e32 v10, 1, v0
	v_xor_b32_e32 v12, v12, v5
	v_and_b32_e32 v11, 8, v10
	v_or_b32_e32 v12, v12, v6
	v_xor_b32_e32 v9, v7, v5
	v_xor_b32_e32 v64, v12, v11
	v_or_b32_e32 v12, 64, v7
	v_or_b32_e32 v7, 0x60, v7
	;; [unrolled: 1-line block ×3, first 2 shown]
	v_xor_b32_e32 v12, v12, v5
	v_xor_b32_e32 v5, v7, v5
	;; [unrolled: 1-line block ×3, first 2 shown]
	v_and_b32_e32 v9, 0x78, v44
	v_or_b32_e32 v5, v5, v6
	v_lshl_or_b32 v9, v43, 7, v9
	v_or_b32_e32 v12, v12, v6
	v_xor_b32_e32 v66, v5, v11
	v_lshlrev_b32_e32 v5, 1, v1
	v_or_b32_e32 v63, 0x9000, v9
	v_xor_b32_e32 v65, v12, v11
	v_or_b32_e32 v67, 0x9800, v9
	v_lshlrev_b32_e32 v9, 1, v4
	v_add_lshl_u32 v11, v4, s15, 1
	v_lshrrev_b32_e32 v4, 4, v0
	s_lshl_b64 s[20:21], s[30:31], 8
	v_or_b32_e32 v13, 1, v5
	s_add_u32 s20, s36, s20
	v_xor_b32_e32 v5, v4, v5
	v_xor_b32_e32 v13, v13, v4
	s_addc_u32 s21, s37, s21
	v_lshlrev_b32_e32 v5, 3, v5
	v_lshlrev_b32_e32 v34, 8, v4
	;; [unrolled: 1-line block ×3, first 2 shown]
	v_or3_b32 v68, v5, v34, s22
	v_or3_b32 v69, v4, v34, s22
	v_lshl_add_u64 v[4:5], s[20:21], 0, v[34:35]
	v_lshlrev_b32_e32 v34, 4, v1
	s_movk_i32 s20, 0xff
	v_lshlrev_b32_e32 v15, 3, v42
	v_and_b32_e32 v10, 24, v10
	v_lshl_add_u64 v[36:37], v[4:5], 0, v[34:35]
	v_and_b32_e32 v5, 8, v0
	v_cmp_lt_u32_e32 vcc, s20, v0
	v_xor_b32_e32 v16, v15, v10
	v_or_b32_e32 v17, 0x440, v16
	v_cndmask_b32_e64 v14, 0, 1, vcc
	v_cmp_eq_u32_e32 vcc, 0, v5
	v_and_b32_e32 v4, 7, v0
	v_lshlrev_b32_e32 v13, 3, v4
	v_cndmask_b32_e32 v5, v17, v16, vcc
	v_lshlrev_b32_e32 v4, 7, v4
	v_or_b32_e32 v5, v5, v8
	v_xad_u32 v70, v5, v13, v4
	v_or_b32_e32 v5, 32, v10
	v_xor_b32_e32 v5, v15, v5
	v_or_b32_e32 v16, 0x440, v5
	v_cndmask_b32_e32 v5, v16, v5, vcc
	v_or_b32_e32 v5, v5, v8
	v_xad_u32 v71, v5, v13, v4
	v_or_b32_e32 v5, 64, v10
	v_xor_b32_e32 v5, v15, v5
	v_xor_b32_e32 v16, 0x440, v5
	v_cndmask_b32_e32 v5, v16, v5, vcc
	v_or_b32_e32 v5, v5, v8
	v_xad_u32 v72, v5, v13, v4
	v_or_b32_e32 v5, 0x60, v10
	v_xor_b32_e32 v5, v15, v5
	v_xor_b32_e32 v10, 0x440, v5
	v_or_b32_e32 v6, s30, v1
	v_cndmask_b32_e32 v5, v10, v5, vcc
	v_ashrrev_i32_e32 v7, 31, v6
	v_or_b32_e32 v5, v5, v8
	v_lshl_add_u64 v[6:7], v[6:7], 1, s[8:9]
	v_or_b32_e32 v12, 0x100, v3
	v_lshlrev_b32_e32 v14, 13, v14
	v_xad_u32 v73, v5, v13, v4
	v_lshlrev_b32_e32 v34, 8, v46
	v_cndmask_b32_e64 v74, v9, v3, s[0:1]
	v_cndmask_b32_e64 v75, v11, v12, s[0:1]
	v_lshl_add_u64 v[38:39], v[6:7], 0, v[34:35]
	s_mov_b32 s31, 0x7060302
	s_movk_i32 s22, 0x4000
	v_add_u32_e32 v78, v14, v70
	v_add_u32_e32 v79, v14, v71
	;; [unrolled: 1-line block ×4, first 2 shown]
	v_mov_b32_e32 v34, v35
	s_waitcnt lgkmcnt(0)
	s_barrier
.LBB752_6:                              ; =>This Inner Loop Header: Depth=1
	s_add_i32 s35, s60, 1
	s_cmp_lt_i32 s35, s46
	s_mov_b64 s[24:25], 0
	s_cselect_b64 s[40:41], -1, 0
	s_cmp_ge_i32 s35, s46
	s_mov_b64 s[20:21], 0
	s_cbranch_scc1 .LBB752_8
; %bb.7:                                ;   in Loop: Header=BB752_6 Depth=1
	s_add_i32 s0, s55, 64
	s_add_u32 s0, s2, s0
	s_addc_u32 s1, s3, 0
	s_lshl_b64 s[0:1], s[0:1], 8
	s_add_u32 s20, s6, s0
	s_addc_u32 s21, s7, s1
.LBB752_8:                              ;   in Loop: Header=BB752_6 Depth=1
	v_cndmask_b32_e64 v2, 0, 1, s[40:41]
	v_cmp_ne_u32_e64 s[0:1], 1, v2
	s_andn2_b64 vcc, exec, s[40:41]
	s_cbranch_vccnz .LBB752_10
; %bb.9:                                ;   in Loop: Header=BB752_6 Depth=1
	s_add_i32 s24, s55, 64
	s_add_u32 s24, s58, s24
	s_addc_u32 s25, s59, 0
	s_mul_i32 s27, s24, s47
	s_mul_hi_u32 s40, s24, s51
	s_add_i32 s27, s40, s27
	s_mul_i32 s25, s25, s51
	s_add_i32 s27, s27, s25
	s_mul_i32 s24, s24, s51
	s_add_u32 s24, s24, s50
	s_addc_u32 s25, s27, s53
	s_lshl_b64 s[24:25], s[24:25], 8
	s_add_u32 s24, s4, s24
	s_addc_u32 s25, s5, s25
.LBB752_10:                             ;   in Loop: Header=BB752_6 Depth=1
	v_perm_b32 v3, v83, v61, s31
	v_perm_b32 v2, v60, v35, s31
	;; [unrolled: 1-line block ×4, first 2 shown]
	ds_write_b64 v54, v[2:3]
	ds_write_b64 v55, v[4:5]
	ds_write_b64 v56, v[2:3]
	ds_write_b64 v57, v[4:5]
	s_waitcnt lgkmcnt(0)
	s_barrier
	ds_read_b64 v[10:11], v62 offset:16384
	ds_read_b64 v[12:13], v64 offset:16384
	ds_read2st64_b64 v[2:5], v63 offset1:1
	ds_read2st64_b64 v[6:9], v63 offset0:2 offset1:3
	ds_read_b64 v[14:15], v65 offset:16384
	s_waitcnt lgkmcnt(2)
	v_mfma_f32_16x16x16_bf16 a[0:3], v[10:11], v[2:3], 0
	ds_read_b64 v[2:3], v66 offset:16384
	s_add_i32 s27, s55, 63
	s_mul_i32 s40, s27, s29
	v_mfma_f32_16x16x16_bf16 a[0:3], v[12:13], v[4:5], a[0:3]
	s_mul_hi_u32 s41, s27, s28
	s_add_i32 s41, s41, s40
	s_mul_i32 s40, s27, s28
	s_waitcnt lgkmcnt(1)
	v_mfma_f32_16x16x16_bf16 a[0:3], v[14:15], v[6:7], a[0:3]
	s_lshl_b64 s[40:41], s[40:41], 2
	s_add_u32 s40, s38, s40
	s_addc_u32 s41, s39, s41
	s_waitcnt lgkmcnt(0)
	v_mfma_f32_16x16x16_bf16 a[0:3], v[2:3], v[8:9], a[0:3]
	s_and_b64 vcc, exec, s[0:1]
	v_mov_b32_e32 v86, 0
	v_mov_b32_e32 v85, 0
	;; [unrolled: 1-line block ×19, first 2 shown]
	s_cbranch_vccnz .LBB752_12
; %bb.11:                               ;   in Loop: Header=BB752_6 Depth=1
	s_and_b32 s21, s21, 0xffff
	buffer_load_dwordx4 v[14:17], v50, s[20:23], 0 offen
	buffer_load_dwordx4 v[10:13], v50, s[20:23], s54 offen
	;; [unrolled: 1-line block ×4, first 2 shown]
	v_mov_b32_e32 v85, v52
	v_mov_b32_e32 v84, v53
.LBB752_12:                             ;   in Loop: Header=BB752_6 Depth=1
	s_waitcnt vmcnt(3)
	v_add_u32_e32 v24, s55, v76
	s_waitcnt vmcnt(1)
	v_ashrrev_i32_e32 v18, 31, v24
	v_mul_lo_u32 v20, v18, s28
	v_mul_lo_u32 v21, v24, s29
	v_mad_u64_u32 v[18:19], s[20:21], v24, s28, 0
	v_add3_u32 v19, v19, v21, v20
	v_add_u32_e32 v20, 1, v24
	v_ashrrev_i32_e32 v21, 31, v20
	v_mul_lo_u32 v22, v21, s28
	v_mul_lo_u32 v23, v20, s29
	v_mad_u64_u32 v[20:21], s[20:21], v20, s28, 0
	v_add3_u32 v21, v21, v23, v22
	v_add_u32_e32 v22, 2, v24
	v_ashrrev_i32_e32 v23, 31, v22
	v_mul_lo_u32 v25, v23, s28
	v_mul_lo_u32 v26, v22, s29
	v_mad_u64_u32 v[22:23], s[20:21], v22, s28, 0
	v_add_u32_e32 v24, 3, v24
	v_add3_u32 v23, v23, v26, v25
	v_ashrrev_i32_e32 v25, 31, v24
	v_mul_lo_u32 v28, v25, s28
	v_mul_lo_u32 v29, v24, s29
	v_mad_u64_u32 v[24:25], s[20:21], v24, s28, 0
	s_add_u32 s20, s2, s55
	s_addc_u32 s21, s3, 0
	s_lshl_b64 s[20:21], s[20:21], 8
	v_lshl_add_u64 v[18:19], v[18:19], 2, s[38:39]
	v_lshl_add_u64 v[20:21], v[20:21], 2, s[38:39]
	;; [unrolled: 1-line block ×3, first 2 shown]
	v_add3_u32 v25, v25, v29, v28
	v_lshl_add_u64 v[22:23], v[22:23], 2, s[38:39]
	global_load_ushort v92, v[26:27], off
	global_load_ushort v93, v[26:27], off offset:256
	global_load_ushort v94, v[26:27], off offset:512
	;; [unrolled: 1-line block ×3, first 2 shown]
	global_load_dword v96, v[18:19], off
	v_lshl_add_u64 v[18:19], v[24:25], 2, s[38:39]
	global_load_dword v97, v[20:21], off
	global_load_dword v98, v[22:23], off
	;; [unrolled: 1-line block ×3, first 2 shown]
	s_load_dword s20, s[40:41], 0x0
	ds_read2st64_b64 v[24:27], v67 offset1:1
	ds_read2st64_b64 v[28:31], v67 offset0:2 offset1:3
	ds_read_b64 v[22:23], v62 offset:24576
	ds_read_b64 v[32:33], v64 offset:24576
	;; [unrolled: 1-line block ×4, first 2 shown]
	s_waitcnt lgkmcnt(0)
	v_mfma_f32_16x16x16_bf16 a[0:3], v[22:23], v[24:25], a[0:3]
	v_mov_b32_e32 v87, 0
	v_mov_b32_e32 v18, 0
	v_mov_b32_e32 v19, 0
	v_mfma_f32_16x16x16_bf16 a[0:3], v[32:33], v[26:27], a[0:3]
	v_mov_b32_e32 v20, 0
	v_mov_b32_e32 v21, 0
	v_mov_b32_e32 v22, 0
	;; [unrolled: 4-line block ×4, first 2 shown]
	v_mov_b32_e32 v29, 0
	s_and_b64 vcc, exec, s[0:1]
	s_waitcnt vmcnt(7)
	v_lshlrev_b32_e32 v88, 16, v92
	s_waitcnt vmcnt(6)
	v_lshlrev_b32_e32 v89, 16, v93
	;; [unrolled: 2-line block ×4, first 2 shown]
	s_waitcnt vmcnt(3)
	v_sub_f32_e32 v92, s20, v96
	s_waitcnt vmcnt(2)
	v_sub_f32_e32 v93, s20, v97
	s_waitcnt vmcnt(1)
	v_sub_f32_e32 v94, s20, v98
	s_waitcnt vmcnt(0)
	v_sub_f32_e32 v95, s20, v99
	v_mul_f32_e32 v92, 0x3fb8aa3b, v92
	v_mul_f32_e32 v93, 0x3fb8aa3b, v93
	;; [unrolled: 1-line block ×4, first 2 shown]
	v_exp_f32_e32 v92, v92
	v_exp_f32_e32 v93, v93
	;; [unrolled: 1-line block ×4, first 2 shown]
	v_accvgpr_read_b32 v33, a1
	v_accvgpr_read_b32 v31, a3
	;; [unrolled: 1-line block ×4, first 2 shown]
	v_pk_add_f32 v[32:33], v[88:89], v[32:33] neg_lo:[0,1] neg_hi:[0,1]
	v_pk_add_f32 v[30:31], v[90:91], v[30:31] neg_lo:[0,1] neg_hi:[0,1]
	v_pk_mul_f32 v[32:33], v[92:93], v[32:33]
	v_pk_mul_f32 v[30:31], v[94:95], v[30:31]
	s_nop 0
	v_perm_b32 v31, v31, v30, s31
	v_perm_b32 v30, v33, v32, s31
	ds_write_b64 v55, v[30:31]
	v_mov_b32_e32 v30, 0
	v_mov_b32_e32 v31, 0
	;; [unrolled: 1-line block ×4, first 2 shown]
	s_cbranch_vccnz .LBB752_14
; %bb.13:                               ;   in Loop: Header=BB752_6 Depth=1
	s_and_b32 s25, s25, 0xffff
	s_mov_b32 s27, s23
	buffer_load_dwordx4 v[30:33], v74, s[24:27], 0 offen
	buffer_load_dwordx4 v[22:25], v74, s[24:27], s54 offen
	;; [unrolled: 1-line block ×4, first 2 shown]
	v_mov_b32_e32 v86, v49
	v_mov_b32_e32 v87, v48
.LBB752_14:                             ;   in Loop: Header=BB752_6 Depth=1
	s_waitcnt lgkmcnt(0)
	s_barrier
	ds_read_b64 v[96:97], v78
	ds_read2st64_b64 v[88:91], v67 offset1:1
	ds_read2st64_b64 v[92:95], v67 offset0:2 offset1:3
	ds_read_b64 v[98:99], v79
	ds_read_b64 v[100:101], v80
	;; [unrolled: 1-line block ×3, first 2 shown]
	s_waitcnt lgkmcnt(4)
	v_mfma_f32_16x16x16_bf16 a[0:3], v[96:97], v[88:89], 0
	ds_read_b64 v[96:97], v70 offset:8192
	ds_read_b64 v[104:105], v71 offset:8192
	s_add_i32 s21, s48, s60
	s_mul_hi_i32 s25, s21, s13
	s_waitcnt lgkmcnt(1)
	v_mfma_f32_16x16x16_bf16 a[4:7], v[96:97], v[88:89], 0
	s_mul_i32 s21, s21, s13
	s_add_u32 s24, s21, s33
	s_addc_u32 s25, s25, s52
	v_mfma_f32_16x16x16_bf16 a[0:3], v[98:99], v[90:91], a[0:3]
	ds_read_b64 v[96:97], v68
	ds_read_b64 v[98:99], v69
	ds_read_b64 v[88:89], v72 offset:8192
	s_lshl_b64 s[24:25], s[24:25], 15
	v_mfma_f32_16x16x16_bf16 a[0:3], v[100:101], v[92:93], a[0:3]
	ds_read_b64 v[100:101], v73 offset:8192
	s_and_b64 vcc, exec, s[0:1]
	s_waitcnt lgkmcnt(4)
	v_mfma_f32_16x16x16_bf16 a[4:7], v[104:105], v[90:91], a[4:7]
	s_waitcnt lgkmcnt(1)
	v_mfma_f32_16x16x16_bf16 a[4:7], v[88:89], v[92:93], a[4:7]
	v_lshl_add_u64 v[88:89], v[36:37], 0, s[24:25]
	global_store_dwordx4 v[88:89], v[96:99], off
	v_mfma_f32_16x16x16_bf16 a[0:3], v[102:103], v[94:95], a[0:3]
	s_waitcnt lgkmcnt(0)
	v_mfma_f32_16x16x16_bf16 a[4:7], v[100:101], v[94:95], a[4:7]
	s_cbranch_vccnz .LBB752_16
; %bb.15:                               ;   in Loop: Header=BB752_6 Depth=1
	v_lshrrev_b32_e32 v88, 3, v86
	v_and_b32_e32 v88, 6, v88
	v_xor_b32_e32 v87, v88, v87
	v_lshlrev_b32_e32 v87, 2, v87
	v_and_b32_e32 v86, 8, v86
	v_xor_b32_e32 v89, 0x440, v87
	v_cmp_eq_u32_e32 vcc, 0, v86
	s_barrier
	s_nop 0
	v_cndmask_b32_e32 v86, v89, v87, vcc
	v_lshl_or_b32 v86, v88, 10, v86
	s_waitcnt vmcnt(2)
	v_perm_b32 v87, v30, v26, s56
	s_waitcnt vmcnt(1)
	v_perm_b32 v88, v22, v18, s56
	ds_write2st64_b32 v86, v87, v88 offset1:32
	v_xor_b32_e32 v87, 8, v86
	v_perm_b32 v26, v30, v26, s57
	v_perm_b32 v18, v22, v18, s57
	v_add_u32_e32 v22, 0x80, v87
	ds_write2st64_b32 v22, v26, v18 offset1:32
	v_xor_b32_e32 v18, 16, v86
	v_perm_b32 v22, v31, v27, s56
	v_perm_b32 v26, v23, v19, s56
	ds_write2st64_b32 v18, v22, v26 offset0:1 offset1:33
	v_xor_b32_e32 v18, 24, v86
	v_perm_b32 v22, v31, v27, s57
	v_perm_b32 v19, v23, v19, s57
	v_add_u32_e32 v18, 0x80, v18
	ds_write2st64_b32 v18, v22, v19 offset0:1 offset1:33
	v_xor_b32_e32 v18, 32, v86
	v_perm_b32 v19, v32, v28, s56
	v_perm_b32 v22, v24, v20, s56
	ds_write2st64_b32 v18, v19, v22 offset0:2 offset1:34
	v_xor_b32_e32 v18, 40, v86
	v_perm_b32 v19, v32, v28, s57
	v_perm_b32 v20, v24, v20, s57
	v_add_u32_e32 v18, 0x80, v18
	ds_write2st64_b32 v18, v19, v20 offset0:2 offset1:34
	;; [unrolled: 9-line block ×3, first 2 shown]
	ds_write_b64 v85, v[14:15] offset:16384
	v_xor_b32_e32 v14, 8, v85
	ds_write_b64 v14, v[16:17] offset:16384
	ds_write_b64 v85, v[10:11] offset:24576
	;; [unrolled: 1-line block ×4, first 2 shown]
	v_xor_b32_e32 v6, 8, v84
	ds_write_b64 v6, v[8:9] offset:16384
	ds_write_b64 v84, v[2:3] offset:24576
	ds_write_b64 v6, v[4:5] offset:24576
.LBB752_16:                             ;   in Loop: Header=BB752_6 Depth=1
	v_mul_f32_e32 v2, s20, v77
	v_exp_f32_e32 v2, v2
	s_nop 1
	v_accvgpr_read_b32 v3, a0
	v_accvgpr_read_b32 v4, a1
	s_add_i32 s55, s55, 64
	v_fma_f32 v35, v35, v2, v3
	v_accvgpr_read_b32 v3, a2
	v_fma_f32 v61, v61, v2, v3
	v_accvgpr_read_b32 v3, a4
	;; [unrolled: 2-line block ×6, first 2 shown]
	v_fmac_f32_e32 v4, v83, v2
	s_cmp_eq_u32 s46, s35
	v_fmac_f32_e32 v3, v82, v2
	s_cbranch_scc1 .LBB752_18
; %bb.17:                               ;   in Loop: Header=BB752_6 Depth=1
	s_mov_b32 s60, s35
	v_mov_b32_e32 v83, v4
	v_mov_b32_e32 v82, v3
	s_branch .LBB752_6
.LBB752_18:
	s_lshl_b32 s40, s46, 6
	s_sub_i32 s41, s12, s40
	s_cmp_gt_i32 s41, 0
	s_cbranch_scc0 .LBB752_75
; %bb.19:
	s_ashr_i32 s35, s45, 31
	s_ashr_i32 s2, s40, 31
	s_cmpk_lg_i32 s15, 0x80
	s_cselect_b64 s[26:27], -1, 0
	s_and_b64 vcc, exec, s[26:27]
	s_cbranch_vccz .LBB752_21
; %bb.20:
	s_mul_i32 s1, s45, s12
	s_mul_hi_i32 s0, s45, s12
	s_add_u32 s1, s1, s40
	s_addc_u32 s0, s0, s2
	s_mul_i32 s3, s1, s47
	s_mul_hi_u32 s20, s1, s14
	s_add_i32 s3, s20, s3
	s_mul_i32 s0, s0, s14
	s_add_i32 s3, s3, s0
	s_mul_i32 s1, s1, s14
	s_ashr_i32 s0, s50, 31
	s_add_u32 s38, s1, s50
	s_addc_u32 s39, s3, s0
	s_cbranch_execz .LBB752_22
	s_branch .LBB752_23
.LBB752_21:
                                        ; implicit-def: $sgpr38_sgpr39
.LBB752_22:
	s_mul_hi_i32 s0, s45, s14
	s_mul_i32 s45, s45, s14
	s_ashr_i32 s1, s50, 31
	s_add_u32 s3, s45, s50
	s_addc_u32 s0, s0, s1
	s_mul_i32 s1, s3, s44
	s_mul_hi_u32 s14, s3, s12
	s_add_i32 s1, s14, s1
	s_mul_i32 s0, s0, s12
	s_add_i32 s1, s1, s0
	s_mul_i32 s3, s3, s12
	s_add_u32 s38, s3, s40
	s_addc_u32 s39, s1, s2
.LBB752_23:
	s_add_i32 s3, s48, s46
	s_ashr_i32 s14, s33, 31
	s_add_u32 s0, s43, s33
	s_addc_u32 s1, s49, s14
	s_mul_i32 s20, s0, s44
	s_mul_hi_u32 s21, s0, s12
	s_add_i32 s20, s21, s20
	s_mul_i32 s1, s1, s12
	s_add_i32 s20, s20, s1
	s_mul_i32 s0, s0, s12
	s_add_u32 s0, s0, s40
	s_addc_u32 s1, s20, s2
	s_mov_b32 s2, 0x7060302
	v_lshlrev_b32_e32 v6, 3, v1
	v_perm_b32 v5, v4, v61, s2
	v_perm_b32 v4, v60, v35, s2
	;; [unrolled: 1-line block ×4, first 2 shown]
	v_lshlrev_b32_e32 v34, 2, v1
	v_lshl_or_b32 v6, v46, 5, v6
	s_lshl_b64 s[24:25], s[0:1], 8
	ds_write2st64_b64 v6, v[4:5], v[2:3] offset0:72 offset1:76
	v_xor_b32_e32 v6, v46, v34
	v_lshlrev_b32_e32 v7, 8, v1
	s_add_u32 s0, s6, s24
	v_lshl_or_b32 v6, v6, 1, v7
	s_addc_u32 s1, s7, s25
	ds_write_b64 v6, v[4:5] offset:32768
	v_xor_b32_e32 v4, v47, v34
	s_mul_hi_i32 s6, s3, s13
	s_mul_i32 s3, s3, s13
	v_lshl_or_b32 v4, v4, 1, v7
	s_add_u32 s2, s3, s33
	ds_write_b64 v4, v[2:3] offset:32768
	s_addc_u32 s3, s6, s14
	v_lshlrev_b32_e32 v3, 1, v1
	v_lshrrev_b32_e32 v2, 4, v0
	s_ashr_i32 s31, s30, 31
	s_lshl_b64 s[2:3], s[2:3], 15
	v_or_b32_e32 v4, 1, v3
	s_add_u32 s6, s36, s2
	v_xor_b32_e32 v3, v2, v3
	v_xor_b32_e32 v4, v4, v2
	v_lshlrev_b32_e32 v6, 8, v2
	s_addc_u32 s7, s37, s3
	s_lshl_b64 s[2:3], s[30:31], 8
	v_lshl_or_b32 v2, v3, 3, v6
	v_lshl_or_b32 v4, v4, 3, v6
	s_waitcnt lgkmcnt(0)
	s_barrier
	s_add_u32 s2, s6, s2
	ds_read_b64 v[2:3], v2 offset:32768
	ds_read_b64 v[4:5], v4 offset:32768
	s_addc_u32 s3, s7, s3
	v_mov_b32_e32 v7, 0
	s_cmp_lg_u32 s41, 64
	v_lshl_add_u64 v[8:9], s[2:3], 0, v[6:7]
	v_lshlrev_b32_e32 v6, 4, v1
	s_cselect_b64 s[6:7], -1, 0
	v_lshl_or_b32 v35, v42, 3, v45
	s_mov_b32 s20, 0
	v_lshl_add_u64 v[6:7], v[8:9], 0, v[6:7]
	s_waitcnt vmcnt(1)
	v_or_b32_e32 v19, 32, v35
	v_and_b32_e32 v18, 56, v44
	s_and_b64 vcc, exec, s[6:7]
	s_waitcnt lgkmcnt(0)
	global_store_dwordx4 v[6:7], v[2:5], off
	s_cbranch_vccz .LBB752_29
; %bb.24:
	s_mov_b32 s21, s20
	s_mov_b32 s22, s20
	;; [unrolled: 1-line block ×3, first 2 shown]
	v_mov_b64_e32 v[6:7], s[20:21]
	v_mov_b64_e32 v[8:9], s[22:23]
	;; [unrolled: 1-line block ×3, first 2 shown]
	v_cmp_gt_i32_e32 vcc, s41, v35
	v_mov_b64_e32 v[4:5], v[8:9]
	s_and_saveexec_b64 s[2:3], vcc
	s_cbranch_execz .LBB752_26
; %bb.25:
	v_lshlrev_b32_e32 v2, 8, v35
	v_mov_b32_e32 v3, 0
	v_lshl_add_u64 v[4:5], s[0:1], 0, v[2:3]
	v_lshlrev_b32_e32 v2, 1, v18
	v_lshl_add_u64 v[10:11], v[4:5], 0, v[2:3]
	global_load_dwordx4 v[6:9], v[10:11], off
	global_load_dwordx4 v[2:5], v[10:11], off offset:128
.LBB752_26:
	s_or_b64 exec, exec, s[2:3]
	s_mov_b32 s21, s20
	s_mov_b32 s22, s20
	;; [unrolled: 1-line block ×3, first 2 shown]
	v_mov_b64_e32 v[14:15], s[20:21]
	v_mov_b64_e32 v[16:17], s[22:23]
	;; [unrolled: 1-line block ×3, first 2 shown]
	v_cmp_gt_i32_e32 vcc, s41, v19
	v_lshlrev_b32_e32 v20, 7, v19
	v_mov_b64_e32 v[12:13], v[16:17]
	s_and_saveexec_b64 s[2:3], vcc
	s_cbranch_execz .LBB752_28
; %bb.27:
	v_lshlrev_b32_e32 v10, 1, v20
	v_mov_b32_e32 v11, 0
	v_lshl_add_u64 v[12:13], s[0:1], 0, v[10:11]
	v_lshlrev_b32_e32 v10, 1, v18
	v_lshl_add_u64 v[22:23], v[12:13], 0, v[10:11]
	global_load_dwordx4 v[14:17], v[22:23], off
	global_load_dwordx4 v[10:13], v[22:23], off offset:128
.LBB752_28:
	s_or_b64 exec, exec, s[2:3]
	v_lshrrev_b32_e32 v21, 3, v18
	v_lshlrev_b32_e32 v22, 3, v35
	v_or_b32_e32 v21, v22, v21
	v_lshlrev_b32_e32 v21, 4, v21
	v_and_b32_e32 v22, 0x78, v22
	v_xor_b32_e32 v21, v21, v22
	s_branch .LBB752_31
.LBB752_29:
                                        ; implicit-def: $vgpr21
                                        ; implicit-def: $vgpr20
                                        ; implicit-def: $vgpr6_vgpr7_vgpr8_vgpr9
                                        ; implicit-def: $vgpr2_vgpr3_vgpr4_vgpr5
                                        ; implicit-def: $vgpr14_vgpr15_vgpr16_vgpr17
                                        ; implicit-def: $vgpr10_vgpr11_vgpr12_vgpr13
	s_cbranch_execz .LBB752_31
; %bb.30:
	s_waitcnt vmcnt(0)
	v_lshlrev_b32_e32 v2, 1, v18
	v_lshl_or_b32 v20, v35, 8, v2
	s_and_b32 s1, s1, 0xffff
	s_mov_b32 s3, 0x20000
	s_movk_i32 s2, 0x4000
	v_lshl_or_b32 v21, v19, 8, v2
	s_movk_i32 s13, 0x80
	buffer_load_dwordx4 v[6:9], v20, s[0:3], 0 offen
	buffer_load_dwordx4 v[2:5], v20, s[0:3], s13 offen
	;; [unrolled: 1-line block ×4, first 2 shown]
	v_lshrrev_b32_e32 v20, 3, v18
	v_lshlrev_b32_e32 v21, 3, v35
	v_or_b32_e32 v20, v21, v20
	v_lshlrev_b32_e32 v20, 4, v20
	v_and_b32_e32 v21, 0x78, v21
	v_xor_b32_e32 v21, v20, v21
	v_lshlrev_b32_e32 v20, 7, v19
.LBB752_31:
	s_lshl_b64 s[0:1], s[38:39], 8
	s_add_u32 s4, s4, s0
	s_movk_i32 s0, 0x1000
	v_and_or_b32 v19, v20, s0, v21
	s_waitcnt vmcnt(1)
	ds_write_b64 v21, v[6:7] offset:16384
	v_xor_b32_e32 v6, 8, v21
	s_addc_u32 s5, s5, s1
	ds_write_b64 v6, v[8:9] offset:16384
	s_waitcnt vmcnt(0)
	ds_write_b64 v21, v[2:3] offset:24576
	ds_write_b64 v6, v[4:5] offset:24576
	;; [unrolled: 1-line block ×3, first 2 shown]
	v_xor_b32_e32 v2, 8, v19
	s_add_i32 s0, s42, s17
	s_mul_i32 s35, s35, s16
	ds_write_b64 v2, v[16:17] offset:16384
	ds_write_b64 v19, v[10:11] offset:24576
	;; [unrolled: 1-line block ×3, first 2 shown]
	s_add_i32 s35, s0, s35
	s_mul_i32 s0, s33, s19
	s_mul_hi_u32 s1, s33, s18
	v_or_b32_e32 v2, v40, v1
	s_add_i32 s0, s1, s0
	s_mul_i32 s1, s14, s18
	v_lshlrev_b32_e32 v2, 3, v2
	v_lshrrev_b32_e32 v4, 5, v41
	s_movk_i32 s14, 0xf8
	v_and_or_b32 v4, v2, s14, v4
	v_lshlrev_b32_e32 v3, 11, v42
	v_lshlrev_b32_e32 v12, 4, v4
	v_and_b32_e32 v13, 0x78, v2
	v_and_b32_e32 v14, 0x1000, v3
	v_lshlrev_b32_e32 v3, 2, v0
	v_xor_b32_e32 v2, v12, v13
	v_lshrrev_b32_e32 v4, 1, v41
	v_and_b32_e32 v3, 60, v3
	v_or_b32_e32 v2, v2, v14
	v_and_b32_e32 v15, 8, v4
	v_xor_b32_e32 v26, v2, v15
	v_lshl_or_b32 v2, v43, 6, v3
	v_lshlrev_b32_e32 v19, 1, v2
	v_or_b32_e32 v2, 32, v12
	v_xor_b32_e32 v2, v2, v13
	s_waitcnt lgkmcnt(0)
	s_barrier
	ds_read_b64 v[10:11], v26 offset:16384
	v_or_b32_e32 v2, v2, v14
	v_xor_b32_e32 v27, v2, v15
	v_or_b32_e32 v2, 64, v12
	v_xor_b32_e32 v2, v2, v13
	v_or_b32_e32 v2, v2, v14
	v_or_b32_e32 v12, 0x60, v12
	v_xor_b32_e32 v28, v2, v15
	ds_read2st64_b64 v[2:5], v19 offset0:72 offset1:73
	ds_read2st64_b64 v[6:9], v19 offset0:74 offset1:75
	v_xor_b32_e32 v16, v12, v13
	ds_read_b64 v[12:13], v27 offset:16384
	s_waitcnt lgkmcnt(2)
	v_mfma_f32_16x16x16_bf16 a[0:3], v[10:11], v[2:3], 0
	s_add_i32 s2, s12, -1
	s_ashr_i32 s3, s2, 31
	s_mul_i32 s12, s2, s29
	s_mul_hi_u32 s13, s2, s28
	s_add_i32 s12, s13, s12
	s_mul_i32 s3, s3, s28
	v_or_b32_e32 v14, v16, v14
	s_add_i32 s1, s0, s1
	s_add_i32 s3, s12, s3
	s_lshl_b64 s[12:13], s[34:35], 2
	v_xor_b32_e32 v36, v14, v15
	ds_read_b64 v[14:15], v28 offset:16384
	ds_read_b64 v[16:17], v36 offset:16384
	s_waitcnt lgkmcnt(2)
	v_mfma_f32_16x16x16_bf16 a[0:3], v[12:13], v[4:5], a[0:3]
	s_mul_i32 s0, s33, s18
	s_add_u32 s10, s10, s12
	s_addc_u32 s11, s11, s13
	s_lshl_b64 s[0:1], s[0:1], 2
	s_mul_i32 s2, s2, s28
	s_add_u32 s10, s10, s0
	s_addc_u32 s11, s11, s1
	s_lshl_b64 s[0:1], s[2:3], 2
	s_waitcnt lgkmcnt(1)
	v_mfma_f32_16x16x16_bf16 a[0:3], v[14:15], v[6:7], a[0:3]
	s_add_u32 s0, s10, s0
	s_addc_u32 s1, s11, s1
	s_load_dword s12, s[0:1], 0x0
	s_waitcnt lgkmcnt(0)
	v_mfma_f32_16x16x16_bf16 a[0:3], v[16:17], v[8:9], a[0:3]
	s_and_b64 vcc, exec, s[26:27]
	s_cbranch_vccz .LBB752_42
; %bb.32:
	v_lshlrev_b32_e32 v20, 1, v35
	s_and_b64 vcc, exec, s[6:7]
	s_cbranch_vccz .LBB752_43
; %bb.33:
	v_cmp_gt_i32_e32 vcc, s41, v20
	v_mov_b32_e32 v6, 0
	v_mov_b32_e32 v2, 0
	;; [unrolled: 1-line block ×5, first 2 shown]
	s_and_saveexec_b64 s[0:1], vcc
	s_cbranch_execz .LBB752_35
; %bb.34:
	v_mad_i64_i32 v[2:3], s[2:3], s15, v20, 0
	v_lshl_add_u64 v[2:3], v[2:3], 1, s[4:5]
	v_lshlrev_b32_e32 v4, 1, v18
	v_mov_b32_e32 v5, 0
	v_lshl_add_u64 v[2:3], v[2:3], 0, v[4:5]
	global_load_dwordx4 v[2:5], v[2:3], off
.LBB752_35:
	s_or_b64 exec, exec, s[0:1]
	v_or_b32_e32 v21, 1, v20
	v_cmp_gt_i32_e64 s[0:1], s41, v21
	v_mov_b32_e32 v7, 0
	v_mov_b32_e32 v8, 0
	;; [unrolled: 1-line block ×3, first 2 shown]
	s_and_saveexec_b64 s[2:3], s[0:1]
	s_cbranch_execz .LBB752_37
; %bb.36:
	v_mad_i64_i32 v[6:7], s[16:17], s15, v21, 0
	v_lshl_add_u64 v[6:7], v[6:7], 1, s[4:5]
	v_lshlrev_b32_e32 v8, 1, v18
	v_mov_b32_e32 v9, 0
	v_lshl_add_u64 v[6:7], v[6:7], 0, v[8:9]
	global_load_dwordx4 v[6:9], v[6:7], off
.LBB752_37:
	s_or_b64 exec, exec, s[2:3]
	v_mov_b32_e32 v17, 0
	v_mov_b32_e32 v10, 0
	;; [unrolled: 1-line block ×5, first 2 shown]
	s_and_saveexec_b64 s[2:3], vcc
	s_cbranch_execz .LBB752_39
; %bb.38:
	v_mad_i64_i32 v[10:11], s[16:17], s15, v20, 0
	v_lshl_add_u64 v[10:11], v[10:11], 1, s[4:5]
	v_lshlrev_b32_e32 v12, 1, v18
	v_mov_b32_e32 v13, 0
	v_lshl_add_u64 v[10:11], v[10:11], 0, v[12:13]
	global_load_dwordx4 v[10:13], v[10:11], off offset:128
.LBB752_39:
	s_or_b64 exec, exec, s[2:3]
	v_mov_b32_e32 v16, 0
	v_mov_b32_e32 v15, 0
	;; [unrolled: 1-line block ×3, first 2 shown]
	s_and_saveexec_b64 s[2:3], s[0:1]
	s_cbranch_execz .LBB752_41
; %bb.40:
	v_mad_i64_i32 v[14:15], s[0:1], s15, v21, 0
	v_lshl_add_u64 v[14:15], v[14:15], 1, s[4:5]
	v_lshlrev_b32_e32 v16, 1, v18
	v_mov_b32_e32 v17, 0
	v_lshl_add_u64 v[14:15], v[14:15], 0, v[16:17]
	global_load_dwordx4 v[14:17], v[14:15], off offset:128
.LBB752_41:
	s_or_b64 exec, exec, s[2:3]
	s_branch .LBB752_45
.LBB752_42:
                                        ; implicit-def: $vgpr5
                                        ; implicit-def: $vgpr9
                                        ; implicit-def: $vgpr13
                                        ; implicit-def: $vgpr17
	v_lshrrev_b32_e32 v37, 2, v41
	s_branch .LBB752_46
.LBB752_43:
                                        ; implicit-def: $vgpr5
                                        ; implicit-def: $vgpr9
                                        ; implicit-def: $vgpr13
                                        ; implicit-def: $vgpr17
	s_cbranch_execz .LBB752_45
; %bb.44:
	s_waitcnt vmcnt(0)
	v_mad_u64_u32 v[2:3], s[0:1], v20, s15, v[18:19]
	v_lshlrev_b32_e32 v20, 1, v2
	s_lshl_b32 s2, s15, 7
	s_and_b32 s1, s5, 0xffff
	s_mov_b32 s3, 0x20000
	s_mov_b32 s0, s4
	v_add_lshl_u32 v21, v2, s15, 1
	s_movk_i32 s13, 0x80
	buffer_load_dwordx4 v[2:5], v20, s[0:3], 0 offen
	buffer_load_dwordx4 v[10:13], v20, s[0:3], s13 offen
	;; [unrolled: 1-line block ×4, first 2 shown]
.LBB752_45:
	v_lshrrev_b32_e32 v37, 2, v41
	s_cbranch_execnz .LBB752_58
.LBB752_46:
	s_and_b64 vcc, exec, s[6:7]
	s_cbranch_vccz .LBB752_56
; %bb.47:
	s_waitcnt vmcnt(0)
	v_lshlrev_b32_e32 v7, 1, v35
	v_cmp_gt_i32_e32 vcc, s41, v7
	v_mov_b32_e32 v6, 0
	v_lshlrev_b32_e32 v14, 9, v35
	v_mov_b32_e32 v2, 0
	v_mov_b32_e32 v3, 0
	;; [unrolled: 1-line block ×4, first 2 shown]
	s_and_saveexec_b64 s[0:1], vcc
	s_cbranch_execz .LBB752_49
; %bb.48:
	v_mov_b32_e32 v15, 0
	v_lshl_add_u64 v[2:3], s[4:5], 0, v[14:15]
	v_lshlrev_b32_e32 v4, 1, v18
	v_mov_b32_e32 v5, v15
	v_lshl_add_u64 v[2:3], v[2:3], 0, v[4:5]
	global_load_dwordx4 v[2:5], v[2:3], off
.LBB752_49:
	s_or_b64 exec, exec, s[0:1]
	v_or_b32_e32 v7, 1, v7
	v_cmp_gt_i32_e64 s[0:1], s41, v7
	v_lshlrev_b32_e32 v20, 8, v7
	v_mov_b32_e32 v7, 0
	v_mov_b32_e32 v8, 0
	;; [unrolled: 1-line block ×3, first 2 shown]
	s_and_saveexec_b64 s[2:3], s[0:1]
	s_cbranch_execz .LBB752_51
; %bb.50:
	v_mov_b32_e32 v21, 0
	v_lshl_add_u64 v[6:7], s[4:5], 0, v[20:21]
	v_lshlrev_b32_e32 v8, 1, v18
	v_mov_b32_e32 v9, v21
	v_lshl_add_u64 v[6:7], v[6:7], 0, v[8:9]
	global_load_dwordx4 v[6:9], v[6:7], off
.LBB752_51:
	s_or_b64 exec, exec, s[2:3]
	v_mov_b32_e32 v17, 0
	v_mov_b32_e32 v10, 0
	;; [unrolled: 1-line block ×5, first 2 shown]
	s_and_saveexec_b64 s[2:3], vcc
	s_cbranch_execz .LBB752_53
; %bb.52:
	v_mov_b32_e32 v15, 0
	v_lshl_add_u64 v[10:11], s[4:5], 0, v[14:15]
	v_lshlrev_b32_e32 v14, 1, v18
	v_lshl_add_u64 v[10:11], v[10:11], 0, v[14:15]
	global_load_dwordx4 v[10:13], v[10:11], off offset:128
.LBB752_53:
	s_or_b64 exec, exec, s[2:3]
	v_mov_b32_e32 v16, 0
	v_mov_b32_e32 v15, 0
	;; [unrolled: 1-line block ×3, first 2 shown]
	s_and_saveexec_b64 s[2:3], s[0:1]
	s_cbranch_execz .LBB752_55
; %bb.54:
	v_mov_b32_e32 v21, 0
	v_lshl_add_u64 v[14:15], s[4:5], 0, v[20:21]
	v_lshlrev_b32_e32 v20, 1, v18
	v_lshl_add_u64 v[14:15], v[14:15], 0, v[20:21]
	global_load_dwordx4 v[14:17], v[14:15], off offset:128
.LBB752_55:
	s_or_b64 exec, exec, s[2:3]
	s_branch .LBB752_58
.LBB752_56:
                                        ; implicit-def: $vgpr5
                                        ; implicit-def: $vgpr9
                                        ; implicit-def: $vgpr13
                                        ; implicit-def: $vgpr17
	s_cbranch_execz .LBB752_58
; %bb.57:
	s_waitcnt vmcnt(0)
	v_lshlrev_b32_e32 v2, 1, v18
	v_lshl_or_b32 v18, v35, 9, v2
	s_and_b32 s5, s5, 0xffff
	s_mov_b32 s7, 0x20000
	s_movk_i32 s6, 0x4000
	s_movk_i32 s0, 0x80
	buffer_load_dwordx4 v[2:5], v18, s[4:7], 0 offen
	buffer_load_dwordx4 v[6:9], v18, s[4:7], 0 offen offset:256
	buffer_load_dwordx4 v[10:13], v18, s[4:7], s0 offen
	buffer_load_dwordx4 v[14:17], v18, s[4:7], s0 offen offset:256
.LBB752_58:
	ds_read2st64_b64 v[22:25], v19 offset0:76 offset1:77
	ds_read2st64_b64 v[18:21], v19 offset0:78 offset1:79
	ds_read_b64 v[30:31], v26 offset:24576
	ds_read_b64 v[32:33], v27 offset:24576
	;; [unrolled: 1-line block ×4, first 2 shown]
	v_and_b32_e32 v36, 6, v0
	v_xor_b32_e32 v35, v35, v36
	v_lshlrev_b32_e32 v35, 2, v35
	v_and_b32_e32 v0, 1, v0
	v_xor_b32_e32 v38, 0x440, v35
	v_cmp_eq_u32_e32 vcc, 0, v0
	s_mov_b32 s0, 0x1000504
	s_mov_b32 s1, 0x3020706
	v_cndmask_b32_e32 v0, v38, v35, vcc
	v_lshl_or_b32 v0, v36, 10, v0
	s_waitcnt vmcnt(0)
	v_perm_b32 v35, v2, v6, s0
	v_perm_b32 v36, v10, v14, s0
	ds_write2st64_b32 v0, v35, v36 offset1:32
	v_xor_b32_e32 v35, 8, v0
	v_perm_b32 v2, v2, v6, s1
	v_perm_b32 v6, v10, v14, s1
	v_add_u32_e32 v10, 0x80, v35
	ds_write2st64_b32 v10, v2, v6 offset1:32
	v_xor_b32_e32 v2, 16, v0
	v_perm_b32 v6, v3, v7, s0
	v_perm_b32 v10, v11, v15, s0
	ds_write2st64_b32 v2, v6, v10 offset0:1 offset1:33
	v_xor_b32_e32 v2, 24, v0
	v_perm_b32 v3, v3, v7, s1
	v_perm_b32 v6, v11, v15, s1
	v_add_u32_e32 v2, 0x80, v2
	ds_write2st64_b32 v2, v3, v6 offset0:1 offset1:33
	v_xor_b32_e32 v2, 32, v0
	v_perm_b32 v3, v4, v8, s0
	v_perm_b32 v6, v12, v16, s0
	ds_write2st64_b32 v2, v3, v6 offset0:2 offset1:34
	v_xor_b32_e32 v2, 40, v0
	v_perm_b32 v3, v4, v8, s1
	v_perm_b32 v4, v12, v16, s1
	v_add_u32_e32 v2, 0x80, v2
	ds_write2st64_b32 v2, v3, v4 offset0:2 offset1:34
	v_xor_b32_e32 v2, 48, v0
	v_perm_b32 v3, v5, v9, s0
	v_perm_b32 v4, v13, v17, s0
	v_xor_b32_e32 v0, 56, v0
	v_and_or_b32 v6, v37, 12, v40
	ds_write2st64_b32 v2, v3, v4 offset0:3 offset1:35
	v_perm_b32 v2, v5, v9, s1
	v_perm_b32 v3, v13, v17, s1
	v_add_u32_e32 v0, 0x80, v0
	v_cmp_gt_i32_e32 vcc, s41, v6
	v_mov_b32_e32 v7, 0
	v_mov_b32_e32 v11, 0
	ds_write2st64_b32 v0, v2, v3 offset0:3 offset1:35
	s_and_saveexec_b64 s[0:1], vcc
	s_cbranch_execz .LBB752_60
; %bb.59:
	v_add_u32_e32 v0, s40, v6
	v_ashrrev_i32_e32 v2, 31, v0
	v_mul_lo_u32 v4, v2, s28
	v_mul_lo_u32 v5, v0, s29
	v_mad_u64_u32 v[2:3], s[2:3], v0, s28, 0
	v_add3_u32 v3, v3, v5, v4
	v_lshl_add_u64 v[2:3], v[2:3], 2, s[10:11]
	global_load_dword v0, v[2:3], off
	s_waitcnt vmcnt(0)
	v_sub_f32_e32 v0, s12, v0
	v_mul_f32_e32 v0, 0x3fb8aa3b, v0
	v_exp_f32_e32 v11, v0
.LBB752_60:
	s_or_b64 exec, exec, s[0:1]
	v_or_b32_e32 v9, 1, v6
	v_cmp_gt_i32_e64 s[0:1], s41, v9
	s_and_saveexec_b64 s[2:3], s[0:1]
	s_cbranch_execz .LBB752_62
; %bb.61:
	v_add_u32_e32 v0, s40, v9
	v_ashrrev_i32_e32 v2, 31, v0
	v_mul_lo_u32 v4, v2, s28
	v_mul_lo_u32 v5, v0, s29
	v_mad_u64_u32 v[2:3], s[4:5], v0, s28, 0
	v_add3_u32 v3, v3, v5, v4
	v_lshl_add_u64 v[2:3], v[2:3], 2, s[10:11]
	global_load_dword v0, v[2:3], off
	s_waitcnt vmcnt(0)
	v_sub_f32_e32 v0, s12, v0
	v_mul_f32_e32 v0, 0x3fb8aa3b, v0
	v_exp_f32_e32 v7, v0
.LBB752_62:
	s_or_b64 exec, exec, s[2:3]
	v_or_b32_e32 v10, 2, v6
	v_cmp_gt_i32_e64 s[2:3], s41, v10
	v_mov_b32_e32 v8, 0
	v_mov_b32_e32 v13, 0
	s_and_saveexec_b64 s[4:5], s[2:3]
	s_cbranch_execz .LBB752_64
; %bb.63:
	v_add_u32_e32 v0, s40, v10
	v_ashrrev_i32_e32 v2, 31, v0
	v_mul_lo_u32 v4, v2, s28
	v_mul_lo_u32 v5, v0, s29
	v_mad_u64_u32 v[2:3], s[6:7], v0, s28, 0
	v_add3_u32 v3, v3, v5, v4
	v_lshl_add_u64 v[2:3], v[2:3], 2, s[10:11]
	global_load_dword v0, v[2:3], off
	s_waitcnt vmcnt(0)
	v_sub_f32_e32 v0, s12, v0
	v_mul_f32_e32 v0, 0x3fb8aa3b, v0
	v_exp_f32_e32 v13, v0
.LBB752_64:
	s_or_b64 exec, exec, s[4:5]
	v_or_b32_e32 v12, 3, v6
	v_cmp_gt_i32_e64 s[4:5], s41, v12
	s_and_saveexec_b64 s[6:7], s[4:5]
	s_cbranch_execz .LBB752_66
; %bb.65:
	v_add_u32_e32 v0, s40, v12
	v_ashrrev_i32_e32 v2, 31, v0
	v_mul_lo_u32 v4, v2, s28
	v_mul_lo_u32 v5, v0, s29
	v_mad_u64_u32 v[2:3], s[14:15], v0, s28, 0
	v_add3_u32 v3, v3, v5, v4
	v_lshl_add_u64 v[2:3], v[2:3], 2, s[10:11]
	global_load_dword v0, v[2:3], off
	s_waitcnt vmcnt(0)
	v_sub_f32_e32 v0, s12, v0
	v_mul_f32_e32 v0, 0x3fb8aa3b, v0
	v_exp_f32_e32 v8, v0
.LBB752_66:
	s_or_b64 exec, exec, s[6:7]
	s_waitcnt lgkmcnt(11)
	v_mfma_f32_16x16x16_bf16 a[0:3], v[30:31], v[22:23], a[0:3]
	v_or_b32_e32 v0, s30, v1
	s_add_u32 s6, s8, s24
	s_addc_u32 s7, s9, s25
	s_waitcnt lgkmcnt(10)
	v_mfma_f32_16x16x16_bf16 a[0:3], v[32:33], v[24:25], a[0:3]
	v_ashrrev_i32_e32 v1, 31, v0
	v_lshl_add_u64 v[4:5], v[0:1], 1, s[6:7]
	v_mov_b32_e32 v14, 0
	s_waitcnt lgkmcnt(9)
	v_mfma_f32_16x16x16_bf16 a[0:3], v[28:29], v[18:19], a[0:3]
	v_mov_b32_e32 v15, 0
	s_waitcnt lgkmcnt(8)
	v_mfma_f32_16x16x16_bf16 a[0:3], v[26:27], v[20:21], a[0:3]
	s_nop 6
	v_accvgpr_read_b32 v0, a0
	v_accvgpr_read_b32 v1, a1
	;; [unrolled: 1-line block ×4, first 2 shown]
	s_and_saveexec_b64 s[6:7], vcc
	s_cbranch_execz .LBB752_68
; %bb.67:
	v_lshlrev_b32_e32 v16, 8, v6
	v_mov_b32_e32 v17, 0
	v_lshl_add_u64 v[16:17], v[4:5], 0, v[16:17]
	global_load_ushort v15, v[16:17], off
	s_waitcnt vmcnt(0)
	v_lshlrev_b32_e32 v15, 16, v15
	v_sub_f32_e32 v0, v15, v0
	v_mul_f32_e32 v0, v11, v0
	v_lshrrev_b32_e32 v15, 16, v0
.LBB752_68:
	s_or_b64 exec, exec, s[6:7]
	s_and_saveexec_b64 s[6:7], s[0:1]
	s_cbranch_execz .LBB752_70
; %bb.69:
	v_lshlrev_b32_e32 v16, 8, v9
	v_mov_b32_e32 v17, 0
	v_lshl_add_u64 v[16:17], v[4:5], 0, v[16:17]
	global_load_ushort v0, v[16:17], off
	s_waitcnt vmcnt(0)
	v_lshlrev_b32_e32 v0, 16, v0
	v_sub_f32_e32 v0, v0, v1
	v_mul_f32_e32 v0, v7, v0
	v_lshrrev_b32_e32 v14, 16, v0
.LBB752_70:
	s_or_b64 exec, exec, s[6:7]
	v_mov_b32_e32 v0, 0
	v_mov_b32_e32 v1, 0
	s_and_saveexec_b64 s[0:1], s[2:3]
	s_cbranch_execz .LBB752_72
; %bb.71:
	v_lshlrev_b32_e32 v10, 8, v10
	v_mov_b32_e32 v11, 0
	v_lshl_add_u64 v[10:11], v[4:5], 0, v[10:11]
	global_load_ushort v1, v[10:11], off
	s_waitcnt vmcnt(0)
	v_lshlrev_b32_e32 v1, 16, v1
	v_sub_f32_e32 v1, v1, v2
	v_mul_f32_e32 v1, v13, v1
	v_lshrrev_b32_e32 v1, 16, v1
.LBB752_72:
	s_or_b64 exec, exec, s[0:1]
	s_and_saveexec_b64 s[0:1], s[4:5]
	s_cbranch_execz .LBB752_74
; %bb.73:
	v_lshlrev_b32_e32 v10, 8, v12
	v_mov_b32_e32 v11, 0
	v_lshl_add_u64 v[4:5], v[4:5], 0, v[10:11]
	global_load_ushort v0, v[4:5], off
	s_waitcnt vmcnt(0)
	v_lshlrev_b32_e32 v0, 16, v0
	v_sub_f32_e32 v0, v0, v3
	v_mul_f32_e32 v0, v8, v0
	v_lshrrev_b32_e32 v0, 16, v0
.LBB752_74:
	s_or_b64 exec, exec, s[0:1]
	s_mov_b32 s0, 0x5040100
	v_lshlrev_b32_e32 v2, 1, v34
	v_perm_b32 v1, v0, v1, s0
	v_perm_b32 v0, v14, v15, s0
	v_lshl_or_b32 v2, v6, 5, v2
	ds_write_b64 v2, v[0:1] offset:38912
	s_waitcnt lgkmcnt(0)
	s_barrier
.LBB752_75:
	s_endpgm
	.section	.rodata,"a",@progbits
	.p2align	6, 0x0
	.amdhsa_kernel _ZN12_GLOBAL__N_139chunk_gated_delta_rule_fwd_h_hip_kernelILi16ELb0ELb0ELb0ELb0ELb0ELb0ELb1ELb0EEEvPK12hip_bfloat16S3_S3_PKfS5_PKvPS1_S8_PvPKiSB_iiiiilll
		.amdhsa_group_segment_fixed_size 40960
		.amdhsa_private_segment_fixed_size 0
		.amdhsa_kernarg_size 136
		.amdhsa_user_sgpr_count 2
		.amdhsa_user_sgpr_dispatch_ptr 0
		.amdhsa_user_sgpr_queue_ptr 0
		.amdhsa_user_sgpr_kernarg_segment_ptr 1
		.amdhsa_user_sgpr_dispatch_id 0
		.amdhsa_user_sgpr_kernarg_preload_length 0
		.amdhsa_user_sgpr_kernarg_preload_offset 0
		.amdhsa_user_sgpr_private_segment_size 0
		.amdhsa_uses_dynamic_stack 0
		.amdhsa_enable_private_segment 0
		.amdhsa_system_sgpr_workgroup_id_x 1
		.amdhsa_system_sgpr_workgroup_id_y 1
		.amdhsa_system_sgpr_workgroup_id_z 0
		.amdhsa_system_sgpr_workgroup_info 0
		.amdhsa_system_vgpr_workitem_id 0
		.amdhsa_next_free_vgpr 116
		.amdhsa_next_free_sgpr 61
		.amdhsa_accum_offset 108
		.amdhsa_reserve_vcc 1
		.amdhsa_float_round_mode_32 0
		.amdhsa_float_round_mode_16_64 0
		.amdhsa_float_denorm_mode_32 3
		.amdhsa_float_denorm_mode_16_64 3
		.amdhsa_dx10_clamp 1
		.amdhsa_ieee_mode 1
		.amdhsa_fp16_overflow 0
		.amdhsa_tg_split 0
		.amdhsa_exception_fp_ieee_invalid_op 0
		.amdhsa_exception_fp_denorm_src 0
		.amdhsa_exception_fp_ieee_div_zero 0
		.amdhsa_exception_fp_ieee_overflow 0
		.amdhsa_exception_fp_ieee_underflow 0
		.amdhsa_exception_fp_ieee_inexact 0
		.amdhsa_exception_int_div_zero 0
	.end_amdhsa_kernel
	.section	.text._ZN12_GLOBAL__N_139chunk_gated_delta_rule_fwd_h_hip_kernelILi16ELb0ELb0ELb0ELb0ELb0ELb0ELb1ELb0EEEvPK12hip_bfloat16S3_S3_PKfS5_PKvPS1_S8_PvPKiSB_iiiiilll,"axG",@progbits,_ZN12_GLOBAL__N_139chunk_gated_delta_rule_fwd_h_hip_kernelILi16ELb0ELb0ELb0ELb0ELb0ELb0ELb1ELb0EEEvPK12hip_bfloat16S3_S3_PKfS5_PKvPS1_S8_PvPKiSB_iiiiilll,comdat
.Lfunc_end752:
	.size	_ZN12_GLOBAL__N_139chunk_gated_delta_rule_fwd_h_hip_kernelILi16ELb0ELb0ELb0ELb0ELb0ELb0ELb1ELb0EEEvPK12hip_bfloat16S3_S3_PKfS5_PKvPS1_S8_PvPKiSB_iiiiilll, .Lfunc_end752-_ZN12_GLOBAL__N_139chunk_gated_delta_rule_fwd_h_hip_kernelILi16ELb0ELb0ELb0ELb0ELb0ELb0ELb1ELb0EEEvPK12hip_bfloat16S3_S3_PKfS5_PKvPS1_S8_PvPKiSB_iiiiilll
                                        ; -- End function
	.section	.AMDGPU.csdata,"",@progbits
; Kernel info:
; codeLenInByte = 7228
; NumSgprs: 67
; NumVgprs: 106
; NumAgprs: 8
; TotalNumVgprs: 116
; ScratchSize: 0
; MemoryBound: 0
; FloatMode: 240
; IeeeMode: 1
; LDSByteSize: 40960 bytes/workgroup (compile time only)
; SGPRBlocks: 8
; VGPRBlocks: 14
; NumSGPRsForWavesPerEU: 67
; NumVGPRsForWavesPerEU: 116
; AccumOffset: 108
; Occupancy: 1
; WaveLimiterHint : 1
; COMPUTE_PGM_RSRC2:SCRATCH_EN: 0
; COMPUTE_PGM_RSRC2:USER_SGPR: 2
; COMPUTE_PGM_RSRC2:TRAP_HANDLER: 0
; COMPUTE_PGM_RSRC2:TGID_X_EN: 1
; COMPUTE_PGM_RSRC2:TGID_Y_EN: 1
; COMPUTE_PGM_RSRC2:TGID_Z_EN: 0
; COMPUTE_PGM_RSRC2:TIDIG_COMP_CNT: 0
; COMPUTE_PGM_RSRC3_GFX90A:ACCUM_OFFSET: 26
; COMPUTE_PGM_RSRC3_GFX90A:TG_SPLIT: 0
	.section	.text._ZN12_GLOBAL__N_139chunk_gated_delta_rule_fwd_h_hip_kernelILi16ELb1ELb1ELb1ELb1ELb0ELb0ELb0ELb0EEEvPK12hip_bfloat16S3_S3_PKfS5_PKvPS1_S8_PvPKiSB_iiiiilll,"axG",@progbits,_ZN12_GLOBAL__N_139chunk_gated_delta_rule_fwd_h_hip_kernelILi16ELb1ELb1ELb1ELb1ELb0ELb0ELb0ELb0EEEvPK12hip_bfloat16S3_S3_PKfS5_PKvPS1_S8_PvPKiSB_iiiiilll,comdat
	.globl	_ZN12_GLOBAL__N_139chunk_gated_delta_rule_fwd_h_hip_kernelILi16ELb1ELb1ELb1ELb1ELb0ELb0ELb0ELb0EEEvPK12hip_bfloat16S3_S3_PKfS5_PKvPS1_S8_PvPKiSB_iiiiilll ; -- Begin function _ZN12_GLOBAL__N_139chunk_gated_delta_rule_fwd_h_hip_kernelILi16ELb1ELb1ELb1ELb1ELb0ELb0ELb0ELb0EEEvPK12hip_bfloat16S3_S3_PKfS5_PKvPS1_S8_PvPKiSB_iiiiilll
	.p2align	8
	.type	_ZN12_GLOBAL__N_139chunk_gated_delta_rule_fwd_h_hip_kernelILi16ELb1ELb1ELb1ELb1ELb0ELb0ELb0ELb0EEEvPK12hip_bfloat16S3_S3_PKfS5_PKvPS1_S8_PvPKiSB_iiiiilll,@function
_ZN12_GLOBAL__N_139chunk_gated_delta_rule_fwd_h_hip_kernelILi16ELb1ELb1ELb1ELb1ELb0ELb0ELb0ELb0EEEvPK12hip_bfloat16S3_S3_PKfS5_PKvPS1_S8_PvPKiSB_iiiiilll: ; @_ZN12_GLOBAL__N_139chunk_gated_delta_rule_fwd_h_hip_kernelILi16ELb1ELb1ELb1ELb1ELb0ELb0ELb0ELb0EEEvPK12hip_bfloat16S3_S3_PKfS5_PKvPS1_S8_PvPKiSB_iiiiilll
; %bb.0:
	s_load_dwordx4 s[20:23], s[0:1], 0x5c
	s_load_dwordx4 s[4:7], s[0:1], 0x48
	s_abs_i32 s9, s3
	s_ashr_i32 s8, s3, 31
	v_and_b32_e32 v56, 15, v0
	s_waitcnt lgkmcnt(0)
	s_abs_i32 s10, s21
	v_cvt_f32_u32_e32 v1, s10
	s_sub_i32 s12, 0, s10
	s_ashr_i32 s11, s21, 31
	s_xor_b32 s8, s8, s11
	v_rcp_iflag_f32_e32 v1, v1
	v_bfe_u32 v55, v0, 4, 2
	v_mov_b32_e32 v45, 0
	v_lshlrev_b32_e32 v57, 3, v0
	v_mul_f32_e32 v1, 0x4f7ffffe, v1
	v_cvt_u32_f32_e32 v1, v1
	s_nop 0
	v_readfirstlane_b32 s13, v1
	s_mul_i32 s12, s12, s13
	s_mul_hi_u32 s12, s13, s12
	s_add_i32 s13, s13, s12
	s_mul_hi_u32 s12, s9, s13
	s_mul_i32 s13, s12, s10
	s_sub_i32 s9, s9, s13
	s_add_i32 s14, s12, 1
	s_sub_i32 s13, s9, s10
	s_cmp_ge_u32 s9, s10
	s_cselect_b32 s12, s14, s12
	s_cselect_b32 s9, s13, s9
	s_add_i32 s13, s12, 1
	s_cmp_ge_u32 s9, s10
	s_cselect_b32 s9, s13, s12
	s_xor_b32 s9, s9, s8
	s_sub_i32 s24, s9, s8
	s_mul_i32 s12, s24, s21
	s_ashr_i32 s25, s24, 31
	s_sub_i32 s51, s3, s12
	s_lshl_b64 s[8:9], s[24:25], 2
	s_add_u32 s4, s4, s8
	s_addc_u32 s5, s5, s9
	s_add_u32 s26, s6, s8
	s_addc_u32 s27, s7, s9
	s_abs_i32 s3, s22
	v_cvt_f32_u32_e32 v1, s3
	s_load_dwordx2 s[38:39], s[4:5], 0x0
	s_sub_i32 s5, 0, s3
	s_lshl_b32 s2, s2, 4
	v_rcp_iflag_f32_e32 v1, v1
	v_or_b32_e32 v46, s2, v56
	s_waitcnt lgkmcnt(0)
	s_sub_i32 s54, s39, s38
	s_ashr_i32 s4, s54, 31
	v_mul_f32_e32 v1, 0x4f7ffffe, v1
	v_cvt_u32_f32_e32 v1, v1
	s_lshr_b32 s4, s4, 26
	s_add_i32 s4, s54, s4
	s_ashr_i32 s52, s4, 6
	v_readfirstlane_b32 s6, v1
	s_mul_i32 s5, s5, s6
	s_mul_hi_u32 s5, s6, s5
	s_add_i32 s6, s6, s5
	s_mul_hi_u32 s5, s10, s6
	s_mul_i32 s6, s5, s3
	s_ashr_i32 s4, s22, 31
	s_sub_i32 s6, s10, s6
	s_xor_b32 s4, s11, s4
	s_add_i32 s7, s5, 1
	s_sub_i32 s8, s6, s3
	s_cmp_ge_u32 s6, s3
	s_cselect_b32 s5, s7, s5
	s_cselect_b32 s6, s8, s6
	s_add_i32 s7, s5, 1
	s_cmp_ge_u32 s6, s3
	s_cselect_b32 s3, s7, s5
	s_xor_b32 s3, s3, s4
	s_sub_i32 s3, s3, s4
	s_abs_i32 s13, s3
	v_cvt_f32_u32_e32 v1, s13
	s_sub_i32 s15, 0, s13
	s_abs_i32 s14, s51
	s_xor_b32 s3, s51, s3
	v_rcp_iflag_f32_e32 v2, v1
	s_ashr_i32 s3, s3, 31
	s_load_dwordx8 s[4:11], s[0:1], 0x28
	v_lshrrev_b32_e32 v1, 6, v0
	v_mul_f32_e32 v2, 0x4f7ffffe, v2
	v_cvt_u32_f32_e32 v2, v2
	v_lshlrev_b32_e32 v54, 4, v1
	v_lshlrev_b32_e32 v42, 7, v46
	v_lshl_or_b32 v59, v55, 2, v54
	v_readfirstlane_b32 s16, v2
	s_mul_i32 s15, s15, s16
	s_mul_hi_u32 s15, s16, s15
	s_add_i32 s16, s16, s15
	s_mul_hi_u32 s15, s14, s16
	s_mul_i32 s16, s15, s13
	s_sub_i32 s14, s14, s16
	s_add_i32 s16, s15, 1
	s_sub_i32 s17, s14, s13
	s_cmp_ge_u32 s14, s13
	s_cselect_b32 s15, s16, s15
	s_cselect_b32 s14, s17, s14
	s_add_i32 s16, s15, 1
	s_cmp_ge_u32 s14, s13
	s_cselect_b32 s13, s16, s15
	s_xor_b32 s13, s13, s3
	s_sub_i32 s55, s13, s3
	s_ashr_i32 s53, s51, 31
	s_mul_hi_i32 s3, s24, s21
	s_add_u32 s12, s12, s51
	s_addc_u32 s13, s3, s53
	s_lshl_b64 s[34:35], s[12:13], 16
	s_waitcnt lgkmcnt(0)
	s_add_u32 s4, s4, s34
	s_addc_u32 s5, s5, s35
	v_ashrrev_i32_e32 v43, 31, v42
	v_lshl_add_u64 v[2:3], v[42:43], 2, s[4:5]
	v_lshlrev_b32_e32 v44, 2, v59
	v_lshl_add_u64 v[10:11], v[2:3], 0, v[44:45]
	global_load_dwordx4 v[2:5], v[10:11], off
	global_load_dwordx4 v[6:9], v[10:11], off offset:256
	s_load_dwordx8 s[12:19], s[0:1], 0x0
	s_load_dwordx2 s[36:37], s[0:1], 0x80
	s_load_dwordx4 s[28:31], s[0:1], 0x70
	s_load_dword s58, s[26:27], 0x0
	v_and_b32_e32 v45, 63, v0
	v_lshrrev_b32_e32 v58, 3, v45
	v_or_b32_e32 v60, 64, v59
	s_waitcnt lgkmcnt(0)
	s_mul_i32 s33, s24, s29
	s_mul_hi_u32 s46, s24, s28
	s_mul_i32 s42, s24, s28
	s_mul_i32 s47, s25, s28
	s_mul_hi_i32 s56, s51, s20
	s_mul_i32 s57, s51, s20
	s_mul_i32 s48, s51, s31
	s_mul_hi_u32 s49, s51, s30
	s_mul_i32 s50, s53, s30
	s_cmp_lt_i32 s54, 64
	s_mul_i32 s40, s51, s30
	s_waitcnt vmcnt(1)
	v_mov_b32_e32 v62, v5
	s_waitcnt vmcnt(0)
	v_mov_b32_e32 v61, v9
	s_cbranch_scc1 .LBB753_3
; %bb.1:
	s_ashr_i32 s1, s38, 31
	s_add_u32 s0, s57, s38
	s_addc_u32 s1, s56, s1
	s_lshl_b64 s[0:1], s[0:1], 8
	v_and_b32_e32 v64, 56, v57
	s_add_u32 s24, s14, s0
	v_lshl_or_b32 v63, v1, 3, v58
	v_lshlrev_b32_e32 v5, 1, v64
	s_addc_u32 s0, s15, s1
	v_lshl_or_b32 v65, v63, 8, v5
	s_and_b32 s25, s0, 0xffff
	s_mov_b32 s27, 0x20000
	s_movk_i32 s26, 0x4000
	s_movk_i32 s0, 0x80
	v_or_b32_e32 v66, 0x2000, v65
	buffer_load_dwordx4 v[10:13], v65, s[24:27], 0 offen
	buffer_load_dwordx4 v[14:17], v65, s[24:27], s0 offen
	;; [unrolled: 1-line block ×4, first 2 shown]
	v_lshlrev_b32_e32 v9, 3, v63
	v_and_or_b32 v27, v0, 7, v9
	v_and_b32_e32 v9, 0x78, v9
	v_lshlrev_b32_e32 v27, 4, v27
	v_xor_b32_e32 v67, v27, v9
	v_mul_lo_u32 v26, v63, s23
	v_or_b32_e32 v68, 0x1000, v67
	v_xor_b32_e32 v9, 8, v67
	s_cmpk_eq_i32 s23, 0x80
	s_mov_b32 s59, s38
	v_xor_b32_e32 v27, 8, v68
	s_cselect_b64 s[0:1], -1, 0
	s_cmpk_lg_i32 s23, 0x80
	s_waitcnt vmcnt(3)
	ds_write_b64 v67, v[10:11] offset:16384
	ds_write_b64 v9, v[12:13] offset:16384
	s_waitcnt vmcnt(2)
	ds_write_b64 v67, v[14:15] offset:24576
	ds_write_b64 v9, v[16:17] offset:24576
	s_waitcnt vmcnt(1)
	ds_write_b64 v67, v[18:19] offset:20480
	ds_write_b64 v27, v[20:21] offset:16384
	s_waitcnt vmcnt(0)
	ds_write_b64 v67, v[22:23] offset:28672
	ds_write_b64 v27, v[24:25] offset:24576
	v_lshl_add_u32 v9, v26, 1, v64
	s_cbranch_scc0 .LBB753_29
; %bb.2:
	v_lshlrev_b32_e32 v11, 1, v9
	v_add_lshl_u32 v10, v9, s23, 1
	s_lshl_b32 s26, s23, 7
	v_lshl_or_b32 v5, v63, 9, v5
	s_cbranch_execz .LBB753_30
	s_branch .LBB753_31
.LBB753_3:
	v_mov_b32_e32 v9, v61
	v_mov_b32_e32 v5, v62
.LBB753_4:
	s_lshl_b32 s31, s52, 6
	s_sub_i32 s30, s54, s31
	s_cmp_gt_i32 s30, 0
	s_cbranch_scc0 .LBB753_76
; %bb.5:
	s_add_i32 s31, s31, s38
	s_ashr_i32 s3, s31, 31
	s_cmpk_lg_i32 s23, 0x80
	s_cselect_b64 s[26:27], -1, 0
	s_and_b64 vcc, exec, s[26:27]
	s_cbranch_vccz .LBB753_7
; %bb.6:
	s_mul_i32 s1, s31, s22
	s_ashr_i32 s4, s55, 31
	s_mul_hi_i32 s0, s31, s22
	s_add_u32 s28, s1, s55
	s_addc_u32 s29, s0, s4
	s_cbranch_execz .LBB753_8
	s_branch .LBB753_9
.LBB753_7:
                                        ; implicit-def: $sgpr28_sgpr29
.LBB753_8:
	s_mul_i32 s1, s55, s20
	s_mul_hi_i32 s0, s55, s20
	s_add_u32 s28, s1, s31
	s_addc_u32 s29, s0, s3
.LBB753_9:
	s_add_i32 s4, s52, s58
	s_add_u32 s0, s57, s31
	s_addc_u32 s1, s56, s3
	s_mov_b32 s3, 0x7060302
	v_lshlrev_b32_e32 v14, 3, v56
	s_lshl_b64 s[24:25], s[0:1], 8
	v_perm_b32 v11, v5, v4, s3
	v_perm_b32 v10, v3, v2, s3
	;; [unrolled: 1-line block ×4, first 2 shown]
	v_lshlrev_b32_e32 v48, 2, v56
	v_lshl_or_b32 v14, v59, 5, v14
	s_add_u32 s0, s14, s24
	ds_write2st64_b64 v14, v[10:11], v[12:13] offset0:72 offset1:76
	v_xor_b32_e32 v14, v59, v48
	v_lshlrev_b32_e32 v15, 8, v56
	s_addc_u32 s1, s15, s25
	v_lshl_or_b32 v14, v14, 1, v15
	s_mul_hi_i32 s3, s4, s21
	s_mul_i32 s4, s4, s21
	ds_write_b64 v14, v[10:11] offset:32768
	v_xor_b32_e32 v10, v60, v48
	s_add_u32 s4, s4, s51
	v_lshl_or_b32 v10, v10, 1, v15
	s_addc_u32 s5, s3, s53
	v_lshlrev_b32_e32 v11, 1, v56
	ds_write_b64 v10, v[12:13] offset:32768
	v_lshrrev_b32_e32 v10, 4, v0
	s_ashr_i32 s3, s2, 31
	s_lshl_b64 s[4:5], s[4:5], 15
	v_or_b32_e32 v12, 1, v11
	s_add_u32 s4, s6, s4
	v_xor_b32_e32 v11, v10, v11
	v_xor_b32_e32 v12, v12, v10
	v_lshlrev_b32_e32 v14, 8, v10
	s_addc_u32 s5, s7, s5
	s_lshl_b64 s[2:3], s[2:3], 8
	v_lshl_or_b32 v10, v11, 3, v14
	v_lshl_or_b32 v12, v12, 3, v14
	s_waitcnt lgkmcnt(0)
	s_barrier
	s_add_u32 s2, s4, s2
	ds_read_b64 v[10:11], v10 offset:32768
	ds_read_b64 v[12:13], v12 offset:32768
	s_addc_u32 s3, s5, s3
	v_mov_b32_e32 v15, 0
	s_cmp_lg_u32 s30, 64
	v_lshl_add_u64 v[16:17], s[2:3], 0, v[14:15]
	v_lshlrev_b32_e32 v14, 4, v56
	s_cselect_b64 s[14:15], -1, 0
	v_lshl_or_b32 v47, v1, 3, v58
	s_mov_b32 s4, 0
	v_lshl_add_u64 v[14:15], v[16:17], 0, v[14:15]
	s_waitcnt vmcnt(1)
	v_or_b32_e32 v27, 32, v47
	v_and_b32_e32 v26, 56, v57
	s_and_b64 vcc, exec, s[14:15]
	s_waitcnt lgkmcnt(0)
	global_store_dwordx4 v[14:15], v[10:13], off
	s_cbranch_vccz .LBB753_15
; %bb.10:
	s_mov_b32 s6, s4
	s_mov_b32 s7, s4
	;; [unrolled: 1-line block ×3, first 2 shown]
	v_mov_b64_e32 v[16:17], s[6:7]
	v_mov_b64_e32 v[14:15], s[4:5]
	;; [unrolled: 1-line block ×3, first 2 shown]
	v_cmp_gt_i32_e32 vcc, s30, v47
	v_mov_b64_e32 v[12:13], v[16:17]
	s_and_saveexec_b64 s[2:3], vcc
	s_cbranch_execz .LBB753_12
; %bb.11:
	v_lshlrev_b32_e32 v10, 8, v47
	v_mov_b32_e32 v11, 0
	v_lshl_add_u64 v[12:13], s[0:1], 0, v[10:11]
	v_lshlrev_b32_e32 v10, 1, v26
	v_lshl_add_u64 v[18:19], v[12:13], 0, v[10:11]
	global_load_dwordx4 v[14:17], v[18:19], off
	global_load_dwordx4 v[10:13], v[18:19], off offset:128
.LBB753_12:
	s_or_b64 exec, exec, s[2:3]
	s_mov_b32 s6, s4
	s_mov_b32 s7, s4
	;; [unrolled: 1-line block ×3, first 2 shown]
	v_mov_b64_e32 v[24:25], s[6:7]
	v_mov_b64_e32 v[22:23], s[4:5]
	;; [unrolled: 1-line block ×3, first 2 shown]
	v_cmp_gt_i32_e32 vcc, s30, v27
	v_lshlrev_b32_e32 v28, 7, v27
	v_mov_b64_e32 v[20:21], v[24:25]
	s_and_saveexec_b64 s[2:3], vcc
	s_cbranch_execz .LBB753_14
; %bb.13:
	v_lshlrev_b32_e32 v18, 1, v28
	v_mov_b32_e32 v19, 0
	v_lshl_add_u64 v[20:21], s[0:1], 0, v[18:19]
	v_lshlrev_b32_e32 v18, 1, v26
	v_lshl_add_u64 v[30:31], v[20:21], 0, v[18:19]
	global_load_dwordx4 v[22:25], v[30:31], off
	global_load_dwordx4 v[18:21], v[30:31], off offset:128
.LBB753_14:
	s_or_b64 exec, exec, s[2:3]
	v_lshrrev_b32_e32 v29, 3, v26
	v_lshlrev_b32_e32 v30, 3, v47
	v_or_b32_e32 v29, v30, v29
	v_lshlrev_b32_e32 v29, 4, v29
	v_and_b32_e32 v30, 0x78, v30
	v_xor_b32_e32 v29, v29, v30
	s_branch .LBB753_17
.LBB753_15:
                                        ; implicit-def: $vgpr29
                                        ; implicit-def: $vgpr28
                                        ; implicit-def: $vgpr14_vgpr15_vgpr16_vgpr17
                                        ; implicit-def: $vgpr10_vgpr11_vgpr12_vgpr13
                                        ; implicit-def: $vgpr22_vgpr23_vgpr24_vgpr25
                                        ; implicit-def: $vgpr18_vgpr19_vgpr20_vgpr21
	s_cbranch_execz .LBB753_17
; %bb.16:
	s_waitcnt vmcnt(0)
	v_lshlrev_b32_e32 v10, 1, v26
	v_lshl_or_b32 v28, v47, 8, v10
	s_and_b32 s1, s1, 0xffff
	s_mov_b32 s3, 0x20000
	s_movk_i32 s2, 0x4000
	v_lshl_or_b32 v29, v27, 8, v10
	s_movk_i32 s4, 0x80
	buffer_load_dwordx4 v[14:17], v28, s[0:3], 0 offen
	buffer_load_dwordx4 v[10:13], v28, s[0:3], s4 offen
	;; [unrolled: 1-line block ×4, first 2 shown]
	v_lshrrev_b32_e32 v28, 3, v26
	v_lshlrev_b32_e32 v29, 3, v47
	v_or_b32_e32 v28, v29, v28
	v_lshlrev_b32_e32 v28, 4, v28
	v_and_b32_e32 v29, 0x78, v29
	v_xor_b32_e32 v29, v28, v29
	v_lshlrev_b32_e32 v28, 7, v27
.LBB753_17:
	s_lshl_b64 s[0:1], s[28:29], 8
	s_add_u32 s4, s12, s0
	s_movk_i32 s0, 0x1000
	v_and_or_b32 v27, v28, s0, v29
	s_waitcnt vmcnt(1)
	ds_write_b64 v29, v[14:15] offset:16384
	v_xor_b32_e32 v14, 8, v29
	ds_write_b64 v14, v[16:17] offset:16384
	s_waitcnt vmcnt(0)
	ds_write_b64 v29, v[10:11] offset:24576
	ds_write_b64 v14, v[12:13] offset:24576
	;; [unrolled: 1-line block ×3, first 2 shown]
	v_xor_b32_e32 v10, 8, v27
	ds_write_b64 v10, v[24:25] offset:16384
	ds_write_b64 v27, v[18:19] offset:24576
	;; [unrolled: 1-line block ×3, first 2 shown]
	v_or_b32_e32 v10, v54, v56
	v_lshlrev_b32_e32 v10, 3, v10
	v_lshrrev_b32_e32 v12, 5, v45
	s_movk_i32 s6, 0xf8
	v_and_or_b32 v12, v10, s6, v12
	v_lshlrev_b32_e32 v49, 11, v1
	v_lshlrev_b32_e32 v20, 4, v12
	v_and_b32_e32 v21, 0x78, v10
	v_and_b32_e32 v22, 0x1000, v49
	v_lshlrev_b32_e32 v11, 2, v0
	v_xor_b32_e32 v10, v20, v21
	v_lshrrev_b32_e32 v12, 1, v45
	v_and_b32_e32 v11, 60, v11
	v_or_b32_e32 v10, v10, v22
	v_and_b32_e32 v23, 8, v12
	v_xor_b32_e32 v34, v10, v23
	v_lshl_or_b32 v10, v55, 6, v11
	v_lshlrev_b32_e32 v50, 1, v10
	v_or_b32_e32 v10, 32, v20
	v_xor_b32_e32 v10, v10, v21
	s_waitcnt lgkmcnt(0)
	s_barrier
	ds_read_b64 v[18:19], v34 offset:16384
	v_or_b32_e32 v10, v10, v22
	v_xor_b32_e32 v35, v10, v23
	v_or_b32_e32 v10, 64, v20
	v_xor_b32_e32 v10, v10, v21
	v_or_b32_e32 v10, v10, v22
	v_or_b32_e32 v20, 0x60, v20
	v_xor_b32_e32 v36, v10, v23
	ds_read2st64_b64 v[10:13], v50 offset0:72 offset1:73
	ds_read2st64_b64 v[14:17], v50 offset0:74 offset1:75
	v_xor_b32_e32 v24, v20, v21
	ds_read_b64 v[20:21], v35 offset:16384
	s_addc_u32 s5, s13, s1
	s_add_i32 s1, s46, s33
	s_waitcnt lgkmcnt(2)
	v_mfma_f32_16x16x16_bf16 a[0:3], v[18:19], v[10:11], 0
	s_add_i32 s0, s39, -1
	s_add_i32 s43, s1, s47
	s_add_i32 s1, s49, s48
	;; [unrolled: 1-line block ×3, first 2 shown]
	s_ashr_i32 s1, s0, 31
	s_mul_i32 s2, s0, s37
	s_mul_hi_u32 s3, s0, s36
	s_add_i32 s2, s3, s2
	s_mul_i32 s1, s1, s36
	v_or_b32_e32 v22, v24, v22
	s_add_i32 s1, s2, s1
	s_lshl_b64 s[2:3], s[42:43], 2
	v_xor_b32_e32 v51, v22, v23
	ds_read_b64 v[22:23], v36 offset:16384
	ds_read_b64 v[24:25], v51 offset:16384
	s_waitcnt lgkmcnt(2)
	v_mfma_f32_16x16x16_bf16 a[0:3], v[20:21], v[12:13], a[0:3]
	s_add_u32 s6, s18, s2
	s_addc_u32 s7, s19, s3
	s_lshl_b64 s[2:3], s[40:41], 2
	s_mul_i32 s0, s0, s36
	s_add_u32 s12, s6, s2
	s_addc_u32 s13, s7, s3
	s_lshl_b64 s[0:1], s[0:1], 2
	s_waitcnt lgkmcnt(1)
	v_mfma_f32_16x16x16_bf16 a[0:3], v[22:23], v[14:15], a[0:3]
	s_add_u32 s0, s12, s0
	s_addc_u32 s1, s13, s1
	s_load_dword s18, s[0:1], 0x0
	s_waitcnt lgkmcnt(0)
	v_mfma_f32_16x16x16_bf16 a[0:3], v[24:25], v[16:17], a[0:3]
	s_and_b64 vcc, exec, s[26:27]
	s_cbranch_vccz .LBB753_28
; %bb.18:
	v_lshlrev_b32_e32 v27, 1, v47
	s_and_b64 vcc, exec, s[14:15]
	s_cbranch_vccz .LBB753_44
; %bb.19:
	v_cmp_gt_i32_e32 vcc, s30, v27
	v_mov_b32_e32 v14, 0
	v_mov_b32_e32 v10, 0
	;; [unrolled: 1-line block ×5, first 2 shown]
	s_and_saveexec_b64 s[0:1], vcc
	s_cbranch_execz .LBB753_21
; %bb.20:
	v_mad_i64_i32 v[10:11], s[2:3], s23, v27, 0
	v_lshl_add_u64 v[10:11], v[10:11], 1, s[4:5]
	v_lshlrev_b32_e32 v12, 1, v26
	v_mov_b32_e32 v13, 0
	v_lshl_add_u64 v[10:11], v[10:11], 0, v[12:13]
	global_load_dwordx4 v[10:13], v[10:11], off
.LBB753_21:
	s_or_b64 exec, exec, s[0:1]
	v_or_b32_e32 v28, 1, v27
	v_cmp_gt_i32_e64 s[0:1], s30, v28
	v_mov_b32_e32 v15, 0
	v_mov_b32_e32 v16, 0
	;; [unrolled: 1-line block ×3, first 2 shown]
	s_and_saveexec_b64 s[2:3], s[0:1]
	s_cbranch_execz .LBB753_23
; %bb.22:
	v_mad_i64_i32 v[14:15], s[6:7], s23, v28, 0
	v_lshl_add_u64 v[14:15], v[14:15], 1, s[4:5]
	v_lshlrev_b32_e32 v16, 1, v26
	v_mov_b32_e32 v17, 0
	v_lshl_add_u64 v[14:15], v[14:15], 0, v[16:17]
	global_load_dwordx4 v[14:17], v[14:15], off
.LBB753_23:
	s_or_b64 exec, exec, s[2:3]
	v_mov_b32_e32 v25, 0
	v_mov_b32_e32 v18, 0
	;; [unrolled: 1-line block ×5, first 2 shown]
	s_and_saveexec_b64 s[2:3], vcc
	s_cbranch_execz .LBB753_25
; %bb.24:
	v_mad_i64_i32 v[18:19], s[6:7], s23, v27, 0
	v_lshl_add_u64 v[18:19], v[18:19], 1, s[4:5]
	v_lshlrev_b32_e32 v20, 1, v26
	v_mov_b32_e32 v21, 0
	v_lshl_add_u64 v[18:19], v[18:19], 0, v[20:21]
	global_load_dwordx4 v[18:21], v[18:19], off offset:128
.LBB753_25:
	s_or_b64 exec, exec, s[2:3]
	v_mov_b32_e32 v24, 0
	v_mov_b32_e32 v23, 0
	;; [unrolled: 1-line block ×3, first 2 shown]
	s_and_saveexec_b64 s[2:3], s[0:1]
	s_cbranch_execz .LBB753_27
; %bb.26:
	v_mad_i64_i32 v[22:23], s[0:1], s23, v28, 0
	v_lshl_add_u64 v[22:23], v[22:23], 1, s[4:5]
	v_lshlrev_b32_e32 v24, 1, v26
	v_mov_b32_e32 v25, 0
	v_lshl_add_u64 v[22:23], v[22:23], 0, v[24:25]
	global_load_dwordx4 v[22:25], v[22:23], off offset:128
.LBB753_27:
	s_or_b64 exec, exec, s[2:3]
	s_branch .LBB753_46
.LBB753_28:
                                        ; implicit-def: $vgpr13
                                        ; implicit-def: $vgpr17
                                        ; implicit-def: $vgpr21
                                        ; implicit-def: $vgpr25
	v_lshrrev_b32_e32 v45, 2, v45
	s_branch .LBB753_47
.LBB753_29:
                                        ; implicit-def: $vgpr10
                                        ; implicit-def: $vgpr11
                                        ; implicit-def: $sgpr26
	v_lshl_or_b32 v5, v63, 9, v5
.LBB753_30:
	v_or_b32_e32 v10, 0x100, v5
	s_movk_i32 s26, 0x4000
	v_mov_b32_e32 v11, v5
.LBB753_31:
	s_mul_i32 s4, s38, s22
	s_ashr_i32 s60, s55, 31
	s_mul_hi_i32 s3, s38, s22
	s_add_u32 s4, s4, s55
	s_addc_u32 s5, s3, s60
	s_lshl_b64 s[4:5], s[4:5], 8
	s_add_u32 s24, s12, s4
	s_addc_u32 s3, s13, s5
	s_and_b32 s25, s3, 0xffff
	s_movk_i32 s61, 0x80
	buffer_load_dwordx4 v[12:15], v11, s[24:27], 0 offen
	buffer_load_dwordx4 v[16:19], v11, s[24:27], s61 offen
	;; [unrolled: 1-line block ×4, first 2 shown]
	v_and_b32_e32 v10, 6, v0
	v_lshlrev_b32_e32 v28, 2, v56
	v_lshlrev_b32_e32 v29, 3, v56
	v_xor_b32_e32 v32, v63, v10
	v_and_b32_e32 v11, 1, v0
	v_lshl_or_b32 v29, v59, 5, v29
	v_xor_b32_e32 v33, v59, v28
	v_lshlrev_b32_e32 v32, 2, v32
	v_or_b32_e32 v69, 0x9000, v29
	v_or_b32_e32 v70, 0x9800, v29
	v_lshlrev_b32_e32 v29, 1, v33
	v_xor_b32_e32 v33, 0x440, v32
	v_cmp_eq_u32_e32 vcc, 0, v11
	s_add_i32 s3, s46, s33
	s_add_i32 s4, s49, s48
	v_cndmask_b32_e32 v11, v33, v32, vcc
	s_add_i32 s43, s3, s47
	v_lshl_or_b32 v10, v10, 10, v11
	s_add_i32 s41, s4, s50
	s_lshl_b64 s[4:5], s[42:43], 2
	s_mov_b32 s62, 0x1000504
	v_lshlrev_b32_e32 v30, 8, v56
	s_mov_b32 s26, 0x8000
	v_xor_b32_e32 v28, v60, v28
	v_xor_b32_e32 v11, 8, v10
	s_add_u32 s3, s18, s4
	s_mov_b32 s63, 0x3020706
	v_or_b32_e32 v31, v54, v56
	v_lshlrev_b32_e32 v28, 1, v28
	v_or3_b32 v71, v29, v30, s26
	v_xor_b32_e32 v29, 24, v10
	v_xor_b32_e32 v32, 40, v10
	;; [unrolled: 1-line block ×3, first 2 shown]
	v_add_u32_e32 v11, 0x80, v11
	s_addc_u32 s24, s19, s5
	s_lshl_b64 s[4:5], s[40:41], 2
	v_lshlrev_b32_e32 v31, 3, v31
	v_or3_b32 v72, v28, v30, s26
	v_xor_b32_e32 v28, 16, v10
	v_xor_b32_e32 v30, 32, v10
	;; [unrolled: 1-line block ×3, first 2 shown]
	v_add_u32_e32 v29, 0x80, v29
	v_add_u32_e32 v32, 0x80, v32
	;; [unrolled: 1-line block ×3, first 2 shown]
	s_add_u32 s4, s3, s4
	s_movk_i32 s3, 0xf8
	s_addc_u32 s5, s24, s5
	v_ashrrev_i32_e32 v47, 31, v46
	s_lshl_b32 s30, s23, 7
	s_mov_b32 s64, 0
	v_mov_b32_e32 v86, 0x3fb8aa3b
	s_waitcnt vmcnt(1)
	v_perm_b32 v35, v12, v20, s62
	s_waitcnt vmcnt(0)
	v_perm_b32 v36, v16, v24, s62
	v_perm_b32 v12, v12, v20, s63
	;; [unrolled: 1-line block ×15, first 2 shown]
	ds_write2st64_b32 v10, v35, v36 offset1:32
	ds_write2st64_b32 v11, v12, v16 offset1:32
	ds_write2st64_b32 v28, v20, v24 offset0:1 offset1:33
	ds_write2st64_b32 v29, v13, v17 offset0:1 offset1:33
	;; [unrolled: 1-line block ×6, first 2 shown]
	v_lshrrev_b32_e32 v11, 5, v45
	v_and_or_b32 v11, v31, s3, v11
	v_lshlrev_b32_e32 v11, 4, v11
	v_lshlrev_b32_e32 v18, 11, v1
	v_and_b32_e32 v12, 0x78, v31
	v_or_b32_e32 v15, 32, v11
	v_and_b32_e32 v10, 0x1000, v18
	v_lshrrev_b32_e32 v19, 1, v0
	v_xor_b32_e32 v15, v15, v12
	v_and_b32_e32 v14, 8, v19
	v_or_b32_e32 v15, v15, v10
	v_xor_b32_e32 v13, v11, v12
	v_xor_b32_e32 v75, v15, v14
	v_or_b32_e32 v15, 64, v11
	v_or_b32_e32 v11, 0x60, v11
	v_xor_b32_e32 v15, v15, v12
	v_xor_b32_e32 v11, v11, v12
	v_or_b32_e32 v13, v13, v10
	v_or_b32_e32 v15, v15, v10
	;; [unrolled: 1-line block ×3, first 2 shown]
	v_xor_b32_e32 v73, v13, v14
	v_xor_b32_e32 v76, v15, v14
	;; [unrolled: 1-line block ×3, first 2 shown]
	v_lshrrev_b32_e32 v14, 4, v0
	v_lshlrev_b32_e32 v15, 1, v56
	s_ashr_i32 s3, s2, 31
	v_or_b32_e32 v16, 1, v15
	v_xor_b32_e32 v15, v14, v15
	s_lshl_b64 s[24:25], s[2:3], 8
	v_xor_b32_e32 v16, v16, v14
	v_lshlrev_b32_e32 v15, 3, v15
	v_lshlrev_b32_e32 v14, 8, v14
	v_lshlrev_b64 v[10:11], 1, v[46:47]
	s_add_u32 s24, s6, s24
	v_or3_b32 v47, v15, v14, s26
	v_lshlrev_b32_e32 v15, 3, v16
	s_addc_u32 s25, s7, s25
	v_or3_b32 v79, v15, v14, s26
	v_mov_b32_e32 v15, 0
	v_lshl_add_u64 v[16:17], s[24:25], 0, v[14:15]
	v_lshlrev_b32_e32 v14, 4, v56
	s_movk_i32 s3, 0xff
	v_lshlrev_b32_e32 v23, 3, v1
	v_and_b32_e32 v19, 24, v19
	v_lshl_add_u64 v[48:49], v[16:17], 0, v[14:15]
	v_and_b32_e32 v16, 8, v0
	v_cmp_lt_u32_e32 vcc, s3, v0
	v_xor_b32_e32 v24, v23, v19
	v_or_b32_e32 v25, 0x440, v24
	v_cndmask_b32_e64 v22, 0, 1, vcc
	v_cmp_eq_u32_e32 vcc, 0, v16
	v_and_b32_e32 v14, 7, v0
	v_lshlrev_b32_e32 v17, 3, v14
	v_cndmask_b32_e32 v16, v25, v24, vcc
	v_lshlrev_b32_e32 v14, 7, v14
	v_or_b32_e32 v16, v16, v18
	v_xad_u32 v80, v16, v17, v14
	v_or_b32_e32 v16, 32, v19
	v_xor_b32_e32 v16, v23, v16
	v_or_b32_e32 v24, 0x440, v16
	v_cndmask_b32_e32 v16, v24, v16, vcc
	v_or_b32_e32 v16, v16, v18
	v_xad_u32 v81, v16, v17, v14
	v_or_b32_e32 v16, 64, v19
	v_xor_b32_e32 v16, v23, v16
	v_xor_b32_e32 v24, 0x440, v16
	v_cndmask_b32_e32 v16, v24, v16, vcc
	v_or_b32_e32 v16, v16, v18
	v_xad_u32 v82, v16, v17, v14
	v_or_b32_e32 v16, 0x60, v19
	v_xor_b32_e32 v16, v23, v16
	v_xor_b32_e32 v19, 0x440, v16
	v_and_b32_e32 v13, 0x78, v57
	v_cndmask_b32_e32 v16, v19, v16, vcc
	v_lshl_or_b32 v13, v55, 7, v13
	v_or_b32_e32 v16, v16, v18
	v_or_b32_e32 v74, 0x9000, v13
	;; [unrolled: 1-line block ×3, first 2 shown]
	v_lshl_add_u64 v[12:13], s[16:17], 0, v[10:11]
	v_lshl_add_u64 v[10:11], s[8:9], 0, v[10:11]
	v_lshlrev_b32_e32 v20, 1, v9
	v_add_lshl_u32 v9, v9, s23, 1
	v_or_b32_e32 v21, 0x100, v5
	v_lshlrev_b32_e32 v22, 13, v22
	v_xad_u32 v83, v16, v17, v14
	v_lshlrev_b32_e32 v14, 8, v59
	v_cndmask_b32_e64 v84, v20, v5, s[0:1]
	v_cndmask_b32_e64 v85, v9, v21, s[0:1]
	v_lshl_add_u64 v[50:51], v[12:13], 0, v[14:15]
	v_lshl_add_u64 v[52:53], v[10:11], 0, v[14:15]
	s_mov_b32 s3, 0x7060302
	s_movk_i32 s26, 0x4000
	v_add_u32_e32 v87, v22, v80
	v_add_u32_e32 v88, v22, v81
	;; [unrolled: 1-line block ×4, first 2 shown]
	s_waitcnt lgkmcnt(0)
	s_barrier
.LBB753_32:                             ; =>This Inner Loop Header: Depth=1
	s_add_i32 s41, s64, 1
	s_cmp_lt_i32 s41, s52
	s_mov_b64 s[28:29], 0
	s_cselect_b64 s[44:45], -1, 0
	s_cmp_ge_i32 s41, s52
	s_mov_b64 s[24:25], 0
	s_cbranch_scc1 .LBB753_34
; %bb.33:                               ;   in Loop: Header=BB753_32 Depth=1
	s_add_i32 s0, s59, 64
	s_ashr_i32 s1, s0, 31
	s_add_u32 s0, s57, s0
	s_addc_u32 s1, s56, s1
	s_lshl_b64 s[0:1], s[0:1], 8
	s_add_u32 s24, s14, s0
	s_addc_u32 s25, s15, s1
.LBB753_34:                             ;   in Loop: Header=BB753_32 Depth=1
	v_cndmask_b32_e64 v5, 0, 1, s[44:45]
	v_cmp_ne_u32_e64 s[0:1], 1, v5
	s_andn2_b64 vcc, exec, s[44:45]
	s_cbranch_vccnz .LBB753_36
; %bb.35:                               ;   in Loop: Header=BB753_32 Depth=1
	s_add_i32 s28, s59, 64
	s_mul_hi_i32 s29, s28, s22
	s_mul_i32 s28, s28, s22
	s_add_u32 s28, s28, s55
	s_addc_u32 s29, s29, s60
	s_lshl_b64 s[28:29], s[28:29], 8
	s_add_u32 s28, s12, s28
	s_addc_u32 s29, s13, s29
.LBB753_36:                             ;   in Loop: Header=BB753_32 Depth=1
	v_perm_b32 v11, v62, v4, s3
	v_perm_b32 v10, v3, v2, s3
	v_perm_b32 v13, v61, v8, s3
	v_perm_b32 v12, v7, v6, s3
	ds_write_b64 v69, v[10:11]
	ds_write_b64 v70, v[12:13]
	;; [unrolled: 1-line block ×4, first 2 shown]
	s_waitcnt lgkmcnt(0)
	s_barrier
	ds_read_b64 v[18:19], v73 offset:16384
	ds_read_b64 v[20:21], v75 offset:16384
	ds_read2st64_b64 v[10:13], v74 offset1:1
	s_waitcnt lgkmcnt(0)
	v_mfma_f32_16x16x16_bf16 a[0:3], v[18:19], v[10:11], 0
	ds_read2st64_b64 v[14:17], v74 offset0:2 offset1:3
	ds_read_b64 v[22:23], v76 offset:16384
	ds_read_b64 v[10:11], v77 offset:16384
	s_add_i32 s31, s59, 63
	v_mfma_f32_16x16x16_bf16 a[0:3], v[20:21], v[12:13], a[0:3]
	s_ashr_i32 s43, s31, 31
	s_mul_i32 s44, s31, s37
	s_mul_hi_u32 s45, s31, s36
	s_waitcnt lgkmcnt(1)
	v_mfma_f32_16x16x16_bf16 a[0:3], v[22:23], v[14:15], a[0:3]
	s_add_i32 s44, s45, s44
	s_mul_i32 s43, s43, s36
	s_add_i32 s45, s44, s43
	s_mul_i32 s44, s31, s36
	s_waitcnt lgkmcnt(0)
	v_mfma_f32_16x16x16_bf16 a[0:3], v[10:11], v[16:17], a[0:3]
	s_lshl_b64 s[44:45], s[44:45], 2
	s_add_u32 s44, s4, s44
	s_addc_u32 s45, s5, s45
	s_and_b64 vcc, exec, s[0:1]
	v_mov_b32_e32 v91, 0
	v_mov_b32_e32 v9, 0
	;; [unrolled: 1-line block ×19, first 2 shown]
	s_cbranch_vccnz .LBB753_38
; %bb.37:                               ;   in Loop: Header=BB753_32 Depth=1
	s_and_b32 s25, s25, 0xffff
	buffer_load_dwordx4 v[22:25], v65, s[24:27], 0 offen
	buffer_load_dwordx4 v[18:21], v65, s[24:27], s61 offen
	;; [unrolled: 1-line block ×4, first 2 shown]
	v_mov_b32_e32 v9, v67
	v_mov_b32_e32 v5, v68
.LBB753_38:                             ;   in Loop: Header=BB753_32 Depth=1
	s_waitcnt vmcnt(3)
	v_add_u32_e32 v30, s59, v59
	s_waitcnt vmcnt(1)
	v_ashrrev_i32_e32 v26, 31, v30
	v_mul_lo_u32 v28, v26, s36
	v_mul_lo_u32 v29, v30, s37
	v_mad_u64_u32 v[26:27], s[24:25], v30, s36, 0
	v_add3_u32 v27, v27, v29, v28
	v_lshl_add_u64 v[26:27], v[26:27], 2, s[4:5]
	global_load_dword v93, v[26:27], off
	v_add_u32_e32 v26, 1, v30
	v_ashrrev_i32_e32 v27, 31, v26
	v_mul_lo_u32 v28, v27, s36
	v_mul_lo_u32 v29, v26, s37
	v_mad_u64_u32 v[26:27], s[24:25], v26, s36, 0
	v_add3_u32 v27, v27, v29, v28
	v_add_u32_e32 v28, 2, v30
	v_ashrrev_i32_e32 v29, 31, v28
	v_mul_lo_u32 v31, v29, s36
	v_mul_lo_u32 v32, v28, s37
	v_mad_u64_u32 v[28:29], s[24:25], v28, s36, 0
	v_add_u32_e32 v30, 3, v30
	v_add3_u32 v29, v29, v32, v31
	v_ashrrev_i32_e32 v31, 31, v30
	v_mul_lo_u32 v34, v31, s36
	v_mul_lo_u32 v35, v30, s37
	v_mad_u64_u32 v[30:31], s[24:25], v30, s36, 0
	s_ashr_i32 s25, s59, 31
	s_add_u32 s24, s57, s59
	s_addc_u32 s25, s56, s25
	s_lshl_b64 s[66:67], s[24:25], 8
	v_lshl_add_u64 v[26:27], v[26:27], 2, s[4:5]
	v_lshl_add_u64 v[32:33], v[50:51], 0, s[66:67]
	v_add3_u32 v31, v31, v35, v34
	v_lshl_add_u64 v[28:29], v[28:29], 2, s[4:5]
	global_load_ushort v94, v[32:33], off
	global_load_ushort v95, v[32:33], off offset:256
	global_load_ushort v96, v[32:33], off offset:512
	;; [unrolled: 1-line block ×3, first 2 shown]
	v_lshl_add_u64 v[30:31], v[30:31], 2, s[4:5]
	global_load_dword v98, v[26:27], off
	global_load_dword v99, v[28:29], off
	;; [unrolled: 1-line block ×3, first 2 shown]
	ds_read_b64 v[30:31], v73 offset:24576
	ds_read_b64 v[36:37], v75 offset:24576
	ds_read2st64_b64 v[26:29], v78 offset1:1
	s_waitcnt lgkmcnt(0)
	v_mfma_f32_16x16x16_bf16 a[0:3], v[30:31], v[26:27], a[0:3]
	s_load_dword s24, s[44:45], 0x0
	ds_read2st64_b64 v[32:35], v78 offset0:2 offset1:3
	ds_read_b64 v[38:39], v76 offset:24576
	ds_read_b64 v[40:41], v77 offset:24576
	v_mov_b32_e32 v92, 0
	v_mfma_f32_16x16x16_bf16 a[0:3], v[36:37], v[28:29], a[0:3]
	v_mov_b32_e32 v26, 0
	v_mov_b32_e32 v27, 0
	;; [unrolled: 1-line block ×3, first 2 shown]
	s_waitcnt lgkmcnt(0)
	v_mfma_f32_16x16x16_bf16 a[0:3], v[38:39], v[32:33], a[0:3]
	v_lshl_add_u64 v[32:33], v[52:53], 0, s[66:67]
	v_mov_b32_e32 v29, 0
	v_mov_b32_e32 v30, 0
	v_mfma_f32_16x16x16_bf16 a[0:3], v[40:41], v[34:35], a[0:3]
	v_mov_b32_e32 v31, 0
	s_and_b64 vcc, exec, s[0:1]
	s_waitcnt vmcnt(7)
	v_sub_f32_e32 v93, s24, v93
	s_nop 2
	v_accvgpr_read_b32 v37, a1
	v_accvgpr_read_b32 v35, a3
	;; [unrolled: 1-line block ×4, first 2 shown]
	v_mul_f32_e32 v93, 0x3fb8aa3b, v93
	s_waitcnt vmcnt(6)
	v_lshlrev_b32_e32 v38, 16, v94
	s_waitcnt vmcnt(5)
	v_lshlrev_b32_e32 v39, 16, v95
	;; [unrolled: 2-line block ×4, first 2 shown]
	s_waitcnt vmcnt(2)
	v_sub_f32_e32 v94, s24, v98
	s_waitcnt vmcnt(1)
	v_sub_f32_e32 v95, s24, v99
	;; [unrolled: 2-line block ×3, first 2 shown]
	v_pk_add_f32 v[36:37], v[38:39], v[36:37] neg_lo:[0,1] neg_hi:[0,1]
	v_pk_add_f32 v[34:35], v[40:41], v[34:35] neg_lo:[0,1] neg_hi:[0,1]
	v_mul_f32_e32 v39, 0x3fb8aa3b, v94
	v_mul_f32_e32 v40, 0x3fb8aa3b, v95
	;; [unrolled: 1-line block ×3, first 2 shown]
	v_exp_f32_e32 v38, v93
	v_exp_f32_e32 v39, v39
	;; [unrolled: 1-line block ×4, first 2 shown]
	global_store_short_d16_hi v[32:33], v36, off
	global_store_short_d16_hi v[32:33], v37, off offset:256
	global_store_short_d16_hi v[32:33], v34, off offset:512
	;; [unrolled: 1-line block ×3, first 2 shown]
	v_pk_mul_f32 v[32:33], v[38:39], v[36:37]
	v_pk_mul_f32 v[34:35], v[40:41], v[34:35]
	v_mov_b32_e32 v36, 0
	v_perm_b32 v35, v35, v34, s3
	v_perm_b32 v34, v33, v32, s3
	ds_write_b64 v70, v[34:35]
	v_mov_b32_e32 v32, 0
	v_mov_b32_e32 v33, 0
	;; [unrolled: 1-line block ×9, first 2 shown]
	s_cbranch_vccnz .LBB753_40
; %bb.39:                               ;   in Loop: Header=BB753_32 Depth=1
	s_and_b32 s29, s29, 0xffff
	s_mov_b32 s31, s27
	buffer_load_dwordx4 v[38:41], v84, s[28:31], 0 offen
	buffer_load_dwordx4 v[30:33], v84, s[28:31], s61 offen
	buffer_load_dwordx4 v[34:37], v85, s[28:31], 0 offen
	buffer_load_dwordx4 v[26:29], v85, s[28:31], s61 offen
	v_mov_b32_e32 v91, v64
	v_mov_b32_e32 v92, v63
.LBB753_40:                             ;   in Loop: Header=BB753_32 Depth=1
	s_waitcnt lgkmcnt(0)
	s_barrier
	ds_read_b64 v[102:103], v87
	ds_read2st64_b64 v[94:97], v78 offset1:1
	ds_read2st64_b64 v[98:101], v78 offset0:2 offset1:3
	ds_read_b64 v[104:105], v88
	ds_read_b64 v[106:107], v89
	;; [unrolled: 1-line block ×3, first 2 shown]
	s_waitcnt lgkmcnt(4)
	v_mfma_f32_16x16x16_bf16 a[0:3], v[102:103], v[94:95], 0
	ds_read_b64 v[102:103], v80 offset:8192
	ds_read_b64 v[110:111], v81 offset:8192
	s_add_i32 s25, s58, s64
	s_mul_hi_i32 s29, s25, s21
	s_waitcnt lgkmcnt(1)
	v_mfma_f32_16x16x16_bf16 a[4:7], v[102:103], v[94:95], 0
	s_mul_i32 s25, s25, s21
	s_add_u32 s28, s25, s51
	s_addc_u32 s29, s29, s53
	v_mfma_f32_16x16x16_bf16 a[0:3], v[104:105], v[96:97], a[0:3]
	ds_read_b64 v[102:103], v47
	ds_read_b64 v[104:105], v79
	ds_read_b64 v[94:95], v82 offset:8192
	s_lshl_b64 s[28:29], s[28:29], 15
	v_mfma_f32_16x16x16_bf16 a[0:3], v[106:107], v[98:99], a[0:3]
	ds_read_b64 v[106:107], v83 offset:8192
	s_and_b64 vcc, exec, s[0:1]
	s_waitcnt lgkmcnt(4)
	v_mfma_f32_16x16x16_bf16 a[4:7], v[110:111], v[96:97], a[4:7]
	s_waitcnt lgkmcnt(1)
	v_mfma_f32_16x16x16_bf16 a[4:7], v[94:95], v[98:99], a[4:7]
	v_lshl_add_u64 v[94:95], v[48:49], 0, s[28:29]
	global_store_dwordx4 v[94:95], v[102:105], off
	v_mfma_f32_16x16x16_bf16 a[0:3], v[108:109], v[100:101], a[0:3]
	s_waitcnt lgkmcnt(0)
	v_mfma_f32_16x16x16_bf16 a[4:7], v[106:107], v[100:101], a[4:7]
	s_cbranch_vccnz .LBB753_42
; %bb.41:                               ;   in Loop: Header=BB753_32 Depth=1
	v_lshrrev_b32_e32 v93, 3, v91
	v_and_b32_e32 v93, 6, v93
	v_xor_b32_e32 v92, v93, v92
	v_lshlrev_b32_e32 v92, 2, v92
	v_and_b32_e32 v91, 8, v91
	v_xor_b32_e32 v94, 0x440, v92
	v_cmp_eq_u32_e32 vcc, 0, v91
	s_barrier
	s_nop 0
	v_cndmask_b32_e32 v91, v94, v92, vcc
	v_lshl_or_b32 v91, v93, 10, v91
	s_waitcnt vmcnt(2)
	v_perm_b32 v92, v38, v34, s62
	s_waitcnt vmcnt(1)
	v_perm_b32 v93, v30, v26, s62
	ds_write2st64_b32 v91, v92, v93 offset1:32
	v_xor_b32_e32 v92, 8, v91
	v_perm_b32 v34, v38, v34, s63
	v_perm_b32 v26, v30, v26, s63
	v_add_u32_e32 v30, 0x80, v92
	ds_write2st64_b32 v30, v34, v26 offset1:32
	v_xor_b32_e32 v26, 16, v91
	v_perm_b32 v30, v39, v35, s62
	v_perm_b32 v34, v31, v27, s62
	ds_write2st64_b32 v26, v30, v34 offset0:1 offset1:33
	v_xor_b32_e32 v26, 24, v91
	v_perm_b32 v30, v39, v35, s63
	v_perm_b32 v27, v31, v27, s63
	v_add_u32_e32 v26, 0x80, v26
	ds_write2st64_b32 v26, v30, v27 offset0:1 offset1:33
	v_xor_b32_e32 v26, 32, v91
	v_perm_b32 v27, v40, v36, s62
	v_perm_b32 v30, v32, v28, s62
	ds_write2st64_b32 v26, v27, v30 offset0:2 offset1:34
	v_xor_b32_e32 v26, 40, v91
	v_perm_b32 v27, v40, v36, s63
	v_perm_b32 v28, v32, v28, s63
	v_add_u32_e32 v26, 0x80, v26
	ds_write2st64_b32 v26, v27, v28 offset0:2 offset1:34
	;; [unrolled: 9-line block ×3, first 2 shown]
	ds_write_b64 v9, v[22:23] offset:16384
	v_xor_b32_e32 v22, 8, v9
	ds_write_b64 v22, v[24:25] offset:16384
	ds_write_b64 v9, v[18:19] offset:24576
	;; [unrolled: 1-line block ×4, first 2 shown]
	v_xor_b32_e32 v9, 8, v5
	ds_write_b64 v9, v[16:17] offset:16384
	ds_write_b64 v5, v[10:11] offset:24576
	ds_write_b64 v9, v[12:13] offset:24576
.LBB753_42:                             ;   in Loop: Header=BB753_32 Depth=1
	v_mul_f32_e32 v5, s24, v86
	v_exp_f32_e32 v10, v5
	s_nop 1
	v_accvgpr_read_b32 v9, a1
	v_accvgpr_read_b32 v5, a0
	s_add_i32 s59, s59, 64
	v_fma_f32 v3, v3, v10, v9
	v_accvgpr_read_b32 v9, a4
	v_fma_f32 v6, v6, v10, v9
	v_accvgpr_read_b32 v9, a5
	;; [unrolled: 2-line block ×6, first 2 shown]
	v_fmac_f32_e32 v5, v62, v10
	s_cmp_eq_u32 s52, s41
	v_fmac_f32_e32 v9, v61, v10
	s_cbranch_scc1 .LBB753_4
; %bb.43:                               ;   in Loop: Header=BB753_32 Depth=1
	s_mov_b32 s64, s41
	v_mov_b32_e32 v62, v5
	v_mov_b32_e32 v61, v9
	s_branch .LBB753_32
.LBB753_44:
                                        ; implicit-def: $vgpr13
                                        ; implicit-def: $vgpr17
                                        ; implicit-def: $vgpr21
                                        ; implicit-def: $vgpr25
	s_cbranch_execz .LBB753_46
; %bb.45:
	s_waitcnt vmcnt(0)
	v_mad_u64_u32 v[10:11], s[0:1], v27, s23, v[26:27]
	v_lshlrev_b32_e32 v27, 1, v10
	s_lshl_b32 s2, s23, 7
	s_and_b32 s1, s5, 0xffff
	s_mov_b32 s3, 0x20000
	s_mov_b32 s0, s4
	v_add_lshl_u32 v28, v10, s23, 1
	s_movk_i32 s6, 0x80
	buffer_load_dwordx4 v[10:13], v27, s[0:3], 0 offen
	buffer_load_dwordx4 v[18:21], v27, s[0:3], s6 offen
	;; [unrolled: 1-line block ×4, first 2 shown]
.LBB753_46:
	v_lshrrev_b32_e32 v45, 2, v45
	s_cbranch_execnz .LBB753_59
.LBB753_47:
	s_and_b64 vcc, exec, s[14:15]
	s_cbranch_vccz .LBB753_57
; %bb.48:
	s_waitcnt vmcnt(0)
	v_lshlrev_b32_e32 v15, 1, v47
	v_cmp_gt_i32_e32 vcc, s30, v15
	v_mov_b32_e32 v14, 0
	v_lshlrev_b32_e32 v22, 9, v47
	v_mov_b32_e32 v10, 0
	v_mov_b32_e32 v11, 0
	;; [unrolled: 1-line block ×4, first 2 shown]
	s_and_saveexec_b64 s[0:1], vcc
	s_cbranch_execz .LBB753_50
; %bb.49:
	v_mov_b32_e32 v23, 0
	v_lshl_add_u64 v[10:11], s[4:5], 0, v[22:23]
	v_lshlrev_b32_e32 v12, 1, v26
	v_mov_b32_e32 v13, v23
	v_lshl_add_u64 v[10:11], v[10:11], 0, v[12:13]
	global_load_dwordx4 v[10:13], v[10:11], off
.LBB753_50:
	s_or_b64 exec, exec, s[0:1]
	v_or_b32_e32 v15, 1, v15
	v_cmp_gt_i32_e64 s[0:1], s30, v15
	v_lshlrev_b32_e32 v28, 8, v15
	v_mov_b32_e32 v15, 0
	v_mov_b32_e32 v16, 0
	;; [unrolled: 1-line block ×3, first 2 shown]
	s_and_saveexec_b64 s[2:3], s[0:1]
	s_cbranch_execz .LBB753_52
; %bb.51:
	v_mov_b32_e32 v29, 0
	v_lshl_add_u64 v[14:15], s[4:5], 0, v[28:29]
	v_lshlrev_b32_e32 v16, 1, v26
	v_mov_b32_e32 v17, v29
	v_lshl_add_u64 v[14:15], v[14:15], 0, v[16:17]
	global_load_dwordx4 v[14:17], v[14:15], off
.LBB753_52:
	s_or_b64 exec, exec, s[2:3]
	v_mov_b32_e32 v25, 0
	v_mov_b32_e32 v18, 0
	;; [unrolled: 1-line block ×5, first 2 shown]
	s_and_saveexec_b64 s[2:3], vcc
	s_cbranch_execz .LBB753_54
; %bb.53:
	v_mov_b32_e32 v23, 0
	v_lshl_add_u64 v[18:19], s[4:5], 0, v[22:23]
	v_lshlrev_b32_e32 v22, 1, v26
	v_lshl_add_u64 v[18:19], v[18:19], 0, v[22:23]
	global_load_dwordx4 v[18:21], v[18:19], off offset:128
.LBB753_54:
	s_or_b64 exec, exec, s[2:3]
	v_mov_b32_e32 v24, 0
	v_mov_b32_e32 v23, 0
	v_mov_b32_e32 v22, 0
	s_and_saveexec_b64 s[2:3], s[0:1]
	s_cbranch_execz .LBB753_56
; %bb.55:
	v_mov_b32_e32 v29, 0
	v_lshl_add_u64 v[22:23], s[4:5], 0, v[28:29]
	v_lshlrev_b32_e32 v28, 1, v26
	v_lshl_add_u64 v[22:23], v[22:23], 0, v[28:29]
	global_load_dwordx4 v[22:25], v[22:23], off offset:128
.LBB753_56:
	s_or_b64 exec, exec, s[2:3]
	s_branch .LBB753_59
.LBB753_57:
                                        ; implicit-def: $vgpr13
                                        ; implicit-def: $vgpr17
                                        ; implicit-def: $vgpr21
                                        ; implicit-def: $vgpr25
	s_cbranch_execz .LBB753_59
; %bb.58:
	s_waitcnt vmcnt(0)
	v_lshlrev_b32_e32 v10, 1, v26
	v_lshl_or_b32 v26, v47, 9, v10
	s_and_b32 s5, s5, 0xffff
	s_mov_b32 s7, 0x20000
	s_movk_i32 s6, 0x4000
	s_movk_i32 s0, 0x80
	buffer_load_dwordx4 v[10:13], v26, s[4:7], 0 offen
	buffer_load_dwordx4 v[14:17], v26, s[4:7], 0 offen offset:256
	buffer_load_dwordx4 v[18:21], v26, s[4:7], s0 offen
	buffer_load_dwordx4 v[22:25], v26, s[4:7], s0 offen offset:256
.LBB753_59:
	ds_read2st64_b64 v[30:33], v50 offset0:76 offset1:77
	ds_read2st64_b64 v[26:29], v50 offset0:78 offset1:79
	ds_read_b64 v[40:41], v34 offset:24576
	ds_read_b64 v[38:39], v35 offset:24576
	;; [unrolled: 1-line block ×4, first 2 shown]
	v_and_b32_e32 v51, 6, v0
	v_xor_b32_e32 v47, v47, v51
	v_lshlrev_b32_e32 v47, 2, v47
	v_and_b32_e32 v52, 1, v0
	v_xor_b32_e32 v53, 0x440, v47
	v_cmp_eq_u32_e32 vcc, 0, v52
	s_mov_b32 s0, 0x1000504
	s_waitcnt vmcnt(0)
	v_perm_b32 v52, v18, v22, s0
	v_cndmask_b32_e32 v47, v53, v47, vcc
	v_lshl_or_b32 v47, v51, 10, v47
	v_perm_b32 v51, v10, v14, s0
	ds_write2st64_b32 v47, v51, v52 offset1:32
	v_xor_b32_e32 v51, 8, v47
	s_mov_b32 s1, 0x3020706
	v_perm_b32 v10, v10, v14, s1
	v_perm_b32 v14, v18, v22, s1
	v_add_u32_e32 v18, 0x80, v51
	ds_write2st64_b32 v18, v10, v14 offset1:32
	v_xor_b32_e32 v10, 16, v47
	v_perm_b32 v14, v11, v15, s0
	v_perm_b32 v18, v19, v23, s0
	ds_write2st64_b32 v10, v14, v18 offset0:1 offset1:33
	v_xor_b32_e32 v10, 24, v47
	v_perm_b32 v11, v11, v15, s1
	v_perm_b32 v14, v19, v23, s1
	v_add_u32_e32 v10, 0x80, v10
	ds_write2st64_b32 v10, v11, v14 offset0:1 offset1:33
	v_xor_b32_e32 v10, 32, v47
	v_perm_b32 v11, v12, v16, s0
	v_perm_b32 v14, v20, v24, s0
	ds_write2st64_b32 v10, v11, v14 offset0:2 offset1:34
	v_xor_b32_e32 v10, 40, v47
	v_perm_b32 v11, v12, v16, s1
	v_perm_b32 v12, v20, v24, s1
	v_add_u32_e32 v10, 0x80, v10
	ds_write2st64_b32 v10, v11, v12 offset0:2 offset1:34
	v_xor_b32_e32 v10, 48, v47
	v_perm_b32 v11, v13, v17, s0
	v_perm_b32 v12, v21, v25, s0
	ds_write2st64_b32 v10, v11, v12 offset0:3 offset1:35
	v_xor_b32_e32 v10, 56, v47
	v_and_or_b32 v18, v45, 12, v54
	v_perm_b32 v11, v13, v17, s1
	v_perm_b32 v12, v21, v25, s1
	v_add_u32_e32 v10, 0x80, v10
	v_cmp_gt_i32_e32 vcc, s30, v18
	v_mov_b32_e32 v20, 0
	v_mov_b32_e32 v24, 0
	ds_write2st64_b32 v10, v11, v12 offset0:3 offset1:35
	s_and_saveexec_b64 s[0:1], vcc
	s_cbranch_execz .LBB753_61
; %bb.60:
	v_add_u32_e32 v10, s31, v18
	v_ashrrev_i32_e32 v11, 31, v10
	v_mul_lo_u32 v12, v11, s36
	v_mul_lo_u32 v13, v10, s37
	v_mad_u64_u32 v[10:11], s[2:3], v10, s36, 0
	v_add3_u32 v11, v11, v13, v12
	v_lshl_add_u64 v[10:11], v[10:11], 2, s[12:13]
	global_load_dword v10, v[10:11], off
	s_waitcnt vmcnt(0)
	v_sub_f32_e32 v10, s18, v10
	v_mul_f32_e32 v10, 0x3fb8aa3b, v10
	v_exp_f32_e32 v24, v10
.LBB753_61:
	s_or_b64 exec, exec, s[0:1]
	v_or_b32_e32 v23, 1, v18
	v_cmp_gt_i32_e64 s[4:5], s30, v23
	s_and_saveexec_b64 s[0:1], s[4:5]
	s_cbranch_execz .LBB753_63
; %bb.62:
	v_add_u32_e32 v10, s31, v23
	v_ashrrev_i32_e32 v11, 31, v10
	v_mul_lo_u32 v12, v11, s36
	v_mul_lo_u32 v13, v10, s37
	v_mad_u64_u32 v[10:11], s[2:3], v10, s36, 0
	v_add3_u32 v11, v11, v13, v12
	v_lshl_add_u64 v[10:11], v[10:11], 2, s[12:13]
	global_load_dword v10, v[10:11], off
	s_waitcnt vmcnt(0)
	v_sub_f32_e32 v10, s18, v10
	v_mul_f32_e32 v10, 0x3fb8aa3b, v10
	v_exp_f32_e32 v20, v10
.LBB753_63:
	s_or_b64 exec, exec, s[0:1]
	v_or_b32_e32 v21, 2, v18
	v_cmp_gt_i32_e64 s[0:1], s30, v21
	v_mov_b32_e32 v19, 0
	v_mov_b32_e32 v25, 0
	s_and_saveexec_b64 s[2:3], s[0:1]
	s_cbranch_execz .LBB753_65
; %bb.64:
	v_add_u32_e32 v10, s31, v21
	v_ashrrev_i32_e32 v11, 31, v10
	v_mul_lo_u32 v12, v11, s36
	v_mul_lo_u32 v13, v10, s37
	v_mad_u64_u32 v[10:11], s[6:7], v10, s36, 0
	v_add3_u32 v11, v11, v13, v12
	v_lshl_add_u64 v[10:11], v[10:11], 2, s[12:13]
	global_load_dword v10, v[10:11], off
	s_waitcnt vmcnt(0)
	v_sub_f32_e32 v10, s18, v10
	v_mul_f32_e32 v10, 0x3fb8aa3b, v10
	v_exp_f32_e32 v25, v10
.LBB753_65:
	s_or_b64 exec, exec, s[2:3]
	v_or_b32_e32 v22, 3, v18
	v_cmp_gt_i32_e64 s[2:3], s30, v22
	s_and_saveexec_b64 s[6:7], s[2:3]
	s_cbranch_execz .LBB753_67
; %bb.66:
	v_add_u32_e32 v10, s31, v22
	v_ashrrev_i32_e32 v11, 31, v10
	v_mul_lo_u32 v12, v11, s36
	v_mul_lo_u32 v13, v10, s37
	v_mad_u64_u32 v[10:11], s[14:15], v10, s36, 0
	v_add3_u32 v11, v11, v13, v12
	v_lshl_add_u64 v[10:11], v[10:11], 2, s[12:13]
	global_load_dword v10, v[10:11], off
	s_waitcnt vmcnt(0)
	v_sub_f32_e32 v10, s18, v10
	v_mul_f32_e32 v10, 0x3fb8aa3b, v10
	v_exp_f32_e32 v19, v10
.LBB753_67:
	s_or_b64 exec, exec, s[6:7]
	s_waitcnt lgkmcnt(11)
	v_mfma_f32_16x16x16_bf16 a[0:3], v[40:41], v[30:31], a[0:3]
	s_add_u32 s6, s16, s24
	v_ashrrev_i32_e32 v47, 31, v46
	s_addc_u32 s7, s17, s25
	s_waitcnt lgkmcnt(10)
	v_mfma_f32_16x16x16_bf16 a[0:3], v[38:39], v[32:33], a[0:3]
	v_lshlrev_b64 v[10:11], 1, v[46:47]
	v_lshl_add_u64 v[14:15], s[6:7], 0, v[10:11]
	s_add_u32 s6, s8, s24
	s_waitcnt lgkmcnt(9)
	v_mfma_f32_16x16x16_bf16 a[0:3], v[36:37], v[26:27], a[0:3]
	s_addc_u32 s7, s9, s25
	v_lshl_add_u64 v[16:17], s[6:7], 0, v[10:11]
	v_mov_b32_e32 v26, 0
	s_waitcnt lgkmcnt(8)
	v_mfma_f32_16x16x16_bf16 a[0:3], v[34:35], v[28:29], a[0:3]
	v_mov_b32_e32 v27, 0
	s_nop 5
	v_accvgpr_read_b32 v13, a3
	v_accvgpr_read_b32 v12, a2
	;; [unrolled: 1-line block ×4, first 2 shown]
	s_and_saveexec_b64 s[6:7], vcc
	s_cbranch_execz .LBB753_69
; %bb.68:
	v_lshlrev_b32_e32 v28, 8, v18
	v_mov_b32_e32 v29, 0
	v_lshl_add_u64 v[30:31], v[14:15], 0, v[28:29]
	global_load_ushort v27, v[30:31], off
	v_lshl_add_u64 v[28:29], v[16:17], 0, v[28:29]
	s_waitcnt vmcnt(0)
	v_lshlrev_b32_e32 v27, 16, v27
	v_sub_f32_e32 v10, v27, v10
	global_store_short_d16_hi v[28:29], v10, off
	v_mul_f32_e32 v10, v24, v10
	v_lshrrev_b32_e32 v27, 16, v10
.LBB753_69:
	s_or_b64 exec, exec, s[6:7]
	s_and_saveexec_b64 s[6:7], s[4:5]
	s_cbranch_execz .LBB753_71
; %bb.70:
	v_lshlrev_b32_e32 v28, 8, v23
	v_mov_b32_e32 v29, 0
	v_lshl_add_u64 v[30:31], v[14:15], 0, v[28:29]
	global_load_ushort v10, v[30:31], off
	v_lshl_add_u64 v[28:29], v[16:17], 0, v[28:29]
	s_waitcnt vmcnt(0)
	v_lshlrev_b32_e32 v10, 16, v10
	v_sub_f32_e32 v10, v10, v11
	global_store_short_d16_hi v[28:29], v10, off
	v_mul_f32_e32 v10, v20, v10
	v_lshrrev_b32_e32 v26, 16, v10
.LBB753_71:
	s_or_b64 exec, exec, s[6:7]
	v_mov_b32_e32 v11, 0
	v_mov_b32_e32 v20, 0
	s_and_saveexec_b64 s[4:5], s[0:1]
	s_cbranch_execz .LBB753_73
; %bb.72:
	v_lshlrev_b32_e32 v20, 8, v21
	v_mov_b32_e32 v21, 0
	v_lshl_add_u64 v[28:29], v[14:15], 0, v[20:21]
	global_load_ushort v10, v[28:29], off
	v_lshl_add_u64 v[20:21], v[16:17], 0, v[20:21]
	s_waitcnt vmcnt(0)
	v_lshlrev_b32_e32 v10, 16, v10
	v_sub_f32_e32 v10, v10, v12
	global_store_short_d16_hi v[20:21], v10, off
	v_mul_f32_e32 v10, v25, v10
	v_lshrrev_b32_e32 v20, 16, v10
.LBB753_73:
	s_or_b64 exec, exec, s[4:5]
	v_or_b32_e32 v10, 0x9800, v50
	s_and_saveexec_b64 s[0:1], s[2:3]
	s_cbranch_execz .LBB753_75
; %bb.74:
	v_lshlrev_b32_e32 v22, 8, v22
	v_mov_b32_e32 v23, 0
	v_lshl_add_u64 v[14:15], v[14:15], 0, v[22:23]
	global_load_ushort v11, v[14:15], off
	v_lshl_add_u64 v[14:15], v[16:17], 0, v[22:23]
	s_waitcnt vmcnt(0)
	v_lshlrev_b32_e32 v11, 16, v11
	v_sub_f32_e32 v11, v11, v13
	global_store_short_d16_hi v[14:15], v11, off
	v_mul_f32_e32 v11, v19, v11
	v_lshrrev_b32_e32 v11, 16, v11
.LBB753_75:
	s_or_b64 exec, exec, s[0:1]
	s_mov_b32 s0, 0x5040100
	v_perm_b32 v13, v11, v20, s0
	v_lshlrev_b32_e32 v11, 1, v48
	v_perm_b32 v12, v26, v27, s0
	v_lshl_or_b32 v11, v18, 5, v11
	s_movk_i32 s0, 0xff
	ds_write_b64 v11, v[12:13] offset:38912
	v_and_b32_e32 v11, 7, v0
	v_and_b32_e32 v12, 8, v0
	v_cmp_lt_u32_e32 vcc, s0, v0
	v_lshrrev_b32_e32 v0, 1, v0
	v_lshlrev_b32_e32 v22, 3, v1
	v_and_b32_e32 v23, 24, v0
	v_xor_b32_e32 v0, v22, v23
	v_cndmask_b32_e64 v13, 0, 1, vcc
	v_or_b32_e32 v1, 0x440, v0
	v_cmp_eq_u32_e32 vcc, 0, v12
	v_lshlrev_b32_e32 v20, 3, v11
	v_lshlrev_b32_e32 v11, 7, v11
	v_cndmask_b32_e32 v0, v1, v0, vcc
	v_or_b32_e32 v0, v0, v49
	v_lshlrev_b32_e32 v21, 13, v13
	v_xad_u32 v24, v0, v20, v11
	v_add_u32_e32 v0, v21, v24
	s_waitcnt lgkmcnt(0)
	s_barrier
	ds_read_b64 v[0:1], v0
	ds_read2st64_b64 v[12:15], v10 offset1:1
	ds_read2st64_b64 v[16:19], v10 offset0:2 offset1:3
	s_waitcnt lgkmcnt(1)
	v_mfma_f32_16x16x16_bf16 a[0:3], v[0:1], v[12:13], 0
	v_or_b32_e32 v0, 32, v23
	v_xor_b32_e32 v0, v22, v0
	v_or_b32_e32 v1, 0x440, v0
	v_cndmask_b32_e32 v0, v1, v0, vcc
	v_or_b32_e32 v0, v0, v49
	v_xad_u32 v25, v0, v20, v11
	v_add_u32_e32 v0, v21, v25
	ds_read_b64 v[0:1], v0
	v_or_b32_e32 v10, 0x60, v23
	s_waitcnt lgkmcnt(0)
	v_mfma_f32_16x16x16_bf16 a[0:3], v[0:1], v[14:15], a[0:3]
	v_or_b32_e32 v0, 64, v23
	v_xor_b32_e32 v0, v22, v0
	v_xor_b32_e32 v1, 0x440, v0
	v_cndmask_b32_e32 v0, v1, v0, vcc
	v_or_b32_e32 v0, v0, v49
	v_xad_u32 v26, v0, v20, v11
	v_add_u32_e32 v0, v21, v26
	ds_read_b64 v[0:1], v0
	v_xor_b32_e32 v10, v22, v10
	v_xor_b32_e32 v22, 0x440, v10
	v_cndmask_b32_e32 v10, v22, v10, vcc
	v_or_b32_e32 v10, v10, v49
	v_xad_u32 v22, v10, v20, v11
	v_add_u32_e32 v10, v21, v22
	ds_read_b64 v[10:11], v10
	s_waitcnt lgkmcnt(1)
	v_mfma_f32_16x16x16_bf16 a[0:3], v[0:1], v[16:17], a[0:3]
	ds_read_b64 v[0:1], v24 offset:8192
	ds_read_b64 v[20:21], v25 offset:8192
	v_mov_b32_e32 v23, 0x3fb8aa3b
	s_waitcnt lgkmcnt(2)
	v_mfma_f32_16x16x16_bf16 a[0:3], v[10:11], v[18:19], a[0:3]
	v_mul_f32_e32 v10, s18, v23
	v_exp_f32_e32 v23, v10
	ds_read_b64 v[10:11], v26 offset:8192
	s_waitcnt lgkmcnt(2)
	v_mfma_f32_16x16x16_bf16 a[4:7], v[0:1], v[12:13], 0
	ds_read_b64 v[12:13], v22 offset:8192
	s_nop 0
	v_accvgpr_read_b32 v0, a0
	v_accvgpr_read_b32 v1, a1
	s_waitcnt lgkmcnt(2)
	v_mfma_f32_16x16x16_bf16 a[4:7], v[20:21], v[14:15], a[4:7]
	v_fma_f32 v0, v2, v23, v0
	v_fma_f32 v1, v3, v23, v1
	v_accvgpr_read_b32 v2, a2
	s_waitcnt lgkmcnt(1)
	v_mfma_f32_16x16x16_bf16 a[4:7], v[10:11], v[16:17], a[4:7]
	v_accvgpr_read_b32 v3, a3
	v_fma_f32 v2, v4, v23, v2
	v_fmac_f32_e32 v3, v5, v23
	s_waitcnt lgkmcnt(0)
	v_mfma_f32_16x16x16_bf16 a[0:3], v[12:13], v[18:19], a[4:7]
	s_nop 6
	v_accvgpr_read_b32 v4, a0
	v_accvgpr_read_b32 v5, a1
	v_fma_f32 v4, v6, v23, v4
	v_fma_f32 v5, v7, v23, v5
	v_accvgpr_read_b32 v6, a2
	v_accvgpr_read_b32 v7, a3
	v_fma_f32 v6, v8, v23, v6
	v_fmac_f32_e32 v7, v9, v23
	v_mov_b64_e32 v[8:9], v[6:7]
	v_mov_b64_e32 v[6:7], v[4:5]
	v_mov_b64_e32 v[4:5], v[2:3]
	v_mov_b64_e32 v[2:3], v[0:1]
.LBB753_76:
	s_add_u32 s0, s10, s34
	s_addc_u32 s1, s11, s35
	v_lshl_add_u64 v[0:1], v[42:43], 2, s[0:1]
	v_mov_b32_e32 v45, 0
	v_lshl_add_u64 v[0:1], v[0:1], 0, v[44:45]
	global_store_dwordx4 v[0:1], v[2:5], off
	global_store_dwordx4 v[0:1], v[6:9], off offset:256
	s_endpgm
	.section	.rodata,"a",@progbits
	.p2align	6, 0x0
	.amdhsa_kernel _ZN12_GLOBAL__N_139chunk_gated_delta_rule_fwd_h_hip_kernelILi16ELb1ELb1ELb1ELb1ELb0ELb0ELb0ELb0EEEvPK12hip_bfloat16S3_S3_PKfS5_PKvPS1_S8_PvPKiSB_iiiiilll
		.amdhsa_group_segment_fixed_size 40960
		.amdhsa_private_segment_fixed_size 0
		.amdhsa_kernarg_size 136
		.amdhsa_user_sgpr_count 2
		.amdhsa_user_sgpr_dispatch_ptr 0
		.amdhsa_user_sgpr_queue_ptr 0
		.amdhsa_user_sgpr_kernarg_segment_ptr 1
		.amdhsa_user_sgpr_dispatch_id 0
		.amdhsa_user_sgpr_kernarg_preload_length 0
		.amdhsa_user_sgpr_kernarg_preload_offset 0
		.amdhsa_user_sgpr_private_segment_size 0
		.amdhsa_uses_dynamic_stack 0
		.amdhsa_enable_private_segment 0
		.amdhsa_system_sgpr_workgroup_id_x 1
		.amdhsa_system_sgpr_workgroup_id_y 1
		.amdhsa_system_sgpr_workgroup_id_z 0
		.amdhsa_system_sgpr_workgroup_info 0
		.amdhsa_system_vgpr_workitem_id 0
		.amdhsa_next_free_vgpr 120
		.amdhsa_next_free_sgpr 68
		.amdhsa_accum_offset 112
		.amdhsa_reserve_vcc 1
		.amdhsa_float_round_mode_32 0
		.amdhsa_float_round_mode_16_64 0
		.amdhsa_float_denorm_mode_32 3
		.amdhsa_float_denorm_mode_16_64 3
		.amdhsa_dx10_clamp 1
		.amdhsa_ieee_mode 1
		.amdhsa_fp16_overflow 0
		.amdhsa_tg_split 0
		.amdhsa_exception_fp_ieee_invalid_op 0
		.amdhsa_exception_fp_denorm_src 0
		.amdhsa_exception_fp_ieee_div_zero 0
		.amdhsa_exception_fp_ieee_overflow 0
		.amdhsa_exception_fp_ieee_underflow 0
		.amdhsa_exception_fp_ieee_inexact 0
		.amdhsa_exception_int_div_zero 0
	.end_amdhsa_kernel
	.section	.text._ZN12_GLOBAL__N_139chunk_gated_delta_rule_fwd_h_hip_kernelILi16ELb1ELb1ELb1ELb1ELb0ELb0ELb0ELb0EEEvPK12hip_bfloat16S3_S3_PKfS5_PKvPS1_S8_PvPKiSB_iiiiilll,"axG",@progbits,_ZN12_GLOBAL__N_139chunk_gated_delta_rule_fwd_h_hip_kernelILi16ELb1ELb1ELb1ELb1ELb0ELb0ELb0ELb0EEEvPK12hip_bfloat16S3_S3_PKfS5_PKvPS1_S8_PvPKiSB_iiiiilll,comdat
.Lfunc_end753:
	.size	_ZN12_GLOBAL__N_139chunk_gated_delta_rule_fwd_h_hip_kernelILi16ELb1ELb1ELb1ELb1ELb0ELb0ELb0ELb0EEEvPK12hip_bfloat16S3_S3_PKfS5_PKvPS1_S8_PvPKiSB_iiiiilll, .Lfunc_end753-_ZN12_GLOBAL__N_139chunk_gated_delta_rule_fwd_h_hip_kernelILi16ELb1ELb1ELb1ELb1ELb0ELb0ELb0ELb0EEEvPK12hip_bfloat16S3_S3_PKfS5_PKvPS1_S8_PvPKiSB_iiiiilll
                                        ; -- End function
	.section	.AMDGPU.csdata,"",@progbits
; Kernel info:
; codeLenInByte = 7836
; NumSgprs: 74
; NumVgprs: 112
; NumAgprs: 8
; TotalNumVgprs: 120
; ScratchSize: 0
; MemoryBound: 0
; FloatMode: 240
; IeeeMode: 1
; LDSByteSize: 40960 bytes/workgroup (compile time only)
; SGPRBlocks: 9
; VGPRBlocks: 14
; NumSGPRsForWavesPerEU: 74
; NumVGPRsForWavesPerEU: 120
; AccumOffset: 112
; Occupancy: 1
; WaveLimiterHint : 1
; COMPUTE_PGM_RSRC2:SCRATCH_EN: 0
; COMPUTE_PGM_RSRC2:USER_SGPR: 2
; COMPUTE_PGM_RSRC2:TRAP_HANDLER: 0
; COMPUTE_PGM_RSRC2:TGID_X_EN: 1
; COMPUTE_PGM_RSRC2:TGID_Y_EN: 1
; COMPUTE_PGM_RSRC2:TGID_Z_EN: 0
; COMPUTE_PGM_RSRC2:TIDIG_COMP_CNT: 0
; COMPUTE_PGM_RSRC3_GFX90A:ACCUM_OFFSET: 27
; COMPUTE_PGM_RSRC3_GFX90A:TG_SPLIT: 0
	.section	.text._ZN12_GLOBAL__N_139chunk_gated_delta_rule_fwd_h_hip_kernelILi16ELb1ELb1ELb0ELb1ELb0ELb0ELb0ELb0EEEvPK12hip_bfloat16S3_S3_PKfS5_PKvPS1_S8_PvPKiSB_iiiiilll,"axG",@progbits,_ZN12_GLOBAL__N_139chunk_gated_delta_rule_fwd_h_hip_kernelILi16ELb1ELb1ELb0ELb1ELb0ELb0ELb0ELb0EEEvPK12hip_bfloat16S3_S3_PKfS5_PKvPS1_S8_PvPKiSB_iiiiilll,comdat
	.globl	_ZN12_GLOBAL__N_139chunk_gated_delta_rule_fwd_h_hip_kernelILi16ELb1ELb1ELb0ELb1ELb0ELb0ELb0ELb0EEEvPK12hip_bfloat16S3_S3_PKfS5_PKvPS1_S8_PvPKiSB_iiiiilll ; -- Begin function _ZN12_GLOBAL__N_139chunk_gated_delta_rule_fwd_h_hip_kernelILi16ELb1ELb1ELb0ELb1ELb0ELb0ELb0ELb0EEEvPK12hip_bfloat16S3_S3_PKfS5_PKvPS1_S8_PvPKiSB_iiiiilll
	.p2align	8
	.type	_ZN12_GLOBAL__N_139chunk_gated_delta_rule_fwd_h_hip_kernelILi16ELb1ELb1ELb0ELb1ELb0ELb0ELb0ELb0EEEvPK12hip_bfloat16S3_S3_PKfS5_PKvPS1_S8_PvPKiSB_iiiiilll,@function
_ZN12_GLOBAL__N_139chunk_gated_delta_rule_fwd_h_hip_kernelILi16ELb1ELb1ELb0ELb1ELb0ELb0ELb0ELb0EEEvPK12hip_bfloat16S3_S3_PKfS5_PKvPS1_S8_PvPKiSB_iiiiilll: ; @_ZN12_GLOBAL__N_139chunk_gated_delta_rule_fwd_h_hip_kernelILi16ELb1ELb1ELb0ELb1ELb0ELb0ELb0ELb0EEEvPK12hip_bfloat16S3_S3_PKfS5_PKvPS1_S8_PvPKiSB_iiiiilll
; %bb.0:
	s_load_dwordx4 s[16:19], s[0:1], 0x5c
	s_load_dwordx2 s[4:5], s[0:1], 0x50
	s_abs_i32 s7, s3
	s_ashr_i32 s6, s3, 31
	s_load_dwordx4 s[12:15], s[0:1], 0x40
	s_load_dwordx4 s[20:23], s[0:1], 0x28
	s_waitcnt lgkmcnt(0)
	s_abs_i32 s10, s17
	v_cvt_f32_u32_e32 v1, s10
	s_sub_i32 s8, 0, s10
	s_ashr_i32 s11, s17, 31
	s_xor_b32 s6, s6, s11
	v_rcp_iflag_f32_e32 v1, v1
	v_and_b32_e32 v54, 15, v0
	v_bfe_u32 v53, v0, 4, 2
	v_mov_b32_e32 v45, 0
	v_mul_f32_e32 v1, 0x4f7ffffe, v1
	v_cvt_u32_f32_e32 v1, v1
	v_lshlrev_b32_e32 v55, 3, v0
	v_readfirstlane_b32 s9, v1
	s_mul_i32 s8, s8, s9
	s_mul_hi_u32 s8, s9, s8
	s_add_i32 s9, s9, s8
	s_mul_hi_u32 s8, s7, s9
	s_mul_i32 s9, s8, s10
	s_sub_i32 s7, s7, s9
	s_add_i32 s24, s8, 1
	s_sub_i32 s9, s7, s10
	s_cmp_ge_u32 s7, s10
	s_cselect_b32 s8, s24, s8
	s_cselect_b32 s7, s9, s7
	s_add_i32 s9, s8, 1
	s_cmp_ge_u32 s7, s10
	s_cselect_b32 s7, s9, s8
	s_xor_b32 s7, s7, s6
	s_sub_i32 s24, s7, s6
	s_mul_i32 s28, s24, s17
	s_ashr_i32 s25, s24, 31
	s_sub_i32 s49, s3, s28
	s_lshl_b64 s[6:7], s[24:25], 2
	s_add_u32 s8, s14, s6
	s_addc_u32 s9, s15, s7
	s_add_u32 s26, s4, s6
	s_addc_u32 s27, s5, s7
	s_abs_i32 s3, s18
	v_cvt_f32_u32_e32 v1, s3
	s_load_dwordx2 s[36:37], s[8:9], 0x0
	s_sub_i32 s5, 0, s3
	s_lshl_b32 s2, s2, 4
	v_rcp_iflag_f32_e32 v1, v1
	v_or_b32_e32 v46, s2, v54
	s_waitcnt lgkmcnt(0)
	s_sub_i32 s52, s37, s36
	s_ashr_i32 s4, s52, 31
	v_mul_f32_e32 v1, 0x4f7ffffe, v1
	v_cvt_u32_f32_e32 v1, v1
	s_lshr_b32 s4, s4, 26
	s_add_i32 s4, s52, s4
	s_ashr_i32 s50, s4, 6
	v_readfirstlane_b32 s6, v1
	s_mul_i32 s5, s5, s6
	s_mul_hi_u32 s5, s6, s5
	s_add_i32 s6, s6, s5
	s_mul_hi_u32 s5, s10, s6
	s_mul_i32 s6, s5, s3
	s_ashr_i32 s4, s18, 31
	s_sub_i32 s6, s10, s6
	s_xor_b32 s4, s11, s4
	s_add_i32 s7, s5, 1
	s_sub_i32 s8, s6, s3
	s_cmp_ge_u32 s6, s3
	s_cselect_b32 s5, s7, s5
	s_cselect_b32 s6, s8, s6
	s_add_i32 s7, s5, 1
	s_cmp_ge_u32 s6, s3
	s_cselect_b32 s3, s7, s5
	s_xor_b32 s3, s3, s4
	s_sub_i32 s3, s3, s4
	s_abs_i32 s4, s3
	v_cvt_f32_u32_e32 v1, s4
	s_sub_i32 s6, 0, s4
	s_abs_i32 s5, s49
	s_xor_b32 s3, s49, s3
	v_rcp_iflag_f32_e32 v2, v1
	s_ashr_i32 s3, s3, 31
	v_lshrrev_b32_e32 v1, 6, v0
	v_lshlrev_b32_e32 v52, 4, v1
	v_mul_f32_e32 v2, 0x4f7ffffe, v2
	v_cvt_u32_f32_e32 v2, v2
	v_lshlrev_b32_e32 v42, 7, v46
	v_lshl_or_b32 v57, v53, 2, v52
	v_ashrrev_i32_e32 v43, 31, v42
	v_readfirstlane_b32 s7, v2
	s_mul_i32 s6, s6, s7
	s_mul_hi_u32 s6, s7, s6
	s_add_i32 s7, s7, s6
	s_mul_hi_u32 s6, s5, s7
	s_mul_i32 s7, s6, s4
	s_sub_i32 s5, s5, s7
	s_add_i32 s7, s6, 1
	s_sub_i32 s8, s5, s4
	s_cmp_ge_u32 s5, s4
	s_cselect_b32 s6, s7, s6
	s_cselect_b32 s5, s8, s5
	s_add_i32 s7, s6, 1
	s_cmp_ge_u32 s5, s4
	s_cselect_b32 s4, s7, s6
	s_xor_b32 s4, s4, s3
	s_sub_i32 s53, s4, s3
	s_ashr_i32 s51, s49, 31
	s_mul_hi_i32 s3, s24, s17
	s_add_u32 s4, s28, s49
	s_addc_u32 s5, s3, s51
	s_lshl_b64 s[14:15], s[4:5], 16
	s_add_u32 s4, s20, s14
	s_addc_u32 s5, s21, s15
	v_lshl_add_u64 v[2:3], v[42:43], 2, s[4:5]
	v_lshlrev_b32_e32 v44, 2, v57
	v_lshl_add_u64 v[10:11], v[2:3], 0, v[44:45]
	global_load_dwordx4 v[2:5], v[10:11], off
	global_load_dwordx4 v[6:9], v[10:11], off offset:256
	s_load_dwordx8 s[4:11], s[0:1], 0x0
	s_load_dwordx2 s[34:35], s[0:1], 0x80
	s_load_dwordx4 s[28:31], s[0:1], 0x70
	s_load_dword s56, s[26:27], 0x0
	v_and_b32_e32 v45, 63, v0
	v_lshrrev_b32_e32 v56, 3, v45
	v_or_b32_e32 v58, 64, v57
	s_waitcnt lgkmcnt(0)
	s_mul_i32 s33, s24, s29
	s_mul_hi_u32 s44, s24, s28
	s_mul_i32 s40, s24, s28
	s_mul_i32 s45, s25, s28
	s_mul_hi_i32 s54, s49, s16
	s_mul_i32 s55, s49, s16
	s_mul_i32 s46, s49, s31
	s_mul_hi_u32 s47, s49, s30
	s_mul_i32 s48, s51, s30
	s_cmp_lt_i32 s52, 64
	s_mul_i32 s38, s49, s30
	s_waitcnt vmcnt(1)
	v_mov_b32_e32 v60, v5
	s_waitcnt vmcnt(0)
	v_mov_b32_e32 v59, v9
	s_cbranch_scc1 .LBB754_3
; %bb.1:
	s_ashr_i32 s1, s36, 31
	s_add_u32 s0, s55, s36
	s_addc_u32 s1, s54, s1
	s_lshl_b64 s[0:1], s[0:1], 8
	v_and_b32_e32 v62, 56, v55
	s_add_u32 s24, s6, s0
	v_lshl_or_b32 v61, v1, 3, v56
	v_lshlrev_b32_e32 v5, 1, v62
	s_addc_u32 s0, s7, s1
	v_lshl_or_b32 v63, v61, 8, v5
	s_and_b32 s25, s0, 0xffff
	s_mov_b32 s27, 0x20000
	s_movk_i32 s26, 0x4000
	s_movk_i32 s0, 0x80
	v_or_b32_e32 v64, 0x2000, v63
	buffer_load_dwordx4 v[10:13], v63, s[24:27], 0 offen
	buffer_load_dwordx4 v[14:17], v63, s[24:27], s0 offen
	;; [unrolled: 1-line block ×4, first 2 shown]
	v_lshlrev_b32_e32 v9, 3, v61
	v_and_or_b32 v27, v0, 7, v9
	v_and_b32_e32 v9, 0x78, v9
	v_lshlrev_b32_e32 v27, 4, v27
	v_xor_b32_e32 v65, v27, v9
	v_mul_lo_u32 v26, v61, s19
	v_or_b32_e32 v66, 0x1000, v65
	v_xor_b32_e32 v9, 8, v65
	s_cmpk_eq_i32 s19, 0x80
	s_mov_b32 s57, s36
	v_xor_b32_e32 v27, 8, v66
	s_cselect_b64 s[0:1], -1, 0
	s_cmpk_lg_i32 s19, 0x80
	s_waitcnt vmcnt(3)
	ds_write_b64 v65, v[10:11] offset:16384
	ds_write_b64 v9, v[12:13] offset:16384
	s_waitcnt vmcnt(2)
	ds_write_b64 v65, v[14:15] offset:24576
	ds_write_b64 v9, v[16:17] offset:24576
	;; [unrolled: 3-line block ×4, first 2 shown]
	v_lshl_add_u32 v9, v26, 1, v62
	s_cbranch_scc0 .LBB754_29
; %bb.2:
	v_lshlrev_b32_e32 v11, 1, v9
	v_add_lshl_u32 v10, v9, s19, 1
	s_lshl_b32 s26, s19, 7
	v_lshl_or_b32 v5, v61, 9, v5
	s_cbranch_execz .LBB754_30
	s_branch .LBB754_31
.LBB754_3:
	v_mov_b32_e32 v9, v59
	v_mov_b32_e32 v5, v60
.LBB754_4:
	s_lshl_b32 s31, s50, 6
	s_sub_i32 s30, s52, s31
	s_cmp_gt_i32 s30, 0
	s_cbranch_scc0 .LBB754_76
; %bb.5:
	s_add_i32 s31, s31, s36
	s_ashr_i32 s3, s31, 31
	s_cmpk_lg_i32 s19, 0x80
	s_cselect_b64 s[26:27], -1, 0
	s_and_b64 vcc, exec, s[26:27]
	s_cbranch_vccz .LBB754_7
; %bb.6:
	s_mul_hi_i32 s0, s31, s18
	s_mul_i32 s1, s31, s18
	s_ashr_i32 s18, s53, 31
	s_add_u32 s28, s1, s53
	s_addc_u32 s29, s0, s18
	s_cbranch_execz .LBB754_8
	s_branch .LBB754_9
.LBB754_7:
                                        ; implicit-def: $sgpr28_sgpr29
.LBB754_8:
	s_mul_i32 s1, s53, s16
	s_mul_hi_i32 s0, s53, s16
	s_add_u32 s28, s1, s31
	s_addc_u32 s29, s0, s3
.LBB754_9:
	s_add_i32 s16, s50, s56
	s_add_u32 s0, s55, s31
	s_addc_u32 s1, s54, s3
	s_mov_b32 s3, 0x7060302
	v_lshlrev_b32_e32 v14, 3, v54
	s_lshl_b64 s[24:25], s[0:1], 8
	v_perm_b32 v11, v5, v4, s3
	v_perm_b32 v10, v3, v2, s3
	;; [unrolled: 1-line block ×4, first 2 shown]
	v_lshlrev_b32_e32 v48, 2, v54
	v_lshl_or_b32 v14, v57, 5, v14
	s_add_u32 s0, s6, s24
	ds_write2st64_b64 v14, v[10:11], v[12:13] offset0:72 offset1:76
	v_xor_b32_e32 v14, v57, v48
	v_lshlrev_b32_e32 v15, 8, v54
	s_addc_u32 s1, s7, s25
	v_lshl_or_b32 v14, v14, 1, v15
	s_mul_hi_i32 s3, s16, s17
	s_mul_i32 s16, s16, s17
	ds_write_b64 v14, v[10:11] offset:32768
	v_xor_b32_e32 v10, v58, v48
	s_add_u32 s6, s16, s49
	v_lshl_or_b32 v10, v10, 1, v15
	s_addc_u32 s7, s3, s51
	v_lshlrev_b32_e32 v11, 1, v54
	ds_write_b64 v10, v[12:13] offset:32768
	v_lshrrev_b32_e32 v10, 4, v0
	s_ashr_i32 s3, s2, 31
	s_lshl_b64 s[6:7], s[6:7], 15
	v_or_b32_e32 v12, 1, v11
	s_add_u32 s6, s22, s6
	v_xor_b32_e32 v11, v10, v11
	v_xor_b32_e32 v12, v12, v10
	v_lshlrev_b32_e32 v14, 8, v10
	s_addc_u32 s7, s23, s7
	s_lshl_b64 s[2:3], s[2:3], 8
	v_lshl_or_b32 v10, v11, 3, v14
	v_lshl_or_b32 v12, v12, 3, v14
	s_waitcnt lgkmcnt(0)
	s_barrier
	s_add_u32 s2, s6, s2
	ds_read_b64 v[10:11], v10 offset:32768
	ds_read_b64 v[12:13], v12 offset:32768
	s_addc_u32 s3, s7, s3
	v_mov_b32_e32 v15, 0
	s_cmp_lg_u32 s30, 64
	v_lshl_add_u64 v[16:17], s[2:3], 0, v[14:15]
	v_lshlrev_b32_e32 v14, 4, v54
	s_cselect_b64 s[6:7], -1, 0
	v_lshl_or_b32 v47, v1, 3, v56
	s_mov_b32 s20, 0
	v_lshl_add_u64 v[14:15], v[16:17], 0, v[14:15]
	s_waitcnt vmcnt(1)
	v_or_b32_e32 v27, 32, v47
	v_and_b32_e32 v26, 56, v55
	s_and_b64 vcc, exec, s[6:7]
	s_waitcnt lgkmcnt(0)
	global_store_dwordx4 v[14:15], v[10:13], off
	s_cbranch_vccz .LBB754_15
; %bb.10:
	s_mov_b32 s21, s20
	s_mov_b32 s22, s20
	;; [unrolled: 1-line block ×3, first 2 shown]
	v_mov_b64_e32 v[14:15], s[20:21]
	v_mov_b64_e32 v[16:17], s[22:23]
	;; [unrolled: 1-line block ×3, first 2 shown]
	v_cmp_gt_i32_e32 vcc, s30, v47
	v_mov_b64_e32 v[12:13], v[16:17]
	s_and_saveexec_b64 s[2:3], vcc
	s_cbranch_execz .LBB754_12
; %bb.11:
	v_lshlrev_b32_e32 v10, 8, v47
	v_mov_b32_e32 v11, 0
	v_lshl_add_u64 v[12:13], s[0:1], 0, v[10:11]
	v_lshlrev_b32_e32 v10, 1, v26
	v_lshl_add_u64 v[18:19], v[12:13], 0, v[10:11]
	global_load_dwordx4 v[14:17], v[18:19], off
	global_load_dwordx4 v[10:13], v[18:19], off offset:128
.LBB754_12:
	s_or_b64 exec, exec, s[2:3]
	s_mov_b32 s22, s20
	s_mov_b32 s23, s20
	;; [unrolled: 1-line block ×3, first 2 shown]
	v_mov_b64_e32 v[24:25], s[22:23]
	v_mov_b64_e32 v[22:23], s[20:21]
	;; [unrolled: 1-line block ×3, first 2 shown]
	v_cmp_gt_i32_e32 vcc, s30, v27
	v_lshlrev_b32_e32 v28, 7, v27
	v_mov_b64_e32 v[20:21], v[24:25]
	s_and_saveexec_b64 s[2:3], vcc
	s_cbranch_execz .LBB754_14
; %bb.13:
	v_lshlrev_b32_e32 v18, 1, v28
	v_mov_b32_e32 v19, 0
	v_lshl_add_u64 v[20:21], s[0:1], 0, v[18:19]
	v_lshlrev_b32_e32 v18, 1, v26
	v_lshl_add_u64 v[30:31], v[20:21], 0, v[18:19]
	global_load_dwordx4 v[22:25], v[30:31], off
	global_load_dwordx4 v[18:21], v[30:31], off offset:128
.LBB754_14:
	s_or_b64 exec, exec, s[2:3]
	v_lshrrev_b32_e32 v29, 3, v26
	v_lshlrev_b32_e32 v30, 3, v47
	v_or_b32_e32 v29, v30, v29
	v_lshlrev_b32_e32 v29, 4, v29
	v_and_b32_e32 v30, 0x78, v30
	v_xor_b32_e32 v29, v29, v30
	s_branch .LBB754_17
.LBB754_15:
                                        ; implicit-def: $vgpr29
                                        ; implicit-def: $vgpr28
                                        ; implicit-def: $vgpr14_vgpr15_vgpr16_vgpr17
                                        ; implicit-def: $vgpr10_vgpr11_vgpr12_vgpr13
                                        ; implicit-def: $vgpr22_vgpr23_vgpr24_vgpr25
                                        ; implicit-def: $vgpr18_vgpr19_vgpr20_vgpr21
	s_cbranch_execz .LBB754_17
; %bb.16:
	s_waitcnt vmcnt(0)
	v_lshlrev_b32_e32 v10, 1, v26
	v_lshl_or_b32 v28, v47, 8, v10
	s_and_b32 s1, s1, 0xffff
	s_mov_b32 s3, 0x20000
	s_movk_i32 s2, 0x4000
	v_lshl_or_b32 v29, v27, 8, v10
	s_movk_i32 s16, 0x80
	buffer_load_dwordx4 v[14:17], v28, s[0:3], 0 offen
	buffer_load_dwordx4 v[10:13], v28, s[0:3], s16 offen
	;; [unrolled: 1-line block ×4, first 2 shown]
	v_lshrrev_b32_e32 v28, 3, v26
	v_lshlrev_b32_e32 v29, 3, v47
	v_or_b32_e32 v28, v29, v28
	v_lshlrev_b32_e32 v28, 4, v28
	v_and_b32_e32 v29, 0x78, v29
	v_xor_b32_e32 v29, v28, v29
	v_lshlrev_b32_e32 v28, 7, v27
.LBB754_17:
	s_lshl_b64 s[0:1], s[28:29], 8
	s_add_u32 s4, s4, s0
	s_movk_i32 s0, 0x1000
	v_and_or_b32 v27, v28, s0, v29
	s_waitcnt vmcnt(1)
	ds_write_b64 v29, v[14:15] offset:16384
	v_xor_b32_e32 v14, 8, v29
	ds_write_b64 v14, v[16:17] offset:16384
	s_waitcnt vmcnt(0)
	ds_write_b64 v29, v[10:11] offset:24576
	ds_write_b64 v14, v[12:13] offset:24576
	;; [unrolled: 1-line block ×3, first 2 shown]
	v_xor_b32_e32 v10, 8, v27
	ds_write_b64 v10, v[24:25] offset:16384
	ds_write_b64 v27, v[18:19] offset:24576
	;; [unrolled: 1-line block ×3, first 2 shown]
	v_or_b32_e32 v10, v52, v54
	v_lshlrev_b32_e32 v10, 3, v10
	v_lshrrev_b32_e32 v12, 5, v45
	s_movk_i32 s16, 0xf8
	v_and_or_b32 v12, v10, s16, v12
	v_lshlrev_b32_e32 v49, 11, v1
	v_lshlrev_b32_e32 v20, 4, v12
	v_and_b32_e32 v21, 0x78, v10
	v_and_b32_e32 v22, 0x1000, v49
	v_lshlrev_b32_e32 v11, 2, v0
	v_xor_b32_e32 v10, v20, v21
	v_lshrrev_b32_e32 v12, 1, v45
	v_and_b32_e32 v11, 60, v11
	v_or_b32_e32 v10, v10, v22
	v_and_b32_e32 v23, 8, v12
	v_xor_b32_e32 v34, v10, v23
	v_lshl_or_b32 v10, v53, 6, v11
	v_lshlrev_b32_e32 v50, 1, v10
	v_or_b32_e32 v10, 32, v20
	v_xor_b32_e32 v10, v10, v21
	s_waitcnt lgkmcnt(0)
	s_barrier
	ds_read_b64 v[18:19], v34 offset:16384
	v_or_b32_e32 v10, v10, v22
	v_xor_b32_e32 v35, v10, v23
	v_or_b32_e32 v10, 64, v20
	v_xor_b32_e32 v10, v10, v21
	v_or_b32_e32 v10, v10, v22
	v_or_b32_e32 v20, 0x60, v20
	v_xor_b32_e32 v36, v10, v23
	ds_read2st64_b64 v[10:13], v50 offset0:72 offset1:73
	ds_read2st64_b64 v[14:17], v50 offset0:74 offset1:75
	v_xor_b32_e32 v24, v20, v21
	ds_read_b64 v[20:21], v35 offset:16384
	s_addc_u32 s5, s5, s1
	s_add_i32 s1, s44, s33
	s_waitcnt lgkmcnt(2)
	v_mfma_f32_16x16x16_bf16 a[0:3], v[18:19], v[10:11], 0
	s_add_i32 s0, s37, -1
	s_add_i32 s41, s1, s45
	s_add_i32 s1, s47, s46
	;; [unrolled: 1-line block ×3, first 2 shown]
	s_ashr_i32 s1, s0, 31
	s_mul_i32 s2, s0, s35
	s_mul_hi_u32 s3, s0, s34
	s_add_i32 s2, s3, s2
	s_mul_i32 s1, s1, s34
	v_or_b32_e32 v22, v24, v22
	s_add_i32 s1, s2, s1
	s_lshl_b64 s[2:3], s[40:41], 2
	v_xor_b32_e32 v51, v22, v23
	ds_read_b64 v[22:23], v36 offset:16384
	ds_read_b64 v[24:25], v51 offset:16384
	s_waitcnt lgkmcnt(2)
	v_mfma_f32_16x16x16_bf16 a[0:3], v[20:21], v[12:13], a[0:3]
	s_add_u32 s10, s10, s2
	s_addc_u32 s11, s11, s3
	s_lshl_b64 s[2:3], s[38:39], 2
	s_mul_i32 s0, s0, s34
	s_add_u32 s10, s10, s2
	s_addc_u32 s11, s11, s3
	s_lshl_b64 s[0:1], s[0:1], 2
	s_waitcnt lgkmcnt(1)
	v_mfma_f32_16x16x16_bf16 a[0:3], v[22:23], v[14:15], a[0:3]
	s_add_u32 s0, s10, s0
	s_addc_u32 s1, s11, s1
	s_load_dword s16, s[0:1], 0x0
	s_waitcnt lgkmcnt(0)
	v_mfma_f32_16x16x16_bf16 a[0:3], v[24:25], v[16:17], a[0:3]
	s_and_b64 vcc, exec, s[26:27]
	s_cbranch_vccz .LBB754_28
; %bb.18:
	v_lshlrev_b32_e32 v27, 1, v47
	s_and_b64 vcc, exec, s[6:7]
	s_cbranch_vccz .LBB754_44
; %bb.19:
	v_cmp_gt_i32_e32 vcc, s30, v27
	v_mov_b32_e32 v14, 0
	v_mov_b32_e32 v10, 0
	;; [unrolled: 1-line block ×5, first 2 shown]
	s_and_saveexec_b64 s[0:1], vcc
	s_cbranch_execz .LBB754_21
; %bb.20:
	v_mad_i64_i32 v[10:11], s[2:3], s19, v27, 0
	v_lshl_add_u64 v[10:11], v[10:11], 1, s[4:5]
	v_lshlrev_b32_e32 v12, 1, v26
	v_mov_b32_e32 v13, 0
	v_lshl_add_u64 v[10:11], v[10:11], 0, v[12:13]
	global_load_dwordx4 v[10:13], v[10:11], off
.LBB754_21:
	s_or_b64 exec, exec, s[0:1]
	v_or_b32_e32 v28, 1, v27
	v_cmp_gt_i32_e64 s[0:1], s30, v28
	v_mov_b32_e32 v15, 0
	v_mov_b32_e32 v16, 0
	;; [unrolled: 1-line block ×3, first 2 shown]
	s_and_saveexec_b64 s[2:3], s[0:1]
	s_cbranch_execz .LBB754_23
; %bb.22:
	v_mad_i64_i32 v[14:15], s[20:21], s19, v28, 0
	v_lshl_add_u64 v[14:15], v[14:15], 1, s[4:5]
	v_lshlrev_b32_e32 v16, 1, v26
	v_mov_b32_e32 v17, 0
	v_lshl_add_u64 v[14:15], v[14:15], 0, v[16:17]
	global_load_dwordx4 v[14:17], v[14:15], off
.LBB754_23:
	s_or_b64 exec, exec, s[2:3]
	v_mov_b32_e32 v25, 0
	v_mov_b32_e32 v18, 0
	v_mov_b32_e32 v19, 0
	v_mov_b32_e32 v20, 0
	v_mov_b32_e32 v21, 0
	s_and_saveexec_b64 s[2:3], vcc
	s_cbranch_execz .LBB754_25
; %bb.24:
	v_mad_i64_i32 v[18:19], s[20:21], s19, v27, 0
	v_lshl_add_u64 v[18:19], v[18:19], 1, s[4:5]
	v_lshlrev_b32_e32 v20, 1, v26
	v_mov_b32_e32 v21, 0
	v_lshl_add_u64 v[18:19], v[18:19], 0, v[20:21]
	global_load_dwordx4 v[18:21], v[18:19], off offset:128
.LBB754_25:
	s_or_b64 exec, exec, s[2:3]
	v_mov_b32_e32 v24, 0
	v_mov_b32_e32 v23, 0
	;; [unrolled: 1-line block ×3, first 2 shown]
	s_and_saveexec_b64 s[2:3], s[0:1]
	s_cbranch_execz .LBB754_27
; %bb.26:
	v_mad_i64_i32 v[22:23], s[0:1], s19, v28, 0
	v_lshl_add_u64 v[22:23], v[22:23], 1, s[4:5]
	v_lshlrev_b32_e32 v24, 1, v26
	v_mov_b32_e32 v25, 0
	v_lshl_add_u64 v[22:23], v[22:23], 0, v[24:25]
	global_load_dwordx4 v[22:25], v[22:23], off offset:128
.LBB754_27:
	s_or_b64 exec, exec, s[2:3]
	s_branch .LBB754_46
.LBB754_28:
                                        ; implicit-def: $vgpr13
                                        ; implicit-def: $vgpr17
                                        ; implicit-def: $vgpr21
                                        ; implicit-def: $vgpr25
	v_lshrrev_b32_e32 v45, 2, v45
	s_branch .LBB754_47
.LBB754_29:
                                        ; implicit-def: $vgpr10
                                        ; implicit-def: $vgpr11
                                        ; implicit-def: $sgpr26
	v_lshl_or_b32 v5, v61, 9, v5
.LBB754_30:
	v_or_b32_e32 v10, 0x100, v5
	s_movk_i32 s26, 0x4000
	v_mov_b32_e32 v11, v5
.LBB754_31:
	s_mul_i32 s20, s36, s18
	s_ashr_i32 s58, s53, 31
	s_mul_hi_i32 s3, s36, s18
	s_add_u32 s20, s20, s53
	s_addc_u32 s21, s3, s58
	s_lshl_b64 s[20:21], s[20:21], 8
	s_add_u32 s24, s4, s20
	s_addc_u32 s3, s5, s21
	s_and_b32 s25, s3, 0xffff
	s_movk_i32 s59, 0x80
	buffer_load_dwordx4 v[12:15], v11, s[24:27], 0 offen
	buffer_load_dwordx4 v[16:19], v11, s[24:27], s59 offen
	;; [unrolled: 1-line block ×4, first 2 shown]
	v_and_b32_e32 v10, 6, v0
	v_lshlrev_b32_e32 v28, 2, v54
	v_lshlrev_b32_e32 v29, 3, v54
	v_xor_b32_e32 v32, v61, v10
	v_and_b32_e32 v11, 1, v0
	v_lshl_or_b32 v29, v57, 5, v29
	v_xor_b32_e32 v33, v57, v28
	v_lshlrev_b32_e32 v32, 2, v32
	v_or_b32_e32 v67, 0x9000, v29
	v_or_b32_e32 v68, 0x9800, v29
	v_lshlrev_b32_e32 v29, 1, v33
	v_xor_b32_e32 v33, 0x440, v32
	v_cmp_eq_u32_e32 vcc, 0, v11
	s_add_i32 s3, s44, s33
	s_add_i32 s20, s47, s46
	v_cndmask_b32_e32 v11, v33, v32, vcc
	s_add_i32 s41, s3, s45
	v_lshl_or_b32 v10, v10, 10, v11
	s_add_i32 s39, s20, s48
	s_lshl_b64 s[20:21], s[40:41], 2
	s_mov_b32 s60, 0x1000504
	v_lshlrev_b32_e32 v30, 8, v54
	s_mov_b32 s26, 0x8000
	v_xor_b32_e32 v28, v58, v28
	v_xor_b32_e32 v11, 8, v10
	s_add_u32 s3, s10, s20
	s_mov_b32 s61, 0x3020706
	v_or_b32_e32 v31, v52, v54
	v_lshlrev_b32_e32 v28, 1, v28
	v_or3_b32 v69, v29, v30, s26
	v_xor_b32_e32 v29, 24, v10
	v_xor_b32_e32 v32, 40, v10
	v_xor_b32_e32 v34, 56, v10
	v_add_u32_e32 v11, 0x80, v11
	s_addc_u32 s24, s11, s21
	s_lshl_b64 s[20:21], s[38:39], 2
	v_lshlrev_b32_e32 v31, 3, v31
	v_or3_b32 v70, v28, v30, s26
	v_xor_b32_e32 v28, 16, v10
	v_xor_b32_e32 v30, 32, v10
	;; [unrolled: 1-line block ×3, first 2 shown]
	v_add_u32_e32 v29, 0x80, v29
	v_add_u32_e32 v32, 0x80, v32
	;; [unrolled: 1-line block ×3, first 2 shown]
	s_add_u32 s20, s3, s20
	s_movk_i32 s3, 0xf8
	s_addc_u32 s21, s24, s21
	v_ashrrev_i32_e32 v47, 31, v46
	s_lshl_b32 s30, s19, 7
	s_mov_b32 s62, 0
	v_mov_b32_e32 v84, 0x3fb8aa3b
	s_waitcnt vmcnt(1)
	v_perm_b32 v35, v12, v20, s60
	s_waitcnt vmcnt(0)
	v_perm_b32 v36, v16, v24, s60
	v_perm_b32 v12, v12, v20, s61
	;; [unrolled: 1-line block ×15, first 2 shown]
	ds_write2st64_b32 v10, v35, v36 offset1:32
	ds_write2st64_b32 v11, v12, v16 offset1:32
	ds_write2st64_b32 v28, v20, v24 offset0:1 offset1:33
	ds_write2st64_b32 v29, v13, v17 offset0:1 offset1:33
	;; [unrolled: 1-line block ×6, first 2 shown]
	v_lshrrev_b32_e32 v11, 5, v45
	v_and_or_b32 v11, v31, s3, v11
	v_lshlrev_b32_e32 v11, 4, v11
	v_lshlrev_b32_e32 v16, 11, v1
	v_and_b32_e32 v12, 0x78, v31
	v_or_b32_e32 v15, 32, v11
	v_and_b32_e32 v10, 0x1000, v16
	v_xor_b32_e32 v13, v11, v12
	v_lshrrev_b32_e32 v17, 1, v0
	v_xor_b32_e32 v15, v15, v12
	v_or_b32_e32 v13, v13, v10
	v_and_b32_e32 v14, 8, v17
	v_or_b32_e32 v15, v15, v10
	v_xor_b32_e32 v71, v13, v14
	v_and_b32_e32 v13, 0x78, v55
	v_xor_b32_e32 v73, v15, v14
	v_or_b32_e32 v15, 64, v11
	v_or_b32_e32 v11, 0x60, v11
	v_lshl_or_b32 v13, v53, 7, v13
	v_xor_b32_e32 v15, v15, v12
	v_xor_b32_e32 v11, v11, v12
	v_or_b32_e32 v72, 0x9000, v13
	v_or_b32_e32 v15, v15, v10
	;; [unrolled: 1-line block ×4, first 2 shown]
	v_lshrrev_b32_e32 v12, 4, v0
	v_lshlrev_b32_e32 v13, 1, v54
	v_xor_b32_e32 v74, v15, v14
	v_xor_b32_e32 v75, v10, v14
	s_ashr_i32 s3, s2, 31
	v_or_b32_e32 v14, 1, v13
	v_xor_b32_e32 v13, v12, v13
	s_lshl_b64 s[24:25], s[2:3], 8
	v_xor_b32_e32 v14, v14, v12
	v_lshlrev_b32_e32 v13, 3, v13
	v_lshlrev_b32_e32 v12, 8, v12
	v_lshl_add_u64 v[10:11], v[46:47], 1, s[8:9]
	s_add_u32 s24, s22, s24
	v_or3_b32 v47, v13, v12, s26
	v_lshlrev_b32_e32 v13, 3, v14
	s_addc_u32 s25, s23, s25
	v_or3_b32 v77, v13, v12, s26
	v_mov_b32_e32 v13, 0
	v_lshl_add_u64 v[14:15], s[24:25], 0, v[12:13]
	v_lshlrev_b32_e32 v12, 4, v54
	s_movk_i32 s3, 0xff
	v_lshlrev_b32_e32 v21, 3, v1
	v_and_b32_e32 v17, 24, v17
	v_lshl_add_u64 v[48:49], v[14:15], 0, v[12:13]
	v_and_b32_e32 v14, 8, v0
	v_cmp_lt_u32_e32 vcc, s3, v0
	v_xor_b32_e32 v22, v21, v17
	v_or_b32_e32 v23, 0x440, v22
	v_cndmask_b32_e64 v20, 0, 1, vcc
	v_cmp_eq_u32_e32 vcc, 0, v14
	v_and_b32_e32 v12, 7, v0
	v_lshlrev_b32_e32 v15, 3, v12
	v_cndmask_b32_e32 v14, v23, v22, vcc
	v_lshlrev_b32_e32 v12, 7, v12
	v_or_b32_e32 v14, v14, v16
	v_xad_u32 v78, v14, v15, v12
	v_or_b32_e32 v14, 32, v17
	v_xor_b32_e32 v14, v21, v14
	v_or_b32_e32 v22, 0x440, v14
	v_cndmask_b32_e32 v14, v22, v14, vcc
	v_or_b32_e32 v14, v14, v16
	v_xad_u32 v79, v14, v15, v12
	v_or_b32_e32 v14, 64, v17
	v_xor_b32_e32 v14, v21, v14
	v_xor_b32_e32 v22, 0x440, v14
	v_cndmask_b32_e32 v14, v22, v14, vcc
	v_or_b32_e32 v14, v14, v16
	v_xad_u32 v80, v14, v15, v12
	v_or_b32_e32 v14, 0x60, v17
	v_xor_b32_e32 v14, v21, v14
	v_xor_b32_e32 v17, 0x440, v14
	v_cndmask_b32_e32 v14, v17, v14, vcc
	v_or_b32_e32 v14, v14, v16
	v_lshlrev_b32_e32 v18, 1, v9
	v_add_lshl_u32 v9, v9, s19, 1
	v_or_b32_e32 v19, 0x100, v5
	v_lshlrev_b32_e32 v20, 13, v20
	v_xad_u32 v81, v14, v15, v12
	v_lshlrev_b32_e32 v12, 8, v57
	v_cndmask_b32_e64 v82, v18, v5, s[0:1]
	v_cndmask_b32_e64 v83, v9, v19, s[0:1]
	v_lshl_add_u64 v[50:51], v[10:11], 0, v[12:13]
	s_mov_b32 s3, 0x7060302
	s_movk_i32 s26, 0x4000
	v_add_u32_e32 v85, v20, v78
	v_add_u32_e32 v86, v20, v79
	;; [unrolled: 1-line block ×4, first 2 shown]
	s_waitcnt lgkmcnt(0)
	s_barrier
.LBB754_32:                             ; =>This Inner Loop Header: Depth=1
	s_add_i32 s39, s62, 1
	s_cmp_lt_i32 s39, s50
	s_mov_b64 s[28:29], 0
	s_cselect_b64 s[42:43], -1, 0
	s_cmp_ge_i32 s39, s50
	s_mov_b64 s[24:25], 0
	s_cbranch_scc1 .LBB754_34
; %bb.33:                               ;   in Loop: Header=BB754_32 Depth=1
	s_add_i32 s0, s57, 64
	s_ashr_i32 s1, s0, 31
	s_add_u32 s0, s55, s0
	s_addc_u32 s1, s54, s1
	s_lshl_b64 s[0:1], s[0:1], 8
	s_add_u32 s24, s6, s0
	s_addc_u32 s25, s7, s1
.LBB754_34:                             ;   in Loop: Header=BB754_32 Depth=1
	v_cndmask_b32_e64 v5, 0, 1, s[42:43]
	v_cmp_ne_u32_e64 s[0:1], 1, v5
	s_andn2_b64 vcc, exec, s[42:43]
	s_cbranch_vccnz .LBB754_36
; %bb.35:                               ;   in Loop: Header=BB754_32 Depth=1
	s_add_i32 s28, s57, 64
	s_mul_hi_i32 s29, s28, s18
	s_mul_i32 s28, s28, s18
	s_add_u32 s28, s28, s53
	s_addc_u32 s29, s29, s58
	s_lshl_b64 s[28:29], s[28:29], 8
	s_add_u32 s28, s4, s28
	s_addc_u32 s29, s5, s29
.LBB754_36:                             ;   in Loop: Header=BB754_32 Depth=1
	v_perm_b32 v11, v60, v4, s3
	v_perm_b32 v10, v3, v2, s3
	;; [unrolled: 1-line block ×4, first 2 shown]
	ds_write_b64 v67, v[10:11]
	ds_write_b64 v68, v[12:13]
	;; [unrolled: 1-line block ×4, first 2 shown]
	s_waitcnt lgkmcnt(0)
	s_barrier
	ds_read_b64 v[18:19], v71 offset:16384
	ds_read_b64 v[20:21], v73 offset:16384
	ds_read2st64_b64 v[10:13], v72 offset1:1
	s_waitcnt lgkmcnt(0)
	v_mfma_f32_16x16x16_bf16 a[0:3], v[18:19], v[10:11], 0
	ds_read2st64_b64 v[14:17], v72 offset0:2 offset1:3
	ds_read_b64 v[22:23], v74 offset:16384
	ds_read_b64 v[10:11], v75 offset:16384
	s_add_i32 s31, s57, 63
	v_mfma_f32_16x16x16_bf16 a[0:3], v[20:21], v[12:13], a[0:3]
	s_ashr_i32 s41, s31, 31
	s_mul_i32 s42, s31, s35
	s_mul_hi_u32 s43, s31, s34
	s_waitcnt lgkmcnt(1)
	v_mfma_f32_16x16x16_bf16 a[0:3], v[22:23], v[14:15], a[0:3]
	s_add_i32 s42, s43, s42
	s_mul_i32 s41, s41, s34
	s_add_i32 s43, s42, s41
	s_mul_i32 s42, s31, s34
	s_waitcnt lgkmcnt(0)
	v_mfma_f32_16x16x16_bf16 a[0:3], v[10:11], v[16:17], a[0:3]
	s_lshl_b64 s[42:43], s[42:43], 2
	s_add_u32 s42, s20, s42
	s_addc_u32 s43, s21, s43
	s_and_b64 vcc, exec, s[0:1]
	v_mov_b32_e32 v89, 0
	v_mov_b32_e32 v9, 0
	;; [unrolled: 1-line block ×19, first 2 shown]
	s_cbranch_vccnz .LBB754_38
; %bb.37:                               ;   in Loop: Header=BB754_32 Depth=1
	s_and_b32 s25, s25, 0xffff
	buffer_load_dwordx4 v[22:25], v63, s[24:27], 0 offen
	buffer_load_dwordx4 v[18:21], v63, s[24:27], s59 offen
	;; [unrolled: 1-line block ×4, first 2 shown]
	v_mov_b32_e32 v9, v65
	v_mov_b32_e32 v5, v66
.LBB754_38:                             ;   in Loop: Header=BB754_32 Depth=1
	s_waitcnt vmcnt(3)
	v_add_u32_e32 v30, s57, v57
	s_waitcnt vmcnt(1)
	v_ashrrev_i32_e32 v26, 31, v30
	v_mul_lo_u32 v28, v26, s34
	v_mul_lo_u32 v29, v30, s35
	v_mad_u64_u32 v[26:27], s[24:25], v30, s34, 0
	v_add3_u32 v27, v27, v29, v28
	v_lshl_add_u64 v[26:27], v[26:27], 2, s[20:21]
	global_load_dword v91, v[26:27], off
	v_add_u32_e32 v26, 1, v30
	v_ashrrev_i32_e32 v27, 31, v26
	v_mul_lo_u32 v28, v27, s34
	v_mul_lo_u32 v29, v26, s35
	v_mad_u64_u32 v[26:27], s[24:25], v26, s34, 0
	v_add3_u32 v27, v27, v29, v28
	v_add_u32_e32 v28, 2, v30
	v_ashrrev_i32_e32 v29, 31, v28
	v_mul_lo_u32 v31, v29, s34
	v_mul_lo_u32 v32, v28, s35
	v_mad_u64_u32 v[28:29], s[24:25], v28, s34, 0
	v_add_u32_e32 v30, 3, v30
	v_add3_u32 v29, v29, v32, v31
	v_ashrrev_i32_e32 v31, 31, v30
	v_mul_lo_u32 v34, v31, s34
	v_mul_lo_u32 v35, v30, s35
	v_mad_u64_u32 v[30:31], s[24:25], v30, s34, 0
	s_ashr_i32 s25, s57, 31
	s_add_u32 s24, s55, s57
	s_addc_u32 s25, s54, s25
	s_lshl_b64 s[24:25], s[24:25], 8
	v_lshl_add_u64 v[26:27], v[26:27], 2, s[20:21]
	v_lshl_add_u64 v[32:33], v[50:51], 0, s[24:25]
	v_add3_u32 v31, v31, v35, v34
	v_lshl_add_u64 v[28:29], v[28:29], 2, s[20:21]
	global_load_ushort v96, v[32:33], off
	global_load_ushort v97, v[32:33], off offset:256
	global_load_ushort v98, v[32:33], off offset:512
	;; [unrolled: 1-line block ×3, first 2 shown]
	v_lshl_add_u64 v[30:31], v[30:31], 2, s[20:21]
	global_load_dword v100, v[26:27], off
	global_load_dword v101, v[28:29], off
	;; [unrolled: 1-line block ×3, first 2 shown]
	s_load_dword s24, s[42:43], 0x0
	ds_read_b64 v[34:35], v71 offset:24576
	ds_read2st64_b64 v[30:33], v76 offset1:1
	ds_read2st64_b64 v[36:39], v76 offset0:2 offset1:3
	ds_read_b64 v[40:41], v73 offset:24576
	ds_read_b64 v[92:93], v74 offset:24576
	;; [unrolled: 1-line block ×3, first 2 shown]
	s_waitcnt lgkmcnt(0)
	v_mfma_f32_16x16x16_bf16 a[0:3], v[34:35], v[30:31], a[0:3]
	v_mov_b32_e32 v90, 0
	v_mov_b32_e32 v26, 0
	v_mov_b32_e32 v27, 0
	v_mfma_f32_16x16x16_bf16 a[0:3], v[40:41], v[32:33], a[0:3]
	v_mov_b32_e32 v28, 0
	v_mov_b32_e32 v29, 0
	v_mov_b32_e32 v30, 0
	v_mfma_f32_16x16x16_bf16 a[0:3], v[92:93], v[36:37], a[0:3]
	v_mov_b32_e32 v31, 0
	v_mov_b32_e32 v32, 0
	v_mov_b32_e32 v33, 0
	v_mfma_f32_16x16x16_bf16 a[0:3], v[94:95], v[38:39], a[0:3]
	v_mov_b32_e32 v34, 0
	v_mov_b32_e32 v35, 0
	v_mov_b32_e32 v36, 0
	s_and_b64 vcc, exec, s[0:1]
	s_waitcnt vmcnt(7)
	v_sub_f32_e32 v37, s24, v91
	v_mul_f32_e32 v37, 0x3fb8aa3b, v37
	v_accvgpr_read_b32 v41, a1
	v_accvgpr_read_b32 v39, a3
	;; [unrolled: 1-line block ×4, first 2 shown]
	s_waitcnt vmcnt(6)
	v_lshlrev_b32_e32 v92, 16, v96
	s_waitcnt vmcnt(5)
	v_lshlrev_b32_e32 v93, 16, v97
	;; [unrolled: 2-line block ×3, first 2 shown]
	s_waitcnt vmcnt(2)
	v_sub_f32_e32 v91, s24, v100
	s_waitcnt vmcnt(1)
	v_sub_f32_e32 v97, s24, v101
	;; [unrolled: 2-line block ×3, first 2 shown]
	v_lshlrev_b32_e32 v95, 16, v99
	v_exp_f32_e32 v96, v37
	v_mul_f32_e32 v37, 0x3fb8aa3b, v91
	v_mul_f32_e32 v91, 0x3fb8aa3b, v97
	;; [unrolled: 1-line block ×3, first 2 shown]
	v_exp_f32_e32 v97, v37
	v_exp_f32_e32 v98, v91
	;; [unrolled: 1-line block ×3, first 2 shown]
	v_pk_add_f32 v[40:41], v[92:93], v[40:41] neg_lo:[0,1] neg_hi:[0,1]
	v_pk_add_f32 v[38:39], v[94:95], v[38:39] neg_lo:[0,1] neg_hi:[0,1]
	v_pk_mul_f32 v[40:41], v[96:97], v[40:41]
	v_pk_mul_f32 v[38:39], v[98:99], v[38:39]
	v_mov_b32_e32 v37, 0
	v_perm_b32 v39, v39, v38, s3
	v_perm_b32 v38, v41, v40, s3
	ds_write_b64 v68, v[38:39]
	v_mov_b32_e32 v38, 0
	v_mov_b32_e32 v39, 0
	;; [unrolled: 1-line block ×4, first 2 shown]
	s_cbranch_vccnz .LBB754_40
; %bb.39:                               ;   in Loop: Header=BB754_32 Depth=1
	s_and_b32 s29, s29, 0xffff
	s_mov_b32 s31, s27
	buffer_load_dwordx4 v[38:41], v82, s[28:31], 0 offen
	buffer_load_dwordx4 v[30:33], v82, s[28:31], s59 offen
	;; [unrolled: 1-line block ×4, first 2 shown]
	v_mov_b32_e32 v89, v62
	v_mov_b32_e32 v90, v61
.LBB754_40:                             ;   in Loop: Header=BB754_32 Depth=1
	s_waitcnt lgkmcnt(0)
	s_barrier
	ds_read_b64 v[100:101], v85
	ds_read2st64_b64 v[92:95], v76 offset1:1
	ds_read2st64_b64 v[96:99], v76 offset0:2 offset1:3
	ds_read_b64 v[102:103], v86
	ds_read_b64 v[104:105], v87
	;; [unrolled: 1-line block ×3, first 2 shown]
	s_waitcnt lgkmcnt(4)
	v_mfma_f32_16x16x16_bf16 a[0:3], v[100:101], v[92:93], 0
	ds_read_b64 v[100:101], v78 offset:8192
	ds_read_b64 v[108:109], v79 offset:8192
	s_add_i32 s25, s56, s62
	s_mul_hi_i32 s29, s25, s17
	s_waitcnt lgkmcnt(1)
	v_mfma_f32_16x16x16_bf16 a[4:7], v[100:101], v[92:93], 0
	s_mul_i32 s25, s25, s17
	s_add_u32 s28, s25, s49
	s_addc_u32 s29, s29, s51
	v_mfma_f32_16x16x16_bf16 a[0:3], v[102:103], v[94:95], a[0:3]
	ds_read_b64 v[100:101], v47
	ds_read_b64 v[102:103], v77
	ds_read_b64 v[92:93], v80 offset:8192
	s_lshl_b64 s[28:29], s[28:29], 15
	v_mfma_f32_16x16x16_bf16 a[0:3], v[104:105], v[96:97], a[0:3]
	ds_read_b64 v[104:105], v81 offset:8192
	s_and_b64 vcc, exec, s[0:1]
	s_waitcnt lgkmcnt(4)
	v_mfma_f32_16x16x16_bf16 a[4:7], v[108:109], v[94:95], a[4:7]
	s_waitcnt lgkmcnt(1)
	v_mfma_f32_16x16x16_bf16 a[4:7], v[92:93], v[96:97], a[4:7]
	v_lshl_add_u64 v[92:93], v[48:49], 0, s[28:29]
	global_store_dwordx4 v[92:93], v[100:103], off
	v_mfma_f32_16x16x16_bf16 a[0:3], v[106:107], v[98:99], a[0:3]
	s_waitcnt lgkmcnt(0)
	v_mfma_f32_16x16x16_bf16 a[4:7], v[104:105], v[98:99], a[4:7]
	s_cbranch_vccnz .LBB754_42
; %bb.41:                               ;   in Loop: Header=BB754_32 Depth=1
	v_lshrrev_b32_e32 v91, 3, v89
	v_and_b32_e32 v91, 6, v91
	v_xor_b32_e32 v90, v91, v90
	v_lshlrev_b32_e32 v90, 2, v90
	v_and_b32_e32 v89, 8, v89
	v_xor_b32_e32 v92, 0x440, v90
	v_cmp_eq_u32_e32 vcc, 0, v89
	s_barrier
	s_nop 0
	v_cndmask_b32_e32 v89, v92, v90, vcc
	v_lshl_or_b32 v89, v91, 10, v89
	s_waitcnt vmcnt(2)
	v_perm_b32 v90, v38, v34, s60
	s_waitcnt vmcnt(1)
	v_perm_b32 v91, v30, v26, s60
	ds_write2st64_b32 v89, v90, v91 offset1:32
	v_xor_b32_e32 v90, 8, v89
	v_perm_b32 v34, v38, v34, s61
	v_perm_b32 v26, v30, v26, s61
	v_add_u32_e32 v30, 0x80, v90
	ds_write2st64_b32 v30, v34, v26 offset1:32
	v_xor_b32_e32 v26, 16, v89
	v_perm_b32 v30, v39, v35, s60
	v_perm_b32 v34, v31, v27, s60
	ds_write2st64_b32 v26, v30, v34 offset0:1 offset1:33
	v_xor_b32_e32 v26, 24, v89
	v_perm_b32 v30, v39, v35, s61
	v_perm_b32 v27, v31, v27, s61
	v_add_u32_e32 v26, 0x80, v26
	ds_write2st64_b32 v26, v30, v27 offset0:1 offset1:33
	v_xor_b32_e32 v26, 32, v89
	v_perm_b32 v27, v40, v36, s60
	v_perm_b32 v30, v32, v28, s60
	ds_write2st64_b32 v26, v27, v30 offset0:2 offset1:34
	v_xor_b32_e32 v26, 40, v89
	v_perm_b32 v27, v40, v36, s61
	v_perm_b32 v28, v32, v28, s61
	v_add_u32_e32 v26, 0x80, v26
	ds_write2st64_b32 v26, v27, v28 offset0:2 offset1:34
	;; [unrolled: 9-line block ×3, first 2 shown]
	ds_write_b64 v9, v[22:23] offset:16384
	v_xor_b32_e32 v22, 8, v9
	ds_write_b64 v22, v[24:25] offset:16384
	ds_write_b64 v9, v[18:19] offset:24576
	;; [unrolled: 1-line block ×4, first 2 shown]
	v_xor_b32_e32 v9, 8, v5
	ds_write_b64 v9, v[16:17] offset:16384
	ds_write_b64 v5, v[10:11] offset:24576
	;; [unrolled: 1-line block ×3, first 2 shown]
.LBB754_42:                             ;   in Loop: Header=BB754_32 Depth=1
	v_mul_f32_e32 v5, s24, v84
	v_exp_f32_e32 v10, v5
	s_nop 1
	v_accvgpr_read_b32 v9, a1
	v_accvgpr_read_b32 v5, a0
	s_add_i32 s57, s57, 64
	v_fma_f32 v3, v3, v10, v9
	v_accvgpr_read_b32 v9, a4
	v_fma_f32 v6, v6, v10, v9
	v_accvgpr_read_b32 v9, a5
	;; [unrolled: 2-line block ×6, first 2 shown]
	v_fmac_f32_e32 v5, v60, v10
	s_cmp_eq_u32 s50, s39
	v_fmac_f32_e32 v9, v59, v10
	s_cbranch_scc1 .LBB754_4
; %bb.43:                               ;   in Loop: Header=BB754_32 Depth=1
	s_mov_b32 s62, s39
	v_mov_b32_e32 v60, v5
	v_mov_b32_e32 v59, v9
	s_branch .LBB754_32
.LBB754_44:
                                        ; implicit-def: $vgpr13
                                        ; implicit-def: $vgpr17
                                        ; implicit-def: $vgpr21
                                        ; implicit-def: $vgpr25
	s_cbranch_execz .LBB754_46
; %bb.45:
	s_waitcnt vmcnt(0)
	v_mad_u64_u32 v[10:11], s[0:1], v27, s19, v[26:27]
	v_lshlrev_b32_e32 v27, 1, v10
	s_lshl_b32 s2, s19, 7
	s_and_b32 s1, s5, 0xffff
	s_mov_b32 s3, 0x20000
	s_mov_b32 s0, s4
	v_add_lshl_u32 v28, v10, s19, 1
	s_movk_i32 s17, 0x80
	buffer_load_dwordx4 v[10:13], v27, s[0:3], 0 offen
	buffer_load_dwordx4 v[18:21], v27, s[0:3], s17 offen
	;; [unrolled: 1-line block ×4, first 2 shown]
.LBB754_46:
	v_lshrrev_b32_e32 v45, 2, v45
	s_cbranch_execnz .LBB754_59
.LBB754_47:
	s_and_b64 vcc, exec, s[6:7]
	s_cbranch_vccz .LBB754_57
; %bb.48:
	s_waitcnt vmcnt(0)
	v_lshlrev_b32_e32 v15, 1, v47
	v_cmp_gt_i32_e32 vcc, s30, v15
	v_mov_b32_e32 v14, 0
	v_lshlrev_b32_e32 v22, 9, v47
	v_mov_b32_e32 v10, 0
	v_mov_b32_e32 v11, 0
	;; [unrolled: 1-line block ×4, first 2 shown]
	s_and_saveexec_b64 s[0:1], vcc
	s_cbranch_execz .LBB754_50
; %bb.49:
	v_mov_b32_e32 v23, 0
	v_lshl_add_u64 v[10:11], s[4:5], 0, v[22:23]
	v_lshlrev_b32_e32 v12, 1, v26
	v_mov_b32_e32 v13, v23
	v_lshl_add_u64 v[10:11], v[10:11], 0, v[12:13]
	global_load_dwordx4 v[10:13], v[10:11], off
.LBB754_50:
	s_or_b64 exec, exec, s[0:1]
	v_or_b32_e32 v15, 1, v15
	v_cmp_gt_i32_e64 s[0:1], s30, v15
	v_lshlrev_b32_e32 v28, 8, v15
	v_mov_b32_e32 v15, 0
	v_mov_b32_e32 v16, 0
	;; [unrolled: 1-line block ×3, first 2 shown]
	s_and_saveexec_b64 s[2:3], s[0:1]
	s_cbranch_execz .LBB754_52
; %bb.51:
	v_mov_b32_e32 v29, 0
	v_lshl_add_u64 v[14:15], s[4:5], 0, v[28:29]
	v_lshlrev_b32_e32 v16, 1, v26
	v_mov_b32_e32 v17, v29
	v_lshl_add_u64 v[14:15], v[14:15], 0, v[16:17]
	global_load_dwordx4 v[14:17], v[14:15], off
.LBB754_52:
	s_or_b64 exec, exec, s[2:3]
	v_mov_b32_e32 v25, 0
	v_mov_b32_e32 v18, 0
	;; [unrolled: 1-line block ×5, first 2 shown]
	s_and_saveexec_b64 s[2:3], vcc
	s_cbranch_execz .LBB754_54
; %bb.53:
	v_mov_b32_e32 v23, 0
	v_lshl_add_u64 v[18:19], s[4:5], 0, v[22:23]
	v_lshlrev_b32_e32 v22, 1, v26
	v_lshl_add_u64 v[18:19], v[18:19], 0, v[22:23]
	global_load_dwordx4 v[18:21], v[18:19], off offset:128
.LBB754_54:
	s_or_b64 exec, exec, s[2:3]
	v_mov_b32_e32 v24, 0
	v_mov_b32_e32 v23, 0
	;; [unrolled: 1-line block ×3, first 2 shown]
	s_and_saveexec_b64 s[2:3], s[0:1]
	s_cbranch_execz .LBB754_56
; %bb.55:
	v_mov_b32_e32 v29, 0
	v_lshl_add_u64 v[22:23], s[4:5], 0, v[28:29]
	v_lshlrev_b32_e32 v28, 1, v26
	v_lshl_add_u64 v[22:23], v[22:23], 0, v[28:29]
	global_load_dwordx4 v[22:25], v[22:23], off offset:128
.LBB754_56:
	s_or_b64 exec, exec, s[2:3]
	s_branch .LBB754_59
.LBB754_57:
                                        ; implicit-def: $vgpr13
                                        ; implicit-def: $vgpr17
                                        ; implicit-def: $vgpr21
                                        ; implicit-def: $vgpr25
	s_cbranch_execz .LBB754_59
; %bb.58:
	s_waitcnt vmcnt(0)
	v_lshlrev_b32_e32 v10, 1, v26
	v_lshl_or_b32 v26, v47, 9, v10
	s_and_b32 s5, s5, 0xffff
	s_mov_b32 s7, 0x20000
	s_movk_i32 s6, 0x4000
	s_movk_i32 s0, 0x80
	buffer_load_dwordx4 v[10:13], v26, s[4:7], 0 offen
	buffer_load_dwordx4 v[14:17], v26, s[4:7], 0 offen offset:256
	buffer_load_dwordx4 v[18:21], v26, s[4:7], s0 offen
	buffer_load_dwordx4 v[22:25], v26, s[4:7], s0 offen offset:256
.LBB754_59:
	ds_read2st64_b64 v[30:33], v50 offset0:76 offset1:77
	ds_read2st64_b64 v[26:29], v50 offset0:78 offset1:79
	ds_read_b64 v[38:39], v34 offset:24576
	ds_read_b64 v[40:41], v35 offset:24576
	;; [unrolled: 1-line block ×4, first 2 shown]
	v_and_b32_e32 v51, 6, v0
	v_xor_b32_e32 v47, v47, v51
	v_lshlrev_b32_e32 v47, 2, v47
	v_and_b32_e32 v53, 1, v0
	v_xor_b32_e32 v54, 0x440, v47
	v_cmp_eq_u32_e32 vcc, 0, v53
	s_mov_b32 s0, 0x1000504
	s_waitcnt vmcnt(0)
	v_perm_b32 v53, v18, v22, s0
	v_cndmask_b32_e32 v47, v54, v47, vcc
	v_lshl_or_b32 v47, v51, 10, v47
	v_perm_b32 v51, v10, v14, s0
	ds_write2st64_b32 v47, v51, v53 offset1:32
	v_xor_b32_e32 v51, 8, v47
	s_mov_b32 s1, 0x3020706
	v_perm_b32 v10, v10, v14, s1
	v_perm_b32 v14, v18, v22, s1
	v_add_u32_e32 v18, 0x80, v51
	ds_write2st64_b32 v18, v10, v14 offset1:32
	v_xor_b32_e32 v10, 16, v47
	v_perm_b32 v14, v11, v15, s0
	v_perm_b32 v18, v19, v23, s0
	ds_write2st64_b32 v10, v14, v18 offset0:1 offset1:33
	v_xor_b32_e32 v10, 24, v47
	v_perm_b32 v11, v11, v15, s1
	v_perm_b32 v14, v19, v23, s1
	v_add_u32_e32 v10, 0x80, v10
	ds_write2st64_b32 v10, v11, v14 offset0:1 offset1:33
	v_xor_b32_e32 v10, 32, v47
	v_perm_b32 v11, v12, v16, s0
	v_perm_b32 v14, v20, v24, s0
	ds_write2st64_b32 v10, v11, v14 offset0:2 offset1:34
	v_xor_b32_e32 v10, 40, v47
	v_perm_b32 v11, v12, v16, s1
	v_perm_b32 v12, v20, v24, s1
	v_add_u32_e32 v10, 0x80, v10
	ds_write2st64_b32 v10, v11, v12 offset0:2 offset1:34
	v_xor_b32_e32 v10, 48, v47
	v_perm_b32 v11, v13, v17, s0
	v_perm_b32 v12, v21, v25, s0
	ds_write2st64_b32 v10, v11, v12 offset0:3 offset1:35
	v_xor_b32_e32 v10, 56, v47
	v_and_or_b32 v16, v45, 12, v52
	v_perm_b32 v11, v13, v17, s1
	v_perm_b32 v12, v21, v25, s1
	v_add_u32_e32 v10, 0x80, v10
	v_cmp_gt_i32_e32 vcc, s30, v16
	v_mov_b32_e32 v17, 0
	v_mov_b32_e32 v21, 0
	ds_write2st64_b32 v10, v11, v12 offset0:3 offset1:35
	s_and_saveexec_b64 s[0:1], vcc
	s_cbranch_execz .LBB754_61
; %bb.60:
	v_add_u32_e32 v10, s31, v16
	v_ashrrev_i32_e32 v11, 31, v10
	v_mul_lo_u32 v12, v11, s34
	v_mul_lo_u32 v13, v10, s35
	v_mad_u64_u32 v[10:11], s[2:3], v10, s34, 0
	v_add3_u32 v11, v11, v13, v12
	v_lshl_add_u64 v[10:11], v[10:11], 2, s[10:11]
	global_load_dword v10, v[10:11], off
	s_waitcnt vmcnt(0)
	v_sub_f32_e32 v10, s16, v10
	v_mul_f32_e32 v10, 0x3fb8aa3b, v10
	v_exp_f32_e32 v21, v10
.LBB754_61:
	s_or_b64 exec, exec, s[0:1]
	v_or_b32_e32 v19, 1, v16
	v_cmp_gt_i32_e64 s[0:1], s30, v19
	s_and_saveexec_b64 s[2:3], s[0:1]
	s_cbranch_execz .LBB754_63
; %bb.62:
	v_add_u32_e32 v10, s31, v19
	v_ashrrev_i32_e32 v11, 31, v10
	v_mul_lo_u32 v12, v11, s34
	v_mul_lo_u32 v13, v10, s35
	v_mad_u64_u32 v[10:11], s[4:5], v10, s34, 0
	v_add3_u32 v11, v11, v13, v12
	v_lshl_add_u64 v[10:11], v[10:11], 2, s[10:11]
	global_load_dword v10, v[10:11], off
	s_waitcnt vmcnt(0)
	v_sub_f32_e32 v10, s16, v10
	v_mul_f32_e32 v10, 0x3fb8aa3b, v10
	v_exp_f32_e32 v17, v10
.LBB754_63:
	s_or_b64 exec, exec, s[2:3]
	v_or_b32_e32 v20, 2, v16
	v_cmp_gt_i32_e64 s[2:3], s30, v20
	v_mov_b32_e32 v18, 0
	v_mov_b32_e32 v23, 0
	s_and_saveexec_b64 s[4:5], s[2:3]
	s_cbranch_execz .LBB754_65
; %bb.64:
	v_add_u32_e32 v10, s31, v20
	v_ashrrev_i32_e32 v11, 31, v10
	v_mul_lo_u32 v12, v11, s34
	v_mul_lo_u32 v13, v10, s35
	v_mad_u64_u32 v[10:11], s[6:7], v10, s34, 0
	v_add3_u32 v11, v11, v13, v12
	v_lshl_add_u64 v[10:11], v[10:11], 2, s[10:11]
	global_load_dword v10, v[10:11], off
	s_waitcnt vmcnt(0)
	v_sub_f32_e32 v10, s16, v10
	v_mul_f32_e32 v10, 0x3fb8aa3b, v10
	v_exp_f32_e32 v23, v10
.LBB754_65:
	s_or_b64 exec, exec, s[4:5]
	v_or_b32_e32 v22, 3, v16
	v_cmp_gt_i32_e64 s[4:5], s30, v22
	s_and_saveexec_b64 s[6:7], s[4:5]
	s_cbranch_execz .LBB754_67
; %bb.66:
	v_add_u32_e32 v10, s31, v22
	v_ashrrev_i32_e32 v11, 31, v10
	v_mul_lo_u32 v12, v11, s34
	v_mul_lo_u32 v13, v10, s35
	v_mad_u64_u32 v[10:11], s[18:19], v10, s34, 0
	v_add3_u32 v11, v11, v13, v12
	v_lshl_add_u64 v[10:11], v[10:11], 2, s[10:11]
	global_load_dword v10, v[10:11], off
	s_waitcnt vmcnt(0)
	v_sub_f32_e32 v10, s16, v10
	v_mul_f32_e32 v10, 0x3fb8aa3b, v10
	v_exp_f32_e32 v18, v10
.LBB754_67:
	s_or_b64 exec, exec, s[6:7]
	s_waitcnt lgkmcnt(11)
	v_mfma_f32_16x16x16_bf16 a[0:3], v[38:39], v[30:31], a[0:3]
	s_add_u32 s6, s8, s24
	v_ashrrev_i32_e32 v47, 31, v46
	s_addc_u32 s7, s9, s25
	s_waitcnt lgkmcnt(10)
	v_mfma_f32_16x16x16_bf16 a[0:3], v[40:41], v[32:33], a[0:3]
	v_mov_b32_e32 v24, 0
	v_lshl_add_u64 v[14:15], v[46:47], 1, s[6:7]
	v_mov_b32_e32 v25, 0
	s_waitcnt lgkmcnt(9)
	v_mfma_f32_16x16x16_bf16 a[0:3], v[36:37], v[26:27], a[0:3]
	s_waitcnt lgkmcnt(8)
	v_mfma_f32_16x16x16_bf16 a[0:3], v[34:35], v[28:29], a[0:3]
	s_nop 6
	v_accvgpr_read_b32 v13, a3
	v_accvgpr_read_b32 v12, a2
	;; [unrolled: 1-line block ×4, first 2 shown]
	s_and_saveexec_b64 s[6:7], vcc
	s_cbranch_execz .LBB754_69
; %bb.68:
	v_lshlrev_b32_e32 v26, 8, v16
	v_mov_b32_e32 v27, 0
	v_lshl_add_u64 v[26:27], v[14:15], 0, v[26:27]
	global_load_ushort v25, v[26:27], off
	s_waitcnt vmcnt(0)
	v_lshlrev_b32_e32 v25, 16, v25
	v_sub_f32_e32 v10, v25, v10
	v_mul_f32_e32 v10, v21, v10
	v_lshrrev_b32_e32 v25, 16, v10
.LBB754_69:
	s_or_b64 exec, exec, s[6:7]
	s_and_saveexec_b64 s[6:7], s[0:1]
	s_cbranch_execz .LBB754_71
; %bb.70:
	v_lshlrev_b32_e32 v26, 8, v19
	v_mov_b32_e32 v27, 0
	v_lshl_add_u64 v[26:27], v[14:15], 0, v[26:27]
	global_load_ushort v10, v[26:27], off
	s_waitcnt vmcnt(0)
	v_lshlrev_b32_e32 v10, 16, v10
	v_sub_f32_e32 v10, v10, v11
	v_mul_f32_e32 v10, v17, v10
	v_lshrrev_b32_e32 v24, 16, v10
.LBB754_71:
	s_or_b64 exec, exec, s[6:7]
	v_mov_b32_e32 v11, 0
	v_mov_b32_e32 v17, 0
	s_and_saveexec_b64 s[0:1], s[2:3]
	s_cbranch_execz .LBB754_73
; %bb.72:
	v_lshlrev_b32_e32 v20, 8, v20
	v_mov_b32_e32 v21, 0
	v_lshl_add_u64 v[20:21], v[14:15], 0, v[20:21]
	global_load_ushort v10, v[20:21], off
	s_waitcnt vmcnt(0)
	v_lshlrev_b32_e32 v10, 16, v10
	v_sub_f32_e32 v10, v10, v12
	v_mul_f32_e32 v10, v23, v10
	v_lshrrev_b32_e32 v17, 16, v10
.LBB754_73:
	s_or_b64 exec, exec, s[0:1]
	v_or_b32_e32 v10, 0x9800, v50
	s_and_saveexec_b64 s[0:1], s[4:5]
	s_cbranch_execz .LBB754_75
; %bb.74:
	v_lshlrev_b32_e32 v20, 8, v22
	v_mov_b32_e32 v21, 0
	v_lshl_add_u64 v[14:15], v[14:15], 0, v[20:21]
	global_load_ushort v11, v[14:15], off
	s_waitcnt vmcnt(0)
	v_lshlrev_b32_e32 v11, 16, v11
	v_sub_f32_e32 v11, v11, v13
	v_mul_f32_e32 v11, v18, v11
	v_lshrrev_b32_e32 v11, 16, v11
.LBB754_75:
	s_or_b64 exec, exec, s[0:1]
	s_mov_b32 s0, 0x5040100
	v_perm_b32 v13, v11, v17, s0
	v_lshlrev_b32_e32 v11, 1, v48
	v_perm_b32 v12, v24, v25, s0
	v_lshl_or_b32 v11, v16, 5, v11
	s_movk_i32 s0, 0xff
	ds_write_b64 v11, v[12:13] offset:38912
	v_and_b32_e32 v11, 7, v0
	v_and_b32_e32 v12, 8, v0
	v_cmp_lt_u32_e32 vcc, s0, v0
	v_lshrrev_b32_e32 v0, 1, v0
	v_lshlrev_b32_e32 v22, 3, v1
	v_and_b32_e32 v23, 24, v0
	v_xor_b32_e32 v0, v22, v23
	v_cndmask_b32_e64 v13, 0, 1, vcc
	v_or_b32_e32 v1, 0x440, v0
	v_cmp_eq_u32_e32 vcc, 0, v12
	v_lshlrev_b32_e32 v20, 3, v11
	v_lshlrev_b32_e32 v11, 7, v11
	v_cndmask_b32_e32 v0, v1, v0, vcc
	v_or_b32_e32 v0, v0, v49
	v_lshlrev_b32_e32 v21, 13, v13
	v_xad_u32 v24, v0, v20, v11
	v_add_u32_e32 v0, v21, v24
	s_waitcnt lgkmcnt(0)
	s_barrier
	ds_read_b64 v[0:1], v0
	ds_read2st64_b64 v[12:15], v10 offset1:1
	ds_read2st64_b64 v[16:19], v10 offset0:2 offset1:3
	s_waitcnt lgkmcnt(1)
	v_mfma_f32_16x16x16_bf16 a[0:3], v[0:1], v[12:13], 0
	v_or_b32_e32 v0, 32, v23
	v_xor_b32_e32 v0, v22, v0
	v_or_b32_e32 v1, 0x440, v0
	v_cndmask_b32_e32 v0, v1, v0, vcc
	v_or_b32_e32 v0, v0, v49
	v_xad_u32 v25, v0, v20, v11
	v_add_u32_e32 v0, v21, v25
	ds_read_b64 v[0:1], v0
	v_or_b32_e32 v10, 0x60, v23
	s_waitcnt lgkmcnt(0)
	v_mfma_f32_16x16x16_bf16 a[0:3], v[0:1], v[14:15], a[0:3]
	v_or_b32_e32 v0, 64, v23
	v_xor_b32_e32 v0, v22, v0
	v_xor_b32_e32 v1, 0x440, v0
	v_cndmask_b32_e32 v0, v1, v0, vcc
	v_or_b32_e32 v0, v0, v49
	v_xad_u32 v26, v0, v20, v11
	v_add_u32_e32 v0, v21, v26
	ds_read_b64 v[0:1], v0
	v_xor_b32_e32 v10, v22, v10
	v_xor_b32_e32 v22, 0x440, v10
	v_cndmask_b32_e32 v10, v22, v10, vcc
	v_or_b32_e32 v10, v10, v49
	v_xad_u32 v22, v10, v20, v11
	v_add_u32_e32 v10, v21, v22
	ds_read_b64 v[10:11], v10
	s_waitcnt lgkmcnt(1)
	v_mfma_f32_16x16x16_bf16 a[0:3], v[0:1], v[16:17], a[0:3]
	ds_read_b64 v[0:1], v24 offset:8192
	ds_read_b64 v[20:21], v25 offset:8192
	v_mov_b32_e32 v23, 0x3fb8aa3b
	s_waitcnt lgkmcnt(2)
	v_mfma_f32_16x16x16_bf16 a[0:3], v[10:11], v[18:19], a[0:3]
	v_mul_f32_e32 v10, s16, v23
	v_exp_f32_e32 v23, v10
	ds_read_b64 v[10:11], v26 offset:8192
	s_waitcnt lgkmcnt(2)
	v_mfma_f32_16x16x16_bf16 a[4:7], v[0:1], v[12:13], 0
	ds_read_b64 v[12:13], v22 offset:8192
	s_nop 0
	v_accvgpr_read_b32 v0, a0
	v_accvgpr_read_b32 v1, a1
	s_waitcnt lgkmcnt(2)
	v_mfma_f32_16x16x16_bf16 a[4:7], v[20:21], v[14:15], a[4:7]
	v_fma_f32 v0, v2, v23, v0
	v_fma_f32 v1, v3, v23, v1
	v_accvgpr_read_b32 v2, a2
	s_waitcnt lgkmcnt(1)
	v_mfma_f32_16x16x16_bf16 a[4:7], v[10:11], v[16:17], a[4:7]
	v_accvgpr_read_b32 v3, a3
	v_fma_f32 v2, v4, v23, v2
	v_fmac_f32_e32 v3, v5, v23
	s_waitcnt lgkmcnt(0)
	v_mfma_f32_16x16x16_bf16 a[0:3], v[12:13], v[18:19], a[4:7]
	s_nop 6
	v_accvgpr_read_b32 v4, a0
	v_accvgpr_read_b32 v5, a1
	v_fma_f32 v4, v6, v23, v4
	v_fma_f32 v5, v7, v23, v5
	v_accvgpr_read_b32 v6, a2
	v_accvgpr_read_b32 v7, a3
	v_fma_f32 v6, v8, v23, v6
	v_fmac_f32_e32 v7, v9, v23
	v_mov_b64_e32 v[8:9], v[6:7]
	v_mov_b64_e32 v[6:7], v[4:5]
	;; [unrolled: 1-line block ×4, first 2 shown]
.LBB754_76:
	s_add_u32 s0, s12, s14
	s_addc_u32 s1, s13, s15
	v_lshl_add_u64 v[0:1], v[42:43], 2, s[0:1]
	v_mov_b32_e32 v45, 0
	v_lshl_add_u64 v[0:1], v[0:1], 0, v[44:45]
	global_store_dwordx4 v[0:1], v[2:5], off
	global_store_dwordx4 v[0:1], v[6:9], off offset:256
	s_endpgm
	.section	.rodata,"a",@progbits
	.p2align	6, 0x0
	.amdhsa_kernel _ZN12_GLOBAL__N_139chunk_gated_delta_rule_fwd_h_hip_kernelILi16ELb1ELb1ELb0ELb1ELb0ELb0ELb0ELb0EEEvPK12hip_bfloat16S3_S3_PKfS5_PKvPS1_S8_PvPKiSB_iiiiilll
		.amdhsa_group_segment_fixed_size 40960
		.amdhsa_private_segment_fixed_size 0
		.amdhsa_kernarg_size 136
		.amdhsa_user_sgpr_count 2
		.amdhsa_user_sgpr_dispatch_ptr 0
		.amdhsa_user_sgpr_queue_ptr 0
		.amdhsa_user_sgpr_kernarg_segment_ptr 1
		.amdhsa_user_sgpr_dispatch_id 0
		.amdhsa_user_sgpr_kernarg_preload_length 0
		.amdhsa_user_sgpr_kernarg_preload_offset 0
		.amdhsa_user_sgpr_private_segment_size 0
		.amdhsa_uses_dynamic_stack 0
		.amdhsa_enable_private_segment 0
		.amdhsa_system_sgpr_workgroup_id_x 1
		.amdhsa_system_sgpr_workgroup_id_y 1
		.amdhsa_system_sgpr_workgroup_id_z 0
		.amdhsa_system_sgpr_workgroup_info 0
		.amdhsa_system_vgpr_workitem_id 0
		.amdhsa_next_free_vgpr 120
		.amdhsa_next_free_sgpr 63
		.amdhsa_accum_offset 112
		.amdhsa_reserve_vcc 1
		.amdhsa_float_round_mode_32 0
		.amdhsa_float_round_mode_16_64 0
		.amdhsa_float_denorm_mode_32 3
		.amdhsa_float_denorm_mode_16_64 3
		.amdhsa_dx10_clamp 1
		.amdhsa_ieee_mode 1
		.amdhsa_fp16_overflow 0
		.amdhsa_tg_split 0
		.amdhsa_exception_fp_ieee_invalid_op 0
		.amdhsa_exception_fp_denorm_src 0
		.amdhsa_exception_fp_ieee_div_zero 0
		.amdhsa_exception_fp_ieee_overflow 0
		.amdhsa_exception_fp_ieee_underflow 0
		.amdhsa_exception_fp_ieee_inexact 0
		.amdhsa_exception_int_div_zero 0
	.end_amdhsa_kernel
	.section	.text._ZN12_GLOBAL__N_139chunk_gated_delta_rule_fwd_h_hip_kernelILi16ELb1ELb1ELb0ELb1ELb0ELb0ELb0ELb0EEEvPK12hip_bfloat16S3_S3_PKfS5_PKvPS1_S8_PvPKiSB_iiiiilll,"axG",@progbits,_ZN12_GLOBAL__N_139chunk_gated_delta_rule_fwd_h_hip_kernelILi16ELb1ELb1ELb0ELb1ELb0ELb0ELb0ELb0EEEvPK12hip_bfloat16S3_S3_PKfS5_PKvPS1_S8_PvPKiSB_iiiiilll,comdat
.Lfunc_end754:
	.size	_ZN12_GLOBAL__N_139chunk_gated_delta_rule_fwd_h_hip_kernelILi16ELb1ELb1ELb0ELb1ELb0ELb0ELb0ELb0EEEvPK12hip_bfloat16S3_S3_PKfS5_PKvPS1_S8_PvPKiSB_iiiiilll, .Lfunc_end754-_ZN12_GLOBAL__N_139chunk_gated_delta_rule_fwd_h_hip_kernelILi16ELb1ELb1ELb0ELb1ELb0ELb0ELb0ELb0EEEvPK12hip_bfloat16S3_S3_PKfS5_PKvPS1_S8_PvPKiSB_iiiiilll
                                        ; -- End function
	.section	.AMDGPU.csdata,"",@progbits
; Kernel info:
; codeLenInByte = 7672
; NumSgprs: 69
; NumVgprs: 110
; NumAgprs: 8
; TotalNumVgprs: 120
; ScratchSize: 0
; MemoryBound: 0
; FloatMode: 240
; IeeeMode: 1
; LDSByteSize: 40960 bytes/workgroup (compile time only)
; SGPRBlocks: 8
; VGPRBlocks: 14
; NumSGPRsForWavesPerEU: 69
; NumVGPRsForWavesPerEU: 120
; AccumOffset: 112
; Occupancy: 1
; WaveLimiterHint : 1
; COMPUTE_PGM_RSRC2:SCRATCH_EN: 0
; COMPUTE_PGM_RSRC2:USER_SGPR: 2
; COMPUTE_PGM_RSRC2:TRAP_HANDLER: 0
; COMPUTE_PGM_RSRC2:TGID_X_EN: 1
; COMPUTE_PGM_RSRC2:TGID_Y_EN: 1
; COMPUTE_PGM_RSRC2:TGID_Z_EN: 0
; COMPUTE_PGM_RSRC2:TIDIG_COMP_CNT: 0
; COMPUTE_PGM_RSRC3_GFX90A:ACCUM_OFFSET: 27
; COMPUTE_PGM_RSRC3_GFX90A:TG_SPLIT: 0
	.section	.text._ZN12_GLOBAL__N_139chunk_gated_delta_rule_fwd_h_hip_kernelILi16ELb1ELb0ELb1ELb1ELb0ELb0ELb0ELb0EEEvPK12hip_bfloat16S3_S3_PKfS5_PKvPS1_S8_PvPKiSB_iiiiilll,"axG",@progbits,_ZN12_GLOBAL__N_139chunk_gated_delta_rule_fwd_h_hip_kernelILi16ELb1ELb0ELb1ELb1ELb0ELb0ELb0ELb0EEEvPK12hip_bfloat16S3_S3_PKfS5_PKvPS1_S8_PvPKiSB_iiiiilll,comdat
	.globl	_ZN12_GLOBAL__N_139chunk_gated_delta_rule_fwd_h_hip_kernelILi16ELb1ELb0ELb1ELb1ELb0ELb0ELb0ELb0EEEvPK12hip_bfloat16S3_S3_PKfS5_PKvPS1_S8_PvPKiSB_iiiiilll ; -- Begin function _ZN12_GLOBAL__N_139chunk_gated_delta_rule_fwd_h_hip_kernelILi16ELb1ELb0ELb1ELb1ELb0ELb0ELb0ELb0EEEvPK12hip_bfloat16S3_S3_PKfS5_PKvPS1_S8_PvPKiSB_iiiiilll
	.p2align	8
	.type	_ZN12_GLOBAL__N_139chunk_gated_delta_rule_fwd_h_hip_kernelILi16ELb1ELb0ELb1ELb1ELb0ELb0ELb0ELb0EEEvPK12hip_bfloat16S3_S3_PKfS5_PKvPS1_S8_PvPKiSB_iiiiilll,@function
_ZN12_GLOBAL__N_139chunk_gated_delta_rule_fwd_h_hip_kernelILi16ELb1ELb0ELb1ELb1ELb0ELb0ELb0ELb0EEEvPK12hip_bfloat16S3_S3_PKfS5_PKvPS1_S8_PvPKiSB_iiiiilll: ; @_ZN12_GLOBAL__N_139chunk_gated_delta_rule_fwd_h_hip_kernelILi16ELb1ELb0ELb1ELb1ELb0ELb0ELb0ELb0EEEvPK12hip_bfloat16S3_S3_PKfS5_PKvPS1_S8_PvPKiSB_iiiiilll
; %bb.0:
	s_load_dwordx4 s[12:15], s[0:1], 0x5c
	s_load_dwordx4 s[4:7], s[0:1], 0x48
	s_abs_i32 s9, s3
	s_ashr_i32 s8, s3, 31
	v_and_b32_e32 v53, 15, v0
	s_waitcnt lgkmcnt(0)
	s_abs_i32 s10, s13
	v_cvt_f32_u32_e32 v1, s10
	s_sub_i32 s16, 0, s10
	s_ashr_i32 s11, s13, 31
	s_xor_b32 s8, s8, s11
	v_rcp_iflag_f32_e32 v1, v1
	v_lshrrev_b32_e32 v51, 6, v0
	v_bfe_u32 v52, v0, 4, 2
	v_mov_b32_e32 v5, 0
	v_mul_f32_e32 v1, 0x4f7ffffe, v1
	v_cvt_u32_f32_e32 v1, v1
	v_and_b32_e32 v50, 63, v0
	v_lshrrev_b32_e32 v55, 3, v50
	v_lshlrev_b32_e32 v54, 3, v0
	v_readfirstlane_b32 s17, v1
	s_mul_i32 s16, s16, s17
	s_mul_hi_u32 s16, s17, s16
	s_add_i32 s17, s17, s16
	s_mul_hi_u32 s16, s9, s17
	s_mul_i32 s17, s16, s10
	s_sub_i32 s9, s9, s17
	s_add_i32 s18, s16, 1
	s_sub_i32 s17, s9, s10
	s_cmp_ge_u32 s9, s10
	s_cselect_b32 s16, s18, s16
	s_cselect_b32 s9, s17, s9
	s_add_i32 s17, s16, 1
	s_cmp_ge_u32 s9, s10
	s_cselect_b32 s9, s17, s16
	s_xor_b32 s9, s9, s8
	s_sub_i32 s20, s9, s8
	s_mul_i32 s24, s20, s13
	s_ashr_i32 s21, s20, 31
	s_sub_i32 s47, s3, s24
	s_lshl_b64 s[8:9], s[20:21], 2
	s_add_u32 s4, s4, s8
	s_addc_u32 s5, s5, s9
	s_add_u32 s22, s6, s8
	s_addc_u32 s23, s7, s9
	s_abs_i32 s3, s14
	v_cvt_f32_u32_e32 v1, s3
	s_load_dwordx2 s[34:35], s[4:5], 0x0
	s_sub_i32 s5, 0, s3
	s_lshl_b32 s2, s2, 4
	v_rcp_iflag_f32_e32 v1, v1
	s_load_dwordx4 s[16:19], s[0:1], 0x28
	s_load_dwordx2 s[28:29], s[0:1], 0x38
	s_waitcnt lgkmcnt(0)
	s_sub_i32 s50, s35, s34
	s_ashr_i32 s4, s50, 31
	v_mul_f32_e32 v1, 0x4f7ffffe, v1
	v_cvt_u32_f32_e32 v1, v1
	s_lshr_b32 s4, s4, 26
	s_add_i32 s4, s50, s4
	s_ashr_i32 s48, s4, 6
	v_readfirstlane_b32 s6, v1
	s_mul_i32 s5, s5, s6
	s_mul_hi_u32 s5, s6, s5
	s_add_i32 s6, s6, s5
	s_mul_hi_u32 s5, s10, s6
	s_mul_i32 s6, s5, s3
	s_ashr_i32 s4, s14, 31
	s_sub_i32 s6, s10, s6
	s_xor_b32 s4, s11, s4
	s_add_i32 s7, s5, 1
	s_sub_i32 s8, s6, s3
	s_cmp_ge_u32 s6, s3
	s_cselect_b32 s5, s7, s5
	s_cselect_b32 s6, s8, s6
	s_add_i32 s7, s5, 1
	s_cmp_ge_u32 s6, s3
	s_cselect_b32 s3, s7, s5
	s_xor_b32 s3, s3, s4
	s_sub_i32 s3, s3, s4
	s_abs_i32 s4, s3
	v_cvt_f32_u32_e32 v1, s4
	s_sub_i32 s6, 0, s4
	s_abs_i32 s5, s47
	s_xor_b32 s3, s47, s3
	v_rcp_iflag_f32_e32 v1, v1
	s_ashr_i32 s3, s3, 31
	v_or_b32_e32 v42, s2, v53
	v_lshlrev_b32_e32 v2, 7, v42
	v_mul_f32_e32 v1, 0x4f7ffffe, v1
	v_cvt_u32_f32_e32 v1, v1
	v_ashrrev_i32_e32 v3, 31, v2
	s_mul_hi_i32 s53, s47, s12
	s_mul_i32 s54, s47, s12
	v_readfirstlane_b32 s7, v1
	s_mul_i32 s6, s6, s7
	s_mul_hi_u32 s6, s7, s6
	s_add_i32 s7, s7, s6
	s_mul_hi_u32 s6, s5, s7
	s_mul_i32 s7, s6, s4
	s_sub_i32 s5, s5, s7
	s_add_i32 s7, s6, 1
	s_sub_i32 s8, s5, s4
	s_cmp_ge_u32 s5, s4
	s_cselect_b32 s6, s7, s6
	s_cselect_b32 s5, s8, s5
	s_add_i32 s7, s6, 1
	s_cmp_ge_u32 s5, s4
	s_cselect_b32 s4, s7, s6
	s_xor_b32 s4, s4, s3
	s_sub_i32 s51, s4, s3
	s_ashr_i32 s49, s47, 31
	s_mul_hi_i32 s3, s20, s13
	s_add_u32 s4, s24, s47
	s_addc_u32 s5, s3, s49
	s_lshl_b64 s[4:5], s[4:5], 16
	v_lshlrev_b32_e32 v1, 4, v51
	s_add_u32 s4, s16, s4
	v_lshl_or_b32 v56, v52, 2, v1
	s_addc_u32 s5, s17, s5
	v_lshl_add_u64 v[2:3], v[2:3], 2, s[4:5]
	v_lshlrev_b32_e32 v4, 2, v56
	v_lshl_add_u64 v[10:11], v[2:3], 0, v[4:5]
	global_load_dwordx4 v[6:9], v[10:11], off
	global_load_dwordx4 v[2:5], v[10:11], off offset:256
	s_load_dwordx8 s[4:11], s[0:1], 0x0
	s_load_dwordx2 s[30:31], s[0:1], 0x80
	s_load_dwordx4 s[24:27], s[0:1], 0x70
	s_load_dword s52, s[22:23], 0x0
	v_or_b32_e32 v57, 64, v56
	s_cmp_lt_i32 s50, 64
	s_waitcnt lgkmcnt(0)
	s_mul_i32 s33, s20, s25
	s_mul_hi_u32 s43, s20, s24
	s_mul_i32 s44, s21, s24
	s_mul_i32 s38, s20, s24
	;; [unrolled: 1-line block ×3, first 2 shown]
	s_mul_hi_u32 s45, s47, s26
	s_mul_i32 s46, s49, s26
	s_mul_i32 s36, s47, s26
	s_cbranch_scc1 .LBB755_3
; %bb.1:
	s_ashr_i32 s1, s34, 31
	s_add_u32 s0, s54, s34
	s_addc_u32 s1, s53, s1
	s_lshl_b64 s[0:1], s[0:1], 8
	v_and_b32_e32 v59, 56, v54
	s_add_u32 s20, s6, s0
	v_lshl_or_b32 v58, v51, 3, v55
	v_lshlrev_b32_e32 v10, 1, v59
	s_addc_u32 s0, s7, s1
	v_lshl_or_b32 v60, v58, 8, v10
	s_and_b32 s21, s0, 0xffff
	s_mov_b32 s23, 0x20000
	s_movk_i32 s22, 0x4000
	s_movk_i32 s0, 0x80
	v_or_b32_e32 v61, 0x2000, v60
	buffer_load_dwordx4 v[12:15], v60, s[20:23], 0 offen
	buffer_load_dwordx4 v[16:19], v60, s[20:23], s0 offen
	;; [unrolled: 1-line block ×4, first 2 shown]
	v_lshlrev_b32_e32 v11, 3, v58
	v_and_or_b32 v29, v0, 7, v11
	v_and_b32_e32 v11, 0x78, v11
	v_lshlrev_b32_e32 v29, 4, v29
	v_xor_b32_e32 v62, v29, v11
	v_mul_lo_u32 v28, v58, s15
	v_or_b32_e32 v63, 0x1000, v62
	v_xor_b32_e32 v11, 8, v62
	s_cmpk_eq_i32 s15, 0x80
	s_mov_b32 s55, s34
	v_xor_b32_e32 v29, 8, v63
	s_cselect_b64 s[0:1], -1, 0
	s_cmpk_lg_i32 s15, 0x80
	s_waitcnt vmcnt(3)
	ds_write_b64 v62, v[12:13] offset:16384
	ds_write_b64 v11, v[14:15] offset:16384
	s_waitcnt vmcnt(2)
	ds_write_b64 v62, v[16:17] offset:24576
	ds_write_b64 v11, v[18:19] offset:24576
	s_waitcnt vmcnt(1)
	ds_write_b64 v62, v[20:21] offset:20480
	ds_write_b64 v29, v[22:23] offset:16384
	s_waitcnt vmcnt(0)
	ds_write_b64 v62, v[24:25] offset:28672
	ds_write_b64 v29, v[26:27] offset:24576
	v_lshl_add_u32 v11, v28, 1, v59
	s_cbranch_scc0 .LBB755_29
; %bb.2:
	v_lshlrev_b32_e32 v13, 1, v11
	v_add_lshl_u32 v12, v11, s15, 1
	s_lshl_b32 s22, s15, 7
	v_lshl_or_b32 v10, v58, 9, v10
	s_cbranch_execz .LBB755_30
	s_branch .LBB755_31
.LBB755_3:
	s_waitcnt vmcnt(0)
	v_mov_b32_e32 v10, v5
	v_mov_b32_e32 v11, v9
.LBB755_4:
	s_lshl_b32 s26, s48, 6
	s_sub_i32 s27, s50, s26
	s_cmp_gt_i32 s27, 0
	s_cbranch_scc0 .LBB755_76
; %bb.5:
	s_add_i32 s26, s26, s34
	s_ashr_i32 s3, s26, 31
	s_cmpk_lg_i32 s15, 0x80
	s_cselect_b64 s[22:23], -1, 0
	s_and_b64 vcc, exec, s[22:23]
	s_cbranch_vccz .LBB755_7
; %bb.6:
	s_mul_hi_i32 s0, s26, s14
	s_mul_i32 s1, s26, s14
	s_ashr_i32 s14, s51, 31
	s_add_u32 s24, s1, s51
	s_addc_u32 s25, s0, s14
	s_cbranch_execz .LBB755_8
	s_branch .LBB755_9
.LBB755_7:
                                        ; implicit-def: $sgpr24_sgpr25
.LBB755_8:
	s_mul_i32 s1, s51, s12
	s_mul_hi_i32 s0, s51, s12
	s_add_u32 s24, s1, s26
	s_addc_u32 s25, s0, s3
.LBB755_9:
	s_add_i32 s12, s48, s52
	s_add_u32 s0, s54, s26
	s_addc_u32 s1, s53, s3
	s_mov_b32 s3, 0x7060302
	v_perm_b32 v5, v10, v4, s3
	v_perm_b32 v4, v3, v2, s3
	v_lshlrev_b32_e32 v2, 3, v53
	s_lshl_b64 s[20:21], s[0:1], 8
	v_perm_b32 v9, v11, v8, s3
	v_perm_b32 v8, v7, v6, s3
	s_waitcnt vmcnt(2)
	v_lshlrev_b32_e32 v34, 2, v53
	v_lshl_or_b32 v2, v56, 5, v2
	s_add_u32 s0, s6, s20
	ds_write2st64_b64 v2, v[8:9], v[4:5] offset0:72 offset1:76
	v_xor_b32_e32 v2, v56, v34
	v_lshlrev_b32_e32 v3, 8, v53
	s_addc_u32 s1, s7, s21
	v_lshl_or_b32 v2, v2, 1, v3
	s_mul_hi_i32 s3, s12, s13
	s_mul_i32 s12, s12, s13
	ds_write_b64 v2, v[8:9] offset:32768
	v_xor_b32_e32 v2, v57, v34
	s_add_u32 s6, s12, s47
	v_lshl_or_b32 v2, v2, 1, v3
	s_addc_u32 s7, s3, s49
	v_lshlrev_b32_e32 v3, 1, v53
	ds_write_b64 v2, v[4:5] offset:32768
	v_lshrrev_b32_e32 v2, 4, v0
	s_ashr_i32 s3, s2, 31
	s_lshl_b64 s[6:7], s[6:7], 15
	v_or_b32_e32 v4, 1, v3
	s_add_u32 s6, s18, s6
	v_xor_b32_e32 v3, v2, v3
	v_xor_b32_e32 v4, v4, v2
	v_lshlrev_b32_e32 v6, 8, v2
	s_addc_u32 s7, s19, s7
	s_lshl_b64 s[2:3], s[2:3], 8
	v_lshl_or_b32 v2, v3, 3, v6
	v_lshl_or_b32 v4, v4, 3, v6
	s_waitcnt lgkmcnt(0)
	s_barrier
	s_add_u32 s2, s6, s2
	ds_read_b64 v[2:3], v2 offset:32768
	ds_read_b64 v[4:5], v4 offset:32768
	s_addc_u32 s3, s7, s3
	v_mov_b32_e32 v7, 0
	s_cmp_lg_u32 s27, 64
	v_lshl_add_u64 v[8:9], s[2:3], 0, v[6:7]
	v_lshlrev_b32_e32 v6, 4, v53
	s_cselect_b64 s[6:7], -1, 0
	v_lshl_or_b32 v35, v51, 3, v55
	s_mov_b32 s16, 0
	v_lshl_add_u64 v[6:7], v[8:9], 0, v[6:7]
	v_or_b32_e32 v19, 32, v35
	v_and_b32_e32 v18, 56, v54
	s_and_b64 vcc, exec, s[6:7]
	s_waitcnt lgkmcnt(0)
	global_store_dwordx4 v[6:7], v[2:5], off
	s_cbranch_vccz .LBB755_15
; %bb.10:
	s_mov_b32 s17, s16
	s_mov_b32 s18, s16
	;; [unrolled: 1-line block ×3, first 2 shown]
	v_mov_b64_e32 v[6:7], s[16:17]
	v_mov_b64_e32 v[8:9], s[18:19]
	;; [unrolled: 1-line block ×3, first 2 shown]
	v_cmp_gt_i32_e32 vcc, s27, v35
	v_mov_b64_e32 v[4:5], v[8:9]
	s_and_saveexec_b64 s[2:3], vcc
	s_cbranch_execz .LBB755_12
; %bb.11:
	v_lshlrev_b32_e32 v2, 8, v35
	v_mov_b32_e32 v3, 0
	v_lshl_add_u64 v[4:5], s[0:1], 0, v[2:3]
	v_lshlrev_b32_e32 v2, 1, v18
	v_lshl_add_u64 v[10:11], v[4:5], 0, v[2:3]
	global_load_dwordx4 v[6:9], v[10:11], off
	global_load_dwordx4 v[2:5], v[10:11], off offset:128
.LBB755_12:
	s_or_b64 exec, exec, s[2:3]
	s_mov_b32 s17, s16
	s_mov_b32 s18, s16
	;; [unrolled: 1-line block ×3, first 2 shown]
	v_mov_b64_e32 v[14:15], s[16:17]
	v_mov_b64_e32 v[16:17], s[18:19]
	;; [unrolled: 1-line block ×3, first 2 shown]
	v_cmp_gt_i32_e32 vcc, s27, v19
	v_lshlrev_b32_e32 v20, 7, v19
	v_mov_b64_e32 v[12:13], v[16:17]
	s_and_saveexec_b64 s[2:3], vcc
	s_cbranch_execz .LBB755_14
; %bb.13:
	v_lshlrev_b32_e32 v10, 1, v20
	v_mov_b32_e32 v11, 0
	v_lshl_add_u64 v[12:13], s[0:1], 0, v[10:11]
	v_lshlrev_b32_e32 v10, 1, v18
	v_lshl_add_u64 v[22:23], v[12:13], 0, v[10:11]
	global_load_dwordx4 v[14:17], v[22:23], off
	global_load_dwordx4 v[10:13], v[22:23], off offset:128
.LBB755_14:
	s_or_b64 exec, exec, s[2:3]
	v_lshrrev_b32_e32 v21, 3, v18
	v_lshlrev_b32_e32 v22, 3, v35
	v_or_b32_e32 v21, v22, v21
	v_lshlrev_b32_e32 v21, 4, v21
	v_and_b32_e32 v22, 0x78, v22
	v_xor_b32_e32 v21, v21, v22
	s_branch .LBB755_17
.LBB755_15:
                                        ; implicit-def: $vgpr21
                                        ; implicit-def: $vgpr20
                                        ; implicit-def: $vgpr6_vgpr7_vgpr8_vgpr9
                                        ; implicit-def: $vgpr2_vgpr3_vgpr4_vgpr5
                                        ; implicit-def: $vgpr14_vgpr15_vgpr16_vgpr17
                                        ; implicit-def: $vgpr10_vgpr11_vgpr12_vgpr13
	s_cbranch_execz .LBB755_17
; %bb.16:
	s_waitcnt vmcnt(0)
	v_lshlrev_b32_e32 v2, 1, v18
	v_lshl_or_b32 v20, v35, 8, v2
	s_and_b32 s1, s1, 0xffff
	s_mov_b32 s3, 0x20000
	s_movk_i32 s2, 0x4000
	v_lshl_or_b32 v21, v19, 8, v2
	s_movk_i32 s12, 0x80
	buffer_load_dwordx4 v[6:9], v20, s[0:3], 0 offen
	buffer_load_dwordx4 v[2:5], v20, s[0:3], s12 offen
	;; [unrolled: 1-line block ×4, first 2 shown]
	v_lshrrev_b32_e32 v20, 3, v18
	v_lshlrev_b32_e32 v21, 3, v35
	v_or_b32_e32 v20, v21, v20
	v_lshlrev_b32_e32 v20, 4, v20
	v_and_b32_e32 v21, 0x78, v21
	v_xor_b32_e32 v21, v20, v21
	v_lshlrev_b32_e32 v20, 7, v19
.LBB755_17:
	s_lshl_b64 s[0:1], s[24:25], 8
	s_add_u32 s4, s4, s0
	s_movk_i32 s0, 0x1000
	v_and_or_b32 v19, v20, s0, v21
	s_waitcnt vmcnt(1)
	ds_write_b64 v21, v[6:7] offset:16384
	v_xor_b32_e32 v6, 8, v21
	ds_write_b64 v6, v[8:9] offset:16384
	s_waitcnt vmcnt(0)
	ds_write_b64 v21, v[2:3] offset:24576
	ds_write_b64 v6, v[4:5] offset:24576
	;; [unrolled: 1-line block ×3, first 2 shown]
	v_xor_b32_e32 v2, 8, v19
	ds_write_b64 v2, v[16:17] offset:16384
	ds_write_b64 v19, v[10:11] offset:24576
	;; [unrolled: 1-line block ×3, first 2 shown]
	v_or_b32_e32 v2, v1, v53
	v_lshlrev_b32_e32 v2, 3, v2
	v_lshrrev_b32_e32 v4, 5, v50
	s_movk_i32 s12, 0xf8
	v_and_or_b32 v4, v2, s12, v4
	v_lshlrev_b32_e32 v3, 11, v51
	v_lshlrev_b32_e32 v12, 4, v4
	v_and_b32_e32 v13, 0x78, v2
	v_and_b32_e32 v14, 0x1000, v3
	v_lshlrev_b32_e32 v3, 2, v0
	v_xor_b32_e32 v2, v12, v13
	v_lshrrev_b32_e32 v4, 1, v50
	v_and_b32_e32 v3, 60, v3
	v_or_b32_e32 v2, v2, v14
	v_and_b32_e32 v15, 8, v4
	v_xor_b32_e32 v26, v2, v15
	v_lshl_or_b32 v2, v52, 6, v3
	v_lshlrev_b32_e32 v19, 1, v2
	v_or_b32_e32 v2, 32, v12
	v_xor_b32_e32 v2, v2, v13
	s_waitcnt lgkmcnt(0)
	s_barrier
	ds_read_b64 v[10:11], v26 offset:16384
	v_or_b32_e32 v2, v2, v14
	v_xor_b32_e32 v27, v2, v15
	v_or_b32_e32 v2, 64, v12
	v_xor_b32_e32 v2, v2, v13
	v_or_b32_e32 v2, v2, v14
	v_or_b32_e32 v12, 0x60, v12
	v_xor_b32_e32 v28, v2, v15
	ds_read2st64_b64 v[2:5], v19 offset0:72 offset1:73
	ds_read2st64_b64 v[6:9], v19 offset0:74 offset1:75
	v_xor_b32_e32 v16, v12, v13
	ds_read_b64 v[12:13], v27 offset:16384
	s_addc_u32 s5, s5, s1
	s_add_i32 s1, s43, s33
	s_waitcnt lgkmcnt(2)
	v_mfma_f32_16x16x16_bf16 a[0:3], v[10:11], v[2:3], 0
	s_add_i32 s0, s35, -1
	s_add_i32 s39, s1, s44
	s_add_i32 s1, s45, s42
	;; [unrolled: 1-line block ×3, first 2 shown]
	s_ashr_i32 s1, s0, 31
	s_mul_i32 s2, s0, s31
	s_mul_hi_u32 s3, s0, s30
	s_add_i32 s2, s3, s2
	s_mul_i32 s1, s1, s30
	v_or_b32_e32 v14, v16, v14
	s_add_i32 s1, s2, s1
	s_lshl_b64 s[2:3], s[38:39], 2
	v_xor_b32_e32 v36, v14, v15
	ds_read_b64 v[14:15], v28 offset:16384
	ds_read_b64 v[16:17], v36 offset:16384
	s_waitcnt lgkmcnt(2)
	v_mfma_f32_16x16x16_bf16 a[0:3], v[12:13], v[4:5], a[0:3]
	s_add_u32 s10, s10, s2
	s_addc_u32 s11, s11, s3
	s_lshl_b64 s[2:3], s[36:37], 2
	s_mul_i32 s0, s0, s30
	s_add_u32 s10, s10, s2
	s_addc_u32 s11, s11, s3
	s_lshl_b64 s[0:1], s[0:1], 2
	s_waitcnt lgkmcnt(1)
	v_mfma_f32_16x16x16_bf16 a[0:3], v[14:15], v[6:7], a[0:3]
	s_add_u32 s0, s10, s0
	s_addc_u32 s1, s11, s1
	s_load_dword s12, s[0:1], 0x0
	s_waitcnt lgkmcnt(0)
	v_mfma_f32_16x16x16_bf16 a[0:3], v[16:17], v[8:9], a[0:3]
	s_and_b64 vcc, exec, s[22:23]
	s_cbranch_vccz .LBB755_28
; %bb.18:
	v_lshlrev_b32_e32 v20, 1, v35
	s_and_b64 vcc, exec, s[6:7]
	s_cbranch_vccz .LBB755_44
; %bb.19:
	v_cmp_gt_i32_e32 vcc, s27, v20
	v_mov_b32_e32 v6, 0
	v_mov_b32_e32 v2, 0
	;; [unrolled: 1-line block ×5, first 2 shown]
	s_and_saveexec_b64 s[0:1], vcc
	s_cbranch_execz .LBB755_21
; %bb.20:
	v_mad_i64_i32 v[2:3], s[2:3], s15, v20, 0
	v_lshl_add_u64 v[2:3], v[2:3], 1, s[4:5]
	v_lshlrev_b32_e32 v4, 1, v18
	v_mov_b32_e32 v5, 0
	v_lshl_add_u64 v[2:3], v[2:3], 0, v[4:5]
	global_load_dwordx4 v[2:5], v[2:3], off
.LBB755_21:
	s_or_b64 exec, exec, s[0:1]
	v_or_b32_e32 v21, 1, v20
	v_cmp_gt_i32_e64 s[0:1], s27, v21
	v_mov_b32_e32 v7, 0
	v_mov_b32_e32 v8, 0
	;; [unrolled: 1-line block ×3, first 2 shown]
	s_and_saveexec_b64 s[2:3], s[0:1]
	s_cbranch_execz .LBB755_23
; %bb.22:
	v_mad_i64_i32 v[6:7], s[16:17], s15, v21, 0
	v_lshl_add_u64 v[6:7], v[6:7], 1, s[4:5]
	v_lshlrev_b32_e32 v8, 1, v18
	v_mov_b32_e32 v9, 0
	v_lshl_add_u64 v[6:7], v[6:7], 0, v[8:9]
	global_load_dwordx4 v[6:9], v[6:7], off
.LBB755_23:
	s_or_b64 exec, exec, s[2:3]
	v_mov_b32_e32 v17, 0
	v_mov_b32_e32 v10, 0
	;; [unrolled: 1-line block ×5, first 2 shown]
	s_and_saveexec_b64 s[2:3], vcc
	s_cbranch_execz .LBB755_25
; %bb.24:
	v_mad_i64_i32 v[10:11], s[16:17], s15, v20, 0
	v_lshl_add_u64 v[10:11], v[10:11], 1, s[4:5]
	v_lshlrev_b32_e32 v12, 1, v18
	v_mov_b32_e32 v13, 0
	v_lshl_add_u64 v[10:11], v[10:11], 0, v[12:13]
	global_load_dwordx4 v[10:13], v[10:11], off offset:128
.LBB755_25:
	s_or_b64 exec, exec, s[2:3]
	v_mov_b32_e32 v16, 0
	v_mov_b32_e32 v15, 0
	;; [unrolled: 1-line block ×3, first 2 shown]
	s_and_saveexec_b64 s[2:3], s[0:1]
	s_cbranch_execz .LBB755_27
; %bb.26:
	v_mad_i64_i32 v[14:15], s[0:1], s15, v21, 0
	v_lshl_add_u64 v[14:15], v[14:15], 1, s[4:5]
	v_lshlrev_b32_e32 v16, 1, v18
	v_mov_b32_e32 v17, 0
	v_lshl_add_u64 v[14:15], v[14:15], 0, v[16:17]
	global_load_dwordx4 v[14:17], v[14:15], off offset:128
.LBB755_27:
	s_or_b64 exec, exec, s[2:3]
	s_branch .LBB755_46
.LBB755_28:
                                        ; implicit-def: $vgpr5
                                        ; implicit-def: $vgpr9
                                        ; implicit-def: $vgpr13
                                        ; implicit-def: $vgpr17
	v_lshrrev_b32_e32 v37, 2, v50
	s_branch .LBB755_47
.LBB755_29:
                                        ; implicit-def: $vgpr12
                                        ; implicit-def: $vgpr13
                                        ; implicit-def: $sgpr22
	v_lshl_or_b32 v10, v58, 9, v10
.LBB755_30:
	v_or_b32_e32 v12, 0x100, v10
	s_movk_i32 s22, 0x4000
	v_mov_b32_e32 v13, v10
.LBB755_31:
	s_mul_i32 s16, s34, s14
	s_ashr_i32 s56, s51, 31
	s_mul_hi_i32 s3, s34, s14
	s_add_u32 s16, s16, s51
	s_addc_u32 s17, s3, s56
	s_lshl_b64 s[16:17], s[16:17], 8
	s_add_u32 s20, s4, s16
	s_addc_u32 s3, s5, s17
	s_and_b32 s21, s3, 0xffff
	s_movk_i32 s57, 0x80
	buffer_load_dwordx4 v[14:17], v13, s[20:23], 0 offen
	buffer_load_dwordx4 v[18:21], v13, s[20:23], s57 offen
	;; [unrolled: 1-line block ×4, first 2 shown]
	v_and_b32_e32 v12, 6, v0
	v_lshlrev_b32_e32 v30, 2, v53
	v_lshlrev_b32_e32 v31, 3, v53
	v_xor_b32_e32 v34, v58, v12
	v_and_b32_e32 v13, 1, v0
	v_lshl_or_b32 v31, v56, 5, v31
	v_xor_b32_e32 v35, v56, v30
	v_lshlrev_b32_e32 v34, 2, v34
	v_or_b32_e32 v64, 0x9000, v31
	v_or_b32_e32 v65, 0x9800, v31
	v_lshlrev_b32_e32 v31, 1, v35
	v_xor_b32_e32 v35, 0x440, v34
	v_cmp_eq_u32_e32 vcc, 0, v13
	s_add_i32 s3, s43, s33
	s_add_i32 s16, s45, s42
	v_cndmask_b32_e32 v13, v35, v34, vcc
	s_add_i32 s39, s3, s44
	v_lshl_or_b32 v12, v12, 10, v13
	s_add_i32 s37, s16, s46
	s_lshl_b64 s[16:17], s[38:39], 2
	s_mov_b32 s58, 0x1000504
	v_lshlrev_b32_e32 v32, 8, v53
	s_mov_b32 s22, 0x8000
	v_xor_b32_e32 v30, v57, v30
	v_xor_b32_e32 v13, 8, v12
	s_add_u32 s3, s10, s16
	s_mov_b32 s59, 0x3020706
	v_or_b32_e32 v33, v1, v53
	v_lshlrev_b32_e32 v30, 1, v30
	v_or3_b32 v66, v31, v32, s22
	v_xor_b32_e32 v31, 24, v12
	v_xor_b32_e32 v34, 40, v12
	;; [unrolled: 1-line block ×3, first 2 shown]
	v_add_u32_e32 v13, 0x80, v13
	s_addc_u32 s20, s11, s17
	s_lshl_b64 s[16:17], s[36:37], 2
	v_lshlrev_b32_e32 v33, 3, v33
	v_or3_b32 v67, v30, v32, s22
	v_xor_b32_e32 v30, 16, v12
	v_xor_b32_e32 v32, 32, v12
	;; [unrolled: 1-line block ×3, first 2 shown]
	v_add_u32_e32 v31, 0x80, v31
	v_add_u32_e32 v34, 0x80, v34
	;; [unrolled: 1-line block ×3, first 2 shown]
	s_add_u32 s16, s3, s16
	s_movk_i32 s3, 0xf8
	s_addc_u32 s17, s20, s17
	v_ashrrev_i32_e32 v43, 31, v42
	s_lshl_b32 s26, s15, 7
	s_mov_b32 s60, 0
	v_mov_b32_e32 v81, 0x3fb8aa3b
	s_waitcnt vmcnt(1)
	v_perm_b32 v37, v14, v22, s58
	s_waitcnt vmcnt(0)
	v_perm_b32 v38, v18, v26, s58
	v_perm_b32 v14, v14, v22, s59
	;; [unrolled: 1-line block ×15, first 2 shown]
	ds_write2st64_b32 v12, v37, v38 offset1:32
	ds_write2st64_b32 v13, v14, v18 offset1:32
	ds_write2st64_b32 v30, v22, v26 offset0:1 offset1:33
	ds_write2st64_b32 v31, v15, v19 offset0:1 offset1:33
	;; [unrolled: 1-line block ×6, first 2 shown]
	v_lshrrev_b32_e32 v13, 5, v50
	v_and_or_b32 v13, v33, s3, v13
	v_lshlrev_b32_e32 v13, 4, v13
	v_lshlrev_b32_e32 v20, 11, v51
	v_and_b32_e32 v14, 0x78, v33
	v_or_b32_e32 v17, 32, v13
	v_and_b32_e32 v12, 0x1000, v20
	v_lshrrev_b32_e32 v21, 1, v0
	v_xor_b32_e32 v17, v17, v14
	v_and_b32_e32 v16, 8, v21
	v_or_b32_e32 v17, v17, v12
	v_xor_b32_e32 v15, v13, v14
	v_xor_b32_e32 v70, v17, v16
	v_or_b32_e32 v17, 64, v13
	v_or_b32_e32 v13, 0x60, v13
	v_xor_b32_e32 v17, v17, v14
	v_xor_b32_e32 v13, v13, v14
	v_or_b32_e32 v15, v15, v12
	v_or_b32_e32 v17, v17, v12
	;; [unrolled: 1-line block ×3, first 2 shown]
	v_xor_b32_e32 v68, v15, v16
	v_xor_b32_e32 v71, v17, v16
	;; [unrolled: 1-line block ×3, first 2 shown]
	v_lshrrev_b32_e32 v16, 4, v0
	v_lshlrev_b32_e32 v17, 1, v53
	s_ashr_i32 s3, s2, 31
	v_or_b32_e32 v18, 1, v17
	v_xor_b32_e32 v17, v16, v17
	s_lshl_b64 s[20:21], s[2:3], 8
	v_xor_b32_e32 v18, v18, v16
	v_lshlrev_b32_e32 v17, 3, v17
	v_lshlrev_b32_e32 v16, 8, v16
	v_lshlrev_b64 v[12:13], 1, v[42:43]
	s_add_u32 s20, s18, s20
	v_or3_b32 v43, v17, v16, s22
	v_lshlrev_b32_e32 v17, 3, v18
	s_addc_u32 s21, s19, s21
	v_or3_b32 v74, v17, v16, s22
	v_mov_b32_e32 v17, 0
	v_lshl_add_u64 v[18:19], s[20:21], 0, v[16:17]
	v_lshlrev_b32_e32 v16, 4, v53
	s_movk_i32 s3, 0xff
	v_lshlrev_b32_e32 v25, 3, v51
	v_and_b32_e32 v21, 24, v21
	v_lshl_add_u64 v[44:45], v[18:19], 0, v[16:17]
	v_and_b32_e32 v18, 8, v0
	v_cmp_lt_u32_e32 vcc, s3, v0
	v_xor_b32_e32 v26, v25, v21
	v_or_b32_e32 v27, 0x440, v26
	v_cndmask_b32_e64 v24, 0, 1, vcc
	v_cmp_eq_u32_e32 vcc, 0, v18
	v_and_b32_e32 v16, 7, v0
	v_lshlrev_b32_e32 v19, 3, v16
	v_cndmask_b32_e32 v18, v27, v26, vcc
	v_lshlrev_b32_e32 v16, 7, v16
	v_or_b32_e32 v18, v18, v20
	v_xad_u32 v75, v18, v19, v16
	v_or_b32_e32 v18, 32, v21
	v_xor_b32_e32 v18, v25, v18
	v_or_b32_e32 v26, 0x440, v18
	v_cndmask_b32_e32 v18, v26, v18, vcc
	v_or_b32_e32 v18, v18, v20
	v_xad_u32 v76, v18, v19, v16
	v_or_b32_e32 v18, 64, v21
	v_xor_b32_e32 v18, v25, v18
	v_xor_b32_e32 v26, 0x440, v18
	v_cndmask_b32_e32 v18, v26, v18, vcc
	v_or_b32_e32 v18, v18, v20
	v_xad_u32 v77, v18, v19, v16
	v_or_b32_e32 v18, 0x60, v21
	v_xor_b32_e32 v18, v25, v18
	v_xor_b32_e32 v21, 0x440, v18
	v_and_b32_e32 v15, 0x78, v54
	v_cndmask_b32_e32 v18, v21, v18, vcc
	v_lshl_or_b32 v15, v52, 7, v15
	v_or_b32_e32 v18, v18, v20
	v_or_b32_e32 v69, 0x9000, v15
	;; [unrolled: 1-line block ×3, first 2 shown]
	v_lshl_add_u64 v[14:15], s[8:9], 0, v[12:13]
	v_lshl_add_u64 v[12:13], s[28:29], 0, v[12:13]
	v_lshlrev_b32_e32 v22, 1, v11
	v_add_lshl_u32 v11, v11, s15, 1
	v_or_b32_e32 v23, 0x100, v10
	v_lshlrev_b32_e32 v24, 13, v24
	v_xad_u32 v78, v18, v19, v16
	v_lshlrev_b32_e32 v16, 8, v56
	v_cndmask_b32_e64 v79, v22, v10, s[0:1]
	v_cndmask_b32_e64 v80, v11, v23, s[0:1]
	v_lshl_add_u64 v[46:47], v[14:15], 0, v[16:17]
	v_lshl_add_u64 v[48:49], v[12:13], 0, v[16:17]
	s_mov_b32 s3, 0x7060302
	s_movk_i32 s22, 0x4000
	v_add_u32_e32 v82, v24, v75
	v_add_u32_e32 v83, v24, v76
	;; [unrolled: 1-line block ×4, first 2 shown]
	s_waitcnt lgkmcnt(0)
	s_barrier
.LBB755_32:                             ; =>This Inner Loop Header: Depth=1
	s_add_i32 s37, s60, 1
	s_cmp_lt_i32 s37, s48
	s_mov_b64 s[24:25], 0
	s_cselect_b64 s[40:41], -1, 0
	s_cmp_ge_i32 s37, s48
	s_mov_b64 s[20:21], 0
	s_cbranch_scc1 .LBB755_34
; %bb.33:                               ;   in Loop: Header=BB755_32 Depth=1
	s_add_i32 s0, s55, 64
	s_ashr_i32 s1, s0, 31
	s_add_u32 s0, s54, s0
	s_addc_u32 s1, s53, s1
	s_lshl_b64 s[0:1], s[0:1], 8
	s_add_u32 s20, s6, s0
	s_addc_u32 s21, s7, s1
.LBB755_34:                             ;   in Loop: Header=BB755_32 Depth=1
	v_cndmask_b32_e64 v10, 0, 1, s[40:41]
	v_cmp_ne_u32_e64 s[0:1], 1, v10
	s_andn2_b64 vcc, exec, s[40:41]
	s_cbranch_vccnz .LBB755_36
; %bb.35:                               ;   in Loop: Header=BB755_32 Depth=1
	s_add_i32 s24, s55, 64
	s_mul_hi_i32 s25, s24, s14
	s_mul_i32 s24, s24, s14
	s_add_u32 s24, s24, s51
	s_addc_u32 s25, s25, s56
	s_lshl_b64 s[24:25], s[24:25], 8
	s_add_u32 s24, s4, s24
	s_addc_u32 s25, s5, s25
.LBB755_36:                             ;   in Loop: Header=BB755_32 Depth=1
	v_perm_b32 v11, v9, v8, s3
	v_perm_b32 v10, v7, v6, s3
	;; [unrolled: 1-line block ×4, first 2 shown]
	ds_write_b64 v64, v[10:11]
	ds_write_b64 v65, v[12:13]
	;; [unrolled: 1-line block ×4, first 2 shown]
	s_waitcnt lgkmcnt(0)
	s_barrier
	ds_read_b64 v[18:19], v68 offset:16384
	ds_read_b64 v[20:21], v70 offset:16384
	ds_read2st64_b64 v[10:13], v69 offset1:1
	s_waitcnt lgkmcnt(0)
	v_mfma_f32_16x16x16_bf16 a[0:3], v[18:19], v[10:11], 0
	ds_read2st64_b64 v[14:17], v69 offset0:2 offset1:3
	ds_read_b64 v[22:23], v71 offset:16384
	ds_read_b64 v[10:11], v72 offset:16384
	s_add_i32 s27, s55, 63
	v_mfma_f32_16x16x16_bf16 a[0:3], v[20:21], v[12:13], a[0:3]
	s_ashr_i32 s39, s27, 31
	s_mul_i32 s40, s27, s31
	s_mul_hi_u32 s41, s27, s30
	s_waitcnt lgkmcnt(1)
	v_mfma_f32_16x16x16_bf16 a[0:3], v[22:23], v[14:15], a[0:3]
	s_add_i32 s40, s41, s40
	s_mul_i32 s39, s39, s30
	s_add_i32 s41, s40, s39
	s_mul_i32 s40, s27, s30
	s_waitcnt lgkmcnt(0)
	v_mfma_f32_16x16x16_bf16 a[0:3], v[10:11], v[16:17], a[0:3]
	s_lshl_b64 s[40:41], s[40:41], 2
	s_add_u32 s40, s16, s40
	s_addc_u32 s41, s17, s41
	s_and_b64 vcc, exec, s[0:1]
	v_mov_b32_e32 v88, 0
	v_mov_b32_e32 v87, 0
	;; [unrolled: 1-line block ×19, first 2 shown]
	s_cbranch_vccnz .LBB755_38
; %bb.37:                               ;   in Loop: Header=BB755_32 Depth=1
	s_and_b32 s21, s21, 0xffff
	buffer_load_dwordx4 v[22:25], v60, s[20:23], 0 offen
	buffer_load_dwordx4 v[18:21], v60, s[20:23], s57 offen
	;; [unrolled: 1-line block ×4, first 2 shown]
	v_mov_b32_e32 v87, v62
	v_mov_b32_e32 v86, v63
.LBB755_38:                             ;   in Loop: Header=BB755_32 Depth=1
	s_waitcnt vmcnt(3)
	v_add_u32_e32 v30, s55, v56
	s_waitcnt vmcnt(1)
	v_ashrrev_i32_e32 v26, 31, v30
	v_mul_lo_u32 v28, v26, s30
	v_mul_lo_u32 v29, v30, s31
	v_mad_u64_u32 v[26:27], s[20:21], v30, s30, 0
	v_add3_u32 v27, v27, v29, v28
	v_lshl_add_u64 v[26:27], v[26:27], 2, s[16:17]
	global_load_dword v90, v[26:27], off
	v_add_u32_e32 v26, 1, v30
	v_ashrrev_i32_e32 v27, 31, v26
	v_mul_lo_u32 v28, v27, s30
	v_mul_lo_u32 v29, v26, s31
	v_mad_u64_u32 v[26:27], s[20:21], v26, s30, 0
	v_add3_u32 v27, v27, v29, v28
	v_add_u32_e32 v28, 2, v30
	v_ashrrev_i32_e32 v29, 31, v28
	v_mul_lo_u32 v31, v29, s30
	v_mul_lo_u32 v32, v28, s31
	v_mad_u64_u32 v[28:29], s[20:21], v28, s30, 0
	v_add_u32_e32 v30, 3, v30
	v_add3_u32 v29, v29, v32, v31
	v_ashrrev_i32_e32 v31, 31, v30
	v_mul_lo_u32 v34, v31, s30
	v_mul_lo_u32 v35, v30, s31
	v_mad_u64_u32 v[30:31], s[20:21], v30, s30, 0
	s_ashr_i32 s21, s55, 31
	s_add_u32 s20, s54, s55
	s_addc_u32 s21, s53, s21
	s_lshl_b64 s[62:63], s[20:21], 8
	v_lshl_add_u64 v[26:27], v[26:27], 2, s[16:17]
	v_lshl_add_u64 v[32:33], v[46:47], 0, s[62:63]
	v_add3_u32 v31, v31, v35, v34
	v_lshl_add_u64 v[28:29], v[28:29], 2, s[16:17]
	global_load_ushort v91, v[32:33], off
	global_load_ushort v92, v[32:33], off offset:256
	global_load_ushort v93, v[32:33], off offset:512
	;; [unrolled: 1-line block ×3, first 2 shown]
	v_lshl_add_u64 v[30:31], v[30:31], 2, s[16:17]
	global_load_dword v95, v[26:27], off
	global_load_dword v96, v[28:29], off
	;; [unrolled: 1-line block ×3, first 2 shown]
	ds_read_b64 v[30:31], v68 offset:24576
	ds_read_b64 v[36:37], v70 offset:24576
	ds_read2st64_b64 v[26:29], v73 offset1:1
	s_waitcnt lgkmcnt(0)
	v_mfma_f32_16x16x16_bf16 a[0:3], v[30:31], v[26:27], a[0:3]
	s_load_dword s20, s[40:41], 0x0
	ds_read2st64_b64 v[32:35], v73 offset0:2 offset1:3
	ds_read_b64 v[38:39], v71 offset:24576
	ds_read_b64 v[40:41], v72 offset:24576
	v_mov_b32_e32 v89, 0
	v_mfma_f32_16x16x16_bf16 a[0:3], v[36:37], v[28:29], a[0:3]
	v_mov_b32_e32 v26, 0
	v_mov_b32_e32 v27, 0
	;; [unrolled: 1-line block ×3, first 2 shown]
	s_waitcnt lgkmcnt(0)
	v_mfma_f32_16x16x16_bf16 a[0:3], v[38:39], v[32:33], a[0:3]
	v_lshl_add_u64 v[32:33], v[48:49], 0, s[62:63]
	v_mov_b32_e32 v29, 0
	v_mov_b32_e32 v30, 0
	v_mfma_f32_16x16x16_bf16 a[0:3], v[40:41], v[34:35], a[0:3]
	v_mov_b32_e32 v31, 0
	s_and_b64 vcc, exec, s[0:1]
	s_waitcnt vmcnt(7)
	v_sub_f32_e32 v90, s20, v90
	s_nop 2
	v_accvgpr_read_b32 v37, a1
	v_accvgpr_read_b32 v35, a3
	;; [unrolled: 1-line block ×4, first 2 shown]
	v_mul_f32_e32 v90, 0x3fb8aa3b, v90
	s_waitcnt vmcnt(6)
	v_lshlrev_b32_e32 v38, 16, v91
	s_waitcnt vmcnt(5)
	v_lshlrev_b32_e32 v39, 16, v92
	s_waitcnt vmcnt(4)
	v_lshlrev_b32_e32 v40, 16, v93
	s_waitcnt vmcnt(3)
	v_lshlrev_b32_e32 v41, 16, v94
	s_waitcnt vmcnt(2)
	v_sub_f32_e32 v91, s20, v95
	s_waitcnt vmcnt(1)
	v_sub_f32_e32 v92, s20, v96
	;; [unrolled: 2-line block ×3, first 2 shown]
	v_pk_add_f32 v[36:37], v[38:39], v[36:37] neg_lo:[0,1] neg_hi:[0,1]
	v_pk_add_f32 v[34:35], v[40:41], v[34:35] neg_lo:[0,1] neg_hi:[0,1]
	v_mul_f32_e32 v39, 0x3fb8aa3b, v91
	v_mul_f32_e32 v40, 0x3fb8aa3b, v92
	;; [unrolled: 1-line block ×3, first 2 shown]
	v_exp_f32_e32 v38, v90
	v_exp_f32_e32 v39, v39
	;; [unrolled: 1-line block ×4, first 2 shown]
	global_store_short_d16_hi v[32:33], v36, off
	global_store_short_d16_hi v[32:33], v37, off offset:256
	global_store_short_d16_hi v[32:33], v34, off offset:512
	;; [unrolled: 1-line block ×3, first 2 shown]
	v_pk_mul_f32 v[32:33], v[38:39], v[36:37]
	v_pk_mul_f32 v[34:35], v[40:41], v[34:35]
	v_perm_b32 v32, v33, v32, s3
	v_perm_b32 v33, v35, v34, s3
	ds_write_b64 v65, v[32:33]
	v_mov_b32_e32 v32, 0
	v_mov_b32_e32 v33, 0
	;; [unrolled: 1-line block ×10, first 2 shown]
	s_cbranch_vccnz .LBB755_40
; %bb.39:                               ;   in Loop: Header=BB755_32 Depth=1
	s_and_b32 s25, s25, 0xffff
	s_mov_b32 s27, s23
	buffer_load_dwordx4 v[38:41], v79, s[24:27], 0 offen
	buffer_load_dwordx4 v[30:33], v79, s[24:27], s57 offen
	;; [unrolled: 1-line block ×4, first 2 shown]
	v_mov_b32_e32 v88, v59
	v_mov_b32_e32 v89, v58
.LBB755_40:                             ;   in Loop: Header=BB755_32 Depth=1
	s_waitcnt lgkmcnt(0)
	s_barrier
	ds_read_b64 v[98:99], v82
	ds_read2st64_b64 v[90:93], v73 offset1:1
	ds_read2st64_b64 v[94:97], v73 offset0:2 offset1:3
	ds_read_b64 v[100:101], v83
	ds_read_b64 v[102:103], v84
	;; [unrolled: 1-line block ×3, first 2 shown]
	s_waitcnt lgkmcnt(4)
	v_mfma_f32_16x16x16_bf16 a[0:3], v[98:99], v[90:91], 0
	ds_read_b64 v[98:99], v75 offset:8192
	ds_read_b64 v[106:107], v76 offset:8192
	s_add_i32 s21, s52, s60
	s_mul_hi_i32 s25, s21, s13
	s_waitcnt lgkmcnt(1)
	v_mfma_f32_16x16x16_bf16 a[4:7], v[98:99], v[90:91], 0
	s_mul_i32 s21, s21, s13
	s_add_u32 s24, s21, s47
	s_addc_u32 s25, s25, s49
	v_mfma_f32_16x16x16_bf16 a[0:3], v[100:101], v[92:93], a[0:3]
	ds_read_b64 v[98:99], v43
	ds_read_b64 v[100:101], v74
	ds_read_b64 v[90:91], v77 offset:8192
	s_lshl_b64 s[24:25], s[24:25], 15
	v_mfma_f32_16x16x16_bf16 a[0:3], v[102:103], v[94:95], a[0:3]
	ds_read_b64 v[102:103], v78 offset:8192
	s_and_b64 vcc, exec, s[0:1]
	s_waitcnt lgkmcnt(4)
	v_mfma_f32_16x16x16_bf16 a[4:7], v[106:107], v[92:93], a[4:7]
	s_waitcnt lgkmcnt(1)
	v_mfma_f32_16x16x16_bf16 a[4:7], v[90:91], v[94:95], a[4:7]
	v_lshl_add_u64 v[90:91], v[44:45], 0, s[24:25]
	global_store_dwordx4 v[90:91], v[98:101], off
	v_mfma_f32_16x16x16_bf16 a[0:3], v[104:105], v[96:97], a[0:3]
	s_waitcnt lgkmcnt(0)
	v_mfma_f32_16x16x16_bf16 a[4:7], v[102:103], v[96:97], a[4:7]
	s_cbranch_vccnz .LBB755_42
; %bb.41:                               ;   in Loop: Header=BB755_32 Depth=1
	v_lshrrev_b32_e32 v90, 3, v88
	v_and_b32_e32 v90, 6, v90
	v_xor_b32_e32 v89, v90, v89
	v_lshlrev_b32_e32 v89, 2, v89
	v_and_b32_e32 v88, 8, v88
	v_xor_b32_e32 v91, 0x440, v89
	v_cmp_eq_u32_e32 vcc, 0, v88
	s_barrier
	s_nop 0
	v_cndmask_b32_e32 v88, v91, v89, vcc
	v_lshl_or_b32 v88, v90, 10, v88
	s_waitcnt vmcnt(2)
	v_perm_b32 v89, v38, v34, s58
	s_waitcnt vmcnt(1)
	v_perm_b32 v90, v30, v26, s58
	ds_write2st64_b32 v88, v89, v90 offset1:32
	v_xor_b32_e32 v89, 8, v88
	v_perm_b32 v34, v38, v34, s59
	v_perm_b32 v26, v30, v26, s59
	v_add_u32_e32 v30, 0x80, v89
	ds_write2st64_b32 v30, v34, v26 offset1:32
	v_xor_b32_e32 v26, 16, v88
	v_perm_b32 v30, v39, v35, s58
	v_perm_b32 v34, v31, v27, s58
	ds_write2st64_b32 v26, v30, v34 offset0:1 offset1:33
	v_xor_b32_e32 v26, 24, v88
	v_perm_b32 v30, v39, v35, s59
	v_perm_b32 v27, v31, v27, s59
	v_add_u32_e32 v26, 0x80, v26
	ds_write2st64_b32 v26, v30, v27 offset0:1 offset1:33
	v_xor_b32_e32 v26, 32, v88
	v_perm_b32 v27, v40, v36, s58
	v_perm_b32 v30, v32, v28, s58
	ds_write2st64_b32 v26, v27, v30 offset0:2 offset1:34
	v_xor_b32_e32 v26, 40, v88
	v_perm_b32 v27, v40, v36, s59
	v_perm_b32 v28, v32, v28, s59
	v_add_u32_e32 v26, 0x80, v26
	ds_write2st64_b32 v26, v27, v28 offset0:2 offset1:34
	v_xor_b32_e32 v26, 48, v88
	v_perm_b32 v27, v41, v37, s58
	v_perm_b32 v28, v33, v29, s58
	ds_write2st64_b32 v26, v27, v28 offset0:3 offset1:35
	v_xor_b32_e32 v26, 56, v88
	v_perm_b32 v27, v41, v37, s59
	v_perm_b32 v28, v33, v29, s59
	v_add_u32_e32 v26, 0x80, v26
	ds_write2st64_b32 v26, v27, v28 offset0:3 offset1:35
	ds_write_b64 v87, v[22:23] offset:16384
	v_xor_b32_e32 v22, 8, v87
	ds_write_b64 v22, v[24:25] offset:16384
	ds_write_b64 v87, v[18:19] offset:24576
	;; [unrolled: 1-line block ×4, first 2 shown]
	v_xor_b32_e32 v14, 8, v86
	ds_write_b64 v14, v[16:17] offset:16384
	ds_write_b64 v86, v[10:11] offset:24576
	ds_write_b64 v14, v[12:13] offset:24576
.LBB755_42:                             ;   in Loop: Header=BB755_32 Depth=1
	v_mul_f32_e32 v10, s20, v81
	v_exp_f32_e32 v12, v10
	s_nop 1
	v_accvgpr_read_b32 v11, a1
	v_accvgpr_read_b32 v10, a0
	s_add_i32 s55, s55, 64
	v_fma_f32 v7, v7, v12, v11
	v_accvgpr_read_b32 v11, a3
	v_fmac_f32_e32 v11, v9, v12
	v_accvgpr_read_b32 v9, a4
	v_fma_f32 v6, v6, v12, v10
	v_accvgpr_read_b32 v10, a2
	v_fma_f32 v2, v2, v12, v9
	;; [unrolled: 2-line block ×3, first 2 shown]
	v_fma_f32 v3, v3, v12, v9
	v_accvgpr_read_b32 v9, a6
	v_accvgpr_read_b32 v10, a7
	v_fma_f32 v4, v4, v12, v9
	s_cmp_eq_u32 s48, s37
	v_fmac_f32_e32 v10, v5, v12
	s_cbranch_scc1 .LBB755_4
; %bb.43:                               ;   in Loop: Header=BB755_32 Depth=1
	s_mov_b32 s60, s37
	v_mov_b32_e32 v9, v11
	v_mov_b32_e32 v5, v10
	s_branch .LBB755_32
.LBB755_44:
                                        ; implicit-def: $vgpr5
                                        ; implicit-def: $vgpr9
                                        ; implicit-def: $vgpr13
                                        ; implicit-def: $vgpr17
	s_cbranch_execz .LBB755_46
; %bb.45:
	s_waitcnt vmcnt(0)
	v_mad_u64_u32 v[2:3], s[0:1], v20, s15, v[18:19]
	v_lshlrev_b32_e32 v20, 1, v2
	s_lshl_b32 s2, s15, 7
	s_and_b32 s1, s5, 0xffff
	s_mov_b32 s3, 0x20000
	s_mov_b32 s0, s4
	v_add_lshl_u32 v21, v2, s15, 1
	s_movk_i32 s13, 0x80
	buffer_load_dwordx4 v[2:5], v20, s[0:3], 0 offen
	buffer_load_dwordx4 v[10:13], v20, s[0:3], s13 offen
	;; [unrolled: 1-line block ×4, first 2 shown]
.LBB755_46:
	v_lshrrev_b32_e32 v37, 2, v50
	s_cbranch_execnz .LBB755_59
.LBB755_47:
	s_and_b64 vcc, exec, s[6:7]
	s_cbranch_vccz .LBB755_57
; %bb.48:
	s_waitcnt vmcnt(0)
	v_lshlrev_b32_e32 v7, 1, v35
	v_cmp_gt_i32_e32 vcc, s27, v7
	v_mov_b32_e32 v6, 0
	v_lshlrev_b32_e32 v14, 9, v35
	v_mov_b32_e32 v2, 0
	v_mov_b32_e32 v3, 0
	;; [unrolled: 1-line block ×4, first 2 shown]
	s_and_saveexec_b64 s[0:1], vcc
	s_cbranch_execz .LBB755_50
; %bb.49:
	v_mov_b32_e32 v15, 0
	v_lshl_add_u64 v[2:3], s[4:5], 0, v[14:15]
	v_lshlrev_b32_e32 v4, 1, v18
	v_mov_b32_e32 v5, v15
	v_lshl_add_u64 v[2:3], v[2:3], 0, v[4:5]
	global_load_dwordx4 v[2:5], v[2:3], off
.LBB755_50:
	s_or_b64 exec, exec, s[0:1]
	v_or_b32_e32 v7, 1, v7
	v_cmp_gt_i32_e64 s[0:1], s27, v7
	v_lshlrev_b32_e32 v20, 8, v7
	v_mov_b32_e32 v7, 0
	v_mov_b32_e32 v8, 0
	;; [unrolled: 1-line block ×3, first 2 shown]
	s_and_saveexec_b64 s[2:3], s[0:1]
	s_cbranch_execz .LBB755_52
; %bb.51:
	v_mov_b32_e32 v21, 0
	v_lshl_add_u64 v[6:7], s[4:5], 0, v[20:21]
	v_lshlrev_b32_e32 v8, 1, v18
	v_mov_b32_e32 v9, v21
	v_lshl_add_u64 v[6:7], v[6:7], 0, v[8:9]
	global_load_dwordx4 v[6:9], v[6:7], off
.LBB755_52:
	s_or_b64 exec, exec, s[2:3]
	v_mov_b32_e32 v17, 0
	v_mov_b32_e32 v10, 0
	;; [unrolled: 1-line block ×5, first 2 shown]
	s_and_saveexec_b64 s[2:3], vcc
	s_cbranch_execz .LBB755_54
; %bb.53:
	v_mov_b32_e32 v15, 0
	v_lshl_add_u64 v[10:11], s[4:5], 0, v[14:15]
	v_lshlrev_b32_e32 v14, 1, v18
	v_lshl_add_u64 v[10:11], v[10:11], 0, v[14:15]
	global_load_dwordx4 v[10:13], v[10:11], off offset:128
.LBB755_54:
	s_or_b64 exec, exec, s[2:3]
	v_mov_b32_e32 v16, 0
	v_mov_b32_e32 v15, 0
	;; [unrolled: 1-line block ×3, first 2 shown]
	s_and_saveexec_b64 s[2:3], s[0:1]
	s_cbranch_execz .LBB755_56
; %bb.55:
	v_mov_b32_e32 v21, 0
	v_lshl_add_u64 v[14:15], s[4:5], 0, v[20:21]
	v_lshlrev_b32_e32 v20, 1, v18
	v_lshl_add_u64 v[14:15], v[14:15], 0, v[20:21]
	global_load_dwordx4 v[14:17], v[14:15], off offset:128
.LBB755_56:
	s_or_b64 exec, exec, s[2:3]
	s_branch .LBB755_59
.LBB755_57:
                                        ; implicit-def: $vgpr5
                                        ; implicit-def: $vgpr9
                                        ; implicit-def: $vgpr13
                                        ; implicit-def: $vgpr17
	s_cbranch_execz .LBB755_59
; %bb.58:
	s_waitcnt vmcnt(0)
	v_lshlrev_b32_e32 v2, 1, v18
	v_lshl_or_b32 v18, v35, 9, v2
	s_and_b32 s5, s5, 0xffff
	s_mov_b32 s7, 0x20000
	s_movk_i32 s6, 0x4000
	s_movk_i32 s0, 0x80
	buffer_load_dwordx4 v[2:5], v18, s[4:7], 0 offen
	buffer_load_dwordx4 v[6:9], v18, s[4:7], 0 offen offset:256
	buffer_load_dwordx4 v[10:13], v18, s[4:7], s0 offen
	buffer_load_dwordx4 v[14:17], v18, s[4:7], s0 offen offset:256
.LBB755_59:
	ds_read2st64_b64 v[22:25], v19 offset0:76 offset1:77
	ds_read2st64_b64 v[18:21], v19 offset0:78 offset1:79
	ds_read_b64 v[32:33], v26 offset:24576
	ds_read_b64 v[30:31], v27 offset:24576
	;; [unrolled: 1-line block ×4, first 2 shown]
	v_and_b32_e32 v36, 6, v0
	v_xor_b32_e32 v35, v35, v36
	v_lshlrev_b32_e32 v35, 2, v35
	v_and_b32_e32 v0, 1, v0
	v_xor_b32_e32 v38, 0x440, v35
	v_cmp_eq_u32_e32 vcc, 0, v0
	s_mov_b32 s0, 0x1000504
	s_mov_b32 s1, 0x3020706
	v_cndmask_b32_e32 v0, v38, v35, vcc
	v_lshl_or_b32 v0, v36, 10, v0
	s_waitcnt vmcnt(0)
	v_perm_b32 v35, v2, v6, s0
	v_perm_b32 v36, v10, v14, s0
	ds_write2st64_b32 v0, v35, v36 offset1:32
	v_xor_b32_e32 v35, 8, v0
	v_perm_b32 v2, v2, v6, s1
	v_perm_b32 v6, v10, v14, s1
	v_add_u32_e32 v10, 0x80, v35
	ds_write2st64_b32 v10, v2, v6 offset1:32
	v_xor_b32_e32 v2, 16, v0
	v_perm_b32 v6, v3, v7, s0
	v_perm_b32 v10, v11, v15, s0
	ds_write2st64_b32 v2, v6, v10 offset0:1 offset1:33
	v_xor_b32_e32 v2, 24, v0
	v_perm_b32 v3, v3, v7, s1
	v_perm_b32 v6, v11, v15, s1
	v_add_u32_e32 v2, 0x80, v2
	ds_write2st64_b32 v2, v3, v6 offset0:1 offset1:33
	v_xor_b32_e32 v2, 32, v0
	v_perm_b32 v3, v4, v8, s0
	v_perm_b32 v6, v12, v16, s0
	ds_write2st64_b32 v2, v3, v6 offset0:2 offset1:34
	v_xor_b32_e32 v2, 40, v0
	v_perm_b32 v3, v4, v8, s1
	v_perm_b32 v4, v12, v16, s1
	v_add_u32_e32 v2, 0x80, v2
	ds_write2st64_b32 v2, v3, v4 offset0:2 offset1:34
	v_xor_b32_e32 v2, 48, v0
	v_perm_b32 v3, v5, v9, s0
	v_perm_b32 v4, v13, v17, s0
	v_xor_b32_e32 v0, 56, v0
	v_and_or_b32 v8, v37, 12, v1
	ds_write2st64_b32 v2, v3, v4 offset0:3 offset1:35
	v_perm_b32 v2, v5, v9, s1
	v_perm_b32 v3, v13, v17, s1
	v_add_u32_e32 v0, 0x80, v0
	v_cmp_gt_i32_e32 vcc, s27, v8
	v_mov_b32_e32 v9, 0
	v_mov_b32_e32 v14, 0
	ds_write2st64_b32 v0, v2, v3 offset0:3 offset1:35
	s_and_saveexec_b64 s[0:1], vcc
	s_cbranch_execz .LBB755_61
; %bb.60:
	v_add_u32_e32 v0, s26, v8
	v_ashrrev_i32_e32 v1, 31, v0
	v_mul_lo_u32 v2, v1, s30
	v_mul_lo_u32 v3, v0, s31
	v_mad_u64_u32 v[0:1], s[2:3], v0, s30, 0
	v_add3_u32 v1, v1, v3, v2
	v_lshl_add_u64 v[0:1], v[0:1], 2, s[10:11]
	global_load_dword v0, v[0:1], off
	s_waitcnt vmcnt(0)
	v_sub_f32_e32 v0, s12, v0
	v_mul_f32_e32 v0, 0x3fb8aa3b, v0
	v_exp_f32_e32 v14, v0
.LBB755_61:
	s_or_b64 exec, exec, s[0:1]
	v_or_b32_e32 v12, 1, v8
	v_cmp_gt_i32_e64 s[2:3], s27, v12
	s_and_saveexec_b64 s[0:1], s[2:3]
	s_cbranch_execz .LBB755_63
; %bb.62:
	v_add_u32_e32 v0, s26, v12
	v_ashrrev_i32_e32 v1, 31, v0
	v_mul_lo_u32 v2, v1, s30
	v_mul_lo_u32 v3, v0, s31
	v_mad_u64_u32 v[0:1], s[4:5], v0, s30, 0
	v_add3_u32 v1, v1, v3, v2
	v_lshl_add_u64 v[0:1], v[0:1], 2, s[10:11]
	global_load_dword v0, v[0:1], off
	s_waitcnt vmcnt(0)
	v_sub_f32_e32 v0, s12, v0
	v_mul_f32_e32 v0, 0x3fb8aa3b, v0
	v_exp_f32_e32 v9, v0
.LBB755_63:
	s_or_b64 exec, exec, s[0:1]
	v_or_b32_e32 v11, 2, v8
	v_cmp_gt_i32_e64 s[0:1], s27, v11
	v_mov_b32_e32 v10, 0
	v_mov_b32_e32 v15, 0
	s_and_saveexec_b64 s[4:5], s[0:1]
	s_cbranch_execz .LBB755_65
; %bb.64:
	v_add_u32_e32 v0, s26, v11
	v_ashrrev_i32_e32 v1, 31, v0
	v_mul_lo_u32 v2, v1, s30
	v_mul_lo_u32 v3, v0, s31
	v_mad_u64_u32 v[0:1], s[6:7], v0, s30, 0
	v_add3_u32 v1, v1, v3, v2
	v_lshl_add_u64 v[0:1], v[0:1], 2, s[10:11]
	global_load_dword v0, v[0:1], off
	s_waitcnt vmcnt(0)
	v_sub_f32_e32 v0, s12, v0
	v_mul_f32_e32 v0, 0x3fb8aa3b, v0
	v_exp_f32_e32 v15, v0
.LBB755_65:
	s_or_b64 exec, exec, s[4:5]
	v_or_b32_e32 v13, 3, v8
	v_cmp_gt_i32_e64 s[4:5], s27, v13
	s_and_saveexec_b64 s[6:7], s[4:5]
	s_cbranch_execz .LBB755_67
; %bb.66:
	v_add_u32_e32 v0, s26, v13
	v_ashrrev_i32_e32 v1, 31, v0
	v_mul_lo_u32 v2, v1, s30
	v_mul_lo_u32 v3, v0, s31
	v_mad_u64_u32 v[0:1], s[14:15], v0, s30, 0
	v_add3_u32 v1, v1, v3, v2
	v_lshl_add_u64 v[0:1], v[0:1], 2, s[10:11]
	global_load_dword v0, v[0:1], off
	s_waitcnt vmcnt(0)
	v_sub_f32_e32 v0, s12, v0
	v_mul_f32_e32 v0, 0x3fb8aa3b, v0
	v_exp_f32_e32 v10, v0
.LBB755_67:
	s_or_b64 exec, exec, s[6:7]
	s_waitcnt lgkmcnt(11)
	v_mfma_f32_16x16x16_bf16 a[0:3], v[32:33], v[22:23], a[0:3]
	s_add_u32 s6, s8, s20
	v_ashrrev_i32_e32 v43, 31, v42
	s_addc_u32 s7, s9, s21
	s_waitcnt lgkmcnt(10)
	v_mfma_f32_16x16x16_bf16 a[0:3], v[30:31], v[24:25], a[0:3]
	v_lshlrev_b64 v[0:1], 1, v[42:43]
	v_lshl_add_u64 v[4:5], s[6:7], 0, v[0:1]
	s_add_u32 s6, s28, s20
	s_waitcnt lgkmcnt(9)
	v_mfma_f32_16x16x16_bf16 a[0:3], v[28:29], v[18:19], a[0:3]
	s_addc_u32 s7, s29, s21
	v_lshl_add_u64 v[6:7], s[6:7], 0, v[0:1]
	v_mov_b32_e32 v16, 0
	s_waitcnt lgkmcnt(8)
	v_mfma_f32_16x16x16_bf16 a[0:3], v[26:27], v[20:21], a[0:3]
	v_mov_b32_e32 v17, 0
	s_nop 5
	v_accvgpr_read_b32 v0, a0
	v_accvgpr_read_b32 v1, a1
	;; [unrolled: 1-line block ×4, first 2 shown]
	s_and_saveexec_b64 s[6:7], vcc
	s_cbranch_execz .LBB755_69
; %bb.68:
	v_lshlrev_b32_e32 v18, 8, v8
	v_mov_b32_e32 v19, 0
	v_lshl_add_u64 v[20:21], v[4:5], 0, v[18:19]
	global_load_ushort v17, v[20:21], off
	v_lshl_add_u64 v[18:19], v[6:7], 0, v[18:19]
	s_waitcnt vmcnt(0)
	v_lshlrev_b32_e32 v17, 16, v17
	v_sub_f32_e32 v0, v17, v0
	global_store_short_d16_hi v[18:19], v0, off
	v_mul_f32_e32 v0, v14, v0
	v_lshrrev_b32_e32 v17, 16, v0
.LBB755_69:
	s_or_b64 exec, exec, s[6:7]
	s_and_saveexec_b64 s[6:7], s[2:3]
	s_cbranch_execz .LBB755_71
; %bb.70:
	v_lshlrev_b32_e32 v18, 8, v12
	v_mov_b32_e32 v19, 0
	v_lshl_add_u64 v[20:21], v[4:5], 0, v[18:19]
	global_load_ushort v0, v[20:21], off
	v_lshl_add_u64 v[18:19], v[6:7], 0, v[18:19]
	s_waitcnt vmcnt(0)
	v_lshlrev_b32_e32 v0, 16, v0
	v_sub_f32_e32 v0, v0, v1
	global_store_short_d16_hi v[18:19], v0, off
	v_mul_f32_e32 v0, v9, v0
	v_lshrrev_b32_e32 v16, 16, v0
.LBB755_71:
	s_or_b64 exec, exec, s[6:7]
	v_mov_b32_e32 v0, 0
	v_mov_b32_e32 v1, 0
	s_and_saveexec_b64 s[2:3], s[0:1]
	s_cbranch_execz .LBB755_73
; %bb.72:
	v_lshlrev_b32_e32 v18, 8, v11
	v_mov_b32_e32 v19, 0
	v_lshl_add_u64 v[20:21], v[4:5], 0, v[18:19]
	global_load_ushort v1, v[20:21], off
	v_lshl_add_u64 v[18:19], v[6:7], 0, v[18:19]
	s_waitcnt vmcnt(0)
	v_lshlrev_b32_e32 v1, 16, v1
	v_sub_f32_e32 v1, v1, v2
	global_store_short_d16_hi v[18:19], v1, off
	v_mul_f32_e32 v1, v15, v1
	v_lshrrev_b32_e32 v1, 16, v1
.LBB755_73:
	s_or_b64 exec, exec, s[2:3]
	s_and_saveexec_b64 s[0:1], s[4:5]
	s_cbranch_execz .LBB755_75
; %bb.74:
	v_lshlrev_b32_e32 v12, 8, v13
	v_mov_b32_e32 v13, 0
	v_lshl_add_u64 v[4:5], v[4:5], 0, v[12:13]
	global_load_ushort v0, v[4:5], off
	v_lshl_add_u64 v[4:5], v[6:7], 0, v[12:13]
	s_waitcnt vmcnt(0)
	v_lshlrev_b32_e32 v0, 16, v0
	v_sub_f32_e32 v0, v0, v3
	global_store_short_d16_hi v[4:5], v0, off
	v_mul_f32_e32 v0, v10, v0
	v_lshrrev_b32_e32 v0, 16, v0
.LBB755_75:
	s_or_b64 exec, exec, s[0:1]
	s_mov_b32 s0, 0x5040100
	v_lshlrev_b32_e32 v2, 1, v34
	v_perm_b32 v1, v0, v1, s0
	v_perm_b32 v0, v16, v17, s0
	v_lshl_or_b32 v2, v8, 5, v2
	ds_write_b64 v2, v[0:1] offset:38912
	s_waitcnt lgkmcnt(0)
	s_barrier
.LBB755_76:
	s_endpgm
	.section	.rodata,"a",@progbits
	.p2align	6, 0x0
	.amdhsa_kernel _ZN12_GLOBAL__N_139chunk_gated_delta_rule_fwd_h_hip_kernelILi16ELb1ELb0ELb1ELb1ELb0ELb0ELb0ELb0EEEvPK12hip_bfloat16S3_S3_PKfS5_PKvPS1_S8_PvPKiSB_iiiiilll
		.amdhsa_group_segment_fixed_size 40960
		.amdhsa_private_segment_fixed_size 0
		.amdhsa_kernarg_size 136
		.amdhsa_user_sgpr_count 2
		.amdhsa_user_sgpr_dispatch_ptr 0
		.amdhsa_user_sgpr_queue_ptr 0
		.amdhsa_user_sgpr_kernarg_segment_ptr 1
		.amdhsa_user_sgpr_dispatch_id 0
		.amdhsa_user_sgpr_kernarg_preload_length 0
		.amdhsa_user_sgpr_kernarg_preload_offset 0
		.amdhsa_user_sgpr_private_segment_size 0
		.amdhsa_uses_dynamic_stack 0
		.amdhsa_enable_private_segment 0
		.amdhsa_system_sgpr_workgroup_id_x 1
		.amdhsa_system_sgpr_workgroup_id_y 1
		.amdhsa_system_sgpr_workgroup_id_z 0
		.amdhsa_system_sgpr_workgroup_info 0
		.amdhsa_system_vgpr_workitem_id 0
		.amdhsa_next_free_vgpr 116
		.amdhsa_next_free_sgpr 64
		.amdhsa_accum_offset 108
		.amdhsa_reserve_vcc 1
		.amdhsa_float_round_mode_32 0
		.amdhsa_float_round_mode_16_64 0
		.amdhsa_float_denorm_mode_32 3
		.amdhsa_float_denorm_mode_16_64 3
		.amdhsa_dx10_clamp 1
		.amdhsa_ieee_mode 1
		.amdhsa_fp16_overflow 0
		.amdhsa_tg_split 0
		.amdhsa_exception_fp_ieee_invalid_op 0
		.amdhsa_exception_fp_denorm_src 0
		.amdhsa_exception_fp_ieee_div_zero 0
		.amdhsa_exception_fp_ieee_overflow 0
		.amdhsa_exception_fp_ieee_underflow 0
		.amdhsa_exception_fp_ieee_inexact 0
		.amdhsa_exception_int_div_zero 0
	.end_amdhsa_kernel
	.section	.text._ZN12_GLOBAL__N_139chunk_gated_delta_rule_fwd_h_hip_kernelILi16ELb1ELb0ELb1ELb1ELb0ELb0ELb0ELb0EEEvPK12hip_bfloat16S3_S3_PKfS5_PKvPS1_S8_PvPKiSB_iiiiilll,"axG",@progbits,_ZN12_GLOBAL__N_139chunk_gated_delta_rule_fwd_h_hip_kernelILi16ELb1ELb0ELb1ELb1ELb0ELb0ELb0ELb0EEEvPK12hip_bfloat16S3_S3_PKfS5_PKvPS1_S8_PvPKiSB_iiiiilll,comdat
.Lfunc_end755:
	.size	_ZN12_GLOBAL__N_139chunk_gated_delta_rule_fwd_h_hip_kernelILi16ELb1ELb0ELb1ELb1ELb0ELb0ELb0ELb0EEEvPK12hip_bfloat16S3_S3_PKfS5_PKvPS1_S8_PvPKiSB_iiiiilll, .Lfunc_end755-_ZN12_GLOBAL__N_139chunk_gated_delta_rule_fwd_h_hip_kernelILi16ELb1ELb0ELb1ELb1ELb0ELb0ELb0ELb0EEEvPK12hip_bfloat16S3_S3_PKfS5_PKvPS1_S8_PvPKiSB_iiiiilll
                                        ; -- End function
	.section	.AMDGPU.csdata,"",@progbits
; Kernel info:
; codeLenInByte = 7240
; NumSgprs: 70
; NumVgprs: 108
; NumAgprs: 8
; TotalNumVgprs: 116
; ScratchSize: 0
; MemoryBound: 0
; FloatMode: 240
; IeeeMode: 1
; LDSByteSize: 40960 bytes/workgroup (compile time only)
; SGPRBlocks: 8
; VGPRBlocks: 14
; NumSGPRsForWavesPerEU: 70
; NumVGPRsForWavesPerEU: 116
; AccumOffset: 108
; Occupancy: 1
; WaveLimiterHint : 1
; COMPUTE_PGM_RSRC2:SCRATCH_EN: 0
; COMPUTE_PGM_RSRC2:USER_SGPR: 2
; COMPUTE_PGM_RSRC2:TRAP_HANDLER: 0
; COMPUTE_PGM_RSRC2:TGID_X_EN: 1
; COMPUTE_PGM_RSRC2:TGID_Y_EN: 1
; COMPUTE_PGM_RSRC2:TGID_Z_EN: 0
; COMPUTE_PGM_RSRC2:TIDIG_COMP_CNT: 0
; COMPUTE_PGM_RSRC3_GFX90A:ACCUM_OFFSET: 26
; COMPUTE_PGM_RSRC3_GFX90A:TG_SPLIT: 0
	.section	.text._ZN12_GLOBAL__N_139chunk_gated_delta_rule_fwd_h_hip_kernelILi16ELb1ELb0ELb0ELb1ELb0ELb0ELb0ELb0EEEvPK12hip_bfloat16S3_S3_PKfS5_PKvPS1_S8_PvPKiSB_iiiiilll,"axG",@progbits,_ZN12_GLOBAL__N_139chunk_gated_delta_rule_fwd_h_hip_kernelILi16ELb1ELb0ELb0ELb1ELb0ELb0ELb0ELb0EEEvPK12hip_bfloat16S3_S3_PKfS5_PKvPS1_S8_PvPKiSB_iiiiilll,comdat
	.globl	_ZN12_GLOBAL__N_139chunk_gated_delta_rule_fwd_h_hip_kernelILi16ELb1ELb0ELb0ELb1ELb0ELb0ELb0ELb0EEEvPK12hip_bfloat16S3_S3_PKfS5_PKvPS1_S8_PvPKiSB_iiiiilll ; -- Begin function _ZN12_GLOBAL__N_139chunk_gated_delta_rule_fwd_h_hip_kernelILi16ELb1ELb0ELb0ELb1ELb0ELb0ELb0ELb0EEEvPK12hip_bfloat16S3_S3_PKfS5_PKvPS1_S8_PvPKiSB_iiiiilll
	.p2align	8
	.type	_ZN12_GLOBAL__N_139chunk_gated_delta_rule_fwd_h_hip_kernelILi16ELb1ELb0ELb0ELb1ELb0ELb0ELb0ELb0EEEvPK12hip_bfloat16S3_S3_PKfS5_PKvPS1_S8_PvPKiSB_iiiiilll,@function
_ZN12_GLOBAL__N_139chunk_gated_delta_rule_fwd_h_hip_kernelILi16ELb1ELb0ELb0ELb1ELb0ELb0ELb0ELb0EEEvPK12hip_bfloat16S3_S3_PKfS5_PKvPS1_S8_PvPKiSB_iiiiilll: ; @_ZN12_GLOBAL__N_139chunk_gated_delta_rule_fwd_h_hip_kernelILi16ELb1ELb0ELb0ELb1ELb0ELb0ELb0ELb0EEEvPK12hip_bfloat16S3_S3_PKfS5_PKvPS1_S8_PvPKiSB_iiiiilll
; %bb.0:
	s_load_dwordx4 s[12:15], s[0:1], 0x5c
	s_load_dwordx4 s[20:23], s[0:1], 0x70
	s_abs_i32 s9, s3
	s_ashr_i32 s8, s3, 31
	s_load_dwordx4 s[4:7], s[0:1], 0x48
	s_waitcnt lgkmcnt(0)
	s_abs_i32 s10, s13
	v_cvt_f32_u32_e32 v1, s10
	s_sub_i32 s16, 0, s10
	s_ashr_i32 s11, s13, 31
	s_xor_b32 s8, s8, s11
	v_rcp_iflag_f32_e32 v1, v1
	v_and_b32_e32 v51, 15, v0
	v_lshrrev_b32_e32 v49, 6, v0
	v_bfe_u32 v50, v0, 4, 2
	v_mul_f32_e32 v1, 0x4f7ffffe, v1
	v_cvt_u32_f32_e32 v1, v1
	v_mov_b32_e32 v5, 0
	v_and_b32_e32 v48, 63, v0
	v_lshrrev_b32_e32 v53, 3, v48
	v_readfirstlane_b32 s17, v1
	s_mul_i32 s16, s16, s17
	s_mul_hi_u32 s16, s17, s16
	s_add_i32 s17, s17, s16
	s_mul_hi_u32 s16, s9, s17
	s_mul_i32 s17, s16, s10
	s_sub_i32 s9, s9, s17
	s_add_i32 s18, s16, 1
	s_sub_i32 s17, s9, s10
	s_cmp_ge_u32 s9, s10
	s_cselect_b32 s16, s18, s16
	s_cselect_b32 s9, s17, s9
	s_add_i32 s17, s16, 1
	s_cmp_ge_u32 s9, s10
	s_cselect_b32 s9, s17, s16
	s_load_dwordx4 s[16:19], s[0:1], 0x28
	s_xor_b32 s9, s9, s8
	s_sub_i32 s24, s9, s8
	s_mul_i32 s28, s24, s13
	s_ashr_i32 s25, s24, 31
	s_sub_i32 s45, s3, s28
	s_lshl_b64 s[8:9], s[24:25], 2
	s_add_u32 s4, s4, s8
	s_addc_u32 s5, s5, s9
	s_add_u32 s26, s6, s8
	s_addc_u32 s27, s7, s9
	s_abs_i32 s3, s14
	v_cvt_f32_u32_e32 v1, s3
	s_load_dwordx2 s[30:31], s[4:5], 0x0
	s_sub_i32 s5, 0, s3
	s_lshl_b32 s2, s2, 4
	v_rcp_iflag_f32_e32 v1, v1
	v_or_b32_e32 v42, s2, v51
	s_waitcnt lgkmcnt(0)
	s_sub_i32 s48, s31, s30
	s_ashr_i32 s4, s48, 31
	v_mul_f32_e32 v1, 0x4f7ffffe, v1
	v_cvt_u32_f32_e32 v1, v1
	s_lshr_b32 s4, s4, 26
	s_add_i32 s4, s48, s4
	s_ashr_i32 s46, s4, 6
	v_readfirstlane_b32 s6, v1
	s_mul_i32 s5, s5, s6
	s_mul_hi_u32 s5, s6, s5
	s_add_i32 s6, s6, s5
	s_mul_hi_u32 s5, s10, s6
	s_mul_i32 s6, s5, s3
	s_ashr_i32 s4, s14, 31
	s_sub_i32 s6, s10, s6
	s_xor_b32 s4, s11, s4
	s_add_i32 s7, s5, 1
	s_sub_i32 s8, s6, s3
	s_cmp_ge_u32 s6, s3
	s_cselect_b32 s5, s7, s5
	s_cselect_b32 s6, s8, s6
	s_add_i32 s7, s5, 1
	s_cmp_ge_u32 s6, s3
	s_cselect_b32 s3, s7, s5
	s_xor_b32 s3, s3, s4
	s_sub_i32 s3, s3, s4
	s_abs_i32 s4, s3
	v_cvt_f32_u32_e32 v1, s4
	s_sub_i32 s6, 0, s4
	s_abs_i32 s5, s45
	s_xor_b32 s3, s45, s3
	v_rcp_iflag_f32_e32 v1, v1
	s_ashr_i32 s3, s3, 31
	v_lshlrev_b32_e32 v2, 7, v42
	v_ashrrev_i32_e32 v3, 31, v2
	v_mul_f32_e32 v1, 0x4f7ffffe, v1
	v_cvt_u32_f32_e32 v1, v1
	s_mul_hi_i32 s51, s45, s12
	s_mul_i32 s52, s45, s12
	v_lshlrev_b32_e32 v52, 3, v0
	v_readfirstlane_b32 s7, v1
	s_mul_i32 s6, s6, s7
	s_mul_hi_u32 s6, s7, s6
	s_add_i32 s7, s7, s6
	s_mul_hi_u32 s6, s5, s7
	s_mul_i32 s7, s6, s4
	s_sub_i32 s5, s5, s7
	s_add_i32 s7, s6, 1
	s_sub_i32 s8, s5, s4
	s_cmp_ge_u32 s5, s4
	s_cselect_b32 s6, s7, s6
	s_cselect_b32 s5, s8, s5
	s_add_i32 s7, s6, 1
	s_cmp_ge_u32 s5, s4
	s_cselect_b32 s4, s7, s6
	s_xor_b32 s4, s4, s3
	s_sub_i32 s49, s4, s3
	s_ashr_i32 s47, s45, 31
	s_mul_hi_i32 s3, s24, s13
	s_add_u32 s4, s28, s45
	s_addc_u32 s5, s3, s47
	s_lshl_b64 s[4:5], s[4:5], 16
	v_lshlrev_b32_e32 v1, 4, v49
	s_add_u32 s4, s16, s4
	v_lshl_or_b32 v54, v50, 2, v1
	s_addc_u32 s5, s17, s5
	v_lshl_add_u64 v[2:3], v[2:3], 2, s[4:5]
	v_lshlrev_b32_e32 v4, 2, v54
	v_lshl_add_u64 v[10:11], v[2:3], 0, v[4:5]
	global_load_dwordx4 v[6:9], v[10:11], off
	global_load_dwordx4 v[2:5], v[10:11], off offset:256
	s_load_dwordx8 s[4:11], s[0:1], 0x0
	s_load_dwordx2 s[28:29], s[0:1], 0x80
	s_load_dword s50, s[26:27], 0x0
	v_or_b32_e32 v55, 64, v54
	s_cmp_lt_i32 s48, 64
	s_mul_i32 s33, s24, s21
	s_mul_hi_u32 s41, s24, s20
	s_mul_i32 s42, s25, s20
	s_mul_i32 s36, s24, s20
	;; [unrolled: 1-line block ×3, first 2 shown]
	s_mul_hi_u32 s43, s45, s22
	s_mul_i32 s44, s47, s22
	s_mul_i32 s34, s45, s22
	s_cbranch_scc1 .LBB756_3
; %bb.1:
	s_ashr_i32 s1, s30, 31
	s_add_u32 s0, s52, s30
	s_addc_u32 s1, s51, s1
	s_lshl_b64 s[0:1], s[0:1], 8
	v_and_b32_e32 v57, 56, v52
	s_waitcnt lgkmcnt(0)
	s_add_u32 s20, s6, s0
	v_lshl_or_b32 v56, v49, 3, v53
	v_lshlrev_b32_e32 v10, 1, v57
	s_addc_u32 s0, s7, s1
	v_lshl_or_b32 v58, v56, 8, v10
	s_and_b32 s21, s0, 0xffff
	s_mov_b32 s23, 0x20000
	s_movk_i32 s22, 0x4000
	s_movk_i32 s0, 0x80
	v_or_b32_e32 v59, 0x2000, v58
	buffer_load_dwordx4 v[12:15], v58, s[20:23], 0 offen
	buffer_load_dwordx4 v[16:19], v58, s[20:23], s0 offen
	;; [unrolled: 1-line block ×4, first 2 shown]
	v_lshlrev_b32_e32 v11, 3, v56
	v_and_or_b32 v29, v0, 7, v11
	v_and_b32_e32 v11, 0x78, v11
	v_lshlrev_b32_e32 v29, 4, v29
	v_xor_b32_e32 v60, v29, v11
	v_mul_lo_u32 v28, v56, s15
	v_or_b32_e32 v61, 0x1000, v60
	v_xor_b32_e32 v11, 8, v60
	s_cmpk_eq_i32 s15, 0x80
	s_mov_b32 s53, s30
	v_xor_b32_e32 v29, 8, v61
	s_cselect_b64 s[0:1], -1, 0
	s_cmpk_lg_i32 s15, 0x80
	s_waitcnt vmcnt(3)
	ds_write_b64 v60, v[12:13] offset:16384
	ds_write_b64 v11, v[14:15] offset:16384
	s_waitcnt vmcnt(2)
	ds_write_b64 v60, v[16:17] offset:24576
	ds_write_b64 v11, v[18:19] offset:24576
	;; [unrolled: 3-line block ×4, first 2 shown]
	v_lshl_add_u32 v11, v28, 1, v57
	s_cbranch_scc0 .LBB756_29
; %bb.2:
	v_lshlrev_b32_e32 v13, 1, v11
	v_add_lshl_u32 v12, v11, s15, 1
	s_lshl_b32 s22, s15, 7
	v_lshl_or_b32 v10, v56, 9, v10
	s_cbranch_execz .LBB756_30
	s_branch .LBB756_31
.LBB756_3:
	s_waitcnt vmcnt(0)
	v_mov_b32_e32 v10, v5
	v_mov_b32_e32 v11, v9
.LBB756_4:
	s_lshl_b32 s26, s46, 6
	s_sub_i32 s27, s48, s26
	s_cmp_gt_i32 s27, 0
	s_cbranch_scc0 .LBB756_76
; %bb.5:
	s_add_i32 s26, s26, s30
	s_ashr_i32 s3, s26, 31
	s_cmpk_lg_i32 s15, 0x80
	s_cselect_b64 s[22:23], -1, 0
	s_and_b64 vcc, exec, s[22:23]
	s_cbranch_vccz .LBB756_7
; %bb.6:
	s_mul_hi_i32 s0, s26, s14
	s_mul_i32 s1, s26, s14
	s_ashr_i32 s14, s49, 31
	s_add_u32 s24, s1, s49
	s_addc_u32 s25, s0, s14
	s_cbranch_execz .LBB756_8
	s_branch .LBB756_9
.LBB756_7:
                                        ; implicit-def: $sgpr24_sgpr25
.LBB756_8:
	s_mul_i32 s1, s49, s12
	s_mul_hi_i32 s0, s49, s12
	s_add_u32 s24, s1, s26
	s_addc_u32 s25, s0, s3
.LBB756_9:
	s_waitcnt lgkmcnt(0)
	s_add_i32 s12, s46, s50
	s_add_u32 s0, s52, s26
	s_addc_u32 s1, s51, s3
	s_mov_b32 s3, 0x7060302
	v_perm_b32 v5, v10, v4, s3
	v_perm_b32 v4, v3, v2, s3
	v_lshlrev_b32_e32 v2, 3, v51
	s_lshl_b64 s[20:21], s[0:1], 8
	v_perm_b32 v9, v11, v8, s3
	v_perm_b32 v8, v7, v6, s3
	s_waitcnt vmcnt(2)
	v_lshlrev_b32_e32 v34, 2, v51
	v_lshl_or_b32 v2, v54, 5, v2
	s_add_u32 s0, s6, s20
	ds_write2st64_b64 v2, v[8:9], v[4:5] offset0:72 offset1:76
	v_xor_b32_e32 v2, v54, v34
	v_lshlrev_b32_e32 v3, 8, v51
	s_addc_u32 s1, s7, s21
	v_lshl_or_b32 v2, v2, 1, v3
	s_mul_hi_i32 s3, s12, s13
	s_mul_i32 s12, s12, s13
	ds_write_b64 v2, v[8:9] offset:32768
	v_xor_b32_e32 v2, v55, v34
	s_add_u32 s6, s12, s45
	v_lshl_or_b32 v2, v2, 1, v3
	s_addc_u32 s7, s3, s47
	v_lshlrev_b32_e32 v3, 1, v51
	ds_write_b64 v2, v[4:5] offset:32768
	v_lshrrev_b32_e32 v2, 4, v0
	s_ashr_i32 s3, s2, 31
	s_lshl_b64 s[6:7], s[6:7], 15
	v_or_b32_e32 v4, 1, v3
	s_add_u32 s6, s18, s6
	v_xor_b32_e32 v3, v2, v3
	v_xor_b32_e32 v4, v4, v2
	v_lshlrev_b32_e32 v6, 8, v2
	s_addc_u32 s7, s19, s7
	s_lshl_b64 s[2:3], s[2:3], 8
	v_lshl_or_b32 v2, v3, 3, v6
	v_lshl_or_b32 v4, v4, 3, v6
	s_waitcnt lgkmcnt(0)
	s_barrier
	s_add_u32 s2, s6, s2
	ds_read_b64 v[2:3], v2 offset:32768
	ds_read_b64 v[4:5], v4 offset:32768
	s_addc_u32 s3, s7, s3
	v_mov_b32_e32 v7, 0
	s_cmp_lg_u32 s27, 64
	v_lshl_add_u64 v[8:9], s[2:3], 0, v[6:7]
	v_lshlrev_b32_e32 v6, 4, v51
	s_cselect_b64 s[6:7], -1, 0
	v_lshl_or_b32 v35, v49, 3, v53
	s_mov_b32 s16, 0
	v_lshl_add_u64 v[6:7], v[8:9], 0, v[6:7]
	v_or_b32_e32 v19, 32, v35
	v_and_b32_e32 v18, 56, v52
	s_and_b64 vcc, exec, s[6:7]
	s_waitcnt lgkmcnt(0)
	global_store_dwordx4 v[6:7], v[2:5], off
	s_cbranch_vccz .LBB756_15
; %bb.10:
	s_mov_b32 s17, s16
	s_mov_b32 s18, s16
	;; [unrolled: 1-line block ×3, first 2 shown]
	v_mov_b64_e32 v[6:7], s[16:17]
	v_mov_b64_e32 v[8:9], s[18:19]
	v_mov_b64_e32 v[2:3], v[6:7]
	v_cmp_gt_i32_e32 vcc, s27, v35
	v_mov_b64_e32 v[4:5], v[8:9]
	s_and_saveexec_b64 s[2:3], vcc
	s_cbranch_execz .LBB756_12
; %bb.11:
	v_lshlrev_b32_e32 v2, 8, v35
	v_mov_b32_e32 v3, 0
	v_lshl_add_u64 v[4:5], s[0:1], 0, v[2:3]
	v_lshlrev_b32_e32 v2, 1, v18
	v_lshl_add_u64 v[10:11], v[4:5], 0, v[2:3]
	global_load_dwordx4 v[6:9], v[10:11], off
	global_load_dwordx4 v[2:5], v[10:11], off offset:128
.LBB756_12:
	s_or_b64 exec, exec, s[2:3]
	s_mov_b32 s17, s16
	s_mov_b32 s18, s16
	;; [unrolled: 1-line block ×3, first 2 shown]
	v_mov_b64_e32 v[14:15], s[16:17]
	v_mov_b64_e32 v[16:17], s[18:19]
	;; [unrolled: 1-line block ×3, first 2 shown]
	v_cmp_gt_i32_e32 vcc, s27, v19
	v_lshlrev_b32_e32 v20, 7, v19
	v_mov_b64_e32 v[12:13], v[16:17]
	s_and_saveexec_b64 s[2:3], vcc
	s_cbranch_execz .LBB756_14
; %bb.13:
	v_lshlrev_b32_e32 v10, 1, v20
	v_mov_b32_e32 v11, 0
	v_lshl_add_u64 v[12:13], s[0:1], 0, v[10:11]
	v_lshlrev_b32_e32 v10, 1, v18
	v_lshl_add_u64 v[22:23], v[12:13], 0, v[10:11]
	global_load_dwordx4 v[14:17], v[22:23], off
	global_load_dwordx4 v[10:13], v[22:23], off offset:128
.LBB756_14:
	s_or_b64 exec, exec, s[2:3]
	v_lshrrev_b32_e32 v21, 3, v18
	v_lshlrev_b32_e32 v22, 3, v35
	v_or_b32_e32 v21, v22, v21
	v_lshlrev_b32_e32 v21, 4, v21
	v_and_b32_e32 v22, 0x78, v22
	v_xor_b32_e32 v21, v21, v22
	s_branch .LBB756_17
.LBB756_15:
                                        ; implicit-def: $vgpr21
                                        ; implicit-def: $vgpr20
                                        ; implicit-def: $vgpr6_vgpr7_vgpr8_vgpr9
                                        ; implicit-def: $vgpr2_vgpr3_vgpr4_vgpr5
                                        ; implicit-def: $vgpr14_vgpr15_vgpr16_vgpr17
                                        ; implicit-def: $vgpr10_vgpr11_vgpr12_vgpr13
	s_cbranch_execz .LBB756_17
; %bb.16:
	s_waitcnt vmcnt(0)
	v_lshlrev_b32_e32 v2, 1, v18
	v_lshl_or_b32 v20, v35, 8, v2
	s_and_b32 s1, s1, 0xffff
	s_mov_b32 s3, 0x20000
	s_movk_i32 s2, 0x4000
	v_lshl_or_b32 v21, v19, 8, v2
	s_movk_i32 s12, 0x80
	buffer_load_dwordx4 v[6:9], v20, s[0:3], 0 offen
	buffer_load_dwordx4 v[2:5], v20, s[0:3], s12 offen
	;; [unrolled: 1-line block ×4, first 2 shown]
	v_lshrrev_b32_e32 v20, 3, v18
	v_lshlrev_b32_e32 v21, 3, v35
	v_or_b32_e32 v20, v21, v20
	v_lshlrev_b32_e32 v20, 4, v20
	v_and_b32_e32 v21, 0x78, v21
	v_xor_b32_e32 v21, v20, v21
	v_lshlrev_b32_e32 v20, 7, v19
.LBB756_17:
	s_lshl_b64 s[0:1], s[24:25], 8
	s_add_u32 s4, s4, s0
	s_movk_i32 s0, 0x1000
	v_and_or_b32 v19, v20, s0, v21
	s_waitcnt vmcnt(1)
	ds_write_b64 v21, v[6:7] offset:16384
	v_xor_b32_e32 v6, 8, v21
	ds_write_b64 v6, v[8:9] offset:16384
	s_waitcnt vmcnt(0)
	ds_write_b64 v21, v[2:3] offset:24576
	ds_write_b64 v6, v[4:5] offset:24576
	;; [unrolled: 1-line block ×3, first 2 shown]
	v_xor_b32_e32 v2, 8, v19
	ds_write_b64 v2, v[16:17] offset:16384
	ds_write_b64 v19, v[10:11] offset:24576
	;; [unrolled: 1-line block ×3, first 2 shown]
	v_or_b32_e32 v2, v1, v51
	v_lshlrev_b32_e32 v2, 3, v2
	v_lshrrev_b32_e32 v4, 5, v48
	s_movk_i32 s12, 0xf8
	v_and_or_b32 v4, v2, s12, v4
	v_lshlrev_b32_e32 v3, 11, v49
	v_lshlrev_b32_e32 v12, 4, v4
	v_and_b32_e32 v13, 0x78, v2
	v_and_b32_e32 v14, 0x1000, v3
	v_lshlrev_b32_e32 v3, 2, v0
	v_xor_b32_e32 v2, v12, v13
	v_lshrrev_b32_e32 v4, 1, v48
	v_and_b32_e32 v3, 60, v3
	v_or_b32_e32 v2, v2, v14
	v_and_b32_e32 v15, 8, v4
	v_xor_b32_e32 v26, v2, v15
	v_lshl_or_b32 v2, v50, 6, v3
	v_lshlrev_b32_e32 v19, 1, v2
	v_or_b32_e32 v2, 32, v12
	v_xor_b32_e32 v2, v2, v13
	s_waitcnt lgkmcnt(0)
	s_barrier
	ds_read_b64 v[10:11], v26 offset:16384
	v_or_b32_e32 v2, v2, v14
	v_xor_b32_e32 v27, v2, v15
	v_or_b32_e32 v2, 64, v12
	v_xor_b32_e32 v2, v2, v13
	v_or_b32_e32 v2, v2, v14
	v_or_b32_e32 v12, 0x60, v12
	v_xor_b32_e32 v28, v2, v15
	ds_read2st64_b64 v[2:5], v19 offset0:72 offset1:73
	ds_read2st64_b64 v[6:9], v19 offset0:74 offset1:75
	v_xor_b32_e32 v16, v12, v13
	ds_read_b64 v[12:13], v27 offset:16384
	s_addc_u32 s5, s5, s1
	s_add_i32 s1, s41, s33
	s_waitcnt lgkmcnt(2)
	v_mfma_f32_16x16x16_bf16 a[0:3], v[10:11], v[2:3], 0
	s_add_i32 s0, s31, -1
	s_add_i32 s37, s1, s42
	s_add_i32 s1, s43, s40
	;; [unrolled: 1-line block ×3, first 2 shown]
	s_ashr_i32 s1, s0, 31
	s_mul_i32 s2, s0, s29
	s_mul_hi_u32 s3, s0, s28
	s_add_i32 s2, s3, s2
	s_mul_i32 s1, s1, s28
	v_or_b32_e32 v14, v16, v14
	s_add_i32 s1, s2, s1
	s_lshl_b64 s[2:3], s[36:37], 2
	v_xor_b32_e32 v36, v14, v15
	ds_read_b64 v[14:15], v28 offset:16384
	ds_read_b64 v[16:17], v36 offset:16384
	s_waitcnt lgkmcnt(2)
	v_mfma_f32_16x16x16_bf16 a[0:3], v[12:13], v[4:5], a[0:3]
	s_add_u32 s10, s10, s2
	s_addc_u32 s11, s11, s3
	s_lshl_b64 s[2:3], s[34:35], 2
	s_mul_i32 s0, s0, s28
	s_add_u32 s10, s10, s2
	s_addc_u32 s11, s11, s3
	s_lshl_b64 s[0:1], s[0:1], 2
	s_waitcnt lgkmcnt(1)
	v_mfma_f32_16x16x16_bf16 a[0:3], v[14:15], v[6:7], a[0:3]
	s_add_u32 s0, s10, s0
	s_addc_u32 s1, s11, s1
	s_load_dword s12, s[0:1], 0x0
	s_waitcnt lgkmcnt(0)
	v_mfma_f32_16x16x16_bf16 a[0:3], v[16:17], v[8:9], a[0:3]
	s_and_b64 vcc, exec, s[22:23]
	s_cbranch_vccz .LBB756_28
; %bb.18:
	v_lshlrev_b32_e32 v20, 1, v35
	s_and_b64 vcc, exec, s[6:7]
	s_cbranch_vccz .LBB756_44
; %bb.19:
	v_cmp_gt_i32_e32 vcc, s27, v20
	v_mov_b32_e32 v6, 0
	v_mov_b32_e32 v2, 0
	;; [unrolled: 1-line block ×5, first 2 shown]
	s_and_saveexec_b64 s[0:1], vcc
	s_cbranch_execz .LBB756_21
; %bb.20:
	v_mad_i64_i32 v[2:3], s[2:3], s15, v20, 0
	v_lshl_add_u64 v[2:3], v[2:3], 1, s[4:5]
	v_lshlrev_b32_e32 v4, 1, v18
	v_mov_b32_e32 v5, 0
	v_lshl_add_u64 v[2:3], v[2:3], 0, v[4:5]
	global_load_dwordx4 v[2:5], v[2:3], off
.LBB756_21:
	s_or_b64 exec, exec, s[0:1]
	v_or_b32_e32 v21, 1, v20
	v_cmp_gt_i32_e64 s[0:1], s27, v21
	v_mov_b32_e32 v7, 0
	v_mov_b32_e32 v8, 0
	v_mov_b32_e32 v9, 0
	s_and_saveexec_b64 s[2:3], s[0:1]
	s_cbranch_execz .LBB756_23
; %bb.22:
	v_mad_i64_i32 v[6:7], s[16:17], s15, v21, 0
	v_lshl_add_u64 v[6:7], v[6:7], 1, s[4:5]
	v_lshlrev_b32_e32 v8, 1, v18
	v_mov_b32_e32 v9, 0
	v_lshl_add_u64 v[6:7], v[6:7], 0, v[8:9]
	global_load_dwordx4 v[6:9], v[6:7], off
.LBB756_23:
	s_or_b64 exec, exec, s[2:3]
	v_mov_b32_e32 v17, 0
	v_mov_b32_e32 v10, 0
	;; [unrolled: 1-line block ×5, first 2 shown]
	s_and_saveexec_b64 s[2:3], vcc
	s_cbranch_execz .LBB756_25
; %bb.24:
	v_mad_i64_i32 v[10:11], s[16:17], s15, v20, 0
	v_lshl_add_u64 v[10:11], v[10:11], 1, s[4:5]
	v_lshlrev_b32_e32 v12, 1, v18
	v_mov_b32_e32 v13, 0
	v_lshl_add_u64 v[10:11], v[10:11], 0, v[12:13]
	global_load_dwordx4 v[10:13], v[10:11], off offset:128
.LBB756_25:
	s_or_b64 exec, exec, s[2:3]
	v_mov_b32_e32 v16, 0
	v_mov_b32_e32 v15, 0
	;; [unrolled: 1-line block ×3, first 2 shown]
	s_and_saveexec_b64 s[2:3], s[0:1]
	s_cbranch_execz .LBB756_27
; %bb.26:
	v_mad_i64_i32 v[14:15], s[0:1], s15, v21, 0
	v_lshl_add_u64 v[14:15], v[14:15], 1, s[4:5]
	v_lshlrev_b32_e32 v16, 1, v18
	v_mov_b32_e32 v17, 0
	v_lshl_add_u64 v[14:15], v[14:15], 0, v[16:17]
	global_load_dwordx4 v[14:17], v[14:15], off offset:128
.LBB756_27:
	s_or_b64 exec, exec, s[2:3]
	s_branch .LBB756_46
.LBB756_28:
                                        ; implicit-def: $vgpr5
                                        ; implicit-def: $vgpr9
                                        ; implicit-def: $vgpr13
                                        ; implicit-def: $vgpr17
	v_lshrrev_b32_e32 v37, 2, v48
	s_branch .LBB756_47
.LBB756_29:
                                        ; implicit-def: $vgpr12
                                        ; implicit-def: $vgpr13
                                        ; implicit-def: $sgpr22
	v_lshl_or_b32 v10, v56, 9, v10
.LBB756_30:
	v_or_b32_e32 v12, 0x100, v10
	s_movk_i32 s22, 0x4000
	v_mov_b32_e32 v13, v10
.LBB756_31:
	s_mul_i32 s16, s30, s14
	s_ashr_i32 s54, s49, 31
	s_mul_hi_i32 s3, s30, s14
	s_add_u32 s16, s16, s49
	s_addc_u32 s17, s3, s54
	s_lshl_b64 s[16:17], s[16:17], 8
	s_add_u32 s20, s4, s16
	s_addc_u32 s3, s5, s17
	s_and_b32 s21, s3, 0xffff
	s_movk_i32 s55, 0x80
	buffer_load_dwordx4 v[14:17], v13, s[20:23], 0 offen
	buffer_load_dwordx4 v[18:21], v13, s[20:23], s55 offen
	;; [unrolled: 1-line block ×4, first 2 shown]
	v_and_b32_e32 v12, 6, v0
	v_lshlrev_b32_e32 v30, 2, v51
	v_lshlrev_b32_e32 v31, 3, v51
	v_xor_b32_e32 v34, v56, v12
	v_and_b32_e32 v13, 1, v0
	v_lshl_or_b32 v31, v54, 5, v31
	v_xor_b32_e32 v35, v54, v30
	v_lshlrev_b32_e32 v34, 2, v34
	v_or_b32_e32 v62, 0x9000, v31
	v_or_b32_e32 v63, 0x9800, v31
	v_lshlrev_b32_e32 v31, 1, v35
	v_xor_b32_e32 v35, 0x440, v34
	v_cmp_eq_u32_e32 vcc, 0, v13
	s_add_i32 s3, s41, s33
	s_add_i32 s16, s43, s40
	v_cndmask_b32_e32 v13, v35, v34, vcc
	s_add_i32 s37, s3, s42
	v_lshl_or_b32 v12, v12, 10, v13
	s_add_i32 s35, s16, s44
	s_lshl_b64 s[16:17], s[36:37], 2
	s_mov_b32 s56, 0x1000504
	v_lshlrev_b32_e32 v32, 8, v51
	s_mov_b32 s22, 0x8000
	v_xor_b32_e32 v30, v55, v30
	v_xor_b32_e32 v13, 8, v12
	s_add_u32 s3, s10, s16
	s_mov_b32 s57, 0x3020706
	v_or_b32_e32 v33, v1, v51
	v_lshlrev_b32_e32 v30, 1, v30
	v_or3_b32 v64, v31, v32, s22
	v_xor_b32_e32 v31, 24, v12
	v_xor_b32_e32 v34, 40, v12
	;; [unrolled: 1-line block ×3, first 2 shown]
	v_add_u32_e32 v13, 0x80, v13
	s_addc_u32 s20, s11, s17
	s_lshl_b64 s[16:17], s[34:35], 2
	v_lshlrev_b32_e32 v33, 3, v33
	v_or3_b32 v65, v30, v32, s22
	v_xor_b32_e32 v30, 16, v12
	v_xor_b32_e32 v32, 32, v12
	;; [unrolled: 1-line block ×3, first 2 shown]
	v_add_u32_e32 v31, 0x80, v31
	v_add_u32_e32 v34, 0x80, v34
	;; [unrolled: 1-line block ×3, first 2 shown]
	s_add_u32 s16, s3, s16
	s_movk_i32 s3, 0xf8
	s_addc_u32 s17, s20, s17
	v_ashrrev_i32_e32 v43, 31, v42
	s_lshl_b32 s26, s15, 7
	s_mov_b32 s58, 0
	v_mov_b32_e32 v79, 0x3fb8aa3b
	s_waitcnt vmcnt(1)
	v_perm_b32 v37, v14, v22, s56
	s_waitcnt vmcnt(0)
	v_perm_b32 v38, v18, v26, s56
	v_perm_b32 v14, v14, v22, s57
	;; [unrolled: 1-line block ×15, first 2 shown]
	ds_write2st64_b32 v12, v37, v38 offset1:32
	ds_write2st64_b32 v13, v14, v18 offset1:32
	ds_write2st64_b32 v30, v22, v26 offset0:1 offset1:33
	ds_write2st64_b32 v31, v15, v19 offset0:1 offset1:33
	;; [unrolled: 1-line block ×6, first 2 shown]
	v_lshrrev_b32_e32 v13, 5, v48
	v_and_or_b32 v13, v33, s3, v13
	v_lshlrev_b32_e32 v13, 4, v13
	v_lshlrev_b32_e32 v18, 11, v49
	v_and_b32_e32 v14, 0x78, v33
	v_or_b32_e32 v17, 32, v13
	v_and_b32_e32 v12, 0x1000, v18
	v_xor_b32_e32 v15, v13, v14
	v_lshrrev_b32_e32 v19, 1, v0
	v_xor_b32_e32 v17, v17, v14
	v_or_b32_e32 v15, v15, v12
	v_and_b32_e32 v16, 8, v19
	v_or_b32_e32 v17, v17, v12
	v_xor_b32_e32 v66, v15, v16
	v_and_b32_e32 v15, 0x78, v52
	v_xor_b32_e32 v68, v17, v16
	v_or_b32_e32 v17, 64, v13
	v_or_b32_e32 v13, 0x60, v13
	v_lshl_or_b32 v15, v50, 7, v15
	v_xor_b32_e32 v17, v17, v14
	v_xor_b32_e32 v13, v13, v14
	v_or_b32_e32 v67, 0x9000, v15
	v_or_b32_e32 v17, v17, v12
	;; [unrolled: 1-line block ×4, first 2 shown]
	v_lshrrev_b32_e32 v14, 4, v0
	v_lshlrev_b32_e32 v15, 1, v51
	v_xor_b32_e32 v69, v17, v16
	v_xor_b32_e32 v70, v12, v16
	s_ashr_i32 s3, s2, 31
	v_or_b32_e32 v16, 1, v15
	v_xor_b32_e32 v15, v14, v15
	s_lshl_b64 s[20:21], s[2:3], 8
	v_xor_b32_e32 v16, v16, v14
	v_lshlrev_b32_e32 v15, 3, v15
	v_lshlrev_b32_e32 v14, 8, v14
	v_lshl_add_u64 v[12:13], v[42:43], 1, s[8:9]
	s_add_u32 s20, s18, s20
	v_or3_b32 v43, v15, v14, s22
	v_lshlrev_b32_e32 v15, 3, v16
	s_addc_u32 s21, s19, s21
	v_or3_b32 v72, v15, v14, s22
	v_mov_b32_e32 v15, 0
	v_lshl_add_u64 v[16:17], s[20:21], 0, v[14:15]
	v_lshlrev_b32_e32 v14, 4, v51
	s_movk_i32 s3, 0xff
	v_lshlrev_b32_e32 v23, 3, v49
	v_and_b32_e32 v19, 24, v19
	v_lshl_add_u64 v[44:45], v[16:17], 0, v[14:15]
	v_and_b32_e32 v16, 8, v0
	v_cmp_lt_u32_e32 vcc, s3, v0
	v_xor_b32_e32 v24, v23, v19
	v_or_b32_e32 v25, 0x440, v24
	v_cndmask_b32_e64 v22, 0, 1, vcc
	v_cmp_eq_u32_e32 vcc, 0, v16
	v_and_b32_e32 v14, 7, v0
	v_lshlrev_b32_e32 v17, 3, v14
	v_cndmask_b32_e32 v16, v25, v24, vcc
	v_lshlrev_b32_e32 v14, 7, v14
	v_or_b32_e32 v16, v16, v18
	v_xad_u32 v73, v16, v17, v14
	v_or_b32_e32 v16, 32, v19
	v_xor_b32_e32 v16, v23, v16
	v_or_b32_e32 v24, 0x440, v16
	v_cndmask_b32_e32 v16, v24, v16, vcc
	v_or_b32_e32 v16, v16, v18
	v_xad_u32 v74, v16, v17, v14
	v_or_b32_e32 v16, 64, v19
	v_xor_b32_e32 v16, v23, v16
	v_xor_b32_e32 v24, 0x440, v16
	v_cndmask_b32_e32 v16, v24, v16, vcc
	v_or_b32_e32 v16, v16, v18
	v_xad_u32 v75, v16, v17, v14
	v_or_b32_e32 v16, 0x60, v19
	v_xor_b32_e32 v16, v23, v16
	v_xor_b32_e32 v19, 0x440, v16
	v_cndmask_b32_e32 v16, v19, v16, vcc
	v_or_b32_e32 v16, v16, v18
	v_lshlrev_b32_e32 v20, 1, v11
	v_add_lshl_u32 v11, v11, s15, 1
	v_or_b32_e32 v21, 0x100, v10
	v_lshlrev_b32_e32 v22, 13, v22
	v_xad_u32 v76, v16, v17, v14
	v_lshlrev_b32_e32 v14, 8, v54
	v_cndmask_b32_e64 v77, v20, v10, s[0:1]
	v_cndmask_b32_e64 v78, v11, v21, s[0:1]
	v_lshl_add_u64 v[46:47], v[12:13], 0, v[14:15]
	s_mov_b32 s3, 0x7060302
	s_movk_i32 s22, 0x4000
	v_add_u32_e32 v80, v22, v73
	v_add_u32_e32 v81, v22, v74
	;; [unrolled: 1-line block ×4, first 2 shown]
	s_waitcnt lgkmcnt(0)
	s_barrier
.LBB756_32:                             ; =>This Inner Loop Header: Depth=1
	s_add_i32 s35, s58, 1
	s_cmp_lt_i32 s35, s46
	s_mov_b64 s[24:25], 0
	s_cselect_b64 s[38:39], -1, 0
	s_cmp_ge_i32 s35, s46
	s_mov_b64 s[20:21], 0
	s_cbranch_scc1 .LBB756_34
; %bb.33:                               ;   in Loop: Header=BB756_32 Depth=1
	s_add_i32 s0, s53, 64
	s_ashr_i32 s1, s0, 31
	s_add_u32 s0, s52, s0
	s_addc_u32 s1, s51, s1
	s_lshl_b64 s[0:1], s[0:1], 8
	s_add_u32 s20, s6, s0
	s_addc_u32 s21, s7, s1
.LBB756_34:                             ;   in Loop: Header=BB756_32 Depth=1
	v_cndmask_b32_e64 v10, 0, 1, s[38:39]
	v_cmp_ne_u32_e64 s[0:1], 1, v10
	s_andn2_b64 vcc, exec, s[38:39]
	s_cbranch_vccnz .LBB756_36
; %bb.35:                               ;   in Loop: Header=BB756_32 Depth=1
	s_add_i32 s24, s53, 64
	s_mul_hi_i32 s25, s24, s14
	s_mul_i32 s24, s24, s14
	s_add_u32 s24, s24, s49
	s_addc_u32 s25, s25, s54
	s_lshl_b64 s[24:25], s[24:25], 8
	s_add_u32 s24, s4, s24
	s_addc_u32 s25, s5, s25
.LBB756_36:                             ;   in Loop: Header=BB756_32 Depth=1
	v_perm_b32 v11, v9, v8, s3
	v_perm_b32 v10, v7, v6, s3
	;; [unrolled: 1-line block ×4, first 2 shown]
	ds_write_b64 v62, v[10:11]
	ds_write_b64 v63, v[12:13]
	ds_write_b64 v64, v[10:11]
	ds_write_b64 v65, v[12:13]
	s_waitcnt lgkmcnt(0)
	s_barrier
	ds_read_b64 v[18:19], v66 offset:16384
	ds_read_b64 v[20:21], v68 offset:16384
	ds_read2st64_b64 v[10:13], v67 offset1:1
	s_waitcnt lgkmcnt(0)
	v_mfma_f32_16x16x16_bf16 a[0:3], v[18:19], v[10:11], 0
	ds_read2st64_b64 v[14:17], v67 offset0:2 offset1:3
	ds_read_b64 v[22:23], v69 offset:16384
	ds_read_b64 v[10:11], v70 offset:16384
	s_add_i32 s27, s53, 63
	v_mfma_f32_16x16x16_bf16 a[0:3], v[20:21], v[12:13], a[0:3]
	s_ashr_i32 s37, s27, 31
	s_mul_i32 s38, s27, s29
	s_mul_hi_u32 s39, s27, s28
	s_waitcnt lgkmcnt(1)
	v_mfma_f32_16x16x16_bf16 a[0:3], v[22:23], v[14:15], a[0:3]
	s_add_i32 s38, s39, s38
	s_mul_i32 s37, s37, s28
	s_add_i32 s39, s38, s37
	s_mul_i32 s38, s27, s28
	s_waitcnt lgkmcnt(0)
	v_mfma_f32_16x16x16_bf16 a[0:3], v[10:11], v[16:17], a[0:3]
	s_lshl_b64 s[38:39], s[38:39], 2
	s_add_u32 s38, s16, s38
	s_addc_u32 s39, s17, s39
	s_and_b64 vcc, exec, s[0:1]
	v_mov_b32_e32 v86, 0
	v_mov_b32_e32 v85, 0
	;; [unrolled: 1-line block ×19, first 2 shown]
	s_cbranch_vccnz .LBB756_38
; %bb.37:                               ;   in Loop: Header=BB756_32 Depth=1
	s_and_b32 s21, s21, 0xffff
	buffer_load_dwordx4 v[22:25], v58, s[20:23], 0 offen
	buffer_load_dwordx4 v[18:21], v58, s[20:23], s55 offen
	;; [unrolled: 1-line block ×4, first 2 shown]
	v_mov_b32_e32 v85, v60
	v_mov_b32_e32 v84, v61
.LBB756_38:                             ;   in Loop: Header=BB756_32 Depth=1
	s_waitcnt vmcnt(3)
	v_add_u32_e32 v30, s53, v54
	s_waitcnt vmcnt(1)
	v_ashrrev_i32_e32 v26, 31, v30
	v_mul_lo_u32 v28, v26, s28
	v_mul_lo_u32 v29, v30, s29
	v_mad_u64_u32 v[26:27], s[20:21], v30, s28, 0
	v_add3_u32 v27, v27, v29, v28
	v_lshl_add_u64 v[26:27], v[26:27], 2, s[16:17]
	global_load_dword v92, v[26:27], off
	v_add_u32_e32 v26, 1, v30
	v_ashrrev_i32_e32 v27, 31, v26
	v_mul_lo_u32 v28, v27, s28
	v_mul_lo_u32 v29, v26, s29
	v_mad_u64_u32 v[26:27], s[20:21], v26, s28, 0
	v_add3_u32 v27, v27, v29, v28
	v_add_u32_e32 v28, 2, v30
	v_ashrrev_i32_e32 v29, 31, v28
	v_mul_lo_u32 v31, v29, s28
	v_mul_lo_u32 v32, v28, s29
	v_mad_u64_u32 v[28:29], s[20:21], v28, s28, 0
	v_add_u32_e32 v30, 3, v30
	v_add3_u32 v29, v29, v32, v31
	v_ashrrev_i32_e32 v31, 31, v30
	v_mul_lo_u32 v34, v31, s28
	v_mul_lo_u32 v35, v30, s29
	v_mad_u64_u32 v[30:31], s[20:21], v30, s28, 0
	s_ashr_i32 s21, s53, 31
	s_add_u32 s20, s52, s53
	s_addc_u32 s21, s51, s21
	s_lshl_b64 s[20:21], s[20:21], 8
	v_lshl_add_u64 v[26:27], v[26:27], 2, s[16:17]
	v_lshl_add_u64 v[32:33], v[46:47], 0, s[20:21]
	v_add3_u32 v31, v31, v35, v34
	v_lshl_add_u64 v[28:29], v[28:29], 2, s[16:17]
	global_load_ushort v93, v[32:33], off
	global_load_ushort v94, v[32:33], off offset:256
	global_load_ushort v95, v[32:33], off offset:512
	;; [unrolled: 1-line block ×3, first 2 shown]
	v_lshl_add_u64 v[30:31], v[30:31], 2, s[16:17]
	global_load_dword v97, v[26:27], off
	global_load_dword v98, v[28:29], off
	;; [unrolled: 1-line block ×3, first 2 shown]
	s_load_dword s20, s[38:39], 0x0
	ds_read_b64 v[34:35], v66 offset:24576
	ds_read2st64_b64 v[30:33], v71 offset1:1
	ds_read2st64_b64 v[36:39], v71 offset0:2 offset1:3
	ds_read_b64 v[40:41], v68 offset:24576
	ds_read_b64 v[88:89], v69 offset:24576
	;; [unrolled: 1-line block ×3, first 2 shown]
	s_waitcnt lgkmcnt(0)
	v_mfma_f32_16x16x16_bf16 a[0:3], v[34:35], v[30:31], a[0:3]
	v_mov_b32_e32 v87, 0
	v_mov_b32_e32 v26, 0
	v_mov_b32_e32 v27, 0
	v_mfma_f32_16x16x16_bf16 a[0:3], v[40:41], v[32:33], a[0:3]
	v_mov_b32_e32 v28, 0
	v_mov_b32_e32 v29, 0
	v_mov_b32_e32 v30, 0
	;; [unrolled: 4-line block ×4, first 2 shown]
	s_and_b64 vcc, exec, s[0:1]
	s_waitcnt vmcnt(7)
	v_sub_f32_e32 v37, s20, v92
	v_mul_f32_e32 v37, 0x3fb8aa3b, v37
	v_exp_f32_e32 v92, v37
	v_accvgpr_read_b32 v41, a1
	v_accvgpr_read_b32 v39, a3
	;; [unrolled: 1-line block ×4, first 2 shown]
	s_waitcnt vmcnt(6)
	v_lshlrev_b32_e32 v88, 16, v93
	s_waitcnt vmcnt(5)
	v_lshlrev_b32_e32 v89, 16, v94
	;; [unrolled: 2-line block ×3, first 2 shown]
	s_waitcnt vmcnt(2)
	v_sub_f32_e32 v93, s20, v97
	s_waitcnt vmcnt(1)
	v_sub_f32_e32 v94, s20, v98
	;; [unrolled: 2-line block ×3, first 2 shown]
	v_mul_f32_e32 v37, 0x3fb8aa3b, v93
	v_mul_f32_e32 v94, 0x3fb8aa3b, v94
	;; [unrolled: 1-line block ×3, first 2 shown]
	v_exp_f32_e32 v93, v37
	v_exp_f32_e32 v94, v94
	v_exp_f32_e32 v95, v95
	v_lshlrev_b32_e32 v91, 16, v96
	v_pk_add_f32 v[40:41], v[88:89], v[40:41] neg_lo:[0,1] neg_hi:[0,1]
	v_pk_add_f32 v[38:39], v[90:91], v[38:39] neg_lo:[0,1] neg_hi:[0,1]
	v_pk_mul_f32 v[40:41], v[92:93], v[40:41]
	v_pk_mul_f32 v[38:39], v[94:95], v[38:39]
	v_mov_b32_e32 v37, 0
	v_perm_b32 v39, v39, v38, s3
	v_perm_b32 v38, v41, v40, s3
	ds_write_b64 v63, v[38:39]
	v_mov_b32_e32 v38, 0
	v_mov_b32_e32 v39, 0
	;; [unrolled: 1-line block ×4, first 2 shown]
	s_cbranch_vccnz .LBB756_40
; %bb.39:                               ;   in Loop: Header=BB756_32 Depth=1
	s_and_b32 s25, s25, 0xffff
	s_mov_b32 s27, s23
	buffer_load_dwordx4 v[38:41], v77, s[24:27], 0 offen
	buffer_load_dwordx4 v[30:33], v77, s[24:27], s55 offen
	;; [unrolled: 1-line block ×4, first 2 shown]
	v_mov_b32_e32 v86, v57
	v_mov_b32_e32 v87, v56
.LBB756_40:                             ;   in Loop: Header=BB756_32 Depth=1
	s_waitcnt lgkmcnt(0)
	s_barrier
	ds_read_b64 v[96:97], v80
	ds_read2st64_b64 v[88:91], v71 offset1:1
	ds_read2st64_b64 v[92:95], v71 offset0:2 offset1:3
	ds_read_b64 v[98:99], v81
	ds_read_b64 v[100:101], v82
	;; [unrolled: 1-line block ×3, first 2 shown]
	s_waitcnt lgkmcnt(4)
	v_mfma_f32_16x16x16_bf16 a[0:3], v[96:97], v[88:89], 0
	ds_read_b64 v[96:97], v73 offset:8192
	ds_read_b64 v[104:105], v74 offset:8192
	s_add_i32 s21, s50, s58
	s_mul_hi_i32 s25, s21, s13
	s_waitcnt lgkmcnt(1)
	v_mfma_f32_16x16x16_bf16 a[4:7], v[96:97], v[88:89], 0
	s_mul_i32 s21, s21, s13
	s_add_u32 s24, s21, s45
	s_addc_u32 s25, s25, s47
	v_mfma_f32_16x16x16_bf16 a[0:3], v[98:99], v[90:91], a[0:3]
	ds_read_b64 v[96:97], v43
	ds_read_b64 v[98:99], v72
	ds_read_b64 v[88:89], v75 offset:8192
	s_lshl_b64 s[24:25], s[24:25], 15
	v_mfma_f32_16x16x16_bf16 a[0:3], v[100:101], v[92:93], a[0:3]
	ds_read_b64 v[100:101], v76 offset:8192
	s_and_b64 vcc, exec, s[0:1]
	s_waitcnt lgkmcnt(4)
	v_mfma_f32_16x16x16_bf16 a[4:7], v[104:105], v[90:91], a[4:7]
	s_waitcnt lgkmcnt(1)
	v_mfma_f32_16x16x16_bf16 a[4:7], v[88:89], v[92:93], a[4:7]
	v_lshl_add_u64 v[88:89], v[44:45], 0, s[24:25]
	global_store_dwordx4 v[88:89], v[96:99], off
	v_mfma_f32_16x16x16_bf16 a[0:3], v[102:103], v[94:95], a[0:3]
	s_waitcnt lgkmcnt(0)
	v_mfma_f32_16x16x16_bf16 a[4:7], v[100:101], v[94:95], a[4:7]
	s_cbranch_vccnz .LBB756_42
; %bb.41:                               ;   in Loop: Header=BB756_32 Depth=1
	v_lshrrev_b32_e32 v88, 3, v86
	v_and_b32_e32 v88, 6, v88
	v_xor_b32_e32 v87, v88, v87
	v_lshlrev_b32_e32 v87, 2, v87
	v_and_b32_e32 v86, 8, v86
	v_xor_b32_e32 v89, 0x440, v87
	v_cmp_eq_u32_e32 vcc, 0, v86
	s_barrier
	s_nop 0
	v_cndmask_b32_e32 v86, v89, v87, vcc
	v_lshl_or_b32 v86, v88, 10, v86
	s_waitcnt vmcnt(2)
	v_perm_b32 v87, v38, v34, s56
	s_waitcnt vmcnt(1)
	v_perm_b32 v88, v30, v26, s56
	ds_write2st64_b32 v86, v87, v88 offset1:32
	v_xor_b32_e32 v87, 8, v86
	v_perm_b32 v34, v38, v34, s57
	v_perm_b32 v26, v30, v26, s57
	v_add_u32_e32 v30, 0x80, v87
	ds_write2st64_b32 v30, v34, v26 offset1:32
	v_xor_b32_e32 v26, 16, v86
	v_perm_b32 v30, v39, v35, s56
	v_perm_b32 v34, v31, v27, s56
	ds_write2st64_b32 v26, v30, v34 offset0:1 offset1:33
	v_xor_b32_e32 v26, 24, v86
	v_perm_b32 v30, v39, v35, s57
	v_perm_b32 v27, v31, v27, s57
	v_add_u32_e32 v26, 0x80, v26
	ds_write2st64_b32 v26, v30, v27 offset0:1 offset1:33
	v_xor_b32_e32 v26, 32, v86
	v_perm_b32 v27, v40, v36, s56
	v_perm_b32 v30, v32, v28, s56
	ds_write2st64_b32 v26, v27, v30 offset0:2 offset1:34
	v_xor_b32_e32 v26, 40, v86
	v_perm_b32 v27, v40, v36, s57
	v_perm_b32 v28, v32, v28, s57
	v_add_u32_e32 v26, 0x80, v26
	ds_write2st64_b32 v26, v27, v28 offset0:2 offset1:34
	;; [unrolled: 9-line block ×3, first 2 shown]
	ds_write_b64 v85, v[22:23] offset:16384
	v_xor_b32_e32 v22, 8, v85
	ds_write_b64 v22, v[24:25] offset:16384
	ds_write_b64 v85, v[18:19] offset:24576
	;; [unrolled: 1-line block ×4, first 2 shown]
	v_xor_b32_e32 v14, 8, v84
	ds_write_b64 v14, v[16:17] offset:16384
	ds_write_b64 v84, v[10:11] offset:24576
	;; [unrolled: 1-line block ×3, first 2 shown]
.LBB756_42:                             ;   in Loop: Header=BB756_32 Depth=1
	v_mul_f32_e32 v10, s20, v79
	v_exp_f32_e32 v12, v10
	s_nop 1
	v_accvgpr_read_b32 v11, a1
	v_accvgpr_read_b32 v10, a0
	s_add_i32 s53, s53, 64
	v_fma_f32 v7, v7, v12, v11
	v_accvgpr_read_b32 v11, a3
	v_fmac_f32_e32 v11, v9, v12
	v_accvgpr_read_b32 v9, a4
	v_fma_f32 v6, v6, v12, v10
	v_accvgpr_read_b32 v10, a2
	v_fma_f32 v2, v2, v12, v9
	;; [unrolled: 2-line block ×3, first 2 shown]
	v_fma_f32 v3, v3, v12, v9
	v_accvgpr_read_b32 v9, a6
	v_accvgpr_read_b32 v10, a7
	v_fma_f32 v4, v4, v12, v9
	s_cmp_eq_u32 s46, s35
	v_fmac_f32_e32 v10, v5, v12
	s_cbranch_scc1 .LBB756_4
; %bb.43:                               ;   in Loop: Header=BB756_32 Depth=1
	s_mov_b32 s58, s35
	v_mov_b32_e32 v9, v11
	v_mov_b32_e32 v5, v10
	s_branch .LBB756_32
.LBB756_44:
                                        ; implicit-def: $vgpr5
                                        ; implicit-def: $vgpr9
                                        ; implicit-def: $vgpr13
                                        ; implicit-def: $vgpr17
	s_cbranch_execz .LBB756_46
; %bb.45:
	s_waitcnt vmcnt(0)
	v_mad_u64_u32 v[2:3], s[0:1], v20, s15, v[18:19]
	v_lshlrev_b32_e32 v20, 1, v2
	s_lshl_b32 s2, s15, 7
	s_and_b32 s1, s5, 0xffff
	s_mov_b32 s3, 0x20000
	s_mov_b32 s0, s4
	v_add_lshl_u32 v21, v2, s15, 1
	s_movk_i32 s13, 0x80
	buffer_load_dwordx4 v[2:5], v20, s[0:3], 0 offen
	buffer_load_dwordx4 v[10:13], v20, s[0:3], s13 offen
	;; [unrolled: 1-line block ×4, first 2 shown]
.LBB756_46:
	v_lshrrev_b32_e32 v37, 2, v48
	s_cbranch_execnz .LBB756_59
.LBB756_47:
	s_and_b64 vcc, exec, s[6:7]
	s_cbranch_vccz .LBB756_57
; %bb.48:
	s_waitcnt vmcnt(0)
	v_lshlrev_b32_e32 v7, 1, v35
	v_cmp_gt_i32_e32 vcc, s27, v7
	v_mov_b32_e32 v6, 0
	v_lshlrev_b32_e32 v14, 9, v35
	v_mov_b32_e32 v2, 0
	v_mov_b32_e32 v3, 0
	v_mov_b32_e32 v4, 0
	v_mov_b32_e32 v5, 0
	s_and_saveexec_b64 s[0:1], vcc
	s_cbranch_execz .LBB756_50
; %bb.49:
	v_mov_b32_e32 v15, 0
	v_lshl_add_u64 v[2:3], s[4:5], 0, v[14:15]
	v_lshlrev_b32_e32 v4, 1, v18
	v_mov_b32_e32 v5, v15
	v_lshl_add_u64 v[2:3], v[2:3], 0, v[4:5]
	global_load_dwordx4 v[2:5], v[2:3], off
.LBB756_50:
	s_or_b64 exec, exec, s[0:1]
	v_or_b32_e32 v7, 1, v7
	v_cmp_gt_i32_e64 s[0:1], s27, v7
	v_lshlrev_b32_e32 v20, 8, v7
	v_mov_b32_e32 v7, 0
	v_mov_b32_e32 v8, 0
	;; [unrolled: 1-line block ×3, first 2 shown]
	s_and_saveexec_b64 s[2:3], s[0:1]
	s_cbranch_execz .LBB756_52
; %bb.51:
	v_mov_b32_e32 v21, 0
	v_lshl_add_u64 v[6:7], s[4:5], 0, v[20:21]
	v_lshlrev_b32_e32 v8, 1, v18
	v_mov_b32_e32 v9, v21
	v_lshl_add_u64 v[6:7], v[6:7], 0, v[8:9]
	global_load_dwordx4 v[6:9], v[6:7], off
.LBB756_52:
	s_or_b64 exec, exec, s[2:3]
	v_mov_b32_e32 v17, 0
	v_mov_b32_e32 v10, 0
	;; [unrolled: 1-line block ×5, first 2 shown]
	s_and_saveexec_b64 s[2:3], vcc
	s_cbranch_execz .LBB756_54
; %bb.53:
	v_mov_b32_e32 v15, 0
	v_lshl_add_u64 v[10:11], s[4:5], 0, v[14:15]
	v_lshlrev_b32_e32 v14, 1, v18
	v_lshl_add_u64 v[10:11], v[10:11], 0, v[14:15]
	global_load_dwordx4 v[10:13], v[10:11], off offset:128
.LBB756_54:
	s_or_b64 exec, exec, s[2:3]
	v_mov_b32_e32 v16, 0
	v_mov_b32_e32 v15, 0
	v_mov_b32_e32 v14, 0
	s_and_saveexec_b64 s[2:3], s[0:1]
	s_cbranch_execz .LBB756_56
; %bb.55:
	v_mov_b32_e32 v21, 0
	v_lshl_add_u64 v[14:15], s[4:5], 0, v[20:21]
	v_lshlrev_b32_e32 v20, 1, v18
	v_lshl_add_u64 v[14:15], v[14:15], 0, v[20:21]
	global_load_dwordx4 v[14:17], v[14:15], off offset:128
.LBB756_56:
	s_or_b64 exec, exec, s[2:3]
	s_branch .LBB756_59
.LBB756_57:
                                        ; implicit-def: $vgpr5
                                        ; implicit-def: $vgpr9
                                        ; implicit-def: $vgpr13
                                        ; implicit-def: $vgpr17
	s_cbranch_execz .LBB756_59
; %bb.58:
	s_waitcnt vmcnt(0)
	v_lshlrev_b32_e32 v2, 1, v18
	v_lshl_or_b32 v18, v35, 9, v2
	s_and_b32 s5, s5, 0xffff
	s_mov_b32 s7, 0x20000
	s_movk_i32 s6, 0x4000
	s_movk_i32 s0, 0x80
	buffer_load_dwordx4 v[2:5], v18, s[4:7], 0 offen
	buffer_load_dwordx4 v[6:9], v18, s[4:7], 0 offen offset:256
	buffer_load_dwordx4 v[10:13], v18, s[4:7], s0 offen
	buffer_load_dwordx4 v[14:17], v18, s[4:7], s0 offen offset:256
.LBB756_59:
	ds_read2st64_b64 v[22:25], v19 offset0:76 offset1:77
	ds_read2st64_b64 v[18:21], v19 offset0:78 offset1:79
	ds_read_b64 v[30:31], v26 offset:24576
	ds_read_b64 v[32:33], v27 offset:24576
	;; [unrolled: 1-line block ×4, first 2 shown]
	v_and_b32_e32 v36, 6, v0
	v_xor_b32_e32 v35, v35, v36
	v_lshlrev_b32_e32 v35, 2, v35
	v_and_b32_e32 v0, 1, v0
	v_xor_b32_e32 v38, 0x440, v35
	v_cmp_eq_u32_e32 vcc, 0, v0
	s_mov_b32 s0, 0x1000504
	s_mov_b32 s1, 0x3020706
	v_cndmask_b32_e32 v0, v38, v35, vcc
	v_lshl_or_b32 v0, v36, 10, v0
	s_waitcnt vmcnt(0)
	v_perm_b32 v35, v2, v6, s0
	v_perm_b32 v36, v10, v14, s0
	ds_write2st64_b32 v0, v35, v36 offset1:32
	v_xor_b32_e32 v35, 8, v0
	v_perm_b32 v2, v2, v6, s1
	v_perm_b32 v6, v10, v14, s1
	v_add_u32_e32 v10, 0x80, v35
	ds_write2st64_b32 v10, v2, v6 offset1:32
	v_xor_b32_e32 v2, 16, v0
	v_perm_b32 v6, v3, v7, s0
	v_perm_b32 v10, v11, v15, s0
	ds_write2st64_b32 v2, v6, v10 offset0:1 offset1:33
	v_xor_b32_e32 v2, 24, v0
	v_perm_b32 v3, v3, v7, s1
	v_perm_b32 v6, v11, v15, s1
	v_add_u32_e32 v2, 0x80, v2
	ds_write2st64_b32 v2, v3, v6 offset0:1 offset1:33
	v_xor_b32_e32 v2, 32, v0
	v_perm_b32 v3, v4, v8, s0
	v_perm_b32 v6, v12, v16, s0
	ds_write2st64_b32 v2, v3, v6 offset0:2 offset1:34
	v_xor_b32_e32 v2, 40, v0
	v_perm_b32 v3, v4, v8, s1
	v_perm_b32 v4, v12, v16, s1
	v_add_u32_e32 v2, 0x80, v2
	ds_write2st64_b32 v2, v3, v4 offset0:2 offset1:34
	v_xor_b32_e32 v2, 48, v0
	v_perm_b32 v3, v5, v9, s0
	v_perm_b32 v4, v13, v17, s0
	v_xor_b32_e32 v0, 56, v0
	v_and_or_b32 v6, v37, 12, v1
	ds_write2st64_b32 v2, v3, v4 offset0:3 offset1:35
	v_perm_b32 v2, v5, v9, s1
	v_perm_b32 v3, v13, v17, s1
	v_add_u32_e32 v0, 0x80, v0
	v_cmp_gt_i32_e32 vcc, s27, v6
	v_mov_b32_e32 v7, 0
	v_mov_b32_e32 v11, 0
	ds_write2st64_b32 v0, v2, v3 offset0:3 offset1:35
	s_and_saveexec_b64 s[0:1], vcc
	s_cbranch_execz .LBB756_61
; %bb.60:
	v_add_u32_e32 v0, s26, v6
	v_ashrrev_i32_e32 v1, 31, v0
	v_mul_lo_u32 v2, v1, s28
	v_mul_lo_u32 v3, v0, s29
	v_mad_u64_u32 v[0:1], s[2:3], v0, s28, 0
	v_add3_u32 v1, v1, v3, v2
	v_lshl_add_u64 v[0:1], v[0:1], 2, s[10:11]
	global_load_dword v0, v[0:1], off
	s_waitcnt vmcnt(0)
	v_sub_f32_e32 v0, s12, v0
	v_mul_f32_e32 v0, 0x3fb8aa3b, v0
	v_exp_f32_e32 v11, v0
.LBB756_61:
	s_or_b64 exec, exec, s[0:1]
	v_or_b32_e32 v9, 1, v6
	v_cmp_gt_i32_e64 s[0:1], s27, v9
	s_and_saveexec_b64 s[2:3], s[0:1]
	s_cbranch_execz .LBB756_63
; %bb.62:
	v_add_u32_e32 v0, s26, v9
	v_ashrrev_i32_e32 v1, 31, v0
	v_mul_lo_u32 v2, v1, s28
	v_mul_lo_u32 v3, v0, s29
	v_mad_u64_u32 v[0:1], s[4:5], v0, s28, 0
	v_add3_u32 v1, v1, v3, v2
	v_lshl_add_u64 v[0:1], v[0:1], 2, s[10:11]
	global_load_dword v0, v[0:1], off
	s_waitcnt vmcnt(0)
	v_sub_f32_e32 v0, s12, v0
	v_mul_f32_e32 v0, 0x3fb8aa3b, v0
	v_exp_f32_e32 v7, v0
.LBB756_63:
	s_or_b64 exec, exec, s[2:3]
	v_or_b32_e32 v10, 2, v6
	v_cmp_gt_i32_e64 s[2:3], s27, v10
	v_mov_b32_e32 v8, 0
	v_mov_b32_e32 v13, 0
	s_and_saveexec_b64 s[4:5], s[2:3]
	s_cbranch_execz .LBB756_65
; %bb.64:
	v_add_u32_e32 v0, s26, v10
	v_ashrrev_i32_e32 v1, 31, v0
	v_mul_lo_u32 v2, v1, s28
	v_mul_lo_u32 v3, v0, s29
	v_mad_u64_u32 v[0:1], s[6:7], v0, s28, 0
	v_add3_u32 v1, v1, v3, v2
	v_lshl_add_u64 v[0:1], v[0:1], 2, s[10:11]
	global_load_dword v0, v[0:1], off
	s_waitcnt vmcnt(0)
	v_sub_f32_e32 v0, s12, v0
	v_mul_f32_e32 v0, 0x3fb8aa3b, v0
	v_exp_f32_e32 v13, v0
.LBB756_65:
	s_or_b64 exec, exec, s[4:5]
	v_or_b32_e32 v12, 3, v6
	v_cmp_gt_i32_e64 s[4:5], s27, v12
	s_and_saveexec_b64 s[6:7], s[4:5]
	s_cbranch_execz .LBB756_67
; %bb.66:
	v_add_u32_e32 v0, s26, v12
	v_ashrrev_i32_e32 v1, 31, v0
	v_mul_lo_u32 v2, v1, s28
	v_mul_lo_u32 v3, v0, s29
	v_mad_u64_u32 v[0:1], s[14:15], v0, s28, 0
	v_add3_u32 v1, v1, v3, v2
	v_lshl_add_u64 v[0:1], v[0:1], 2, s[10:11]
	global_load_dword v0, v[0:1], off
	s_waitcnt vmcnt(0)
	v_sub_f32_e32 v0, s12, v0
	v_mul_f32_e32 v0, 0x3fb8aa3b, v0
	v_exp_f32_e32 v8, v0
.LBB756_67:
	s_or_b64 exec, exec, s[6:7]
	s_waitcnt lgkmcnt(11)
	v_mfma_f32_16x16x16_bf16 a[0:3], v[30:31], v[22:23], a[0:3]
	s_add_u32 s6, s8, s20
	v_ashrrev_i32_e32 v43, 31, v42
	s_addc_u32 s7, s9, s21
	s_waitcnt lgkmcnt(10)
	v_mfma_f32_16x16x16_bf16 a[0:3], v[32:33], v[24:25], a[0:3]
	v_mov_b32_e32 v14, 0
	v_lshl_add_u64 v[4:5], v[42:43], 1, s[6:7]
	v_mov_b32_e32 v15, 0
	s_waitcnt lgkmcnt(9)
	v_mfma_f32_16x16x16_bf16 a[0:3], v[28:29], v[18:19], a[0:3]
	s_waitcnt lgkmcnt(8)
	v_mfma_f32_16x16x16_bf16 a[0:3], v[26:27], v[20:21], a[0:3]
	s_nop 6
	v_accvgpr_read_b32 v0, a0
	v_accvgpr_read_b32 v1, a1
	;; [unrolled: 1-line block ×4, first 2 shown]
	s_and_saveexec_b64 s[6:7], vcc
	s_cbranch_execz .LBB756_69
; %bb.68:
	v_lshlrev_b32_e32 v16, 8, v6
	v_mov_b32_e32 v17, 0
	v_lshl_add_u64 v[16:17], v[4:5], 0, v[16:17]
	global_load_ushort v15, v[16:17], off
	s_waitcnt vmcnt(0)
	v_lshlrev_b32_e32 v15, 16, v15
	v_sub_f32_e32 v0, v15, v0
	v_mul_f32_e32 v0, v11, v0
	v_lshrrev_b32_e32 v15, 16, v0
.LBB756_69:
	s_or_b64 exec, exec, s[6:7]
	s_and_saveexec_b64 s[6:7], s[0:1]
	s_cbranch_execz .LBB756_71
; %bb.70:
	v_lshlrev_b32_e32 v16, 8, v9
	v_mov_b32_e32 v17, 0
	v_lshl_add_u64 v[16:17], v[4:5], 0, v[16:17]
	global_load_ushort v0, v[16:17], off
	s_waitcnt vmcnt(0)
	v_lshlrev_b32_e32 v0, 16, v0
	v_sub_f32_e32 v0, v0, v1
	v_mul_f32_e32 v0, v7, v0
	v_lshrrev_b32_e32 v14, 16, v0
.LBB756_71:
	s_or_b64 exec, exec, s[6:7]
	v_mov_b32_e32 v0, 0
	v_mov_b32_e32 v1, 0
	s_and_saveexec_b64 s[0:1], s[2:3]
	s_cbranch_execz .LBB756_73
; %bb.72:
	v_lshlrev_b32_e32 v10, 8, v10
	v_mov_b32_e32 v11, 0
	v_lshl_add_u64 v[10:11], v[4:5], 0, v[10:11]
	global_load_ushort v1, v[10:11], off
	s_waitcnt vmcnt(0)
	v_lshlrev_b32_e32 v1, 16, v1
	v_sub_f32_e32 v1, v1, v2
	v_mul_f32_e32 v1, v13, v1
	v_lshrrev_b32_e32 v1, 16, v1
.LBB756_73:
	s_or_b64 exec, exec, s[0:1]
	s_and_saveexec_b64 s[0:1], s[4:5]
	s_cbranch_execz .LBB756_75
; %bb.74:
	v_lshlrev_b32_e32 v10, 8, v12
	v_mov_b32_e32 v11, 0
	v_lshl_add_u64 v[4:5], v[4:5], 0, v[10:11]
	global_load_ushort v0, v[4:5], off
	s_waitcnt vmcnt(0)
	v_lshlrev_b32_e32 v0, 16, v0
	v_sub_f32_e32 v0, v0, v3
	v_mul_f32_e32 v0, v8, v0
	v_lshrrev_b32_e32 v0, 16, v0
.LBB756_75:
	s_or_b64 exec, exec, s[0:1]
	s_mov_b32 s0, 0x5040100
	v_lshlrev_b32_e32 v2, 1, v34
	v_perm_b32 v1, v0, v1, s0
	v_perm_b32 v0, v14, v15, s0
	v_lshl_or_b32 v2, v6, 5, v2
	ds_write_b64 v2, v[0:1] offset:38912
	s_waitcnt lgkmcnt(0)
	s_barrier
.LBB756_76:
	s_endpgm
	.section	.rodata,"a",@progbits
	.p2align	6, 0x0
	.amdhsa_kernel _ZN12_GLOBAL__N_139chunk_gated_delta_rule_fwd_h_hip_kernelILi16ELb1ELb0ELb0ELb1ELb0ELb0ELb0ELb0EEEvPK12hip_bfloat16S3_S3_PKfS5_PKvPS1_S8_PvPKiSB_iiiiilll
		.amdhsa_group_segment_fixed_size 40960
		.amdhsa_private_segment_fixed_size 0
		.amdhsa_kernarg_size 136
		.amdhsa_user_sgpr_count 2
		.amdhsa_user_sgpr_dispatch_ptr 0
		.amdhsa_user_sgpr_queue_ptr 0
		.amdhsa_user_sgpr_kernarg_segment_ptr 1
		.amdhsa_user_sgpr_dispatch_id 0
		.amdhsa_user_sgpr_kernarg_preload_length 0
		.amdhsa_user_sgpr_kernarg_preload_offset 0
		.amdhsa_user_sgpr_private_segment_size 0
		.amdhsa_uses_dynamic_stack 0
		.amdhsa_enable_private_segment 0
		.amdhsa_system_sgpr_workgroup_id_x 1
		.amdhsa_system_sgpr_workgroup_id_y 1
		.amdhsa_system_sgpr_workgroup_id_z 0
		.amdhsa_system_sgpr_workgroup_info 0
		.amdhsa_system_vgpr_workitem_id 0
		.amdhsa_next_free_vgpr 116
		.amdhsa_next_free_sgpr 59
		.amdhsa_accum_offset 108
		.amdhsa_reserve_vcc 1
		.amdhsa_float_round_mode_32 0
		.amdhsa_float_round_mode_16_64 0
		.amdhsa_float_denorm_mode_32 3
		.amdhsa_float_denorm_mode_16_64 3
		.amdhsa_dx10_clamp 1
		.amdhsa_ieee_mode 1
		.amdhsa_fp16_overflow 0
		.amdhsa_tg_split 0
		.amdhsa_exception_fp_ieee_invalid_op 0
		.amdhsa_exception_fp_denorm_src 0
		.amdhsa_exception_fp_ieee_div_zero 0
		.amdhsa_exception_fp_ieee_overflow 0
		.amdhsa_exception_fp_ieee_underflow 0
		.amdhsa_exception_fp_ieee_inexact 0
		.amdhsa_exception_int_div_zero 0
	.end_amdhsa_kernel
	.section	.text._ZN12_GLOBAL__N_139chunk_gated_delta_rule_fwd_h_hip_kernelILi16ELb1ELb0ELb0ELb1ELb0ELb0ELb0ELb0EEEvPK12hip_bfloat16S3_S3_PKfS5_PKvPS1_S8_PvPKiSB_iiiiilll,"axG",@progbits,_ZN12_GLOBAL__N_139chunk_gated_delta_rule_fwd_h_hip_kernelILi16ELb1ELb0ELb0ELb1ELb0ELb0ELb0ELb0EEEvPK12hip_bfloat16S3_S3_PKfS5_PKvPS1_S8_PvPKiSB_iiiiilll,comdat
.Lfunc_end756:
	.size	_ZN12_GLOBAL__N_139chunk_gated_delta_rule_fwd_h_hip_kernelILi16ELb1ELb0ELb0ELb1ELb0ELb0ELb0ELb0EEEvPK12hip_bfloat16S3_S3_PKfS5_PKvPS1_S8_PvPKiSB_iiiiilll, .Lfunc_end756-_ZN12_GLOBAL__N_139chunk_gated_delta_rule_fwd_h_hip_kernelILi16ELb1ELb0ELb0ELb1ELb0ELb0ELb0ELb0EEEvPK12hip_bfloat16S3_S3_PKfS5_PKvPS1_S8_PvPKiSB_iiiiilll
                                        ; -- End function
	.section	.AMDGPU.csdata,"",@progbits
; Kernel info:
; codeLenInByte = 7072
; NumSgprs: 65
; NumVgprs: 106
; NumAgprs: 8
; TotalNumVgprs: 116
; ScratchSize: 0
; MemoryBound: 0
; FloatMode: 240
; IeeeMode: 1
; LDSByteSize: 40960 bytes/workgroup (compile time only)
; SGPRBlocks: 8
; VGPRBlocks: 14
; NumSGPRsForWavesPerEU: 65
; NumVGPRsForWavesPerEU: 116
; AccumOffset: 108
; Occupancy: 1
; WaveLimiterHint : 1
; COMPUTE_PGM_RSRC2:SCRATCH_EN: 0
; COMPUTE_PGM_RSRC2:USER_SGPR: 2
; COMPUTE_PGM_RSRC2:TRAP_HANDLER: 0
; COMPUTE_PGM_RSRC2:TGID_X_EN: 1
; COMPUTE_PGM_RSRC2:TGID_Y_EN: 1
; COMPUTE_PGM_RSRC2:TGID_Z_EN: 0
; COMPUTE_PGM_RSRC2:TIDIG_COMP_CNT: 0
; COMPUTE_PGM_RSRC3_GFX90A:ACCUM_OFFSET: 26
; COMPUTE_PGM_RSRC3_GFX90A:TG_SPLIT: 0
	.section	.text._ZN12_GLOBAL__N_139chunk_gated_delta_rule_fwd_h_hip_kernelILi16ELb0ELb1ELb1ELb1ELb0ELb0ELb0ELb0EEEvPK12hip_bfloat16S3_S3_PKfS5_PKvPS1_S8_PvPKiSB_iiiiilll,"axG",@progbits,_ZN12_GLOBAL__N_139chunk_gated_delta_rule_fwd_h_hip_kernelILi16ELb0ELb1ELb1ELb1ELb0ELb0ELb0ELb0EEEvPK12hip_bfloat16S3_S3_PKfS5_PKvPS1_S8_PvPKiSB_iiiiilll,comdat
	.globl	_ZN12_GLOBAL__N_139chunk_gated_delta_rule_fwd_h_hip_kernelILi16ELb0ELb1ELb1ELb1ELb0ELb0ELb0ELb0EEEvPK12hip_bfloat16S3_S3_PKfS5_PKvPS1_S8_PvPKiSB_iiiiilll ; -- Begin function _ZN12_GLOBAL__N_139chunk_gated_delta_rule_fwd_h_hip_kernelILi16ELb0ELb1ELb1ELb1ELb0ELb0ELb0ELb0EEEvPK12hip_bfloat16S3_S3_PKfS5_PKvPS1_S8_PvPKiSB_iiiiilll
	.p2align	8
	.type	_ZN12_GLOBAL__N_139chunk_gated_delta_rule_fwd_h_hip_kernelILi16ELb0ELb1ELb1ELb1ELb0ELb0ELb0ELb0EEEvPK12hip_bfloat16S3_S3_PKfS5_PKvPS1_S8_PvPKiSB_iiiiilll,@function
_ZN12_GLOBAL__N_139chunk_gated_delta_rule_fwd_h_hip_kernelILi16ELb0ELb1ELb1ELb1ELb0ELb0ELb0ELb0EEEvPK12hip_bfloat16S3_S3_PKfS5_PKvPS1_S8_PvPKiSB_iiiiilll: ; @_ZN12_GLOBAL__N_139chunk_gated_delta_rule_fwd_h_hip_kernelILi16ELb0ELb1ELb1ELb1ELb0ELb0ELb0ELb0EEEvPK12hip_bfloat16S3_S3_PKfS5_PKvPS1_S8_PvPKiSB_iiiiilll
; %bb.0:
	s_load_dwordx4 s[20:23], s[0:1], 0x5c
	s_abs_i32 s27, s3
	s_ashr_i32 s26, s3, 31
	s_load_dwordx2 s[24:25], s[0:1], 0x50
	s_load_dwordx8 s[4:11], s[0:1], 0x30
	s_load_dwordx8 s[12:19], s[0:1], 0x0
	s_waitcnt lgkmcnt(0)
	s_abs_i32 s30, s21
	v_cvt_f32_u32_e32 v1, s30
	s_sub_i32 s28, 0, s30
	s_ashr_i32 s33, s21, 31
	s_xor_b32 s26, s26, s33
	v_rcp_iflag_f32_e32 v1, v1
	v_lshrrev_b32_e32 v48, 6, v0
	v_bfe_u32 v51, v0, 4, 2
	v_lshlrev_b32_e32 v49, 4, v48
	v_mul_f32_e32 v1, 0x4f7ffffe, v1
	v_cvt_u32_f32_e32 v1, v1
	v_lshlrev_b32_e32 v10, 2, v51
	v_and_b32_e32 v50, 63, v0
	v_mov_b32_e32 v9, 0
	v_readfirstlane_b32 s29, v1
	s_mul_i32 s28, s28, s29
	s_mul_hi_u32 s28, s29, s28
	s_add_i32 s29, s29, s28
	s_mul_hi_u32 s28, s27, s29
	s_mul_i32 s29, s28, s30
	s_sub_i32 s27, s27, s29
	s_add_i32 s31, s28, 1
	s_sub_i32 s29, s27, s30
	s_cmp_ge_u32 s27, s30
	s_cselect_b32 s28, s31, s28
	s_cselect_b32 s27, s29, s27
	s_add_i32 s29, s28, 1
	s_cmp_ge_u32 s27, s30
	s_cselect_b32 s27, s29, s28
	s_xor_b32 s27, s27, s26
	s_sub_i32 s34, s27, s26
	s_mul_i32 s26, s34, s21
	s_ashr_i32 s35, s34, 31
	s_sub_i32 s46, s3, s26
	s_lshl_b64 s[26:27], s[34:35], 2
	s_add_u32 s10, s10, s26
	s_addc_u32 s11, s11, s27
	s_add_u32 s28, s24, s26
	s_addc_u32 s29, s25, s27
	s_abs_i32 s3, s22
	v_cvt_f32_u32_e32 v1, s3
	s_load_dwordx2 s[40:41], s[10:11], 0x0
	s_sub_i32 s11, 0, s3
	s_mov_b32 s47, s21
	v_rcp_iflag_f32_e32 v1, v1
	v_and_b32_e32 v52, 15, v0
	s_waitcnt lgkmcnt(0)
	s_sub_i32 s51, s41, s40
	s_ashr_i32 s10, s51, 31
	v_mul_f32_e32 v1, 0x4f7ffffe, v1
	v_cvt_u32_f32_e32 v1, v1
	s_lshr_b32 s10, s10, 26
	s_add_i32 s10, s51, s10
	s_ashr_i32 s52, s10, 6
	v_readfirstlane_b32 s24, v1
	s_mul_i32 s11, s11, s24
	s_mul_hi_u32 s11, s24, s11
	s_add_i32 s24, s24, s11
	s_mul_hi_u32 s11, s30, s24
	s_mul_i32 s24, s11, s3
	s_ashr_i32 s10, s22, 31
	s_sub_i32 s24, s30, s24
	s_xor_b32 s10, s33, s10
	s_add_i32 s25, s11, 1
	s_sub_i32 s26, s24, s3
	s_cmp_ge_u32 s24, s3
	s_cselect_b32 s11, s25, s11
	s_cselect_b32 s24, s26, s24
	s_add_i32 s25, s11, 1
	s_cmp_ge_u32 s24, s3
	s_cselect_b32 s3, s25, s11
	s_xor_b32 s3, s3, s10
	s_sub_i32 s3, s3, s10
	s_abs_i32 s30, s3
	v_cvt_f32_u32_e32 v1, s30
	s_load_dwordx2 s[10:11], s[0:1], 0x80
	s_load_dwordx4 s[24:27], s[0:1], 0x70
	s_load_dword s53, s[28:29], 0x0
	s_xor_b32 s0, s46, s3
	v_rcp_iflag_f32_e32 v1, v1
	s_sub_i32 s3, 0, s30
	s_abs_i32 s1, s46
	s_ashr_i32 s0, s0, 31
	v_mul_f32_e32 v1, 0x4f7ffffe, v1
	v_cvt_u32_f32_e32 v1, v1
	s_mul_hi_i32 s54, s46, s20
	s_mul_i32 s55, s46, s20
	v_lshrrev_b32_e32 v54, 3, v50
	v_readfirstlane_b32 s28, v1
	s_mul_i32 s3, s3, s28
	s_mul_hi_u32 s3, s28, s3
	s_add_i32 s28, s28, s3
	s_mul_hi_u32 s3, s1, s28
	s_mul_i32 s28, s3, s30
	s_sub_i32 s1, s1, s28
	s_add_i32 s28, s3, 1
	s_sub_i32 s29, s1, s30
	s_cmp_ge_u32 s1, s30
	s_cselect_b32 s3, s28, s3
	s_cselect_b32 s1, s29, s1
	s_add_i32 s28, s3, 1
	s_cmp_ge_u32 s1, s30
	s_cselect_b32 s1, s28, s3
	s_xor_b32 s1, s1, s0
	s_sub_i32 s56, s1, s0
	v_or_b32_e32 v1, v10, v49
	s_lshl_b32 s2, s2, 4
	v_or_b32_e32 v55, 64, v1
	s_cmp_lt_i32 s51, 64
	v_lshlrev_b32_e32 v53, 3, v0
	s_waitcnt lgkmcnt(0)
	s_mul_i32 s48, s34, s25
	s_mul_hi_u32 s49, s34, s24
	s_mul_i32 s50, s35, s24
	s_mul_i32 s42, s34, s24
	v_mov_b32_e32 v8, v9
	v_mov_b32_e32 v7, v9
	;; [unrolled: 1-line block ×7, first 2 shown]
	s_cbranch_scc1 .LBB757_18
; %bb.1:
	s_ashr_i32 s58, s46, 31
	s_ashr_i32 s1, s40, 31
	s_add_u32 s0, s55, s40
	s_addc_u32 s1, s54, s1
	s_lshl_b64 s[0:1], s[0:1], 8
	v_and_b32_e32 v57, 56, v53
	s_add_u32 s28, s14, s0
	v_lshl_or_b32 v56, v48, 3, v54
	v_lshlrev_b32_e32 v3, 1, v57
	s_addc_u32 s0, s15, s1
	v_lshl_or_b32 v58, v56, 8, v3
	s_and_b32 s29, s0, 0xffff
	s_mov_b32 s31, 0x20000
	s_movk_i32 s30, 0x4000
	s_movk_i32 s0, 0x80
	v_or_b32_e32 v59, 0x2000, v58
	buffer_load_dwordx4 v[4:7], v58, s[28:31], 0 offen
	buffer_load_dwordx4 v[12:15], v58, s[28:31], s0 offen
	;; [unrolled: 1-line block ×4, first 2 shown]
	v_lshlrev_b32_e32 v2, 3, v56
	v_and_or_b32 v9, v0, 7, v2
	v_and_b32_e32 v2, 0x78, v2
	v_lshlrev_b32_e32 v9, 4, v9
	v_xor_b32_e32 v60, v9, v2
	v_mul_lo_u32 v8, v56, s23
	v_or_b32_e32 v61, 0x1000, v60
	v_xor_b32_e32 v2, 8, v60
	s_cmpk_eq_i32 s23, 0x80
	s_mov_b32 s57, s40
	v_xor_b32_e32 v9, 8, v61
	s_cselect_b64 s[0:1], -1, 0
	s_cmpk_lg_i32 s23, 0x80
	s_waitcnt vmcnt(3)
	ds_write_b64 v60, v[4:5] offset:16384
	ds_write_b64 v2, v[6:7] offset:16384
	s_waitcnt vmcnt(2)
	ds_write_b64 v60, v[12:13] offset:24576
	ds_write_b64 v2, v[14:15] offset:24576
	;; [unrolled: 3-line block ×4, first 2 shown]
	v_lshl_add_u32 v2, v8, 1, v57
	s_cbranch_scc0 .LBB757_3
; %bb.2:
	v_lshlrev_b32_e32 v6, 1, v2
	v_add_lshl_u32 v5, v2, s23, 1
	s_lshl_b32 s30, s23, 7
	v_lshl_or_b32 v4, v56, 9, v3
	s_cbranch_execz .LBB757_4
	s_branch .LBB757_5
.LBB757_3:
                                        ; implicit-def: $vgpr5
                                        ; implicit-def: $vgpr6
                                        ; implicit-def: $sgpr30
	v_lshl_or_b32 v4, v56, 9, v3
.LBB757_4:
	v_or_b32_e32 v5, 0x100, v4
	s_movk_i32 s30, 0x4000
	v_mov_b32_e32 v6, v4
.LBB757_5:
	s_mul_i32 s24, s40, s22
	s_ashr_i32 s59, s56, 31
	s_mul_hi_i32 s3, s40, s22
	s_add_u32 s24, s24, s56
	s_addc_u32 s25, s3, s59
	s_lshl_b64 s[24:25], s[24:25], 8
	s_add_u32 s28, s12, s24
	s_addc_u32 s3, s13, s25
	s_and_b32 s29, s3, 0xffff
	s_movk_i32 s60, 0x80
	buffer_load_dwordx4 v[12:15], v6, s[28:31], 0 offen
	s_nop 0
	buffer_load_dwordx4 v[6:9], v6, s[28:31], s60 offen
	s_nop 0
	buffer_load_dwordx4 v[16:19], v5, s[28:31], 0 offen
	buffer_load_dwordx4 v[20:23], v5, s[28:31], s60 offen
	v_and_b32_e32 v3, 6, v0
	v_lshlrev_b32_e32 v11, 2, v52
	v_lshlrev_b32_e32 v24, 3, v52
	v_xor_b32_e32 v26, v56, v3
	v_and_b32_e32 v5, 1, v0
	v_lshl_or_b32 v24, v1, 5, v24
	v_xor_b32_e32 v27, v1, v11
	v_lshlrev_b32_e32 v26, 2, v26
	s_mul_i32 s3, s46, s27
	s_mul_hi_u32 s25, s46, s26
	v_or_b32_e32 v62, 0x9000, v24
	v_or_b32_e32 v63, 0x9800, v24
	v_lshlrev_b32_e32 v24, 1, v27
	v_xor_b32_e32 v27, 0x440, v26
	v_cmp_eq_u32_e32 vcc, 0, v5
	s_add_i32 s29, s49, s48
	s_mul_i32 s28, s58, s26
	v_cndmask_b32_e32 v5, v27, v26, vcc
	s_add_i32 s3, s25, s3
	s_add_i32 s43, s29, s50
	s_mov_b32 s61, 0x1000504
	v_lshlrev_b32_e32 v25, 8, v52
	s_mov_b32 s30, 0x8000
	v_xor_b32_e32 v11, v55, v11
	v_lshl_or_b32 v3, v3, 10, v5
	s_add_i32 s25, s3, s28
	s_lshl_b64 s[28:29], s[42:43], 2
	s_mov_b32 s62, 0x3020706
	s_mul_i32 s24, s46, s26
	v_lshlrev_b32_e32 v11, 1, v11
	v_or3_b32 v64, v24, v25, s30
	v_xor_b32_e32 v5, 8, v3
	v_xor_b32_e32 v24, 24, v3
	;; [unrolled: 1-line block ×4, first 2 shown]
	s_add_u32 s3, s18, s28
	v_or3_b32 v65, v11, v25, s30
	v_xor_b32_e32 v11, 16, v3
	v_xor_b32_e32 v25, 32, v3
	;; [unrolled: 1-line block ×3, first 2 shown]
	v_add_u32_e32 v5, 0x80, v5
	v_add_u32_e32 v24, 0x80, v24
	;; [unrolled: 1-line block ×4, first 2 shown]
	s_addc_u32 s28, s19, s29
	s_lshl_b64 s[24:25], s[24:25], 2
	s_add_u32 s24, s3, s24
	s_movk_i32 s3, 0xf8
	s_addc_u32 s25, s28, s25
	s_lshl_b32 s38, s23, 7
	s_mov_b32 s63, 0
	v_add_u32_e32 v80, v49, v10
	v_mov_b32_e32 v81, 0x3fb8aa3b
	s_waitcnt vmcnt(1)
	v_perm_b32 v29, v12, v16, s61
	s_waitcnt vmcnt(0)
	v_perm_b32 v30, v6, v20, s61
	v_perm_b32 v12, v12, v16, s62
	;; [unrolled: 1-line block ×15, first 2 shown]
	ds_write2st64_b32 v3, v29, v30 offset1:32
	ds_write2st64_b32 v5, v12, v6 offset1:32
	ds_write2st64_b32 v11, v16, v20 offset0:1 offset1:33
	ds_write2st64_b32 v24, v13, v7 offset0:1 offset1:33
	;; [unrolled: 1-line block ×6, first 2 shown]
	v_or_b32_e32 v3, v49, v52
	v_lshlrev_b32_e32 v3, 3, v3
	v_lshrrev_b32_e32 v7, 5, v50
	v_and_or_b32 v7, v3, s3, v7
	v_lshlrev_b32_e32 v7, 4, v7
	v_lshlrev_b32_e32 v5, 11, v48
	v_and_b32_e32 v3, 0x78, v3
	v_or_b32_e32 v12, 32, v7
	v_and_b32_e32 v6, 0x1000, v5
	v_lshrrev_b32_e32 v11, 1, v0
	v_xor_b32_e32 v12, v12, v3
	v_and_b32_e32 v9, 8, v11
	v_or_b32_e32 v12, v12, v6
	v_xor_b32_e32 v8, v7, v3
	v_xor_b32_e32 v68, v12, v9
	v_or_b32_e32 v12, 64, v7
	v_or_b32_e32 v7, 0x60, v7
	v_xor_b32_e32 v12, v12, v3
	v_xor_b32_e32 v3, v7, v3
	v_or_b32_e32 v3, v3, v6
	v_or_b32_e32 v12, v12, v6
	v_xor_b32_e32 v70, v3, v9
	v_lshlrev_b32_e32 v14, 1, v2
	v_add_lshl_u32 v15, v2, s23, 1
	v_lshrrev_b32_e32 v2, 4, v0
	v_lshlrev_b32_e32 v3, 1, v52
	v_xor_b32_e32 v69, v12, v9
	s_ashr_i32 s3, s2, 31
	v_or_b32_e32 v12, 1, v3
	v_xor_b32_e32 v3, v2, v3
	s_lshl_b64 s[28:29], s[2:3], 8
	v_xor_b32_e32 v12, v12, v2
	v_lshlrev_b32_e32 v3, 3, v3
	v_lshlrev_b32_e32 v2, 8, v2
	s_add_u32 s28, s4, s28
	v_or3_b32 v72, v3, v2, s30
	v_lshlrev_b32_e32 v3, 3, v12
	s_addc_u32 s29, s5, s29
	v_or3_b32 v73, v3, v2, s30
	v_mov_b32_e32 v3, 0
	v_lshl_add_u64 v[12:13], s[28:29], 0, v[2:3]
	v_lshlrev_b32_e32 v2, 4, v52
	s_movk_i32 s3, 0xff
	v_lshlrev_b32_e32 v18, 3, v48
	v_and_b32_e32 v11, 24, v11
	v_lshl_add_u64 v[42:43], v[12:13], 0, v[2:3]
	v_and_b32_e32 v12, 8, v0
	v_cmp_lt_u32_e32 vcc, s3, v0
	v_xor_b32_e32 v19, v18, v11
	v_or_b32_e32 v20, 0x440, v19
	v_cndmask_b32_e64 v17, 0, 1, vcc
	v_cmp_eq_u32_e32 vcc, 0, v12
	v_and_b32_e32 v2, 7, v0
	v_lshlrev_b32_e32 v13, 3, v2
	v_cndmask_b32_e32 v12, v20, v19, vcc
	v_lshlrev_b32_e32 v2, 7, v2
	v_or_b32_e32 v12, v12, v5
	v_xad_u32 v74, v12, v13, v2
	v_or_b32_e32 v12, 32, v11
	v_xor_b32_e32 v12, v18, v12
	v_or_b32_e32 v19, 0x440, v12
	v_cndmask_b32_e32 v12, v19, v12, vcc
	v_or_b32_e32 v12, v12, v5
	v_xad_u32 v75, v12, v13, v2
	v_or_b32_e32 v12, 64, v11
	v_xor_b32_e32 v12, v18, v12
	v_xor_b32_e32 v19, 0x440, v12
	v_cndmask_b32_e32 v12, v19, v12, vcc
	v_or_b32_e32 v11, 0x60, v11
	v_or_b32_e32 v12, v12, v5
	v_xor_b32_e32 v11, v18, v11
	v_or_b32_e32 v8, v8, v6
	v_or_b32_e32 v6, s2, v52
	v_xad_u32 v76, v12, v13, v2
	v_xor_b32_e32 v12, 0x440, v11
	v_xor_b32_e32 v66, v8, v9
	v_and_b32_e32 v8, 0x78, v53
	v_ashrrev_i32_e32 v7, 31, v6
	v_cndmask_b32_e32 v11, v12, v11, vcc
	v_lshl_or_b32 v8, v51, 7, v8
	v_lshlrev_b64 v[6:7], 1, v[6:7]
	v_or_b32_e32 v5, v11, v5
	v_or_b32_e32 v67, 0x9000, v8
	;; [unrolled: 1-line block ×3, first 2 shown]
	v_lshl_add_u64 v[8:9], s[16:17], 0, v[6:7]
	v_lshl_add_u64 v[6:7], s[6:7], 0, v[6:7]
	v_or_b32_e32 v16, 0x100, v4
	v_lshlrev_b32_e32 v17, 13, v17
	v_xad_u32 v77, v5, v13, v2
	v_lshlrev_b32_e32 v2, 8, v1
	v_cndmask_b32_e64 v78, v14, v4, s[0:1]
	v_cndmask_b32_e64 v79, v15, v16, s[0:1]
	v_lshl_add_u64 v[44:45], v[8:9], 0, v[2:3]
	v_lshl_add_u64 v[46:47], v[6:7], 0, v[2:3]
	s_mov_b32 s3, 0x7060302
	s_movk_i32 s30, 0x4000
	v_add_u32_e32 v82, v17, v74
	v_add_u32_e32 v83, v17, v75
	;; [unrolled: 1-line block ×4, first 2 shown]
	v_mov_b32_e32 v2, v3
	v_mov_b32_e32 v4, v3
	;; [unrolled: 1-line block ×7, first 2 shown]
	s_waitcnt lgkmcnt(0)
	s_barrier
.LBB757_6:                              ; =>This Inner Loop Header: Depth=1
	s_add_i32 s43, s63, 1
	s_cmp_lt_i32 s43, s52
	s_mov_b64 s[36:37], 0
	s_cselect_b64 s[44:45], -1, 0
	s_cmp_ge_i32 s43, s52
	s_mov_b64 s[28:29], 0
	s_cbranch_scc1 .LBB757_8
; %bb.7:                                ;   in Loop: Header=BB757_6 Depth=1
	s_add_i32 s0, s57, 64
	s_ashr_i32 s1, s0, 31
	s_add_u32 s0, s55, s0
	s_addc_u32 s1, s54, s1
	s_lshl_b64 s[0:1], s[0:1], 8
	s_add_u32 s28, s14, s0
	s_addc_u32 s29, s15, s1
.LBB757_8:                              ;   in Loop: Header=BB757_6 Depth=1
	v_cndmask_b32_e64 v5, 0, 1, s[44:45]
	v_cmp_ne_u32_e64 s[0:1], 1, v5
	s_andn2_b64 vcc, exec, s[44:45]
	s_cbranch_vccnz .LBB757_10
; %bb.9:                                ;   in Loop: Header=BB757_6 Depth=1
	s_add_i32 s36, s57, 64
	s_mul_hi_i32 s37, s36, s22
	s_mul_i32 s36, s36, s22
	s_add_u32 s36, s36, s56
	s_addc_u32 s37, s37, s59
	s_lshl_b64 s[36:37], s[36:37], 8
	s_add_u32 s36, s12, s36
	s_addc_u32 s37, s13, s37
.LBB757_10:                             ;   in Loop: Header=BB757_6 Depth=1
	v_perm_b32 v11, v87, v4, s3
	v_perm_b32 v10, v3, v2, s3
	;; [unrolled: 1-line block ×4, first 2 shown]
	ds_write_b64 v62, v[10:11]
	ds_write_b64 v63, v[12:13]
	;; [unrolled: 1-line block ×4, first 2 shown]
	s_waitcnt lgkmcnt(0)
	s_barrier
	ds_read_b64 v[18:19], v66 offset:16384
	ds_read_b64 v[20:21], v68 offset:16384
	ds_read2st64_b64 v[10:13], v67 offset1:1
	s_waitcnt lgkmcnt(0)
	v_mfma_f32_16x16x16_bf16 a[0:3], v[18:19], v[10:11], 0
	ds_read2st64_b64 v[14:17], v67 offset0:2 offset1:3
	ds_read_b64 v[22:23], v69 offset:16384
	ds_read_b64 v[10:11], v70 offset:16384
	s_add_i32 s39, s57, 63
	v_mfma_f32_16x16x16_bf16 a[0:3], v[20:21], v[12:13], a[0:3]
	s_ashr_i32 s44, s39, 31
	s_mul_i32 s45, s39, s11
	s_mul_hi_u32 s64, s39, s10
	s_waitcnt lgkmcnt(1)
	v_mfma_f32_16x16x16_bf16 a[0:3], v[22:23], v[14:15], a[0:3]
	s_add_i32 s45, s64, s45
	s_mul_i32 s44, s44, s10
	s_add_i32 s45, s45, s44
	s_mul_i32 s44, s39, s10
	s_waitcnt lgkmcnt(0)
	v_mfma_f32_16x16x16_bf16 a[0:3], v[10:11], v[16:17], a[0:3]
	s_lshl_b64 s[44:45], s[44:45], 2
	s_add_u32 s44, s24, s44
	s_addc_u32 s45, s25, s45
	s_and_b64 vcc, exec, s[0:1]
	v_mov_b32_e32 v88, 0
	v_mov_b32_e32 v9, 0
	;; [unrolled: 1-line block ×19, first 2 shown]
	s_cbranch_vccnz .LBB757_12
; %bb.11:                               ;   in Loop: Header=BB757_6 Depth=1
	s_and_b32 s29, s29, 0xffff
	buffer_load_dwordx4 v[22:25], v58, s[28:31], 0 offen
	buffer_load_dwordx4 v[18:21], v58, s[28:31], s60 offen
	;; [unrolled: 1-line block ×4, first 2 shown]
	v_mov_b32_e32 v9, v60
	v_mov_b32_e32 v5, v61
.LBB757_12:                             ;   in Loop: Header=BB757_6 Depth=1
	s_waitcnt vmcnt(3)
	v_add_u32_e32 v30, s57, v80
	s_waitcnt vmcnt(1)
	v_ashrrev_i32_e32 v26, 31, v30
	v_mul_lo_u32 v28, v26, s10
	v_mul_lo_u32 v29, v30, s11
	v_mad_u64_u32 v[26:27], s[28:29], v30, s10, 0
	v_add3_u32 v27, v27, v29, v28
	v_lshl_add_u64 v[26:27], v[26:27], 2, s[24:25]
	global_load_dword v90, v[26:27], off
	v_add_u32_e32 v26, 1, v30
	v_ashrrev_i32_e32 v27, 31, v26
	v_mul_lo_u32 v28, v27, s10
	v_mul_lo_u32 v29, v26, s11
	v_mad_u64_u32 v[26:27], s[28:29], v26, s10, 0
	v_add3_u32 v27, v27, v29, v28
	v_add_u32_e32 v28, 2, v30
	v_ashrrev_i32_e32 v29, 31, v28
	v_mul_lo_u32 v31, v29, s10
	v_mul_lo_u32 v32, v28, s11
	v_mad_u64_u32 v[28:29], s[28:29], v28, s10, 0
	v_add_u32_e32 v30, 3, v30
	v_add3_u32 v29, v29, v32, v31
	v_ashrrev_i32_e32 v31, 31, v30
	v_mul_lo_u32 v34, v31, s10
	v_mul_lo_u32 v35, v30, s11
	v_mad_u64_u32 v[30:31], s[28:29], v30, s10, 0
	s_ashr_i32 s29, s57, 31
	s_add_u32 s28, s55, s57
	s_addc_u32 s29, s54, s29
	s_lshl_b64 s[64:65], s[28:29], 8
	v_lshl_add_u64 v[26:27], v[26:27], 2, s[24:25]
	v_lshl_add_u64 v[32:33], v[44:45], 0, s[64:65]
	v_add3_u32 v31, v31, v35, v34
	v_lshl_add_u64 v[28:29], v[28:29], 2, s[24:25]
	global_load_ushort v91, v[32:33], off
	global_load_ushort v92, v[32:33], off offset:256
	global_load_ushort v93, v[32:33], off offset:512
	;; [unrolled: 1-line block ×3, first 2 shown]
	v_lshl_add_u64 v[30:31], v[30:31], 2, s[24:25]
	global_load_dword v95, v[26:27], off
	global_load_dword v96, v[28:29], off
	;; [unrolled: 1-line block ×3, first 2 shown]
	ds_read_b64 v[30:31], v66 offset:24576
	ds_read_b64 v[36:37], v68 offset:24576
	ds_read2st64_b64 v[26:29], v71 offset1:1
	s_waitcnt lgkmcnt(0)
	v_mfma_f32_16x16x16_bf16 a[0:3], v[30:31], v[26:27], a[0:3]
	s_load_dword s28, s[44:45], 0x0
	ds_read2st64_b64 v[32:35], v71 offset0:2 offset1:3
	ds_read_b64 v[38:39], v69 offset:24576
	ds_read_b64 v[40:41], v70 offset:24576
	v_mov_b32_e32 v89, 0
	v_mfma_f32_16x16x16_bf16 a[0:3], v[36:37], v[28:29], a[0:3]
	v_mov_b32_e32 v26, 0
	v_mov_b32_e32 v27, 0
	v_mov_b32_e32 v28, 0
	s_waitcnt lgkmcnt(0)
	v_mfma_f32_16x16x16_bf16 a[0:3], v[38:39], v[32:33], a[0:3]
	v_lshl_add_u64 v[32:33], v[46:47], 0, s[64:65]
	v_mov_b32_e32 v29, 0
	v_mov_b32_e32 v30, 0
	v_mfma_f32_16x16x16_bf16 a[0:3], v[40:41], v[34:35], a[0:3]
	v_mov_b32_e32 v31, 0
	s_and_b64 vcc, exec, s[0:1]
	s_waitcnt vmcnt(7)
	v_sub_f32_e32 v90, s28, v90
	s_nop 2
	v_accvgpr_read_b32 v37, a1
	v_accvgpr_read_b32 v35, a3
	;; [unrolled: 1-line block ×4, first 2 shown]
	v_mul_f32_e32 v90, 0x3fb8aa3b, v90
	s_waitcnt vmcnt(6)
	v_lshlrev_b32_e32 v38, 16, v91
	s_waitcnt vmcnt(5)
	v_lshlrev_b32_e32 v39, 16, v92
	;; [unrolled: 2-line block ×4, first 2 shown]
	s_waitcnt vmcnt(2)
	v_sub_f32_e32 v91, s28, v95
	s_waitcnt vmcnt(1)
	v_sub_f32_e32 v92, s28, v96
	;; [unrolled: 2-line block ×3, first 2 shown]
	v_pk_add_f32 v[36:37], v[38:39], v[36:37] neg_lo:[0,1] neg_hi:[0,1]
	v_pk_add_f32 v[34:35], v[40:41], v[34:35] neg_lo:[0,1] neg_hi:[0,1]
	v_mul_f32_e32 v39, 0x3fb8aa3b, v91
	v_mul_f32_e32 v40, 0x3fb8aa3b, v92
	v_mul_f32_e32 v41, 0x3fb8aa3b, v93
	v_exp_f32_e32 v38, v90
	v_exp_f32_e32 v39, v39
	;; [unrolled: 1-line block ×4, first 2 shown]
	global_store_short_d16_hi v[32:33], v36, off
	global_store_short_d16_hi v[32:33], v37, off offset:256
	global_store_short_d16_hi v[32:33], v34, off offset:512
	;; [unrolled: 1-line block ×3, first 2 shown]
	v_pk_mul_f32 v[32:33], v[38:39], v[36:37]
	v_pk_mul_f32 v[34:35], v[40:41], v[34:35]
	v_perm_b32 v32, v33, v32, s3
	v_perm_b32 v33, v35, v34, s3
	ds_write_b64 v63, v[32:33]
	v_mov_b32_e32 v32, 0
	v_mov_b32_e32 v33, 0
	;; [unrolled: 1-line block ×10, first 2 shown]
	s_cbranch_vccnz .LBB757_14
; %bb.13:                               ;   in Loop: Header=BB757_6 Depth=1
	s_and_b32 s37, s37, 0xffff
	s_mov_b32 s39, s31
	buffer_load_dwordx4 v[38:41], v78, s[36:39], 0 offen
	buffer_load_dwordx4 v[30:33], v78, s[36:39], s60 offen
	buffer_load_dwordx4 v[34:37], v79, s[36:39], 0 offen
	buffer_load_dwordx4 v[26:29], v79, s[36:39], s60 offen
	v_mov_b32_e32 v88, v57
	v_mov_b32_e32 v89, v56
.LBB757_14:                             ;   in Loop: Header=BB757_6 Depth=1
	s_waitcnt lgkmcnt(0)
	s_barrier
	ds_read_b64 v[98:99], v82
	ds_read2st64_b64 v[90:93], v71 offset1:1
	ds_read2st64_b64 v[94:97], v71 offset0:2 offset1:3
	ds_read_b64 v[100:101], v83
	ds_read_b64 v[102:103], v84
	;; [unrolled: 1-line block ×3, first 2 shown]
	s_waitcnt lgkmcnt(4)
	v_mfma_f32_16x16x16_bf16 a[0:3], v[98:99], v[90:91], 0
	ds_read_b64 v[98:99], v74 offset:8192
	ds_read_b64 v[106:107], v75 offset:8192
	s_add_i32 s29, s53, s63
	s_mul_hi_i32 s37, s29, s47
	s_waitcnt lgkmcnt(1)
	v_mfma_f32_16x16x16_bf16 a[4:7], v[98:99], v[90:91], 0
	s_mul_i32 s29, s29, s47
	s_add_u32 s36, s29, s46
	s_addc_u32 s37, s37, s58
	v_mfma_f32_16x16x16_bf16 a[0:3], v[100:101], v[92:93], a[0:3]
	ds_read_b64 v[98:99], v72
	ds_read_b64 v[100:101], v73
	ds_read_b64 v[90:91], v76 offset:8192
	s_lshl_b64 s[36:37], s[36:37], 15
	v_mfma_f32_16x16x16_bf16 a[0:3], v[102:103], v[94:95], a[0:3]
	ds_read_b64 v[102:103], v77 offset:8192
	s_and_b64 vcc, exec, s[0:1]
	s_waitcnt lgkmcnt(4)
	v_mfma_f32_16x16x16_bf16 a[4:7], v[106:107], v[92:93], a[4:7]
	s_waitcnt lgkmcnt(1)
	v_mfma_f32_16x16x16_bf16 a[4:7], v[90:91], v[94:95], a[4:7]
	v_lshl_add_u64 v[90:91], v[42:43], 0, s[36:37]
	global_store_dwordx4 v[90:91], v[98:101], off
	v_mfma_f32_16x16x16_bf16 a[0:3], v[104:105], v[96:97], a[0:3]
	s_waitcnt lgkmcnt(0)
	v_mfma_f32_16x16x16_bf16 a[4:7], v[102:103], v[96:97], a[4:7]
	s_cbranch_vccnz .LBB757_16
; %bb.15:                               ;   in Loop: Header=BB757_6 Depth=1
	v_lshrrev_b32_e32 v90, 3, v88
	v_and_b32_e32 v90, 6, v90
	v_xor_b32_e32 v89, v90, v89
	v_lshlrev_b32_e32 v89, 2, v89
	v_and_b32_e32 v88, 8, v88
	v_xor_b32_e32 v91, 0x440, v89
	v_cmp_eq_u32_e32 vcc, 0, v88
	s_barrier
	s_nop 0
	v_cndmask_b32_e32 v88, v91, v89, vcc
	v_lshl_or_b32 v88, v90, 10, v88
	s_waitcnt vmcnt(2)
	v_perm_b32 v89, v38, v34, s61
	s_waitcnt vmcnt(1)
	v_perm_b32 v90, v30, v26, s61
	ds_write2st64_b32 v88, v89, v90 offset1:32
	v_xor_b32_e32 v89, 8, v88
	v_perm_b32 v34, v38, v34, s62
	v_perm_b32 v26, v30, v26, s62
	v_add_u32_e32 v30, 0x80, v89
	ds_write2st64_b32 v30, v34, v26 offset1:32
	v_xor_b32_e32 v26, 16, v88
	v_perm_b32 v30, v39, v35, s61
	v_perm_b32 v34, v31, v27, s61
	ds_write2st64_b32 v26, v30, v34 offset0:1 offset1:33
	v_xor_b32_e32 v26, 24, v88
	v_perm_b32 v30, v39, v35, s62
	v_perm_b32 v27, v31, v27, s62
	v_add_u32_e32 v26, 0x80, v26
	ds_write2st64_b32 v26, v30, v27 offset0:1 offset1:33
	v_xor_b32_e32 v26, 32, v88
	v_perm_b32 v27, v40, v36, s61
	v_perm_b32 v30, v32, v28, s61
	ds_write2st64_b32 v26, v27, v30 offset0:2 offset1:34
	v_xor_b32_e32 v26, 40, v88
	v_perm_b32 v27, v40, v36, s62
	v_perm_b32 v28, v32, v28, s62
	v_add_u32_e32 v26, 0x80, v26
	ds_write2st64_b32 v26, v27, v28 offset0:2 offset1:34
	;; [unrolled: 9-line block ×3, first 2 shown]
	ds_write_b64 v9, v[22:23] offset:16384
	v_xor_b32_e32 v22, 8, v9
	ds_write_b64 v22, v[24:25] offset:16384
	ds_write_b64 v9, v[18:19] offset:24576
	;; [unrolled: 1-line block ×4, first 2 shown]
	v_xor_b32_e32 v9, 8, v5
	ds_write_b64 v9, v[16:17] offset:16384
	ds_write_b64 v5, v[10:11] offset:24576
	ds_write_b64 v9, v[12:13] offset:24576
.LBB757_16:                             ;   in Loop: Header=BB757_6 Depth=1
	v_mul_f32_e32 v5, s28, v81
	v_exp_f32_e32 v10, v5
	s_nop 1
	v_accvgpr_read_b32 v9, a1
	v_accvgpr_read_b32 v5, a0
	s_add_i32 s57, s57, 64
	v_fma_f32 v3, v3, v10, v9
	v_accvgpr_read_b32 v9, a4
	v_fma_f32 v6, v6, v10, v9
	v_accvgpr_read_b32 v9, a5
	;; [unrolled: 2-line block ×6, first 2 shown]
	v_fmac_f32_e32 v5, v87, v10
	s_cmp_eq_u32 s52, s43
	v_fmac_f32_e32 v9, v86, v10
	s_cbranch_scc1 .LBB757_18
; %bb.17:                               ;   in Loop: Header=BB757_6 Depth=1
	s_mov_b32 s63, s43
	v_mov_b32_e32 v87, v5
	v_mov_b32_e32 v86, v9
	s_branch .LBB757_6
.LBB757_18:
	s_lshl_b32 s3, s52, 6
	s_sub_i32 s51, s51, s3
	s_cmp_gt_i32 s51, 0
	s_waitcnt vmcnt(2)
	v_or_b32_e32 v34, s2, v52
	s_cbranch_scc1 .LBB757_20
; %bb.19:
	s_ashr_i32 s25, s46, 31
	v_or_b32_e32 v10, s2, v52
	s_cbranch_execz .LBB757_21
	s_branch .LBB757_77
.LBB757_20:
                                        ; implicit-def: $vgpr10
                                        ; implicit-def: $sgpr24_sgpr25
.LBB757_21:
	s_add_i32 s24, s3, s40
	s_ashr_i32 s3, s24, 31
	s_cmpk_lg_i32 s23, 0x80
	s_cselect_b64 s[38:39], -1, 0
	s_and_b64 vcc, exec, s[38:39]
	s_cbranch_vccz .LBB757_23
; %bb.22:
	s_mul_hi_i32 s0, s24, s22
	s_mul_i32 s1, s24, s22
	s_ashr_i32 s22, s56, 31
	s_add_u32 s44, s1, s56
	s_addc_u32 s45, s0, s22
	s_cbranch_execz .LBB757_24
	s_branch .LBB757_25
.LBB757_23:
                                        ; implicit-def: $sgpr44_sgpr45
.LBB757_24:
	s_mul_i32 s1, s56, s20
	s_mul_hi_i32 s0, s56, s20
	s_add_u32 s44, s1, s24
	s_addc_u32 s45, s0, s3
.LBB757_25:
	s_add_i32 s20, s52, s53
	s_ashr_i32 s25, s46, 31
	s_add_u32 s0, s55, s24
	s_addc_u32 s1, s54, s3
	s_mov_b32 s3, 0x7060302
	v_lshlrev_b32_e32 v14, 3, v52
	s_lshl_b64 s[36:37], s[0:1], 8
	v_perm_b32 v11, v5, v4, s3
	v_perm_b32 v10, v3, v2, s3
	;; [unrolled: 1-line block ×4, first 2 shown]
	v_lshlrev_b32_e32 v44, 2, v52
	v_lshl_or_b32 v14, v1, 5, v14
	s_add_u32 s0, s14, s36
	ds_write2st64_b64 v14, v[10:11], v[12:13] offset0:72 offset1:76
	v_xor_b32_e32 v14, v1, v44
	v_lshlrev_b32_e32 v15, 8, v52
	s_addc_u32 s1, s15, s37
	v_lshl_or_b32 v14, v14, 1, v15
	s_mul_hi_i32 s3, s20, s21
	s_mul_i32 s20, s20, s21
	ds_write_b64 v14, v[10:11] offset:32768
	v_xor_b32_e32 v10, v55, v44
	s_add_u32 s14, s20, s46
	v_lshl_or_b32 v10, v10, 1, v15
	s_addc_u32 s15, s3, s25
	v_lshlrev_b32_e32 v11, 1, v52
	ds_write_b64 v10, v[12:13] offset:32768
	v_lshrrev_b32_e32 v10, 4, v0
	s_ashr_i32 s3, s2, 31
	s_lshl_b64 s[14:15], s[14:15], 15
	v_or_b32_e32 v12, 1, v11
	s_add_u32 s4, s4, s14
	v_xor_b32_e32 v11, v10, v11
	v_xor_b32_e32 v12, v12, v10
	v_lshlrev_b32_e32 v14, 8, v10
	s_addc_u32 s5, s5, s15
	s_lshl_b64 s[2:3], s[2:3], 8
	v_lshl_or_b32 v10, v11, 3, v14
	v_lshl_or_b32 v12, v12, 3, v14
	s_waitcnt lgkmcnt(0)
	s_barrier
	s_add_u32 s2, s4, s2
	ds_read_b64 v[10:11], v10 offset:32768
	ds_read_b64 v[12:13], v12 offset:32768
	s_addc_u32 s3, s5, s3
	v_mov_b32_e32 v15, 0
	s_cmp_lg_u32 s51, 64
	v_lshl_add_u64 v[16:17], s[2:3], 0, v[14:15]
	v_lshlrev_b32_e32 v14, 4, v52
	s_cselect_b64 s[4:5], -1, 0
	v_lshl_or_b32 v35, v48, 3, v54
	s_mov_b32 s28, 0
	v_lshl_add_u64 v[14:15], v[16:17], 0, v[14:15]
	s_waitcnt vmcnt(1)
	v_or_b32_e32 v27, 32, v35
	v_and_b32_e32 v26, 56, v53
	s_and_b64 vcc, exec, s[4:5]
	s_waitcnt lgkmcnt(0)
	global_store_dwordx4 v[14:15], v[10:13], off
	s_cbranch_vccz .LBB757_31
; %bb.26:
	s_mov_b32 s29, s28
	s_mov_b32 s30, s28
	;; [unrolled: 1-line block ×3, first 2 shown]
	v_mov_b64_e32 v[14:15], s[28:29]
	v_mov_b64_e32 v[16:17], s[30:31]
	v_mov_b64_e32 v[10:11], v[14:15]
	v_cmp_gt_i32_e32 vcc, s51, v35
	v_mov_b64_e32 v[12:13], v[16:17]
	s_and_saveexec_b64 s[2:3], vcc
	s_cbranch_execz .LBB757_28
; %bb.27:
	v_lshlrev_b32_e32 v10, 8, v35
	v_mov_b32_e32 v11, 0
	v_lshl_add_u64 v[12:13], s[0:1], 0, v[10:11]
	v_lshlrev_b32_e32 v10, 1, v26
	v_lshl_add_u64 v[18:19], v[12:13], 0, v[10:11]
	global_load_dwordx4 v[14:17], v[18:19], off
	global_load_dwordx4 v[10:13], v[18:19], off offset:128
.LBB757_28:
	s_or_b64 exec, exec, s[2:3]
	s_mov_b32 s29, s28
	s_mov_b32 s30, s28
	s_mov_b32 s31, s28
	v_mov_b64_e32 v[22:23], s[28:29]
	v_mov_b64_e32 v[24:25], s[30:31]
	;; [unrolled: 1-line block ×3, first 2 shown]
	v_cmp_gt_i32_e32 vcc, s51, v27
	v_lshlrev_b32_e32 v28, 7, v27
	v_mov_b64_e32 v[20:21], v[24:25]
	s_and_saveexec_b64 s[2:3], vcc
	s_cbranch_execz .LBB757_30
; %bb.29:
	v_lshlrev_b32_e32 v18, 1, v28
	v_mov_b32_e32 v19, 0
	v_lshl_add_u64 v[20:21], s[0:1], 0, v[18:19]
	v_lshlrev_b32_e32 v18, 1, v26
	v_lshl_add_u64 v[30:31], v[20:21], 0, v[18:19]
	global_load_dwordx4 v[22:25], v[30:31], off
	global_load_dwordx4 v[18:21], v[30:31], off offset:128
.LBB757_30:
	s_or_b64 exec, exec, s[2:3]
	v_lshrrev_b32_e32 v29, 3, v26
	v_lshlrev_b32_e32 v30, 3, v35
	v_or_b32_e32 v29, v30, v29
	v_lshlrev_b32_e32 v29, 4, v29
	v_and_b32_e32 v30, 0x78, v30
	v_xor_b32_e32 v29, v29, v30
	s_branch .LBB757_33
.LBB757_31:
                                        ; implicit-def: $vgpr29
                                        ; implicit-def: $vgpr28
                                        ; implicit-def: $vgpr14_vgpr15_vgpr16_vgpr17
                                        ; implicit-def: $vgpr10_vgpr11_vgpr12_vgpr13
                                        ; implicit-def: $vgpr22_vgpr23_vgpr24_vgpr25
                                        ; implicit-def: $vgpr18_vgpr19_vgpr20_vgpr21
	s_cbranch_execz .LBB757_33
; %bb.32:
	s_waitcnt vmcnt(0)
	v_lshlrev_b32_e32 v10, 1, v26
	v_lshl_or_b32 v28, v35, 8, v10
	s_and_b32 s1, s1, 0xffff
	s_mov_b32 s3, 0x20000
	s_movk_i32 s2, 0x4000
	v_lshl_or_b32 v29, v27, 8, v10
	s_movk_i32 s14, 0x80
	buffer_load_dwordx4 v[14:17], v28, s[0:3], 0 offen
	buffer_load_dwordx4 v[10:13], v28, s[0:3], s14 offen
	;; [unrolled: 1-line block ×4, first 2 shown]
	v_lshrrev_b32_e32 v28, 3, v26
	v_lshlrev_b32_e32 v29, 3, v35
	v_or_b32_e32 v28, v29, v28
	v_lshlrev_b32_e32 v28, 4, v28
	v_and_b32_e32 v29, 0x78, v29
	v_xor_b32_e32 v29, v28, v29
	v_lshlrev_b32_e32 v28, 7, v27
.LBB757_33:
	s_lshl_b64 s[0:1], s[44:45], 8
	s_add_u32 s12, s12, s0
	s_movk_i32 s0, 0x1000
	v_and_or_b32 v27, v28, s0, v29
	s_waitcnt vmcnt(1)
	ds_write_b64 v29, v[14:15] offset:16384
	v_xor_b32_e32 v14, 8, v29
	ds_write_b64 v14, v[16:17] offset:16384
	s_waitcnt vmcnt(0)
	ds_write_b64 v29, v[10:11] offset:24576
	ds_write_b64 v14, v[12:13] offset:24576
	;; [unrolled: 1-line block ×3, first 2 shown]
	v_xor_b32_e32 v10, 8, v27
	ds_write_b64 v10, v[24:25] offset:16384
	ds_write_b64 v27, v[18:19] offset:24576
	;; [unrolled: 1-line block ×3, first 2 shown]
	v_or_b32_e32 v10, v49, v52
	v_lshlrev_b32_e32 v10, 3, v10
	v_lshrrev_b32_e32 v12, 5, v50
	s_movk_i32 s20, 0xf8
	v_and_or_b32 v12, v10, s20, v12
	v_lshlrev_b32_e32 v45, 11, v48
	v_lshlrev_b32_e32 v20, 4, v12
	v_and_b32_e32 v21, 0x78, v10
	v_and_b32_e32 v22, 0x1000, v45
	v_lshlrev_b32_e32 v11, 2, v0
	v_xor_b32_e32 v10, v20, v21
	v_lshrrev_b32_e32 v12, 1, v50
	v_and_b32_e32 v11, 60, v11
	v_or_b32_e32 v10, v10, v22
	v_and_b32_e32 v23, 8, v12
	v_xor_b32_e32 v36, v10, v23
	v_lshl_or_b32 v10, v51, 6, v11
	v_lshlrev_b32_e32 v46, 1, v10
	v_or_b32_e32 v10, 32, v20
	v_xor_b32_e32 v10, v10, v21
	s_waitcnt lgkmcnt(0)
	s_barrier
	ds_read_b64 v[18:19], v36 offset:16384
	v_or_b32_e32 v10, v10, v22
	v_xor_b32_e32 v37, v10, v23
	v_or_b32_e32 v10, 64, v20
	v_xor_b32_e32 v10, v10, v21
	v_or_b32_e32 v10, v10, v22
	v_or_b32_e32 v20, 0x60, v20
	v_xor_b32_e32 v38, v10, v23
	ds_read2st64_b64 v[10:13], v46 offset0:72 offset1:73
	ds_read2st64_b64 v[14:17], v46 offset0:74 offset1:75
	v_xor_b32_e32 v24, v20, v21
	ds_read_b64 v[20:21], v37 offset:16384
	s_waitcnt lgkmcnt(2)
	v_mfma_f32_16x16x16_bf16 a[0:3], v[18:19], v[10:11], 0
	s_addc_u32 s13, s13, s1
	s_add_i32 s2, s41, -1
	s_add_i32 s0, s49, s48
	s_add_i32 s43, s0, s50
	s_mul_i32 s0, s46, s27
	s_mul_hi_u32 s1, s46, s26
	s_ashr_i32 s3, s2, 31
	s_mul_i32 s14, s2, s11
	s_mul_hi_u32 s15, s2, s10
	s_add_i32 s0, s1, s0
	s_mul_i32 s1, s25, s26
	s_add_i32 s14, s15, s14
	s_mul_i32 s3, s3, s10
	v_or_b32_e32 v22, v24, v22
	s_add_i32 s1, s0, s1
	s_add_i32 s3, s14, s3
	s_lshl_b64 s[14:15], s[42:43], 2
	v_xor_b32_e32 v47, v22, v23
	ds_read_b64 v[22:23], v38 offset:16384
	ds_read_b64 v[24:25], v47 offset:16384
	s_waitcnt lgkmcnt(2)
	v_mfma_f32_16x16x16_bf16 a[0:3], v[20:21], v[12:13], a[0:3]
	s_mul_i32 s0, s46, s26
	s_add_u32 s14, s18, s14
	s_addc_u32 s15, s19, s15
	s_lshl_b64 s[0:1], s[0:1], 2
	s_mul_i32 s2, s2, s10
	s_add_u32 s18, s14, s0
	s_addc_u32 s19, s15, s1
	s_lshl_b64 s[0:1], s[2:3], 2
	s_waitcnt lgkmcnt(1)
	v_mfma_f32_16x16x16_bf16 a[0:3], v[22:23], v[14:15], a[0:3]
	s_add_u32 s0, s18, s0
	s_addc_u32 s1, s19, s1
	s_load_dword s20, s[0:1], 0x0
	s_waitcnt lgkmcnt(0)
	v_mfma_f32_16x16x16_bf16 a[0:3], v[24:25], v[16:17], a[0:3]
	s_and_b64 vcc, exec, s[38:39]
	s_cbranch_vccz .LBB757_44
; %bb.34:
	v_lshlrev_b32_e32 v27, 1, v35
	s_and_b64 vcc, exec, s[4:5]
	s_cbranch_vccz .LBB757_45
; %bb.35:
	v_cmp_gt_i32_e32 vcc, s51, v27
	v_mov_b32_e32 v14, 0
	v_mov_b32_e32 v10, 0
	;; [unrolled: 1-line block ×5, first 2 shown]
	s_and_saveexec_b64 s[0:1], vcc
	s_cbranch_execz .LBB757_37
; %bb.36:
	v_mad_i64_i32 v[10:11], s[2:3], s23, v27, 0
	v_lshl_add_u64 v[10:11], v[10:11], 1, s[12:13]
	v_lshlrev_b32_e32 v12, 1, v26
	v_mov_b32_e32 v13, 0
	v_lshl_add_u64 v[10:11], v[10:11], 0, v[12:13]
	global_load_dwordx4 v[10:13], v[10:11], off
.LBB757_37:
	s_or_b64 exec, exec, s[0:1]
	v_or_b32_e32 v28, 1, v27
	v_cmp_gt_i32_e64 s[0:1], s51, v28
	v_mov_b32_e32 v15, 0
	v_mov_b32_e32 v16, 0
	;; [unrolled: 1-line block ×3, first 2 shown]
	s_and_saveexec_b64 s[2:3], s[0:1]
	s_cbranch_execz .LBB757_39
; %bb.38:
	v_mad_i64_i32 v[14:15], s[14:15], s23, v28, 0
	v_lshl_add_u64 v[14:15], v[14:15], 1, s[12:13]
	v_lshlrev_b32_e32 v16, 1, v26
	v_mov_b32_e32 v17, 0
	v_lshl_add_u64 v[14:15], v[14:15], 0, v[16:17]
	global_load_dwordx4 v[14:17], v[14:15], off
.LBB757_39:
	s_or_b64 exec, exec, s[2:3]
	v_mov_b32_e32 v25, 0
	v_mov_b32_e32 v18, 0
	;; [unrolled: 1-line block ×5, first 2 shown]
	s_and_saveexec_b64 s[2:3], vcc
	s_cbranch_execz .LBB757_41
; %bb.40:
	v_mad_i64_i32 v[18:19], s[14:15], s23, v27, 0
	v_lshl_add_u64 v[18:19], v[18:19], 1, s[12:13]
	v_lshlrev_b32_e32 v20, 1, v26
	v_mov_b32_e32 v21, 0
	v_lshl_add_u64 v[18:19], v[18:19], 0, v[20:21]
	global_load_dwordx4 v[18:21], v[18:19], off offset:128
.LBB757_41:
	s_or_b64 exec, exec, s[2:3]
	v_mov_b32_e32 v24, 0
	v_mov_b32_e32 v23, 0
	;; [unrolled: 1-line block ×3, first 2 shown]
	s_and_saveexec_b64 s[2:3], s[0:1]
	s_cbranch_execz .LBB757_43
; %bb.42:
	v_mad_i64_i32 v[22:23], s[0:1], s23, v28, 0
	v_lshl_add_u64 v[22:23], v[22:23], 1, s[12:13]
	v_lshlrev_b32_e32 v24, 1, v26
	v_mov_b32_e32 v25, 0
	v_lshl_add_u64 v[22:23], v[22:23], 0, v[24:25]
	global_load_dwordx4 v[22:25], v[22:23], off offset:128
.LBB757_43:
	s_or_b64 exec, exec, s[2:3]
	s_branch .LBB757_47
.LBB757_44:
                                        ; implicit-def: $vgpr13
                                        ; implicit-def: $vgpr17
                                        ; implicit-def: $vgpr21
                                        ; implicit-def: $vgpr25
	v_lshrrev_b32_e32 v50, 2, v50
	s_branch .LBB757_48
.LBB757_45:
                                        ; implicit-def: $vgpr13
                                        ; implicit-def: $vgpr17
                                        ; implicit-def: $vgpr21
                                        ; implicit-def: $vgpr25
	s_cbranch_execz .LBB757_47
; %bb.46:
	s_waitcnt vmcnt(0)
	v_mad_u64_u32 v[10:11], s[0:1], v27, s23, v[26:27]
	v_lshlrev_b32_e32 v27, 1, v10
	s_lshl_b32 s2, s23, 7
	s_and_b32 s1, s13, 0xffff
	s_mov_b32 s3, 0x20000
	s_mov_b32 s0, s12
	v_add_lshl_u32 v28, v10, s23, 1
	s_movk_i32 s14, 0x80
	buffer_load_dwordx4 v[10:13], v27, s[0:3], 0 offen
	buffer_load_dwordx4 v[18:21], v27, s[0:3], s14 offen
	;; [unrolled: 1-line block ×4, first 2 shown]
.LBB757_47:
	v_lshrrev_b32_e32 v50, 2, v50
	s_cbranch_execnz .LBB757_60
.LBB757_48:
	s_and_b64 vcc, exec, s[4:5]
	s_cbranch_vccz .LBB757_58
; %bb.49:
	s_waitcnt vmcnt(0)
	v_lshlrev_b32_e32 v15, 1, v35
	v_cmp_gt_i32_e32 vcc, s51, v15
	v_mov_b32_e32 v14, 0
	v_lshlrev_b32_e32 v22, 9, v35
	v_mov_b32_e32 v10, 0
	v_mov_b32_e32 v11, 0
	;; [unrolled: 1-line block ×4, first 2 shown]
	s_and_saveexec_b64 s[0:1], vcc
	s_cbranch_execz .LBB757_51
; %bb.50:
	v_mov_b32_e32 v23, 0
	v_lshl_add_u64 v[10:11], s[12:13], 0, v[22:23]
	v_lshlrev_b32_e32 v12, 1, v26
	v_mov_b32_e32 v13, v23
	v_lshl_add_u64 v[10:11], v[10:11], 0, v[12:13]
	global_load_dwordx4 v[10:13], v[10:11], off
.LBB757_51:
	s_or_b64 exec, exec, s[0:1]
	v_or_b32_e32 v15, 1, v15
	v_cmp_gt_i32_e64 s[0:1], s51, v15
	v_lshlrev_b32_e32 v28, 8, v15
	v_mov_b32_e32 v15, 0
	v_mov_b32_e32 v16, 0
	v_mov_b32_e32 v17, 0
	s_and_saveexec_b64 s[2:3], s[0:1]
	s_cbranch_execz .LBB757_53
; %bb.52:
	v_mov_b32_e32 v29, 0
	v_lshl_add_u64 v[14:15], s[12:13], 0, v[28:29]
	v_lshlrev_b32_e32 v16, 1, v26
	v_mov_b32_e32 v17, v29
	v_lshl_add_u64 v[14:15], v[14:15], 0, v[16:17]
	global_load_dwordx4 v[14:17], v[14:15], off
.LBB757_53:
	s_or_b64 exec, exec, s[2:3]
	v_mov_b32_e32 v25, 0
	v_mov_b32_e32 v18, 0
	;; [unrolled: 1-line block ×5, first 2 shown]
	s_and_saveexec_b64 s[2:3], vcc
	s_cbranch_execz .LBB757_55
; %bb.54:
	v_mov_b32_e32 v23, 0
	v_lshl_add_u64 v[18:19], s[12:13], 0, v[22:23]
	v_lshlrev_b32_e32 v22, 1, v26
	v_lshl_add_u64 v[18:19], v[18:19], 0, v[22:23]
	global_load_dwordx4 v[18:21], v[18:19], off offset:128
.LBB757_55:
	s_or_b64 exec, exec, s[2:3]
	v_mov_b32_e32 v24, 0
	v_mov_b32_e32 v23, 0
	;; [unrolled: 1-line block ×3, first 2 shown]
	s_and_saveexec_b64 s[2:3], s[0:1]
	s_cbranch_execz .LBB757_57
; %bb.56:
	v_mov_b32_e32 v29, 0
	v_lshl_add_u64 v[22:23], s[12:13], 0, v[28:29]
	v_lshlrev_b32_e32 v28, 1, v26
	v_lshl_add_u64 v[22:23], v[22:23], 0, v[28:29]
	global_load_dwordx4 v[22:25], v[22:23], off offset:128
.LBB757_57:
	s_or_b64 exec, exec, s[2:3]
	s_branch .LBB757_60
.LBB757_58:
                                        ; implicit-def: $vgpr13
                                        ; implicit-def: $vgpr17
                                        ; implicit-def: $vgpr21
                                        ; implicit-def: $vgpr25
	s_cbranch_execz .LBB757_60
; %bb.59:
	s_waitcnt vmcnt(0)
	v_lshlrev_b32_e32 v10, 1, v26
	v_lshl_or_b32 v26, v35, 9, v10
	s_and_b32 s13, s13, 0xffff
	s_mov_b32 s15, 0x20000
	s_movk_i32 s14, 0x4000
	s_movk_i32 s0, 0x80
	buffer_load_dwordx4 v[10:13], v26, s[12:15], 0 offen
	buffer_load_dwordx4 v[14:17], v26, s[12:15], 0 offen offset:256
	buffer_load_dwordx4 v[18:21], v26, s[12:15], s0 offen
	buffer_load_dwordx4 v[22:25], v26, s[12:15], s0 offen offset:256
.LBB757_60:
	ds_read2st64_b64 v[30:33], v46 offset0:76 offset1:77
	ds_read2st64_b64 v[26:29], v46 offset0:78 offset1:79
	ds_read_b64 v[42:43], v36 offset:24576
	ds_read_b64 v[40:41], v37 offset:24576
	;; [unrolled: 1-line block ×4, first 2 shown]
	v_and_b32_e32 v47, 6, v0
	v_xor_b32_e32 v35, v35, v47
	v_lshlrev_b32_e32 v35, 2, v35
	v_and_b32_e32 v51, 1, v0
	v_xor_b32_e32 v52, 0x440, v35
	v_cmp_eq_u32_e32 vcc, 0, v51
	s_mov_b32 s0, 0x1000504
	s_waitcnt vmcnt(0)
	v_perm_b32 v51, v18, v22, s0
	v_cndmask_b32_e32 v35, v52, v35, vcc
	v_lshl_or_b32 v35, v47, 10, v35
	v_perm_b32 v47, v10, v14, s0
	ds_write2st64_b32 v35, v47, v51 offset1:32
	v_xor_b32_e32 v47, 8, v35
	s_mov_b32 s1, 0x3020706
	v_perm_b32 v10, v10, v14, s1
	v_perm_b32 v14, v18, v22, s1
	v_add_u32_e32 v18, 0x80, v47
	ds_write2st64_b32 v18, v10, v14 offset1:32
	v_xor_b32_e32 v10, 16, v35
	v_perm_b32 v14, v11, v15, s0
	v_perm_b32 v18, v19, v23, s0
	ds_write2st64_b32 v10, v14, v18 offset0:1 offset1:33
	v_xor_b32_e32 v10, 24, v35
	v_perm_b32 v11, v11, v15, s1
	v_perm_b32 v14, v19, v23, s1
	v_add_u32_e32 v10, 0x80, v10
	ds_write2st64_b32 v10, v11, v14 offset0:1 offset1:33
	v_xor_b32_e32 v10, 32, v35
	v_perm_b32 v11, v12, v16, s0
	v_perm_b32 v14, v20, v24, s0
	ds_write2st64_b32 v10, v11, v14 offset0:2 offset1:34
	v_xor_b32_e32 v10, 40, v35
	v_perm_b32 v11, v12, v16, s1
	v_perm_b32 v12, v20, v24, s1
	v_add_u32_e32 v10, 0x80, v10
	ds_write2st64_b32 v10, v11, v12 offset0:2 offset1:34
	v_xor_b32_e32 v10, 48, v35
	v_perm_b32 v11, v13, v17, s0
	v_perm_b32 v12, v21, v25, s0
	ds_write2st64_b32 v10, v11, v12 offset0:3 offset1:35
	v_xor_b32_e32 v10, 56, v35
	v_and_or_b32 v18, v50, 12, v49
	v_perm_b32 v11, v13, v17, s1
	v_perm_b32 v12, v21, v25, s1
	v_add_u32_e32 v10, 0x80, v10
	v_cmp_gt_i32_e32 vcc, s51, v18
	v_mov_b32_e32 v20, 0
	v_mov_b32_e32 v24, 0
	ds_write2st64_b32 v10, v11, v12 offset0:3 offset1:35
	s_and_saveexec_b64 s[0:1], vcc
	s_cbranch_execz .LBB757_62
; %bb.61:
	v_add_u32_e32 v10, s24, v18
	v_ashrrev_i32_e32 v11, 31, v10
	v_mul_lo_u32 v12, v11, s10
	v_mul_lo_u32 v13, v10, s11
	v_mad_u64_u32 v[10:11], s[2:3], v10, s10, 0
	v_add3_u32 v11, v11, v13, v12
	v_lshl_add_u64 v[10:11], v[10:11], 2, s[18:19]
	global_load_dword v10, v[10:11], off
	s_waitcnt vmcnt(0)
	v_sub_f32_e32 v10, s20, v10
	v_mul_f32_e32 v10, 0x3fb8aa3b, v10
	v_exp_f32_e32 v24, v10
.LBB757_62:
	s_or_b64 exec, exec, s[0:1]
	v_or_b32_e32 v23, 1, v18
	v_cmp_gt_i32_e64 s[4:5], s51, v23
	s_and_saveexec_b64 s[0:1], s[4:5]
	s_cbranch_execz .LBB757_64
; %bb.63:
	v_add_u32_e32 v10, s24, v23
	v_ashrrev_i32_e32 v11, 31, v10
	v_mul_lo_u32 v12, v11, s10
	v_mul_lo_u32 v13, v10, s11
	v_mad_u64_u32 v[10:11], s[2:3], v10, s10, 0
	v_add3_u32 v11, v11, v13, v12
	v_lshl_add_u64 v[10:11], v[10:11], 2, s[18:19]
	global_load_dword v10, v[10:11], off
	s_waitcnt vmcnt(0)
	v_sub_f32_e32 v10, s20, v10
	v_mul_f32_e32 v10, 0x3fb8aa3b, v10
	v_exp_f32_e32 v20, v10
.LBB757_64:
	s_or_b64 exec, exec, s[0:1]
	v_or_b32_e32 v21, 2, v18
	v_cmp_gt_i32_e64 s[0:1], s51, v21
	v_mov_b32_e32 v19, 0
	v_mov_b32_e32 v25, 0
	s_and_saveexec_b64 s[2:3], s[0:1]
	s_cbranch_execz .LBB757_66
; %bb.65:
	v_add_u32_e32 v10, s24, v21
	v_ashrrev_i32_e32 v11, 31, v10
	v_mul_lo_u32 v12, v11, s10
	v_mul_lo_u32 v13, v10, s11
	v_mad_u64_u32 v[10:11], s[12:13], v10, s10, 0
	v_add3_u32 v11, v11, v13, v12
	v_lshl_add_u64 v[10:11], v[10:11], 2, s[18:19]
	global_load_dword v10, v[10:11], off
	s_waitcnt vmcnt(0)
	v_sub_f32_e32 v10, s20, v10
	v_mul_f32_e32 v10, 0x3fb8aa3b, v10
	v_exp_f32_e32 v25, v10
.LBB757_66:
	s_or_b64 exec, exec, s[2:3]
	v_or_b32_e32 v22, 3, v18
	v_cmp_gt_i32_e64 s[2:3], s51, v22
	s_and_saveexec_b64 s[12:13], s[2:3]
	s_cbranch_execz .LBB757_68
; %bb.67:
	v_add_u32_e32 v10, s24, v22
	v_ashrrev_i32_e32 v11, 31, v10
	v_mul_lo_u32 v12, v11, s10
	v_mul_lo_u32 v13, v10, s11
	v_mad_u64_u32 v[10:11], s[10:11], v10, s10, 0
	v_add3_u32 v11, v11, v13, v12
	v_lshl_add_u64 v[10:11], v[10:11], 2, s[18:19]
	global_load_dword v10, v[10:11], off
	s_waitcnt vmcnt(0)
	v_sub_f32_e32 v10, s20, v10
	v_mul_f32_e32 v10, 0x3fb8aa3b, v10
	v_exp_f32_e32 v19, v10
.LBB757_68:
	s_or_b64 exec, exec, s[12:13]
	s_waitcnt lgkmcnt(11)
	v_mfma_f32_16x16x16_bf16 a[0:3], v[42:43], v[30:31], a[0:3]
	s_add_u32 s10, s16, s36
	s_addc_u32 s11, s17, s37
	v_ashrrev_i32_e32 v35, 31, v34
	s_waitcnt lgkmcnt(10)
	v_mfma_f32_16x16x16_bf16 a[0:3], v[40:41], v[32:33], a[0:3]
	s_add_u32 s6, s6, s36
	v_lshlrev_b64 v[10:11], 1, v[34:35]
	s_addc_u32 s7, s7, s37
	s_waitcnt lgkmcnt(9)
	v_mfma_f32_16x16x16_bf16 a[0:3], v[38:39], v[26:27], a[0:3]
	v_lshl_add_u64 v[14:15], s[10:11], 0, v[10:11]
	v_lshl_add_u64 v[16:17], s[6:7], 0, v[10:11]
	v_mov_b32_e32 v26, 0
	s_waitcnt lgkmcnt(8)
	v_mfma_f32_16x16x16_bf16 a[0:3], v[36:37], v[28:29], a[0:3]
	v_mov_b32_e32 v27, 0
	s_nop 5
	v_accvgpr_read_b32 v13, a3
	v_accvgpr_read_b32 v12, a2
	;; [unrolled: 1-line block ×4, first 2 shown]
	s_and_saveexec_b64 s[6:7], vcc
	s_cbranch_execz .LBB757_70
; %bb.69:
	v_lshlrev_b32_e32 v28, 8, v18
	v_mov_b32_e32 v29, 0
	v_lshl_add_u64 v[30:31], v[14:15], 0, v[28:29]
	global_load_ushort v27, v[30:31], off
	v_lshl_add_u64 v[28:29], v[16:17], 0, v[28:29]
	s_waitcnt vmcnt(0)
	v_lshlrev_b32_e32 v27, 16, v27
	v_sub_f32_e32 v10, v27, v10
	global_store_short_d16_hi v[28:29], v10, off
	v_mul_f32_e32 v10, v24, v10
	v_lshrrev_b32_e32 v27, 16, v10
.LBB757_70:
	s_or_b64 exec, exec, s[6:7]
	s_and_saveexec_b64 s[6:7], s[4:5]
	s_cbranch_execz .LBB757_72
; %bb.71:
	v_lshlrev_b32_e32 v28, 8, v23
	v_mov_b32_e32 v29, 0
	v_lshl_add_u64 v[30:31], v[14:15], 0, v[28:29]
	global_load_ushort v10, v[30:31], off
	v_lshl_add_u64 v[28:29], v[16:17], 0, v[28:29]
	s_waitcnt vmcnt(0)
	v_lshlrev_b32_e32 v10, 16, v10
	v_sub_f32_e32 v10, v10, v11
	global_store_short_d16_hi v[28:29], v10, off
	v_mul_f32_e32 v10, v20, v10
	v_lshrrev_b32_e32 v26, 16, v10
.LBB757_72:
	s_or_b64 exec, exec, s[6:7]
	v_mov_b32_e32 v11, 0
	v_mov_b32_e32 v20, 0
	s_and_saveexec_b64 s[4:5], s[0:1]
	s_cbranch_execz .LBB757_74
; %bb.73:
	v_lshlrev_b32_e32 v20, 8, v21
	v_mov_b32_e32 v21, 0
	v_lshl_add_u64 v[28:29], v[14:15], 0, v[20:21]
	global_load_ushort v10, v[28:29], off
	v_lshl_add_u64 v[20:21], v[16:17], 0, v[20:21]
	s_waitcnt vmcnt(0)
	v_lshlrev_b32_e32 v10, 16, v10
	v_sub_f32_e32 v10, v10, v12
	global_store_short_d16_hi v[20:21], v10, off
	v_mul_f32_e32 v10, v25, v10
	v_lshrrev_b32_e32 v20, 16, v10
.LBB757_74:
	s_or_b64 exec, exec, s[4:5]
	v_or_b32_e32 v10, 0x9800, v46
	s_and_saveexec_b64 s[0:1], s[2:3]
	s_cbranch_execz .LBB757_76
; %bb.75:
	v_lshlrev_b32_e32 v22, 8, v22
	v_mov_b32_e32 v23, 0
	v_lshl_add_u64 v[14:15], v[14:15], 0, v[22:23]
	global_load_ushort v11, v[14:15], off
	v_lshl_add_u64 v[14:15], v[16:17], 0, v[22:23]
	s_waitcnt vmcnt(0)
	v_lshlrev_b32_e32 v11, 16, v11
	v_sub_f32_e32 v11, v11, v13
	global_store_short_d16_hi v[14:15], v11, off
	v_mul_f32_e32 v11, v19, v11
	v_lshrrev_b32_e32 v11, 16, v11
.LBB757_76:
	s_or_b64 exec, exec, s[0:1]
	s_mov_b32 s0, 0x5040100
	v_perm_b32 v13, v11, v20, s0
	v_lshlrev_b32_e32 v11, 1, v44
	v_perm_b32 v12, v26, v27, s0
	v_lshl_or_b32 v11, v18, 5, v11
	s_movk_i32 s0, 0xff
	ds_write_b64 v11, v[12:13] offset:38912
	v_and_b32_e32 v11, 7, v0
	v_and_b32_e32 v12, 8, v0
	v_cmp_lt_u32_e32 vcc, s0, v0
	v_lshrrev_b32_e32 v0, 1, v0
	v_lshlrev_b32_e32 v22, 3, v11
	v_lshlrev_b32_e32 v23, 7, v11
	v_cndmask_b32_e64 v11, 0, 1, vcc
	v_lshlrev_b32_e32 v25, 3, v48
	v_and_b32_e32 v0, 24, v0
	v_lshlrev_b32_e32 v24, 13, v11
	v_xor_b32_e32 v11, v25, v0
	v_or_b32_e32 v13, 0x440, v11
	v_cmp_eq_u32_e32 vcc, 0, v12
	s_waitcnt lgkmcnt(0)
	s_barrier
	v_cndmask_b32_e32 v11, v13, v11, vcc
	v_or_b32_e32 v11, v11, v45
	v_xad_u32 v26, v11, v22, v23
	v_add_u32_e32 v11, v24, v26
	ds_read_b64 v[20:21], v11
	ds_read2st64_b64 v[12:15], v10 offset1:1
	ds_read2st64_b64 v[16:19], v10 offset0:2 offset1:3
	v_or_b32_e32 v10, 32, v0
	v_xor_b32_e32 v10, v25, v10
	v_or_b32_e32 v11, 0x440, v10
	v_cndmask_b32_e32 v10, v11, v10, vcc
	v_or_b32_e32 v10, v10, v45
	v_xad_u32 v27, v10, v22, v23
	v_add_u32_e32 v10, v24, v27
	ds_read_b64 v[10:11], v10
	s_waitcnt lgkmcnt(2)
	v_mfma_f32_16x16x16_bf16 a[0:3], v[20:21], v[12:13], 0
	s_waitcnt lgkmcnt(0)
	v_mfma_f32_16x16x16_bf16 a[0:3], v[10:11], v[14:15], a[0:3]
	v_or_b32_e32 v10, 64, v0
	v_xor_b32_e32 v10, v25, v10
	v_xor_b32_e32 v11, 0x440, v10
	v_cndmask_b32_e32 v10, v11, v10, vcc
	v_or_b32_e32 v10, v10, v45
	v_xad_u32 v28, v10, v22, v23
	v_add_u32_e32 v10, v24, v28
	ds_read_b64 v[10:11], v10
	v_or_b32_e32 v0, 0x60, v0
	v_xor_b32_e32 v0, v25, v0
	v_xor_b32_e32 v20, 0x440, v0
	v_cndmask_b32_e32 v0, v20, v0, vcc
	v_or_b32_e32 v0, v0, v45
	v_xad_u32 v0, v0, v22, v23
	v_add_u32_e32 v20, v24, v0
	ds_read_b64 v[20:21], v20
	s_waitcnt lgkmcnt(1)
	v_mfma_f32_16x16x16_bf16 a[0:3], v[10:11], v[16:17], a[0:3]
	ds_read_b64 v[10:11], v26 offset:8192
	ds_read_b64 v[22:23], v27 offset:8192
	v_mov_b32_e32 v24, 0x3fb8aa3b
	s_waitcnt lgkmcnt(2)
	v_mfma_f32_16x16x16_bf16 a[0:3], v[20:21], v[18:19], a[0:3]
	v_mul_f32_e32 v20, s20, v24
	v_exp_f32_e32 v24, v20
	ds_read_b64 v[20:21], v28 offset:8192
	s_waitcnt lgkmcnt(2)
	v_mfma_f32_16x16x16_bf16 a[4:7], v[10:11], v[12:13], 0
	s_nop 1
	v_accvgpr_read_b32 v10, a0
	v_fma_f32 v12, v2, v24, v10
	ds_read_b64 v[10:11], v0 offset:8192
	s_waitcnt lgkmcnt(2)
	v_mfma_f32_16x16x16_bf16 a[4:7], v[22:23], v[14:15], a[4:7]
	v_accvgpr_read_b32 v0, a1
	v_fma_f32 v13, v3, v24, v0
	v_accvgpr_read_b32 v0, a2
	s_waitcnt lgkmcnt(1)
	v_mfma_f32_16x16x16_bf16 a[4:7], v[20:21], v[16:17], a[4:7]
	v_accvgpr_read_b32 v15, a3
	v_fma_f32 v14, v4, v24, v0
	v_fmac_f32_e32 v15, v5, v24
	s_waitcnt lgkmcnt(0)
	v_mfma_f32_16x16x16_bf16 a[0:3], v[10:11], v[18:19], a[4:7]
	v_mov_b32_e32 v10, v34
	s_nop 5
	v_accvgpr_read_b32 v0, a0
	v_fma_f32 v16, v6, v24, v0
	v_accvgpr_read_b32 v0, a1
	v_fma_f32 v17, v7, v24, v0
	v_accvgpr_read_b32 v0, a2
	v_accvgpr_read_b32 v19, a3
	v_fma_f32 v18, v8, v24, v0
	v_fmac_f32_e32 v19, v9, v24
	v_mov_b64_e32 v[2:3], v[12:13]
	v_mov_b64_e32 v[4:5], v[14:15]
	;; [unrolled: 1-line block ×4, first 2 shown]
.LBB757_77:
	s_mul_i32 s0, s47, s35
	s_mul_hi_u32 s1, s47, s34
	s_add_i32 s0, s1, s0
	s_mul_i32 s1, s33, s34
	s_add_i32 s1, s0, s1
	s_mul_i32 s0, s47, s34
	s_add_u32 s0, s0, s46
	s_addc_u32 s1, s1, s25
	s_lshl_b64 s[0:1], s[0:1], 16
	s_add_u32 s0, s8, s0
	v_lshlrev_b32_e32 v10, 7, v10
	s_addc_u32 s1, s9, s1
	v_ashrrev_i32_e32 v11, 31, v10
	v_lshl_add_u64 v[10:11], v[10:11], 2, s[0:1]
	v_lshlrev_b32_e32 v0, 2, v1
	v_mov_b32_e32 v1, 0
	v_lshl_add_u64 v[0:1], v[10:11], 0, v[0:1]
	global_store_dwordx4 v[0:1], v[2:5], off
	global_store_dwordx4 v[0:1], v[6:9], off offset:256
	s_endpgm
	.section	.rodata,"a",@progbits
	.p2align	6, 0x0
	.amdhsa_kernel _ZN12_GLOBAL__N_139chunk_gated_delta_rule_fwd_h_hip_kernelILi16ELb0ELb1ELb1ELb1ELb0ELb0ELb0ELb0EEEvPK12hip_bfloat16S3_S3_PKfS5_PKvPS1_S8_PvPKiSB_iiiiilll
		.amdhsa_group_segment_fixed_size 40960
		.amdhsa_private_segment_fixed_size 0
		.amdhsa_kernarg_size 136
		.amdhsa_user_sgpr_count 2
		.amdhsa_user_sgpr_dispatch_ptr 0
		.amdhsa_user_sgpr_queue_ptr 0
		.amdhsa_user_sgpr_kernarg_segment_ptr 1
		.amdhsa_user_sgpr_dispatch_id 0
		.amdhsa_user_sgpr_kernarg_preload_length 0
		.amdhsa_user_sgpr_kernarg_preload_offset 0
		.amdhsa_user_sgpr_private_segment_size 0
		.amdhsa_uses_dynamic_stack 0
		.amdhsa_enable_private_segment 0
		.amdhsa_system_sgpr_workgroup_id_x 1
		.amdhsa_system_sgpr_workgroup_id_y 1
		.amdhsa_system_sgpr_workgroup_id_z 0
		.amdhsa_system_sgpr_workgroup_info 0
		.amdhsa_system_vgpr_workitem_id 0
		.amdhsa_next_free_vgpr 116
		.amdhsa_next_free_sgpr 66
		.amdhsa_accum_offset 108
		.amdhsa_reserve_vcc 1
		.amdhsa_float_round_mode_32 0
		.amdhsa_float_round_mode_16_64 0
		.amdhsa_float_denorm_mode_32 3
		.amdhsa_float_denorm_mode_16_64 3
		.amdhsa_dx10_clamp 1
		.amdhsa_ieee_mode 1
		.amdhsa_fp16_overflow 0
		.amdhsa_tg_split 0
		.amdhsa_exception_fp_ieee_invalid_op 0
		.amdhsa_exception_fp_denorm_src 0
		.amdhsa_exception_fp_ieee_div_zero 0
		.amdhsa_exception_fp_ieee_overflow 0
		.amdhsa_exception_fp_ieee_underflow 0
		.amdhsa_exception_fp_ieee_inexact 0
		.amdhsa_exception_int_div_zero 0
	.end_amdhsa_kernel
	.section	.text._ZN12_GLOBAL__N_139chunk_gated_delta_rule_fwd_h_hip_kernelILi16ELb0ELb1ELb1ELb1ELb0ELb0ELb0ELb0EEEvPK12hip_bfloat16S3_S3_PKfS5_PKvPS1_S8_PvPKiSB_iiiiilll,"axG",@progbits,_ZN12_GLOBAL__N_139chunk_gated_delta_rule_fwd_h_hip_kernelILi16ELb0ELb1ELb1ELb1ELb0ELb0ELb0ELb0EEEvPK12hip_bfloat16S3_S3_PKfS5_PKvPS1_S8_PvPKiSB_iiiiilll,comdat
.Lfunc_end757:
	.size	_ZN12_GLOBAL__N_139chunk_gated_delta_rule_fwd_h_hip_kernelILi16ELb0ELb1ELb1ELb1ELb0ELb0ELb0ELb0EEEvPK12hip_bfloat16S3_S3_PKfS5_PKvPS1_S8_PvPKiSB_iiiiilll, .Lfunc_end757-_ZN12_GLOBAL__N_139chunk_gated_delta_rule_fwd_h_hip_kernelILi16ELb0ELb1ELb1ELb1ELb0ELb0ELb0ELb0EEEvPK12hip_bfloat16S3_S3_PKfS5_PKvPS1_S8_PvPKiSB_iiiiilll
                                        ; -- End function
	.section	.AMDGPU.csdata,"",@progbits
; Kernel info:
; codeLenInByte = 7904
; NumSgprs: 72
; NumVgprs: 108
; NumAgprs: 8
; TotalNumVgprs: 116
; ScratchSize: 0
; MemoryBound: 0
; FloatMode: 240
; IeeeMode: 1
; LDSByteSize: 40960 bytes/workgroup (compile time only)
; SGPRBlocks: 8
; VGPRBlocks: 14
; NumSGPRsForWavesPerEU: 72
; NumVGPRsForWavesPerEU: 116
; AccumOffset: 108
; Occupancy: 1
; WaveLimiterHint : 1
; COMPUTE_PGM_RSRC2:SCRATCH_EN: 0
; COMPUTE_PGM_RSRC2:USER_SGPR: 2
; COMPUTE_PGM_RSRC2:TRAP_HANDLER: 0
; COMPUTE_PGM_RSRC2:TGID_X_EN: 1
; COMPUTE_PGM_RSRC2:TGID_Y_EN: 1
; COMPUTE_PGM_RSRC2:TGID_Z_EN: 0
; COMPUTE_PGM_RSRC2:TIDIG_COMP_CNT: 0
; COMPUTE_PGM_RSRC3_GFX90A:ACCUM_OFFSET: 26
; COMPUTE_PGM_RSRC3_GFX90A:TG_SPLIT: 0
	.section	.text._ZN12_GLOBAL__N_139chunk_gated_delta_rule_fwd_h_hip_kernelILi16ELb0ELb1ELb0ELb1ELb0ELb0ELb0ELb0EEEvPK12hip_bfloat16S3_S3_PKfS5_PKvPS1_S8_PvPKiSB_iiiiilll,"axG",@progbits,_ZN12_GLOBAL__N_139chunk_gated_delta_rule_fwd_h_hip_kernelILi16ELb0ELb1ELb0ELb1ELb0ELb0ELb0ELb0EEEvPK12hip_bfloat16S3_S3_PKfS5_PKvPS1_S8_PvPKiSB_iiiiilll,comdat
	.globl	_ZN12_GLOBAL__N_139chunk_gated_delta_rule_fwd_h_hip_kernelILi16ELb0ELb1ELb0ELb1ELb0ELb0ELb0ELb0EEEvPK12hip_bfloat16S3_S3_PKfS5_PKvPS1_S8_PvPKiSB_iiiiilll ; -- Begin function _ZN12_GLOBAL__N_139chunk_gated_delta_rule_fwd_h_hip_kernelILi16ELb0ELb1ELb0ELb1ELb0ELb0ELb0ELb0EEEvPK12hip_bfloat16S3_S3_PKfS5_PKvPS1_S8_PvPKiSB_iiiiilll
	.p2align	8
	.type	_ZN12_GLOBAL__N_139chunk_gated_delta_rule_fwd_h_hip_kernelILi16ELb0ELb1ELb0ELb1ELb0ELb0ELb0ELb0EEEvPK12hip_bfloat16S3_S3_PKfS5_PKvPS1_S8_PvPKiSB_iiiiilll,@function
_ZN12_GLOBAL__N_139chunk_gated_delta_rule_fwd_h_hip_kernelILi16ELb0ELb1ELb0ELb1ELb0ELb0ELb0ELb0EEEvPK12hip_bfloat16S3_S3_PKfS5_PKvPS1_S8_PvPKiSB_iiiiilll: ; @_ZN12_GLOBAL__N_139chunk_gated_delta_rule_fwd_h_hip_kernelILi16ELb0ELb1ELb0ELb1ELb0ELb0ELb0ELb0EEEvPK12hip_bfloat16S3_S3_PKfS5_PKvPS1_S8_PvPKiSB_iiiiilll
; %bb.0:
	s_load_dwordx4 s[16:19], s[0:1], 0x5c
	s_abs_i32 s23, s3
	s_ashr_i32 s22, s3, 31
	s_load_dwordx2 s[20:21], s[0:1], 0x50
	s_load_dwordx8 s[4:11], s[0:1], 0x0
	s_load_dwordx4 s[12:15], s[0:1], 0x40
	s_load_dwordx2 s[40:41], s[0:1], 0x30
	s_waitcnt lgkmcnt(0)
	s_abs_i32 s26, s17
	v_cvt_f32_u32_e32 v1, s26
	s_sub_i32 s24, 0, s26
	s_ashr_i32 s33, s17, 31
	s_xor_b32 s22, s22, s33
	v_rcp_iflag_f32_e32 v1, v1
	v_lshrrev_b32_e32 v46, 6, v0
	v_bfe_u32 v49, v0, 4, 2
	v_lshlrev_b32_e32 v47, 4, v46
	v_mul_f32_e32 v1, 0x4f7ffffe, v1
	v_cvt_u32_f32_e32 v1, v1
	v_lshlrev_b32_e32 v10, 2, v49
	v_and_b32_e32 v48, 63, v0
	v_mov_b32_e32 v9, 0
	v_readfirstlane_b32 s25, v1
	s_mul_i32 s24, s24, s25
	s_mul_hi_u32 s24, s25, s24
	s_add_i32 s25, s25, s24
	s_mul_hi_u32 s24, s23, s25
	s_mul_i32 s25, s24, s26
	s_sub_i32 s23, s23, s25
	s_add_i32 s27, s24, 1
	s_sub_i32 s25, s23, s26
	s_cmp_ge_u32 s23, s26
	s_cselect_b32 s24, s27, s24
	s_cselect_b32 s23, s25, s23
	s_add_i32 s25, s24, 1
	s_cmp_ge_u32 s23, s26
	s_cselect_b32 s23, s25, s24
	s_xor_b32 s23, s23, s22
	s_sub_i32 s34, s23, s22
	s_mul_i32 s22, s34, s17
	s_ashr_i32 s35, s34, 31
	s_sub_i32 s44, s3, s22
	s_lshl_b64 s[22:23], s[34:35], 2
	s_add_u32 s14, s14, s22
	s_addc_u32 s15, s15, s23
	s_add_u32 s24, s20, s22
	s_addc_u32 s25, s21, s23
	s_abs_i32 s3, s18
	v_cvt_f32_u32_e32 v1, s3
	s_load_dwordx2 s[36:37], s[14:15], 0x0
	s_sub_i32 s15, 0, s3
	s_mov_b32 s45, s17
	v_rcp_iflag_f32_e32 v1, v1
	v_and_b32_e32 v50, 15, v0
	s_waitcnt lgkmcnt(0)
	s_sub_i32 s49, s37, s36
	s_ashr_i32 s14, s49, 31
	v_mul_f32_e32 v1, 0x4f7ffffe, v1
	v_cvt_u32_f32_e32 v1, v1
	s_lshr_b32 s14, s14, 26
	s_add_i32 s14, s49, s14
	s_ashr_i32 s50, s14, 6
	v_readfirstlane_b32 s20, v1
	s_mul_i32 s15, s15, s20
	s_mul_hi_u32 s15, s20, s15
	s_add_i32 s20, s20, s15
	s_mul_hi_u32 s15, s26, s20
	s_mul_i32 s20, s15, s3
	s_ashr_i32 s14, s18, 31
	s_sub_i32 s20, s26, s20
	s_xor_b32 s14, s33, s14
	s_add_i32 s21, s15, 1
	s_sub_i32 s22, s20, s3
	s_cmp_ge_u32 s20, s3
	s_cselect_b32 s15, s21, s15
	s_cselect_b32 s20, s22, s20
	s_add_i32 s21, s15, 1
	s_cmp_ge_u32 s20, s3
	s_cselect_b32 s3, s21, s15
	s_xor_b32 s3, s3, s14
	s_sub_i32 s3, s3, s14
	s_abs_i32 s26, s3
	v_cvt_f32_u32_e32 v1, s26
	s_load_dwordx2 s[14:15], s[0:1], 0x80
	s_load_dwordx4 s[20:23], s[0:1], 0x70
	s_load_dword s51, s[24:25], 0x0
	s_xor_b32 s0, s44, s3
	v_rcp_iflag_f32_e32 v1, v1
	s_sub_i32 s3, 0, s26
	s_abs_i32 s1, s44
	s_ashr_i32 s0, s0, 31
	v_mul_f32_e32 v1, 0x4f7ffffe, v1
	v_cvt_u32_f32_e32 v1, v1
	s_mul_hi_i32 s52, s44, s16
	s_mul_i32 s53, s44, s16
	v_lshrrev_b32_e32 v52, 3, v48
	v_readfirstlane_b32 s24, v1
	s_mul_i32 s3, s3, s24
	s_mul_hi_u32 s3, s24, s3
	s_add_i32 s24, s24, s3
	s_mul_hi_u32 s3, s1, s24
	s_mul_i32 s24, s3, s26
	s_sub_i32 s1, s1, s24
	s_add_i32 s24, s3, 1
	s_sub_i32 s25, s1, s26
	s_cmp_ge_u32 s1, s26
	s_cselect_b32 s3, s24, s3
	s_cselect_b32 s1, s25, s1
	s_add_i32 s24, s3, 1
	s_cmp_ge_u32 s1, s26
	s_cselect_b32 s1, s24, s3
	s_xor_b32 s1, s1, s0
	s_sub_i32 s54, s1, s0
	v_or_b32_e32 v1, v10, v47
	s_lshl_b32 s2, s2, 4
	v_or_b32_e32 v53, 64, v1
	s_cmp_lt_i32 s49, 64
	v_lshlrev_b32_e32 v51, 3, v0
	s_waitcnt lgkmcnt(0)
	s_mul_i32 s46, s34, s21
	s_mul_hi_u32 s47, s34, s20
	s_mul_i32 s48, s35, s20
	s_mul_i32 s38, s34, s20
	v_mov_b32_e32 v8, v9
	v_mov_b32_e32 v7, v9
	;; [unrolled: 1-line block ×7, first 2 shown]
	s_cbranch_scc1 .LBB758_18
; %bb.1:
	s_ashr_i32 s56, s44, 31
	s_ashr_i32 s1, s36, 31
	s_add_u32 s0, s53, s36
	s_addc_u32 s1, s52, s1
	s_lshl_b64 s[0:1], s[0:1], 8
	v_and_b32_e32 v55, 56, v51
	s_add_u32 s24, s6, s0
	v_lshl_or_b32 v54, v46, 3, v52
	v_lshlrev_b32_e32 v3, 1, v55
	s_addc_u32 s0, s7, s1
	v_lshl_or_b32 v56, v54, 8, v3
	s_and_b32 s25, s0, 0xffff
	s_mov_b32 s27, 0x20000
	s_movk_i32 s26, 0x4000
	s_movk_i32 s0, 0x80
	v_or_b32_e32 v57, 0x2000, v56
	buffer_load_dwordx4 v[4:7], v56, s[24:27], 0 offen
	buffer_load_dwordx4 v[12:15], v56, s[24:27], s0 offen
	;; [unrolled: 1-line block ×4, first 2 shown]
	v_lshlrev_b32_e32 v2, 3, v54
	v_and_or_b32 v9, v0, 7, v2
	v_and_b32_e32 v2, 0x78, v2
	v_lshlrev_b32_e32 v9, 4, v9
	v_xor_b32_e32 v58, v9, v2
	v_mul_lo_u32 v8, v54, s19
	v_or_b32_e32 v59, 0x1000, v58
	v_xor_b32_e32 v2, 8, v58
	s_cmpk_eq_i32 s19, 0x80
	s_mov_b32 s55, s36
	v_xor_b32_e32 v9, 8, v59
	s_cselect_b64 s[0:1], -1, 0
	s_cmpk_lg_i32 s19, 0x80
	s_waitcnt vmcnt(3)
	ds_write_b64 v58, v[4:5] offset:16384
	ds_write_b64 v2, v[6:7] offset:16384
	s_waitcnt vmcnt(2)
	ds_write_b64 v58, v[12:13] offset:24576
	ds_write_b64 v2, v[14:15] offset:24576
	s_waitcnt vmcnt(1)
	ds_write_b64 v58, v[16:17] offset:20480
	ds_write_b64 v9, v[18:19] offset:16384
	s_waitcnt vmcnt(0)
	ds_write_b64 v58, v[20:21] offset:28672
	ds_write_b64 v9, v[22:23] offset:24576
	v_lshl_add_u32 v2, v8, 1, v55
	s_cbranch_scc0 .LBB758_3
; %bb.2:
	v_lshlrev_b32_e32 v6, 1, v2
	v_add_lshl_u32 v5, v2, s19, 1
	s_lshl_b32 s26, s19, 7
	v_lshl_or_b32 v4, v54, 9, v3
	s_cbranch_execz .LBB758_4
	s_branch .LBB758_5
.LBB758_3:
                                        ; implicit-def: $vgpr5
                                        ; implicit-def: $vgpr6
                                        ; implicit-def: $sgpr26
	v_lshl_or_b32 v4, v54, 9, v3
.LBB758_4:
	v_or_b32_e32 v5, 0x100, v4
	s_movk_i32 s26, 0x4000
	v_mov_b32_e32 v6, v4
.LBB758_5:
	s_mul_i32 s20, s36, s18
	s_ashr_i32 s57, s54, 31
	s_mul_hi_i32 s3, s36, s18
	s_add_u32 s20, s20, s54
	s_addc_u32 s21, s3, s57
	s_lshl_b64 s[20:21], s[20:21], 8
	s_add_u32 s24, s4, s20
	s_addc_u32 s3, s5, s21
	s_and_b32 s25, s3, 0xffff
	s_movk_i32 s58, 0x80
	buffer_load_dwordx4 v[12:15], v6, s[24:27], 0 offen
	buffer_load_dwordx4 v[16:19], v6, s[24:27], s58 offen
	;; [unrolled: 1-line block ×4, first 2 shown]
	v_and_b32_e32 v3, 6, v0
	v_lshlrev_b32_e32 v6, 2, v50
	v_lshlrev_b32_e32 v7, 3, v50
	v_xor_b32_e32 v9, v54, v3
	v_and_b32_e32 v5, 1, v0
	v_lshl_or_b32 v7, v1, 5, v7
	v_xor_b32_e32 v11, v1, v6
	v_lshlrev_b32_e32 v9, 2, v9
	s_mul_i32 s3, s44, s23
	s_mul_hi_u32 s21, s44, s22
	v_or_b32_e32 v60, 0x9000, v7
	v_or_b32_e32 v61, 0x9800, v7
	v_lshlrev_b32_e32 v7, 1, v11
	v_xor_b32_e32 v11, 0x440, v9
	v_cmp_eq_u32_e32 vcc, 0, v5
	s_add_i32 s25, s47, s46
	s_mul_i32 s24, s56, s22
	v_cndmask_b32_e32 v5, v11, v9, vcc
	s_add_i32 s3, s21, s3
	s_add_i32 s39, s25, s48
	s_mov_b32 s59, 0x1000504
	v_lshlrev_b32_e32 v8, 8, v50
	s_mov_b32 s26, 0x8000
	v_xor_b32_e32 v6, v53, v6
	v_lshl_or_b32 v3, v3, 10, v5
	s_add_i32 s21, s3, s24
	s_lshl_b64 s[24:25], s[38:39], 2
	s_mov_b32 s60, 0x3020706
	s_mul_i32 s20, s44, s22
	v_lshlrev_b32_e32 v6, 1, v6
	v_or3_b32 v62, v7, v8, s26
	v_xor_b32_e32 v5, 8, v3
	v_xor_b32_e32 v7, 24, v3
	v_xor_b32_e32 v9, 40, v3
	v_xor_b32_e32 v28, 56, v3
	s_add_u32 s3, s10, s24
	v_or3_b32 v63, v6, v8, s26
	v_xor_b32_e32 v6, 16, v3
	v_xor_b32_e32 v8, 32, v3
	;; [unrolled: 1-line block ×3, first 2 shown]
	v_add_u32_e32 v5, 0x80, v5
	v_add_u32_e32 v7, 0x80, v7
	;; [unrolled: 1-line block ×4, first 2 shown]
	s_addc_u32 s24, s11, s25
	s_lshl_b64 s[20:21], s[20:21], 2
	s_add_u32 s20, s3, s20
	s_movk_i32 s3, 0xf8
	s_addc_u32 s21, s24, s21
	s_lshl_b32 s30, s19, 7
	s_mov_b32 s61, 0
	v_add_u32_e32 v78, v47, v10
	v_mov_b32_e32 v79, 0x3fb8aa3b
	s_waitcnt vmcnt(1)
	v_perm_b32 v29, v12, v20, s59
	s_waitcnt vmcnt(0)
	v_perm_b32 v30, v16, v24, s59
	v_perm_b32 v12, v12, v20, s60
	;; [unrolled: 1-line block ×15, first 2 shown]
	ds_write2st64_b32 v3, v29, v30 offset1:32
	ds_write2st64_b32 v5, v12, v16 offset1:32
	ds_write2st64_b32 v6, v20, v24 offset0:1 offset1:33
	ds_write2st64_b32 v7, v13, v17 offset0:1 offset1:33
	;; [unrolled: 1-line block ×6, first 2 shown]
	v_or_b32_e32 v3, v47, v50
	v_lshlrev_b32_e32 v3, 3, v3
	v_lshrrev_b32_e32 v7, 5, v48
	v_and_or_b32 v7, v3, s3, v7
	v_lshlrev_b32_e32 v7, 4, v7
	v_lshlrev_b32_e32 v5, 11, v46
	v_and_b32_e32 v3, 0x78, v3
	v_or_b32_e32 v12, 32, v7
	v_and_b32_e32 v6, 0x1000, v5
	v_lshrrev_b32_e32 v11, 1, v0
	v_xor_b32_e32 v12, v12, v3
	v_and_b32_e32 v9, 8, v11
	v_or_b32_e32 v12, v12, v6
	v_xor_b32_e32 v8, v7, v3
	v_xor_b32_e32 v66, v12, v9
	v_or_b32_e32 v12, 64, v7
	v_or_b32_e32 v7, 0x60, v7
	;; [unrolled: 1-line block ×3, first 2 shown]
	v_xor_b32_e32 v12, v12, v3
	v_xor_b32_e32 v3, v7, v3
	;; [unrolled: 1-line block ×3, first 2 shown]
	v_and_b32_e32 v8, 0x78, v51
	v_or_b32_e32 v12, v12, v6
	v_or_b32_e32 v3, v3, v6
	v_lshl_or_b32 v8, v49, 7, v8
	v_xor_b32_e32 v67, v12, v9
	v_xor_b32_e32 v68, v3, v9
	v_lshlrev_b32_e32 v12, 1, v2
	v_add_lshl_u32 v13, v2, s19, 1
	v_lshrrev_b32_e32 v2, 4, v0
	v_lshlrev_b32_e32 v3, 1, v50
	v_or_b32_e32 v65, 0x9000, v8
	v_or_b32_e32 v69, 0x9800, v8
	s_ashr_i32 s3, s2, 31
	v_or_b32_e32 v8, 1, v3
	v_xor_b32_e32 v3, v2, v3
	s_lshl_b64 s[24:25], s[2:3], 8
	v_xor_b32_e32 v8, v8, v2
	v_lshlrev_b32_e32 v3, 3, v3
	v_lshlrev_b32_e32 v2, 8, v2
	s_add_u32 s24, s40, s24
	v_or3_b32 v70, v3, v2, s26
	v_lshlrev_b32_e32 v3, 3, v8
	s_addc_u32 s25, s41, s25
	v_or3_b32 v71, v3, v2, s26
	v_mov_b32_e32 v3, 0
	v_lshl_add_u64 v[8:9], s[24:25], 0, v[2:3]
	v_lshlrev_b32_e32 v2, 4, v50
	s_movk_i32 s3, 0xff
	v_lshlrev_b32_e32 v16, 3, v46
	v_and_b32_e32 v11, 24, v11
	v_lshl_add_u64 v[42:43], v[8:9], 0, v[2:3]
	v_and_b32_e32 v8, 8, v0
	v_cmp_lt_u32_e32 vcc, s3, v0
	v_xor_b32_e32 v17, v16, v11
	v_or_b32_e32 v18, 0x440, v17
	v_cndmask_b32_e64 v15, 0, 1, vcc
	v_cmp_eq_u32_e32 vcc, 0, v8
	v_and_b32_e32 v2, 7, v0
	v_lshlrev_b32_e32 v9, 3, v2
	v_cndmask_b32_e32 v8, v18, v17, vcc
	v_lshlrev_b32_e32 v2, 7, v2
	v_or_b32_e32 v8, v8, v5
	v_xad_u32 v72, v8, v9, v2
	v_or_b32_e32 v8, 32, v11
	v_xor_b32_e32 v8, v16, v8
	v_or_b32_e32 v17, 0x440, v8
	v_cndmask_b32_e32 v8, v17, v8, vcc
	v_or_b32_e32 v8, v8, v5
	v_xad_u32 v73, v8, v9, v2
	v_or_b32_e32 v8, 64, v11
	v_xor_b32_e32 v8, v16, v8
	v_xor_b32_e32 v17, 0x440, v8
	v_cndmask_b32_e32 v8, v17, v8, vcc
	v_or_b32_e32 v8, v8, v5
	v_xad_u32 v74, v8, v9, v2
	v_or_b32_e32 v8, 0x60, v11
	v_xor_b32_e32 v8, v16, v8
	v_xor_b32_e32 v11, 0x440, v8
	v_or_b32_e32 v6, s2, v50
	v_cndmask_b32_e32 v8, v11, v8, vcc
	v_ashrrev_i32_e32 v7, 31, v6
	v_or_b32_e32 v5, v8, v5
	v_lshl_add_u64 v[6:7], v[6:7], 1, s[8:9]
	v_or_b32_e32 v14, 0x100, v4
	v_lshlrev_b32_e32 v15, 13, v15
	v_xad_u32 v75, v5, v9, v2
	v_lshlrev_b32_e32 v2, 8, v1
	v_cndmask_b32_e64 v76, v12, v4, s[0:1]
	v_cndmask_b32_e64 v77, v13, v14, s[0:1]
	v_lshl_add_u64 v[44:45], v[6:7], 0, v[2:3]
	s_mov_b32 s3, 0x7060302
	s_movk_i32 s26, 0x4000
	v_add_u32_e32 v80, v15, v72
	v_add_u32_e32 v81, v15, v73
	;; [unrolled: 1-line block ×4, first 2 shown]
	v_mov_b32_e32 v2, v3
	v_mov_b32_e32 v4, v3
	;; [unrolled: 1-line block ×7, first 2 shown]
	s_waitcnt lgkmcnt(0)
	s_barrier
.LBB758_6:                              ; =>This Inner Loop Header: Depth=1
	s_add_i32 s39, s61, 1
	s_cmp_lt_i32 s39, s50
	s_mov_b64 s[28:29], 0
	s_cselect_b64 s[42:43], -1, 0
	s_cmp_ge_i32 s39, s50
	s_mov_b64 s[24:25], 0
	s_cbranch_scc1 .LBB758_8
; %bb.7:                                ;   in Loop: Header=BB758_6 Depth=1
	s_add_i32 s0, s55, 64
	s_ashr_i32 s1, s0, 31
	s_add_u32 s0, s53, s0
	s_addc_u32 s1, s52, s1
	s_lshl_b64 s[0:1], s[0:1], 8
	s_add_u32 s24, s6, s0
	s_addc_u32 s25, s7, s1
.LBB758_8:                              ;   in Loop: Header=BB758_6 Depth=1
	v_cndmask_b32_e64 v5, 0, 1, s[42:43]
	v_cmp_ne_u32_e64 s[0:1], 1, v5
	s_andn2_b64 vcc, exec, s[42:43]
	s_cbranch_vccnz .LBB758_10
; %bb.9:                                ;   in Loop: Header=BB758_6 Depth=1
	s_add_i32 s28, s55, 64
	s_mul_hi_i32 s29, s28, s18
	s_mul_i32 s28, s28, s18
	s_add_u32 s28, s28, s54
	s_addc_u32 s29, s29, s57
	s_lshl_b64 s[28:29], s[28:29], 8
	s_add_u32 s28, s4, s28
	s_addc_u32 s29, s5, s29
.LBB758_10:                             ;   in Loop: Header=BB758_6 Depth=1
	v_perm_b32 v11, v85, v4, s3
	v_perm_b32 v10, v3, v2, s3
	;; [unrolled: 1-line block ×4, first 2 shown]
	ds_write_b64 v60, v[10:11]
	ds_write_b64 v61, v[12:13]
	;; [unrolled: 1-line block ×4, first 2 shown]
	s_waitcnt lgkmcnt(0)
	s_barrier
	ds_read_b64 v[18:19], v64 offset:16384
	ds_read_b64 v[20:21], v66 offset:16384
	ds_read2st64_b64 v[10:13], v65 offset1:1
	s_waitcnt lgkmcnt(0)
	v_mfma_f32_16x16x16_bf16 a[0:3], v[18:19], v[10:11], 0
	ds_read2st64_b64 v[14:17], v65 offset0:2 offset1:3
	ds_read_b64 v[22:23], v67 offset:16384
	ds_read_b64 v[10:11], v68 offset:16384
	s_add_i32 s31, s55, 63
	v_mfma_f32_16x16x16_bf16 a[0:3], v[20:21], v[12:13], a[0:3]
	s_ashr_i32 s42, s31, 31
	s_mul_i32 s43, s31, s15
	s_mul_hi_u32 s62, s31, s14
	s_waitcnt lgkmcnt(1)
	v_mfma_f32_16x16x16_bf16 a[0:3], v[22:23], v[14:15], a[0:3]
	s_add_i32 s43, s62, s43
	s_mul_i32 s42, s42, s14
	s_add_i32 s43, s43, s42
	s_mul_i32 s42, s31, s14
	s_waitcnt lgkmcnt(0)
	v_mfma_f32_16x16x16_bf16 a[0:3], v[10:11], v[16:17], a[0:3]
	s_lshl_b64 s[42:43], s[42:43], 2
	s_add_u32 s42, s20, s42
	s_addc_u32 s43, s21, s43
	s_and_b64 vcc, exec, s[0:1]
	v_mov_b32_e32 v86, 0
	v_mov_b32_e32 v9, 0
	;; [unrolled: 1-line block ×19, first 2 shown]
	s_cbranch_vccnz .LBB758_12
; %bb.11:                               ;   in Loop: Header=BB758_6 Depth=1
	s_and_b32 s25, s25, 0xffff
	buffer_load_dwordx4 v[22:25], v56, s[24:27], 0 offen
	buffer_load_dwordx4 v[18:21], v56, s[24:27], s58 offen
	;; [unrolled: 1-line block ×4, first 2 shown]
	v_mov_b32_e32 v9, v58
	v_mov_b32_e32 v5, v59
.LBB758_12:                             ;   in Loop: Header=BB758_6 Depth=1
	s_waitcnt vmcnt(3)
	v_add_u32_e32 v30, s55, v78
	s_waitcnt vmcnt(1)
	v_ashrrev_i32_e32 v26, 31, v30
	v_mul_lo_u32 v28, v26, s14
	v_mul_lo_u32 v29, v30, s15
	v_mad_u64_u32 v[26:27], s[24:25], v30, s14, 0
	v_add3_u32 v27, v27, v29, v28
	v_lshl_add_u64 v[26:27], v[26:27], 2, s[20:21]
	global_load_dword v92, v[26:27], off
	v_add_u32_e32 v26, 1, v30
	v_ashrrev_i32_e32 v27, 31, v26
	v_mul_lo_u32 v28, v27, s14
	v_mul_lo_u32 v29, v26, s15
	v_mad_u64_u32 v[26:27], s[24:25], v26, s14, 0
	v_add3_u32 v27, v27, v29, v28
	v_add_u32_e32 v28, 2, v30
	v_ashrrev_i32_e32 v29, 31, v28
	v_mul_lo_u32 v31, v29, s14
	v_mul_lo_u32 v32, v28, s15
	v_mad_u64_u32 v[28:29], s[24:25], v28, s14, 0
	v_add_u32_e32 v30, 3, v30
	v_add3_u32 v29, v29, v32, v31
	v_ashrrev_i32_e32 v31, 31, v30
	v_mul_lo_u32 v34, v31, s14
	v_mul_lo_u32 v35, v30, s15
	v_mad_u64_u32 v[30:31], s[24:25], v30, s14, 0
	s_ashr_i32 s25, s55, 31
	s_add_u32 s24, s53, s55
	s_addc_u32 s25, s52, s25
	s_lshl_b64 s[24:25], s[24:25], 8
	v_lshl_add_u64 v[26:27], v[26:27], 2, s[20:21]
	v_lshl_add_u64 v[32:33], v[44:45], 0, s[24:25]
	v_add3_u32 v31, v31, v35, v34
	v_lshl_add_u64 v[28:29], v[28:29], 2, s[20:21]
	global_load_ushort v93, v[32:33], off
	global_load_ushort v94, v[32:33], off offset:256
	global_load_ushort v95, v[32:33], off offset:512
	;; [unrolled: 1-line block ×3, first 2 shown]
	v_lshl_add_u64 v[30:31], v[30:31], 2, s[20:21]
	global_load_dword v97, v[26:27], off
	global_load_dword v98, v[28:29], off
	;; [unrolled: 1-line block ×3, first 2 shown]
	s_load_dword s24, s[42:43], 0x0
	ds_read_b64 v[34:35], v64 offset:24576
	ds_read2st64_b64 v[30:33], v69 offset1:1
	ds_read2st64_b64 v[36:39], v69 offset0:2 offset1:3
	ds_read_b64 v[40:41], v66 offset:24576
	ds_read_b64 v[88:89], v67 offset:24576
	;; [unrolled: 1-line block ×3, first 2 shown]
	s_waitcnt lgkmcnt(0)
	v_mfma_f32_16x16x16_bf16 a[0:3], v[34:35], v[30:31], a[0:3]
	v_mov_b32_e32 v87, 0
	v_mov_b32_e32 v26, 0
	v_mov_b32_e32 v27, 0
	v_mfma_f32_16x16x16_bf16 a[0:3], v[40:41], v[32:33], a[0:3]
	v_mov_b32_e32 v28, 0
	v_mov_b32_e32 v29, 0
	v_mov_b32_e32 v30, 0
	;; [unrolled: 4-line block ×4, first 2 shown]
	s_and_b64 vcc, exec, s[0:1]
	s_waitcnt vmcnt(7)
	v_sub_f32_e32 v37, s24, v92
	v_mul_f32_e32 v37, 0x3fb8aa3b, v37
	v_exp_f32_e32 v92, v37
	v_accvgpr_read_b32 v41, a1
	v_accvgpr_read_b32 v39, a3
	;; [unrolled: 1-line block ×4, first 2 shown]
	s_waitcnt vmcnt(6)
	v_lshlrev_b32_e32 v88, 16, v93
	s_waitcnt vmcnt(5)
	v_lshlrev_b32_e32 v89, 16, v94
	;; [unrolled: 2-line block ×3, first 2 shown]
	s_waitcnt vmcnt(2)
	v_sub_f32_e32 v93, s24, v97
	s_waitcnt vmcnt(1)
	v_sub_f32_e32 v94, s24, v98
	;; [unrolled: 2-line block ×3, first 2 shown]
	v_mul_f32_e32 v37, 0x3fb8aa3b, v93
	v_mul_f32_e32 v94, 0x3fb8aa3b, v94
	;; [unrolled: 1-line block ×3, first 2 shown]
	v_exp_f32_e32 v93, v37
	v_exp_f32_e32 v94, v94
	;; [unrolled: 1-line block ×3, first 2 shown]
	v_lshlrev_b32_e32 v91, 16, v96
	v_pk_add_f32 v[40:41], v[88:89], v[40:41] neg_lo:[0,1] neg_hi:[0,1]
	v_pk_add_f32 v[38:39], v[90:91], v[38:39] neg_lo:[0,1] neg_hi:[0,1]
	v_pk_mul_f32 v[40:41], v[92:93], v[40:41]
	v_pk_mul_f32 v[38:39], v[94:95], v[38:39]
	v_mov_b32_e32 v37, 0
	v_perm_b32 v39, v39, v38, s3
	v_perm_b32 v38, v41, v40, s3
	ds_write_b64 v61, v[38:39]
	v_mov_b32_e32 v38, 0
	v_mov_b32_e32 v39, 0
	;; [unrolled: 1-line block ×4, first 2 shown]
	s_cbranch_vccnz .LBB758_14
; %bb.13:                               ;   in Loop: Header=BB758_6 Depth=1
	s_and_b32 s29, s29, 0xffff
	s_mov_b32 s31, s27
	buffer_load_dwordx4 v[38:41], v76, s[28:31], 0 offen
	buffer_load_dwordx4 v[30:33], v76, s[28:31], s58 offen
	buffer_load_dwordx4 v[34:37], v77, s[28:31], 0 offen
	buffer_load_dwordx4 v[26:29], v77, s[28:31], s58 offen
	v_mov_b32_e32 v86, v55
	v_mov_b32_e32 v87, v54
.LBB758_14:                             ;   in Loop: Header=BB758_6 Depth=1
	s_waitcnt lgkmcnt(0)
	s_barrier
	ds_read_b64 v[96:97], v80
	ds_read2st64_b64 v[88:91], v69 offset1:1
	ds_read2st64_b64 v[92:95], v69 offset0:2 offset1:3
	ds_read_b64 v[98:99], v81
	ds_read_b64 v[100:101], v82
	;; [unrolled: 1-line block ×3, first 2 shown]
	s_waitcnt lgkmcnt(4)
	v_mfma_f32_16x16x16_bf16 a[0:3], v[96:97], v[88:89], 0
	ds_read_b64 v[96:97], v72 offset:8192
	ds_read_b64 v[104:105], v73 offset:8192
	s_add_i32 s25, s51, s61
	s_mul_hi_i32 s29, s25, s45
	s_waitcnt lgkmcnt(1)
	v_mfma_f32_16x16x16_bf16 a[4:7], v[96:97], v[88:89], 0
	s_mul_i32 s25, s25, s45
	s_add_u32 s28, s25, s44
	s_addc_u32 s29, s29, s56
	v_mfma_f32_16x16x16_bf16 a[0:3], v[98:99], v[90:91], a[0:3]
	ds_read_b64 v[96:97], v70
	ds_read_b64 v[98:99], v71
	ds_read_b64 v[88:89], v74 offset:8192
	s_lshl_b64 s[28:29], s[28:29], 15
	v_mfma_f32_16x16x16_bf16 a[0:3], v[100:101], v[92:93], a[0:3]
	ds_read_b64 v[100:101], v75 offset:8192
	s_and_b64 vcc, exec, s[0:1]
	s_waitcnt lgkmcnt(4)
	v_mfma_f32_16x16x16_bf16 a[4:7], v[104:105], v[90:91], a[4:7]
	s_waitcnt lgkmcnt(1)
	v_mfma_f32_16x16x16_bf16 a[4:7], v[88:89], v[92:93], a[4:7]
	v_lshl_add_u64 v[88:89], v[42:43], 0, s[28:29]
	global_store_dwordx4 v[88:89], v[96:99], off
	v_mfma_f32_16x16x16_bf16 a[0:3], v[102:103], v[94:95], a[0:3]
	s_waitcnt lgkmcnt(0)
	v_mfma_f32_16x16x16_bf16 a[4:7], v[100:101], v[94:95], a[4:7]
	s_cbranch_vccnz .LBB758_16
; %bb.15:                               ;   in Loop: Header=BB758_6 Depth=1
	v_lshrrev_b32_e32 v88, 3, v86
	v_and_b32_e32 v88, 6, v88
	v_xor_b32_e32 v87, v88, v87
	v_lshlrev_b32_e32 v87, 2, v87
	v_and_b32_e32 v86, 8, v86
	v_xor_b32_e32 v89, 0x440, v87
	v_cmp_eq_u32_e32 vcc, 0, v86
	s_barrier
	s_nop 0
	v_cndmask_b32_e32 v86, v89, v87, vcc
	v_lshl_or_b32 v86, v88, 10, v86
	s_waitcnt vmcnt(2)
	v_perm_b32 v87, v38, v34, s59
	s_waitcnt vmcnt(1)
	v_perm_b32 v88, v30, v26, s59
	ds_write2st64_b32 v86, v87, v88 offset1:32
	v_xor_b32_e32 v87, 8, v86
	v_perm_b32 v34, v38, v34, s60
	v_perm_b32 v26, v30, v26, s60
	v_add_u32_e32 v30, 0x80, v87
	ds_write2st64_b32 v30, v34, v26 offset1:32
	v_xor_b32_e32 v26, 16, v86
	v_perm_b32 v30, v39, v35, s59
	v_perm_b32 v34, v31, v27, s59
	ds_write2st64_b32 v26, v30, v34 offset0:1 offset1:33
	v_xor_b32_e32 v26, 24, v86
	v_perm_b32 v30, v39, v35, s60
	v_perm_b32 v27, v31, v27, s60
	v_add_u32_e32 v26, 0x80, v26
	ds_write2st64_b32 v26, v30, v27 offset0:1 offset1:33
	v_xor_b32_e32 v26, 32, v86
	v_perm_b32 v27, v40, v36, s59
	v_perm_b32 v30, v32, v28, s59
	ds_write2st64_b32 v26, v27, v30 offset0:2 offset1:34
	v_xor_b32_e32 v26, 40, v86
	v_perm_b32 v27, v40, v36, s60
	v_perm_b32 v28, v32, v28, s60
	v_add_u32_e32 v26, 0x80, v26
	ds_write2st64_b32 v26, v27, v28 offset0:2 offset1:34
	v_xor_b32_e32 v26, 48, v86
	v_perm_b32 v27, v41, v37, s59
	v_perm_b32 v28, v33, v29, s59
	ds_write2st64_b32 v26, v27, v28 offset0:3 offset1:35
	v_xor_b32_e32 v26, 56, v86
	v_perm_b32 v27, v41, v37, s60
	v_perm_b32 v28, v33, v29, s60
	v_add_u32_e32 v26, 0x80, v26
	ds_write2st64_b32 v26, v27, v28 offset0:3 offset1:35
	ds_write_b64 v9, v[22:23] offset:16384
	v_xor_b32_e32 v22, 8, v9
	ds_write_b64 v22, v[24:25] offset:16384
	ds_write_b64 v9, v[18:19] offset:24576
	ds_write_b64 v22, v[20:21] offset:24576
	ds_write_b64 v5, v[14:15] offset:16384
	v_xor_b32_e32 v9, 8, v5
	ds_write_b64 v9, v[16:17] offset:16384
	ds_write_b64 v5, v[10:11] offset:24576
	;; [unrolled: 1-line block ×3, first 2 shown]
.LBB758_16:                             ;   in Loop: Header=BB758_6 Depth=1
	v_mul_f32_e32 v5, s24, v79
	v_exp_f32_e32 v10, v5
	s_nop 1
	v_accvgpr_read_b32 v9, a1
	v_accvgpr_read_b32 v5, a0
	s_add_i32 s55, s55, 64
	v_fma_f32 v3, v3, v10, v9
	v_accvgpr_read_b32 v9, a4
	v_fma_f32 v6, v6, v10, v9
	v_accvgpr_read_b32 v9, a5
	;; [unrolled: 2-line block ×6, first 2 shown]
	v_fmac_f32_e32 v5, v85, v10
	s_cmp_eq_u32 s50, s39
	v_fmac_f32_e32 v9, v84, v10
	s_cbranch_scc1 .LBB758_18
; %bb.17:                               ;   in Loop: Header=BB758_6 Depth=1
	s_mov_b32 s61, s39
	v_mov_b32_e32 v85, v5
	v_mov_b32_e32 v84, v9
	s_branch .LBB758_6
.LBB758_18:
	s_lshl_b32 s3, s50, 6
	s_sub_i32 s49, s49, s3
	s_cmp_gt_i32 s49, 0
	s_waitcnt vmcnt(2)
	v_or_b32_e32 v34, s2, v50
	s_cbranch_scc1 .LBB758_20
; %bb.19:
	s_ashr_i32 s21, s44, 31
	v_or_b32_e32 v10, s2, v50
	s_cbranch_execz .LBB758_21
	s_branch .LBB758_77
.LBB758_20:
                                        ; implicit-def: $vgpr10
                                        ; implicit-def: $sgpr20_sgpr21
.LBB758_21:
	s_add_i32 s20, s3, s36
	s_ashr_i32 s3, s20, 31
	s_cmpk_lg_i32 s19, 0x80
	s_cselect_b64 s[30:31], -1, 0
	s_and_b64 vcc, exec, s[30:31]
	s_cbranch_vccz .LBB758_23
; %bb.22:
	s_mul_hi_i32 s0, s20, s18
	s_mul_i32 s1, s20, s18
	s_ashr_i32 s18, s54, 31
	s_add_u32 s42, s1, s54
	s_addc_u32 s43, s0, s18
	s_cbranch_execz .LBB758_24
	s_branch .LBB758_25
.LBB758_23:
                                        ; implicit-def: $sgpr42_sgpr43
.LBB758_24:
	s_mul_i32 s1, s54, s16
	s_mul_hi_i32 s0, s54, s16
	s_add_u32 s42, s1, s20
	s_addc_u32 s43, s0, s3
.LBB758_25:
	s_add_i32 s16, s50, s51
	s_ashr_i32 s21, s44, 31
	s_add_u32 s0, s53, s20
	s_addc_u32 s1, s52, s3
	s_mov_b32 s3, 0x7060302
	v_lshlrev_b32_e32 v14, 3, v50
	s_lshl_b64 s[28:29], s[0:1], 8
	v_perm_b32 v11, v5, v4, s3
	v_perm_b32 v10, v3, v2, s3
	;; [unrolled: 1-line block ×4, first 2 shown]
	v_lshlrev_b32_e32 v44, 2, v50
	v_lshl_or_b32 v14, v1, 5, v14
	s_add_u32 s0, s6, s28
	ds_write2st64_b64 v14, v[10:11], v[12:13] offset0:72 offset1:76
	v_xor_b32_e32 v14, v1, v44
	v_lshlrev_b32_e32 v15, 8, v50
	s_addc_u32 s1, s7, s29
	v_lshl_or_b32 v14, v14, 1, v15
	s_mul_hi_i32 s3, s16, s17
	s_mul_i32 s16, s16, s17
	ds_write_b64 v14, v[10:11] offset:32768
	v_xor_b32_e32 v10, v53, v44
	s_add_u32 s6, s16, s44
	v_lshl_or_b32 v10, v10, 1, v15
	s_addc_u32 s7, s3, s21
	v_lshlrev_b32_e32 v11, 1, v50
	ds_write_b64 v10, v[12:13] offset:32768
	v_lshrrev_b32_e32 v10, 4, v0
	s_ashr_i32 s3, s2, 31
	s_lshl_b64 s[6:7], s[6:7], 15
	v_or_b32_e32 v12, 1, v11
	s_add_u32 s6, s40, s6
	v_xor_b32_e32 v11, v10, v11
	v_xor_b32_e32 v12, v12, v10
	v_lshlrev_b32_e32 v14, 8, v10
	s_addc_u32 s7, s41, s7
	s_lshl_b64 s[2:3], s[2:3], 8
	v_lshl_or_b32 v10, v11, 3, v14
	v_lshl_or_b32 v12, v12, 3, v14
	s_waitcnt lgkmcnt(0)
	s_barrier
	s_add_u32 s2, s6, s2
	ds_read_b64 v[10:11], v10 offset:32768
	ds_read_b64 v[12:13], v12 offset:32768
	s_addc_u32 s3, s7, s3
	v_mov_b32_e32 v15, 0
	s_cmp_lg_u32 s49, 64
	v_lshl_add_u64 v[16:17], s[2:3], 0, v[14:15]
	v_lshlrev_b32_e32 v14, 4, v50
	s_cselect_b64 s[6:7], -1, 0
	v_lshl_or_b32 v35, v46, 3, v52
	s_mov_b32 s24, 0
	v_lshl_add_u64 v[14:15], v[16:17], 0, v[14:15]
	s_waitcnt vmcnt(1)
	v_or_b32_e32 v27, 32, v35
	v_and_b32_e32 v26, 56, v51
	s_and_b64 vcc, exec, s[6:7]
	s_waitcnt lgkmcnt(0)
	global_store_dwordx4 v[14:15], v[10:13], off
	s_cbranch_vccz .LBB758_31
; %bb.26:
	s_mov_b32 s25, s24
	s_mov_b32 s26, s24
	;; [unrolled: 1-line block ×3, first 2 shown]
	v_mov_b64_e32 v[14:15], s[24:25]
	v_mov_b64_e32 v[16:17], s[26:27]
	;; [unrolled: 1-line block ×3, first 2 shown]
	v_cmp_gt_i32_e32 vcc, s49, v35
	v_mov_b64_e32 v[12:13], v[16:17]
	s_and_saveexec_b64 s[2:3], vcc
	s_cbranch_execz .LBB758_28
; %bb.27:
	v_lshlrev_b32_e32 v10, 8, v35
	v_mov_b32_e32 v11, 0
	v_lshl_add_u64 v[12:13], s[0:1], 0, v[10:11]
	v_lshlrev_b32_e32 v10, 1, v26
	v_lshl_add_u64 v[18:19], v[12:13], 0, v[10:11]
	global_load_dwordx4 v[14:17], v[18:19], off
	global_load_dwordx4 v[10:13], v[18:19], off offset:128
.LBB758_28:
	s_or_b64 exec, exec, s[2:3]
	s_mov_b32 s25, s24
	s_mov_b32 s26, s24
	;; [unrolled: 1-line block ×3, first 2 shown]
	v_mov_b64_e32 v[22:23], s[24:25]
	v_mov_b64_e32 v[24:25], s[26:27]
	;; [unrolled: 1-line block ×3, first 2 shown]
	v_cmp_gt_i32_e32 vcc, s49, v27
	v_lshlrev_b32_e32 v28, 7, v27
	v_mov_b64_e32 v[20:21], v[24:25]
	s_and_saveexec_b64 s[2:3], vcc
	s_cbranch_execz .LBB758_30
; %bb.29:
	v_lshlrev_b32_e32 v18, 1, v28
	v_mov_b32_e32 v19, 0
	v_lshl_add_u64 v[20:21], s[0:1], 0, v[18:19]
	v_lshlrev_b32_e32 v18, 1, v26
	v_lshl_add_u64 v[30:31], v[20:21], 0, v[18:19]
	global_load_dwordx4 v[22:25], v[30:31], off
	global_load_dwordx4 v[18:21], v[30:31], off offset:128
.LBB758_30:
	s_or_b64 exec, exec, s[2:3]
	v_lshrrev_b32_e32 v29, 3, v26
	v_lshlrev_b32_e32 v30, 3, v35
	v_or_b32_e32 v29, v30, v29
	v_lshlrev_b32_e32 v29, 4, v29
	v_and_b32_e32 v30, 0x78, v30
	v_xor_b32_e32 v29, v29, v30
	s_branch .LBB758_33
.LBB758_31:
                                        ; implicit-def: $vgpr29
                                        ; implicit-def: $vgpr28
                                        ; implicit-def: $vgpr14_vgpr15_vgpr16_vgpr17
                                        ; implicit-def: $vgpr10_vgpr11_vgpr12_vgpr13
                                        ; implicit-def: $vgpr22_vgpr23_vgpr24_vgpr25
                                        ; implicit-def: $vgpr18_vgpr19_vgpr20_vgpr21
	s_cbranch_execz .LBB758_33
; %bb.32:
	s_waitcnt vmcnt(0)
	v_lshlrev_b32_e32 v10, 1, v26
	v_lshl_or_b32 v28, v35, 8, v10
	s_and_b32 s1, s1, 0xffff
	s_mov_b32 s3, 0x20000
	s_movk_i32 s2, 0x4000
	v_lshl_or_b32 v29, v27, 8, v10
	s_movk_i32 s16, 0x80
	buffer_load_dwordx4 v[14:17], v28, s[0:3], 0 offen
	buffer_load_dwordx4 v[10:13], v28, s[0:3], s16 offen
	;; [unrolled: 1-line block ×4, first 2 shown]
	v_lshrrev_b32_e32 v28, 3, v26
	v_lshlrev_b32_e32 v29, 3, v35
	v_or_b32_e32 v28, v29, v28
	v_lshlrev_b32_e32 v28, 4, v28
	v_and_b32_e32 v29, 0x78, v29
	v_xor_b32_e32 v29, v28, v29
	v_lshlrev_b32_e32 v28, 7, v27
.LBB758_33:
	s_lshl_b64 s[0:1], s[42:43], 8
	s_add_u32 s4, s4, s0
	s_movk_i32 s0, 0x1000
	v_and_or_b32 v27, v28, s0, v29
	s_waitcnt vmcnt(1)
	ds_write_b64 v29, v[14:15] offset:16384
	v_xor_b32_e32 v14, 8, v29
	ds_write_b64 v14, v[16:17] offset:16384
	s_waitcnt vmcnt(0)
	ds_write_b64 v29, v[10:11] offset:24576
	ds_write_b64 v14, v[12:13] offset:24576
	;; [unrolled: 1-line block ×3, first 2 shown]
	v_xor_b32_e32 v10, 8, v27
	ds_write_b64 v10, v[24:25] offset:16384
	ds_write_b64 v27, v[18:19] offset:24576
	ds_write_b64 v10, v[20:21] offset:24576
	v_or_b32_e32 v10, v47, v50
	v_lshlrev_b32_e32 v10, 3, v10
	v_lshrrev_b32_e32 v12, 5, v48
	s_movk_i32 s18, 0xf8
	v_and_or_b32 v12, v10, s18, v12
	v_lshlrev_b32_e32 v45, 11, v46
	v_lshlrev_b32_e32 v20, 4, v12
	v_and_b32_e32 v21, 0x78, v10
	v_and_b32_e32 v22, 0x1000, v45
	v_lshlrev_b32_e32 v11, 2, v0
	v_xor_b32_e32 v10, v20, v21
	v_lshrrev_b32_e32 v12, 1, v48
	v_and_b32_e32 v11, 60, v11
	v_or_b32_e32 v10, v10, v22
	v_and_b32_e32 v23, 8, v12
	v_xor_b32_e32 v36, v10, v23
	v_lshl_or_b32 v10, v49, 6, v11
	v_lshlrev_b32_e32 v49, 1, v10
	v_or_b32_e32 v10, 32, v20
	v_xor_b32_e32 v10, v10, v21
	s_waitcnt lgkmcnt(0)
	s_barrier
	ds_read_b64 v[18:19], v36 offset:16384
	v_or_b32_e32 v10, v10, v22
	v_xor_b32_e32 v37, v10, v23
	v_or_b32_e32 v10, 64, v20
	v_xor_b32_e32 v10, v10, v21
	v_or_b32_e32 v10, v10, v22
	v_or_b32_e32 v20, 0x60, v20
	v_xor_b32_e32 v38, v10, v23
	ds_read2st64_b64 v[10:13], v49 offset0:72 offset1:73
	ds_read2st64_b64 v[14:17], v49 offset0:74 offset1:75
	v_xor_b32_e32 v24, v20, v21
	ds_read_b64 v[20:21], v37 offset:16384
	s_waitcnt lgkmcnt(2)
	v_mfma_f32_16x16x16_bf16 a[0:3], v[18:19], v[10:11], 0
	s_addc_u32 s5, s5, s1
	s_add_i32 s2, s37, -1
	s_add_i32 s0, s47, s46
	s_add_i32 s39, s0, s48
	s_mul_i32 s0, s44, s23
	s_mul_hi_u32 s1, s44, s22
	s_ashr_i32 s3, s2, 31
	s_mul_i32 s16, s2, s15
	s_mul_hi_u32 s17, s2, s14
	s_add_i32 s0, s1, s0
	s_mul_i32 s1, s21, s22
	s_add_i32 s16, s17, s16
	s_mul_i32 s3, s3, s14
	v_or_b32_e32 v22, v24, v22
	s_add_i32 s1, s0, s1
	s_add_i32 s3, s16, s3
	s_lshl_b64 s[16:17], s[38:39], 2
	v_xor_b32_e32 v50, v22, v23
	ds_read_b64 v[22:23], v38 offset:16384
	ds_read_b64 v[24:25], v50 offset:16384
	s_waitcnt lgkmcnt(2)
	v_mfma_f32_16x16x16_bf16 a[0:3], v[20:21], v[12:13], a[0:3]
	s_mul_i32 s0, s44, s22
	s_add_u32 s10, s10, s16
	s_addc_u32 s11, s11, s17
	s_lshl_b64 s[0:1], s[0:1], 2
	s_mul_i32 s2, s2, s14
	s_add_u32 s10, s10, s0
	s_addc_u32 s11, s11, s1
	s_lshl_b64 s[0:1], s[2:3], 2
	s_waitcnt lgkmcnt(1)
	v_mfma_f32_16x16x16_bf16 a[0:3], v[22:23], v[14:15], a[0:3]
	s_add_u32 s0, s10, s0
	s_addc_u32 s1, s11, s1
	s_load_dword s16, s[0:1], 0x0
	s_waitcnt lgkmcnt(0)
	v_mfma_f32_16x16x16_bf16 a[0:3], v[24:25], v[16:17], a[0:3]
	s_and_b64 vcc, exec, s[30:31]
	s_cbranch_vccz .LBB758_44
; %bb.34:
	v_lshlrev_b32_e32 v27, 1, v35
	s_and_b64 vcc, exec, s[6:7]
	s_cbranch_vccz .LBB758_45
; %bb.35:
	v_cmp_gt_i32_e32 vcc, s49, v27
	v_mov_b32_e32 v14, 0
	v_mov_b32_e32 v10, 0
	;; [unrolled: 1-line block ×5, first 2 shown]
	s_and_saveexec_b64 s[0:1], vcc
	s_cbranch_execz .LBB758_37
; %bb.36:
	v_mad_i64_i32 v[10:11], s[2:3], s19, v27, 0
	v_lshl_add_u64 v[10:11], v[10:11], 1, s[4:5]
	v_lshlrev_b32_e32 v12, 1, v26
	v_mov_b32_e32 v13, 0
	v_lshl_add_u64 v[10:11], v[10:11], 0, v[12:13]
	global_load_dwordx4 v[10:13], v[10:11], off
.LBB758_37:
	s_or_b64 exec, exec, s[0:1]
	v_or_b32_e32 v28, 1, v27
	v_cmp_gt_i32_e64 s[0:1], s49, v28
	v_mov_b32_e32 v15, 0
	v_mov_b32_e32 v16, 0
	;; [unrolled: 1-line block ×3, first 2 shown]
	s_and_saveexec_b64 s[2:3], s[0:1]
	s_cbranch_execz .LBB758_39
; %bb.38:
	v_mad_i64_i32 v[14:15], s[22:23], s19, v28, 0
	v_lshl_add_u64 v[14:15], v[14:15], 1, s[4:5]
	v_lshlrev_b32_e32 v16, 1, v26
	v_mov_b32_e32 v17, 0
	v_lshl_add_u64 v[14:15], v[14:15], 0, v[16:17]
	global_load_dwordx4 v[14:17], v[14:15], off
.LBB758_39:
	s_or_b64 exec, exec, s[2:3]
	v_mov_b32_e32 v25, 0
	v_mov_b32_e32 v18, 0
	;; [unrolled: 1-line block ×5, first 2 shown]
	s_and_saveexec_b64 s[2:3], vcc
	s_cbranch_execz .LBB758_41
; %bb.40:
	v_mad_i64_i32 v[18:19], s[22:23], s19, v27, 0
	v_lshl_add_u64 v[18:19], v[18:19], 1, s[4:5]
	v_lshlrev_b32_e32 v20, 1, v26
	v_mov_b32_e32 v21, 0
	v_lshl_add_u64 v[18:19], v[18:19], 0, v[20:21]
	global_load_dwordx4 v[18:21], v[18:19], off offset:128
.LBB758_41:
	s_or_b64 exec, exec, s[2:3]
	v_mov_b32_e32 v24, 0
	v_mov_b32_e32 v23, 0
	;; [unrolled: 1-line block ×3, first 2 shown]
	s_and_saveexec_b64 s[2:3], s[0:1]
	s_cbranch_execz .LBB758_43
; %bb.42:
	v_mad_i64_i32 v[22:23], s[0:1], s19, v28, 0
	v_lshl_add_u64 v[22:23], v[22:23], 1, s[4:5]
	v_lshlrev_b32_e32 v24, 1, v26
	v_mov_b32_e32 v25, 0
	v_lshl_add_u64 v[22:23], v[22:23], 0, v[24:25]
	global_load_dwordx4 v[22:25], v[22:23], off offset:128
.LBB758_43:
	s_or_b64 exec, exec, s[2:3]
	s_branch .LBB758_47
.LBB758_44:
                                        ; implicit-def: $vgpr13
                                        ; implicit-def: $vgpr17
                                        ; implicit-def: $vgpr21
                                        ; implicit-def: $vgpr25
	v_lshrrev_b32_e32 v48, 2, v48
	s_branch .LBB758_48
.LBB758_45:
                                        ; implicit-def: $vgpr13
                                        ; implicit-def: $vgpr17
                                        ; implicit-def: $vgpr21
                                        ; implicit-def: $vgpr25
	s_cbranch_execz .LBB758_47
; %bb.46:
	s_waitcnt vmcnt(0)
	v_mad_u64_u32 v[10:11], s[0:1], v27, s19, v[26:27]
	v_lshlrev_b32_e32 v27, 1, v10
	s_lshl_b32 s2, s19, 7
	s_and_b32 s1, s5, 0xffff
	s_mov_b32 s3, 0x20000
	s_mov_b32 s0, s4
	v_add_lshl_u32 v28, v10, s19, 1
	s_movk_i32 s17, 0x80
	buffer_load_dwordx4 v[10:13], v27, s[0:3], 0 offen
	buffer_load_dwordx4 v[18:21], v27, s[0:3], s17 offen
	;; [unrolled: 1-line block ×4, first 2 shown]
.LBB758_47:
	v_lshrrev_b32_e32 v48, 2, v48
	s_cbranch_execnz .LBB758_60
.LBB758_48:
	s_and_b64 vcc, exec, s[6:7]
	s_cbranch_vccz .LBB758_58
; %bb.49:
	s_waitcnt vmcnt(0)
	v_lshlrev_b32_e32 v15, 1, v35
	v_cmp_gt_i32_e32 vcc, s49, v15
	v_mov_b32_e32 v14, 0
	v_lshlrev_b32_e32 v22, 9, v35
	v_mov_b32_e32 v10, 0
	v_mov_b32_e32 v11, 0
	;; [unrolled: 1-line block ×4, first 2 shown]
	s_and_saveexec_b64 s[0:1], vcc
	s_cbranch_execz .LBB758_51
; %bb.50:
	v_mov_b32_e32 v23, 0
	v_lshl_add_u64 v[10:11], s[4:5], 0, v[22:23]
	v_lshlrev_b32_e32 v12, 1, v26
	v_mov_b32_e32 v13, v23
	v_lshl_add_u64 v[10:11], v[10:11], 0, v[12:13]
	global_load_dwordx4 v[10:13], v[10:11], off
.LBB758_51:
	s_or_b64 exec, exec, s[0:1]
	v_or_b32_e32 v15, 1, v15
	v_cmp_gt_i32_e64 s[0:1], s49, v15
	v_lshlrev_b32_e32 v28, 8, v15
	v_mov_b32_e32 v15, 0
	v_mov_b32_e32 v16, 0
	;; [unrolled: 1-line block ×3, first 2 shown]
	s_and_saveexec_b64 s[2:3], s[0:1]
	s_cbranch_execz .LBB758_53
; %bb.52:
	v_mov_b32_e32 v29, 0
	v_lshl_add_u64 v[14:15], s[4:5], 0, v[28:29]
	v_lshlrev_b32_e32 v16, 1, v26
	v_mov_b32_e32 v17, v29
	v_lshl_add_u64 v[14:15], v[14:15], 0, v[16:17]
	global_load_dwordx4 v[14:17], v[14:15], off
.LBB758_53:
	s_or_b64 exec, exec, s[2:3]
	v_mov_b32_e32 v25, 0
	v_mov_b32_e32 v18, 0
	;; [unrolled: 1-line block ×5, first 2 shown]
	s_and_saveexec_b64 s[2:3], vcc
	s_cbranch_execz .LBB758_55
; %bb.54:
	v_mov_b32_e32 v23, 0
	v_lshl_add_u64 v[18:19], s[4:5], 0, v[22:23]
	v_lshlrev_b32_e32 v22, 1, v26
	v_lshl_add_u64 v[18:19], v[18:19], 0, v[22:23]
	global_load_dwordx4 v[18:21], v[18:19], off offset:128
.LBB758_55:
	s_or_b64 exec, exec, s[2:3]
	v_mov_b32_e32 v24, 0
	v_mov_b32_e32 v23, 0
	;; [unrolled: 1-line block ×3, first 2 shown]
	s_and_saveexec_b64 s[2:3], s[0:1]
	s_cbranch_execz .LBB758_57
; %bb.56:
	v_mov_b32_e32 v29, 0
	v_lshl_add_u64 v[22:23], s[4:5], 0, v[28:29]
	v_lshlrev_b32_e32 v28, 1, v26
	v_lshl_add_u64 v[22:23], v[22:23], 0, v[28:29]
	global_load_dwordx4 v[22:25], v[22:23], off offset:128
.LBB758_57:
	s_or_b64 exec, exec, s[2:3]
	s_branch .LBB758_60
.LBB758_58:
                                        ; implicit-def: $vgpr13
                                        ; implicit-def: $vgpr17
                                        ; implicit-def: $vgpr21
                                        ; implicit-def: $vgpr25
	s_cbranch_execz .LBB758_60
; %bb.59:
	s_waitcnt vmcnt(0)
	v_lshlrev_b32_e32 v10, 1, v26
	v_lshl_or_b32 v26, v35, 9, v10
	s_and_b32 s5, s5, 0xffff
	s_mov_b32 s7, 0x20000
	s_movk_i32 s6, 0x4000
	s_movk_i32 s0, 0x80
	buffer_load_dwordx4 v[10:13], v26, s[4:7], 0 offen
	buffer_load_dwordx4 v[14:17], v26, s[4:7], 0 offen offset:256
	buffer_load_dwordx4 v[18:21], v26, s[4:7], s0 offen
	buffer_load_dwordx4 v[22:25], v26, s[4:7], s0 offen offset:256
.LBB758_60:
	ds_read2st64_b64 v[30:33], v49 offset0:76 offset1:77
	ds_read2st64_b64 v[26:29], v49 offset0:78 offset1:79
	ds_read_b64 v[40:41], v36 offset:24576
	ds_read_b64 v[42:43], v37 offset:24576
	ds_read_b64 v[38:39], v38 offset:24576
	ds_read_b64 v[36:37], v50 offset:24576
	v_and_b32_e32 v50, 6, v0
	v_xor_b32_e32 v35, v35, v50
	v_lshlrev_b32_e32 v35, 2, v35
	v_and_b32_e32 v51, 1, v0
	v_xor_b32_e32 v52, 0x440, v35
	v_cmp_eq_u32_e32 vcc, 0, v51
	s_mov_b32 s0, 0x1000504
	s_waitcnt vmcnt(0)
	v_perm_b32 v51, v18, v22, s0
	v_cndmask_b32_e32 v35, v52, v35, vcc
	v_lshl_or_b32 v35, v50, 10, v35
	v_perm_b32 v50, v10, v14, s0
	ds_write2st64_b32 v35, v50, v51 offset1:32
	v_xor_b32_e32 v50, 8, v35
	s_mov_b32 s1, 0x3020706
	v_perm_b32 v10, v10, v14, s1
	v_perm_b32 v14, v18, v22, s1
	v_add_u32_e32 v18, 0x80, v50
	ds_write2st64_b32 v18, v10, v14 offset1:32
	v_xor_b32_e32 v10, 16, v35
	v_perm_b32 v14, v11, v15, s0
	v_perm_b32 v18, v19, v23, s0
	ds_write2st64_b32 v10, v14, v18 offset0:1 offset1:33
	v_xor_b32_e32 v10, 24, v35
	v_perm_b32 v11, v11, v15, s1
	v_perm_b32 v14, v19, v23, s1
	v_add_u32_e32 v10, 0x80, v10
	ds_write2st64_b32 v10, v11, v14 offset0:1 offset1:33
	v_xor_b32_e32 v10, 32, v35
	v_perm_b32 v11, v12, v16, s0
	v_perm_b32 v14, v20, v24, s0
	ds_write2st64_b32 v10, v11, v14 offset0:2 offset1:34
	v_xor_b32_e32 v10, 40, v35
	v_perm_b32 v11, v12, v16, s1
	v_perm_b32 v12, v20, v24, s1
	v_add_u32_e32 v10, 0x80, v10
	ds_write2st64_b32 v10, v11, v12 offset0:2 offset1:34
	v_xor_b32_e32 v10, 48, v35
	v_perm_b32 v11, v13, v17, s0
	v_perm_b32 v12, v21, v25, s0
	ds_write2st64_b32 v10, v11, v12 offset0:3 offset1:35
	v_xor_b32_e32 v10, 56, v35
	v_and_or_b32 v16, v48, 12, v47
	v_perm_b32 v11, v13, v17, s1
	v_perm_b32 v12, v21, v25, s1
	v_add_u32_e32 v10, 0x80, v10
	v_cmp_gt_i32_e32 vcc, s49, v16
	v_mov_b32_e32 v17, 0
	v_mov_b32_e32 v21, 0
	ds_write2st64_b32 v10, v11, v12 offset0:3 offset1:35
	s_and_saveexec_b64 s[0:1], vcc
	s_cbranch_execz .LBB758_62
; %bb.61:
	v_add_u32_e32 v10, s20, v16
	v_ashrrev_i32_e32 v11, 31, v10
	v_mul_lo_u32 v12, v11, s14
	v_mul_lo_u32 v13, v10, s15
	v_mad_u64_u32 v[10:11], s[2:3], v10, s14, 0
	v_add3_u32 v11, v11, v13, v12
	v_lshl_add_u64 v[10:11], v[10:11], 2, s[10:11]
	global_load_dword v10, v[10:11], off
	s_waitcnt vmcnt(0)
	v_sub_f32_e32 v10, s16, v10
	v_mul_f32_e32 v10, 0x3fb8aa3b, v10
	v_exp_f32_e32 v21, v10
.LBB758_62:
	s_or_b64 exec, exec, s[0:1]
	v_or_b32_e32 v19, 1, v16
	v_cmp_gt_i32_e64 s[0:1], s49, v19
	s_and_saveexec_b64 s[2:3], s[0:1]
	s_cbranch_execz .LBB758_64
; %bb.63:
	v_add_u32_e32 v10, s20, v19
	v_ashrrev_i32_e32 v11, 31, v10
	v_mul_lo_u32 v12, v11, s14
	v_mul_lo_u32 v13, v10, s15
	v_mad_u64_u32 v[10:11], s[4:5], v10, s14, 0
	v_add3_u32 v11, v11, v13, v12
	v_lshl_add_u64 v[10:11], v[10:11], 2, s[10:11]
	global_load_dword v10, v[10:11], off
	s_waitcnt vmcnt(0)
	v_sub_f32_e32 v10, s16, v10
	v_mul_f32_e32 v10, 0x3fb8aa3b, v10
	v_exp_f32_e32 v17, v10
.LBB758_64:
	s_or_b64 exec, exec, s[2:3]
	v_or_b32_e32 v20, 2, v16
	v_cmp_gt_i32_e64 s[2:3], s49, v20
	v_mov_b32_e32 v18, 0
	v_mov_b32_e32 v23, 0
	s_and_saveexec_b64 s[4:5], s[2:3]
	s_cbranch_execz .LBB758_66
; %bb.65:
	v_add_u32_e32 v10, s20, v20
	v_ashrrev_i32_e32 v11, 31, v10
	v_mul_lo_u32 v12, v11, s14
	v_mul_lo_u32 v13, v10, s15
	v_mad_u64_u32 v[10:11], s[6:7], v10, s14, 0
	v_add3_u32 v11, v11, v13, v12
	v_lshl_add_u64 v[10:11], v[10:11], 2, s[10:11]
	global_load_dword v10, v[10:11], off
	s_waitcnt vmcnt(0)
	v_sub_f32_e32 v10, s16, v10
	v_mul_f32_e32 v10, 0x3fb8aa3b, v10
	v_exp_f32_e32 v23, v10
.LBB758_66:
	s_or_b64 exec, exec, s[4:5]
	v_or_b32_e32 v22, 3, v16
	v_cmp_gt_i32_e64 s[4:5], s49, v22
	s_and_saveexec_b64 s[6:7], s[4:5]
	s_cbranch_execz .LBB758_68
; %bb.67:
	v_add_u32_e32 v10, s20, v22
	v_ashrrev_i32_e32 v11, 31, v10
	v_mul_lo_u32 v12, v11, s14
	v_mul_lo_u32 v13, v10, s15
	v_mad_u64_u32 v[10:11], s[14:15], v10, s14, 0
	v_add3_u32 v11, v11, v13, v12
	v_lshl_add_u64 v[10:11], v[10:11], 2, s[10:11]
	global_load_dword v10, v[10:11], off
	s_waitcnt vmcnt(0)
	v_sub_f32_e32 v10, s16, v10
	v_mul_f32_e32 v10, 0x3fb8aa3b, v10
	v_exp_f32_e32 v18, v10
.LBB758_68:
	s_or_b64 exec, exec, s[6:7]
	s_waitcnt lgkmcnt(11)
	v_mfma_f32_16x16x16_bf16 a[0:3], v[40:41], v[30:31], a[0:3]
	s_add_u32 s6, s8, s28
	v_ashrrev_i32_e32 v35, 31, v34
	s_addc_u32 s7, s9, s29
	s_waitcnt lgkmcnt(10)
	v_mfma_f32_16x16x16_bf16 a[0:3], v[42:43], v[32:33], a[0:3]
	v_mov_b32_e32 v24, 0
	v_lshl_add_u64 v[14:15], v[34:35], 1, s[6:7]
	v_mov_b32_e32 v25, 0
	s_waitcnt lgkmcnt(9)
	v_mfma_f32_16x16x16_bf16 a[0:3], v[38:39], v[26:27], a[0:3]
	s_waitcnt lgkmcnt(8)
	v_mfma_f32_16x16x16_bf16 a[0:3], v[36:37], v[28:29], a[0:3]
	s_nop 6
	v_accvgpr_read_b32 v13, a3
	v_accvgpr_read_b32 v12, a2
	;; [unrolled: 1-line block ×4, first 2 shown]
	s_and_saveexec_b64 s[6:7], vcc
	s_cbranch_execz .LBB758_70
; %bb.69:
	v_lshlrev_b32_e32 v26, 8, v16
	v_mov_b32_e32 v27, 0
	v_lshl_add_u64 v[26:27], v[14:15], 0, v[26:27]
	global_load_ushort v25, v[26:27], off
	s_waitcnt vmcnt(0)
	v_lshlrev_b32_e32 v25, 16, v25
	v_sub_f32_e32 v10, v25, v10
	v_mul_f32_e32 v10, v21, v10
	v_lshrrev_b32_e32 v25, 16, v10
.LBB758_70:
	s_or_b64 exec, exec, s[6:7]
	s_and_saveexec_b64 s[6:7], s[0:1]
	s_cbranch_execz .LBB758_72
; %bb.71:
	v_lshlrev_b32_e32 v26, 8, v19
	v_mov_b32_e32 v27, 0
	v_lshl_add_u64 v[26:27], v[14:15], 0, v[26:27]
	global_load_ushort v10, v[26:27], off
	s_waitcnt vmcnt(0)
	v_lshlrev_b32_e32 v10, 16, v10
	v_sub_f32_e32 v10, v10, v11
	v_mul_f32_e32 v10, v17, v10
	v_lshrrev_b32_e32 v24, 16, v10
.LBB758_72:
	s_or_b64 exec, exec, s[6:7]
	v_mov_b32_e32 v11, 0
	v_mov_b32_e32 v17, 0
	s_and_saveexec_b64 s[0:1], s[2:3]
	s_cbranch_execz .LBB758_74
; %bb.73:
	v_lshlrev_b32_e32 v20, 8, v20
	v_mov_b32_e32 v21, 0
	v_lshl_add_u64 v[20:21], v[14:15], 0, v[20:21]
	global_load_ushort v10, v[20:21], off
	s_waitcnt vmcnt(0)
	v_lshlrev_b32_e32 v10, 16, v10
	v_sub_f32_e32 v10, v10, v12
	v_mul_f32_e32 v10, v23, v10
	v_lshrrev_b32_e32 v17, 16, v10
.LBB758_74:
	s_or_b64 exec, exec, s[0:1]
	v_or_b32_e32 v10, 0x9800, v49
	s_and_saveexec_b64 s[0:1], s[4:5]
	s_cbranch_execz .LBB758_76
; %bb.75:
	v_lshlrev_b32_e32 v20, 8, v22
	v_mov_b32_e32 v21, 0
	v_lshl_add_u64 v[14:15], v[14:15], 0, v[20:21]
	global_load_ushort v11, v[14:15], off
	s_waitcnt vmcnt(0)
	v_lshlrev_b32_e32 v11, 16, v11
	v_sub_f32_e32 v11, v11, v13
	v_mul_f32_e32 v11, v18, v11
	v_lshrrev_b32_e32 v11, 16, v11
.LBB758_76:
	s_or_b64 exec, exec, s[0:1]
	s_mov_b32 s0, 0x5040100
	v_perm_b32 v13, v11, v17, s0
	v_lshlrev_b32_e32 v11, 1, v44
	v_perm_b32 v12, v24, v25, s0
	v_lshl_or_b32 v11, v16, 5, v11
	s_movk_i32 s0, 0xff
	ds_write_b64 v11, v[12:13] offset:38912
	v_and_b32_e32 v11, 7, v0
	v_and_b32_e32 v12, 8, v0
	v_cmp_lt_u32_e32 vcc, s0, v0
	v_lshrrev_b32_e32 v0, 1, v0
	v_lshlrev_b32_e32 v22, 3, v11
	v_lshlrev_b32_e32 v23, 7, v11
	v_cndmask_b32_e64 v11, 0, 1, vcc
	v_lshlrev_b32_e32 v25, 3, v46
	v_and_b32_e32 v0, 24, v0
	v_lshlrev_b32_e32 v24, 13, v11
	v_xor_b32_e32 v11, v25, v0
	v_or_b32_e32 v13, 0x440, v11
	v_cmp_eq_u32_e32 vcc, 0, v12
	s_waitcnt lgkmcnt(0)
	s_barrier
	v_cndmask_b32_e32 v11, v13, v11, vcc
	v_or_b32_e32 v11, v11, v45
	v_xad_u32 v26, v11, v22, v23
	v_add_u32_e32 v11, v24, v26
	ds_read_b64 v[20:21], v11
	ds_read2st64_b64 v[12:15], v10 offset1:1
	ds_read2st64_b64 v[16:19], v10 offset0:2 offset1:3
	v_or_b32_e32 v10, 32, v0
	v_xor_b32_e32 v10, v25, v10
	v_or_b32_e32 v11, 0x440, v10
	v_cndmask_b32_e32 v10, v11, v10, vcc
	v_or_b32_e32 v10, v10, v45
	v_xad_u32 v27, v10, v22, v23
	v_add_u32_e32 v10, v24, v27
	ds_read_b64 v[10:11], v10
	s_waitcnt lgkmcnt(2)
	v_mfma_f32_16x16x16_bf16 a[0:3], v[20:21], v[12:13], 0
	s_waitcnt lgkmcnt(0)
	v_mfma_f32_16x16x16_bf16 a[0:3], v[10:11], v[14:15], a[0:3]
	v_or_b32_e32 v10, 64, v0
	v_xor_b32_e32 v10, v25, v10
	v_xor_b32_e32 v11, 0x440, v10
	v_cndmask_b32_e32 v10, v11, v10, vcc
	v_or_b32_e32 v10, v10, v45
	v_xad_u32 v28, v10, v22, v23
	v_add_u32_e32 v10, v24, v28
	ds_read_b64 v[10:11], v10
	v_or_b32_e32 v0, 0x60, v0
	v_xor_b32_e32 v0, v25, v0
	v_xor_b32_e32 v20, 0x440, v0
	v_cndmask_b32_e32 v0, v20, v0, vcc
	v_or_b32_e32 v0, v0, v45
	v_xad_u32 v0, v0, v22, v23
	v_add_u32_e32 v20, v24, v0
	ds_read_b64 v[20:21], v20
	s_waitcnt lgkmcnt(1)
	v_mfma_f32_16x16x16_bf16 a[0:3], v[10:11], v[16:17], a[0:3]
	ds_read_b64 v[10:11], v26 offset:8192
	ds_read_b64 v[22:23], v27 offset:8192
	v_mov_b32_e32 v24, 0x3fb8aa3b
	s_waitcnt lgkmcnt(2)
	v_mfma_f32_16x16x16_bf16 a[0:3], v[20:21], v[18:19], a[0:3]
	v_mul_f32_e32 v20, s16, v24
	v_exp_f32_e32 v24, v20
	ds_read_b64 v[20:21], v28 offset:8192
	s_waitcnt lgkmcnt(2)
	v_mfma_f32_16x16x16_bf16 a[4:7], v[10:11], v[12:13], 0
	s_nop 1
	v_accvgpr_read_b32 v10, a0
	v_fma_f32 v12, v2, v24, v10
	ds_read_b64 v[10:11], v0 offset:8192
	s_waitcnt lgkmcnt(2)
	v_mfma_f32_16x16x16_bf16 a[4:7], v[22:23], v[14:15], a[4:7]
	v_accvgpr_read_b32 v0, a1
	v_fma_f32 v13, v3, v24, v0
	v_accvgpr_read_b32 v0, a2
	s_waitcnt lgkmcnt(1)
	v_mfma_f32_16x16x16_bf16 a[4:7], v[20:21], v[16:17], a[4:7]
	v_accvgpr_read_b32 v15, a3
	v_fma_f32 v14, v4, v24, v0
	v_fmac_f32_e32 v15, v5, v24
	s_waitcnt lgkmcnt(0)
	v_mfma_f32_16x16x16_bf16 a[0:3], v[10:11], v[18:19], a[4:7]
	v_mov_b32_e32 v10, v34
	s_nop 5
	v_accvgpr_read_b32 v0, a0
	v_fma_f32 v16, v6, v24, v0
	v_accvgpr_read_b32 v0, a1
	v_fma_f32 v17, v7, v24, v0
	v_accvgpr_read_b32 v0, a2
	v_accvgpr_read_b32 v19, a3
	v_fma_f32 v18, v8, v24, v0
	v_fmac_f32_e32 v19, v9, v24
	v_mov_b64_e32 v[2:3], v[12:13]
	v_mov_b64_e32 v[4:5], v[14:15]
	;; [unrolled: 1-line block ×4, first 2 shown]
.LBB758_77:
	s_mul_i32 s0, s45, s35
	s_mul_hi_u32 s1, s45, s34
	s_add_i32 s0, s1, s0
	s_mul_i32 s1, s33, s34
	s_add_i32 s1, s0, s1
	s_mul_i32 s0, s45, s34
	s_add_u32 s0, s0, s44
	s_addc_u32 s1, s1, s21
	s_lshl_b64 s[0:1], s[0:1], 16
	s_add_u32 s0, s12, s0
	v_lshlrev_b32_e32 v10, 7, v10
	s_addc_u32 s1, s13, s1
	v_ashrrev_i32_e32 v11, 31, v10
	v_lshl_add_u64 v[10:11], v[10:11], 2, s[0:1]
	v_lshlrev_b32_e32 v0, 2, v1
	v_mov_b32_e32 v1, 0
	v_lshl_add_u64 v[0:1], v[10:11], 0, v[0:1]
	global_store_dwordx4 v[0:1], v[2:5], off
	global_store_dwordx4 v[0:1], v[6:9], off offset:256
	s_endpgm
	.section	.rodata,"a",@progbits
	.p2align	6, 0x0
	.amdhsa_kernel _ZN12_GLOBAL__N_139chunk_gated_delta_rule_fwd_h_hip_kernelILi16ELb0ELb1ELb0ELb1ELb0ELb0ELb0ELb0EEEvPK12hip_bfloat16S3_S3_PKfS5_PKvPS1_S8_PvPKiSB_iiiiilll
		.amdhsa_group_segment_fixed_size 40960
		.amdhsa_private_segment_fixed_size 0
		.amdhsa_kernarg_size 136
		.amdhsa_user_sgpr_count 2
		.amdhsa_user_sgpr_dispatch_ptr 0
		.amdhsa_user_sgpr_queue_ptr 0
		.amdhsa_user_sgpr_kernarg_segment_ptr 1
		.amdhsa_user_sgpr_dispatch_id 0
		.amdhsa_user_sgpr_kernarg_preload_length 0
		.amdhsa_user_sgpr_kernarg_preload_offset 0
		.amdhsa_user_sgpr_private_segment_size 0
		.amdhsa_uses_dynamic_stack 0
		.amdhsa_enable_private_segment 0
		.amdhsa_system_sgpr_workgroup_id_x 1
		.amdhsa_system_sgpr_workgroup_id_y 1
		.amdhsa_system_sgpr_workgroup_id_z 0
		.amdhsa_system_sgpr_workgroup_info 0
		.amdhsa_system_vgpr_workitem_id 0
		.amdhsa_next_free_vgpr 116
		.amdhsa_next_free_sgpr 63
		.amdhsa_accum_offset 108
		.amdhsa_reserve_vcc 1
		.amdhsa_float_round_mode_32 0
		.amdhsa_float_round_mode_16_64 0
		.amdhsa_float_denorm_mode_32 3
		.amdhsa_float_denorm_mode_16_64 3
		.amdhsa_dx10_clamp 1
		.amdhsa_ieee_mode 1
		.amdhsa_fp16_overflow 0
		.amdhsa_tg_split 0
		.amdhsa_exception_fp_ieee_invalid_op 0
		.amdhsa_exception_fp_denorm_src 0
		.amdhsa_exception_fp_ieee_div_zero 0
		.amdhsa_exception_fp_ieee_overflow 0
		.amdhsa_exception_fp_ieee_underflow 0
		.amdhsa_exception_fp_ieee_inexact 0
		.amdhsa_exception_int_div_zero 0
	.end_amdhsa_kernel
	.section	.text._ZN12_GLOBAL__N_139chunk_gated_delta_rule_fwd_h_hip_kernelILi16ELb0ELb1ELb0ELb1ELb0ELb0ELb0ELb0EEEvPK12hip_bfloat16S3_S3_PKfS5_PKvPS1_S8_PvPKiSB_iiiiilll,"axG",@progbits,_ZN12_GLOBAL__N_139chunk_gated_delta_rule_fwd_h_hip_kernelILi16ELb0ELb1ELb0ELb1ELb0ELb0ELb0ELb0EEEvPK12hip_bfloat16S3_S3_PKfS5_PKvPS1_S8_PvPKiSB_iiiiilll,comdat
.Lfunc_end758:
	.size	_ZN12_GLOBAL__N_139chunk_gated_delta_rule_fwd_h_hip_kernelILi16ELb0ELb1ELb0ELb1ELb0ELb0ELb0ELb0EEEvPK12hip_bfloat16S3_S3_PKfS5_PKvPS1_S8_PvPKiSB_iiiiilll, .Lfunc_end758-_ZN12_GLOBAL__N_139chunk_gated_delta_rule_fwd_h_hip_kernelILi16ELb0ELb1ELb0ELb1ELb0ELb0ELb0ELb0EEEvPK12hip_bfloat16S3_S3_PKfS5_PKvPS1_S8_PvPKiSB_iiiiilll
                                        ; -- End function
	.section	.AMDGPU.csdata,"",@progbits
; Kernel info:
; codeLenInByte = 7740
; NumSgprs: 69
; NumVgprs: 106
; NumAgprs: 8
; TotalNumVgprs: 116
; ScratchSize: 0
; MemoryBound: 0
; FloatMode: 240
; IeeeMode: 1
; LDSByteSize: 40960 bytes/workgroup (compile time only)
; SGPRBlocks: 8
; VGPRBlocks: 14
; NumSGPRsForWavesPerEU: 69
; NumVGPRsForWavesPerEU: 116
; AccumOffset: 108
; Occupancy: 1
; WaveLimiterHint : 1
; COMPUTE_PGM_RSRC2:SCRATCH_EN: 0
; COMPUTE_PGM_RSRC2:USER_SGPR: 2
; COMPUTE_PGM_RSRC2:TRAP_HANDLER: 0
; COMPUTE_PGM_RSRC2:TGID_X_EN: 1
; COMPUTE_PGM_RSRC2:TGID_Y_EN: 1
; COMPUTE_PGM_RSRC2:TGID_Z_EN: 0
; COMPUTE_PGM_RSRC2:TIDIG_COMP_CNT: 0
; COMPUTE_PGM_RSRC3_GFX90A:ACCUM_OFFSET: 26
; COMPUTE_PGM_RSRC3_GFX90A:TG_SPLIT: 0
	.section	.text._ZN12_GLOBAL__N_139chunk_gated_delta_rule_fwd_h_hip_kernelILi16ELb0ELb0ELb1ELb1ELb0ELb0ELb0ELb0EEEvPK12hip_bfloat16S3_S3_PKfS5_PKvPS1_S8_PvPKiSB_iiiiilll,"axG",@progbits,_ZN12_GLOBAL__N_139chunk_gated_delta_rule_fwd_h_hip_kernelILi16ELb0ELb0ELb1ELb1ELb0ELb0ELb0ELb0EEEvPK12hip_bfloat16S3_S3_PKfS5_PKvPS1_S8_PvPKiSB_iiiiilll,comdat
	.globl	_ZN12_GLOBAL__N_139chunk_gated_delta_rule_fwd_h_hip_kernelILi16ELb0ELb0ELb1ELb1ELb0ELb0ELb0ELb0EEEvPK12hip_bfloat16S3_S3_PKfS5_PKvPS1_S8_PvPKiSB_iiiiilll ; -- Begin function _ZN12_GLOBAL__N_139chunk_gated_delta_rule_fwd_h_hip_kernelILi16ELb0ELb0ELb1ELb1ELb0ELb0ELb0ELb0EEEvPK12hip_bfloat16S3_S3_PKfS5_PKvPS1_S8_PvPKiSB_iiiiilll
	.p2align	8
	.type	_ZN12_GLOBAL__N_139chunk_gated_delta_rule_fwd_h_hip_kernelILi16ELb0ELb0ELb1ELb1ELb0ELb0ELb0ELb0EEEvPK12hip_bfloat16S3_S3_PKfS5_PKvPS1_S8_PvPKiSB_iiiiilll,@function
_ZN12_GLOBAL__N_139chunk_gated_delta_rule_fwd_h_hip_kernelILi16ELb0ELb0ELb1ELb1ELb0ELb0ELb0ELb0EEEvPK12hip_bfloat16S3_S3_PKfS5_PKvPS1_S8_PvPKiSB_iiiiilll: ; @_ZN12_GLOBAL__N_139chunk_gated_delta_rule_fwd_h_hip_kernelILi16ELb0ELb0ELb1ELb1ELb0ELb0ELb0ELb0EEEvPK12hip_bfloat16S3_S3_PKfS5_PKvPS1_S8_PvPKiSB_iiiiilll
; %bb.0:
	s_load_dwordx4 s[16:19], s[0:1], 0x5c
	s_load_dwordx4 s[20:23], s[0:1], 0x70
	s_abs_i32 s25, s3
	s_ashr_i32 s24, s3, 31
	s_load_dwordx4 s[12:15], s[0:1], 0x30
	s_load_dwordx4 s[28:31], s[0:1], 0x48
	s_waitcnt lgkmcnt(0)
	s_abs_i32 s34, s17
	v_cvt_f32_u32_e32 v1, s34
	s_sub_i32 s26, 0, s34
	s_ashr_i32 s35, s17, 31
	s_xor_b32 s24, s24, s35
	v_rcp_iflag_f32_e32 v1, v1
	s_load_dwordx8 s[4:11], s[0:1], 0x0
	v_lshrrev_b32_e32 v44, 6, v0
	v_bfe_u32 v45, v0, 4, 2
	v_mul_f32_e32 v1, 0x4f7ffffe, v1
	v_cvt_u32_f32_e32 v1, v1
	v_lshlrev_b32_e32 v42, 4, v44
	v_lshlrev_b32_e32 v2, 2, v45
	v_and_b32_e32 v43, 63, v0
	v_readfirstlane_b32 s27, v1
	s_mul_i32 s26, s26, s27
	s_mul_hi_u32 s26, s27, s26
	s_add_i32 s27, s27, s26
	s_mul_hi_u32 s26, s25, s27
	s_mul_i32 s27, s26, s34
	s_sub_i32 s25, s25, s27
	s_add_i32 s33, s26, 1
	s_sub_i32 s27, s25, s34
	s_cmp_ge_u32 s25, s34
	s_cselect_b32 s26, s33, s26
	s_cselect_b32 s25, s27, s25
	s_add_i32 s27, s26, 1
	s_cmp_ge_u32 s25, s34
	s_cselect_b32 s25, s27, s26
	s_xor_b32 s25, s25, s24
	s_sub_i32 s24, s25, s24
	s_mul_i32 s25, s24, s17
	s_sub_i32 s33, s3, s25
	s_ashr_i32 s25, s24, 31
	s_lshl_b64 s[26:27], s[24:25], 2
	s_add_u32 s28, s28, s26
	s_addc_u32 s29, s29, s27
	s_add_u32 s26, s30, s26
	s_addc_u32 s27, s31, s27
	s_abs_i32 s3, s18
	v_cvt_f32_u32_e32 v1, s3
	s_load_dwordx2 s[38:39], s[28:29], 0x0
	s_sub_i32 s29, 0, s3
	s_load_dword s47, s[26:27], 0x0
	v_rcp_iflag_f32_e32 v1, v1
	v_or_b32_e32 v49, v2, v42
	s_waitcnt lgkmcnt(0)
	s_sub_i32 s45, s39, s38
	s_ashr_i32 s28, s45, 31
	v_mul_f32_e32 v1, 0x4f7ffffe, v1
	v_cvt_u32_f32_e32 v1, v1
	s_lshr_b32 s28, s28, 26
	s_add_i32 s28, s45, s28
	s_ashr_i32 s46, s28, 6
	v_readfirstlane_b32 s30, v1
	s_mul_i32 s29, s29, s30
	s_mul_hi_u32 s29, s30, s29
	s_add_i32 s30, s30, s29
	s_mul_hi_u32 s29, s34, s30
	s_mul_i32 s30, s29, s3
	s_ashr_i32 s28, s18, 31
	s_sub_i32 s30, s34, s30
	s_xor_b32 s28, s35, s28
	s_add_i32 s31, s29, 1
	s_sub_i32 s34, s30, s3
	s_cmp_ge_u32 s30, s3
	s_cselect_b32 s29, s31, s29
	s_cselect_b32 s30, s34, s30
	s_add_i32 s31, s29, 1
	s_cmp_ge_u32 s30, s3
	s_cselect_b32 s3, s31, s29
	s_xor_b32 s3, s3, s28
	s_sub_i32 s3, s3, s28
	s_abs_i32 s28, s3
	v_cvt_f32_u32_e32 v1, s28
	s_load_dwordx2 s[34:35], s[0:1], 0x80
	s_xor_b32 s0, s33, s3
	s_sub_i32 s3, 0, s28
	v_rcp_iflag_f32_e32 v1, v1
	s_abs_i32 s1, s33
	s_ashr_i32 s0, s0, 31
	v_or_b32_e32 v48, 64, v49
	v_mul_f32_e32 v1, 0x4f7ffffe, v1
	v_cvt_u32_f32_e32 v1, v1
	v_mov_b32_e32 v3, 0
	s_mul_hi_i32 s48, s33, s16
	s_mul_i32 s49, s33, s16
	v_readfirstlane_b32 s26, v1
	s_mul_i32 s3, s3, s26
	s_mul_hi_u32 s3, s26, s3
	s_add_i32 s26, s26, s3
	s_mul_hi_u32 s3, s1, s26
	s_mul_i32 s26, s3, s28
	s_sub_i32 s1, s1, s26
	s_add_i32 s26, s3, 1
	s_sub_i32 s27, s1, s28
	s_cmp_ge_u32 s1, s28
	s_cselect_b32 s3, s26, s3
	s_cselect_b32 s1, s27, s1
	s_add_i32 s26, s3, 1
	s_cmp_ge_u32 s1, s28
	s_cselect_b32 s1, s26, s3
	s_xor_b32 s1, s1, s0
	s_sub_i32 s51, s1, s0
	s_lshl_b32 s36, s2, 4
	v_and_b32_e32 v1, 15, v0
	s_cmp_lt_i32 s45, 64
	v_lshrrev_b32_e32 v47, 3, v43
	v_lshlrev_b32_e32 v46, 3, v0
	s_mul_i32 s42, s24, s21
	s_mul_hi_u32 s43, s24, s20
	s_mul_i32 s44, s25, s20
	s_mul_i32 s20, s24, s20
	v_mov_b32_e32 v66, 0
	v_mov_b32_e32 v34, 0
	;; [unrolled: 1-line block ×7, first 2 shown]
	s_cbranch_scc1 .LBB759_18
; %bb.1:
	s_ashr_i32 s53, s33, 31
	s_ashr_i32 s1, s38, 31
	s_add_u32 s0, s49, s38
	s_addc_u32 s1, s48, s1
	s_lshl_b64 s[0:1], s[0:1], 8
	v_and_b32_e32 v51, 56, v46
	s_add_u32 s0, s6, s0
	v_lshl_or_b32 v50, v44, 3, v47
	v_lshlrev_b32_e32 v3, 1, v51
	s_addc_u32 s1, s7, s1
	v_lshl_or_b32 v52, v50, 8, v3
	s_and_b32 s1, s1, 0xffff
	s_mov_b32 s3, 0x20000
	s_movk_i32 s2, 0x4000
	s_movk_i32 s21, 0x80
	v_or_b32_e32 v53, 0x2000, v52
	buffer_load_dwordx4 v[4:7], v52, s[0:3], 0 offen
	buffer_load_dwordx4 v[8:11], v52, s[0:3], s21 offen
	;; [unrolled: 1-line block ×4, first 2 shown]
	v_lshlrev_b32_e32 v20, 3, v50
	v_and_or_b32 v22, v0, 7, v20
	v_and_b32_e32 v20, 0x78, v20
	v_lshlrev_b32_e32 v22, 4, v22
	v_xor_b32_e32 v54, v22, v20
	v_mul_lo_u32 v21, v50, s19
	v_or_b32_e32 v55, 0x1000, v54
	s_cmpk_eq_i32 s19, 0x80
	s_mov_b32 s50, s17
	s_mov_b32 s52, s38
	v_xor_b32_e32 v20, 8, v54
	v_xor_b32_e32 v22, 8, v55
	s_cselect_b64 s[0:1], -1, 0
	s_cmpk_lg_i32 s19, 0x80
	s_waitcnt vmcnt(3)
	ds_write_b64 v54, v[4:5] offset:16384
	ds_write_b64 v20, v[6:7] offset:16384
	s_waitcnt vmcnt(2)
	ds_write_b64 v54, v[8:9] offset:24576
	ds_write_b64 v20, v[10:11] offset:24576
	;; [unrolled: 3-line block ×4, first 2 shown]
	v_lshl_add_u32 v4, v21, 1, v51
	s_cbranch_scc0 .LBB759_3
; %bb.2:
	v_lshlrev_b32_e32 v6, 1, v4
	v_add_lshl_u32 v5, v4, s19, 1
	s_lshl_b32 s26, s19, 7
	v_lshl_or_b32 v3, v50, 9, v3
	s_cbranch_execz .LBB759_4
	s_branch .LBB759_5
.LBB759_3:
                                        ; implicit-def: $vgpr5
                                        ; implicit-def: $vgpr6
                                        ; implicit-def: $sgpr26
	v_lshl_or_b32 v3, v50, 9, v3
.LBB759_4:
	v_or_b32_e32 v5, 0x100, v3
	s_movk_i32 s26, 0x4000
	v_mov_b32_e32 v6, v3
.LBB759_5:
	s_mul_i32 s2, s38, s18
	s_ashr_i32 s54, s51, 31
	s_mul_hi_i32 s3, s38, s18
	s_add_u32 s2, s2, s51
	s_addc_u32 s3, s3, s54
	s_lshl_b64 s[2:3], s[2:3], 8
	s_add_u32 s24, s4, s2
	s_addc_u32 s2, s5, s3
	s_and_b32 s25, s2, 0xffff
	s_mov_b32 s27, 0x20000
	s_movk_i32 s55, 0x80
	buffer_load_dwordx4 v[8:11], v6, s[24:27], 0 offen
	buffer_load_dwordx4 v[12:15], v6, s[24:27], s55 offen
	;; [unrolled: 1-line block ×4, first 2 shown]
	v_and_b32_e32 v5, 6, v0
	v_lshlrev_b32_e32 v7, 2, v1
	v_lshlrev_b32_e32 v24, 3, v1
	v_xor_b32_e32 v26, v50, v5
	v_and_b32_e32 v6, 1, v0
	v_lshl_or_b32 v24, v49, 5, v24
	v_xor_b32_e32 v27, v49, v7
	v_lshlrev_b32_e32 v26, 2, v26
	s_mul_i32 s3, s33, s23
	s_mul_hi_u32 s21, s33, s22
	v_or_b32_e32 v56, 0x9000, v24
	v_or_b32_e32 v57, 0x9800, v24
	v_lshlrev_b32_e32 v24, 1, v27
	v_xor_b32_e32 v27, 0x440, v26
	v_cmp_eq_u32_e32 vcc, 0, v6
	s_add_i32 s25, s43, s42
	s_mul_i32 s24, s53, s22
	v_cndmask_b32_e32 v6, v27, v26, vcc
	s_add_i32 s3, s21, s3
	s_add_i32 s21, s25, s44
	s_mov_b32 s56, 0x1000504
	v_lshlrev_b32_e32 v25, 8, v1
	s_mov_b32 s26, 0x8000
	v_xor_b32_e32 v7, v48, v7
	v_lshl_or_b32 v5, v5, 10, v6
	s_add_i32 s3, s3, s24
	s_lshl_b64 s[24:25], s[20:21], 2
	s_mov_b32 s57, 0x3020706
	s_mul_i32 s2, s33, s22
	v_lshlrev_b32_e32 v7, 1, v7
	v_or3_b32 v58, v24, v25, s26
	v_xor_b32_e32 v6, 8, v5
	v_xor_b32_e32 v24, 24, v5
	;; [unrolled: 1-line block ×4, first 2 shown]
	s_add_u32 s21, s10, s24
	v_or3_b32 v59, v7, v25, s26
	v_xor_b32_e32 v7, 16, v5
	v_xor_b32_e32 v25, 32, v5
	;; [unrolled: 1-line block ×3, first 2 shown]
	v_add_u32_e32 v6, 0x80, v6
	v_add_u32_e32 v24, 0x80, v24
	;; [unrolled: 1-line block ×4, first 2 shown]
	s_addc_u32 s24, s11, s25
	s_lshl_b64 s[2:3], s[2:3], 2
	s_add_u32 s2, s21, s2
	s_movk_i32 s21, 0xf8
	s_addc_u32 s3, s24, s3
	s_ashr_i32 s37, s36, 31
	s_lshl_b32 s30, s19, 7
	s_lshl_b64 s[24:25], s[36:37], 8
	s_add_u32 s24, s12, s24
	s_addc_u32 s25, s13, s25
	v_mov_b32_e32 v35, 0
	s_mov_b32 s58, 0
	v_add_u32_e32 v78, v42, v2
	v_mov_b32_e32 v79, 0x3fb8aa3b
	v_mov_b32_e32 v68, v35
	;; [unrolled: 1-line block ×7, first 2 shown]
	s_waitcnt vmcnt(1)
	v_perm_b32 v29, v8, v16, s56
	s_waitcnt vmcnt(0)
	v_perm_b32 v30, v12, v20, s56
	v_perm_b32 v8, v8, v16, s57
	;; [unrolled: 1-line block ×15, first 2 shown]
	ds_write2st64_b32 v5, v29, v30 offset1:32
	ds_write2st64_b32 v6, v8, v12 offset1:32
	ds_write2st64_b32 v7, v16, v20 offset0:1 offset1:33
	ds_write2st64_b32 v24, v9, v13 offset0:1 offset1:33
	;; [unrolled: 1-line block ×6, first 2 shown]
	v_or_b32_e32 v5, v42, v1
	v_lshlrev_b32_e32 v5, 3, v5
	v_lshrrev_b32_e32 v7, 5, v43
	v_and_or_b32 v7, v5, s21, v7
	v_lshlrev_b32_e32 v7, 4, v7
	v_lshlrev_b32_e32 v10, 11, v44
	v_and_b32_e32 v5, 0x78, v5
	v_or_b32_e32 v12, 32, v7
	v_and_b32_e32 v6, 0x1000, v10
	v_lshrrev_b32_e32 v11, 1, v0
	v_xor_b32_e32 v12, v12, v5
	v_and_b32_e32 v9, 8, v11
	v_or_b32_e32 v12, v12, v6
	v_xor_b32_e32 v8, v7, v5
	v_xor_b32_e32 v62, v12, v9
	v_or_b32_e32 v12, 64, v7
	v_or_b32_e32 v7, 0x60, v7
	v_xor_b32_e32 v12, v12, v5
	v_xor_b32_e32 v5, v7, v5
	v_or_b32_e32 v5, v5, v6
	v_or_b32_e32 v12, v12, v6
	v_xor_b32_e32 v65, v5, v9
	v_lshlrev_b32_e32 v5, 1, v1
	v_xor_b32_e32 v63, v12, v9
	v_lshlrev_b32_e32 v12, 1, v4
	v_add_lshl_u32 v13, v4, s19, 1
	v_lshrrev_b32_e32 v4, 4, v0
	v_or_b32_e32 v15, 1, v5
	v_xor_b32_e32 v5, v4, v5
	v_xor_b32_e32 v15, v15, v4
	v_lshlrev_b32_e32 v5, 3, v5
	v_lshlrev_b32_e32 v34, 8, v4
	;; [unrolled: 1-line block ×3, first 2 shown]
	v_or3_b32 v70, v5, v34, s26
	v_or3_b32 v71, v4, v34, s26
	v_lshl_add_u64 v[4:5], s[24:25], 0, v[34:35]
	v_lshlrev_b32_e32 v34, 4, v1
	s_movk_i32 s21, 0xff
	v_lshlrev_b32_e32 v17, 3, v44
	v_and_b32_e32 v11, 24, v11
	v_lshl_add_u64 v[36:37], v[4:5], 0, v[34:35]
	v_and_b32_e32 v5, 8, v0
	v_cmp_lt_u32_e32 vcc, s21, v0
	v_xor_b32_e32 v18, v17, v11
	v_or_b32_e32 v19, 0x440, v18
	v_cndmask_b32_e64 v16, 0, 1, vcc
	v_cmp_eq_u32_e32 vcc, 0, v5
	v_and_b32_e32 v4, 7, v0
	v_lshlrev_b32_e32 v15, 3, v4
	v_cndmask_b32_e32 v5, v19, v18, vcc
	v_lshlrev_b32_e32 v4, 7, v4
	v_or_b32_e32 v5, v5, v10
	v_xad_u32 v72, v5, v15, v4
	v_or_b32_e32 v5, 32, v11
	v_xor_b32_e32 v5, v17, v5
	v_or_b32_e32 v18, 0x440, v5
	v_cndmask_b32_e32 v5, v18, v5, vcc
	v_or_b32_e32 v5, v5, v10
	v_xad_u32 v73, v5, v15, v4
	v_or_b32_e32 v5, 64, v11
	v_xor_b32_e32 v5, v17, v5
	v_xor_b32_e32 v18, 0x440, v5
	v_cndmask_b32_e32 v5, v18, v5, vcc
	v_or_b32_e32 v5, v5, v10
	v_xad_u32 v74, v5, v15, v4
	v_or_b32_e32 v5, 0x60, v11
	v_xor_b32_e32 v5, v17, v5
	v_or_b32_e32 v8, v8, v6
	v_or_b32_e32 v6, s36, v1
	v_xor_b32_e32 v11, 0x440, v5
	v_xor_b32_e32 v60, v8, v9
	v_and_b32_e32 v8, 0x78, v46
	v_ashrrev_i32_e32 v7, 31, v6
	v_cndmask_b32_e32 v5, v11, v5, vcc
	v_lshl_or_b32 v8, v45, 7, v8
	v_lshlrev_b64 v[6:7], 1, v[6:7]
	v_or_b32_e32 v5, v5, v10
	v_or_b32_e32 v61, 0x9000, v8
	;; [unrolled: 1-line block ×3, first 2 shown]
	v_lshl_add_u64 v[8:9], s[8:9], 0, v[6:7]
	v_lshl_add_u64 v[6:7], s[14:15], 0, v[6:7]
	v_or_b32_e32 v14, 0x100, v3
	v_lshlrev_b32_e32 v16, 13, v16
	v_xad_u32 v75, v5, v15, v4
	v_lshlrev_b32_e32 v34, 8, v49
	v_cndmask_b32_e64 v76, v12, v3, s[0:1]
	v_cndmask_b32_e64 v77, v13, v14, s[0:1]
	v_lshl_add_u64 v[38:39], v[8:9], 0, v[34:35]
	v_lshl_add_u64 v[40:41], v[6:7], 0, v[34:35]
	s_mov_b32 s21, 0x7060302
	s_movk_i32 s26, 0x4000
	v_add_u32_e32 v80, v16, v72
	v_add_u32_e32 v81, v16, v73
	;; [unrolled: 1-line block ×4, first 2 shown]
	v_mov_b32_e32 v34, v35
	s_waitcnt lgkmcnt(0)
	s_barrier
.LBB759_6:                              ; =>This Inner Loop Header: Depth=1
	s_add_i32 s37, s58, 1
	s_cmp_lt_i32 s37, s46
	s_mov_b64 s[28:29], 0
	s_cselect_b64 s[40:41], -1, 0
	s_cmp_ge_i32 s37, s46
	s_mov_b64 s[24:25], 0
	s_cbranch_scc1 .LBB759_8
; %bb.7:                                ;   in Loop: Header=BB759_6 Depth=1
	s_add_i32 s0, s52, 64
	s_ashr_i32 s1, s0, 31
	s_add_u32 s0, s49, s0
	s_addc_u32 s1, s48, s1
	s_lshl_b64 s[0:1], s[0:1], 8
	s_add_u32 s24, s6, s0
	s_addc_u32 s25, s7, s1
.LBB759_8:                              ;   in Loop: Header=BB759_6 Depth=1
	v_cndmask_b32_e64 v2, 0, 1, s[40:41]
	v_cmp_ne_u32_e64 s[0:1], 1, v2
	s_andn2_b64 vcc, exec, s[40:41]
	s_cbranch_vccnz .LBB759_10
; %bb.9:                                ;   in Loop: Header=BB759_6 Depth=1
	s_add_i32 s28, s52, 64
	s_mul_hi_i32 s29, s28, s18
	s_mul_i32 s28, s28, s18
	s_add_u32 s28, s28, s51
	s_addc_u32 s29, s29, s54
	s_lshl_b64 s[28:29], s[28:29], 8
	s_add_u32 s28, s4, s28
	s_addc_u32 s29, s5, s29
.LBB759_10:                             ;   in Loop: Header=BB759_6 Depth=1
	v_perm_b32 v3, v85, v69, s21
	v_perm_b32 v2, v68, v35, s21
	;; [unrolled: 1-line block ×4, first 2 shown]
	ds_write_b64 v56, v[2:3]
	ds_write_b64 v57, v[4:5]
	;; [unrolled: 1-line block ×4, first 2 shown]
	s_waitcnt lgkmcnt(0)
	s_barrier
	ds_read_b64 v[10:11], v60 offset:16384
	ds_read_b64 v[12:13], v62 offset:16384
	ds_read2st64_b64 v[2:5], v61 offset1:1
	s_waitcnt lgkmcnt(0)
	v_mfma_f32_16x16x16_bf16 a[0:3], v[10:11], v[2:3], 0
	ds_read2st64_b64 v[6:9], v61 offset0:2 offset1:3
	ds_read_b64 v[14:15], v63 offset:16384
	ds_read_b64 v[2:3], v65 offset:16384
	s_add_i32 s31, s52, 63
	v_mfma_f32_16x16x16_bf16 a[0:3], v[12:13], v[4:5], a[0:3]
	s_ashr_i32 s40, s31, 31
	s_mul_i32 s41, s31, s35
	s_mul_hi_u32 s59, s31, s34
	s_waitcnt lgkmcnt(1)
	v_mfma_f32_16x16x16_bf16 a[0:3], v[14:15], v[6:7], a[0:3]
	s_add_i32 s41, s59, s41
	s_mul_i32 s40, s40, s34
	s_add_i32 s41, s41, s40
	s_mul_i32 s40, s31, s34
	s_waitcnt lgkmcnt(0)
	v_mfma_f32_16x16x16_bf16 a[0:3], v[2:3], v[8:9], a[0:3]
	s_lshl_b64 s[40:41], s[40:41], 2
	s_add_u32 s40, s2, s40
	s_addc_u32 s41, s3, s41
	s_and_b64 vcc, exec, s[0:1]
	v_mov_b32_e32 v88, 0
	v_mov_b32_e32 v87, 0
	;; [unrolled: 1-line block ×19, first 2 shown]
	s_cbranch_vccnz .LBB759_12
; %bb.11:                               ;   in Loop: Header=BB759_6 Depth=1
	s_and_b32 s25, s25, 0xffff
	buffer_load_dwordx4 v[14:17], v52, s[24:27], 0 offen
	buffer_load_dwordx4 v[10:13], v52, s[24:27], s55 offen
	;; [unrolled: 1-line block ×4, first 2 shown]
	v_mov_b32_e32 v87, v54
	v_mov_b32_e32 v86, v55
.LBB759_12:                             ;   in Loop: Header=BB759_6 Depth=1
	s_waitcnt vmcnt(3)
	v_add_u32_e32 v22, s52, v78
	s_waitcnt vmcnt(1)
	v_ashrrev_i32_e32 v18, 31, v22
	v_mul_lo_u32 v20, v18, s34
	v_mul_lo_u32 v21, v22, s35
	v_mad_u64_u32 v[18:19], s[24:25], v22, s34, 0
	v_add3_u32 v19, v19, v21, v20
	v_lshl_add_u64 v[18:19], v[18:19], 2, s[2:3]
	global_load_dword v90, v[18:19], off
	v_add_u32_e32 v18, 1, v22
	v_ashrrev_i32_e32 v19, 31, v18
	v_mul_lo_u32 v20, v19, s34
	v_mul_lo_u32 v21, v18, s35
	v_mad_u64_u32 v[18:19], s[24:25], v18, s34, 0
	v_add3_u32 v19, v19, v21, v20
	v_add_u32_e32 v20, 2, v22
	v_ashrrev_i32_e32 v21, 31, v20
	v_mul_lo_u32 v23, v21, s34
	v_mul_lo_u32 v24, v20, s35
	v_mad_u64_u32 v[20:21], s[24:25], v20, s34, 0
	v_add_u32_e32 v22, 3, v22
	v_add3_u32 v21, v21, v24, v23
	v_ashrrev_i32_e32 v23, 31, v22
	v_mul_lo_u32 v26, v23, s34
	v_mul_lo_u32 v27, v22, s35
	v_mad_u64_u32 v[22:23], s[24:25], v22, s34, 0
	s_ashr_i32 s25, s52, 31
	s_add_u32 s24, s49, s52
	s_addc_u32 s25, s48, s25
	s_lshl_b64 s[60:61], s[24:25], 8
	v_lshl_add_u64 v[18:19], v[18:19], 2, s[2:3]
	v_lshl_add_u64 v[24:25], v[38:39], 0, s[60:61]
	v_add3_u32 v23, v23, v27, v26
	v_lshl_add_u64 v[20:21], v[20:21], 2, s[2:3]
	global_load_ushort v91, v[24:25], off
	global_load_ushort v92, v[24:25], off offset:256
	global_load_ushort v93, v[24:25], off offset:512
	;; [unrolled: 1-line block ×3, first 2 shown]
	v_lshl_add_u64 v[22:23], v[22:23], 2, s[2:3]
	global_load_dword v95, v[18:19], off
	global_load_dword v96, v[20:21], off
	;; [unrolled: 1-line block ×3, first 2 shown]
	ds_read_b64 v[22:23], v60 offset:24576
	ds_read_b64 v[28:29], v62 offset:24576
	ds_read2st64_b64 v[18:21], v67 offset1:1
	s_waitcnt lgkmcnt(0)
	v_mfma_f32_16x16x16_bf16 a[0:3], v[22:23], v[18:19], a[0:3]
	s_load_dword s24, s[40:41], 0x0
	ds_read2st64_b64 v[24:27], v67 offset0:2 offset1:3
	ds_read_b64 v[30:31], v63 offset:24576
	ds_read_b64 v[32:33], v65 offset:24576
	v_mov_b32_e32 v89, 0
	v_mfma_f32_16x16x16_bf16 a[0:3], v[28:29], v[20:21], a[0:3]
	v_mov_b32_e32 v18, 0
	v_mov_b32_e32 v19, 0
	;; [unrolled: 1-line block ×3, first 2 shown]
	s_waitcnt lgkmcnt(0)
	v_mfma_f32_16x16x16_bf16 a[0:3], v[30:31], v[24:25], a[0:3]
	v_lshl_add_u64 v[24:25], v[40:41], 0, s[60:61]
	v_mov_b32_e32 v21, 0
	v_mov_b32_e32 v22, 0
	v_mfma_f32_16x16x16_bf16 a[0:3], v[32:33], v[26:27], a[0:3]
	v_mov_b32_e32 v23, 0
	s_and_b64 vcc, exec, s[0:1]
	s_waitcnt vmcnt(7)
	v_sub_f32_e32 v90, s24, v90
	s_nop 2
	v_accvgpr_read_b32 v29, a1
	v_accvgpr_read_b32 v27, a3
	;; [unrolled: 1-line block ×4, first 2 shown]
	v_mul_f32_e32 v90, 0x3fb8aa3b, v90
	s_waitcnt vmcnt(6)
	v_lshlrev_b32_e32 v30, 16, v91
	s_waitcnt vmcnt(5)
	v_lshlrev_b32_e32 v31, 16, v92
	;; [unrolled: 2-line block ×4, first 2 shown]
	s_waitcnt vmcnt(2)
	v_sub_f32_e32 v91, s24, v95
	s_waitcnt vmcnt(1)
	v_sub_f32_e32 v92, s24, v96
	;; [unrolled: 2-line block ×3, first 2 shown]
	v_pk_add_f32 v[28:29], v[30:31], v[28:29] neg_lo:[0,1] neg_hi:[0,1]
	v_pk_add_f32 v[26:27], v[32:33], v[26:27] neg_lo:[0,1] neg_hi:[0,1]
	v_mul_f32_e32 v31, 0x3fb8aa3b, v91
	v_mul_f32_e32 v32, 0x3fb8aa3b, v92
	;; [unrolled: 1-line block ×3, first 2 shown]
	v_exp_f32_e32 v30, v90
	v_exp_f32_e32 v31, v31
	;; [unrolled: 1-line block ×4, first 2 shown]
	global_store_short_d16_hi v[24:25], v28, off
	global_store_short_d16_hi v[24:25], v29, off offset:256
	global_store_short_d16_hi v[24:25], v26, off offset:512
	;; [unrolled: 1-line block ×3, first 2 shown]
	v_pk_mul_f32 v[24:25], v[30:31], v[28:29]
	v_pk_mul_f32 v[26:27], v[32:33], v[26:27]
	v_perm_b32 v24, v25, v24, s21
	v_perm_b32 v25, v27, v26, s21
	ds_write_b64 v57, v[24:25]
	v_mov_b32_e32 v24, 0
	v_mov_b32_e32 v25, 0
	;; [unrolled: 1-line block ×10, first 2 shown]
	s_cbranch_vccnz .LBB759_14
; %bb.13:                               ;   in Loop: Header=BB759_6 Depth=1
	s_and_b32 s29, s29, 0xffff
	s_mov_b32 s31, s27
	buffer_load_dwordx4 v[30:33], v76, s[28:31], 0 offen
	buffer_load_dwordx4 v[22:25], v76, s[28:31], s55 offen
	;; [unrolled: 1-line block ×4, first 2 shown]
	v_mov_b32_e32 v88, v51
	v_mov_b32_e32 v89, v50
.LBB759_14:                             ;   in Loop: Header=BB759_6 Depth=1
	s_waitcnt lgkmcnt(0)
	s_barrier
	ds_read_b64 v[98:99], v80
	ds_read2st64_b64 v[90:93], v67 offset1:1
	ds_read2st64_b64 v[94:97], v67 offset0:2 offset1:3
	ds_read_b64 v[100:101], v81
	ds_read_b64 v[102:103], v82
	;; [unrolled: 1-line block ×3, first 2 shown]
	s_waitcnt lgkmcnt(4)
	v_mfma_f32_16x16x16_bf16 a[0:3], v[98:99], v[90:91], 0
	ds_read_b64 v[98:99], v72 offset:8192
	ds_read_b64 v[106:107], v73 offset:8192
	s_add_i32 s25, s47, s58
	s_mul_hi_i32 s29, s25, s50
	s_waitcnt lgkmcnt(1)
	v_mfma_f32_16x16x16_bf16 a[4:7], v[98:99], v[90:91], 0
	s_mul_i32 s25, s25, s50
	s_add_u32 s28, s25, s33
	s_addc_u32 s29, s29, s53
	v_mfma_f32_16x16x16_bf16 a[0:3], v[100:101], v[92:93], a[0:3]
	ds_read_b64 v[98:99], v70
	ds_read_b64 v[100:101], v71
	ds_read_b64 v[90:91], v74 offset:8192
	s_lshl_b64 s[28:29], s[28:29], 15
	v_mfma_f32_16x16x16_bf16 a[0:3], v[102:103], v[94:95], a[0:3]
	ds_read_b64 v[102:103], v75 offset:8192
	s_and_b64 vcc, exec, s[0:1]
	s_waitcnt lgkmcnt(4)
	v_mfma_f32_16x16x16_bf16 a[4:7], v[106:107], v[92:93], a[4:7]
	s_waitcnt lgkmcnt(1)
	v_mfma_f32_16x16x16_bf16 a[4:7], v[90:91], v[94:95], a[4:7]
	v_lshl_add_u64 v[90:91], v[36:37], 0, s[28:29]
	global_store_dwordx4 v[90:91], v[98:101], off
	v_mfma_f32_16x16x16_bf16 a[0:3], v[104:105], v[96:97], a[0:3]
	s_waitcnt lgkmcnt(0)
	v_mfma_f32_16x16x16_bf16 a[4:7], v[102:103], v[96:97], a[4:7]
	s_cbranch_vccnz .LBB759_16
; %bb.15:                               ;   in Loop: Header=BB759_6 Depth=1
	v_lshrrev_b32_e32 v90, 3, v88
	v_and_b32_e32 v90, 6, v90
	v_xor_b32_e32 v89, v90, v89
	v_lshlrev_b32_e32 v89, 2, v89
	v_and_b32_e32 v88, 8, v88
	v_xor_b32_e32 v91, 0x440, v89
	v_cmp_eq_u32_e32 vcc, 0, v88
	s_barrier
	s_nop 0
	v_cndmask_b32_e32 v88, v91, v89, vcc
	v_lshl_or_b32 v88, v90, 10, v88
	s_waitcnt vmcnt(2)
	v_perm_b32 v89, v30, v26, s56
	s_waitcnt vmcnt(1)
	v_perm_b32 v90, v22, v18, s56
	ds_write2st64_b32 v88, v89, v90 offset1:32
	v_xor_b32_e32 v89, 8, v88
	v_perm_b32 v26, v30, v26, s57
	v_perm_b32 v18, v22, v18, s57
	v_add_u32_e32 v22, 0x80, v89
	ds_write2st64_b32 v22, v26, v18 offset1:32
	v_xor_b32_e32 v18, 16, v88
	v_perm_b32 v22, v31, v27, s56
	v_perm_b32 v26, v23, v19, s56
	ds_write2st64_b32 v18, v22, v26 offset0:1 offset1:33
	v_xor_b32_e32 v18, 24, v88
	v_perm_b32 v22, v31, v27, s57
	v_perm_b32 v19, v23, v19, s57
	v_add_u32_e32 v18, 0x80, v18
	ds_write2st64_b32 v18, v22, v19 offset0:1 offset1:33
	v_xor_b32_e32 v18, 32, v88
	v_perm_b32 v19, v32, v28, s56
	v_perm_b32 v22, v24, v20, s56
	ds_write2st64_b32 v18, v19, v22 offset0:2 offset1:34
	v_xor_b32_e32 v18, 40, v88
	v_perm_b32 v19, v32, v28, s57
	v_perm_b32 v20, v24, v20, s57
	v_add_u32_e32 v18, 0x80, v18
	ds_write2st64_b32 v18, v19, v20 offset0:2 offset1:34
	;; [unrolled: 9-line block ×3, first 2 shown]
	ds_write_b64 v87, v[14:15] offset:16384
	v_xor_b32_e32 v14, 8, v87
	ds_write_b64 v14, v[16:17] offset:16384
	ds_write_b64 v87, v[10:11] offset:24576
	;; [unrolled: 1-line block ×4, first 2 shown]
	v_xor_b32_e32 v6, 8, v86
	ds_write_b64 v6, v[8:9] offset:16384
	ds_write_b64 v86, v[2:3] offset:24576
	;; [unrolled: 1-line block ×3, first 2 shown]
.LBB759_16:                             ;   in Loop: Header=BB759_6 Depth=1
	v_mul_f32_e32 v2, s24, v79
	v_exp_f32_e32 v2, v2
	s_nop 1
	v_accvgpr_read_b32 v3, a0
	v_accvgpr_read_b32 v4, a1
	s_add_i32 s52, s52, 64
	v_fma_f32 v35, v35, v2, v3
	v_accvgpr_read_b32 v3, a2
	v_fma_f32 v69, v69, v2, v3
	v_accvgpr_read_b32 v3, a4
	v_fma_f32 v64, v64, v2, v3
	v_accvgpr_read_b32 v3, a5
	v_fma_f32 v34, v34, v2, v3
	v_accvgpr_read_b32 v3, a6
	v_fma_f32 v68, v68, v2, v4
	v_accvgpr_read_b32 v4, a3
	v_fma_f32 v66, v66, v2, v3
	v_accvgpr_read_b32 v3, a7
	v_fmac_f32_e32 v4, v85, v2
	s_cmp_eq_u32 s46, s37
	v_fmac_f32_e32 v3, v84, v2
	s_cbranch_scc1 .LBB759_18
; %bb.17:                               ;   in Loop: Header=BB759_6 Depth=1
	s_mov_b32 s58, s37
	v_mov_b32_e32 v85, v4
	v_mov_b32_e32 v84, v3
	s_branch .LBB759_6
.LBB759_18:
	s_lshl_b32 s0, s46, 6
	s_sub_i32 s45, s45, s0
	s_cmp_gt_i32 s45, 0
	s_cbranch_scc0 .LBB759_75
; %bb.19:
	s_add_i32 s38, s0, s38
	s_ashr_i32 s2, s38, 31
	s_cmpk_lg_i32 s19, 0x80
	s_cselect_b64 s[30:31], -1, 0
	s_and_b64 vcc, exec, s[30:31]
	s_cbranch_vccz .LBB759_21
; %bb.20:
	s_mul_i32 s1, s38, s18
	s_ashr_i32 s3, s51, 31
	s_mul_hi_i32 s0, s38, s18
	s_add_u32 s40, s1, s51
	s_addc_u32 s41, s0, s3
	s_cbranch_execz .LBB759_22
	s_branch .LBB759_23
.LBB759_21:
                                        ; implicit-def: $sgpr40_sgpr41
.LBB759_22:
	s_mul_i32 s1, s51, s16
	s_mul_hi_i32 s0, s51, s16
	s_add_u32 s40, s1, s38
	s_addc_u32 s41, s0, s2
.LBB759_23:
	s_add_i32 s3, s46, s47
	s_ashr_i32 s16, s33, 31
	s_add_u32 s0, s49, s38
	s_addc_u32 s1, s48, s2
	s_mov_b32 s2, 0x7060302
	v_lshlrev_b32_e32 v6, 3, v1
	v_perm_b32 v5, v4, v69, s2
	v_perm_b32 v4, v68, v35, s2
	;; [unrolled: 1-line block ×4, first 2 shown]
	v_lshlrev_b32_e32 v34, 2, v1
	v_lshl_or_b32 v6, v49, 5, v6
	s_lshl_b64 s[28:29], s[0:1], 8
	ds_write2st64_b64 v6, v[4:5], v[2:3] offset0:72 offset1:76
	v_xor_b32_e32 v6, v49, v34
	v_lshlrev_b32_e32 v7, 8, v1
	s_add_u32 s0, s6, s28
	v_lshl_or_b32 v6, v6, 1, v7
	s_addc_u32 s1, s7, s29
	ds_write_b64 v6, v[4:5] offset:32768
	v_xor_b32_e32 v4, v48, v34
	s_mul_hi_i32 s6, s3, s17
	s_mul_i32 s3, s3, s17
	v_lshl_or_b32 v4, v4, 1, v7
	s_add_u32 s2, s3, s33
	ds_write_b64 v4, v[2:3] offset:32768
	s_addc_u32 s3, s6, s16
	v_lshlrev_b32_e32 v3, 1, v1
	v_lshrrev_b32_e32 v2, 4, v0
	s_ashr_i32 s37, s36, 31
	s_lshl_b64 s[2:3], s[2:3], 15
	v_or_b32_e32 v4, 1, v3
	s_add_u32 s6, s12, s2
	v_xor_b32_e32 v3, v2, v3
	v_xor_b32_e32 v4, v4, v2
	v_lshlrev_b32_e32 v6, 8, v2
	s_addc_u32 s7, s13, s3
	s_lshl_b64 s[2:3], s[36:37], 8
	v_lshl_or_b32 v2, v3, 3, v6
	v_lshl_or_b32 v4, v4, 3, v6
	s_waitcnt lgkmcnt(0)
	s_barrier
	s_add_u32 s2, s6, s2
	ds_read_b64 v[2:3], v2 offset:32768
	ds_read_b64 v[4:5], v4 offset:32768
	s_addc_u32 s3, s7, s3
	v_mov_b32_e32 v7, 0
	s_cmp_lg_u32 s45, 64
	v_lshl_add_u64 v[8:9], s[2:3], 0, v[6:7]
	v_lshlrev_b32_e32 v6, 4, v1
	s_cselect_b64 s[6:7], -1, 0
	v_lshl_or_b32 v35, v44, 3, v47
	s_mov_b32 s24, 0
	v_lshl_add_u64 v[6:7], v[8:9], 0, v[6:7]
	s_waitcnt vmcnt(1)
	v_or_b32_e32 v19, 32, v35
	v_and_b32_e32 v18, 56, v46
	s_and_b64 vcc, exec, s[6:7]
	s_waitcnt lgkmcnt(0)
	global_store_dwordx4 v[6:7], v[2:5], off
	s_cbranch_vccz .LBB759_29
; %bb.24:
	s_mov_b32 s25, s24
	s_mov_b32 s26, s24
	;; [unrolled: 1-line block ×3, first 2 shown]
	v_mov_b64_e32 v[6:7], s[24:25]
	v_mov_b64_e32 v[8:9], s[26:27]
	v_mov_b64_e32 v[2:3], v[6:7]
	v_cmp_gt_i32_e32 vcc, s45, v35
	v_mov_b64_e32 v[4:5], v[8:9]
	s_and_saveexec_b64 s[2:3], vcc
	s_cbranch_execz .LBB759_26
; %bb.25:
	v_lshlrev_b32_e32 v2, 8, v35
	v_mov_b32_e32 v3, 0
	v_lshl_add_u64 v[4:5], s[0:1], 0, v[2:3]
	v_lshlrev_b32_e32 v2, 1, v18
	v_lshl_add_u64 v[10:11], v[4:5], 0, v[2:3]
	global_load_dwordx4 v[6:9], v[10:11], off
	global_load_dwordx4 v[2:5], v[10:11], off offset:128
.LBB759_26:
	s_or_b64 exec, exec, s[2:3]
	s_mov_b32 s25, s24
	s_mov_b32 s26, s24
	;; [unrolled: 1-line block ×3, first 2 shown]
	v_mov_b64_e32 v[14:15], s[24:25]
	v_mov_b64_e32 v[16:17], s[26:27]
	;; [unrolled: 1-line block ×3, first 2 shown]
	v_cmp_gt_i32_e32 vcc, s45, v19
	v_lshlrev_b32_e32 v20, 7, v19
	v_mov_b64_e32 v[12:13], v[16:17]
	s_and_saveexec_b64 s[2:3], vcc
	s_cbranch_execz .LBB759_28
; %bb.27:
	v_lshlrev_b32_e32 v10, 1, v20
	v_mov_b32_e32 v11, 0
	v_lshl_add_u64 v[12:13], s[0:1], 0, v[10:11]
	v_lshlrev_b32_e32 v10, 1, v18
	v_lshl_add_u64 v[22:23], v[12:13], 0, v[10:11]
	global_load_dwordx4 v[14:17], v[22:23], off
	global_load_dwordx4 v[10:13], v[22:23], off offset:128
.LBB759_28:
	s_or_b64 exec, exec, s[2:3]
	v_lshrrev_b32_e32 v21, 3, v18
	v_lshlrev_b32_e32 v22, 3, v35
	v_or_b32_e32 v21, v22, v21
	v_lshlrev_b32_e32 v21, 4, v21
	v_and_b32_e32 v22, 0x78, v22
	v_xor_b32_e32 v21, v21, v22
	s_branch .LBB759_31
.LBB759_29:
                                        ; implicit-def: $vgpr21
                                        ; implicit-def: $vgpr20
                                        ; implicit-def: $vgpr6_vgpr7_vgpr8_vgpr9
                                        ; implicit-def: $vgpr2_vgpr3_vgpr4_vgpr5
                                        ; implicit-def: $vgpr14_vgpr15_vgpr16_vgpr17
                                        ; implicit-def: $vgpr10_vgpr11_vgpr12_vgpr13
	s_cbranch_execz .LBB759_31
; %bb.30:
	s_waitcnt vmcnt(0)
	v_lshlrev_b32_e32 v2, 1, v18
	v_lshl_or_b32 v20, v35, 8, v2
	s_and_b32 s1, s1, 0xffff
	s_mov_b32 s3, 0x20000
	s_movk_i32 s2, 0x4000
	v_lshl_or_b32 v21, v19, 8, v2
	s_movk_i32 s12, 0x80
	buffer_load_dwordx4 v[6:9], v20, s[0:3], 0 offen
	buffer_load_dwordx4 v[2:5], v20, s[0:3], s12 offen
	buffer_load_dwordx4 v[14:17], v21, s[0:3], 0 offen
	buffer_load_dwordx4 v[10:13], v21, s[0:3], s12 offen
	v_lshrrev_b32_e32 v20, 3, v18
	v_lshlrev_b32_e32 v21, 3, v35
	v_or_b32_e32 v20, v21, v20
	v_lshlrev_b32_e32 v20, 4, v20
	v_and_b32_e32 v21, 0x78, v21
	v_xor_b32_e32 v21, v20, v21
	v_lshlrev_b32_e32 v20, 7, v19
.LBB759_31:
	s_lshl_b64 s[0:1], s[40:41], 8
	s_add_u32 s4, s4, s0
	s_movk_i32 s0, 0x1000
	v_and_or_b32 v19, v20, s0, v21
	s_waitcnt vmcnt(1)
	ds_write_b64 v21, v[6:7] offset:16384
	v_xor_b32_e32 v6, 8, v21
	s_addc_u32 s5, s5, s1
	ds_write_b64 v6, v[8:9] offset:16384
	s_waitcnt vmcnt(0)
	ds_write_b64 v21, v[2:3] offset:24576
	ds_write_b64 v6, v[4:5] offset:24576
	;; [unrolled: 1-line block ×3, first 2 shown]
	v_xor_b32_e32 v2, 8, v19
	s_add_i32 s0, s43, s42
	ds_write_b64 v2, v[16:17] offset:16384
	ds_write_b64 v19, v[10:11] offset:24576
	;; [unrolled: 1-line block ×3, first 2 shown]
	s_add_i32 s21, s0, s44
	s_mul_i32 s0, s33, s23
	s_mul_hi_u32 s1, s33, s22
	v_or_b32_e32 v2, v42, v1
	s_add_i32 s0, s1, s0
	s_mul_i32 s1, s16, s22
	v_lshlrev_b32_e32 v2, 3, v2
	v_lshrrev_b32_e32 v4, 5, v43
	s_movk_i32 s16, 0xf8
	v_and_or_b32 v4, v2, s16, v4
	v_lshlrev_b32_e32 v3, 11, v44
	v_lshlrev_b32_e32 v12, 4, v4
	v_and_b32_e32 v13, 0x78, v2
	v_and_b32_e32 v14, 0x1000, v3
	v_lshlrev_b32_e32 v3, 2, v0
	v_xor_b32_e32 v2, v12, v13
	v_lshrrev_b32_e32 v4, 1, v43
	v_and_b32_e32 v3, 60, v3
	v_or_b32_e32 v2, v2, v14
	v_and_b32_e32 v15, 8, v4
	v_xor_b32_e32 v26, v2, v15
	v_lshl_or_b32 v2, v45, 6, v3
	v_lshlrev_b32_e32 v19, 1, v2
	v_or_b32_e32 v2, 32, v12
	v_xor_b32_e32 v2, v2, v13
	s_waitcnt lgkmcnt(0)
	s_barrier
	ds_read_b64 v[10:11], v26 offset:16384
	v_or_b32_e32 v2, v2, v14
	v_xor_b32_e32 v27, v2, v15
	v_or_b32_e32 v2, 64, v12
	v_xor_b32_e32 v2, v2, v13
	v_or_b32_e32 v2, v2, v14
	v_or_b32_e32 v12, 0x60, v12
	v_xor_b32_e32 v28, v2, v15
	ds_read2st64_b64 v[2:5], v19 offset0:72 offset1:73
	ds_read2st64_b64 v[6:9], v19 offset0:74 offset1:75
	v_xor_b32_e32 v16, v12, v13
	ds_read_b64 v[12:13], v27 offset:16384
	s_waitcnt lgkmcnt(2)
	v_mfma_f32_16x16x16_bf16 a[0:3], v[10:11], v[2:3], 0
	s_add_i32 s2, s39, -1
	s_ashr_i32 s3, s2, 31
	s_mul_i32 s12, s2, s35
	s_mul_hi_u32 s13, s2, s34
	s_add_i32 s12, s13, s12
	s_mul_i32 s3, s3, s34
	v_or_b32_e32 v14, v16, v14
	s_add_i32 s1, s0, s1
	s_add_i32 s3, s12, s3
	s_lshl_b64 s[12:13], s[20:21], 2
	v_xor_b32_e32 v36, v14, v15
	ds_read_b64 v[14:15], v28 offset:16384
	ds_read_b64 v[16:17], v36 offset:16384
	s_waitcnt lgkmcnt(2)
	v_mfma_f32_16x16x16_bf16 a[0:3], v[12:13], v[4:5], a[0:3]
	s_mul_i32 s0, s33, s22
	s_add_u32 s10, s10, s12
	s_addc_u32 s11, s11, s13
	s_lshl_b64 s[0:1], s[0:1], 2
	s_mul_i32 s2, s2, s34
	s_add_u32 s10, s10, s0
	s_addc_u32 s11, s11, s1
	s_lshl_b64 s[0:1], s[2:3], 2
	s_waitcnt lgkmcnt(1)
	v_mfma_f32_16x16x16_bf16 a[0:3], v[14:15], v[6:7], a[0:3]
	s_add_u32 s0, s10, s0
	s_addc_u32 s1, s11, s1
	s_load_dword s12, s[0:1], 0x0
	s_waitcnt lgkmcnt(0)
	v_mfma_f32_16x16x16_bf16 a[0:3], v[16:17], v[8:9], a[0:3]
	s_and_b64 vcc, exec, s[30:31]
	s_cbranch_vccz .LBB759_42
; %bb.32:
	v_lshlrev_b32_e32 v20, 1, v35
	s_and_b64 vcc, exec, s[6:7]
	s_cbranch_vccz .LBB759_43
; %bb.33:
	v_cmp_gt_i32_e32 vcc, s45, v20
	v_mov_b32_e32 v6, 0
	v_mov_b32_e32 v2, 0
	;; [unrolled: 1-line block ×5, first 2 shown]
	s_and_saveexec_b64 s[0:1], vcc
	s_cbranch_execz .LBB759_35
; %bb.34:
	v_mad_i64_i32 v[2:3], s[2:3], s19, v20, 0
	v_lshl_add_u64 v[2:3], v[2:3], 1, s[4:5]
	v_lshlrev_b32_e32 v4, 1, v18
	v_mov_b32_e32 v5, 0
	v_lshl_add_u64 v[2:3], v[2:3], 0, v[4:5]
	global_load_dwordx4 v[2:5], v[2:3], off
.LBB759_35:
	s_or_b64 exec, exec, s[0:1]
	v_or_b32_e32 v21, 1, v20
	v_cmp_gt_i32_e64 s[0:1], s45, v21
	v_mov_b32_e32 v7, 0
	v_mov_b32_e32 v8, 0
	;; [unrolled: 1-line block ×3, first 2 shown]
	s_and_saveexec_b64 s[2:3], s[0:1]
	s_cbranch_execz .LBB759_37
; %bb.36:
	v_mad_i64_i32 v[6:7], s[16:17], s19, v21, 0
	v_lshl_add_u64 v[6:7], v[6:7], 1, s[4:5]
	v_lshlrev_b32_e32 v8, 1, v18
	v_mov_b32_e32 v9, 0
	v_lshl_add_u64 v[6:7], v[6:7], 0, v[8:9]
	global_load_dwordx4 v[6:9], v[6:7], off
.LBB759_37:
	s_or_b64 exec, exec, s[2:3]
	v_mov_b32_e32 v17, 0
	v_mov_b32_e32 v10, 0
	;; [unrolled: 1-line block ×5, first 2 shown]
	s_and_saveexec_b64 s[2:3], vcc
	s_cbranch_execz .LBB759_39
; %bb.38:
	v_mad_i64_i32 v[10:11], s[16:17], s19, v20, 0
	v_lshl_add_u64 v[10:11], v[10:11], 1, s[4:5]
	v_lshlrev_b32_e32 v12, 1, v18
	v_mov_b32_e32 v13, 0
	v_lshl_add_u64 v[10:11], v[10:11], 0, v[12:13]
	global_load_dwordx4 v[10:13], v[10:11], off offset:128
.LBB759_39:
	s_or_b64 exec, exec, s[2:3]
	v_mov_b32_e32 v16, 0
	v_mov_b32_e32 v15, 0
	v_mov_b32_e32 v14, 0
	s_and_saveexec_b64 s[2:3], s[0:1]
	s_cbranch_execz .LBB759_41
; %bb.40:
	v_mad_i64_i32 v[14:15], s[0:1], s19, v21, 0
	v_lshl_add_u64 v[14:15], v[14:15], 1, s[4:5]
	v_lshlrev_b32_e32 v16, 1, v18
	v_mov_b32_e32 v17, 0
	v_lshl_add_u64 v[14:15], v[14:15], 0, v[16:17]
	global_load_dwordx4 v[14:17], v[14:15], off offset:128
.LBB759_41:
	s_or_b64 exec, exec, s[2:3]
	s_branch .LBB759_45
.LBB759_42:
                                        ; implicit-def: $vgpr5
                                        ; implicit-def: $vgpr9
                                        ; implicit-def: $vgpr13
                                        ; implicit-def: $vgpr17
	v_lshrrev_b32_e32 v37, 2, v43
	s_branch .LBB759_46
.LBB759_43:
                                        ; implicit-def: $vgpr5
                                        ; implicit-def: $vgpr9
                                        ; implicit-def: $vgpr13
                                        ; implicit-def: $vgpr17
	s_cbranch_execz .LBB759_45
; %bb.44:
	s_waitcnt vmcnt(0)
	v_mad_u64_u32 v[2:3], s[0:1], v20, s19, v[18:19]
	v_lshlrev_b32_e32 v20, 1, v2
	s_lshl_b32 s2, s19, 7
	s_and_b32 s1, s5, 0xffff
	s_mov_b32 s3, 0x20000
	s_mov_b32 s0, s4
	v_add_lshl_u32 v21, v2, s19, 1
	s_movk_i32 s13, 0x80
	buffer_load_dwordx4 v[2:5], v20, s[0:3], 0 offen
	buffer_load_dwordx4 v[10:13], v20, s[0:3], s13 offen
	;; [unrolled: 1-line block ×4, first 2 shown]
.LBB759_45:
	v_lshrrev_b32_e32 v37, 2, v43
	s_cbranch_execnz .LBB759_58
.LBB759_46:
	s_and_b64 vcc, exec, s[6:7]
	s_cbranch_vccz .LBB759_56
; %bb.47:
	s_waitcnt vmcnt(0)
	v_lshlrev_b32_e32 v7, 1, v35
	v_cmp_gt_i32_e32 vcc, s45, v7
	v_mov_b32_e32 v6, 0
	v_lshlrev_b32_e32 v14, 9, v35
	v_mov_b32_e32 v2, 0
	v_mov_b32_e32 v3, 0
	;; [unrolled: 1-line block ×4, first 2 shown]
	s_and_saveexec_b64 s[0:1], vcc
	s_cbranch_execz .LBB759_49
; %bb.48:
	v_mov_b32_e32 v15, 0
	v_lshl_add_u64 v[2:3], s[4:5], 0, v[14:15]
	v_lshlrev_b32_e32 v4, 1, v18
	v_mov_b32_e32 v5, v15
	v_lshl_add_u64 v[2:3], v[2:3], 0, v[4:5]
	global_load_dwordx4 v[2:5], v[2:3], off
.LBB759_49:
	s_or_b64 exec, exec, s[0:1]
	v_or_b32_e32 v7, 1, v7
	v_cmp_gt_i32_e64 s[0:1], s45, v7
	v_lshlrev_b32_e32 v20, 8, v7
	v_mov_b32_e32 v7, 0
	v_mov_b32_e32 v8, 0
	;; [unrolled: 1-line block ×3, first 2 shown]
	s_and_saveexec_b64 s[2:3], s[0:1]
	s_cbranch_execz .LBB759_51
; %bb.50:
	v_mov_b32_e32 v21, 0
	v_lshl_add_u64 v[6:7], s[4:5], 0, v[20:21]
	v_lshlrev_b32_e32 v8, 1, v18
	v_mov_b32_e32 v9, v21
	v_lshl_add_u64 v[6:7], v[6:7], 0, v[8:9]
	global_load_dwordx4 v[6:9], v[6:7], off
.LBB759_51:
	s_or_b64 exec, exec, s[2:3]
	v_mov_b32_e32 v17, 0
	v_mov_b32_e32 v10, 0
	;; [unrolled: 1-line block ×5, first 2 shown]
	s_and_saveexec_b64 s[2:3], vcc
	s_cbranch_execz .LBB759_53
; %bb.52:
	v_mov_b32_e32 v15, 0
	v_lshl_add_u64 v[10:11], s[4:5], 0, v[14:15]
	v_lshlrev_b32_e32 v14, 1, v18
	v_lshl_add_u64 v[10:11], v[10:11], 0, v[14:15]
	global_load_dwordx4 v[10:13], v[10:11], off offset:128
.LBB759_53:
	s_or_b64 exec, exec, s[2:3]
	v_mov_b32_e32 v16, 0
	v_mov_b32_e32 v15, 0
	;; [unrolled: 1-line block ×3, first 2 shown]
	s_and_saveexec_b64 s[2:3], s[0:1]
	s_cbranch_execz .LBB759_55
; %bb.54:
	v_mov_b32_e32 v21, 0
	v_lshl_add_u64 v[14:15], s[4:5], 0, v[20:21]
	v_lshlrev_b32_e32 v20, 1, v18
	v_lshl_add_u64 v[14:15], v[14:15], 0, v[20:21]
	global_load_dwordx4 v[14:17], v[14:15], off offset:128
.LBB759_55:
	s_or_b64 exec, exec, s[2:3]
	s_branch .LBB759_58
.LBB759_56:
                                        ; implicit-def: $vgpr5
                                        ; implicit-def: $vgpr9
                                        ; implicit-def: $vgpr13
                                        ; implicit-def: $vgpr17
	s_cbranch_execz .LBB759_58
; %bb.57:
	s_waitcnt vmcnt(0)
	v_lshlrev_b32_e32 v2, 1, v18
	v_lshl_or_b32 v18, v35, 9, v2
	s_and_b32 s5, s5, 0xffff
	s_mov_b32 s7, 0x20000
	s_movk_i32 s6, 0x4000
	s_movk_i32 s0, 0x80
	buffer_load_dwordx4 v[2:5], v18, s[4:7], 0 offen
	buffer_load_dwordx4 v[6:9], v18, s[4:7], 0 offen offset:256
	buffer_load_dwordx4 v[10:13], v18, s[4:7], s0 offen
	buffer_load_dwordx4 v[14:17], v18, s[4:7], s0 offen offset:256
.LBB759_58:
	ds_read2st64_b64 v[22:25], v19 offset0:76 offset1:77
	ds_read2st64_b64 v[18:21], v19 offset0:78 offset1:79
	ds_read_b64 v[32:33], v26 offset:24576
	ds_read_b64 v[30:31], v27 offset:24576
	;; [unrolled: 1-line block ×4, first 2 shown]
	v_and_b32_e32 v36, 6, v0
	v_xor_b32_e32 v35, v35, v36
	v_lshlrev_b32_e32 v35, 2, v35
	v_and_b32_e32 v0, 1, v0
	v_xor_b32_e32 v38, 0x440, v35
	v_cmp_eq_u32_e32 vcc, 0, v0
	s_mov_b32 s0, 0x1000504
	s_mov_b32 s1, 0x3020706
	v_cndmask_b32_e32 v0, v38, v35, vcc
	v_lshl_or_b32 v0, v36, 10, v0
	s_waitcnt vmcnt(0)
	v_perm_b32 v35, v2, v6, s0
	v_perm_b32 v36, v10, v14, s0
	ds_write2st64_b32 v0, v35, v36 offset1:32
	v_xor_b32_e32 v35, 8, v0
	v_perm_b32 v2, v2, v6, s1
	v_perm_b32 v6, v10, v14, s1
	v_add_u32_e32 v10, 0x80, v35
	ds_write2st64_b32 v10, v2, v6 offset1:32
	v_xor_b32_e32 v2, 16, v0
	v_perm_b32 v6, v3, v7, s0
	v_perm_b32 v10, v11, v15, s0
	ds_write2st64_b32 v2, v6, v10 offset0:1 offset1:33
	v_xor_b32_e32 v2, 24, v0
	v_perm_b32 v3, v3, v7, s1
	v_perm_b32 v6, v11, v15, s1
	v_add_u32_e32 v2, 0x80, v2
	ds_write2st64_b32 v2, v3, v6 offset0:1 offset1:33
	v_xor_b32_e32 v2, 32, v0
	v_perm_b32 v3, v4, v8, s0
	v_perm_b32 v6, v12, v16, s0
	ds_write2st64_b32 v2, v3, v6 offset0:2 offset1:34
	v_xor_b32_e32 v2, 40, v0
	v_perm_b32 v3, v4, v8, s1
	v_perm_b32 v4, v12, v16, s1
	v_add_u32_e32 v2, 0x80, v2
	ds_write2st64_b32 v2, v3, v4 offset0:2 offset1:34
	v_xor_b32_e32 v2, 48, v0
	v_perm_b32 v3, v5, v9, s0
	v_perm_b32 v4, v13, v17, s0
	v_xor_b32_e32 v0, 56, v0
	v_and_or_b32 v8, v37, 12, v42
	ds_write2st64_b32 v2, v3, v4 offset0:3 offset1:35
	v_perm_b32 v2, v5, v9, s1
	v_perm_b32 v3, v13, v17, s1
	v_add_u32_e32 v0, 0x80, v0
	v_cmp_gt_i32_e32 vcc, s45, v8
	v_mov_b32_e32 v9, 0
	v_mov_b32_e32 v14, 0
	ds_write2st64_b32 v0, v2, v3 offset0:3 offset1:35
	s_and_saveexec_b64 s[0:1], vcc
	s_cbranch_execz .LBB759_60
; %bb.59:
	v_add_u32_e32 v0, s38, v8
	v_ashrrev_i32_e32 v2, 31, v0
	v_mul_lo_u32 v4, v2, s34
	v_mul_lo_u32 v5, v0, s35
	v_mad_u64_u32 v[2:3], s[2:3], v0, s34, 0
	v_add3_u32 v3, v3, v5, v4
	v_lshl_add_u64 v[2:3], v[2:3], 2, s[10:11]
	global_load_dword v0, v[2:3], off
	s_waitcnt vmcnt(0)
	v_sub_f32_e32 v0, s12, v0
	v_mul_f32_e32 v0, 0x3fb8aa3b, v0
	v_exp_f32_e32 v14, v0
.LBB759_60:
	s_or_b64 exec, exec, s[0:1]
	v_or_b32_e32 v12, 1, v8
	v_cmp_gt_i32_e64 s[2:3], s45, v12
	s_and_saveexec_b64 s[0:1], s[2:3]
	s_cbranch_execz .LBB759_62
; %bb.61:
	v_add_u32_e32 v0, s38, v12
	v_ashrrev_i32_e32 v2, 31, v0
	v_mul_lo_u32 v4, v2, s34
	v_mul_lo_u32 v5, v0, s35
	v_mad_u64_u32 v[2:3], s[4:5], v0, s34, 0
	v_add3_u32 v3, v3, v5, v4
	v_lshl_add_u64 v[2:3], v[2:3], 2, s[10:11]
	global_load_dword v0, v[2:3], off
	s_waitcnt vmcnt(0)
	v_sub_f32_e32 v0, s12, v0
	v_mul_f32_e32 v0, 0x3fb8aa3b, v0
	v_exp_f32_e32 v9, v0
.LBB759_62:
	s_or_b64 exec, exec, s[0:1]
	v_or_b32_e32 v11, 2, v8
	v_cmp_gt_i32_e64 s[0:1], s45, v11
	v_mov_b32_e32 v10, 0
	v_mov_b32_e32 v15, 0
	s_and_saveexec_b64 s[4:5], s[0:1]
	s_cbranch_execz .LBB759_64
; %bb.63:
	v_add_u32_e32 v0, s38, v11
	v_ashrrev_i32_e32 v2, 31, v0
	v_mul_lo_u32 v4, v2, s34
	v_mul_lo_u32 v5, v0, s35
	v_mad_u64_u32 v[2:3], s[6:7], v0, s34, 0
	v_add3_u32 v3, v3, v5, v4
	v_lshl_add_u64 v[2:3], v[2:3], 2, s[10:11]
	global_load_dword v0, v[2:3], off
	s_waitcnt vmcnt(0)
	v_sub_f32_e32 v0, s12, v0
	v_mul_f32_e32 v0, 0x3fb8aa3b, v0
	v_exp_f32_e32 v15, v0
.LBB759_64:
	s_or_b64 exec, exec, s[4:5]
	v_or_b32_e32 v13, 3, v8
	v_cmp_gt_i32_e64 s[4:5], s45, v13
	s_and_saveexec_b64 s[6:7], s[4:5]
	s_cbranch_execz .LBB759_66
; %bb.65:
	v_add_u32_e32 v0, s38, v13
	v_ashrrev_i32_e32 v2, 31, v0
	v_mul_lo_u32 v4, v2, s34
	v_mul_lo_u32 v5, v0, s35
	v_mad_u64_u32 v[2:3], s[16:17], v0, s34, 0
	v_add3_u32 v3, v3, v5, v4
	v_lshl_add_u64 v[2:3], v[2:3], 2, s[10:11]
	global_load_dword v0, v[2:3], off
	s_waitcnt vmcnt(0)
	v_sub_f32_e32 v0, s12, v0
	v_mul_f32_e32 v0, 0x3fb8aa3b, v0
	v_exp_f32_e32 v10, v0
.LBB759_66:
	s_or_b64 exec, exec, s[6:7]
	s_waitcnt lgkmcnt(11)
	v_mfma_f32_16x16x16_bf16 a[0:3], v[32:33], v[22:23], a[0:3]
	v_or_b32_e32 v0, s36, v1
	s_add_u32 s6, s8, s28
	v_ashrrev_i32_e32 v1, 31, v0
	s_waitcnt lgkmcnt(10)
	v_mfma_f32_16x16x16_bf16 a[0:3], v[30:31], v[24:25], a[0:3]
	s_addc_u32 s7, s9, s29
	v_lshlrev_b64 v[0:1], 1, v[0:1]
	v_lshl_add_u64 v[4:5], s[6:7], 0, v[0:1]
	s_waitcnt lgkmcnt(9)
	v_mfma_f32_16x16x16_bf16 a[0:3], v[28:29], v[18:19], a[0:3]
	s_add_u32 s6, s14, s28
	s_addc_u32 s7, s15, s29
	v_lshl_add_u64 v[6:7], s[6:7], 0, v[0:1]
	s_waitcnt lgkmcnt(8)
	v_mfma_f32_16x16x16_bf16 a[0:3], v[26:27], v[20:21], a[0:3]
	v_mov_b32_e32 v16, 0
	v_mov_b32_e32 v17, 0
	s_nop 4
	v_accvgpr_read_b32 v0, a0
	v_accvgpr_read_b32 v1, a1
	;; [unrolled: 1-line block ×4, first 2 shown]
	s_and_saveexec_b64 s[6:7], vcc
	s_cbranch_execz .LBB759_68
; %bb.67:
	v_lshlrev_b32_e32 v18, 8, v8
	v_mov_b32_e32 v19, 0
	v_lshl_add_u64 v[20:21], v[4:5], 0, v[18:19]
	global_load_ushort v17, v[20:21], off
	v_lshl_add_u64 v[18:19], v[6:7], 0, v[18:19]
	s_waitcnt vmcnt(0)
	v_lshlrev_b32_e32 v17, 16, v17
	v_sub_f32_e32 v0, v17, v0
	global_store_short_d16_hi v[18:19], v0, off
	v_mul_f32_e32 v0, v14, v0
	v_lshrrev_b32_e32 v17, 16, v0
.LBB759_68:
	s_or_b64 exec, exec, s[6:7]
	s_and_saveexec_b64 s[6:7], s[2:3]
	s_cbranch_execz .LBB759_70
; %bb.69:
	v_lshlrev_b32_e32 v18, 8, v12
	v_mov_b32_e32 v19, 0
	v_lshl_add_u64 v[20:21], v[4:5], 0, v[18:19]
	global_load_ushort v0, v[20:21], off
	v_lshl_add_u64 v[18:19], v[6:7], 0, v[18:19]
	s_waitcnt vmcnt(0)
	v_lshlrev_b32_e32 v0, 16, v0
	v_sub_f32_e32 v0, v0, v1
	global_store_short_d16_hi v[18:19], v0, off
	v_mul_f32_e32 v0, v9, v0
	v_lshrrev_b32_e32 v16, 16, v0
.LBB759_70:
	s_or_b64 exec, exec, s[6:7]
	v_mov_b32_e32 v0, 0
	v_mov_b32_e32 v1, 0
	s_and_saveexec_b64 s[2:3], s[0:1]
	s_cbranch_execz .LBB759_72
; %bb.71:
	v_lshlrev_b32_e32 v18, 8, v11
	v_mov_b32_e32 v19, 0
	v_lshl_add_u64 v[20:21], v[4:5], 0, v[18:19]
	global_load_ushort v1, v[20:21], off
	v_lshl_add_u64 v[18:19], v[6:7], 0, v[18:19]
	s_waitcnt vmcnt(0)
	v_lshlrev_b32_e32 v1, 16, v1
	v_sub_f32_e32 v1, v1, v2
	global_store_short_d16_hi v[18:19], v1, off
	v_mul_f32_e32 v1, v15, v1
	v_lshrrev_b32_e32 v1, 16, v1
.LBB759_72:
	s_or_b64 exec, exec, s[2:3]
	s_and_saveexec_b64 s[0:1], s[4:5]
	s_cbranch_execz .LBB759_74
; %bb.73:
	v_lshlrev_b32_e32 v12, 8, v13
	v_mov_b32_e32 v13, 0
	v_lshl_add_u64 v[4:5], v[4:5], 0, v[12:13]
	global_load_ushort v0, v[4:5], off
	v_lshl_add_u64 v[4:5], v[6:7], 0, v[12:13]
	s_waitcnt vmcnt(0)
	v_lshlrev_b32_e32 v0, 16, v0
	v_sub_f32_e32 v0, v0, v3
	global_store_short_d16_hi v[4:5], v0, off
	v_mul_f32_e32 v0, v10, v0
	v_lshrrev_b32_e32 v0, 16, v0
.LBB759_74:
	s_or_b64 exec, exec, s[0:1]
	s_mov_b32 s0, 0x5040100
	v_lshlrev_b32_e32 v2, 1, v34
	v_perm_b32 v1, v0, v1, s0
	v_perm_b32 v0, v16, v17, s0
	v_lshl_or_b32 v2, v8, 5, v2
	ds_write_b64 v2, v[0:1] offset:38912
	s_waitcnt lgkmcnt(0)
	s_barrier
.LBB759_75:
	s_endpgm
	.section	.rodata,"a",@progbits
	.p2align	6, 0x0
	.amdhsa_kernel _ZN12_GLOBAL__N_139chunk_gated_delta_rule_fwd_h_hip_kernelILi16ELb0ELb0ELb1ELb1ELb0ELb0ELb0ELb0EEEvPK12hip_bfloat16S3_S3_PKfS5_PKvPS1_S8_PvPKiSB_iiiiilll
		.amdhsa_group_segment_fixed_size 40960
		.amdhsa_private_segment_fixed_size 0
		.amdhsa_kernarg_size 136
		.amdhsa_user_sgpr_count 2
		.amdhsa_user_sgpr_dispatch_ptr 0
		.amdhsa_user_sgpr_queue_ptr 0
		.amdhsa_user_sgpr_kernarg_segment_ptr 1
		.amdhsa_user_sgpr_dispatch_id 0
		.amdhsa_user_sgpr_kernarg_preload_length 0
		.amdhsa_user_sgpr_kernarg_preload_offset 0
		.amdhsa_user_sgpr_private_segment_size 0
		.amdhsa_uses_dynamic_stack 0
		.amdhsa_enable_private_segment 0
		.amdhsa_system_sgpr_workgroup_id_x 1
		.amdhsa_system_sgpr_workgroup_id_y 1
		.amdhsa_system_sgpr_workgroup_id_z 0
		.amdhsa_system_sgpr_workgroup_info 0
		.amdhsa_system_vgpr_workitem_id 0
		.amdhsa_next_free_vgpr 116
		.amdhsa_next_free_sgpr 62
		.amdhsa_accum_offset 108
		.amdhsa_reserve_vcc 1
		.amdhsa_float_round_mode_32 0
		.amdhsa_float_round_mode_16_64 0
		.amdhsa_float_denorm_mode_32 3
		.amdhsa_float_denorm_mode_16_64 3
		.amdhsa_dx10_clamp 1
		.amdhsa_ieee_mode 1
		.amdhsa_fp16_overflow 0
		.amdhsa_tg_split 0
		.amdhsa_exception_fp_ieee_invalid_op 0
		.amdhsa_exception_fp_denorm_src 0
		.amdhsa_exception_fp_ieee_div_zero 0
		.amdhsa_exception_fp_ieee_overflow 0
		.amdhsa_exception_fp_ieee_underflow 0
		.amdhsa_exception_fp_ieee_inexact 0
		.amdhsa_exception_int_div_zero 0
	.end_amdhsa_kernel
	.section	.text._ZN12_GLOBAL__N_139chunk_gated_delta_rule_fwd_h_hip_kernelILi16ELb0ELb0ELb1ELb1ELb0ELb0ELb0ELb0EEEvPK12hip_bfloat16S3_S3_PKfS5_PKvPS1_S8_PvPKiSB_iiiiilll,"axG",@progbits,_ZN12_GLOBAL__N_139chunk_gated_delta_rule_fwd_h_hip_kernelILi16ELb0ELb0ELb1ELb1ELb0ELb0ELb0ELb0EEEvPK12hip_bfloat16S3_S3_PKfS5_PKvPS1_S8_PvPKiSB_iiiiilll,comdat
.Lfunc_end759:
	.size	_ZN12_GLOBAL__N_139chunk_gated_delta_rule_fwd_h_hip_kernelILi16ELb0ELb0ELb1ELb1ELb0ELb0ELb0ELb0EEEvPK12hip_bfloat16S3_S3_PKfS5_PKvPS1_S8_PvPKiSB_iiiiilll, .Lfunc_end759-_ZN12_GLOBAL__N_139chunk_gated_delta_rule_fwd_h_hip_kernelILi16ELb0ELb0ELb1ELb1ELb0ELb0ELb0ELb0EEEvPK12hip_bfloat16S3_S3_PKfS5_PKvPS1_S8_PvPKiSB_iiiiilll
                                        ; -- End function
	.section	.AMDGPU.csdata,"",@progbits
; Kernel info:
; codeLenInByte = 7244
; NumSgprs: 68
; NumVgprs: 108
; NumAgprs: 8
; TotalNumVgprs: 116
; ScratchSize: 0
; MemoryBound: 0
; FloatMode: 240
; IeeeMode: 1
; LDSByteSize: 40960 bytes/workgroup (compile time only)
; SGPRBlocks: 8
; VGPRBlocks: 14
; NumSGPRsForWavesPerEU: 68
; NumVGPRsForWavesPerEU: 116
; AccumOffset: 108
; Occupancy: 1
; WaveLimiterHint : 1
; COMPUTE_PGM_RSRC2:SCRATCH_EN: 0
; COMPUTE_PGM_RSRC2:USER_SGPR: 2
; COMPUTE_PGM_RSRC2:TRAP_HANDLER: 0
; COMPUTE_PGM_RSRC2:TGID_X_EN: 1
; COMPUTE_PGM_RSRC2:TGID_Y_EN: 1
; COMPUTE_PGM_RSRC2:TGID_Z_EN: 0
; COMPUTE_PGM_RSRC2:TIDIG_COMP_CNT: 0
; COMPUTE_PGM_RSRC3_GFX90A:ACCUM_OFFSET: 26
; COMPUTE_PGM_RSRC3_GFX90A:TG_SPLIT: 0
	.section	.text._ZN12_GLOBAL__N_139chunk_gated_delta_rule_fwd_h_hip_kernelILi16ELb0ELb0ELb0ELb1ELb0ELb0ELb0ELb0EEEvPK12hip_bfloat16S3_S3_PKfS5_PKvPS1_S8_PvPKiSB_iiiiilll,"axG",@progbits,_ZN12_GLOBAL__N_139chunk_gated_delta_rule_fwd_h_hip_kernelILi16ELb0ELb0ELb0ELb1ELb0ELb0ELb0ELb0EEEvPK12hip_bfloat16S3_S3_PKfS5_PKvPS1_S8_PvPKiSB_iiiiilll,comdat
	.globl	_ZN12_GLOBAL__N_139chunk_gated_delta_rule_fwd_h_hip_kernelILi16ELb0ELb0ELb0ELb1ELb0ELb0ELb0ELb0EEEvPK12hip_bfloat16S3_S3_PKfS5_PKvPS1_S8_PvPKiSB_iiiiilll ; -- Begin function _ZN12_GLOBAL__N_139chunk_gated_delta_rule_fwd_h_hip_kernelILi16ELb0ELb0ELb0ELb1ELb0ELb0ELb0ELb0EEEvPK12hip_bfloat16S3_S3_PKfS5_PKvPS1_S8_PvPKiSB_iiiiilll
	.p2align	8
	.type	_ZN12_GLOBAL__N_139chunk_gated_delta_rule_fwd_h_hip_kernelILi16ELb0ELb0ELb0ELb1ELb0ELb0ELb0ELb0EEEvPK12hip_bfloat16S3_S3_PKfS5_PKvPS1_S8_PvPKiSB_iiiiilll,@function
_ZN12_GLOBAL__N_139chunk_gated_delta_rule_fwd_h_hip_kernelILi16ELb0ELb0ELb0ELb1ELb0ELb0ELb0ELb0EEEvPK12hip_bfloat16S3_S3_PKfS5_PKvPS1_S8_PvPKiSB_iiiiilll: ; @_ZN12_GLOBAL__N_139chunk_gated_delta_rule_fwd_h_hip_kernelILi16ELb0ELb0ELb0ELb1ELb0ELb0ELb0ELb0EEEvPK12hip_bfloat16S3_S3_PKfS5_PKvPS1_S8_PvPKiSB_iiiiilll
; %bb.0:
	s_load_dwordx4 s[12:15], s[0:1], 0x5c
	s_load_dwordx4 s[16:19], s[0:1], 0x70
	s_abs_i32 s21, s3
	s_ashr_i32 s20, s3, 31
	s_load_dwordx2 s[36:37], s[0:1], 0x30
	s_load_dwordx4 s[24:27], s[0:1], 0x48
	s_waitcnt lgkmcnt(0)
	s_abs_i32 s28, s13
	v_cvt_f32_u32_e32 v1, s28
	s_sub_i32 s22, 0, s28
	s_ashr_i32 s29, s13, 31
	s_xor_b32 s20, s20, s29
	v_rcp_iflag_f32_e32 v1, v1
	s_load_dwordx8 s[4:11], s[0:1], 0x0
	v_lshrrev_b32_e32 v42, 6, v0
	v_bfe_u32 v43, v0, 4, 2
	v_mul_f32_e32 v1, 0x4f7ffffe, v1
	v_cvt_u32_f32_e32 v1, v1
	v_lshlrev_b32_e32 v40, 4, v42
	v_lshlrev_b32_e32 v2, 2, v43
	v_and_b32_e32 v41, 63, v0
	v_readfirstlane_b32 s23, v1
	s_mul_i32 s22, s22, s23
	s_mul_hi_u32 s22, s23, s22
	s_add_i32 s23, s23, s22
	s_mul_hi_u32 s22, s21, s23
	s_mul_i32 s23, s22, s28
	s_sub_i32 s21, s21, s23
	s_add_i32 s30, s22, 1
	s_sub_i32 s23, s21, s28
	s_cmp_ge_u32 s21, s28
	s_cselect_b32 s22, s30, s22
	s_cselect_b32 s21, s23, s21
	s_add_i32 s23, s22, 1
	s_cmp_ge_u32 s21, s28
	s_cselect_b32 s21, s23, s22
	s_xor_b32 s21, s21, s20
	s_sub_i32 s20, s21, s20
	s_mul_i32 s21, s20, s13
	s_sub_i32 s33, s3, s21
	s_ashr_i32 s21, s20, 31
	s_lshl_b64 s[22:23], s[20:21], 2
	s_add_u32 s24, s24, s22
	s_addc_u32 s25, s25, s23
	s_add_u32 s22, s26, s22
	s_addc_u32 s23, s27, s23
	s_abs_i32 s3, s14
	v_cvt_f32_u32_e32 v1, s3
	s_load_dwordx2 s[34:35], s[24:25], 0x0
	s_sub_i32 s25, 0, s3
	s_load_dword s45, s[22:23], 0x0
	v_rcp_iflag_f32_e32 v1, v1
	v_or_b32_e32 v47, v2, v40
	s_waitcnt lgkmcnt(0)
	s_sub_i32 s43, s35, s34
	s_ashr_i32 s24, s43, 31
	v_mul_f32_e32 v1, 0x4f7ffffe, v1
	v_cvt_u32_f32_e32 v1, v1
	s_lshr_b32 s24, s24, 26
	s_add_i32 s24, s43, s24
	s_ashr_i32 s44, s24, 6
	v_readfirstlane_b32 s26, v1
	s_mul_i32 s25, s25, s26
	s_mul_hi_u32 s25, s26, s25
	s_add_i32 s26, s26, s25
	s_mul_hi_u32 s25, s28, s26
	s_mul_i32 s26, s25, s3
	s_ashr_i32 s24, s14, 31
	s_sub_i32 s26, s28, s26
	s_xor_b32 s24, s29, s24
	s_add_i32 s27, s25, 1
	s_sub_i32 s28, s26, s3
	s_cmp_ge_u32 s26, s3
	s_cselect_b32 s25, s27, s25
	s_cselect_b32 s26, s28, s26
	s_add_i32 s27, s25, 1
	s_cmp_ge_u32 s26, s3
	s_cselect_b32 s3, s27, s25
	s_xor_b32 s3, s3, s24
	s_sub_i32 s3, s3, s24
	s_abs_i32 s24, s3
	v_cvt_f32_u32_e32 v1, s24
	s_load_dwordx2 s[28:29], s[0:1], 0x80
	s_xor_b32 s0, s33, s3
	s_sub_i32 s3, 0, s24
	v_rcp_iflag_f32_e32 v1, v1
	s_abs_i32 s1, s33
	s_ashr_i32 s0, s0, 31
	v_or_b32_e32 v46, 64, v47
	v_mul_f32_e32 v1, 0x4f7ffffe, v1
	v_cvt_u32_f32_e32 v1, v1
	v_mov_b32_e32 v3, 0
	s_mul_hi_i32 s46, s33, s12
	s_mul_i32 s47, s33, s12
	v_readfirstlane_b32 s22, v1
	s_mul_i32 s3, s3, s22
	s_mul_hi_u32 s3, s22, s3
	s_add_i32 s22, s22, s3
	s_mul_hi_u32 s3, s1, s22
	s_mul_i32 s22, s3, s24
	s_sub_i32 s1, s1, s22
	s_add_i32 s22, s3, 1
	s_sub_i32 s23, s1, s24
	s_cmp_ge_u32 s1, s24
	s_cselect_b32 s3, s22, s3
	s_cselect_b32 s1, s23, s1
	s_add_i32 s22, s3, 1
	s_cmp_ge_u32 s1, s24
	s_cselect_b32 s1, s22, s3
	s_xor_b32 s1, s1, s0
	s_sub_i32 s49, s1, s0
	s_lshl_b32 s30, s2, 4
	v_and_b32_e32 v1, 15, v0
	s_cmp_lt_i32 s43, 64
	v_lshrrev_b32_e32 v45, 3, v41
	v_lshlrev_b32_e32 v44, 3, v0
	s_mul_i32 s40, s20, s17
	s_mul_hi_u32 s41, s20, s16
	s_mul_i32 s42, s21, s16
	s_mul_i32 s16, s20, s16
	v_mov_b32_e32 v63, 0
	v_mov_b32_e32 v34, 0
	;; [unrolled: 1-line block ×7, first 2 shown]
	s_cbranch_scc1 .LBB760_18
; %bb.1:
	s_ashr_i32 s51, s33, 31
	s_ashr_i32 s1, s34, 31
	s_add_u32 s0, s47, s34
	s_addc_u32 s1, s46, s1
	s_lshl_b64 s[0:1], s[0:1], 8
	v_and_b32_e32 v49, 56, v44
	s_add_u32 s0, s6, s0
	v_lshl_or_b32 v48, v42, 3, v45
	v_lshlrev_b32_e32 v3, 1, v49
	s_addc_u32 s1, s7, s1
	v_lshl_or_b32 v50, v48, 8, v3
	s_and_b32 s1, s1, 0xffff
	s_mov_b32 s3, 0x20000
	s_movk_i32 s2, 0x4000
	s_movk_i32 s17, 0x80
	v_or_b32_e32 v51, 0x2000, v50
	buffer_load_dwordx4 v[4:7], v50, s[0:3], 0 offen
	buffer_load_dwordx4 v[8:11], v50, s[0:3], s17 offen
	buffer_load_dwordx4 v[12:15], v51, s[0:3], 0 offen
	buffer_load_dwordx4 v[16:19], v51, s[0:3], s17 offen
	v_lshlrev_b32_e32 v20, 3, v48
	v_and_or_b32 v22, v0, 7, v20
	v_and_b32_e32 v20, 0x78, v20
	v_lshlrev_b32_e32 v22, 4, v22
	v_xor_b32_e32 v52, v22, v20
	v_mul_lo_u32 v21, v48, s15
	v_or_b32_e32 v53, 0x1000, v52
	s_cmpk_eq_i32 s15, 0x80
	s_mov_b32 s48, s13
	s_mov_b32 s50, s34
	v_xor_b32_e32 v20, 8, v52
	v_xor_b32_e32 v22, 8, v53
	s_cselect_b64 s[0:1], -1, 0
	s_cmpk_lg_i32 s15, 0x80
	s_waitcnt vmcnt(3)
	ds_write_b64 v52, v[4:5] offset:16384
	ds_write_b64 v20, v[6:7] offset:16384
	s_waitcnt vmcnt(2)
	ds_write_b64 v52, v[8:9] offset:24576
	ds_write_b64 v20, v[10:11] offset:24576
	;; [unrolled: 3-line block ×4, first 2 shown]
	v_lshl_add_u32 v4, v21, 1, v49
	s_cbranch_scc0 .LBB760_3
; %bb.2:
	v_lshlrev_b32_e32 v6, 1, v4
	v_add_lshl_u32 v5, v4, s15, 1
	s_lshl_b32 s22, s15, 7
	v_lshl_or_b32 v3, v48, 9, v3
	s_cbranch_execz .LBB760_4
	s_branch .LBB760_5
.LBB760_3:
                                        ; implicit-def: $vgpr5
                                        ; implicit-def: $vgpr6
                                        ; implicit-def: $sgpr22
	v_lshl_or_b32 v3, v48, 9, v3
.LBB760_4:
	v_or_b32_e32 v5, 0x100, v3
	s_movk_i32 s22, 0x4000
	v_mov_b32_e32 v6, v3
.LBB760_5:
	s_mul_i32 s2, s34, s14
	s_ashr_i32 s52, s49, 31
	s_mul_hi_i32 s3, s34, s14
	s_add_u32 s2, s2, s49
	s_addc_u32 s3, s3, s52
	s_lshl_b64 s[2:3], s[2:3], 8
	s_add_u32 s20, s4, s2
	s_addc_u32 s2, s5, s3
	s_and_b32 s21, s2, 0xffff
	s_mov_b32 s23, 0x20000
	s_movk_i32 s53, 0x80
	buffer_load_dwordx4 v[8:11], v6, s[20:23], 0 offen
	buffer_load_dwordx4 v[12:15], v6, s[20:23], s53 offen
	;; [unrolled: 1-line block ×4, first 2 shown]
	v_and_b32_e32 v5, 6, v0
	v_lshlrev_b32_e32 v7, 2, v1
	v_lshlrev_b32_e32 v24, 3, v1
	v_xor_b32_e32 v26, v48, v5
	v_and_b32_e32 v6, 1, v0
	v_lshl_or_b32 v24, v47, 5, v24
	v_xor_b32_e32 v27, v47, v7
	v_lshlrev_b32_e32 v26, 2, v26
	s_mul_i32 s3, s33, s19
	s_mul_hi_u32 s17, s33, s18
	v_or_b32_e32 v54, 0x9000, v24
	v_or_b32_e32 v55, 0x9800, v24
	v_lshlrev_b32_e32 v24, 1, v27
	v_xor_b32_e32 v27, 0x440, v26
	v_cmp_eq_u32_e32 vcc, 0, v6
	s_add_i32 s21, s41, s40
	s_mul_i32 s20, s51, s18
	v_cndmask_b32_e32 v6, v27, v26, vcc
	s_add_i32 s3, s17, s3
	s_add_i32 s17, s21, s42
	s_mov_b32 s54, 0x1000504
	v_lshlrev_b32_e32 v25, 8, v1
	s_mov_b32 s22, 0x8000
	v_xor_b32_e32 v7, v46, v7
	v_lshl_or_b32 v5, v5, 10, v6
	s_add_i32 s3, s3, s20
	s_lshl_b64 s[20:21], s[16:17], 2
	s_mov_b32 s55, 0x3020706
	s_mul_i32 s2, s33, s18
	v_lshlrev_b32_e32 v7, 1, v7
	v_or3_b32 v56, v24, v25, s22
	v_xor_b32_e32 v6, 8, v5
	v_xor_b32_e32 v24, 24, v5
	;; [unrolled: 1-line block ×4, first 2 shown]
	s_add_u32 s17, s10, s20
	v_or3_b32 v57, v7, v25, s22
	v_xor_b32_e32 v7, 16, v5
	v_xor_b32_e32 v25, 32, v5
	;; [unrolled: 1-line block ×3, first 2 shown]
	v_add_u32_e32 v6, 0x80, v6
	v_add_u32_e32 v24, 0x80, v24
	;; [unrolled: 1-line block ×4, first 2 shown]
	s_addc_u32 s20, s11, s21
	s_lshl_b64 s[2:3], s[2:3], 2
	s_add_u32 s2, s17, s2
	s_movk_i32 s17, 0xf8
	s_addc_u32 s3, s20, s3
	s_ashr_i32 s31, s30, 31
	s_lshl_b32 s26, s15, 7
	s_lshl_b64 s[20:21], s[30:31], 8
	s_add_u32 s20, s36, s20
	s_addc_u32 s21, s37, s21
	v_mov_b32_e32 v35, 0
	s_mov_b32 s56, 0
	v_add_u32_e32 v76, v40, v2
	v_mov_b32_e32 v77, 0x3fb8aa3b
	v_mov_b32_e32 v65, v35
	;; [unrolled: 1-line block ×7, first 2 shown]
	s_waitcnt vmcnt(1)
	v_perm_b32 v29, v8, v16, s54
	s_waitcnt vmcnt(0)
	v_perm_b32 v30, v12, v20, s54
	v_perm_b32 v8, v8, v16, s55
	;; [unrolled: 1-line block ×15, first 2 shown]
	ds_write2st64_b32 v5, v29, v30 offset1:32
	ds_write2st64_b32 v6, v8, v12 offset1:32
	ds_write2st64_b32 v7, v16, v20 offset0:1 offset1:33
	ds_write2st64_b32 v24, v9, v13 offset0:1 offset1:33
	;; [unrolled: 1-line block ×6, first 2 shown]
	v_or_b32_e32 v5, v40, v1
	v_lshlrev_b32_e32 v5, 3, v5
	v_lshrrev_b32_e32 v7, 5, v41
	v_and_or_b32 v7, v5, s17, v7
	v_lshlrev_b32_e32 v7, 4, v7
	v_lshlrev_b32_e32 v8, 11, v42
	v_and_b32_e32 v5, 0x78, v5
	v_or_b32_e32 v12, 32, v7
	v_and_b32_e32 v6, 0x1000, v8
	v_lshrrev_b32_e32 v10, 1, v0
	v_xor_b32_e32 v12, v12, v5
	v_and_b32_e32 v11, 8, v10
	v_or_b32_e32 v12, v12, v6
	v_xor_b32_e32 v9, v7, v5
	v_xor_b32_e32 v60, v12, v11
	v_or_b32_e32 v12, 64, v7
	v_or_b32_e32 v7, 0x60, v7
	;; [unrolled: 1-line block ×3, first 2 shown]
	v_xor_b32_e32 v12, v12, v5
	v_xor_b32_e32 v5, v7, v5
	;; [unrolled: 1-line block ×3, first 2 shown]
	v_and_b32_e32 v9, 0x78, v44
	v_or_b32_e32 v5, v5, v6
	v_lshl_or_b32 v9, v43, 7, v9
	v_or_b32_e32 v12, v12, v6
	v_xor_b32_e32 v64, v5, v11
	v_lshlrev_b32_e32 v5, 1, v1
	v_or_b32_e32 v59, 0x9000, v9
	v_xor_b32_e32 v61, v12, v11
	v_or_b32_e32 v66, 0x9800, v9
	v_lshlrev_b32_e32 v9, 1, v4
	v_add_lshl_u32 v11, v4, s15, 1
	v_lshrrev_b32_e32 v4, 4, v0
	v_or_b32_e32 v13, 1, v5
	v_xor_b32_e32 v5, v4, v5
	v_xor_b32_e32 v13, v13, v4
	v_lshlrev_b32_e32 v5, 3, v5
	v_lshlrev_b32_e32 v34, 8, v4
	;; [unrolled: 1-line block ×3, first 2 shown]
	v_or3_b32 v68, v5, v34, s22
	v_or3_b32 v69, v4, v34, s22
	v_lshl_add_u64 v[4:5], s[20:21], 0, v[34:35]
	v_lshlrev_b32_e32 v34, 4, v1
	s_movk_i32 s17, 0xff
	v_lshlrev_b32_e32 v15, 3, v42
	v_and_b32_e32 v10, 24, v10
	v_lshl_add_u64 v[36:37], v[4:5], 0, v[34:35]
	v_and_b32_e32 v5, 8, v0
	v_cmp_lt_u32_e32 vcc, s17, v0
	v_xor_b32_e32 v16, v15, v10
	v_or_b32_e32 v17, 0x440, v16
	v_cndmask_b32_e64 v14, 0, 1, vcc
	v_cmp_eq_u32_e32 vcc, 0, v5
	v_and_b32_e32 v4, 7, v0
	v_lshlrev_b32_e32 v13, 3, v4
	v_cndmask_b32_e32 v5, v17, v16, vcc
	v_lshlrev_b32_e32 v4, 7, v4
	v_or_b32_e32 v5, v5, v8
	v_xad_u32 v70, v5, v13, v4
	v_or_b32_e32 v5, 32, v10
	v_xor_b32_e32 v5, v15, v5
	v_or_b32_e32 v16, 0x440, v5
	v_cndmask_b32_e32 v5, v16, v5, vcc
	v_or_b32_e32 v5, v5, v8
	v_xad_u32 v71, v5, v13, v4
	v_or_b32_e32 v5, 64, v10
	v_xor_b32_e32 v5, v15, v5
	v_xor_b32_e32 v16, 0x440, v5
	v_cndmask_b32_e32 v5, v16, v5, vcc
	v_or_b32_e32 v5, v5, v8
	v_xad_u32 v72, v5, v13, v4
	v_or_b32_e32 v5, 0x60, v10
	v_xor_b32_e32 v5, v15, v5
	v_xor_b32_e32 v10, 0x440, v5
	v_or_b32_e32 v6, s30, v1
	v_cndmask_b32_e32 v5, v10, v5, vcc
	v_ashrrev_i32_e32 v7, 31, v6
	v_or_b32_e32 v5, v5, v8
	v_lshl_add_u64 v[6:7], v[6:7], 1, s[8:9]
	v_or_b32_e32 v12, 0x100, v3
	v_lshlrev_b32_e32 v14, 13, v14
	v_xad_u32 v73, v5, v13, v4
	v_lshlrev_b32_e32 v34, 8, v47
	v_cndmask_b32_e64 v74, v9, v3, s[0:1]
	v_cndmask_b32_e64 v75, v11, v12, s[0:1]
	v_lshl_add_u64 v[38:39], v[6:7], 0, v[34:35]
	s_mov_b32 s17, 0x7060302
	s_movk_i32 s22, 0x4000
	v_add_u32_e32 v78, v14, v70
	v_add_u32_e32 v79, v14, v71
	;; [unrolled: 1-line block ×4, first 2 shown]
	v_mov_b32_e32 v34, v35
	s_waitcnt lgkmcnt(0)
	s_barrier
.LBB760_6:                              ; =>This Inner Loop Header: Depth=1
	s_add_i32 s31, s56, 1
	s_cmp_lt_i32 s31, s44
	s_mov_b64 s[24:25], 0
	s_cselect_b64 s[38:39], -1, 0
	s_cmp_ge_i32 s31, s44
	s_mov_b64 s[20:21], 0
	s_cbranch_scc1 .LBB760_8
; %bb.7:                                ;   in Loop: Header=BB760_6 Depth=1
	s_add_i32 s0, s50, 64
	s_ashr_i32 s1, s0, 31
	s_add_u32 s0, s47, s0
	s_addc_u32 s1, s46, s1
	s_lshl_b64 s[0:1], s[0:1], 8
	s_add_u32 s20, s6, s0
	s_addc_u32 s21, s7, s1
.LBB760_8:                              ;   in Loop: Header=BB760_6 Depth=1
	v_cndmask_b32_e64 v2, 0, 1, s[38:39]
	v_cmp_ne_u32_e64 s[0:1], 1, v2
	s_andn2_b64 vcc, exec, s[38:39]
	s_cbranch_vccnz .LBB760_10
; %bb.9:                                ;   in Loop: Header=BB760_6 Depth=1
	s_add_i32 s24, s50, 64
	s_mul_hi_i32 s25, s24, s14
	s_mul_i32 s24, s24, s14
	s_add_u32 s24, s24, s49
	s_addc_u32 s25, s25, s52
	s_lshl_b64 s[24:25], s[24:25], 8
	s_add_u32 s24, s4, s24
	s_addc_u32 s25, s5, s25
.LBB760_10:                             ;   in Loop: Header=BB760_6 Depth=1
	v_perm_b32 v3, v83, v67, s17
	v_perm_b32 v2, v65, v35, s17
	v_perm_b32 v5, v82, v63, s17
	v_perm_b32 v4, v34, v62, s17
	ds_write_b64 v54, v[2:3]
	ds_write_b64 v55, v[4:5]
	;; [unrolled: 1-line block ×4, first 2 shown]
	s_waitcnt lgkmcnt(0)
	s_barrier
	ds_read_b64 v[10:11], v58 offset:16384
	ds_read_b64 v[12:13], v60 offset:16384
	ds_read2st64_b64 v[2:5], v59 offset1:1
	s_waitcnt lgkmcnt(0)
	v_mfma_f32_16x16x16_bf16 a[0:3], v[10:11], v[2:3], 0
	ds_read2st64_b64 v[6:9], v59 offset0:2 offset1:3
	ds_read_b64 v[14:15], v61 offset:16384
	ds_read_b64 v[2:3], v64 offset:16384
	s_add_i32 s27, s50, 63
	v_mfma_f32_16x16x16_bf16 a[0:3], v[12:13], v[4:5], a[0:3]
	s_ashr_i32 s38, s27, 31
	s_mul_i32 s39, s27, s29
	s_mul_hi_u32 s57, s27, s28
	s_waitcnt lgkmcnt(1)
	v_mfma_f32_16x16x16_bf16 a[0:3], v[14:15], v[6:7], a[0:3]
	s_add_i32 s39, s57, s39
	s_mul_i32 s38, s38, s28
	s_add_i32 s39, s39, s38
	s_mul_i32 s38, s27, s28
	s_waitcnt lgkmcnt(0)
	v_mfma_f32_16x16x16_bf16 a[0:3], v[2:3], v[8:9], a[0:3]
	s_lshl_b64 s[38:39], s[38:39], 2
	s_add_u32 s38, s2, s38
	s_addc_u32 s39, s3, s39
	s_and_b64 vcc, exec, s[0:1]
	v_mov_b32_e32 v86, 0
	v_mov_b32_e32 v85, 0
	;; [unrolled: 1-line block ×19, first 2 shown]
	s_cbranch_vccnz .LBB760_12
; %bb.11:                               ;   in Loop: Header=BB760_6 Depth=1
	s_and_b32 s21, s21, 0xffff
	buffer_load_dwordx4 v[14:17], v50, s[20:23], 0 offen
	buffer_load_dwordx4 v[10:13], v50, s[20:23], s53 offen
	;; [unrolled: 1-line block ×4, first 2 shown]
	v_mov_b32_e32 v85, v52
	v_mov_b32_e32 v84, v53
.LBB760_12:                             ;   in Loop: Header=BB760_6 Depth=1
	s_waitcnt vmcnt(3)
	v_add_u32_e32 v22, s50, v76
	s_waitcnt vmcnt(1)
	v_ashrrev_i32_e32 v18, 31, v22
	v_mul_lo_u32 v20, v18, s28
	v_mul_lo_u32 v21, v22, s29
	v_mad_u64_u32 v[18:19], s[20:21], v22, s28, 0
	v_add3_u32 v19, v19, v21, v20
	v_lshl_add_u64 v[18:19], v[18:19], 2, s[2:3]
	global_load_dword v92, v[18:19], off
	v_add_u32_e32 v18, 1, v22
	v_ashrrev_i32_e32 v19, 31, v18
	v_mul_lo_u32 v20, v19, s28
	v_mul_lo_u32 v21, v18, s29
	v_mad_u64_u32 v[18:19], s[20:21], v18, s28, 0
	v_add3_u32 v19, v19, v21, v20
	v_add_u32_e32 v20, 2, v22
	v_ashrrev_i32_e32 v21, 31, v20
	v_mul_lo_u32 v23, v21, s28
	v_mul_lo_u32 v24, v20, s29
	v_mad_u64_u32 v[20:21], s[20:21], v20, s28, 0
	v_add_u32_e32 v22, 3, v22
	v_add3_u32 v21, v21, v24, v23
	v_ashrrev_i32_e32 v23, 31, v22
	v_mul_lo_u32 v26, v23, s28
	v_mul_lo_u32 v27, v22, s29
	v_mad_u64_u32 v[22:23], s[20:21], v22, s28, 0
	s_ashr_i32 s21, s50, 31
	s_add_u32 s20, s47, s50
	s_addc_u32 s21, s46, s21
	s_lshl_b64 s[20:21], s[20:21], 8
	v_lshl_add_u64 v[18:19], v[18:19], 2, s[2:3]
	v_lshl_add_u64 v[24:25], v[38:39], 0, s[20:21]
	v_add3_u32 v23, v23, v27, v26
	v_lshl_add_u64 v[20:21], v[20:21], 2, s[2:3]
	global_load_ushort v93, v[24:25], off
	global_load_ushort v94, v[24:25], off offset:256
	global_load_ushort v95, v[24:25], off offset:512
	global_load_ushort v96, v[24:25], off offset:768
	v_lshl_add_u64 v[22:23], v[22:23], 2, s[2:3]
	global_load_dword v97, v[18:19], off
	global_load_dword v98, v[20:21], off
	;; [unrolled: 1-line block ×3, first 2 shown]
	s_load_dword s20, s[38:39], 0x0
	ds_read_b64 v[26:27], v58 offset:24576
	ds_read2st64_b64 v[22:25], v66 offset1:1
	ds_read2st64_b64 v[28:31], v66 offset0:2 offset1:3
	ds_read_b64 v[32:33], v60 offset:24576
	ds_read_b64 v[88:89], v61 offset:24576
	;; [unrolled: 1-line block ×3, first 2 shown]
	s_waitcnt lgkmcnt(0)
	v_mfma_f32_16x16x16_bf16 a[0:3], v[26:27], v[22:23], a[0:3]
	v_mov_b32_e32 v87, 0
	v_mov_b32_e32 v18, 0
	v_mov_b32_e32 v19, 0
	v_mfma_f32_16x16x16_bf16 a[0:3], v[32:33], v[24:25], a[0:3]
	v_mov_b32_e32 v20, 0
	v_mov_b32_e32 v21, 0
	v_mov_b32_e32 v22, 0
	;; [unrolled: 4-line block ×4, first 2 shown]
	s_and_b64 vcc, exec, s[0:1]
	s_waitcnt vmcnt(7)
	v_sub_f32_e32 v29, s20, v92
	v_mul_f32_e32 v29, 0x3fb8aa3b, v29
	v_exp_f32_e32 v92, v29
	v_accvgpr_read_b32 v33, a1
	v_accvgpr_read_b32 v31, a3
	;; [unrolled: 1-line block ×4, first 2 shown]
	s_waitcnt vmcnt(6)
	v_lshlrev_b32_e32 v88, 16, v93
	s_waitcnt vmcnt(5)
	v_lshlrev_b32_e32 v89, 16, v94
	s_waitcnt vmcnt(4)
	v_lshlrev_b32_e32 v90, 16, v95
	s_waitcnt vmcnt(2)
	v_sub_f32_e32 v93, s20, v97
	s_waitcnt vmcnt(1)
	v_sub_f32_e32 v94, s20, v98
	;; [unrolled: 2-line block ×3, first 2 shown]
	v_mul_f32_e32 v29, 0x3fb8aa3b, v93
	v_mul_f32_e32 v94, 0x3fb8aa3b, v94
	;; [unrolled: 1-line block ×3, first 2 shown]
	v_exp_f32_e32 v93, v29
	v_exp_f32_e32 v94, v94
	;; [unrolled: 1-line block ×3, first 2 shown]
	v_lshlrev_b32_e32 v91, 16, v96
	v_pk_add_f32 v[32:33], v[88:89], v[32:33] neg_lo:[0,1] neg_hi:[0,1]
	v_pk_add_f32 v[30:31], v[90:91], v[30:31] neg_lo:[0,1] neg_hi:[0,1]
	v_pk_mul_f32 v[32:33], v[92:93], v[32:33]
	v_pk_mul_f32 v[30:31], v[94:95], v[30:31]
	v_mov_b32_e32 v29, 0
	v_perm_b32 v31, v31, v30, s17
	v_perm_b32 v30, v33, v32, s17
	ds_write_b64 v55, v[30:31]
	v_mov_b32_e32 v30, 0
	v_mov_b32_e32 v31, 0
	;; [unrolled: 1-line block ×4, first 2 shown]
	s_cbranch_vccnz .LBB760_14
; %bb.13:                               ;   in Loop: Header=BB760_6 Depth=1
	s_and_b32 s25, s25, 0xffff
	s_mov_b32 s27, s23
	buffer_load_dwordx4 v[30:33], v74, s[24:27], 0 offen
	buffer_load_dwordx4 v[22:25], v74, s[24:27], s53 offen
	;; [unrolled: 1-line block ×4, first 2 shown]
	v_mov_b32_e32 v86, v49
	v_mov_b32_e32 v87, v48
.LBB760_14:                             ;   in Loop: Header=BB760_6 Depth=1
	s_waitcnt lgkmcnt(0)
	s_barrier
	ds_read_b64 v[96:97], v78
	ds_read2st64_b64 v[88:91], v66 offset1:1
	ds_read2st64_b64 v[92:95], v66 offset0:2 offset1:3
	ds_read_b64 v[98:99], v79
	ds_read_b64 v[100:101], v80
	;; [unrolled: 1-line block ×3, first 2 shown]
	s_waitcnt lgkmcnt(4)
	v_mfma_f32_16x16x16_bf16 a[0:3], v[96:97], v[88:89], 0
	ds_read_b64 v[96:97], v70 offset:8192
	ds_read_b64 v[104:105], v71 offset:8192
	s_add_i32 s21, s45, s56
	s_mul_hi_i32 s25, s21, s48
	s_waitcnt lgkmcnt(1)
	v_mfma_f32_16x16x16_bf16 a[4:7], v[96:97], v[88:89], 0
	s_mul_i32 s21, s21, s48
	s_add_u32 s24, s21, s33
	s_addc_u32 s25, s25, s51
	v_mfma_f32_16x16x16_bf16 a[0:3], v[98:99], v[90:91], a[0:3]
	ds_read_b64 v[96:97], v68
	ds_read_b64 v[98:99], v69
	ds_read_b64 v[88:89], v72 offset:8192
	s_lshl_b64 s[24:25], s[24:25], 15
	v_mfma_f32_16x16x16_bf16 a[0:3], v[100:101], v[92:93], a[0:3]
	ds_read_b64 v[100:101], v73 offset:8192
	s_and_b64 vcc, exec, s[0:1]
	s_waitcnt lgkmcnt(4)
	v_mfma_f32_16x16x16_bf16 a[4:7], v[104:105], v[90:91], a[4:7]
	s_waitcnt lgkmcnt(1)
	v_mfma_f32_16x16x16_bf16 a[4:7], v[88:89], v[92:93], a[4:7]
	v_lshl_add_u64 v[88:89], v[36:37], 0, s[24:25]
	global_store_dwordx4 v[88:89], v[96:99], off
	v_mfma_f32_16x16x16_bf16 a[0:3], v[102:103], v[94:95], a[0:3]
	s_waitcnt lgkmcnt(0)
	v_mfma_f32_16x16x16_bf16 a[4:7], v[100:101], v[94:95], a[4:7]
	s_cbranch_vccnz .LBB760_16
; %bb.15:                               ;   in Loop: Header=BB760_6 Depth=1
	v_lshrrev_b32_e32 v88, 3, v86
	v_and_b32_e32 v88, 6, v88
	v_xor_b32_e32 v87, v88, v87
	v_lshlrev_b32_e32 v87, 2, v87
	v_and_b32_e32 v86, 8, v86
	v_xor_b32_e32 v89, 0x440, v87
	v_cmp_eq_u32_e32 vcc, 0, v86
	s_barrier
	s_nop 0
	v_cndmask_b32_e32 v86, v89, v87, vcc
	v_lshl_or_b32 v86, v88, 10, v86
	s_waitcnt vmcnt(2)
	v_perm_b32 v87, v30, v26, s54
	s_waitcnt vmcnt(1)
	v_perm_b32 v88, v22, v18, s54
	ds_write2st64_b32 v86, v87, v88 offset1:32
	v_xor_b32_e32 v87, 8, v86
	v_perm_b32 v26, v30, v26, s55
	v_perm_b32 v18, v22, v18, s55
	v_add_u32_e32 v22, 0x80, v87
	ds_write2st64_b32 v22, v26, v18 offset1:32
	v_xor_b32_e32 v18, 16, v86
	v_perm_b32 v22, v31, v27, s54
	v_perm_b32 v26, v23, v19, s54
	ds_write2st64_b32 v18, v22, v26 offset0:1 offset1:33
	v_xor_b32_e32 v18, 24, v86
	v_perm_b32 v22, v31, v27, s55
	v_perm_b32 v19, v23, v19, s55
	v_add_u32_e32 v18, 0x80, v18
	ds_write2st64_b32 v18, v22, v19 offset0:1 offset1:33
	v_xor_b32_e32 v18, 32, v86
	v_perm_b32 v19, v32, v28, s54
	v_perm_b32 v22, v24, v20, s54
	ds_write2st64_b32 v18, v19, v22 offset0:2 offset1:34
	v_xor_b32_e32 v18, 40, v86
	v_perm_b32 v19, v32, v28, s55
	v_perm_b32 v20, v24, v20, s55
	v_add_u32_e32 v18, 0x80, v18
	ds_write2st64_b32 v18, v19, v20 offset0:2 offset1:34
	;; [unrolled: 9-line block ×3, first 2 shown]
	ds_write_b64 v85, v[14:15] offset:16384
	v_xor_b32_e32 v14, 8, v85
	ds_write_b64 v14, v[16:17] offset:16384
	ds_write_b64 v85, v[10:11] offset:24576
	ds_write_b64 v14, v[12:13] offset:24576
	ds_write_b64 v84, v[6:7] offset:16384
	v_xor_b32_e32 v6, 8, v84
	ds_write_b64 v6, v[8:9] offset:16384
	ds_write_b64 v84, v[2:3] offset:24576
	;; [unrolled: 1-line block ×3, first 2 shown]
.LBB760_16:                             ;   in Loop: Header=BB760_6 Depth=1
	v_mul_f32_e32 v2, s20, v77
	v_exp_f32_e32 v2, v2
	s_nop 1
	v_accvgpr_read_b32 v3, a0
	v_accvgpr_read_b32 v4, a1
	s_add_i32 s50, s50, 64
	v_fma_f32 v35, v35, v2, v3
	v_accvgpr_read_b32 v3, a2
	v_fma_f32 v67, v67, v2, v3
	v_accvgpr_read_b32 v3, a4
	;; [unrolled: 2-line block ×6, first 2 shown]
	v_fmac_f32_e32 v4, v83, v2
	s_cmp_eq_u32 s44, s31
	v_fmac_f32_e32 v3, v82, v2
	s_cbranch_scc1 .LBB760_18
; %bb.17:                               ;   in Loop: Header=BB760_6 Depth=1
	s_mov_b32 s56, s31
	v_mov_b32_e32 v83, v4
	v_mov_b32_e32 v82, v3
	s_branch .LBB760_6
.LBB760_18:
	s_lshl_b32 s0, s44, 6
	s_sub_i32 s43, s43, s0
	s_cmp_gt_i32 s43, 0
	s_cbranch_scc0 .LBB760_75
; %bb.19:
	s_add_i32 s34, s0, s34
	s_ashr_i32 s2, s34, 31
	s_cmpk_lg_i32 s15, 0x80
	s_cselect_b64 s[26:27], -1, 0
	s_and_b64 vcc, exec, s[26:27]
	s_cbranch_vccz .LBB760_21
; %bb.20:
	s_mul_i32 s1, s34, s14
	s_ashr_i32 s3, s49, 31
	s_mul_hi_i32 s0, s34, s14
	s_add_u32 s38, s1, s49
	s_addc_u32 s39, s0, s3
	s_cbranch_execz .LBB760_22
	s_branch .LBB760_23
.LBB760_21:
                                        ; implicit-def: $sgpr38_sgpr39
.LBB760_22:
	s_mul_i32 s1, s49, s12
	s_mul_hi_i32 s0, s49, s12
	s_add_u32 s38, s1, s34
	s_addc_u32 s39, s0, s2
.LBB760_23:
	s_add_i32 s3, s44, s45
	s_ashr_i32 s12, s33, 31
	s_add_u32 s0, s47, s34
	s_addc_u32 s1, s46, s2
	s_mov_b32 s2, 0x7060302
	v_lshlrev_b32_e32 v6, 3, v1
	v_perm_b32 v5, v4, v67, s2
	v_perm_b32 v4, v65, v35, s2
	;; [unrolled: 1-line block ×4, first 2 shown]
	v_lshlrev_b32_e32 v34, 2, v1
	v_lshl_or_b32 v6, v47, 5, v6
	s_lshl_b64 s[24:25], s[0:1], 8
	ds_write2st64_b64 v6, v[4:5], v[2:3] offset0:72 offset1:76
	v_xor_b32_e32 v6, v47, v34
	v_lshlrev_b32_e32 v7, 8, v1
	s_add_u32 s0, s6, s24
	v_lshl_or_b32 v6, v6, 1, v7
	s_addc_u32 s1, s7, s25
	ds_write_b64 v6, v[4:5] offset:32768
	v_xor_b32_e32 v4, v46, v34
	s_mul_hi_i32 s6, s3, s13
	s_mul_i32 s3, s3, s13
	v_lshl_or_b32 v4, v4, 1, v7
	s_add_u32 s2, s3, s33
	ds_write_b64 v4, v[2:3] offset:32768
	s_addc_u32 s3, s6, s12
	v_lshlrev_b32_e32 v3, 1, v1
	v_lshrrev_b32_e32 v2, 4, v0
	s_ashr_i32 s31, s30, 31
	s_lshl_b64 s[2:3], s[2:3], 15
	v_or_b32_e32 v4, 1, v3
	s_add_u32 s6, s36, s2
	v_xor_b32_e32 v3, v2, v3
	v_xor_b32_e32 v4, v4, v2
	v_lshlrev_b32_e32 v6, 8, v2
	s_addc_u32 s7, s37, s3
	s_lshl_b64 s[2:3], s[30:31], 8
	v_lshl_or_b32 v2, v3, 3, v6
	v_lshl_or_b32 v4, v4, 3, v6
	s_waitcnt lgkmcnt(0)
	s_barrier
	s_add_u32 s2, s6, s2
	ds_read_b64 v[2:3], v2 offset:32768
	ds_read_b64 v[4:5], v4 offset:32768
	s_addc_u32 s3, s7, s3
	v_mov_b32_e32 v7, 0
	s_cmp_lg_u32 s43, 64
	v_lshl_add_u64 v[8:9], s[2:3], 0, v[6:7]
	v_lshlrev_b32_e32 v6, 4, v1
	s_cselect_b64 s[6:7], -1, 0
	v_lshl_or_b32 v35, v42, 3, v45
	s_mov_b32 s20, 0
	v_lshl_add_u64 v[6:7], v[8:9], 0, v[6:7]
	s_waitcnt vmcnt(1)
	v_or_b32_e32 v19, 32, v35
	v_and_b32_e32 v18, 56, v44
	s_and_b64 vcc, exec, s[6:7]
	s_waitcnt lgkmcnt(0)
	global_store_dwordx4 v[6:7], v[2:5], off
	s_cbranch_vccz .LBB760_29
; %bb.24:
	s_mov_b32 s21, s20
	s_mov_b32 s22, s20
	;; [unrolled: 1-line block ×3, first 2 shown]
	v_mov_b64_e32 v[6:7], s[20:21]
	v_mov_b64_e32 v[8:9], s[22:23]
	;; [unrolled: 1-line block ×3, first 2 shown]
	v_cmp_gt_i32_e32 vcc, s43, v35
	v_mov_b64_e32 v[4:5], v[8:9]
	s_and_saveexec_b64 s[2:3], vcc
	s_cbranch_execz .LBB760_26
; %bb.25:
	v_lshlrev_b32_e32 v2, 8, v35
	v_mov_b32_e32 v3, 0
	v_lshl_add_u64 v[4:5], s[0:1], 0, v[2:3]
	v_lshlrev_b32_e32 v2, 1, v18
	v_lshl_add_u64 v[10:11], v[4:5], 0, v[2:3]
	global_load_dwordx4 v[6:9], v[10:11], off
	global_load_dwordx4 v[2:5], v[10:11], off offset:128
.LBB760_26:
	s_or_b64 exec, exec, s[2:3]
	s_mov_b32 s21, s20
	s_mov_b32 s22, s20
	;; [unrolled: 1-line block ×3, first 2 shown]
	v_mov_b64_e32 v[14:15], s[20:21]
	v_mov_b64_e32 v[16:17], s[22:23]
	v_mov_b64_e32 v[10:11], v[14:15]
	v_cmp_gt_i32_e32 vcc, s43, v19
	v_lshlrev_b32_e32 v20, 7, v19
	v_mov_b64_e32 v[12:13], v[16:17]
	s_and_saveexec_b64 s[2:3], vcc
	s_cbranch_execz .LBB760_28
; %bb.27:
	v_lshlrev_b32_e32 v10, 1, v20
	v_mov_b32_e32 v11, 0
	v_lshl_add_u64 v[12:13], s[0:1], 0, v[10:11]
	v_lshlrev_b32_e32 v10, 1, v18
	v_lshl_add_u64 v[22:23], v[12:13], 0, v[10:11]
	global_load_dwordx4 v[14:17], v[22:23], off
	global_load_dwordx4 v[10:13], v[22:23], off offset:128
.LBB760_28:
	s_or_b64 exec, exec, s[2:3]
	v_lshrrev_b32_e32 v21, 3, v18
	v_lshlrev_b32_e32 v22, 3, v35
	v_or_b32_e32 v21, v22, v21
	v_lshlrev_b32_e32 v21, 4, v21
	v_and_b32_e32 v22, 0x78, v22
	v_xor_b32_e32 v21, v21, v22
	s_branch .LBB760_31
.LBB760_29:
                                        ; implicit-def: $vgpr21
                                        ; implicit-def: $vgpr20
                                        ; implicit-def: $vgpr6_vgpr7_vgpr8_vgpr9
                                        ; implicit-def: $vgpr2_vgpr3_vgpr4_vgpr5
                                        ; implicit-def: $vgpr14_vgpr15_vgpr16_vgpr17
                                        ; implicit-def: $vgpr10_vgpr11_vgpr12_vgpr13
	s_cbranch_execz .LBB760_31
; %bb.30:
	s_waitcnt vmcnt(0)
	v_lshlrev_b32_e32 v2, 1, v18
	v_lshl_or_b32 v20, v35, 8, v2
	s_and_b32 s1, s1, 0xffff
	s_mov_b32 s3, 0x20000
	s_movk_i32 s2, 0x4000
	v_lshl_or_b32 v21, v19, 8, v2
	s_movk_i32 s13, 0x80
	buffer_load_dwordx4 v[6:9], v20, s[0:3], 0 offen
	buffer_load_dwordx4 v[2:5], v20, s[0:3], s13 offen
	;; [unrolled: 1-line block ×4, first 2 shown]
	v_lshrrev_b32_e32 v20, 3, v18
	v_lshlrev_b32_e32 v21, 3, v35
	v_or_b32_e32 v20, v21, v20
	v_lshlrev_b32_e32 v20, 4, v20
	v_and_b32_e32 v21, 0x78, v21
	v_xor_b32_e32 v21, v20, v21
	v_lshlrev_b32_e32 v20, 7, v19
.LBB760_31:
	s_lshl_b64 s[0:1], s[38:39], 8
	s_add_u32 s4, s4, s0
	s_movk_i32 s0, 0x1000
	v_and_or_b32 v19, v20, s0, v21
	s_waitcnt vmcnt(1)
	ds_write_b64 v21, v[6:7] offset:16384
	v_xor_b32_e32 v6, 8, v21
	ds_write_b64 v6, v[8:9] offset:16384
	s_waitcnt vmcnt(0)
	ds_write_b64 v21, v[2:3] offset:24576
	ds_write_b64 v6, v[4:5] offset:24576
	;; [unrolled: 1-line block ×3, first 2 shown]
	v_xor_b32_e32 v2, 8, v19
	ds_write_b64 v2, v[16:17] offset:16384
	ds_write_b64 v19, v[10:11] offset:24576
	;; [unrolled: 1-line block ×3, first 2 shown]
	v_or_b32_e32 v2, v40, v1
	v_lshlrev_b32_e32 v2, 3, v2
	v_lshrrev_b32_e32 v4, 5, v41
	s_movk_i32 s14, 0xf8
	v_and_or_b32 v4, v2, s14, v4
	v_lshlrev_b32_e32 v3, 11, v42
	v_lshlrev_b32_e32 v12, 4, v4
	v_and_b32_e32 v13, 0x78, v2
	v_and_b32_e32 v14, 0x1000, v3
	v_lshlrev_b32_e32 v3, 2, v0
	v_xor_b32_e32 v2, v12, v13
	v_lshrrev_b32_e32 v4, 1, v41
	v_and_b32_e32 v3, 60, v3
	v_or_b32_e32 v2, v2, v14
	v_and_b32_e32 v15, 8, v4
	v_xor_b32_e32 v26, v2, v15
	v_lshl_or_b32 v2, v43, 6, v3
	v_lshlrev_b32_e32 v19, 1, v2
	v_or_b32_e32 v2, 32, v12
	v_xor_b32_e32 v2, v2, v13
	s_waitcnt lgkmcnt(0)
	s_barrier
	ds_read_b64 v[10:11], v26 offset:16384
	v_or_b32_e32 v2, v2, v14
	v_xor_b32_e32 v27, v2, v15
	v_or_b32_e32 v2, 64, v12
	v_xor_b32_e32 v2, v2, v13
	v_or_b32_e32 v2, v2, v14
	v_or_b32_e32 v12, 0x60, v12
	v_xor_b32_e32 v28, v2, v15
	ds_read2st64_b64 v[2:5], v19 offset0:72 offset1:73
	ds_read2st64_b64 v[6:9], v19 offset0:74 offset1:75
	v_xor_b32_e32 v16, v12, v13
	ds_read_b64 v[12:13], v27 offset:16384
	s_addc_u32 s5, s5, s1
	s_add_i32 s0, s41, s40
	s_waitcnt lgkmcnt(2)
	v_mfma_f32_16x16x16_bf16 a[0:3], v[10:11], v[2:3], 0
	s_add_i32 s2, s35, -1
	s_add_i32 s17, s0, s42
	s_mul_i32 s0, s33, s19
	s_mul_hi_u32 s1, s33, s18
	s_add_i32 s0, s1, s0
	s_mul_i32 s1, s12, s18
	s_ashr_i32 s3, s2, 31
	s_mul_i32 s12, s2, s29
	s_mul_hi_u32 s13, s2, s28
	s_add_i32 s12, s13, s12
	s_mul_i32 s3, s3, s28
	v_or_b32_e32 v14, v16, v14
	s_add_i32 s1, s0, s1
	s_add_i32 s3, s12, s3
	s_lshl_b64 s[12:13], s[16:17], 2
	v_xor_b32_e32 v36, v14, v15
	ds_read_b64 v[14:15], v28 offset:16384
	ds_read_b64 v[16:17], v36 offset:16384
	s_waitcnt lgkmcnt(2)
	v_mfma_f32_16x16x16_bf16 a[0:3], v[12:13], v[4:5], a[0:3]
	s_mul_i32 s0, s33, s18
	s_add_u32 s10, s10, s12
	s_addc_u32 s11, s11, s13
	s_lshl_b64 s[0:1], s[0:1], 2
	s_mul_i32 s2, s2, s28
	s_add_u32 s10, s10, s0
	s_addc_u32 s11, s11, s1
	s_lshl_b64 s[0:1], s[2:3], 2
	s_waitcnt lgkmcnt(1)
	v_mfma_f32_16x16x16_bf16 a[0:3], v[14:15], v[6:7], a[0:3]
	s_add_u32 s0, s10, s0
	s_addc_u32 s1, s11, s1
	s_load_dword s12, s[0:1], 0x0
	s_waitcnt lgkmcnt(0)
	v_mfma_f32_16x16x16_bf16 a[0:3], v[16:17], v[8:9], a[0:3]
	s_and_b64 vcc, exec, s[26:27]
	s_cbranch_vccz .LBB760_42
; %bb.32:
	v_lshlrev_b32_e32 v20, 1, v35
	s_and_b64 vcc, exec, s[6:7]
	s_cbranch_vccz .LBB760_43
; %bb.33:
	v_cmp_gt_i32_e32 vcc, s43, v20
	v_mov_b32_e32 v6, 0
	v_mov_b32_e32 v2, 0
	;; [unrolled: 1-line block ×5, first 2 shown]
	s_and_saveexec_b64 s[0:1], vcc
	s_cbranch_execz .LBB760_35
; %bb.34:
	v_mad_i64_i32 v[2:3], s[2:3], s15, v20, 0
	v_lshl_add_u64 v[2:3], v[2:3], 1, s[4:5]
	v_lshlrev_b32_e32 v4, 1, v18
	v_mov_b32_e32 v5, 0
	v_lshl_add_u64 v[2:3], v[2:3], 0, v[4:5]
	global_load_dwordx4 v[2:5], v[2:3], off
.LBB760_35:
	s_or_b64 exec, exec, s[0:1]
	v_or_b32_e32 v21, 1, v20
	v_cmp_gt_i32_e64 s[0:1], s43, v21
	v_mov_b32_e32 v7, 0
	v_mov_b32_e32 v8, 0
	v_mov_b32_e32 v9, 0
	s_and_saveexec_b64 s[2:3], s[0:1]
	s_cbranch_execz .LBB760_37
; %bb.36:
	v_mad_i64_i32 v[6:7], s[16:17], s15, v21, 0
	v_lshl_add_u64 v[6:7], v[6:7], 1, s[4:5]
	v_lshlrev_b32_e32 v8, 1, v18
	v_mov_b32_e32 v9, 0
	v_lshl_add_u64 v[6:7], v[6:7], 0, v[8:9]
	global_load_dwordx4 v[6:9], v[6:7], off
.LBB760_37:
	s_or_b64 exec, exec, s[2:3]
	v_mov_b32_e32 v17, 0
	v_mov_b32_e32 v10, 0
	;; [unrolled: 1-line block ×5, first 2 shown]
	s_and_saveexec_b64 s[2:3], vcc
	s_cbranch_execz .LBB760_39
; %bb.38:
	v_mad_i64_i32 v[10:11], s[16:17], s15, v20, 0
	v_lshl_add_u64 v[10:11], v[10:11], 1, s[4:5]
	v_lshlrev_b32_e32 v12, 1, v18
	v_mov_b32_e32 v13, 0
	v_lshl_add_u64 v[10:11], v[10:11], 0, v[12:13]
	global_load_dwordx4 v[10:13], v[10:11], off offset:128
.LBB760_39:
	s_or_b64 exec, exec, s[2:3]
	v_mov_b32_e32 v16, 0
	v_mov_b32_e32 v15, 0
	v_mov_b32_e32 v14, 0
	s_and_saveexec_b64 s[2:3], s[0:1]
	s_cbranch_execz .LBB760_41
; %bb.40:
	v_mad_i64_i32 v[14:15], s[0:1], s15, v21, 0
	v_lshl_add_u64 v[14:15], v[14:15], 1, s[4:5]
	v_lshlrev_b32_e32 v16, 1, v18
	v_mov_b32_e32 v17, 0
	v_lshl_add_u64 v[14:15], v[14:15], 0, v[16:17]
	global_load_dwordx4 v[14:17], v[14:15], off offset:128
.LBB760_41:
	s_or_b64 exec, exec, s[2:3]
	s_branch .LBB760_45
.LBB760_42:
                                        ; implicit-def: $vgpr5
                                        ; implicit-def: $vgpr9
                                        ; implicit-def: $vgpr13
                                        ; implicit-def: $vgpr17
	v_lshrrev_b32_e32 v37, 2, v41
	s_branch .LBB760_46
.LBB760_43:
                                        ; implicit-def: $vgpr5
                                        ; implicit-def: $vgpr9
                                        ; implicit-def: $vgpr13
                                        ; implicit-def: $vgpr17
	s_cbranch_execz .LBB760_45
; %bb.44:
	s_waitcnt vmcnt(0)
	v_mad_u64_u32 v[2:3], s[0:1], v20, s15, v[18:19]
	v_lshlrev_b32_e32 v20, 1, v2
	s_lshl_b32 s2, s15, 7
	s_and_b32 s1, s5, 0xffff
	s_mov_b32 s3, 0x20000
	s_mov_b32 s0, s4
	v_add_lshl_u32 v21, v2, s15, 1
	s_movk_i32 s13, 0x80
	buffer_load_dwordx4 v[2:5], v20, s[0:3], 0 offen
	buffer_load_dwordx4 v[10:13], v20, s[0:3], s13 offen
	;; [unrolled: 1-line block ×4, first 2 shown]
.LBB760_45:
	v_lshrrev_b32_e32 v37, 2, v41
	s_cbranch_execnz .LBB760_58
.LBB760_46:
	s_and_b64 vcc, exec, s[6:7]
	s_cbranch_vccz .LBB760_56
; %bb.47:
	s_waitcnt vmcnt(0)
	v_lshlrev_b32_e32 v7, 1, v35
	v_cmp_gt_i32_e32 vcc, s43, v7
	v_mov_b32_e32 v6, 0
	v_lshlrev_b32_e32 v14, 9, v35
	v_mov_b32_e32 v2, 0
	v_mov_b32_e32 v3, 0
	;; [unrolled: 1-line block ×4, first 2 shown]
	s_and_saveexec_b64 s[0:1], vcc
	s_cbranch_execz .LBB760_49
; %bb.48:
	v_mov_b32_e32 v15, 0
	v_lshl_add_u64 v[2:3], s[4:5], 0, v[14:15]
	v_lshlrev_b32_e32 v4, 1, v18
	v_mov_b32_e32 v5, v15
	v_lshl_add_u64 v[2:3], v[2:3], 0, v[4:5]
	global_load_dwordx4 v[2:5], v[2:3], off
.LBB760_49:
	s_or_b64 exec, exec, s[0:1]
	v_or_b32_e32 v7, 1, v7
	v_cmp_gt_i32_e64 s[0:1], s43, v7
	v_lshlrev_b32_e32 v20, 8, v7
	v_mov_b32_e32 v7, 0
	v_mov_b32_e32 v8, 0
	;; [unrolled: 1-line block ×3, first 2 shown]
	s_and_saveexec_b64 s[2:3], s[0:1]
	s_cbranch_execz .LBB760_51
; %bb.50:
	v_mov_b32_e32 v21, 0
	v_lshl_add_u64 v[6:7], s[4:5], 0, v[20:21]
	v_lshlrev_b32_e32 v8, 1, v18
	v_mov_b32_e32 v9, v21
	v_lshl_add_u64 v[6:7], v[6:7], 0, v[8:9]
	global_load_dwordx4 v[6:9], v[6:7], off
.LBB760_51:
	s_or_b64 exec, exec, s[2:3]
	v_mov_b32_e32 v17, 0
	v_mov_b32_e32 v10, 0
	;; [unrolled: 1-line block ×5, first 2 shown]
	s_and_saveexec_b64 s[2:3], vcc
	s_cbranch_execz .LBB760_53
; %bb.52:
	v_mov_b32_e32 v15, 0
	v_lshl_add_u64 v[10:11], s[4:5], 0, v[14:15]
	v_lshlrev_b32_e32 v14, 1, v18
	v_lshl_add_u64 v[10:11], v[10:11], 0, v[14:15]
	global_load_dwordx4 v[10:13], v[10:11], off offset:128
.LBB760_53:
	s_or_b64 exec, exec, s[2:3]
	v_mov_b32_e32 v16, 0
	v_mov_b32_e32 v15, 0
	;; [unrolled: 1-line block ×3, first 2 shown]
	s_and_saveexec_b64 s[2:3], s[0:1]
	s_cbranch_execz .LBB760_55
; %bb.54:
	v_mov_b32_e32 v21, 0
	v_lshl_add_u64 v[14:15], s[4:5], 0, v[20:21]
	v_lshlrev_b32_e32 v20, 1, v18
	v_lshl_add_u64 v[14:15], v[14:15], 0, v[20:21]
	global_load_dwordx4 v[14:17], v[14:15], off offset:128
.LBB760_55:
	s_or_b64 exec, exec, s[2:3]
	s_branch .LBB760_58
.LBB760_56:
                                        ; implicit-def: $vgpr5
                                        ; implicit-def: $vgpr9
                                        ; implicit-def: $vgpr13
                                        ; implicit-def: $vgpr17
	s_cbranch_execz .LBB760_58
; %bb.57:
	s_waitcnt vmcnt(0)
	v_lshlrev_b32_e32 v2, 1, v18
	v_lshl_or_b32 v18, v35, 9, v2
	s_and_b32 s5, s5, 0xffff
	s_mov_b32 s7, 0x20000
	s_movk_i32 s6, 0x4000
	s_movk_i32 s0, 0x80
	buffer_load_dwordx4 v[2:5], v18, s[4:7], 0 offen
	buffer_load_dwordx4 v[6:9], v18, s[4:7], 0 offen offset:256
	buffer_load_dwordx4 v[10:13], v18, s[4:7], s0 offen
	buffer_load_dwordx4 v[14:17], v18, s[4:7], s0 offen offset:256
.LBB760_58:
	ds_read2st64_b64 v[22:25], v19 offset0:76 offset1:77
	ds_read2st64_b64 v[18:21], v19 offset0:78 offset1:79
	ds_read_b64 v[30:31], v26 offset:24576
	ds_read_b64 v[32:33], v27 offset:24576
	;; [unrolled: 1-line block ×4, first 2 shown]
	v_and_b32_e32 v36, 6, v0
	v_xor_b32_e32 v35, v35, v36
	v_lshlrev_b32_e32 v35, 2, v35
	v_and_b32_e32 v0, 1, v0
	v_xor_b32_e32 v38, 0x440, v35
	v_cmp_eq_u32_e32 vcc, 0, v0
	s_mov_b32 s0, 0x1000504
	s_mov_b32 s1, 0x3020706
	v_cndmask_b32_e32 v0, v38, v35, vcc
	v_lshl_or_b32 v0, v36, 10, v0
	s_waitcnt vmcnt(0)
	v_perm_b32 v35, v2, v6, s0
	v_perm_b32 v36, v10, v14, s0
	ds_write2st64_b32 v0, v35, v36 offset1:32
	v_xor_b32_e32 v35, 8, v0
	v_perm_b32 v2, v2, v6, s1
	v_perm_b32 v6, v10, v14, s1
	v_add_u32_e32 v10, 0x80, v35
	ds_write2st64_b32 v10, v2, v6 offset1:32
	v_xor_b32_e32 v2, 16, v0
	v_perm_b32 v6, v3, v7, s0
	v_perm_b32 v10, v11, v15, s0
	ds_write2st64_b32 v2, v6, v10 offset0:1 offset1:33
	v_xor_b32_e32 v2, 24, v0
	v_perm_b32 v3, v3, v7, s1
	v_perm_b32 v6, v11, v15, s1
	v_add_u32_e32 v2, 0x80, v2
	ds_write2st64_b32 v2, v3, v6 offset0:1 offset1:33
	v_xor_b32_e32 v2, 32, v0
	v_perm_b32 v3, v4, v8, s0
	v_perm_b32 v6, v12, v16, s0
	ds_write2st64_b32 v2, v3, v6 offset0:2 offset1:34
	v_xor_b32_e32 v2, 40, v0
	v_perm_b32 v3, v4, v8, s1
	v_perm_b32 v4, v12, v16, s1
	v_add_u32_e32 v2, 0x80, v2
	ds_write2st64_b32 v2, v3, v4 offset0:2 offset1:34
	v_xor_b32_e32 v2, 48, v0
	v_perm_b32 v3, v5, v9, s0
	v_perm_b32 v4, v13, v17, s0
	v_xor_b32_e32 v0, 56, v0
	v_and_or_b32 v6, v37, 12, v40
	ds_write2st64_b32 v2, v3, v4 offset0:3 offset1:35
	v_perm_b32 v2, v5, v9, s1
	v_perm_b32 v3, v13, v17, s1
	v_add_u32_e32 v0, 0x80, v0
	v_cmp_gt_i32_e32 vcc, s43, v6
	v_mov_b32_e32 v7, 0
	v_mov_b32_e32 v11, 0
	ds_write2st64_b32 v0, v2, v3 offset0:3 offset1:35
	s_and_saveexec_b64 s[0:1], vcc
	s_cbranch_execz .LBB760_60
; %bb.59:
	v_add_u32_e32 v0, s34, v6
	v_ashrrev_i32_e32 v2, 31, v0
	v_mul_lo_u32 v4, v2, s28
	v_mul_lo_u32 v5, v0, s29
	v_mad_u64_u32 v[2:3], s[2:3], v0, s28, 0
	v_add3_u32 v3, v3, v5, v4
	v_lshl_add_u64 v[2:3], v[2:3], 2, s[10:11]
	global_load_dword v0, v[2:3], off
	s_waitcnt vmcnt(0)
	v_sub_f32_e32 v0, s12, v0
	v_mul_f32_e32 v0, 0x3fb8aa3b, v0
	v_exp_f32_e32 v11, v0
.LBB760_60:
	s_or_b64 exec, exec, s[0:1]
	v_or_b32_e32 v9, 1, v6
	v_cmp_gt_i32_e64 s[0:1], s43, v9
	s_and_saveexec_b64 s[2:3], s[0:1]
	s_cbranch_execz .LBB760_62
; %bb.61:
	v_add_u32_e32 v0, s34, v9
	v_ashrrev_i32_e32 v2, 31, v0
	v_mul_lo_u32 v4, v2, s28
	v_mul_lo_u32 v5, v0, s29
	v_mad_u64_u32 v[2:3], s[4:5], v0, s28, 0
	v_add3_u32 v3, v3, v5, v4
	v_lshl_add_u64 v[2:3], v[2:3], 2, s[10:11]
	global_load_dword v0, v[2:3], off
	s_waitcnt vmcnt(0)
	v_sub_f32_e32 v0, s12, v0
	v_mul_f32_e32 v0, 0x3fb8aa3b, v0
	v_exp_f32_e32 v7, v0
.LBB760_62:
	s_or_b64 exec, exec, s[2:3]
	v_or_b32_e32 v10, 2, v6
	v_cmp_gt_i32_e64 s[2:3], s43, v10
	v_mov_b32_e32 v8, 0
	v_mov_b32_e32 v13, 0
	s_and_saveexec_b64 s[4:5], s[2:3]
	s_cbranch_execz .LBB760_64
; %bb.63:
	v_add_u32_e32 v0, s34, v10
	v_ashrrev_i32_e32 v2, 31, v0
	v_mul_lo_u32 v4, v2, s28
	v_mul_lo_u32 v5, v0, s29
	v_mad_u64_u32 v[2:3], s[6:7], v0, s28, 0
	v_add3_u32 v3, v3, v5, v4
	v_lshl_add_u64 v[2:3], v[2:3], 2, s[10:11]
	global_load_dword v0, v[2:3], off
	s_waitcnt vmcnt(0)
	v_sub_f32_e32 v0, s12, v0
	v_mul_f32_e32 v0, 0x3fb8aa3b, v0
	v_exp_f32_e32 v13, v0
.LBB760_64:
	s_or_b64 exec, exec, s[4:5]
	v_or_b32_e32 v12, 3, v6
	v_cmp_gt_i32_e64 s[4:5], s43, v12
	s_and_saveexec_b64 s[6:7], s[4:5]
	s_cbranch_execz .LBB760_66
; %bb.65:
	v_add_u32_e32 v0, s34, v12
	v_ashrrev_i32_e32 v2, 31, v0
	v_mul_lo_u32 v4, v2, s28
	v_mul_lo_u32 v5, v0, s29
	v_mad_u64_u32 v[2:3], s[14:15], v0, s28, 0
	v_add3_u32 v3, v3, v5, v4
	v_lshl_add_u64 v[2:3], v[2:3], 2, s[10:11]
	global_load_dword v0, v[2:3], off
	s_waitcnt vmcnt(0)
	v_sub_f32_e32 v0, s12, v0
	v_mul_f32_e32 v0, 0x3fb8aa3b, v0
	v_exp_f32_e32 v8, v0
.LBB760_66:
	s_or_b64 exec, exec, s[6:7]
	s_waitcnt lgkmcnt(11)
	v_mfma_f32_16x16x16_bf16 a[0:3], v[30:31], v[22:23], a[0:3]
	v_or_b32_e32 v0, s30, v1
	s_add_u32 s6, s8, s24
	s_addc_u32 s7, s9, s25
	s_waitcnt lgkmcnt(10)
	v_mfma_f32_16x16x16_bf16 a[0:3], v[32:33], v[24:25], a[0:3]
	v_ashrrev_i32_e32 v1, 31, v0
	v_lshl_add_u64 v[4:5], v[0:1], 1, s[6:7]
	v_mov_b32_e32 v14, 0
	s_waitcnt lgkmcnt(9)
	v_mfma_f32_16x16x16_bf16 a[0:3], v[28:29], v[18:19], a[0:3]
	v_mov_b32_e32 v15, 0
	s_waitcnt lgkmcnt(8)
	v_mfma_f32_16x16x16_bf16 a[0:3], v[26:27], v[20:21], a[0:3]
	s_nop 6
	v_accvgpr_read_b32 v0, a0
	v_accvgpr_read_b32 v1, a1
	;; [unrolled: 1-line block ×4, first 2 shown]
	s_and_saveexec_b64 s[6:7], vcc
	s_cbranch_execz .LBB760_68
; %bb.67:
	v_lshlrev_b32_e32 v16, 8, v6
	v_mov_b32_e32 v17, 0
	v_lshl_add_u64 v[16:17], v[4:5], 0, v[16:17]
	global_load_ushort v15, v[16:17], off
	s_waitcnt vmcnt(0)
	v_lshlrev_b32_e32 v15, 16, v15
	v_sub_f32_e32 v0, v15, v0
	v_mul_f32_e32 v0, v11, v0
	v_lshrrev_b32_e32 v15, 16, v0
.LBB760_68:
	s_or_b64 exec, exec, s[6:7]
	s_and_saveexec_b64 s[6:7], s[0:1]
	s_cbranch_execz .LBB760_70
; %bb.69:
	v_lshlrev_b32_e32 v16, 8, v9
	v_mov_b32_e32 v17, 0
	v_lshl_add_u64 v[16:17], v[4:5], 0, v[16:17]
	global_load_ushort v0, v[16:17], off
	s_waitcnt vmcnt(0)
	v_lshlrev_b32_e32 v0, 16, v0
	v_sub_f32_e32 v0, v0, v1
	v_mul_f32_e32 v0, v7, v0
	v_lshrrev_b32_e32 v14, 16, v0
.LBB760_70:
	s_or_b64 exec, exec, s[6:7]
	v_mov_b32_e32 v0, 0
	v_mov_b32_e32 v1, 0
	s_and_saveexec_b64 s[0:1], s[2:3]
	s_cbranch_execz .LBB760_72
; %bb.71:
	v_lshlrev_b32_e32 v10, 8, v10
	v_mov_b32_e32 v11, 0
	v_lshl_add_u64 v[10:11], v[4:5], 0, v[10:11]
	global_load_ushort v1, v[10:11], off
	s_waitcnt vmcnt(0)
	v_lshlrev_b32_e32 v1, 16, v1
	v_sub_f32_e32 v1, v1, v2
	v_mul_f32_e32 v1, v13, v1
	v_lshrrev_b32_e32 v1, 16, v1
.LBB760_72:
	s_or_b64 exec, exec, s[0:1]
	s_and_saveexec_b64 s[0:1], s[4:5]
	s_cbranch_execz .LBB760_74
; %bb.73:
	v_lshlrev_b32_e32 v10, 8, v12
	v_mov_b32_e32 v11, 0
	v_lshl_add_u64 v[4:5], v[4:5], 0, v[10:11]
	global_load_ushort v0, v[4:5], off
	s_waitcnt vmcnt(0)
	v_lshlrev_b32_e32 v0, 16, v0
	v_sub_f32_e32 v0, v0, v3
	v_mul_f32_e32 v0, v8, v0
	v_lshrrev_b32_e32 v0, 16, v0
.LBB760_74:
	s_or_b64 exec, exec, s[0:1]
	s_mov_b32 s0, 0x5040100
	v_lshlrev_b32_e32 v2, 1, v34
	v_perm_b32 v1, v0, v1, s0
	v_perm_b32 v0, v14, v15, s0
	v_lshl_or_b32 v2, v6, 5, v2
	ds_write_b64 v2, v[0:1] offset:38912
	s_waitcnt lgkmcnt(0)
	s_barrier
.LBB760_75:
	s_endpgm
	.section	.rodata,"a",@progbits
	.p2align	6, 0x0
	.amdhsa_kernel _ZN12_GLOBAL__N_139chunk_gated_delta_rule_fwd_h_hip_kernelILi16ELb0ELb0ELb0ELb1ELb0ELb0ELb0ELb0EEEvPK12hip_bfloat16S3_S3_PKfS5_PKvPS1_S8_PvPKiSB_iiiiilll
		.amdhsa_group_segment_fixed_size 40960
		.amdhsa_private_segment_fixed_size 0
		.amdhsa_kernarg_size 136
		.amdhsa_user_sgpr_count 2
		.amdhsa_user_sgpr_dispatch_ptr 0
		.amdhsa_user_sgpr_queue_ptr 0
		.amdhsa_user_sgpr_kernarg_segment_ptr 1
		.amdhsa_user_sgpr_dispatch_id 0
		.amdhsa_user_sgpr_kernarg_preload_length 0
		.amdhsa_user_sgpr_kernarg_preload_offset 0
		.amdhsa_user_sgpr_private_segment_size 0
		.amdhsa_uses_dynamic_stack 0
		.amdhsa_enable_private_segment 0
		.amdhsa_system_sgpr_workgroup_id_x 1
		.amdhsa_system_sgpr_workgroup_id_y 1
		.amdhsa_system_sgpr_workgroup_id_z 0
		.amdhsa_system_sgpr_workgroup_info 0
		.amdhsa_system_vgpr_workitem_id 0
		.amdhsa_next_free_vgpr 116
		.amdhsa_next_free_sgpr 58
		.amdhsa_accum_offset 108
		.amdhsa_reserve_vcc 1
		.amdhsa_float_round_mode_32 0
		.amdhsa_float_round_mode_16_64 0
		.amdhsa_float_denorm_mode_32 3
		.amdhsa_float_denorm_mode_16_64 3
		.amdhsa_dx10_clamp 1
		.amdhsa_ieee_mode 1
		.amdhsa_fp16_overflow 0
		.amdhsa_tg_split 0
		.amdhsa_exception_fp_ieee_invalid_op 0
		.amdhsa_exception_fp_denorm_src 0
		.amdhsa_exception_fp_ieee_div_zero 0
		.amdhsa_exception_fp_ieee_overflow 0
		.amdhsa_exception_fp_ieee_underflow 0
		.amdhsa_exception_fp_ieee_inexact 0
		.amdhsa_exception_int_div_zero 0
	.end_amdhsa_kernel
	.section	.text._ZN12_GLOBAL__N_139chunk_gated_delta_rule_fwd_h_hip_kernelILi16ELb0ELb0ELb0ELb1ELb0ELb0ELb0ELb0EEEvPK12hip_bfloat16S3_S3_PKfS5_PKvPS1_S8_PvPKiSB_iiiiilll,"axG",@progbits,_ZN12_GLOBAL__N_139chunk_gated_delta_rule_fwd_h_hip_kernelILi16ELb0ELb0ELb0ELb1ELb0ELb0ELb0ELb0EEEvPK12hip_bfloat16S3_S3_PKfS5_PKvPS1_S8_PvPKiSB_iiiiilll,comdat
.Lfunc_end760:
	.size	_ZN12_GLOBAL__N_139chunk_gated_delta_rule_fwd_h_hip_kernelILi16ELb0ELb0ELb0ELb1ELb0ELb0ELb0ELb0EEEvPK12hip_bfloat16S3_S3_PKfS5_PKvPS1_S8_PvPKiSB_iiiiilll, .Lfunc_end760-_ZN12_GLOBAL__N_139chunk_gated_delta_rule_fwd_h_hip_kernelILi16ELb0ELb0ELb0ELb1ELb0ELb0ELb0ELb0EEEvPK12hip_bfloat16S3_S3_PKfS5_PKvPS1_S8_PvPKiSB_iiiiilll
                                        ; -- End function
	.section	.AMDGPU.csdata,"",@progbits
; Kernel info:
; codeLenInByte = 7080
; NumSgprs: 64
; NumVgprs: 106
; NumAgprs: 8
; TotalNumVgprs: 116
; ScratchSize: 0
; MemoryBound: 0
; FloatMode: 240
; IeeeMode: 1
; LDSByteSize: 40960 bytes/workgroup (compile time only)
; SGPRBlocks: 7
; VGPRBlocks: 14
; NumSGPRsForWavesPerEU: 64
; NumVGPRsForWavesPerEU: 116
; AccumOffset: 108
; Occupancy: 1
; WaveLimiterHint : 1
; COMPUTE_PGM_RSRC2:SCRATCH_EN: 0
; COMPUTE_PGM_RSRC2:USER_SGPR: 2
; COMPUTE_PGM_RSRC2:TRAP_HANDLER: 0
; COMPUTE_PGM_RSRC2:TGID_X_EN: 1
; COMPUTE_PGM_RSRC2:TGID_Y_EN: 1
; COMPUTE_PGM_RSRC2:TGID_Z_EN: 0
; COMPUTE_PGM_RSRC2:TIDIG_COMP_CNT: 0
; COMPUTE_PGM_RSRC3_GFX90A:ACCUM_OFFSET: 26
; COMPUTE_PGM_RSRC3_GFX90A:TG_SPLIT: 0
	.section	.text._ZN12_GLOBAL__N_139chunk_gated_delta_rule_fwd_h_hip_kernelILi16ELb1ELb1ELb1ELb0ELb0ELb0ELb0ELb0EEEvPK12hip_bfloat16S3_S3_PKfS5_PKvPS1_S8_PvPKiSB_iiiiilll,"axG",@progbits,_ZN12_GLOBAL__N_139chunk_gated_delta_rule_fwd_h_hip_kernelILi16ELb1ELb1ELb1ELb0ELb0ELb0ELb0ELb0EEEvPK12hip_bfloat16S3_S3_PKfS5_PKvPS1_S8_PvPKiSB_iiiiilll,comdat
	.globl	_ZN12_GLOBAL__N_139chunk_gated_delta_rule_fwd_h_hip_kernelILi16ELb1ELb1ELb1ELb0ELb0ELb0ELb0ELb0EEEvPK12hip_bfloat16S3_S3_PKfS5_PKvPS1_S8_PvPKiSB_iiiiilll ; -- Begin function _ZN12_GLOBAL__N_139chunk_gated_delta_rule_fwd_h_hip_kernelILi16ELb1ELb1ELb1ELb0ELb0ELb0ELb0ELb0EEEvPK12hip_bfloat16S3_S3_PKfS5_PKvPS1_S8_PvPKiSB_iiiiilll
	.p2align	8
	.type	_ZN12_GLOBAL__N_139chunk_gated_delta_rule_fwd_h_hip_kernelILi16ELb1ELb1ELb1ELb0ELb0ELb0ELb0ELb0EEEvPK12hip_bfloat16S3_S3_PKfS5_PKvPS1_S8_PvPKiSB_iiiiilll,@function
_ZN12_GLOBAL__N_139chunk_gated_delta_rule_fwd_h_hip_kernelILi16ELb1ELb1ELb1ELb0ELb0ELb0ELb0ELb0EEEvPK12hip_bfloat16S3_S3_PKfS5_PKvPS1_S8_PvPKiSB_iiiiilll: ; @_ZN12_GLOBAL__N_139chunk_gated_delta_rule_fwd_h_hip_kernelILi16ELb1ELb1ELb1ELb0ELb0ELb0ELb0ELb0EEEvPK12hip_bfloat16S3_S3_PKfS5_PKvPS1_S8_PvPKiSB_iiiiilll
; %bb.0:
	s_load_dwordx4 s[20:23], s[0:1], 0x5c
	s_load_dwordx4 s[24:27], s[0:1], 0x70
	s_abs_i32 s6, s3
	s_ashr_i32 s5, s3, 31
	v_and_b32_e32 v56, 15, v0
	s_waitcnt lgkmcnt(0)
	s_abs_i32 s4, s21
	v_cvt_f32_u32_e32 v1, s4
	s_sub_i32 s8, 0, s4
	s_ashr_i32 s7, s21, 31
	s_xor_b32 s5, s5, s7
	v_rcp_iflag_f32_e32 v1, v1
	v_bfe_u32 v55, v0, 4, 2
	v_mov_b32_e32 v45, 0
	v_lshlrev_b32_e32 v57, 3, v0
	v_mul_f32_e32 v1, 0x4f7ffffe, v1
	v_cvt_u32_f32_e32 v1, v1
	s_nop 0
	v_readfirstlane_b32 s9, v1
	s_mul_i32 s8, s8, s9
	s_mul_hi_u32 s8, s9, s8
	s_add_i32 s9, s9, s8
	s_mul_hi_u32 s8, s6, s9
	s_mul_i32 s9, s8, s4
	s_sub_i32 s6, s6, s9
	s_add_i32 s10, s8, 1
	s_sub_i32 s9, s6, s4
	s_cmp_ge_u32 s6, s4
	s_cselect_b32 s8, s10, s8
	s_cselect_b32 s6, s9, s6
	s_add_i32 s9, s8, 1
	s_cmp_ge_u32 s6, s4
	s_cselect_b32 s6, s9, s8
	s_xor_b32 s6, s6, s5
	s_add_i32 s8, s20, 63
	s_sub_i32 s55, s6, s5
	s_ashr_i32 s9, s8, 31
	s_mul_i32 s12, s55, s21
	s_sub_i32 s53, s3, s12
	s_lshr_b32 s3, s9, 26
	s_add_i32 s8, s8, s3
	s_abs_i32 s3, s22
	v_cvt_f32_u32_e32 v1, s3
	s_ashr_i32 s54, s20, 31
	s_lshr_b32 s5, s54, 26
	s_add_i32 s5, s20, s5
	v_rcp_iflag_f32_e32 v1, v1
	s_ashr_i32 s58, s22, 31
	s_ashr_i32 s56, s5, 6
	s_xor_b32 s5, s7, s58
	v_mul_f32_e32 v1, 0x4f7ffffe, v1
	v_cvt_u32_f32_e32 v1, v1
	s_sub_i32 s6, 0, s3
	s_ashr_i32 s28, s8, 6
	s_lshl_b32 s2, s2, 4
	v_readfirstlane_b32 s7, v1
	s_mul_i32 s6, s6, s7
	s_mul_hi_u32 s6, s7, s6
	s_add_i32 s7, s7, s6
	s_mul_hi_u32 s6, s4, s7
	s_mul_i32 s7, s6, s3
	s_sub_i32 s4, s4, s7
	s_add_i32 s7, s6, 1
	s_sub_i32 s8, s4, s3
	s_cmp_ge_u32 s4, s3
	s_cselect_b32 s6, s7, s6
	s_cselect_b32 s4, s8, s4
	s_add_i32 s7, s6, 1
	s_cmp_ge_u32 s4, s3
	s_cselect_b32 s3, s7, s6
	s_xor_b32 s3, s3, s5
	s_sub_i32 s3, s3, s5
	s_abs_i32 s13, s3
	v_cvt_f32_u32_e32 v1, s13
	s_sub_i32 s15, 0, s13
	s_abs_i32 s14, s53
	s_xor_b32 s3, s53, s3
	v_rcp_iflag_f32_e32 v2, v1
	s_ashr_i32 s3, s3, 31
	s_load_dwordx8 s[4:11], s[0:1], 0x28
	v_lshrrev_b32_e32 v1, 6, v0
	v_mul_f32_e32 v2, 0x4f7ffffe, v2
	v_cvt_u32_f32_e32 v2, v2
	v_or_b32_e32 v46, s2, v56
	v_lshlrev_b32_e32 v54, 4, v1
	v_lshlrev_b32_e32 v42, 7, v46
	v_readfirstlane_b32 s16, v2
	s_mul_i32 s15, s15, s16
	s_mul_hi_u32 s15, s16, s15
	s_add_i32 s16, s16, s15
	s_mul_hi_u32 s15, s14, s16
	s_mul_i32 s16, s15, s13
	s_sub_i32 s14, s14, s16
	s_add_i32 s16, s15, 1
	s_sub_i32 s17, s14, s13
	s_cmp_ge_u32 s14, s13
	s_cselect_b32 s15, s16, s15
	s_cselect_b32 s14, s17, s14
	s_add_i32 s16, s15, 1
	s_cmp_ge_u32 s14, s13
	s_cselect_b32 s13, s16, s15
	s_xor_b32 s13, s13, s3
	s_sub_i32 s59, s13, s3
	s_ashr_i32 s3, s55, 31
	s_ashr_i32 s57, s53, 31
	s_mul_hi_i32 s13, s55, s21
	s_add_u32 s42, s12, s53
	s_addc_u32 s43, s13, s57
	s_lshl_b64 s[34:35], s[42:43], 16
	s_waitcnt lgkmcnt(0)
	s_add_u32 s4, s4, s34
	v_lshl_or_b32 v59, v55, 2, v54
	s_addc_u32 s5, s5, s35
	v_ashrrev_i32_e32 v43, 31, v42
	v_lshl_add_u64 v[2:3], v[42:43], 2, s[4:5]
	v_lshlrev_b32_e32 v44, 2, v59
	v_lshl_add_u64 v[10:11], v[2:3], 0, v[44:45]
	global_load_dwordx4 v[2:5], v[10:11], off
	global_load_dwordx4 v[6:9], v[10:11], off offset:256
	s_load_dwordx8 s[12:19], s[0:1], 0x0
	s_load_dwordx2 s[36:37], s[0:1], 0x80
	v_and_b32_e32 v45, 63, v0
	v_lshrrev_b32_e32 v58, 3, v45
	v_or_b32_e32 v60, 64, v59
	s_mul_i32 s33, s55, s25
	s_mul_hi_u32 s48, s55, s24
	s_mul_i32 s40, s55, s24
	s_mul_i32 s60, s55, s28
	;; [unrolled: 1-line block ×3, first 2 shown]
	s_mul_hi_u32 s50, s53, s26
	s_mul_i32 s52, s3, s24
	s_mul_i32 s51, s57, s26
	s_mul_hi_u32 s61, s42, s20
	s_mul_i32 s4, s42, s20
	s_mul_i32 s43, s43, s20
	s_cmp_lt_i32 s20, 64
	s_mul_i32 s38, s53, s26
	s_waitcnt vmcnt(1)
	v_mov_b32_e32 v65, v5
	s_waitcnt vmcnt(0)
	v_mov_b32_e32 v62, v9
	s_cbranch_scc1 .LBB761_3
; %bb.1:
	s_add_i32 s5, s61, s43
	s_lshl_b64 s[0:1], s[4:5], 8
	v_and_b32_e32 v63, 56, v57
	s_waitcnt lgkmcnt(0)
	s_add_u32 s24, s14, s0
	v_lshl_or_b32 v61, v1, 3, v58
	v_lshlrev_b32_e32 v5, 1, v63
	s_addc_u32 s0, s15, s1
	v_lshl_or_b32 v64, v61, 8, v5
	s_and_b32 s25, s0, 0xffff
	s_mov_b32 s27, 0x20000
	s_movk_i32 s26, 0x4000
	s_movk_i32 s0, 0x80
	v_or_b32_e32 v66, 0x2000, v64
	buffer_load_dwordx4 v[10:13], v64, s[24:27], 0 offen
	buffer_load_dwordx4 v[14:17], v64, s[24:27], s0 offen
	;; [unrolled: 1-line block ×4, first 2 shown]
	v_lshlrev_b32_e32 v9, 3, v61
	v_and_or_b32 v27, v0, 7, v9
	v_and_b32_e32 v9, 0x78, v9
	v_lshlrev_b32_e32 v27, 4, v27
	v_xor_b32_e32 v67, v27, v9
	v_mul_lo_u32 v26, v61, s23
	v_or_b32_e32 v68, 0x1000, v67
	v_xor_b32_e32 v9, 8, v67
	s_cmpk_eq_i32 s23, 0x80
	s_mov_b32 s62, s22
	v_xor_b32_e32 v27, 8, v68
	s_cselect_b64 s[0:1], -1, 0
	s_cmpk_lg_i32 s23, 0x80
	s_waitcnt vmcnt(3)
	ds_write_b64 v67, v[10:11] offset:16384
	ds_write_b64 v9, v[12:13] offset:16384
	s_waitcnt vmcnt(2)
	ds_write_b64 v67, v[14:15] offset:24576
	ds_write_b64 v9, v[16:17] offset:24576
	;; [unrolled: 3-line block ×4, first 2 shown]
	v_lshl_add_u32 v9, v26, 1, v63
	s_cbranch_scc0 .LBB761_29
; %bb.2:
	v_lshlrev_b32_e32 v11, 1, v9
	v_add_lshl_u32 v10, v9, s23, 1
	s_lshl_b32 s26, s23, 7
	v_lshl_or_b32 v5, v61, 9, v5
	s_cbranch_execz .LBB761_30
	s_branch .LBB761_31
.LBB761_3:
	v_mov_b32_e32 v9, v62
	v_mov_b32_e32 v5, v65
.LBB761_4:
	s_lshl_b32 s30, s56, 6
	s_sub_i32 s31, s20, s30
	s_cmp_gt_i32 s31, 0
	s_cbranch_scc0 .LBB761_76
; %bb.5:
	s_ashr_i32 s3, s30, 31
	s_cmpk_lg_i32 s23, 0x80
	s_cselect_b64 s[26:27], -1, 0
	s_and_b64 vcc, exec, s[26:27]
	s_cbranch_vccz .LBB761_7
; %bb.6:
	s_mul_i32 s1, s55, s20
	s_mul_hi_i32 s0, s55, s20
	s_add_u32 s1, s1, s30
	s_addc_u32 s0, s0, s3
	s_mul_i32 s5, s1, s58
	s_mul_hi_u32 s24, s1, s22
	s_add_i32 s5, s24, s5
	s_mul_i32 s0, s0, s22
	s_add_i32 s5, s5, s0
	s_mul_i32 s1, s1, s22
	s_ashr_i32 s0, s59, 31
	s_add_u32 s28, s1, s59
	s_addc_u32 s29, s5, s0
	s_cbranch_execz .LBB761_8
	s_branch .LBB761_9
.LBB761_7:
                                        ; implicit-def: $sgpr28_sgpr29
.LBB761_8:
	s_mul_hi_i32 s0, s55, s22
	s_mul_i32 s55, s55, s22
	s_ashr_i32 s1, s59, 31
	s_add_u32 s5, s55, s59
	s_addc_u32 s0, s0, s1
	s_mul_i32 s1, s5, s54
	s_mul_hi_u32 s22, s5, s20
	s_add_i32 s1, s22, s1
	s_mul_i32 s0, s0, s20
	s_add_i32 s1, s1, s0
	s_mul_i32 s5, s5, s20
	s_add_u32 s28, s5, s30
	s_addc_u32 s29, s1, s3
.LBB761_9:
	s_mul_i32 s0, s42, s54
	s_add_i32 s0, s61, s0
	s_add_i32 s5, s60, s56
	;; [unrolled: 1-line block ×3, first 2 shown]
	s_add_u32 s0, s4, s30
	s_addc_u32 s1, s1, s3
	s_mov_b32 s3, 0x7060302
	v_lshlrev_b32_e32 v14, 3, v56
	s_lshl_b64 s[24:25], s[0:1], 8
	v_perm_b32 v11, v5, v4, s3
	v_perm_b32 v10, v3, v2, s3
	;; [unrolled: 1-line block ×4, first 2 shown]
	v_lshlrev_b32_e32 v48, 2, v56
	v_lshl_or_b32 v14, v59, 5, v14
	s_waitcnt lgkmcnt(0)
	s_add_u32 s0, s14, s24
	ds_write2st64_b64 v14, v[10:11], v[12:13] offset0:72 offset1:76
	v_xor_b32_e32 v14, v59, v48
	v_lshlrev_b32_e32 v15, 8, v56
	s_addc_u32 s1, s15, s25
	v_lshl_or_b32 v14, v14, 1, v15
	s_mul_hi_i32 s3, s5, s21
	s_mul_i32 s5, s5, s21
	ds_write_b64 v14, v[10:11] offset:32768
	v_xor_b32_e32 v10, v60, v48
	s_add_u32 s4, s5, s53
	v_lshl_or_b32 v10, v10, 1, v15
	s_addc_u32 s5, s3, s57
	v_lshlrev_b32_e32 v11, 1, v56
	ds_write_b64 v10, v[12:13] offset:32768
	v_lshrrev_b32_e32 v10, 4, v0
	s_ashr_i32 s3, s2, 31
	s_lshl_b64 s[4:5], s[4:5], 15
	v_or_b32_e32 v12, 1, v11
	s_add_u32 s4, s6, s4
	v_xor_b32_e32 v11, v10, v11
	v_xor_b32_e32 v12, v12, v10
	v_lshlrev_b32_e32 v14, 8, v10
	s_addc_u32 s5, s7, s5
	s_lshl_b64 s[2:3], s[2:3], 8
	v_lshl_or_b32 v10, v11, 3, v14
	v_lshl_or_b32 v12, v12, 3, v14
	s_waitcnt lgkmcnt(0)
	s_barrier
	s_add_u32 s2, s4, s2
	ds_read_b64 v[10:11], v10 offset:32768
	ds_read_b64 v[12:13], v12 offset:32768
	s_addc_u32 s3, s5, s3
	v_mov_b32_e32 v15, 0
	s_cmp_lg_u32 s31, 64
	v_lshl_add_u64 v[16:17], s[2:3], 0, v[14:15]
	v_lshlrev_b32_e32 v14, 4, v56
	s_cselect_b64 s[14:15], -1, 0
	v_lshl_or_b32 v47, v1, 3, v58
	s_mov_b32 s4, 0
	v_lshl_add_u64 v[14:15], v[16:17], 0, v[14:15]
	s_waitcnt vmcnt(1)
	v_or_b32_e32 v27, 32, v47
	v_and_b32_e32 v26, 56, v57
	s_and_b64 vcc, exec, s[14:15]
	s_waitcnt lgkmcnt(0)
	global_store_dwordx4 v[14:15], v[10:13], off
	s_cbranch_vccz .LBB761_15
; %bb.10:
	s_mov_b32 s6, s4
	s_mov_b32 s7, s4
	;; [unrolled: 1-line block ×3, first 2 shown]
	v_mov_b64_e32 v[16:17], s[6:7]
	v_mov_b64_e32 v[14:15], s[4:5]
	;; [unrolled: 1-line block ×3, first 2 shown]
	v_cmp_gt_i32_e32 vcc, s31, v47
	v_mov_b64_e32 v[12:13], v[16:17]
	s_and_saveexec_b64 s[2:3], vcc
	s_cbranch_execz .LBB761_12
; %bb.11:
	v_lshlrev_b32_e32 v10, 8, v47
	v_mov_b32_e32 v11, 0
	v_lshl_add_u64 v[12:13], s[0:1], 0, v[10:11]
	v_lshlrev_b32_e32 v10, 1, v26
	v_lshl_add_u64 v[18:19], v[12:13], 0, v[10:11]
	global_load_dwordx4 v[14:17], v[18:19], off
	global_load_dwordx4 v[10:13], v[18:19], off offset:128
.LBB761_12:
	s_or_b64 exec, exec, s[2:3]
	s_mov_b32 s6, s4
	s_mov_b32 s7, s4
	;; [unrolled: 1-line block ×3, first 2 shown]
	v_mov_b64_e32 v[24:25], s[6:7]
	v_mov_b64_e32 v[22:23], s[4:5]
	v_mov_b64_e32 v[18:19], v[22:23]
	v_cmp_gt_i32_e32 vcc, s31, v27
	v_lshlrev_b32_e32 v28, 7, v27
	v_mov_b64_e32 v[20:21], v[24:25]
	s_and_saveexec_b64 s[2:3], vcc
	s_cbranch_execz .LBB761_14
; %bb.13:
	v_lshlrev_b32_e32 v18, 1, v28
	v_mov_b32_e32 v19, 0
	v_lshl_add_u64 v[20:21], s[0:1], 0, v[18:19]
	v_lshlrev_b32_e32 v18, 1, v26
	v_lshl_add_u64 v[30:31], v[20:21], 0, v[18:19]
	global_load_dwordx4 v[22:25], v[30:31], off
	global_load_dwordx4 v[18:21], v[30:31], off offset:128
.LBB761_14:
	s_or_b64 exec, exec, s[2:3]
	v_lshrrev_b32_e32 v29, 3, v26
	v_lshlrev_b32_e32 v30, 3, v47
	v_or_b32_e32 v29, v30, v29
	v_lshlrev_b32_e32 v29, 4, v29
	v_and_b32_e32 v30, 0x78, v30
	v_xor_b32_e32 v29, v29, v30
	s_branch .LBB761_17
.LBB761_15:
                                        ; implicit-def: $vgpr29
                                        ; implicit-def: $vgpr28
                                        ; implicit-def: $vgpr14_vgpr15_vgpr16_vgpr17
                                        ; implicit-def: $vgpr10_vgpr11_vgpr12_vgpr13
                                        ; implicit-def: $vgpr22_vgpr23_vgpr24_vgpr25
                                        ; implicit-def: $vgpr18_vgpr19_vgpr20_vgpr21
	s_cbranch_execz .LBB761_17
; %bb.16:
	s_waitcnt vmcnt(0)
	v_lshlrev_b32_e32 v10, 1, v26
	v_lshl_or_b32 v28, v47, 8, v10
	s_and_b32 s1, s1, 0xffff
	s_mov_b32 s3, 0x20000
	s_movk_i32 s2, 0x4000
	v_lshl_or_b32 v29, v27, 8, v10
	s_movk_i32 s4, 0x80
	buffer_load_dwordx4 v[14:17], v28, s[0:3], 0 offen
	buffer_load_dwordx4 v[10:13], v28, s[0:3], s4 offen
	;; [unrolled: 1-line block ×4, first 2 shown]
	v_lshrrev_b32_e32 v28, 3, v26
	v_lshlrev_b32_e32 v29, 3, v47
	v_or_b32_e32 v28, v29, v28
	v_lshlrev_b32_e32 v28, 4, v28
	v_and_b32_e32 v29, 0x78, v29
	v_xor_b32_e32 v29, v28, v29
	v_lshlrev_b32_e32 v28, 7, v27
.LBB761_17:
	s_lshl_b64 s[0:1], s[28:29], 8
	s_add_u32 s4, s12, s0
	s_movk_i32 s0, 0x1000
	v_and_or_b32 v27, v28, s0, v29
	s_waitcnt vmcnt(1)
	ds_write_b64 v29, v[14:15] offset:16384
	v_xor_b32_e32 v14, 8, v29
	ds_write_b64 v14, v[16:17] offset:16384
	s_waitcnt vmcnt(0)
	ds_write_b64 v29, v[10:11] offset:24576
	ds_write_b64 v14, v[12:13] offset:24576
	;; [unrolled: 1-line block ×3, first 2 shown]
	v_xor_b32_e32 v10, 8, v27
	ds_write_b64 v10, v[24:25] offset:16384
	ds_write_b64 v27, v[18:19] offset:24576
	;; [unrolled: 1-line block ×3, first 2 shown]
	v_or_b32_e32 v10, v54, v56
	v_lshlrev_b32_e32 v10, 3, v10
	v_lshrrev_b32_e32 v12, 5, v45
	s_movk_i32 s6, 0xf8
	v_and_or_b32 v12, v10, s6, v12
	v_lshlrev_b32_e32 v49, 11, v1
	v_lshlrev_b32_e32 v20, 4, v12
	v_and_b32_e32 v21, 0x78, v10
	v_and_b32_e32 v22, 0x1000, v49
	v_lshlrev_b32_e32 v11, 2, v0
	v_xor_b32_e32 v10, v20, v21
	v_lshrrev_b32_e32 v12, 1, v45
	v_and_b32_e32 v11, 60, v11
	v_or_b32_e32 v10, v10, v22
	v_and_b32_e32 v23, 8, v12
	v_xor_b32_e32 v34, v10, v23
	v_lshl_or_b32 v10, v55, 6, v11
	v_lshlrev_b32_e32 v50, 1, v10
	v_or_b32_e32 v10, 32, v20
	v_xor_b32_e32 v10, v10, v21
	s_waitcnt lgkmcnt(0)
	s_barrier
	ds_read_b64 v[18:19], v34 offset:16384
	v_or_b32_e32 v10, v10, v22
	v_xor_b32_e32 v35, v10, v23
	v_or_b32_e32 v10, 64, v20
	v_xor_b32_e32 v10, v10, v21
	v_or_b32_e32 v10, v10, v22
	v_or_b32_e32 v20, 0x60, v20
	v_xor_b32_e32 v36, v10, v23
	ds_read2st64_b64 v[10:13], v50 offset0:72 offset1:73
	ds_read2st64_b64 v[14:17], v50 offset0:74 offset1:75
	v_xor_b32_e32 v24, v20, v21
	ds_read_b64 v[20:21], v35 offset:16384
	s_addc_u32 s5, s13, s1
	s_add_i32 s1, s48, s33
	s_waitcnt lgkmcnt(2)
	v_mfma_f32_16x16x16_bf16 a[0:3], v[18:19], v[10:11], 0
	s_add_i32 s0, s20, -1
	s_add_i32 s41, s1, s52
	s_add_i32 s1, s50, s49
	;; [unrolled: 1-line block ×3, first 2 shown]
	s_ashr_i32 s1, s0, 31
	s_mul_i32 s2, s0, s37
	s_mul_hi_u32 s3, s0, s36
	s_add_i32 s2, s3, s2
	s_mul_i32 s1, s1, s36
	v_or_b32_e32 v22, v24, v22
	s_add_i32 s1, s2, s1
	s_lshl_b64 s[2:3], s[40:41], 2
	v_xor_b32_e32 v51, v22, v23
	ds_read_b64 v[22:23], v36 offset:16384
	ds_read_b64 v[24:25], v51 offset:16384
	s_waitcnt lgkmcnt(2)
	v_mfma_f32_16x16x16_bf16 a[0:3], v[20:21], v[12:13], a[0:3]
	s_add_u32 s6, s18, s2
	s_addc_u32 s7, s19, s3
	s_lshl_b64 s[2:3], s[38:39], 2
	s_mul_i32 s0, s0, s36
	s_add_u32 s12, s6, s2
	s_addc_u32 s13, s7, s3
	s_lshl_b64 s[0:1], s[0:1], 2
	s_waitcnt lgkmcnt(1)
	v_mfma_f32_16x16x16_bf16 a[0:3], v[22:23], v[14:15], a[0:3]
	s_add_u32 s0, s12, s0
	s_addc_u32 s1, s13, s1
	s_load_dword s18, s[0:1], 0x0
	s_waitcnt lgkmcnt(0)
	v_mfma_f32_16x16x16_bf16 a[0:3], v[24:25], v[16:17], a[0:3]
	s_and_b64 vcc, exec, s[26:27]
	s_cbranch_vccz .LBB761_28
; %bb.18:
	v_lshlrev_b32_e32 v27, 1, v47
	s_and_b64 vcc, exec, s[14:15]
	s_cbranch_vccz .LBB761_44
; %bb.19:
	v_cmp_gt_i32_e32 vcc, s31, v27
	v_mov_b32_e32 v14, 0
	v_mov_b32_e32 v10, 0
	;; [unrolled: 1-line block ×5, first 2 shown]
	s_and_saveexec_b64 s[0:1], vcc
	s_cbranch_execz .LBB761_21
; %bb.20:
	v_mad_i64_i32 v[10:11], s[2:3], s23, v27, 0
	v_lshl_add_u64 v[10:11], v[10:11], 1, s[4:5]
	v_lshlrev_b32_e32 v12, 1, v26
	v_mov_b32_e32 v13, 0
	v_lshl_add_u64 v[10:11], v[10:11], 0, v[12:13]
	global_load_dwordx4 v[10:13], v[10:11], off
.LBB761_21:
	s_or_b64 exec, exec, s[0:1]
	v_or_b32_e32 v28, 1, v27
	v_cmp_gt_i32_e64 s[0:1], s31, v28
	v_mov_b32_e32 v15, 0
	v_mov_b32_e32 v16, 0
	;; [unrolled: 1-line block ×3, first 2 shown]
	s_and_saveexec_b64 s[2:3], s[0:1]
	s_cbranch_execz .LBB761_23
; %bb.22:
	v_mad_i64_i32 v[14:15], s[6:7], s23, v28, 0
	v_lshl_add_u64 v[14:15], v[14:15], 1, s[4:5]
	v_lshlrev_b32_e32 v16, 1, v26
	v_mov_b32_e32 v17, 0
	v_lshl_add_u64 v[14:15], v[14:15], 0, v[16:17]
	global_load_dwordx4 v[14:17], v[14:15], off
.LBB761_23:
	s_or_b64 exec, exec, s[2:3]
	v_mov_b32_e32 v25, 0
	v_mov_b32_e32 v18, 0
	;; [unrolled: 1-line block ×5, first 2 shown]
	s_and_saveexec_b64 s[2:3], vcc
	s_cbranch_execz .LBB761_25
; %bb.24:
	v_mad_i64_i32 v[18:19], s[6:7], s23, v27, 0
	v_lshl_add_u64 v[18:19], v[18:19], 1, s[4:5]
	v_lshlrev_b32_e32 v20, 1, v26
	v_mov_b32_e32 v21, 0
	v_lshl_add_u64 v[18:19], v[18:19], 0, v[20:21]
	global_load_dwordx4 v[18:21], v[18:19], off offset:128
.LBB761_25:
	s_or_b64 exec, exec, s[2:3]
	v_mov_b32_e32 v24, 0
	v_mov_b32_e32 v23, 0
	;; [unrolled: 1-line block ×3, first 2 shown]
	s_and_saveexec_b64 s[2:3], s[0:1]
	s_cbranch_execz .LBB761_27
; %bb.26:
	v_mad_i64_i32 v[22:23], s[0:1], s23, v28, 0
	v_lshl_add_u64 v[22:23], v[22:23], 1, s[4:5]
	v_lshlrev_b32_e32 v24, 1, v26
	v_mov_b32_e32 v25, 0
	v_lshl_add_u64 v[22:23], v[22:23], 0, v[24:25]
	global_load_dwordx4 v[22:25], v[22:23], off offset:128
.LBB761_27:
	s_or_b64 exec, exec, s[2:3]
	s_branch .LBB761_46
.LBB761_28:
                                        ; implicit-def: $vgpr13
                                        ; implicit-def: $vgpr17
                                        ; implicit-def: $vgpr21
                                        ; implicit-def: $vgpr25
	v_lshrrev_b32_e32 v45, 2, v45
	s_branch .LBB761_47
.LBB761_29:
                                        ; implicit-def: $vgpr10
                                        ; implicit-def: $vgpr11
                                        ; implicit-def: $sgpr26
	v_lshl_or_b32 v5, v61, 9, v5
.LBB761_30:
	v_or_b32_e32 v10, 0x100, v5
	s_movk_i32 s26, 0x4000
	v_mov_b32_e32 v11, v5
.LBB761_31:
	s_mul_hi_u32 s24, s22, s20
	s_mul_i32 s25, s58, s20
	s_add_i32 s24, s24, s25
	s_mul_i32 s25, s22, s20
	s_mul_i32 s27, s25, s3
	s_mul_hi_u32 s28, s25, s55
	s_add_i32 s27, s28, s27
	s_mul_i32 s24, s24, s55
	s_add_i32 s27, s27, s24
	s_mul_i32 s25, s25, s55
	s_ashr_i32 s63, s59, 31
	s_add_u32 s24, s25, s59
	s_addc_u32 s25, s27, s63
	s_lshl_b64 s[24:25], s[24:25], 8
	s_add_u32 s24, s12, s24
	s_addc_u32 s25, s13, s25
	s_and_b32 s25, s25, 0xffff
	s_mov_b32 s27, 0x20000
	s_movk_i32 s64, 0x80
	buffer_load_dwordx4 v[12:15], v11, s[24:27], 0 offen
	buffer_load_dwordx4 v[16:19], v11, s[24:27], s64 offen
	;; [unrolled: 1-line block ×4, first 2 shown]
	v_and_b32_e32 v10, 6, v0
	v_lshlrev_b32_e32 v28, 2, v56
	v_lshlrev_b32_e32 v29, 3, v56
	v_xor_b32_e32 v31, v61, v10
	v_and_b32_e32 v11, 1, v0
	s_mul_i32 s3, s3, s20
	s_mul_hi_u32 s24, s55, s20
	v_lshl_or_b32 v29, v59, 5, v29
	v_xor_b32_e32 v32, v59, v28
	v_lshlrev_b32_e32 v31, 2, v31
	v_or_b32_e32 v69, 0x9000, v29
	v_or_b32_e32 v70, 0x9800, v29
	v_lshlrev_b32_e32 v29, 1, v32
	v_xor_b32_e32 v32, 0x440, v31
	v_cmp_eq_u32_e32 vcc, 0, v11
	s_add_i32 s69, s24, s3
	s_add_i32 s3, s48, s33
	v_cndmask_b32_e32 v11, v32, v31, vcc
	s_add_i32 s24, s50, s49
	s_add_i32 s41, s3, s52
	s_mov_b32 s66, 0x1000504
	v_lshlrev_b32_e32 v30, 8, v56
	s_mov_b32 s26, 0x8000
	v_xor_b32_e32 v28, v60, v28
	v_lshl_or_b32 v10, v10, 10, v11
	s_add_i32 s39, s24, s51
	s_lshl_b64 s[24:25], s[40:41], 2
	s_mov_b32 s67, 0x3020706
	v_lshlrev_b32_e32 v28, 1, v28
	v_or3_b32 v71, v29, v30, s26
	v_xor_b32_e32 v11, 8, v10
	v_xor_b32_e32 v29, 24, v10
	;; [unrolled: 1-line block ×4, first 2 shown]
	s_add_u32 s3, s18, s24
	v_or3_b32 v72, v28, v30, s26
	v_xor_b32_e32 v28, 16, v10
	v_xor_b32_e32 v30, 32, v10
	;; [unrolled: 1-line block ×3, first 2 shown]
	v_add_u32_e32 v11, 0x80, v11
	v_add_u32_e32 v29, 0x80, v29
	;; [unrolled: 1-line block ×4, first 2 shown]
	s_addc_u32 s28, s19, s25
	s_lshl_b64 s[24:25], s[38:39], 2
	s_add_u32 s44, s3, s24
	s_movk_i32 s3, 0xf8
	s_addc_u32 s45, s28, s25
	v_ashrrev_i32_e32 v47, 31, v46
	s_lshl_b32 s30, s23, 7
	s_mov_b32 s65, 0
	s_mul_i32 s68, s55, s20
	v_mov_b32_e32 v86, 0x3fb8aa3b
	s_mov_b32 s41, 0
	s_waitcnt vmcnt(1)
	v_perm_b32 v34, v12, v20, s66
	s_waitcnt vmcnt(0)
	v_perm_b32 v35, v16, v24, s66
	v_perm_b32 v12, v12, v20, s67
	;; [unrolled: 1-line block ×15, first 2 shown]
	ds_write2st64_b32 v10, v34, v35 offset1:32
	ds_write2st64_b32 v11, v12, v16 offset1:32
	ds_write2st64_b32 v28, v20, v24 offset0:1 offset1:33
	ds_write2st64_b32 v29, v13, v17 offset0:1 offset1:33
	;; [unrolled: 1-line block ×6, first 2 shown]
	v_or_b32_e32 v10, v54, v56
	v_lshlrev_b32_e32 v10, 3, v10
	v_lshrrev_b32_e32 v12, 5, v45
	v_and_or_b32 v12, v10, s3, v12
	v_lshlrev_b32_e32 v12, 4, v12
	v_lshlrev_b32_e32 v18, 11, v1
	v_and_b32_e32 v10, 0x78, v10
	v_or_b32_e32 v15, 32, v12
	v_and_b32_e32 v11, 0x1000, v18
	v_lshrrev_b32_e32 v19, 1, v0
	v_xor_b32_e32 v15, v15, v10
	v_and_b32_e32 v14, 8, v19
	v_or_b32_e32 v15, v15, v11
	v_xor_b32_e32 v13, v12, v10
	v_xor_b32_e32 v75, v15, v14
	v_or_b32_e32 v15, 64, v12
	v_or_b32_e32 v12, 0x60, v12
	v_xor_b32_e32 v15, v15, v10
	v_xor_b32_e32 v10, v12, v10
	v_or_b32_e32 v13, v13, v11
	v_or_b32_e32 v15, v15, v11
	v_or_b32_e32 v10, v10, v11
	v_xor_b32_e32 v73, v13, v14
	v_xor_b32_e32 v76, v15, v14
	;; [unrolled: 1-line block ×3, first 2 shown]
	v_lshrrev_b32_e32 v14, 4, v0
	v_lshlrev_b32_e32 v15, 1, v56
	s_ashr_i32 s3, s2, 31
	v_or_b32_e32 v16, 1, v15
	v_xor_b32_e32 v15, v14, v15
	s_lshl_b64 s[24:25], s[2:3], 8
	v_xor_b32_e32 v16, v16, v14
	v_lshlrev_b32_e32 v15, 3, v15
	v_lshlrev_b32_e32 v14, 8, v14
	v_lshlrev_b64 v[10:11], 1, v[46:47]
	s_add_u32 s24, s6, s24
	v_or3_b32 v47, v15, v14, s26
	v_lshlrev_b32_e32 v15, 3, v16
	s_addc_u32 s25, s7, s25
	v_or3_b32 v79, v15, v14, s26
	v_mov_b32_e32 v15, 0
	v_lshl_add_u64 v[16:17], s[24:25], 0, v[14:15]
	v_lshlrev_b32_e32 v14, 4, v56
	s_movk_i32 s3, 0xff
	v_lshlrev_b32_e32 v23, 3, v1
	v_and_b32_e32 v19, 24, v19
	v_lshl_add_u64 v[48:49], v[16:17], 0, v[14:15]
	v_and_b32_e32 v16, 8, v0
	v_cmp_lt_u32_e32 vcc, s3, v0
	v_xor_b32_e32 v24, v23, v19
	v_or_b32_e32 v25, 0x440, v24
	v_cndmask_b32_e64 v22, 0, 1, vcc
	v_cmp_eq_u32_e32 vcc, 0, v16
	v_and_b32_e32 v14, 7, v0
	v_lshlrev_b32_e32 v17, 3, v14
	v_cndmask_b32_e32 v16, v25, v24, vcc
	v_lshlrev_b32_e32 v14, 7, v14
	v_or_b32_e32 v16, v16, v18
	v_xad_u32 v80, v16, v17, v14
	v_or_b32_e32 v16, 32, v19
	v_xor_b32_e32 v16, v23, v16
	v_or_b32_e32 v24, 0x440, v16
	v_cndmask_b32_e32 v16, v24, v16, vcc
	v_or_b32_e32 v16, v16, v18
	v_xad_u32 v81, v16, v17, v14
	v_or_b32_e32 v16, 64, v19
	v_xor_b32_e32 v16, v23, v16
	v_xor_b32_e32 v24, 0x440, v16
	v_cndmask_b32_e32 v16, v24, v16, vcc
	v_or_b32_e32 v16, v16, v18
	v_xad_u32 v82, v16, v17, v14
	v_or_b32_e32 v16, 0x60, v19
	v_xor_b32_e32 v16, v23, v16
	v_xor_b32_e32 v19, 0x440, v16
	v_and_b32_e32 v13, 0x78, v57
	v_cndmask_b32_e32 v16, v19, v16, vcc
	v_lshl_or_b32 v13, v55, 7, v13
	v_or_b32_e32 v16, v16, v18
	v_or_b32_e32 v74, 0x9000, v13
	v_or_b32_e32 v78, 0x9800, v13
	v_lshl_add_u64 v[12:13], s[16:17], 0, v[10:11]
	v_lshl_add_u64 v[10:11], s[8:9], 0, v[10:11]
	v_lshlrev_b32_e32 v20, 1, v9
	v_add_lshl_u32 v9, v9, s23, 1
	v_or_b32_e32 v21, 0x100, v5
	v_lshlrev_b32_e32 v22, 13, v22
	v_xad_u32 v83, v16, v17, v14
	v_lshlrev_b32_e32 v14, 8, v59
	v_cndmask_b32_e64 v84, v20, v5, s[0:1]
	v_cndmask_b32_e64 v85, v9, v21, s[0:1]
	v_lshl_add_u64 v[50:51], v[12:13], 0, v[14:15]
	v_lshl_add_u64 v[52:53], v[10:11], 0, v[14:15]
	s_mov_b32 s3, 0x7060302
	s_movk_i32 s26, 0x4000
	v_add_u32_e32 v87, v22, v80
	v_add_u32_e32 v88, v22, v81
	;; [unrolled: 1-line block ×4, first 2 shown]
	s_waitcnt lgkmcnt(0)
	s_barrier
.LBB761_32:                             ; =>This Inner Loop Header: Depth=1
	s_add_i32 s39, s41, 1
	s_cmp_lt_i32 s39, s56
	s_mov_b64 s[28:29], 0
	s_cselect_b64 s[46:47], -1, 0
	s_cmp_ge_i32 s39, s56
	s_mov_b64 s[24:25], 0
	s_cbranch_scc1 .LBB761_34
; %bb.33:                               ;   in Loop: Header=BB761_32 Depth=1
	s_add_i32 s0, s65, 64
	s_add_u32 s0, s4, s0
	s_addc_u32 s1, s5, 0
	s_lshl_b64 s[0:1], s[0:1], 8
	s_add_u32 s24, s14, s0
	s_addc_u32 s25, s15, s1
.LBB761_34:                             ;   in Loop: Header=BB761_32 Depth=1
	v_cndmask_b32_e64 v5, 0, 1, s[46:47]
	v_cmp_ne_u32_e64 s[0:1], 1, v5
	s_andn2_b64 vcc, exec, s[46:47]
	s_cbranch_vccnz .LBB761_36
; %bb.35:                               ;   in Loop: Header=BB761_32 Depth=1
	s_add_i32 s28, s65, 64
	s_add_u32 s28, s68, s28
	s_addc_u32 s29, s69, 0
	s_mul_i32 s31, s28, s58
	s_mul_hi_u32 s46, s28, s62
	s_add_i32 s31, s46, s31
	s_mul_i32 s29, s29, s62
	s_add_i32 s31, s31, s29
	s_mul_i32 s28, s28, s62
	s_add_u32 s28, s28, s59
	s_addc_u32 s29, s31, s63
	s_lshl_b64 s[28:29], s[28:29], 8
	s_add_u32 s28, s12, s28
	s_addc_u32 s29, s13, s29
.LBB761_36:                             ;   in Loop: Header=BB761_32 Depth=1
	v_perm_b32 v11, v65, v4, s3
	v_perm_b32 v10, v3, v2, s3
	;; [unrolled: 1-line block ×4, first 2 shown]
	ds_write_b64 v69, v[10:11]
	ds_write_b64 v70, v[12:13]
	;; [unrolled: 1-line block ×4, first 2 shown]
	s_waitcnt lgkmcnt(0)
	s_barrier
	ds_read_b64 v[18:19], v73 offset:16384
	ds_read_b64 v[20:21], v75 offset:16384
	ds_read2st64_b64 v[10:13], v74 offset1:1
	ds_read2st64_b64 v[14:17], v74 offset0:2 offset1:3
	ds_read_b64 v[22:23], v76 offset:16384
	s_waitcnt lgkmcnt(2)
	v_mfma_f32_16x16x16_bf16 a[0:3], v[18:19], v[10:11], 0
	ds_read_b64 v[10:11], v77 offset:16384
	s_add_i32 s31, s65, 63
	s_mul_i32 s46, s31, s37
	v_mfma_f32_16x16x16_bf16 a[0:3], v[20:21], v[12:13], a[0:3]
	s_mul_hi_u32 s47, s31, s36
	s_add_i32 s47, s47, s46
	s_mul_i32 s46, s31, s36
	s_waitcnt lgkmcnt(1)
	v_mfma_f32_16x16x16_bf16 a[0:3], v[22:23], v[14:15], a[0:3]
	s_lshl_b64 s[46:47], s[46:47], 2
	s_add_u32 s46, s44, s46
	s_addc_u32 s47, s45, s47
	s_waitcnt lgkmcnt(0)
	v_mfma_f32_16x16x16_bf16 a[0:3], v[10:11], v[16:17], a[0:3]
	s_and_b64 vcc, exec, s[0:1]
	v_mov_b32_e32 v91, 0
	v_mov_b32_e32 v9, 0
	;; [unrolled: 1-line block ×19, first 2 shown]
	s_cbranch_vccnz .LBB761_38
; %bb.37:                               ;   in Loop: Header=BB761_32 Depth=1
	s_and_b32 s25, s25, 0xffff
	buffer_load_dwordx4 v[22:25], v64, s[24:27], 0 offen
	buffer_load_dwordx4 v[18:21], v64, s[24:27], s64 offen
	buffer_load_dwordx4 v[14:17], v66, s[24:27], 0 offen
	buffer_load_dwordx4 v[10:13], v66, s[24:27], s64 offen
	v_mov_b32_e32 v9, v67
	v_mov_b32_e32 v5, v68
.LBB761_38:                             ;   in Loop: Header=BB761_32 Depth=1
	s_waitcnt vmcnt(3)
	v_add_u32_e32 v32, s65, v59
	s_waitcnt vmcnt(1)
	v_ashrrev_i32_e32 v26, 31, v32
	v_mul_lo_u32 v28, v26, s36
	v_mul_lo_u32 v29, v32, s37
	v_mad_u64_u32 v[26:27], s[24:25], v32, s36, 0
	v_add3_u32 v27, v27, v29, v28
	v_add_u32_e32 v28, 1, v32
	v_ashrrev_i32_e32 v29, 31, v28
	v_mul_lo_u32 v30, v29, s36
	v_mul_lo_u32 v31, v28, s37
	v_mad_u64_u32 v[28:29], s[24:25], v28, s36, 0
	v_add3_u32 v29, v29, v31, v30
	v_add_u32_e32 v30, 2, v32
	v_ashrrev_i32_e32 v31, 31, v30
	v_mul_lo_u32 v33, v31, s36
	v_mul_lo_u32 v34, v30, s37
	v_mad_u64_u32 v[30:31], s[24:25], v30, s36, 0
	s_add_u32 s24, s4, s65
	v_add3_u32 v31, v31, v34, v33
	v_add_u32_e32 v34, 3, v32
	s_addc_u32 s25, s5, 0
	v_ashrrev_i32_e32 v32, 31, v34
	s_lshl_b64 s[70:71], s[24:25], 8
	v_lshl_add_u64 v[26:27], v[26:27], 2, s[44:45]
	v_mul_lo_u32 v35, v32, s36
	v_lshl_add_u64 v[32:33], v[50:51], 0, s[70:71]
	v_mul_lo_u32 v36, v34, s37
	global_load_ushort v93, v[32:33], off
	global_load_ushort v94, v[32:33], off offset:256
	global_load_ushort v96, v[32:33], off offset:512
	;; [unrolled: 1-line block ×3, first 2 shown]
	global_load_dword v97, v[26:27], off
	v_mad_u64_u32 v[26:27], s[24:25], v34, s36, 0
	v_lshl_add_u64 v[28:29], v[28:29], 2, s[44:45]
	v_add3_u32 v27, v27, v36, v35
	v_lshl_add_u64 v[30:31], v[30:31], 2, s[44:45]
	v_lshl_add_u64 v[26:27], v[26:27], 2, s[44:45]
	global_load_dword v98, v[28:29], off
	global_load_dword v99, v[30:31], off
	;; [unrolled: 1-line block ×3, first 2 shown]
	ds_read_b64 v[26:27], v73 offset:24576
	s_load_dword s24, s[46:47], 0x0
	ds_read_b64 v[36:37], v75 offset:24576
	ds_read2st64_b64 v[28:31], v78 offset1:1
	ds_read2st64_b64 v[32:35], v78 offset0:2 offset1:3
	ds_read_b64 v[38:39], v76 offset:24576
	ds_read_b64 v[40:41], v77 offset:24576
	s_waitcnt lgkmcnt(0)
	v_mfma_f32_16x16x16_bf16 a[0:3], v[26:27], v[28:29], a[0:3]
	v_mov_b32_e32 v92, 0
	v_mov_b32_e32 v26, 0
	;; [unrolled: 1-line block ×3, first 2 shown]
	v_mfma_f32_16x16x16_bf16 a[0:3], v[36:37], v[30:31], a[0:3]
	v_lshl_add_u64 v[36:37], v[52:53], 0, s[70:71]
	v_mov_b32_e32 v28, 0
	v_mov_b32_e32 v29, 0
	v_mfma_f32_16x16x16_bf16 a[0:3], v[38:39], v[32:33], a[0:3]
	v_mov_b32_e32 v30, 0
	v_mov_b32_e32 v31, 0
	;; [unrolled: 1-line block ×3, first 2 shown]
	v_mfma_f32_16x16x16_bf16 a[0:3], v[40:41], v[34:35], a[0:3]
	s_and_b64 vcc, exec, s[0:1]
	s_waitcnt vmcnt(7)
	v_lshlrev_b32_e32 v40, 16, v93
	s_nop 3
	v_accvgpr_read_b32 v39, a1
	v_accvgpr_read_b32 v35, a3
	;; [unrolled: 1-line block ×4, first 2 shown]
	s_waitcnt vmcnt(6)
	v_lshlrev_b32_e32 v41, 16, v94
	s_waitcnt vmcnt(4)
	v_lshlrev_b32_e32 v95, 16, v95
	v_lshlrev_b32_e32 v94, 16, v96
	s_waitcnt vmcnt(3)
	v_sub_f32_e32 v33, s24, v97
	v_pk_add_f32 v[38:39], v[40:41], v[38:39] neg_lo:[0,1] neg_hi:[0,1]
	v_pk_add_f32 v[34:35], v[94:95], v[34:35] neg_lo:[0,1] neg_hi:[0,1]
	v_mul_f32_e32 v33, 0x3fb8aa3b, v33
	s_waitcnt vmcnt(2)
	v_sub_f32_e32 v41, s24, v98
	s_waitcnt vmcnt(1)
	v_sub_f32_e32 v93, s24, v99
	;; [unrolled: 2-line block ×3, first 2 shown]
	v_exp_f32_e32 v40, v33
	v_mul_f32_e32 v33, 0x3fb8aa3b, v41
	v_mul_f32_e32 v93, 0x3fb8aa3b, v93
	;; [unrolled: 1-line block ×3, first 2 shown]
	v_exp_f32_e32 v41, v33
	v_exp_f32_e32 v94, v93
	;; [unrolled: 1-line block ×3, first 2 shown]
	global_store_short_d16_hi v[36:37], v38, off
	global_store_short_d16_hi v[36:37], v39, off offset:256
	global_store_short_d16_hi v[36:37], v34, off offset:512
	;; [unrolled: 1-line block ×3, first 2 shown]
	v_pk_mul_f32 v[36:37], v[40:41], v[38:39]
	v_pk_mul_f32 v[34:35], v[94:95], v[34:35]
	v_mov_b32_e32 v33, 0
	v_perm_b32 v35, v35, v34, s3
	v_perm_b32 v34, v37, v36, s3
	ds_write_b64 v70, v[34:35]
	v_mov_b32_e32 v34, 0
	v_mov_b32_e32 v35, 0
	;; [unrolled: 1-line block ×8, first 2 shown]
	s_cbranch_vccnz .LBB761_40
; %bb.39:                               ;   in Loop: Header=BB761_32 Depth=1
	s_and_b32 s29, s29, 0xffff
	s_mov_b32 s31, s27
	buffer_load_dwordx4 v[38:41], v84, s[28:31], 0 offen
	buffer_load_dwordx4 v[30:33], v84, s[28:31], s64 offen
	;; [unrolled: 1-line block ×4, first 2 shown]
	v_mov_b32_e32 v91, v63
	v_mov_b32_e32 v92, v61
.LBB761_40:                             ;   in Loop: Header=BB761_32 Depth=1
	s_waitcnt lgkmcnt(0)
	s_barrier
	ds_read_b64 v[102:103], v87
	ds_read2st64_b64 v[94:97], v78 offset1:1
	ds_read2st64_b64 v[98:101], v78 offset0:2 offset1:3
	ds_read_b64 v[104:105], v88
	ds_read_b64 v[106:107], v89
	ds_read_b64 v[108:109], v90
	s_waitcnt lgkmcnt(4)
	v_mfma_f32_16x16x16_bf16 a[0:3], v[102:103], v[94:95], 0
	ds_read_b64 v[102:103], v80 offset:8192
	ds_read_b64 v[110:111], v81 offset:8192
	s_add_i32 s25, s60, s41
	s_mul_hi_i32 s29, s25, s21
	s_waitcnt lgkmcnt(1)
	v_mfma_f32_16x16x16_bf16 a[4:7], v[102:103], v[94:95], 0
	s_mul_i32 s25, s25, s21
	s_add_u32 s28, s25, s53
	s_addc_u32 s29, s29, s57
	v_mfma_f32_16x16x16_bf16 a[0:3], v[104:105], v[96:97], a[0:3]
	ds_read_b64 v[102:103], v47
	ds_read_b64 v[104:105], v79
	ds_read_b64 v[94:95], v82 offset:8192
	s_lshl_b64 s[28:29], s[28:29], 15
	v_mfma_f32_16x16x16_bf16 a[0:3], v[106:107], v[98:99], a[0:3]
	ds_read_b64 v[106:107], v83 offset:8192
	s_and_b64 vcc, exec, s[0:1]
	s_waitcnt lgkmcnt(4)
	v_mfma_f32_16x16x16_bf16 a[4:7], v[110:111], v[96:97], a[4:7]
	s_waitcnt lgkmcnt(1)
	v_mfma_f32_16x16x16_bf16 a[4:7], v[94:95], v[98:99], a[4:7]
	v_lshl_add_u64 v[94:95], v[48:49], 0, s[28:29]
	global_store_dwordx4 v[94:95], v[102:105], off
	v_mfma_f32_16x16x16_bf16 a[0:3], v[108:109], v[100:101], a[0:3]
	s_waitcnt lgkmcnt(0)
	v_mfma_f32_16x16x16_bf16 a[4:7], v[106:107], v[100:101], a[4:7]
	s_cbranch_vccnz .LBB761_42
; %bb.41:                               ;   in Loop: Header=BB761_32 Depth=1
	v_lshrrev_b32_e32 v93, 3, v91
	v_and_b32_e32 v93, 6, v93
	v_xor_b32_e32 v92, v93, v92
	v_lshlrev_b32_e32 v92, 2, v92
	v_and_b32_e32 v91, 8, v91
	v_xor_b32_e32 v94, 0x440, v92
	v_cmp_eq_u32_e32 vcc, 0, v91
	s_barrier
	s_nop 0
	v_cndmask_b32_e32 v91, v94, v92, vcc
	v_lshl_or_b32 v91, v93, 10, v91
	s_waitcnt vmcnt(2)
	v_perm_b32 v92, v38, v34, s66
	s_waitcnt vmcnt(1)
	v_perm_b32 v93, v30, v26, s66
	ds_write2st64_b32 v91, v92, v93 offset1:32
	v_xor_b32_e32 v92, 8, v91
	v_perm_b32 v34, v38, v34, s67
	v_perm_b32 v26, v30, v26, s67
	v_add_u32_e32 v30, 0x80, v92
	ds_write2st64_b32 v30, v34, v26 offset1:32
	v_xor_b32_e32 v26, 16, v91
	v_perm_b32 v30, v39, v35, s66
	v_perm_b32 v34, v31, v27, s66
	ds_write2st64_b32 v26, v30, v34 offset0:1 offset1:33
	v_xor_b32_e32 v26, 24, v91
	v_perm_b32 v30, v39, v35, s67
	v_perm_b32 v27, v31, v27, s67
	v_add_u32_e32 v26, 0x80, v26
	ds_write2st64_b32 v26, v30, v27 offset0:1 offset1:33
	v_xor_b32_e32 v26, 32, v91
	v_perm_b32 v27, v40, v36, s66
	v_perm_b32 v30, v32, v28, s66
	ds_write2st64_b32 v26, v27, v30 offset0:2 offset1:34
	v_xor_b32_e32 v26, 40, v91
	v_perm_b32 v27, v40, v36, s67
	v_perm_b32 v28, v32, v28, s67
	v_add_u32_e32 v26, 0x80, v26
	ds_write2st64_b32 v26, v27, v28 offset0:2 offset1:34
	;; [unrolled: 9-line block ×3, first 2 shown]
	ds_write_b64 v9, v[22:23] offset:16384
	v_xor_b32_e32 v22, 8, v9
	ds_write_b64 v22, v[24:25] offset:16384
	ds_write_b64 v9, v[18:19] offset:24576
	;; [unrolled: 1-line block ×4, first 2 shown]
	v_xor_b32_e32 v9, 8, v5
	ds_write_b64 v9, v[16:17] offset:16384
	ds_write_b64 v5, v[10:11] offset:24576
	;; [unrolled: 1-line block ×3, first 2 shown]
.LBB761_42:                             ;   in Loop: Header=BB761_32 Depth=1
	v_mul_f32_e32 v5, s24, v86
	v_exp_f32_e32 v10, v5
	s_nop 1
	v_accvgpr_read_b32 v9, a1
	v_accvgpr_read_b32 v5, a0
	s_add_i32 s65, s65, 64
	v_fma_f32 v3, v3, v10, v9
	v_accvgpr_read_b32 v9, a4
	v_fma_f32 v6, v6, v10, v9
	v_accvgpr_read_b32 v9, a5
	;; [unrolled: 2-line block ×6, first 2 shown]
	v_fmac_f32_e32 v5, v65, v10
	s_cmp_eq_u32 s56, s39
	v_fmac_f32_e32 v9, v62, v10
	s_cbranch_scc1 .LBB761_4
; %bb.43:                               ;   in Loop: Header=BB761_32 Depth=1
	s_mov_b32 s41, s39
	v_mov_b32_e32 v65, v5
	v_mov_b32_e32 v62, v9
	s_branch .LBB761_32
.LBB761_44:
                                        ; implicit-def: $vgpr13
                                        ; implicit-def: $vgpr17
                                        ; implicit-def: $vgpr21
                                        ; implicit-def: $vgpr25
	s_cbranch_execz .LBB761_46
; %bb.45:
	s_waitcnt vmcnt(0)
	v_mad_u64_u32 v[10:11], s[0:1], v27, s23, v[26:27]
	v_lshlrev_b32_e32 v27, 1, v10
	s_lshl_b32 s2, s23, 7
	s_and_b32 s1, s5, 0xffff
	s_mov_b32 s3, 0x20000
	s_mov_b32 s0, s4
	v_add_lshl_u32 v28, v10, s23, 1
	s_movk_i32 s6, 0x80
	buffer_load_dwordx4 v[10:13], v27, s[0:3], 0 offen
	buffer_load_dwordx4 v[18:21], v27, s[0:3], s6 offen
	;; [unrolled: 1-line block ×4, first 2 shown]
.LBB761_46:
	v_lshrrev_b32_e32 v45, 2, v45
	s_cbranch_execnz .LBB761_59
.LBB761_47:
	s_and_b64 vcc, exec, s[14:15]
	s_cbranch_vccz .LBB761_57
; %bb.48:
	s_waitcnt vmcnt(0)
	v_lshlrev_b32_e32 v15, 1, v47
	v_cmp_gt_i32_e32 vcc, s31, v15
	v_mov_b32_e32 v14, 0
	v_lshlrev_b32_e32 v22, 9, v47
	v_mov_b32_e32 v10, 0
	v_mov_b32_e32 v11, 0
	;; [unrolled: 1-line block ×4, first 2 shown]
	s_and_saveexec_b64 s[0:1], vcc
	s_cbranch_execz .LBB761_50
; %bb.49:
	v_mov_b32_e32 v23, 0
	v_lshl_add_u64 v[10:11], s[4:5], 0, v[22:23]
	v_lshlrev_b32_e32 v12, 1, v26
	v_mov_b32_e32 v13, v23
	v_lshl_add_u64 v[10:11], v[10:11], 0, v[12:13]
	global_load_dwordx4 v[10:13], v[10:11], off
.LBB761_50:
	s_or_b64 exec, exec, s[0:1]
	v_or_b32_e32 v15, 1, v15
	v_cmp_gt_i32_e64 s[0:1], s31, v15
	v_lshlrev_b32_e32 v28, 8, v15
	v_mov_b32_e32 v15, 0
	v_mov_b32_e32 v16, 0
	;; [unrolled: 1-line block ×3, first 2 shown]
	s_and_saveexec_b64 s[2:3], s[0:1]
	s_cbranch_execz .LBB761_52
; %bb.51:
	v_mov_b32_e32 v29, 0
	v_lshl_add_u64 v[14:15], s[4:5], 0, v[28:29]
	v_lshlrev_b32_e32 v16, 1, v26
	v_mov_b32_e32 v17, v29
	v_lshl_add_u64 v[14:15], v[14:15], 0, v[16:17]
	global_load_dwordx4 v[14:17], v[14:15], off
.LBB761_52:
	s_or_b64 exec, exec, s[2:3]
	v_mov_b32_e32 v25, 0
	v_mov_b32_e32 v18, 0
	;; [unrolled: 1-line block ×5, first 2 shown]
	s_and_saveexec_b64 s[2:3], vcc
	s_cbranch_execz .LBB761_54
; %bb.53:
	v_mov_b32_e32 v23, 0
	v_lshl_add_u64 v[18:19], s[4:5], 0, v[22:23]
	v_lshlrev_b32_e32 v22, 1, v26
	v_lshl_add_u64 v[18:19], v[18:19], 0, v[22:23]
	global_load_dwordx4 v[18:21], v[18:19], off offset:128
.LBB761_54:
	s_or_b64 exec, exec, s[2:3]
	v_mov_b32_e32 v24, 0
	v_mov_b32_e32 v23, 0
	;; [unrolled: 1-line block ×3, first 2 shown]
	s_and_saveexec_b64 s[2:3], s[0:1]
	s_cbranch_execz .LBB761_56
; %bb.55:
	v_mov_b32_e32 v29, 0
	v_lshl_add_u64 v[22:23], s[4:5], 0, v[28:29]
	v_lshlrev_b32_e32 v28, 1, v26
	v_lshl_add_u64 v[22:23], v[22:23], 0, v[28:29]
	global_load_dwordx4 v[22:25], v[22:23], off offset:128
.LBB761_56:
	s_or_b64 exec, exec, s[2:3]
	s_branch .LBB761_59
.LBB761_57:
                                        ; implicit-def: $vgpr13
                                        ; implicit-def: $vgpr17
                                        ; implicit-def: $vgpr21
                                        ; implicit-def: $vgpr25
	s_cbranch_execz .LBB761_59
; %bb.58:
	s_waitcnt vmcnt(0)
	v_lshlrev_b32_e32 v10, 1, v26
	v_lshl_or_b32 v26, v47, 9, v10
	s_and_b32 s5, s5, 0xffff
	s_mov_b32 s7, 0x20000
	s_movk_i32 s6, 0x4000
	s_movk_i32 s0, 0x80
	buffer_load_dwordx4 v[10:13], v26, s[4:7], 0 offen
	buffer_load_dwordx4 v[14:17], v26, s[4:7], 0 offen offset:256
	buffer_load_dwordx4 v[18:21], v26, s[4:7], s0 offen
	buffer_load_dwordx4 v[22:25], v26, s[4:7], s0 offen offset:256
.LBB761_59:
	ds_read2st64_b64 v[30:33], v50 offset0:76 offset1:77
	ds_read2st64_b64 v[26:29], v50 offset0:78 offset1:79
	ds_read_b64 v[40:41], v34 offset:24576
	ds_read_b64 v[38:39], v35 offset:24576
	;; [unrolled: 1-line block ×4, first 2 shown]
	v_and_b32_e32 v51, 6, v0
	v_xor_b32_e32 v47, v47, v51
	v_lshlrev_b32_e32 v47, 2, v47
	v_and_b32_e32 v52, 1, v0
	v_xor_b32_e32 v53, 0x440, v47
	v_cmp_eq_u32_e32 vcc, 0, v52
	s_mov_b32 s0, 0x1000504
	s_waitcnt vmcnt(0)
	v_perm_b32 v52, v18, v22, s0
	v_cndmask_b32_e32 v47, v53, v47, vcc
	v_lshl_or_b32 v47, v51, 10, v47
	v_perm_b32 v51, v10, v14, s0
	ds_write2st64_b32 v47, v51, v52 offset1:32
	v_xor_b32_e32 v51, 8, v47
	s_mov_b32 s1, 0x3020706
	v_perm_b32 v10, v10, v14, s1
	v_perm_b32 v14, v18, v22, s1
	v_add_u32_e32 v18, 0x80, v51
	ds_write2st64_b32 v18, v10, v14 offset1:32
	v_xor_b32_e32 v10, 16, v47
	v_perm_b32 v14, v11, v15, s0
	v_perm_b32 v18, v19, v23, s0
	ds_write2st64_b32 v10, v14, v18 offset0:1 offset1:33
	v_xor_b32_e32 v10, 24, v47
	v_perm_b32 v11, v11, v15, s1
	v_perm_b32 v14, v19, v23, s1
	v_add_u32_e32 v10, 0x80, v10
	ds_write2st64_b32 v10, v11, v14 offset0:1 offset1:33
	v_xor_b32_e32 v10, 32, v47
	v_perm_b32 v11, v12, v16, s0
	v_perm_b32 v14, v20, v24, s0
	ds_write2st64_b32 v10, v11, v14 offset0:2 offset1:34
	v_xor_b32_e32 v10, 40, v47
	v_perm_b32 v11, v12, v16, s1
	v_perm_b32 v12, v20, v24, s1
	v_add_u32_e32 v10, 0x80, v10
	ds_write2st64_b32 v10, v11, v12 offset0:2 offset1:34
	v_xor_b32_e32 v10, 48, v47
	v_perm_b32 v11, v13, v17, s0
	v_perm_b32 v12, v21, v25, s0
	ds_write2st64_b32 v10, v11, v12 offset0:3 offset1:35
	v_xor_b32_e32 v10, 56, v47
	v_and_or_b32 v18, v45, 12, v54
	v_perm_b32 v11, v13, v17, s1
	v_perm_b32 v12, v21, v25, s1
	v_add_u32_e32 v10, 0x80, v10
	v_cmp_gt_i32_e32 vcc, s31, v18
	v_mov_b32_e32 v20, 0
	v_mov_b32_e32 v24, 0
	ds_write2st64_b32 v10, v11, v12 offset0:3 offset1:35
	s_and_saveexec_b64 s[0:1], vcc
	s_cbranch_execz .LBB761_61
; %bb.60:
	v_add_u32_e32 v10, s30, v18
	v_ashrrev_i32_e32 v11, 31, v10
	v_mul_lo_u32 v12, v11, s36
	v_mul_lo_u32 v13, v10, s37
	v_mad_u64_u32 v[10:11], s[2:3], v10, s36, 0
	v_add3_u32 v11, v11, v13, v12
	v_lshl_add_u64 v[10:11], v[10:11], 2, s[12:13]
	global_load_dword v10, v[10:11], off
	s_waitcnt vmcnt(0)
	v_sub_f32_e32 v10, s18, v10
	v_mul_f32_e32 v10, 0x3fb8aa3b, v10
	v_exp_f32_e32 v24, v10
.LBB761_61:
	s_or_b64 exec, exec, s[0:1]
	v_or_b32_e32 v23, 1, v18
	v_cmp_gt_i32_e64 s[4:5], s31, v23
	s_and_saveexec_b64 s[0:1], s[4:5]
	s_cbranch_execz .LBB761_63
; %bb.62:
	v_add_u32_e32 v10, s30, v23
	v_ashrrev_i32_e32 v11, 31, v10
	v_mul_lo_u32 v12, v11, s36
	v_mul_lo_u32 v13, v10, s37
	v_mad_u64_u32 v[10:11], s[2:3], v10, s36, 0
	v_add3_u32 v11, v11, v13, v12
	v_lshl_add_u64 v[10:11], v[10:11], 2, s[12:13]
	global_load_dword v10, v[10:11], off
	s_waitcnt vmcnt(0)
	v_sub_f32_e32 v10, s18, v10
	v_mul_f32_e32 v10, 0x3fb8aa3b, v10
	v_exp_f32_e32 v20, v10
.LBB761_63:
	s_or_b64 exec, exec, s[0:1]
	v_or_b32_e32 v21, 2, v18
	v_cmp_gt_i32_e64 s[0:1], s31, v21
	v_mov_b32_e32 v19, 0
	v_mov_b32_e32 v25, 0
	s_and_saveexec_b64 s[2:3], s[0:1]
	s_cbranch_execz .LBB761_65
; %bb.64:
	v_add_u32_e32 v10, s30, v21
	v_ashrrev_i32_e32 v11, 31, v10
	v_mul_lo_u32 v12, v11, s36
	v_mul_lo_u32 v13, v10, s37
	v_mad_u64_u32 v[10:11], s[6:7], v10, s36, 0
	v_add3_u32 v11, v11, v13, v12
	v_lshl_add_u64 v[10:11], v[10:11], 2, s[12:13]
	global_load_dword v10, v[10:11], off
	s_waitcnt vmcnt(0)
	v_sub_f32_e32 v10, s18, v10
	v_mul_f32_e32 v10, 0x3fb8aa3b, v10
	v_exp_f32_e32 v25, v10
.LBB761_65:
	s_or_b64 exec, exec, s[2:3]
	v_or_b32_e32 v22, 3, v18
	v_cmp_gt_i32_e64 s[2:3], s31, v22
	s_and_saveexec_b64 s[6:7], s[2:3]
	s_cbranch_execz .LBB761_67
; %bb.66:
	v_add_u32_e32 v10, s30, v22
	v_ashrrev_i32_e32 v11, 31, v10
	v_mul_lo_u32 v12, v11, s36
	v_mul_lo_u32 v13, v10, s37
	v_mad_u64_u32 v[10:11], s[14:15], v10, s36, 0
	v_add3_u32 v11, v11, v13, v12
	v_lshl_add_u64 v[10:11], v[10:11], 2, s[12:13]
	global_load_dword v10, v[10:11], off
	s_waitcnt vmcnt(0)
	v_sub_f32_e32 v10, s18, v10
	v_mul_f32_e32 v10, 0x3fb8aa3b, v10
	v_exp_f32_e32 v19, v10
.LBB761_67:
	s_or_b64 exec, exec, s[6:7]
	s_waitcnt lgkmcnt(11)
	v_mfma_f32_16x16x16_bf16 a[0:3], v[40:41], v[30:31], a[0:3]
	s_add_u32 s6, s16, s24
	v_ashrrev_i32_e32 v47, 31, v46
	s_addc_u32 s7, s17, s25
	s_waitcnt lgkmcnt(10)
	v_mfma_f32_16x16x16_bf16 a[0:3], v[38:39], v[32:33], a[0:3]
	v_lshlrev_b64 v[10:11], 1, v[46:47]
	v_lshl_add_u64 v[14:15], s[6:7], 0, v[10:11]
	s_add_u32 s6, s8, s24
	s_waitcnt lgkmcnt(9)
	v_mfma_f32_16x16x16_bf16 a[0:3], v[36:37], v[26:27], a[0:3]
	s_addc_u32 s7, s9, s25
	v_lshl_add_u64 v[16:17], s[6:7], 0, v[10:11]
	v_mov_b32_e32 v26, 0
	s_waitcnt lgkmcnt(8)
	v_mfma_f32_16x16x16_bf16 a[0:3], v[34:35], v[28:29], a[0:3]
	v_mov_b32_e32 v27, 0
	s_nop 5
	v_accvgpr_read_b32 v13, a3
	v_accvgpr_read_b32 v12, a2
	;; [unrolled: 1-line block ×4, first 2 shown]
	s_and_saveexec_b64 s[6:7], vcc
	s_cbranch_execz .LBB761_69
; %bb.68:
	v_lshlrev_b32_e32 v28, 8, v18
	v_mov_b32_e32 v29, 0
	v_lshl_add_u64 v[30:31], v[14:15], 0, v[28:29]
	global_load_ushort v27, v[30:31], off
	v_lshl_add_u64 v[28:29], v[16:17], 0, v[28:29]
	s_waitcnt vmcnt(0)
	v_lshlrev_b32_e32 v27, 16, v27
	v_sub_f32_e32 v10, v27, v10
	global_store_short_d16_hi v[28:29], v10, off
	v_mul_f32_e32 v10, v24, v10
	v_lshrrev_b32_e32 v27, 16, v10
.LBB761_69:
	s_or_b64 exec, exec, s[6:7]
	s_and_saveexec_b64 s[6:7], s[4:5]
	s_cbranch_execz .LBB761_71
; %bb.70:
	v_lshlrev_b32_e32 v28, 8, v23
	v_mov_b32_e32 v29, 0
	v_lshl_add_u64 v[30:31], v[14:15], 0, v[28:29]
	global_load_ushort v10, v[30:31], off
	v_lshl_add_u64 v[28:29], v[16:17], 0, v[28:29]
	s_waitcnt vmcnt(0)
	v_lshlrev_b32_e32 v10, 16, v10
	v_sub_f32_e32 v10, v10, v11
	global_store_short_d16_hi v[28:29], v10, off
	v_mul_f32_e32 v10, v20, v10
	v_lshrrev_b32_e32 v26, 16, v10
.LBB761_71:
	s_or_b64 exec, exec, s[6:7]
	v_mov_b32_e32 v11, 0
	v_mov_b32_e32 v20, 0
	s_and_saveexec_b64 s[4:5], s[0:1]
	s_cbranch_execz .LBB761_73
; %bb.72:
	v_lshlrev_b32_e32 v20, 8, v21
	v_mov_b32_e32 v21, 0
	v_lshl_add_u64 v[28:29], v[14:15], 0, v[20:21]
	global_load_ushort v10, v[28:29], off
	v_lshl_add_u64 v[20:21], v[16:17], 0, v[20:21]
	s_waitcnt vmcnt(0)
	v_lshlrev_b32_e32 v10, 16, v10
	v_sub_f32_e32 v10, v10, v12
	global_store_short_d16_hi v[20:21], v10, off
	v_mul_f32_e32 v10, v25, v10
	v_lshrrev_b32_e32 v20, 16, v10
.LBB761_73:
	s_or_b64 exec, exec, s[4:5]
	v_or_b32_e32 v10, 0x9800, v50
	s_and_saveexec_b64 s[0:1], s[2:3]
	s_cbranch_execz .LBB761_75
; %bb.74:
	v_lshlrev_b32_e32 v22, 8, v22
	v_mov_b32_e32 v23, 0
	v_lshl_add_u64 v[14:15], v[14:15], 0, v[22:23]
	global_load_ushort v11, v[14:15], off
	v_lshl_add_u64 v[14:15], v[16:17], 0, v[22:23]
	s_waitcnt vmcnt(0)
	v_lshlrev_b32_e32 v11, 16, v11
	v_sub_f32_e32 v11, v11, v13
	global_store_short_d16_hi v[14:15], v11, off
	v_mul_f32_e32 v11, v19, v11
	v_lshrrev_b32_e32 v11, 16, v11
.LBB761_75:
	s_or_b64 exec, exec, s[0:1]
	s_mov_b32 s0, 0x5040100
	v_perm_b32 v13, v11, v20, s0
	v_lshlrev_b32_e32 v11, 1, v48
	v_perm_b32 v12, v26, v27, s0
	v_lshl_or_b32 v11, v18, 5, v11
	s_movk_i32 s0, 0xff
	ds_write_b64 v11, v[12:13] offset:38912
	v_and_b32_e32 v11, 7, v0
	v_and_b32_e32 v12, 8, v0
	v_cmp_lt_u32_e32 vcc, s0, v0
	v_lshrrev_b32_e32 v0, 1, v0
	v_lshlrev_b32_e32 v22, 3, v1
	v_and_b32_e32 v23, 24, v0
	v_xor_b32_e32 v0, v22, v23
	v_cndmask_b32_e64 v13, 0, 1, vcc
	v_or_b32_e32 v1, 0x440, v0
	v_cmp_eq_u32_e32 vcc, 0, v12
	v_lshlrev_b32_e32 v20, 3, v11
	v_lshlrev_b32_e32 v11, 7, v11
	v_cndmask_b32_e32 v0, v1, v0, vcc
	v_or_b32_e32 v0, v0, v49
	v_lshlrev_b32_e32 v21, 13, v13
	v_xad_u32 v24, v0, v20, v11
	v_add_u32_e32 v0, v21, v24
	s_waitcnt lgkmcnt(0)
	s_barrier
	ds_read_b64 v[0:1], v0
	ds_read2st64_b64 v[12:15], v10 offset1:1
	ds_read2st64_b64 v[16:19], v10 offset0:2 offset1:3
	s_waitcnt lgkmcnt(1)
	v_mfma_f32_16x16x16_bf16 a[0:3], v[0:1], v[12:13], 0
	v_or_b32_e32 v0, 32, v23
	v_xor_b32_e32 v0, v22, v0
	v_or_b32_e32 v1, 0x440, v0
	v_cndmask_b32_e32 v0, v1, v0, vcc
	v_or_b32_e32 v0, v0, v49
	v_xad_u32 v25, v0, v20, v11
	v_add_u32_e32 v0, v21, v25
	ds_read_b64 v[0:1], v0
	v_or_b32_e32 v10, 0x60, v23
	s_waitcnt lgkmcnt(0)
	v_mfma_f32_16x16x16_bf16 a[0:3], v[0:1], v[14:15], a[0:3]
	v_or_b32_e32 v0, 64, v23
	v_xor_b32_e32 v0, v22, v0
	v_xor_b32_e32 v1, 0x440, v0
	v_cndmask_b32_e32 v0, v1, v0, vcc
	v_or_b32_e32 v0, v0, v49
	v_xad_u32 v26, v0, v20, v11
	v_add_u32_e32 v0, v21, v26
	ds_read_b64 v[0:1], v0
	v_xor_b32_e32 v10, v22, v10
	v_xor_b32_e32 v22, 0x440, v10
	v_cndmask_b32_e32 v10, v22, v10, vcc
	v_or_b32_e32 v10, v10, v49
	v_xad_u32 v22, v10, v20, v11
	v_add_u32_e32 v10, v21, v22
	ds_read_b64 v[10:11], v10
	s_waitcnt lgkmcnt(1)
	v_mfma_f32_16x16x16_bf16 a[0:3], v[0:1], v[16:17], a[0:3]
	ds_read_b64 v[0:1], v24 offset:8192
	ds_read_b64 v[20:21], v25 offset:8192
	v_mov_b32_e32 v23, 0x3fb8aa3b
	s_waitcnt lgkmcnt(2)
	v_mfma_f32_16x16x16_bf16 a[0:3], v[10:11], v[18:19], a[0:3]
	v_mul_f32_e32 v10, s18, v23
	v_exp_f32_e32 v23, v10
	ds_read_b64 v[10:11], v26 offset:8192
	s_waitcnt lgkmcnt(2)
	v_mfma_f32_16x16x16_bf16 a[4:7], v[0:1], v[12:13], 0
	ds_read_b64 v[12:13], v22 offset:8192
	s_nop 0
	v_accvgpr_read_b32 v0, a0
	v_accvgpr_read_b32 v1, a1
	s_waitcnt lgkmcnt(2)
	v_mfma_f32_16x16x16_bf16 a[4:7], v[20:21], v[14:15], a[4:7]
	v_fma_f32 v0, v2, v23, v0
	v_fma_f32 v1, v3, v23, v1
	v_accvgpr_read_b32 v2, a2
	s_waitcnt lgkmcnt(1)
	v_mfma_f32_16x16x16_bf16 a[4:7], v[10:11], v[16:17], a[4:7]
	v_accvgpr_read_b32 v3, a3
	v_fma_f32 v2, v4, v23, v2
	v_fmac_f32_e32 v3, v5, v23
	s_waitcnt lgkmcnt(0)
	v_mfma_f32_16x16x16_bf16 a[0:3], v[12:13], v[18:19], a[4:7]
	s_nop 6
	v_accvgpr_read_b32 v4, a0
	v_accvgpr_read_b32 v5, a1
	v_fma_f32 v4, v6, v23, v4
	v_fma_f32 v5, v7, v23, v5
	v_accvgpr_read_b32 v6, a2
	v_accvgpr_read_b32 v7, a3
	v_fma_f32 v6, v8, v23, v6
	v_fmac_f32_e32 v7, v9, v23
	v_mov_b64_e32 v[8:9], v[6:7]
	v_mov_b64_e32 v[6:7], v[4:5]
	;; [unrolled: 1-line block ×4, first 2 shown]
.LBB761_76:
	s_add_u32 s0, s10, s34
	s_addc_u32 s1, s11, s35
	v_lshl_add_u64 v[0:1], v[42:43], 2, s[0:1]
	v_mov_b32_e32 v45, 0
	v_lshl_add_u64 v[0:1], v[0:1], 0, v[44:45]
	global_store_dwordx4 v[0:1], v[2:5], off
	global_store_dwordx4 v[0:1], v[6:9], off offset:256
	s_endpgm
	.section	.rodata,"a",@progbits
	.p2align	6, 0x0
	.amdhsa_kernel _ZN12_GLOBAL__N_139chunk_gated_delta_rule_fwd_h_hip_kernelILi16ELb1ELb1ELb1ELb0ELb0ELb0ELb0ELb0EEEvPK12hip_bfloat16S3_S3_PKfS5_PKvPS1_S8_PvPKiSB_iiiiilll
		.amdhsa_group_segment_fixed_size 40960
		.amdhsa_private_segment_fixed_size 0
		.amdhsa_kernarg_size 136
		.amdhsa_user_sgpr_count 2
		.amdhsa_user_sgpr_dispatch_ptr 0
		.amdhsa_user_sgpr_queue_ptr 0
		.amdhsa_user_sgpr_kernarg_segment_ptr 1
		.amdhsa_user_sgpr_dispatch_id 0
		.amdhsa_user_sgpr_kernarg_preload_length 0
		.amdhsa_user_sgpr_kernarg_preload_offset 0
		.amdhsa_user_sgpr_private_segment_size 0
		.amdhsa_uses_dynamic_stack 0
		.amdhsa_enable_private_segment 0
		.amdhsa_system_sgpr_workgroup_id_x 1
		.amdhsa_system_sgpr_workgroup_id_y 1
		.amdhsa_system_sgpr_workgroup_id_z 0
		.amdhsa_system_sgpr_workgroup_info 0
		.amdhsa_system_vgpr_workitem_id 0
		.amdhsa_next_free_vgpr 120
		.amdhsa_next_free_sgpr 72
		.amdhsa_accum_offset 112
		.amdhsa_reserve_vcc 1
		.amdhsa_float_round_mode_32 0
		.amdhsa_float_round_mode_16_64 0
		.amdhsa_float_denorm_mode_32 3
		.amdhsa_float_denorm_mode_16_64 3
		.amdhsa_dx10_clamp 1
		.amdhsa_ieee_mode 1
		.amdhsa_fp16_overflow 0
		.amdhsa_tg_split 0
		.amdhsa_exception_fp_ieee_invalid_op 0
		.amdhsa_exception_fp_denorm_src 0
		.amdhsa_exception_fp_ieee_div_zero 0
		.amdhsa_exception_fp_ieee_overflow 0
		.amdhsa_exception_fp_ieee_underflow 0
		.amdhsa_exception_fp_ieee_inexact 0
		.amdhsa_exception_int_div_zero 0
	.end_amdhsa_kernel
	.section	.text._ZN12_GLOBAL__N_139chunk_gated_delta_rule_fwd_h_hip_kernelILi16ELb1ELb1ELb1ELb0ELb0ELb0ELb0ELb0EEEvPK12hip_bfloat16S3_S3_PKfS5_PKvPS1_S8_PvPKiSB_iiiiilll,"axG",@progbits,_ZN12_GLOBAL__N_139chunk_gated_delta_rule_fwd_h_hip_kernelILi16ELb1ELb1ELb1ELb0ELb0ELb0ELb0ELb0EEEvPK12hip_bfloat16S3_S3_PKfS5_PKvPS1_S8_PvPKiSB_iiiiilll,comdat
.Lfunc_end761:
	.size	_ZN12_GLOBAL__N_139chunk_gated_delta_rule_fwd_h_hip_kernelILi16ELb1ELb1ELb1ELb0ELb0ELb0ELb0ELb0EEEvPK12hip_bfloat16S3_S3_PKfS5_PKvPS1_S8_PvPKiSB_iiiiilll, .Lfunc_end761-_ZN12_GLOBAL__N_139chunk_gated_delta_rule_fwd_h_hip_kernelILi16ELb1ELb1ELb1ELb0ELb0ELb0ELb0ELb0EEEvPK12hip_bfloat16S3_S3_PKfS5_PKvPS1_S8_PvPKiSB_iiiiilll
                                        ; -- End function
	.section	.AMDGPU.csdata,"",@progbits
; Kernel info:
; codeLenInByte = 7940
; NumSgprs: 78
; NumVgprs: 112
; NumAgprs: 8
; TotalNumVgprs: 120
; ScratchSize: 0
; MemoryBound: 0
; FloatMode: 240
; IeeeMode: 1
; LDSByteSize: 40960 bytes/workgroup (compile time only)
; SGPRBlocks: 9
; VGPRBlocks: 14
; NumSGPRsForWavesPerEU: 78
; NumVGPRsForWavesPerEU: 120
; AccumOffset: 112
; Occupancy: 1
; WaveLimiterHint : 1
; COMPUTE_PGM_RSRC2:SCRATCH_EN: 0
; COMPUTE_PGM_RSRC2:USER_SGPR: 2
; COMPUTE_PGM_RSRC2:TRAP_HANDLER: 0
; COMPUTE_PGM_RSRC2:TGID_X_EN: 1
; COMPUTE_PGM_RSRC2:TGID_Y_EN: 1
; COMPUTE_PGM_RSRC2:TGID_Z_EN: 0
; COMPUTE_PGM_RSRC2:TIDIG_COMP_CNT: 0
; COMPUTE_PGM_RSRC3_GFX90A:ACCUM_OFFSET: 27
; COMPUTE_PGM_RSRC3_GFX90A:TG_SPLIT: 0
	.section	.text._ZN12_GLOBAL__N_139chunk_gated_delta_rule_fwd_h_hip_kernelILi16ELb1ELb1ELb0ELb0ELb0ELb0ELb0ELb0EEEvPK12hip_bfloat16S3_S3_PKfS5_PKvPS1_S8_PvPKiSB_iiiiilll,"axG",@progbits,_ZN12_GLOBAL__N_139chunk_gated_delta_rule_fwd_h_hip_kernelILi16ELb1ELb1ELb0ELb0ELb0ELb0ELb0ELb0EEEvPK12hip_bfloat16S3_S3_PKfS5_PKvPS1_S8_PvPKiSB_iiiiilll,comdat
	.globl	_ZN12_GLOBAL__N_139chunk_gated_delta_rule_fwd_h_hip_kernelILi16ELb1ELb1ELb0ELb0ELb0ELb0ELb0ELb0EEEvPK12hip_bfloat16S3_S3_PKfS5_PKvPS1_S8_PvPKiSB_iiiiilll ; -- Begin function _ZN12_GLOBAL__N_139chunk_gated_delta_rule_fwd_h_hip_kernelILi16ELb1ELb1ELb0ELb0ELb0ELb0ELb0ELb0EEEvPK12hip_bfloat16S3_S3_PKfS5_PKvPS1_S8_PvPKiSB_iiiiilll
	.p2align	8
	.type	_ZN12_GLOBAL__N_139chunk_gated_delta_rule_fwd_h_hip_kernelILi16ELb1ELb1ELb0ELb0ELb0ELb0ELb0ELb0EEEvPK12hip_bfloat16S3_S3_PKfS5_PKvPS1_S8_PvPKiSB_iiiiilll,@function
_ZN12_GLOBAL__N_139chunk_gated_delta_rule_fwd_h_hip_kernelILi16ELb1ELb1ELb0ELb0ELb0ELb0ELb0ELb0EEEvPK12hip_bfloat16S3_S3_PKfS5_PKvPS1_S8_PvPKiSB_iiiiilll: ; @_ZN12_GLOBAL__N_139chunk_gated_delta_rule_fwd_h_hip_kernelILi16ELb1ELb1ELb0ELb0ELb0ELb0ELb0ELb0EEEvPK12hip_bfloat16S3_S3_PKfS5_PKvPS1_S8_PvPKiSB_iiiiilll
; %bb.0:
	s_load_dwordx4 s[12:15], s[0:1], 0x5c
	s_load_dwordx4 s[20:23], s[0:1], 0x70
	s_abs_i32 s6, s3
	s_ashr_i32 s5, s3, 31
	s_load_dwordx4 s[16:19], s[0:1], 0x28
	s_waitcnt lgkmcnt(0)
	s_abs_i32 s4, s13
	v_cvt_f32_u32_e32 v1, s4
	s_sub_i32 s8, 0, s4
	s_ashr_i32 s7, s13, 31
	s_xor_b32 s5, s5, s7
	v_rcp_iflag_f32_e32 v1, v1
	v_and_b32_e32 v54, 15, v0
	v_bfe_u32 v53, v0, 4, 2
	v_mov_b32_e32 v45, 0
	v_mul_f32_e32 v1, 0x4f7ffffe, v1
	v_cvt_u32_f32_e32 v1, v1
	v_lshlrev_b32_e32 v55, 3, v0
	v_readfirstlane_b32 s9, v1
	s_mul_i32 s8, s8, s9
	s_mul_hi_u32 s8, s9, s8
	s_add_i32 s9, s9, s8
	s_mul_hi_u32 s8, s6, s9
	s_mul_i32 s9, s8, s4
	s_sub_i32 s6, s6, s9
	s_add_i32 s10, s8, 1
	s_sub_i32 s9, s6, s4
	s_cmp_ge_u32 s6, s4
	s_cselect_b32 s8, s10, s8
	s_cselect_b32 s6, s9, s6
	s_add_i32 s9, s8, 1
	s_cmp_ge_u32 s6, s4
	s_cselect_b32 s6, s9, s8
	s_xor_b32 s6, s6, s5
	s_add_i32 s8, s12, 63
	s_sub_i32 s53, s6, s5
	s_ashr_i32 s9, s8, 31
	s_mul_i32 s5, s53, s13
	s_sub_i32 s51, s3, s5
	s_lshr_b32 s3, s9, 26
	s_add_i32 s8, s8, s3
	s_abs_i32 s3, s14
	v_cvt_f32_u32_e32 v1, s3
	s_ashr_i32 s52, s12, 31
	s_lshr_b32 s6, s52, 26
	s_add_i32 s6, s12, s6
	v_rcp_iflag_f32_e32 v1, v1
	s_ashr_i32 s56, s14, 31
	s_ashr_i32 s24, s8, 6
	;; [unrolled: 1-line block ×3, first 2 shown]
	v_mul_f32_e32 v1, 0x4f7ffffe, v1
	v_cvt_u32_f32_e32 v1, v1
	s_xor_b32 s6, s7, s56
	s_sub_i32 s7, 0, s3
	s_lshl_b32 s2, s2, 4
	v_readfirstlane_b32 s8, v1
	s_mul_i32 s7, s7, s8
	s_mul_hi_u32 s7, s8, s7
	s_add_i32 s8, s8, s7
	s_mul_hi_u32 s7, s4, s8
	s_mul_i32 s8, s7, s3
	s_sub_i32 s4, s4, s8
	s_add_i32 s8, s7, 1
	s_sub_i32 s9, s4, s3
	s_cmp_ge_u32 s4, s3
	s_cselect_b32 s7, s8, s7
	s_cselect_b32 s4, s9, s4
	s_add_i32 s8, s7, 1
	s_cmp_ge_u32 s4, s3
	s_cselect_b32 s3, s8, s7
	s_xor_b32 s3, s3, s6
	s_sub_i32 s3, s3, s6
	s_abs_i32 s4, s3
	v_cvt_f32_u32_e32 v1, s4
	s_sub_i32 s7, 0, s4
	s_abs_i32 s6, s51
	s_xor_b32 s3, s51, s3
	v_rcp_iflag_f32_e32 v2, v1
	s_ashr_i32 s3, s3, 31
	v_lshrrev_b32_e32 v1, 6, v0
	v_or_b32_e32 v46, s2, v54
	v_mul_f32_e32 v2, 0x4f7ffffe, v2
	v_cvt_u32_f32_e32 v2, v2
	v_lshlrev_b32_e32 v52, 4, v1
	v_lshlrev_b32_e32 v42, 7, v46
	v_lshl_or_b32 v57, v53, 2, v52
	v_readfirstlane_b32 s8, v2
	s_mul_i32 s7, s7, s8
	s_mul_hi_u32 s7, s8, s7
	s_add_i32 s8, s8, s7
	s_mul_hi_u32 s7, s6, s8
	s_mul_i32 s8, s7, s4
	s_sub_i32 s6, s6, s8
	s_add_i32 s8, s7, 1
	s_sub_i32 s9, s6, s4
	s_cmp_ge_u32 s6, s4
	s_cselect_b32 s7, s8, s7
	s_cselect_b32 s6, s9, s6
	s_add_i32 s8, s7, 1
	s_cmp_ge_u32 s6, s4
	s_cselect_b32 s4, s8, s7
	s_xor_b32 s4, s4, s3
	s_sub_i32 s57, s4, s3
	s_ashr_i32 s3, s53, 31
	s_ashr_i32 s55, s51, 31
	s_mul_hi_i32 s4, s53, s13
	s_add_u32 s40, s5, s51
	s_addc_u32 s41, s4, s55
	s_lshl_b64 s[28:29], s[40:41], 16
	s_add_u32 s4, s16, s28
	s_addc_u32 s5, s17, s29
	v_ashrrev_i32_e32 v43, 31, v42
	v_lshl_add_u64 v[2:3], v[42:43], 2, s[4:5]
	v_lshlrev_b32_e32 v44, 2, v57
	v_lshl_add_u64 v[10:11], v[2:3], 0, v[44:45]
	global_load_dwordx4 v[2:5], v[10:11], off
	global_load_dwordx4 v[6:9], v[10:11], off offset:256
	s_load_dwordx2 s[30:31], s[0:1], 0x40
	s_load_dwordx8 s[4:11], s[0:1], 0x0
	s_load_dwordx2 s[34:35], s[0:1], 0x80
	v_and_b32_e32 v45, 63, v0
	v_lshrrev_b32_e32 v56, 3, v45
	v_or_b32_e32 v58, 64, v57
	s_mul_i32 s33, s53, s21
	s_mul_hi_u32 s46, s53, s20
	s_mul_i32 s38, s53, s20
	s_mul_i32 s58, s53, s24
	;; [unrolled: 1-line block ×3, first 2 shown]
	s_mul_hi_u32 s48, s51, s22
	s_mul_i32 s50, s3, s20
	s_mul_i32 s49, s55, s22
	s_mul_hi_u32 s59, s40, s12
	s_mul_i32 s16, s40, s12
	s_mul_i32 s41, s41, s12
	s_cmp_lt_i32 s12, 64
	s_mul_i32 s36, s51, s22
	s_waitcnt vmcnt(1)
	v_mov_b32_e32 v63, v5
	s_waitcnt vmcnt(0)
	v_mov_b32_e32 v60, v9
	s_cbranch_scc1 .LBB762_3
; %bb.1:
	s_add_i32 s17, s59, s41
	s_lshl_b64 s[0:1], s[16:17], 8
	v_and_b32_e32 v61, 56, v55
	s_waitcnt lgkmcnt(0)
	s_add_u32 s20, s6, s0
	v_lshl_or_b32 v59, v1, 3, v56
	v_lshlrev_b32_e32 v5, 1, v61
	s_addc_u32 s0, s7, s1
	v_lshl_or_b32 v62, v59, 8, v5
	s_and_b32 s21, s0, 0xffff
	s_mov_b32 s23, 0x20000
	s_movk_i32 s22, 0x4000
	s_movk_i32 s0, 0x80
	v_or_b32_e32 v64, 0x2000, v62
	buffer_load_dwordx4 v[10:13], v62, s[20:23], 0 offen
	buffer_load_dwordx4 v[14:17], v62, s[20:23], s0 offen
	;; [unrolled: 1-line block ×4, first 2 shown]
	v_lshlrev_b32_e32 v9, 3, v59
	v_and_or_b32 v27, v0, 7, v9
	v_and_b32_e32 v9, 0x78, v9
	v_lshlrev_b32_e32 v27, 4, v27
	v_xor_b32_e32 v65, v27, v9
	v_mul_lo_u32 v26, v59, s15
	v_or_b32_e32 v66, 0x1000, v65
	v_xor_b32_e32 v9, 8, v65
	s_cmpk_eq_i32 s15, 0x80
	s_mov_b32 s60, s14
	v_xor_b32_e32 v27, 8, v66
	s_cselect_b64 s[0:1], -1, 0
	s_cmpk_lg_i32 s15, 0x80
	s_waitcnt vmcnt(3)
	ds_write_b64 v65, v[10:11] offset:16384
	ds_write_b64 v9, v[12:13] offset:16384
	s_waitcnt vmcnt(2)
	ds_write_b64 v65, v[14:15] offset:24576
	ds_write_b64 v9, v[16:17] offset:24576
	;; [unrolled: 3-line block ×4, first 2 shown]
	v_lshl_add_u32 v9, v26, 1, v61
	s_cbranch_scc0 .LBB762_29
; %bb.2:
	v_lshlrev_b32_e32 v11, 1, v9
	v_add_lshl_u32 v10, v9, s15, 1
	s_lshl_b32 s22, s15, 7
	v_lshl_or_b32 v5, v59, 9, v5
	s_cbranch_execz .LBB762_30
	s_branch .LBB762_31
.LBB762_3:
	v_mov_b32_e32 v9, v60
	v_mov_b32_e32 v5, v63
.LBB762_4:
	s_lshl_b32 s26, s54, 6
	s_sub_i32 s27, s12, s26
	s_cmp_gt_i32 s27, 0
	s_cbranch_scc0 .LBB762_76
; %bb.5:
	s_ashr_i32 s3, s26, 31
	s_cmpk_lg_i32 s15, 0x80
	s_cselect_b64 s[22:23], -1, 0
	s_and_b64 vcc, exec, s[22:23]
	s_cbranch_vccz .LBB762_7
; %bb.6:
	s_mul_i32 s1, s53, s12
	s_mul_hi_i32 s0, s53, s12
	s_add_u32 s1, s1, s26
	s_addc_u32 s0, s0, s3
	s_mul_i32 s17, s1, s56
	s_mul_hi_u32 s20, s1, s14
	s_add_i32 s17, s20, s17
	s_mul_i32 s0, s0, s14
	s_add_i32 s17, s17, s0
	s_mul_i32 s1, s1, s14
	s_ashr_i32 s0, s57, 31
	s_add_u32 s24, s1, s57
	s_addc_u32 s25, s17, s0
	s_cbranch_execz .LBB762_8
	s_branch .LBB762_9
.LBB762_7:
                                        ; implicit-def: $sgpr24_sgpr25
.LBB762_8:
	s_mul_hi_i32 s0, s53, s14
	s_mul_i32 s53, s53, s14
	s_ashr_i32 s1, s57, 31
	s_add_u32 s14, s53, s57
	s_addc_u32 s0, s0, s1
	s_mul_i32 s1, s14, s52
	s_mul_hi_u32 s17, s14, s12
	s_add_i32 s1, s17, s1
	s_mul_i32 s0, s0, s12
	s_add_i32 s1, s1, s0
	s_mul_i32 s14, s14, s12
	s_add_u32 s24, s14, s26
	s_addc_u32 s25, s1, s3
.LBB762_9:
	s_mul_i32 s0, s40, s52
	s_add_i32 s0, s59, s0
	s_add_i32 s14, s58, s54
	;; [unrolled: 1-line block ×3, first 2 shown]
	s_add_u32 s0, s16, s26
	s_addc_u32 s1, s1, s3
	s_mov_b32 s3, 0x7060302
	v_lshlrev_b32_e32 v14, 3, v54
	s_lshl_b64 s[20:21], s[0:1], 8
	v_perm_b32 v11, v5, v4, s3
	v_perm_b32 v10, v3, v2, s3
	;; [unrolled: 1-line block ×4, first 2 shown]
	v_lshlrev_b32_e32 v48, 2, v54
	v_lshl_or_b32 v14, v57, 5, v14
	s_waitcnt lgkmcnt(0)
	s_add_u32 s0, s6, s20
	ds_write2st64_b64 v14, v[10:11], v[12:13] offset0:72 offset1:76
	v_xor_b32_e32 v14, v57, v48
	v_lshlrev_b32_e32 v15, 8, v54
	s_addc_u32 s1, s7, s21
	v_lshl_or_b32 v14, v14, 1, v15
	s_mul_hi_i32 s3, s14, s13
	s_mul_i32 s14, s14, s13
	ds_write_b64 v14, v[10:11] offset:32768
	v_xor_b32_e32 v10, v58, v48
	s_add_u32 s6, s14, s51
	v_lshl_or_b32 v10, v10, 1, v15
	s_addc_u32 s7, s3, s55
	v_lshlrev_b32_e32 v11, 1, v54
	ds_write_b64 v10, v[12:13] offset:32768
	v_lshrrev_b32_e32 v10, 4, v0
	s_ashr_i32 s3, s2, 31
	s_lshl_b64 s[6:7], s[6:7], 15
	v_or_b32_e32 v12, 1, v11
	s_add_u32 s6, s18, s6
	v_xor_b32_e32 v11, v10, v11
	v_xor_b32_e32 v12, v12, v10
	v_lshlrev_b32_e32 v14, 8, v10
	s_addc_u32 s7, s19, s7
	s_lshl_b64 s[2:3], s[2:3], 8
	v_lshl_or_b32 v10, v11, 3, v14
	v_lshl_or_b32 v12, v12, 3, v14
	s_waitcnt lgkmcnt(0)
	s_barrier
	s_add_u32 s2, s6, s2
	ds_read_b64 v[10:11], v10 offset:32768
	ds_read_b64 v[12:13], v12 offset:32768
	s_addc_u32 s3, s7, s3
	v_mov_b32_e32 v15, 0
	s_cmp_lg_u32 s27, 64
	v_lshl_add_u64 v[16:17], s[2:3], 0, v[14:15]
	v_lshlrev_b32_e32 v14, 4, v54
	s_cselect_b64 s[6:7], -1, 0
	v_lshl_or_b32 v47, v1, 3, v56
	s_mov_b32 s16, 0
	v_lshl_add_u64 v[14:15], v[16:17], 0, v[14:15]
	s_waitcnt vmcnt(1)
	v_or_b32_e32 v27, 32, v47
	v_and_b32_e32 v26, 56, v55
	s_and_b64 vcc, exec, s[6:7]
	s_waitcnt lgkmcnt(0)
	global_store_dwordx4 v[14:15], v[10:13], off
	s_cbranch_vccz .LBB762_15
; %bb.10:
	s_mov_b32 s17, s16
	s_mov_b32 s18, s16
	s_mov_b32 s19, s16
	v_mov_b64_e32 v[14:15], s[16:17]
	v_mov_b64_e32 v[16:17], s[18:19]
	;; [unrolled: 1-line block ×3, first 2 shown]
	v_cmp_gt_i32_e32 vcc, s27, v47
	v_mov_b64_e32 v[12:13], v[16:17]
	s_and_saveexec_b64 s[2:3], vcc
	s_cbranch_execz .LBB762_12
; %bb.11:
	v_lshlrev_b32_e32 v10, 8, v47
	v_mov_b32_e32 v11, 0
	v_lshl_add_u64 v[12:13], s[0:1], 0, v[10:11]
	v_lshlrev_b32_e32 v10, 1, v26
	v_lshl_add_u64 v[18:19], v[12:13], 0, v[10:11]
	global_load_dwordx4 v[14:17], v[18:19], off
	global_load_dwordx4 v[10:13], v[18:19], off offset:128
.LBB762_12:
	s_or_b64 exec, exec, s[2:3]
	s_mov_b32 s18, s16
	s_mov_b32 s19, s16
	;; [unrolled: 1-line block ×3, first 2 shown]
	v_mov_b64_e32 v[24:25], s[18:19]
	v_mov_b64_e32 v[22:23], s[16:17]
	v_mov_b64_e32 v[18:19], v[22:23]
	v_cmp_gt_i32_e32 vcc, s27, v27
	v_lshlrev_b32_e32 v28, 7, v27
	v_mov_b64_e32 v[20:21], v[24:25]
	s_and_saveexec_b64 s[2:3], vcc
	s_cbranch_execz .LBB762_14
; %bb.13:
	v_lshlrev_b32_e32 v18, 1, v28
	v_mov_b32_e32 v19, 0
	v_lshl_add_u64 v[20:21], s[0:1], 0, v[18:19]
	v_lshlrev_b32_e32 v18, 1, v26
	v_lshl_add_u64 v[30:31], v[20:21], 0, v[18:19]
	global_load_dwordx4 v[22:25], v[30:31], off
	global_load_dwordx4 v[18:21], v[30:31], off offset:128
.LBB762_14:
	s_or_b64 exec, exec, s[2:3]
	v_lshrrev_b32_e32 v29, 3, v26
	v_lshlrev_b32_e32 v30, 3, v47
	v_or_b32_e32 v29, v30, v29
	v_lshlrev_b32_e32 v29, 4, v29
	v_and_b32_e32 v30, 0x78, v30
	v_xor_b32_e32 v29, v29, v30
	s_branch .LBB762_17
.LBB762_15:
                                        ; implicit-def: $vgpr29
                                        ; implicit-def: $vgpr28
                                        ; implicit-def: $vgpr14_vgpr15_vgpr16_vgpr17
                                        ; implicit-def: $vgpr10_vgpr11_vgpr12_vgpr13
                                        ; implicit-def: $vgpr22_vgpr23_vgpr24_vgpr25
                                        ; implicit-def: $vgpr18_vgpr19_vgpr20_vgpr21
	s_cbranch_execz .LBB762_17
; %bb.16:
	s_waitcnt vmcnt(0)
	v_lshlrev_b32_e32 v10, 1, v26
	v_lshl_or_b32 v28, v47, 8, v10
	s_and_b32 s1, s1, 0xffff
	s_mov_b32 s3, 0x20000
	s_movk_i32 s2, 0x4000
	v_lshl_or_b32 v29, v27, 8, v10
	s_movk_i32 s13, 0x80
	buffer_load_dwordx4 v[14:17], v28, s[0:3], 0 offen
	buffer_load_dwordx4 v[10:13], v28, s[0:3], s13 offen
	;; [unrolled: 1-line block ×4, first 2 shown]
	v_lshrrev_b32_e32 v28, 3, v26
	v_lshlrev_b32_e32 v29, 3, v47
	v_or_b32_e32 v28, v29, v28
	v_lshlrev_b32_e32 v28, 4, v28
	v_and_b32_e32 v29, 0x78, v29
	v_xor_b32_e32 v29, v28, v29
	v_lshlrev_b32_e32 v28, 7, v27
.LBB762_17:
	s_lshl_b64 s[0:1], s[24:25], 8
	s_add_u32 s4, s4, s0
	s_movk_i32 s0, 0x1000
	v_and_or_b32 v27, v28, s0, v29
	s_waitcnt vmcnt(1)
	ds_write_b64 v29, v[14:15] offset:16384
	v_xor_b32_e32 v14, 8, v29
	ds_write_b64 v14, v[16:17] offset:16384
	s_waitcnt vmcnt(0)
	ds_write_b64 v29, v[10:11] offset:24576
	ds_write_b64 v14, v[12:13] offset:24576
	;; [unrolled: 1-line block ×3, first 2 shown]
	v_xor_b32_e32 v10, 8, v27
	ds_write_b64 v10, v[24:25] offset:16384
	ds_write_b64 v27, v[18:19] offset:24576
	;; [unrolled: 1-line block ×3, first 2 shown]
	v_or_b32_e32 v10, v52, v54
	s_addc_u32 s5, s5, s1
	s_add_i32 s0, s12, -1
	v_lshlrev_b32_e32 v10, 3, v10
	v_lshrrev_b32_e32 v12, 5, v45
	s_movk_i32 s12, 0xf8
	v_and_or_b32 v12, v10, s12, v12
	v_lshlrev_b32_e32 v49, 11, v1
	v_lshlrev_b32_e32 v20, 4, v12
	v_and_b32_e32 v21, 0x78, v10
	v_and_b32_e32 v22, 0x1000, v49
	v_lshlrev_b32_e32 v11, 2, v0
	v_xor_b32_e32 v10, v20, v21
	v_lshrrev_b32_e32 v12, 1, v45
	v_and_b32_e32 v11, 60, v11
	v_or_b32_e32 v10, v10, v22
	v_and_b32_e32 v23, 8, v12
	v_xor_b32_e32 v34, v10, v23
	v_lshl_or_b32 v10, v53, 6, v11
	v_lshlrev_b32_e32 v50, 1, v10
	v_or_b32_e32 v10, 32, v20
	v_xor_b32_e32 v10, v10, v21
	s_waitcnt lgkmcnt(0)
	s_barrier
	ds_read_b64 v[18:19], v34 offset:16384
	v_or_b32_e32 v10, v10, v22
	v_xor_b32_e32 v35, v10, v23
	v_or_b32_e32 v10, 64, v20
	v_xor_b32_e32 v10, v10, v21
	v_or_b32_e32 v10, v10, v22
	v_or_b32_e32 v20, 0x60, v20
	v_xor_b32_e32 v36, v10, v23
	ds_read2st64_b64 v[10:13], v50 offset0:72 offset1:73
	ds_read2st64_b64 v[14:17], v50 offset0:74 offset1:75
	v_xor_b32_e32 v24, v20, v21
	ds_read_b64 v[20:21], v35 offset:16384
	s_add_i32 s1, s46, s33
	s_waitcnt lgkmcnt(2)
	v_mfma_f32_16x16x16_bf16 a[0:3], v[18:19], v[10:11], 0
	s_add_i32 s39, s1, s50
	s_add_i32 s1, s48, s47
	;; [unrolled: 1-line block ×3, first 2 shown]
	s_ashr_i32 s1, s0, 31
	s_mul_i32 s2, s0, s35
	s_mul_hi_u32 s3, s0, s34
	s_add_i32 s2, s3, s2
	s_mul_i32 s1, s1, s34
	v_or_b32_e32 v22, v24, v22
	s_add_i32 s1, s2, s1
	s_lshl_b64 s[2:3], s[38:39], 2
	v_xor_b32_e32 v51, v22, v23
	ds_read_b64 v[22:23], v36 offset:16384
	ds_read_b64 v[24:25], v51 offset:16384
	s_waitcnt lgkmcnt(2)
	v_mfma_f32_16x16x16_bf16 a[0:3], v[20:21], v[12:13], a[0:3]
	s_add_u32 s10, s10, s2
	s_addc_u32 s11, s11, s3
	s_lshl_b64 s[2:3], s[36:37], 2
	s_mul_i32 s0, s0, s34
	s_add_u32 s10, s10, s2
	s_addc_u32 s11, s11, s3
	s_lshl_b64 s[0:1], s[0:1], 2
	s_waitcnt lgkmcnt(1)
	v_mfma_f32_16x16x16_bf16 a[0:3], v[22:23], v[14:15], a[0:3]
	s_add_u32 s0, s10, s0
	s_addc_u32 s1, s11, s1
	s_load_dword s12, s[0:1], 0x0
	s_waitcnt lgkmcnt(0)
	v_mfma_f32_16x16x16_bf16 a[0:3], v[24:25], v[16:17], a[0:3]
	s_and_b64 vcc, exec, s[22:23]
	s_cbranch_vccz .LBB762_28
; %bb.18:
	v_lshlrev_b32_e32 v27, 1, v47
	s_and_b64 vcc, exec, s[6:7]
	s_cbranch_vccz .LBB762_44
; %bb.19:
	v_cmp_gt_i32_e32 vcc, s27, v27
	v_mov_b32_e32 v14, 0
	v_mov_b32_e32 v10, 0
	;; [unrolled: 1-line block ×5, first 2 shown]
	s_and_saveexec_b64 s[0:1], vcc
	s_cbranch_execz .LBB762_21
; %bb.20:
	v_mad_i64_i32 v[10:11], s[2:3], s15, v27, 0
	v_lshl_add_u64 v[10:11], v[10:11], 1, s[4:5]
	v_lshlrev_b32_e32 v12, 1, v26
	v_mov_b32_e32 v13, 0
	v_lshl_add_u64 v[10:11], v[10:11], 0, v[12:13]
	global_load_dwordx4 v[10:13], v[10:11], off
.LBB762_21:
	s_or_b64 exec, exec, s[0:1]
	v_or_b32_e32 v28, 1, v27
	v_cmp_gt_i32_e64 s[0:1], s27, v28
	v_mov_b32_e32 v15, 0
	v_mov_b32_e32 v16, 0
	;; [unrolled: 1-line block ×3, first 2 shown]
	s_and_saveexec_b64 s[2:3], s[0:1]
	s_cbranch_execz .LBB762_23
; %bb.22:
	v_mad_i64_i32 v[14:15], s[16:17], s15, v28, 0
	v_lshl_add_u64 v[14:15], v[14:15], 1, s[4:5]
	v_lshlrev_b32_e32 v16, 1, v26
	v_mov_b32_e32 v17, 0
	v_lshl_add_u64 v[14:15], v[14:15], 0, v[16:17]
	global_load_dwordx4 v[14:17], v[14:15], off
.LBB762_23:
	s_or_b64 exec, exec, s[2:3]
	v_mov_b32_e32 v25, 0
	v_mov_b32_e32 v18, 0
	;; [unrolled: 1-line block ×5, first 2 shown]
	s_and_saveexec_b64 s[2:3], vcc
	s_cbranch_execz .LBB762_25
; %bb.24:
	v_mad_i64_i32 v[18:19], s[16:17], s15, v27, 0
	v_lshl_add_u64 v[18:19], v[18:19], 1, s[4:5]
	v_lshlrev_b32_e32 v20, 1, v26
	v_mov_b32_e32 v21, 0
	v_lshl_add_u64 v[18:19], v[18:19], 0, v[20:21]
	global_load_dwordx4 v[18:21], v[18:19], off offset:128
.LBB762_25:
	s_or_b64 exec, exec, s[2:3]
	v_mov_b32_e32 v24, 0
	v_mov_b32_e32 v23, 0
	;; [unrolled: 1-line block ×3, first 2 shown]
	s_and_saveexec_b64 s[2:3], s[0:1]
	s_cbranch_execz .LBB762_27
; %bb.26:
	v_mad_i64_i32 v[22:23], s[0:1], s15, v28, 0
	v_lshl_add_u64 v[22:23], v[22:23], 1, s[4:5]
	v_lshlrev_b32_e32 v24, 1, v26
	v_mov_b32_e32 v25, 0
	v_lshl_add_u64 v[22:23], v[22:23], 0, v[24:25]
	global_load_dwordx4 v[22:25], v[22:23], off offset:128
.LBB762_27:
	s_or_b64 exec, exec, s[2:3]
	s_branch .LBB762_46
.LBB762_28:
                                        ; implicit-def: $vgpr13
                                        ; implicit-def: $vgpr17
                                        ; implicit-def: $vgpr21
                                        ; implicit-def: $vgpr25
	v_lshrrev_b32_e32 v45, 2, v45
	s_branch .LBB762_47
.LBB762_29:
                                        ; implicit-def: $vgpr10
                                        ; implicit-def: $vgpr11
                                        ; implicit-def: $sgpr22
	v_lshl_or_b32 v5, v59, 9, v5
.LBB762_30:
	v_or_b32_e32 v10, 0x100, v5
	s_movk_i32 s22, 0x4000
	v_mov_b32_e32 v11, v5
.LBB762_31:
	s_mul_hi_u32 s20, s14, s12
	s_mul_i32 s21, s56, s12
	s_add_i32 s20, s20, s21
	s_mul_i32 s21, s14, s12
	s_mul_i32 s23, s21, s3
	s_mul_hi_u32 s24, s21, s53
	s_add_i32 s23, s24, s23
	s_mul_i32 s20, s20, s53
	s_add_i32 s23, s23, s20
	s_mul_i32 s21, s21, s53
	s_ashr_i32 s61, s57, 31
	s_add_u32 s20, s21, s57
	s_addc_u32 s21, s23, s61
	s_lshl_b64 s[20:21], s[20:21], 8
	s_add_u32 s20, s4, s20
	s_addc_u32 s21, s5, s21
	s_and_b32 s21, s21, 0xffff
	s_mov_b32 s23, 0x20000
	s_movk_i32 s62, 0x80
	buffer_load_dwordx4 v[12:15], v11, s[20:23], 0 offen
	buffer_load_dwordx4 v[16:19], v11, s[20:23], s62 offen
	;; [unrolled: 1-line block ×4, first 2 shown]
	v_and_b32_e32 v10, 6, v0
	v_lshlrev_b32_e32 v28, 2, v54
	v_lshlrev_b32_e32 v29, 3, v54
	v_xor_b32_e32 v31, v59, v10
	v_and_b32_e32 v11, 1, v0
	s_mul_i32 s3, s3, s12
	s_mul_hi_u32 s20, s53, s12
	v_lshl_or_b32 v29, v57, 5, v29
	v_xor_b32_e32 v32, v57, v28
	v_lshlrev_b32_e32 v31, 2, v31
	v_or_b32_e32 v67, 0x9000, v29
	v_or_b32_e32 v68, 0x9800, v29
	v_lshlrev_b32_e32 v29, 1, v32
	v_xor_b32_e32 v32, 0x440, v31
	v_cmp_eq_u32_e32 vcc, 0, v11
	s_add_i32 s67, s20, s3
	s_add_i32 s3, s46, s33
	v_cndmask_b32_e32 v11, v32, v31, vcc
	s_add_i32 s20, s48, s47
	s_add_i32 s39, s3, s50
	s_mov_b32 s64, 0x1000504
	v_lshlrev_b32_e32 v30, 8, v54
	s_mov_b32 s22, 0x8000
	v_xor_b32_e32 v28, v58, v28
	v_lshl_or_b32 v10, v10, 10, v11
	s_add_i32 s37, s20, s49
	s_lshl_b64 s[20:21], s[38:39], 2
	s_mov_b32 s65, 0x3020706
	v_lshlrev_b32_e32 v28, 1, v28
	v_or3_b32 v69, v29, v30, s22
	v_xor_b32_e32 v11, 8, v10
	v_xor_b32_e32 v29, 24, v10
	;; [unrolled: 1-line block ×4, first 2 shown]
	s_add_u32 s3, s10, s20
	v_or3_b32 v70, v28, v30, s22
	v_xor_b32_e32 v28, 16, v10
	v_xor_b32_e32 v30, 32, v10
	;; [unrolled: 1-line block ×3, first 2 shown]
	v_add_u32_e32 v11, 0x80, v11
	v_add_u32_e32 v29, 0x80, v29
	v_add_u32_e32 v31, 0x80, v31
	v_add_u32_e32 v33, 0x80, v33
	s_addc_u32 s24, s11, s21
	s_lshl_b64 s[20:21], s[36:37], 2
	s_add_u32 s42, s3, s20
	s_movk_i32 s3, 0xf8
	s_addc_u32 s43, s24, s21
	v_ashrrev_i32_e32 v47, 31, v46
	s_lshl_b32 s26, s15, 7
	s_mov_b32 s63, 0
	s_mul_i32 s66, s53, s12
	v_mov_b32_e32 v84, 0x3fb8aa3b
	s_mov_b32 s39, 0
	s_waitcnt vmcnt(1)
	v_perm_b32 v34, v12, v20, s64
	s_waitcnt vmcnt(0)
	v_perm_b32 v35, v16, v24, s64
	v_perm_b32 v12, v12, v20, s65
	;; [unrolled: 1-line block ×15, first 2 shown]
	ds_write2st64_b32 v10, v34, v35 offset1:32
	ds_write2st64_b32 v11, v12, v16 offset1:32
	ds_write2st64_b32 v28, v20, v24 offset0:1 offset1:33
	ds_write2st64_b32 v29, v13, v17 offset0:1 offset1:33
	;; [unrolled: 1-line block ×6, first 2 shown]
	v_or_b32_e32 v10, v52, v54
	v_lshlrev_b32_e32 v10, 3, v10
	v_lshrrev_b32_e32 v12, 5, v45
	v_and_or_b32 v12, v10, s3, v12
	v_lshlrev_b32_e32 v12, 4, v12
	v_lshlrev_b32_e32 v16, 11, v1
	v_and_b32_e32 v10, 0x78, v10
	v_or_b32_e32 v15, 32, v12
	v_and_b32_e32 v11, 0x1000, v16
	v_xor_b32_e32 v13, v12, v10
	v_lshrrev_b32_e32 v17, 1, v0
	v_xor_b32_e32 v15, v15, v10
	v_or_b32_e32 v13, v13, v11
	v_and_b32_e32 v14, 8, v17
	v_or_b32_e32 v15, v15, v11
	v_xor_b32_e32 v71, v13, v14
	v_and_b32_e32 v13, 0x78, v55
	v_xor_b32_e32 v73, v15, v14
	v_or_b32_e32 v15, 64, v12
	v_or_b32_e32 v12, 0x60, v12
	v_lshl_or_b32 v13, v53, 7, v13
	v_xor_b32_e32 v15, v15, v10
	v_xor_b32_e32 v10, v12, v10
	v_or_b32_e32 v72, 0x9000, v13
	v_or_b32_e32 v15, v15, v11
	;; [unrolled: 1-line block ×4, first 2 shown]
	v_lshrrev_b32_e32 v12, 4, v0
	v_lshlrev_b32_e32 v13, 1, v54
	v_xor_b32_e32 v74, v15, v14
	v_xor_b32_e32 v75, v10, v14
	s_ashr_i32 s3, s2, 31
	v_or_b32_e32 v14, 1, v13
	v_xor_b32_e32 v13, v12, v13
	s_lshl_b64 s[20:21], s[2:3], 8
	v_xor_b32_e32 v14, v14, v12
	v_lshlrev_b32_e32 v13, 3, v13
	v_lshlrev_b32_e32 v12, 8, v12
	v_lshl_add_u64 v[10:11], v[46:47], 1, s[8:9]
	s_add_u32 s20, s18, s20
	v_or3_b32 v47, v13, v12, s22
	v_lshlrev_b32_e32 v13, 3, v14
	s_addc_u32 s21, s19, s21
	v_or3_b32 v77, v13, v12, s22
	v_mov_b32_e32 v13, 0
	v_lshl_add_u64 v[14:15], s[20:21], 0, v[12:13]
	v_lshlrev_b32_e32 v12, 4, v54
	s_movk_i32 s3, 0xff
	v_lshlrev_b32_e32 v21, 3, v1
	v_and_b32_e32 v17, 24, v17
	v_lshl_add_u64 v[48:49], v[14:15], 0, v[12:13]
	v_and_b32_e32 v14, 8, v0
	v_cmp_lt_u32_e32 vcc, s3, v0
	v_xor_b32_e32 v22, v21, v17
	v_or_b32_e32 v23, 0x440, v22
	v_cndmask_b32_e64 v20, 0, 1, vcc
	v_cmp_eq_u32_e32 vcc, 0, v14
	v_and_b32_e32 v12, 7, v0
	v_lshlrev_b32_e32 v15, 3, v12
	v_cndmask_b32_e32 v14, v23, v22, vcc
	v_lshlrev_b32_e32 v12, 7, v12
	v_or_b32_e32 v14, v14, v16
	v_xad_u32 v78, v14, v15, v12
	v_or_b32_e32 v14, 32, v17
	v_xor_b32_e32 v14, v21, v14
	v_or_b32_e32 v22, 0x440, v14
	v_cndmask_b32_e32 v14, v22, v14, vcc
	v_or_b32_e32 v14, v14, v16
	v_xad_u32 v79, v14, v15, v12
	v_or_b32_e32 v14, 64, v17
	v_xor_b32_e32 v14, v21, v14
	v_xor_b32_e32 v22, 0x440, v14
	v_cndmask_b32_e32 v14, v22, v14, vcc
	v_or_b32_e32 v14, v14, v16
	v_xad_u32 v80, v14, v15, v12
	v_or_b32_e32 v14, 0x60, v17
	v_xor_b32_e32 v14, v21, v14
	v_xor_b32_e32 v17, 0x440, v14
	v_cndmask_b32_e32 v14, v17, v14, vcc
	v_or_b32_e32 v14, v14, v16
	v_lshlrev_b32_e32 v18, 1, v9
	v_add_lshl_u32 v9, v9, s15, 1
	v_or_b32_e32 v19, 0x100, v5
	v_lshlrev_b32_e32 v20, 13, v20
	v_xad_u32 v81, v14, v15, v12
	v_lshlrev_b32_e32 v12, 8, v57
	v_cndmask_b32_e64 v82, v18, v5, s[0:1]
	v_cndmask_b32_e64 v83, v9, v19, s[0:1]
	v_lshl_add_u64 v[50:51], v[10:11], 0, v[12:13]
	s_mov_b32 s3, 0x7060302
	s_movk_i32 s22, 0x4000
	v_add_u32_e32 v85, v20, v78
	v_add_u32_e32 v86, v20, v79
	;; [unrolled: 1-line block ×4, first 2 shown]
	s_waitcnt lgkmcnt(0)
	s_barrier
.LBB762_32:                             ; =>This Inner Loop Header: Depth=1
	s_add_i32 s37, s39, 1
	s_cmp_lt_i32 s37, s54
	s_mov_b64 s[24:25], 0
	s_cselect_b64 s[44:45], -1, 0
	s_cmp_ge_i32 s37, s54
	s_mov_b64 s[20:21], 0
	s_cbranch_scc1 .LBB762_34
; %bb.33:                               ;   in Loop: Header=BB762_32 Depth=1
	s_add_i32 s0, s63, 64
	s_add_u32 s0, s16, s0
	s_addc_u32 s1, s17, 0
	s_lshl_b64 s[0:1], s[0:1], 8
	s_add_u32 s20, s6, s0
	s_addc_u32 s21, s7, s1
.LBB762_34:                             ;   in Loop: Header=BB762_32 Depth=1
	v_cndmask_b32_e64 v5, 0, 1, s[44:45]
	v_cmp_ne_u32_e64 s[0:1], 1, v5
	s_andn2_b64 vcc, exec, s[44:45]
	s_cbranch_vccnz .LBB762_36
; %bb.35:                               ;   in Loop: Header=BB762_32 Depth=1
	s_add_i32 s24, s63, 64
	s_add_u32 s24, s66, s24
	s_addc_u32 s25, s67, 0
	s_mul_i32 s27, s24, s56
	s_mul_hi_u32 s44, s24, s60
	s_add_i32 s27, s44, s27
	s_mul_i32 s25, s25, s60
	s_add_i32 s27, s27, s25
	s_mul_i32 s24, s24, s60
	s_add_u32 s24, s24, s57
	s_addc_u32 s25, s27, s61
	s_lshl_b64 s[24:25], s[24:25], 8
	s_add_u32 s24, s4, s24
	s_addc_u32 s25, s5, s25
.LBB762_36:                             ;   in Loop: Header=BB762_32 Depth=1
	v_perm_b32 v11, v63, v4, s3
	v_perm_b32 v10, v3, v2, s3
	;; [unrolled: 1-line block ×4, first 2 shown]
	ds_write_b64 v67, v[10:11]
	ds_write_b64 v68, v[12:13]
	;; [unrolled: 1-line block ×4, first 2 shown]
	s_waitcnt lgkmcnt(0)
	s_barrier
	ds_read_b64 v[18:19], v71 offset:16384
	ds_read_b64 v[20:21], v73 offset:16384
	ds_read2st64_b64 v[10:13], v72 offset1:1
	ds_read2st64_b64 v[14:17], v72 offset0:2 offset1:3
	ds_read_b64 v[22:23], v74 offset:16384
	s_waitcnt lgkmcnt(2)
	v_mfma_f32_16x16x16_bf16 a[0:3], v[18:19], v[10:11], 0
	ds_read_b64 v[10:11], v75 offset:16384
	s_add_i32 s27, s63, 63
	s_mul_i32 s44, s27, s35
	v_mfma_f32_16x16x16_bf16 a[0:3], v[20:21], v[12:13], a[0:3]
	s_mul_hi_u32 s45, s27, s34
	s_add_i32 s45, s45, s44
	s_mul_i32 s44, s27, s34
	s_waitcnt lgkmcnt(1)
	v_mfma_f32_16x16x16_bf16 a[0:3], v[22:23], v[14:15], a[0:3]
	s_lshl_b64 s[44:45], s[44:45], 2
	s_add_u32 s44, s42, s44
	s_addc_u32 s45, s43, s45
	s_waitcnt lgkmcnt(0)
	v_mfma_f32_16x16x16_bf16 a[0:3], v[10:11], v[16:17], a[0:3]
	s_and_b64 vcc, exec, s[0:1]
	v_mov_b32_e32 v89, 0
	v_mov_b32_e32 v9, 0
	;; [unrolled: 1-line block ×19, first 2 shown]
	s_cbranch_vccnz .LBB762_38
; %bb.37:                               ;   in Loop: Header=BB762_32 Depth=1
	s_and_b32 s21, s21, 0xffff
	buffer_load_dwordx4 v[22:25], v62, s[20:23], 0 offen
	buffer_load_dwordx4 v[18:21], v62, s[20:23], s62 offen
	;; [unrolled: 1-line block ×4, first 2 shown]
	v_mov_b32_e32 v9, v65
	v_mov_b32_e32 v5, v66
.LBB762_38:                             ;   in Loop: Header=BB762_32 Depth=1
	s_waitcnt vmcnt(3)
	v_add_u32_e32 v32, s63, v57
	s_waitcnt vmcnt(1)
	v_ashrrev_i32_e32 v26, 31, v32
	v_mul_lo_u32 v28, v26, s34
	v_mul_lo_u32 v29, v32, s35
	v_mad_u64_u32 v[26:27], s[20:21], v32, s34, 0
	v_add3_u32 v27, v27, v29, v28
	v_add_u32_e32 v28, 1, v32
	v_ashrrev_i32_e32 v29, 31, v28
	v_mul_lo_u32 v30, v29, s34
	v_mul_lo_u32 v31, v28, s35
	v_mad_u64_u32 v[28:29], s[20:21], v28, s34, 0
	v_add3_u32 v29, v29, v31, v30
	v_add_u32_e32 v30, 2, v32
	v_ashrrev_i32_e32 v31, 31, v30
	v_mul_lo_u32 v33, v31, s34
	v_mul_lo_u32 v34, v30, s35
	v_mad_u64_u32 v[30:31], s[20:21], v30, s34, 0
	v_add_u32_e32 v32, 3, v32
	v_add3_u32 v31, v31, v34, v33
	v_ashrrev_i32_e32 v33, 31, v32
	v_mul_lo_u32 v36, v33, s34
	v_mul_lo_u32 v37, v32, s35
	v_mad_u64_u32 v[32:33], s[20:21], v32, s34, 0
	s_add_u32 s20, s16, s63
	s_addc_u32 s21, s17, 0
	s_lshl_b64 s[20:21], s[20:21], 8
	v_lshl_add_u64 v[26:27], v[26:27], 2, s[42:43]
	v_lshl_add_u64 v[34:35], v[50:51], 0, s[20:21]
	;; [unrolled: 1-line block ×3, first 2 shown]
	global_load_ushort v91, v[34:35], off
	global_load_ushort v96, v[34:35], off offset:256
	global_load_ushort v97, v[34:35], off offset:512
	;; [unrolled: 1-line block ×3, first 2 shown]
	v_add3_u32 v33, v33, v37, v36
	global_load_dword v99, v[26:27], off
	v_lshl_add_u64 v[30:31], v[30:31], 2, s[42:43]
	v_lshl_add_u64 v[26:27], v[32:33], 2, s[42:43]
	global_load_dword v100, v[28:29], off
	global_load_dword v101, v[30:31], off
	;; [unrolled: 1-line block ×3, first 2 shown]
	s_load_dword s20, s[44:45], 0x0
	ds_read2st64_b64 v[32:35], v76 offset1:1
	ds_read2st64_b64 v[36:39], v76 offset0:2 offset1:3
	ds_read_b64 v[30:31], v71 offset:24576
	ds_read_b64 v[40:41], v73 offset:24576
	;; [unrolled: 1-line block ×4, first 2 shown]
	s_waitcnt lgkmcnt(0)
	v_mfma_f32_16x16x16_bf16 a[0:3], v[30:31], v[32:33], a[0:3]
	v_mov_b32_e32 v90, 0
	v_mov_b32_e32 v26, 0
	v_mov_b32_e32 v27, 0
	v_mfma_f32_16x16x16_bf16 a[0:3], v[40:41], v[34:35], a[0:3]
	v_mov_b32_e32 v28, 0
	v_mov_b32_e32 v29, 0
	v_mov_b32_e32 v30, 0
	;; [unrolled: 4-line block ×4, first 2 shown]
	v_mov_b32_e32 v37, 0
	s_and_b64 vcc, exec, s[0:1]
	s_waitcnt vmcnt(7)
	v_lshlrev_b32_e32 v92, 16, v91
	s_waitcnt vmcnt(6)
	v_lshlrev_b32_e32 v93, 16, v96
	;; [unrolled: 2-line block ×4, first 2 shown]
	v_accvgpr_read_b32 v41, a1
	s_waitcnt vmcnt(3)
	v_sub_f32_e32 v91, s20, v99
	v_mul_f32_e32 v91, 0x3fb8aa3b, v91
	s_waitcnt vmcnt(2)
	v_sub_f32_e32 v97, s20, v100
	s_waitcnt vmcnt(1)
	v_sub_f32_e32 v98, s20, v101
	;; [unrolled: 2-line block ×3, first 2 shown]
	v_exp_f32_e32 v96, v91
	v_mul_f32_e32 v91, 0x3fb8aa3b, v97
	v_mul_f32_e32 v98, 0x3fb8aa3b, v98
	;; [unrolled: 1-line block ×3, first 2 shown]
	v_exp_f32_e32 v97, v91
	v_exp_f32_e32 v98, v98
	;; [unrolled: 1-line block ×3, first 2 shown]
	v_accvgpr_read_b32 v39, a3
	v_accvgpr_read_b32 v38, a2
	;; [unrolled: 1-line block ×3, first 2 shown]
	v_pk_add_f32 v[40:41], v[92:93], v[40:41] neg_lo:[0,1] neg_hi:[0,1]
	v_pk_add_f32 v[38:39], v[94:95], v[38:39] neg_lo:[0,1] neg_hi:[0,1]
	v_pk_mul_f32 v[40:41], v[96:97], v[40:41]
	v_pk_mul_f32 v[38:39], v[98:99], v[38:39]
	s_nop 0
	v_perm_b32 v39, v39, v38, s3
	v_perm_b32 v38, v41, v40, s3
	ds_write_b64 v68, v[38:39]
	v_mov_b32_e32 v38, 0
	v_mov_b32_e32 v39, 0
	v_mov_b32_e32 v40, 0
	v_mov_b32_e32 v41, 0
	s_cbranch_vccnz .LBB762_40
; %bb.39:                               ;   in Loop: Header=BB762_32 Depth=1
	s_and_b32 s25, s25, 0xffff
	s_mov_b32 s27, s23
	buffer_load_dwordx4 v[38:41], v82, s[24:27], 0 offen
	buffer_load_dwordx4 v[30:33], v82, s[24:27], s62 offen
	buffer_load_dwordx4 v[34:37], v83, s[24:27], 0 offen
	buffer_load_dwordx4 v[26:29], v83, s[24:27], s62 offen
	v_mov_b32_e32 v89, v61
	v_mov_b32_e32 v90, v59
.LBB762_40:                             ;   in Loop: Header=BB762_32 Depth=1
	s_waitcnt lgkmcnt(0)
	s_barrier
	ds_read_b64 v[100:101], v85
	ds_read2st64_b64 v[92:95], v76 offset1:1
	ds_read2st64_b64 v[96:99], v76 offset0:2 offset1:3
	ds_read_b64 v[102:103], v86
	ds_read_b64 v[104:105], v87
	;; [unrolled: 1-line block ×3, first 2 shown]
	s_waitcnt lgkmcnt(4)
	v_mfma_f32_16x16x16_bf16 a[0:3], v[100:101], v[92:93], 0
	ds_read_b64 v[100:101], v78 offset:8192
	ds_read_b64 v[108:109], v79 offset:8192
	s_add_i32 s21, s58, s39
	s_mul_hi_i32 s25, s21, s13
	s_waitcnt lgkmcnt(1)
	v_mfma_f32_16x16x16_bf16 a[4:7], v[100:101], v[92:93], 0
	s_mul_i32 s21, s21, s13
	s_add_u32 s24, s21, s51
	s_addc_u32 s25, s25, s55
	v_mfma_f32_16x16x16_bf16 a[0:3], v[102:103], v[94:95], a[0:3]
	ds_read_b64 v[100:101], v47
	ds_read_b64 v[102:103], v77
	ds_read_b64 v[92:93], v80 offset:8192
	s_lshl_b64 s[24:25], s[24:25], 15
	v_mfma_f32_16x16x16_bf16 a[0:3], v[104:105], v[96:97], a[0:3]
	ds_read_b64 v[104:105], v81 offset:8192
	s_and_b64 vcc, exec, s[0:1]
	s_waitcnt lgkmcnt(4)
	v_mfma_f32_16x16x16_bf16 a[4:7], v[108:109], v[94:95], a[4:7]
	s_waitcnt lgkmcnt(1)
	v_mfma_f32_16x16x16_bf16 a[4:7], v[92:93], v[96:97], a[4:7]
	v_lshl_add_u64 v[92:93], v[48:49], 0, s[24:25]
	global_store_dwordx4 v[92:93], v[100:103], off
	v_mfma_f32_16x16x16_bf16 a[0:3], v[106:107], v[98:99], a[0:3]
	s_waitcnt lgkmcnt(0)
	v_mfma_f32_16x16x16_bf16 a[4:7], v[104:105], v[98:99], a[4:7]
	s_cbranch_vccnz .LBB762_42
; %bb.41:                               ;   in Loop: Header=BB762_32 Depth=1
	v_lshrrev_b32_e32 v91, 3, v89
	v_and_b32_e32 v91, 6, v91
	v_xor_b32_e32 v90, v91, v90
	v_lshlrev_b32_e32 v90, 2, v90
	v_and_b32_e32 v89, 8, v89
	v_xor_b32_e32 v92, 0x440, v90
	v_cmp_eq_u32_e32 vcc, 0, v89
	s_barrier
	s_nop 0
	v_cndmask_b32_e32 v89, v92, v90, vcc
	v_lshl_or_b32 v89, v91, 10, v89
	s_waitcnt vmcnt(2)
	v_perm_b32 v90, v38, v34, s64
	s_waitcnt vmcnt(1)
	v_perm_b32 v91, v30, v26, s64
	ds_write2st64_b32 v89, v90, v91 offset1:32
	v_xor_b32_e32 v90, 8, v89
	v_perm_b32 v34, v38, v34, s65
	v_perm_b32 v26, v30, v26, s65
	v_add_u32_e32 v30, 0x80, v90
	ds_write2st64_b32 v30, v34, v26 offset1:32
	v_xor_b32_e32 v26, 16, v89
	v_perm_b32 v30, v39, v35, s64
	v_perm_b32 v34, v31, v27, s64
	ds_write2st64_b32 v26, v30, v34 offset0:1 offset1:33
	v_xor_b32_e32 v26, 24, v89
	v_perm_b32 v30, v39, v35, s65
	v_perm_b32 v27, v31, v27, s65
	v_add_u32_e32 v26, 0x80, v26
	ds_write2st64_b32 v26, v30, v27 offset0:1 offset1:33
	v_xor_b32_e32 v26, 32, v89
	v_perm_b32 v27, v40, v36, s64
	v_perm_b32 v30, v32, v28, s64
	ds_write2st64_b32 v26, v27, v30 offset0:2 offset1:34
	v_xor_b32_e32 v26, 40, v89
	v_perm_b32 v27, v40, v36, s65
	v_perm_b32 v28, v32, v28, s65
	v_add_u32_e32 v26, 0x80, v26
	ds_write2st64_b32 v26, v27, v28 offset0:2 offset1:34
	;; [unrolled: 9-line block ×3, first 2 shown]
	ds_write_b64 v9, v[22:23] offset:16384
	v_xor_b32_e32 v22, 8, v9
	ds_write_b64 v22, v[24:25] offset:16384
	ds_write_b64 v9, v[18:19] offset:24576
	;; [unrolled: 1-line block ×4, first 2 shown]
	v_xor_b32_e32 v9, 8, v5
	ds_write_b64 v9, v[16:17] offset:16384
	ds_write_b64 v5, v[10:11] offset:24576
	;; [unrolled: 1-line block ×3, first 2 shown]
.LBB762_42:                             ;   in Loop: Header=BB762_32 Depth=1
	v_mul_f32_e32 v5, s20, v84
	v_exp_f32_e32 v10, v5
	s_nop 1
	v_accvgpr_read_b32 v9, a1
	v_accvgpr_read_b32 v5, a0
	s_add_i32 s63, s63, 64
	v_fma_f32 v3, v3, v10, v9
	v_accvgpr_read_b32 v9, a4
	v_fma_f32 v6, v6, v10, v9
	v_accvgpr_read_b32 v9, a5
	;; [unrolled: 2-line block ×6, first 2 shown]
	v_fmac_f32_e32 v5, v63, v10
	s_cmp_eq_u32 s54, s37
	v_fmac_f32_e32 v9, v60, v10
	s_cbranch_scc1 .LBB762_4
; %bb.43:                               ;   in Loop: Header=BB762_32 Depth=1
	s_mov_b32 s39, s37
	v_mov_b32_e32 v63, v5
	v_mov_b32_e32 v60, v9
	s_branch .LBB762_32
.LBB762_44:
                                        ; implicit-def: $vgpr13
                                        ; implicit-def: $vgpr17
                                        ; implicit-def: $vgpr21
                                        ; implicit-def: $vgpr25
	s_cbranch_execz .LBB762_46
; %bb.45:
	s_waitcnt vmcnt(0)
	v_mad_u64_u32 v[10:11], s[0:1], v27, s15, v[26:27]
	v_lshlrev_b32_e32 v27, 1, v10
	s_lshl_b32 s2, s15, 7
	s_and_b32 s1, s5, 0xffff
	s_mov_b32 s3, 0x20000
	s_mov_b32 s0, s4
	v_add_lshl_u32 v28, v10, s15, 1
	s_movk_i32 s13, 0x80
	buffer_load_dwordx4 v[10:13], v27, s[0:3], 0 offen
	buffer_load_dwordx4 v[18:21], v27, s[0:3], s13 offen
	;; [unrolled: 1-line block ×4, first 2 shown]
.LBB762_46:
	v_lshrrev_b32_e32 v45, 2, v45
	s_cbranch_execnz .LBB762_59
.LBB762_47:
	s_and_b64 vcc, exec, s[6:7]
	s_cbranch_vccz .LBB762_57
; %bb.48:
	s_waitcnt vmcnt(0)
	v_lshlrev_b32_e32 v15, 1, v47
	v_cmp_gt_i32_e32 vcc, s27, v15
	v_mov_b32_e32 v14, 0
	v_lshlrev_b32_e32 v22, 9, v47
	v_mov_b32_e32 v10, 0
	v_mov_b32_e32 v11, 0
	;; [unrolled: 1-line block ×4, first 2 shown]
	s_and_saveexec_b64 s[0:1], vcc
	s_cbranch_execz .LBB762_50
; %bb.49:
	v_mov_b32_e32 v23, 0
	v_lshl_add_u64 v[10:11], s[4:5], 0, v[22:23]
	v_lshlrev_b32_e32 v12, 1, v26
	v_mov_b32_e32 v13, v23
	v_lshl_add_u64 v[10:11], v[10:11], 0, v[12:13]
	global_load_dwordx4 v[10:13], v[10:11], off
.LBB762_50:
	s_or_b64 exec, exec, s[0:1]
	v_or_b32_e32 v15, 1, v15
	v_cmp_gt_i32_e64 s[0:1], s27, v15
	v_lshlrev_b32_e32 v28, 8, v15
	v_mov_b32_e32 v15, 0
	v_mov_b32_e32 v16, 0
	;; [unrolled: 1-line block ×3, first 2 shown]
	s_and_saveexec_b64 s[2:3], s[0:1]
	s_cbranch_execz .LBB762_52
; %bb.51:
	v_mov_b32_e32 v29, 0
	v_lshl_add_u64 v[14:15], s[4:5], 0, v[28:29]
	v_lshlrev_b32_e32 v16, 1, v26
	v_mov_b32_e32 v17, v29
	v_lshl_add_u64 v[14:15], v[14:15], 0, v[16:17]
	global_load_dwordx4 v[14:17], v[14:15], off
.LBB762_52:
	s_or_b64 exec, exec, s[2:3]
	v_mov_b32_e32 v25, 0
	v_mov_b32_e32 v18, 0
	;; [unrolled: 1-line block ×5, first 2 shown]
	s_and_saveexec_b64 s[2:3], vcc
	s_cbranch_execz .LBB762_54
; %bb.53:
	v_mov_b32_e32 v23, 0
	v_lshl_add_u64 v[18:19], s[4:5], 0, v[22:23]
	v_lshlrev_b32_e32 v22, 1, v26
	v_lshl_add_u64 v[18:19], v[18:19], 0, v[22:23]
	global_load_dwordx4 v[18:21], v[18:19], off offset:128
.LBB762_54:
	s_or_b64 exec, exec, s[2:3]
	v_mov_b32_e32 v24, 0
	v_mov_b32_e32 v23, 0
	;; [unrolled: 1-line block ×3, first 2 shown]
	s_and_saveexec_b64 s[2:3], s[0:1]
	s_cbranch_execz .LBB762_56
; %bb.55:
	v_mov_b32_e32 v29, 0
	v_lshl_add_u64 v[22:23], s[4:5], 0, v[28:29]
	v_lshlrev_b32_e32 v28, 1, v26
	v_lshl_add_u64 v[22:23], v[22:23], 0, v[28:29]
	global_load_dwordx4 v[22:25], v[22:23], off offset:128
.LBB762_56:
	s_or_b64 exec, exec, s[2:3]
	s_branch .LBB762_59
.LBB762_57:
                                        ; implicit-def: $vgpr13
                                        ; implicit-def: $vgpr17
                                        ; implicit-def: $vgpr21
                                        ; implicit-def: $vgpr25
	s_cbranch_execz .LBB762_59
; %bb.58:
	s_waitcnt vmcnt(0)
	v_lshlrev_b32_e32 v10, 1, v26
	v_lshl_or_b32 v26, v47, 9, v10
	s_and_b32 s5, s5, 0xffff
	s_mov_b32 s7, 0x20000
	s_movk_i32 s6, 0x4000
	s_movk_i32 s0, 0x80
	buffer_load_dwordx4 v[10:13], v26, s[4:7], 0 offen
	buffer_load_dwordx4 v[14:17], v26, s[4:7], 0 offen offset:256
	buffer_load_dwordx4 v[18:21], v26, s[4:7], s0 offen
	buffer_load_dwordx4 v[22:25], v26, s[4:7], s0 offen offset:256
.LBB762_59:
	ds_read2st64_b64 v[30:33], v50 offset0:76 offset1:77
	ds_read2st64_b64 v[26:29], v50 offset0:78 offset1:79
	ds_read_b64 v[38:39], v34 offset:24576
	ds_read_b64 v[40:41], v35 offset:24576
	ds_read_b64 v[36:37], v36 offset:24576
	ds_read_b64 v[34:35], v51 offset:24576
	v_and_b32_e32 v51, 6, v0
	v_xor_b32_e32 v47, v47, v51
	v_lshlrev_b32_e32 v47, 2, v47
	v_and_b32_e32 v53, 1, v0
	v_xor_b32_e32 v54, 0x440, v47
	v_cmp_eq_u32_e32 vcc, 0, v53
	s_mov_b32 s0, 0x1000504
	s_waitcnt vmcnt(0)
	v_perm_b32 v53, v18, v22, s0
	v_cndmask_b32_e32 v47, v54, v47, vcc
	v_lshl_or_b32 v47, v51, 10, v47
	v_perm_b32 v51, v10, v14, s0
	ds_write2st64_b32 v47, v51, v53 offset1:32
	v_xor_b32_e32 v51, 8, v47
	s_mov_b32 s1, 0x3020706
	v_perm_b32 v10, v10, v14, s1
	v_perm_b32 v14, v18, v22, s1
	v_add_u32_e32 v18, 0x80, v51
	ds_write2st64_b32 v18, v10, v14 offset1:32
	v_xor_b32_e32 v10, 16, v47
	v_perm_b32 v14, v11, v15, s0
	v_perm_b32 v18, v19, v23, s0
	ds_write2st64_b32 v10, v14, v18 offset0:1 offset1:33
	v_xor_b32_e32 v10, 24, v47
	v_perm_b32 v11, v11, v15, s1
	v_perm_b32 v14, v19, v23, s1
	v_add_u32_e32 v10, 0x80, v10
	ds_write2st64_b32 v10, v11, v14 offset0:1 offset1:33
	v_xor_b32_e32 v10, 32, v47
	v_perm_b32 v11, v12, v16, s0
	v_perm_b32 v14, v20, v24, s0
	ds_write2st64_b32 v10, v11, v14 offset0:2 offset1:34
	v_xor_b32_e32 v10, 40, v47
	v_perm_b32 v11, v12, v16, s1
	v_perm_b32 v12, v20, v24, s1
	v_add_u32_e32 v10, 0x80, v10
	ds_write2st64_b32 v10, v11, v12 offset0:2 offset1:34
	v_xor_b32_e32 v10, 48, v47
	v_perm_b32 v11, v13, v17, s0
	v_perm_b32 v12, v21, v25, s0
	ds_write2st64_b32 v10, v11, v12 offset0:3 offset1:35
	v_xor_b32_e32 v10, 56, v47
	v_and_or_b32 v16, v45, 12, v52
	v_perm_b32 v11, v13, v17, s1
	v_perm_b32 v12, v21, v25, s1
	v_add_u32_e32 v10, 0x80, v10
	v_cmp_gt_i32_e32 vcc, s27, v16
	v_mov_b32_e32 v17, 0
	v_mov_b32_e32 v21, 0
	ds_write2st64_b32 v10, v11, v12 offset0:3 offset1:35
	s_and_saveexec_b64 s[0:1], vcc
	s_cbranch_execz .LBB762_61
; %bb.60:
	v_add_u32_e32 v10, s26, v16
	v_ashrrev_i32_e32 v11, 31, v10
	v_mul_lo_u32 v12, v11, s34
	v_mul_lo_u32 v13, v10, s35
	v_mad_u64_u32 v[10:11], s[2:3], v10, s34, 0
	v_add3_u32 v11, v11, v13, v12
	v_lshl_add_u64 v[10:11], v[10:11], 2, s[10:11]
	global_load_dword v10, v[10:11], off
	s_waitcnt vmcnt(0)
	v_sub_f32_e32 v10, s12, v10
	v_mul_f32_e32 v10, 0x3fb8aa3b, v10
	v_exp_f32_e32 v21, v10
.LBB762_61:
	s_or_b64 exec, exec, s[0:1]
	v_or_b32_e32 v19, 1, v16
	v_cmp_gt_i32_e64 s[0:1], s27, v19
	s_and_saveexec_b64 s[2:3], s[0:1]
	s_cbranch_execz .LBB762_63
; %bb.62:
	v_add_u32_e32 v10, s26, v19
	v_ashrrev_i32_e32 v11, 31, v10
	v_mul_lo_u32 v12, v11, s34
	v_mul_lo_u32 v13, v10, s35
	v_mad_u64_u32 v[10:11], s[4:5], v10, s34, 0
	v_add3_u32 v11, v11, v13, v12
	v_lshl_add_u64 v[10:11], v[10:11], 2, s[10:11]
	global_load_dword v10, v[10:11], off
	s_waitcnt vmcnt(0)
	v_sub_f32_e32 v10, s12, v10
	v_mul_f32_e32 v10, 0x3fb8aa3b, v10
	v_exp_f32_e32 v17, v10
.LBB762_63:
	s_or_b64 exec, exec, s[2:3]
	v_or_b32_e32 v20, 2, v16
	v_cmp_gt_i32_e64 s[2:3], s27, v20
	v_mov_b32_e32 v18, 0
	v_mov_b32_e32 v23, 0
	s_and_saveexec_b64 s[4:5], s[2:3]
	s_cbranch_execz .LBB762_65
; %bb.64:
	v_add_u32_e32 v10, s26, v20
	v_ashrrev_i32_e32 v11, 31, v10
	v_mul_lo_u32 v12, v11, s34
	v_mul_lo_u32 v13, v10, s35
	v_mad_u64_u32 v[10:11], s[6:7], v10, s34, 0
	v_add3_u32 v11, v11, v13, v12
	v_lshl_add_u64 v[10:11], v[10:11], 2, s[10:11]
	global_load_dword v10, v[10:11], off
	s_waitcnt vmcnt(0)
	v_sub_f32_e32 v10, s12, v10
	v_mul_f32_e32 v10, 0x3fb8aa3b, v10
	v_exp_f32_e32 v23, v10
.LBB762_65:
	s_or_b64 exec, exec, s[4:5]
	v_or_b32_e32 v22, 3, v16
	v_cmp_gt_i32_e64 s[4:5], s27, v22
	s_and_saveexec_b64 s[6:7], s[4:5]
	s_cbranch_execz .LBB762_67
; %bb.66:
	v_add_u32_e32 v10, s26, v22
	v_ashrrev_i32_e32 v11, 31, v10
	v_mul_lo_u32 v12, v11, s34
	v_mul_lo_u32 v13, v10, s35
	v_mad_u64_u32 v[10:11], s[14:15], v10, s34, 0
	v_add3_u32 v11, v11, v13, v12
	v_lshl_add_u64 v[10:11], v[10:11], 2, s[10:11]
	global_load_dword v10, v[10:11], off
	s_waitcnt vmcnt(0)
	v_sub_f32_e32 v10, s12, v10
	v_mul_f32_e32 v10, 0x3fb8aa3b, v10
	v_exp_f32_e32 v18, v10
.LBB762_67:
	s_or_b64 exec, exec, s[6:7]
	s_waitcnt lgkmcnt(11)
	v_mfma_f32_16x16x16_bf16 a[0:3], v[38:39], v[30:31], a[0:3]
	s_add_u32 s6, s8, s20
	v_ashrrev_i32_e32 v47, 31, v46
	s_addc_u32 s7, s9, s21
	s_waitcnt lgkmcnt(10)
	v_mfma_f32_16x16x16_bf16 a[0:3], v[40:41], v[32:33], a[0:3]
	v_mov_b32_e32 v24, 0
	v_lshl_add_u64 v[14:15], v[46:47], 1, s[6:7]
	v_mov_b32_e32 v25, 0
	s_waitcnt lgkmcnt(9)
	v_mfma_f32_16x16x16_bf16 a[0:3], v[36:37], v[26:27], a[0:3]
	s_waitcnt lgkmcnt(8)
	v_mfma_f32_16x16x16_bf16 a[0:3], v[34:35], v[28:29], a[0:3]
	s_nop 6
	v_accvgpr_read_b32 v13, a3
	v_accvgpr_read_b32 v12, a2
	;; [unrolled: 1-line block ×4, first 2 shown]
	s_and_saveexec_b64 s[6:7], vcc
	s_cbranch_execz .LBB762_69
; %bb.68:
	v_lshlrev_b32_e32 v26, 8, v16
	v_mov_b32_e32 v27, 0
	v_lshl_add_u64 v[26:27], v[14:15], 0, v[26:27]
	global_load_ushort v25, v[26:27], off
	s_waitcnt vmcnt(0)
	v_lshlrev_b32_e32 v25, 16, v25
	v_sub_f32_e32 v10, v25, v10
	v_mul_f32_e32 v10, v21, v10
	v_lshrrev_b32_e32 v25, 16, v10
.LBB762_69:
	s_or_b64 exec, exec, s[6:7]
	s_and_saveexec_b64 s[6:7], s[0:1]
	s_cbranch_execz .LBB762_71
; %bb.70:
	v_lshlrev_b32_e32 v26, 8, v19
	v_mov_b32_e32 v27, 0
	v_lshl_add_u64 v[26:27], v[14:15], 0, v[26:27]
	global_load_ushort v10, v[26:27], off
	s_waitcnt vmcnt(0)
	v_lshlrev_b32_e32 v10, 16, v10
	v_sub_f32_e32 v10, v10, v11
	v_mul_f32_e32 v10, v17, v10
	v_lshrrev_b32_e32 v24, 16, v10
.LBB762_71:
	s_or_b64 exec, exec, s[6:7]
	v_mov_b32_e32 v11, 0
	v_mov_b32_e32 v17, 0
	s_and_saveexec_b64 s[0:1], s[2:3]
	s_cbranch_execz .LBB762_73
; %bb.72:
	v_lshlrev_b32_e32 v20, 8, v20
	v_mov_b32_e32 v21, 0
	v_lshl_add_u64 v[20:21], v[14:15], 0, v[20:21]
	global_load_ushort v10, v[20:21], off
	s_waitcnt vmcnt(0)
	v_lshlrev_b32_e32 v10, 16, v10
	v_sub_f32_e32 v10, v10, v12
	v_mul_f32_e32 v10, v23, v10
	v_lshrrev_b32_e32 v17, 16, v10
.LBB762_73:
	s_or_b64 exec, exec, s[0:1]
	v_or_b32_e32 v10, 0x9800, v50
	s_and_saveexec_b64 s[0:1], s[4:5]
	s_cbranch_execz .LBB762_75
; %bb.74:
	v_lshlrev_b32_e32 v20, 8, v22
	v_mov_b32_e32 v21, 0
	v_lshl_add_u64 v[14:15], v[14:15], 0, v[20:21]
	global_load_ushort v11, v[14:15], off
	s_waitcnt vmcnt(0)
	v_lshlrev_b32_e32 v11, 16, v11
	v_sub_f32_e32 v11, v11, v13
	v_mul_f32_e32 v11, v18, v11
	v_lshrrev_b32_e32 v11, 16, v11
.LBB762_75:
	s_or_b64 exec, exec, s[0:1]
	s_mov_b32 s0, 0x5040100
	v_perm_b32 v13, v11, v17, s0
	v_lshlrev_b32_e32 v11, 1, v48
	v_perm_b32 v12, v24, v25, s0
	v_lshl_or_b32 v11, v16, 5, v11
	s_movk_i32 s0, 0xff
	ds_write_b64 v11, v[12:13] offset:38912
	v_and_b32_e32 v11, 7, v0
	v_and_b32_e32 v12, 8, v0
	v_cmp_lt_u32_e32 vcc, s0, v0
	v_lshrrev_b32_e32 v0, 1, v0
	v_lshlrev_b32_e32 v22, 3, v1
	v_and_b32_e32 v23, 24, v0
	v_xor_b32_e32 v0, v22, v23
	v_cndmask_b32_e64 v13, 0, 1, vcc
	v_or_b32_e32 v1, 0x440, v0
	v_cmp_eq_u32_e32 vcc, 0, v12
	v_lshlrev_b32_e32 v20, 3, v11
	v_lshlrev_b32_e32 v11, 7, v11
	v_cndmask_b32_e32 v0, v1, v0, vcc
	v_or_b32_e32 v0, v0, v49
	v_lshlrev_b32_e32 v21, 13, v13
	v_xad_u32 v24, v0, v20, v11
	v_add_u32_e32 v0, v21, v24
	s_waitcnt lgkmcnt(0)
	s_barrier
	ds_read_b64 v[0:1], v0
	ds_read2st64_b64 v[12:15], v10 offset1:1
	ds_read2st64_b64 v[16:19], v10 offset0:2 offset1:3
	s_waitcnt lgkmcnt(1)
	v_mfma_f32_16x16x16_bf16 a[0:3], v[0:1], v[12:13], 0
	v_or_b32_e32 v0, 32, v23
	v_xor_b32_e32 v0, v22, v0
	v_or_b32_e32 v1, 0x440, v0
	v_cndmask_b32_e32 v0, v1, v0, vcc
	v_or_b32_e32 v0, v0, v49
	v_xad_u32 v25, v0, v20, v11
	v_add_u32_e32 v0, v21, v25
	ds_read_b64 v[0:1], v0
	v_or_b32_e32 v10, 0x60, v23
	s_waitcnt lgkmcnt(0)
	v_mfma_f32_16x16x16_bf16 a[0:3], v[0:1], v[14:15], a[0:3]
	v_or_b32_e32 v0, 64, v23
	v_xor_b32_e32 v0, v22, v0
	v_xor_b32_e32 v1, 0x440, v0
	v_cndmask_b32_e32 v0, v1, v0, vcc
	v_or_b32_e32 v0, v0, v49
	v_xad_u32 v26, v0, v20, v11
	v_add_u32_e32 v0, v21, v26
	ds_read_b64 v[0:1], v0
	v_xor_b32_e32 v10, v22, v10
	v_xor_b32_e32 v22, 0x440, v10
	v_cndmask_b32_e32 v10, v22, v10, vcc
	v_or_b32_e32 v10, v10, v49
	v_xad_u32 v22, v10, v20, v11
	v_add_u32_e32 v10, v21, v22
	ds_read_b64 v[10:11], v10
	s_waitcnt lgkmcnt(1)
	v_mfma_f32_16x16x16_bf16 a[0:3], v[0:1], v[16:17], a[0:3]
	ds_read_b64 v[0:1], v24 offset:8192
	ds_read_b64 v[20:21], v25 offset:8192
	v_mov_b32_e32 v23, 0x3fb8aa3b
	s_waitcnt lgkmcnt(2)
	v_mfma_f32_16x16x16_bf16 a[0:3], v[10:11], v[18:19], a[0:3]
	v_mul_f32_e32 v10, s12, v23
	v_exp_f32_e32 v23, v10
	ds_read_b64 v[10:11], v26 offset:8192
	s_waitcnt lgkmcnt(2)
	v_mfma_f32_16x16x16_bf16 a[4:7], v[0:1], v[12:13], 0
	ds_read_b64 v[12:13], v22 offset:8192
	s_nop 0
	v_accvgpr_read_b32 v0, a0
	v_accvgpr_read_b32 v1, a1
	s_waitcnt lgkmcnt(2)
	v_mfma_f32_16x16x16_bf16 a[4:7], v[20:21], v[14:15], a[4:7]
	v_fma_f32 v0, v2, v23, v0
	v_fma_f32 v1, v3, v23, v1
	v_accvgpr_read_b32 v2, a2
	s_waitcnt lgkmcnt(1)
	v_mfma_f32_16x16x16_bf16 a[4:7], v[10:11], v[16:17], a[4:7]
	v_accvgpr_read_b32 v3, a3
	v_fma_f32 v2, v4, v23, v2
	v_fmac_f32_e32 v3, v5, v23
	s_waitcnt lgkmcnt(0)
	v_mfma_f32_16x16x16_bf16 a[0:3], v[12:13], v[18:19], a[4:7]
	s_nop 6
	v_accvgpr_read_b32 v4, a0
	v_accvgpr_read_b32 v5, a1
	v_fma_f32 v4, v6, v23, v4
	v_fma_f32 v5, v7, v23, v5
	v_accvgpr_read_b32 v6, a2
	v_accvgpr_read_b32 v7, a3
	v_fma_f32 v6, v8, v23, v6
	v_fmac_f32_e32 v7, v9, v23
	v_mov_b64_e32 v[8:9], v[6:7]
	v_mov_b64_e32 v[6:7], v[4:5]
	;; [unrolled: 1-line block ×4, first 2 shown]
.LBB762_76:
	s_waitcnt lgkmcnt(0)
	s_add_u32 s0, s30, s28
	s_addc_u32 s1, s31, s29
	v_lshl_add_u64 v[0:1], v[42:43], 2, s[0:1]
	v_mov_b32_e32 v45, 0
	v_lshl_add_u64 v[0:1], v[0:1], 0, v[44:45]
	global_store_dwordx4 v[0:1], v[2:5], off
	global_store_dwordx4 v[0:1], v[6:9], off offset:256
	s_endpgm
	.section	.rodata,"a",@progbits
	.p2align	6, 0x0
	.amdhsa_kernel _ZN12_GLOBAL__N_139chunk_gated_delta_rule_fwd_h_hip_kernelILi16ELb1ELb1ELb0ELb0ELb0ELb0ELb0ELb0EEEvPK12hip_bfloat16S3_S3_PKfS5_PKvPS1_S8_PvPKiSB_iiiiilll
		.amdhsa_group_segment_fixed_size 40960
		.amdhsa_private_segment_fixed_size 0
		.amdhsa_kernarg_size 136
		.amdhsa_user_sgpr_count 2
		.amdhsa_user_sgpr_dispatch_ptr 0
		.amdhsa_user_sgpr_queue_ptr 0
		.amdhsa_user_sgpr_kernarg_segment_ptr 1
		.amdhsa_user_sgpr_dispatch_id 0
		.amdhsa_user_sgpr_kernarg_preload_length 0
		.amdhsa_user_sgpr_kernarg_preload_offset 0
		.amdhsa_user_sgpr_private_segment_size 0
		.amdhsa_uses_dynamic_stack 0
		.amdhsa_enable_private_segment 0
		.amdhsa_system_sgpr_workgroup_id_x 1
		.amdhsa_system_sgpr_workgroup_id_y 1
		.amdhsa_system_sgpr_workgroup_id_z 0
		.amdhsa_system_sgpr_workgroup_info 0
		.amdhsa_system_vgpr_workitem_id 0
		.amdhsa_next_free_vgpr 120
		.amdhsa_next_free_sgpr 68
		.amdhsa_accum_offset 112
		.amdhsa_reserve_vcc 1
		.amdhsa_float_round_mode_32 0
		.amdhsa_float_round_mode_16_64 0
		.amdhsa_float_denorm_mode_32 3
		.amdhsa_float_denorm_mode_16_64 3
		.amdhsa_dx10_clamp 1
		.amdhsa_ieee_mode 1
		.amdhsa_fp16_overflow 0
		.amdhsa_tg_split 0
		.amdhsa_exception_fp_ieee_invalid_op 0
		.amdhsa_exception_fp_denorm_src 0
		.amdhsa_exception_fp_ieee_div_zero 0
		.amdhsa_exception_fp_ieee_overflow 0
		.amdhsa_exception_fp_ieee_underflow 0
		.amdhsa_exception_fp_ieee_inexact 0
		.amdhsa_exception_int_div_zero 0
	.end_amdhsa_kernel
	.section	.text._ZN12_GLOBAL__N_139chunk_gated_delta_rule_fwd_h_hip_kernelILi16ELb1ELb1ELb0ELb0ELb0ELb0ELb0ELb0EEEvPK12hip_bfloat16S3_S3_PKfS5_PKvPS1_S8_PvPKiSB_iiiiilll,"axG",@progbits,_ZN12_GLOBAL__N_139chunk_gated_delta_rule_fwd_h_hip_kernelILi16ELb1ELb1ELb0ELb0ELb0ELb0ELb0ELb0EEEvPK12hip_bfloat16S3_S3_PKfS5_PKvPS1_S8_PvPKiSB_iiiiilll,comdat
.Lfunc_end762:
	.size	_ZN12_GLOBAL__N_139chunk_gated_delta_rule_fwd_h_hip_kernelILi16ELb1ELb1ELb0ELb0ELb0ELb0ELb0ELb0EEEvPK12hip_bfloat16S3_S3_PKfS5_PKvPS1_S8_PvPKiSB_iiiiilll, .Lfunc_end762-_ZN12_GLOBAL__N_139chunk_gated_delta_rule_fwd_h_hip_kernelILi16ELb1ELb1ELb0ELb0ELb0ELb0ELb0ELb0EEEvPK12hip_bfloat16S3_S3_PKfS5_PKvPS1_S8_PvPKiSB_iiiiilll
                                        ; -- End function
	.section	.AMDGPU.csdata,"",@progbits
; Kernel info:
; codeLenInByte = 7796
; NumSgprs: 74
; NumVgprs: 110
; NumAgprs: 8
; TotalNumVgprs: 120
; ScratchSize: 0
; MemoryBound: 0
; FloatMode: 240
; IeeeMode: 1
; LDSByteSize: 40960 bytes/workgroup (compile time only)
; SGPRBlocks: 9
; VGPRBlocks: 14
; NumSGPRsForWavesPerEU: 74
; NumVGPRsForWavesPerEU: 120
; AccumOffset: 112
; Occupancy: 1
; WaveLimiterHint : 1
; COMPUTE_PGM_RSRC2:SCRATCH_EN: 0
; COMPUTE_PGM_RSRC2:USER_SGPR: 2
; COMPUTE_PGM_RSRC2:TRAP_HANDLER: 0
; COMPUTE_PGM_RSRC2:TGID_X_EN: 1
; COMPUTE_PGM_RSRC2:TGID_Y_EN: 1
; COMPUTE_PGM_RSRC2:TGID_Z_EN: 0
; COMPUTE_PGM_RSRC2:TIDIG_COMP_CNT: 0
; COMPUTE_PGM_RSRC3_GFX90A:ACCUM_OFFSET: 27
; COMPUTE_PGM_RSRC3_GFX90A:TG_SPLIT: 0
	.section	.text._ZN12_GLOBAL__N_139chunk_gated_delta_rule_fwd_h_hip_kernelILi16ELb1ELb0ELb1ELb0ELb0ELb0ELb0ELb0EEEvPK12hip_bfloat16S3_S3_PKfS5_PKvPS1_S8_PvPKiSB_iiiiilll,"axG",@progbits,_ZN12_GLOBAL__N_139chunk_gated_delta_rule_fwd_h_hip_kernelILi16ELb1ELb0ELb1ELb0ELb0ELb0ELb0ELb0EEEvPK12hip_bfloat16S3_S3_PKfS5_PKvPS1_S8_PvPKiSB_iiiiilll,comdat
	.globl	_ZN12_GLOBAL__N_139chunk_gated_delta_rule_fwd_h_hip_kernelILi16ELb1ELb0ELb1ELb0ELb0ELb0ELb0ELb0EEEvPK12hip_bfloat16S3_S3_PKfS5_PKvPS1_S8_PvPKiSB_iiiiilll ; -- Begin function _ZN12_GLOBAL__N_139chunk_gated_delta_rule_fwd_h_hip_kernelILi16ELb1ELb0ELb1ELb0ELb0ELb0ELb0ELb0EEEvPK12hip_bfloat16S3_S3_PKfS5_PKvPS1_S8_PvPKiSB_iiiiilll
	.p2align	8
	.type	_ZN12_GLOBAL__N_139chunk_gated_delta_rule_fwd_h_hip_kernelILi16ELb1ELb0ELb1ELb0ELb0ELb0ELb0ELb0EEEvPK12hip_bfloat16S3_S3_PKfS5_PKvPS1_S8_PvPKiSB_iiiiilll,@function
_ZN12_GLOBAL__N_139chunk_gated_delta_rule_fwd_h_hip_kernelILi16ELb1ELb0ELb1ELb0ELb0ELb0ELb0ELb0EEEvPK12hip_bfloat16S3_S3_PKfS5_PKvPS1_S8_PvPKiSB_iiiiilll: ; @_ZN12_GLOBAL__N_139chunk_gated_delta_rule_fwd_h_hip_kernelILi16ELb1ELb0ELb1ELb0ELb0ELb0ELb0ELb0EEEvPK12hip_bfloat16S3_S3_PKfS5_PKvPS1_S8_PvPKiSB_iiiiilll
; %bb.0:
	s_load_dwordx4 s[12:15], s[0:1], 0x5c
	s_load_dwordx4 s[20:23], s[0:1], 0x70
	s_abs_i32 s6, s3
	s_ashr_i32 s5, s3, 31
	s_load_dwordx4 s[16:19], s[0:1], 0x28
	s_load_dwordx2 s[28:29], s[0:1], 0x38
	s_waitcnt lgkmcnt(0)
	s_abs_i32 s4, s13
	v_cvt_f32_u32_e32 v1, s4
	s_sub_i32 s8, 0, s4
	s_ashr_i32 s7, s13, 31
	s_xor_b32 s5, s5, s7
	v_rcp_iflag_f32_e32 v1, v1
	v_and_b32_e32 v53, 15, v0
	v_lshrrev_b32_e32 v51, 6, v0
	v_bfe_u32 v52, v0, 4, 2
	v_mul_f32_e32 v1, 0x4f7ffffe, v1
	v_cvt_u32_f32_e32 v1, v1
	v_mov_b32_e32 v5, 0
	v_and_b32_e32 v50, 63, v0
	v_lshrrev_b32_e32 v55, 3, v50
	v_readfirstlane_b32 s9, v1
	s_mul_i32 s8, s8, s9
	s_mul_hi_u32 s8, s9, s8
	s_add_i32 s9, s9, s8
	s_mul_hi_u32 s8, s6, s9
	s_mul_i32 s9, s8, s4
	s_sub_i32 s6, s6, s9
	s_add_i32 s10, s8, 1
	s_sub_i32 s9, s6, s4
	s_cmp_ge_u32 s6, s4
	s_cselect_b32 s8, s10, s8
	s_cselect_b32 s6, s9, s6
	s_add_i32 s9, s8, 1
	s_cmp_ge_u32 s6, s4
	s_cselect_b32 s6, s9, s8
	s_xor_b32 s6, s6, s5
	s_add_i32 s8, s12, 63
	s_sub_i32 s50, s6, s5
	s_ashr_i32 s9, s8, 31
	s_mul_i32 s5, s50, s13
	s_sub_i32 s48, s3, s5
	s_lshr_b32 s3, s9, 26
	s_add_i32 s8, s8, s3
	s_abs_i32 s3, s14
	v_cvt_f32_u32_e32 v1, s3
	s_ashr_i32 s49, s12, 31
	s_lshr_b32 s6, s49, 26
	s_add_i32 s6, s12, s6
	v_rcp_iflag_f32_e32 v1, v1
	s_ashr_i32 s53, s14, 31
	s_ashr_i32 s24, s8, 6
	;; [unrolled: 1-line block ×3, first 2 shown]
	v_mul_f32_e32 v1, 0x4f7ffffe, v1
	v_cvt_u32_f32_e32 v1, v1
	s_xor_b32 s6, s7, s53
	s_sub_i32 s7, 0, s3
	s_lshl_b32 s2, s2, 4
	v_readfirstlane_b32 s8, v1
	s_mul_i32 s7, s7, s8
	s_mul_hi_u32 s7, s8, s7
	s_add_i32 s8, s8, s7
	s_mul_hi_u32 s7, s4, s8
	s_mul_i32 s8, s7, s3
	s_sub_i32 s4, s4, s8
	s_add_i32 s8, s7, 1
	s_sub_i32 s9, s4, s3
	s_cmp_ge_u32 s4, s3
	s_cselect_b32 s7, s8, s7
	s_cselect_b32 s4, s9, s4
	s_add_i32 s8, s7, 1
	s_cmp_ge_u32 s4, s3
	s_cselect_b32 s3, s8, s7
	s_xor_b32 s3, s3, s6
	s_sub_i32 s3, s3, s6
	s_abs_i32 s4, s3
	v_cvt_f32_u32_e32 v1, s4
	s_sub_i32 s7, 0, s4
	s_abs_i32 s6, s48
	s_xor_b32 s3, s48, s3
	v_rcp_iflag_f32_e32 v1, v1
	s_ashr_i32 s3, s3, 31
	v_or_b32_e32 v42, s2, v53
	v_lshlrev_b32_e32 v2, 7, v42
	v_mul_f32_e32 v1, 0x4f7ffffe, v1
	v_cvt_u32_f32_e32 v1, v1
	v_ashrrev_i32_e32 v3, 31, v2
	s_mul_i32 s55, s50, s24
	v_lshlrev_b32_e32 v54, 3, v0
	v_readfirstlane_b32 s8, v1
	s_mul_i32 s7, s7, s8
	s_mul_hi_u32 s7, s8, s7
	s_add_i32 s8, s8, s7
	s_mul_hi_u32 s7, s6, s8
	s_mul_i32 s8, s7, s4
	s_sub_i32 s6, s6, s8
	s_add_i32 s8, s7, 1
	s_sub_i32 s9, s6, s4
	s_cmp_ge_u32 s6, s4
	s_cselect_b32 s7, s8, s7
	s_cselect_b32 s6, s9, s6
	s_add_i32 s8, s7, 1
	s_cmp_ge_u32 s6, s4
	s_cselect_b32 s4, s8, s7
	s_xor_b32 s4, s4, s3
	s_sub_i32 s54, s4, s3
	s_ashr_i32 s3, s50, 31
	s_ashr_i32 s52, s48, 31
	s_mul_hi_i32 s4, s50, s13
	s_add_u32 s38, s5, s48
	s_addc_u32 s39, s4, s52
	s_lshl_b64 s[4:5], s[38:39], 16
	v_lshlrev_b32_e32 v1, 4, v51
	s_add_u32 s4, s16, s4
	v_lshl_or_b32 v56, v52, 2, v1
	s_addc_u32 s5, s17, s5
	v_lshl_add_u64 v[2:3], v[2:3], 2, s[4:5]
	v_lshlrev_b32_e32 v4, 2, v56
	v_lshl_add_u64 v[10:11], v[2:3], 0, v[4:5]
	global_load_dwordx4 v[6:9], v[10:11], off
	global_load_dwordx4 v[2:5], v[10:11], off offset:256
	s_load_dwordx8 s[4:11], s[0:1], 0x0
	s_load_dwordx2 s[30:31], s[0:1], 0x80
	v_or_b32_e32 v57, 64, v56
	s_cmp_lt_i32 s12, 64
	s_mul_i32 s56, s39, s12
	s_mul_hi_u32 s57, s38, s12
	s_mul_i32 s16, s38, s12
	s_mul_i32 s33, s50, s21
	s_mul_hi_u32 s44, s50, s20
	s_mul_i32 s45, s3, s20
	s_mul_i32 s36, s50, s20
	;; [unrolled: 1-line block ×3, first 2 shown]
	s_mul_hi_u32 s46, s48, s22
	s_mul_i32 s47, s52, s22
	s_mul_i32 s34, s48, s22
	s_cbranch_scc1 .LBB763_3
; %bb.1:
	s_add_i32 s17, s57, s56
	s_lshl_b64 s[0:1], s[16:17], 8
	v_and_b32_e32 v59, 56, v54
	s_waitcnt lgkmcnt(0)
	s_add_u32 s20, s6, s0
	v_lshl_or_b32 v58, v51, 3, v55
	v_lshlrev_b32_e32 v10, 1, v59
	s_addc_u32 s0, s7, s1
	v_lshl_or_b32 v60, v58, 8, v10
	s_and_b32 s21, s0, 0xffff
	s_mov_b32 s23, 0x20000
	s_movk_i32 s22, 0x4000
	s_movk_i32 s0, 0x80
	v_or_b32_e32 v61, 0x2000, v60
	buffer_load_dwordx4 v[12:15], v60, s[20:23], 0 offen
	buffer_load_dwordx4 v[16:19], v60, s[20:23], s0 offen
	;; [unrolled: 1-line block ×4, first 2 shown]
	v_lshlrev_b32_e32 v11, 3, v58
	v_and_or_b32 v29, v0, 7, v11
	v_and_b32_e32 v11, 0x78, v11
	v_lshlrev_b32_e32 v29, 4, v29
	v_xor_b32_e32 v62, v29, v11
	v_mul_lo_u32 v28, v58, s15
	v_or_b32_e32 v63, 0x1000, v62
	v_xor_b32_e32 v11, 8, v62
	s_cmpk_eq_i32 s15, 0x80
	s_mov_b32 s58, s14
	v_xor_b32_e32 v29, 8, v63
	s_cselect_b64 s[0:1], -1, 0
	s_cmpk_lg_i32 s15, 0x80
	s_waitcnt vmcnt(3)
	ds_write_b64 v62, v[12:13] offset:16384
	ds_write_b64 v11, v[14:15] offset:16384
	s_waitcnt vmcnt(2)
	ds_write_b64 v62, v[16:17] offset:24576
	ds_write_b64 v11, v[18:19] offset:24576
	;; [unrolled: 3-line block ×4, first 2 shown]
	v_lshl_add_u32 v11, v28, 1, v59
	s_cbranch_scc0 .LBB763_29
; %bb.2:
	v_lshlrev_b32_e32 v13, 1, v11
	v_add_lshl_u32 v12, v11, s15, 1
	s_lshl_b32 s22, s15, 7
	v_lshl_or_b32 v10, v58, 9, v10
	s_cbranch_execz .LBB763_30
	s_branch .LBB763_31
.LBB763_3:
	s_waitcnt vmcnt(0)
	v_mov_b32_e32 v10, v5
	v_mov_b32_e32 v11, v9
.LBB763_4:
	s_lshl_b32 s26, s51, 6
	s_sub_i32 s27, s12, s26
	s_cmp_gt_i32 s27, 0
	s_cbranch_scc0 .LBB763_76
; %bb.5:
	s_ashr_i32 s3, s26, 31
	s_cmpk_lg_i32 s15, 0x80
	s_cselect_b64 s[22:23], -1, 0
	s_and_b64 vcc, exec, s[22:23]
	s_cbranch_vccz .LBB763_7
; %bb.6:
	s_mul_i32 s1, s50, s12
	s_mul_hi_i32 s0, s50, s12
	s_add_u32 s1, s1, s26
	s_addc_u32 s0, s0, s3
	s_mul_i32 s17, s1, s53
	s_mul_hi_u32 s20, s1, s14
	s_add_i32 s17, s20, s17
	s_mul_i32 s0, s0, s14
	s_add_i32 s17, s17, s0
	s_mul_i32 s1, s1, s14
	s_ashr_i32 s0, s54, 31
	s_add_u32 s24, s1, s54
	s_addc_u32 s25, s17, s0
	s_cbranch_execz .LBB763_8
	s_branch .LBB763_9
.LBB763_7:
                                        ; implicit-def: $sgpr24_sgpr25
.LBB763_8:
	s_mul_hi_i32 s0, s50, s14
	s_mul_i32 s50, s50, s14
	s_ashr_i32 s1, s54, 31
	s_add_u32 s14, s50, s54
	s_addc_u32 s0, s0, s1
	s_mul_i32 s1, s14, s49
	s_mul_hi_u32 s17, s14, s12
	s_add_i32 s1, s17, s1
	s_mul_i32 s0, s0, s12
	s_add_i32 s1, s1, s0
	s_mul_i32 s14, s14, s12
	s_add_u32 s24, s14, s26
	s_addc_u32 s25, s1, s3
.LBB763_9:
	s_mul_i32 s0, s38, s49
	s_add_i32 s0, s57, s0
	s_add_i32 s14, s55, s51
	;; [unrolled: 1-line block ×3, first 2 shown]
	s_add_u32 s0, s16, s26
	s_addc_u32 s1, s1, s3
	s_mov_b32 s3, 0x7060302
	v_perm_b32 v5, v10, v4, s3
	v_perm_b32 v4, v3, v2, s3
	v_lshlrev_b32_e32 v2, 3, v53
	s_lshl_b64 s[20:21], s[0:1], 8
	v_perm_b32 v9, v11, v8, s3
	v_perm_b32 v8, v7, v6, s3
	s_waitcnt vmcnt(2)
	v_lshlrev_b32_e32 v34, 2, v53
	v_lshl_or_b32 v2, v56, 5, v2
	s_waitcnt lgkmcnt(0)
	s_add_u32 s0, s6, s20
	ds_write2st64_b64 v2, v[8:9], v[4:5] offset0:72 offset1:76
	v_xor_b32_e32 v2, v56, v34
	v_lshlrev_b32_e32 v3, 8, v53
	s_addc_u32 s1, s7, s21
	v_lshl_or_b32 v2, v2, 1, v3
	s_mul_hi_i32 s3, s14, s13
	s_mul_i32 s14, s14, s13
	ds_write_b64 v2, v[8:9] offset:32768
	v_xor_b32_e32 v2, v57, v34
	s_add_u32 s6, s14, s48
	v_lshl_or_b32 v2, v2, 1, v3
	s_addc_u32 s7, s3, s52
	v_lshlrev_b32_e32 v3, 1, v53
	ds_write_b64 v2, v[4:5] offset:32768
	v_lshrrev_b32_e32 v2, 4, v0
	s_ashr_i32 s3, s2, 31
	s_lshl_b64 s[6:7], s[6:7], 15
	v_or_b32_e32 v4, 1, v3
	s_add_u32 s6, s18, s6
	v_xor_b32_e32 v3, v2, v3
	v_xor_b32_e32 v4, v4, v2
	v_lshlrev_b32_e32 v6, 8, v2
	s_addc_u32 s7, s19, s7
	s_lshl_b64 s[2:3], s[2:3], 8
	v_lshl_or_b32 v2, v3, 3, v6
	v_lshl_or_b32 v4, v4, 3, v6
	s_waitcnt lgkmcnt(0)
	s_barrier
	s_add_u32 s2, s6, s2
	ds_read_b64 v[2:3], v2 offset:32768
	ds_read_b64 v[4:5], v4 offset:32768
	s_addc_u32 s3, s7, s3
	v_mov_b32_e32 v7, 0
	s_cmp_lg_u32 s27, 64
	v_lshl_add_u64 v[8:9], s[2:3], 0, v[6:7]
	v_lshlrev_b32_e32 v6, 4, v53
	s_cselect_b64 s[6:7], -1, 0
	v_lshl_or_b32 v35, v51, 3, v55
	s_mov_b32 s16, 0
	v_lshl_add_u64 v[6:7], v[8:9], 0, v[6:7]
	v_or_b32_e32 v19, 32, v35
	v_and_b32_e32 v18, 56, v54
	s_and_b64 vcc, exec, s[6:7]
	s_waitcnt lgkmcnt(0)
	global_store_dwordx4 v[6:7], v[2:5], off
	s_cbranch_vccz .LBB763_15
; %bb.10:
	s_mov_b32 s17, s16
	s_mov_b32 s18, s16
	;; [unrolled: 1-line block ×3, first 2 shown]
	v_mov_b64_e32 v[6:7], s[16:17]
	v_mov_b64_e32 v[8:9], s[18:19]
	;; [unrolled: 1-line block ×3, first 2 shown]
	v_cmp_gt_i32_e32 vcc, s27, v35
	v_mov_b64_e32 v[4:5], v[8:9]
	s_and_saveexec_b64 s[2:3], vcc
	s_cbranch_execz .LBB763_12
; %bb.11:
	v_lshlrev_b32_e32 v2, 8, v35
	v_mov_b32_e32 v3, 0
	v_lshl_add_u64 v[4:5], s[0:1], 0, v[2:3]
	v_lshlrev_b32_e32 v2, 1, v18
	v_lshl_add_u64 v[10:11], v[4:5], 0, v[2:3]
	global_load_dwordx4 v[6:9], v[10:11], off
	global_load_dwordx4 v[2:5], v[10:11], off offset:128
.LBB763_12:
	s_or_b64 exec, exec, s[2:3]
	s_mov_b32 s17, s16
	s_mov_b32 s18, s16
	;; [unrolled: 1-line block ×3, first 2 shown]
	v_mov_b64_e32 v[14:15], s[16:17]
	v_mov_b64_e32 v[16:17], s[18:19]
	;; [unrolled: 1-line block ×3, first 2 shown]
	v_cmp_gt_i32_e32 vcc, s27, v19
	v_lshlrev_b32_e32 v20, 7, v19
	v_mov_b64_e32 v[12:13], v[16:17]
	s_and_saveexec_b64 s[2:3], vcc
	s_cbranch_execz .LBB763_14
; %bb.13:
	v_lshlrev_b32_e32 v10, 1, v20
	v_mov_b32_e32 v11, 0
	v_lshl_add_u64 v[12:13], s[0:1], 0, v[10:11]
	v_lshlrev_b32_e32 v10, 1, v18
	v_lshl_add_u64 v[22:23], v[12:13], 0, v[10:11]
	global_load_dwordx4 v[14:17], v[22:23], off
	global_load_dwordx4 v[10:13], v[22:23], off offset:128
.LBB763_14:
	s_or_b64 exec, exec, s[2:3]
	v_lshrrev_b32_e32 v21, 3, v18
	v_lshlrev_b32_e32 v22, 3, v35
	v_or_b32_e32 v21, v22, v21
	v_lshlrev_b32_e32 v21, 4, v21
	v_and_b32_e32 v22, 0x78, v22
	v_xor_b32_e32 v21, v21, v22
	s_branch .LBB763_17
.LBB763_15:
                                        ; implicit-def: $vgpr21
                                        ; implicit-def: $vgpr20
                                        ; implicit-def: $vgpr6_vgpr7_vgpr8_vgpr9
                                        ; implicit-def: $vgpr2_vgpr3_vgpr4_vgpr5
                                        ; implicit-def: $vgpr14_vgpr15_vgpr16_vgpr17
                                        ; implicit-def: $vgpr10_vgpr11_vgpr12_vgpr13
	s_cbranch_execz .LBB763_17
; %bb.16:
	s_waitcnt vmcnt(0)
	v_lshlrev_b32_e32 v2, 1, v18
	v_lshl_or_b32 v20, v35, 8, v2
	s_and_b32 s1, s1, 0xffff
	s_mov_b32 s3, 0x20000
	s_movk_i32 s2, 0x4000
	v_lshl_or_b32 v21, v19, 8, v2
	s_movk_i32 s13, 0x80
	buffer_load_dwordx4 v[6:9], v20, s[0:3], 0 offen
	buffer_load_dwordx4 v[2:5], v20, s[0:3], s13 offen
	;; [unrolled: 1-line block ×4, first 2 shown]
	v_lshrrev_b32_e32 v20, 3, v18
	v_lshlrev_b32_e32 v21, 3, v35
	v_or_b32_e32 v20, v21, v20
	v_lshlrev_b32_e32 v20, 4, v20
	v_and_b32_e32 v21, 0x78, v21
	v_xor_b32_e32 v21, v20, v21
	v_lshlrev_b32_e32 v20, 7, v19
.LBB763_17:
	s_lshl_b64 s[0:1], s[24:25], 8
	s_add_u32 s4, s4, s0
	s_movk_i32 s0, 0x1000
	v_and_or_b32 v19, v20, s0, v21
	s_waitcnt vmcnt(1)
	ds_write_b64 v21, v[6:7] offset:16384
	v_xor_b32_e32 v6, 8, v21
	ds_write_b64 v6, v[8:9] offset:16384
	s_waitcnt vmcnt(0)
	ds_write_b64 v21, v[2:3] offset:24576
	ds_write_b64 v6, v[4:5] offset:24576
	;; [unrolled: 1-line block ×3, first 2 shown]
	v_xor_b32_e32 v2, 8, v19
	ds_write_b64 v2, v[16:17] offset:16384
	ds_write_b64 v19, v[10:11] offset:24576
	;; [unrolled: 1-line block ×3, first 2 shown]
	v_or_b32_e32 v2, v1, v53
	s_addc_u32 s5, s5, s1
	s_add_i32 s0, s12, -1
	v_lshlrev_b32_e32 v2, 3, v2
	v_lshrrev_b32_e32 v4, 5, v50
	s_movk_i32 s12, 0xf8
	v_and_or_b32 v4, v2, s12, v4
	v_lshlrev_b32_e32 v3, 11, v51
	v_lshlrev_b32_e32 v12, 4, v4
	v_and_b32_e32 v13, 0x78, v2
	v_and_b32_e32 v14, 0x1000, v3
	v_lshlrev_b32_e32 v3, 2, v0
	v_xor_b32_e32 v2, v12, v13
	v_lshrrev_b32_e32 v4, 1, v50
	v_and_b32_e32 v3, 60, v3
	v_or_b32_e32 v2, v2, v14
	v_and_b32_e32 v15, 8, v4
	v_xor_b32_e32 v26, v2, v15
	v_lshl_or_b32 v2, v52, 6, v3
	v_lshlrev_b32_e32 v19, 1, v2
	v_or_b32_e32 v2, 32, v12
	v_xor_b32_e32 v2, v2, v13
	s_waitcnt lgkmcnt(0)
	s_barrier
	ds_read_b64 v[10:11], v26 offset:16384
	v_or_b32_e32 v2, v2, v14
	v_xor_b32_e32 v27, v2, v15
	v_or_b32_e32 v2, 64, v12
	v_xor_b32_e32 v2, v2, v13
	v_or_b32_e32 v2, v2, v14
	v_or_b32_e32 v12, 0x60, v12
	v_xor_b32_e32 v28, v2, v15
	ds_read2st64_b64 v[2:5], v19 offset0:72 offset1:73
	ds_read2st64_b64 v[6:9], v19 offset0:74 offset1:75
	v_xor_b32_e32 v16, v12, v13
	ds_read_b64 v[12:13], v27 offset:16384
	s_add_i32 s1, s44, s33
	s_waitcnt lgkmcnt(2)
	v_mfma_f32_16x16x16_bf16 a[0:3], v[10:11], v[2:3], 0
	s_add_i32 s37, s1, s45
	s_add_i32 s1, s46, s39
	;; [unrolled: 1-line block ×3, first 2 shown]
	s_ashr_i32 s1, s0, 31
	s_mul_i32 s2, s0, s31
	s_mul_hi_u32 s3, s0, s30
	s_add_i32 s2, s3, s2
	s_mul_i32 s1, s1, s30
	v_or_b32_e32 v14, v16, v14
	s_add_i32 s1, s2, s1
	s_lshl_b64 s[2:3], s[36:37], 2
	v_xor_b32_e32 v36, v14, v15
	ds_read_b64 v[14:15], v28 offset:16384
	ds_read_b64 v[16:17], v36 offset:16384
	s_waitcnt lgkmcnt(2)
	v_mfma_f32_16x16x16_bf16 a[0:3], v[12:13], v[4:5], a[0:3]
	s_add_u32 s10, s10, s2
	s_addc_u32 s11, s11, s3
	s_lshl_b64 s[2:3], s[34:35], 2
	s_mul_i32 s0, s0, s30
	s_add_u32 s10, s10, s2
	s_addc_u32 s11, s11, s3
	s_lshl_b64 s[0:1], s[0:1], 2
	s_waitcnt lgkmcnt(1)
	v_mfma_f32_16x16x16_bf16 a[0:3], v[14:15], v[6:7], a[0:3]
	s_add_u32 s0, s10, s0
	s_addc_u32 s1, s11, s1
	s_load_dword s12, s[0:1], 0x0
	s_waitcnt lgkmcnt(0)
	v_mfma_f32_16x16x16_bf16 a[0:3], v[16:17], v[8:9], a[0:3]
	s_and_b64 vcc, exec, s[22:23]
	s_cbranch_vccz .LBB763_28
; %bb.18:
	v_lshlrev_b32_e32 v20, 1, v35
	s_and_b64 vcc, exec, s[6:7]
	s_cbranch_vccz .LBB763_44
; %bb.19:
	v_cmp_gt_i32_e32 vcc, s27, v20
	v_mov_b32_e32 v6, 0
	v_mov_b32_e32 v2, 0
	;; [unrolled: 1-line block ×5, first 2 shown]
	s_and_saveexec_b64 s[0:1], vcc
	s_cbranch_execz .LBB763_21
; %bb.20:
	v_mad_i64_i32 v[2:3], s[2:3], s15, v20, 0
	v_lshl_add_u64 v[2:3], v[2:3], 1, s[4:5]
	v_lshlrev_b32_e32 v4, 1, v18
	v_mov_b32_e32 v5, 0
	v_lshl_add_u64 v[2:3], v[2:3], 0, v[4:5]
	global_load_dwordx4 v[2:5], v[2:3], off
.LBB763_21:
	s_or_b64 exec, exec, s[0:1]
	v_or_b32_e32 v21, 1, v20
	v_cmp_gt_i32_e64 s[0:1], s27, v21
	v_mov_b32_e32 v7, 0
	v_mov_b32_e32 v8, 0
	;; [unrolled: 1-line block ×3, first 2 shown]
	s_and_saveexec_b64 s[2:3], s[0:1]
	s_cbranch_execz .LBB763_23
; %bb.22:
	v_mad_i64_i32 v[6:7], s[16:17], s15, v21, 0
	v_lshl_add_u64 v[6:7], v[6:7], 1, s[4:5]
	v_lshlrev_b32_e32 v8, 1, v18
	v_mov_b32_e32 v9, 0
	v_lshl_add_u64 v[6:7], v[6:7], 0, v[8:9]
	global_load_dwordx4 v[6:9], v[6:7], off
.LBB763_23:
	s_or_b64 exec, exec, s[2:3]
	v_mov_b32_e32 v17, 0
	v_mov_b32_e32 v10, 0
	;; [unrolled: 1-line block ×5, first 2 shown]
	s_and_saveexec_b64 s[2:3], vcc
	s_cbranch_execz .LBB763_25
; %bb.24:
	v_mad_i64_i32 v[10:11], s[16:17], s15, v20, 0
	v_lshl_add_u64 v[10:11], v[10:11], 1, s[4:5]
	v_lshlrev_b32_e32 v12, 1, v18
	v_mov_b32_e32 v13, 0
	v_lshl_add_u64 v[10:11], v[10:11], 0, v[12:13]
	global_load_dwordx4 v[10:13], v[10:11], off offset:128
.LBB763_25:
	s_or_b64 exec, exec, s[2:3]
	v_mov_b32_e32 v16, 0
	v_mov_b32_e32 v15, 0
	v_mov_b32_e32 v14, 0
	s_and_saveexec_b64 s[2:3], s[0:1]
	s_cbranch_execz .LBB763_27
; %bb.26:
	v_mad_i64_i32 v[14:15], s[0:1], s15, v21, 0
	v_lshl_add_u64 v[14:15], v[14:15], 1, s[4:5]
	v_lshlrev_b32_e32 v16, 1, v18
	v_mov_b32_e32 v17, 0
	v_lshl_add_u64 v[14:15], v[14:15], 0, v[16:17]
	global_load_dwordx4 v[14:17], v[14:15], off offset:128
.LBB763_27:
	s_or_b64 exec, exec, s[2:3]
	s_branch .LBB763_46
.LBB763_28:
                                        ; implicit-def: $vgpr5
                                        ; implicit-def: $vgpr9
                                        ; implicit-def: $vgpr13
                                        ; implicit-def: $vgpr17
	v_lshrrev_b32_e32 v37, 2, v50
	s_branch .LBB763_47
.LBB763_29:
                                        ; implicit-def: $vgpr12
                                        ; implicit-def: $vgpr13
                                        ; implicit-def: $sgpr22
	v_lshl_or_b32 v10, v58, 9, v10
.LBB763_30:
	v_or_b32_e32 v12, 0x100, v10
	s_movk_i32 s22, 0x4000
	v_mov_b32_e32 v13, v10
.LBB763_31:
	s_mul_hi_u32 s20, s14, s12
	s_mul_i32 s21, s53, s12
	s_add_i32 s20, s20, s21
	s_mul_i32 s21, s14, s12
	s_mul_i32 s23, s21, s3
	s_mul_hi_u32 s24, s21, s50
	s_add_i32 s23, s24, s23
	s_mul_i32 s20, s20, s50
	s_add_i32 s23, s23, s20
	s_mul_i32 s21, s21, s50
	s_ashr_i32 s59, s54, 31
	s_add_u32 s20, s21, s54
	s_addc_u32 s21, s23, s59
	s_lshl_b64 s[20:21], s[20:21], 8
	s_add_u32 s20, s4, s20
	s_addc_u32 s21, s5, s21
	s_and_b32 s21, s21, 0xffff
	s_mov_b32 s23, 0x20000
	s_movk_i32 s60, 0x80
	buffer_load_dwordx4 v[14:17], v13, s[20:23], 0 offen
	buffer_load_dwordx4 v[18:21], v13, s[20:23], s60 offen
	;; [unrolled: 1-line block ×4, first 2 shown]
	v_and_b32_e32 v12, 6, v0
	v_lshlrev_b32_e32 v30, 2, v53
	v_lshlrev_b32_e32 v31, 3, v53
	v_xor_b32_e32 v33, v58, v12
	v_and_b32_e32 v13, 1, v0
	s_mul_i32 s3, s3, s12
	s_mul_hi_u32 s20, s50, s12
	v_lshl_or_b32 v31, v56, 5, v31
	v_xor_b32_e32 v34, v56, v30
	v_lshlrev_b32_e32 v33, 2, v33
	v_or_b32_e32 v64, 0x9000, v31
	v_or_b32_e32 v65, 0x9800, v31
	v_lshlrev_b32_e32 v31, 1, v34
	v_xor_b32_e32 v34, 0x440, v33
	v_cmp_eq_u32_e32 vcc, 0, v13
	s_add_i32 s65, s20, s3
	s_add_i32 s3, s44, s33
	v_cndmask_b32_e32 v13, v34, v33, vcc
	s_add_i32 s20, s46, s39
	s_add_i32 s37, s3, s45
	s_mov_b32 s62, 0x1000504
	v_lshlrev_b32_e32 v32, 8, v53
	s_mov_b32 s22, 0x8000
	v_xor_b32_e32 v30, v57, v30
	v_lshl_or_b32 v12, v12, 10, v13
	s_add_i32 s35, s20, s47
	s_lshl_b64 s[20:21], s[36:37], 2
	s_mov_b32 s63, 0x3020706
	v_lshlrev_b32_e32 v30, 1, v30
	v_or3_b32 v66, v31, v32, s22
	v_xor_b32_e32 v13, 8, v12
	v_xor_b32_e32 v31, 24, v12
	;; [unrolled: 1-line block ×4, first 2 shown]
	s_add_u32 s3, s10, s20
	v_or3_b32 v67, v30, v32, s22
	v_xor_b32_e32 v30, 16, v12
	v_xor_b32_e32 v32, 32, v12
	;; [unrolled: 1-line block ×3, first 2 shown]
	v_add_u32_e32 v13, 0x80, v13
	v_add_u32_e32 v31, 0x80, v31
	;; [unrolled: 1-line block ×4, first 2 shown]
	s_addc_u32 s24, s11, s21
	s_lshl_b64 s[20:21], s[34:35], 2
	s_add_u32 s40, s3, s20
	s_movk_i32 s3, 0xf8
	s_addc_u32 s41, s24, s21
	v_ashrrev_i32_e32 v43, 31, v42
	s_lshl_b32 s26, s15, 7
	s_mov_b32 s61, 0
	s_mul_i32 s64, s50, s12
	v_mov_b32_e32 v81, 0x3fb8aa3b
	s_mov_b32 s37, 0
	s_waitcnt vmcnt(1)
	v_perm_b32 v36, v14, v22, s62
	s_waitcnt vmcnt(0)
	v_perm_b32 v37, v18, v26, s62
	v_perm_b32 v14, v14, v22, s63
	;; [unrolled: 1-line block ×15, first 2 shown]
	ds_write2st64_b32 v12, v36, v37 offset1:32
	ds_write2st64_b32 v13, v14, v18 offset1:32
	ds_write2st64_b32 v30, v22, v26 offset0:1 offset1:33
	ds_write2st64_b32 v31, v15, v19 offset0:1 offset1:33
	ds_write2st64_b32 v32, v23, v27 offset0:2 offset1:34
	ds_write2st64_b32 v33, v16, v20 offset0:2 offset1:34
	ds_write2st64_b32 v34, v24, v28 offset0:3 offset1:35
	ds_write2st64_b32 v35, v17, v21 offset0:3 offset1:35
	v_or_b32_e32 v12, v1, v53
	v_lshlrev_b32_e32 v12, 3, v12
	v_lshrrev_b32_e32 v14, 5, v50
	v_and_or_b32 v14, v12, s3, v14
	v_lshlrev_b32_e32 v14, 4, v14
	v_lshlrev_b32_e32 v20, 11, v51
	v_and_b32_e32 v12, 0x78, v12
	v_or_b32_e32 v17, 32, v14
	v_and_b32_e32 v13, 0x1000, v20
	v_lshrrev_b32_e32 v21, 1, v0
	v_xor_b32_e32 v17, v17, v12
	v_and_b32_e32 v16, 8, v21
	v_or_b32_e32 v17, v17, v13
	v_xor_b32_e32 v15, v14, v12
	v_xor_b32_e32 v70, v17, v16
	v_or_b32_e32 v17, 64, v14
	v_or_b32_e32 v14, 0x60, v14
	v_xor_b32_e32 v17, v17, v12
	v_xor_b32_e32 v12, v14, v12
	v_or_b32_e32 v15, v15, v13
	v_or_b32_e32 v17, v17, v13
	;; [unrolled: 1-line block ×3, first 2 shown]
	v_xor_b32_e32 v68, v15, v16
	v_xor_b32_e32 v71, v17, v16
	;; [unrolled: 1-line block ×3, first 2 shown]
	v_lshrrev_b32_e32 v16, 4, v0
	v_lshlrev_b32_e32 v17, 1, v53
	s_ashr_i32 s3, s2, 31
	v_or_b32_e32 v18, 1, v17
	v_xor_b32_e32 v17, v16, v17
	s_lshl_b64 s[20:21], s[2:3], 8
	v_xor_b32_e32 v18, v18, v16
	v_lshlrev_b32_e32 v17, 3, v17
	v_lshlrev_b32_e32 v16, 8, v16
	v_lshlrev_b64 v[12:13], 1, v[42:43]
	s_add_u32 s20, s18, s20
	v_or3_b32 v43, v17, v16, s22
	v_lshlrev_b32_e32 v17, 3, v18
	s_addc_u32 s21, s19, s21
	v_or3_b32 v74, v17, v16, s22
	v_mov_b32_e32 v17, 0
	v_lshl_add_u64 v[18:19], s[20:21], 0, v[16:17]
	v_lshlrev_b32_e32 v16, 4, v53
	s_movk_i32 s3, 0xff
	v_lshlrev_b32_e32 v25, 3, v51
	v_and_b32_e32 v21, 24, v21
	v_lshl_add_u64 v[44:45], v[18:19], 0, v[16:17]
	v_and_b32_e32 v18, 8, v0
	v_cmp_lt_u32_e32 vcc, s3, v0
	v_xor_b32_e32 v26, v25, v21
	v_or_b32_e32 v27, 0x440, v26
	v_cndmask_b32_e64 v24, 0, 1, vcc
	v_cmp_eq_u32_e32 vcc, 0, v18
	v_and_b32_e32 v16, 7, v0
	v_lshlrev_b32_e32 v19, 3, v16
	v_cndmask_b32_e32 v18, v27, v26, vcc
	v_lshlrev_b32_e32 v16, 7, v16
	v_or_b32_e32 v18, v18, v20
	v_xad_u32 v75, v18, v19, v16
	v_or_b32_e32 v18, 32, v21
	v_xor_b32_e32 v18, v25, v18
	v_or_b32_e32 v26, 0x440, v18
	v_cndmask_b32_e32 v18, v26, v18, vcc
	v_or_b32_e32 v18, v18, v20
	v_xad_u32 v76, v18, v19, v16
	v_or_b32_e32 v18, 64, v21
	v_xor_b32_e32 v18, v25, v18
	v_xor_b32_e32 v26, 0x440, v18
	v_cndmask_b32_e32 v18, v26, v18, vcc
	v_or_b32_e32 v18, v18, v20
	v_xad_u32 v77, v18, v19, v16
	v_or_b32_e32 v18, 0x60, v21
	v_xor_b32_e32 v18, v25, v18
	v_xor_b32_e32 v21, 0x440, v18
	v_and_b32_e32 v15, 0x78, v54
	v_cndmask_b32_e32 v18, v21, v18, vcc
	v_lshl_or_b32 v15, v52, 7, v15
	v_or_b32_e32 v18, v18, v20
	v_or_b32_e32 v69, 0x9000, v15
	;; [unrolled: 1-line block ×3, first 2 shown]
	v_lshl_add_u64 v[14:15], s[8:9], 0, v[12:13]
	v_lshl_add_u64 v[12:13], s[28:29], 0, v[12:13]
	v_lshlrev_b32_e32 v22, 1, v11
	v_add_lshl_u32 v11, v11, s15, 1
	v_or_b32_e32 v23, 0x100, v10
	v_lshlrev_b32_e32 v24, 13, v24
	v_xad_u32 v78, v18, v19, v16
	v_lshlrev_b32_e32 v16, 8, v56
	v_cndmask_b32_e64 v79, v22, v10, s[0:1]
	v_cndmask_b32_e64 v80, v11, v23, s[0:1]
	v_lshl_add_u64 v[46:47], v[14:15], 0, v[16:17]
	v_lshl_add_u64 v[48:49], v[12:13], 0, v[16:17]
	s_mov_b32 s3, 0x7060302
	s_movk_i32 s22, 0x4000
	v_add_u32_e32 v82, v24, v75
	v_add_u32_e32 v83, v24, v76
	;; [unrolled: 1-line block ×4, first 2 shown]
	s_waitcnt lgkmcnt(0)
	s_barrier
.LBB763_32:                             ; =>This Inner Loop Header: Depth=1
	s_add_i32 s35, s37, 1
	s_cmp_lt_i32 s35, s51
	s_mov_b64 s[24:25], 0
	s_cselect_b64 s[42:43], -1, 0
	s_cmp_ge_i32 s35, s51
	s_mov_b64 s[20:21], 0
	s_cbranch_scc1 .LBB763_34
; %bb.33:                               ;   in Loop: Header=BB763_32 Depth=1
	s_add_i32 s0, s61, 64
	s_add_u32 s0, s16, s0
	s_addc_u32 s1, s17, 0
	s_lshl_b64 s[0:1], s[0:1], 8
	s_add_u32 s20, s6, s0
	s_addc_u32 s21, s7, s1
.LBB763_34:                             ;   in Loop: Header=BB763_32 Depth=1
	v_cndmask_b32_e64 v10, 0, 1, s[42:43]
	v_cmp_ne_u32_e64 s[0:1], 1, v10
	s_andn2_b64 vcc, exec, s[42:43]
	s_cbranch_vccnz .LBB763_36
; %bb.35:                               ;   in Loop: Header=BB763_32 Depth=1
	s_add_i32 s24, s61, 64
	s_add_u32 s24, s64, s24
	s_addc_u32 s25, s65, 0
	s_mul_i32 s27, s24, s53
	s_mul_hi_u32 s42, s24, s58
	s_add_i32 s27, s42, s27
	s_mul_i32 s25, s25, s58
	s_add_i32 s27, s27, s25
	s_mul_i32 s24, s24, s58
	s_add_u32 s24, s24, s54
	s_addc_u32 s25, s27, s59
	s_lshl_b64 s[24:25], s[24:25], 8
	s_add_u32 s24, s4, s24
	s_addc_u32 s25, s5, s25
.LBB763_36:                             ;   in Loop: Header=BB763_32 Depth=1
	v_perm_b32 v11, v9, v8, s3
	v_perm_b32 v10, v7, v6, s3
	;; [unrolled: 1-line block ×4, first 2 shown]
	ds_write_b64 v64, v[10:11]
	ds_write_b64 v65, v[12:13]
	ds_write_b64 v66, v[10:11]
	ds_write_b64 v67, v[12:13]
	s_waitcnt lgkmcnt(0)
	s_barrier
	ds_read_b64 v[18:19], v68 offset:16384
	ds_read_b64 v[20:21], v70 offset:16384
	ds_read2st64_b64 v[10:13], v69 offset1:1
	ds_read2st64_b64 v[14:17], v69 offset0:2 offset1:3
	ds_read_b64 v[22:23], v71 offset:16384
	s_waitcnt lgkmcnt(2)
	v_mfma_f32_16x16x16_bf16 a[0:3], v[18:19], v[10:11], 0
	ds_read_b64 v[10:11], v72 offset:16384
	s_add_i32 s27, s61, 63
	s_mul_i32 s42, s27, s31
	v_mfma_f32_16x16x16_bf16 a[0:3], v[20:21], v[12:13], a[0:3]
	s_mul_hi_u32 s43, s27, s30
	s_add_i32 s43, s43, s42
	s_mul_i32 s42, s27, s30
	s_waitcnt lgkmcnt(1)
	v_mfma_f32_16x16x16_bf16 a[0:3], v[22:23], v[14:15], a[0:3]
	s_lshl_b64 s[42:43], s[42:43], 2
	s_add_u32 s42, s40, s42
	s_addc_u32 s43, s41, s43
	s_waitcnt lgkmcnt(0)
	v_mfma_f32_16x16x16_bf16 a[0:3], v[10:11], v[16:17], a[0:3]
	s_and_b64 vcc, exec, s[0:1]
	v_mov_b32_e32 v88, 0
	v_mov_b32_e32 v87, 0
	v_mov_b32_e32 v86, 0
	v_mov_b32_e32 v10, 0
	v_mov_b32_e32 v11, 0
	v_mov_b32_e32 v12, 0
	v_mov_b32_e32 v13, 0
	v_mov_b32_e32 v14, 0
	v_mov_b32_e32 v15, 0
	v_mov_b32_e32 v16, 0
	v_mov_b32_e32 v17, 0
	v_mov_b32_e32 v18, 0
	v_mov_b32_e32 v19, 0
	v_mov_b32_e32 v20, 0
	v_mov_b32_e32 v21, 0
	v_mov_b32_e32 v22, 0
	v_mov_b32_e32 v23, 0
	v_mov_b32_e32 v24, 0
	v_mov_b32_e32 v25, 0
	s_cbranch_vccnz .LBB763_38
; %bb.37:                               ;   in Loop: Header=BB763_32 Depth=1
	s_and_b32 s21, s21, 0xffff
	buffer_load_dwordx4 v[22:25], v60, s[20:23], 0 offen
	buffer_load_dwordx4 v[18:21], v60, s[20:23], s60 offen
	;; [unrolled: 1-line block ×4, first 2 shown]
	v_mov_b32_e32 v87, v62
	v_mov_b32_e32 v86, v63
.LBB763_38:                             ;   in Loop: Header=BB763_32 Depth=1
	s_waitcnt vmcnt(3)
	v_add_u32_e32 v32, s61, v56
	s_waitcnt vmcnt(1)
	v_ashrrev_i32_e32 v26, 31, v32
	v_mul_lo_u32 v28, v26, s30
	v_mul_lo_u32 v29, v32, s31
	v_mad_u64_u32 v[26:27], s[20:21], v32, s30, 0
	v_add3_u32 v27, v27, v29, v28
	v_add_u32_e32 v28, 1, v32
	v_ashrrev_i32_e32 v29, 31, v28
	v_mul_lo_u32 v30, v29, s30
	v_mul_lo_u32 v31, v28, s31
	v_mad_u64_u32 v[28:29], s[20:21], v28, s30, 0
	v_add3_u32 v29, v29, v31, v30
	v_add_u32_e32 v30, 2, v32
	v_ashrrev_i32_e32 v31, 31, v30
	v_mul_lo_u32 v33, v31, s30
	v_mul_lo_u32 v34, v30, s31
	v_mad_u64_u32 v[30:31], s[20:21], v30, s30, 0
	s_add_u32 s20, s16, s61
	v_add3_u32 v31, v31, v34, v33
	v_add_u32_e32 v34, 3, v32
	s_addc_u32 s21, s17, 0
	v_ashrrev_i32_e32 v32, 31, v34
	s_lshl_b64 s[66:67], s[20:21], 8
	v_lshl_add_u64 v[26:27], v[26:27], 2, s[40:41]
	v_mul_lo_u32 v35, v32, s30
	v_lshl_add_u64 v[32:33], v[46:47], 0, s[66:67]
	v_mul_lo_u32 v36, v34, s31
	global_load_ushort v90, v[32:33], off
	global_load_ushort v91, v[32:33], off offset:256
	global_load_ushort v92, v[32:33], off offset:512
	;; [unrolled: 1-line block ×3, first 2 shown]
	global_load_dword v94, v[26:27], off
	v_mad_u64_u32 v[26:27], s[20:21], v34, s30, 0
	v_lshl_add_u64 v[28:29], v[28:29], 2, s[40:41]
	v_add3_u32 v27, v27, v36, v35
	v_lshl_add_u64 v[30:31], v[30:31], 2, s[40:41]
	v_lshl_add_u64 v[26:27], v[26:27], 2, s[40:41]
	global_load_dword v95, v[28:29], off
	global_load_dword v96, v[30:31], off
	;; [unrolled: 1-line block ×3, first 2 shown]
	ds_read_b64 v[26:27], v68 offset:24576
	s_load_dword s20, s[42:43], 0x0
	ds_read_b64 v[36:37], v70 offset:24576
	ds_read2st64_b64 v[28:31], v73 offset1:1
	ds_read2st64_b64 v[32:35], v73 offset0:2 offset1:3
	ds_read_b64 v[38:39], v71 offset:24576
	ds_read_b64 v[40:41], v72 offset:24576
	s_waitcnt lgkmcnt(0)
	v_mfma_f32_16x16x16_bf16 a[0:3], v[26:27], v[28:29], a[0:3]
	v_mov_b32_e32 v89, 0
	v_mov_b32_e32 v26, 0
	;; [unrolled: 1-line block ×3, first 2 shown]
	v_mfma_f32_16x16x16_bf16 a[0:3], v[36:37], v[30:31], a[0:3]
	v_lshl_add_u64 v[36:37], v[48:49], 0, s[66:67]
	v_mov_b32_e32 v28, 0
	v_mov_b32_e32 v29, 0
	v_mfma_f32_16x16x16_bf16 a[0:3], v[38:39], v[32:33], a[0:3]
	v_mov_b32_e32 v30, 0
	v_mov_b32_e32 v31, 0
	;; [unrolled: 1-line block ×3, first 2 shown]
	v_mfma_f32_16x16x16_bf16 a[0:3], v[40:41], v[34:35], a[0:3]
	s_and_b64 vcc, exec, s[0:1]
	s_waitcnt vmcnt(7)
	v_lshlrev_b32_e32 v40, 16, v90
	s_nop 3
	v_accvgpr_read_b32 v39, a1
	v_accvgpr_read_b32 v35, a3
	;; [unrolled: 1-line block ×4, first 2 shown]
	s_waitcnt vmcnt(6)
	v_lshlrev_b32_e32 v41, 16, v91
	s_waitcnt vmcnt(4)
	v_lshlrev_b32_e32 v91, 16, v93
	v_lshlrev_b32_e32 v90, 16, v92
	s_waitcnt vmcnt(3)
	v_sub_f32_e32 v33, s20, v94
	v_pk_add_f32 v[38:39], v[40:41], v[38:39] neg_lo:[0,1] neg_hi:[0,1]
	v_pk_add_f32 v[34:35], v[90:91], v[34:35] neg_lo:[0,1] neg_hi:[0,1]
	v_mul_f32_e32 v33, 0x3fb8aa3b, v33
	s_waitcnt vmcnt(2)
	v_sub_f32_e32 v41, s20, v95
	s_waitcnt vmcnt(1)
	v_sub_f32_e32 v90, s20, v96
	;; [unrolled: 2-line block ×3, first 2 shown]
	v_exp_f32_e32 v40, v33
	v_mul_f32_e32 v33, 0x3fb8aa3b, v41
	v_mul_f32_e32 v90, 0x3fb8aa3b, v90
	;; [unrolled: 1-line block ×3, first 2 shown]
	v_exp_f32_e32 v41, v33
	v_exp_f32_e32 v90, v90
	;; [unrolled: 1-line block ×3, first 2 shown]
	global_store_short_d16_hi v[36:37], v38, off
	global_store_short_d16_hi v[36:37], v39, off offset:256
	global_store_short_d16_hi v[36:37], v34, off offset:512
	;; [unrolled: 1-line block ×3, first 2 shown]
	v_pk_mul_f32 v[36:37], v[40:41], v[38:39]
	v_pk_mul_f32 v[34:35], v[90:91], v[34:35]
	v_mov_b32_e32 v33, 0
	v_perm_b32 v35, v35, v34, s3
	v_perm_b32 v34, v37, v36, s3
	ds_write_b64 v65, v[34:35]
	v_mov_b32_e32 v34, 0
	v_mov_b32_e32 v35, 0
	;; [unrolled: 1-line block ×8, first 2 shown]
	s_cbranch_vccnz .LBB763_40
; %bb.39:                               ;   in Loop: Header=BB763_32 Depth=1
	s_and_b32 s25, s25, 0xffff
	s_mov_b32 s27, s23
	buffer_load_dwordx4 v[38:41], v79, s[24:27], 0 offen
	buffer_load_dwordx4 v[30:33], v79, s[24:27], s60 offen
	;; [unrolled: 1-line block ×4, first 2 shown]
	v_mov_b32_e32 v88, v59
	v_mov_b32_e32 v89, v58
.LBB763_40:                             ;   in Loop: Header=BB763_32 Depth=1
	s_waitcnt lgkmcnt(0)
	s_barrier
	ds_read_b64 v[98:99], v82
	ds_read2st64_b64 v[90:93], v73 offset1:1
	ds_read2st64_b64 v[94:97], v73 offset0:2 offset1:3
	ds_read_b64 v[100:101], v83
	ds_read_b64 v[102:103], v84
	;; [unrolled: 1-line block ×3, first 2 shown]
	s_waitcnt lgkmcnt(4)
	v_mfma_f32_16x16x16_bf16 a[0:3], v[98:99], v[90:91], 0
	ds_read_b64 v[98:99], v75 offset:8192
	ds_read_b64 v[106:107], v76 offset:8192
	s_add_i32 s21, s55, s37
	s_mul_hi_i32 s25, s21, s13
	s_waitcnt lgkmcnt(1)
	v_mfma_f32_16x16x16_bf16 a[4:7], v[98:99], v[90:91], 0
	s_mul_i32 s21, s21, s13
	s_add_u32 s24, s21, s48
	s_addc_u32 s25, s25, s52
	v_mfma_f32_16x16x16_bf16 a[0:3], v[100:101], v[92:93], a[0:3]
	ds_read_b64 v[98:99], v43
	ds_read_b64 v[100:101], v74
	ds_read_b64 v[90:91], v77 offset:8192
	s_lshl_b64 s[24:25], s[24:25], 15
	v_mfma_f32_16x16x16_bf16 a[0:3], v[102:103], v[94:95], a[0:3]
	ds_read_b64 v[102:103], v78 offset:8192
	s_and_b64 vcc, exec, s[0:1]
	s_waitcnt lgkmcnt(4)
	v_mfma_f32_16x16x16_bf16 a[4:7], v[106:107], v[92:93], a[4:7]
	s_waitcnt lgkmcnt(1)
	v_mfma_f32_16x16x16_bf16 a[4:7], v[90:91], v[94:95], a[4:7]
	v_lshl_add_u64 v[90:91], v[44:45], 0, s[24:25]
	global_store_dwordx4 v[90:91], v[98:101], off
	v_mfma_f32_16x16x16_bf16 a[0:3], v[104:105], v[96:97], a[0:3]
	s_waitcnt lgkmcnt(0)
	v_mfma_f32_16x16x16_bf16 a[4:7], v[102:103], v[96:97], a[4:7]
	s_cbranch_vccnz .LBB763_42
; %bb.41:                               ;   in Loop: Header=BB763_32 Depth=1
	v_lshrrev_b32_e32 v90, 3, v88
	v_and_b32_e32 v90, 6, v90
	v_xor_b32_e32 v89, v90, v89
	v_lshlrev_b32_e32 v89, 2, v89
	v_and_b32_e32 v88, 8, v88
	v_xor_b32_e32 v91, 0x440, v89
	v_cmp_eq_u32_e32 vcc, 0, v88
	s_barrier
	s_nop 0
	v_cndmask_b32_e32 v88, v91, v89, vcc
	v_lshl_or_b32 v88, v90, 10, v88
	s_waitcnt vmcnt(2)
	v_perm_b32 v89, v38, v34, s62
	s_waitcnt vmcnt(1)
	v_perm_b32 v90, v30, v26, s62
	ds_write2st64_b32 v88, v89, v90 offset1:32
	v_xor_b32_e32 v89, 8, v88
	v_perm_b32 v34, v38, v34, s63
	v_perm_b32 v26, v30, v26, s63
	v_add_u32_e32 v30, 0x80, v89
	ds_write2st64_b32 v30, v34, v26 offset1:32
	v_xor_b32_e32 v26, 16, v88
	v_perm_b32 v30, v39, v35, s62
	v_perm_b32 v34, v31, v27, s62
	ds_write2st64_b32 v26, v30, v34 offset0:1 offset1:33
	v_xor_b32_e32 v26, 24, v88
	v_perm_b32 v30, v39, v35, s63
	v_perm_b32 v27, v31, v27, s63
	v_add_u32_e32 v26, 0x80, v26
	ds_write2st64_b32 v26, v30, v27 offset0:1 offset1:33
	v_xor_b32_e32 v26, 32, v88
	v_perm_b32 v27, v40, v36, s62
	v_perm_b32 v30, v32, v28, s62
	ds_write2st64_b32 v26, v27, v30 offset0:2 offset1:34
	v_xor_b32_e32 v26, 40, v88
	v_perm_b32 v27, v40, v36, s63
	v_perm_b32 v28, v32, v28, s63
	v_add_u32_e32 v26, 0x80, v26
	ds_write2st64_b32 v26, v27, v28 offset0:2 offset1:34
	;; [unrolled: 9-line block ×3, first 2 shown]
	ds_write_b64 v87, v[22:23] offset:16384
	v_xor_b32_e32 v22, 8, v87
	ds_write_b64 v22, v[24:25] offset:16384
	ds_write_b64 v87, v[18:19] offset:24576
	;; [unrolled: 1-line block ×4, first 2 shown]
	v_xor_b32_e32 v14, 8, v86
	ds_write_b64 v14, v[16:17] offset:16384
	ds_write_b64 v86, v[10:11] offset:24576
	;; [unrolled: 1-line block ×3, first 2 shown]
.LBB763_42:                             ;   in Loop: Header=BB763_32 Depth=1
	v_mul_f32_e32 v10, s20, v81
	v_exp_f32_e32 v12, v10
	s_nop 1
	v_accvgpr_read_b32 v11, a1
	v_accvgpr_read_b32 v10, a0
	s_add_i32 s61, s61, 64
	v_fma_f32 v7, v7, v12, v11
	v_accvgpr_read_b32 v11, a3
	v_fmac_f32_e32 v11, v9, v12
	v_accvgpr_read_b32 v9, a4
	v_fma_f32 v6, v6, v12, v10
	v_accvgpr_read_b32 v10, a2
	v_fma_f32 v2, v2, v12, v9
	;; [unrolled: 2-line block ×3, first 2 shown]
	v_fma_f32 v3, v3, v12, v9
	v_accvgpr_read_b32 v9, a6
	v_accvgpr_read_b32 v10, a7
	v_fma_f32 v4, v4, v12, v9
	s_cmp_eq_u32 s51, s35
	v_fmac_f32_e32 v10, v5, v12
	s_cbranch_scc1 .LBB763_4
; %bb.43:                               ;   in Loop: Header=BB763_32 Depth=1
	s_mov_b32 s37, s35
	v_mov_b32_e32 v9, v11
	v_mov_b32_e32 v5, v10
	s_branch .LBB763_32
.LBB763_44:
                                        ; implicit-def: $vgpr5
                                        ; implicit-def: $vgpr9
                                        ; implicit-def: $vgpr13
                                        ; implicit-def: $vgpr17
	s_cbranch_execz .LBB763_46
; %bb.45:
	s_waitcnt vmcnt(0)
	v_mad_u64_u32 v[2:3], s[0:1], v20, s15, v[18:19]
	v_lshlrev_b32_e32 v20, 1, v2
	s_lshl_b32 s2, s15, 7
	s_and_b32 s1, s5, 0xffff
	s_mov_b32 s3, 0x20000
	s_mov_b32 s0, s4
	v_add_lshl_u32 v21, v2, s15, 1
	s_movk_i32 s13, 0x80
	buffer_load_dwordx4 v[2:5], v20, s[0:3], 0 offen
	buffer_load_dwordx4 v[10:13], v20, s[0:3], s13 offen
	;; [unrolled: 1-line block ×4, first 2 shown]
.LBB763_46:
	v_lshrrev_b32_e32 v37, 2, v50
	s_cbranch_execnz .LBB763_59
.LBB763_47:
	s_and_b64 vcc, exec, s[6:7]
	s_cbranch_vccz .LBB763_57
; %bb.48:
	s_waitcnt vmcnt(0)
	v_lshlrev_b32_e32 v7, 1, v35
	v_cmp_gt_i32_e32 vcc, s27, v7
	v_mov_b32_e32 v6, 0
	v_lshlrev_b32_e32 v14, 9, v35
	v_mov_b32_e32 v2, 0
	v_mov_b32_e32 v3, 0
	;; [unrolled: 1-line block ×4, first 2 shown]
	s_and_saveexec_b64 s[0:1], vcc
	s_cbranch_execz .LBB763_50
; %bb.49:
	v_mov_b32_e32 v15, 0
	v_lshl_add_u64 v[2:3], s[4:5], 0, v[14:15]
	v_lshlrev_b32_e32 v4, 1, v18
	v_mov_b32_e32 v5, v15
	v_lshl_add_u64 v[2:3], v[2:3], 0, v[4:5]
	global_load_dwordx4 v[2:5], v[2:3], off
.LBB763_50:
	s_or_b64 exec, exec, s[0:1]
	v_or_b32_e32 v7, 1, v7
	v_cmp_gt_i32_e64 s[0:1], s27, v7
	v_lshlrev_b32_e32 v20, 8, v7
	v_mov_b32_e32 v7, 0
	v_mov_b32_e32 v8, 0
	;; [unrolled: 1-line block ×3, first 2 shown]
	s_and_saveexec_b64 s[2:3], s[0:1]
	s_cbranch_execz .LBB763_52
; %bb.51:
	v_mov_b32_e32 v21, 0
	v_lshl_add_u64 v[6:7], s[4:5], 0, v[20:21]
	v_lshlrev_b32_e32 v8, 1, v18
	v_mov_b32_e32 v9, v21
	v_lshl_add_u64 v[6:7], v[6:7], 0, v[8:9]
	global_load_dwordx4 v[6:9], v[6:7], off
.LBB763_52:
	s_or_b64 exec, exec, s[2:3]
	v_mov_b32_e32 v17, 0
	v_mov_b32_e32 v10, 0
	;; [unrolled: 1-line block ×5, first 2 shown]
	s_and_saveexec_b64 s[2:3], vcc
	s_cbranch_execz .LBB763_54
; %bb.53:
	v_mov_b32_e32 v15, 0
	v_lshl_add_u64 v[10:11], s[4:5], 0, v[14:15]
	v_lshlrev_b32_e32 v14, 1, v18
	v_lshl_add_u64 v[10:11], v[10:11], 0, v[14:15]
	global_load_dwordx4 v[10:13], v[10:11], off offset:128
.LBB763_54:
	s_or_b64 exec, exec, s[2:3]
	v_mov_b32_e32 v16, 0
	v_mov_b32_e32 v15, 0
	;; [unrolled: 1-line block ×3, first 2 shown]
	s_and_saveexec_b64 s[2:3], s[0:1]
	s_cbranch_execz .LBB763_56
; %bb.55:
	v_mov_b32_e32 v21, 0
	v_lshl_add_u64 v[14:15], s[4:5], 0, v[20:21]
	v_lshlrev_b32_e32 v20, 1, v18
	v_lshl_add_u64 v[14:15], v[14:15], 0, v[20:21]
	global_load_dwordx4 v[14:17], v[14:15], off offset:128
.LBB763_56:
	s_or_b64 exec, exec, s[2:3]
	s_branch .LBB763_59
.LBB763_57:
                                        ; implicit-def: $vgpr5
                                        ; implicit-def: $vgpr9
                                        ; implicit-def: $vgpr13
                                        ; implicit-def: $vgpr17
	s_cbranch_execz .LBB763_59
; %bb.58:
	s_waitcnt vmcnt(0)
	v_lshlrev_b32_e32 v2, 1, v18
	v_lshl_or_b32 v18, v35, 9, v2
	s_and_b32 s5, s5, 0xffff
	s_mov_b32 s7, 0x20000
	s_movk_i32 s6, 0x4000
	s_movk_i32 s0, 0x80
	buffer_load_dwordx4 v[2:5], v18, s[4:7], 0 offen
	buffer_load_dwordx4 v[6:9], v18, s[4:7], 0 offen offset:256
	buffer_load_dwordx4 v[10:13], v18, s[4:7], s0 offen
	buffer_load_dwordx4 v[14:17], v18, s[4:7], s0 offen offset:256
.LBB763_59:
	ds_read2st64_b64 v[22:25], v19 offset0:76 offset1:77
	ds_read2st64_b64 v[18:21], v19 offset0:78 offset1:79
	ds_read_b64 v[32:33], v26 offset:24576
	ds_read_b64 v[30:31], v27 offset:24576
	;; [unrolled: 1-line block ×4, first 2 shown]
	v_and_b32_e32 v36, 6, v0
	v_xor_b32_e32 v35, v35, v36
	v_lshlrev_b32_e32 v35, 2, v35
	v_and_b32_e32 v0, 1, v0
	v_xor_b32_e32 v38, 0x440, v35
	v_cmp_eq_u32_e32 vcc, 0, v0
	s_mov_b32 s0, 0x1000504
	s_mov_b32 s1, 0x3020706
	v_cndmask_b32_e32 v0, v38, v35, vcc
	v_lshl_or_b32 v0, v36, 10, v0
	s_waitcnt vmcnt(0)
	v_perm_b32 v35, v2, v6, s0
	v_perm_b32 v36, v10, v14, s0
	ds_write2st64_b32 v0, v35, v36 offset1:32
	v_xor_b32_e32 v35, 8, v0
	v_perm_b32 v2, v2, v6, s1
	v_perm_b32 v6, v10, v14, s1
	v_add_u32_e32 v10, 0x80, v35
	ds_write2st64_b32 v10, v2, v6 offset1:32
	v_xor_b32_e32 v2, 16, v0
	v_perm_b32 v6, v3, v7, s0
	v_perm_b32 v10, v11, v15, s0
	ds_write2st64_b32 v2, v6, v10 offset0:1 offset1:33
	v_xor_b32_e32 v2, 24, v0
	v_perm_b32 v3, v3, v7, s1
	v_perm_b32 v6, v11, v15, s1
	v_add_u32_e32 v2, 0x80, v2
	ds_write2st64_b32 v2, v3, v6 offset0:1 offset1:33
	v_xor_b32_e32 v2, 32, v0
	v_perm_b32 v3, v4, v8, s0
	v_perm_b32 v6, v12, v16, s0
	ds_write2st64_b32 v2, v3, v6 offset0:2 offset1:34
	v_xor_b32_e32 v2, 40, v0
	v_perm_b32 v3, v4, v8, s1
	v_perm_b32 v4, v12, v16, s1
	v_add_u32_e32 v2, 0x80, v2
	ds_write2st64_b32 v2, v3, v4 offset0:2 offset1:34
	v_xor_b32_e32 v2, 48, v0
	v_perm_b32 v3, v5, v9, s0
	v_perm_b32 v4, v13, v17, s0
	v_xor_b32_e32 v0, 56, v0
	v_and_or_b32 v8, v37, 12, v1
	ds_write2st64_b32 v2, v3, v4 offset0:3 offset1:35
	v_perm_b32 v2, v5, v9, s1
	v_perm_b32 v3, v13, v17, s1
	v_add_u32_e32 v0, 0x80, v0
	v_cmp_gt_i32_e32 vcc, s27, v8
	v_mov_b32_e32 v9, 0
	v_mov_b32_e32 v14, 0
	ds_write2st64_b32 v0, v2, v3 offset0:3 offset1:35
	s_and_saveexec_b64 s[0:1], vcc
	s_cbranch_execz .LBB763_61
; %bb.60:
	v_add_u32_e32 v0, s26, v8
	v_ashrrev_i32_e32 v1, 31, v0
	v_mul_lo_u32 v2, v1, s30
	v_mul_lo_u32 v3, v0, s31
	v_mad_u64_u32 v[0:1], s[2:3], v0, s30, 0
	v_add3_u32 v1, v1, v3, v2
	v_lshl_add_u64 v[0:1], v[0:1], 2, s[10:11]
	global_load_dword v0, v[0:1], off
	s_waitcnt vmcnt(0)
	v_sub_f32_e32 v0, s12, v0
	v_mul_f32_e32 v0, 0x3fb8aa3b, v0
	v_exp_f32_e32 v14, v0
.LBB763_61:
	s_or_b64 exec, exec, s[0:1]
	v_or_b32_e32 v12, 1, v8
	v_cmp_gt_i32_e64 s[2:3], s27, v12
	s_and_saveexec_b64 s[0:1], s[2:3]
	s_cbranch_execz .LBB763_63
; %bb.62:
	v_add_u32_e32 v0, s26, v12
	v_ashrrev_i32_e32 v1, 31, v0
	v_mul_lo_u32 v2, v1, s30
	v_mul_lo_u32 v3, v0, s31
	v_mad_u64_u32 v[0:1], s[4:5], v0, s30, 0
	v_add3_u32 v1, v1, v3, v2
	v_lshl_add_u64 v[0:1], v[0:1], 2, s[10:11]
	global_load_dword v0, v[0:1], off
	s_waitcnt vmcnt(0)
	v_sub_f32_e32 v0, s12, v0
	v_mul_f32_e32 v0, 0x3fb8aa3b, v0
	v_exp_f32_e32 v9, v0
.LBB763_63:
	s_or_b64 exec, exec, s[0:1]
	v_or_b32_e32 v11, 2, v8
	v_cmp_gt_i32_e64 s[0:1], s27, v11
	v_mov_b32_e32 v10, 0
	v_mov_b32_e32 v15, 0
	s_and_saveexec_b64 s[4:5], s[0:1]
	s_cbranch_execz .LBB763_65
; %bb.64:
	v_add_u32_e32 v0, s26, v11
	v_ashrrev_i32_e32 v1, 31, v0
	v_mul_lo_u32 v2, v1, s30
	v_mul_lo_u32 v3, v0, s31
	v_mad_u64_u32 v[0:1], s[6:7], v0, s30, 0
	v_add3_u32 v1, v1, v3, v2
	v_lshl_add_u64 v[0:1], v[0:1], 2, s[10:11]
	global_load_dword v0, v[0:1], off
	s_waitcnt vmcnt(0)
	v_sub_f32_e32 v0, s12, v0
	v_mul_f32_e32 v0, 0x3fb8aa3b, v0
	v_exp_f32_e32 v15, v0
.LBB763_65:
	s_or_b64 exec, exec, s[4:5]
	v_or_b32_e32 v13, 3, v8
	v_cmp_gt_i32_e64 s[4:5], s27, v13
	s_and_saveexec_b64 s[6:7], s[4:5]
	s_cbranch_execz .LBB763_67
; %bb.66:
	v_add_u32_e32 v0, s26, v13
	v_ashrrev_i32_e32 v1, 31, v0
	v_mul_lo_u32 v2, v1, s30
	v_mul_lo_u32 v3, v0, s31
	v_mad_u64_u32 v[0:1], s[14:15], v0, s30, 0
	v_add3_u32 v1, v1, v3, v2
	v_lshl_add_u64 v[0:1], v[0:1], 2, s[10:11]
	global_load_dword v0, v[0:1], off
	s_waitcnt vmcnt(0)
	v_sub_f32_e32 v0, s12, v0
	v_mul_f32_e32 v0, 0x3fb8aa3b, v0
	v_exp_f32_e32 v10, v0
.LBB763_67:
	s_or_b64 exec, exec, s[6:7]
	s_waitcnt lgkmcnt(11)
	v_mfma_f32_16x16x16_bf16 a[0:3], v[32:33], v[22:23], a[0:3]
	s_add_u32 s6, s8, s20
	v_ashrrev_i32_e32 v43, 31, v42
	s_addc_u32 s7, s9, s21
	s_waitcnt lgkmcnt(10)
	v_mfma_f32_16x16x16_bf16 a[0:3], v[30:31], v[24:25], a[0:3]
	v_lshlrev_b64 v[0:1], 1, v[42:43]
	v_lshl_add_u64 v[4:5], s[6:7], 0, v[0:1]
	s_add_u32 s6, s28, s20
	s_waitcnt lgkmcnt(9)
	v_mfma_f32_16x16x16_bf16 a[0:3], v[28:29], v[18:19], a[0:3]
	s_addc_u32 s7, s29, s21
	v_lshl_add_u64 v[6:7], s[6:7], 0, v[0:1]
	v_mov_b32_e32 v16, 0
	s_waitcnt lgkmcnt(8)
	v_mfma_f32_16x16x16_bf16 a[0:3], v[26:27], v[20:21], a[0:3]
	v_mov_b32_e32 v17, 0
	s_nop 5
	v_accvgpr_read_b32 v0, a0
	v_accvgpr_read_b32 v1, a1
	;; [unrolled: 1-line block ×4, first 2 shown]
	s_and_saveexec_b64 s[6:7], vcc
	s_cbranch_execz .LBB763_69
; %bb.68:
	v_lshlrev_b32_e32 v18, 8, v8
	v_mov_b32_e32 v19, 0
	v_lshl_add_u64 v[20:21], v[4:5], 0, v[18:19]
	global_load_ushort v17, v[20:21], off
	v_lshl_add_u64 v[18:19], v[6:7], 0, v[18:19]
	s_waitcnt vmcnt(0)
	v_lshlrev_b32_e32 v17, 16, v17
	v_sub_f32_e32 v0, v17, v0
	global_store_short_d16_hi v[18:19], v0, off
	v_mul_f32_e32 v0, v14, v0
	v_lshrrev_b32_e32 v17, 16, v0
.LBB763_69:
	s_or_b64 exec, exec, s[6:7]
	s_and_saveexec_b64 s[6:7], s[2:3]
	s_cbranch_execz .LBB763_71
; %bb.70:
	v_lshlrev_b32_e32 v18, 8, v12
	v_mov_b32_e32 v19, 0
	v_lshl_add_u64 v[20:21], v[4:5], 0, v[18:19]
	global_load_ushort v0, v[20:21], off
	v_lshl_add_u64 v[18:19], v[6:7], 0, v[18:19]
	s_waitcnt vmcnt(0)
	v_lshlrev_b32_e32 v0, 16, v0
	v_sub_f32_e32 v0, v0, v1
	global_store_short_d16_hi v[18:19], v0, off
	v_mul_f32_e32 v0, v9, v0
	v_lshrrev_b32_e32 v16, 16, v0
.LBB763_71:
	s_or_b64 exec, exec, s[6:7]
	v_mov_b32_e32 v0, 0
	v_mov_b32_e32 v1, 0
	s_and_saveexec_b64 s[2:3], s[0:1]
	s_cbranch_execz .LBB763_73
; %bb.72:
	v_lshlrev_b32_e32 v18, 8, v11
	v_mov_b32_e32 v19, 0
	v_lshl_add_u64 v[20:21], v[4:5], 0, v[18:19]
	global_load_ushort v1, v[20:21], off
	v_lshl_add_u64 v[18:19], v[6:7], 0, v[18:19]
	s_waitcnt vmcnt(0)
	v_lshlrev_b32_e32 v1, 16, v1
	v_sub_f32_e32 v1, v1, v2
	global_store_short_d16_hi v[18:19], v1, off
	v_mul_f32_e32 v1, v15, v1
	v_lshrrev_b32_e32 v1, 16, v1
.LBB763_73:
	s_or_b64 exec, exec, s[2:3]
	s_and_saveexec_b64 s[0:1], s[4:5]
	s_cbranch_execz .LBB763_75
; %bb.74:
	v_lshlrev_b32_e32 v12, 8, v13
	v_mov_b32_e32 v13, 0
	v_lshl_add_u64 v[4:5], v[4:5], 0, v[12:13]
	global_load_ushort v0, v[4:5], off
	v_lshl_add_u64 v[4:5], v[6:7], 0, v[12:13]
	s_waitcnt vmcnt(0)
	v_lshlrev_b32_e32 v0, 16, v0
	v_sub_f32_e32 v0, v0, v3
	global_store_short_d16_hi v[4:5], v0, off
	v_mul_f32_e32 v0, v10, v0
	v_lshrrev_b32_e32 v0, 16, v0
.LBB763_75:
	s_or_b64 exec, exec, s[0:1]
	s_mov_b32 s0, 0x5040100
	v_lshlrev_b32_e32 v2, 1, v34
	v_perm_b32 v1, v0, v1, s0
	v_perm_b32 v0, v16, v17, s0
	v_lshl_or_b32 v2, v8, 5, v2
	ds_write_b64 v2, v[0:1] offset:38912
	s_waitcnt lgkmcnt(0)
	s_barrier
.LBB763_76:
	s_endpgm
	.section	.rodata,"a",@progbits
	.p2align	6, 0x0
	.amdhsa_kernel _ZN12_GLOBAL__N_139chunk_gated_delta_rule_fwd_h_hip_kernelILi16ELb1ELb0ELb1ELb0ELb0ELb0ELb0ELb0EEEvPK12hip_bfloat16S3_S3_PKfS5_PKvPS1_S8_PvPKiSB_iiiiilll
		.amdhsa_group_segment_fixed_size 40960
		.amdhsa_private_segment_fixed_size 0
		.amdhsa_kernarg_size 136
		.amdhsa_user_sgpr_count 2
		.amdhsa_user_sgpr_dispatch_ptr 0
		.amdhsa_user_sgpr_queue_ptr 0
		.amdhsa_user_sgpr_kernarg_segment_ptr 1
		.amdhsa_user_sgpr_dispatch_id 0
		.amdhsa_user_sgpr_kernarg_preload_length 0
		.amdhsa_user_sgpr_kernarg_preload_offset 0
		.amdhsa_user_sgpr_private_segment_size 0
		.amdhsa_uses_dynamic_stack 0
		.amdhsa_enable_private_segment 0
		.amdhsa_system_sgpr_workgroup_id_x 1
		.amdhsa_system_sgpr_workgroup_id_y 1
		.amdhsa_system_sgpr_workgroup_id_z 0
		.amdhsa_system_sgpr_workgroup_info 0
		.amdhsa_system_vgpr_workitem_id 0
		.amdhsa_next_free_vgpr 116
		.amdhsa_next_free_sgpr 68
		.amdhsa_accum_offset 108
		.amdhsa_reserve_vcc 1
		.amdhsa_float_round_mode_32 0
		.amdhsa_float_round_mode_16_64 0
		.amdhsa_float_denorm_mode_32 3
		.amdhsa_float_denorm_mode_16_64 3
		.amdhsa_dx10_clamp 1
		.amdhsa_ieee_mode 1
		.amdhsa_fp16_overflow 0
		.amdhsa_tg_split 0
		.amdhsa_exception_fp_ieee_invalid_op 0
		.amdhsa_exception_fp_denorm_src 0
		.amdhsa_exception_fp_ieee_div_zero 0
		.amdhsa_exception_fp_ieee_overflow 0
		.amdhsa_exception_fp_ieee_underflow 0
		.amdhsa_exception_fp_ieee_inexact 0
		.amdhsa_exception_int_div_zero 0
	.end_amdhsa_kernel
	.section	.text._ZN12_GLOBAL__N_139chunk_gated_delta_rule_fwd_h_hip_kernelILi16ELb1ELb0ELb1ELb0ELb0ELb0ELb0ELb0EEEvPK12hip_bfloat16S3_S3_PKfS5_PKvPS1_S8_PvPKiSB_iiiiilll,"axG",@progbits,_ZN12_GLOBAL__N_139chunk_gated_delta_rule_fwd_h_hip_kernelILi16ELb1ELb0ELb1ELb0ELb0ELb0ELb0ELb0EEEvPK12hip_bfloat16S3_S3_PKfS5_PKvPS1_S8_PvPKiSB_iiiiilll,comdat
.Lfunc_end763:
	.size	_ZN12_GLOBAL__N_139chunk_gated_delta_rule_fwd_h_hip_kernelILi16ELb1ELb0ELb1ELb0ELb0ELb0ELb0ELb0EEEvPK12hip_bfloat16S3_S3_PKfS5_PKvPS1_S8_PvPKiSB_iiiiilll, .Lfunc_end763-_ZN12_GLOBAL__N_139chunk_gated_delta_rule_fwd_h_hip_kernelILi16ELb1ELb0ELb1ELb0ELb0ELb0ELb0ELb0EEEvPK12hip_bfloat16S3_S3_PKfS5_PKvPS1_S8_PvPKiSB_iiiiilll
                                        ; -- End function
	.section	.AMDGPU.csdata,"",@progbits
; Kernel info:
; codeLenInByte = 7344
; NumSgprs: 74
; NumVgprs: 108
; NumAgprs: 8
; TotalNumVgprs: 116
; ScratchSize: 0
; MemoryBound: 0
; FloatMode: 240
; IeeeMode: 1
; LDSByteSize: 40960 bytes/workgroup (compile time only)
; SGPRBlocks: 9
; VGPRBlocks: 14
; NumSGPRsForWavesPerEU: 74
; NumVGPRsForWavesPerEU: 116
; AccumOffset: 108
; Occupancy: 1
; WaveLimiterHint : 1
; COMPUTE_PGM_RSRC2:SCRATCH_EN: 0
; COMPUTE_PGM_RSRC2:USER_SGPR: 2
; COMPUTE_PGM_RSRC2:TRAP_HANDLER: 0
; COMPUTE_PGM_RSRC2:TGID_X_EN: 1
; COMPUTE_PGM_RSRC2:TGID_Y_EN: 1
; COMPUTE_PGM_RSRC2:TGID_Z_EN: 0
; COMPUTE_PGM_RSRC2:TIDIG_COMP_CNT: 0
; COMPUTE_PGM_RSRC3_GFX90A:ACCUM_OFFSET: 26
; COMPUTE_PGM_RSRC3_GFX90A:TG_SPLIT: 0
	.section	.text._ZN12_GLOBAL__N_139chunk_gated_delta_rule_fwd_h_hip_kernelILi16ELb1ELb0ELb0ELb0ELb0ELb0ELb0ELb0EEEvPK12hip_bfloat16S3_S3_PKfS5_PKvPS1_S8_PvPKiSB_iiiiilll,"axG",@progbits,_ZN12_GLOBAL__N_139chunk_gated_delta_rule_fwd_h_hip_kernelILi16ELb1ELb0ELb0ELb0ELb0ELb0ELb0ELb0EEEvPK12hip_bfloat16S3_S3_PKfS5_PKvPS1_S8_PvPKiSB_iiiiilll,comdat
	.globl	_ZN12_GLOBAL__N_139chunk_gated_delta_rule_fwd_h_hip_kernelILi16ELb1ELb0ELb0ELb0ELb0ELb0ELb0ELb0EEEvPK12hip_bfloat16S3_S3_PKfS5_PKvPS1_S8_PvPKiSB_iiiiilll ; -- Begin function _ZN12_GLOBAL__N_139chunk_gated_delta_rule_fwd_h_hip_kernelILi16ELb1ELb0ELb0ELb0ELb0ELb0ELb0ELb0EEEvPK12hip_bfloat16S3_S3_PKfS5_PKvPS1_S8_PvPKiSB_iiiiilll
	.p2align	8
	.type	_ZN12_GLOBAL__N_139chunk_gated_delta_rule_fwd_h_hip_kernelILi16ELb1ELb0ELb0ELb0ELb0ELb0ELb0ELb0EEEvPK12hip_bfloat16S3_S3_PKfS5_PKvPS1_S8_PvPKiSB_iiiiilll,@function
_ZN12_GLOBAL__N_139chunk_gated_delta_rule_fwd_h_hip_kernelILi16ELb1ELb0ELb0ELb0ELb0ELb0ELb0ELb0EEEvPK12hip_bfloat16S3_S3_PKfS5_PKvPS1_S8_PvPKiSB_iiiiilll: ; @_ZN12_GLOBAL__N_139chunk_gated_delta_rule_fwd_h_hip_kernelILi16ELb1ELb0ELb0ELb0ELb0ELb0ELb0ELb0EEEvPK12hip_bfloat16S3_S3_PKfS5_PKvPS1_S8_PvPKiSB_iiiiilll
; %bb.0:
	s_load_dwordx4 s[12:15], s[0:1], 0x5c
	s_load_dwordx4 s[16:19], s[0:1], 0x28
	s_abs_i32 s6, s3
	s_ashr_i32 s5, s3, 31
	v_and_b32_e32 v51, 15, v0
	s_waitcnt lgkmcnt(0)
	s_abs_i32 s4, s13
	v_cvt_f32_u32_e32 v1, s4
	s_sub_i32 s8, 0, s4
	s_ashr_i32 s7, s13, 31
	s_xor_b32 s5, s5, s7
	v_rcp_iflag_f32_e32 v1, v1
	v_lshrrev_b32_e32 v49, 6, v0
	v_bfe_u32 v50, v0, 4, 2
	v_mov_b32_e32 v5, 0
	v_mul_f32_e32 v1, 0x4f7ffffe, v1
	v_cvt_u32_f32_e32 v1, v1
	v_and_b32_e32 v48, 63, v0
	v_lshrrev_b32_e32 v53, 3, v48
	v_lshlrev_b32_e32 v52, 3, v0
	v_readfirstlane_b32 s9, v1
	s_mul_i32 s8, s8, s9
	s_mul_hi_u32 s8, s9, s8
	s_add_i32 s9, s9, s8
	s_mul_hi_u32 s8, s6, s9
	s_mul_i32 s9, s8, s4
	s_sub_i32 s6, s6, s9
	s_add_i32 s10, s8, 1
	s_sub_i32 s9, s6, s4
	s_cmp_ge_u32 s6, s4
	s_cselect_b32 s8, s10, s8
	s_cselect_b32 s6, s9, s6
	s_add_i32 s9, s8, 1
	s_cmp_ge_u32 s6, s4
	s_cselect_b32 s6, s9, s8
	s_xor_b32 s6, s6, s5
	s_sub_i32 s48, s6, s5
	s_mul_i32 s6, s48, s13
	s_sub_i32 s46, s3, s6
	s_abs_i32 s3, s14
	v_cvt_f32_u32_e32 v1, s3
	s_add_i32 s8, s12, 63
	s_ashr_i32 s9, s8, 31
	s_lshr_b32 s5, s9, 26
	v_rcp_iflag_f32_e32 v1, v1
	s_ashr_i32 s47, s12, 31
	s_add_i32 s8, s8, s5
	s_lshr_b32 s5, s47, 26
	v_mul_f32_e32 v1, 0x4f7ffffe, v1
	v_cvt_u32_f32_e32 v1, v1
	s_add_i32 s5, s12, s5
	s_ashr_i32 s51, s14, 31
	s_ashr_i32 s24, s8, 6
	;; [unrolled: 1-line block ×3, first 2 shown]
	s_xor_b32 s5, s7, s51
	s_sub_i32 s7, 0, s3
	v_readfirstlane_b32 s8, v1
	s_mul_i32 s7, s7, s8
	s_mul_hi_u32 s7, s8, s7
	s_add_i32 s8, s8, s7
	s_mul_hi_u32 s7, s4, s8
	s_mul_i32 s8, s7, s3
	s_sub_i32 s4, s4, s8
	s_lshl_b32 s2, s2, 4
	s_add_i32 s8, s7, 1
	s_sub_i32 s9, s4, s3
	s_cmp_ge_u32 s4, s3
	s_cselect_b32 s7, s8, s7
	s_cselect_b32 s4, s9, s4
	s_add_i32 s8, s7, 1
	s_cmp_ge_u32 s4, s3
	s_cselect_b32 s3, s8, s7
	s_xor_b32 s3, s3, s5
	s_sub_i32 s3, s3, s5
	s_abs_i32 s4, s3
	v_cvt_f32_u32_e32 v1, s4
	s_sub_i32 s7, 0, s4
	s_abs_i32 s5, s46
	s_xor_b32 s3, s46, s3
	v_rcp_iflag_f32_e32 v1, v1
	s_ashr_i32 s3, s3, 31
	v_or_b32_e32 v42, s2, v51
	v_lshlrev_b32_e32 v2, 7, v42
	v_mul_f32_e32 v1, 0x4f7ffffe, v1
	v_cvt_u32_f32_e32 v1, v1
	v_ashrrev_i32_e32 v3, 31, v2
	s_mul_i32 s53, s48, s24
	v_readfirstlane_b32 s8, v1
	s_mul_i32 s7, s7, s8
	s_mul_hi_u32 s7, s8, s7
	s_add_i32 s8, s8, s7
	s_mul_hi_u32 s7, s5, s8
	s_mul_i32 s8, s7, s4
	s_sub_i32 s5, s5, s8
	s_add_i32 s8, s7, 1
	s_sub_i32 s9, s5, s4
	s_cmp_ge_u32 s5, s4
	s_cselect_b32 s7, s8, s7
	s_cselect_b32 s5, s9, s5
	s_add_i32 s8, s7, 1
	s_cmp_ge_u32 s5, s4
	s_cselect_b32 s4, s8, s7
	s_xor_b32 s4, s4, s3
	s_sub_i32 s52, s4, s3
	s_ashr_i32 s3, s48, 31
	s_ashr_i32 s50, s46, 31
	s_mul_hi_i32 s4, s48, s13
	s_add_u32 s36, s6, s46
	s_addc_u32 s37, s4, s50
	s_lshl_b64 s[4:5], s[36:37], 16
	v_lshlrev_b32_e32 v1, 4, v49
	s_add_u32 s4, s16, s4
	v_lshl_or_b32 v54, v50, 2, v1
	s_addc_u32 s5, s17, s5
	v_lshl_add_u64 v[2:3], v[2:3], 2, s[4:5]
	v_lshlrev_b32_e32 v4, 2, v54
	v_lshl_add_u64 v[10:11], v[2:3], 0, v[4:5]
	global_load_dwordx4 v[6:9], v[10:11], off
	global_load_dwordx4 v[2:5], v[10:11], off offset:256
	s_load_dwordx8 s[4:11], s[0:1], 0x0
	s_load_dwordx2 s[28:29], s[0:1], 0x80
	s_load_dwordx4 s[20:23], s[0:1], 0x70
	v_or_b32_e32 v55, 64, v54
	s_cmp_lt_i32 s12, 64
	s_mul_i32 s54, s37, s12
	s_mul_hi_u32 s55, s36, s12
	s_mul_i32 s16, s36, s12
	s_waitcnt lgkmcnt(0)
	s_mul_i32 s33, s48, s21
	s_mul_hi_u32 s42, s48, s20
	s_mul_i32 s43, s3, s20
	s_mul_i32 s34, s48, s20
	;; [unrolled: 1-line block ×3, first 2 shown]
	s_mul_hi_u32 s44, s46, s22
	s_mul_i32 s45, s50, s22
	s_mul_i32 s30, s46, s22
	s_cbranch_scc1 .LBB764_3
; %bb.1:
	s_add_i32 s17, s55, s54
	s_lshl_b64 s[0:1], s[16:17], 8
	v_and_b32_e32 v57, 56, v52
	s_add_u32 s20, s6, s0
	v_lshl_or_b32 v56, v49, 3, v53
	v_lshlrev_b32_e32 v10, 1, v57
	s_addc_u32 s0, s7, s1
	v_lshl_or_b32 v58, v56, 8, v10
	s_and_b32 s21, s0, 0xffff
	s_mov_b32 s23, 0x20000
	s_movk_i32 s22, 0x4000
	s_movk_i32 s0, 0x80
	v_or_b32_e32 v59, 0x2000, v58
	buffer_load_dwordx4 v[12:15], v58, s[20:23], 0 offen
	buffer_load_dwordx4 v[16:19], v58, s[20:23], s0 offen
	;; [unrolled: 1-line block ×4, first 2 shown]
	v_lshlrev_b32_e32 v11, 3, v56
	v_and_or_b32 v29, v0, 7, v11
	v_and_b32_e32 v11, 0x78, v11
	v_lshlrev_b32_e32 v29, 4, v29
	v_xor_b32_e32 v60, v29, v11
	v_mul_lo_u32 v28, v56, s15
	v_or_b32_e32 v61, 0x1000, v60
	v_xor_b32_e32 v11, 8, v60
	s_cmpk_eq_i32 s15, 0x80
	s_mov_b32 s56, s14
	v_xor_b32_e32 v29, 8, v61
	s_cselect_b64 s[0:1], -1, 0
	s_cmpk_lg_i32 s15, 0x80
	s_waitcnt vmcnt(3)
	ds_write_b64 v60, v[12:13] offset:16384
	ds_write_b64 v11, v[14:15] offset:16384
	s_waitcnt vmcnt(2)
	ds_write_b64 v60, v[16:17] offset:24576
	ds_write_b64 v11, v[18:19] offset:24576
	;; [unrolled: 3-line block ×4, first 2 shown]
	v_lshl_add_u32 v11, v28, 1, v57
	s_cbranch_scc0 .LBB764_29
; %bb.2:
	v_lshlrev_b32_e32 v13, 1, v11
	v_add_lshl_u32 v12, v11, s15, 1
	s_lshl_b32 s22, s15, 7
	v_lshl_or_b32 v10, v56, 9, v10
	s_cbranch_execz .LBB764_30
	s_branch .LBB764_31
.LBB764_3:
	s_waitcnt vmcnt(0)
	v_mov_b32_e32 v10, v5
	v_mov_b32_e32 v11, v9
.LBB764_4:
	s_lshl_b32 s26, s49, 6
	s_sub_i32 s27, s12, s26
	s_cmp_gt_i32 s27, 0
	s_cbranch_scc0 .LBB764_76
; %bb.5:
	s_ashr_i32 s3, s26, 31
	s_cmpk_lg_i32 s15, 0x80
	s_cselect_b64 s[22:23], -1, 0
	s_and_b64 vcc, exec, s[22:23]
	s_cbranch_vccz .LBB764_7
; %bb.6:
	s_mul_i32 s1, s48, s12
	s_mul_hi_i32 s0, s48, s12
	s_add_u32 s1, s1, s26
	s_addc_u32 s0, s0, s3
	s_mul_i32 s17, s1, s51
	s_mul_hi_u32 s20, s1, s14
	s_add_i32 s17, s20, s17
	s_mul_i32 s0, s0, s14
	s_add_i32 s17, s17, s0
	s_mul_i32 s1, s1, s14
	s_ashr_i32 s0, s52, 31
	s_add_u32 s24, s1, s52
	s_addc_u32 s25, s17, s0
	s_cbranch_execz .LBB764_8
	s_branch .LBB764_9
.LBB764_7:
                                        ; implicit-def: $sgpr24_sgpr25
.LBB764_8:
	s_mul_hi_i32 s0, s48, s14
	s_mul_i32 s48, s48, s14
	s_ashr_i32 s1, s52, 31
	s_add_u32 s14, s48, s52
	s_addc_u32 s0, s0, s1
	s_mul_i32 s1, s14, s47
	s_mul_hi_u32 s17, s14, s12
	s_add_i32 s1, s17, s1
	s_mul_i32 s0, s0, s12
	s_add_i32 s1, s1, s0
	s_mul_i32 s14, s14, s12
	s_add_u32 s24, s14, s26
	s_addc_u32 s25, s1, s3
.LBB764_9:
	s_mul_i32 s0, s36, s47
	s_add_i32 s0, s55, s0
	s_add_i32 s14, s53, s49
	;; [unrolled: 1-line block ×3, first 2 shown]
	s_add_u32 s0, s16, s26
	s_addc_u32 s1, s1, s3
	s_mov_b32 s3, 0x7060302
	v_perm_b32 v5, v10, v4, s3
	v_perm_b32 v4, v3, v2, s3
	v_lshlrev_b32_e32 v2, 3, v51
	s_lshl_b64 s[20:21], s[0:1], 8
	v_perm_b32 v9, v11, v8, s3
	v_perm_b32 v8, v7, v6, s3
	s_waitcnt vmcnt(2)
	v_lshlrev_b32_e32 v34, 2, v51
	v_lshl_or_b32 v2, v54, 5, v2
	s_add_u32 s0, s6, s20
	ds_write2st64_b64 v2, v[8:9], v[4:5] offset0:72 offset1:76
	v_xor_b32_e32 v2, v54, v34
	v_lshlrev_b32_e32 v3, 8, v51
	s_addc_u32 s1, s7, s21
	v_lshl_or_b32 v2, v2, 1, v3
	s_mul_hi_i32 s3, s14, s13
	s_mul_i32 s14, s14, s13
	ds_write_b64 v2, v[8:9] offset:32768
	v_xor_b32_e32 v2, v55, v34
	s_add_u32 s6, s14, s46
	v_lshl_or_b32 v2, v2, 1, v3
	s_addc_u32 s7, s3, s50
	v_lshlrev_b32_e32 v3, 1, v51
	ds_write_b64 v2, v[4:5] offset:32768
	v_lshrrev_b32_e32 v2, 4, v0
	s_ashr_i32 s3, s2, 31
	s_lshl_b64 s[6:7], s[6:7], 15
	v_or_b32_e32 v4, 1, v3
	s_add_u32 s6, s18, s6
	v_xor_b32_e32 v3, v2, v3
	v_xor_b32_e32 v4, v4, v2
	v_lshlrev_b32_e32 v6, 8, v2
	s_addc_u32 s7, s19, s7
	s_lshl_b64 s[2:3], s[2:3], 8
	v_lshl_or_b32 v2, v3, 3, v6
	v_lshl_or_b32 v4, v4, 3, v6
	s_waitcnt lgkmcnt(0)
	s_barrier
	s_add_u32 s2, s6, s2
	ds_read_b64 v[2:3], v2 offset:32768
	ds_read_b64 v[4:5], v4 offset:32768
	s_addc_u32 s3, s7, s3
	v_mov_b32_e32 v7, 0
	s_cmp_lg_u32 s27, 64
	v_lshl_add_u64 v[8:9], s[2:3], 0, v[6:7]
	v_lshlrev_b32_e32 v6, 4, v51
	s_cselect_b64 s[6:7], -1, 0
	v_lshl_or_b32 v35, v49, 3, v53
	s_mov_b32 s16, 0
	v_lshl_add_u64 v[6:7], v[8:9], 0, v[6:7]
	v_or_b32_e32 v19, 32, v35
	v_and_b32_e32 v18, 56, v52
	s_and_b64 vcc, exec, s[6:7]
	s_waitcnt lgkmcnt(0)
	global_store_dwordx4 v[6:7], v[2:5], off
	s_cbranch_vccz .LBB764_15
; %bb.10:
	s_mov_b32 s17, s16
	s_mov_b32 s18, s16
	;; [unrolled: 1-line block ×3, first 2 shown]
	v_mov_b64_e32 v[6:7], s[16:17]
	v_mov_b64_e32 v[8:9], s[18:19]
	;; [unrolled: 1-line block ×3, first 2 shown]
	v_cmp_gt_i32_e32 vcc, s27, v35
	v_mov_b64_e32 v[4:5], v[8:9]
	s_and_saveexec_b64 s[2:3], vcc
	s_cbranch_execz .LBB764_12
; %bb.11:
	v_lshlrev_b32_e32 v2, 8, v35
	v_mov_b32_e32 v3, 0
	v_lshl_add_u64 v[4:5], s[0:1], 0, v[2:3]
	v_lshlrev_b32_e32 v2, 1, v18
	v_lshl_add_u64 v[10:11], v[4:5], 0, v[2:3]
	global_load_dwordx4 v[6:9], v[10:11], off
	global_load_dwordx4 v[2:5], v[10:11], off offset:128
.LBB764_12:
	s_or_b64 exec, exec, s[2:3]
	s_mov_b32 s17, s16
	s_mov_b32 s18, s16
	;; [unrolled: 1-line block ×3, first 2 shown]
	v_mov_b64_e32 v[14:15], s[16:17]
	v_mov_b64_e32 v[16:17], s[18:19]
	;; [unrolled: 1-line block ×3, first 2 shown]
	v_cmp_gt_i32_e32 vcc, s27, v19
	v_lshlrev_b32_e32 v20, 7, v19
	v_mov_b64_e32 v[12:13], v[16:17]
	s_and_saveexec_b64 s[2:3], vcc
	s_cbranch_execz .LBB764_14
; %bb.13:
	v_lshlrev_b32_e32 v10, 1, v20
	v_mov_b32_e32 v11, 0
	v_lshl_add_u64 v[12:13], s[0:1], 0, v[10:11]
	v_lshlrev_b32_e32 v10, 1, v18
	v_lshl_add_u64 v[22:23], v[12:13], 0, v[10:11]
	global_load_dwordx4 v[14:17], v[22:23], off
	global_load_dwordx4 v[10:13], v[22:23], off offset:128
.LBB764_14:
	s_or_b64 exec, exec, s[2:3]
	v_lshrrev_b32_e32 v21, 3, v18
	v_lshlrev_b32_e32 v22, 3, v35
	v_or_b32_e32 v21, v22, v21
	v_lshlrev_b32_e32 v21, 4, v21
	v_and_b32_e32 v22, 0x78, v22
	v_xor_b32_e32 v21, v21, v22
	s_branch .LBB764_17
.LBB764_15:
                                        ; implicit-def: $vgpr21
                                        ; implicit-def: $vgpr20
                                        ; implicit-def: $vgpr6_vgpr7_vgpr8_vgpr9
                                        ; implicit-def: $vgpr2_vgpr3_vgpr4_vgpr5
                                        ; implicit-def: $vgpr14_vgpr15_vgpr16_vgpr17
                                        ; implicit-def: $vgpr10_vgpr11_vgpr12_vgpr13
	s_cbranch_execz .LBB764_17
; %bb.16:
	s_waitcnt vmcnt(0)
	v_lshlrev_b32_e32 v2, 1, v18
	v_lshl_or_b32 v20, v35, 8, v2
	s_and_b32 s1, s1, 0xffff
	s_mov_b32 s3, 0x20000
	s_movk_i32 s2, 0x4000
	v_lshl_or_b32 v21, v19, 8, v2
	s_movk_i32 s13, 0x80
	buffer_load_dwordx4 v[6:9], v20, s[0:3], 0 offen
	buffer_load_dwordx4 v[2:5], v20, s[0:3], s13 offen
	;; [unrolled: 1-line block ×4, first 2 shown]
	v_lshrrev_b32_e32 v20, 3, v18
	v_lshlrev_b32_e32 v21, 3, v35
	v_or_b32_e32 v20, v21, v20
	v_lshlrev_b32_e32 v20, 4, v20
	v_and_b32_e32 v21, 0x78, v21
	v_xor_b32_e32 v21, v20, v21
	v_lshlrev_b32_e32 v20, 7, v19
.LBB764_17:
	s_lshl_b64 s[0:1], s[24:25], 8
	s_add_u32 s4, s4, s0
	s_movk_i32 s0, 0x1000
	v_and_or_b32 v19, v20, s0, v21
	s_waitcnt vmcnt(1)
	ds_write_b64 v21, v[6:7] offset:16384
	v_xor_b32_e32 v6, 8, v21
	ds_write_b64 v6, v[8:9] offset:16384
	s_waitcnt vmcnt(0)
	ds_write_b64 v21, v[2:3] offset:24576
	ds_write_b64 v6, v[4:5] offset:24576
	;; [unrolled: 1-line block ×3, first 2 shown]
	v_xor_b32_e32 v2, 8, v19
	ds_write_b64 v2, v[16:17] offset:16384
	ds_write_b64 v19, v[10:11] offset:24576
	;; [unrolled: 1-line block ×3, first 2 shown]
	v_or_b32_e32 v2, v1, v51
	s_addc_u32 s5, s5, s1
	s_add_i32 s0, s12, -1
	v_lshlrev_b32_e32 v2, 3, v2
	v_lshrrev_b32_e32 v4, 5, v48
	s_movk_i32 s12, 0xf8
	v_and_or_b32 v4, v2, s12, v4
	v_lshlrev_b32_e32 v3, 11, v49
	v_lshlrev_b32_e32 v12, 4, v4
	v_and_b32_e32 v13, 0x78, v2
	v_and_b32_e32 v14, 0x1000, v3
	v_lshlrev_b32_e32 v3, 2, v0
	v_xor_b32_e32 v2, v12, v13
	v_lshrrev_b32_e32 v4, 1, v48
	v_and_b32_e32 v3, 60, v3
	v_or_b32_e32 v2, v2, v14
	v_and_b32_e32 v15, 8, v4
	v_xor_b32_e32 v26, v2, v15
	v_lshl_or_b32 v2, v50, 6, v3
	v_lshlrev_b32_e32 v19, 1, v2
	v_or_b32_e32 v2, 32, v12
	v_xor_b32_e32 v2, v2, v13
	s_waitcnt lgkmcnt(0)
	s_barrier
	ds_read_b64 v[10:11], v26 offset:16384
	v_or_b32_e32 v2, v2, v14
	v_xor_b32_e32 v27, v2, v15
	v_or_b32_e32 v2, 64, v12
	v_xor_b32_e32 v2, v2, v13
	v_or_b32_e32 v2, v2, v14
	v_or_b32_e32 v12, 0x60, v12
	v_xor_b32_e32 v28, v2, v15
	ds_read2st64_b64 v[2:5], v19 offset0:72 offset1:73
	ds_read2st64_b64 v[6:9], v19 offset0:74 offset1:75
	v_xor_b32_e32 v16, v12, v13
	ds_read_b64 v[12:13], v27 offset:16384
	s_add_i32 s1, s42, s33
	s_waitcnt lgkmcnt(2)
	v_mfma_f32_16x16x16_bf16 a[0:3], v[10:11], v[2:3], 0
	s_add_i32 s35, s1, s43
	s_add_i32 s1, s44, s37
	;; [unrolled: 1-line block ×3, first 2 shown]
	s_ashr_i32 s1, s0, 31
	s_mul_i32 s2, s0, s29
	s_mul_hi_u32 s3, s0, s28
	s_add_i32 s2, s3, s2
	s_mul_i32 s1, s1, s28
	v_or_b32_e32 v14, v16, v14
	s_add_i32 s1, s2, s1
	s_lshl_b64 s[2:3], s[34:35], 2
	v_xor_b32_e32 v36, v14, v15
	ds_read_b64 v[14:15], v28 offset:16384
	ds_read_b64 v[16:17], v36 offset:16384
	s_waitcnt lgkmcnt(2)
	v_mfma_f32_16x16x16_bf16 a[0:3], v[12:13], v[4:5], a[0:3]
	s_add_u32 s10, s10, s2
	s_addc_u32 s11, s11, s3
	s_lshl_b64 s[2:3], s[30:31], 2
	s_mul_i32 s0, s0, s28
	s_add_u32 s10, s10, s2
	s_addc_u32 s11, s11, s3
	s_lshl_b64 s[0:1], s[0:1], 2
	s_waitcnt lgkmcnt(1)
	v_mfma_f32_16x16x16_bf16 a[0:3], v[14:15], v[6:7], a[0:3]
	s_add_u32 s0, s10, s0
	s_addc_u32 s1, s11, s1
	s_load_dword s12, s[0:1], 0x0
	s_waitcnt lgkmcnt(0)
	v_mfma_f32_16x16x16_bf16 a[0:3], v[16:17], v[8:9], a[0:3]
	s_and_b64 vcc, exec, s[22:23]
	s_cbranch_vccz .LBB764_28
; %bb.18:
	v_lshlrev_b32_e32 v20, 1, v35
	s_and_b64 vcc, exec, s[6:7]
	s_cbranch_vccz .LBB764_44
; %bb.19:
	v_cmp_gt_i32_e32 vcc, s27, v20
	v_mov_b32_e32 v6, 0
	v_mov_b32_e32 v2, 0
	;; [unrolled: 1-line block ×5, first 2 shown]
	s_and_saveexec_b64 s[0:1], vcc
	s_cbranch_execz .LBB764_21
; %bb.20:
	v_mad_i64_i32 v[2:3], s[2:3], s15, v20, 0
	v_lshl_add_u64 v[2:3], v[2:3], 1, s[4:5]
	v_lshlrev_b32_e32 v4, 1, v18
	v_mov_b32_e32 v5, 0
	v_lshl_add_u64 v[2:3], v[2:3], 0, v[4:5]
	global_load_dwordx4 v[2:5], v[2:3], off
.LBB764_21:
	s_or_b64 exec, exec, s[0:1]
	v_or_b32_e32 v21, 1, v20
	v_cmp_gt_i32_e64 s[0:1], s27, v21
	v_mov_b32_e32 v7, 0
	v_mov_b32_e32 v8, 0
	;; [unrolled: 1-line block ×3, first 2 shown]
	s_and_saveexec_b64 s[2:3], s[0:1]
	s_cbranch_execz .LBB764_23
; %bb.22:
	v_mad_i64_i32 v[6:7], s[16:17], s15, v21, 0
	v_lshl_add_u64 v[6:7], v[6:7], 1, s[4:5]
	v_lshlrev_b32_e32 v8, 1, v18
	v_mov_b32_e32 v9, 0
	v_lshl_add_u64 v[6:7], v[6:7], 0, v[8:9]
	global_load_dwordx4 v[6:9], v[6:7], off
.LBB764_23:
	s_or_b64 exec, exec, s[2:3]
	v_mov_b32_e32 v17, 0
	v_mov_b32_e32 v10, 0
	;; [unrolled: 1-line block ×5, first 2 shown]
	s_and_saveexec_b64 s[2:3], vcc
	s_cbranch_execz .LBB764_25
; %bb.24:
	v_mad_i64_i32 v[10:11], s[16:17], s15, v20, 0
	v_lshl_add_u64 v[10:11], v[10:11], 1, s[4:5]
	v_lshlrev_b32_e32 v12, 1, v18
	v_mov_b32_e32 v13, 0
	v_lshl_add_u64 v[10:11], v[10:11], 0, v[12:13]
	global_load_dwordx4 v[10:13], v[10:11], off offset:128
.LBB764_25:
	s_or_b64 exec, exec, s[2:3]
	v_mov_b32_e32 v16, 0
	v_mov_b32_e32 v15, 0
	;; [unrolled: 1-line block ×3, first 2 shown]
	s_and_saveexec_b64 s[2:3], s[0:1]
	s_cbranch_execz .LBB764_27
; %bb.26:
	v_mad_i64_i32 v[14:15], s[0:1], s15, v21, 0
	v_lshl_add_u64 v[14:15], v[14:15], 1, s[4:5]
	v_lshlrev_b32_e32 v16, 1, v18
	v_mov_b32_e32 v17, 0
	v_lshl_add_u64 v[14:15], v[14:15], 0, v[16:17]
	global_load_dwordx4 v[14:17], v[14:15], off offset:128
.LBB764_27:
	s_or_b64 exec, exec, s[2:3]
	s_branch .LBB764_46
.LBB764_28:
                                        ; implicit-def: $vgpr5
                                        ; implicit-def: $vgpr9
                                        ; implicit-def: $vgpr13
                                        ; implicit-def: $vgpr17
	v_lshrrev_b32_e32 v37, 2, v48
	s_branch .LBB764_47
.LBB764_29:
                                        ; implicit-def: $vgpr12
                                        ; implicit-def: $vgpr13
                                        ; implicit-def: $sgpr22
	v_lshl_or_b32 v10, v56, 9, v10
.LBB764_30:
	v_or_b32_e32 v12, 0x100, v10
	s_movk_i32 s22, 0x4000
	v_mov_b32_e32 v13, v10
.LBB764_31:
	s_mul_hi_u32 s20, s14, s12
	s_mul_i32 s21, s51, s12
	s_add_i32 s20, s20, s21
	s_mul_i32 s21, s14, s12
	s_mul_i32 s23, s21, s3
	s_mul_hi_u32 s24, s21, s48
	s_add_i32 s23, s24, s23
	s_mul_i32 s20, s20, s48
	s_add_i32 s23, s23, s20
	s_mul_i32 s21, s21, s48
	s_ashr_i32 s57, s52, 31
	s_add_u32 s20, s21, s52
	s_addc_u32 s21, s23, s57
	s_lshl_b64 s[20:21], s[20:21], 8
	s_add_u32 s20, s4, s20
	s_addc_u32 s21, s5, s21
	s_and_b32 s21, s21, 0xffff
	s_mov_b32 s23, 0x20000
	s_movk_i32 s58, 0x80
	buffer_load_dwordx4 v[14:17], v13, s[20:23], 0 offen
	buffer_load_dwordx4 v[18:21], v13, s[20:23], s58 offen
	;; [unrolled: 1-line block ×4, first 2 shown]
	v_and_b32_e32 v12, 6, v0
	v_lshlrev_b32_e32 v30, 2, v51
	v_lshlrev_b32_e32 v31, 3, v51
	v_xor_b32_e32 v33, v56, v12
	v_and_b32_e32 v13, 1, v0
	s_mul_i32 s3, s3, s12
	s_mul_hi_u32 s20, s48, s12
	v_lshl_or_b32 v31, v54, 5, v31
	v_xor_b32_e32 v34, v54, v30
	v_lshlrev_b32_e32 v33, 2, v33
	v_or_b32_e32 v62, 0x9000, v31
	v_or_b32_e32 v63, 0x9800, v31
	v_lshlrev_b32_e32 v31, 1, v34
	v_xor_b32_e32 v34, 0x440, v33
	v_cmp_eq_u32_e32 vcc, 0, v13
	s_add_i32 s63, s20, s3
	s_add_i32 s3, s42, s33
	v_cndmask_b32_e32 v13, v34, v33, vcc
	s_add_i32 s20, s44, s37
	s_add_i32 s35, s3, s43
	s_mov_b32 s60, 0x1000504
	v_lshlrev_b32_e32 v32, 8, v51
	s_mov_b32 s22, 0x8000
	v_xor_b32_e32 v30, v55, v30
	v_lshl_or_b32 v12, v12, 10, v13
	s_add_i32 s31, s20, s45
	s_lshl_b64 s[20:21], s[34:35], 2
	s_mov_b32 s61, 0x3020706
	v_lshlrev_b32_e32 v30, 1, v30
	v_or3_b32 v64, v31, v32, s22
	v_xor_b32_e32 v13, 8, v12
	v_xor_b32_e32 v31, 24, v12
	;; [unrolled: 1-line block ×4, first 2 shown]
	s_add_u32 s3, s10, s20
	v_or3_b32 v65, v30, v32, s22
	v_xor_b32_e32 v30, 16, v12
	v_xor_b32_e32 v32, 32, v12
	;; [unrolled: 1-line block ×3, first 2 shown]
	v_add_u32_e32 v13, 0x80, v13
	v_add_u32_e32 v31, 0x80, v31
	;; [unrolled: 1-line block ×4, first 2 shown]
	s_addc_u32 s24, s11, s21
	s_lshl_b64 s[20:21], s[30:31], 2
	s_add_u32 s38, s3, s20
	s_movk_i32 s3, 0xf8
	s_addc_u32 s39, s24, s21
	v_ashrrev_i32_e32 v43, 31, v42
	s_lshl_b32 s26, s15, 7
	s_mov_b32 s59, 0
	s_mul_i32 s62, s48, s12
	v_mov_b32_e32 v79, 0x3fb8aa3b
	s_mov_b32 s35, 0
	s_waitcnt vmcnt(1)
	v_perm_b32 v36, v14, v22, s60
	s_waitcnt vmcnt(0)
	v_perm_b32 v37, v18, v26, s60
	v_perm_b32 v14, v14, v22, s61
	;; [unrolled: 1-line block ×15, first 2 shown]
	ds_write2st64_b32 v12, v36, v37 offset1:32
	ds_write2st64_b32 v13, v14, v18 offset1:32
	ds_write2st64_b32 v30, v22, v26 offset0:1 offset1:33
	ds_write2st64_b32 v31, v15, v19 offset0:1 offset1:33
	;; [unrolled: 1-line block ×6, first 2 shown]
	v_or_b32_e32 v12, v1, v51
	v_lshlrev_b32_e32 v12, 3, v12
	v_lshrrev_b32_e32 v14, 5, v48
	v_and_or_b32 v14, v12, s3, v14
	v_lshlrev_b32_e32 v14, 4, v14
	v_lshlrev_b32_e32 v18, 11, v49
	v_and_b32_e32 v12, 0x78, v12
	v_or_b32_e32 v17, 32, v14
	v_and_b32_e32 v13, 0x1000, v18
	v_xor_b32_e32 v15, v14, v12
	v_lshrrev_b32_e32 v19, 1, v0
	v_xor_b32_e32 v17, v17, v12
	v_or_b32_e32 v15, v15, v13
	v_and_b32_e32 v16, 8, v19
	v_or_b32_e32 v17, v17, v13
	v_xor_b32_e32 v66, v15, v16
	v_and_b32_e32 v15, 0x78, v52
	v_xor_b32_e32 v68, v17, v16
	v_or_b32_e32 v17, 64, v14
	v_or_b32_e32 v14, 0x60, v14
	v_lshl_or_b32 v15, v50, 7, v15
	v_xor_b32_e32 v17, v17, v12
	v_xor_b32_e32 v12, v14, v12
	v_or_b32_e32 v67, 0x9000, v15
	v_or_b32_e32 v17, v17, v13
	;; [unrolled: 1-line block ×4, first 2 shown]
	v_lshrrev_b32_e32 v14, 4, v0
	v_lshlrev_b32_e32 v15, 1, v51
	v_xor_b32_e32 v69, v17, v16
	v_xor_b32_e32 v70, v12, v16
	s_ashr_i32 s3, s2, 31
	v_or_b32_e32 v16, 1, v15
	v_xor_b32_e32 v15, v14, v15
	s_lshl_b64 s[20:21], s[2:3], 8
	v_xor_b32_e32 v16, v16, v14
	v_lshlrev_b32_e32 v15, 3, v15
	v_lshlrev_b32_e32 v14, 8, v14
	v_lshl_add_u64 v[12:13], v[42:43], 1, s[8:9]
	s_add_u32 s20, s18, s20
	v_or3_b32 v43, v15, v14, s22
	v_lshlrev_b32_e32 v15, 3, v16
	s_addc_u32 s21, s19, s21
	v_or3_b32 v72, v15, v14, s22
	v_mov_b32_e32 v15, 0
	v_lshl_add_u64 v[16:17], s[20:21], 0, v[14:15]
	v_lshlrev_b32_e32 v14, 4, v51
	s_movk_i32 s3, 0xff
	v_lshlrev_b32_e32 v23, 3, v49
	v_and_b32_e32 v19, 24, v19
	v_lshl_add_u64 v[44:45], v[16:17], 0, v[14:15]
	v_and_b32_e32 v16, 8, v0
	v_cmp_lt_u32_e32 vcc, s3, v0
	v_xor_b32_e32 v24, v23, v19
	v_or_b32_e32 v25, 0x440, v24
	v_cndmask_b32_e64 v22, 0, 1, vcc
	v_cmp_eq_u32_e32 vcc, 0, v16
	v_and_b32_e32 v14, 7, v0
	v_lshlrev_b32_e32 v17, 3, v14
	v_cndmask_b32_e32 v16, v25, v24, vcc
	v_lshlrev_b32_e32 v14, 7, v14
	v_or_b32_e32 v16, v16, v18
	v_xad_u32 v73, v16, v17, v14
	v_or_b32_e32 v16, 32, v19
	v_xor_b32_e32 v16, v23, v16
	v_or_b32_e32 v24, 0x440, v16
	v_cndmask_b32_e32 v16, v24, v16, vcc
	v_or_b32_e32 v16, v16, v18
	v_xad_u32 v74, v16, v17, v14
	v_or_b32_e32 v16, 64, v19
	v_xor_b32_e32 v16, v23, v16
	v_xor_b32_e32 v24, 0x440, v16
	v_cndmask_b32_e32 v16, v24, v16, vcc
	v_or_b32_e32 v16, v16, v18
	v_xad_u32 v75, v16, v17, v14
	v_or_b32_e32 v16, 0x60, v19
	v_xor_b32_e32 v16, v23, v16
	v_xor_b32_e32 v19, 0x440, v16
	v_cndmask_b32_e32 v16, v19, v16, vcc
	v_or_b32_e32 v16, v16, v18
	v_lshlrev_b32_e32 v20, 1, v11
	v_add_lshl_u32 v11, v11, s15, 1
	v_or_b32_e32 v21, 0x100, v10
	v_lshlrev_b32_e32 v22, 13, v22
	v_xad_u32 v76, v16, v17, v14
	v_lshlrev_b32_e32 v14, 8, v54
	v_cndmask_b32_e64 v77, v20, v10, s[0:1]
	v_cndmask_b32_e64 v78, v11, v21, s[0:1]
	v_lshl_add_u64 v[46:47], v[12:13], 0, v[14:15]
	s_mov_b32 s3, 0x7060302
	s_movk_i32 s22, 0x4000
	v_add_u32_e32 v80, v22, v73
	v_add_u32_e32 v81, v22, v74
	;; [unrolled: 1-line block ×4, first 2 shown]
	s_waitcnt lgkmcnt(0)
	s_barrier
.LBB764_32:                             ; =>This Inner Loop Header: Depth=1
	s_add_i32 s31, s35, 1
	s_cmp_lt_i32 s31, s49
	s_mov_b64 s[24:25], 0
	s_cselect_b64 s[40:41], -1, 0
	s_cmp_ge_i32 s31, s49
	s_mov_b64 s[20:21], 0
	s_cbranch_scc1 .LBB764_34
; %bb.33:                               ;   in Loop: Header=BB764_32 Depth=1
	s_add_i32 s0, s59, 64
	s_add_u32 s0, s16, s0
	s_addc_u32 s1, s17, 0
	s_lshl_b64 s[0:1], s[0:1], 8
	s_add_u32 s20, s6, s0
	s_addc_u32 s21, s7, s1
.LBB764_34:                             ;   in Loop: Header=BB764_32 Depth=1
	v_cndmask_b32_e64 v10, 0, 1, s[40:41]
	v_cmp_ne_u32_e64 s[0:1], 1, v10
	s_andn2_b64 vcc, exec, s[40:41]
	s_cbranch_vccnz .LBB764_36
; %bb.35:                               ;   in Loop: Header=BB764_32 Depth=1
	s_add_i32 s24, s59, 64
	s_add_u32 s24, s62, s24
	s_addc_u32 s25, s63, 0
	s_mul_i32 s27, s24, s51
	s_mul_hi_u32 s40, s24, s56
	s_add_i32 s27, s40, s27
	s_mul_i32 s25, s25, s56
	s_add_i32 s27, s27, s25
	s_mul_i32 s24, s24, s56
	s_add_u32 s24, s24, s52
	s_addc_u32 s25, s27, s57
	s_lshl_b64 s[24:25], s[24:25], 8
	s_add_u32 s24, s4, s24
	s_addc_u32 s25, s5, s25
.LBB764_36:                             ;   in Loop: Header=BB764_32 Depth=1
	v_perm_b32 v11, v9, v8, s3
	v_perm_b32 v10, v7, v6, s3
	;; [unrolled: 1-line block ×4, first 2 shown]
	ds_write_b64 v62, v[10:11]
	ds_write_b64 v63, v[12:13]
	ds_write_b64 v64, v[10:11]
	ds_write_b64 v65, v[12:13]
	s_waitcnt lgkmcnt(0)
	s_barrier
	ds_read_b64 v[18:19], v66 offset:16384
	ds_read_b64 v[20:21], v68 offset:16384
	ds_read2st64_b64 v[10:13], v67 offset1:1
	ds_read2st64_b64 v[14:17], v67 offset0:2 offset1:3
	ds_read_b64 v[22:23], v69 offset:16384
	s_waitcnt lgkmcnt(2)
	v_mfma_f32_16x16x16_bf16 a[0:3], v[18:19], v[10:11], 0
	ds_read_b64 v[10:11], v70 offset:16384
	s_add_i32 s27, s59, 63
	s_mul_i32 s40, s27, s29
	v_mfma_f32_16x16x16_bf16 a[0:3], v[20:21], v[12:13], a[0:3]
	s_mul_hi_u32 s41, s27, s28
	s_add_i32 s41, s41, s40
	s_mul_i32 s40, s27, s28
	s_waitcnt lgkmcnt(1)
	v_mfma_f32_16x16x16_bf16 a[0:3], v[22:23], v[14:15], a[0:3]
	s_lshl_b64 s[40:41], s[40:41], 2
	s_add_u32 s40, s38, s40
	s_addc_u32 s41, s39, s41
	s_waitcnt lgkmcnt(0)
	v_mfma_f32_16x16x16_bf16 a[0:3], v[10:11], v[16:17], a[0:3]
	s_and_b64 vcc, exec, s[0:1]
	v_mov_b32_e32 v86, 0
	v_mov_b32_e32 v85, 0
	;; [unrolled: 1-line block ×19, first 2 shown]
	s_cbranch_vccnz .LBB764_38
; %bb.37:                               ;   in Loop: Header=BB764_32 Depth=1
	s_and_b32 s21, s21, 0xffff
	buffer_load_dwordx4 v[22:25], v58, s[20:23], 0 offen
	buffer_load_dwordx4 v[18:21], v58, s[20:23], s58 offen
	;; [unrolled: 1-line block ×4, first 2 shown]
	v_mov_b32_e32 v85, v60
	v_mov_b32_e32 v84, v61
.LBB764_38:                             ;   in Loop: Header=BB764_32 Depth=1
	s_waitcnt vmcnt(3)
	v_add_u32_e32 v32, s59, v54
	s_waitcnt vmcnt(1)
	v_ashrrev_i32_e32 v26, 31, v32
	v_mul_lo_u32 v28, v26, s28
	v_mul_lo_u32 v29, v32, s29
	v_mad_u64_u32 v[26:27], s[20:21], v32, s28, 0
	v_add3_u32 v27, v27, v29, v28
	v_add_u32_e32 v28, 1, v32
	v_ashrrev_i32_e32 v29, 31, v28
	v_mul_lo_u32 v30, v29, s28
	v_mul_lo_u32 v31, v28, s29
	v_mad_u64_u32 v[28:29], s[20:21], v28, s28, 0
	v_add3_u32 v29, v29, v31, v30
	v_add_u32_e32 v30, 2, v32
	v_ashrrev_i32_e32 v31, 31, v30
	v_mul_lo_u32 v33, v31, s28
	v_mul_lo_u32 v34, v30, s29
	v_mad_u64_u32 v[30:31], s[20:21], v30, s28, 0
	v_add_u32_e32 v32, 3, v32
	v_add3_u32 v31, v31, v34, v33
	v_ashrrev_i32_e32 v33, 31, v32
	v_mul_lo_u32 v36, v33, s28
	v_mul_lo_u32 v37, v32, s29
	v_mad_u64_u32 v[32:33], s[20:21], v32, s28, 0
	s_add_u32 s20, s16, s59
	s_addc_u32 s21, s17, 0
	s_lshl_b64 s[20:21], s[20:21], 8
	v_lshl_add_u64 v[26:27], v[26:27], 2, s[38:39]
	v_lshl_add_u64 v[28:29], v[28:29], 2, s[38:39]
	;; [unrolled: 1-line block ×3, first 2 shown]
	v_add3_u32 v33, v33, v37, v36
	v_lshl_add_u64 v[30:31], v[30:31], 2, s[38:39]
	global_load_ushort v92, v[34:35], off
	global_load_ushort v93, v[34:35], off offset:256
	global_load_ushort v94, v[34:35], off offset:512
	global_load_ushort v95, v[34:35], off offset:768
	global_load_dword v96, v[26:27], off
	v_lshl_add_u64 v[26:27], v[32:33], 2, s[38:39]
	global_load_dword v97, v[28:29], off
	global_load_dword v98, v[30:31], off
	;; [unrolled: 1-line block ×3, first 2 shown]
	s_load_dword s20, s[40:41], 0x0
	ds_read2st64_b64 v[32:35], v71 offset1:1
	ds_read2st64_b64 v[36:39], v71 offset0:2 offset1:3
	ds_read_b64 v[30:31], v66 offset:24576
	ds_read_b64 v[40:41], v68 offset:24576
	;; [unrolled: 1-line block ×4, first 2 shown]
	s_waitcnt lgkmcnt(0)
	v_mfma_f32_16x16x16_bf16 a[0:3], v[30:31], v[32:33], a[0:3]
	v_mov_b32_e32 v87, 0
	v_mov_b32_e32 v26, 0
	v_mov_b32_e32 v27, 0
	v_mfma_f32_16x16x16_bf16 a[0:3], v[40:41], v[34:35], a[0:3]
	v_mov_b32_e32 v28, 0
	v_mov_b32_e32 v29, 0
	v_mov_b32_e32 v30, 0
	;; [unrolled: 4-line block ×4, first 2 shown]
	v_mov_b32_e32 v37, 0
	s_and_b64 vcc, exec, s[0:1]
	s_waitcnt vmcnt(7)
	v_lshlrev_b32_e32 v88, 16, v92
	s_waitcnt vmcnt(6)
	v_lshlrev_b32_e32 v89, 16, v93
	;; [unrolled: 2-line block ×4, first 2 shown]
	s_waitcnt vmcnt(3)
	v_sub_f32_e32 v92, s20, v96
	s_waitcnt vmcnt(2)
	v_sub_f32_e32 v93, s20, v97
	;; [unrolled: 2-line block ×4, first 2 shown]
	v_mul_f32_e32 v92, 0x3fb8aa3b, v92
	v_mul_f32_e32 v93, 0x3fb8aa3b, v93
	;; [unrolled: 1-line block ×4, first 2 shown]
	v_exp_f32_e32 v92, v92
	v_exp_f32_e32 v93, v93
	;; [unrolled: 1-line block ×4, first 2 shown]
	v_accvgpr_read_b32 v41, a1
	v_accvgpr_read_b32 v39, a3
	;; [unrolled: 1-line block ×4, first 2 shown]
	v_pk_add_f32 v[40:41], v[88:89], v[40:41] neg_lo:[0,1] neg_hi:[0,1]
	v_pk_add_f32 v[38:39], v[90:91], v[38:39] neg_lo:[0,1] neg_hi:[0,1]
	v_pk_mul_f32 v[40:41], v[92:93], v[40:41]
	v_pk_mul_f32 v[38:39], v[94:95], v[38:39]
	s_nop 0
	v_perm_b32 v39, v39, v38, s3
	v_perm_b32 v38, v41, v40, s3
	ds_write_b64 v63, v[38:39]
	v_mov_b32_e32 v38, 0
	v_mov_b32_e32 v39, 0
	;; [unrolled: 1-line block ×4, first 2 shown]
	s_cbranch_vccnz .LBB764_40
; %bb.39:                               ;   in Loop: Header=BB764_32 Depth=1
	s_and_b32 s25, s25, 0xffff
	s_mov_b32 s27, s23
	buffer_load_dwordx4 v[38:41], v77, s[24:27], 0 offen
	buffer_load_dwordx4 v[30:33], v77, s[24:27], s58 offen
	;; [unrolled: 1-line block ×4, first 2 shown]
	v_mov_b32_e32 v86, v57
	v_mov_b32_e32 v87, v56
.LBB764_40:                             ;   in Loop: Header=BB764_32 Depth=1
	s_waitcnt lgkmcnt(0)
	s_barrier
	ds_read_b64 v[96:97], v80
	ds_read2st64_b64 v[88:91], v71 offset1:1
	ds_read2st64_b64 v[92:95], v71 offset0:2 offset1:3
	ds_read_b64 v[98:99], v81
	ds_read_b64 v[100:101], v82
	;; [unrolled: 1-line block ×3, first 2 shown]
	s_waitcnt lgkmcnt(4)
	v_mfma_f32_16x16x16_bf16 a[0:3], v[96:97], v[88:89], 0
	ds_read_b64 v[96:97], v73 offset:8192
	ds_read_b64 v[104:105], v74 offset:8192
	s_add_i32 s21, s53, s35
	s_mul_hi_i32 s25, s21, s13
	s_waitcnt lgkmcnt(1)
	v_mfma_f32_16x16x16_bf16 a[4:7], v[96:97], v[88:89], 0
	s_mul_i32 s21, s21, s13
	s_add_u32 s24, s21, s46
	s_addc_u32 s25, s25, s50
	v_mfma_f32_16x16x16_bf16 a[0:3], v[98:99], v[90:91], a[0:3]
	ds_read_b64 v[96:97], v43
	ds_read_b64 v[98:99], v72
	ds_read_b64 v[88:89], v75 offset:8192
	s_lshl_b64 s[24:25], s[24:25], 15
	v_mfma_f32_16x16x16_bf16 a[0:3], v[100:101], v[92:93], a[0:3]
	ds_read_b64 v[100:101], v76 offset:8192
	s_and_b64 vcc, exec, s[0:1]
	s_waitcnt lgkmcnt(4)
	v_mfma_f32_16x16x16_bf16 a[4:7], v[104:105], v[90:91], a[4:7]
	s_waitcnt lgkmcnt(1)
	v_mfma_f32_16x16x16_bf16 a[4:7], v[88:89], v[92:93], a[4:7]
	v_lshl_add_u64 v[88:89], v[44:45], 0, s[24:25]
	global_store_dwordx4 v[88:89], v[96:99], off
	v_mfma_f32_16x16x16_bf16 a[0:3], v[102:103], v[94:95], a[0:3]
	s_waitcnt lgkmcnt(0)
	v_mfma_f32_16x16x16_bf16 a[4:7], v[100:101], v[94:95], a[4:7]
	s_cbranch_vccnz .LBB764_42
; %bb.41:                               ;   in Loop: Header=BB764_32 Depth=1
	v_lshrrev_b32_e32 v88, 3, v86
	v_and_b32_e32 v88, 6, v88
	v_xor_b32_e32 v87, v88, v87
	v_lshlrev_b32_e32 v87, 2, v87
	v_and_b32_e32 v86, 8, v86
	v_xor_b32_e32 v89, 0x440, v87
	v_cmp_eq_u32_e32 vcc, 0, v86
	s_barrier
	s_nop 0
	v_cndmask_b32_e32 v86, v89, v87, vcc
	v_lshl_or_b32 v86, v88, 10, v86
	s_waitcnt vmcnt(2)
	v_perm_b32 v87, v38, v34, s60
	s_waitcnt vmcnt(1)
	v_perm_b32 v88, v30, v26, s60
	ds_write2st64_b32 v86, v87, v88 offset1:32
	v_xor_b32_e32 v87, 8, v86
	v_perm_b32 v34, v38, v34, s61
	v_perm_b32 v26, v30, v26, s61
	v_add_u32_e32 v30, 0x80, v87
	ds_write2st64_b32 v30, v34, v26 offset1:32
	v_xor_b32_e32 v26, 16, v86
	v_perm_b32 v30, v39, v35, s60
	v_perm_b32 v34, v31, v27, s60
	ds_write2st64_b32 v26, v30, v34 offset0:1 offset1:33
	v_xor_b32_e32 v26, 24, v86
	v_perm_b32 v30, v39, v35, s61
	v_perm_b32 v27, v31, v27, s61
	v_add_u32_e32 v26, 0x80, v26
	ds_write2st64_b32 v26, v30, v27 offset0:1 offset1:33
	v_xor_b32_e32 v26, 32, v86
	v_perm_b32 v27, v40, v36, s60
	v_perm_b32 v30, v32, v28, s60
	ds_write2st64_b32 v26, v27, v30 offset0:2 offset1:34
	v_xor_b32_e32 v26, 40, v86
	v_perm_b32 v27, v40, v36, s61
	v_perm_b32 v28, v32, v28, s61
	v_add_u32_e32 v26, 0x80, v26
	ds_write2st64_b32 v26, v27, v28 offset0:2 offset1:34
	;; [unrolled: 9-line block ×3, first 2 shown]
	ds_write_b64 v85, v[22:23] offset:16384
	v_xor_b32_e32 v22, 8, v85
	ds_write_b64 v22, v[24:25] offset:16384
	ds_write_b64 v85, v[18:19] offset:24576
	;; [unrolled: 1-line block ×4, first 2 shown]
	v_xor_b32_e32 v14, 8, v84
	ds_write_b64 v14, v[16:17] offset:16384
	ds_write_b64 v84, v[10:11] offset:24576
	ds_write_b64 v14, v[12:13] offset:24576
.LBB764_42:                             ;   in Loop: Header=BB764_32 Depth=1
	v_mul_f32_e32 v10, s20, v79
	v_exp_f32_e32 v12, v10
	s_nop 1
	v_accvgpr_read_b32 v11, a1
	v_accvgpr_read_b32 v10, a0
	s_add_i32 s59, s59, 64
	v_fma_f32 v7, v7, v12, v11
	v_accvgpr_read_b32 v11, a3
	v_fmac_f32_e32 v11, v9, v12
	v_accvgpr_read_b32 v9, a4
	v_fma_f32 v6, v6, v12, v10
	v_accvgpr_read_b32 v10, a2
	v_fma_f32 v2, v2, v12, v9
	;; [unrolled: 2-line block ×3, first 2 shown]
	v_fma_f32 v3, v3, v12, v9
	v_accvgpr_read_b32 v9, a6
	v_accvgpr_read_b32 v10, a7
	v_fma_f32 v4, v4, v12, v9
	s_cmp_eq_u32 s49, s31
	v_fmac_f32_e32 v10, v5, v12
	s_cbranch_scc1 .LBB764_4
; %bb.43:                               ;   in Loop: Header=BB764_32 Depth=1
	s_mov_b32 s35, s31
	v_mov_b32_e32 v9, v11
	v_mov_b32_e32 v5, v10
	s_branch .LBB764_32
.LBB764_44:
                                        ; implicit-def: $vgpr5
                                        ; implicit-def: $vgpr9
                                        ; implicit-def: $vgpr13
                                        ; implicit-def: $vgpr17
	s_cbranch_execz .LBB764_46
; %bb.45:
	s_waitcnt vmcnt(0)
	v_mad_u64_u32 v[2:3], s[0:1], v20, s15, v[18:19]
	v_lshlrev_b32_e32 v20, 1, v2
	s_lshl_b32 s2, s15, 7
	s_and_b32 s1, s5, 0xffff
	s_mov_b32 s3, 0x20000
	s_mov_b32 s0, s4
	v_add_lshl_u32 v21, v2, s15, 1
	s_movk_i32 s13, 0x80
	buffer_load_dwordx4 v[2:5], v20, s[0:3], 0 offen
	buffer_load_dwordx4 v[10:13], v20, s[0:3], s13 offen
	;; [unrolled: 1-line block ×4, first 2 shown]
.LBB764_46:
	v_lshrrev_b32_e32 v37, 2, v48
	s_cbranch_execnz .LBB764_59
.LBB764_47:
	s_and_b64 vcc, exec, s[6:7]
	s_cbranch_vccz .LBB764_57
; %bb.48:
	s_waitcnt vmcnt(0)
	v_lshlrev_b32_e32 v7, 1, v35
	v_cmp_gt_i32_e32 vcc, s27, v7
	v_mov_b32_e32 v6, 0
	v_lshlrev_b32_e32 v14, 9, v35
	v_mov_b32_e32 v2, 0
	v_mov_b32_e32 v3, 0
	;; [unrolled: 1-line block ×4, first 2 shown]
	s_and_saveexec_b64 s[0:1], vcc
	s_cbranch_execz .LBB764_50
; %bb.49:
	v_mov_b32_e32 v15, 0
	v_lshl_add_u64 v[2:3], s[4:5], 0, v[14:15]
	v_lshlrev_b32_e32 v4, 1, v18
	v_mov_b32_e32 v5, v15
	v_lshl_add_u64 v[2:3], v[2:3], 0, v[4:5]
	global_load_dwordx4 v[2:5], v[2:3], off
.LBB764_50:
	s_or_b64 exec, exec, s[0:1]
	v_or_b32_e32 v7, 1, v7
	v_cmp_gt_i32_e64 s[0:1], s27, v7
	v_lshlrev_b32_e32 v20, 8, v7
	v_mov_b32_e32 v7, 0
	v_mov_b32_e32 v8, 0
	;; [unrolled: 1-line block ×3, first 2 shown]
	s_and_saveexec_b64 s[2:3], s[0:1]
	s_cbranch_execz .LBB764_52
; %bb.51:
	v_mov_b32_e32 v21, 0
	v_lshl_add_u64 v[6:7], s[4:5], 0, v[20:21]
	v_lshlrev_b32_e32 v8, 1, v18
	v_mov_b32_e32 v9, v21
	v_lshl_add_u64 v[6:7], v[6:7], 0, v[8:9]
	global_load_dwordx4 v[6:9], v[6:7], off
.LBB764_52:
	s_or_b64 exec, exec, s[2:3]
	v_mov_b32_e32 v17, 0
	v_mov_b32_e32 v10, 0
	v_mov_b32_e32 v11, 0
	v_mov_b32_e32 v12, 0
	v_mov_b32_e32 v13, 0
	s_and_saveexec_b64 s[2:3], vcc
	s_cbranch_execz .LBB764_54
; %bb.53:
	v_mov_b32_e32 v15, 0
	v_lshl_add_u64 v[10:11], s[4:5], 0, v[14:15]
	v_lshlrev_b32_e32 v14, 1, v18
	v_lshl_add_u64 v[10:11], v[10:11], 0, v[14:15]
	global_load_dwordx4 v[10:13], v[10:11], off offset:128
.LBB764_54:
	s_or_b64 exec, exec, s[2:3]
	v_mov_b32_e32 v16, 0
	v_mov_b32_e32 v15, 0
	;; [unrolled: 1-line block ×3, first 2 shown]
	s_and_saveexec_b64 s[2:3], s[0:1]
	s_cbranch_execz .LBB764_56
; %bb.55:
	v_mov_b32_e32 v21, 0
	v_lshl_add_u64 v[14:15], s[4:5], 0, v[20:21]
	v_lshlrev_b32_e32 v20, 1, v18
	v_lshl_add_u64 v[14:15], v[14:15], 0, v[20:21]
	global_load_dwordx4 v[14:17], v[14:15], off offset:128
.LBB764_56:
	s_or_b64 exec, exec, s[2:3]
	s_branch .LBB764_59
.LBB764_57:
                                        ; implicit-def: $vgpr5
                                        ; implicit-def: $vgpr9
                                        ; implicit-def: $vgpr13
                                        ; implicit-def: $vgpr17
	s_cbranch_execz .LBB764_59
; %bb.58:
	s_waitcnt vmcnt(0)
	v_lshlrev_b32_e32 v2, 1, v18
	v_lshl_or_b32 v18, v35, 9, v2
	s_and_b32 s5, s5, 0xffff
	s_mov_b32 s7, 0x20000
	s_movk_i32 s6, 0x4000
	s_movk_i32 s0, 0x80
	buffer_load_dwordx4 v[2:5], v18, s[4:7], 0 offen
	buffer_load_dwordx4 v[6:9], v18, s[4:7], 0 offen offset:256
	buffer_load_dwordx4 v[10:13], v18, s[4:7], s0 offen
	buffer_load_dwordx4 v[14:17], v18, s[4:7], s0 offen offset:256
.LBB764_59:
	ds_read2st64_b64 v[22:25], v19 offset0:76 offset1:77
	ds_read2st64_b64 v[18:21], v19 offset0:78 offset1:79
	ds_read_b64 v[30:31], v26 offset:24576
	ds_read_b64 v[32:33], v27 offset:24576
	;; [unrolled: 1-line block ×4, first 2 shown]
	v_and_b32_e32 v36, 6, v0
	v_xor_b32_e32 v35, v35, v36
	v_lshlrev_b32_e32 v35, 2, v35
	v_and_b32_e32 v0, 1, v0
	v_xor_b32_e32 v38, 0x440, v35
	v_cmp_eq_u32_e32 vcc, 0, v0
	s_mov_b32 s0, 0x1000504
	s_mov_b32 s1, 0x3020706
	v_cndmask_b32_e32 v0, v38, v35, vcc
	v_lshl_or_b32 v0, v36, 10, v0
	s_waitcnt vmcnt(0)
	v_perm_b32 v35, v2, v6, s0
	v_perm_b32 v36, v10, v14, s0
	ds_write2st64_b32 v0, v35, v36 offset1:32
	v_xor_b32_e32 v35, 8, v0
	v_perm_b32 v2, v2, v6, s1
	v_perm_b32 v6, v10, v14, s1
	v_add_u32_e32 v10, 0x80, v35
	ds_write2st64_b32 v10, v2, v6 offset1:32
	v_xor_b32_e32 v2, 16, v0
	v_perm_b32 v6, v3, v7, s0
	v_perm_b32 v10, v11, v15, s0
	ds_write2st64_b32 v2, v6, v10 offset0:1 offset1:33
	v_xor_b32_e32 v2, 24, v0
	v_perm_b32 v3, v3, v7, s1
	v_perm_b32 v6, v11, v15, s1
	v_add_u32_e32 v2, 0x80, v2
	ds_write2st64_b32 v2, v3, v6 offset0:1 offset1:33
	v_xor_b32_e32 v2, 32, v0
	v_perm_b32 v3, v4, v8, s0
	v_perm_b32 v6, v12, v16, s0
	ds_write2st64_b32 v2, v3, v6 offset0:2 offset1:34
	v_xor_b32_e32 v2, 40, v0
	v_perm_b32 v3, v4, v8, s1
	v_perm_b32 v4, v12, v16, s1
	v_add_u32_e32 v2, 0x80, v2
	ds_write2st64_b32 v2, v3, v4 offset0:2 offset1:34
	v_xor_b32_e32 v2, 48, v0
	v_perm_b32 v3, v5, v9, s0
	v_perm_b32 v4, v13, v17, s0
	v_xor_b32_e32 v0, 56, v0
	v_and_or_b32 v6, v37, 12, v1
	ds_write2st64_b32 v2, v3, v4 offset0:3 offset1:35
	v_perm_b32 v2, v5, v9, s1
	v_perm_b32 v3, v13, v17, s1
	v_add_u32_e32 v0, 0x80, v0
	v_cmp_gt_i32_e32 vcc, s27, v6
	v_mov_b32_e32 v7, 0
	v_mov_b32_e32 v11, 0
	ds_write2st64_b32 v0, v2, v3 offset0:3 offset1:35
	s_and_saveexec_b64 s[0:1], vcc
	s_cbranch_execz .LBB764_61
; %bb.60:
	v_add_u32_e32 v0, s26, v6
	v_ashrrev_i32_e32 v1, 31, v0
	v_mul_lo_u32 v2, v1, s28
	v_mul_lo_u32 v3, v0, s29
	v_mad_u64_u32 v[0:1], s[2:3], v0, s28, 0
	v_add3_u32 v1, v1, v3, v2
	v_lshl_add_u64 v[0:1], v[0:1], 2, s[10:11]
	global_load_dword v0, v[0:1], off
	s_waitcnt vmcnt(0)
	v_sub_f32_e32 v0, s12, v0
	v_mul_f32_e32 v0, 0x3fb8aa3b, v0
	v_exp_f32_e32 v11, v0
.LBB764_61:
	s_or_b64 exec, exec, s[0:1]
	v_or_b32_e32 v9, 1, v6
	v_cmp_gt_i32_e64 s[0:1], s27, v9
	s_and_saveexec_b64 s[2:3], s[0:1]
	s_cbranch_execz .LBB764_63
; %bb.62:
	v_add_u32_e32 v0, s26, v9
	v_ashrrev_i32_e32 v1, 31, v0
	v_mul_lo_u32 v2, v1, s28
	v_mul_lo_u32 v3, v0, s29
	v_mad_u64_u32 v[0:1], s[4:5], v0, s28, 0
	v_add3_u32 v1, v1, v3, v2
	v_lshl_add_u64 v[0:1], v[0:1], 2, s[10:11]
	global_load_dword v0, v[0:1], off
	s_waitcnt vmcnt(0)
	v_sub_f32_e32 v0, s12, v0
	v_mul_f32_e32 v0, 0x3fb8aa3b, v0
	v_exp_f32_e32 v7, v0
.LBB764_63:
	s_or_b64 exec, exec, s[2:3]
	v_or_b32_e32 v10, 2, v6
	v_cmp_gt_i32_e64 s[2:3], s27, v10
	v_mov_b32_e32 v8, 0
	v_mov_b32_e32 v13, 0
	s_and_saveexec_b64 s[4:5], s[2:3]
	s_cbranch_execz .LBB764_65
; %bb.64:
	v_add_u32_e32 v0, s26, v10
	v_ashrrev_i32_e32 v1, 31, v0
	v_mul_lo_u32 v2, v1, s28
	v_mul_lo_u32 v3, v0, s29
	v_mad_u64_u32 v[0:1], s[6:7], v0, s28, 0
	v_add3_u32 v1, v1, v3, v2
	v_lshl_add_u64 v[0:1], v[0:1], 2, s[10:11]
	global_load_dword v0, v[0:1], off
	s_waitcnt vmcnt(0)
	v_sub_f32_e32 v0, s12, v0
	v_mul_f32_e32 v0, 0x3fb8aa3b, v0
	v_exp_f32_e32 v13, v0
.LBB764_65:
	s_or_b64 exec, exec, s[4:5]
	v_or_b32_e32 v12, 3, v6
	v_cmp_gt_i32_e64 s[4:5], s27, v12
	s_and_saveexec_b64 s[6:7], s[4:5]
	s_cbranch_execz .LBB764_67
; %bb.66:
	v_add_u32_e32 v0, s26, v12
	v_ashrrev_i32_e32 v1, 31, v0
	v_mul_lo_u32 v2, v1, s28
	v_mul_lo_u32 v3, v0, s29
	v_mad_u64_u32 v[0:1], s[14:15], v0, s28, 0
	v_add3_u32 v1, v1, v3, v2
	v_lshl_add_u64 v[0:1], v[0:1], 2, s[10:11]
	global_load_dword v0, v[0:1], off
	s_waitcnt vmcnt(0)
	v_sub_f32_e32 v0, s12, v0
	v_mul_f32_e32 v0, 0x3fb8aa3b, v0
	v_exp_f32_e32 v8, v0
.LBB764_67:
	s_or_b64 exec, exec, s[6:7]
	s_waitcnt lgkmcnt(11)
	v_mfma_f32_16x16x16_bf16 a[0:3], v[30:31], v[22:23], a[0:3]
	s_add_u32 s6, s8, s20
	v_ashrrev_i32_e32 v43, 31, v42
	s_addc_u32 s7, s9, s21
	s_waitcnt lgkmcnt(10)
	v_mfma_f32_16x16x16_bf16 a[0:3], v[32:33], v[24:25], a[0:3]
	v_mov_b32_e32 v14, 0
	v_lshl_add_u64 v[4:5], v[42:43], 1, s[6:7]
	v_mov_b32_e32 v15, 0
	s_waitcnt lgkmcnt(9)
	v_mfma_f32_16x16x16_bf16 a[0:3], v[28:29], v[18:19], a[0:3]
	s_waitcnt lgkmcnt(8)
	v_mfma_f32_16x16x16_bf16 a[0:3], v[26:27], v[20:21], a[0:3]
	s_nop 6
	v_accvgpr_read_b32 v0, a0
	v_accvgpr_read_b32 v1, a1
	;; [unrolled: 1-line block ×4, first 2 shown]
	s_and_saveexec_b64 s[6:7], vcc
	s_cbranch_execz .LBB764_69
; %bb.68:
	v_lshlrev_b32_e32 v16, 8, v6
	v_mov_b32_e32 v17, 0
	v_lshl_add_u64 v[16:17], v[4:5], 0, v[16:17]
	global_load_ushort v15, v[16:17], off
	s_waitcnt vmcnt(0)
	v_lshlrev_b32_e32 v15, 16, v15
	v_sub_f32_e32 v0, v15, v0
	v_mul_f32_e32 v0, v11, v0
	v_lshrrev_b32_e32 v15, 16, v0
.LBB764_69:
	s_or_b64 exec, exec, s[6:7]
	s_and_saveexec_b64 s[6:7], s[0:1]
	s_cbranch_execz .LBB764_71
; %bb.70:
	v_lshlrev_b32_e32 v16, 8, v9
	v_mov_b32_e32 v17, 0
	v_lshl_add_u64 v[16:17], v[4:5], 0, v[16:17]
	global_load_ushort v0, v[16:17], off
	s_waitcnt vmcnt(0)
	v_lshlrev_b32_e32 v0, 16, v0
	v_sub_f32_e32 v0, v0, v1
	v_mul_f32_e32 v0, v7, v0
	v_lshrrev_b32_e32 v14, 16, v0
.LBB764_71:
	s_or_b64 exec, exec, s[6:7]
	v_mov_b32_e32 v0, 0
	v_mov_b32_e32 v1, 0
	s_and_saveexec_b64 s[0:1], s[2:3]
	s_cbranch_execz .LBB764_73
; %bb.72:
	v_lshlrev_b32_e32 v10, 8, v10
	v_mov_b32_e32 v11, 0
	v_lshl_add_u64 v[10:11], v[4:5], 0, v[10:11]
	global_load_ushort v1, v[10:11], off
	s_waitcnt vmcnt(0)
	v_lshlrev_b32_e32 v1, 16, v1
	v_sub_f32_e32 v1, v1, v2
	v_mul_f32_e32 v1, v13, v1
	v_lshrrev_b32_e32 v1, 16, v1
.LBB764_73:
	s_or_b64 exec, exec, s[0:1]
	s_and_saveexec_b64 s[0:1], s[4:5]
	s_cbranch_execz .LBB764_75
; %bb.74:
	v_lshlrev_b32_e32 v10, 8, v12
	v_mov_b32_e32 v11, 0
	v_lshl_add_u64 v[4:5], v[4:5], 0, v[10:11]
	global_load_ushort v0, v[4:5], off
	s_waitcnt vmcnt(0)
	v_lshlrev_b32_e32 v0, 16, v0
	v_sub_f32_e32 v0, v0, v3
	v_mul_f32_e32 v0, v8, v0
	v_lshrrev_b32_e32 v0, 16, v0
.LBB764_75:
	s_or_b64 exec, exec, s[0:1]
	s_mov_b32 s0, 0x5040100
	v_lshlrev_b32_e32 v2, 1, v34
	v_perm_b32 v1, v0, v1, s0
	v_perm_b32 v0, v14, v15, s0
	v_lshl_or_b32 v2, v6, 5, v2
	ds_write_b64 v2, v[0:1] offset:38912
	s_waitcnt lgkmcnt(0)
	s_barrier
.LBB764_76:
	s_endpgm
	.section	.rodata,"a",@progbits
	.p2align	6, 0x0
	.amdhsa_kernel _ZN12_GLOBAL__N_139chunk_gated_delta_rule_fwd_h_hip_kernelILi16ELb1ELb0ELb0ELb0ELb0ELb0ELb0ELb0EEEvPK12hip_bfloat16S3_S3_PKfS5_PKvPS1_S8_PvPKiSB_iiiiilll
		.amdhsa_group_segment_fixed_size 40960
		.amdhsa_private_segment_fixed_size 0
		.amdhsa_kernarg_size 136
		.amdhsa_user_sgpr_count 2
		.amdhsa_user_sgpr_dispatch_ptr 0
		.amdhsa_user_sgpr_queue_ptr 0
		.amdhsa_user_sgpr_kernarg_segment_ptr 1
		.amdhsa_user_sgpr_dispatch_id 0
		.amdhsa_user_sgpr_kernarg_preload_length 0
		.amdhsa_user_sgpr_kernarg_preload_offset 0
		.amdhsa_user_sgpr_private_segment_size 0
		.amdhsa_uses_dynamic_stack 0
		.amdhsa_enable_private_segment 0
		.amdhsa_system_sgpr_workgroup_id_x 1
		.amdhsa_system_sgpr_workgroup_id_y 1
		.amdhsa_system_sgpr_workgroup_id_z 0
		.amdhsa_system_sgpr_workgroup_info 0
		.amdhsa_system_vgpr_workitem_id 0
		.amdhsa_next_free_vgpr 116
		.amdhsa_next_free_sgpr 64
		.amdhsa_accum_offset 108
		.amdhsa_reserve_vcc 1
		.amdhsa_float_round_mode_32 0
		.amdhsa_float_round_mode_16_64 0
		.amdhsa_float_denorm_mode_32 3
		.amdhsa_float_denorm_mode_16_64 3
		.amdhsa_dx10_clamp 1
		.amdhsa_ieee_mode 1
		.amdhsa_fp16_overflow 0
		.amdhsa_tg_split 0
		.amdhsa_exception_fp_ieee_invalid_op 0
		.amdhsa_exception_fp_denorm_src 0
		.amdhsa_exception_fp_ieee_div_zero 0
		.amdhsa_exception_fp_ieee_overflow 0
		.amdhsa_exception_fp_ieee_underflow 0
		.amdhsa_exception_fp_ieee_inexact 0
		.amdhsa_exception_int_div_zero 0
	.end_amdhsa_kernel
	.section	.text._ZN12_GLOBAL__N_139chunk_gated_delta_rule_fwd_h_hip_kernelILi16ELb1ELb0ELb0ELb0ELb0ELb0ELb0ELb0EEEvPK12hip_bfloat16S3_S3_PKfS5_PKvPS1_S8_PvPKiSB_iiiiilll,"axG",@progbits,_ZN12_GLOBAL__N_139chunk_gated_delta_rule_fwd_h_hip_kernelILi16ELb1ELb0ELb0ELb0ELb0ELb0ELb0ELb0EEEvPK12hip_bfloat16S3_S3_PKfS5_PKvPS1_S8_PvPKiSB_iiiiilll,comdat
.Lfunc_end764:
	.size	_ZN12_GLOBAL__N_139chunk_gated_delta_rule_fwd_h_hip_kernelILi16ELb1ELb0ELb0ELb0ELb0ELb0ELb0ELb0EEEvPK12hip_bfloat16S3_S3_PKfS5_PKvPS1_S8_PvPKiSB_iiiiilll, .Lfunc_end764-_ZN12_GLOBAL__N_139chunk_gated_delta_rule_fwd_h_hip_kernelILi16ELb1ELb0ELb0ELb0ELb0ELb0ELb0ELb0EEEvPK12hip_bfloat16S3_S3_PKfS5_PKvPS1_S8_PvPKiSB_iiiiilll
                                        ; -- End function
	.section	.AMDGPU.csdata,"",@progbits
; Kernel info:
; codeLenInByte = 7184
; NumSgprs: 70
; NumVgprs: 106
; NumAgprs: 8
; TotalNumVgprs: 116
; ScratchSize: 0
; MemoryBound: 0
; FloatMode: 240
; IeeeMode: 1
; LDSByteSize: 40960 bytes/workgroup (compile time only)
; SGPRBlocks: 8
; VGPRBlocks: 14
; NumSGPRsForWavesPerEU: 70
; NumVGPRsForWavesPerEU: 116
; AccumOffset: 108
; Occupancy: 1
; WaveLimiterHint : 1
; COMPUTE_PGM_RSRC2:SCRATCH_EN: 0
; COMPUTE_PGM_RSRC2:USER_SGPR: 2
; COMPUTE_PGM_RSRC2:TRAP_HANDLER: 0
; COMPUTE_PGM_RSRC2:TGID_X_EN: 1
; COMPUTE_PGM_RSRC2:TGID_Y_EN: 1
; COMPUTE_PGM_RSRC2:TGID_Z_EN: 0
; COMPUTE_PGM_RSRC2:TIDIG_COMP_CNT: 0
; COMPUTE_PGM_RSRC3_GFX90A:ACCUM_OFFSET: 26
; COMPUTE_PGM_RSRC3_GFX90A:TG_SPLIT: 0
	.section	.text._ZN12_GLOBAL__N_139chunk_gated_delta_rule_fwd_h_hip_kernelILi16ELb0ELb1ELb1ELb0ELb0ELb0ELb0ELb0EEEvPK12hip_bfloat16S3_S3_PKfS5_PKvPS1_S8_PvPKiSB_iiiiilll,"axG",@progbits,_ZN12_GLOBAL__N_139chunk_gated_delta_rule_fwd_h_hip_kernelILi16ELb0ELb1ELb1ELb0ELb0ELb0ELb0ELb0EEEvPK12hip_bfloat16S3_S3_PKfS5_PKvPS1_S8_PvPKiSB_iiiiilll,comdat
	.globl	_ZN12_GLOBAL__N_139chunk_gated_delta_rule_fwd_h_hip_kernelILi16ELb0ELb1ELb1ELb0ELb0ELb0ELb0ELb0EEEvPK12hip_bfloat16S3_S3_PKfS5_PKvPS1_S8_PvPKiSB_iiiiilll ; -- Begin function _ZN12_GLOBAL__N_139chunk_gated_delta_rule_fwd_h_hip_kernelILi16ELb0ELb1ELb1ELb0ELb0ELb0ELb0ELb0EEEvPK12hip_bfloat16S3_S3_PKfS5_PKvPS1_S8_PvPKiSB_iiiiilll
	.p2align	8
	.type	_ZN12_GLOBAL__N_139chunk_gated_delta_rule_fwd_h_hip_kernelILi16ELb0ELb1ELb1ELb0ELb0ELb0ELb0ELb0EEEvPK12hip_bfloat16S3_S3_PKfS5_PKvPS1_S8_PvPKiSB_iiiiilll,@function
_ZN12_GLOBAL__N_139chunk_gated_delta_rule_fwd_h_hip_kernelILi16ELb0ELb1ELb1ELb0ELb0ELb0ELb0ELb0EEEvPK12hip_bfloat16S3_S3_PKfS5_PKvPS1_S8_PvPKiSB_iiiiilll: ; @_ZN12_GLOBAL__N_139chunk_gated_delta_rule_fwd_h_hip_kernelILi16ELb0ELb1ELb1ELb0ELb0ELb0ELb0ELb0EEEvPK12hip_bfloat16S3_S3_PKfS5_PKvPS1_S8_PvPKiSB_iiiiilll
; %bb.0:
	s_load_dwordx4 s[16:19], s[0:1], 0x5c
	s_load_dwordx4 s[20:23], s[0:1], 0x70
	s_abs_i32 s14, s3
	s_ashr_i32 s13, s3, 31
	s_load_dwordx8 s[4:11], s[0:1], 0x0
	s_waitcnt lgkmcnt(0)
	s_abs_i32 s12, s17
	v_cvt_f32_u32_e32 v1, s12
	s_sub_i32 s24, 0, s12
	s_ashr_i32 s15, s17, 31
	s_xor_b32 s13, s13, s15
	v_rcp_iflag_f32_e32 v1, v1
	v_lshrrev_b32_e32 v48, 6, v0
	v_bfe_u32 v51, v0, 4, 2
	v_lshlrev_b32_e32 v49, 4, v48
	v_mul_f32_e32 v1, 0x4f7ffffe, v1
	v_cvt_u32_f32_e32 v1, v1
	v_lshlrev_b32_e32 v10, 2, v51
	v_and_b32_e32 v50, 63, v0
	v_mov_b32_e32 v9, 0
	v_readfirstlane_b32 s25, v1
	s_mul_i32 s24, s24, s25
	s_mul_hi_u32 s24, s25, s24
	s_add_i32 s25, s25, s24
	s_mul_hi_u32 s24, s14, s25
	s_mul_i32 s25, s24, s12
	s_sub_i32 s14, s14, s25
	s_add_i32 s26, s24, 1
	s_sub_i32 s25, s14, s12
	s_cmp_ge_u32 s14, s12
	s_cselect_b32 s24, s26, s24
	s_cselect_b32 s14, s25, s14
	s_add_i32 s25, s24, 1
	s_cmp_ge_u32 s14, s12
	s_cselect_b32 s14, s25, s24
	s_xor_b32 s14, s14, s13
	s_sub_i32 s49, s14, s13
	s_abs_i32 s13, s18
	v_cvt_f32_u32_e32 v1, s13
	s_add_i32 s24, s16, 63
	s_mul_i32 s47, s49, s17
	s_sub_i32 s33, s3, s47
	v_rcp_iflag_f32_e32 v1, v1
	s_ashr_i32 s3, s24, 31
	s_ashr_i32 s48, s16, 31
	s_lshr_b32 s3, s3, 26
	v_mul_f32_e32 v1, 0x4f7ffffe, v1
	v_cvt_u32_f32_e32 v1, v1
	s_lshr_b32 s14, s48, 26
	s_add_i32 s24, s24, s3
	s_add_i32 s14, s16, s14
	s_ashr_i32 s51, s18, 31
	s_ashr_i32 s3, s24, 6
	s_ashr_i32 s50, s14, 6
	s_xor_b32 s14, s15, s51
	s_sub_i32 s15, 0, s13
	v_readfirstlane_b32 s24, v1
	s_mul_i32 s15, s15, s24
	s_mul_hi_u32 s15, s24, s15
	s_add_i32 s24, s24, s15
	s_mul_hi_u32 s15, s12, s24
	s_mul_i32 s24, s15, s13
	s_sub_i32 s12, s12, s24
	s_add_i32 s24, s15, 1
	s_sub_i32 s25, s12, s13
	s_cmp_ge_u32 s12, s13
	s_cselect_b32 s15, s24, s15
	s_cselect_b32 s12, s25, s12
	s_add_i32 s24, s15, 1
	s_cmp_ge_u32 s12, s13
	s_cselect_b32 s12, s24, s15
	s_xor_b32 s12, s12, s14
	s_sub_i32 s24, s12, s14
	s_abs_i32 s25, s24
	v_cvt_f32_u32_e32 v1, s25
	s_load_dwordx2 s[34:35], s[0:1], 0x40
	s_load_dwordx4 s[12:15], s[0:1], 0x30
	s_load_dwordx2 s[36:37], s[0:1], 0x80
	s_xor_b32 s0, s33, s24
	s_sub_i32 s24, 0, s25
	v_rcp_iflag_f32_e32 v1, v1
	s_abs_i32 s1, s33
	s_ashr_i32 s0, s0, 31
	s_mul_i32 s52, s49, s3
	v_mul_f32_e32 v1, 0x4f7ffffe, v1
	v_cvt_u32_f32_e32 v1, v1
	v_and_b32_e32 v52, 15, v0
	s_mul_hi_i32 s53, s49, s17
	v_lshrrev_b32_e32 v54, 3, v50
	v_readfirstlane_b32 s26, v1
	s_mul_i32 s24, s24, s26
	s_mul_hi_u32 s24, s26, s24
	s_add_i32 s26, s26, s24
	s_mul_hi_u32 s24, s1, s26
	s_mul_i32 s26, s24, s25
	s_sub_i32 s1, s1, s26
	s_add_i32 s26, s24, 1
	s_sub_i32 s27, s1, s25
	s_cmp_ge_u32 s1, s25
	s_cselect_b32 s24, s26, s24
	s_cselect_b32 s1, s27, s1
	s_add_i32 s26, s24, 1
	s_cmp_ge_u32 s1, s25
	s_cselect_b32 s1, s26, s24
	s_xor_b32 s1, s1, s0
	s_sub_i32 s54, s1, s0
	v_or_b32_e32 v1, v10, v49
	s_lshl_b32 s2, s2, 4
	v_or_b32_e32 v55, 64, v1
	s_cmp_lt_i32 s16, 64
	v_lshlrev_b32_e32 v53, 3, v0
	s_mul_i32 s21, s49, s21
	s_mul_hi_u32 s46, s49, s20
	s_mul_i32 s38, s49, s20
	v_mov_b32_e32 v8, v9
	v_mov_b32_e32 v7, v9
	;; [unrolled: 1-line block ×7, first 2 shown]
	s_cbranch_scc1 .LBB765_18
; %bb.1:
	s_ashr_i32 s3, s49, 31
	s_ashr_i32 s56, s33, 31
	s_add_u32 s0, s47, s33
	s_addc_u32 s1, s53, s56
	s_mul_i32 s1, s16, s1
	s_mul_hi_u32 s24, s16, s0
	s_add_i32 s41, s24, s1
	s_mul_i32 s40, s16, s0
	s_lshl_b64 s[0:1], s[40:41], 8
	v_and_b32_e32 v57, 56, v53
	s_add_u32 s24, s6, s0
	v_lshl_or_b32 v56, v48, 3, v54
	v_lshlrev_b32_e32 v3, 1, v57
	s_addc_u32 s0, s7, s1
	v_lshl_or_b32 v58, v56, 8, v3
	s_and_b32 s25, s0, 0xffff
	s_mov_b32 s27, 0x20000
	s_movk_i32 s26, 0x4000
	s_movk_i32 s0, 0x80
	v_or_b32_e32 v59, 0x2000, v58
	buffer_load_dwordx4 v[4:7], v58, s[24:27], 0 offen
	buffer_load_dwordx4 v[12:15], v58, s[24:27], s0 offen
	;; [unrolled: 1-line block ×4, first 2 shown]
	v_lshlrev_b32_e32 v2, 3, v56
	v_and_or_b32 v9, v0, 7, v2
	v_and_b32_e32 v2, 0x78, v2
	v_lshlrev_b32_e32 v9, 4, v9
	v_xor_b32_e32 v60, v9, v2
	v_mul_lo_u32 v8, v56, s19
	v_or_b32_e32 v61, 0x1000, v60
	v_xor_b32_e32 v2, 8, v60
	s_cmpk_eq_i32 s19, 0x80
	s_mov_b32 s55, s18
	v_xor_b32_e32 v9, 8, v61
	s_cselect_b64 s[0:1], -1, 0
	s_cmpk_lg_i32 s19, 0x80
	s_waitcnt vmcnt(3)
	ds_write_b64 v60, v[4:5] offset:16384
	ds_write_b64 v2, v[6:7] offset:16384
	s_waitcnt vmcnt(2)
	ds_write_b64 v60, v[12:13] offset:24576
	ds_write_b64 v2, v[14:15] offset:24576
	s_waitcnt vmcnt(1)
	ds_write_b64 v60, v[16:17] offset:20480
	ds_write_b64 v9, v[18:19] offset:16384
	s_waitcnt vmcnt(0)
	ds_write_b64 v60, v[20:21] offset:28672
	ds_write_b64 v9, v[22:23] offset:24576
	v_lshl_add_u32 v2, v8, 1, v57
	s_cbranch_scc0 .LBB765_3
; %bb.2:
	v_lshlrev_b32_e32 v6, 1, v2
	v_add_lshl_u32 v5, v2, s19, 1
	s_lshl_b32 s26, s19, 7
	v_lshl_or_b32 v4, v56, 9, v3
	s_cbranch_execz .LBB765_4
	s_branch .LBB765_5
.LBB765_3:
                                        ; implicit-def: $vgpr5
                                        ; implicit-def: $vgpr6
                                        ; implicit-def: $sgpr26
	v_lshl_or_b32 v4, v56, 9, v3
.LBB765_4:
	v_or_b32_e32 v5, 0x100, v4
	s_movk_i32 s26, 0x4000
	v_mov_b32_e32 v6, v4
.LBB765_5:
	s_mul_hi_u32 s24, s18, s16
	s_mul_i32 s25, s51, s16
	s_add_i32 s24, s24, s25
	s_mul_i32 s25, s18, s16
	s_mul_i32 s27, s25, s3
	s_mul_hi_u32 s28, s25, s49
	s_add_i32 s27, s28, s27
	s_mul_i32 s24, s24, s49
	s_add_i32 s27, s27, s24
	s_mul_i32 s25, s25, s49
	s_ashr_i32 s57, s54, 31
	s_add_u32 s24, s25, s54
	s_addc_u32 s25, s27, s57
	s_lshl_b64 s[24:25], s[24:25], 8
	s_add_u32 s24, s4, s24
	s_addc_u32 s25, s5, s25
	s_and_b32 s25, s25, 0xffff
	s_mov_b32 s27, 0x20000
	s_movk_i32 s58, 0x80
	buffer_load_dwordx4 v[12:15], v6, s[24:27], 0 offen
	buffer_load_dwordx4 v[16:19], v6, s[24:27], s58 offen
	;; [unrolled: 1-line block ×4, first 2 shown]
	v_and_b32_e32 v3, 6, v0
	s_mul_i32 s24, s3, s16
	s_mul_hi_u32 s25, s49, s16
	v_lshlrev_b32_e32 v6, 2, v52
	v_lshlrev_b32_e32 v7, 3, v52
	v_xor_b32_e32 v9, v56, v3
	v_and_b32_e32 v5, 1, v0
	s_mul_i32 s3, s3, s20
	v_lshl_or_b32 v7, v1, 5, v7
	v_xor_b32_e32 v11, v1, v6
	v_lshlrev_b32_e32 v9, 2, v9
	s_add_i32 s63, s25, s24
	s_add_i32 s24, s46, s21
	v_or_b32_e32 v62, 0x9000, v7
	v_or_b32_e32 v63, 0x9800, v7
	v_lshlrev_b32_e32 v7, 1, v11
	v_xor_b32_e32 v11, 0x440, v9
	v_cmp_eq_u32_e32 vcc, 0, v5
	s_add_i32 s39, s24, s3
	s_mul_i32 s3, s33, s23
	s_mul_hi_u32 s24, s33, s22
	v_cndmask_b32_e32 v5, v11, v9, vcc
	s_add_i32 s3, s24, s3
	s_mul_i32 s24, s56, s22
	s_mov_b32 s60, 0x1000504
	v_lshlrev_b32_e32 v8, 8, v52
	s_mov_b32 s26, 0x8000
	v_xor_b32_e32 v6, v55, v6
	v_lshl_or_b32 v3, v3, 10, v5
	s_add_i32 s25, s3, s24
	s_lshl_b64 s[28:29], s[38:39], 2
	s_mov_b32 s61, 0x3020706
	v_lshlrev_b32_e32 v6, 1, v6
	v_or3_b32 v64, v7, v8, s26
	v_xor_b32_e32 v5, 8, v3
	v_xor_b32_e32 v7, 24, v3
	;; [unrolled: 1-line block ×4, first 2 shown]
	s_mul_i32 s24, s33, s22
	s_add_u32 s3, s10, s28
	v_or3_b32 v65, v6, v8, s26
	v_xor_b32_e32 v6, 16, v3
	v_xor_b32_e32 v8, 32, v3
	;; [unrolled: 1-line block ×3, first 2 shown]
	v_add_u32_e32 v5, 0x80, v5
	v_add_u32_e32 v7, 0x80, v7
	;; [unrolled: 1-line block ×4, first 2 shown]
	s_addc_u32 s28, s11, s29
	s_lshl_b64 s[24:25], s[24:25], 2
	s_add_u32 s42, s3, s24
	s_movk_i32 s3, 0xf8
	s_addc_u32 s43, s28, s25
	s_lshl_b32 s30, s19, 7
	s_mov_b32 s59, 0
	s_mul_i32 s62, s49, s16
	v_add_u32_e32 v80, v49, v10
	v_mov_b32_e32 v81, 0x3fb8aa3b
	s_mov_b32 s64, 0
	s_waitcnt vmcnt(1)
	v_perm_b32 v29, v12, v20, s60
	s_waitcnt vmcnt(0)
	v_perm_b32 v30, v16, v24, s60
	v_perm_b32 v12, v12, v20, s61
	;; [unrolled: 1-line block ×15, first 2 shown]
	ds_write2st64_b32 v3, v29, v30 offset1:32
	ds_write2st64_b32 v5, v12, v16 offset1:32
	ds_write2st64_b32 v6, v20, v24 offset0:1 offset1:33
	ds_write2st64_b32 v7, v13, v17 offset0:1 offset1:33
	;; [unrolled: 1-line block ×6, first 2 shown]
	v_or_b32_e32 v3, v49, v52
	v_lshlrev_b32_e32 v3, 3, v3
	v_lshrrev_b32_e32 v7, 5, v50
	v_and_or_b32 v7, v3, s3, v7
	v_lshlrev_b32_e32 v7, 4, v7
	v_lshlrev_b32_e32 v5, 11, v48
	v_and_b32_e32 v3, 0x78, v3
	v_or_b32_e32 v12, 32, v7
	v_and_b32_e32 v6, 0x1000, v5
	v_lshrrev_b32_e32 v11, 1, v0
	v_xor_b32_e32 v12, v12, v3
	v_and_b32_e32 v9, 8, v11
	v_or_b32_e32 v12, v12, v6
	v_xor_b32_e32 v8, v7, v3
	v_xor_b32_e32 v68, v12, v9
	v_or_b32_e32 v12, 64, v7
	v_or_b32_e32 v7, 0x60, v7
	v_xor_b32_e32 v12, v12, v3
	v_xor_b32_e32 v3, v7, v3
	v_or_b32_e32 v3, v3, v6
	v_or_b32_e32 v12, v12, v6
	v_xor_b32_e32 v70, v3, v9
	v_lshlrev_b32_e32 v14, 1, v2
	v_add_lshl_u32 v15, v2, s19, 1
	v_lshrrev_b32_e32 v2, 4, v0
	v_lshlrev_b32_e32 v3, 1, v52
	v_xor_b32_e32 v69, v12, v9
	s_ashr_i32 s3, s2, 31
	v_or_b32_e32 v12, 1, v3
	v_xor_b32_e32 v3, v2, v3
	s_lshl_b64 s[24:25], s[2:3], 8
	v_xor_b32_e32 v12, v12, v2
	v_lshlrev_b32_e32 v3, 3, v3
	v_lshlrev_b32_e32 v2, 8, v2
	s_waitcnt lgkmcnt(0)
	s_add_u32 s24, s12, s24
	v_or3_b32 v72, v3, v2, s26
	v_lshlrev_b32_e32 v3, 3, v12
	s_addc_u32 s25, s13, s25
	v_or3_b32 v73, v3, v2, s26
	v_mov_b32_e32 v3, 0
	v_lshl_add_u64 v[12:13], s[24:25], 0, v[2:3]
	v_lshlrev_b32_e32 v2, 4, v52
	s_movk_i32 s3, 0xff
	v_lshlrev_b32_e32 v18, 3, v48
	v_and_b32_e32 v11, 24, v11
	v_lshl_add_u64 v[42:43], v[12:13], 0, v[2:3]
	v_and_b32_e32 v12, 8, v0
	v_cmp_lt_u32_e32 vcc, s3, v0
	v_xor_b32_e32 v19, v18, v11
	v_or_b32_e32 v20, 0x440, v19
	v_cndmask_b32_e64 v17, 0, 1, vcc
	v_cmp_eq_u32_e32 vcc, 0, v12
	v_and_b32_e32 v2, 7, v0
	v_lshlrev_b32_e32 v13, 3, v2
	v_cndmask_b32_e32 v12, v20, v19, vcc
	v_lshlrev_b32_e32 v2, 7, v2
	v_or_b32_e32 v12, v12, v5
	v_xad_u32 v74, v12, v13, v2
	v_or_b32_e32 v12, 32, v11
	v_xor_b32_e32 v12, v18, v12
	v_or_b32_e32 v19, 0x440, v12
	v_cndmask_b32_e32 v12, v19, v12, vcc
	v_or_b32_e32 v12, v12, v5
	v_xad_u32 v75, v12, v13, v2
	v_or_b32_e32 v12, 64, v11
	v_xor_b32_e32 v12, v18, v12
	v_xor_b32_e32 v19, 0x440, v12
	v_cndmask_b32_e32 v12, v19, v12, vcc
	v_or_b32_e32 v11, 0x60, v11
	v_or_b32_e32 v12, v12, v5
	v_xor_b32_e32 v11, v18, v11
	v_or_b32_e32 v8, v8, v6
	v_or_b32_e32 v6, s2, v52
	v_xad_u32 v76, v12, v13, v2
	v_xor_b32_e32 v12, 0x440, v11
	v_xor_b32_e32 v66, v8, v9
	v_and_b32_e32 v8, 0x78, v53
	v_ashrrev_i32_e32 v7, 31, v6
	v_cndmask_b32_e32 v11, v12, v11, vcc
	v_lshl_or_b32 v8, v51, 7, v8
	v_lshlrev_b64 v[6:7], 1, v[6:7]
	v_or_b32_e32 v5, v11, v5
	v_or_b32_e32 v67, 0x9000, v8
	;; [unrolled: 1-line block ×3, first 2 shown]
	v_lshl_add_u64 v[8:9], s[8:9], 0, v[6:7]
	v_lshl_add_u64 v[6:7], s[14:15], 0, v[6:7]
	v_or_b32_e32 v16, 0x100, v4
	v_lshlrev_b32_e32 v17, 13, v17
	v_xad_u32 v77, v5, v13, v2
	v_lshlrev_b32_e32 v2, 8, v1
	v_cndmask_b32_e64 v78, v14, v4, s[0:1]
	v_cndmask_b32_e64 v79, v15, v16, s[0:1]
	v_lshl_add_u64 v[44:45], v[8:9], 0, v[2:3]
	v_lshl_add_u64 v[46:47], v[6:7], 0, v[2:3]
	s_mov_b32 s3, 0x7060302
	s_movk_i32 s26, 0x4000
	v_add_u32_e32 v82, v17, v74
	v_add_u32_e32 v83, v17, v75
	;; [unrolled: 1-line block ×4, first 2 shown]
	v_mov_b32_e32 v2, v3
	v_mov_b32_e32 v4, v3
	;; [unrolled: 1-line block ×7, first 2 shown]
	s_barrier
.LBB765_6:                              ; =>This Inner Loop Header: Depth=1
	s_add_i32 s39, s64, 1
	s_cmp_lt_i32 s39, s50
	s_mov_b64 s[28:29], 0
	s_cselect_b64 s[44:45], -1, 0
	s_cmp_ge_i32 s39, s50
	s_mov_b64 s[24:25], 0
	s_cbranch_scc1 .LBB765_8
; %bb.7:                                ;   in Loop: Header=BB765_6 Depth=1
	s_add_i32 s0, s59, 64
	s_add_u32 s0, s40, s0
	s_addc_u32 s1, s41, 0
	s_lshl_b64 s[0:1], s[0:1], 8
	s_add_u32 s24, s6, s0
	s_addc_u32 s25, s7, s1
.LBB765_8:                              ;   in Loop: Header=BB765_6 Depth=1
	v_cndmask_b32_e64 v5, 0, 1, s[44:45]
	v_cmp_ne_u32_e64 s[0:1], 1, v5
	s_andn2_b64 vcc, exec, s[44:45]
	s_cbranch_vccnz .LBB765_10
; %bb.9:                                ;   in Loop: Header=BB765_6 Depth=1
	s_add_i32 s28, s59, 64
	s_add_u32 s28, s62, s28
	s_addc_u32 s29, s63, 0
	s_mul_i32 s31, s28, s51
	s_mul_hi_u32 s44, s28, s55
	s_add_i32 s31, s44, s31
	s_mul_i32 s29, s29, s55
	s_add_i32 s31, s31, s29
	s_mul_i32 s28, s28, s55
	s_add_u32 s28, s28, s54
	s_addc_u32 s29, s31, s57
	s_lshl_b64 s[28:29], s[28:29], 8
	s_add_u32 s28, s4, s28
	s_addc_u32 s29, s5, s29
.LBB765_10:                             ;   in Loop: Header=BB765_6 Depth=1
	v_perm_b32 v11, v87, v4, s3
	v_perm_b32 v10, v3, v2, s3
	;; [unrolled: 1-line block ×4, first 2 shown]
	ds_write_b64 v62, v[10:11]
	ds_write_b64 v63, v[12:13]
	;; [unrolled: 1-line block ×4, first 2 shown]
	s_waitcnt lgkmcnt(0)
	s_barrier
	ds_read_b64 v[18:19], v66 offset:16384
	ds_read_b64 v[20:21], v68 offset:16384
	ds_read2st64_b64 v[10:13], v67 offset1:1
	ds_read2st64_b64 v[14:17], v67 offset0:2 offset1:3
	ds_read_b64 v[22:23], v69 offset:16384
	s_waitcnt lgkmcnt(2)
	v_mfma_f32_16x16x16_bf16 a[0:3], v[18:19], v[10:11], 0
	ds_read_b64 v[10:11], v70 offset:16384
	s_add_i32 s31, s59, 63
	s_mul_i32 s44, s31, s37
	v_mfma_f32_16x16x16_bf16 a[0:3], v[20:21], v[12:13], a[0:3]
	s_mul_hi_u32 s45, s31, s36
	s_add_i32 s45, s45, s44
	s_mul_i32 s44, s31, s36
	s_waitcnt lgkmcnt(1)
	v_mfma_f32_16x16x16_bf16 a[0:3], v[22:23], v[14:15], a[0:3]
	s_lshl_b64 s[44:45], s[44:45], 2
	s_add_u32 s44, s42, s44
	s_addc_u32 s45, s43, s45
	s_waitcnt lgkmcnt(0)
	v_mfma_f32_16x16x16_bf16 a[0:3], v[10:11], v[16:17], a[0:3]
	s_and_b64 vcc, exec, s[0:1]
	v_mov_b32_e32 v88, 0
	v_mov_b32_e32 v9, 0
	;; [unrolled: 1-line block ×19, first 2 shown]
	s_cbranch_vccnz .LBB765_12
; %bb.11:                               ;   in Loop: Header=BB765_6 Depth=1
	s_and_b32 s25, s25, 0xffff
	buffer_load_dwordx4 v[22:25], v58, s[24:27], 0 offen
	buffer_load_dwordx4 v[18:21], v58, s[24:27], s58 offen
	;; [unrolled: 1-line block ×4, first 2 shown]
	v_mov_b32_e32 v9, v60
	v_mov_b32_e32 v5, v61
.LBB765_12:                             ;   in Loop: Header=BB765_6 Depth=1
	s_waitcnt vmcnt(3)
	v_add_u32_e32 v32, s59, v80
	s_waitcnt vmcnt(1)
	v_ashrrev_i32_e32 v26, 31, v32
	v_mul_lo_u32 v28, v26, s36
	v_mul_lo_u32 v29, v32, s37
	v_mad_u64_u32 v[26:27], s[24:25], v32, s36, 0
	v_add3_u32 v27, v27, v29, v28
	v_add_u32_e32 v28, 1, v32
	v_ashrrev_i32_e32 v29, 31, v28
	v_mul_lo_u32 v30, v29, s36
	v_mul_lo_u32 v31, v28, s37
	v_mad_u64_u32 v[28:29], s[24:25], v28, s36, 0
	v_add3_u32 v29, v29, v31, v30
	v_add_u32_e32 v30, 2, v32
	v_ashrrev_i32_e32 v31, 31, v30
	v_mul_lo_u32 v33, v31, s36
	v_mul_lo_u32 v34, v30, s37
	v_mad_u64_u32 v[30:31], s[24:25], v30, s36, 0
	s_add_u32 s24, s40, s59
	v_add3_u32 v31, v31, v34, v33
	v_add_u32_e32 v34, 3, v32
	s_addc_u32 s25, s41, 0
	v_ashrrev_i32_e32 v32, 31, v34
	s_lshl_b64 s[66:67], s[24:25], 8
	v_lshl_add_u64 v[26:27], v[26:27], 2, s[42:43]
	v_mul_lo_u32 v35, v32, s36
	v_lshl_add_u64 v[32:33], v[44:45], 0, s[66:67]
	v_mul_lo_u32 v36, v34, s37
	global_load_ushort v90, v[32:33], off
	global_load_ushort v91, v[32:33], off offset:256
	global_load_ushort v92, v[32:33], off offset:512
	;; [unrolled: 1-line block ×3, first 2 shown]
	global_load_dword v94, v[26:27], off
	v_mad_u64_u32 v[26:27], s[24:25], v34, s36, 0
	v_lshl_add_u64 v[28:29], v[28:29], 2, s[42:43]
	v_add3_u32 v27, v27, v36, v35
	v_lshl_add_u64 v[30:31], v[30:31], 2, s[42:43]
	v_lshl_add_u64 v[26:27], v[26:27], 2, s[42:43]
	global_load_dword v95, v[28:29], off
	global_load_dword v96, v[30:31], off
	global_load_dword v97, v[26:27], off
	ds_read_b64 v[26:27], v66 offset:24576
	s_load_dword s24, s[44:45], 0x0
	ds_read_b64 v[36:37], v68 offset:24576
	ds_read2st64_b64 v[28:31], v71 offset1:1
	ds_read2st64_b64 v[32:35], v71 offset0:2 offset1:3
	ds_read_b64 v[38:39], v69 offset:24576
	ds_read_b64 v[40:41], v70 offset:24576
	s_waitcnt lgkmcnt(0)
	v_mfma_f32_16x16x16_bf16 a[0:3], v[26:27], v[28:29], a[0:3]
	v_mov_b32_e32 v89, 0
	v_mov_b32_e32 v26, 0
	;; [unrolled: 1-line block ×3, first 2 shown]
	v_mfma_f32_16x16x16_bf16 a[0:3], v[36:37], v[30:31], a[0:3]
	v_lshl_add_u64 v[36:37], v[46:47], 0, s[66:67]
	v_mov_b32_e32 v28, 0
	v_mov_b32_e32 v29, 0
	v_mfma_f32_16x16x16_bf16 a[0:3], v[38:39], v[32:33], a[0:3]
	v_mov_b32_e32 v30, 0
	v_mov_b32_e32 v31, 0
	;; [unrolled: 1-line block ×3, first 2 shown]
	v_mfma_f32_16x16x16_bf16 a[0:3], v[40:41], v[34:35], a[0:3]
	s_and_b64 vcc, exec, s[0:1]
	s_waitcnt vmcnt(7)
	v_lshlrev_b32_e32 v40, 16, v90
	s_nop 3
	v_accvgpr_read_b32 v39, a1
	v_accvgpr_read_b32 v35, a3
	;; [unrolled: 1-line block ×4, first 2 shown]
	s_waitcnt vmcnt(6)
	v_lshlrev_b32_e32 v41, 16, v91
	s_waitcnt vmcnt(4)
	v_lshlrev_b32_e32 v91, 16, v93
	v_lshlrev_b32_e32 v90, 16, v92
	s_waitcnt vmcnt(3)
	v_sub_f32_e32 v33, s24, v94
	v_pk_add_f32 v[38:39], v[40:41], v[38:39] neg_lo:[0,1] neg_hi:[0,1]
	v_pk_add_f32 v[34:35], v[90:91], v[34:35] neg_lo:[0,1] neg_hi:[0,1]
	v_mul_f32_e32 v33, 0x3fb8aa3b, v33
	s_waitcnt vmcnt(2)
	v_sub_f32_e32 v41, s24, v95
	s_waitcnt vmcnt(1)
	v_sub_f32_e32 v90, s24, v96
	;; [unrolled: 2-line block ×3, first 2 shown]
	v_exp_f32_e32 v40, v33
	v_mul_f32_e32 v33, 0x3fb8aa3b, v41
	v_mul_f32_e32 v90, 0x3fb8aa3b, v90
	;; [unrolled: 1-line block ×3, first 2 shown]
	v_exp_f32_e32 v41, v33
	v_exp_f32_e32 v90, v90
	v_exp_f32_e32 v91, v91
	global_store_short_d16_hi v[36:37], v38, off
	global_store_short_d16_hi v[36:37], v39, off offset:256
	global_store_short_d16_hi v[36:37], v34, off offset:512
	;; [unrolled: 1-line block ×3, first 2 shown]
	v_pk_mul_f32 v[36:37], v[40:41], v[38:39]
	v_pk_mul_f32 v[34:35], v[90:91], v[34:35]
	v_mov_b32_e32 v33, 0
	v_perm_b32 v35, v35, v34, s3
	v_perm_b32 v34, v37, v36, s3
	ds_write_b64 v63, v[34:35]
	v_mov_b32_e32 v34, 0
	v_mov_b32_e32 v35, 0
	;; [unrolled: 1-line block ×8, first 2 shown]
	s_cbranch_vccnz .LBB765_14
; %bb.13:                               ;   in Loop: Header=BB765_6 Depth=1
	s_and_b32 s29, s29, 0xffff
	s_mov_b32 s31, s27
	buffer_load_dwordx4 v[38:41], v78, s[28:31], 0 offen
	buffer_load_dwordx4 v[30:33], v78, s[28:31], s58 offen
	;; [unrolled: 1-line block ×4, first 2 shown]
	v_mov_b32_e32 v88, v57
	v_mov_b32_e32 v89, v56
.LBB765_14:                             ;   in Loop: Header=BB765_6 Depth=1
	s_waitcnt lgkmcnt(0)
	s_barrier
	ds_read_b64 v[98:99], v82
	ds_read2st64_b64 v[90:93], v71 offset1:1
	ds_read2st64_b64 v[94:97], v71 offset0:2 offset1:3
	ds_read_b64 v[100:101], v83
	ds_read_b64 v[102:103], v84
	;; [unrolled: 1-line block ×3, first 2 shown]
	s_waitcnt lgkmcnt(4)
	v_mfma_f32_16x16x16_bf16 a[0:3], v[98:99], v[90:91], 0
	ds_read_b64 v[98:99], v74 offset:8192
	ds_read_b64 v[106:107], v75 offset:8192
	s_add_i32 s25, s52, s64
	s_mul_hi_i32 s29, s25, s17
	s_waitcnt lgkmcnt(1)
	v_mfma_f32_16x16x16_bf16 a[4:7], v[98:99], v[90:91], 0
	s_mul_i32 s25, s25, s17
	s_add_u32 s28, s25, s33
	s_addc_u32 s29, s29, s56
	v_mfma_f32_16x16x16_bf16 a[0:3], v[100:101], v[92:93], a[0:3]
	ds_read_b64 v[98:99], v72
	ds_read_b64 v[100:101], v73
	ds_read_b64 v[90:91], v76 offset:8192
	s_lshl_b64 s[28:29], s[28:29], 15
	v_mfma_f32_16x16x16_bf16 a[0:3], v[102:103], v[94:95], a[0:3]
	ds_read_b64 v[102:103], v77 offset:8192
	s_and_b64 vcc, exec, s[0:1]
	s_waitcnt lgkmcnt(4)
	v_mfma_f32_16x16x16_bf16 a[4:7], v[106:107], v[92:93], a[4:7]
	s_waitcnt lgkmcnt(1)
	v_mfma_f32_16x16x16_bf16 a[4:7], v[90:91], v[94:95], a[4:7]
	v_lshl_add_u64 v[90:91], v[42:43], 0, s[28:29]
	global_store_dwordx4 v[90:91], v[98:101], off
	v_mfma_f32_16x16x16_bf16 a[0:3], v[104:105], v[96:97], a[0:3]
	s_waitcnt lgkmcnt(0)
	v_mfma_f32_16x16x16_bf16 a[4:7], v[102:103], v[96:97], a[4:7]
	s_cbranch_vccnz .LBB765_16
; %bb.15:                               ;   in Loop: Header=BB765_6 Depth=1
	v_lshrrev_b32_e32 v90, 3, v88
	v_and_b32_e32 v90, 6, v90
	v_xor_b32_e32 v89, v90, v89
	v_lshlrev_b32_e32 v89, 2, v89
	v_and_b32_e32 v88, 8, v88
	v_xor_b32_e32 v91, 0x440, v89
	v_cmp_eq_u32_e32 vcc, 0, v88
	s_barrier
	s_nop 0
	v_cndmask_b32_e32 v88, v91, v89, vcc
	v_lshl_or_b32 v88, v90, 10, v88
	s_waitcnt vmcnt(2)
	v_perm_b32 v89, v38, v34, s60
	s_waitcnt vmcnt(1)
	v_perm_b32 v90, v30, v26, s60
	ds_write2st64_b32 v88, v89, v90 offset1:32
	v_xor_b32_e32 v89, 8, v88
	v_perm_b32 v34, v38, v34, s61
	v_perm_b32 v26, v30, v26, s61
	v_add_u32_e32 v30, 0x80, v89
	ds_write2st64_b32 v30, v34, v26 offset1:32
	v_xor_b32_e32 v26, 16, v88
	v_perm_b32 v30, v39, v35, s60
	v_perm_b32 v34, v31, v27, s60
	ds_write2st64_b32 v26, v30, v34 offset0:1 offset1:33
	v_xor_b32_e32 v26, 24, v88
	v_perm_b32 v30, v39, v35, s61
	v_perm_b32 v27, v31, v27, s61
	v_add_u32_e32 v26, 0x80, v26
	ds_write2st64_b32 v26, v30, v27 offset0:1 offset1:33
	v_xor_b32_e32 v26, 32, v88
	v_perm_b32 v27, v40, v36, s60
	v_perm_b32 v30, v32, v28, s60
	ds_write2st64_b32 v26, v27, v30 offset0:2 offset1:34
	v_xor_b32_e32 v26, 40, v88
	v_perm_b32 v27, v40, v36, s61
	v_perm_b32 v28, v32, v28, s61
	v_add_u32_e32 v26, 0x80, v26
	ds_write2st64_b32 v26, v27, v28 offset0:2 offset1:34
	;; [unrolled: 9-line block ×3, first 2 shown]
	ds_write_b64 v9, v[22:23] offset:16384
	v_xor_b32_e32 v22, 8, v9
	ds_write_b64 v22, v[24:25] offset:16384
	ds_write_b64 v9, v[18:19] offset:24576
	;; [unrolled: 1-line block ×4, first 2 shown]
	v_xor_b32_e32 v9, 8, v5
	ds_write_b64 v9, v[16:17] offset:16384
	ds_write_b64 v5, v[10:11] offset:24576
	;; [unrolled: 1-line block ×3, first 2 shown]
.LBB765_16:                             ;   in Loop: Header=BB765_6 Depth=1
	v_mul_f32_e32 v5, s24, v81
	v_exp_f32_e32 v10, v5
	s_nop 1
	v_accvgpr_read_b32 v9, a1
	v_accvgpr_read_b32 v5, a0
	s_add_i32 s59, s59, 64
	v_fma_f32 v3, v3, v10, v9
	v_accvgpr_read_b32 v9, a4
	v_fma_f32 v6, v6, v10, v9
	v_accvgpr_read_b32 v9, a5
	;; [unrolled: 2-line block ×6, first 2 shown]
	v_fmac_f32_e32 v5, v87, v10
	s_cmp_eq_u32 s50, s39
	v_fmac_f32_e32 v9, v86, v10
	s_cbranch_scc1 .LBB765_18
; %bb.17:                               ;   in Loop: Header=BB765_6 Depth=1
	s_mov_b32 s64, s39
	v_mov_b32_e32 v87, v5
	v_mov_b32_e32 v86, v9
	s_branch .LBB765_6
.LBB765_18:
	s_lshl_b32 s44, s50, 6
	s_sub_i32 s45, s16, s44
	s_cmp_gt_i32 s45, 0
	s_waitcnt vmcnt(2)
	v_or_b32_e32 v34, s2, v52
	s_cbranch_scc1 .LBB765_20
; %bb.19:
	s_ashr_i32 s0, s33, 31
	s_add_u32 s28, s47, s33
	s_addc_u32 s29, s53, s0
	v_or_b32_e32 v10, s2, v52
	s_cbranch_execz .LBB765_21
	s_branch .LBB765_77
.LBB765_20:
                                        ; implicit-def: $sgpr28_sgpr29
                                        ; implicit-def: $vgpr10
.LBB765_21:
	s_ashr_i32 s39, s49, 31
	s_ashr_i32 s3, s44, 31
	s_cmpk_lg_i32 s19, 0x80
	s_cselect_b64 s[40:41], -1, 0
	s_and_b64 vcc, exec, s[40:41]
	s_cbranch_vccz .LBB765_23
; %bb.22:
	s_mul_i32 s1, s49, s16
	s_mul_hi_i32 s0, s49, s16
	s_add_u32 s1, s1, s44
	s_addc_u32 s0, s0, s3
	s_mul_i32 s24, s1, s51
	s_mul_hi_u32 s25, s1, s18
	s_add_i32 s24, s25, s24
	s_mul_i32 s0, s0, s18
	s_add_i32 s24, s24, s0
	s_mul_i32 s1, s1, s18
	s_ashr_i32 s0, s54, 31
	s_add_u32 s42, s1, s54
	s_addc_u32 s43, s24, s0
	s_cbranch_execz .LBB765_24
	s_branch .LBB765_25
.LBB765_23:
                                        ; implicit-def: $sgpr42_sgpr43
.LBB765_24:
	s_mul_hi_i32 s0, s49, s18
	s_mul_i32 s49, s49, s18
	s_ashr_i32 s1, s54, 31
	s_add_u32 s18, s49, s54
	s_addc_u32 s0, s0, s1
	s_mul_i32 s1, s18, s48
	s_mul_hi_u32 s24, s18, s16
	s_add_i32 s1, s24, s1
	s_mul_i32 s0, s0, s16
	s_add_i32 s1, s1, s0
	s_mul_i32 s18, s18, s16
	s_add_u32 s42, s18, s44
	s_addc_u32 s43, s1, s3
.LBB765_25:
	s_add_i32 s24, s52, s50
	s_ashr_i32 s18, s33, 31
	s_add_u32 s28, s47, s33
	s_addc_u32 s29, s53, s18
	s_mul_i32 s0, s28, s48
	s_mul_hi_u32 s1, s28, s16
	s_add_i32 s0, s1, s0
	s_mul_i32 s1, s29, s16
	s_add_i32 s1, s0, s1
	s_mul_i32 s0, s28, s16
	s_add_u32 s0, s0, s44
	s_addc_u32 s1, s1, s3
	s_mov_b32 s3, 0x7060302
	v_lshlrev_b32_e32 v14, 3, v52
	s_lshl_b64 s[30:31], s[0:1], 8
	v_perm_b32 v11, v5, v4, s3
	v_perm_b32 v10, v3, v2, s3
	;; [unrolled: 1-line block ×4, first 2 shown]
	v_lshlrev_b32_e32 v44, 2, v52
	v_lshl_or_b32 v14, v1, 5, v14
	s_add_u32 s0, s6, s30
	ds_write2st64_b64 v14, v[10:11], v[12:13] offset0:72 offset1:76
	v_xor_b32_e32 v14, v1, v44
	v_lshlrev_b32_e32 v15, 8, v52
	s_addc_u32 s1, s7, s31
	v_lshl_or_b32 v14, v14, 1, v15
	s_mul_hi_i32 s3, s24, s17
	s_mul_i32 s24, s24, s17
	ds_write_b64 v14, v[10:11] offset:32768
	v_xor_b32_e32 v10, v55, v44
	s_add_u32 s6, s24, s33
	v_lshl_or_b32 v10, v10, 1, v15
	s_addc_u32 s7, s3, s18
	v_lshlrev_b32_e32 v11, 1, v52
	ds_write_b64 v10, v[12:13] offset:32768
	v_lshrrev_b32_e32 v10, 4, v0
	s_ashr_i32 s3, s2, 31
	s_lshl_b64 s[6:7], s[6:7], 15
	v_or_b32_e32 v12, 1, v11
	s_waitcnt lgkmcnt(0)
	s_add_u32 s6, s12, s6
	v_xor_b32_e32 v11, v10, v11
	v_xor_b32_e32 v12, v12, v10
	v_lshlrev_b32_e32 v14, 8, v10
	s_addc_u32 s7, s13, s7
	s_lshl_b64 s[2:3], s[2:3], 8
	v_lshl_or_b32 v10, v11, 3, v14
	v_lshl_or_b32 v12, v12, 3, v14
	s_barrier
	s_add_u32 s2, s6, s2
	ds_read_b64 v[10:11], v10 offset:32768
	ds_read_b64 v[12:13], v12 offset:32768
	s_addc_u32 s3, s7, s3
	v_mov_b32_e32 v15, 0
	s_cmp_lg_u32 s45, 64
	v_lshl_add_u64 v[16:17], s[2:3], 0, v[14:15]
	v_lshlrev_b32_e32 v14, 4, v52
	s_cselect_b64 s[6:7], -1, 0
	v_lshl_or_b32 v35, v48, 3, v54
	s_mov_b32 s24, 0
	v_lshl_add_u64 v[14:15], v[16:17], 0, v[14:15]
	s_waitcnt vmcnt(1)
	v_or_b32_e32 v27, 32, v35
	v_and_b32_e32 v26, 56, v53
	s_and_b64 vcc, exec, s[6:7]
	s_waitcnt lgkmcnt(0)
	global_store_dwordx4 v[14:15], v[10:13], off
	s_cbranch_vccz .LBB765_31
; %bb.26:
	s_mov_b32 s25, s24
	s_mov_b32 s26, s24
	;; [unrolled: 1-line block ×3, first 2 shown]
	v_mov_b64_e32 v[14:15], s[24:25]
	v_mov_b64_e32 v[16:17], s[26:27]
	;; [unrolled: 1-line block ×3, first 2 shown]
	v_cmp_gt_i32_e32 vcc, s45, v35
	v_mov_b64_e32 v[12:13], v[16:17]
	s_and_saveexec_b64 s[2:3], vcc
	s_cbranch_execz .LBB765_28
; %bb.27:
	v_lshlrev_b32_e32 v10, 8, v35
	v_mov_b32_e32 v11, 0
	v_lshl_add_u64 v[12:13], s[0:1], 0, v[10:11]
	v_lshlrev_b32_e32 v10, 1, v26
	v_lshl_add_u64 v[18:19], v[12:13], 0, v[10:11]
	global_load_dwordx4 v[14:17], v[18:19], off
	global_load_dwordx4 v[10:13], v[18:19], off offset:128
.LBB765_28:
	s_or_b64 exec, exec, s[2:3]
	s_mov_b32 s25, s24
	s_mov_b32 s26, s24
	;; [unrolled: 1-line block ×3, first 2 shown]
	v_mov_b64_e32 v[22:23], s[24:25]
	v_mov_b64_e32 v[24:25], s[26:27]
	;; [unrolled: 1-line block ×3, first 2 shown]
	v_cmp_gt_i32_e32 vcc, s45, v27
	v_lshlrev_b32_e32 v28, 7, v27
	v_mov_b64_e32 v[20:21], v[24:25]
	s_and_saveexec_b64 s[2:3], vcc
	s_cbranch_execz .LBB765_30
; %bb.29:
	v_lshlrev_b32_e32 v18, 1, v28
	v_mov_b32_e32 v19, 0
	v_lshl_add_u64 v[20:21], s[0:1], 0, v[18:19]
	v_lshlrev_b32_e32 v18, 1, v26
	v_lshl_add_u64 v[30:31], v[20:21], 0, v[18:19]
	global_load_dwordx4 v[22:25], v[30:31], off
	global_load_dwordx4 v[18:21], v[30:31], off offset:128
.LBB765_30:
	s_or_b64 exec, exec, s[2:3]
	v_lshrrev_b32_e32 v29, 3, v26
	v_lshlrev_b32_e32 v30, 3, v35
	v_or_b32_e32 v29, v30, v29
	v_lshlrev_b32_e32 v29, 4, v29
	v_and_b32_e32 v30, 0x78, v30
	v_xor_b32_e32 v29, v29, v30
	s_branch .LBB765_33
.LBB765_31:
                                        ; implicit-def: $vgpr29
                                        ; implicit-def: $vgpr28
                                        ; implicit-def: $vgpr14_vgpr15_vgpr16_vgpr17
                                        ; implicit-def: $vgpr10_vgpr11_vgpr12_vgpr13
                                        ; implicit-def: $vgpr22_vgpr23_vgpr24_vgpr25
                                        ; implicit-def: $vgpr18_vgpr19_vgpr20_vgpr21
	s_cbranch_execz .LBB765_33
; %bb.32:
	s_waitcnt vmcnt(0)
	v_lshlrev_b32_e32 v10, 1, v26
	v_lshl_or_b32 v28, v35, 8, v10
	s_and_b32 s1, s1, 0xffff
	s_mov_b32 s3, 0x20000
	s_movk_i32 s2, 0x4000
	v_lshl_or_b32 v29, v27, 8, v10
	s_movk_i32 s12, 0x80
	buffer_load_dwordx4 v[14:17], v28, s[0:3], 0 offen
	buffer_load_dwordx4 v[10:13], v28, s[0:3], s12 offen
	;; [unrolled: 1-line block ×4, first 2 shown]
	v_lshrrev_b32_e32 v28, 3, v26
	v_lshlrev_b32_e32 v29, 3, v35
	v_or_b32_e32 v28, v29, v28
	v_lshlrev_b32_e32 v28, 4, v28
	v_and_b32_e32 v29, 0x78, v29
	v_xor_b32_e32 v29, v28, v29
	v_lshlrev_b32_e32 v28, 7, v27
.LBB765_33:
	s_lshl_b64 s[0:1], s[42:43], 8
	s_add_u32 s4, s4, s0
	s_movk_i32 s0, 0x1000
	v_and_or_b32 v27, v28, s0, v29
	s_waitcnt vmcnt(1)
	ds_write_b64 v29, v[14:15] offset:16384
	v_xor_b32_e32 v14, 8, v29
	ds_write_b64 v14, v[16:17] offset:16384
	s_waitcnt vmcnt(0)
	ds_write_b64 v29, v[10:11] offset:24576
	ds_write_b64 v14, v[12:13] offset:24576
	;; [unrolled: 1-line block ×3, first 2 shown]
	v_xor_b32_e32 v10, 8, v27
	ds_write_b64 v10, v[24:25] offset:16384
	ds_write_b64 v27, v[18:19] offset:24576
	;; [unrolled: 1-line block ×3, first 2 shown]
	v_or_b32_e32 v10, v49, v52
	s_addc_u32 s5, s5, s1
	s_add_i32 s2, s16, -1
	v_lshlrev_b32_e32 v10, 3, v10
	v_lshrrev_b32_e32 v12, 5, v50
	s_movk_i32 s16, 0xf8
	v_and_or_b32 v12, v10, s16, v12
	v_lshlrev_b32_e32 v45, 11, v48
	v_lshlrev_b32_e32 v20, 4, v12
	v_and_b32_e32 v21, 0x78, v10
	v_and_b32_e32 v22, 0x1000, v45
	v_lshlrev_b32_e32 v11, 2, v0
	v_xor_b32_e32 v10, v20, v21
	v_lshrrev_b32_e32 v12, 1, v50
	v_and_b32_e32 v11, 60, v11
	v_or_b32_e32 v10, v10, v22
	v_and_b32_e32 v23, 8, v12
	v_xor_b32_e32 v36, v10, v23
	v_lshl_or_b32 v10, v51, 6, v11
	v_lshlrev_b32_e32 v46, 1, v10
	v_or_b32_e32 v10, 32, v20
	v_xor_b32_e32 v10, v10, v21
	s_waitcnt lgkmcnt(0)
	s_barrier
	ds_read_b64 v[18:19], v36 offset:16384
	v_or_b32_e32 v10, v10, v22
	v_xor_b32_e32 v37, v10, v23
	v_or_b32_e32 v10, 64, v20
	v_xor_b32_e32 v10, v10, v21
	v_or_b32_e32 v10, v10, v22
	v_or_b32_e32 v20, 0x60, v20
	v_xor_b32_e32 v38, v10, v23
	ds_read2st64_b64 v[10:13], v46 offset0:72 offset1:73
	ds_read2st64_b64 v[14:17], v46 offset0:74 offset1:75
	v_xor_b32_e32 v24, v20, v21
	ds_read_b64 v[20:21], v37 offset:16384
	s_waitcnt lgkmcnt(2)
	v_mfma_f32_16x16x16_bf16 a[0:3], v[18:19], v[10:11], 0
	s_add_i32 s0, s46, s21
	s_mul_i32 s39, s39, s20
	s_add_i32 s39, s0, s39
	s_mul_i32 s0, s33, s23
	s_mul_hi_u32 s1, s33, s22
	s_ashr_i32 s3, s2, 31
	s_mul_i32 s12, s2, s37
	s_mul_hi_u32 s13, s2, s36
	s_add_i32 s0, s1, s0
	s_mul_i32 s1, s18, s22
	s_add_i32 s12, s13, s12
	s_mul_i32 s3, s3, s36
	v_or_b32_e32 v22, v24, v22
	s_add_i32 s1, s0, s1
	s_add_i32 s3, s12, s3
	s_lshl_b64 s[12:13], s[38:39], 2
	v_xor_b32_e32 v47, v22, v23
	ds_read_b64 v[22:23], v38 offset:16384
	ds_read_b64 v[24:25], v47 offset:16384
	s_waitcnt lgkmcnt(2)
	v_mfma_f32_16x16x16_bf16 a[0:3], v[20:21], v[12:13], a[0:3]
	s_mul_i32 s0, s33, s22
	s_add_u32 s10, s10, s12
	s_addc_u32 s11, s11, s13
	s_lshl_b64 s[0:1], s[0:1], 2
	s_mul_i32 s2, s2, s36
	s_add_u32 s10, s10, s0
	s_addc_u32 s11, s11, s1
	s_lshl_b64 s[0:1], s[2:3], 2
	s_waitcnt lgkmcnt(1)
	v_mfma_f32_16x16x16_bf16 a[0:3], v[22:23], v[14:15], a[0:3]
	s_add_u32 s0, s10, s0
	s_addc_u32 s1, s11, s1
	s_load_dword s12, s[0:1], 0x0
	s_waitcnt lgkmcnt(0)
	v_mfma_f32_16x16x16_bf16 a[0:3], v[24:25], v[16:17], a[0:3]
	s_and_b64 vcc, exec, s[40:41]
	s_cbranch_vccz .LBB765_44
; %bb.34:
	v_lshlrev_b32_e32 v27, 1, v35
	s_and_b64 vcc, exec, s[6:7]
	s_cbranch_vccz .LBB765_45
; %bb.35:
	v_cmp_gt_i32_e32 vcc, s45, v27
	v_mov_b32_e32 v14, 0
	v_mov_b32_e32 v10, 0
	;; [unrolled: 1-line block ×5, first 2 shown]
	s_and_saveexec_b64 s[0:1], vcc
	s_cbranch_execz .LBB765_37
; %bb.36:
	v_mad_i64_i32 v[10:11], s[2:3], s19, v27, 0
	v_lshl_add_u64 v[10:11], v[10:11], 1, s[4:5]
	v_lshlrev_b32_e32 v12, 1, v26
	v_mov_b32_e32 v13, 0
	v_lshl_add_u64 v[10:11], v[10:11], 0, v[12:13]
	global_load_dwordx4 v[10:13], v[10:11], off
.LBB765_37:
	s_or_b64 exec, exec, s[0:1]
	v_or_b32_e32 v28, 1, v27
	v_cmp_gt_i32_e64 s[0:1], s45, v28
	v_mov_b32_e32 v15, 0
	v_mov_b32_e32 v16, 0
	;; [unrolled: 1-line block ×3, first 2 shown]
	s_and_saveexec_b64 s[2:3], s[0:1]
	s_cbranch_execz .LBB765_39
; %bb.38:
	v_mad_i64_i32 v[14:15], s[16:17], s19, v28, 0
	v_lshl_add_u64 v[14:15], v[14:15], 1, s[4:5]
	v_lshlrev_b32_e32 v16, 1, v26
	v_mov_b32_e32 v17, 0
	v_lshl_add_u64 v[14:15], v[14:15], 0, v[16:17]
	global_load_dwordx4 v[14:17], v[14:15], off
.LBB765_39:
	s_or_b64 exec, exec, s[2:3]
	v_mov_b32_e32 v25, 0
	v_mov_b32_e32 v18, 0
	;; [unrolled: 1-line block ×5, first 2 shown]
	s_and_saveexec_b64 s[2:3], vcc
	s_cbranch_execz .LBB765_41
; %bb.40:
	v_mad_i64_i32 v[18:19], s[16:17], s19, v27, 0
	v_lshl_add_u64 v[18:19], v[18:19], 1, s[4:5]
	v_lshlrev_b32_e32 v20, 1, v26
	v_mov_b32_e32 v21, 0
	v_lshl_add_u64 v[18:19], v[18:19], 0, v[20:21]
	global_load_dwordx4 v[18:21], v[18:19], off offset:128
.LBB765_41:
	s_or_b64 exec, exec, s[2:3]
	v_mov_b32_e32 v24, 0
	v_mov_b32_e32 v23, 0
	;; [unrolled: 1-line block ×3, first 2 shown]
	s_and_saveexec_b64 s[2:3], s[0:1]
	s_cbranch_execz .LBB765_43
; %bb.42:
	v_mad_i64_i32 v[22:23], s[0:1], s19, v28, 0
	v_lshl_add_u64 v[22:23], v[22:23], 1, s[4:5]
	v_lshlrev_b32_e32 v24, 1, v26
	v_mov_b32_e32 v25, 0
	v_lshl_add_u64 v[22:23], v[22:23], 0, v[24:25]
	global_load_dwordx4 v[22:25], v[22:23], off offset:128
.LBB765_43:
	s_or_b64 exec, exec, s[2:3]
	s_branch .LBB765_47
.LBB765_44:
                                        ; implicit-def: $vgpr13
                                        ; implicit-def: $vgpr17
                                        ; implicit-def: $vgpr21
                                        ; implicit-def: $vgpr25
	v_lshrrev_b32_e32 v50, 2, v50
	s_branch .LBB765_48
.LBB765_45:
                                        ; implicit-def: $vgpr13
                                        ; implicit-def: $vgpr17
                                        ; implicit-def: $vgpr21
                                        ; implicit-def: $vgpr25
	s_cbranch_execz .LBB765_47
; %bb.46:
	s_waitcnt vmcnt(0)
	v_mad_u64_u32 v[10:11], s[0:1], v27, s19, v[26:27]
	v_lshlrev_b32_e32 v27, 1, v10
	s_lshl_b32 s2, s19, 7
	s_and_b32 s1, s5, 0xffff
	s_mov_b32 s3, 0x20000
	s_mov_b32 s0, s4
	v_add_lshl_u32 v28, v10, s19, 1
	s_movk_i32 s13, 0x80
	buffer_load_dwordx4 v[10:13], v27, s[0:3], 0 offen
	buffer_load_dwordx4 v[18:21], v27, s[0:3], s13 offen
	buffer_load_dwordx4 v[14:17], v28, s[0:3], 0 offen
	buffer_load_dwordx4 v[22:25], v28, s[0:3], s13 offen
.LBB765_47:
	v_lshrrev_b32_e32 v50, 2, v50
	s_cbranch_execnz .LBB765_60
.LBB765_48:
	s_and_b64 vcc, exec, s[6:7]
	s_cbranch_vccz .LBB765_58
; %bb.49:
	s_waitcnt vmcnt(0)
	v_lshlrev_b32_e32 v15, 1, v35
	v_cmp_gt_i32_e32 vcc, s45, v15
	v_mov_b32_e32 v14, 0
	v_lshlrev_b32_e32 v22, 9, v35
	v_mov_b32_e32 v10, 0
	v_mov_b32_e32 v11, 0
	;; [unrolled: 1-line block ×4, first 2 shown]
	s_and_saveexec_b64 s[0:1], vcc
	s_cbranch_execz .LBB765_51
; %bb.50:
	v_mov_b32_e32 v23, 0
	v_lshl_add_u64 v[10:11], s[4:5], 0, v[22:23]
	v_lshlrev_b32_e32 v12, 1, v26
	v_mov_b32_e32 v13, v23
	v_lshl_add_u64 v[10:11], v[10:11], 0, v[12:13]
	global_load_dwordx4 v[10:13], v[10:11], off
.LBB765_51:
	s_or_b64 exec, exec, s[0:1]
	v_or_b32_e32 v15, 1, v15
	v_cmp_gt_i32_e64 s[0:1], s45, v15
	v_lshlrev_b32_e32 v28, 8, v15
	v_mov_b32_e32 v15, 0
	v_mov_b32_e32 v16, 0
	;; [unrolled: 1-line block ×3, first 2 shown]
	s_and_saveexec_b64 s[2:3], s[0:1]
	s_cbranch_execz .LBB765_53
; %bb.52:
	v_mov_b32_e32 v29, 0
	v_lshl_add_u64 v[14:15], s[4:5], 0, v[28:29]
	v_lshlrev_b32_e32 v16, 1, v26
	v_mov_b32_e32 v17, v29
	v_lshl_add_u64 v[14:15], v[14:15], 0, v[16:17]
	global_load_dwordx4 v[14:17], v[14:15], off
.LBB765_53:
	s_or_b64 exec, exec, s[2:3]
	v_mov_b32_e32 v25, 0
	v_mov_b32_e32 v18, 0
	;; [unrolled: 1-line block ×5, first 2 shown]
	s_and_saveexec_b64 s[2:3], vcc
	s_cbranch_execz .LBB765_55
; %bb.54:
	v_mov_b32_e32 v23, 0
	v_lshl_add_u64 v[18:19], s[4:5], 0, v[22:23]
	v_lshlrev_b32_e32 v22, 1, v26
	v_lshl_add_u64 v[18:19], v[18:19], 0, v[22:23]
	global_load_dwordx4 v[18:21], v[18:19], off offset:128
.LBB765_55:
	s_or_b64 exec, exec, s[2:3]
	v_mov_b32_e32 v24, 0
	v_mov_b32_e32 v23, 0
	;; [unrolled: 1-line block ×3, first 2 shown]
	s_and_saveexec_b64 s[2:3], s[0:1]
	s_cbranch_execz .LBB765_57
; %bb.56:
	v_mov_b32_e32 v29, 0
	v_lshl_add_u64 v[22:23], s[4:5], 0, v[28:29]
	v_lshlrev_b32_e32 v28, 1, v26
	v_lshl_add_u64 v[22:23], v[22:23], 0, v[28:29]
	global_load_dwordx4 v[22:25], v[22:23], off offset:128
.LBB765_57:
	s_or_b64 exec, exec, s[2:3]
	s_branch .LBB765_60
.LBB765_58:
                                        ; implicit-def: $vgpr13
                                        ; implicit-def: $vgpr17
                                        ; implicit-def: $vgpr21
                                        ; implicit-def: $vgpr25
	s_cbranch_execz .LBB765_60
; %bb.59:
	s_waitcnt vmcnt(0)
	v_lshlrev_b32_e32 v10, 1, v26
	v_lshl_or_b32 v26, v35, 9, v10
	s_and_b32 s5, s5, 0xffff
	s_mov_b32 s7, 0x20000
	s_movk_i32 s6, 0x4000
	s_movk_i32 s0, 0x80
	buffer_load_dwordx4 v[10:13], v26, s[4:7], 0 offen
	buffer_load_dwordx4 v[14:17], v26, s[4:7], 0 offen offset:256
	buffer_load_dwordx4 v[18:21], v26, s[4:7], s0 offen
	buffer_load_dwordx4 v[22:25], v26, s[4:7], s0 offen offset:256
.LBB765_60:
	ds_read2st64_b64 v[30:33], v46 offset0:76 offset1:77
	ds_read2st64_b64 v[26:29], v46 offset0:78 offset1:79
	ds_read_b64 v[42:43], v36 offset:24576
	ds_read_b64 v[40:41], v37 offset:24576
	;; [unrolled: 1-line block ×4, first 2 shown]
	v_and_b32_e32 v47, 6, v0
	v_xor_b32_e32 v35, v35, v47
	v_lshlrev_b32_e32 v35, 2, v35
	v_and_b32_e32 v51, 1, v0
	v_xor_b32_e32 v52, 0x440, v35
	v_cmp_eq_u32_e32 vcc, 0, v51
	s_mov_b32 s0, 0x1000504
	s_waitcnt vmcnt(0)
	v_perm_b32 v51, v18, v22, s0
	v_cndmask_b32_e32 v35, v52, v35, vcc
	v_lshl_or_b32 v35, v47, 10, v35
	v_perm_b32 v47, v10, v14, s0
	ds_write2st64_b32 v35, v47, v51 offset1:32
	v_xor_b32_e32 v47, 8, v35
	s_mov_b32 s1, 0x3020706
	v_perm_b32 v10, v10, v14, s1
	v_perm_b32 v14, v18, v22, s1
	v_add_u32_e32 v18, 0x80, v47
	ds_write2st64_b32 v18, v10, v14 offset1:32
	v_xor_b32_e32 v10, 16, v35
	v_perm_b32 v14, v11, v15, s0
	v_perm_b32 v18, v19, v23, s0
	ds_write2st64_b32 v10, v14, v18 offset0:1 offset1:33
	v_xor_b32_e32 v10, 24, v35
	v_perm_b32 v11, v11, v15, s1
	v_perm_b32 v14, v19, v23, s1
	v_add_u32_e32 v10, 0x80, v10
	ds_write2st64_b32 v10, v11, v14 offset0:1 offset1:33
	v_xor_b32_e32 v10, 32, v35
	v_perm_b32 v11, v12, v16, s0
	v_perm_b32 v14, v20, v24, s0
	ds_write2st64_b32 v10, v11, v14 offset0:2 offset1:34
	v_xor_b32_e32 v10, 40, v35
	v_perm_b32 v11, v12, v16, s1
	v_perm_b32 v12, v20, v24, s1
	v_add_u32_e32 v10, 0x80, v10
	ds_write2st64_b32 v10, v11, v12 offset0:2 offset1:34
	v_xor_b32_e32 v10, 48, v35
	v_perm_b32 v11, v13, v17, s0
	v_perm_b32 v12, v21, v25, s0
	ds_write2st64_b32 v10, v11, v12 offset0:3 offset1:35
	v_xor_b32_e32 v10, 56, v35
	v_and_or_b32 v18, v50, 12, v49
	v_perm_b32 v11, v13, v17, s1
	v_perm_b32 v12, v21, v25, s1
	v_add_u32_e32 v10, 0x80, v10
	v_cmp_gt_i32_e32 vcc, s45, v18
	v_mov_b32_e32 v20, 0
	v_mov_b32_e32 v24, 0
	ds_write2st64_b32 v10, v11, v12 offset0:3 offset1:35
	s_and_saveexec_b64 s[0:1], vcc
	s_cbranch_execz .LBB765_62
; %bb.61:
	v_add_u32_e32 v10, s44, v18
	v_ashrrev_i32_e32 v11, 31, v10
	v_mul_lo_u32 v12, v11, s36
	v_mul_lo_u32 v13, v10, s37
	v_mad_u64_u32 v[10:11], s[2:3], v10, s36, 0
	v_add3_u32 v11, v11, v13, v12
	v_lshl_add_u64 v[10:11], v[10:11], 2, s[10:11]
	global_load_dword v10, v[10:11], off
	s_waitcnt vmcnt(0)
	v_sub_f32_e32 v10, s12, v10
	v_mul_f32_e32 v10, 0x3fb8aa3b, v10
	v_exp_f32_e32 v24, v10
.LBB765_62:
	s_or_b64 exec, exec, s[0:1]
	v_or_b32_e32 v23, 1, v18
	v_cmp_gt_i32_e64 s[4:5], s45, v23
	s_and_saveexec_b64 s[0:1], s[4:5]
	s_cbranch_execz .LBB765_64
; %bb.63:
	v_add_u32_e32 v10, s44, v23
	v_ashrrev_i32_e32 v11, 31, v10
	v_mul_lo_u32 v12, v11, s36
	v_mul_lo_u32 v13, v10, s37
	v_mad_u64_u32 v[10:11], s[2:3], v10, s36, 0
	v_add3_u32 v11, v11, v13, v12
	v_lshl_add_u64 v[10:11], v[10:11], 2, s[10:11]
	global_load_dword v10, v[10:11], off
	s_waitcnt vmcnt(0)
	v_sub_f32_e32 v10, s12, v10
	v_mul_f32_e32 v10, 0x3fb8aa3b, v10
	v_exp_f32_e32 v20, v10
.LBB765_64:
	s_or_b64 exec, exec, s[0:1]
	v_or_b32_e32 v21, 2, v18
	v_cmp_gt_i32_e64 s[0:1], s45, v21
	v_mov_b32_e32 v19, 0
	v_mov_b32_e32 v25, 0
	s_and_saveexec_b64 s[2:3], s[0:1]
	s_cbranch_execz .LBB765_66
; %bb.65:
	v_add_u32_e32 v10, s44, v21
	v_ashrrev_i32_e32 v11, 31, v10
	v_mul_lo_u32 v12, v11, s36
	v_mul_lo_u32 v13, v10, s37
	v_mad_u64_u32 v[10:11], s[6:7], v10, s36, 0
	v_add3_u32 v11, v11, v13, v12
	v_lshl_add_u64 v[10:11], v[10:11], 2, s[10:11]
	global_load_dword v10, v[10:11], off
	s_waitcnt vmcnt(0)
	v_sub_f32_e32 v10, s12, v10
	v_mul_f32_e32 v10, 0x3fb8aa3b, v10
	v_exp_f32_e32 v25, v10
.LBB765_66:
	s_or_b64 exec, exec, s[2:3]
	v_or_b32_e32 v22, 3, v18
	v_cmp_gt_i32_e64 s[2:3], s45, v22
	s_and_saveexec_b64 s[6:7], s[2:3]
	s_cbranch_execz .LBB765_68
; %bb.67:
	v_add_u32_e32 v10, s44, v22
	v_ashrrev_i32_e32 v11, 31, v10
	v_mul_lo_u32 v12, v11, s36
	v_mul_lo_u32 v13, v10, s37
	v_mad_u64_u32 v[10:11], s[16:17], v10, s36, 0
	v_add3_u32 v11, v11, v13, v12
	v_lshl_add_u64 v[10:11], v[10:11], 2, s[10:11]
	global_load_dword v10, v[10:11], off
	s_waitcnt vmcnt(0)
	v_sub_f32_e32 v10, s12, v10
	v_mul_f32_e32 v10, 0x3fb8aa3b, v10
	v_exp_f32_e32 v19, v10
.LBB765_68:
	s_or_b64 exec, exec, s[6:7]
	s_waitcnt lgkmcnt(11)
	v_mfma_f32_16x16x16_bf16 a[0:3], v[42:43], v[30:31], a[0:3]
	s_add_u32 s6, s8, s30
	v_ashrrev_i32_e32 v35, 31, v34
	s_addc_u32 s7, s9, s31
	s_waitcnt lgkmcnt(10)
	v_mfma_f32_16x16x16_bf16 a[0:3], v[40:41], v[32:33], a[0:3]
	v_lshlrev_b64 v[10:11], 1, v[34:35]
	v_lshl_add_u64 v[14:15], s[6:7], 0, v[10:11]
	s_add_u32 s6, s14, s30
	s_waitcnt lgkmcnt(9)
	v_mfma_f32_16x16x16_bf16 a[0:3], v[38:39], v[26:27], a[0:3]
	s_addc_u32 s7, s15, s31
	v_lshl_add_u64 v[16:17], s[6:7], 0, v[10:11]
	v_mov_b32_e32 v26, 0
	s_waitcnt lgkmcnt(8)
	v_mfma_f32_16x16x16_bf16 a[0:3], v[36:37], v[28:29], a[0:3]
	v_mov_b32_e32 v27, 0
	s_nop 5
	v_accvgpr_read_b32 v13, a3
	v_accvgpr_read_b32 v12, a2
	;; [unrolled: 1-line block ×4, first 2 shown]
	s_and_saveexec_b64 s[6:7], vcc
	s_cbranch_execz .LBB765_70
; %bb.69:
	v_lshlrev_b32_e32 v28, 8, v18
	v_mov_b32_e32 v29, 0
	v_lshl_add_u64 v[30:31], v[14:15], 0, v[28:29]
	global_load_ushort v27, v[30:31], off
	v_lshl_add_u64 v[28:29], v[16:17], 0, v[28:29]
	s_waitcnt vmcnt(0)
	v_lshlrev_b32_e32 v27, 16, v27
	v_sub_f32_e32 v10, v27, v10
	global_store_short_d16_hi v[28:29], v10, off
	v_mul_f32_e32 v10, v24, v10
	v_lshrrev_b32_e32 v27, 16, v10
.LBB765_70:
	s_or_b64 exec, exec, s[6:7]
	s_and_saveexec_b64 s[6:7], s[4:5]
	s_cbranch_execz .LBB765_72
; %bb.71:
	v_lshlrev_b32_e32 v28, 8, v23
	v_mov_b32_e32 v29, 0
	v_lshl_add_u64 v[30:31], v[14:15], 0, v[28:29]
	global_load_ushort v10, v[30:31], off
	v_lshl_add_u64 v[28:29], v[16:17], 0, v[28:29]
	s_waitcnt vmcnt(0)
	v_lshlrev_b32_e32 v10, 16, v10
	v_sub_f32_e32 v10, v10, v11
	global_store_short_d16_hi v[28:29], v10, off
	v_mul_f32_e32 v10, v20, v10
	v_lshrrev_b32_e32 v26, 16, v10
.LBB765_72:
	s_or_b64 exec, exec, s[6:7]
	v_mov_b32_e32 v11, 0
	v_mov_b32_e32 v20, 0
	s_and_saveexec_b64 s[4:5], s[0:1]
	s_cbranch_execz .LBB765_74
; %bb.73:
	v_lshlrev_b32_e32 v20, 8, v21
	v_mov_b32_e32 v21, 0
	v_lshl_add_u64 v[28:29], v[14:15], 0, v[20:21]
	global_load_ushort v10, v[28:29], off
	v_lshl_add_u64 v[20:21], v[16:17], 0, v[20:21]
	s_waitcnt vmcnt(0)
	v_lshlrev_b32_e32 v10, 16, v10
	v_sub_f32_e32 v10, v10, v12
	global_store_short_d16_hi v[20:21], v10, off
	v_mul_f32_e32 v10, v25, v10
	v_lshrrev_b32_e32 v20, 16, v10
.LBB765_74:
	s_or_b64 exec, exec, s[4:5]
	v_or_b32_e32 v10, 0x9800, v46
	s_and_saveexec_b64 s[0:1], s[2:3]
	s_cbranch_execz .LBB765_76
; %bb.75:
	v_lshlrev_b32_e32 v22, 8, v22
	v_mov_b32_e32 v23, 0
	v_lshl_add_u64 v[14:15], v[14:15], 0, v[22:23]
	global_load_ushort v11, v[14:15], off
	v_lshl_add_u64 v[14:15], v[16:17], 0, v[22:23]
	s_waitcnt vmcnt(0)
	v_lshlrev_b32_e32 v11, 16, v11
	v_sub_f32_e32 v11, v11, v13
	global_store_short_d16_hi v[14:15], v11, off
	v_mul_f32_e32 v11, v19, v11
	v_lshrrev_b32_e32 v11, 16, v11
.LBB765_76:
	s_or_b64 exec, exec, s[0:1]
	s_mov_b32 s0, 0x5040100
	v_perm_b32 v13, v11, v20, s0
	v_lshlrev_b32_e32 v11, 1, v44
	v_perm_b32 v12, v26, v27, s0
	v_lshl_or_b32 v11, v18, 5, v11
	s_movk_i32 s0, 0xff
	ds_write_b64 v11, v[12:13] offset:38912
	v_and_b32_e32 v11, 7, v0
	v_and_b32_e32 v12, 8, v0
	v_cmp_lt_u32_e32 vcc, s0, v0
	v_lshrrev_b32_e32 v0, 1, v0
	v_lshlrev_b32_e32 v22, 3, v11
	v_lshlrev_b32_e32 v23, 7, v11
	v_cndmask_b32_e64 v11, 0, 1, vcc
	v_lshlrev_b32_e32 v25, 3, v48
	v_and_b32_e32 v0, 24, v0
	v_lshlrev_b32_e32 v24, 13, v11
	v_xor_b32_e32 v11, v25, v0
	v_or_b32_e32 v13, 0x440, v11
	v_cmp_eq_u32_e32 vcc, 0, v12
	s_waitcnt lgkmcnt(0)
	s_barrier
	v_cndmask_b32_e32 v11, v13, v11, vcc
	v_or_b32_e32 v11, v11, v45
	v_xad_u32 v26, v11, v22, v23
	v_add_u32_e32 v11, v24, v26
	ds_read_b64 v[20:21], v11
	ds_read2st64_b64 v[12:15], v10 offset1:1
	ds_read2st64_b64 v[16:19], v10 offset0:2 offset1:3
	v_or_b32_e32 v10, 32, v0
	v_xor_b32_e32 v10, v25, v10
	v_or_b32_e32 v11, 0x440, v10
	v_cndmask_b32_e32 v10, v11, v10, vcc
	v_or_b32_e32 v10, v10, v45
	v_xad_u32 v27, v10, v22, v23
	v_add_u32_e32 v10, v24, v27
	ds_read_b64 v[10:11], v10
	s_waitcnt lgkmcnt(2)
	v_mfma_f32_16x16x16_bf16 a[0:3], v[20:21], v[12:13], 0
	s_waitcnt lgkmcnt(0)
	v_mfma_f32_16x16x16_bf16 a[0:3], v[10:11], v[14:15], a[0:3]
	v_or_b32_e32 v10, 64, v0
	v_xor_b32_e32 v10, v25, v10
	v_xor_b32_e32 v11, 0x440, v10
	v_cndmask_b32_e32 v10, v11, v10, vcc
	v_or_b32_e32 v10, v10, v45
	v_xad_u32 v28, v10, v22, v23
	v_add_u32_e32 v10, v24, v28
	ds_read_b64 v[10:11], v10
	v_or_b32_e32 v0, 0x60, v0
	v_xor_b32_e32 v0, v25, v0
	v_xor_b32_e32 v20, 0x440, v0
	v_cndmask_b32_e32 v0, v20, v0, vcc
	v_or_b32_e32 v0, v0, v45
	v_xad_u32 v0, v0, v22, v23
	v_add_u32_e32 v20, v24, v0
	ds_read_b64 v[20:21], v20
	s_waitcnt lgkmcnt(1)
	v_mfma_f32_16x16x16_bf16 a[0:3], v[10:11], v[16:17], a[0:3]
	ds_read_b64 v[10:11], v26 offset:8192
	ds_read_b64 v[22:23], v27 offset:8192
	v_mov_b32_e32 v24, 0x3fb8aa3b
	s_waitcnt lgkmcnt(2)
	v_mfma_f32_16x16x16_bf16 a[0:3], v[20:21], v[18:19], a[0:3]
	v_mul_f32_e32 v20, s12, v24
	v_exp_f32_e32 v24, v20
	ds_read_b64 v[20:21], v28 offset:8192
	s_waitcnt lgkmcnt(2)
	v_mfma_f32_16x16x16_bf16 a[4:7], v[10:11], v[12:13], 0
	s_nop 1
	v_accvgpr_read_b32 v10, a0
	v_fma_f32 v12, v2, v24, v10
	ds_read_b64 v[10:11], v0 offset:8192
	s_waitcnt lgkmcnt(2)
	v_mfma_f32_16x16x16_bf16 a[4:7], v[22:23], v[14:15], a[4:7]
	v_accvgpr_read_b32 v0, a1
	v_fma_f32 v13, v3, v24, v0
	v_accvgpr_read_b32 v0, a2
	s_waitcnt lgkmcnt(1)
	v_mfma_f32_16x16x16_bf16 a[4:7], v[20:21], v[16:17], a[4:7]
	v_accvgpr_read_b32 v15, a3
	v_fma_f32 v14, v4, v24, v0
	v_fmac_f32_e32 v15, v5, v24
	s_waitcnt lgkmcnt(0)
	v_mfma_f32_16x16x16_bf16 a[0:3], v[10:11], v[18:19], a[4:7]
	v_mov_b32_e32 v10, v34
	s_nop 5
	v_accvgpr_read_b32 v0, a0
	v_fma_f32 v16, v6, v24, v0
	v_accvgpr_read_b32 v0, a1
	v_fma_f32 v17, v7, v24, v0
	v_accvgpr_read_b32 v0, a2
	v_accvgpr_read_b32 v19, a3
	v_fma_f32 v18, v8, v24, v0
	v_fmac_f32_e32 v19, v9, v24
	v_mov_b64_e32 v[2:3], v[12:13]
	v_mov_b64_e32 v[4:5], v[14:15]
	;; [unrolled: 1-line block ×4, first 2 shown]
.LBB765_77:
	s_lshl_b64 s[0:1], s[28:29], 16
	s_waitcnt lgkmcnt(0)
	s_add_u32 s0, s34, s0
	v_lshlrev_b32_e32 v10, 7, v10
	s_addc_u32 s1, s35, s1
	v_ashrrev_i32_e32 v11, 31, v10
	v_lshl_add_u64 v[10:11], v[10:11], 2, s[0:1]
	v_lshlrev_b32_e32 v0, 2, v1
	v_mov_b32_e32 v1, 0
	v_lshl_add_u64 v[0:1], v[10:11], 0, v[0:1]
	global_store_dwordx4 v[0:1], v[2:5], off
	global_store_dwordx4 v[0:1], v[6:9], off offset:256
	s_endpgm
	.section	.rodata,"a",@progbits
	.p2align	6, 0x0
	.amdhsa_kernel _ZN12_GLOBAL__N_139chunk_gated_delta_rule_fwd_h_hip_kernelILi16ELb0ELb1ELb1ELb0ELb0ELb0ELb0ELb0EEEvPK12hip_bfloat16S3_S3_PKfS5_PKvPS1_S8_PvPKiSB_iiiiilll
		.amdhsa_group_segment_fixed_size 40960
		.amdhsa_private_segment_fixed_size 0
		.amdhsa_kernarg_size 136
		.amdhsa_user_sgpr_count 2
		.amdhsa_user_sgpr_dispatch_ptr 0
		.amdhsa_user_sgpr_queue_ptr 0
		.amdhsa_user_sgpr_kernarg_segment_ptr 1
		.amdhsa_user_sgpr_dispatch_id 0
		.amdhsa_user_sgpr_kernarg_preload_length 0
		.amdhsa_user_sgpr_kernarg_preload_offset 0
		.amdhsa_user_sgpr_private_segment_size 0
		.amdhsa_uses_dynamic_stack 0
		.amdhsa_enable_private_segment 0
		.amdhsa_system_sgpr_workgroup_id_x 1
		.amdhsa_system_sgpr_workgroup_id_y 1
		.amdhsa_system_sgpr_workgroup_id_z 0
		.amdhsa_system_sgpr_workgroup_info 0
		.amdhsa_system_vgpr_workitem_id 0
		.amdhsa_next_free_vgpr 116
		.amdhsa_next_free_sgpr 68
		.amdhsa_accum_offset 108
		.amdhsa_reserve_vcc 1
		.amdhsa_float_round_mode_32 0
		.amdhsa_float_round_mode_16_64 0
		.amdhsa_float_denorm_mode_32 3
		.amdhsa_float_denorm_mode_16_64 3
		.amdhsa_dx10_clamp 1
		.amdhsa_ieee_mode 1
		.amdhsa_fp16_overflow 0
		.amdhsa_tg_split 0
		.amdhsa_exception_fp_ieee_invalid_op 0
		.amdhsa_exception_fp_denorm_src 0
		.amdhsa_exception_fp_ieee_div_zero 0
		.amdhsa_exception_fp_ieee_overflow 0
		.amdhsa_exception_fp_ieee_underflow 0
		.amdhsa_exception_fp_ieee_inexact 0
		.amdhsa_exception_int_div_zero 0
	.end_amdhsa_kernel
	.section	.text._ZN12_GLOBAL__N_139chunk_gated_delta_rule_fwd_h_hip_kernelILi16ELb0ELb1ELb1ELb0ELb0ELb0ELb0ELb0EEEvPK12hip_bfloat16S3_S3_PKfS5_PKvPS1_S8_PvPKiSB_iiiiilll,"axG",@progbits,_ZN12_GLOBAL__N_139chunk_gated_delta_rule_fwd_h_hip_kernelILi16ELb0ELb1ELb1ELb0ELb0ELb0ELb0ELb0EEEvPK12hip_bfloat16S3_S3_PKfS5_PKvPS1_S8_PvPKiSB_iiiiilll,comdat
.Lfunc_end765:
	.size	_ZN12_GLOBAL__N_139chunk_gated_delta_rule_fwd_h_hip_kernelILi16ELb0ELb1ELb1ELb0ELb0ELb0ELb0ELb0EEEvPK12hip_bfloat16S3_S3_PKfS5_PKvPS1_S8_PvPKiSB_iiiiilll, .Lfunc_end765-_ZN12_GLOBAL__N_139chunk_gated_delta_rule_fwd_h_hip_kernelILi16ELb0ELb1ELb1ELb0ELb0ELb0ELb0ELb0EEEvPK12hip_bfloat16S3_S3_PKfS5_PKvPS1_S8_PvPKiSB_iiiiilll
                                        ; -- End function
	.section	.AMDGPU.csdata,"",@progbits
; Kernel info:
; codeLenInByte = 8016
; NumSgprs: 74
; NumVgprs: 108
; NumAgprs: 8
; TotalNumVgprs: 116
; ScratchSize: 0
; MemoryBound: 0
; FloatMode: 240
; IeeeMode: 1
; LDSByteSize: 40960 bytes/workgroup (compile time only)
; SGPRBlocks: 9
; VGPRBlocks: 14
; NumSGPRsForWavesPerEU: 74
; NumVGPRsForWavesPerEU: 116
; AccumOffset: 108
; Occupancy: 1
; WaveLimiterHint : 1
; COMPUTE_PGM_RSRC2:SCRATCH_EN: 0
; COMPUTE_PGM_RSRC2:USER_SGPR: 2
; COMPUTE_PGM_RSRC2:TRAP_HANDLER: 0
; COMPUTE_PGM_RSRC2:TGID_X_EN: 1
; COMPUTE_PGM_RSRC2:TGID_Y_EN: 1
; COMPUTE_PGM_RSRC2:TGID_Z_EN: 0
; COMPUTE_PGM_RSRC2:TIDIG_COMP_CNT: 0
; COMPUTE_PGM_RSRC3_GFX90A:ACCUM_OFFSET: 26
; COMPUTE_PGM_RSRC3_GFX90A:TG_SPLIT: 0
	.section	.text._ZN12_GLOBAL__N_139chunk_gated_delta_rule_fwd_h_hip_kernelILi16ELb0ELb1ELb0ELb0ELb0ELb0ELb0ELb0EEEvPK12hip_bfloat16S3_S3_PKfS5_PKvPS1_S8_PvPKiSB_iiiiilll,"axG",@progbits,_ZN12_GLOBAL__N_139chunk_gated_delta_rule_fwd_h_hip_kernelILi16ELb0ELb1ELb0ELb0ELb0ELb0ELb0ELb0EEEvPK12hip_bfloat16S3_S3_PKfS5_PKvPS1_S8_PvPKiSB_iiiiilll,comdat
	.globl	_ZN12_GLOBAL__N_139chunk_gated_delta_rule_fwd_h_hip_kernelILi16ELb0ELb1ELb0ELb0ELb0ELb0ELb0ELb0EEEvPK12hip_bfloat16S3_S3_PKfS5_PKvPS1_S8_PvPKiSB_iiiiilll ; -- Begin function _ZN12_GLOBAL__N_139chunk_gated_delta_rule_fwd_h_hip_kernelILi16ELb0ELb1ELb0ELb0ELb0ELb0ELb0ELb0EEEvPK12hip_bfloat16S3_S3_PKfS5_PKvPS1_S8_PvPKiSB_iiiiilll
	.p2align	8
	.type	_ZN12_GLOBAL__N_139chunk_gated_delta_rule_fwd_h_hip_kernelILi16ELb0ELb1ELb0ELb0ELb0ELb0ELb0ELb0EEEvPK12hip_bfloat16S3_S3_PKfS5_PKvPS1_S8_PvPKiSB_iiiiilll,@function
_ZN12_GLOBAL__N_139chunk_gated_delta_rule_fwd_h_hip_kernelILi16ELb0ELb1ELb0ELb0ELb0ELb0ELb0ELb0EEEvPK12hip_bfloat16S3_S3_PKfS5_PKvPS1_S8_PvPKiSB_iiiiilll: ; @_ZN12_GLOBAL__N_139chunk_gated_delta_rule_fwd_h_hip_kernelILi16ELb0ELb1ELb0ELb0ELb0ELb0ELb0ELb0EEEvPK12hip_bfloat16S3_S3_PKfS5_PKvPS1_S8_PvPKiSB_iiiiilll
; %bb.0:
	s_load_dwordx4 s[12:15], s[0:1], 0x5c
	s_load_dwordx4 s[16:19], s[0:1], 0x70
	s_abs_i32 s22, s3
	s_ashr_i32 s21, s3, 31
	s_load_dwordx8 s[4:11], s[0:1], 0x0
	s_waitcnt lgkmcnt(0)
	s_abs_i32 s20, s13
	v_cvt_f32_u32_e32 v1, s20
	s_sub_i32 s24, 0, s20
	s_ashr_i32 s23, s13, 31
	s_xor_b32 s21, s21, s23
	v_rcp_iflag_f32_e32 v1, v1
	s_load_dwordx2 s[28:29], s[0:1], 0x40
	s_load_dwordx2 s[36:37], s[0:1], 0x30
	;; [unrolled: 1-line block ×3, first 2 shown]
	v_lshrrev_b32_e32 v46, 6, v0
	v_bfe_u32 v49, v0, 4, 2
	v_mul_f32_e32 v1, 0x4f7ffffe, v1
	v_cvt_u32_f32_e32 v1, v1
	v_lshlrev_b32_e32 v47, 4, v46
	v_lshlrev_b32_e32 v10, 2, v49
	v_and_b32_e32 v48, 63, v0
	v_readfirstlane_b32 s25, v1
	s_mul_i32 s24, s24, s25
	s_mul_hi_u32 s24, s25, s24
	s_add_i32 s25, s25, s24
	s_mul_hi_u32 s24, s22, s25
	s_mul_i32 s25, s24, s20
	s_sub_i32 s22, s22, s25
	s_add_i32 s26, s24, 1
	s_sub_i32 s25, s22, s20
	s_cmp_ge_u32 s22, s20
	s_cselect_b32 s24, s26, s24
	s_cselect_b32 s22, s25, s22
	s_add_i32 s25, s24, 1
	s_cmp_ge_u32 s22, s20
	s_cselect_b32 s22, s25, s24
	s_xor_b32 s22, s22, s21
	s_sub_i32 s47, s22, s21
	s_abs_i32 s21, s14
	v_cvt_f32_u32_e32 v1, s21
	s_add_i32 s24, s12, 63
	s_mul_i32 s45, s47, s13
	s_sub_i32 s33, s3, s45
	v_rcp_iflag_f32_e32 v1, v1
	s_ashr_i32 s3, s24, 31
	s_ashr_i32 s46, s12, 31
	s_lshr_b32 s3, s3, 26
	v_mul_f32_e32 v1, 0x4f7ffffe, v1
	v_cvt_u32_f32_e32 v1, v1
	s_lshr_b32 s22, s46, 26
	s_add_i32 s24, s24, s3
	s_add_i32 s22, s12, s22
	s_ashr_i32 s49, s14, 31
	s_ashr_i32 s3, s24, 6
	;; [unrolled: 1-line block ×3, first 2 shown]
	s_xor_b32 s22, s23, s49
	s_sub_i32 s23, 0, s21
	v_readfirstlane_b32 s24, v1
	s_mul_i32 s23, s23, s24
	s_mul_hi_u32 s23, s24, s23
	s_add_i32 s24, s24, s23
	s_mul_hi_u32 s23, s20, s24
	s_mul_i32 s24, s23, s21
	s_sub_i32 s20, s20, s24
	s_add_i32 s24, s23, 1
	s_sub_i32 s25, s20, s21
	s_cmp_ge_u32 s20, s21
	s_cselect_b32 s23, s24, s23
	s_cselect_b32 s20, s25, s20
	s_add_i32 s24, s23, 1
	s_cmp_ge_u32 s20, s21
	s_cselect_b32 s20, s24, s23
	s_xor_b32 s20, s20, s22
	s_sub_i32 s20, s20, s22
	s_abs_i32 s21, s20
	v_cvt_f32_u32_e32 v1, s21
	s_xor_b32 s0, s33, s20
	s_sub_i32 s20, 0, s21
	s_abs_i32 s1, s33
	v_rcp_iflag_f32_e32 v1, v1
	s_ashr_i32 s0, s0, 31
	v_mov_b32_e32 v9, 0
	s_mul_i32 s50, s47, s3
	v_mul_f32_e32 v1, 0x4f7ffffe, v1
	v_cvt_u32_f32_e32 v1, v1
	v_and_b32_e32 v50, 15, v0
	s_mul_hi_i32 s51, s47, s13
	v_lshrrev_b32_e32 v52, 3, v48
	v_readfirstlane_b32 s22, v1
	s_mul_i32 s20, s20, s22
	s_mul_hi_u32 s20, s22, s20
	s_add_i32 s22, s22, s20
	s_mul_hi_u32 s20, s1, s22
	s_mul_i32 s22, s20, s21
	s_sub_i32 s1, s1, s22
	s_add_i32 s22, s20, 1
	s_sub_i32 s23, s1, s21
	s_cmp_ge_u32 s1, s21
	s_cselect_b32 s20, s22, s20
	s_cselect_b32 s1, s23, s1
	s_add_i32 s22, s20, 1
	s_cmp_ge_u32 s1, s21
	s_cselect_b32 s1, s22, s20
	s_xor_b32 s1, s1, s0
	s_sub_i32 s52, s1, s0
	v_or_b32_e32 v1, v10, v47
	s_lshl_b32 s2, s2, 4
	v_or_b32_e32 v53, 64, v1
	s_cmp_lt_i32 s12, 64
	v_lshlrev_b32_e32 v51, 3, v0
	s_mul_i32 s17, s47, s17
	s_mul_hi_u32 s44, s47, s16
	s_mul_i32 s34, s47, s16
	v_mov_b32_e32 v8, v9
	v_mov_b32_e32 v7, v9
	;; [unrolled: 1-line block ×7, first 2 shown]
	s_cbranch_scc1 .LBB766_18
; %bb.1:
	s_ashr_i32 s3, s47, 31
	s_ashr_i32 s54, s33, 31
	s_add_u32 s0, s45, s33
	s_addc_u32 s1, s51, s54
	s_mul_i32 s1, s12, s1
	s_mul_hi_u32 s20, s12, s0
	s_add_i32 s39, s20, s1
	s_mul_i32 s38, s12, s0
	s_lshl_b64 s[0:1], s[38:39], 8
	v_and_b32_e32 v55, 56, v51
	s_add_u32 s20, s6, s0
	v_lshl_or_b32 v54, v46, 3, v52
	v_lshlrev_b32_e32 v3, 1, v55
	s_addc_u32 s0, s7, s1
	v_lshl_or_b32 v56, v54, 8, v3
	s_and_b32 s21, s0, 0xffff
	s_mov_b32 s23, 0x20000
	s_movk_i32 s22, 0x4000
	s_movk_i32 s0, 0x80
	v_or_b32_e32 v57, 0x2000, v56
	buffer_load_dwordx4 v[4:7], v56, s[20:23], 0 offen
	buffer_load_dwordx4 v[12:15], v56, s[20:23], s0 offen
	;; [unrolled: 1-line block ×4, first 2 shown]
	v_lshlrev_b32_e32 v2, 3, v54
	v_and_or_b32 v9, v0, 7, v2
	v_and_b32_e32 v2, 0x78, v2
	v_lshlrev_b32_e32 v9, 4, v9
	v_xor_b32_e32 v58, v9, v2
	v_mul_lo_u32 v8, v54, s15
	v_or_b32_e32 v59, 0x1000, v58
	v_xor_b32_e32 v2, 8, v58
	s_cmpk_eq_i32 s15, 0x80
	s_mov_b32 s53, s14
	v_xor_b32_e32 v9, 8, v59
	s_cselect_b64 s[0:1], -1, 0
	s_cmpk_lg_i32 s15, 0x80
	s_waitcnt vmcnt(3)
	ds_write_b64 v58, v[4:5] offset:16384
	ds_write_b64 v2, v[6:7] offset:16384
	s_waitcnt vmcnt(2)
	ds_write_b64 v58, v[12:13] offset:24576
	ds_write_b64 v2, v[14:15] offset:24576
	;; [unrolled: 3-line block ×4, first 2 shown]
	v_lshl_add_u32 v2, v8, 1, v55
	s_cbranch_scc0 .LBB766_3
; %bb.2:
	v_lshlrev_b32_e32 v6, 1, v2
	v_add_lshl_u32 v5, v2, s15, 1
	s_lshl_b32 s22, s15, 7
	v_lshl_or_b32 v4, v54, 9, v3
	s_cbranch_execz .LBB766_4
	s_branch .LBB766_5
.LBB766_3:
                                        ; implicit-def: $vgpr5
                                        ; implicit-def: $vgpr6
                                        ; implicit-def: $sgpr22
	v_lshl_or_b32 v4, v54, 9, v3
.LBB766_4:
	v_or_b32_e32 v5, 0x100, v4
	s_movk_i32 s22, 0x4000
	v_mov_b32_e32 v6, v4
.LBB766_5:
	s_mul_hi_u32 s20, s14, s12
	s_mul_i32 s21, s49, s12
	s_add_i32 s20, s20, s21
	s_mul_i32 s21, s14, s12
	s_mul_i32 s23, s21, s3
	s_mul_hi_u32 s24, s21, s47
	s_add_i32 s23, s24, s23
	s_mul_i32 s20, s20, s47
	s_add_i32 s23, s23, s20
	s_mul_i32 s21, s21, s47
	s_ashr_i32 s55, s52, 31
	s_add_u32 s20, s21, s52
	s_addc_u32 s21, s23, s55
	s_lshl_b64 s[20:21], s[20:21], 8
	s_add_u32 s20, s4, s20
	s_addc_u32 s21, s5, s21
	s_and_b32 s21, s21, 0xffff
	s_mov_b32 s23, 0x20000
	s_movk_i32 s56, 0x80
	buffer_load_dwordx4 v[12:15], v6, s[20:23], 0 offen
	buffer_load_dwordx4 v[16:19], v6, s[20:23], s56 offen
	;; [unrolled: 1-line block ×4, first 2 shown]
	v_and_b32_e32 v3, 6, v0
	s_mul_i32 s20, s3, s12
	s_mul_hi_u32 s21, s47, s12
	v_lshlrev_b32_e32 v6, 2, v50
	v_lshlrev_b32_e32 v7, 3, v50
	v_xor_b32_e32 v9, v54, v3
	v_and_b32_e32 v5, 1, v0
	s_mul_i32 s3, s3, s16
	v_lshl_or_b32 v7, v1, 5, v7
	v_xor_b32_e32 v11, v1, v6
	v_lshlrev_b32_e32 v9, 2, v9
	s_add_i32 s61, s21, s20
	s_add_i32 s20, s44, s17
	v_or_b32_e32 v60, 0x9000, v7
	v_or_b32_e32 v61, 0x9800, v7
	v_lshlrev_b32_e32 v7, 1, v11
	v_xor_b32_e32 v11, 0x440, v9
	v_cmp_eq_u32_e32 vcc, 0, v5
	s_add_i32 s35, s20, s3
	s_mul_i32 s3, s33, s19
	s_mul_hi_u32 s20, s33, s18
	v_cndmask_b32_e32 v5, v11, v9, vcc
	s_add_i32 s3, s20, s3
	s_mul_i32 s20, s54, s18
	s_mov_b32 s58, 0x1000504
	v_lshlrev_b32_e32 v8, 8, v50
	s_mov_b32 s22, 0x8000
	v_xor_b32_e32 v6, v53, v6
	v_lshl_or_b32 v3, v3, 10, v5
	s_add_i32 s21, s3, s20
	s_lshl_b64 s[24:25], s[34:35], 2
	s_mov_b32 s59, 0x3020706
	v_lshlrev_b32_e32 v6, 1, v6
	v_or3_b32 v62, v7, v8, s22
	v_xor_b32_e32 v5, 8, v3
	v_xor_b32_e32 v7, 24, v3
	;; [unrolled: 1-line block ×4, first 2 shown]
	s_mul_i32 s20, s33, s18
	s_add_u32 s3, s10, s24
	v_or3_b32 v63, v6, v8, s22
	v_xor_b32_e32 v6, 16, v3
	v_xor_b32_e32 v8, 32, v3
	;; [unrolled: 1-line block ×3, first 2 shown]
	v_add_u32_e32 v5, 0x80, v5
	v_add_u32_e32 v7, 0x80, v7
	;; [unrolled: 1-line block ×4, first 2 shown]
	s_addc_u32 s24, s11, s25
	s_lshl_b64 s[20:21], s[20:21], 2
	s_add_u32 s40, s3, s20
	s_movk_i32 s3, 0xf8
	s_addc_u32 s41, s24, s21
	s_lshl_b32 s26, s15, 7
	s_mov_b32 s57, 0
	s_mul_i32 s60, s47, s12
	v_add_u32_e32 v78, v47, v10
	v_mov_b32_e32 v79, 0x3fb8aa3b
	s_mov_b32 s62, 0
	s_waitcnt vmcnt(1)
	v_perm_b32 v29, v12, v20, s58
	s_waitcnt vmcnt(0)
	v_perm_b32 v30, v16, v24, s58
	v_perm_b32 v12, v12, v20, s59
	v_perm_b32 v16, v16, v24, s59
	v_perm_b32 v20, v13, v21, s58
	v_perm_b32 v24, v17, v25, s58
	v_perm_b32 v13, v13, v21, s59
	v_perm_b32 v17, v17, v25, s59
	v_perm_b32 v21, v14, v22, s58
	v_perm_b32 v25, v18, v26, s58
	v_perm_b32 v14, v14, v22, s59
	v_perm_b32 v18, v18, v26, s59
	v_perm_b32 v22, v15, v23, s58
	v_perm_b32 v26, v19, v27, s58
	v_perm_b32 v15, v15, v23, s59
	v_perm_b32 v19, v19, v27, s59
	ds_write2st64_b32 v3, v29, v30 offset1:32
	ds_write2st64_b32 v5, v12, v16 offset1:32
	ds_write2st64_b32 v6, v20, v24 offset0:1 offset1:33
	ds_write2st64_b32 v7, v13, v17 offset0:1 offset1:33
	ds_write2st64_b32 v8, v21, v25 offset0:2 offset1:34
	ds_write2st64_b32 v9, v14, v18 offset0:2 offset1:34
	ds_write2st64_b32 v11, v22, v26 offset0:3 offset1:35
	ds_write2st64_b32 v28, v15, v19 offset0:3 offset1:35
	v_or_b32_e32 v3, v47, v50
	v_lshlrev_b32_e32 v3, 3, v3
	v_lshrrev_b32_e32 v7, 5, v48
	v_and_or_b32 v7, v3, s3, v7
	v_lshlrev_b32_e32 v7, 4, v7
	v_lshlrev_b32_e32 v5, 11, v46
	v_and_b32_e32 v3, 0x78, v3
	v_or_b32_e32 v12, 32, v7
	v_and_b32_e32 v6, 0x1000, v5
	v_lshrrev_b32_e32 v11, 1, v0
	v_xor_b32_e32 v12, v12, v3
	v_and_b32_e32 v9, 8, v11
	v_or_b32_e32 v12, v12, v6
	v_xor_b32_e32 v8, v7, v3
	v_xor_b32_e32 v66, v12, v9
	v_or_b32_e32 v12, 64, v7
	v_or_b32_e32 v7, 0x60, v7
	;; [unrolled: 1-line block ×3, first 2 shown]
	v_xor_b32_e32 v12, v12, v3
	v_xor_b32_e32 v3, v7, v3
	;; [unrolled: 1-line block ×3, first 2 shown]
	v_and_b32_e32 v8, 0x78, v51
	v_or_b32_e32 v12, v12, v6
	v_or_b32_e32 v3, v3, v6
	v_lshl_or_b32 v8, v49, 7, v8
	v_xor_b32_e32 v67, v12, v9
	v_xor_b32_e32 v68, v3, v9
	v_lshlrev_b32_e32 v12, 1, v2
	v_add_lshl_u32 v13, v2, s15, 1
	v_lshrrev_b32_e32 v2, 4, v0
	v_lshlrev_b32_e32 v3, 1, v50
	v_or_b32_e32 v65, 0x9000, v8
	v_or_b32_e32 v69, 0x9800, v8
	s_ashr_i32 s3, s2, 31
	v_or_b32_e32 v8, 1, v3
	v_xor_b32_e32 v3, v2, v3
	s_lshl_b64 s[20:21], s[2:3], 8
	v_xor_b32_e32 v8, v8, v2
	v_lshlrev_b32_e32 v3, 3, v3
	v_lshlrev_b32_e32 v2, 8, v2
	s_waitcnt lgkmcnt(0)
	s_add_u32 s20, s36, s20
	v_or3_b32 v70, v3, v2, s22
	v_lshlrev_b32_e32 v3, 3, v8
	s_addc_u32 s21, s37, s21
	v_or3_b32 v71, v3, v2, s22
	v_mov_b32_e32 v3, 0
	v_lshl_add_u64 v[8:9], s[20:21], 0, v[2:3]
	v_lshlrev_b32_e32 v2, 4, v50
	s_movk_i32 s3, 0xff
	v_lshlrev_b32_e32 v16, 3, v46
	v_and_b32_e32 v11, 24, v11
	v_lshl_add_u64 v[42:43], v[8:9], 0, v[2:3]
	v_and_b32_e32 v8, 8, v0
	v_cmp_lt_u32_e32 vcc, s3, v0
	v_xor_b32_e32 v17, v16, v11
	v_or_b32_e32 v18, 0x440, v17
	v_cndmask_b32_e64 v15, 0, 1, vcc
	v_cmp_eq_u32_e32 vcc, 0, v8
	v_and_b32_e32 v2, 7, v0
	v_lshlrev_b32_e32 v9, 3, v2
	v_cndmask_b32_e32 v8, v18, v17, vcc
	v_lshlrev_b32_e32 v2, 7, v2
	v_or_b32_e32 v8, v8, v5
	v_xad_u32 v72, v8, v9, v2
	v_or_b32_e32 v8, 32, v11
	v_xor_b32_e32 v8, v16, v8
	v_or_b32_e32 v17, 0x440, v8
	v_cndmask_b32_e32 v8, v17, v8, vcc
	v_or_b32_e32 v8, v8, v5
	v_xad_u32 v73, v8, v9, v2
	v_or_b32_e32 v8, 64, v11
	v_xor_b32_e32 v8, v16, v8
	v_xor_b32_e32 v17, 0x440, v8
	v_cndmask_b32_e32 v8, v17, v8, vcc
	v_or_b32_e32 v8, v8, v5
	v_xad_u32 v74, v8, v9, v2
	v_or_b32_e32 v8, 0x60, v11
	v_xor_b32_e32 v8, v16, v8
	v_xor_b32_e32 v11, 0x440, v8
	v_or_b32_e32 v6, s2, v50
	v_cndmask_b32_e32 v8, v11, v8, vcc
	v_ashrrev_i32_e32 v7, 31, v6
	v_or_b32_e32 v5, v8, v5
	v_lshl_add_u64 v[6:7], v[6:7], 1, s[8:9]
	v_or_b32_e32 v14, 0x100, v4
	v_lshlrev_b32_e32 v15, 13, v15
	v_xad_u32 v75, v5, v9, v2
	v_lshlrev_b32_e32 v2, 8, v1
	v_cndmask_b32_e64 v76, v12, v4, s[0:1]
	v_cndmask_b32_e64 v77, v13, v14, s[0:1]
	v_lshl_add_u64 v[44:45], v[6:7], 0, v[2:3]
	s_mov_b32 s3, 0x7060302
	s_movk_i32 s22, 0x4000
	v_add_u32_e32 v80, v15, v72
	v_add_u32_e32 v81, v15, v73
	;; [unrolled: 1-line block ×4, first 2 shown]
	v_mov_b32_e32 v2, v3
	v_mov_b32_e32 v4, v3
	;; [unrolled: 1-line block ×7, first 2 shown]
	s_barrier
.LBB766_6:                              ; =>This Inner Loop Header: Depth=1
	s_add_i32 s35, s62, 1
	s_cmp_lt_i32 s35, s48
	s_mov_b64 s[24:25], 0
	s_cselect_b64 s[42:43], -1, 0
	s_cmp_ge_i32 s35, s48
	s_mov_b64 s[20:21], 0
	s_cbranch_scc1 .LBB766_8
; %bb.7:                                ;   in Loop: Header=BB766_6 Depth=1
	s_add_i32 s0, s57, 64
	s_add_u32 s0, s38, s0
	s_addc_u32 s1, s39, 0
	s_lshl_b64 s[0:1], s[0:1], 8
	s_add_u32 s20, s6, s0
	s_addc_u32 s21, s7, s1
.LBB766_8:                              ;   in Loop: Header=BB766_6 Depth=1
	v_cndmask_b32_e64 v5, 0, 1, s[42:43]
	v_cmp_ne_u32_e64 s[0:1], 1, v5
	s_andn2_b64 vcc, exec, s[42:43]
	s_cbranch_vccnz .LBB766_10
; %bb.9:                                ;   in Loop: Header=BB766_6 Depth=1
	s_add_i32 s24, s57, 64
	s_add_u32 s24, s60, s24
	s_addc_u32 s25, s61, 0
	s_mul_i32 s27, s24, s49
	s_mul_hi_u32 s42, s24, s53
	s_add_i32 s27, s42, s27
	s_mul_i32 s25, s25, s53
	s_add_i32 s27, s27, s25
	s_mul_i32 s24, s24, s53
	s_add_u32 s24, s24, s52
	s_addc_u32 s25, s27, s55
	s_lshl_b64 s[24:25], s[24:25], 8
	s_add_u32 s24, s4, s24
	s_addc_u32 s25, s5, s25
.LBB766_10:                             ;   in Loop: Header=BB766_6 Depth=1
	v_perm_b32 v11, v85, v4, s3
	v_perm_b32 v10, v3, v2, s3
	v_perm_b32 v13, v84, v8, s3
	v_perm_b32 v12, v7, v6, s3
	ds_write_b64 v60, v[10:11]
	ds_write_b64 v61, v[12:13]
	;; [unrolled: 1-line block ×4, first 2 shown]
	s_waitcnt lgkmcnt(0)
	s_barrier
	ds_read_b64 v[18:19], v64 offset:16384
	ds_read_b64 v[20:21], v66 offset:16384
	ds_read2st64_b64 v[10:13], v65 offset1:1
	ds_read2st64_b64 v[14:17], v65 offset0:2 offset1:3
	ds_read_b64 v[22:23], v67 offset:16384
	s_waitcnt lgkmcnt(2)
	v_mfma_f32_16x16x16_bf16 a[0:3], v[18:19], v[10:11], 0
	ds_read_b64 v[10:11], v68 offset:16384
	s_add_i32 s27, s57, 63
	s_mul_i32 s42, s27, s31
	v_mfma_f32_16x16x16_bf16 a[0:3], v[20:21], v[12:13], a[0:3]
	s_mul_hi_u32 s43, s27, s30
	s_add_i32 s43, s43, s42
	s_mul_i32 s42, s27, s30
	s_waitcnt lgkmcnt(1)
	v_mfma_f32_16x16x16_bf16 a[0:3], v[22:23], v[14:15], a[0:3]
	s_lshl_b64 s[42:43], s[42:43], 2
	s_add_u32 s42, s40, s42
	s_addc_u32 s43, s41, s43
	s_waitcnt lgkmcnt(0)
	v_mfma_f32_16x16x16_bf16 a[0:3], v[10:11], v[16:17], a[0:3]
	s_and_b64 vcc, exec, s[0:1]
	v_mov_b32_e32 v86, 0
	v_mov_b32_e32 v9, 0
	;; [unrolled: 1-line block ×19, first 2 shown]
	s_cbranch_vccnz .LBB766_12
; %bb.11:                               ;   in Loop: Header=BB766_6 Depth=1
	s_and_b32 s21, s21, 0xffff
	buffer_load_dwordx4 v[22:25], v56, s[20:23], 0 offen
	buffer_load_dwordx4 v[18:21], v56, s[20:23], s56 offen
	;; [unrolled: 1-line block ×4, first 2 shown]
	v_mov_b32_e32 v9, v58
	v_mov_b32_e32 v5, v59
.LBB766_12:                             ;   in Loop: Header=BB766_6 Depth=1
	s_waitcnt vmcnt(3)
	v_add_u32_e32 v32, s57, v78
	s_waitcnt vmcnt(1)
	v_ashrrev_i32_e32 v26, 31, v32
	v_mul_lo_u32 v28, v26, s30
	v_mul_lo_u32 v29, v32, s31
	v_mad_u64_u32 v[26:27], s[20:21], v32, s30, 0
	v_add3_u32 v27, v27, v29, v28
	v_add_u32_e32 v28, 1, v32
	v_ashrrev_i32_e32 v29, 31, v28
	v_mul_lo_u32 v30, v29, s30
	v_mul_lo_u32 v31, v28, s31
	v_mad_u64_u32 v[28:29], s[20:21], v28, s30, 0
	v_add3_u32 v29, v29, v31, v30
	v_add_u32_e32 v30, 2, v32
	v_ashrrev_i32_e32 v31, 31, v30
	v_mul_lo_u32 v33, v31, s30
	v_mul_lo_u32 v34, v30, s31
	v_mad_u64_u32 v[30:31], s[20:21], v30, s30, 0
	v_add_u32_e32 v32, 3, v32
	v_add3_u32 v31, v31, v34, v33
	v_ashrrev_i32_e32 v33, 31, v32
	v_mul_lo_u32 v36, v33, s30
	v_mul_lo_u32 v37, v32, s31
	v_mad_u64_u32 v[32:33], s[20:21], v32, s30, 0
	s_add_u32 s20, s38, s57
	s_addc_u32 s21, s39, 0
	s_lshl_b64 s[20:21], s[20:21], 8
	v_lshl_add_u64 v[26:27], v[26:27], 2, s[40:41]
	v_lshl_add_u64 v[28:29], v[28:29], 2, s[40:41]
	;; [unrolled: 1-line block ×3, first 2 shown]
	v_add3_u32 v33, v33, v37, v36
	v_lshl_add_u64 v[30:31], v[30:31], 2, s[40:41]
	global_load_ushort v92, v[34:35], off
	global_load_ushort v93, v[34:35], off offset:256
	global_load_ushort v94, v[34:35], off offset:512
	;; [unrolled: 1-line block ×3, first 2 shown]
	global_load_dword v96, v[26:27], off
	v_lshl_add_u64 v[26:27], v[32:33], 2, s[40:41]
	global_load_dword v97, v[28:29], off
	global_load_dword v98, v[30:31], off
	global_load_dword v99, v[26:27], off
	s_load_dword s20, s[42:43], 0x0
	ds_read2st64_b64 v[32:35], v69 offset1:1
	ds_read2st64_b64 v[36:39], v69 offset0:2 offset1:3
	ds_read_b64 v[30:31], v64 offset:24576
	ds_read_b64 v[40:41], v66 offset:24576
	;; [unrolled: 1-line block ×4, first 2 shown]
	s_waitcnt lgkmcnt(0)
	v_mfma_f32_16x16x16_bf16 a[0:3], v[30:31], v[32:33], a[0:3]
	v_mov_b32_e32 v87, 0
	v_mov_b32_e32 v26, 0
	v_mov_b32_e32 v27, 0
	v_mfma_f32_16x16x16_bf16 a[0:3], v[40:41], v[34:35], a[0:3]
	v_mov_b32_e32 v28, 0
	v_mov_b32_e32 v29, 0
	v_mov_b32_e32 v30, 0
	;; [unrolled: 4-line block ×4, first 2 shown]
	v_mov_b32_e32 v37, 0
	s_and_b64 vcc, exec, s[0:1]
	s_waitcnt vmcnt(7)
	v_lshlrev_b32_e32 v88, 16, v92
	s_waitcnt vmcnt(6)
	v_lshlrev_b32_e32 v89, 16, v93
	s_waitcnt vmcnt(5)
	v_lshlrev_b32_e32 v90, 16, v94
	s_waitcnt vmcnt(4)
	v_lshlrev_b32_e32 v91, 16, v95
	s_waitcnt vmcnt(3)
	v_sub_f32_e32 v92, s20, v96
	s_waitcnt vmcnt(2)
	v_sub_f32_e32 v93, s20, v97
	;; [unrolled: 2-line block ×4, first 2 shown]
	v_mul_f32_e32 v92, 0x3fb8aa3b, v92
	v_mul_f32_e32 v93, 0x3fb8aa3b, v93
	;; [unrolled: 1-line block ×4, first 2 shown]
	v_exp_f32_e32 v92, v92
	v_exp_f32_e32 v93, v93
	;; [unrolled: 1-line block ×4, first 2 shown]
	v_accvgpr_read_b32 v41, a1
	v_accvgpr_read_b32 v39, a3
	;; [unrolled: 1-line block ×4, first 2 shown]
	v_pk_add_f32 v[40:41], v[88:89], v[40:41] neg_lo:[0,1] neg_hi:[0,1]
	v_pk_add_f32 v[38:39], v[90:91], v[38:39] neg_lo:[0,1] neg_hi:[0,1]
	v_pk_mul_f32 v[40:41], v[92:93], v[40:41]
	v_pk_mul_f32 v[38:39], v[94:95], v[38:39]
	s_nop 0
	v_perm_b32 v39, v39, v38, s3
	v_perm_b32 v38, v41, v40, s3
	ds_write_b64 v61, v[38:39]
	v_mov_b32_e32 v38, 0
	v_mov_b32_e32 v39, 0
	;; [unrolled: 1-line block ×4, first 2 shown]
	s_cbranch_vccnz .LBB766_14
; %bb.13:                               ;   in Loop: Header=BB766_6 Depth=1
	s_and_b32 s25, s25, 0xffff
	s_mov_b32 s27, s23
	buffer_load_dwordx4 v[38:41], v76, s[24:27], 0 offen
	buffer_load_dwordx4 v[30:33], v76, s[24:27], s56 offen
	;; [unrolled: 1-line block ×4, first 2 shown]
	v_mov_b32_e32 v86, v55
	v_mov_b32_e32 v87, v54
.LBB766_14:                             ;   in Loop: Header=BB766_6 Depth=1
	s_waitcnt lgkmcnt(0)
	s_barrier
	ds_read_b64 v[96:97], v80
	ds_read2st64_b64 v[88:91], v69 offset1:1
	ds_read2st64_b64 v[92:95], v69 offset0:2 offset1:3
	ds_read_b64 v[98:99], v81
	ds_read_b64 v[100:101], v82
	;; [unrolled: 1-line block ×3, first 2 shown]
	s_waitcnt lgkmcnt(4)
	v_mfma_f32_16x16x16_bf16 a[0:3], v[96:97], v[88:89], 0
	ds_read_b64 v[96:97], v72 offset:8192
	ds_read_b64 v[104:105], v73 offset:8192
	s_add_i32 s21, s50, s62
	s_mul_hi_i32 s25, s21, s13
	s_waitcnt lgkmcnt(1)
	v_mfma_f32_16x16x16_bf16 a[4:7], v[96:97], v[88:89], 0
	s_mul_i32 s21, s21, s13
	s_add_u32 s24, s21, s33
	s_addc_u32 s25, s25, s54
	v_mfma_f32_16x16x16_bf16 a[0:3], v[98:99], v[90:91], a[0:3]
	ds_read_b64 v[96:97], v70
	ds_read_b64 v[98:99], v71
	ds_read_b64 v[88:89], v74 offset:8192
	s_lshl_b64 s[24:25], s[24:25], 15
	v_mfma_f32_16x16x16_bf16 a[0:3], v[100:101], v[92:93], a[0:3]
	ds_read_b64 v[100:101], v75 offset:8192
	s_and_b64 vcc, exec, s[0:1]
	s_waitcnt lgkmcnt(4)
	v_mfma_f32_16x16x16_bf16 a[4:7], v[104:105], v[90:91], a[4:7]
	s_waitcnt lgkmcnt(1)
	v_mfma_f32_16x16x16_bf16 a[4:7], v[88:89], v[92:93], a[4:7]
	v_lshl_add_u64 v[88:89], v[42:43], 0, s[24:25]
	global_store_dwordx4 v[88:89], v[96:99], off
	v_mfma_f32_16x16x16_bf16 a[0:3], v[102:103], v[94:95], a[0:3]
	s_waitcnt lgkmcnt(0)
	v_mfma_f32_16x16x16_bf16 a[4:7], v[100:101], v[94:95], a[4:7]
	s_cbranch_vccnz .LBB766_16
; %bb.15:                               ;   in Loop: Header=BB766_6 Depth=1
	v_lshrrev_b32_e32 v88, 3, v86
	v_and_b32_e32 v88, 6, v88
	v_xor_b32_e32 v87, v88, v87
	v_lshlrev_b32_e32 v87, 2, v87
	v_and_b32_e32 v86, 8, v86
	v_xor_b32_e32 v89, 0x440, v87
	v_cmp_eq_u32_e32 vcc, 0, v86
	s_barrier
	s_nop 0
	v_cndmask_b32_e32 v86, v89, v87, vcc
	v_lshl_or_b32 v86, v88, 10, v86
	s_waitcnt vmcnt(2)
	v_perm_b32 v87, v38, v34, s58
	s_waitcnt vmcnt(1)
	v_perm_b32 v88, v30, v26, s58
	ds_write2st64_b32 v86, v87, v88 offset1:32
	v_xor_b32_e32 v87, 8, v86
	v_perm_b32 v34, v38, v34, s59
	v_perm_b32 v26, v30, v26, s59
	v_add_u32_e32 v30, 0x80, v87
	ds_write2st64_b32 v30, v34, v26 offset1:32
	v_xor_b32_e32 v26, 16, v86
	v_perm_b32 v30, v39, v35, s58
	v_perm_b32 v34, v31, v27, s58
	ds_write2st64_b32 v26, v30, v34 offset0:1 offset1:33
	v_xor_b32_e32 v26, 24, v86
	v_perm_b32 v30, v39, v35, s59
	v_perm_b32 v27, v31, v27, s59
	v_add_u32_e32 v26, 0x80, v26
	ds_write2st64_b32 v26, v30, v27 offset0:1 offset1:33
	v_xor_b32_e32 v26, 32, v86
	v_perm_b32 v27, v40, v36, s58
	v_perm_b32 v30, v32, v28, s58
	ds_write2st64_b32 v26, v27, v30 offset0:2 offset1:34
	v_xor_b32_e32 v26, 40, v86
	v_perm_b32 v27, v40, v36, s59
	v_perm_b32 v28, v32, v28, s59
	v_add_u32_e32 v26, 0x80, v26
	ds_write2st64_b32 v26, v27, v28 offset0:2 offset1:34
	;; [unrolled: 9-line block ×3, first 2 shown]
	ds_write_b64 v9, v[22:23] offset:16384
	v_xor_b32_e32 v22, 8, v9
	ds_write_b64 v22, v[24:25] offset:16384
	ds_write_b64 v9, v[18:19] offset:24576
	;; [unrolled: 1-line block ×4, first 2 shown]
	v_xor_b32_e32 v9, 8, v5
	ds_write_b64 v9, v[16:17] offset:16384
	ds_write_b64 v5, v[10:11] offset:24576
	;; [unrolled: 1-line block ×3, first 2 shown]
.LBB766_16:                             ;   in Loop: Header=BB766_6 Depth=1
	v_mul_f32_e32 v5, s20, v79
	v_exp_f32_e32 v10, v5
	s_nop 1
	v_accvgpr_read_b32 v9, a1
	v_accvgpr_read_b32 v5, a0
	s_add_i32 s57, s57, 64
	v_fma_f32 v3, v3, v10, v9
	v_accvgpr_read_b32 v9, a4
	v_fma_f32 v6, v6, v10, v9
	v_accvgpr_read_b32 v9, a5
	;; [unrolled: 2-line block ×6, first 2 shown]
	v_fmac_f32_e32 v5, v85, v10
	s_cmp_eq_u32 s48, s35
	v_fmac_f32_e32 v9, v84, v10
	s_cbranch_scc1 .LBB766_18
; %bb.17:                               ;   in Loop: Header=BB766_6 Depth=1
	s_mov_b32 s62, s35
	v_mov_b32_e32 v85, v5
	v_mov_b32_e32 v84, v9
	s_branch .LBB766_6
.LBB766_18:
	s_lshl_b32 s42, s48, 6
	s_sub_i32 s43, s12, s42
	s_cmp_gt_i32 s43, 0
	s_waitcnt vmcnt(2)
	v_or_b32_e32 v34, s2, v50
	s_cbranch_scc1 .LBB766_20
; %bb.19:
	s_ashr_i32 s0, s33, 31
	s_add_u32 s24, s45, s33
	s_addc_u32 s25, s51, s0
	v_or_b32_e32 v10, s2, v50
	s_cbranch_execz .LBB766_21
	s_branch .LBB766_77
.LBB766_20:
                                        ; implicit-def: $sgpr24_sgpr25
                                        ; implicit-def: $vgpr10
.LBB766_21:
	s_ashr_i32 s35, s47, 31
	s_ashr_i32 s3, s42, 31
	s_cmpk_lg_i32 s15, 0x80
	s_cselect_b64 s[38:39], -1, 0
	s_and_b64 vcc, exec, s[38:39]
	s_cbranch_vccz .LBB766_23
; %bb.22:
	s_mul_i32 s1, s47, s12
	s_mul_hi_i32 s0, s47, s12
	s_add_u32 s1, s1, s42
	s_addc_u32 s0, s0, s3
	s_mul_i32 s20, s1, s49
	s_mul_hi_u32 s21, s1, s14
	s_add_i32 s20, s21, s20
	s_mul_i32 s0, s0, s14
	s_add_i32 s20, s20, s0
	s_mul_i32 s1, s1, s14
	s_ashr_i32 s0, s52, 31
	s_add_u32 s40, s1, s52
	s_addc_u32 s41, s20, s0
	s_cbranch_execz .LBB766_24
	s_branch .LBB766_25
.LBB766_23:
                                        ; implicit-def: $sgpr40_sgpr41
.LBB766_24:
	s_mul_hi_i32 s0, s47, s14
	s_mul_i32 s47, s47, s14
	s_ashr_i32 s1, s52, 31
	s_add_u32 s14, s47, s52
	s_addc_u32 s0, s0, s1
	s_mul_i32 s1, s14, s46
	s_mul_hi_u32 s20, s14, s12
	s_add_i32 s1, s20, s1
	s_mul_i32 s0, s0, s12
	s_add_i32 s1, s1, s0
	s_mul_i32 s14, s14, s12
	s_add_u32 s40, s14, s42
	s_addc_u32 s41, s1, s3
.LBB766_25:
	s_add_i32 s20, s50, s48
	s_ashr_i32 s14, s33, 31
	s_add_u32 s24, s45, s33
	s_addc_u32 s25, s51, s14
	s_mul_i32 s0, s24, s46
	s_mul_hi_u32 s1, s24, s12
	s_add_i32 s0, s1, s0
	s_mul_i32 s1, s25, s12
	s_add_i32 s1, s0, s1
	s_mul_i32 s0, s24, s12
	s_add_u32 s0, s0, s42
	s_addc_u32 s1, s1, s3
	s_mov_b32 s3, 0x7060302
	v_lshlrev_b32_e32 v14, 3, v50
	s_lshl_b64 s[26:27], s[0:1], 8
	v_perm_b32 v11, v5, v4, s3
	v_perm_b32 v10, v3, v2, s3
	;; [unrolled: 1-line block ×4, first 2 shown]
	v_lshlrev_b32_e32 v44, 2, v50
	v_lshl_or_b32 v14, v1, 5, v14
	s_add_u32 s0, s6, s26
	ds_write2st64_b64 v14, v[10:11], v[12:13] offset0:72 offset1:76
	v_xor_b32_e32 v14, v1, v44
	v_lshlrev_b32_e32 v15, 8, v50
	s_addc_u32 s1, s7, s27
	v_lshl_or_b32 v14, v14, 1, v15
	s_mul_hi_i32 s3, s20, s13
	s_mul_i32 s20, s20, s13
	ds_write_b64 v14, v[10:11] offset:32768
	v_xor_b32_e32 v10, v53, v44
	s_add_u32 s6, s20, s33
	v_lshl_or_b32 v10, v10, 1, v15
	s_addc_u32 s7, s3, s14
	v_lshlrev_b32_e32 v11, 1, v50
	ds_write_b64 v10, v[12:13] offset:32768
	v_lshrrev_b32_e32 v10, 4, v0
	s_ashr_i32 s3, s2, 31
	s_lshl_b64 s[6:7], s[6:7], 15
	v_or_b32_e32 v12, 1, v11
	s_waitcnt lgkmcnt(0)
	s_add_u32 s6, s36, s6
	v_xor_b32_e32 v11, v10, v11
	v_xor_b32_e32 v12, v12, v10
	v_lshlrev_b32_e32 v14, 8, v10
	s_addc_u32 s7, s37, s7
	s_lshl_b64 s[2:3], s[2:3], 8
	v_lshl_or_b32 v10, v11, 3, v14
	v_lshl_or_b32 v12, v12, 3, v14
	s_barrier
	s_add_u32 s2, s6, s2
	ds_read_b64 v[10:11], v10 offset:32768
	ds_read_b64 v[12:13], v12 offset:32768
	s_addc_u32 s3, s7, s3
	v_mov_b32_e32 v15, 0
	s_cmp_lg_u32 s43, 64
	v_lshl_add_u64 v[16:17], s[2:3], 0, v[14:15]
	v_lshlrev_b32_e32 v14, 4, v50
	s_cselect_b64 s[6:7], -1, 0
	v_lshl_or_b32 v35, v46, 3, v52
	s_mov_b32 s20, 0
	v_lshl_add_u64 v[14:15], v[16:17], 0, v[14:15]
	s_waitcnt vmcnt(1)
	v_or_b32_e32 v27, 32, v35
	v_and_b32_e32 v26, 56, v51
	s_and_b64 vcc, exec, s[6:7]
	s_waitcnt lgkmcnt(0)
	global_store_dwordx4 v[14:15], v[10:13], off
	s_cbranch_vccz .LBB766_31
; %bb.26:
	s_mov_b32 s21, s20
	s_mov_b32 s22, s20
	;; [unrolled: 1-line block ×3, first 2 shown]
	v_mov_b64_e32 v[14:15], s[20:21]
	v_mov_b64_e32 v[16:17], s[22:23]
	;; [unrolled: 1-line block ×3, first 2 shown]
	v_cmp_gt_i32_e32 vcc, s43, v35
	v_mov_b64_e32 v[12:13], v[16:17]
	s_and_saveexec_b64 s[2:3], vcc
	s_cbranch_execz .LBB766_28
; %bb.27:
	v_lshlrev_b32_e32 v10, 8, v35
	v_mov_b32_e32 v11, 0
	v_lshl_add_u64 v[12:13], s[0:1], 0, v[10:11]
	v_lshlrev_b32_e32 v10, 1, v26
	v_lshl_add_u64 v[18:19], v[12:13], 0, v[10:11]
	global_load_dwordx4 v[14:17], v[18:19], off
	global_load_dwordx4 v[10:13], v[18:19], off offset:128
.LBB766_28:
	s_or_b64 exec, exec, s[2:3]
	s_mov_b32 s22, s20
	s_mov_b32 s23, s20
	s_mov_b32 s21, s20
	v_mov_b64_e32 v[24:25], s[22:23]
	v_mov_b64_e32 v[22:23], s[20:21]
	;; [unrolled: 1-line block ×3, first 2 shown]
	v_cmp_gt_i32_e32 vcc, s43, v27
	v_lshlrev_b32_e32 v28, 7, v27
	v_mov_b64_e32 v[20:21], v[24:25]
	s_and_saveexec_b64 s[2:3], vcc
	s_cbranch_execz .LBB766_30
; %bb.29:
	v_lshlrev_b32_e32 v18, 1, v28
	v_mov_b32_e32 v19, 0
	v_lshl_add_u64 v[20:21], s[0:1], 0, v[18:19]
	v_lshlrev_b32_e32 v18, 1, v26
	v_lshl_add_u64 v[30:31], v[20:21], 0, v[18:19]
	global_load_dwordx4 v[22:25], v[30:31], off
	global_load_dwordx4 v[18:21], v[30:31], off offset:128
.LBB766_30:
	s_or_b64 exec, exec, s[2:3]
	v_lshrrev_b32_e32 v29, 3, v26
	v_lshlrev_b32_e32 v30, 3, v35
	v_or_b32_e32 v29, v30, v29
	v_lshlrev_b32_e32 v29, 4, v29
	v_and_b32_e32 v30, 0x78, v30
	v_xor_b32_e32 v29, v29, v30
	s_branch .LBB766_33
.LBB766_31:
                                        ; implicit-def: $vgpr29
                                        ; implicit-def: $vgpr28
                                        ; implicit-def: $vgpr14_vgpr15_vgpr16_vgpr17
                                        ; implicit-def: $vgpr10_vgpr11_vgpr12_vgpr13
                                        ; implicit-def: $vgpr22_vgpr23_vgpr24_vgpr25
                                        ; implicit-def: $vgpr18_vgpr19_vgpr20_vgpr21
	s_cbranch_execz .LBB766_33
; %bb.32:
	s_waitcnt vmcnt(0)
	v_lshlrev_b32_e32 v10, 1, v26
	v_lshl_or_b32 v28, v35, 8, v10
	s_and_b32 s1, s1, 0xffff
	s_mov_b32 s3, 0x20000
	s_movk_i32 s2, 0x4000
	v_lshl_or_b32 v29, v27, 8, v10
	s_movk_i32 s13, 0x80
	buffer_load_dwordx4 v[14:17], v28, s[0:3], 0 offen
	buffer_load_dwordx4 v[10:13], v28, s[0:3], s13 offen
	;; [unrolled: 1-line block ×4, first 2 shown]
	v_lshrrev_b32_e32 v28, 3, v26
	v_lshlrev_b32_e32 v29, 3, v35
	v_or_b32_e32 v28, v29, v28
	v_lshlrev_b32_e32 v28, 4, v28
	v_and_b32_e32 v29, 0x78, v29
	v_xor_b32_e32 v29, v28, v29
	v_lshlrev_b32_e32 v28, 7, v27
.LBB766_33:
	s_lshl_b64 s[0:1], s[40:41], 8
	s_add_u32 s4, s4, s0
	s_movk_i32 s0, 0x1000
	v_and_or_b32 v27, v28, s0, v29
	s_waitcnt vmcnt(1)
	ds_write_b64 v29, v[14:15] offset:16384
	v_xor_b32_e32 v14, 8, v29
	s_addc_u32 s5, s5, s1
	ds_write_b64 v14, v[16:17] offset:16384
	s_waitcnt vmcnt(0)
	ds_write_b64 v29, v[10:11] offset:24576
	ds_write_b64 v14, v[12:13] offset:24576
	;; [unrolled: 1-line block ×3, first 2 shown]
	v_xor_b32_e32 v10, 8, v27
	s_add_i32 s0, s44, s17
	s_mul_i32 s35, s35, s16
	ds_write_b64 v10, v[24:25] offset:16384
	ds_write_b64 v27, v[18:19] offset:24576
	;; [unrolled: 1-line block ×3, first 2 shown]
	s_add_i32 s35, s0, s35
	s_mul_i32 s0, s33, s19
	s_mul_hi_u32 s1, s33, s18
	v_or_b32_e32 v10, v47, v50
	s_add_i32 s0, s1, s0
	s_mul_i32 s1, s14, s18
	v_lshlrev_b32_e32 v10, 3, v10
	v_lshrrev_b32_e32 v12, 5, v48
	s_movk_i32 s14, 0xf8
	v_and_or_b32 v12, v10, s14, v12
	v_lshlrev_b32_e32 v45, 11, v46
	v_lshlrev_b32_e32 v20, 4, v12
	v_and_b32_e32 v21, 0x78, v10
	v_and_b32_e32 v22, 0x1000, v45
	v_lshlrev_b32_e32 v11, 2, v0
	v_xor_b32_e32 v10, v20, v21
	v_lshrrev_b32_e32 v12, 1, v48
	v_and_b32_e32 v11, 60, v11
	v_or_b32_e32 v10, v10, v22
	v_and_b32_e32 v23, 8, v12
	v_xor_b32_e32 v36, v10, v23
	v_lshl_or_b32 v10, v49, 6, v11
	v_lshlrev_b32_e32 v49, 1, v10
	v_or_b32_e32 v10, 32, v20
	v_xor_b32_e32 v10, v10, v21
	s_waitcnt lgkmcnt(0)
	s_barrier
	ds_read_b64 v[18:19], v36 offset:16384
	v_or_b32_e32 v10, v10, v22
	v_xor_b32_e32 v37, v10, v23
	v_or_b32_e32 v10, 64, v20
	v_xor_b32_e32 v10, v10, v21
	v_or_b32_e32 v10, v10, v22
	v_or_b32_e32 v20, 0x60, v20
	v_xor_b32_e32 v38, v10, v23
	ds_read2st64_b64 v[10:13], v49 offset0:72 offset1:73
	ds_read2st64_b64 v[14:17], v49 offset0:74 offset1:75
	v_xor_b32_e32 v24, v20, v21
	ds_read_b64 v[20:21], v37 offset:16384
	s_waitcnt lgkmcnt(2)
	v_mfma_f32_16x16x16_bf16 a[0:3], v[18:19], v[10:11], 0
	s_add_i32 s2, s12, -1
	s_ashr_i32 s3, s2, 31
	s_mul_i32 s12, s2, s31
	s_mul_hi_u32 s13, s2, s30
	s_add_i32 s12, s13, s12
	s_mul_i32 s3, s3, s30
	v_or_b32_e32 v22, v24, v22
	s_add_i32 s1, s0, s1
	s_add_i32 s3, s12, s3
	s_lshl_b64 s[12:13], s[34:35], 2
	v_xor_b32_e32 v50, v22, v23
	ds_read_b64 v[22:23], v38 offset:16384
	ds_read_b64 v[24:25], v50 offset:16384
	s_waitcnt lgkmcnt(2)
	v_mfma_f32_16x16x16_bf16 a[0:3], v[20:21], v[12:13], a[0:3]
	s_mul_i32 s0, s33, s18
	s_add_u32 s10, s10, s12
	s_addc_u32 s11, s11, s13
	s_lshl_b64 s[0:1], s[0:1], 2
	s_mul_i32 s2, s2, s30
	s_add_u32 s10, s10, s0
	s_addc_u32 s11, s11, s1
	s_lshl_b64 s[0:1], s[2:3], 2
	s_waitcnt lgkmcnt(1)
	v_mfma_f32_16x16x16_bf16 a[0:3], v[22:23], v[14:15], a[0:3]
	s_add_u32 s0, s10, s0
	s_addc_u32 s1, s11, s1
	s_load_dword s12, s[0:1], 0x0
	s_waitcnt lgkmcnt(0)
	v_mfma_f32_16x16x16_bf16 a[0:3], v[24:25], v[16:17], a[0:3]
	s_and_b64 vcc, exec, s[38:39]
	s_cbranch_vccz .LBB766_44
; %bb.34:
	v_lshlrev_b32_e32 v27, 1, v35
	s_and_b64 vcc, exec, s[6:7]
	s_cbranch_vccz .LBB766_45
; %bb.35:
	v_cmp_gt_i32_e32 vcc, s43, v27
	v_mov_b32_e32 v14, 0
	v_mov_b32_e32 v10, 0
	;; [unrolled: 1-line block ×5, first 2 shown]
	s_and_saveexec_b64 s[0:1], vcc
	s_cbranch_execz .LBB766_37
; %bb.36:
	v_mad_i64_i32 v[10:11], s[2:3], s15, v27, 0
	v_lshl_add_u64 v[10:11], v[10:11], 1, s[4:5]
	v_lshlrev_b32_e32 v12, 1, v26
	v_mov_b32_e32 v13, 0
	v_lshl_add_u64 v[10:11], v[10:11], 0, v[12:13]
	global_load_dwordx4 v[10:13], v[10:11], off
.LBB766_37:
	s_or_b64 exec, exec, s[0:1]
	v_or_b32_e32 v28, 1, v27
	v_cmp_gt_i32_e64 s[0:1], s43, v28
	v_mov_b32_e32 v15, 0
	v_mov_b32_e32 v16, 0
	;; [unrolled: 1-line block ×3, first 2 shown]
	s_and_saveexec_b64 s[2:3], s[0:1]
	s_cbranch_execz .LBB766_39
; %bb.38:
	v_mad_i64_i32 v[14:15], s[16:17], s15, v28, 0
	v_lshl_add_u64 v[14:15], v[14:15], 1, s[4:5]
	v_lshlrev_b32_e32 v16, 1, v26
	v_mov_b32_e32 v17, 0
	v_lshl_add_u64 v[14:15], v[14:15], 0, v[16:17]
	global_load_dwordx4 v[14:17], v[14:15], off
.LBB766_39:
	s_or_b64 exec, exec, s[2:3]
	v_mov_b32_e32 v25, 0
	v_mov_b32_e32 v18, 0
	;; [unrolled: 1-line block ×5, first 2 shown]
	s_and_saveexec_b64 s[2:3], vcc
	s_cbranch_execz .LBB766_41
; %bb.40:
	v_mad_i64_i32 v[18:19], s[16:17], s15, v27, 0
	v_lshl_add_u64 v[18:19], v[18:19], 1, s[4:5]
	v_lshlrev_b32_e32 v20, 1, v26
	v_mov_b32_e32 v21, 0
	v_lshl_add_u64 v[18:19], v[18:19], 0, v[20:21]
	global_load_dwordx4 v[18:21], v[18:19], off offset:128
.LBB766_41:
	s_or_b64 exec, exec, s[2:3]
	v_mov_b32_e32 v24, 0
	v_mov_b32_e32 v23, 0
	;; [unrolled: 1-line block ×3, first 2 shown]
	s_and_saveexec_b64 s[2:3], s[0:1]
	s_cbranch_execz .LBB766_43
; %bb.42:
	v_mad_i64_i32 v[22:23], s[0:1], s15, v28, 0
	v_lshl_add_u64 v[22:23], v[22:23], 1, s[4:5]
	v_lshlrev_b32_e32 v24, 1, v26
	v_mov_b32_e32 v25, 0
	v_lshl_add_u64 v[22:23], v[22:23], 0, v[24:25]
	global_load_dwordx4 v[22:25], v[22:23], off offset:128
.LBB766_43:
	s_or_b64 exec, exec, s[2:3]
	s_branch .LBB766_47
.LBB766_44:
                                        ; implicit-def: $vgpr13
                                        ; implicit-def: $vgpr17
                                        ; implicit-def: $vgpr21
                                        ; implicit-def: $vgpr25
	v_lshrrev_b32_e32 v48, 2, v48
	s_branch .LBB766_48
.LBB766_45:
                                        ; implicit-def: $vgpr13
                                        ; implicit-def: $vgpr17
                                        ; implicit-def: $vgpr21
                                        ; implicit-def: $vgpr25
	s_cbranch_execz .LBB766_47
; %bb.46:
	s_waitcnt vmcnt(0)
	v_mad_u64_u32 v[10:11], s[0:1], v27, s15, v[26:27]
	v_lshlrev_b32_e32 v27, 1, v10
	s_lshl_b32 s2, s15, 7
	s_and_b32 s1, s5, 0xffff
	s_mov_b32 s3, 0x20000
	s_mov_b32 s0, s4
	v_add_lshl_u32 v28, v10, s15, 1
	s_movk_i32 s13, 0x80
	buffer_load_dwordx4 v[10:13], v27, s[0:3], 0 offen
	buffer_load_dwordx4 v[18:21], v27, s[0:3], s13 offen
	;; [unrolled: 1-line block ×4, first 2 shown]
.LBB766_47:
	v_lshrrev_b32_e32 v48, 2, v48
	s_cbranch_execnz .LBB766_60
.LBB766_48:
	s_and_b64 vcc, exec, s[6:7]
	s_cbranch_vccz .LBB766_58
; %bb.49:
	s_waitcnt vmcnt(0)
	v_lshlrev_b32_e32 v15, 1, v35
	v_cmp_gt_i32_e32 vcc, s43, v15
	v_mov_b32_e32 v14, 0
	v_lshlrev_b32_e32 v22, 9, v35
	v_mov_b32_e32 v10, 0
	v_mov_b32_e32 v11, 0
	;; [unrolled: 1-line block ×4, first 2 shown]
	s_and_saveexec_b64 s[0:1], vcc
	s_cbranch_execz .LBB766_51
; %bb.50:
	v_mov_b32_e32 v23, 0
	v_lshl_add_u64 v[10:11], s[4:5], 0, v[22:23]
	v_lshlrev_b32_e32 v12, 1, v26
	v_mov_b32_e32 v13, v23
	v_lshl_add_u64 v[10:11], v[10:11], 0, v[12:13]
	global_load_dwordx4 v[10:13], v[10:11], off
.LBB766_51:
	s_or_b64 exec, exec, s[0:1]
	v_or_b32_e32 v15, 1, v15
	v_cmp_gt_i32_e64 s[0:1], s43, v15
	v_lshlrev_b32_e32 v28, 8, v15
	v_mov_b32_e32 v15, 0
	v_mov_b32_e32 v16, 0
	;; [unrolled: 1-line block ×3, first 2 shown]
	s_and_saveexec_b64 s[2:3], s[0:1]
	s_cbranch_execz .LBB766_53
; %bb.52:
	v_mov_b32_e32 v29, 0
	v_lshl_add_u64 v[14:15], s[4:5], 0, v[28:29]
	v_lshlrev_b32_e32 v16, 1, v26
	v_mov_b32_e32 v17, v29
	v_lshl_add_u64 v[14:15], v[14:15], 0, v[16:17]
	global_load_dwordx4 v[14:17], v[14:15], off
.LBB766_53:
	s_or_b64 exec, exec, s[2:3]
	v_mov_b32_e32 v25, 0
	v_mov_b32_e32 v18, 0
	;; [unrolled: 1-line block ×5, first 2 shown]
	s_and_saveexec_b64 s[2:3], vcc
	s_cbranch_execz .LBB766_55
; %bb.54:
	v_mov_b32_e32 v23, 0
	v_lshl_add_u64 v[18:19], s[4:5], 0, v[22:23]
	v_lshlrev_b32_e32 v22, 1, v26
	v_lshl_add_u64 v[18:19], v[18:19], 0, v[22:23]
	global_load_dwordx4 v[18:21], v[18:19], off offset:128
.LBB766_55:
	s_or_b64 exec, exec, s[2:3]
	v_mov_b32_e32 v24, 0
	v_mov_b32_e32 v23, 0
	;; [unrolled: 1-line block ×3, first 2 shown]
	s_and_saveexec_b64 s[2:3], s[0:1]
	s_cbranch_execz .LBB766_57
; %bb.56:
	v_mov_b32_e32 v29, 0
	v_lshl_add_u64 v[22:23], s[4:5], 0, v[28:29]
	v_lshlrev_b32_e32 v28, 1, v26
	v_lshl_add_u64 v[22:23], v[22:23], 0, v[28:29]
	global_load_dwordx4 v[22:25], v[22:23], off offset:128
.LBB766_57:
	s_or_b64 exec, exec, s[2:3]
	s_branch .LBB766_60
.LBB766_58:
                                        ; implicit-def: $vgpr13
                                        ; implicit-def: $vgpr17
                                        ; implicit-def: $vgpr21
                                        ; implicit-def: $vgpr25
	s_cbranch_execz .LBB766_60
; %bb.59:
	s_waitcnt vmcnt(0)
	v_lshlrev_b32_e32 v10, 1, v26
	v_lshl_or_b32 v26, v35, 9, v10
	s_and_b32 s5, s5, 0xffff
	s_mov_b32 s7, 0x20000
	s_movk_i32 s6, 0x4000
	s_movk_i32 s0, 0x80
	buffer_load_dwordx4 v[10:13], v26, s[4:7], 0 offen
	buffer_load_dwordx4 v[14:17], v26, s[4:7], 0 offen offset:256
	buffer_load_dwordx4 v[18:21], v26, s[4:7], s0 offen
	buffer_load_dwordx4 v[22:25], v26, s[4:7], s0 offen offset:256
.LBB766_60:
	ds_read2st64_b64 v[30:33], v49 offset0:76 offset1:77
	ds_read2st64_b64 v[26:29], v49 offset0:78 offset1:79
	ds_read_b64 v[40:41], v36 offset:24576
	ds_read_b64 v[42:43], v37 offset:24576
	;; [unrolled: 1-line block ×4, first 2 shown]
	v_and_b32_e32 v50, 6, v0
	v_xor_b32_e32 v35, v35, v50
	v_lshlrev_b32_e32 v35, 2, v35
	v_and_b32_e32 v51, 1, v0
	v_xor_b32_e32 v52, 0x440, v35
	v_cmp_eq_u32_e32 vcc, 0, v51
	s_mov_b32 s0, 0x1000504
	s_waitcnt vmcnt(0)
	v_perm_b32 v51, v18, v22, s0
	v_cndmask_b32_e32 v35, v52, v35, vcc
	v_lshl_or_b32 v35, v50, 10, v35
	v_perm_b32 v50, v10, v14, s0
	ds_write2st64_b32 v35, v50, v51 offset1:32
	v_xor_b32_e32 v50, 8, v35
	s_mov_b32 s1, 0x3020706
	v_perm_b32 v10, v10, v14, s1
	v_perm_b32 v14, v18, v22, s1
	v_add_u32_e32 v18, 0x80, v50
	ds_write2st64_b32 v18, v10, v14 offset1:32
	v_xor_b32_e32 v10, 16, v35
	v_perm_b32 v14, v11, v15, s0
	v_perm_b32 v18, v19, v23, s0
	ds_write2st64_b32 v10, v14, v18 offset0:1 offset1:33
	v_xor_b32_e32 v10, 24, v35
	v_perm_b32 v11, v11, v15, s1
	v_perm_b32 v14, v19, v23, s1
	v_add_u32_e32 v10, 0x80, v10
	ds_write2st64_b32 v10, v11, v14 offset0:1 offset1:33
	v_xor_b32_e32 v10, 32, v35
	v_perm_b32 v11, v12, v16, s0
	v_perm_b32 v14, v20, v24, s0
	ds_write2st64_b32 v10, v11, v14 offset0:2 offset1:34
	v_xor_b32_e32 v10, 40, v35
	v_perm_b32 v11, v12, v16, s1
	v_perm_b32 v12, v20, v24, s1
	v_add_u32_e32 v10, 0x80, v10
	ds_write2st64_b32 v10, v11, v12 offset0:2 offset1:34
	v_xor_b32_e32 v10, 48, v35
	v_perm_b32 v11, v13, v17, s0
	v_perm_b32 v12, v21, v25, s0
	ds_write2st64_b32 v10, v11, v12 offset0:3 offset1:35
	v_xor_b32_e32 v10, 56, v35
	v_and_or_b32 v16, v48, 12, v47
	v_perm_b32 v11, v13, v17, s1
	v_perm_b32 v12, v21, v25, s1
	v_add_u32_e32 v10, 0x80, v10
	v_cmp_gt_i32_e32 vcc, s43, v16
	v_mov_b32_e32 v17, 0
	v_mov_b32_e32 v21, 0
	ds_write2st64_b32 v10, v11, v12 offset0:3 offset1:35
	s_and_saveexec_b64 s[0:1], vcc
	s_cbranch_execz .LBB766_62
; %bb.61:
	v_add_u32_e32 v10, s42, v16
	v_ashrrev_i32_e32 v11, 31, v10
	v_mul_lo_u32 v12, v11, s30
	v_mul_lo_u32 v13, v10, s31
	v_mad_u64_u32 v[10:11], s[2:3], v10, s30, 0
	v_add3_u32 v11, v11, v13, v12
	v_lshl_add_u64 v[10:11], v[10:11], 2, s[10:11]
	global_load_dword v10, v[10:11], off
	s_waitcnt vmcnt(0)
	v_sub_f32_e32 v10, s12, v10
	v_mul_f32_e32 v10, 0x3fb8aa3b, v10
	v_exp_f32_e32 v21, v10
.LBB766_62:
	s_or_b64 exec, exec, s[0:1]
	v_or_b32_e32 v19, 1, v16
	v_cmp_gt_i32_e64 s[0:1], s43, v19
	s_and_saveexec_b64 s[2:3], s[0:1]
	s_cbranch_execz .LBB766_64
; %bb.63:
	v_add_u32_e32 v10, s42, v19
	v_ashrrev_i32_e32 v11, 31, v10
	v_mul_lo_u32 v12, v11, s30
	v_mul_lo_u32 v13, v10, s31
	v_mad_u64_u32 v[10:11], s[4:5], v10, s30, 0
	v_add3_u32 v11, v11, v13, v12
	v_lshl_add_u64 v[10:11], v[10:11], 2, s[10:11]
	global_load_dword v10, v[10:11], off
	s_waitcnt vmcnt(0)
	v_sub_f32_e32 v10, s12, v10
	v_mul_f32_e32 v10, 0x3fb8aa3b, v10
	v_exp_f32_e32 v17, v10
.LBB766_64:
	s_or_b64 exec, exec, s[2:3]
	v_or_b32_e32 v20, 2, v16
	v_cmp_gt_i32_e64 s[2:3], s43, v20
	v_mov_b32_e32 v18, 0
	v_mov_b32_e32 v23, 0
	s_and_saveexec_b64 s[4:5], s[2:3]
	s_cbranch_execz .LBB766_66
; %bb.65:
	v_add_u32_e32 v10, s42, v20
	v_ashrrev_i32_e32 v11, 31, v10
	v_mul_lo_u32 v12, v11, s30
	v_mul_lo_u32 v13, v10, s31
	v_mad_u64_u32 v[10:11], s[6:7], v10, s30, 0
	v_add3_u32 v11, v11, v13, v12
	v_lshl_add_u64 v[10:11], v[10:11], 2, s[10:11]
	global_load_dword v10, v[10:11], off
	s_waitcnt vmcnt(0)
	v_sub_f32_e32 v10, s12, v10
	v_mul_f32_e32 v10, 0x3fb8aa3b, v10
	v_exp_f32_e32 v23, v10
.LBB766_66:
	s_or_b64 exec, exec, s[4:5]
	v_or_b32_e32 v22, 3, v16
	v_cmp_gt_i32_e64 s[4:5], s43, v22
	s_and_saveexec_b64 s[6:7], s[4:5]
	s_cbranch_execz .LBB766_68
; %bb.67:
	v_add_u32_e32 v10, s42, v22
	v_ashrrev_i32_e32 v11, 31, v10
	v_mul_lo_u32 v12, v11, s30
	v_mul_lo_u32 v13, v10, s31
	v_mad_u64_u32 v[10:11], s[14:15], v10, s30, 0
	v_add3_u32 v11, v11, v13, v12
	v_lshl_add_u64 v[10:11], v[10:11], 2, s[10:11]
	global_load_dword v10, v[10:11], off
	s_waitcnt vmcnt(0)
	v_sub_f32_e32 v10, s12, v10
	v_mul_f32_e32 v10, 0x3fb8aa3b, v10
	v_exp_f32_e32 v18, v10
.LBB766_68:
	s_or_b64 exec, exec, s[6:7]
	s_waitcnt lgkmcnt(11)
	v_mfma_f32_16x16x16_bf16 a[0:3], v[40:41], v[30:31], a[0:3]
	s_add_u32 s6, s8, s26
	v_ashrrev_i32_e32 v35, 31, v34
	s_addc_u32 s7, s9, s27
	s_waitcnt lgkmcnt(10)
	v_mfma_f32_16x16x16_bf16 a[0:3], v[42:43], v[32:33], a[0:3]
	v_mov_b32_e32 v24, 0
	v_lshl_add_u64 v[14:15], v[34:35], 1, s[6:7]
	v_mov_b32_e32 v25, 0
	s_waitcnt lgkmcnt(9)
	v_mfma_f32_16x16x16_bf16 a[0:3], v[38:39], v[26:27], a[0:3]
	s_waitcnt lgkmcnt(8)
	v_mfma_f32_16x16x16_bf16 a[0:3], v[36:37], v[28:29], a[0:3]
	s_nop 6
	v_accvgpr_read_b32 v13, a3
	v_accvgpr_read_b32 v12, a2
	;; [unrolled: 1-line block ×4, first 2 shown]
	s_and_saveexec_b64 s[6:7], vcc
	s_cbranch_execz .LBB766_70
; %bb.69:
	v_lshlrev_b32_e32 v26, 8, v16
	v_mov_b32_e32 v27, 0
	v_lshl_add_u64 v[26:27], v[14:15], 0, v[26:27]
	global_load_ushort v25, v[26:27], off
	s_waitcnt vmcnt(0)
	v_lshlrev_b32_e32 v25, 16, v25
	v_sub_f32_e32 v10, v25, v10
	v_mul_f32_e32 v10, v21, v10
	v_lshrrev_b32_e32 v25, 16, v10
.LBB766_70:
	s_or_b64 exec, exec, s[6:7]
	s_and_saveexec_b64 s[6:7], s[0:1]
	s_cbranch_execz .LBB766_72
; %bb.71:
	v_lshlrev_b32_e32 v26, 8, v19
	v_mov_b32_e32 v27, 0
	v_lshl_add_u64 v[26:27], v[14:15], 0, v[26:27]
	global_load_ushort v10, v[26:27], off
	s_waitcnt vmcnt(0)
	v_lshlrev_b32_e32 v10, 16, v10
	v_sub_f32_e32 v10, v10, v11
	v_mul_f32_e32 v10, v17, v10
	v_lshrrev_b32_e32 v24, 16, v10
.LBB766_72:
	s_or_b64 exec, exec, s[6:7]
	v_mov_b32_e32 v11, 0
	v_mov_b32_e32 v17, 0
	s_and_saveexec_b64 s[0:1], s[2:3]
	s_cbranch_execz .LBB766_74
; %bb.73:
	v_lshlrev_b32_e32 v20, 8, v20
	v_mov_b32_e32 v21, 0
	v_lshl_add_u64 v[20:21], v[14:15], 0, v[20:21]
	global_load_ushort v10, v[20:21], off
	s_waitcnt vmcnt(0)
	v_lshlrev_b32_e32 v10, 16, v10
	v_sub_f32_e32 v10, v10, v12
	v_mul_f32_e32 v10, v23, v10
	v_lshrrev_b32_e32 v17, 16, v10
.LBB766_74:
	s_or_b64 exec, exec, s[0:1]
	v_or_b32_e32 v10, 0x9800, v49
	s_and_saveexec_b64 s[0:1], s[4:5]
	s_cbranch_execz .LBB766_76
; %bb.75:
	v_lshlrev_b32_e32 v20, 8, v22
	v_mov_b32_e32 v21, 0
	v_lshl_add_u64 v[14:15], v[14:15], 0, v[20:21]
	global_load_ushort v11, v[14:15], off
	s_waitcnt vmcnt(0)
	v_lshlrev_b32_e32 v11, 16, v11
	v_sub_f32_e32 v11, v11, v13
	v_mul_f32_e32 v11, v18, v11
	v_lshrrev_b32_e32 v11, 16, v11
.LBB766_76:
	s_or_b64 exec, exec, s[0:1]
	s_mov_b32 s0, 0x5040100
	v_perm_b32 v13, v11, v17, s0
	v_lshlrev_b32_e32 v11, 1, v44
	v_perm_b32 v12, v24, v25, s0
	v_lshl_or_b32 v11, v16, 5, v11
	s_movk_i32 s0, 0xff
	ds_write_b64 v11, v[12:13] offset:38912
	v_and_b32_e32 v11, 7, v0
	v_and_b32_e32 v12, 8, v0
	v_cmp_lt_u32_e32 vcc, s0, v0
	v_lshrrev_b32_e32 v0, 1, v0
	v_lshlrev_b32_e32 v22, 3, v11
	v_lshlrev_b32_e32 v23, 7, v11
	v_cndmask_b32_e64 v11, 0, 1, vcc
	v_lshlrev_b32_e32 v25, 3, v46
	v_and_b32_e32 v0, 24, v0
	v_lshlrev_b32_e32 v24, 13, v11
	v_xor_b32_e32 v11, v25, v0
	v_or_b32_e32 v13, 0x440, v11
	v_cmp_eq_u32_e32 vcc, 0, v12
	s_waitcnt lgkmcnt(0)
	s_barrier
	v_cndmask_b32_e32 v11, v13, v11, vcc
	v_or_b32_e32 v11, v11, v45
	v_xad_u32 v26, v11, v22, v23
	v_add_u32_e32 v11, v24, v26
	ds_read_b64 v[20:21], v11
	ds_read2st64_b64 v[12:15], v10 offset1:1
	ds_read2st64_b64 v[16:19], v10 offset0:2 offset1:3
	v_or_b32_e32 v10, 32, v0
	v_xor_b32_e32 v10, v25, v10
	v_or_b32_e32 v11, 0x440, v10
	v_cndmask_b32_e32 v10, v11, v10, vcc
	v_or_b32_e32 v10, v10, v45
	v_xad_u32 v27, v10, v22, v23
	v_add_u32_e32 v10, v24, v27
	ds_read_b64 v[10:11], v10
	s_waitcnt lgkmcnt(2)
	v_mfma_f32_16x16x16_bf16 a[0:3], v[20:21], v[12:13], 0
	s_waitcnt lgkmcnt(0)
	v_mfma_f32_16x16x16_bf16 a[0:3], v[10:11], v[14:15], a[0:3]
	v_or_b32_e32 v10, 64, v0
	v_xor_b32_e32 v10, v25, v10
	v_xor_b32_e32 v11, 0x440, v10
	v_cndmask_b32_e32 v10, v11, v10, vcc
	v_or_b32_e32 v10, v10, v45
	v_xad_u32 v28, v10, v22, v23
	v_add_u32_e32 v10, v24, v28
	ds_read_b64 v[10:11], v10
	v_or_b32_e32 v0, 0x60, v0
	v_xor_b32_e32 v0, v25, v0
	v_xor_b32_e32 v20, 0x440, v0
	v_cndmask_b32_e32 v0, v20, v0, vcc
	v_or_b32_e32 v0, v0, v45
	v_xad_u32 v0, v0, v22, v23
	v_add_u32_e32 v20, v24, v0
	ds_read_b64 v[20:21], v20
	s_waitcnt lgkmcnt(1)
	v_mfma_f32_16x16x16_bf16 a[0:3], v[10:11], v[16:17], a[0:3]
	ds_read_b64 v[10:11], v26 offset:8192
	ds_read_b64 v[22:23], v27 offset:8192
	v_mov_b32_e32 v24, 0x3fb8aa3b
	s_waitcnt lgkmcnt(2)
	v_mfma_f32_16x16x16_bf16 a[0:3], v[20:21], v[18:19], a[0:3]
	v_mul_f32_e32 v20, s12, v24
	v_exp_f32_e32 v24, v20
	ds_read_b64 v[20:21], v28 offset:8192
	s_waitcnt lgkmcnt(2)
	v_mfma_f32_16x16x16_bf16 a[4:7], v[10:11], v[12:13], 0
	s_nop 1
	v_accvgpr_read_b32 v10, a0
	v_fma_f32 v12, v2, v24, v10
	ds_read_b64 v[10:11], v0 offset:8192
	s_waitcnt lgkmcnt(2)
	v_mfma_f32_16x16x16_bf16 a[4:7], v[22:23], v[14:15], a[4:7]
	v_accvgpr_read_b32 v0, a1
	v_fma_f32 v13, v3, v24, v0
	v_accvgpr_read_b32 v0, a2
	s_waitcnt lgkmcnt(1)
	v_mfma_f32_16x16x16_bf16 a[4:7], v[20:21], v[16:17], a[4:7]
	v_accvgpr_read_b32 v15, a3
	v_fma_f32 v14, v4, v24, v0
	v_fmac_f32_e32 v15, v5, v24
	s_waitcnt lgkmcnt(0)
	v_mfma_f32_16x16x16_bf16 a[0:3], v[10:11], v[18:19], a[4:7]
	v_mov_b32_e32 v10, v34
	s_nop 5
	v_accvgpr_read_b32 v0, a0
	v_fma_f32 v16, v6, v24, v0
	v_accvgpr_read_b32 v0, a1
	v_fma_f32 v17, v7, v24, v0
	v_accvgpr_read_b32 v0, a2
	v_accvgpr_read_b32 v19, a3
	v_fma_f32 v18, v8, v24, v0
	v_fmac_f32_e32 v19, v9, v24
	v_mov_b64_e32 v[2:3], v[12:13]
	v_mov_b64_e32 v[4:5], v[14:15]
	v_mov_b64_e32 v[6:7], v[16:17]
	v_mov_b64_e32 v[8:9], v[18:19]
.LBB766_77:
	s_lshl_b64 s[0:1], s[24:25], 16
	s_waitcnt lgkmcnt(0)
	s_add_u32 s0, s28, s0
	v_lshlrev_b32_e32 v10, 7, v10
	s_addc_u32 s1, s29, s1
	v_ashrrev_i32_e32 v11, 31, v10
	v_lshl_add_u64 v[10:11], v[10:11], 2, s[0:1]
	v_lshlrev_b32_e32 v0, 2, v1
	v_mov_b32_e32 v1, 0
	v_lshl_add_u64 v[0:1], v[10:11], 0, v[0:1]
	global_store_dwordx4 v[0:1], v[2:5], off
	global_store_dwordx4 v[0:1], v[6:9], off offset:256
	s_endpgm
	.section	.rodata,"a",@progbits
	.p2align	6, 0x0
	.amdhsa_kernel _ZN12_GLOBAL__N_139chunk_gated_delta_rule_fwd_h_hip_kernelILi16ELb0ELb1ELb0ELb0ELb0ELb0ELb0ELb0EEEvPK12hip_bfloat16S3_S3_PKfS5_PKvPS1_S8_PvPKiSB_iiiiilll
		.amdhsa_group_segment_fixed_size 40960
		.amdhsa_private_segment_fixed_size 0
		.amdhsa_kernarg_size 136
		.amdhsa_user_sgpr_count 2
		.amdhsa_user_sgpr_dispatch_ptr 0
		.amdhsa_user_sgpr_queue_ptr 0
		.amdhsa_user_sgpr_kernarg_segment_ptr 1
		.amdhsa_user_sgpr_dispatch_id 0
		.amdhsa_user_sgpr_kernarg_preload_length 0
		.amdhsa_user_sgpr_kernarg_preload_offset 0
		.amdhsa_user_sgpr_private_segment_size 0
		.amdhsa_uses_dynamic_stack 0
		.amdhsa_enable_private_segment 0
		.amdhsa_system_sgpr_workgroup_id_x 1
		.amdhsa_system_sgpr_workgroup_id_y 1
		.amdhsa_system_sgpr_workgroup_id_z 0
		.amdhsa_system_sgpr_workgroup_info 0
		.amdhsa_system_vgpr_workitem_id 0
		.amdhsa_next_free_vgpr 116
		.amdhsa_next_free_sgpr 63
		.amdhsa_accum_offset 108
		.amdhsa_reserve_vcc 1
		.amdhsa_float_round_mode_32 0
		.amdhsa_float_round_mode_16_64 0
		.amdhsa_float_denorm_mode_32 3
		.amdhsa_float_denorm_mode_16_64 3
		.amdhsa_dx10_clamp 1
		.amdhsa_ieee_mode 1
		.amdhsa_fp16_overflow 0
		.amdhsa_tg_split 0
		.amdhsa_exception_fp_ieee_invalid_op 0
		.amdhsa_exception_fp_denorm_src 0
		.amdhsa_exception_fp_ieee_div_zero 0
		.amdhsa_exception_fp_ieee_overflow 0
		.amdhsa_exception_fp_ieee_underflow 0
		.amdhsa_exception_fp_ieee_inexact 0
		.amdhsa_exception_int_div_zero 0
	.end_amdhsa_kernel
	.section	.text._ZN12_GLOBAL__N_139chunk_gated_delta_rule_fwd_h_hip_kernelILi16ELb0ELb1ELb0ELb0ELb0ELb0ELb0ELb0EEEvPK12hip_bfloat16S3_S3_PKfS5_PKvPS1_S8_PvPKiSB_iiiiilll,"axG",@progbits,_ZN12_GLOBAL__N_139chunk_gated_delta_rule_fwd_h_hip_kernelILi16ELb0ELb1ELb0ELb0ELb0ELb0ELb0ELb0EEEvPK12hip_bfloat16S3_S3_PKfS5_PKvPS1_S8_PvPKiSB_iiiiilll,comdat
.Lfunc_end766:
	.size	_ZN12_GLOBAL__N_139chunk_gated_delta_rule_fwd_h_hip_kernelILi16ELb0ELb1ELb0ELb0ELb0ELb0ELb0ELb0EEEvPK12hip_bfloat16S3_S3_PKfS5_PKvPS1_S8_PvPKiSB_iiiiilll, .Lfunc_end766-_ZN12_GLOBAL__N_139chunk_gated_delta_rule_fwd_h_hip_kernelILi16ELb0ELb1ELb0ELb0ELb0ELb0ELb0ELb0EEEvPK12hip_bfloat16S3_S3_PKfS5_PKvPS1_S8_PvPKiSB_iiiiilll
                                        ; -- End function
	.section	.AMDGPU.csdata,"",@progbits
; Kernel info:
; codeLenInByte = 7868
; NumSgprs: 69
; NumVgprs: 106
; NumAgprs: 8
; TotalNumVgprs: 116
; ScratchSize: 0
; MemoryBound: 0
; FloatMode: 240
; IeeeMode: 1
; LDSByteSize: 40960 bytes/workgroup (compile time only)
; SGPRBlocks: 8
; VGPRBlocks: 14
; NumSGPRsForWavesPerEU: 69
; NumVGPRsForWavesPerEU: 116
; AccumOffset: 108
; Occupancy: 1
; WaveLimiterHint : 1
; COMPUTE_PGM_RSRC2:SCRATCH_EN: 0
; COMPUTE_PGM_RSRC2:USER_SGPR: 2
; COMPUTE_PGM_RSRC2:TRAP_HANDLER: 0
; COMPUTE_PGM_RSRC2:TGID_X_EN: 1
; COMPUTE_PGM_RSRC2:TGID_Y_EN: 1
; COMPUTE_PGM_RSRC2:TGID_Z_EN: 0
; COMPUTE_PGM_RSRC2:TIDIG_COMP_CNT: 0
; COMPUTE_PGM_RSRC3_GFX90A:ACCUM_OFFSET: 26
; COMPUTE_PGM_RSRC3_GFX90A:TG_SPLIT: 0
	.section	.text._ZN12_GLOBAL__N_139chunk_gated_delta_rule_fwd_h_hip_kernelILi16ELb0ELb0ELb1ELb0ELb0ELb0ELb0ELb0EEEvPK12hip_bfloat16S3_S3_PKfS5_PKvPS1_S8_PvPKiSB_iiiiilll,"axG",@progbits,_ZN12_GLOBAL__N_139chunk_gated_delta_rule_fwd_h_hip_kernelILi16ELb0ELb0ELb1ELb0ELb0ELb0ELb0ELb0EEEvPK12hip_bfloat16S3_S3_PKfS5_PKvPS1_S8_PvPKiSB_iiiiilll,comdat
	.globl	_ZN12_GLOBAL__N_139chunk_gated_delta_rule_fwd_h_hip_kernelILi16ELb0ELb0ELb1ELb0ELb0ELb0ELb0ELb0EEEvPK12hip_bfloat16S3_S3_PKfS5_PKvPS1_S8_PvPKiSB_iiiiilll ; -- Begin function _ZN12_GLOBAL__N_139chunk_gated_delta_rule_fwd_h_hip_kernelILi16ELb0ELb0ELb1ELb0ELb0ELb0ELb0ELb0EEEvPK12hip_bfloat16S3_S3_PKfS5_PKvPS1_S8_PvPKiSB_iiiiilll
	.p2align	8
	.type	_ZN12_GLOBAL__N_139chunk_gated_delta_rule_fwd_h_hip_kernelILi16ELb0ELb0ELb1ELb0ELb0ELb0ELb0ELb0EEEvPK12hip_bfloat16S3_S3_PKfS5_PKvPS1_S8_PvPKiSB_iiiiilll,@function
_ZN12_GLOBAL__N_139chunk_gated_delta_rule_fwd_h_hip_kernelILi16ELb0ELb0ELb1ELb0ELb0ELb0ELb0ELb0EEEvPK12hip_bfloat16S3_S3_PKfS5_PKvPS1_S8_PvPKiSB_iiiiilll: ; @_ZN12_GLOBAL__N_139chunk_gated_delta_rule_fwd_h_hip_kernelILi16ELb0ELb0ELb1ELb0ELb0ELb0ELb0ELb0EEEvPK12hip_bfloat16S3_S3_PKfS5_PKvPS1_S8_PvPKiSB_iiiiilll
; %bb.0:
	s_load_dwordx4 s[16:19], s[0:1], 0x5c
	s_load_dwordx4 s[12:15], s[0:1], 0x30
	s_abs_i32 s22, s3
	s_ashr_i32 s21, s3, 31
	s_load_dwordx8 s[4:11], s[0:1], 0x0
	s_waitcnt lgkmcnt(0)
	s_abs_i32 s20, s17
	v_cvt_f32_u32_e32 v1, s20
	s_sub_i32 s24, 0, s20
	s_ashr_i32 s23, s17, 31
	s_xor_b32 s21, s21, s23
	v_rcp_iflag_f32_e32 v1, v1
	v_lshrrev_b32_e32 v44, 6, v0
	v_bfe_u32 v45, v0, 4, 2
	v_lshlrev_b32_e32 v42, 4, v44
	v_mul_f32_e32 v1, 0x4f7ffffe, v1
	v_cvt_u32_f32_e32 v1, v1
	v_lshlrev_b32_e32 v2, 2, v45
	v_and_b32_e32 v43, 63, v0
	v_or_b32_e32 v48, v2, v42
	v_readfirstlane_b32 s25, v1
	s_mul_i32 s24, s24, s25
	s_mul_hi_u32 s24, s25, s24
	s_add_i32 s25, s25, s24
	s_mul_hi_u32 s24, s22, s25
	s_mul_i32 s25, s24, s20
	s_sub_i32 s22, s22, s25
	s_add_i32 s26, s24, 1
	s_sub_i32 s25, s22, s20
	s_cmp_ge_u32 s22, s20
	s_cselect_b32 s24, s26, s24
	s_cselect_b32 s22, s25, s22
	s_add_i32 s25, s24, 1
	s_cmp_ge_u32 s22, s20
	s_cselect_b32 s22, s25, s24
	s_xor_b32 s22, s22, s21
	s_sub_i32 s47, s22, s21
	s_abs_i32 s21, s18
	v_cvt_f32_u32_e32 v1, s21
	s_add_i32 s24, s16, 63
	s_mul_i32 s45, s47, s17
	s_sub_i32 s33, s3, s45
	v_rcp_iflag_f32_e32 v1, v1
	s_ashr_i32 s3, s24, 31
	s_ashr_i32 s46, s16, 31
	s_lshr_b32 s3, s3, 26
	v_mul_f32_e32 v1, 0x4f7ffffe, v1
	v_cvt_u32_f32_e32 v1, v1
	s_lshr_b32 s22, s46, 26
	s_add_i32 s24, s24, s3
	s_add_i32 s22, s16, s22
	s_ashr_i32 s49, s18, 31
	s_ashr_i32 s3, s24, 6
	;; [unrolled: 1-line block ×3, first 2 shown]
	s_xor_b32 s22, s23, s49
	s_sub_i32 s23, 0, s21
	v_readfirstlane_b32 s24, v1
	s_mul_i32 s23, s23, s24
	s_mul_hi_u32 s23, s24, s23
	s_add_i32 s24, s24, s23
	s_mul_hi_u32 s23, s20, s24
	s_mul_i32 s24, s23, s21
	s_sub_i32 s20, s20, s24
	s_add_i32 s24, s23, 1
	s_sub_i32 s25, s20, s21
	s_cmp_ge_u32 s20, s21
	s_cselect_b32 s23, s24, s23
	s_cselect_b32 s20, s25, s20
	s_add_i32 s24, s23, 1
	s_cmp_ge_u32 s20, s21
	s_cselect_b32 s20, s24, s23
	s_xor_b32 s20, s20, s22
	s_sub_i32 s24, s20, s22
	s_abs_i32 s25, s24
	v_cvt_f32_u32_e32 v1, s25
	s_load_dwordx2 s[34:35], s[0:1], 0x80
	s_load_dwordx4 s[20:23], s[0:1], 0x70
	s_xor_b32 s0, s33, s24
	s_sub_i32 s24, 0, s25
	v_rcp_iflag_f32_e32 v1, v1
	s_abs_i32 s1, s33
	s_ashr_i32 s0, s0, 31
	s_mul_i32 s50, s47, s3
	v_mul_f32_e32 v1, 0x4f7ffffe, v1
	v_cvt_u32_f32_e32 v1, v1
	v_or_b32_e32 v49, 64, v48
	v_mov_b32_e32 v3, 0
	s_mul_hi_i32 s51, s47, s17
	v_readfirstlane_b32 s26, v1
	s_mul_i32 s24, s24, s26
	s_mul_hi_u32 s24, s26, s24
	s_add_i32 s26, s26, s24
	s_mul_hi_u32 s24, s1, s26
	s_mul_i32 s26, s24, s25
	s_sub_i32 s1, s1, s26
	s_add_i32 s26, s24, 1
	s_sub_i32 s27, s1, s25
	s_cmp_ge_u32 s1, s25
	s_cselect_b32 s24, s26, s24
	s_cselect_b32 s1, s27, s1
	s_add_i32 s26, s24, 1
	s_cmp_ge_u32 s1, s25
	s_cselect_b32 s1, s26, s24
	s_xor_b32 s1, s1, s0
	s_sub_i32 s52, s1, s0
	s_lshl_b32 s36, s2, 4
	v_and_b32_e32 v1, 15, v0
	s_cmp_lt_i32 s16, 64
	v_lshrrev_b32_e32 v47, 3, v43
	v_lshlrev_b32_e32 v46, 3, v0
	s_waitcnt lgkmcnt(0)
	s_mul_i32 s21, s47, s21
	s_mul_hi_u32 s44, s47, s20
	s_mul_i32 s38, s47, s20
	v_mov_b32_e32 v61, 0
	v_mov_b32_e32 v34, 0
	;; [unrolled: 1-line block ×7, first 2 shown]
	s_cbranch_scc1 .LBB767_18
; %bb.1:
	s_ashr_i32 s28, s47, 31
	s_ashr_i32 s54, s33, 31
	s_add_u32 s0, s45, s33
	s_addc_u32 s1, s51, s54
	s_mul_i32 s1, s16, s1
	s_mul_hi_u32 s2, s16, s0
	s_add_i32 s3, s2, s1
	s_mul_i32 s2, s16, s0
	s_lshl_b64 s[0:1], s[2:3], 8
	v_and_b32_e32 v51, 56, v46
	s_add_u32 s24, s6, s0
	v_lshl_or_b32 v50, v44, 3, v47
	v_lshlrev_b32_e32 v3, 1, v51
	s_addc_u32 s0, s7, s1
	v_lshl_or_b32 v52, v50, 8, v3
	s_and_b32 s25, s0, 0xffff
	s_mov_b32 s27, 0x20000
	s_movk_i32 s26, 0x4000
	s_movk_i32 s0, 0x80
	v_or_b32_e32 v53, 0x2000, v52
	buffer_load_dwordx4 v[4:7], v52, s[24:27], 0 offen
	buffer_load_dwordx4 v[8:11], v52, s[24:27], s0 offen
	;; [unrolled: 1-line block ×4, first 2 shown]
	v_lshlrev_b32_e32 v20, 3, v50
	v_and_or_b32 v22, v0, 7, v20
	v_and_b32_e32 v20, 0x78, v20
	v_lshlrev_b32_e32 v22, 4, v22
	v_xor_b32_e32 v54, v22, v20
	v_mul_lo_u32 v21, v50, s19
	v_or_b32_e32 v55, 0x1000, v54
	s_cmpk_eq_i32 s19, 0x80
	s_mov_b32 s53, s18
	v_xor_b32_e32 v20, 8, v54
	v_xor_b32_e32 v22, 8, v55
	s_cselect_b64 s[0:1], -1, 0
	s_cmpk_lg_i32 s19, 0x80
	s_waitcnt vmcnt(3)
	ds_write_b64 v54, v[4:5] offset:16384
	ds_write_b64 v20, v[6:7] offset:16384
	s_waitcnt vmcnt(2)
	ds_write_b64 v54, v[8:9] offset:24576
	ds_write_b64 v20, v[10:11] offset:24576
	;; [unrolled: 3-line block ×4, first 2 shown]
	v_lshl_add_u32 v4, v21, 1, v51
	s_cbranch_scc0 .LBB767_3
; %bb.2:
	v_lshlrev_b32_e32 v6, 1, v4
	v_add_lshl_u32 v5, v4, s19, 1
	s_lshl_b32 s26, s19, 7
	v_lshl_or_b32 v3, v50, 9, v3
	s_cbranch_execz .LBB767_4
	s_branch .LBB767_5
.LBB767_3:
                                        ; implicit-def: $vgpr5
                                        ; implicit-def: $vgpr6
                                        ; implicit-def: $sgpr26
	v_lshl_or_b32 v3, v50, 9, v3
.LBB767_4:
	v_or_b32_e32 v5, 0x100, v3
	s_movk_i32 s26, 0x4000
	v_mov_b32_e32 v6, v3
.LBB767_5:
	s_mul_hi_u32 s24, s18, s16
	s_mul_i32 s25, s49, s16
	s_add_i32 s24, s24, s25
	s_mul_i32 s25, s18, s16
	s_mul_i32 s27, s25, s28
	s_mul_hi_u32 s29, s25, s47
	s_add_i32 s27, s29, s27
	s_mul_i32 s24, s24, s47
	s_add_i32 s27, s27, s24
	s_mul_i32 s25, s25, s47
	s_ashr_i32 s55, s52, 31
	s_add_u32 s24, s25, s52
	s_addc_u32 s25, s27, s55
	s_lshl_b64 s[24:25], s[24:25], 8
	s_add_u32 s24, s4, s24
	s_addc_u32 s25, s5, s25
	s_and_b32 s25, s25, 0xffff
	s_mov_b32 s27, 0x20000
	s_movk_i32 s56, 0x80
	buffer_load_dwordx4 v[8:11], v6, s[24:27], 0 offen
	buffer_load_dwordx4 v[12:15], v6, s[24:27], s56 offen
	;; [unrolled: 1-line block ×4, first 2 shown]
	v_and_b32_e32 v5, 6, v0
	s_mul_i32 s24, s28, s16
	s_mul_hi_u32 s25, s47, s16
	v_lshlrev_b32_e32 v7, 2, v1
	v_lshlrev_b32_e32 v24, 3, v1
	v_xor_b32_e32 v26, v50, v5
	v_and_b32_e32 v6, 1, v0
	s_mul_i32 s28, s28, s20
	v_lshl_or_b32 v24, v48, 5, v24
	v_xor_b32_e32 v27, v48, v7
	v_lshlrev_b32_e32 v26, 2, v26
	s_add_i32 s61, s25, s24
	s_add_i32 s24, s44, s21
	v_or_b32_e32 v56, 0x9000, v24
	v_or_b32_e32 v57, 0x9800, v24
	v_lshlrev_b32_e32 v24, 1, v27
	v_xor_b32_e32 v27, 0x440, v26
	v_cmp_eq_u32_e32 vcc, 0, v6
	s_add_i32 s39, s24, s28
	s_mul_i32 s24, s33, s23
	s_mul_hi_u32 s25, s33, s22
	v_cndmask_b32_e32 v6, v27, v26, vcc
	s_add_i32 s24, s25, s24
	s_mul_i32 s25, s54, s22
	s_mov_b32 s58, 0x1000504
	v_lshlrev_b32_e32 v25, 8, v1
	s_mov_b32 s26, 0x8000
	v_xor_b32_e32 v7, v49, v7
	v_lshl_or_b32 v5, v5, 10, v6
	s_add_i32 s25, s24, s25
	s_lshl_b64 s[28:29], s[38:39], 2
	s_mov_b32 s59, 0x3020706
	v_lshlrev_b32_e32 v7, 1, v7
	v_or3_b32 v58, v24, v25, s26
	v_xor_b32_e32 v6, 8, v5
	v_xor_b32_e32 v24, 24, v5
	v_xor_b32_e32 v26, 40, v5
	v_xor_b32_e32 v28, 56, v5
	s_mul_i32 s24, s33, s22
	s_add_u32 s28, s10, s28
	v_or3_b32 v59, v7, v25, s26
	v_xor_b32_e32 v7, 16, v5
	v_xor_b32_e32 v25, 32, v5
	;; [unrolled: 1-line block ×3, first 2 shown]
	v_add_u32_e32 v6, 0x80, v6
	v_add_u32_e32 v24, 0x80, v24
	;; [unrolled: 1-line block ×4, first 2 shown]
	s_addc_u32 s29, s11, s29
	s_lshl_b64 s[24:25], s[24:25], 2
	s_add_u32 s40, s28, s24
	s_movk_i32 s24, 0xf8
	s_addc_u32 s41, s29, s25
	s_ashr_i32 s37, s36, 31
	s_lshl_b32 s30, s19, 7
	v_mov_b32_e32 v35, 0
	s_mov_b32 s57, 0
	s_mul_i32 s60, s47, s16
	v_add_u32_e32 v78, v42, v2
	v_mov_b32_e32 v79, 0x3fb8aa3b
	s_mov_b32 s62, 0
	v_mov_b32_e32 v62, v35
	v_mov_b32_e32 v63, v35
	;; [unrolled: 1-line block ×6, first 2 shown]
	s_waitcnt vmcnt(1)
	v_perm_b32 v29, v8, v16, s58
	s_waitcnt vmcnt(0)
	v_perm_b32 v30, v12, v20, s58
	v_perm_b32 v8, v8, v16, s59
	;; [unrolled: 1-line block ×15, first 2 shown]
	ds_write2st64_b32 v5, v29, v30 offset1:32
	ds_write2st64_b32 v6, v8, v12 offset1:32
	ds_write2st64_b32 v7, v16, v20 offset0:1 offset1:33
	ds_write2st64_b32 v24, v9, v13 offset0:1 offset1:33
	;; [unrolled: 1-line block ×6, first 2 shown]
	v_or_b32_e32 v5, v42, v1
	v_lshlrev_b32_e32 v5, 3, v5
	v_lshrrev_b32_e32 v7, 5, v43
	v_and_or_b32 v7, v5, s24, v7
	v_lshlrev_b32_e32 v7, 4, v7
	v_lshlrev_b32_e32 v10, 11, v44
	v_and_b32_e32 v5, 0x78, v5
	v_or_b32_e32 v12, 32, v7
	v_and_b32_e32 v6, 0x1000, v10
	v_lshrrev_b32_e32 v11, 1, v0
	v_xor_b32_e32 v12, v12, v5
	v_and_b32_e32 v9, 8, v11
	v_or_b32_e32 v12, v12, v6
	v_xor_b32_e32 v8, v7, v5
	v_xor_b32_e32 v66, v12, v9
	v_or_b32_e32 v12, 64, v7
	v_or_b32_e32 v7, 0x60, v7
	v_xor_b32_e32 v12, v12, v5
	v_xor_b32_e32 v5, v7, v5
	v_or_b32_e32 v5, v5, v6
	v_or_b32_e32 v12, v12, v6
	v_xor_b32_e32 v68, v5, v9
	v_lshlrev_b32_e32 v5, 1, v1
	v_xor_b32_e32 v67, v12, v9
	v_lshlrev_b32_e32 v12, 1, v4
	v_add_lshl_u32 v13, v4, s19, 1
	v_lshrrev_b32_e32 v4, 4, v0
	s_lshl_b64 s[24:25], s[36:37], 8
	v_or_b32_e32 v15, 1, v5
	s_add_u32 s24, s12, s24
	v_xor_b32_e32 v5, v4, v5
	v_xor_b32_e32 v15, v15, v4
	s_addc_u32 s25, s13, s25
	v_lshlrev_b32_e32 v5, 3, v5
	v_lshlrev_b32_e32 v34, 8, v4
	;; [unrolled: 1-line block ×3, first 2 shown]
	v_or3_b32 v70, v5, v34, s26
	v_or3_b32 v71, v4, v34, s26
	v_lshl_add_u64 v[4:5], s[24:25], 0, v[34:35]
	v_lshlrev_b32_e32 v34, 4, v1
	s_movk_i32 s24, 0xff
	v_lshlrev_b32_e32 v17, 3, v44
	v_and_b32_e32 v11, 24, v11
	v_lshl_add_u64 v[36:37], v[4:5], 0, v[34:35]
	v_and_b32_e32 v5, 8, v0
	v_cmp_lt_u32_e32 vcc, s24, v0
	v_xor_b32_e32 v18, v17, v11
	v_or_b32_e32 v19, 0x440, v18
	v_cndmask_b32_e64 v16, 0, 1, vcc
	v_cmp_eq_u32_e32 vcc, 0, v5
	v_and_b32_e32 v4, 7, v0
	v_lshlrev_b32_e32 v15, 3, v4
	v_cndmask_b32_e32 v5, v19, v18, vcc
	v_lshlrev_b32_e32 v4, 7, v4
	v_or_b32_e32 v5, v5, v10
	v_xad_u32 v72, v5, v15, v4
	v_or_b32_e32 v5, 32, v11
	v_xor_b32_e32 v5, v17, v5
	v_or_b32_e32 v18, 0x440, v5
	v_cndmask_b32_e32 v5, v18, v5, vcc
	v_or_b32_e32 v5, v5, v10
	v_xad_u32 v73, v5, v15, v4
	v_or_b32_e32 v5, 64, v11
	v_xor_b32_e32 v5, v17, v5
	v_xor_b32_e32 v18, 0x440, v5
	v_cndmask_b32_e32 v5, v18, v5, vcc
	v_or_b32_e32 v5, v5, v10
	v_xad_u32 v74, v5, v15, v4
	v_or_b32_e32 v5, 0x60, v11
	v_xor_b32_e32 v5, v17, v5
	v_or_b32_e32 v8, v8, v6
	v_or_b32_e32 v6, s36, v1
	v_xor_b32_e32 v11, 0x440, v5
	v_xor_b32_e32 v64, v8, v9
	v_and_b32_e32 v8, 0x78, v46
	v_ashrrev_i32_e32 v7, 31, v6
	v_cndmask_b32_e32 v5, v11, v5, vcc
	v_lshl_or_b32 v8, v45, 7, v8
	v_lshlrev_b64 v[6:7], 1, v[6:7]
	v_or_b32_e32 v5, v5, v10
	v_or_b32_e32 v65, 0x9000, v8
	;; [unrolled: 1-line block ×3, first 2 shown]
	v_lshl_add_u64 v[8:9], s[8:9], 0, v[6:7]
	v_lshl_add_u64 v[6:7], s[14:15], 0, v[6:7]
	v_or_b32_e32 v14, 0x100, v3
	v_lshlrev_b32_e32 v16, 13, v16
	v_xad_u32 v75, v5, v15, v4
	v_lshlrev_b32_e32 v34, 8, v48
	v_cndmask_b32_e64 v76, v12, v3, s[0:1]
	v_cndmask_b32_e64 v77, v13, v14, s[0:1]
	v_lshl_add_u64 v[38:39], v[8:9], 0, v[34:35]
	v_lshl_add_u64 v[40:41], v[6:7], 0, v[34:35]
	s_mov_b32 s37, 0x7060302
	s_movk_i32 s26, 0x4000
	v_add_u32_e32 v80, v16, v72
	v_add_u32_e32 v81, v16, v73
	;; [unrolled: 1-line block ×4, first 2 shown]
	v_mov_b32_e32 v34, v35
	s_waitcnt lgkmcnt(0)
	s_barrier
.LBB767_6:                              ; =>This Inner Loop Header: Depth=1
	s_add_i32 s39, s62, 1
	s_cmp_lt_i32 s39, s48
	s_mov_b64 s[28:29], 0
	s_cselect_b64 s[42:43], -1, 0
	s_cmp_ge_i32 s39, s48
	s_mov_b64 s[24:25], 0
	s_cbranch_scc1 .LBB767_8
; %bb.7:                                ;   in Loop: Header=BB767_6 Depth=1
	s_add_i32 s0, s57, 64
	s_add_u32 s0, s2, s0
	s_addc_u32 s1, s3, 0
	s_lshl_b64 s[0:1], s[0:1], 8
	s_add_u32 s24, s6, s0
	s_addc_u32 s25, s7, s1
.LBB767_8:                              ;   in Loop: Header=BB767_6 Depth=1
	v_cndmask_b32_e64 v2, 0, 1, s[42:43]
	v_cmp_ne_u32_e64 s[0:1], 1, v2
	s_andn2_b64 vcc, exec, s[42:43]
	s_cbranch_vccnz .LBB767_10
; %bb.9:                                ;   in Loop: Header=BB767_6 Depth=1
	s_add_i32 s28, s57, 64
	s_add_u32 s28, s60, s28
	s_addc_u32 s29, s61, 0
	s_mul_i32 s31, s28, s49
	s_mul_hi_u32 s42, s28, s53
	s_add_i32 s31, s42, s31
	s_mul_i32 s29, s29, s53
	s_add_i32 s31, s31, s29
	s_mul_i32 s28, s28, s53
	s_add_u32 s28, s28, s52
	s_addc_u32 s29, s31, s55
	s_lshl_b64 s[28:29], s[28:29], 8
	s_add_u32 s28, s4, s28
	s_addc_u32 s29, s5, s29
.LBB767_10:                             ;   in Loop: Header=BB767_6 Depth=1
	v_perm_b32 v3, v85, v63, s37
	v_perm_b32 v2, v62, v35, s37
	;; [unrolled: 1-line block ×4, first 2 shown]
	ds_write_b64 v56, v[2:3]
	ds_write_b64 v57, v[4:5]
	;; [unrolled: 1-line block ×4, first 2 shown]
	s_waitcnt lgkmcnt(0)
	s_barrier
	ds_read_b64 v[10:11], v64 offset:16384
	ds_read_b64 v[12:13], v66 offset:16384
	ds_read2st64_b64 v[2:5], v65 offset1:1
	ds_read2st64_b64 v[6:9], v65 offset0:2 offset1:3
	ds_read_b64 v[14:15], v67 offset:16384
	s_waitcnt lgkmcnt(2)
	v_mfma_f32_16x16x16_bf16 a[0:3], v[10:11], v[2:3], 0
	ds_read_b64 v[2:3], v68 offset:16384
	s_add_i32 s31, s57, 63
	s_mul_i32 s42, s31, s35
	v_mfma_f32_16x16x16_bf16 a[0:3], v[12:13], v[4:5], a[0:3]
	s_mul_hi_u32 s43, s31, s34
	s_add_i32 s43, s43, s42
	s_mul_i32 s42, s31, s34
	s_waitcnt lgkmcnt(1)
	v_mfma_f32_16x16x16_bf16 a[0:3], v[14:15], v[6:7], a[0:3]
	s_lshl_b64 s[42:43], s[42:43], 2
	s_add_u32 s42, s40, s42
	s_addc_u32 s43, s41, s43
	s_waitcnt lgkmcnt(0)
	v_mfma_f32_16x16x16_bf16 a[0:3], v[2:3], v[8:9], a[0:3]
	s_and_b64 vcc, exec, s[0:1]
	v_mov_b32_e32 v88, 0
	v_mov_b32_e32 v87, 0
	;; [unrolled: 1-line block ×19, first 2 shown]
	s_cbranch_vccnz .LBB767_12
; %bb.11:                               ;   in Loop: Header=BB767_6 Depth=1
	s_and_b32 s25, s25, 0xffff
	buffer_load_dwordx4 v[14:17], v52, s[24:27], 0 offen
	buffer_load_dwordx4 v[10:13], v52, s[24:27], s56 offen
	;; [unrolled: 1-line block ×4, first 2 shown]
	v_mov_b32_e32 v87, v54
	v_mov_b32_e32 v86, v55
.LBB767_12:                             ;   in Loop: Header=BB767_6 Depth=1
	s_waitcnt vmcnt(3)
	v_add_u32_e32 v24, s57, v78
	s_waitcnt vmcnt(1)
	v_ashrrev_i32_e32 v18, 31, v24
	v_mul_lo_u32 v20, v18, s34
	v_mul_lo_u32 v21, v24, s35
	v_mad_u64_u32 v[18:19], s[24:25], v24, s34, 0
	v_add3_u32 v19, v19, v21, v20
	v_add_u32_e32 v20, 1, v24
	v_ashrrev_i32_e32 v21, 31, v20
	v_mul_lo_u32 v22, v21, s34
	v_mul_lo_u32 v23, v20, s35
	v_mad_u64_u32 v[20:21], s[24:25], v20, s34, 0
	v_add3_u32 v21, v21, v23, v22
	v_add_u32_e32 v22, 2, v24
	v_ashrrev_i32_e32 v23, 31, v22
	v_mul_lo_u32 v25, v23, s34
	v_mul_lo_u32 v26, v22, s35
	v_mad_u64_u32 v[22:23], s[24:25], v22, s34, 0
	s_add_u32 s24, s2, s57
	v_add3_u32 v23, v23, v26, v25
	v_add_u32_e32 v26, 3, v24
	s_addc_u32 s25, s3, 0
	v_ashrrev_i32_e32 v24, 31, v26
	s_lshl_b64 s[64:65], s[24:25], 8
	v_lshl_add_u64 v[18:19], v[18:19], 2, s[40:41]
	v_mul_lo_u32 v27, v24, s34
	v_lshl_add_u64 v[24:25], v[38:39], 0, s[64:65]
	v_mul_lo_u32 v28, v26, s35
	global_load_ushort v90, v[24:25], off
	global_load_ushort v91, v[24:25], off offset:256
	global_load_ushort v92, v[24:25], off offset:512
	;; [unrolled: 1-line block ×3, first 2 shown]
	global_load_dword v94, v[18:19], off
	v_mad_u64_u32 v[18:19], s[24:25], v26, s34, 0
	v_lshl_add_u64 v[20:21], v[20:21], 2, s[40:41]
	v_add3_u32 v19, v19, v28, v27
	v_lshl_add_u64 v[22:23], v[22:23], 2, s[40:41]
	v_lshl_add_u64 v[18:19], v[18:19], 2, s[40:41]
	global_load_dword v95, v[20:21], off
	global_load_dword v96, v[22:23], off
	global_load_dword v97, v[18:19], off
	ds_read_b64 v[18:19], v64 offset:24576
	s_load_dword s24, s[42:43], 0x0
	ds_read_b64 v[28:29], v66 offset:24576
	ds_read2st64_b64 v[20:23], v69 offset1:1
	ds_read2st64_b64 v[24:27], v69 offset0:2 offset1:3
	ds_read_b64 v[30:31], v67 offset:24576
	ds_read_b64 v[32:33], v68 offset:24576
	s_waitcnt lgkmcnt(0)
	v_mfma_f32_16x16x16_bf16 a[0:3], v[18:19], v[20:21], a[0:3]
	v_mov_b32_e32 v89, 0
	v_mov_b32_e32 v18, 0
	;; [unrolled: 1-line block ×3, first 2 shown]
	v_mfma_f32_16x16x16_bf16 a[0:3], v[28:29], v[22:23], a[0:3]
	v_lshl_add_u64 v[28:29], v[40:41], 0, s[64:65]
	v_mov_b32_e32 v20, 0
	v_mov_b32_e32 v21, 0
	v_mfma_f32_16x16x16_bf16 a[0:3], v[30:31], v[24:25], a[0:3]
	v_mov_b32_e32 v22, 0
	v_mov_b32_e32 v23, 0
	;; [unrolled: 1-line block ×3, first 2 shown]
	v_mfma_f32_16x16x16_bf16 a[0:3], v[32:33], v[26:27], a[0:3]
	s_and_b64 vcc, exec, s[0:1]
	s_waitcnt vmcnt(7)
	v_lshlrev_b32_e32 v32, 16, v90
	s_nop 3
	v_accvgpr_read_b32 v31, a1
	v_accvgpr_read_b32 v27, a3
	;; [unrolled: 1-line block ×4, first 2 shown]
	s_waitcnt vmcnt(6)
	v_lshlrev_b32_e32 v33, 16, v91
	s_waitcnt vmcnt(4)
	v_lshlrev_b32_e32 v91, 16, v93
	v_lshlrev_b32_e32 v90, 16, v92
	s_waitcnt vmcnt(3)
	v_sub_f32_e32 v25, s24, v94
	v_pk_add_f32 v[30:31], v[32:33], v[30:31] neg_lo:[0,1] neg_hi:[0,1]
	v_pk_add_f32 v[26:27], v[90:91], v[26:27] neg_lo:[0,1] neg_hi:[0,1]
	v_mul_f32_e32 v25, 0x3fb8aa3b, v25
	s_waitcnt vmcnt(2)
	v_sub_f32_e32 v33, s24, v95
	s_waitcnt vmcnt(1)
	v_sub_f32_e32 v90, s24, v96
	;; [unrolled: 2-line block ×3, first 2 shown]
	v_exp_f32_e32 v32, v25
	v_mul_f32_e32 v25, 0x3fb8aa3b, v33
	v_mul_f32_e32 v90, 0x3fb8aa3b, v90
	;; [unrolled: 1-line block ×3, first 2 shown]
	v_exp_f32_e32 v33, v25
	v_exp_f32_e32 v90, v90
	;; [unrolled: 1-line block ×3, first 2 shown]
	global_store_short_d16_hi v[28:29], v30, off
	global_store_short_d16_hi v[28:29], v31, off offset:256
	global_store_short_d16_hi v[28:29], v26, off offset:512
	;; [unrolled: 1-line block ×3, first 2 shown]
	v_pk_mul_f32 v[28:29], v[32:33], v[30:31]
	v_pk_mul_f32 v[26:27], v[90:91], v[26:27]
	v_mov_b32_e32 v25, 0
	v_perm_b32 v27, v27, v26, s37
	v_perm_b32 v26, v29, v28, s37
	ds_write_b64 v57, v[26:27]
	v_mov_b32_e32 v26, 0
	v_mov_b32_e32 v27, 0
	;; [unrolled: 1-line block ×8, first 2 shown]
	s_cbranch_vccnz .LBB767_14
; %bb.13:                               ;   in Loop: Header=BB767_6 Depth=1
	s_and_b32 s29, s29, 0xffff
	s_mov_b32 s31, s27
	buffer_load_dwordx4 v[30:33], v76, s[28:31], 0 offen
	buffer_load_dwordx4 v[22:25], v76, s[28:31], s56 offen
	;; [unrolled: 1-line block ×4, first 2 shown]
	v_mov_b32_e32 v88, v51
	v_mov_b32_e32 v89, v50
.LBB767_14:                             ;   in Loop: Header=BB767_6 Depth=1
	s_waitcnt lgkmcnt(0)
	s_barrier
	ds_read_b64 v[98:99], v80
	ds_read2st64_b64 v[90:93], v69 offset1:1
	ds_read2st64_b64 v[94:97], v69 offset0:2 offset1:3
	ds_read_b64 v[100:101], v81
	ds_read_b64 v[102:103], v82
	;; [unrolled: 1-line block ×3, first 2 shown]
	s_waitcnt lgkmcnt(4)
	v_mfma_f32_16x16x16_bf16 a[0:3], v[98:99], v[90:91], 0
	ds_read_b64 v[98:99], v72 offset:8192
	ds_read_b64 v[106:107], v73 offset:8192
	s_add_i32 s25, s50, s62
	s_mul_hi_i32 s29, s25, s17
	s_waitcnt lgkmcnt(1)
	v_mfma_f32_16x16x16_bf16 a[4:7], v[98:99], v[90:91], 0
	s_mul_i32 s25, s25, s17
	s_add_u32 s28, s25, s33
	s_addc_u32 s29, s29, s54
	v_mfma_f32_16x16x16_bf16 a[0:3], v[100:101], v[92:93], a[0:3]
	ds_read_b64 v[98:99], v70
	ds_read_b64 v[100:101], v71
	ds_read_b64 v[90:91], v74 offset:8192
	s_lshl_b64 s[28:29], s[28:29], 15
	v_mfma_f32_16x16x16_bf16 a[0:3], v[102:103], v[94:95], a[0:3]
	ds_read_b64 v[102:103], v75 offset:8192
	s_and_b64 vcc, exec, s[0:1]
	s_waitcnt lgkmcnt(4)
	v_mfma_f32_16x16x16_bf16 a[4:7], v[106:107], v[92:93], a[4:7]
	s_waitcnt lgkmcnt(1)
	v_mfma_f32_16x16x16_bf16 a[4:7], v[90:91], v[94:95], a[4:7]
	v_lshl_add_u64 v[90:91], v[36:37], 0, s[28:29]
	global_store_dwordx4 v[90:91], v[98:101], off
	v_mfma_f32_16x16x16_bf16 a[0:3], v[104:105], v[96:97], a[0:3]
	s_waitcnt lgkmcnt(0)
	v_mfma_f32_16x16x16_bf16 a[4:7], v[102:103], v[96:97], a[4:7]
	s_cbranch_vccnz .LBB767_16
; %bb.15:                               ;   in Loop: Header=BB767_6 Depth=1
	v_lshrrev_b32_e32 v90, 3, v88
	v_and_b32_e32 v90, 6, v90
	v_xor_b32_e32 v89, v90, v89
	v_lshlrev_b32_e32 v89, 2, v89
	v_and_b32_e32 v88, 8, v88
	v_xor_b32_e32 v91, 0x440, v89
	v_cmp_eq_u32_e32 vcc, 0, v88
	s_barrier
	s_nop 0
	v_cndmask_b32_e32 v88, v91, v89, vcc
	v_lshl_or_b32 v88, v90, 10, v88
	s_waitcnt vmcnt(2)
	v_perm_b32 v89, v30, v26, s58
	s_waitcnt vmcnt(1)
	v_perm_b32 v90, v22, v18, s58
	ds_write2st64_b32 v88, v89, v90 offset1:32
	v_xor_b32_e32 v89, 8, v88
	v_perm_b32 v26, v30, v26, s59
	v_perm_b32 v18, v22, v18, s59
	v_add_u32_e32 v22, 0x80, v89
	ds_write2st64_b32 v22, v26, v18 offset1:32
	v_xor_b32_e32 v18, 16, v88
	v_perm_b32 v22, v31, v27, s58
	v_perm_b32 v26, v23, v19, s58
	ds_write2st64_b32 v18, v22, v26 offset0:1 offset1:33
	v_xor_b32_e32 v18, 24, v88
	v_perm_b32 v22, v31, v27, s59
	v_perm_b32 v19, v23, v19, s59
	v_add_u32_e32 v18, 0x80, v18
	ds_write2st64_b32 v18, v22, v19 offset0:1 offset1:33
	v_xor_b32_e32 v18, 32, v88
	v_perm_b32 v19, v32, v28, s58
	v_perm_b32 v22, v24, v20, s58
	ds_write2st64_b32 v18, v19, v22 offset0:2 offset1:34
	v_xor_b32_e32 v18, 40, v88
	v_perm_b32 v19, v32, v28, s59
	v_perm_b32 v20, v24, v20, s59
	v_add_u32_e32 v18, 0x80, v18
	ds_write2st64_b32 v18, v19, v20 offset0:2 offset1:34
	v_xor_b32_e32 v18, 48, v88
	v_perm_b32 v19, v33, v29, s58
	v_perm_b32 v20, v25, v21, s58
	ds_write2st64_b32 v18, v19, v20 offset0:3 offset1:35
	v_xor_b32_e32 v18, 56, v88
	v_perm_b32 v19, v33, v29, s59
	v_perm_b32 v20, v25, v21, s59
	v_add_u32_e32 v18, 0x80, v18
	ds_write2st64_b32 v18, v19, v20 offset0:3 offset1:35
	ds_write_b64 v87, v[14:15] offset:16384
	v_xor_b32_e32 v14, 8, v87
	ds_write_b64 v14, v[16:17] offset:16384
	ds_write_b64 v87, v[10:11] offset:24576
	;; [unrolled: 1-line block ×4, first 2 shown]
	v_xor_b32_e32 v6, 8, v86
	ds_write_b64 v6, v[8:9] offset:16384
	ds_write_b64 v86, v[2:3] offset:24576
	ds_write_b64 v6, v[4:5] offset:24576
.LBB767_16:                             ;   in Loop: Header=BB767_6 Depth=1
	v_mul_f32_e32 v2, s24, v79
	v_exp_f32_e32 v2, v2
	s_nop 1
	v_accvgpr_read_b32 v3, a0
	v_accvgpr_read_b32 v4, a1
	s_add_i32 s57, s57, 64
	v_fma_f32 v35, v35, v2, v3
	v_accvgpr_read_b32 v3, a2
	v_fma_f32 v63, v63, v2, v3
	v_accvgpr_read_b32 v3, a4
	;; [unrolled: 2-line block ×6, first 2 shown]
	v_fmac_f32_e32 v4, v85, v2
	s_cmp_eq_u32 s48, s39
	v_fmac_f32_e32 v3, v84, v2
	s_cbranch_scc1 .LBB767_18
; %bb.17:                               ;   in Loop: Header=BB767_6 Depth=1
	s_mov_b32 s62, s39
	v_mov_b32_e32 v85, v4
	v_mov_b32_e32 v84, v3
	s_branch .LBB767_6
.LBB767_18:
	s_lshl_b32 s42, s48, 6
	s_sub_i32 s43, s16, s42
	s_cmp_gt_i32 s43, 0
	s_cbranch_scc0 .LBB767_75
; %bb.19:
	s_ashr_i32 s39, s47, 31
	s_ashr_i32 s2, s42, 31
	s_cmpk_lg_i32 s19, 0x80
	s_cselect_b64 s[30:31], -1, 0
	s_and_b64 vcc, exec, s[30:31]
	s_cbranch_vccz .LBB767_21
; %bb.20:
	s_mul_i32 s1, s47, s16
	s_mul_hi_i32 s0, s47, s16
	s_add_u32 s1, s1, s42
	s_addc_u32 s0, s0, s2
	s_mul_i32 s3, s1, s49
	s_mul_hi_u32 s24, s1, s18
	s_add_i32 s3, s24, s3
	s_mul_i32 s0, s0, s18
	s_add_i32 s3, s3, s0
	s_mul_i32 s1, s1, s18
	s_ashr_i32 s0, s52, 31
	s_add_u32 s40, s1, s52
	s_addc_u32 s41, s3, s0
	s_cbranch_execz .LBB767_22
	s_branch .LBB767_23
.LBB767_21:
                                        ; implicit-def: $sgpr40_sgpr41
.LBB767_22:
	s_mul_hi_i32 s0, s47, s18
	s_mul_i32 s47, s47, s18
	s_ashr_i32 s1, s52, 31
	s_add_u32 s3, s47, s52
	s_addc_u32 s0, s0, s1
	s_mul_i32 s1, s3, s46
	s_mul_hi_u32 s18, s3, s16
	s_add_i32 s1, s18, s1
	s_mul_i32 s0, s0, s16
	s_add_i32 s1, s1, s0
	s_mul_i32 s3, s3, s16
	s_add_u32 s40, s3, s42
	s_addc_u32 s41, s1, s2
.LBB767_23:
	s_add_i32 s3, s50, s48
	s_ashr_i32 s18, s33, 31
	s_add_u32 s0, s45, s33
	s_addc_u32 s1, s51, s18
	s_mul_i32 s24, s0, s46
	s_mul_hi_u32 s25, s0, s16
	s_add_i32 s24, s25, s24
	s_mul_i32 s1, s1, s16
	s_add_i32 s24, s24, s1
	s_mul_i32 s0, s0, s16
	s_add_u32 s0, s0, s42
	s_addc_u32 s1, s24, s2
	s_mov_b32 s2, 0x7060302
	v_lshlrev_b32_e32 v6, 3, v1
	v_perm_b32 v5, v4, v63, s2
	v_perm_b32 v4, v62, v35, s2
	v_perm_b32 v3, v3, v61, s2
	v_perm_b32 v2, v34, v60, s2
	v_lshlrev_b32_e32 v34, 2, v1
	v_lshl_or_b32 v6, v48, 5, v6
	s_lshl_b64 s[28:29], s[0:1], 8
	ds_write2st64_b64 v6, v[4:5], v[2:3] offset0:72 offset1:76
	v_xor_b32_e32 v6, v48, v34
	v_lshlrev_b32_e32 v7, 8, v1
	s_add_u32 s0, s6, s28
	v_lshl_or_b32 v6, v6, 1, v7
	s_addc_u32 s1, s7, s29
	ds_write_b64 v6, v[4:5] offset:32768
	v_xor_b32_e32 v4, v49, v34
	s_mul_hi_i32 s6, s3, s17
	s_mul_i32 s3, s3, s17
	v_lshl_or_b32 v4, v4, 1, v7
	s_add_u32 s2, s3, s33
	ds_write_b64 v4, v[2:3] offset:32768
	s_addc_u32 s3, s6, s18
	v_lshlrev_b32_e32 v3, 1, v1
	v_lshrrev_b32_e32 v2, 4, v0
	s_ashr_i32 s37, s36, 31
	s_lshl_b64 s[2:3], s[2:3], 15
	v_or_b32_e32 v4, 1, v3
	s_add_u32 s6, s12, s2
	v_xor_b32_e32 v3, v2, v3
	v_xor_b32_e32 v4, v4, v2
	v_lshlrev_b32_e32 v6, 8, v2
	s_addc_u32 s7, s13, s3
	s_lshl_b64 s[2:3], s[36:37], 8
	v_lshl_or_b32 v2, v3, 3, v6
	v_lshl_or_b32 v4, v4, 3, v6
	s_waitcnt lgkmcnt(0)
	s_barrier
	s_add_u32 s2, s6, s2
	ds_read_b64 v[2:3], v2 offset:32768
	ds_read_b64 v[4:5], v4 offset:32768
	s_addc_u32 s3, s7, s3
	v_mov_b32_e32 v7, 0
	s_cmp_lg_u32 s43, 64
	v_lshl_add_u64 v[8:9], s[2:3], 0, v[6:7]
	v_lshlrev_b32_e32 v6, 4, v1
	s_cselect_b64 s[6:7], -1, 0
	v_lshl_or_b32 v35, v44, 3, v47
	s_mov_b32 s24, 0
	v_lshl_add_u64 v[6:7], v[8:9], 0, v[6:7]
	s_waitcnt vmcnt(1)
	v_or_b32_e32 v19, 32, v35
	v_and_b32_e32 v18, 56, v46
	s_and_b64 vcc, exec, s[6:7]
	s_waitcnt lgkmcnt(0)
	global_store_dwordx4 v[6:7], v[2:5], off
	s_cbranch_vccz .LBB767_29
; %bb.24:
	s_mov_b32 s25, s24
	s_mov_b32 s26, s24
	;; [unrolled: 1-line block ×3, first 2 shown]
	v_mov_b64_e32 v[6:7], s[24:25]
	v_mov_b64_e32 v[8:9], s[26:27]
	;; [unrolled: 1-line block ×3, first 2 shown]
	v_cmp_gt_i32_e32 vcc, s43, v35
	v_mov_b64_e32 v[4:5], v[8:9]
	s_and_saveexec_b64 s[2:3], vcc
	s_cbranch_execz .LBB767_26
; %bb.25:
	v_lshlrev_b32_e32 v2, 8, v35
	v_mov_b32_e32 v3, 0
	v_lshl_add_u64 v[4:5], s[0:1], 0, v[2:3]
	v_lshlrev_b32_e32 v2, 1, v18
	v_lshl_add_u64 v[10:11], v[4:5], 0, v[2:3]
	global_load_dwordx4 v[6:9], v[10:11], off
	global_load_dwordx4 v[2:5], v[10:11], off offset:128
.LBB767_26:
	s_or_b64 exec, exec, s[2:3]
	s_mov_b32 s25, s24
	s_mov_b32 s26, s24
	;; [unrolled: 1-line block ×3, first 2 shown]
	v_mov_b64_e32 v[14:15], s[24:25]
	v_mov_b64_e32 v[16:17], s[26:27]
	;; [unrolled: 1-line block ×3, first 2 shown]
	v_cmp_gt_i32_e32 vcc, s43, v19
	v_lshlrev_b32_e32 v20, 7, v19
	v_mov_b64_e32 v[12:13], v[16:17]
	s_and_saveexec_b64 s[2:3], vcc
	s_cbranch_execz .LBB767_28
; %bb.27:
	v_lshlrev_b32_e32 v10, 1, v20
	v_mov_b32_e32 v11, 0
	v_lshl_add_u64 v[12:13], s[0:1], 0, v[10:11]
	v_lshlrev_b32_e32 v10, 1, v18
	v_lshl_add_u64 v[22:23], v[12:13], 0, v[10:11]
	global_load_dwordx4 v[14:17], v[22:23], off
	global_load_dwordx4 v[10:13], v[22:23], off offset:128
.LBB767_28:
	s_or_b64 exec, exec, s[2:3]
	v_lshrrev_b32_e32 v21, 3, v18
	v_lshlrev_b32_e32 v22, 3, v35
	v_or_b32_e32 v21, v22, v21
	v_lshlrev_b32_e32 v21, 4, v21
	v_and_b32_e32 v22, 0x78, v22
	v_xor_b32_e32 v21, v21, v22
	s_branch .LBB767_31
.LBB767_29:
                                        ; implicit-def: $vgpr21
                                        ; implicit-def: $vgpr20
                                        ; implicit-def: $vgpr6_vgpr7_vgpr8_vgpr9
                                        ; implicit-def: $vgpr2_vgpr3_vgpr4_vgpr5
                                        ; implicit-def: $vgpr14_vgpr15_vgpr16_vgpr17
                                        ; implicit-def: $vgpr10_vgpr11_vgpr12_vgpr13
	s_cbranch_execz .LBB767_31
; %bb.30:
	s_waitcnt vmcnt(0)
	v_lshlrev_b32_e32 v2, 1, v18
	v_lshl_or_b32 v20, v35, 8, v2
	s_and_b32 s1, s1, 0xffff
	s_mov_b32 s3, 0x20000
	s_movk_i32 s2, 0x4000
	v_lshl_or_b32 v21, v19, 8, v2
	s_movk_i32 s12, 0x80
	buffer_load_dwordx4 v[6:9], v20, s[0:3], 0 offen
	buffer_load_dwordx4 v[2:5], v20, s[0:3], s12 offen
	;; [unrolled: 1-line block ×4, first 2 shown]
	v_lshrrev_b32_e32 v20, 3, v18
	v_lshlrev_b32_e32 v21, 3, v35
	v_or_b32_e32 v20, v21, v20
	v_lshlrev_b32_e32 v20, 4, v20
	v_and_b32_e32 v21, 0x78, v21
	v_xor_b32_e32 v21, v20, v21
	v_lshlrev_b32_e32 v20, 7, v19
.LBB767_31:
	s_lshl_b64 s[0:1], s[40:41], 8
	s_add_u32 s4, s4, s0
	s_movk_i32 s0, 0x1000
	v_and_or_b32 v19, v20, s0, v21
	s_waitcnt vmcnt(1)
	ds_write_b64 v21, v[6:7] offset:16384
	v_xor_b32_e32 v6, 8, v21
	ds_write_b64 v6, v[8:9] offset:16384
	s_waitcnt vmcnt(0)
	ds_write_b64 v21, v[2:3] offset:24576
	ds_write_b64 v6, v[4:5] offset:24576
	;; [unrolled: 1-line block ×3, first 2 shown]
	v_xor_b32_e32 v2, 8, v19
	ds_write_b64 v2, v[16:17] offset:16384
	ds_write_b64 v19, v[10:11] offset:24576
	;; [unrolled: 1-line block ×3, first 2 shown]
	v_or_b32_e32 v2, v42, v1
	s_addc_u32 s5, s5, s1
	s_add_i32 s2, s16, -1
	v_lshlrev_b32_e32 v2, 3, v2
	v_lshrrev_b32_e32 v4, 5, v43
	s_movk_i32 s16, 0xf8
	v_and_or_b32 v4, v2, s16, v4
	v_lshlrev_b32_e32 v3, 11, v44
	v_lshlrev_b32_e32 v12, 4, v4
	v_and_b32_e32 v13, 0x78, v2
	v_and_b32_e32 v14, 0x1000, v3
	v_lshlrev_b32_e32 v3, 2, v0
	v_xor_b32_e32 v2, v12, v13
	v_lshrrev_b32_e32 v4, 1, v43
	v_and_b32_e32 v3, 60, v3
	v_or_b32_e32 v2, v2, v14
	v_and_b32_e32 v15, 8, v4
	v_xor_b32_e32 v26, v2, v15
	v_lshl_or_b32 v2, v45, 6, v3
	v_lshlrev_b32_e32 v19, 1, v2
	v_or_b32_e32 v2, 32, v12
	v_xor_b32_e32 v2, v2, v13
	s_waitcnt lgkmcnt(0)
	s_barrier
	ds_read_b64 v[10:11], v26 offset:16384
	v_or_b32_e32 v2, v2, v14
	v_xor_b32_e32 v27, v2, v15
	v_or_b32_e32 v2, 64, v12
	v_xor_b32_e32 v2, v2, v13
	v_or_b32_e32 v2, v2, v14
	v_or_b32_e32 v12, 0x60, v12
	v_xor_b32_e32 v28, v2, v15
	ds_read2st64_b64 v[2:5], v19 offset0:72 offset1:73
	ds_read2st64_b64 v[6:9], v19 offset0:74 offset1:75
	v_xor_b32_e32 v16, v12, v13
	ds_read_b64 v[12:13], v27 offset:16384
	s_waitcnt lgkmcnt(2)
	v_mfma_f32_16x16x16_bf16 a[0:3], v[10:11], v[2:3], 0
	s_add_i32 s0, s44, s21
	s_mul_i32 s39, s39, s20
	s_add_i32 s39, s0, s39
	s_mul_i32 s0, s33, s23
	s_mul_hi_u32 s1, s33, s22
	s_ashr_i32 s3, s2, 31
	s_mul_i32 s12, s2, s35
	s_mul_hi_u32 s13, s2, s34
	s_add_i32 s0, s1, s0
	s_mul_i32 s1, s18, s22
	s_add_i32 s12, s13, s12
	s_mul_i32 s3, s3, s34
	v_or_b32_e32 v14, v16, v14
	s_add_i32 s1, s0, s1
	s_add_i32 s3, s12, s3
	s_lshl_b64 s[12:13], s[38:39], 2
	v_xor_b32_e32 v36, v14, v15
	ds_read_b64 v[14:15], v28 offset:16384
	ds_read_b64 v[16:17], v36 offset:16384
	s_waitcnt lgkmcnt(2)
	v_mfma_f32_16x16x16_bf16 a[0:3], v[12:13], v[4:5], a[0:3]
	s_mul_i32 s0, s33, s22
	s_add_u32 s10, s10, s12
	s_addc_u32 s11, s11, s13
	s_lshl_b64 s[0:1], s[0:1], 2
	s_mul_i32 s2, s2, s34
	s_add_u32 s10, s10, s0
	s_addc_u32 s11, s11, s1
	s_lshl_b64 s[0:1], s[2:3], 2
	s_waitcnt lgkmcnt(1)
	v_mfma_f32_16x16x16_bf16 a[0:3], v[14:15], v[6:7], a[0:3]
	s_add_u32 s0, s10, s0
	s_addc_u32 s1, s11, s1
	s_load_dword s12, s[0:1], 0x0
	s_waitcnt lgkmcnt(0)
	v_mfma_f32_16x16x16_bf16 a[0:3], v[16:17], v[8:9], a[0:3]
	s_and_b64 vcc, exec, s[30:31]
	s_cbranch_vccz .LBB767_42
; %bb.32:
	v_lshlrev_b32_e32 v20, 1, v35
	s_and_b64 vcc, exec, s[6:7]
	s_cbranch_vccz .LBB767_43
; %bb.33:
	v_cmp_gt_i32_e32 vcc, s43, v20
	v_mov_b32_e32 v6, 0
	v_mov_b32_e32 v2, 0
	;; [unrolled: 1-line block ×5, first 2 shown]
	s_and_saveexec_b64 s[0:1], vcc
	s_cbranch_execz .LBB767_35
; %bb.34:
	v_mad_i64_i32 v[2:3], s[2:3], s19, v20, 0
	v_lshl_add_u64 v[2:3], v[2:3], 1, s[4:5]
	v_lshlrev_b32_e32 v4, 1, v18
	v_mov_b32_e32 v5, 0
	v_lshl_add_u64 v[2:3], v[2:3], 0, v[4:5]
	global_load_dwordx4 v[2:5], v[2:3], off
.LBB767_35:
	s_or_b64 exec, exec, s[0:1]
	v_or_b32_e32 v21, 1, v20
	v_cmp_gt_i32_e64 s[0:1], s43, v21
	v_mov_b32_e32 v7, 0
	v_mov_b32_e32 v8, 0
	;; [unrolled: 1-line block ×3, first 2 shown]
	s_and_saveexec_b64 s[2:3], s[0:1]
	s_cbranch_execz .LBB767_37
; %bb.36:
	v_mad_i64_i32 v[6:7], s[16:17], s19, v21, 0
	v_lshl_add_u64 v[6:7], v[6:7], 1, s[4:5]
	v_lshlrev_b32_e32 v8, 1, v18
	v_mov_b32_e32 v9, 0
	v_lshl_add_u64 v[6:7], v[6:7], 0, v[8:9]
	global_load_dwordx4 v[6:9], v[6:7], off
.LBB767_37:
	s_or_b64 exec, exec, s[2:3]
	v_mov_b32_e32 v17, 0
	v_mov_b32_e32 v10, 0
	;; [unrolled: 1-line block ×5, first 2 shown]
	s_and_saveexec_b64 s[2:3], vcc
	s_cbranch_execz .LBB767_39
; %bb.38:
	v_mad_i64_i32 v[10:11], s[16:17], s19, v20, 0
	v_lshl_add_u64 v[10:11], v[10:11], 1, s[4:5]
	v_lshlrev_b32_e32 v12, 1, v18
	v_mov_b32_e32 v13, 0
	v_lshl_add_u64 v[10:11], v[10:11], 0, v[12:13]
	global_load_dwordx4 v[10:13], v[10:11], off offset:128
.LBB767_39:
	s_or_b64 exec, exec, s[2:3]
	v_mov_b32_e32 v16, 0
	v_mov_b32_e32 v15, 0
	;; [unrolled: 1-line block ×3, first 2 shown]
	s_and_saveexec_b64 s[2:3], s[0:1]
	s_cbranch_execz .LBB767_41
; %bb.40:
	v_mad_i64_i32 v[14:15], s[0:1], s19, v21, 0
	v_lshl_add_u64 v[14:15], v[14:15], 1, s[4:5]
	v_lshlrev_b32_e32 v16, 1, v18
	v_mov_b32_e32 v17, 0
	v_lshl_add_u64 v[14:15], v[14:15], 0, v[16:17]
	global_load_dwordx4 v[14:17], v[14:15], off offset:128
.LBB767_41:
	s_or_b64 exec, exec, s[2:3]
	s_branch .LBB767_45
.LBB767_42:
                                        ; implicit-def: $vgpr5
                                        ; implicit-def: $vgpr9
                                        ; implicit-def: $vgpr13
                                        ; implicit-def: $vgpr17
	v_lshrrev_b32_e32 v37, 2, v43
	s_branch .LBB767_46
.LBB767_43:
                                        ; implicit-def: $vgpr5
                                        ; implicit-def: $vgpr9
                                        ; implicit-def: $vgpr13
                                        ; implicit-def: $vgpr17
	s_cbranch_execz .LBB767_45
; %bb.44:
	s_waitcnt vmcnt(0)
	v_mad_u64_u32 v[2:3], s[0:1], v20, s19, v[18:19]
	v_lshlrev_b32_e32 v20, 1, v2
	s_lshl_b32 s2, s19, 7
	s_and_b32 s1, s5, 0xffff
	s_mov_b32 s3, 0x20000
	s_mov_b32 s0, s4
	v_add_lshl_u32 v21, v2, s19, 1
	s_movk_i32 s13, 0x80
	buffer_load_dwordx4 v[2:5], v20, s[0:3], 0 offen
	buffer_load_dwordx4 v[10:13], v20, s[0:3], s13 offen
	;; [unrolled: 1-line block ×4, first 2 shown]
.LBB767_45:
	v_lshrrev_b32_e32 v37, 2, v43
	s_cbranch_execnz .LBB767_58
.LBB767_46:
	s_and_b64 vcc, exec, s[6:7]
	s_cbranch_vccz .LBB767_56
; %bb.47:
	s_waitcnt vmcnt(0)
	v_lshlrev_b32_e32 v7, 1, v35
	v_cmp_gt_i32_e32 vcc, s43, v7
	v_mov_b32_e32 v6, 0
	v_lshlrev_b32_e32 v14, 9, v35
	v_mov_b32_e32 v2, 0
	v_mov_b32_e32 v3, 0
	;; [unrolled: 1-line block ×4, first 2 shown]
	s_and_saveexec_b64 s[0:1], vcc
	s_cbranch_execz .LBB767_49
; %bb.48:
	v_mov_b32_e32 v15, 0
	v_lshl_add_u64 v[2:3], s[4:5], 0, v[14:15]
	v_lshlrev_b32_e32 v4, 1, v18
	v_mov_b32_e32 v5, v15
	v_lshl_add_u64 v[2:3], v[2:3], 0, v[4:5]
	global_load_dwordx4 v[2:5], v[2:3], off
.LBB767_49:
	s_or_b64 exec, exec, s[0:1]
	v_or_b32_e32 v7, 1, v7
	v_cmp_gt_i32_e64 s[0:1], s43, v7
	v_lshlrev_b32_e32 v20, 8, v7
	v_mov_b32_e32 v7, 0
	v_mov_b32_e32 v8, 0
	v_mov_b32_e32 v9, 0
	s_and_saveexec_b64 s[2:3], s[0:1]
	s_cbranch_execz .LBB767_51
; %bb.50:
	v_mov_b32_e32 v21, 0
	v_lshl_add_u64 v[6:7], s[4:5], 0, v[20:21]
	v_lshlrev_b32_e32 v8, 1, v18
	v_mov_b32_e32 v9, v21
	v_lshl_add_u64 v[6:7], v[6:7], 0, v[8:9]
	global_load_dwordx4 v[6:9], v[6:7], off
.LBB767_51:
	s_or_b64 exec, exec, s[2:3]
	v_mov_b32_e32 v17, 0
	v_mov_b32_e32 v10, 0
	;; [unrolled: 1-line block ×5, first 2 shown]
	s_and_saveexec_b64 s[2:3], vcc
	s_cbranch_execz .LBB767_53
; %bb.52:
	v_mov_b32_e32 v15, 0
	v_lshl_add_u64 v[10:11], s[4:5], 0, v[14:15]
	v_lshlrev_b32_e32 v14, 1, v18
	v_lshl_add_u64 v[10:11], v[10:11], 0, v[14:15]
	global_load_dwordx4 v[10:13], v[10:11], off offset:128
.LBB767_53:
	s_or_b64 exec, exec, s[2:3]
	v_mov_b32_e32 v16, 0
	v_mov_b32_e32 v15, 0
	v_mov_b32_e32 v14, 0
	s_and_saveexec_b64 s[2:3], s[0:1]
	s_cbranch_execz .LBB767_55
; %bb.54:
	v_mov_b32_e32 v21, 0
	v_lshl_add_u64 v[14:15], s[4:5], 0, v[20:21]
	v_lshlrev_b32_e32 v20, 1, v18
	v_lshl_add_u64 v[14:15], v[14:15], 0, v[20:21]
	global_load_dwordx4 v[14:17], v[14:15], off offset:128
.LBB767_55:
	s_or_b64 exec, exec, s[2:3]
	s_branch .LBB767_58
.LBB767_56:
                                        ; implicit-def: $vgpr5
                                        ; implicit-def: $vgpr9
                                        ; implicit-def: $vgpr13
                                        ; implicit-def: $vgpr17
	s_cbranch_execz .LBB767_58
; %bb.57:
	s_waitcnt vmcnt(0)
	v_lshlrev_b32_e32 v2, 1, v18
	v_lshl_or_b32 v18, v35, 9, v2
	s_and_b32 s5, s5, 0xffff
	s_mov_b32 s7, 0x20000
	s_movk_i32 s6, 0x4000
	s_movk_i32 s0, 0x80
	buffer_load_dwordx4 v[2:5], v18, s[4:7], 0 offen
	buffer_load_dwordx4 v[6:9], v18, s[4:7], 0 offen offset:256
	buffer_load_dwordx4 v[10:13], v18, s[4:7], s0 offen
	buffer_load_dwordx4 v[14:17], v18, s[4:7], s0 offen offset:256
.LBB767_58:
	ds_read2st64_b64 v[22:25], v19 offset0:76 offset1:77
	ds_read2st64_b64 v[18:21], v19 offset0:78 offset1:79
	ds_read_b64 v[32:33], v26 offset:24576
	ds_read_b64 v[30:31], v27 offset:24576
	;; [unrolled: 1-line block ×4, first 2 shown]
	v_and_b32_e32 v36, 6, v0
	v_xor_b32_e32 v35, v35, v36
	v_lshlrev_b32_e32 v35, 2, v35
	v_and_b32_e32 v0, 1, v0
	v_xor_b32_e32 v38, 0x440, v35
	v_cmp_eq_u32_e32 vcc, 0, v0
	s_mov_b32 s0, 0x1000504
	s_mov_b32 s1, 0x3020706
	v_cndmask_b32_e32 v0, v38, v35, vcc
	v_lshl_or_b32 v0, v36, 10, v0
	s_waitcnt vmcnt(0)
	v_perm_b32 v35, v2, v6, s0
	v_perm_b32 v36, v10, v14, s0
	ds_write2st64_b32 v0, v35, v36 offset1:32
	v_xor_b32_e32 v35, 8, v0
	v_perm_b32 v2, v2, v6, s1
	v_perm_b32 v6, v10, v14, s1
	v_add_u32_e32 v10, 0x80, v35
	ds_write2st64_b32 v10, v2, v6 offset1:32
	v_xor_b32_e32 v2, 16, v0
	v_perm_b32 v6, v3, v7, s0
	v_perm_b32 v10, v11, v15, s0
	ds_write2st64_b32 v2, v6, v10 offset0:1 offset1:33
	v_xor_b32_e32 v2, 24, v0
	v_perm_b32 v3, v3, v7, s1
	v_perm_b32 v6, v11, v15, s1
	v_add_u32_e32 v2, 0x80, v2
	ds_write2st64_b32 v2, v3, v6 offset0:1 offset1:33
	v_xor_b32_e32 v2, 32, v0
	v_perm_b32 v3, v4, v8, s0
	v_perm_b32 v6, v12, v16, s0
	ds_write2st64_b32 v2, v3, v6 offset0:2 offset1:34
	v_xor_b32_e32 v2, 40, v0
	v_perm_b32 v3, v4, v8, s1
	v_perm_b32 v4, v12, v16, s1
	v_add_u32_e32 v2, 0x80, v2
	ds_write2st64_b32 v2, v3, v4 offset0:2 offset1:34
	v_xor_b32_e32 v2, 48, v0
	v_perm_b32 v3, v5, v9, s0
	v_perm_b32 v4, v13, v17, s0
	v_xor_b32_e32 v0, 56, v0
	v_and_or_b32 v8, v37, 12, v42
	ds_write2st64_b32 v2, v3, v4 offset0:3 offset1:35
	v_perm_b32 v2, v5, v9, s1
	v_perm_b32 v3, v13, v17, s1
	v_add_u32_e32 v0, 0x80, v0
	v_cmp_gt_i32_e32 vcc, s43, v8
	v_mov_b32_e32 v9, 0
	v_mov_b32_e32 v14, 0
	ds_write2st64_b32 v0, v2, v3 offset0:3 offset1:35
	s_and_saveexec_b64 s[0:1], vcc
	s_cbranch_execz .LBB767_60
; %bb.59:
	v_add_u32_e32 v0, s42, v8
	v_ashrrev_i32_e32 v2, 31, v0
	v_mul_lo_u32 v4, v2, s34
	v_mul_lo_u32 v5, v0, s35
	v_mad_u64_u32 v[2:3], s[2:3], v0, s34, 0
	v_add3_u32 v3, v3, v5, v4
	v_lshl_add_u64 v[2:3], v[2:3], 2, s[10:11]
	global_load_dword v0, v[2:3], off
	s_waitcnt vmcnt(0)
	v_sub_f32_e32 v0, s12, v0
	v_mul_f32_e32 v0, 0x3fb8aa3b, v0
	v_exp_f32_e32 v14, v0
.LBB767_60:
	s_or_b64 exec, exec, s[0:1]
	v_or_b32_e32 v12, 1, v8
	v_cmp_gt_i32_e64 s[2:3], s43, v12
	s_and_saveexec_b64 s[0:1], s[2:3]
	s_cbranch_execz .LBB767_62
; %bb.61:
	v_add_u32_e32 v0, s42, v12
	v_ashrrev_i32_e32 v2, 31, v0
	v_mul_lo_u32 v4, v2, s34
	v_mul_lo_u32 v5, v0, s35
	v_mad_u64_u32 v[2:3], s[4:5], v0, s34, 0
	v_add3_u32 v3, v3, v5, v4
	v_lshl_add_u64 v[2:3], v[2:3], 2, s[10:11]
	global_load_dword v0, v[2:3], off
	s_waitcnt vmcnt(0)
	v_sub_f32_e32 v0, s12, v0
	v_mul_f32_e32 v0, 0x3fb8aa3b, v0
	v_exp_f32_e32 v9, v0
.LBB767_62:
	s_or_b64 exec, exec, s[0:1]
	v_or_b32_e32 v11, 2, v8
	v_cmp_gt_i32_e64 s[0:1], s43, v11
	v_mov_b32_e32 v10, 0
	v_mov_b32_e32 v15, 0
	s_and_saveexec_b64 s[4:5], s[0:1]
	s_cbranch_execz .LBB767_64
; %bb.63:
	v_add_u32_e32 v0, s42, v11
	v_ashrrev_i32_e32 v2, 31, v0
	v_mul_lo_u32 v4, v2, s34
	v_mul_lo_u32 v5, v0, s35
	v_mad_u64_u32 v[2:3], s[6:7], v0, s34, 0
	v_add3_u32 v3, v3, v5, v4
	v_lshl_add_u64 v[2:3], v[2:3], 2, s[10:11]
	global_load_dword v0, v[2:3], off
	s_waitcnt vmcnt(0)
	v_sub_f32_e32 v0, s12, v0
	v_mul_f32_e32 v0, 0x3fb8aa3b, v0
	v_exp_f32_e32 v15, v0
.LBB767_64:
	s_or_b64 exec, exec, s[4:5]
	v_or_b32_e32 v13, 3, v8
	v_cmp_gt_i32_e64 s[4:5], s43, v13
	s_and_saveexec_b64 s[6:7], s[4:5]
	s_cbranch_execz .LBB767_66
; %bb.65:
	v_add_u32_e32 v0, s42, v13
	v_ashrrev_i32_e32 v2, 31, v0
	v_mul_lo_u32 v4, v2, s34
	v_mul_lo_u32 v5, v0, s35
	v_mad_u64_u32 v[2:3], s[16:17], v0, s34, 0
	v_add3_u32 v3, v3, v5, v4
	v_lshl_add_u64 v[2:3], v[2:3], 2, s[10:11]
	global_load_dword v0, v[2:3], off
	s_waitcnt vmcnt(0)
	v_sub_f32_e32 v0, s12, v0
	v_mul_f32_e32 v0, 0x3fb8aa3b, v0
	v_exp_f32_e32 v10, v0
.LBB767_66:
	s_or_b64 exec, exec, s[6:7]
	s_waitcnt lgkmcnt(11)
	v_mfma_f32_16x16x16_bf16 a[0:3], v[32:33], v[22:23], a[0:3]
	v_or_b32_e32 v0, s36, v1
	s_add_u32 s6, s8, s28
	v_ashrrev_i32_e32 v1, 31, v0
	s_waitcnt lgkmcnt(10)
	v_mfma_f32_16x16x16_bf16 a[0:3], v[30:31], v[24:25], a[0:3]
	s_addc_u32 s7, s9, s29
	v_lshlrev_b64 v[0:1], 1, v[0:1]
	v_lshl_add_u64 v[4:5], s[6:7], 0, v[0:1]
	s_waitcnt lgkmcnt(9)
	v_mfma_f32_16x16x16_bf16 a[0:3], v[28:29], v[18:19], a[0:3]
	s_add_u32 s6, s14, s28
	s_addc_u32 s7, s15, s29
	v_lshl_add_u64 v[6:7], s[6:7], 0, v[0:1]
	s_waitcnt lgkmcnt(8)
	v_mfma_f32_16x16x16_bf16 a[0:3], v[26:27], v[20:21], a[0:3]
	v_mov_b32_e32 v16, 0
	v_mov_b32_e32 v17, 0
	s_nop 4
	v_accvgpr_read_b32 v0, a0
	v_accvgpr_read_b32 v1, a1
	;; [unrolled: 1-line block ×4, first 2 shown]
	s_and_saveexec_b64 s[6:7], vcc
	s_cbranch_execz .LBB767_68
; %bb.67:
	v_lshlrev_b32_e32 v18, 8, v8
	v_mov_b32_e32 v19, 0
	v_lshl_add_u64 v[20:21], v[4:5], 0, v[18:19]
	global_load_ushort v17, v[20:21], off
	v_lshl_add_u64 v[18:19], v[6:7], 0, v[18:19]
	s_waitcnt vmcnt(0)
	v_lshlrev_b32_e32 v17, 16, v17
	v_sub_f32_e32 v0, v17, v0
	global_store_short_d16_hi v[18:19], v0, off
	v_mul_f32_e32 v0, v14, v0
	v_lshrrev_b32_e32 v17, 16, v0
.LBB767_68:
	s_or_b64 exec, exec, s[6:7]
	s_and_saveexec_b64 s[6:7], s[2:3]
	s_cbranch_execz .LBB767_70
; %bb.69:
	v_lshlrev_b32_e32 v18, 8, v12
	v_mov_b32_e32 v19, 0
	v_lshl_add_u64 v[20:21], v[4:5], 0, v[18:19]
	global_load_ushort v0, v[20:21], off
	v_lshl_add_u64 v[18:19], v[6:7], 0, v[18:19]
	s_waitcnt vmcnt(0)
	v_lshlrev_b32_e32 v0, 16, v0
	v_sub_f32_e32 v0, v0, v1
	global_store_short_d16_hi v[18:19], v0, off
	v_mul_f32_e32 v0, v9, v0
	v_lshrrev_b32_e32 v16, 16, v0
.LBB767_70:
	s_or_b64 exec, exec, s[6:7]
	v_mov_b32_e32 v0, 0
	v_mov_b32_e32 v1, 0
	s_and_saveexec_b64 s[2:3], s[0:1]
	s_cbranch_execz .LBB767_72
; %bb.71:
	v_lshlrev_b32_e32 v18, 8, v11
	v_mov_b32_e32 v19, 0
	v_lshl_add_u64 v[20:21], v[4:5], 0, v[18:19]
	global_load_ushort v1, v[20:21], off
	v_lshl_add_u64 v[18:19], v[6:7], 0, v[18:19]
	s_waitcnt vmcnt(0)
	v_lshlrev_b32_e32 v1, 16, v1
	v_sub_f32_e32 v1, v1, v2
	global_store_short_d16_hi v[18:19], v1, off
	v_mul_f32_e32 v1, v15, v1
	v_lshrrev_b32_e32 v1, 16, v1
.LBB767_72:
	s_or_b64 exec, exec, s[2:3]
	s_and_saveexec_b64 s[0:1], s[4:5]
	s_cbranch_execz .LBB767_74
; %bb.73:
	v_lshlrev_b32_e32 v12, 8, v13
	v_mov_b32_e32 v13, 0
	v_lshl_add_u64 v[4:5], v[4:5], 0, v[12:13]
	global_load_ushort v0, v[4:5], off
	v_lshl_add_u64 v[4:5], v[6:7], 0, v[12:13]
	s_waitcnt vmcnt(0)
	v_lshlrev_b32_e32 v0, 16, v0
	v_sub_f32_e32 v0, v0, v3
	global_store_short_d16_hi v[4:5], v0, off
	v_mul_f32_e32 v0, v10, v0
	v_lshrrev_b32_e32 v0, 16, v0
.LBB767_74:
	s_or_b64 exec, exec, s[0:1]
	s_mov_b32 s0, 0x5040100
	v_lshlrev_b32_e32 v2, 1, v34
	v_perm_b32 v1, v0, v1, s0
	v_perm_b32 v0, v16, v17, s0
	v_lshl_or_b32 v2, v8, 5, v2
	ds_write_b64 v2, v[0:1] offset:38912
	s_waitcnt lgkmcnt(0)
	s_barrier
.LBB767_75:
	s_endpgm
	.section	.rodata,"a",@progbits
	.p2align	6, 0x0
	.amdhsa_kernel _ZN12_GLOBAL__N_139chunk_gated_delta_rule_fwd_h_hip_kernelILi16ELb0ELb0ELb1ELb0ELb0ELb0ELb0ELb0EEEvPK12hip_bfloat16S3_S3_PKfS5_PKvPS1_S8_PvPKiSB_iiiiilll
		.amdhsa_group_segment_fixed_size 40960
		.amdhsa_private_segment_fixed_size 0
		.amdhsa_kernarg_size 136
		.amdhsa_user_sgpr_count 2
		.amdhsa_user_sgpr_dispatch_ptr 0
		.amdhsa_user_sgpr_queue_ptr 0
		.amdhsa_user_sgpr_kernarg_segment_ptr 1
		.amdhsa_user_sgpr_dispatch_id 0
		.amdhsa_user_sgpr_kernarg_preload_length 0
		.amdhsa_user_sgpr_kernarg_preload_offset 0
		.amdhsa_user_sgpr_private_segment_size 0
		.amdhsa_uses_dynamic_stack 0
		.amdhsa_enable_private_segment 0
		.amdhsa_system_sgpr_workgroup_id_x 1
		.amdhsa_system_sgpr_workgroup_id_y 1
		.amdhsa_system_sgpr_workgroup_id_z 0
		.amdhsa_system_sgpr_workgroup_info 0
		.amdhsa_system_vgpr_workitem_id 0
		.amdhsa_next_free_vgpr 116
		.amdhsa_next_free_sgpr 66
		.amdhsa_accum_offset 108
		.amdhsa_reserve_vcc 1
		.amdhsa_float_round_mode_32 0
		.amdhsa_float_round_mode_16_64 0
		.amdhsa_float_denorm_mode_32 3
		.amdhsa_float_denorm_mode_16_64 3
		.amdhsa_dx10_clamp 1
		.amdhsa_ieee_mode 1
		.amdhsa_fp16_overflow 0
		.amdhsa_tg_split 0
		.amdhsa_exception_fp_ieee_invalid_op 0
		.amdhsa_exception_fp_denorm_src 0
		.amdhsa_exception_fp_ieee_div_zero 0
		.amdhsa_exception_fp_ieee_overflow 0
		.amdhsa_exception_fp_ieee_underflow 0
		.amdhsa_exception_fp_ieee_inexact 0
		.amdhsa_exception_int_div_zero 0
	.end_amdhsa_kernel
	.section	.text._ZN12_GLOBAL__N_139chunk_gated_delta_rule_fwd_h_hip_kernelILi16ELb0ELb0ELb1ELb0ELb0ELb0ELb0ELb0EEEvPK12hip_bfloat16S3_S3_PKfS5_PKvPS1_S8_PvPKiSB_iiiiilll,"axG",@progbits,_ZN12_GLOBAL__N_139chunk_gated_delta_rule_fwd_h_hip_kernelILi16ELb0ELb0ELb1ELb0ELb0ELb0ELb0ELb0EEEvPK12hip_bfloat16S3_S3_PKfS5_PKvPS1_S8_PvPKiSB_iiiiilll,comdat
.Lfunc_end767:
	.size	_ZN12_GLOBAL__N_139chunk_gated_delta_rule_fwd_h_hip_kernelILi16ELb0ELb0ELb1ELb0ELb0ELb0ELb0ELb0EEEvPK12hip_bfloat16S3_S3_PKfS5_PKvPS1_S8_PvPKiSB_iiiiilll, .Lfunc_end767-_ZN12_GLOBAL__N_139chunk_gated_delta_rule_fwd_h_hip_kernelILi16ELb0ELb0ELb1ELb0ELb0ELb0ELb0ELb0EEEvPK12hip_bfloat16S3_S3_PKfS5_PKvPS1_S8_PvPKiSB_iiiiilll
                                        ; -- End function
	.section	.AMDGPU.csdata,"",@progbits
; Kernel info:
; codeLenInByte = 7376
; NumSgprs: 72
; NumVgprs: 108
; NumAgprs: 8
; TotalNumVgprs: 116
; ScratchSize: 0
; MemoryBound: 0
; FloatMode: 240
; IeeeMode: 1
; LDSByteSize: 40960 bytes/workgroup (compile time only)
; SGPRBlocks: 8
; VGPRBlocks: 14
; NumSGPRsForWavesPerEU: 72
; NumVGPRsForWavesPerEU: 116
; AccumOffset: 108
; Occupancy: 1
; WaveLimiterHint : 1
; COMPUTE_PGM_RSRC2:SCRATCH_EN: 0
; COMPUTE_PGM_RSRC2:USER_SGPR: 2
; COMPUTE_PGM_RSRC2:TRAP_HANDLER: 0
; COMPUTE_PGM_RSRC2:TGID_X_EN: 1
; COMPUTE_PGM_RSRC2:TGID_Y_EN: 1
; COMPUTE_PGM_RSRC2:TGID_Z_EN: 0
; COMPUTE_PGM_RSRC2:TIDIG_COMP_CNT: 0
; COMPUTE_PGM_RSRC3_GFX90A:ACCUM_OFFSET: 26
; COMPUTE_PGM_RSRC3_GFX90A:TG_SPLIT: 0
	.section	.text._ZN12_GLOBAL__N_139chunk_gated_delta_rule_fwd_h_hip_kernelILi16ELb0ELb0ELb0ELb0ELb0ELb0ELb0ELb0EEEvPK12hip_bfloat16S3_S3_PKfS5_PKvPS1_S8_PvPKiSB_iiiiilll,"axG",@progbits,_ZN12_GLOBAL__N_139chunk_gated_delta_rule_fwd_h_hip_kernelILi16ELb0ELb0ELb0ELb0ELb0ELb0ELb0ELb0EEEvPK12hip_bfloat16S3_S3_PKfS5_PKvPS1_S8_PvPKiSB_iiiiilll,comdat
	.globl	_ZN12_GLOBAL__N_139chunk_gated_delta_rule_fwd_h_hip_kernelILi16ELb0ELb0ELb0ELb0ELb0ELb0ELb0ELb0EEEvPK12hip_bfloat16S3_S3_PKfS5_PKvPS1_S8_PvPKiSB_iiiiilll ; -- Begin function _ZN12_GLOBAL__N_139chunk_gated_delta_rule_fwd_h_hip_kernelILi16ELb0ELb0ELb0ELb0ELb0ELb0ELb0ELb0EEEvPK12hip_bfloat16S3_S3_PKfS5_PKvPS1_S8_PvPKiSB_iiiiilll
	.p2align	8
	.type	_ZN12_GLOBAL__N_139chunk_gated_delta_rule_fwd_h_hip_kernelILi16ELb0ELb0ELb0ELb0ELb0ELb0ELb0ELb0EEEvPK12hip_bfloat16S3_S3_PKfS5_PKvPS1_S8_PvPKiSB_iiiiilll,@function
_ZN12_GLOBAL__N_139chunk_gated_delta_rule_fwd_h_hip_kernelILi16ELb0ELb0ELb0ELb0ELb0ELb0ELb0ELb0EEEvPK12hip_bfloat16S3_S3_PKfS5_PKvPS1_S8_PvPKiSB_iiiiilll: ; @_ZN12_GLOBAL__N_139chunk_gated_delta_rule_fwd_h_hip_kernelILi16ELb0ELb0ELb0ELb0ELb0ELb0ELb0ELb0EEEvPK12hip_bfloat16S3_S3_PKfS5_PKvPS1_S8_PvPKiSB_iiiiilll
; %bb.0:
	s_load_dwordx4 s[12:15], s[0:1], 0x5c
	s_load_dwordx2 s[36:37], s[0:1], 0x30
	s_abs_i32 s18, s3
	s_ashr_i32 s17, s3, 31
	s_load_dwordx8 s[4:11], s[0:1], 0x0
	s_waitcnt lgkmcnt(0)
	s_abs_i32 s16, s13
	v_cvt_f32_u32_e32 v1, s16
	s_sub_i32 s20, 0, s16
	s_ashr_i32 s19, s13, 31
	s_xor_b32 s17, s17, s19
	v_rcp_iflag_f32_e32 v1, v1
	v_lshrrev_b32_e32 v42, 6, v0
	v_bfe_u32 v43, v0, 4, 2
	v_lshlrev_b32_e32 v40, 4, v42
	v_mul_f32_e32 v1, 0x4f7ffffe, v1
	v_cvt_u32_f32_e32 v1, v1
	v_lshlrev_b32_e32 v2, 2, v43
	v_and_b32_e32 v41, 63, v0
	v_or_b32_e32 v46, v2, v40
	v_readfirstlane_b32 s21, v1
	s_mul_i32 s20, s20, s21
	s_mul_hi_u32 s20, s21, s20
	s_add_i32 s21, s21, s20
	s_mul_hi_u32 s20, s18, s21
	s_mul_i32 s21, s20, s16
	s_sub_i32 s18, s18, s21
	s_add_i32 s22, s20, 1
	s_sub_i32 s21, s18, s16
	s_cmp_ge_u32 s18, s16
	s_cselect_b32 s20, s22, s20
	s_cselect_b32 s18, s21, s18
	s_add_i32 s21, s20, 1
	s_cmp_ge_u32 s18, s16
	s_cselect_b32 s18, s21, s20
	s_xor_b32 s18, s18, s17
	s_sub_i32 s45, s18, s17
	s_abs_i32 s17, s14
	v_cvt_f32_u32_e32 v1, s17
	s_add_i32 s20, s12, 63
	s_mul_i32 s43, s45, s13
	s_sub_i32 s33, s3, s43
	v_rcp_iflag_f32_e32 v1, v1
	s_ashr_i32 s3, s20, 31
	s_ashr_i32 s44, s12, 31
	s_lshr_b32 s3, s3, 26
	v_mul_f32_e32 v1, 0x4f7ffffe, v1
	v_cvt_u32_f32_e32 v1, v1
	s_lshr_b32 s18, s44, 26
	s_add_i32 s20, s20, s3
	s_add_i32 s18, s12, s18
	s_ashr_i32 s47, s14, 31
	s_ashr_i32 s3, s20, 6
	;; [unrolled: 1-line block ×3, first 2 shown]
	s_xor_b32 s18, s19, s47
	s_sub_i32 s19, 0, s17
	v_readfirstlane_b32 s20, v1
	s_mul_i32 s19, s19, s20
	s_mul_hi_u32 s19, s20, s19
	s_add_i32 s20, s20, s19
	s_mul_hi_u32 s19, s16, s20
	s_mul_i32 s20, s19, s17
	s_sub_i32 s16, s16, s20
	s_add_i32 s20, s19, 1
	s_sub_i32 s21, s16, s17
	s_cmp_ge_u32 s16, s17
	s_cselect_b32 s19, s20, s19
	s_cselect_b32 s16, s21, s16
	s_add_i32 s20, s19, 1
	s_cmp_ge_u32 s16, s17
	s_cselect_b32 s16, s20, s19
	s_xor_b32 s16, s16, s18
	s_sub_i32 s20, s16, s18
	s_abs_i32 s21, s20
	v_cvt_f32_u32_e32 v1, s21
	s_load_dwordx2 s[28:29], s[0:1], 0x80
	s_load_dwordx4 s[16:19], s[0:1], 0x70
	s_xor_b32 s0, s33, s20
	s_sub_i32 s20, 0, s21
	v_rcp_iflag_f32_e32 v1, v1
	s_abs_i32 s1, s33
	s_ashr_i32 s0, s0, 31
	s_mul_i32 s48, s45, s3
	v_mul_f32_e32 v1, 0x4f7ffffe, v1
	v_cvt_u32_f32_e32 v1, v1
	v_or_b32_e32 v47, 64, v46
	v_mov_b32_e32 v3, 0
	s_mul_hi_i32 s49, s45, s13
	v_readfirstlane_b32 s22, v1
	s_mul_i32 s20, s20, s22
	s_mul_hi_u32 s20, s22, s20
	s_add_i32 s22, s22, s20
	s_mul_hi_u32 s20, s1, s22
	s_mul_i32 s22, s20, s21
	s_sub_i32 s1, s1, s22
	s_add_i32 s22, s20, 1
	s_sub_i32 s23, s1, s21
	s_cmp_ge_u32 s1, s21
	s_cselect_b32 s20, s22, s20
	s_cselect_b32 s1, s23, s1
	s_add_i32 s22, s20, 1
	s_cmp_ge_u32 s1, s21
	s_cselect_b32 s1, s22, s20
	s_xor_b32 s1, s1, s0
	s_sub_i32 s50, s1, s0
	s_lshl_b32 s30, s2, 4
	v_and_b32_e32 v1, 15, v0
	s_cmp_lt_i32 s12, 64
	v_lshrrev_b32_e32 v45, 3, v41
	v_lshlrev_b32_e32 v44, 3, v0
	s_waitcnt lgkmcnt(0)
	s_mul_i32 s17, s45, s17
	s_mul_hi_u32 s42, s45, s16
	s_mul_i32 s34, s45, s16
	v_mov_b32_e32 v59, 0
	v_mov_b32_e32 v34, 0
	;; [unrolled: 1-line block ×7, first 2 shown]
	s_cbranch_scc1 .LBB768_18
; %bb.1:
	s_ashr_i32 s24, s45, 31
	s_ashr_i32 s52, s33, 31
	s_add_u32 s0, s43, s33
	s_addc_u32 s1, s49, s52
	s_mul_i32 s1, s12, s1
	s_mul_hi_u32 s2, s12, s0
	s_add_i32 s3, s2, s1
	s_mul_i32 s2, s12, s0
	s_lshl_b64 s[0:1], s[2:3], 8
	v_and_b32_e32 v49, 56, v44
	s_add_u32 s20, s6, s0
	v_lshl_or_b32 v48, v42, 3, v45
	v_lshlrev_b32_e32 v3, 1, v49
	s_addc_u32 s0, s7, s1
	v_lshl_or_b32 v50, v48, 8, v3
	s_and_b32 s21, s0, 0xffff
	s_mov_b32 s23, 0x20000
	s_movk_i32 s22, 0x4000
	s_movk_i32 s0, 0x80
	v_or_b32_e32 v51, 0x2000, v50
	buffer_load_dwordx4 v[4:7], v50, s[20:23], 0 offen
	buffer_load_dwordx4 v[8:11], v50, s[20:23], s0 offen
	buffer_load_dwordx4 v[12:15], v51, s[20:23], 0 offen
	buffer_load_dwordx4 v[16:19], v51, s[20:23], s0 offen
	v_lshlrev_b32_e32 v20, 3, v48
	v_and_or_b32 v22, v0, 7, v20
	v_and_b32_e32 v20, 0x78, v20
	v_lshlrev_b32_e32 v22, 4, v22
	v_xor_b32_e32 v52, v22, v20
	v_mul_lo_u32 v21, v48, s15
	v_or_b32_e32 v53, 0x1000, v52
	s_cmpk_eq_i32 s15, 0x80
	s_mov_b32 s51, s14
	v_xor_b32_e32 v20, 8, v52
	v_xor_b32_e32 v22, 8, v53
	s_cselect_b64 s[0:1], -1, 0
	s_cmpk_lg_i32 s15, 0x80
	s_waitcnt vmcnt(3)
	ds_write_b64 v52, v[4:5] offset:16384
	ds_write_b64 v20, v[6:7] offset:16384
	s_waitcnt vmcnt(2)
	ds_write_b64 v52, v[8:9] offset:24576
	ds_write_b64 v20, v[10:11] offset:24576
	;; [unrolled: 3-line block ×4, first 2 shown]
	v_lshl_add_u32 v4, v21, 1, v49
	s_cbranch_scc0 .LBB768_3
; %bb.2:
	v_lshlrev_b32_e32 v6, 1, v4
	v_add_lshl_u32 v5, v4, s15, 1
	s_lshl_b32 s22, s15, 7
	v_lshl_or_b32 v3, v48, 9, v3
	s_cbranch_execz .LBB768_4
	s_branch .LBB768_5
.LBB768_3:
                                        ; implicit-def: $vgpr5
                                        ; implicit-def: $vgpr6
                                        ; implicit-def: $sgpr22
	v_lshl_or_b32 v3, v48, 9, v3
.LBB768_4:
	v_or_b32_e32 v5, 0x100, v3
	s_movk_i32 s22, 0x4000
	v_mov_b32_e32 v6, v3
.LBB768_5:
	s_mul_hi_u32 s20, s14, s12
	s_mul_i32 s21, s47, s12
	s_add_i32 s20, s20, s21
	s_mul_i32 s21, s14, s12
	s_mul_i32 s23, s21, s24
	s_mul_hi_u32 s25, s21, s45
	s_add_i32 s23, s25, s23
	s_mul_i32 s20, s20, s45
	s_add_i32 s23, s23, s20
	s_mul_i32 s21, s21, s45
	s_ashr_i32 s53, s50, 31
	s_add_u32 s20, s21, s50
	s_addc_u32 s21, s23, s53
	s_lshl_b64 s[20:21], s[20:21], 8
	s_add_u32 s20, s4, s20
	s_addc_u32 s21, s5, s21
	s_and_b32 s21, s21, 0xffff
	s_mov_b32 s23, 0x20000
	s_movk_i32 s54, 0x80
	buffer_load_dwordx4 v[8:11], v6, s[20:23], 0 offen
	buffer_load_dwordx4 v[12:15], v6, s[20:23], s54 offen
	;; [unrolled: 1-line block ×4, first 2 shown]
	v_and_b32_e32 v5, 6, v0
	s_mul_i32 s20, s24, s12
	s_mul_hi_u32 s21, s45, s12
	v_lshlrev_b32_e32 v7, 2, v1
	v_lshlrev_b32_e32 v24, 3, v1
	v_xor_b32_e32 v26, v48, v5
	v_and_b32_e32 v6, 1, v0
	s_mul_i32 s24, s24, s16
	v_lshl_or_b32 v24, v46, 5, v24
	v_xor_b32_e32 v27, v46, v7
	v_lshlrev_b32_e32 v26, 2, v26
	s_add_i32 s59, s21, s20
	s_add_i32 s20, s42, s17
	v_or_b32_e32 v54, 0x9000, v24
	v_or_b32_e32 v55, 0x9800, v24
	v_lshlrev_b32_e32 v24, 1, v27
	v_xor_b32_e32 v27, 0x440, v26
	v_cmp_eq_u32_e32 vcc, 0, v6
	s_add_i32 s35, s20, s24
	s_mul_i32 s20, s33, s19
	s_mul_hi_u32 s21, s33, s18
	v_cndmask_b32_e32 v6, v27, v26, vcc
	s_add_i32 s20, s21, s20
	s_mul_i32 s21, s52, s18
	s_mov_b32 s56, 0x1000504
	v_lshlrev_b32_e32 v25, 8, v1
	s_mov_b32 s22, 0x8000
	v_xor_b32_e32 v7, v47, v7
	v_lshl_or_b32 v5, v5, 10, v6
	s_add_i32 s21, s20, s21
	s_lshl_b64 s[24:25], s[34:35], 2
	s_mov_b32 s57, 0x3020706
	v_lshlrev_b32_e32 v7, 1, v7
	v_or3_b32 v56, v24, v25, s22
	v_xor_b32_e32 v6, 8, v5
	v_xor_b32_e32 v24, 24, v5
	;; [unrolled: 1-line block ×4, first 2 shown]
	s_mul_i32 s20, s33, s18
	s_add_u32 s24, s10, s24
	v_or3_b32 v57, v7, v25, s22
	v_xor_b32_e32 v7, 16, v5
	v_xor_b32_e32 v25, 32, v5
	;; [unrolled: 1-line block ×3, first 2 shown]
	v_add_u32_e32 v6, 0x80, v6
	v_add_u32_e32 v24, 0x80, v24
	;; [unrolled: 1-line block ×4, first 2 shown]
	s_addc_u32 s25, s11, s25
	s_lshl_b64 s[20:21], s[20:21], 2
	s_add_u32 s38, s24, s20
	s_movk_i32 s20, 0xf8
	s_addc_u32 s39, s25, s21
	s_ashr_i32 s31, s30, 31
	s_lshl_b32 s26, s15, 7
	v_mov_b32_e32 v35, 0
	s_mov_b32 s55, 0
	s_mul_i32 s58, s45, s12
	v_add_u32_e32 v76, v40, v2
	v_mov_b32_e32 v77, 0x3fb8aa3b
	s_mov_b32 s60, 0
	v_mov_b32_e32 v60, v35
	v_mov_b32_e32 v61, v35
	;; [unrolled: 1-line block ×6, first 2 shown]
	s_waitcnt vmcnt(1)
	v_perm_b32 v29, v8, v16, s56
	s_waitcnt vmcnt(0)
	v_perm_b32 v30, v12, v20, s56
	v_perm_b32 v8, v8, v16, s57
	;; [unrolled: 1-line block ×15, first 2 shown]
	ds_write2st64_b32 v5, v29, v30 offset1:32
	ds_write2st64_b32 v6, v8, v12 offset1:32
	ds_write2st64_b32 v7, v16, v20 offset0:1 offset1:33
	ds_write2st64_b32 v24, v9, v13 offset0:1 offset1:33
	;; [unrolled: 1-line block ×6, first 2 shown]
	v_or_b32_e32 v5, v40, v1
	v_lshlrev_b32_e32 v5, 3, v5
	v_lshrrev_b32_e32 v7, 5, v41
	v_and_or_b32 v7, v5, s20, v7
	v_lshlrev_b32_e32 v7, 4, v7
	v_lshlrev_b32_e32 v8, 11, v42
	v_and_b32_e32 v5, 0x78, v5
	v_or_b32_e32 v12, 32, v7
	v_and_b32_e32 v6, 0x1000, v8
	v_lshrrev_b32_e32 v10, 1, v0
	v_xor_b32_e32 v12, v12, v5
	v_and_b32_e32 v11, 8, v10
	v_or_b32_e32 v12, v12, v6
	v_xor_b32_e32 v9, v7, v5
	v_xor_b32_e32 v64, v12, v11
	v_or_b32_e32 v12, 64, v7
	v_or_b32_e32 v7, 0x60, v7
	;; [unrolled: 1-line block ×3, first 2 shown]
	v_xor_b32_e32 v12, v12, v5
	v_xor_b32_e32 v5, v7, v5
	;; [unrolled: 1-line block ×3, first 2 shown]
	v_and_b32_e32 v9, 0x78, v44
	v_or_b32_e32 v5, v5, v6
	v_lshl_or_b32 v9, v43, 7, v9
	v_or_b32_e32 v12, v12, v6
	v_xor_b32_e32 v66, v5, v11
	v_lshlrev_b32_e32 v5, 1, v1
	v_or_b32_e32 v63, 0x9000, v9
	v_xor_b32_e32 v65, v12, v11
	v_or_b32_e32 v67, 0x9800, v9
	v_lshlrev_b32_e32 v9, 1, v4
	v_add_lshl_u32 v11, v4, s15, 1
	v_lshrrev_b32_e32 v4, 4, v0
	s_lshl_b64 s[20:21], s[30:31], 8
	v_or_b32_e32 v13, 1, v5
	s_add_u32 s20, s36, s20
	v_xor_b32_e32 v5, v4, v5
	v_xor_b32_e32 v13, v13, v4
	s_addc_u32 s21, s37, s21
	v_lshlrev_b32_e32 v5, 3, v5
	v_lshlrev_b32_e32 v34, 8, v4
	;; [unrolled: 1-line block ×3, first 2 shown]
	v_or3_b32 v68, v5, v34, s22
	v_or3_b32 v69, v4, v34, s22
	v_lshl_add_u64 v[4:5], s[20:21], 0, v[34:35]
	v_lshlrev_b32_e32 v34, 4, v1
	s_movk_i32 s20, 0xff
	v_lshlrev_b32_e32 v15, 3, v42
	v_and_b32_e32 v10, 24, v10
	v_lshl_add_u64 v[36:37], v[4:5], 0, v[34:35]
	v_and_b32_e32 v5, 8, v0
	v_cmp_lt_u32_e32 vcc, s20, v0
	v_xor_b32_e32 v16, v15, v10
	v_or_b32_e32 v17, 0x440, v16
	v_cndmask_b32_e64 v14, 0, 1, vcc
	v_cmp_eq_u32_e32 vcc, 0, v5
	v_and_b32_e32 v4, 7, v0
	v_lshlrev_b32_e32 v13, 3, v4
	v_cndmask_b32_e32 v5, v17, v16, vcc
	v_lshlrev_b32_e32 v4, 7, v4
	v_or_b32_e32 v5, v5, v8
	v_xad_u32 v70, v5, v13, v4
	v_or_b32_e32 v5, 32, v10
	v_xor_b32_e32 v5, v15, v5
	v_or_b32_e32 v16, 0x440, v5
	v_cndmask_b32_e32 v5, v16, v5, vcc
	v_or_b32_e32 v5, v5, v8
	v_xad_u32 v71, v5, v13, v4
	v_or_b32_e32 v5, 64, v10
	v_xor_b32_e32 v5, v15, v5
	v_xor_b32_e32 v16, 0x440, v5
	v_cndmask_b32_e32 v5, v16, v5, vcc
	v_or_b32_e32 v5, v5, v8
	v_xad_u32 v72, v5, v13, v4
	v_or_b32_e32 v5, 0x60, v10
	v_xor_b32_e32 v5, v15, v5
	v_xor_b32_e32 v10, 0x440, v5
	v_or_b32_e32 v6, s30, v1
	v_cndmask_b32_e32 v5, v10, v5, vcc
	v_ashrrev_i32_e32 v7, 31, v6
	v_or_b32_e32 v5, v5, v8
	v_lshl_add_u64 v[6:7], v[6:7], 1, s[8:9]
	v_or_b32_e32 v12, 0x100, v3
	v_lshlrev_b32_e32 v14, 13, v14
	v_xad_u32 v73, v5, v13, v4
	v_lshlrev_b32_e32 v34, 8, v46
	v_cndmask_b32_e64 v74, v9, v3, s[0:1]
	v_cndmask_b32_e64 v75, v11, v12, s[0:1]
	v_lshl_add_u64 v[38:39], v[6:7], 0, v[34:35]
	s_mov_b32 s31, 0x7060302
	s_movk_i32 s22, 0x4000
	v_add_u32_e32 v78, v14, v70
	v_add_u32_e32 v79, v14, v71
	;; [unrolled: 1-line block ×4, first 2 shown]
	v_mov_b32_e32 v34, v35
	s_waitcnt lgkmcnt(0)
	s_barrier
.LBB768_6:                              ; =>This Inner Loop Header: Depth=1
	s_add_i32 s35, s60, 1
	s_cmp_lt_i32 s35, s46
	s_mov_b64 s[24:25], 0
	s_cselect_b64 s[40:41], -1, 0
	s_cmp_ge_i32 s35, s46
	s_mov_b64 s[20:21], 0
	s_cbranch_scc1 .LBB768_8
; %bb.7:                                ;   in Loop: Header=BB768_6 Depth=1
	s_add_i32 s0, s55, 64
	s_add_u32 s0, s2, s0
	s_addc_u32 s1, s3, 0
	s_lshl_b64 s[0:1], s[0:1], 8
	s_add_u32 s20, s6, s0
	s_addc_u32 s21, s7, s1
.LBB768_8:                              ;   in Loop: Header=BB768_6 Depth=1
	v_cndmask_b32_e64 v2, 0, 1, s[40:41]
	v_cmp_ne_u32_e64 s[0:1], 1, v2
	s_andn2_b64 vcc, exec, s[40:41]
	s_cbranch_vccnz .LBB768_10
; %bb.9:                                ;   in Loop: Header=BB768_6 Depth=1
	s_add_i32 s24, s55, 64
	s_add_u32 s24, s58, s24
	s_addc_u32 s25, s59, 0
	s_mul_i32 s27, s24, s47
	s_mul_hi_u32 s40, s24, s51
	s_add_i32 s27, s40, s27
	s_mul_i32 s25, s25, s51
	s_add_i32 s27, s27, s25
	s_mul_i32 s24, s24, s51
	s_add_u32 s24, s24, s50
	s_addc_u32 s25, s27, s53
	s_lshl_b64 s[24:25], s[24:25], 8
	s_add_u32 s24, s4, s24
	s_addc_u32 s25, s5, s25
.LBB768_10:                             ;   in Loop: Header=BB768_6 Depth=1
	v_perm_b32 v3, v83, v61, s31
	v_perm_b32 v2, v60, v35, s31
	;; [unrolled: 1-line block ×4, first 2 shown]
	ds_write_b64 v54, v[2:3]
	ds_write_b64 v55, v[4:5]
	;; [unrolled: 1-line block ×4, first 2 shown]
	s_waitcnt lgkmcnt(0)
	s_barrier
	ds_read_b64 v[10:11], v62 offset:16384
	ds_read_b64 v[12:13], v64 offset:16384
	ds_read2st64_b64 v[2:5], v63 offset1:1
	ds_read2st64_b64 v[6:9], v63 offset0:2 offset1:3
	ds_read_b64 v[14:15], v65 offset:16384
	s_waitcnt lgkmcnt(2)
	v_mfma_f32_16x16x16_bf16 a[0:3], v[10:11], v[2:3], 0
	ds_read_b64 v[2:3], v66 offset:16384
	s_add_i32 s27, s55, 63
	s_mul_i32 s40, s27, s29
	v_mfma_f32_16x16x16_bf16 a[0:3], v[12:13], v[4:5], a[0:3]
	s_mul_hi_u32 s41, s27, s28
	s_add_i32 s41, s41, s40
	s_mul_i32 s40, s27, s28
	s_waitcnt lgkmcnt(1)
	v_mfma_f32_16x16x16_bf16 a[0:3], v[14:15], v[6:7], a[0:3]
	s_lshl_b64 s[40:41], s[40:41], 2
	s_add_u32 s40, s38, s40
	s_addc_u32 s41, s39, s41
	s_waitcnt lgkmcnt(0)
	v_mfma_f32_16x16x16_bf16 a[0:3], v[2:3], v[8:9], a[0:3]
	s_and_b64 vcc, exec, s[0:1]
	v_mov_b32_e32 v86, 0
	v_mov_b32_e32 v85, 0
	;; [unrolled: 1-line block ×19, first 2 shown]
	s_cbranch_vccnz .LBB768_12
; %bb.11:                               ;   in Loop: Header=BB768_6 Depth=1
	s_and_b32 s21, s21, 0xffff
	buffer_load_dwordx4 v[14:17], v50, s[20:23], 0 offen
	buffer_load_dwordx4 v[10:13], v50, s[20:23], s54 offen
	;; [unrolled: 1-line block ×4, first 2 shown]
	v_mov_b32_e32 v85, v52
	v_mov_b32_e32 v84, v53
.LBB768_12:                             ;   in Loop: Header=BB768_6 Depth=1
	s_waitcnt vmcnt(3)
	v_add_u32_e32 v24, s55, v76
	s_waitcnt vmcnt(1)
	v_ashrrev_i32_e32 v18, 31, v24
	v_mul_lo_u32 v20, v18, s28
	v_mul_lo_u32 v21, v24, s29
	v_mad_u64_u32 v[18:19], s[20:21], v24, s28, 0
	v_add3_u32 v19, v19, v21, v20
	v_add_u32_e32 v20, 1, v24
	v_ashrrev_i32_e32 v21, 31, v20
	v_mul_lo_u32 v22, v21, s28
	v_mul_lo_u32 v23, v20, s29
	v_mad_u64_u32 v[20:21], s[20:21], v20, s28, 0
	v_add3_u32 v21, v21, v23, v22
	v_add_u32_e32 v22, 2, v24
	v_ashrrev_i32_e32 v23, 31, v22
	v_mul_lo_u32 v25, v23, s28
	v_mul_lo_u32 v26, v22, s29
	v_mad_u64_u32 v[22:23], s[20:21], v22, s28, 0
	v_add_u32_e32 v24, 3, v24
	v_add3_u32 v23, v23, v26, v25
	v_ashrrev_i32_e32 v25, 31, v24
	v_mul_lo_u32 v28, v25, s28
	v_mul_lo_u32 v29, v24, s29
	v_mad_u64_u32 v[24:25], s[20:21], v24, s28, 0
	s_add_u32 s20, s2, s55
	s_addc_u32 s21, s3, 0
	s_lshl_b64 s[20:21], s[20:21], 8
	v_lshl_add_u64 v[18:19], v[18:19], 2, s[38:39]
	v_lshl_add_u64 v[20:21], v[20:21], 2, s[38:39]
	v_lshl_add_u64 v[26:27], v[38:39], 0, s[20:21]
	v_add3_u32 v25, v25, v29, v28
	v_lshl_add_u64 v[22:23], v[22:23], 2, s[38:39]
	global_load_ushort v92, v[26:27], off
	global_load_ushort v93, v[26:27], off offset:256
	global_load_ushort v94, v[26:27], off offset:512
	;; [unrolled: 1-line block ×3, first 2 shown]
	global_load_dword v96, v[18:19], off
	v_lshl_add_u64 v[18:19], v[24:25], 2, s[38:39]
	global_load_dword v97, v[20:21], off
	global_load_dword v98, v[22:23], off
	;; [unrolled: 1-line block ×3, first 2 shown]
	s_load_dword s20, s[40:41], 0x0
	ds_read2st64_b64 v[24:27], v67 offset1:1
	ds_read2st64_b64 v[28:31], v67 offset0:2 offset1:3
	ds_read_b64 v[22:23], v62 offset:24576
	ds_read_b64 v[32:33], v64 offset:24576
	;; [unrolled: 1-line block ×4, first 2 shown]
	s_waitcnt lgkmcnt(0)
	v_mfma_f32_16x16x16_bf16 a[0:3], v[22:23], v[24:25], a[0:3]
	v_mov_b32_e32 v87, 0
	v_mov_b32_e32 v18, 0
	v_mov_b32_e32 v19, 0
	v_mfma_f32_16x16x16_bf16 a[0:3], v[32:33], v[26:27], a[0:3]
	v_mov_b32_e32 v20, 0
	v_mov_b32_e32 v21, 0
	v_mov_b32_e32 v22, 0
	;; [unrolled: 4-line block ×4, first 2 shown]
	v_mov_b32_e32 v29, 0
	s_and_b64 vcc, exec, s[0:1]
	s_waitcnt vmcnt(7)
	v_lshlrev_b32_e32 v88, 16, v92
	s_waitcnt vmcnt(6)
	v_lshlrev_b32_e32 v89, 16, v93
	;; [unrolled: 2-line block ×4, first 2 shown]
	s_waitcnt vmcnt(3)
	v_sub_f32_e32 v92, s20, v96
	s_waitcnt vmcnt(2)
	v_sub_f32_e32 v93, s20, v97
	;; [unrolled: 2-line block ×4, first 2 shown]
	v_mul_f32_e32 v92, 0x3fb8aa3b, v92
	v_mul_f32_e32 v93, 0x3fb8aa3b, v93
	v_mul_f32_e32 v94, 0x3fb8aa3b, v94
	v_mul_f32_e32 v95, 0x3fb8aa3b, v95
	v_exp_f32_e32 v92, v92
	v_exp_f32_e32 v93, v93
	;; [unrolled: 1-line block ×4, first 2 shown]
	v_accvgpr_read_b32 v33, a1
	v_accvgpr_read_b32 v31, a3
	v_accvgpr_read_b32 v30, a2
	v_accvgpr_read_b32 v32, a0
	v_pk_add_f32 v[32:33], v[88:89], v[32:33] neg_lo:[0,1] neg_hi:[0,1]
	v_pk_add_f32 v[30:31], v[90:91], v[30:31] neg_lo:[0,1] neg_hi:[0,1]
	v_pk_mul_f32 v[32:33], v[92:93], v[32:33]
	v_pk_mul_f32 v[30:31], v[94:95], v[30:31]
	s_nop 0
	v_perm_b32 v31, v31, v30, s31
	v_perm_b32 v30, v33, v32, s31
	ds_write_b64 v55, v[30:31]
	v_mov_b32_e32 v30, 0
	v_mov_b32_e32 v31, 0
	;; [unrolled: 1-line block ×4, first 2 shown]
	s_cbranch_vccnz .LBB768_14
; %bb.13:                               ;   in Loop: Header=BB768_6 Depth=1
	s_and_b32 s25, s25, 0xffff
	s_mov_b32 s27, s23
	buffer_load_dwordx4 v[30:33], v74, s[24:27], 0 offen
	buffer_load_dwordx4 v[22:25], v74, s[24:27], s54 offen
	;; [unrolled: 1-line block ×4, first 2 shown]
	v_mov_b32_e32 v86, v49
	v_mov_b32_e32 v87, v48
.LBB768_14:                             ;   in Loop: Header=BB768_6 Depth=1
	s_waitcnt lgkmcnt(0)
	s_barrier
	ds_read_b64 v[96:97], v78
	ds_read2st64_b64 v[88:91], v67 offset1:1
	ds_read2st64_b64 v[92:95], v67 offset0:2 offset1:3
	ds_read_b64 v[98:99], v79
	ds_read_b64 v[100:101], v80
	;; [unrolled: 1-line block ×3, first 2 shown]
	s_waitcnt lgkmcnt(4)
	v_mfma_f32_16x16x16_bf16 a[0:3], v[96:97], v[88:89], 0
	ds_read_b64 v[96:97], v70 offset:8192
	ds_read_b64 v[104:105], v71 offset:8192
	s_add_i32 s21, s48, s60
	s_mul_hi_i32 s25, s21, s13
	s_waitcnt lgkmcnt(1)
	v_mfma_f32_16x16x16_bf16 a[4:7], v[96:97], v[88:89], 0
	s_mul_i32 s21, s21, s13
	s_add_u32 s24, s21, s33
	s_addc_u32 s25, s25, s52
	v_mfma_f32_16x16x16_bf16 a[0:3], v[98:99], v[90:91], a[0:3]
	ds_read_b64 v[96:97], v68
	ds_read_b64 v[98:99], v69
	ds_read_b64 v[88:89], v72 offset:8192
	s_lshl_b64 s[24:25], s[24:25], 15
	v_mfma_f32_16x16x16_bf16 a[0:3], v[100:101], v[92:93], a[0:3]
	ds_read_b64 v[100:101], v73 offset:8192
	s_and_b64 vcc, exec, s[0:1]
	s_waitcnt lgkmcnt(4)
	v_mfma_f32_16x16x16_bf16 a[4:7], v[104:105], v[90:91], a[4:7]
	s_waitcnt lgkmcnt(1)
	v_mfma_f32_16x16x16_bf16 a[4:7], v[88:89], v[92:93], a[4:7]
	v_lshl_add_u64 v[88:89], v[36:37], 0, s[24:25]
	global_store_dwordx4 v[88:89], v[96:99], off
	v_mfma_f32_16x16x16_bf16 a[0:3], v[102:103], v[94:95], a[0:3]
	s_waitcnt lgkmcnt(0)
	v_mfma_f32_16x16x16_bf16 a[4:7], v[100:101], v[94:95], a[4:7]
	s_cbranch_vccnz .LBB768_16
; %bb.15:                               ;   in Loop: Header=BB768_6 Depth=1
	v_lshrrev_b32_e32 v88, 3, v86
	v_and_b32_e32 v88, 6, v88
	v_xor_b32_e32 v87, v88, v87
	v_lshlrev_b32_e32 v87, 2, v87
	v_and_b32_e32 v86, 8, v86
	v_xor_b32_e32 v89, 0x440, v87
	v_cmp_eq_u32_e32 vcc, 0, v86
	s_barrier
	s_nop 0
	v_cndmask_b32_e32 v86, v89, v87, vcc
	v_lshl_or_b32 v86, v88, 10, v86
	s_waitcnt vmcnt(2)
	v_perm_b32 v87, v30, v26, s56
	s_waitcnt vmcnt(1)
	v_perm_b32 v88, v22, v18, s56
	ds_write2st64_b32 v86, v87, v88 offset1:32
	v_xor_b32_e32 v87, 8, v86
	v_perm_b32 v26, v30, v26, s57
	v_perm_b32 v18, v22, v18, s57
	v_add_u32_e32 v22, 0x80, v87
	ds_write2st64_b32 v22, v26, v18 offset1:32
	v_xor_b32_e32 v18, 16, v86
	v_perm_b32 v22, v31, v27, s56
	v_perm_b32 v26, v23, v19, s56
	ds_write2st64_b32 v18, v22, v26 offset0:1 offset1:33
	v_xor_b32_e32 v18, 24, v86
	v_perm_b32 v22, v31, v27, s57
	v_perm_b32 v19, v23, v19, s57
	v_add_u32_e32 v18, 0x80, v18
	ds_write2st64_b32 v18, v22, v19 offset0:1 offset1:33
	v_xor_b32_e32 v18, 32, v86
	v_perm_b32 v19, v32, v28, s56
	v_perm_b32 v22, v24, v20, s56
	ds_write2st64_b32 v18, v19, v22 offset0:2 offset1:34
	v_xor_b32_e32 v18, 40, v86
	v_perm_b32 v19, v32, v28, s57
	v_perm_b32 v20, v24, v20, s57
	v_add_u32_e32 v18, 0x80, v18
	ds_write2st64_b32 v18, v19, v20 offset0:2 offset1:34
	;; [unrolled: 9-line block ×3, first 2 shown]
	ds_write_b64 v85, v[14:15] offset:16384
	v_xor_b32_e32 v14, 8, v85
	ds_write_b64 v14, v[16:17] offset:16384
	ds_write_b64 v85, v[10:11] offset:24576
	;; [unrolled: 1-line block ×4, first 2 shown]
	v_xor_b32_e32 v6, 8, v84
	ds_write_b64 v6, v[8:9] offset:16384
	ds_write_b64 v84, v[2:3] offset:24576
	;; [unrolled: 1-line block ×3, first 2 shown]
.LBB768_16:                             ;   in Loop: Header=BB768_6 Depth=1
	v_mul_f32_e32 v2, s20, v77
	v_exp_f32_e32 v2, v2
	s_nop 1
	v_accvgpr_read_b32 v3, a0
	v_accvgpr_read_b32 v4, a1
	s_add_i32 s55, s55, 64
	v_fma_f32 v35, v35, v2, v3
	v_accvgpr_read_b32 v3, a2
	v_fma_f32 v61, v61, v2, v3
	v_accvgpr_read_b32 v3, a4
	;; [unrolled: 2-line block ×6, first 2 shown]
	v_fmac_f32_e32 v4, v83, v2
	s_cmp_eq_u32 s46, s35
	v_fmac_f32_e32 v3, v82, v2
	s_cbranch_scc1 .LBB768_18
; %bb.17:                               ;   in Loop: Header=BB768_6 Depth=1
	s_mov_b32 s60, s35
	v_mov_b32_e32 v83, v4
	v_mov_b32_e32 v82, v3
	s_branch .LBB768_6
.LBB768_18:
	s_lshl_b32 s40, s46, 6
	s_sub_i32 s41, s12, s40
	s_cmp_gt_i32 s41, 0
	s_cbranch_scc0 .LBB768_75
; %bb.19:
	s_ashr_i32 s35, s45, 31
	s_ashr_i32 s2, s40, 31
	s_cmpk_lg_i32 s15, 0x80
	s_cselect_b64 s[26:27], -1, 0
	s_and_b64 vcc, exec, s[26:27]
	s_cbranch_vccz .LBB768_21
; %bb.20:
	s_mul_i32 s1, s45, s12
	s_mul_hi_i32 s0, s45, s12
	s_add_u32 s1, s1, s40
	s_addc_u32 s0, s0, s2
	s_mul_i32 s3, s1, s47
	s_mul_hi_u32 s20, s1, s14
	s_add_i32 s3, s20, s3
	s_mul_i32 s0, s0, s14
	s_add_i32 s3, s3, s0
	s_mul_i32 s1, s1, s14
	s_ashr_i32 s0, s50, 31
	s_add_u32 s38, s1, s50
	s_addc_u32 s39, s3, s0
	s_cbranch_execz .LBB768_22
	s_branch .LBB768_23
.LBB768_21:
                                        ; implicit-def: $sgpr38_sgpr39
.LBB768_22:
	s_mul_hi_i32 s0, s45, s14
	s_mul_i32 s45, s45, s14
	s_ashr_i32 s1, s50, 31
	s_add_u32 s3, s45, s50
	s_addc_u32 s0, s0, s1
	s_mul_i32 s1, s3, s44
	s_mul_hi_u32 s14, s3, s12
	s_add_i32 s1, s14, s1
	s_mul_i32 s0, s0, s12
	s_add_i32 s1, s1, s0
	s_mul_i32 s3, s3, s12
	s_add_u32 s38, s3, s40
	s_addc_u32 s39, s1, s2
.LBB768_23:
	s_add_i32 s3, s48, s46
	s_ashr_i32 s14, s33, 31
	s_add_u32 s0, s43, s33
	s_addc_u32 s1, s49, s14
	s_mul_i32 s20, s0, s44
	s_mul_hi_u32 s21, s0, s12
	s_add_i32 s20, s21, s20
	s_mul_i32 s1, s1, s12
	s_add_i32 s20, s20, s1
	s_mul_i32 s0, s0, s12
	s_add_u32 s0, s0, s40
	s_addc_u32 s1, s20, s2
	s_mov_b32 s2, 0x7060302
	v_lshlrev_b32_e32 v6, 3, v1
	v_perm_b32 v5, v4, v61, s2
	v_perm_b32 v4, v60, v35, s2
	;; [unrolled: 1-line block ×4, first 2 shown]
	v_lshlrev_b32_e32 v34, 2, v1
	v_lshl_or_b32 v6, v46, 5, v6
	s_lshl_b64 s[24:25], s[0:1], 8
	ds_write2st64_b64 v6, v[4:5], v[2:3] offset0:72 offset1:76
	v_xor_b32_e32 v6, v46, v34
	v_lshlrev_b32_e32 v7, 8, v1
	s_add_u32 s0, s6, s24
	v_lshl_or_b32 v6, v6, 1, v7
	s_addc_u32 s1, s7, s25
	ds_write_b64 v6, v[4:5] offset:32768
	v_xor_b32_e32 v4, v47, v34
	s_mul_hi_i32 s6, s3, s13
	s_mul_i32 s3, s3, s13
	v_lshl_or_b32 v4, v4, 1, v7
	s_add_u32 s2, s3, s33
	ds_write_b64 v4, v[2:3] offset:32768
	s_addc_u32 s3, s6, s14
	v_lshlrev_b32_e32 v3, 1, v1
	v_lshrrev_b32_e32 v2, 4, v0
	s_ashr_i32 s31, s30, 31
	s_lshl_b64 s[2:3], s[2:3], 15
	v_or_b32_e32 v4, 1, v3
	s_add_u32 s6, s36, s2
	v_xor_b32_e32 v3, v2, v3
	v_xor_b32_e32 v4, v4, v2
	v_lshlrev_b32_e32 v6, 8, v2
	s_addc_u32 s7, s37, s3
	s_lshl_b64 s[2:3], s[30:31], 8
	v_lshl_or_b32 v2, v3, 3, v6
	v_lshl_or_b32 v4, v4, 3, v6
	s_waitcnt lgkmcnt(0)
	s_barrier
	s_add_u32 s2, s6, s2
	ds_read_b64 v[2:3], v2 offset:32768
	ds_read_b64 v[4:5], v4 offset:32768
	s_addc_u32 s3, s7, s3
	v_mov_b32_e32 v7, 0
	s_cmp_lg_u32 s41, 64
	v_lshl_add_u64 v[8:9], s[2:3], 0, v[6:7]
	v_lshlrev_b32_e32 v6, 4, v1
	s_cselect_b64 s[6:7], -1, 0
	v_lshl_or_b32 v35, v42, 3, v45
	s_mov_b32 s20, 0
	v_lshl_add_u64 v[6:7], v[8:9], 0, v[6:7]
	s_waitcnt vmcnt(1)
	v_or_b32_e32 v19, 32, v35
	v_and_b32_e32 v18, 56, v44
	s_and_b64 vcc, exec, s[6:7]
	s_waitcnt lgkmcnt(0)
	global_store_dwordx4 v[6:7], v[2:5], off
	s_cbranch_vccz .LBB768_29
; %bb.24:
	s_mov_b32 s21, s20
	s_mov_b32 s22, s20
	;; [unrolled: 1-line block ×3, first 2 shown]
	v_mov_b64_e32 v[6:7], s[20:21]
	v_mov_b64_e32 v[8:9], s[22:23]
	;; [unrolled: 1-line block ×3, first 2 shown]
	v_cmp_gt_i32_e32 vcc, s41, v35
	v_mov_b64_e32 v[4:5], v[8:9]
	s_and_saveexec_b64 s[2:3], vcc
	s_cbranch_execz .LBB768_26
; %bb.25:
	v_lshlrev_b32_e32 v2, 8, v35
	v_mov_b32_e32 v3, 0
	v_lshl_add_u64 v[4:5], s[0:1], 0, v[2:3]
	v_lshlrev_b32_e32 v2, 1, v18
	v_lshl_add_u64 v[10:11], v[4:5], 0, v[2:3]
	global_load_dwordx4 v[6:9], v[10:11], off
	global_load_dwordx4 v[2:5], v[10:11], off offset:128
.LBB768_26:
	s_or_b64 exec, exec, s[2:3]
	s_mov_b32 s21, s20
	s_mov_b32 s22, s20
	;; [unrolled: 1-line block ×3, first 2 shown]
	v_mov_b64_e32 v[14:15], s[20:21]
	v_mov_b64_e32 v[16:17], s[22:23]
	;; [unrolled: 1-line block ×3, first 2 shown]
	v_cmp_gt_i32_e32 vcc, s41, v19
	v_lshlrev_b32_e32 v20, 7, v19
	v_mov_b64_e32 v[12:13], v[16:17]
	s_and_saveexec_b64 s[2:3], vcc
	s_cbranch_execz .LBB768_28
; %bb.27:
	v_lshlrev_b32_e32 v10, 1, v20
	v_mov_b32_e32 v11, 0
	v_lshl_add_u64 v[12:13], s[0:1], 0, v[10:11]
	v_lshlrev_b32_e32 v10, 1, v18
	v_lshl_add_u64 v[22:23], v[12:13], 0, v[10:11]
	global_load_dwordx4 v[14:17], v[22:23], off
	global_load_dwordx4 v[10:13], v[22:23], off offset:128
.LBB768_28:
	s_or_b64 exec, exec, s[2:3]
	v_lshrrev_b32_e32 v21, 3, v18
	v_lshlrev_b32_e32 v22, 3, v35
	v_or_b32_e32 v21, v22, v21
	v_lshlrev_b32_e32 v21, 4, v21
	v_and_b32_e32 v22, 0x78, v22
	v_xor_b32_e32 v21, v21, v22
	s_branch .LBB768_31
.LBB768_29:
                                        ; implicit-def: $vgpr21
                                        ; implicit-def: $vgpr20
                                        ; implicit-def: $vgpr6_vgpr7_vgpr8_vgpr9
                                        ; implicit-def: $vgpr2_vgpr3_vgpr4_vgpr5
                                        ; implicit-def: $vgpr14_vgpr15_vgpr16_vgpr17
                                        ; implicit-def: $vgpr10_vgpr11_vgpr12_vgpr13
	s_cbranch_execz .LBB768_31
; %bb.30:
	s_waitcnt vmcnt(0)
	v_lshlrev_b32_e32 v2, 1, v18
	v_lshl_or_b32 v20, v35, 8, v2
	s_and_b32 s1, s1, 0xffff
	s_mov_b32 s3, 0x20000
	s_movk_i32 s2, 0x4000
	v_lshl_or_b32 v21, v19, 8, v2
	s_movk_i32 s13, 0x80
	buffer_load_dwordx4 v[6:9], v20, s[0:3], 0 offen
	buffer_load_dwordx4 v[2:5], v20, s[0:3], s13 offen
	;; [unrolled: 1-line block ×4, first 2 shown]
	v_lshrrev_b32_e32 v20, 3, v18
	v_lshlrev_b32_e32 v21, 3, v35
	v_or_b32_e32 v20, v21, v20
	v_lshlrev_b32_e32 v20, 4, v20
	v_and_b32_e32 v21, 0x78, v21
	v_xor_b32_e32 v21, v20, v21
	v_lshlrev_b32_e32 v20, 7, v19
.LBB768_31:
	s_lshl_b64 s[0:1], s[38:39], 8
	s_add_u32 s4, s4, s0
	s_movk_i32 s0, 0x1000
	v_and_or_b32 v19, v20, s0, v21
	s_waitcnt vmcnt(1)
	ds_write_b64 v21, v[6:7] offset:16384
	v_xor_b32_e32 v6, 8, v21
	s_addc_u32 s5, s5, s1
	ds_write_b64 v6, v[8:9] offset:16384
	s_waitcnt vmcnt(0)
	ds_write_b64 v21, v[2:3] offset:24576
	ds_write_b64 v6, v[4:5] offset:24576
	;; [unrolled: 1-line block ×3, first 2 shown]
	v_xor_b32_e32 v2, 8, v19
	s_add_i32 s0, s42, s17
	s_mul_i32 s35, s35, s16
	ds_write_b64 v2, v[16:17] offset:16384
	ds_write_b64 v19, v[10:11] offset:24576
	;; [unrolled: 1-line block ×3, first 2 shown]
	s_add_i32 s35, s0, s35
	s_mul_i32 s0, s33, s19
	s_mul_hi_u32 s1, s33, s18
	v_or_b32_e32 v2, v40, v1
	s_add_i32 s0, s1, s0
	s_mul_i32 s1, s14, s18
	v_lshlrev_b32_e32 v2, 3, v2
	v_lshrrev_b32_e32 v4, 5, v41
	s_movk_i32 s14, 0xf8
	v_and_or_b32 v4, v2, s14, v4
	v_lshlrev_b32_e32 v3, 11, v42
	v_lshlrev_b32_e32 v12, 4, v4
	v_and_b32_e32 v13, 0x78, v2
	v_and_b32_e32 v14, 0x1000, v3
	v_lshlrev_b32_e32 v3, 2, v0
	v_xor_b32_e32 v2, v12, v13
	v_lshrrev_b32_e32 v4, 1, v41
	v_and_b32_e32 v3, 60, v3
	v_or_b32_e32 v2, v2, v14
	v_and_b32_e32 v15, 8, v4
	v_xor_b32_e32 v26, v2, v15
	v_lshl_or_b32 v2, v43, 6, v3
	v_lshlrev_b32_e32 v19, 1, v2
	v_or_b32_e32 v2, 32, v12
	v_xor_b32_e32 v2, v2, v13
	s_waitcnt lgkmcnt(0)
	s_barrier
	ds_read_b64 v[10:11], v26 offset:16384
	v_or_b32_e32 v2, v2, v14
	v_xor_b32_e32 v27, v2, v15
	v_or_b32_e32 v2, 64, v12
	v_xor_b32_e32 v2, v2, v13
	v_or_b32_e32 v2, v2, v14
	v_or_b32_e32 v12, 0x60, v12
	v_xor_b32_e32 v28, v2, v15
	ds_read2st64_b64 v[2:5], v19 offset0:72 offset1:73
	ds_read2st64_b64 v[6:9], v19 offset0:74 offset1:75
	v_xor_b32_e32 v16, v12, v13
	ds_read_b64 v[12:13], v27 offset:16384
	s_waitcnt lgkmcnt(2)
	v_mfma_f32_16x16x16_bf16 a[0:3], v[10:11], v[2:3], 0
	s_add_i32 s2, s12, -1
	s_ashr_i32 s3, s2, 31
	s_mul_i32 s12, s2, s29
	s_mul_hi_u32 s13, s2, s28
	s_add_i32 s12, s13, s12
	s_mul_i32 s3, s3, s28
	v_or_b32_e32 v14, v16, v14
	s_add_i32 s1, s0, s1
	s_add_i32 s3, s12, s3
	s_lshl_b64 s[12:13], s[34:35], 2
	v_xor_b32_e32 v36, v14, v15
	ds_read_b64 v[14:15], v28 offset:16384
	ds_read_b64 v[16:17], v36 offset:16384
	s_waitcnt lgkmcnt(2)
	v_mfma_f32_16x16x16_bf16 a[0:3], v[12:13], v[4:5], a[0:3]
	s_mul_i32 s0, s33, s18
	s_add_u32 s10, s10, s12
	s_addc_u32 s11, s11, s13
	s_lshl_b64 s[0:1], s[0:1], 2
	s_mul_i32 s2, s2, s28
	s_add_u32 s10, s10, s0
	s_addc_u32 s11, s11, s1
	s_lshl_b64 s[0:1], s[2:3], 2
	s_waitcnt lgkmcnt(1)
	v_mfma_f32_16x16x16_bf16 a[0:3], v[14:15], v[6:7], a[0:3]
	s_add_u32 s0, s10, s0
	s_addc_u32 s1, s11, s1
	s_load_dword s12, s[0:1], 0x0
	s_waitcnt lgkmcnt(0)
	v_mfma_f32_16x16x16_bf16 a[0:3], v[16:17], v[8:9], a[0:3]
	s_and_b64 vcc, exec, s[26:27]
	s_cbranch_vccz .LBB768_42
; %bb.32:
	v_lshlrev_b32_e32 v20, 1, v35
	s_and_b64 vcc, exec, s[6:7]
	s_cbranch_vccz .LBB768_43
; %bb.33:
	v_cmp_gt_i32_e32 vcc, s41, v20
	v_mov_b32_e32 v6, 0
	v_mov_b32_e32 v2, 0
	v_mov_b32_e32 v3, 0
	v_mov_b32_e32 v4, 0
	v_mov_b32_e32 v5, 0
	s_and_saveexec_b64 s[0:1], vcc
	s_cbranch_execz .LBB768_35
; %bb.34:
	v_mad_i64_i32 v[2:3], s[2:3], s15, v20, 0
	v_lshl_add_u64 v[2:3], v[2:3], 1, s[4:5]
	v_lshlrev_b32_e32 v4, 1, v18
	v_mov_b32_e32 v5, 0
	v_lshl_add_u64 v[2:3], v[2:3], 0, v[4:5]
	global_load_dwordx4 v[2:5], v[2:3], off
.LBB768_35:
	s_or_b64 exec, exec, s[0:1]
	v_or_b32_e32 v21, 1, v20
	v_cmp_gt_i32_e64 s[0:1], s41, v21
	v_mov_b32_e32 v7, 0
	v_mov_b32_e32 v8, 0
	;; [unrolled: 1-line block ×3, first 2 shown]
	s_and_saveexec_b64 s[2:3], s[0:1]
	s_cbranch_execz .LBB768_37
; %bb.36:
	v_mad_i64_i32 v[6:7], s[16:17], s15, v21, 0
	v_lshl_add_u64 v[6:7], v[6:7], 1, s[4:5]
	v_lshlrev_b32_e32 v8, 1, v18
	v_mov_b32_e32 v9, 0
	v_lshl_add_u64 v[6:7], v[6:7], 0, v[8:9]
	global_load_dwordx4 v[6:9], v[6:7], off
.LBB768_37:
	s_or_b64 exec, exec, s[2:3]
	v_mov_b32_e32 v17, 0
	v_mov_b32_e32 v10, 0
	;; [unrolled: 1-line block ×5, first 2 shown]
	s_and_saveexec_b64 s[2:3], vcc
	s_cbranch_execz .LBB768_39
; %bb.38:
	v_mad_i64_i32 v[10:11], s[16:17], s15, v20, 0
	v_lshl_add_u64 v[10:11], v[10:11], 1, s[4:5]
	v_lshlrev_b32_e32 v12, 1, v18
	v_mov_b32_e32 v13, 0
	v_lshl_add_u64 v[10:11], v[10:11], 0, v[12:13]
	global_load_dwordx4 v[10:13], v[10:11], off offset:128
.LBB768_39:
	s_or_b64 exec, exec, s[2:3]
	v_mov_b32_e32 v16, 0
	v_mov_b32_e32 v15, 0
	;; [unrolled: 1-line block ×3, first 2 shown]
	s_and_saveexec_b64 s[2:3], s[0:1]
	s_cbranch_execz .LBB768_41
; %bb.40:
	v_mad_i64_i32 v[14:15], s[0:1], s15, v21, 0
	v_lshl_add_u64 v[14:15], v[14:15], 1, s[4:5]
	v_lshlrev_b32_e32 v16, 1, v18
	v_mov_b32_e32 v17, 0
	v_lshl_add_u64 v[14:15], v[14:15], 0, v[16:17]
	global_load_dwordx4 v[14:17], v[14:15], off offset:128
.LBB768_41:
	s_or_b64 exec, exec, s[2:3]
	s_branch .LBB768_45
.LBB768_42:
                                        ; implicit-def: $vgpr5
                                        ; implicit-def: $vgpr9
                                        ; implicit-def: $vgpr13
                                        ; implicit-def: $vgpr17
	v_lshrrev_b32_e32 v37, 2, v41
	s_branch .LBB768_46
.LBB768_43:
                                        ; implicit-def: $vgpr5
                                        ; implicit-def: $vgpr9
                                        ; implicit-def: $vgpr13
                                        ; implicit-def: $vgpr17
	s_cbranch_execz .LBB768_45
; %bb.44:
	s_waitcnt vmcnt(0)
	v_mad_u64_u32 v[2:3], s[0:1], v20, s15, v[18:19]
	v_lshlrev_b32_e32 v20, 1, v2
	s_lshl_b32 s2, s15, 7
	s_and_b32 s1, s5, 0xffff
	s_mov_b32 s3, 0x20000
	s_mov_b32 s0, s4
	v_add_lshl_u32 v21, v2, s15, 1
	s_movk_i32 s13, 0x80
	buffer_load_dwordx4 v[2:5], v20, s[0:3], 0 offen
	buffer_load_dwordx4 v[10:13], v20, s[0:3], s13 offen
	;; [unrolled: 1-line block ×4, first 2 shown]
.LBB768_45:
	v_lshrrev_b32_e32 v37, 2, v41
	s_cbranch_execnz .LBB768_58
.LBB768_46:
	s_and_b64 vcc, exec, s[6:7]
	s_cbranch_vccz .LBB768_56
; %bb.47:
	s_waitcnt vmcnt(0)
	v_lshlrev_b32_e32 v7, 1, v35
	v_cmp_gt_i32_e32 vcc, s41, v7
	v_mov_b32_e32 v6, 0
	v_lshlrev_b32_e32 v14, 9, v35
	v_mov_b32_e32 v2, 0
	v_mov_b32_e32 v3, 0
	;; [unrolled: 1-line block ×4, first 2 shown]
	s_and_saveexec_b64 s[0:1], vcc
	s_cbranch_execz .LBB768_49
; %bb.48:
	v_mov_b32_e32 v15, 0
	v_lshl_add_u64 v[2:3], s[4:5], 0, v[14:15]
	v_lshlrev_b32_e32 v4, 1, v18
	v_mov_b32_e32 v5, v15
	v_lshl_add_u64 v[2:3], v[2:3], 0, v[4:5]
	global_load_dwordx4 v[2:5], v[2:3], off
.LBB768_49:
	s_or_b64 exec, exec, s[0:1]
	v_or_b32_e32 v7, 1, v7
	v_cmp_gt_i32_e64 s[0:1], s41, v7
	v_lshlrev_b32_e32 v20, 8, v7
	v_mov_b32_e32 v7, 0
	v_mov_b32_e32 v8, 0
	;; [unrolled: 1-line block ×3, first 2 shown]
	s_and_saveexec_b64 s[2:3], s[0:1]
	s_cbranch_execz .LBB768_51
; %bb.50:
	v_mov_b32_e32 v21, 0
	v_lshl_add_u64 v[6:7], s[4:5], 0, v[20:21]
	v_lshlrev_b32_e32 v8, 1, v18
	v_mov_b32_e32 v9, v21
	v_lshl_add_u64 v[6:7], v[6:7], 0, v[8:9]
	global_load_dwordx4 v[6:9], v[6:7], off
.LBB768_51:
	s_or_b64 exec, exec, s[2:3]
	v_mov_b32_e32 v17, 0
	v_mov_b32_e32 v10, 0
	;; [unrolled: 1-line block ×5, first 2 shown]
	s_and_saveexec_b64 s[2:3], vcc
	s_cbranch_execz .LBB768_53
; %bb.52:
	v_mov_b32_e32 v15, 0
	v_lshl_add_u64 v[10:11], s[4:5], 0, v[14:15]
	v_lshlrev_b32_e32 v14, 1, v18
	v_lshl_add_u64 v[10:11], v[10:11], 0, v[14:15]
	global_load_dwordx4 v[10:13], v[10:11], off offset:128
.LBB768_53:
	s_or_b64 exec, exec, s[2:3]
	v_mov_b32_e32 v16, 0
	v_mov_b32_e32 v15, 0
	;; [unrolled: 1-line block ×3, first 2 shown]
	s_and_saveexec_b64 s[2:3], s[0:1]
	s_cbranch_execz .LBB768_55
; %bb.54:
	v_mov_b32_e32 v21, 0
	v_lshl_add_u64 v[14:15], s[4:5], 0, v[20:21]
	v_lshlrev_b32_e32 v20, 1, v18
	v_lshl_add_u64 v[14:15], v[14:15], 0, v[20:21]
	global_load_dwordx4 v[14:17], v[14:15], off offset:128
.LBB768_55:
	s_or_b64 exec, exec, s[2:3]
	s_branch .LBB768_58
.LBB768_56:
                                        ; implicit-def: $vgpr5
                                        ; implicit-def: $vgpr9
                                        ; implicit-def: $vgpr13
                                        ; implicit-def: $vgpr17
	s_cbranch_execz .LBB768_58
; %bb.57:
	s_waitcnt vmcnt(0)
	v_lshlrev_b32_e32 v2, 1, v18
	v_lshl_or_b32 v18, v35, 9, v2
	s_and_b32 s5, s5, 0xffff
	s_mov_b32 s7, 0x20000
	s_movk_i32 s6, 0x4000
	s_movk_i32 s0, 0x80
	buffer_load_dwordx4 v[2:5], v18, s[4:7], 0 offen
	buffer_load_dwordx4 v[6:9], v18, s[4:7], 0 offen offset:256
	buffer_load_dwordx4 v[10:13], v18, s[4:7], s0 offen
	buffer_load_dwordx4 v[14:17], v18, s[4:7], s0 offen offset:256
.LBB768_58:
	ds_read2st64_b64 v[22:25], v19 offset0:76 offset1:77
	ds_read2st64_b64 v[18:21], v19 offset0:78 offset1:79
	ds_read_b64 v[30:31], v26 offset:24576
	ds_read_b64 v[32:33], v27 offset:24576
	;; [unrolled: 1-line block ×4, first 2 shown]
	v_and_b32_e32 v36, 6, v0
	v_xor_b32_e32 v35, v35, v36
	v_lshlrev_b32_e32 v35, 2, v35
	v_and_b32_e32 v0, 1, v0
	v_xor_b32_e32 v38, 0x440, v35
	v_cmp_eq_u32_e32 vcc, 0, v0
	s_mov_b32 s0, 0x1000504
	s_mov_b32 s1, 0x3020706
	v_cndmask_b32_e32 v0, v38, v35, vcc
	v_lshl_or_b32 v0, v36, 10, v0
	s_waitcnt vmcnt(0)
	v_perm_b32 v35, v2, v6, s0
	v_perm_b32 v36, v10, v14, s0
	ds_write2st64_b32 v0, v35, v36 offset1:32
	v_xor_b32_e32 v35, 8, v0
	v_perm_b32 v2, v2, v6, s1
	v_perm_b32 v6, v10, v14, s1
	v_add_u32_e32 v10, 0x80, v35
	ds_write2st64_b32 v10, v2, v6 offset1:32
	v_xor_b32_e32 v2, 16, v0
	v_perm_b32 v6, v3, v7, s0
	v_perm_b32 v10, v11, v15, s0
	ds_write2st64_b32 v2, v6, v10 offset0:1 offset1:33
	v_xor_b32_e32 v2, 24, v0
	v_perm_b32 v3, v3, v7, s1
	v_perm_b32 v6, v11, v15, s1
	v_add_u32_e32 v2, 0x80, v2
	ds_write2st64_b32 v2, v3, v6 offset0:1 offset1:33
	v_xor_b32_e32 v2, 32, v0
	v_perm_b32 v3, v4, v8, s0
	v_perm_b32 v6, v12, v16, s0
	ds_write2st64_b32 v2, v3, v6 offset0:2 offset1:34
	v_xor_b32_e32 v2, 40, v0
	v_perm_b32 v3, v4, v8, s1
	v_perm_b32 v4, v12, v16, s1
	v_add_u32_e32 v2, 0x80, v2
	ds_write2st64_b32 v2, v3, v4 offset0:2 offset1:34
	v_xor_b32_e32 v2, 48, v0
	v_perm_b32 v3, v5, v9, s0
	v_perm_b32 v4, v13, v17, s0
	v_xor_b32_e32 v0, 56, v0
	v_and_or_b32 v6, v37, 12, v40
	ds_write2st64_b32 v2, v3, v4 offset0:3 offset1:35
	v_perm_b32 v2, v5, v9, s1
	v_perm_b32 v3, v13, v17, s1
	v_add_u32_e32 v0, 0x80, v0
	v_cmp_gt_i32_e32 vcc, s41, v6
	v_mov_b32_e32 v7, 0
	v_mov_b32_e32 v11, 0
	ds_write2st64_b32 v0, v2, v3 offset0:3 offset1:35
	s_and_saveexec_b64 s[0:1], vcc
	s_cbranch_execz .LBB768_60
; %bb.59:
	v_add_u32_e32 v0, s40, v6
	v_ashrrev_i32_e32 v2, 31, v0
	v_mul_lo_u32 v4, v2, s28
	v_mul_lo_u32 v5, v0, s29
	v_mad_u64_u32 v[2:3], s[2:3], v0, s28, 0
	v_add3_u32 v3, v3, v5, v4
	v_lshl_add_u64 v[2:3], v[2:3], 2, s[10:11]
	global_load_dword v0, v[2:3], off
	s_waitcnt vmcnt(0)
	v_sub_f32_e32 v0, s12, v0
	v_mul_f32_e32 v0, 0x3fb8aa3b, v0
	v_exp_f32_e32 v11, v0
.LBB768_60:
	s_or_b64 exec, exec, s[0:1]
	v_or_b32_e32 v9, 1, v6
	v_cmp_gt_i32_e64 s[0:1], s41, v9
	s_and_saveexec_b64 s[2:3], s[0:1]
	s_cbranch_execz .LBB768_62
; %bb.61:
	v_add_u32_e32 v0, s40, v9
	v_ashrrev_i32_e32 v2, 31, v0
	v_mul_lo_u32 v4, v2, s28
	v_mul_lo_u32 v5, v0, s29
	v_mad_u64_u32 v[2:3], s[4:5], v0, s28, 0
	v_add3_u32 v3, v3, v5, v4
	v_lshl_add_u64 v[2:3], v[2:3], 2, s[10:11]
	global_load_dword v0, v[2:3], off
	s_waitcnt vmcnt(0)
	v_sub_f32_e32 v0, s12, v0
	v_mul_f32_e32 v0, 0x3fb8aa3b, v0
	v_exp_f32_e32 v7, v0
.LBB768_62:
	s_or_b64 exec, exec, s[2:3]
	v_or_b32_e32 v10, 2, v6
	v_cmp_gt_i32_e64 s[2:3], s41, v10
	v_mov_b32_e32 v8, 0
	v_mov_b32_e32 v13, 0
	s_and_saveexec_b64 s[4:5], s[2:3]
	s_cbranch_execz .LBB768_64
; %bb.63:
	v_add_u32_e32 v0, s40, v10
	v_ashrrev_i32_e32 v2, 31, v0
	v_mul_lo_u32 v4, v2, s28
	v_mul_lo_u32 v5, v0, s29
	v_mad_u64_u32 v[2:3], s[6:7], v0, s28, 0
	v_add3_u32 v3, v3, v5, v4
	v_lshl_add_u64 v[2:3], v[2:3], 2, s[10:11]
	global_load_dword v0, v[2:3], off
	s_waitcnt vmcnt(0)
	v_sub_f32_e32 v0, s12, v0
	v_mul_f32_e32 v0, 0x3fb8aa3b, v0
	v_exp_f32_e32 v13, v0
.LBB768_64:
	s_or_b64 exec, exec, s[4:5]
	v_or_b32_e32 v12, 3, v6
	v_cmp_gt_i32_e64 s[4:5], s41, v12
	s_and_saveexec_b64 s[6:7], s[4:5]
	s_cbranch_execz .LBB768_66
; %bb.65:
	v_add_u32_e32 v0, s40, v12
	v_ashrrev_i32_e32 v2, 31, v0
	v_mul_lo_u32 v4, v2, s28
	v_mul_lo_u32 v5, v0, s29
	v_mad_u64_u32 v[2:3], s[14:15], v0, s28, 0
	v_add3_u32 v3, v3, v5, v4
	v_lshl_add_u64 v[2:3], v[2:3], 2, s[10:11]
	global_load_dword v0, v[2:3], off
	s_waitcnt vmcnt(0)
	v_sub_f32_e32 v0, s12, v0
	v_mul_f32_e32 v0, 0x3fb8aa3b, v0
	v_exp_f32_e32 v8, v0
.LBB768_66:
	s_or_b64 exec, exec, s[6:7]
	s_waitcnt lgkmcnt(11)
	v_mfma_f32_16x16x16_bf16 a[0:3], v[30:31], v[22:23], a[0:3]
	v_or_b32_e32 v0, s30, v1
	s_add_u32 s6, s8, s24
	s_addc_u32 s7, s9, s25
	s_waitcnt lgkmcnt(10)
	v_mfma_f32_16x16x16_bf16 a[0:3], v[32:33], v[24:25], a[0:3]
	v_ashrrev_i32_e32 v1, 31, v0
	v_lshl_add_u64 v[4:5], v[0:1], 1, s[6:7]
	v_mov_b32_e32 v14, 0
	s_waitcnt lgkmcnt(9)
	v_mfma_f32_16x16x16_bf16 a[0:3], v[28:29], v[18:19], a[0:3]
	v_mov_b32_e32 v15, 0
	s_waitcnt lgkmcnt(8)
	v_mfma_f32_16x16x16_bf16 a[0:3], v[26:27], v[20:21], a[0:3]
	s_nop 6
	v_accvgpr_read_b32 v0, a0
	v_accvgpr_read_b32 v1, a1
	;; [unrolled: 1-line block ×4, first 2 shown]
	s_and_saveexec_b64 s[6:7], vcc
	s_cbranch_execz .LBB768_68
; %bb.67:
	v_lshlrev_b32_e32 v16, 8, v6
	v_mov_b32_e32 v17, 0
	v_lshl_add_u64 v[16:17], v[4:5], 0, v[16:17]
	global_load_ushort v15, v[16:17], off
	s_waitcnt vmcnt(0)
	v_lshlrev_b32_e32 v15, 16, v15
	v_sub_f32_e32 v0, v15, v0
	v_mul_f32_e32 v0, v11, v0
	v_lshrrev_b32_e32 v15, 16, v0
.LBB768_68:
	s_or_b64 exec, exec, s[6:7]
	s_and_saveexec_b64 s[6:7], s[0:1]
	s_cbranch_execz .LBB768_70
; %bb.69:
	v_lshlrev_b32_e32 v16, 8, v9
	v_mov_b32_e32 v17, 0
	v_lshl_add_u64 v[16:17], v[4:5], 0, v[16:17]
	global_load_ushort v0, v[16:17], off
	s_waitcnt vmcnt(0)
	v_lshlrev_b32_e32 v0, 16, v0
	v_sub_f32_e32 v0, v0, v1
	v_mul_f32_e32 v0, v7, v0
	v_lshrrev_b32_e32 v14, 16, v0
.LBB768_70:
	s_or_b64 exec, exec, s[6:7]
	v_mov_b32_e32 v0, 0
	v_mov_b32_e32 v1, 0
	s_and_saveexec_b64 s[0:1], s[2:3]
	s_cbranch_execz .LBB768_72
; %bb.71:
	v_lshlrev_b32_e32 v10, 8, v10
	v_mov_b32_e32 v11, 0
	v_lshl_add_u64 v[10:11], v[4:5], 0, v[10:11]
	global_load_ushort v1, v[10:11], off
	s_waitcnt vmcnt(0)
	v_lshlrev_b32_e32 v1, 16, v1
	v_sub_f32_e32 v1, v1, v2
	v_mul_f32_e32 v1, v13, v1
	v_lshrrev_b32_e32 v1, 16, v1
.LBB768_72:
	s_or_b64 exec, exec, s[0:1]
	s_and_saveexec_b64 s[0:1], s[4:5]
	s_cbranch_execz .LBB768_74
; %bb.73:
	v_lshlrev_b32_e32 v10, 8, v12
	v_mov_b32_e32 v11, 0
	v_lshl_add_u64 v[4:5], v[4:5], 0, v[10:11]
	global_load_ushort v0, v[4:5], off
	s_waitcnt vmcnt(0)
	v_lshlrev_b32_e32 v0, 16, v0
	v_sub_f32_e32 v0, v0, v3
	v_mul_f32_e32 v0, v8, v0
	v_lshrrev_b32_e32 v0, 16, v0
.LBB768_74:
	s_or_b64 exec, exec, s[0:1]
	s_mov_b32 s0, 0x5040100
	v_lshlrev_b32_e32 v2, 1, v34
	v_perm_b32 v1, v0, v1, s0
	v_perm_b32 v0, v14, v15, s0
	v_lshl_or_b32 v2, v6, 5, v2
	ds_write_b64 v2, v[0:1] offset:38912
	s_waitcnt lgkmcnt(0)
	s_barrier
.LBB768_75:
	s_endpgm
	.section	.rodata,"a",@progbits
	.p2align	6, 0x0
	.amdhsa_kernel _ZN12_GLOBAL__N_139chunk_gated_delta_rule_fwd_h_hip_kernelILi16ELb0ELb0ELb0ELb0ELb0ELb0ELb0ELb0EEEvPK12hip_bfloat16S3_S3_PKfS5_PKvPS1_S8_PvPKiSB_iiiiilll
		.amdhsa_group_segment_fixed_size 40960
		.amdhsa_private_segment_fixed_size 0
		.amdhsa_kernarg_size 136
		.amdhsa_user_sgpr_count 2
		.amdhsa_user_sgpr_dispatch_ptr 0
		.amdhsa_user_sgpr_queue_ptr 0
		.amdhsa_user_sgpr_kernarg_segment_ptr 1
		.amdhsa_user_sgpr_dispatch_id 0
		.amdhsa_user_sgpr_kernarg_preload_length 0
		.amdhsa_user_sgpr_kernarg_preload_offset 0
		.amdhsa_user_sgpr_private_segment_size 0
		.amdhsa_uses_dynamic_stack 0
		.amdhsa_enable_private_segment 0
		.amdhsa_system_sgpr_workgroup_id_x 1
		.amdhsa_system_sgpr_workgroup_id_y 1
		.amdhsa_system_sgpr_workgroup_id_z 0
		.amdhsa_system_sgpr_workgroup_info 0
		.amdhsa_system_vgpr_workitem_id 0
		.amdhsa_next_free_vgpr 116
		.amdhsa_next_free_sgpr 61
		.amdhsa_accum_offset 108
		.amdhsa_reserve_vcc 1
		.amdhsa_float_round_mode_32 0
		.amdhsa_float_round_mode_16_64 0
		.amdhsa_float_denorm_mode_32 3
		.amdhsa_float_denorm_mode_16_64 3
		.amdhsa_dx10_clamp 1
		.amdhsa_ieee_mode 1
		.amdhsa_fp16_overflow 0
		.amdhsa_tg_split 0
		.amdhsa_exception_fp_ieee_invalid_op 0
		.amdhsa_exception_fp_denorm_src 0
		.amdhsa_exception_fp_ieee_div_zero 0
		.amdhsa_exception_fp_ieee_overflow 0
		.amdhsa_exception_fp_ieee_underflow 0
		.amdhsa_exception_fp_ieee_inexact 0
		.amdhsa_exception_int_div_zero 0
	.end_amdhsa_kernel
	.section	.text._ZN12_GLOBAL__N_139chunk_gated_delta_rule_fwd_h_hip_kernelILi16ELb0ELb0ELb0ELb0ELb0ELb0ELb0ELb0EEEvPK12hip_bfloat16S3_S3_PKfS5_PKvPS1_S8_PvPKiSB_iiiiilll,"axG",@progbits,_ZN12_GLOBAL__N_139chunk_gated_delta_rule_fwd_h_hip_kernelILi16ELb0ELb0ELb0ELb0ELb0ELb0ELb0ELb0EEEvPK12hip_bfloat16S3_S3_PKfS5_PKvPS1_S8_PvPKiSB_iiiiilll,comdat
.Lfunc_end768:
	.size	_ZN12_GLOBAL__N_139chunk_gated_delta_rule_fwd_h_hip_kernelILi16ELb0ELb0ELb0ELb0ELb0ELb0ELb0ELb0EEEvPK12hip_bfloat16S3_S3_PKfS5_PKvPS1_S8_PvPKiSB_iiiiilll, .Lfunc_end768-_ZN12_GLOBAL__N_139chunk_gated_delta_rule_fwd_h_hip_kernelILi16ELb0ELb0ELb0ELb0ELb0ELb0ELb0ELb0EEEvPK12hip_bfloat16S3_S3_PKfS5_PKvPS1_S8_PvPKiSB_iiiiilll
                                        ; -- End function
	.section	.AMDGPU.csdata,"",@progbits
; Kernel info:
; codeLenInByte = 7228
; NumSgprs: 67
; NumVgprs: 106
; NumAgprs: 8
; TotalNumVgprs: 116
; ScratchSize: 0
; MemoryBound: 0
; FloatMode: 240
; IeeeMode: 1
; LDSByteSize: 40960 bytes/workgroup (compile time only)
; SGPRBlocks: 8
; VGPRBlocks: 14
; NumSGPRsForWavesPerEU: 67
; NumVGPRsForWavesPerEU: 116
; AccumOffset: 108
; Occupancy: 1
; WaveLimiterHint : 1
; COMPUTE_PGM_RSRC2:SCRATCH_EN: 0
; COMPUTE_PGM_RSRC2:USER_SGPR: 2
; COMPUTE_PGM_RSRC2:TRAP_HANDLER: 0
; COMPUTE_PGM_RSRC2:TGID_X_EN: 1
; COMPUTE_PGM_RSRC2:TGID_Y_EN: 1
; COMPUTE_PGM_RSRC2:TGID_Z_EN: 0
; COMPUTE_PGM_RSRC2:TIDIG_COMP_CNT: 0
; COMPUTE_PGM_RSRC3_GFX90A:ACCUM_OFFSET: 26
; COMPUTE_PGM_RSRC3_GFX90A:TG_SPLIT: 0
	.text
	.p2alignl 6, 3212836864
	.fill 256, 4, 3212836864
	.type	__hip_cuid_ba8995f40affc0c8,@object ; @__hip_cuid_ba8995f40affc0c8
	.section	.bss,"aw",@nobits
	.globl	__hip_cuid_ba8995f40affc0c8
__hip_cuid_ba8995f40affc0c8:
	.byte	0                               ; 0x0
	.size	__hip_cuid_ba8995f40affc0c8, 1

	.ident	"AMD clang version 19.0.0git (https://github.com/RadeonOpenCompute/llvm-project roc-6.4.0 25133 c7fe45cf4b819c5991fe208aaa96edf142730f1d)"
	.section	".note.GNU-stack","",@progbits
	.addrsig
	.addrsig_sym __hip_cuid_ba8995f40affc0c8
	.amdgpu_metadata
---
amdhsa.kernels:
  - .agpr_count:     0
    .args:           []
    .group_segment_fixed_size: 0
    .kernarg_segment_align: 4
    .kernarg_segment_size: 0
    .language:       OpenCL C
    .language_version:
      - 2
      - 0
    .max_flat_workgroup_size: 1024
    .name:           _ZN7ck_tileL11flush_cacheEv
    .private_segment_fixed_size: 0
    .sgpr_count:     6
    .sgpr_spill_count: 0
    .symbol:         _ZN7ck_tileL11flush_cacheEv.kd
    .uniform_work_group_size: 1
    .uses_dynamic_stack: false
    .vgpr_count:     0
    .vgpr_spill_count: 0
    .wavefront_size: 64
  - .agpr_count:     40
    .args:
      - .actual_access:  read_only
        .address_space:  global
        .offset:         0
        .size:           8
        .value_kind:     global_buffer
      - .actual_access:  read_only
        .address_space:  global
        .offset:         8
        .size:           8
        .value_kind:     global_buffer
      - .actual_access:  read_only
        .address_space:  global
        .offset:         16
        .size:           8
        .value_kind:     global_buffer
      - .actual_access:  read_only
        .address_space:  global
        .offset:         24
        .size:           8
        .value_kind:     global_buffer
      - .actual_access:  read_only
        .address_space:  global
        .offset:         32
        .size:           8
        .value_kind:     global_buffer
      - .actual_access:  read_only
        .address_space:  global
        .offset:         40
        .size:           8
        .value_kind:     global_buffer
      - .actual_access:  write_only
        .address_space:  global
        .offset:         48
        .size:           8
        .value_kind:     global_buffer
      - .actual_access:  write_only
        .address_space:  global
        .offset:         56
        .size:           8
        .value_kind:     global_buffer
      - .actual_access:  write_only
        .address_space:  global
        .offset:         64
        .size:           8
        .value_kind:     global_buffer
      - .actual_access:  read_only
        .address_space:  global
        .offset:         72
        .size:           8
        .value_kind:     global_buffer
      - .actual_access:  read_only
        .address_space:  global
        .offset:         80
        .size:           8
        .value_kind:     global_buffer
      - .offset:         88
        .size:           4
        .value_kind:     by_value
      - .offset:         92
        .size:           4
        .value_kind:     by_value
      - .offset:         96
        .size:           4
        .value_kind:     by_value
      - .offset:         100
        .size:           4
        .value_kind:     by_value
      - .offset:         104
        .size:           4
        .value_kind:     by_value
      - .offset:         112
        .size:           8
        .value_kind:     by_value
      - .offset:         120
        .size:           8
        .value_kind:     by_value
      - .offset:         128
        .size:           8
        .value_kind:     by_value
    .group_segment_fixed_size: 65536
    .kernarg_segment_align: 8
    .kernarg_segment_size: 136
    .language:       OpenCL C
    .language_version:
      - 2
      - 0
    .max_flat_workgroup_size: 256
    .name:           _ZN12_GLOBAL__N_139chunk_gated_delta_rule_fwd_h_hip_kernelILi64ELb1ELb1ELb1ELb1ELb1ELb1ELb1ELb1EEEvPK12hip_bfloat16S3_S3_PKfS5_PKvPS1_S8_PvPKiSB_iiiiilll
    .private_segment_fixed_size: 0
    .sgpr_count:     75
    .sgpr_spill_count: 0
    .symbol:         _ZN12_GLOBAL__N_139chunk_gated_delta_rule_fwd_h_hip_kernelILi64ELb1ELb1ELb1ELb1ELb1ELb1ELb1ELb1EEEvPK12hip_bfloat16S3_S3_PKfS5_PKvPS1_S8_PvPKiSB_iiiiilll.kd
    .uniform_work_group_size: 1
    .uses_dynamic_stack: false
    .vgpr_count:     240
    .vgpr_spill_count: 0
    .wavefront_size: 64
  - .agpr_count:     40
    .args:
      - .actual_access:  read_only
        .address_space:  global
        .offset:         0
        .size:           8
        .value_kind:     global_buffer
      - .actual_access:  read_only
        .address_space:  global
        .offset:         8
        .size:           8
        .value_kind:     global_buffer
      - .actual_access:  read_only
        .address_space:  global
        .offset:         16
        .size:           8
        .value_kind:     global_buffer
      - .actual_access:  read_only
        .address_space:  global
        .offset:         24
        .size:           8
        .value_kind:     global_buffer
      - .actual_access:  read_only
        .address_space:  global
        .offset:         32
        .size:           8
        .value_kind:     global_buffer
      - .actual_access:  read_only
        .address_space:  global
        .offset:         40
        .size:           8
        .value_kind:     global_buffer
      - .actual_access:  write_only
        .address_space:  global
        .offset:         48
        .size:           8
        .value_kind:     global_buffer
      - .actual_access:  read_only
        .address_space:  global
        .offset:         56
        .size:           8
        .value_kind:     global_buffer
      - .actual_access:  write_only
        .address_space:  global
        .offset:         64
        .size:           8
        .value_kind:     global_buffer
      - .actual_access:  read_only
        .address_space:  global
        .offset:         72
        .size:           8
        .value_kind:     global_buffer
      - .actual_access:  read_only
        .address_space:  global
        .offset:         80
        .size:           8
        .value_kind:     global_buffer
      - .offset:         88
        .size:           4
        .value_kind:     by_value
      - .offset:         92
        .size:           4
        .value_kind:     by_value
      - .offset:         96
        .size:           4
        .value_kind:     by_value
      - .offset:         100
        .size:           4
        .value_kind:     by_value
      - .offset:         104
        .size:           4
        .value_kind:     by_value
      - .offset:         112
        .size:           8
        .value_kind:     by_value
      - .offset:         120
        .size:           8
        .value_kind:     by_value
      - .offset:         128
        .size:           8
        .value_kind:     by_value
    .group_segment_fixed_size: 65536
    .kernarg_segment_align: 8
    .kernarg_segment_size: 136
    .language:       OpenCL C
    .language_version:
      - 2
      - 0
    .max_flat_workgroup_size: 256
    .name:           _ZN12_GLOBAL__N_139chunk_gated_delta_rule_fwd_h_hip_kernelILi64ELb1ELb1ELb0ELb1ELb1ELb1ELb1ELb1EEEvPK12hip_bfloat16S3_S3_PKfS5_PKvPS1_S8_PvPKiSB_iiiiilll
    .private_segment_fixed_size: 0
    .sgpr_count:     73
    .sgpr_spill_count: 0
    .symbol:         _ZN12_GLOBAL__N_139chunk_gated_delta_rule_fwd_h_hip_kernelILi64ELb1ELb1ELb0ELb1ELb1ELb1ELb1ELb1EEEvPK12hip_bfloat16S3_S3_PKfS5_PKvPS1_S8_PvPKiSB_iiiiilll.kd
    .uniform_work_group_size: 1
    .uses_dynamic_stack: false
    .vgpr_count:     240
    .vgpr_spill_count: 0
    .wavefront_size: 64
  - .agpr_count:     40
    .args:
      - .actual_access:  read_only
        .address_space:  global
        .offset:         0
        .size:           8
        .value_kind:     global_buffer
      - .actual_access:  read_only
        .address_space:  global
        .offset:         8
        .size:           8
        .value_kind:     global_buffer
      - .actual_access:  read_only
        .address_space:  global
        .offset:         16
        .size:           8
        .value_kind:     global_buffer
      - .actual_access:  read_only
        .address_space:  global
        .offset:         24
        .size:           8
        .value_kind:     global_buffer
      - .actual_access:  read_only
        .address_space:  global
        .offset:         32
        .size:           8
        .value_kind:     global_buffer
      - .actual_access:  read_only
        .address_space:  global
        .offset:         40
        .size:           8
        .value_kind:     global_buffer
      - .actual_access:  write_only
        .address_space:  global
        .offset:         48
        .size:           8
        .value_kind:     global_buffer
      - .actual_access:  write_only
        .address_space:  global
        .offset:         56
        .size:           8
        .value_kind:     global_buffer
      - .actual_access:  read_only
        .address_space:  global
        .offset:         64
        .size:           8
        .value_kind:     global_buffer
      - .actual_access:  read_only
        .address_space:  global
        .offset:         72
        .size:           8
        .value_kind:     global_buffer
      - .actual_access:  read_only
        .address_space:  global
        .offset:         80
        .size:           8
        .value_kind:     global_buffer
      - .offset:         88
        .size:           4
        .value_kind:     by_value
      - .offset:         92
        .size:           4
        .value_kind:     by_value
      - .offset:         96
        .size:           4
        .value_kind:     by_value
      - .offset:         100
        .size:           4
        .value_kind:     by_value
      - .offset:         104
        .size:           4
        .value_kind:     by_value
      - .offset:         112
        .size:           8
        .value_kind:     by_value
      - .offset:         120
        .size:           8
        .value_kind:     by_value
      - .offset:         128
        .size:           8
        .value_kind:     by_value
    .group_segment_fixed_size: 65536
    .kernarg_segment_align: 8
    .kernarg_segment_size: 136
    .language:       OpenCL C
    .language_version:
      - 2
      - 0
    .max_flat_workgroup_size: 256
    .name:           _ZN12_GLOBAL__N_139chunk_gated_delta_rule_fwd_h_hip_kernelILi64ELb1ELb0ELb1ELb1ELb1ELb1ELb1ELb1EEEvPK12hip_bfloat16S3_S3_PKfS5_PKvPS1_S8_PvPKiSB_iiiiilll
    .private_segment_fixed_size: 0
    .sgpr_count:     71
    .sgpr_spill_count: 0
    .symbol:         _ZN12_GLOBAL__N_139chunk_gated_delta_rule_fwd_h_hip_kernelILi64ELb1ELb0ELb1ELb1ELb1ELb1ELb1ELb1EEEvPK12hip_bfloat16S3_S3_PKfS5_PKvPS1_S8_PvPKiSB_iiiiilll.kd
    .uniform_work_group_size: 1
    .uses_dynamic_stack: false
    .vgpr_count:     232
    .vgpr_spill_count: 0
    .wavefront_size: 64
  - .agpr_count:     40
    .args:
      - .actual_access:  read_only
        .address_space:  global
        .offset:         0
        .size:           8
        .value_kind:     global_buffer
      - .actual_access:  read_only
        .address_space:  global
        .offset:         8
        .size:           8
        .value_kind:     global_buffer
      - .actual_access:  read_only
        .address_space:  global
        .offset:         16
        .size:           8
        .value_kind:     global_buffer
      - .actual_access:  read_only
        .address_space:  global
        .offset:         24
        .size:           8
        .value_kind:     global_buffer
      - .actual_access:  read_only
        .address_space:  global
        .offset:         32
        .size:           8
        .value_kind:     global_buffer
      - .actual_access:  read_only
        .address_space:  global
        .offset:         40
        .size:           8
        .value_kind:     global_buffer
      - .actual_access:  write_only
        .address_space:  global
        .offset:         48
        .size:           8
        .value_kind:     global_buffer
      - .actual_access:  read_only
        .address_space:  global
        .offset:         56
        .size:           8
        .value_kind:     global_buffer
      - .actual_access:  read_only
        .address_space:  global
        .offset:         64
        .size:           8
        .value_kind:     global_buffer
      - .actual_access:  read_only
        .address_space:  global
        .offset:         72
        .size:           8
        .value_kind:     global_buffer
      - .actual_access:  read_only
        .address_space:  global
        .offset:         80
        .size:           8
        .value_kind:     global_buffer
      - .offset:         88
        .size:           4
        .value_kind:     by_value
      - .offset:         92
        .size:           4
        .value_kind:     by_value
      - .offset:         96
        .size:           4
        .value_kind:     by_value
      - .offset:         100
        .size:           4
        .value_kind:     by_value
      - .offset:         104
        .size:           4
        .value_kind:     by_value
      - .offset:         112
        .size:           8
        .value_kind:     by_value
      - .offset:         120
        .size:           8
        .value_kind:     by_value
      - .offset:         128
        .size:           8
        .value_kind:     by_value
    .group_segment_fixed_size: 65536
    .kernarg_segment_align: 8
    .kernarg_segment_size: 136
    .language:       OpenCL C
    .language_version:
      - 2
      - 0
    .max_flat_workgroup_size: 256
    .name:           _ZN12_GLOBAL__N_139chunk_gated_delta_rule_fwd_h_hip_kernelILi64ELb1ELb0ELb0ELb1ELb1ELb1ELb1ELb1EEEvPK12hip_bfloat16S3_S3_PKfS5_PKvPS1_S8_PvPKiSB_iiiiilll
    .private_segment_fixed_size: 0
    .sgpr_count:     69
    .sgpr_spill_count: 0
    .symbol:         _ZN12_GLOBAL__N_139chunk_gated_delta_rule_fwd_h_hip_kernelILi64ELb1ELb0ELb0ELb1ELb1ELb1ELb1ELb1EEEvPK12hip_bfloat16S3_S3_PKfS5_PKvPS1_S8_PvPKiSB_iiiiilll.kd
    .uniform_work_group_size: 1
    .uses_dynamic_stack: false
    .vgpr_count:     228
    .vgpr_spill_count: 0
    .wavefront_size: 64
  - .agpr_count:     40
    .args:
      - .actual_access:  read_only
        .address_space:  global
        .offset:         0
        .size:           8
        .value_kind:     global_buffer
      - .actual_access:  read_only
        .address_space:  global
        .offset:         8
        .size:           8
        .value_kind:     global_buffer
      - .actual_access:  read_only
        .address_space:  global
        .offset:         16
        .size:           8
        .value_kind:     global_buffer
      - .actual_access:  read_only
        .address_space:  global
        .offset:         24
        .size:           8
        .value_kind:     global_buffer
      - .actual_access:  read_only
        .address_space:  global
        .offset:         32
        .size:           8
        .value_kind:     global_buffer
      - .actual_access:  read_only
        .address_space:  global
        .offset:         40
        .size:           8
        .value_kind:     global_buffer
      - .actual_access:  write_only
        .address_space:  global
        .offset:         48
        .size:           8
        .value_kind:     global_buffer
      - .actual_access:  write_only
        .address_space:  global
        .offset:         56
        .size:           8
        .value_kind:     global_buffer
      - .actual_access:  write_only
        .address_space:  global
        .offset:         64
        .size:           8
        .value_kind:     global_buffer
      - .actual_access:  read_only
        .address_space:  global
        .offset:         72
        .size:           8
        .value_kind:     global_buffer
      - .actual_access:  read_only
        .address_space:  global
        .offset:         80
        .size:           8
        .value_kind:     global_buffer
      - .offset:         88
        .size:           4
        .value_kind:     by_value
      - .offset:         92
        .size:           4
        .value_kind:     by_value
      - .offset:         96
        .size:           4
        .value_kind:     by_value
      - .offset:         100
        .size:           4
        .value_kind:     by_value
      - .offset:         104
        .size:           4
        .value_kind:     by_value
      - .offset:         112
        .size:           8
        .value_kind:     by_value
      - .offset:         120
        .size:           8
        .value_kind:     by_value
      - .offset:         128
        .size:           8
        .value_kind:     by_value
    .group_segment_fixed_size: 65536
    .kernarg_segment_align: 8
    .kernarg_segment_size: 136
    .language:       OpenCL C
    .language_version:
      - 2
      - 0
    .max_flat_workgroup_size: 256
    .name:           _ZN12_GLOBAL__N_139chunk_gated_delta_rule_fwd_h_hip_kernelILi64ELb0ELb1ELb1ELb1ELb1ELb1ELb1ELb1EEEvPK12hip_bfloat16S3_S3_PKfS5_PKvPS1_S8_PvPKiSB_iiiiilll
    .private_segment_fixed_size: 0
    .sgpr_count:     75
    .sgpr_spill_count: 0
    .symbol:         _ZN12_GLOBAL__N_139chunk_gated_delta_rule_fwd_h_hip_kernelILi64ELb0ELb1ELb1ELb1ELb1ELb1ELb1ELb1EEEvPK12hip_bfloat16S3_S3_PKfS5_PKvPS1_S8_PvPKiSB_iiiiilll.kd
    .uniform_work_group_size: 1
    .uses_dynamic_stack: false
    .vgpr_count:     232
    .vgpr_spill_count: 0
    .wavefront_size: 64
  - .agpr_count:     40
    .args:
      - .actual_access:  read_only
        .address_space:  global
        .offset:         0
        .size:           8
        .value_kind:     global_buffer
      - .actual_access:  read_only
        .address_space:  global
        .offset:         8
        .size:           8
        .value_kind:     global_buffer
      - .actual_access:  read_only
        .address_space:  global
        .offset:         16
        .size:           8
        .value_kind:     global_buffer
      - .actual_access:  read_only
        .address_space:  global
        .offset:         24
        .size:           8
        .value_kind:     global_buffer
      - .actual_access:  read_only
        .address_space:  global
        .offset:         32
        .size:           8
        .value_kind:     global_buffer
      - .actual_access:  read_only
        .address_space:  global
        .offset:         40
        .size:           8
        .value_kind:     global_buffer
      - .actual_access:  write_only
        .address_space:  global
        .offset:         48
        .size:           8
        .value_kind:     global_buffer
      - .actual_access:  read_only
        .address_space:  global
        .offset:         56
        .size:           8
        .value_kind:     global_buffer
      - .actual_access:  write_only
        .address_space:  global
        .offset:         64
        .size:           8
        .value_kind:     global_buffer
      - .actual_access:  read_only
        .address_space:  global
        .offset:         72
        .size:           8
        .value_kind:     global_buffer
      - .actual_access:  read_only
        .address_space:  global
        .offset:         80
        .size:           8
        .value_kind:     global_buffer
      - .offset:         88
        .size:           4
        .value_kind:     by_value
      - .offset:         92
        .size:           4
        .value_kind:     by_value
      - .offset:         96
        .size:           4
        .value_kind:     by_value
      - .offset:         100
        .size:           4
        .value_kind:     by_value
      - .offset:         104
        .size:           4
        .value_kind:     by_value
      - .offset:         112
        .size:           8
        .value_kind:     by_value
      - .offset:         120
        .size:           8
        .value_kind:     by_value
      - .offset:         128
        .size:           8
        .value_kind:     by_value
    .group_segment_fixed_size: 65536
    .kernarg_segment_align: 8
    .kernarg_segment_size: 136
    .language:       OpenCL C
    .language_version:
      - 2
      - 0
    .max_flat_workgroup_size: 256
    .name:           _ZN12_GLOBAL__N_139chunk_gated_delta_rule_fwd_h_hip_kernelILi64ELb0ELb1ELb0ELb1ELb1ELb1ELb1ELb1EEEvPK12hip_bfloat16S3_S3_PKfS5_PKvPS1_S8_PvPKiSB_iiiiilll
    .private_segment_fixed_size: 0
    .sgpr_count:     73
    .sgpr_spill_count: 0
    .symbol:         _ZN12_GLOBAL__N_139chunk_gated_delta_rule_fwd_h_hip_kernelILi64ELb0ELb1ELb0ELb1ELb1ELb1ELb1ELb1EEEvPK12hip_bfloat16S3_S3_PKfS5_PKvPS1_S8_PvPKiSB_iiiiilll.kd
    .uniform_work_group_size: 1
    .uses_dynamic_stack: false
    .vgpr_count:     228
    .vgpr_spill_count: 0
    .wavefront_size: 64
  - .agpr_count:     40
    .args:
      - .actual_access:  read_only
        .address_space:  global
        .offset:         0
        .size:           8
        .value_kind:     global_buffer
      - .actual_access:  read_only
        .address_space:  global
        .offset:         8
        .size:           8
        .value_kind:     global_buffer
      - .actual_access:  read_only
        .address_space:  global
        .offset:         16
        .size:           8
        .value_kind:     global_buffer
      - .actual_access:  read_only
        .address_space:  global
        .offset:         24
        .size:           8
        .value_kind:     global_buffer
      - .actual_access:  read_only
        .address_space:  global
        .offset:         32
        .size:           8
        .value_kind:     global_buffer
      - .actual_access:  read_only
        .address_space:  global
        .offset:         40
        .size:           8
        .value_kind:     global_buffer
      - .actual_access:  write_only
        .address_space:  global
        .offset:         48
        .size:           8
        .value_kind:     global_buffer
      - .actual_access:  write_only
        .address_space:  global
        .offset:         56
        .size:           8
        .value_kind:     global_buffer
      - .actual_access:  read_only
        .address_space:  global
        .offset:         64
        .size:           8
        .value_kind:     global_buffer
      - .actual_access:  read_only
        .address_space:  global
        .offset:         72
        .size:           8
        .value_kind:     global_buffer
      - .actual_access:  read_only
        .address_space:  global
        .offset:         80
        .size:           8
        .value_kind:     global_buffer
      - .offset:         88
        .size:           4
        .value_kind:     by_value
      - .offset:         92
        .size:           4
        .value_kind:     by_value
      - .offset:         96
        .size:           4
        .value_kind:     by_value
      - .offset:         100
        .size:           4
        .value_kind:     by_value
      - .offset:         104
        .size:           4
        .value_kind:     by_value
      - .offset:         112
        .size:           8
        .value_kind:     by_value
      - .offset:         120
        .size:           8
        .value_kind:     by_value
      - .offset:         128
        .size:           8
        .value_kind:     by_value
    .group_segment_fixed_size: 65536
    .kernarg_segment_align: 8
    .kernarg_segment_size: 136
    .language:       OpenCL C
    .language_version:
      - 2
      - 0
    .max_flat_workgroup_size: 256
    .name:           _ZN12_GLOBAL__N_139chunk_gated_delta_rule_fwd_h_hip_kernelILi64ELb0ELb0ELb1ELb1ELb1ELb1ELb1ELb1EEEvPK12hip_bfloat16S3_S3_PKfS5_PKvPS1_S8_PvPKiSB_iiiiilll
    .private_segment_fixed_size: 0
    .sgpr_count:     70
    .sgpr_spill_count: 0
    .symbol:         _ZN12_GLOBAL__N_139chunk_gated_delta_rule_fwd_h_hip_kernelILi64ELb0ELb0ELb1ELb1ELb1ELb1ELb1ELb1EEEvPK12hip_bfloat16S3_S3_PKfS5_PKvPS1_S8_PvPKiSB_iiiiilll.kd
    .uniform_work_group_size: 1
    .uses_dynamic_stack: false
    .vgpr_count:     232
    .vgpr_spill_count: 0
    .wavefront_size: 64
  - .agpr_count:     40
    .args:
      - .actual_access:  read_only
        .address_space:  global
        .offset:         0
        .size:           8
        .value_kind:     global_buffer
      - .actual_access:  read_only
        .address_space:  global
        .offset:         8
        .size:           8
        .value_kind:     global_buffer
      - .actual_access:  read_only
        .address_space:  global
        .offset:         16
        .size:           8
        .value_kind:     global_buffer
      - .actual_access:  read_only
        .address_space:  global
        .offset:         24
        .size:           8
        .value_kind:     global_buffer
      - .actual_access:  read_only
        .address_space:  global
        .offset:         32
        .size:           8
        .value_kind:     global_buffer
      - .actual_access:  read_only
        .address_space:  global
        .offset:         40
        .size:           8
        .value_kind:     global_buffer
      - .actual_access:  write_only
        .address_space:  global
        .offset:         48
        .size:           8
        .value_kind:     global_buffer
      - .actual_access:  read_only
        .address_space:  global
        .offset:         56
        .size:           8
        .value_kind:     global_buffer
      - .actual_access:  read_only
        .address_space:  global
        .offset:         64
        .size:           8
        .value_kind:     global_buffer
      - .actual_access:  read_only
        .address_space:  global
        .offset:         72
        .size:           8
        .value_kind:     global_buffer
      - .actual_access:  read_only
        .address_space:  global
        .offset:         80
        .size:           8
        .value_kind:     global_buffer
      - .offset:         88
        .size:           4
        .value_kind:     by_value
      - .offset:         92
        .size:           4
        .value_kind:     by_value
      - .offset:         96
        .size:           4
        .value_kind:     by_value
      - .offset:         100
        .size:           4
        .value_kind:     by_value
      - .offset:         104
        .size:           4
        .value_kind:     by_value
      - .offset:         112
        .size:           8
        .value_kind:     by_value
      - .offset:         120
        .size:           8
        .value_kind:     by_value
      - .offset:         128
        .size:           8
        .value_kind:     by_value
    .group_segment_fixed_size: 65536
    .kernarg_segment_align: 8
    .kernarg_segment_size: 136
    .language:       OpenCL C
    .language_version:
      - 2
      - 0
    .max_flat_workgroup_size: 256
    .name:           _ZN12_GLOBAL__N_139chunk_gated_delta_rule_fwd_h_hip_kernelILi64ELb0ELb0ELb0ELb1ELb1ELb1ELb1ELb1EEEvPK12hip_bfloat16S3_S3_PKfS5_PKvPS1_S8_PvPKiSB_iiiiilll
    .private_segment_fixed_size: 0
    .sgpr_count:     68
    .sgpr_spill_count: 0
    .symbol:         _ZN12_GLOBAL__N_139chunk_gated_delta_rule_fwd_h_hip_kernelILi64ELb0ELb0ELb0ELb1ELb1ELb1ELb1ELb1EEEvPK12hip_bfloat16S3_S3_PKfS5_PKvPS1_S8_PvPKiSB_iiiiilll.kd
    .uniform_work_group_size: 1
    .uses_dynamic_stack: false
    .vgpr_count:     228
    .vgpr_spill_count: 0
    .wavefront_size: 64
  - .agpr_count:     40
    .args:
      - .actual_access:  read_only
        .address_space:  global
        .offset:         0
        .size:           8
        .value_kind:     global_buffer
      - .actual_access:  read_only
        .address_space:  global
        .offset:         8
        .size:           8
        .value_kind:     global_buffer
      - .actual_access:  read_only
        .address_space:  global
        .offset:         16
        .size:           8
        .value_kind:     global_buffer
      - .actual_access:  read_only
        .address_space:  global
        .offset:         24
        .size:           8
        .value_kind:     global_buffer
      - .actual_access:  read_only
        .address_space:  global
        .offset:         32
        .size:           8
        .value_kind:     global_buffer
      - .actual_access:  read_only
        .address_space:  global
        .offset:         40
        .size:           8
        .value_kind:     global_buffer
      - .actual_access:  write_only
        .address_space:  global
        .offset:         48
        .size:           8
        .value_kind:     global_buffer
      - .actual_access:  write_only
        .address_space:  global
        .offset:         56
        .size:           8
        .value_kind:     global_buffer
      - .actual_access:  write_only
        .address_space:  global
        .offset:         64
        .size:           8
        .value_kind:     global_buffer
      - .actual_access:  read_only
        .address_space:  global
        .offset:         72
        .size:           8
        .value_kind:     global_buffer
      - .actual_access:  read_only
        .address_space:  global
        .offset:         80
        .size:           8
        .value_kind:     global_buffer
      - .offset:         88
        .size:           4
        .value_kind:     by_value
      - .offset:         92
        .size:           4
        .value_kind:     by_value
      - .offset:         96
        .size:           4
        .value_kind:     by_value
      - .offset:         100
        .size:           4
        .value_kind:     by_value
      - .offset:         104
        .size:           4
        .value_kind:     by_value
      - .offset:         112
        .size:           8
        .value_kind:     by_value
      - .offset:         120
        .size:           8
        .value_kind:     by_value
      - .offset:         128
        .size:           8
        .value_kind:     by_value
    .group_segment_fixed_size: 65536
    .kernarg_segment_align: 8
    .kernarg_segment_size: 136
    .language:       OpenCL C
    .language_version:
      - 2
      - 0
    .max_flat_workgroup_size: 256
    .name:           _ZN12_GLOBAL__N_139chunk_gated_delta_rule_fwd_h_hip_kernelILi64ELb1ELb1ELb1ELb0ELb1ELb1ELb1ELb1EEEvPK12hip_bfloat16S3_S3_PKfS5_PKvPS1_S8_PvPKiSB_iiiiilll
    .private_segment_fixed_size: 0
    .sgpr_count:     81
    .sgpr_spill_count: 0
    .symbol:         _ZN12_GLOBAL__N_139chunk_gated_delta_rule_fwd_h_hip_kernelILi64ELb1ELb1ELb1ELb0ELb1ELb1ELb1ELb1EEEvPK12hip_bfloat16S3_S3_PKfS5_PKvPS1_S8_PvPKiSB_iiiiilll.kd
    .uniform_work_group_size: 1
    .uses_dynamic_stack: false
    .vgpr_count:     240
    .vgpr_spill_count: 0
    .wavefront_size: 64
  - .agpr_count:     40
    .args:
      - .actual_access:  read_only
        .address_space:  global
        .offset:         0
        .size:           8
        .value_kind:     global_buffer
      - .actual_access:  read_only
        .address_space:  global
        .offset:         8
        .size:           8
        .value_kind:     global_buffer
      - .actual_access:  read_only
        .address_space:  global
        .offset:         16
        .size:           8
        .value_kind:     global_buffer
      - .actual_access:  read_only
        .address_space:  global
        .offset:         24
        .size:           8
        .value_kind:     global_buffer
      - .actual_access:  read_only
        .address_space:  global
        .offset:         32
        .size:           8
        .value_kind:     global_buffer
      - .actual_access:  read_only
        .address_space:  global
        .offset:         40
        .size:           8
        .value_kind:     global_buffer
      - .actual_access:  write_only
        .address_space:  global
        .offset:         48
        .size:           8
        .value_kind:     global_buffer
      - .actual_access:  read_only
        .address_space:  global
        .offset:         56
        .size:           8
        .value_kind:     global_buffer
      - .actual_access:  write_only
        .address_space:  global
        .offset:         64
        .size:           8
        .value_kind:     global_buffer
      - .actual_access:  read_only
        .address_space:  global
        .offset:         72
        .size:           8
        .value_kind:     global_buffer
      - .actual_access:  read_only
        .address_space:  global
        .offset:         80
        .size:           8
        .value_kind:     global_buffer
      - .offset:         88
        .size:           4
        .value_kind:     by_value
      - .offset:         92
        .size:           4
        .value_kind:     by_value
      - .offset:         96
        .size:           4
        .value_kind:     by_value
      - .offset:         100
        .size:           4
        .value_kind:     by_value
      - .offset:         104
        .size:           4
        .value_kind:     by_value
      - .offset:         112
        .size:           8
        .value_kind:     by_value
      - .offset:         120
        .size:           8
        .value_kind:     by_value
      - .offset:         128
        .size:           8
        .value_kind:     by_value
    .group_segment_fixed_size: 65536
    .kernarg_segment_align: 8
    .kernarg_segment_size: 136
    .language:       OpenCL C
    .language_version:
      - 2
      - 0
    .max_flat_workgroup_size: 256
    .name:           _ZN12_GLOBAL__N_139chunk_gated_delta_rule_fwd_h_hip_kernelILi64ELb1ELb1ELb0ELb0ELb1ELb1ELb1ELb1EEEvPK12hip_bfloat16S3_S3_PKfS5_PKvPS1_S8_PvPKiSB_iiiiilll
    .private_segment_fixed_size: 0
    .sgpr_count:     79
    .sgpr_spill_count: 0
    .symbol:         _ZN12_GLOBAL__N_139chunk_gated_delta_rule_fwd_h_hip_kernelILi64ELb1ELb1ELb0ELb0ELb1ELb1ELb1ELb1EEEvPK12hip_bfloat16S3_S3_PKfS5_PKvPS1_S8_PvPKiSB_iiiiilll.kd
    .uniform_work_group_size: 1
    .uses_dynamic_stack: false
    .vgpr_count:     240
    .vgpr_spill_count: 0
    .wavefront_size: 64
  - .agpr_count:     40
    .args:
      - .actual_access:  read_only
        .address_space:  global
        .offset:         0
        .size:           8
        .value_kind:     global_buffer
      - .actual_access:  read_only
        .address_space:  global
        .offset:         8
        .size:           8
        .value_kind:     global_buffer
      - .actual_access:  read_only
        .address_space:  global
        .offset:         16
        .size:           8
        .value_kind:     global_buffer
      - .actual_access:  read_only
        .address_space:  global
        .offset:         24
        .size:           8
        .value_kind:     global_buffer
      - .actual_access:  read_only
        .address_space:  global
        .offset:         32
        .size:           8
        .value_kind:     global_buffer
      - .actual_access:  read_only
        .address_space:  global
        .offset:         40
        .size:           8
        .value_kind:     global_buffer
      - .actual_access:  write_only
        .address_space:  global
        .offset:         48
        .size:           8
        .value_kind:     global_buffer
      - .actual_access:  write_only
        .address_space:  global
        .offset:         56
        .size:           8
        .value_kind:     global_buffer
      - .actual_access:  read_only
        .address_space:  global
        .offset:         64
        .size:           8
        .value_kind:     global_buffer
      - .actual_access:  read_only
        .address_space:  global
        .offset:         72
        .size:           8
        .value_kind:     global_buffer
      - .actual_access:  read_only
        .address_space:  global
        .offset:         80
        .size:           8
        .value_kind:     global_buffer
      - .offset:         88
        .size:           4
        .value_kind:     by_value
      - .offset:         92
        .size:           4
        .value_kind:     by_value
      - .offset:         96
        .size:           4
        .value_kind:     by_value
      - .offset:         100
        .size:           4
        .value_kind:     by_value
      - .offset:         104
        .size:           4
        .value_kind:     by_value
      - .offset:         112
        .size:           8
        .value_kind:     by_value
      - .offset:         120
        .size:           8
        .value_kind:     by_value
      - .offset:         128
        .size:           8
        .value_kind:     by_value
    .group_segment_fixed_size: 65536
    .kernarg_segment_align: 8
    .kernarg_segment_size: 136
    .language:       OpenCL C
    .language_version:
      - 2
      - 0
    .max_flat_workgroup_size: 256
    .name:           _ZN12_GLOBAL__N_139chunk_gated_delta_rule_fwd_h_hip_kernelILi64ELb1ELb0ELb1ELb0ELb1ELb1ELb1ELb1EEEvPK12hip_bfloat16S3_S3_PKfS5_PKvPS1_S8_PvPKiSB_iiiiilll
    .private_segment_fixed_size: 0
    .sgpr_count:     77
    .sgpr_spill_count: 0
    .symbol:         _ZN12_GLOBAL__N_139chunk_gated_delta_rule_fwd_h_hip_kernelILi64ELb1ELb0ELb1ELb0ELb1ELb1ELb1ELb1EEEvPK12hip_bfloat16S3_S3_PKfS5_PKvPS1_S8_PvPKiSB_iiiiilll.kd
    .uniform_work_group_size: 1
    .uses_dynamic_stack: false
    .vgpr_count:     232
    .vgpr_spill_count: 0
    .wavefront_size: 64
  - .agpr_count:     40
    .args:
      - .actual_access:  read_only
        .address_space:  global
        .offset:         0
        .size:           8
        .value_kind:     global_buffer
      - .actual_access:  read_only
        .address_space:  global
        .offset:         8
        .size:           8
        .value_kind:     global_buffer
      - .actual_access:  read_only
        .address_space:  global
        .offset:         16
        .size:           8
        .value_kind:     global_buffer
      - .actual_access:  read_only
        .address_space:  global
        .offset:         24
        .size:           8
        .value_kind:     global_buffer
      - .actual_access:  read_only
        .address_space:  global
        .offset:         32
        .size:           8
        .value_kind:     global_buffer
      - .actual_access:  read_only
        .address_space:  global
        .offset:         40
        .size:           8
        .value_kind:     global_buffer
      - .actual_access:  write_only
        .address_space:  global
        .offset:         48
        .size:           8
        .value_kind:     global_buffer
      - .actual_access:  read_only
        .address_space:  global
        .offset:         56
        .size:           8
        .value_kind:     global_buffer
      - .actual_access:  read_only
        .address_space:  global
        .offset:         64
        .size:           8
        .value_kind:     global_buffer
      - .actual_access:  read_only
        .address_space:  global
        .offset:         72
        .size:           8
        .value_kind:     global_buffer
      - .actual_access:  read_only
        .address_space:  global
        .offset:         80
        .size:           8
        .value_kind:     global_buffer
      - .offset:         88
        .size:           4
        .value_kind:     by_value
      - .offset:         92
        .size:           4
        .value_kind:     by_value
      - .offset:         96
        .size:           4
        .value_kind:     by_value
      - .offset:         100
        .size:           4
        .value_kind:     by_value
      - .offset:         104
        .size:           4
        .value_kind:     by_value
      - .offset:         112
        .size:           8
        .value_kind:     by_value
      - .offset:         120
        .size:           8
        .value_kind:     by_value
      - .offset:         128
        .size:           8
        .value_kind:     by_value
    .group_segment_fixed_size: 65536
    .kernarg_segment_align: 8
    .kernarg_segment_size: 136
    .language:       OpenCL C
    .language_version:
      - 2
      - 0
    .max_flat_workgroup_size: 256
    .name:           _ZN12_GLOBAL__N_139chunk_gated_delta_rule_fwd_h_hip_kernelILi64ELb1ELb0ELb0ELb0ELb1ELb1ELb1ELb1EEEvPK12hip_bfloat16S3_S3_PKfS5_PKvPS1_S8_PvPKiSB_iiiiilll
    .private_segment_fixed_size: 0
    .sgpr_count:     75
    .sgpr_spill_count: 0
    .symbol:         _ZN12_GLOBAL__N_139chunk_gated_delta_rule_fwd_h_hip_kernelILi64ELb1ELb0ELb0ELb0ELb1ELb1ELb1ELb1EEEvPK12hip_bfloat16S3_S3_PKfS5_PKvPS1_S8_PvPKiSB_iiiiilll.kd
    .uniform_work_group_size: 1
    .uses_dynamic_stack: false
    .vgpr_count:     228
    .vgpr_spill_count: 0
    .wavefront_size: 64
  - .agpr_count:     40
    .args:
      - .actual_access:  read_only
        .address_space:  global
        .offset:         0
        .size:           8
        .value_kind:     global_buffer
      - .actual_access:  read_only
        .address_space:  global
        .offset:         8
        .size:           8
        .value_kind:     global_buffer
      - .actual_access:  read_only
        .address_space:  global
        .offset:         16
        .size:           8
        .value_kind:     global_buffer
      - .actual_access:  read_only
        .address_space:  global
        .offset:         24
        .size:           8
        .value_kind:     global_buffer
      - .actual_access:  read_only
        .address_space:  global
        .offset:         32
        .size:           8
        .value_kind:     global_buffer
      - .actual_access:  read_only
        .address_space:  global
        .offset:         40
        .size:           8
        .value_kind:     global_buffer
      - .actual_access:  write_only
        .address_space:  global
        .offset:         48
        .size:           8
        .value_kind:     global_buffer
      - .actual_access:  write_only
        .address_space:  global
        .offset:         56
        .size:           8
        .value_kind:     global_buffer
      - .actual_access:  write_only
        .address_space:  global
        .offset:         64
        .size:           8
        .value_kind:     global_buffer
      - .actual_access:  read_only
        .address_space:  global
        .offset:         72
        .size:           8
        .value_kind:     global_buffer
      - .actual_access:  read_only
        .address_space:  global
        .offset:         80
        .size:           8
        .value_kind:     global_buffer
      - .offset:         88
        .size:           4
        .value_kind:     by_value
      - .offset:         92
        .size:           4
        .value_kind:     by_value
      - .offset:         96
        .size:           4
        .value_kind:     by_value
      - .offset:         100
        .size:           4
        .value_kind:     by_value
      - .offset:         104
        .size:           4
        .value_kind:     by_value
      - .offset:         112
        .size:           8
        .value_kind:     by_value
      - .offset:         120
        .size:           8
        .value_kind:     by_value
      - .offset:         128
        .size:           8
        .value_kind:     by_value
    .group_segment_fixed_size: 65536
    .kernarg_segment_align: 8
    .kernarg_segment_size: 136
    .language:       OpenCL C
    .language_version:
      - 2
      - 0
    .max_flat_workgroup_size: 256
    .name:           _ZN12_GLOBAL__N_139chunk_gated_delta_rule_fwd_h_hip_kernelILi64ELb0ELb1ELb1ELb0ELb1ELb1ELb1ELb1EEEvPK12hip_bfloat16S3_S3_PKfS5_PKvPS1_S8_PvPKiSB_iiiiilll
    .private_segment_fixed_size: 0
    .sgpr_count:     76
    .sgpr_spill_count: 0
    .symbol:         _ZN12_GLOBAL__N_139chunk_gated_delta_rule_fwd_h_hip_kernelILi64ELb0ELb1ELb1ELb0ELb1ELb1ELb1ELb1EEEvPK12hip_bfloat16S3_S3_PKfS5_PKvPS1_S8_PvPKiSB_iiiiilll.kd
    .uniform_work_group_size: 1
    .uses_dynamic_stack: false
    .vgpr_count:     232
    .vgpr_spill_count: 0
    .wavefront_size: 64
  - .agpr_count:     40
    .args:
      - .actual_access:  read_only
        .address_space:  global
        .offset:         0
        .size:           8
        .value_kind:     global_buffer
      - .actual_access:  read_only
        .address_space:  global
        .offset:         8
        .size:           8
        .value_kind:     global_buffer
      - .actual_access:  read_only
        .address_space:  global
        .offset:         16
        .size:           8
        .value_kind:     global_buffer
      - .actual_access:  read_only
        .address_space:  global
        .offset:         24
        .size:           8
        .value_kind:     global_buffer
      - .actual_access:  read_only
        .address_space:  global
        .offset:         32
        .size:           8
        .value_kind:     global_buffer
      - .actual_access:  read_only
        .address_space:  global
        .offset:         40
        .size:           8
        .value_kind:     global_buffer
      - .actual_access:  write_only
        .address_space:  global
        .offset:         48
        .size:           8
        .value_kind:     global_buffer
      - .actual_access:  read_only
        .address_space:  global
        .offset:         56
        .size:           8
        .value_kind:     global_buffer
      - .actual_access:  write_only
        .address_space:  global
        .offset:         64
        .size:           8
        .value_kind:     global_buffer
      - .actual_access:  read_only
        .address_space:  global
        .offset:         72
        .size:           8
        .value_kind:     global_buffer
      - .actual_access:  read_only
        .address_space:  global
        .offset:         80
        .size:           8
        .value_kind:     global_buffer
      - .offset:         88
        .size:           4
        .value_kind:     by_value
      - .offset:         92
        .size:           4
        .value_kind:     by_value
      - .offset:         96
        .size:           4
        .value_kind:     by_value
      - .offset:         100
        .size:           4
        .value_kind:     by_value
      - .offset:         104
        .size:           4
        .value_kind:     by_value
      - .offset:         112
        .size:           8
        .value_kind:     by_value
      - .offset:         120
        .size:           8
        .value_kind:     by_value
      - .offset:         128
        .size:           8
        .value_kind:     by_value
    .group_segment_fixed_size: 65536
    .kernarg_segment_align: 8
    .kernarg_segment_size: 136
    .language:       OpenCL C
    .language_version:
      - 2
      - 0
    .max_flat_workgroup_size: 256
    .name:           _ZN12_GLOBAL__N_139chunk_gated_delta_rule_fwd_h_hip_kernelILi64ELb0ELb1ELb0ELb0ELb1ELb1ELb1ELb1EEEvPK12hip_bfloat16S3_S3_PKfS5_PKvPS1_S8_PvPKiSB_iiiiilll
    .private_segment_fixed_size: 0
    .sgpr_count:     74
    .sgpr_spill_count: 0
    .symbol:         _ZN12_GLOBAL__N_139chunk_gated_delta_rule_fwd_h_hip_kernelILi64ELb0ELb1ELb0ELb0ELb1ELb1ELb1ELb1EEEvPK12hip_bfloat16S3_S3_PKfS5_PKvPS1_S8_PvPKiSB_iiiiilll.kd
    .uniform_work_group_size: 1
    .uses_dynamic_stack: false
    .vgpr_count:     228
    .vgpr_spill_count: 0
    .wavefront_size: 64
  - .agpr_count:     40
    .args:
      - .actual_access:  read_only
        .address_space:  global
        .offset:         0
        .size:           8
        .value_kind:     global_buffer
      - .actual_access:  read_only
        .address_space:  global
        .offset:         8
        .size:           8
        .value_kind:     global_buffer
      - .actual_access:  read_only
        .address_space:  global
        .offset:         16
        .size:           8
        .value_kind:     global_buffer
      - .actual_access:  read_only
        .address_space:  global
        .offset:         24
        .size:           8
        .value_kind:     global_buffer
      - .actual_access:  read_only
        .address_space:  global
        .offset:         32
        .size:           8
        .value_kind:     global_buffer
      - .actual_access:  read_only
        .address_space:  global
        .offset:         40
        .size:           8
        .value_kind:     global_buffer
      - .actual_access:  write_only
        .address_space:  global
        .offset:         48
        .size:           8
        .value_kind:     global_buffer
      - .actual_access:  write_only
        .address_space:  global
        .offset:         56
        .size:           8
        .value_kind:     global_buffer
      - .actual_access:  read_only
        .address_space:  global
        .offset:         64
        .size:           8
        .value_kind:     global_buffer
      - .actual_access:  read_only
        .address_space:  global
        .offset:         72
        .size:           8
        .value_kind:     global_buffer
      - .actual_access:  read_only
        .address_space:  global
        .offset:         80
        .size:           8
        .value_kind:     global_buffer
      - .offset:         88
        .size:           4
        .value_kind:     by_value
      - .offset:         92
        .size:           4
        .value_kind:     by_value
      - .offset:         96
        .size:           4
        .value_kind:     by_value
      - .offset:         100
        .size:           4
        .value_kind:     by_value
      - .offset:         104
        .size:           4
        .value_kind:     by_value
      - .offset:         112
        .size:           8
        .value_kind:     by_value
      - .offset:         120
        .size:           8
        .value_kind:     by_value
      - .offset:         128
        .size:           8
        .value_kind:     by_value
    .group_segment_fixed_size: 65536
    .kernarg_segment_align: 8
    .kernarg_segment_size: 136
    .language:       OpenCL C
    .language_version:
      - 2
      - 0
    .max_flat_workgroup_size: 256
    .name:           _ZN12_GLOBAL__N_139chunk_gated_delta_rule_fwd_h_hip_kernelILi64ELb0ELb0ELb1ELb0ELb1ELb1ELb1ELb1EEEvPK12hip_bfloat16S3_S3_PKfS5_PKvPS1_S8_PvPKiSB_iiiiilll
    .private_segment_fixed_size: 0
    .sgpr_count:     74
    .sgpr_spill_count: 0
    .symbol:         _ZN12_GLOBAL__N_139chunk_gated_delta_rule_fwd_h_hip_kernelILi64ELb0ELb0ELb1ELb0ELb1ELb1ELb1ELb1EEEvPK12hip_bfloat16S3_S3_PKfS5_PKvPS1_S8_PvPKiSB_iiiiilll.kd
    .uniform_work_group_size: 1
    .uses_dynamic_stack: false
    .vgpr_count:     232
    .vgpr_spill_count: 0
    .wavefront_size: 64
  - .agpr_count:     40
    .args:
      - .actual_access:  read_only
        .address_space:  global
        .offset:         0
        .size:           8
        .value_kind:     global_buffer
      - .actual_access:  read_only
        .address_space:  global
        .offset:         8
        .size:           8
        .value_kind:     global_buffer
      - .actual_access:  read_only
        .address_space:  global
        .offset:         16
        .size:           8
        .value_kind:     global_buffer
      - .actual_access:  read_only
        .address_space:  global
        .offset:         24
        .size:           8
        .value_kind:     global_buffer
      - .actual_access:  read_only
        .address_space:  global
        .offset:         32
        .size:           8
        .value_kind:     global_buffer
      - .actual_access:  read_only
        .address_space:  global
        .offset:         40
        .size:           8
        .value_kind:     global_buffer
      - .actual_access:  write_only
        .address_space:  global
        .offset:         48
        .size:           8
        .value_kind:     global_buffer
      - .actual_access:  read_only
        .address_space:  global
        .offset:         56
        .size:           8
        .value_kind:     global_buffer
      - .actual_access:  read_only
        .address_space:  global
        .offset:         64
        .size:           8
        .value_kind:     global_buffer
      - .actual_access:  read_only
        .address_space:  global
        .offset:         72
        .size:           8
        .value_kind:     global_buffer
      - .actual_access:  read_only
        .address_space:  global
        .offset:         80
        .size:           8
        .value_kind:     global_buffer
      - .offset:         88
        .size:           4
        .value_kind:     by_value
      - .offset:         92
        .size:           4
        .value_kind:     by_value
      - .offset:         96
        .size:           4
        .value_kind:     by_value
      - .offset:         100
        .size:           4
        .value_kind:     by_value
      - .offset:         104
        .size:           4
        .value_kind:     by_value
      - .offset:         112
        .size:           8
        .value_kind:     by_value
      - .offset:         120
        .size:           8
        .value_kind:     by_value
      - .offset:         128
        .size:           8
        .value_kind:     by_value
    .group_segment_fixed_size: 65536
    .kernarg_segment_align: 8
    .kernarg_segment_size: 136
    .language:       OpenCL C
    .language_version:
      - 2
      - 0
    .max_flat_workgroup_size: 256
    .name:           _ZN12_GLOBAL__N_139chunk_gated_delta_rule_fwd_h_hip_kernelILi64ELb0ELb0ELb0ELb0ELb1ELb1ELb1ELb1EEEvPK12hip_bfloat16S3_S3_PKfS5_PKvPS1_S8_PvPKiSB_iiiiilll
    .private_segment_fixed_size: 0
    .sgpr_count:     72
    .sgpr_spill_count: 0
    .symbol:         _ZN12_GLOBAL__N_139chunk_gated_delta_rule_fwd_h_hip_kernelILi64ELb0ELb0ELb0ELb0ELb1ELb1ELb1ELb1EEEvPK12hip_bfloat16S3_S3_PKfS5_PKvPS1_S8_PvPKiSB_iiiiilll.kd
    .uniform_work_group_size: 1
    .uses_dynamic_stack: false
    .vgpr_count:     228
    .vgpr_spill_count: 0
    .wavefront_size: 64
  - .agpr_count:     40
    .args:
      - .actual_access:  read_only
        .address_space:  global
        .offset:         0
        .size:           8
        .value_kind:     global_buffer
      - .actual_access:  read_only
        .address_space:  global
        .offset:         8
        .size:           8
        .value_kind:     global_buffer
      - .actual_access:  read_only
        .address_space:  global
        .offset:         16
        .size:           8
        .value_kind:     global_buffer
      - .actual_access:  read_only
        .address_space:  global
        .offset:         24
        .size:           8
        .value_kind:     global_buffer
      - .actual_access:  read_only
        .address_space:  global
        .offset:         32
        .size:           8
        .value_kind:     global_buffer
      - .actual_access:  read_only
        .address_space:  global
        .offset:         40
        .size:           8
        .value_kind:     global_buffer
      - .actual_access:  write_only
        .address_space:  global
        .offset:         48
        .size:           8
        .value_kind:     global_buffer
      - .actual_access:  write_only
        .address_space:  global
        .offset:         56
        .size:           8
        .value_kind:     global_buffer
      - .actual_access:  write_only
        .address_space:  global
        .offset:         64
        .size:           8
        .value_kind:     global_buffer
      - .actual_access:  read_only
        .address_space:  global
        .offset:         72
        .size:           8
        .value_kind:     global_buffer
      - .actual_access:  read_only
        .address_space:  global
        .offset:         80
        .size:           8
        .value_kind:     global_buffer
      - .offset:         88
        .size:           4
        .value_kind:     by_value
      - .offset:         92
        .size:           4
        .value_kind:     by_value
      - .offset:         96
        .size:           4
        .value_kind:     by_value
      - .offset:         100
        .size:           4
        .value_kind:     by_value
      - .offset:         104
        .size:           4
        .value_kind:     by_value
      - .offset:         112
        .size:           8
        .value_kind:     by_value
      - .offset:         120
        .size:           8
        .value_kind:     by_value
      - .offset:         128
        .size:           8
        .value_kind:     by_value
    .group_segment_fixed_size: 65536
    .kernarg_segment_align: 8
    .kernarg_segment_size: 136
    .language:       OpenCL C
    .language_version:
      - 2
      - 0
    .max_flat_workgroup_size: 256
    .name:           _ZN12_GLOBAL__N_139chunk_gated_delta_rule_fwd_h_hip_kernelILi64ELb1ELb1ELb1ELb1ELb1ELb1ELb0ELb1EEEvPK12hip_bfloat16S3_S3_PKfS5_PKvPS1_S8_PvPKiSB_iiiiilll
    .private_segment_fixed_size: 0
    .sgpr_count:     75
    .sgpr_spill_count: 0
    .symbol:         _ZN12_GLOBAL__N_139chunk_gated_delta_rule_fwd_h_hip_kernelILi64ELb1ELb1ELb1ELb1ELb1ELb1ELb0ELb1EEEvPK12hip_bfloat16S3_S3_PKfS5_PKvPS1_S8_PvPKiSB_iiiiilll.kd
    .uniform_work_group_size: 1
    .uses_dynamic_stack: false
    .vgpr_count:     240
    .vgpr_spill_count: 0
    .wavefront_size: 64
  - .agpr_count:     40
    .args:
      - .actual_access:  read_only
        .address_space:  global
        .offset:         0
        .size:           8
        .value_kind:     global_buffer
      - .actual_access:  read_only
        .address_space:  global
        .offset:         8
        .size:           8
        .value_kind:     global_buffer
      - .actual_access:  read_only
        .address_space:  global
        .offset:         16
        .size:           8
        .value_kind:     global_buffer
      - .actual_access:  read_only
        .address_space:  global
        .offset:         24
        .size:           8
        .value_kind:     global_buffer
      - .actual_access:  read_only
        .address_space:  global
        .offset:         32
        .size:           8
        .value_kind:     global_buffer
      - .actual_access:  read_only
        .address_space:  global
        .offset:         40
        .size:           8
        .value_kind:     global_buffer
      - .actual_access:  write_only
        .address_space:  global
        .offset:         48
        .size:           8
        .value_kind:     global_buffer
      - .actual_access:  read_only
        .address_space:  global
        .offset:         56
        .size:           8
        .value_kind:     global_buffer
      - .actual_access:  write_only
        .address_space:  global
        .offset:         64
        .size:           8
        .value_kind:     global_buffer
      - .actual_access:  read_only
        .address_space:  global
        .offset:         72
        .size:           8
        .value_kind:     global_buffer
      - .actual_access:  read_only
        .address_space:  global
        .offset:         80
        .size:           8
        .value_kind:     global_buffer
      - .offset:         88
        .size:           4
        .value_kind:     by_value
      - .offset:         92
        .size:           4
        .value_kind:     by_value
      - .offset:         96
        .size:           4
        .value_kind:     by_value
      - .offset:         100
        .size:           4
        .value_kind:     by_value
      - .offset:         104
        .size:           4
        .value_kind:     by_value
      - .offset:         112
        .size:           8
        .value_kind:     by_value
      - .offset:         120
        .size:           8
        .value_kind:     by_value
      - .offset:         128
        .size:           8
        .value_kind:     by_value
    .group_segment_fixed_size: 65536
    .kernarg_segment_align: 8
    .kernarg_segment_size: 136
    .language:       OpenCL C
    .language_version:
      - 2
      - 0
    .max_flat_workgroup_size: 256
    .name:           _ZN12_GLOBAL__N_139chunk_gated_delta_rule_fwd_h_hip_kernelILi64ELb1ELb1ELb0ELb1ELb1ELb1ELb0ELb1EEEvPK12hip_bfloat16S3_S3_PKfS5_PKvPS1_S8_PvPKiSB_iiiiilll
    .private_segment_fixed_size: 0
    .sgpr_count:     73
    .sgpr_spill_count: 0
    .symbol:         _ZN12_GLOBAL__N_139chunk_gated_delta_rule_fwd_h_hip_kernelILi64ELb1ELb1ELb0ELb1ELb1ELb1ELb0ELb1EEEvPK12hip_bfloat16S3_S3_PKfS5_PKvPS1_S8_PvPKiSB_iiiiilll.kd
    .uniform_work_group_size: 1
    .uses_dynamic_stack: false
    .vgpr_count:     240
    .vgpr_spill_count: 0
    .wavefront_size: 64
  - .agpr_count:     40
    .args:
      - .actual_access:  read_only
        .address_space:  global
        .offset:         0
        .size:           8
        .value_kind:     global_buffer
      - .actual_access:  read_only
        .address_space:  global
        .offset:         8
        .size:           8
        .value_kind:     global_buffer
      - .actual_access:  read_only
        .address_space:  global
        .offset:         16
        .size:           8
        .value_kind:     global_buffer
      - .actual_access:  read_only
        .address_space:  global
        .offset:         24
        .size:           8
        .value_kind:     global_buffer
      - .actual_access:  read_only
        .address_space:  global
        .offset:         32
        .size:           8
        .value_kind:     global_buffer
      - .actual_access:  read_only
        .address_space:  global
        .offset:         40
        .size:           8
        .value_kind:     global_buffer
      - .actual_access:  write_only
        .address_space:  global
        .offset:         48
        .size:           8
        .value_kind:     global_buffer
      - .actual_access:  write_only
        .address_space:  global
        .offset:         56
        .size:           8
        .value_kind:     global_buffer
      - .actual_access:  read_only
        .address_space:  global
        .offset:         64
        .size:           8
        .value_kind:     global_buffer
      - .actual_access:  read_only
        .address_space:  global
        .offset:         72
        .size:           8
        .value_kind:     global_buffer
      - .actual_access:  read_only
        .address_space:  global
        .offset:         80
        .size:           8
        .value_kind:     global_buffer
      - .offset:         88
        .size:           4
        .value_kind:     by_value
      - .offset:         92
        .size:           4
        .value_kind:     by_value
      - .offset:         96
        .size:           4
        .value_kind:     by_value
      - .offset:         100
        .size:           4
        .value_kind:     by_value
      - .offset:         104
        .size:           4
        .value_kind:     by_value
      - .offset:         112
        .size:           8
        .value_kind:     by_value
      - .offset:         120
        .size:           8
        .value_kind:     by_value
      - .offset:         128
        .size:           8
        .value_kind:     by_value
    .group_segment_fixed_size: 65536
    .kernarg_segment_align: 8
    .kernarg_segment_size: 136
    .language:       OpenCL C
    .language_version:
      - 2
      - 0
    .max_flat_workgroup_size: 256
    .name:           _ZN12_GLOBAL__N_139chunk_gated_delta_rule_fwd_h_hip_kernelILi64ELb1ELb0ELb1ELb1ELb1ELb1ELb0ELb1EEEvPK12hip_bfloat16S3_S3_PKfS5_PKvPS1_S8_PvPKiSB_iiiiilll
    .private_segment_fixed_size: 0
    .sgpr_count:     71
    .sgpr_spill_count: 0
    .symbol:         _ZN12_GLOBAL__N_139chunk_gated_delta_rule_fwd_h_hip_kernelILi64ELb1ELb0ELb1ELb1ELb1ELb1ELb0ELb1EEEvPK12hip_bfloat16S3_S3_PKfS5_PKvPS1_S8_PvPKiSB_iiiiilll.kd
    .uniform_work_group_size: 1
    .uses_dynamic_stack: false
    .vgpr_count:     232
    .vgpr_spill_count: 0
    .wavefront_size: 64
  - .agpr_count:     40
    .args:
      - .actual_access:  read_only
        .address_space:  global
        .offset:         0
        .size:           8
        .value_kind:     global_buffer
      - .actual_access:  read_only
        .address_space:  global
        .offset:         8
        .size:           8
        .value_kind:     global_buffer
      - .actual_access:  read_only
        .address_space:  global
        .offset:         16
        .size:           8
        .value_kind:     global_buffer
      - .actual_access:  read_only
        .address_space:  global
        .offset:         24
        .size:           8
        .value_kind:     global_buffer
      - .actual_access:  read_only
        .address_space:  global
        .offset:         32
        .size:           8
        .value_kind:     global_buffer
      - .actual_access:  read_only
        .address_space:  global
        .offset:         40
        .size:           8
        .value_kind:     global_buffer
      - .actual_access:  write_only
        .address_space:  global
        .offset:         48
        .size:           8
        .value_kind:     global_buffer
      - .actual_access:  read_only
        .address_space:  global
        .offset:         56
        .size:           8
        .value_kind:     global_buffer
      - .actual_access:  read_only
        .address_space:  global
        .offset:         64
        .size:           8
        .value_kind:     global_buffer
      - .actual_access:  read_only
        .address_space:  global
        .offset:         72
        .size:           8
        .value_kind:     global_buffer
      - .actual_access:  read_only
        .address_space:  global
        .offset:         80
        .size:           8
        .value_kind:     global_buffer
      - .offset:         88
        .size:           4
        .value_kind:     by_value
      - .offset:         92
        .size:           4
        .value_kind:     by_value
      - .offset:         96
        .size:           4
        .value_kind:     by_value
      - .offset:         100
        .size:           4
        .value_kind:     by_value
      - .offset:         104
        .size:           4
        .value_kind:     by_value
      - .offset:         112
        .size:           8
        .value_kind:     by_value
      - .offset:         120
        .size:           8
        .value_kind:     by_value
      - .offset:         128
        .size:           8
        .value_kind:     by_value
    .group_segment_fixed_size: 65536
    .kernarg_segment_align: 8
    .kernarg_segment_size: 136
    .language:       OpenCL C
    .language_version:
      - 2
      - 0
    .max_flat_workgroup_size: 256
    .name:           _ZN12_GLOBAL__N_139chunk_gated_delta_rule_fwd_h_hip_kernelILi64ELb1ELb0ELb0ELb1ELb1ELb1ELb0ELb1EEEvPK12hip_bfloat16S3_S3_PKfS5_PKvPS1_S8_PvPKiSB_iiiiilll
    .private_segment_fixed_size: 0
    .sgpr_count:     69
    .sgpr_spill_count: 0
    .symbol:         _ZN12_GLOBAL__N_139chunk_gated_delta_rule_fwd_h_hip_kernelILi64ELb1ELb0ELb0ELb1ELb1ELb1ELb0ELb1EEEvPK12hip_bfloat16S3_S3_PKfS5_PKvPS1_S8_PvPKiSB_iiiiilll.kd
    .uniform_work_group_size: 1
    .uses_dynamic_stack: false
    .vgpr_count:     228
    .vgpr_spill_count: 0
    .wavefront_size: 64
  - .agpr_count:     40
    .args:
      - .actual_access:  read_only
        .address_space:  global
        .offset:         0
        .size:           8
        .value_kind:     global_buffer
      - .actual_access:  read_only
        .address_space:  global
        .offset:         8
        .size:           8
        .value_kind:     global_buffer
      - .actual_access:  read_only
        .address_space:  global
        .offset:         16
        .size:           8
        .value_kind:     global_buffer
      - .actual_access:  read_only
        .address_space:  global
        .offset:         24
        .size:           8
        .value_kind:     global_buffer
      - .actual_access:  read_only
        .address_space:  global
        .offset:         32
        .size:           8
        .value_kind:     global_buffer
      - .actual_access:  read_only
        .address_space:  global
        .offset:         40
        .size:           8
        .value_kind:     global_buffer
      - .actual_access:  write_only
        .address_space:  global
        .offset:         48
        .size:           8
        .value_kind:     global_buffer
      - .actual_access:  write_only
        .address_space:  global
        .offset:         56
        .size:           8
        .value_kind:     global_buffer
      - .actual_access:  write_only
        .address_space:  global
        .offset:         64
        .size:           8
        .value_kind:     global_buffer
      - .actual_access:  read_only
        .address_space:  global
        .offset:         72
        .size:           8
        .value_kind:     global_buffer
      - .actual_access:  read_only
        .address_space:  global
        .offset:         80
        .size:           8
        .value_kind:     global_buffer
      - .offset:         88
        .size:           4
        .value_kind:     by_value
      - .offset:         92
        .size:           4
        .value_kind:     by_value
      - .offset:         96
        .size:           4
        .value_kind:     by_value
      - .offset:         100
        .size:           4
        .value_kind:     by_value
      - .offset:         104
        .size:           4
        .value_kind:     by_value
      - .offset:         112
        .size:           8
        .value_kind:     by_value
      - .offset:         120
        .size:           8
        .value_kind:     by_value
      - .offset:         128
        .size:           8
        .value_kind:     by_value
    .group_segment_fixed_size: 65536
    .kernarg_segment_align: 8
    .kernarg_segment_size: 136
    .language:       OpenCL C
    .language_version:
      - 2
      - 0
    .max_flat_workgroup_size: 256
    .name:           _ZN12_GLOBAL__N_139chunk_gated_delta_rule_fwd_h_hip_kernelILi64ELb0ELb1ELb1ELb1ELb1ELb1ELb0ELb1EEEvPK12hip_bfloat16S3_S3_PKfS5_PKvPS1_S8_PvPKiSB_iiiiilll
    .private_segment_fixed_size: 0
    .sgpr_count:     75
    .sgpr_spill_count: 0
    .symbol:         _ZN12_GLOBAL__N_139chunk_gated_delta_rule_fwd_h_hip_kernelILi64ELb0ELb1ELb1ELb1ELb1ELb1ELb0ELb1EEEvPK12hip_bfloat16S3_S3_PKfS5_PKvPS1_S8_PvPKiSB_iiiiilll.kd
    .uniform_work_group_size: 1
    .uses_dynamic_stack: false
    .vgpr_count:     232
    .vgpr_spill_count: 0
    .wavefront_size: 64
  - .agpr_count:     40
    .args:
      - .actual_access:  read_only
        .address_space:  global
        .offset:         0
        .size:           8
        .value_kind:     global_buffer
      - .actual_access:  read_only
        .address_space:  global
        .offset:         8
        .size:           8
        .value_kind:     global_buffer
      - .actual_access:  read_only
        .address_space:  global
        .offset:         16
        .size:           8
        .value_kind:     global_buffer
      - .actual_access:  read_only
        .address_space:  global
        .offset:         24
        .size:           8
        .value_kind:     global_buffer
      - .actual_access:  read_only
        .address_space:  global
        .offset:         32
        .size:           8
        .value_kind:     global_buffer
      - .actual_access:  read_only
        .address_space:  global
        .offset:         40
        .size:           8
        .value_kind:     global_buffer
      - .actual_access:  write_only
        .address_space:  global
        .offset:         48
        .size:           8
        .value_kind:     global_buffer
      - .actual_access:  read_only
        .address_space:  global
        .offset:         56
        .size:           8
        .value_kind:     global_buffer
      - .actual_access:  write_only
        .address_space:  global
        .offset:         64
        .size:           8
        .value_kind:     global_buffer
      - .actual_access:  read_only
        .address_space:  global
        .offset:         72
        .size:           8
        .value_kind:     global_buffer
      - .actual_access:  read_only
        .address_space:  global
        .offset:         80
        .size:           8
        .value_kind:     global_buffer
      - .offset:         88
        .size:           4
        .value_kind:     by_value
      - .offset:         92
        .size:           4
        .value_kind:     by_value
      - .offset:         96
        .size:           4
        .value_kind:     by_value
      - .offset:         100
        .size:           4
        .value_kind:     by_value
      - .offset:         104
        .size:           4
        .value_kind:     by_value
      - .offset:         112
        .size:           8
        .value_kind:     by_value
      - .offset:         120
        .size:           8
        .value_kind:     by_value
      - .offset:         128
        .size:           8
        .value_kind:     by_value
    .group_segment_fixed_size: 65536
    .kernarg_segment_align: 8
    .kernarg_segment_size: 136
    .language:       OpenCL C
    .language_version:
      - 2
      - 0
    .max_flat_workgroup_size: 256
    .name:           _ZN12_GLOBAL__N_139chunk_gated_delta_rule_fwd_h_hip_kernelILi64ELb0ELb1ELb0ELb1ELb1ELb1ELb0ELb1EEEvPK12hip_bfloat16S3_S3_PKfS5_PKvPS1_S8_PvPKiSB_iiiiilll
    .private_segment_fixed_size: 0
    .sgpr_count:     73
    .sgpr_spill_count: 0
    .symbol:         _ZN12_GLOBAL__N_139chunk_gated_delta_rule_fwd_h_hip_kernelILi64ELb0ELb1ELb0ELb1ELb1ELb1ELb0ELb1EEEvPK12hip_bfloat16S3_S3_PKfS5_PKvPS1_S8_PvPKiSB_iiiiilll.kd
    .uniform_work_group_size: 1
    .uses_dynamic_stack: false
    .vgpr_count:     228
    .vgpr_spill_count: 0
    .wavefront_size: 64
  - .agpr_count:     40
    .args:
      - .actual_access:  read_only
        .address_space:  global
        .offset:         0
        .size:           8
        .value_kind:     global_buffer
      - .actual_access:  read_only
        .address_space:  global
        .offset:         8
        .size:           8
        .value_kind:     global_buffer
      - .actual_access:  read_only
        .address_space:  global
        .offset:         16
        .size:           8
        .value_kind:     global_buffer
      - .actual_access:  read_only
        .address_space:  global
        .offset:         24
        .size:           8
        .value_kind:     global_buffer
      - .actual_access:  read_only
        .address_space:  global
        .offset:         32
        .size:           8
        .value_kind:     global_buffer
      - .actual_access:  read_only
        .address_space:  global
        .offset:         40
        .size:           8
        .value_kind:     global_buffer
      - .actual_access:  write_only
        .address_space:  global
        .offset:         48
        .size:           8
        .value_kind:     global_buffer
      - .actual_access:  write_only
        .address_space:  global
        .offset:         56
        .size:           8
        .value_kind:     global_buffer
      - .actual_access:  read_only
        .address_space:  global
        .offset:         64
        .size:           8
        .value_kind:     global_buffer
      - .actual_access:  read_only
        .address_space:  global
        .offset:         72
        .size:           8
        .value_kind:     global_buffer
      - .actual_access:  read_only
        .address_space:  global
        .offset:         80
        .size:           8
        .value_kind:     global_buffer
      - .offset:         88
        .size:           4
        .value_kind:     by_value
      - .offset:         92
        .size:           4
        .value_kind:     by_value
      - .offset:         96
        .size:           4
        .value_kind:     by_value
      - .offset:         100
        .size:           4
        .value_kind:     by_value
      - .offset:         104
        .size:           4
        .value_kind:     by_value
      - .offset:         112
        .size:           8
        .value_kind:     by_value
      - .offset:         120
        .size:           8
        .value_kind:     by_value
      - .offset:         128
        .size:           8
        .value_kind:     by_value
    .group_segment_fixed_size: 65536
    .kernarg_segment_align: 8
    .kernarg_segment_size: 136
    .language:       OpenCL C
    .language_version:
      - 2
      - 0
    .max_flat_workgroup_size: 256
    .name:           _ZN12_GLOBAL__N_139chunk_gated_delta_rule_fwd_h_hip_kernelILi64ELb0ELb0ELb1ELb1ELb1ELb1ELb0ELb1EEEvPK12hip_bfloat16S3_S3_PKfS5_PKvPS1_S8_PvPKiSB_iiiiilll
    .private_segment_fixed_size: 0
    .sgpr_count:     70
    .sgpr_spill_count: 0
    .symbol:         _ZN12_GLOBAL__N_139chunk_gated_delta_rule_fwd_h_hip_kernelILi64ELb0ELb0ELb1ELb1ELb1ELb1ELb0ELb1EEEvPK12hip_bfloat16S3_S3_PKfS5_PKvPS1_S8_PvPKiSB_iiiiilll.kd
    .uniform_work_group_size: 1
    .uses_dynamic_stack: false
    .vgpr_count:     232
    .vgpr_spill_count: 0
    .wavefront_size: 64
  - .agpr_count:     40
    .args:
      - .actual_access:  read_only
        .address_space:  global
        .offset:         0
        .size:           8
        .value_kind:     global_buffer
      - .actual_access:  read_only
        .address_space:  global
        .offset:         8
        .size:           8
        .value_kind:     global_buffer
      - .actual_access:  read_only
        .address_space:  global
        .offset:         16
        .size:           8
        .value_kind:     global_buffer
      - .actual_access:  read_only
        .address_space:  global
        .offset:         24
        .size:           8
        .value_kind:     global_buffer
      - .actual_access:  read_only
        .address_space:  global
        .offset:         32
        .size:           8
        .value_kind:     global_buffer
      - .actual_access:  read_only
        .address_space:  global
        .offset:         40
        .size:           8
        .value_kind:     global_buffer
      - .actual_access:  write_only
        .address_space:  global
        .offset:         48
        .size:           8
        .value_kind:     global_buffer
      - .actual_access:  read_only
        .address_space:  global
        .offset:         56
        .size:           8
        .value_kind:     global_buffer
      - .actual_access:  read_only
        .address_space:  global
        .offset:         64
        .size:           8
        .value_kind:     global_buffer
      - .actual_access:  read_only
        .address_space:  global
        .offset:         72
        .size:           8
        .value_kind:     global_buffer
      - .actual_access:  read_only
        .address_space:  global
        .offset:         80
        .size:           8
        .value_kind:     global_buffer
      - .offset:         88
        .size:           4
        .value_kind:     by_value
      - .offset:         92
        .size:           4
        .value_kind:     by_value
      - .offset:         96
        .size:           4
        .value_kind:     by_value
      - .offset:         100
        .size:           4
        .value_kind:     by_value
      - .offset:         104
        .size:           4
        .value_kind:     by_value
      - .offset:         112
        .size:           8
        .value_kind:     by_value
      - .offset:         120
        .size:           8
        .value_kind:     by_value
      - .offset:         128
        .size:           8
        .value_kind:     by_value
    .group_segment_fixed_size: 65536
    .kernarg_segment_align: 8
    .kernarg_segment_size: 136
    .language:       OpenCL C
    .language_version:
      - 2
      - 0
    .max_flat_workgroup_size: 256
    .name:           _ZN12_GLOBAL__N_139chunk_gated_delta_rule_fwd_h_hip_kernelILi64ELb0ELb0ELb0ELb1ELb1ELb1ELb0ELb1EEEvPK12hip_bfloat16S3_S3_PKfS5_PKvPS1_S8_PvPKiSB_iiiiilll
    .private_segment_fixed_size: 0
    .sgpr_count:     68
    .sgpr_spill_count: 0
    .symbol:         _ZN12_GLOBAL__N_139chunk_gated_delta_rule_fwd_h_hip_kernelILi64ELb0ELb0ELb0ELb1ELb1ELb1ELb0ELb1EEEvPK12hip_bfloat16S3_S3_PKfS5_PKvPS1_S8_PvPKiSB_iiiiilll.kd
    .uniform_work_group_size: 1
    .uses_dynamic_stack: false
    .vgpr_count:     228
    .vgpr_spill_count: 0
    .wavefront_size: 64
  - .agpr_count:     40
    .args:
      - .actual_access:  read_only
        .address_space:  global
        .offset:         0
        .size:           8
        .value_kind:     global_buffer
      - .actual_access:  read_only
        .address_space:  global
        .offset:         8
        .size:           8
        .value_kind:     global_buffer
      - .actual_access:  read_only
        .address_space:  global
        .offset:         16
        .size:           8
        .value_kind:     global_buffer
      - .actual_access:  read_only
        .address_space:  global
        .offset:         24
        .size:           8
        .value_kind:     global_buffer
      - .actual_access:  read_only
        .address_space:  global
        .offset:         32
        .size:           8
        .value_kind:     global_buffer
      - .actual_access:  read_only
        .address_space:  global
        .offset:         40
        .size:           8
        .value_kind:     global_buffer
      - .actual_access:  write_only
        .address_space:  global
        .offset:         48
        .size:           8
        .value_kind:     global_buffer
      - .actual_access:  write_only
        .address_space:  global
        .offset:         56
        .size:           8
        .value_kind:     global_buffer
      - .actual_access:  write_only
        .address_space:  global
        .offset:         64
        .size:           8
        .value_kind:     global_buffer
      - .actual_access:  read_only
        .address_space:  global
        .offset:         72
        .size:           8
        .value_kind:     global_buffer
      - .actual_access:  read_only
        .address_space:  global
        .offset:         80
        .size:           8
        .value_kind:     global_buffer
      - .offset:         88
        .size:           4
        .value_kind:     by_value
      - .offset:         92
        .size:           4
        .value_kind:     by_value
      - .offset:         96
        .size:           4
        .value_kind:     by_value
      - .offset:         100
        .size:           4
        .value_kind:     by_value
      - .offset:         104
        .size:           4
        .value_kind:     by_value
      - .offset:         112
        .size:           8
        .value_kind:     by_value
      - .offset:         120
        .size:           8
        .value_kind:     by_value
      - .offset:         128
        .size:           8
        .value_kind:     by_value
    .group_segment_fixed_size: 65536
    .kernarg_segment_align: 8
    .kernarg_segment_size: 136
    .language:       OpenCL C
    .language_version:
      - 2
      - 0
    .max_flat_workgroup_size: 256
    .name:           _ZN12_GLOBAL__N_139chunk_gated_delta_rule_fwd_h_hip_kernelILi64ELb1ELb1ELb1ELb0ELb1ELb1ELb0ELb1EEEvPK12hip_bfloat16S3_S3_PKfS5_PKvPS1_S8_PvPKiSB_iiiiilll
    .private_segment_fixed_size: 0
    .sgpr_count:     81
    .sgpr_spill_count: 0
    .symbol:         _ZN12_GLOBAL__N_139chunk_gated_delta_rule_fwd_h_hip_kernelILi64ELb1ELb1ELb1ELb0ELb1ELb1ELb0ELb1EEEvPK12hip_bfloat16S3_S3_PKfS5_PKvPS1_S8_PvPKiSB_iiiiilll.kd
    .uniform_work_group_size: 1
    .uses_dynamic_stack: false
    .vgpr_count:     240
    .vgpr_spill_count: 0
    .wavefront_size: 64
  - .agpr_count:     40
    .args:
      - .actual_access:  read_only
        .address_space:  global
        .offset:         0
        .size:           8
        .value_kind:     global_buffer
      - .actual_access:  read_only
        .address_space:  global
        .offset:         8
        .size:           8
        .value_kind:     global_buffer
      - .actual_access:  read_only
        .address_space:  global
        .offset:         16
        .size:           8
        .value_kind:     global_buffer
      - .actual_access:  read_only
        .address_space:  global
        .offset:         24
        .size:           8
        .value_kind:     global_buffer
      - .actual_access:  read_only
        .address_space:  global
        .offset:         32
        .size:           8
        .value_kind:     global_buffer
      - .actual_access:  read_only
        .address_space:  global
        .offset:         40
        .size:           8
        .value_kind:     global_buffer
      - .actual_access:  write_only
        .address_space:  global
        .offset:         48
        .size:           8
        .value_kind:     global_buffer
      - .actual_access:  read_only
        .address_space:  global
        .offset:         56
        .size:           8
        .value_kind:     global_buffer
      - .actual_access:  write_only
        .address_space:  global
        .offset:         64
        .size:           8
        .value_kind:     global_buffer
      - .actual_access:  read_only
        .address_space:  global
        .offset:         72
        .size:           8
        .value_kind:     global_buffer
      - .actual_access:  read_only
        .address_space:  global
        .offset:         80
        .size:           8
        .value_kind:     global_buffer
      - .offset:         88
        .size:           4
        .value_kind:     by_value
      - .offset:         92
        .size:           4
        .value_kind:     by_value
      - .offset:         96
        .size:           4
        .value_kind:     by_value
      - .offset:         100
        .size:           4
        .value_kind:     by_value
      - .offset:         104
        .size:           4
        .value_kind:     by_value
      - .offset:         112
        .size:           8
        .value_kind:     by_value
      - .offset:         120
        .size:           8
        .value_kind:     by_value
      - .offset:         128
        .size:           8
        .value_kind:     by_value
    .group_segment_fixed_size: 65536
    .kernarg_segment_align: 8
    .kernarg_segment_size: 136
    .language:       OpenCL C
    .language_version:
      - 2
      - 0
    .max_flat_workgroup_size: 256
    .name:           _ZN12_GLOBAL__N_139chunk_gated_delta_rule_fwd_h_hip_kernelILi64ELb1ELb1ELb0ELb0ELb1ELb1ELb0ELb1EEEvPK12hip_bfloat16S3_S3_PKfS5_PKvPS1_S8_PvPKiSB_iiiiilll
    .private_segment_fixed_size: 0
    .sgpr_count:     79
    .sgpr_spill_count: 0
    .symbol:         _ZN12_GLOBAL__N_139chunk_gated_delta_rule_fwd_h_hip_kernelILi64ELb1ELb1ELb0ELb0ELb1ELb1ELb0ELb1EEEvPK12hip_bfloat16S3_S3_PKfS5_PKvPS1_S8_PvPKiSB_iiiiilll.kd
    .uniform_work_group_size: 1
    .uses_dynamic_stack: false
    .vgpr_count:     240
    .vgpr_spill_count: 0
    .wavefront_size: 64
  - .agpr_count:     40
    .args:
      - .actual_access:  read_only
        .address_space:  global
        .offset:         0
        .size:           8
        .value_kind:     global_buffer
      - .actual_access:  read_only
        .address_space:  global
        .offset:         8
        .size:           8
        .value_kind:     global_buffer
      - .actual_access:  read_only
        .address_space:  global
        .offset:         16
        .size:           8
        .value_kind:     global_buffer
      - .actual_access:  read_only
        .address_space:  global
        .offset:         24
        .size:           8
        .value_kind:     global_buffer
      - .actual_access:  read_only
        .address_space:  global
        .offset:         32
        .size:           8
        .value_kind:     global_buffer
      - .actual_access:  read_only
        .address_space:  global
        .offset:         40
        .size:           8
        .value_kind:     global_buffer
      - .actual_access:  write_only
        .address_space:  global
        .offset:         48
        .size:           8
        .value_kind:     global_buffer
      - .actual_access:  write_only
        .address_space:  global
        .offset:         56
        .size:           8
        .value_kind:     global_buffer
      - .actual_access:  read_only
        .address_space:  global
        .offset:         64
        .size:           8
        .value_kind:     global_buffer
      - .actual_access:  read_only
        .address_space:  global
        .offset:         72
        .size:           8
        .value_kind:     global_buffer
      - .actual_access:  read_only
        .address_space:  global
        .offset:         80
        .size:           8
        .value_kind:     global_buffer
      - .offset:         88
        .size:           4
        .value_kind:     by_value
      - .offset:         92
        .size:           4
        .value_kind:     by_value
      - .offset:         96
        .size:           4
        .value_kind:     by_value
      - .offset:         100
        .size:           4
        .value_kind:     by_value
      - .offset:         104
        .size:           4
        .value_kind:     by_value
      - .offset:         112
        .size:           8
        .value_kind:     by_value
      - .offset:         120
        .size:           8
        .value_kind:     by_value
      - .offset:         128
        .size:           8
        .value_kind:     by_value
    .group_segment_fixed_size: 65536
    .kernarg_segment_align: 8
    .kernarg_segment_size: 136
    .language:       OpenCL C
    .language_version:
      - 2
      - 0
    .max_flat_workgroup_size: 256
    .name:           _ZN12_GLOBAL__N_139chunk_gated_delta_rule_fwd_h_hip_kernelILi64ELb1ELb0ELb1ELb0ELb1ELb1ELb0ELb1EEEvPK12hip_bfloat16S3_S3_PKfS5_PKvPS1_S8_PvPKiSB_iiiiilll
    .private_segment_fixed_size: 0
    .sgpr_count:     77
    .sgpr_spill_count: 0
    .symbol:         _ZN12_GLOBAL__N_139chunk_gated_delta_rule_fwd_h_hip_kernelILi64ELb1ELb0ELb1ELb0ELb1ELb1ELb0ELb1EEEvPK12hip_bfloat16S3_S3_PKfS5_PKvPS1_S8_PvPKiSB_iiiiilll.kd
    .uniform_work_group_size: 1
    .uses_dynamic_stack: false
    .vgpr_count:     232
    .vgpr_spill_count: 0
    .wavefront_size: 64
  - .agpr_count:     40
    .args:
      - .actual_access:  read_only
        .address_space:  global
        .offset:         0
        .size:           8
        .value_kind:     global_buffer
      - .actual_access:  read_only
        .address_space:  global
        .offset:         8
        .size:           8
        .value_kind:     global_buffer
      - .actual_access:  read_only
        .address_space:  global
        .offset:         16
        .size:           8
        .value_kind:     global_buffer
      - .actual_access:  read_only
        .address_space:  global
        .offset:         24
        .size:           8
        .value_kind:     global_buffer
      - .actual_access:  read_only
        .address_space:  global
        .offset:         32
        .size:           8
        .value_kind:     global_buffer
      - .actual_access:  read_only
        .address_space:  global
        .offset:         40
        .size:           8
        .value_kind:     global_buffer
      - .actual_access:  write_only
        .address_space:  global
        .offset:         48
        .size:           8
        .value_kind:     global_buffer
      - .actual_access:  read_only
        .address_space:  global
        .offset:         56
        .size:           8
        .value_kind:     global_buffer
      - .actual_access:  read_only
        .address_space:  global
        .offset:         64
        .size:           8
        .value_kind:     global_buffer
      - .actual_access:  read_only
        .address_space:  global
        .offset:         72
        .size:           8
        .value_kind:     global_buffer
      - .actual_access:  read_only
        .address_space:  global
        .offset:         80
        .size:           8
        .value_kind:     global_buffer
      - .offset:         88
        .size:           4
        .value_kind:     by_value
      - .offset:         92
        .size:           4
        .value_kind:     by_value
      - .offset:         96
        .size:           4
        .value_kind:     by_value
      - .offset:         100
        .size:           4
        .value_kind:     by_value
      - .offset:         104
        .size:           4
        .value_kind:     by_value
      - .offset:         112
        .size:           8
        .value_kind:     by_value
      - .offset:         120
        .size:           8
        .value_kind:     by_value
      - .offset:         128
        .size:           8
        .value_kind:     by_value
    .group_segment_fixed_size: 65536
    .kernarg_segment_align: 8
    .kernarg_segment_size: 136
    .language:       OpenCL C
    .language_version:
      - 2
      - 0
    .max_flat_workgroup_size: 256
    .name:           _ZN12_GLOBAL__N_139chunk_gated_delta_rule_fwd_h_hip_kernelILi64ELb1ELb0ELb0ELb0ELb1ELb1ELb0ELb1EEEvPK12hip_bfloat16S3_S3_PKfS5_PKvPS1_S8_PvPKiSB_iiiiilll
    .private_segment_fixed_size: 0
    .sgpr_count:     75
    .sgpr_spill_count: 0
    .symbol:         _ZN12_GLOBAL__N_139chunk_gated_delta_rule_fwd_h_hip_kernelILi64ELb1ELb0ELb0ELb0ELb1ELb1ELb0ELb1EEEvPK12hip_bfloat16S3_S3_PKfS5_PKvPS1_S8_PvPKiSB_iiiiilll.kd
    .uniform_work_group_size: 1
    .uses_dynamic_stack: false
    .vgpr_count:     228
    .vgpr_spill_count: 0
    .wavefront_size: 64
  - .agpr_count:     40
    .args:
      - .actual_access:  read_only
        .address_space:  global
        .offset:         0
        .size:           8
        .value_kind:     global_buffer
      - .actual_access:  read_only
        .address_space:  global
        .offset:         8
        .size:           8
        .value_kind:     global_buffer
      - .actual_access:  read_only
        .address_space:  global
        .offset:         16
        .size:           8
        .value_kind:     global_buffer
      - .actual_access:  read_only
        .address_space:  global
        .offset:         24
        .size:           8
        .value_kind:     global_buffer
      - .actual_access:  read_only
        .address_space:  global
        .offset:         32
        .size:           8
        .value_kind:     global_buffer
      - .actual_access:  read_only
        .address_space:  global
        .offset:         40
        .size:           8
        .value_kind:     global_buffer
      - .actual_access:  write_only
        .address_space:  global
        .offset:         48
        .size:           8
        .value_kind:     global_buffer
      - .actual_access:  write_only
        .address_space:  global
        .offset:         56
        .size:           8
        .value_kind:     global_buffer
      - .actual_access:  write_only
        .address_space:  global
        .offset:         64
        .size:           8
        .value_kind:     global_buffer
      - .actual_access:  read_only
        .address_space:  global
        .offset:         72
        .size:           8
        .value_kind:     global_buffer
      - .actual_access:  read_only
        .address_space:  global
        .offset:         80
        .size:           8
        .value_kind:     global_buffer
      - .offset:         88
        .size:           4
        .value_kind:     by_value
      - .offset:         92
        .size:           4
        .value_kind:     by_value
      - .offset:         96
        .size:           4
        .value_kind:     by_value
      - .offset:         100
        .size:           4
        .value_kind:     by_value
      - .offset:         104
        .size:           4
        .value_kind:     by_value
      - .offset:         112
        .size:           8
        .value_kind:     by_value
      - .offset:         120
        .size:           8
        .value_kind:     by_value
      - .offset:         128
        .size:           8
        .value_kind:     by_value
    .group_segment_fixed_size: 65536
    .kernarg_segment_align: 8
    .kernarg_segment_size: 136
    .language:       OpenCL C
    .language_version:
      - 2
      - 0
    .max_flat_workgroup_size: 256
    .name:           _ZN12_GLOBAL__N_139chunk_gated_delta_rule_fwd_h_hip_kernelILi64ELb0ELb1ELb1ELb0ELb1ELb1ELb0ELb1EEEvPK12hip_bfloat16S3_S3_PKfS5_PKvPS1_S8_PvPKiSB_iiiiilll
    .private_segment_fixed_size: 0
    .sgpr_count:     76
    .sgpr_spill_count: 0
    .symbol:         _ZN12_GLOBAL__N_139chunk_gated_delta_rule_fwd_h_hip_kernelILi64ELb0ELb1ELb1ELb0ELb1ELb1ELb0ELb1EEEvPK12hip_bfloat16S3_S3_PKfS5_PKvPS1_S8_PvPKiSB_iiiiilll.kd
    .uniform_work_group_size: 1
    .uses_dynamic_stack: false
    .vgpr_count:     232
    .vgpr_spill_count: 0
    .wavefront_size: 64
  - .agpr_count:     40
    .args:
      - .actual_access:  read_only
        .address_space:  global
        .offset:         0
        .size:           8
        .value_kind:     global_buffer
      - .actual_access:  read_only
        .address_space:  global
        .offset:         8
        .size:           8
        .value_kind:     global_buffer
      - .actual_access:  read_only
        .address_space:  global
        .offset:         16
        .size:           8
        .value_kind:     global_buffer
      - .actual_access:  read_only
        .address_space:  global
        .offset:         24
        .size:           8
        .value_kind:     global_buffer
      - .actual_access:  read_only
        .address_space:  global
        .offset:         32
        .size:           8
        .value_kind:     global_buffer
      - .actual_access:  read_only
        .address_space:  global
        .offset:         40
        .size:           8
        .value_kind:     global_buffer
      - .actual_access:  write_only
        .address_space:  global
        .offset:         48
        .size:           8
        .value_kind:     global_buffer
      - .actual_access:  read_only
        .address_space:  global
        .offset:         56
        .size:           8
        .value_kind:     global_buffer
      - .actual_access:  write_only
        .address_space:  global
        .offset:         64
        .size:           8
        .value_kind:     global_buffer
      - .actual_access:  read_only
        .address_space:  global
        .offset:         72
        .size:           8
        .value_kind:     global_buffer
      - .actual_access:  read_only
        .address_space:  global
        .offset:         80
        .size:           8
        .value_kind:     global_buffer
      - .offset:         88
        .size:           4
        .value_kind:     by_value
      - .offset:         92
        .size:           4
        .value_kind:     by_value
      - .offset:         96
        .size:           4
        .value_kind:     by_value
      - .offset:         100
        .size:           4
        .value_kind:     by_value
      - .offset:         104
        .size:           4
        .value_kind:     by_value
      - .offset:         112
        .size:           8
        .value_kind:     by_value
      - .offset:         120
        .size:           8
        .value_kind:     by_value
      - .offset:         128
        .size:           8
        .value_kind:     by_value
    .group_segment_fixed_size: 65536
    .kernarg_segment_align: 8
    .kernarg_segment_size: 136
    .language:       OpenCL C
    .language_version:
      - 2
      - 0
    .max_flat_workgroup_size: 256
    .name:           _ZN12_GLOBAL__N_139chunk_gated_delta_rule_fwd_h_hip_kernelILi64ELb0ELb1ELb0ELb0ELb1ELb1ELb0ELb1EEEvPK12hip_bfloat16S3_S3_PKfS5_PKvPS1_S8_PvPKiSB_iiiiilll
    .private_segment_fixed_size: 0
    .sgpr_count:     74
    .sgpr_spill_count: 0
    .symbol:         _ZN12_GLOBAL__N_139chunk_gated_delta_rule_fwd_h_hip_kernelILi64ELb0ELb1ELb0ELb0ELb1ELb1ELb0ELb1EEEvPK12hip_bfloat16S3_S3_PKfS5_PKvPS1_S8_PvPKiSB_iiiiilll.kd
    .uniform_work_group_size: 1
    .uses_dynamic_stack: false
    .vgpr_count:     228
    .vgpr_spill_count: 0
    .wavefront_size: 64
  - .agpr_count:     40
    .args:
      - .actual_access:  read_only
        .address_space:  global
        .offset:         0
        .size:           8
        .value_kind:     global_buffer
      - .actual_access:  read_only
        .address_space:  global
        .offset:         8
        .size:           8
        .value_kind:     global_buffer
      - .actual_access:  read_only
        .address_space:  global
        .offset:         16
        .size:           8
        .value_kind:     global_buffer
      - .actual_access:  read_only
        .address_space:  global
        .offset:         24
        .size:           8
        .value_kind:     global_buffer
      - .actual_access:  read_only
        .address_space:  global
        .offset:         32
        .size:           8
        .value_kind:     global_buffer
      - .actual_access:  read_only
        .address_space:  global
        .offset:         40
        .size:           8
        .value_kind:     global_buffer
      - .actual_access:  write_only
        .address_space:  global
        .offset:         48
        .size:           8
        .value_kind:     global_buffer
      - .actual_access:  write_only
        .address_space:  global
        .offset:         56
        .size:           8
        .value_kind:     global_buffer
      - .actual_access:  read_only
        .address_space:  global
        .offset:         64
        .size:           8
        .value_kind:     global_buffer
      - .actual_access:  read_only
        .address_space:  global
        .offset:         72
        .size:           8
        .value_kind:     global_buffer
      - .actual_access:  read_only
        .address_space:  global
        .offset:         80
        .size:           8
        .value_kind:     global_buffer
      - .offset:         88
        .size:           4
        .value_kind:     by_value
      - .offset:         92
        .size:           4
        .value_kind:     by_value
      - .offset:         96
        .size:           4
        .value_kind:     by_value
      - .offset:         100
        .size:           4
        .value_kind:     by_value
      - .offset:         104
        .size:           4
        .value_kind:     by_value
      - .offset:         112
        .size:           8
        .value_kind:     by_value
      - .offset:         120
        .size:           8
        .value_kind:     by_value
      - .offset:         128
        .size:           8
        .value_kind:     by_value
    .group_segment_fixed_size: 65536
    .kernarg_segment_align: 8
    .kernarg_segment_size: 136
    .language:       OpenCL C
    .language_version:
      - 2
      - 0
    .max_flat_workgroup_size: 256
    .name:           _ZN12_GLOBAL__N_139chunk_gated_delta_rule_fwd_h_hip_kernelILi64ELb0ELb0ELb1ELb0ELb1ELb1ELb0ELb1EEEvPK12hip_bfloat16S3_S3_PKfS5_PKvPS1_S8_PvPKiSB_iiiiilll
    .private_segment_fixed_size: 0
    .sgpr_count:     74
    .sgpr_spill_count: 0
    .symbol:         _ZN12_GLOBAL__N_139chunk_gated_delta_rule_fwd_h_hip_kernelILi64ELb0ELb0ELb1ELb0ELb1ELb1ELb0ELb1EEEvPK12hip_bfloat16S3_S3_PKfS5_PKvPS1_S8_PvPKiSB_iiiiilll.kd
    .uniform_work_group_size: 1
    .uses_dynamic_stack: false
    .vgpr_count:     232
    .vgpr_spill_count: 0
    .wavefront_size: 64
  - .agpr_count:     40
    .args:
      - .actual_access:  read_only
        .address_space:  global
        .offset:         0
        .size:           8
        .value_kind:     global_buffer
      - .actual_access:  read_only
        .address_space:  global
        .offset:         8
        .size:           8
        .value_kind:     global_buffer
      - .actual_access:  read_only
        .address_space:  global
        .offset:         16
        .size:           8
        .value_kind:     global_buffer
      - .actual_access:  read_only
        .address_space:  global
        .offset:         24
        .size:           8
        .value_kind:     global_buffer
      - .actual_access:  read_only
        .address_space:  global
        .offset:         32
        .size:           8
        .value_kind:     global_buffer
      - .actual_access:  read_only
        .address_space:  global
        .offset:         40
        .size:           8
        .value_kind:     global_buffer
      - .actual_access:  write_only
        .address_space:  global
        .offset:         48
        .size:           8
        .value_kind:     global_buffer
      - .actual_access:  read_only
        .address_space:  global
        .offset:         56
        .size:           8
        .value_kind:     global_buffer
      - .actual_access:  read_only
        .address_space:  global
        .offset:         64
        .size:           8
        .value_kind:     global_buffer
      - .actual_access:  read_only
        .address_space:  global
        .offset:         72
        .size:           8
        .value_kind:     global_buffer
      - .actual_access:  read_only
        .address_space:  global
        .offset:         80
        .size:           8
        .value_kind:     global_buffer
      - .offset:         88
        .size:           4
        .value_kind:     by_value
      - .offset:         92
        .size:           4
        .value_kind:     by_value
      - .offset:         96
        .size:           4
        .value_kind:     by_value
      - .offset:         100
        .size:           4
        .value_kind:     by_value
      - .offset:         104
        .size:           4
        .value_kind:     by_value
      - .offset:         112
        .size:           8
        .value_kind:     by_value
      - .offset:         120
        .size:           8
        .value_kind:     by_value
      - .offset:         128
        .size:           8
        .value_kind:     by_value
    .group_segment_fixed_size: 65536
    .kernarg_segment_align: 8
    .kernarg_segment_size: 136
    .language:       OpenCL C
    .language_version:
      - 2
      - 0
    .max_flat_workgroup_size: 256
    .name:           _ZN12_GLOBAL__N_139chunk_gated_delta_rule_fwd_h_hip_kernelILi64ELb0ELb0ELb0ELb0ELb1ELb1ELb0ELb1EEEvPK12hip_bfloat16S3_S3_PKfS5_PKvPS1_S8_PvPKiSB_iiiiilll
    .private_segment_fixed_size: 0
    .sgpr_count:     72
    .sgpr_spill_count: 0
    .symbol:         _ZN12_GLOBAL__N_139chunk_gated_delta_rule_fwd_h_hip_kernelILi64ELb0ELb0ELb0ELb0ELb1ELb1ELb0ELb1EEEvPK12hip_bfloat16S3_S3_PKfS5_PKvPS1_S8_PvPKiSB_iiiiilll.kd
    .uniform_work_group_size: 1
    .uses_dynamic_stack: false
    .vgpr_count:     228
    .vgpr_spill_count: 0
    .wavefront_size: 64
  - .agpr_count:     36
    .args:
      - .actual_access:  read_only
        .address_space:  global
        .offset:         0
        .size:           8
        .value_kind:     global_buffer
      - .actual_access:  read_only
        .address_space:  global
        .offset:         8
        .size:           8
        .value_kind:     global_buffer
      - .actual_access:  read_only
        .address_space:  global
        .offset:         16
        .size:           8
        .value_kind:     global_buffer
      - .actual_access:  read_only
        .address_space:  global
        .offset:         24
        .size:           8
        .value_kind:     global_buffer
      - .actual_access:  read_only
        .address_space:  global
        .offset:         32
        .size:           8
        .value_kind:     global_buffer
      - .actual_access:  read_only
        .address_space:  global
        .offset:         40
        .size:           8
        .value_kind:     global_buffer
      - .actual_access:  write_only
        .address_space:  global
        .offset:         48
        .size:           8
        .value_kind:     global_buffer
      - .actual_access:  write_only
        .address_space:  global
        .offset:         56
        .size:           8
        .value_kind:     global_buffer
      - .actual_access:  write_only
        .address_space:  global
        .offset:         64
        .size:           8
        .value_kind:     global_buffer
      - .actual_access:  read_only
        .address_space:  global
        .offset:         72
        .size:           8
        .value_kind:     global_buffer
      - .actual_access:  read_only
        .address_space:  global
        .offset:         80
        .size:           8
        .value_kind:     global_buffer
      - .offset:         88
        .size:           4
        .value_kind:     by_value
      - .offset:         92
        .size:           4
        .value_kind:     by_value
      - .offset:         96
        .size:           4
        .value_kind:     by_value
      - .offset:         100
        .size:           4
        .value_kind:     by_value
      - .offset:         104
        .size:           4
        .value_kind:     by_value
      - .offset:         112
        .size:           8
        .value_kind:     by_value
      - .offset:         120
        .size:           8
        .value_kind:     by_value
      - .offset:         128
        .size:           8
        .value_kind:     by_value
    .group_segment_fixed_size: 65536
    .kernarg_segment_align: 8
    .kernarg_segment_size: 136
    .language:       OpenCL C
    .language_version:
      - 2
      - 0
    .max_flat_workgroup_size: 256
    .name:           _ZN12_GLOBAL__N_139chunk_gated_delta_rule_fwd_h_hip_kernelILi64ELb1ELb1ELb1ELb1ELb1ELb0ELb1ELb1EEEvPK12hip_bfloat16S3_S3_PKfS5_PKvPS1_S8_PvPKiSB_iiiiilll
    .private_segment_fixed_size: 0
    .sgpr_count:     73
    .sgpr_spill_count: 0
    .symbol:         _ZN12_GLOBAL__N_139chunk_gated_delta_rule_fwd_h_hip_kernelILi64ELb1ELb1ELb1ELb1ELb1ELb0ELb1ELb1EEEvPK12hip_bfloat16S3_S3_PKfS5_PKvPS1_S8_PvPKiSB_iiiiilll.kd
    .uniform_work_group_size: 1
    .uses_dynamic_stack: false
    .vgpr_count:     224
    .vgpr_spill_count: 0
    .wavefront_size: 64
  - .agpr_count:     36
    .args:
      - .actual_access:  read_only
        .address_space:  global
        .offset:         0
        .size:           8
        .value_kind:     global_buffer
      - .actual_access:  read_only
        .address_space:  global
        .offset:         8
        .size:           8
        .value_kind:     global_buffer
      - .actual_access:  read_only
        .address_space:  global
        .offset:         16
        .size:           8
        .value_kind:     global_buffer
      - .actual_access:  read_only
        .address_space:  global
        .offset:         24
        .size:           8
        .value_kind:     global_buffer
      - .actual_access:  read_only
        .address_space:  global
        .offset:         32
        .size:           8
        .value_kind:     global_buffer
      - .actual_access:  read_only
        .address_space:  global
        .offset:         40
        .size:           8
        .value_kind:     global_buffer
      - .actual_access:  write_only
        .address_space:  global
        .offset:         48
        .size:           8
        .value_kind:     global_buffer
      - .actual_access:  read_only
        .address_space:  global
        .offset:         56
        .size:           8
        .value_kind:     global_buffer
      - .actual_access:  write_only
        .address_space:  global
        .offset:         64
        .size:           8
        .value_kind:     global_buffer
      - .actual_access:  read_only
        .address_space:  global
        .offset:         72
        .size:           8
        .value_kind:     global_buffer
      - .actual_access:  read_only
        .address_space:  global
        .offset:         80
        .size:           8
        .value_kind:     global_buffer
      - .offset:         88
        .size:           4
        .value_kind:     by_value
      - .offset:         92
        .size:           4
        .value_kind:     by_value
      - .offset:         96
        .size:           4
        .value_kind:     by_value
      - .offset:         100
        .size:           4
        .value_kind:     by_value
      - .offset:         104
        .size:           4
        .value_kind:     by_value
      - .offset:         112
        .size:           8
        .value_kind:     by_value
      - .offset:         120
        .size:           8
        .value_kind:     by_value
      - .offset:         128
        .size:           8
        .value_kind:     by_value
    .group_segment_fixed_size: 65536
    .kernarg_segment_align: 8
    .kernarg_segment_size: 136
    .language:       OpenCL C
    .language_version:
      - 2
      - 0
    .max_flat_workgroup_size: 256
    .name:           _ZN12_GLOBAL__N_139chunk_gated_delta_rule_fwd_h_hip_kernelILi64ELb1ELb1ELb0ELb1ELb1ELb0ELb1ELb1EEEvPK12hip_bfloat16S3_S3_PKfS5_PKvPS1_S8_PvPKiSB_iiiiilll
    .private_segment_fixed_size: 0
    .sgpr_count:     71
    .sgpr_spill_count: 0
    .symbol:         _ZN12_GLOBAL__N_139chunk_gated_delta_rule_fwd_h_hip_kernelILi64ELb1ELb1ELb0ELb1ELb1ELb0ELb1ELb1EEEvPK12hip_bfloat16S3_S3_PKfS5_PKvPS1_S8_PvPKiSB_iiiiilll.kd
    .uniform_work_group_size: 1
    .uses_dynamic_stack: false
    .vgpr_count:     224
    .vgpr_spill_count: 0
    .wavefront_size: 64
  - .agpr_count:     36
    .args:
      - .actual_access:  read_only
        .address_space:  global
        .offset:         0
        .size:           8
        .value_kind:     global_buffer
      - .actual_access:  read_only
        .address_space:  global
        .offset:         8
        .size:           8
        .value_kind:     global_buffer
      - .actual_access:  read_only
        .address_space:  global
        .offset:         16
        .size:           8
        .value_kind:     global_buffer
      - .actual_access:  read_only
        .address_space:  global
        .offset:         24
        .size:           8
        .value_kind:     global_buffer
      - .actual_access:  read_only
        .address_space:  global
        .offset:         32
        .size:           8
        .value_kind:     global_buffer
      - .actual_access:  read_only
        .address_space:  global
        .offset:         40
        .size:           8
        .value_kind:     global_buffer
      - .actual_access:  write_only
        .address_space:  global
        .offset:         48
        .size:           8
        .value_kind:     global_buffer
      - .actual_access:  write_only
        .address_space:  global
        .offset:         56
        .size:           8
        .value_kind:     global_buffer
      - .actual_access:  read_only
        .address_space:  global
        .offset:         64
        .size:           8
        .value_kind:     global_buffer
      - .actual_access:  read_only
        .address_space:  global
        .offset:         72
        .size:           8
        .value_kind:     global_buffer
      - .actual_access:  read_only
        .address_space:  global
        .offset:         80
        .size:           8
        .value_kind:     global_buffer
      - .offset:         88
        .size:           4
        .value_kind:     by_value
      - .offset:         92
        .size:           4
        .value_kind:     by_value
      - .offset:         96
        .size:           4
        .value_kind:     by_value
      - .offset:         100
        .size:           4
        .value_kind:     by_value
      - .offset:         104
        .size:           4
        .value_kind:     by_value
      - .offset:         112
        .size:           8
        .value_kind:     by_value
      - .offset:         120
        .size:           8
        .value_kind:     by_value
      - .offset:         128
        .size:           8
        .value_kind:     by_value
    .group_segment_fixed_size: 65536
    .kernarg_segment_align: 8
    .kernarg_segment_size: 136
    .language:       OpenCL C
    .language_version:
      - 2
      - 0
    .max_flat_workgroup_size: 256
    .name:           _ZN12_GLOBAL__N_139chunk_gated_delta_rule_fwd_h_hip_kernelILi64ELb1ELb0ELb1ELb1ELb1ELb0ELb1ELb1EEEvPK12hip_bfloat16S3_S3_PKfS5_PKvPS1_S8_PvPKiSB_iiiiilll
    .private_segment_fixed_size: 0
    .sgpr_count:     69
    .sgpr_spill_count: 0
    .symbol:         _ZN12_GLOBAL__N_139chunk_gated_delta_rule_fwd_h_hip_kernelILi64ELb1ELb0ELb1ELb1ELb1ELb0ELb1ELb1EEEvPK12hip_bfloat16S3_S3_PKfS5_PKvPS1_S8_PvPKiSB_iiiiilll.kd
    .uniform_work_group_size: 1
    .uses_dynamic_stack: false
    .vgpr_count:     216
    .vgpr_spill_count: 0
    .wavefront_size: 64
  - .agpr_count:     36
    .args:
      - .actual_access:  read_only
        .address_space:  global
        .offset:         0
        .size:           8
        .value_kind:     global_buffer
      - .actual_access:  read_only
        .address_space:  global
        .offset:         8
        .size:           8
        .value_kind:     global_buffer
      - .actual_access:  read_only
        .address_space:  global
        .offset:         16
        .size:           8
        .value_kind:     global_buffer
      - .actual_access:  read_only
        .address_space:  global
        .offset:         24
        .size:           8
        .value_kind:     global_buffer
      - .actual_access:  read_only
        .address_space:  global
        .offset:         32
        .size:           8
        .value_kind:     global_buffer
      - .actual_access:  read_only
        .address_space:  global
        .offset:         40
        .size:           8
        .value_kind:     global_buffer
      - .actual_access:  write_only
        .address_space:  global
        .offset:         48
        .size:           8
        .value_kind:     global_buffer
      - .actual_access:  read_only
        .address_space:  global
        .offset:         56
        .size:           8
        .value_kind:     global_buffer
      - .actual_access:  read_only
        .address_space:  global
        .offset:         64
        .size:           8
        .value_kind:     global_buffer
      - .actual_access:  read_only
        .address_space:  global
        .offset:         72
        .size:           8
        .value_kind:     global_buffer
      - .actual_access:  read_only
        .address_space:  global
        .offset:         80
        .size:           8
        .value_kind:     global_buffer
      - .offset:         88
        .size:           4
        .value_kind:     by_value
      - .offset:         92
        .size:           4
        .value_kind:     by_value
      - .offset:         96
        .size:           4
        .value_kind:     by_value
      - .offset:         100
        .size:           4
        .value_kind:     by_value
      - .offset:         104
        .size:           4
        .value_kind:     by_value
      - .offset:         112
        .size:           8
        .value_kind:     by_value
      - .offset:         120
        .size:           8
        .value_kind:     by_value
      - .offset:         128
        .size:           8
        .value_kind:     by_value
    .group_segment_fixed_size: 65536
    .kernarg_segment_align: 8
    .kernarg_segment_size: 136
    .language:       OpenCL C
    .language_version:
      - 2
      - 0
    .max_flat_workgroup_size: 256
    .name:           _ZN12_GLOBAL__N_139chunk_gated_delta_rule_fwd_h_hip_kernelILi64ELb1ELb0ELb0ELb1ELb1ELb0ELb1ELb1EEEvPK12hip_bfloat16S3_S3_PKfS5_PKvPS1_S8_PvPKiSB_iiiiilll
    .private_segment_fixed_size: 0
    .sgpr_count:     67
    .sgpr_spill_count: 0
    .symbol:         _ZN12_GLOBAL__N_139chunk_gated_delta_rule_fwd_h_hip_kernelILi64ELb1ELb0ELb0ELb1ELb1ELb0ELb1ELb1EEEvPK12hip_bfloat16S3_S3_PKfS5_PKvPS1_S8_PvPKiSB_iiiiilll.kd
    .uniform_work_group_size: 1
    .uses_dynamic_stack: false
    .vgpr_count:     216
    .vgpr_spill_count: 0
    .wavefront_size: 64
  - .agpr_count:     36
    .args:
      - .actual_access:  read_only
        .address_space:  global
        .offset:         0
        .size:           8
        .value_kind:     global_buffer
      - .actual_access:  read_only
        .address_space:  global
        .offset:         8
        .size:           8
        .value_kind:     global_buffer
      - .actual_access:  read_only
        .address_space:  global
        .offset:         16
        .size:           8
        .value_kind:     global_buffer
      - .actual_access:  read_only
        .address_space:  global
        .offset:         24
        .size:           8
        .value_kind:     global_buffer
      - .actual_access:  read_only
        .address_space:  global
        .offset:         32
        .size:           8
        .value_kind:     global_buffer
      - .actual_access:  read_only
        .address_space:  global
        .offset:         40
        .size:           8
        .value_kind:     global_buffer
      - .actual_access:  write_only
        .address_space:  global
        .offset:         48
        .size:           8
        .value_kind:     global_buffer
      - .actual_access:  write_only
        .address_space:  global
        .offset:         56
        .size:           8
        .value_kind:     global_buffer
      - .actual_access:  write_only
        .address_space:  global
        .offset:         64
        .size:           8
        .value_kind:     global_buffer
      - .actual_access:  read_only
        .address_space:  global
        .offset:         72
        .size:           8
        .value_kind:     global_buffer
      - .actual_access:  read_only
        .address_space:  global
        .offset:         80
        .size:           8
        .value_kind:     global_buffer
      - .offset:         88
        .size:           4
        .value_kind:     by_value
      - .offset:         92
        .size:           4
        .value_kind:     by_value
      - .offset:         96
        .size:           4
        .value_kind:     by_value
      - .offset:         100
        .size:           4
        .value_kind:     by_value
      - .offset:         104
        .size:           4
        .value_kind:     by_value
      - .offset:         112
        .size:           8
        .value_kind:     by_value
      - .offset:         120
        .size:           8
        .value_kind:     by_value
      - .offset:         128
        .size:           8
        .value_kind:     by_value
    .group_segment_fixed_size: 65536
    .kernarg_segment_align: 8
    .kernarg_segment_size: 136
    .language:       OpenCL C
    .language_version:
      - 2
      - 0
    .max_flat_workgroup_size: 256
    .name:           _ZN12_GLOBAL__N_139chunk_gated_delta_rule_fwd_h_hip_kernelILi64ELb0ELb1ELb1ELb1ELb1ELb0ELb1ELb1EEEvPK12hip_bfloat16S3_S3_PKfS5_PKvPS1_S8_PvPKiSB_iiiiilll
    .private_segment_fixed_size: 0
    .sgpr_count:     73
    .sgpr_spill_count: 0
    .symbol:         _ZN12_GLOBAL__N_139chunk_gated_delta_rule_fwd_h_hip_kernelILi64ELb0ELb1ELb1ELb1ELb1ELb0ELb1ELb1EEEvPK12hip_bfloat16S3_S3_PKfS5_PKvPS1_S8_PvPKiSB_iiiiilll.kd
    .uniform_work_group_size: 1
    .uses_dynamic_stack: false
    .vgpr_count:     216
    .vgpr_spill_count: 0
    .wavefront_size: 64
  - .agpr_count:     36
    .args:
      - .actual_access:  read_only
        .address_space:  global
        .offset:         0
        .size:           8
        .value_kind:     global_buffer
      - .actual_access:  read_only
        .address_space:  global
        .offset:         8
        .size:           8
        .value_kind:     global_buffer
      - .actual_access:  read_only
        .address_space:  global
        .offset:         16
        .size:           8
        .value_kind:     global_buffer
      - .actual_access:  read_only
        .address_space:  global
        .offset:         24
        .size:           8
        .value_kind:     global_buffer
      - .actual_access:  read_only
        .address_space:  global
        .offset:         32
        .size:           8
        .value_kind:     global_buffer
      - .actual_access:  read_only
        .address_space:  global
        .offset:         40
        .size:           8
        .value_kind:     global_buffer
      - .actual_access:  write_only
        .address_space:  global
        .offset:         48
        .size:           8
        .value_kind:     global_buffer
      - .actual_access:  read_only
        .address_space:  global
        .offset:         56
        .size:           8
        .value_kind:     global_buffer
      - .actual_access:  write_only
        .address_space:  global
        .offset:         64
        .size:           8
        .value_kind:     global_buffer
      - .actual_access:  read_only
        .address_space:  global
        .offset:         72
        .size:           8
        .value_kind:     global_buffer
      - .actual_access:  read_only
        .address_space:  global
        .offset:         80
        .size:           8
        .value_kind:     global_buffer
      - .offset:         88
        .size:           4
        .value_kind:     by_value
      - .offset:         92
        .size:           4
        .value_kind:     by_value
      - .offset:         96
        .size:           4
        .value_kind:     by_value
      - .offset:         100
        .size:           4
        .value_kind:     by_value
      - .offset:         104
        .size:           4
        .value_kind:     by_value
      - .offset:         112
        .size:           8
        .value_kind:     by_value
      - .offset:         120
        .size:           8
        .value_kind:     by_value
      - .offset:         128
        .size:           8
        .value_kind:     by_value
    .group_segment_fixed_size: 65536
    .kernarg_segment_align: 8
    .kernarg_segment_size: 136
    .language:       OpenCL C
    .language_version:
      - 2
      - 0
    .max_flat_workgroup_size: 256
    .name:           _ZN12_GLOBAL__N_139chunk_gated_delta_rule_fwd_h_hip_kernelILi64ELb0ELb1ELb0ELb1ELb1ELb0ELb1ELb1EEEvPK12hip_bfloat16S3_S3_PKfS5_PKvPS1_S8_PvPKiSB_iiiiilll
    .private_segment_fixed_size: 0
    .sgpr_count:     71
    .sgpr_spill_count: 0
    .symbol:         _ZN12_GLOBAL__N_139chunk_gated_delta_rule_fwd_h_hip_kernelILi64ELb0ELb1ELb0ELb1ELb1ELb0ELb1ELb1EEEvPK12hip_bfloat16S3_S3_PKfS5_PKvPS1_S8_PvPKiSB_iiiiilll.kd
    .uniform_work_group_size: 1
    .uses_dynamic_stack: false
    .vgpr_count:     216
    .vgpr_spill_count: 0
    .wavefront_size: 64
  - .agpr_count:     36
    .args:
      - .actual_access:  read_only
        .address_space:  global
        .offset:         0
        .size:           8
        .value_kind:     global_buffer
      - .actual_access:  read_only
        .address_space:  global
        .offset:         8
        .size:           8
        .value_kind:     global_buffer
      - .actual_access:  read_only
        .address_space:  global
        .offset:         16
        .size:           8
        .value_kind:     global_buffer
      - .actual_access:  read_only
        .address_space:  global
        .offset:         24
        .size:           8
        .value_kind:     global_buffer
      - .actual_access:  read_only
        .address_space:  global
        .offset:         32
        .size:           8
        .value_kind:     global_buffer
      - .actual_access:  read_only
        .address_space:  global
        .offset:         40
        .size:           8
        .value_kind:     global_buffer
      - .actual_access:  write_only
        .address_space:  global
        .offset:         48
        .size:           8
        .value_kind:     global_buffer
      - .actual_access:  write_only
        .address_space:  global
        .offset:         56
        .size:           8
        .value_kind:     global_buffer
      - .actual_access:  read_only
        .address_space:  global
        .offset:         64
        .size:           8
        .value_kind:     global_buffer
      - .actual_access:  read_only
        .address_space:  global
        .offset:         72
        .size:           8
        .value_kind:     global_buffer
      - .actual_access:  read_only
        .address_space:  global
        .offset:         80
        .size:           8
        .value_kind:     global_buffer
      - .offset:         88
        .size:           4
        .value_kind:     by_value
      - .offset:         92
        .size:           4
        .value_kind:     by_value
      - .offset:         96
        .size:           4
        .value_kind:     by_value
      - .offset:         100
        .size:           4
        .value_kind:     by_value
      - .offset:         104
        .size:           4
        .value_kind:     by_value
      - .offset:         112
        .size:           8
        .value_kind:     by_value
      - .offset:         120
        .size:           8
        .value_kind:     by_value
      - .offset:         128
        .size:           8
        .value_kind:     by_value
    .group_segment_fixed_size: 65536
    .kernarg_segment_align: 8
    .kernarg_segment_size: 136
    .language:       OpenCL C
    .language_version:
      - 2
      - 0
    .max_flat_workgroup_size: 256
    .name:           _ZN12_GLOBAL__N_139chunk_gated_delta_rule_fwd_h_hip_kernelILi64ELb0ELb0ELb1ELb1ELb1ELb0ELb1ELb1EEEvPK12hip_bfloat16S3_S3_PKfS5_PKvPS1_S8_PvPKiSB_iiiiilll
    .private_segment_fixed_size: 0
    .sgpr_count:     68
    .sgpr_spill_count: 0
    .symbol:         _ZN12_GLOBAL__N_139chunk_gated_delta_rule_fwd_h_hip_kernelILi64ELb0ELb0ELb1ELb1ELb1ELb0ELb1ELb1EEEvPK12hip_bfloat16S3_S3_PKfS5_PKvPS1_S8_PvPKiSB_iiiiilll.kd
    .uniform_work_group_size: 1
    .uses_dynamic_stack: false
    .vgpr_count:     216
    .vgpr_spill_count: 0
    .wavefront_size: 64
  - .agpr_count:     36
    .args:
      - .actual_access:  read_only
        .address_space:  global
        .offset:         0
        .size:           8
        .value_kind:     global_buffer
      - .actual_access:  read_only
        .address_space:  global
        .offset:         8
        .size:           8
        .value_kind:     global_buffer
      - .actual_access:  read_only
        .address_space:  global
        .offset:         16
        .size:           8
        .value_kind:     global_buffer
      - .actual_access:  read_only
        .address_space:  global
        .offset:         24
        .size:           8
        .value_kind:     global_buffer
      - .actual_access:  read_only
        .address_space:  global
        .offset:         32
        .size:           8
        .value_kind:     global_buffer
      - .actual_access:  read_only
        .address_space:  global
        .offset:         40
        .size:           8
        .value_kind:     global_buffer
      - .actual_access:  write_only
        .address_space:  global
        .offset:         48
        .size:           8
        .value_kind:     global_buffer
      - .actual_access:  read_only
        .address_space:  global
        .offset:         56
        .size:           8
        .value_kind:     global_buffer
      - .actual_access:  read_only
        .address_space:  global
        .offset:         64
        .size:           8
        .value_kind:     global_buffer
      - .actual_access:  read_only
        .address_space:  global
        .offset:         72
        .size:           8
        .value_kind:     global_buffer
      - .actual_access:  read_only
        .address_space:  global
        .offset:         80
        .size:           8
        .value_kind:     global_buffer
      - .offset:         88
        .size:           4
        .value_kind:     by_value
      - .offset:         92
        .size:           4
        .value_kind:     by_value
      - .offset:         96
        .size:           4
        .value_kind:     by_value
      - .offset:         100
        .size:           4
        .value_kind:     by_value
      - .offset:         104
        .size:           4
        .value_kind:     by_value
      - .offset:         112
        .size:           8
        .value_kind:     by_value
      - .offset:         120
        .size:           8
        .value_kind:     by_value
      - .offset:         128
        .size:           8
        .value_kind:     by_value
    .group_segment_fixed_size: 65536
    .kernarg_segment_align: 8
    .kernarg_segment_size: 136
    .language:       OpenCL C
    .language_version:
      - 2
      - 0
    .max_flat_workgroup_size: 256
    .name:           _ZN12_GLOBAL__N_139chunk_gated_delta_rule_fwd_h_hip_kernelILi64ELb0ELb0ELb0ELb1ELb1ELb0ELb1ELb1EEEvPK12hip_bfloat16S3_S3_PKfS5_PKvPS1_S8_PvPKiSB_iiiiilll
    .private_segment_fixed_size: 0
    .sgpr_count:     66
    .sgpr_spill_count: 0
    .symbol:         _ZN12_GLOBAL__N_139chunk_gated_delta_rule_fwd_h_hip_kernelILi64ELb0ELb0ELb0ELb1ELb1ELb0ELb1ELb1EEEvPK12hip_bfloat16S3_S3_PKfS5_PKvPS1_S8_PvPKiSB_iiiiilll.kd
    .uniform_work_group_size: 1
    .uses_dynamic_stack: false
    .vgpr_count:     216
    .vgpr_spill_count: 0
    .wavefront_size: 64
  - .agpr_count:     36
    .args:
      - .actual_access:  read_only
        .address_space:  global
        .offset:         0
        .size:           8
        .value_kind:     global_buffer
      - .actual_access:  read_only
        .address_space:  global
        .offset:         8
        .size:           8
        .value_kind:     global_buffer
      - .actual_access:  read_only
        .address_space:  global
        .offset:         16
        .size:           8
        .value_kind:     global_buffer
      - .actual_access:  read_only
        .address_space:  global
        .offset:         24
        .size:           8
        .value_kind:     global_buffer
      - .actual_access:  read_only
        .address_space:  global
        .offset:         32
        .size:           8
        .value_kind:     global_buffer
      - .actual_access:  read_only
        .address_space:  global
        .offset:         40
        .size:           8
        .value_kind:     global_buffer
      - .actual_access:  write_only
        .address_space:  global
        .offset:         48
        .size:           8
        .value_kind:     global_buffer
      - .actual_access:  write_only
        .address_space:  global
        .offset:         56
        .size:           8
        .value_kind:     global_buffer
      - .actual_access:  write_only
        .address_space:  global
        .offset:         64
        .size:           8
        .value_kind:     global_buffer
      - .actual_access:  read_only
        .address_space:  global
        .offset:         72
        .size:           8
        .value_kind:     global_buffer
      - .actual_access:  read_only
        .address_space:  global
        .offset:         80
        .size:           8
        .value_kind:     global_buffer
      - .offset:         88
        .size:           4
        .value_kind:     by_value
      - .offset:         92
        .size:           4
        .value_kind:     by_value
      - .offset:         96
        .size:           4
        .value_kind:     by_value
      - .offset:         100
        .size:           4
        .value_kind:     by_value
      - .offset:         104
        .size:           4
        .value_kind:     by_value
      - .offset:         112
        .size:           8
        .value_kind:     by_value
      - .offset:         120
        .size:           8
        .value_kind:     by_value
      - .offset:         128
        .size:           8
        .value_kind:     by_value
    .group_segment_fixed_size: 65536
    .kernarg_segment_align: 8
    .kernarg_segment_size: 136
    .language:       OpenCL C
    .language_version:
      - 2
      - 0
    .max_flat_workgroup_size: 256
    .name:           _ZN12_GLOBAL__N_139chunk_gated_delta_rule_fwd_h_hip_kernelILi64ELb1ELb1ELb1ELb0ELb1ELb0ELb1ELb1EEEvPK12hip_bfloat16S3_S3_PKfS5_PKvPS1_S8_PvPKiSB_iiiiilll
    .private_segment_fixed_size: 0
    .sgpr_count:     78
    .sgpr_spill_count: 0
    .symbol:         _ZN12_GLOBAL__N_139chunk_gated_delta_rule_fwd_h_hip_kernelILi64ELb1ELb1ELb1ELb0ELb1ELb0ELb1ELb1EEEvPK12hip_bfloat16S3_S3_PKfS5_PKvPS1_S8_PvPKiSB_iiiiilll.kd
    .uniform_work_group_size: 1
    .uses_dynamic_stack: false
    .vgpr_count:     224
    .vgpr_spill_count: 0
    .wavefront_size: 64
  - .agpr_count:     36
    .args:
      - .actual_access:  read_only
        .address_space:  global
        .offset:         0
        .size:           8
        .value_kind:     global_buffer
      - .actual_access:  read_only
        .address_space:  global
        .offset:         8
        .size:           8
        .value_kind:     global_buffer
      - .actual_access:  read_only
        .address_space:  global
        .offset:         16
        .size:           8
        .value_kind:     global_buffer
      - .actual_access:  read_only
        .address_space:  global
        .offset:         24
        .size:           8
        .value_kind:     global_buffer
      - .actual_access:  read_only
        .address_space:  global
        .offset:         32
        .size:           8
        .value_kind:     global_buffer
      - .actual_access:  read_only
        .address_space:  global
        .offset:         40
        .size:           8
        .value_kind:     global_buffer
      - .actual_access:  write_only
        .address_space:  global
        .offset:         48
        .size:           8
        .value_kind:     global_buffer
      - .actual_access:  read_only
        .address_space:  global
        .offset:         56
        .size:           8
        .value_kind:     global_buffer
      - .actual_access:  write_only
        .address_space:  global
        .offset:         64
        .size:           8
        .value_kind:     global_buffer
      - .actual_access:  read_only
        .address_space:  global
        .offset:         72
        .size:           8
        .value_kind:     global_buffer
      - .actual_access:  read_only
        .address_space:  global
        .offset:         80
        .size:           8
        .value_kind:     global_buffer
      - .offset:         88
        .size:           4
        .value_kind:     by_value
      - .offset:         92
        .size:           4
        .value_kind:     by_value
      - .offset:         96
        .size:           4
        .value_kind:     by_value
      - .offset:         100
        .size:           4
        .value_kind:     by_value
      - .offset:         104
        .size:           4
        .value_kind:     by_value
      - .offset:         112
        .size:           8
        .value_kind:     by_value
      - .offset:         120
        .size:           8
        .value_kind:     by_value
      - .offset:         128
        .size:           8
        .value_kind:     by_value
    .group_segment_fixed_size: 65536
    .kernarg_segment_align: 8
    .kernarg_segment_size: 136
    .language:       OpenCL C
    .language_version:
      - 2
      - 0
    .max_flat_workgroup_size: 256
    .name:           _ZN12_GLOBAL__N_139chunk_gated_delta_rule_fwd_h_hip_kernelILi64ELb1ELb1ELb0ELb0ELb1ELb0ELb1ELb1EEEvPK12hip_bfloat16S3_S3_PKfS5_PKvPS1_S8_PvPKiSB_iiiiilll
    .private_segment_fixed_size: 0
    .sgpr_count:     76
    .sgpr_spill_count: 0
    .symbol:         _ZN12_GLOBAL__N_139chunk_gated_delta_rule_fwd_h_hip_kernelILi64ELb1ELb1ELb0ELb0ELb1ELb0ELb1ELb1EEEvPK12hip_bfloat16S3_S3_PKfS5_PKvPS1_S8_PvPKiSB_iiiiilll.kd
    .uniform_work_group_size: 1
    .uses_dynamic_stack: false
    .vgpr_count:     224
    .vgpr_spill_count: 0
    .wavefront_size: 64
  - .agpr_count:     36
    .args:
      - .actual_access:  read_only
        .address_space:  global
        .offset:         0
        .size:           8
        .value_kind:     global_buffer
      - .actual_access:  read_only
        .address_space:  global
        .offset:         8
        .size:           8
        .value_kind:     global_buffer
      - .actual_access:  read_only
        .address_space:  global
        .offset:         16
        .size:           8
        .value_kind:     global_buffer
      - .actual_access:  read_only
        .address_space:  global
        .offset:         24
        .size:           8
        .value_kind:     global_buffer
      - .actual_access:  read_only
        .address_space:  global
        .offset:         32
        .size:           8
        .value_kind:     global_buffer
      - .actual_access:  read_only
        .address_space:  global
        .offset:         40
        .size:           8
        .value_kind:     global_buffer
      - .actual_access:  write_only
        .address_space:  global
        .offset:         48
        .size:           8
        .value_kind:     global_buffer
      - .actual_access:  write_only
        .address_space:  global
        .offset:         56
        .size:           8
        .value_kind:     global_buffer
      - .actual_access:  read_only
        .address_space:  global
        .offset:         64
        .size:           8
        .value_kind:     global_buffer
      - .actual_access:  read_only
        .address_space:  global
        .offset:         72
        .size:           8
        .value_kind:     global_buffer
      - .actual_access:  read_only
        .address_space:  global
        .offset:         80
        .size:           8
        .value_kind:     global_buffer
      - .offset:         88
        .size:           4
        .value_kind:     by_value
      - .offset:         92
        .size:           4
        .value_kind:     by_value
      - .offset:         96
        .size:           4
        .value_kind:     by_value
      - .offset:         100
        .size:           4
        .value_kind:     by_value
      - .offset:         104
        .size:           4
        .value_kind:     by_value
      - .offset:         112
        .size:           8
        .value_kind:     by_value
      - .offset:         120
        .size:           8
        .value_kind:     by_value
      - .offset:         128
        .size:           8
        .value_kind:     by_value
    .group_segment_fixed_size: 65536
    .kernarg_segment_align: 8
    .kernarg_segment_size: 136
    .language:       OpenCL C
    .language_version:
      - 2
      - 0
    .max_flat_workgroup_size: 256
    .name:           _ZN12_GLOBAL__N_139chunk_gated_delta_rule_fwd_h_hip_kernelILi64ELb1ELb0ELb1ELb0ELb1ELb0ELb1ELb1EEEvPK12hip_bfloat16S3_S3_PKfS5_PKvPS1_S8_PvPKiSB_iiiiilll
    .private_segment_fixed_size: 0
    .sgpr_count:     74
    .sgpr_spill_count: 0
    .symbol:         _ZN12_GLOBAL__N_139chunk_gated_delta_rule_fwd_h_hip_kernelILi64ELb1ELb0ELb1ELb0ELb1ELb0ELb1ELb1EEEvPK12hip_bfloat16S3_S3_PKfS5_PKvPS1_S8_PvPKiSB_iiiiilll.kd
    .uniform_work_group_size: 1
    .uses_dynamic_stack: false
    .vgpr_count:     216
    .vgpr_spill_count: 0
    .wavefront_size: 64
  - .agpr_count:     36
    .args:
      - .actual_access:  read_only
        .address_space:  global
        .offset:         0
        .size:           8
        .value_kind:     global_buffer
      - .actual_access:  read_only
        .address_space:  global
        .offset:         8
        .size:           8
        .value_kind:     global_buffer
      - .actual_access:  read_only
        .address_space:  global
        .offset:         16
        .size:           8
        .value_kind:     global_buffer
      - .actual_access:  read_only
        .address_space:  global
        .offset:         24
        .size:           8
        .value_kind:     global_buffer
      - .actual_access:  read_only
        .address_space:  global
        .offset:         32
        .size:           8
        .value_kind:     global_buffer
      - .actual_access:  read_only
        .address_space:  global
        .offset:         40
        .size:           8
        .value_kind:     global_buffer
      - .actual_access:  write_only
        .address_space:  global
        .offset:         48
        .size:           8
        .value_kind:     global_buffer
      - .actual_access:  read_only
        .address_space:  global
        .offset:         56
        .size:           8
        .value_kind:     global_buffer
      - .actual_access:  read_only
        .address_space:  global
        .offset:         64
        .size:           8
        .value_kind:     global_buffer
      - .actual_access:  read_only
        .address_space:  global
        .offset:         72
        .size:           8
        .value_kind:     global_buffer
      - .actual_access:  read_only
        .address_space:  global
        .offset:         80
        .size:           8
        .value_kind:     global_buffer
      - .offset:         88
        .size:           4
        .value_kind:     by_value
      - .offset:         92
        .size:           4
        .value_kind:     by_value
      - .offset:         96
        .size:           4
        .value_kind:     by_value
      - .offset:         100
        .size:           4
        .value_kind:     by_value
      - .offset:         104
        .size:           4
        .value_kind:     by_value
      - .offset:         112
        .size:           8
        .value_kind:     by_value
      - .offset:         120
        .size:           8
        .value_kind:     by_value
      - .offset:         128
        .size:           8
        .value_kind:     by_value
    .group_segment_fixed_size: 65536
    .kernarg_segment_align: 8
    .kernarg_segment_size: 136
    .language:       OpenCL C
    .language_version:
      - 2
      - 0
    .max_flat_workgroup_size: 256
    .name:           _ZN12_GLOBAL__N_139chunk_gated_delta_rule_fwd_h_hip_kernelILi64ELb1ELb0ELb0ELb0ELb1ELb0ELb1ELb1EEEvPK12hip_bfloat16S3_S3_PKfS5_PKvPS1_S8_PvPKiSB_iiiiilll
    .private_segment_fixed_size: 0
    .sgpr_count:     72
    .sgpr_spill_count: 0
    .symbol:         _ZN12_GLOBAL__N_139chunk_gated_delta_rule_fwd_h_hip_kernelILi64ELb1ELb0ELb0ELb0ELb1ELb0ELb1ELb1EEEvPK12hip_bfloat16S3_S3_PKfS5_PKvPS1_S8_PvPKiSB_iiiiilll.kd
    .uniform_work_group_size: 1
    .uses_dynamic_stack: false
    .vgpr_count:     216
    .vgpr_spill_count: 0
    .wavefront_size: 64
  - .agpr_count:     36
    .args:
      - .actual_access:  read_only
        .address_space:  global
        .offset:         0
        .size:           8
        .value_kind:     global_buffer
      - .actual_access:  read_only
        .address_space:  global
        .offset:         8
        .size:           8
        .value_kind:     global_buffer
      - .actual_access:  read_only
        .address_space:  global
        .offset:         16
        .size:           8
        .value_kind:     global_buffer
      - .actual_access:  read_only
        .address_space:  global
        .offset:         24
        .size:           8
        .value_kind:     global_buffer
      - .actual_access:  read_only
        .address_space:  global
        .offset:         32
        .size:           8
        .value_kind:     global_buffer
      - .actual_access:  read_only
        .address_space:  global
        .offset:         40
        .size:           8
        .value_kind:     global_buffer
      - .actual_access:  write_only
        .address_space:  global
        .offset:         48
        .size:           8
        .value_kind:     global_buffer
      - .actual_access:  write_only
        .address_space:  global
        .offset:         56
        .size:           8
        .value_kind:     global_buffer
      - .actual_access:  write_only
        .address_space:  global
        .offset:         64
        .size:           8
        .value_kind:     global_buffer
      - .actual_access:  read_only
        .address_space:  global
        .offset:         72
        .size:           8
        .value_kind:     global_buffer
      - .actual_access:  read_only
        .address_space:  global
        .offset:         80
        .size:           8
        .value_kind:     global_buffer
      - .offset:         88
        .size:           4
        .value_kind:     by_value
      - .offset:         92
        .size:           4
        .value_kind:     by_value
      - .offset:         96
        .size:           4
        .value_kind:     by_value
      - .offset:         100
        .size:           4
        .value_kind:     by_value
      - .offset:         104
        .size:           4
        .value_kind:     by_value
      - .offset:         112
        .size:           8
        .value_kind:     by_value
      - .offset:         120
        .size:           8
        .value_kind:     by_value
      - .offset:         128
        .size:           8
        .value_kind:     by_value
    .group_segment_fixed_size: 65536
    .kernarg_segment_align: 8
    .kernarg_segment_size: 136
    .language:       OpenCL C
    .language_version:
      - 2
      - 0
    .max_flat_workgroup_size: 256
    .name:           _ZN12_GLOBAL__N_139chunk_gated_delta_rule_fwd_h_hip_kernelILi64ELb0ELb1ELb1ELb0ELb1ELb0ELb1ELb1EEEvPK12hip_bfloat16S3_S3_PKfS5_PKvPS1_S8_PvPKiSB_iiiiilll
    .private_segment_fixed_size: 0
    .sgpr_count:     73
    .sgpr_spill_count: 0
    .symbol:         _ZN12_GLOBAL__N_139chunk_gated_delta_rule_fwd_h_hip_kernelILi64ELb0ELb1ELb1ELb0ELb1ELb0ELb1ELb1EEEvPK12hip_bfloat16S3_S3_PKfS5_PKvPS1_S8_PvPKiSB_iiiiilll.kd
    .uniform_work_group_size: 1
    .uses_dynamic_stack: false
    .vgpr_count:     216
    .vgpr_spill_count: 0
    .wavefront_size: 64
  - .agpr_count:     36
    .args:
      - .actual_access:  read_only
        .address_space:  global
        .offset:         0
        .size:           8
        .value_kind:     global_buffer
      - .actual_access:  read_only
        .address_space:  global
        .offset:         8
        .size:           8
        .value_kind:     global_buffer
      - .actual_access:  read_only
        .address_space:  global
        .offset:         16
        .size:           8
        .value_kind:     global_buffer
      - .actual_access:  read_only
        .address_space:  global
        .offset:         24
        .size:           8
        .value_kind:     global_buffer
      - .actual_access:  read_only
        .address_space:  global
        .offset:         32
        .size:           8
        .value_kind:     global_buffer
      - .actual_access:  read_only
        .address_space:  global
        .offset:         40
        .size:           8
        .value_kind:     global_buffer
      - .actual_access:  write_only
        .address_space:  global
        .offset:         48
        .size:           8
        .value_kind:     global_buffer
      - .actual_access:  read_only
        .address_space:  global
        .offset:         56
        .size:           8
        .value_kind:     global_buffer
      - .actual_access:  write_only
        .address_space:  global
        .offset:         64
        .size:           8
        .value_kind:     global_buffer
      - .actual_access:  read_only
        .address_space:  global
        .offset:         72
        .size:           8
        .value_kind:     global_buffer
      - .actual_access:  read_only
        .address_space:  global
        .offset:         80
        .size:           8
        .value_kind:     global_buffer
      - .offset:         88
        .size:           4
        .value_kind:     by_value
      - .offset:         92
        .size:           4
        .value_kind:     by_value
      - .offset:         96
        .size:           4
        .value_kind:     by_value
      - .offset:         100
        .size:           4
        .value_kind:     by_value
      - .offset:         104
        .size:           4
        .value_kind:     by_value
      - .offset:         112
        .size:           8
        .value_kind:     by_value
      - .offset:         120
        .size:           8
        .value_kind:     by_value
      - .offset:         128
        .size:           8
        .value_kind:     by_value
    .group_segment_fixed_size: 65536
    .kernarg_segment_align: 8
    .kernarg_segment_size: 136
    .language:       OpenCL C
    .language_version:
      - 2
      - 0
    .max_flat_workgroup_size: 256
    .name:           _ZN12_GLOBAL__N_139chunk_gated_delta_rule_fwd_h_hip_kernelILi64ELb0ELb1ELb0ELb0ELb1ELb0ELb1ELb1EEEvPK12hip_bfloat16S3_S3_PKfS5_PKvPS1_S8_PvPKiSB_iiiiilll
    .private_segment_fixed_size: 0
    .sgpr_count:     71
    .sgpr_spill_count: 0
    .symbol:         _ZN12_GLOBAL__N_139chunk_gated_delta_rule_fwd_h_hip_kernelILi64ELb0ELb1ELb0ELb0ELb1ELb0ELb1ELb1EEEvPK12hip_bfloat16S3_S3_PKfS5_PKvPS1_S8_PvPKiSB_iiiiilll.kd
    .uniform_work_group_size: 1
    .uses_dynamic_stack: false
    .vgpr_count:     216
    .vgpr_spill_count: 0
    .wavefront_size: 64
  - .agpr_count:     36
    .args:
      - .actual_access:  read_only
        .address_space:  global
        .offset:         0
        .size:           8
        .value_kind:     global_buffer
      - .actual_access:  read_only
        .address_space:  global
        .offset:         8
        .size:           8
        .value_kind:     global_buffer
      - .actual_access:  read_only
        .address_space:  global
        .offset:         16
        .size:           8
        .value_kind:     global_buffer
      - .actual_access:  read_only
        .address_space:  global
        .offset:         24
        .size:           8
        .value_kind:     global_buffer
      - .actual_access:  read_only
        .address_space:  global
        .offset:         32
        .size:           8
        .value_kind:     global_buffer
      - .actual_access:  read_only
        .address_space:  global
        .offset:         40
        .size:           8
        .value_kind:     global_buffer
      - .actual_access:  write_only
        .address_space:  global
        .offset:         48
        .size:           8
        .value_kind:     global_buffer
      - .actual_access:  write_only
        .address_space:  global
        .offset:         56
        .size:           8
        .value_kind:     global_buffer
      - .actual_access:  read_only
        .address_space:  global
        .offset:         64
        .size:           8
        .value_kind:     global_buffer
      - .actual_access:  read_only
        .address_space:  global
        .offset:         72
        .size:           8
        .value_kind:     global_buffer
      - .actual_access:  read_only
        .address_space:  global
        .offset:         80
        .size:           8
        .value_kind:     global_buffer
      - .offset:         88
        .size:           4
        .value_kind:     by_value
      - .offset:         92
        .size:           4
        .value_kind:     by_value
      - .offset:         96
        .size:           4
        .value_kind:     by_value
      - .offset:         100
        .size:           4
        .value_kind:     by_value
      - .offset:         104
        .size:           4
        .value_kind:     by_value
      - .offset:         112
        .size:           8
        .value_kind:     by_value
      - .offset:         120
        .size:           8
        .value_kind:     by_value
      - .offset:         128
        .size:           8
        .value_kind:     by_value
    .group_segment_fixed_size: 65536
    .kernarg_segment_align: 8
    .kernarg_segment_size: 136
    .language:       OpenCL C
    .language_version:
      - 2
      - 0
    .max_flat_workgroup_size: 256
    .name:           _ZN12_GLOBAL__N_139chunk_gated_delta_rule_fwd_h_hip_kernelILi64ELb0ELb0ELb1ELb0ELb1ELb0ELb1ELb1EEEvPK12hip_bfloat16S3_S3_PKfS5_PKvPS1_S8_PvPKiSB_iiiiilll
    .private_segment_fixed_size: 0
    .sgpr_count:     71
    .sgpr_spill_count: 0
    .symbol:         _ZN12_GLOBAL__N_139chunk_gated_delta_rule_fwd_h_hip_kernelILi64ELb0ELb0ELb1ELb0ELb1ELb0ELb1ELb1EEEvPK12hip_bfloat16S3_S3_PKfS5_PKvPS1_S8_PvPKiSB_iiiiilll.kd
    .uniform_work_group_size: 1
    .uses_dynamic_stack: false
    .vgpr_count:     216
    .vgpr_spill_count: 0
    .wavefront_size: 64
  - .agpr_count:     36
    .args:
      - .actual_access:  read_only
        .address_space:  global
        .offset:         0
        .size:           8
        .value_kind:     global_buffer
      - .actual_access:  read_only
        .address_space:  global
        .offset:         8
        .size:           8
        .value_kind:     global_buffer
      - .actual_access:  read_only
        .address_space:  global
        .offset:         16
        .size:           8
        .value_kind:     global_buffer
      - .actual_access:  read_only
        .address_space:  global
        .offset:         24
        .size:           8
        .value_kind:     global_buffer
      - .actual_access:  read_only
        .address_space:  global
        .offset:         32
        .size:           8
        .value_kind:     global_buffer
      - .actual_access:  read_only
        .address_space:  global
        .offset:         40
        .size:           8
        .value_kind:     global_buffer
      - .actual_access:  write_only
        .address_space:  global
        .offset:         48
        .size:           8
        .value_kind:     global_buffer
      - .actual_access:  read_only
        .address_space:  global
        .offset:         56
        .size:           8
        .value_kind:     global_buffer
      - .actual_access:  read_only
        .address_space:  global
        .offset:         64
        .size:           8
        .value_kind:     global_buffer
      - .actual_access:  read_only
        .address_space:  global
        .offset:         72
        .size:           8
        .value_kind:     global_buffer
      - .actual_access:  read_only
        .address_space:  global
        .offset:         80
        .size:           8
        .value_kind:     global_buffer
      - .offset:         88
        .size:           4
        .value_kind:     by_value
      - .offset:         92
        .size:           4
        .value_kind:     by_value
      - .offset:         96
        .size:           4
        .value_kind:     by_value
      - .offset:         100
        .size:           4
        .value_kind:     by_value
      - .offset:         104
        .size:           4
        .value_kind:     by_value
      - .offset:         112
        .size:           8
        .value_kind:     by_value
      - .offset:         120
        .size:           8
        .value_kind:     by_value
      - .offset:         128
        .size:           8
        .value_kind:     by_value
    .group_segment_fixed_size: 65536
    .kernarg_segment_align: 8
    .kernarg_segment_size: 136
    .language:       OpenCL C
    .language_version:
      - 2
      - 0
    .max_flat_workgroup_size: 256
    .name:           _ZN12_GLOBAL__N_139chunk_gated_delta_rule_fwd_h_hip_kernelILi64ELb0ELb0ELb0ELb0ELb1ELb0ELb1ELb1EEEvPK12hip_bfloat16S3_S3_PKfS5_PKvPS1_S8_PvPKiSB_iiiiilll
    .private_segment_fixed_size: 0
    .sgpr_count:     69
    .sgpr_spill_count: 0
    .symbol:         _ZN12_GLOBAL__N_139chunk_gated_delta_rule_fwd_h_hip_kernelILi64ELb0ELb0ELb0ELb0ELb1ELb0ELb1ELb1EEEvPK12hip_bfloat16S3_S3_PKfS5_PKvPS1_S8_PvPKiSB_iiiiilll.kd
    .uniform_work_group_size: 1
    .uses_dynamic_stack: false
    .vgpr_count:     216
    .vgpr_spill_count: 0
    .wavefront_size: 64
  - .agpr_count:     36
    .args:
      - .actual_access:  read_only
        .address_space:  global
        .offset:         0
        .size:           8
        .value_kind:     global_buffer
      - .actual_access:  read_only
        .address_space:  global
        .offset:         8
        .size:           8
        .value_kind:     global_buffer
      - .actual_access:  read_only
        .address_space:  global
        .offset:         16
        .size:           8
        .value_kind:     global_buffer
      - .actual_access:  read_only
        .address_space:  global
        .offset:         24
        .size:           8
        .value_kind:     global_buffer
      - .actual_access:  read_only
        .address_space:  global
        .offset:         32
        .size:           8
        .value_kind:     global_buffer
      - .actual_access:  read_only
        .address_space:  global
        .offset:         40
        .size:           8
        .value_kind:     global_buffer
      - .actual_access:  write_only
        .address_space:  global
        .offset:         48
        .size:           8
        .value_kind:     global_buffer
      - .actual_access:  write_only
        .address_space:  global
        .offset:         56
        .size:           8
        .value_kind:     global_buffer
      - .actual_access:  write_only
        .address_space:  global
        .offset:         64
        .size:           8
        .value_kind:     global_buffer
      - .actual_access:  read_only
        .address_space:  global
        .offset:         72
        .size:           8
        .value_kind:     global_buffer
      - .actual_access:  read_only
        .address_space:  global
        .offset:         80
        .size:           8
        .value_kind:     global_buffer
      - .offset:         88
        .size:           4
        .value_kind:     by_value
      - .offset:         92
        .size:           4
        .value_kind:     by_value
      - .offset:         96
        .size:           4
        .value_kind:     by_value
      - .offset:         100
        .size:           4
        .value_kind:     by_value
      - .offset:         104
        .size:           4
        .value_kind:     by_value
      - .offset:         112
        .size:           8
        .value_kind:     by_value
      - .offset:         120
        .size:           8
        .value_kind:     by_value
      - .offset:         128
        .size:           8
        .value_kind:     by_value
    .group_segment_fixed_size: 65536
    .kernarg_segment_align: 8
    .kernarg_segment_size: 136
    .language:       OpenCL C
    .language_version:
      - 2
      - 0
    .max_flat_workgroup_size: 256
    .name:           _ZN12_GLOBAL__N_139chunk_gated_delta_rule_fwd_h_hip_kernelILi64ELb1ELb1ELb1ELb1ELb1ELb0ELb0ELb1EEEvPK12hip_bfloat16S3_S3_PKfS5_PKvPS1_S8_PvPKiSB_iiiiilll
    .private_segment_fixed_size: 0
    .sgpr_count:     73
    .sgpr_spill_count: 0
    .symbol:         _ZN12_GLOBAL__N_139chunk_gated_delta_rule_fwd_h_hip_kernelILi64ELb1ELb1ELb1ELb1ELb1ELb0ELb0ELb1EEEvPK12hip_bfloat16S3_S3_PKfS5_PKvPS1_S8_PvPKiSB_iiiiilll.kd
    .uniform_work_group_size: 1
    .uses_dynamic_stack: false
    .vgpr_count:     224
    .vgpr_spill_count: 0
    .wavefront_size: 64
  - .agpr_count:     36
    .args:
      - .actual_access:  read_only
        .address_space:  global
        .offset:         0
        .size:           8
        .value_kind:     global_buffer
      - .actual_access:  read_only
        .address_space:  global
        .offset:         8
        .size:           8
        .value_kind:     global_buffer
      - .actual_access:  read_only
        .address_space:  global
        .offset:         16
        .size:           8
        .value_kind:     global_buffer
      - .actual_access:  read_only
        .address_space:  global
        .offset:         24
        .size:           8
        .value_kind:     global_buffer
      - .actual_access:  read_only
        .address_space:  global
        .offset:         32
        .size:           8
        .value_kind:     global_buffer
      - .actual_access:  read_only
        .address_space:  global
        .offset:         40
        .size:           8
        .value_kind:     global_buffer
      - .actual_access:  write_only
        .address_space:  global
        .offset:         48
        .size:           8
        .value_kind:     global_buffer
      - .actual_access:  read_only
        .address_space:  global
        .offset:         56
        .size:           8
        .value_kind:     global_buffer
      - .actual_access:  write_only
        .address_space:  global
        .offset:         64
        .size:           8
        .value_kind:     global_buffer
      - .actual_access:  read_only
        .address_space:  global
        .offset:         72
        .size:           8
        .value_kind:     global_buffer
      - .actual_access:  read_only
        .address_space:  global
        .offset:         80
        .size:           8
        .value_kind:     global_buffer
      - .offset:         88
        .size:           4
        .value_kind:     by_value
      - .offset:         92
        .size:           4
        .value_kind:     by_value
      - .offset:         96
        .size:           4
        .value_kind:     by_value
      - .offset:         100
        .size:           4
        .value_kind:     by_value
      - .offset:         104
        .size:           4
        .value_kind:     by_value
      - .offset:         112
        .size:           8
        .value_kind:     by_value
      - .offset:         120
        .size:           8
        .value_kind:     by_value
      - .offset:         128
        .size:           8
        .value_kind:     by_value
    .group_segment_fixed_size: 65536
    .kernarg_segment_align: 8
    .kernarg_segment_size: 136
    .language:       OpenCL C
    .language_version:
      - 2
      - 0
    .max_flat_workgroup_size: 256
    .name:           _ZN12_GLOBAL__N_139chunk_gated_delta_rule_fwd_h_hip_kernelILi64ELb1ELb1ELb0ELb1ELb1ELb0ELb0ELb1EEEvPK12hip_bfloat16S3_S3_PKfS5_PKvPS1_S8_PvPKiSB_iiiiilll
    .private_segment_fixed_size: 0
    .sgpr_count:     71
    .sgpr_spill_count: 0
    .symbol:         _ZN12_GLOBAL__N_139chunk_gated_delta_rule_fwd_h_hip_kernelILi64ELb1ELb1ELb0ELb1ELb1ELb0ELb0ELb1EEEvPK12hip_bfloat16S3_S3_PKfS5_PKvPS1_S8_PvPKiSB_iiiiilll.kd
    .uniform_work_group_size: 1
    .uses_dynamic_stack: false
    .vgpr_count:     224
    .vgpr_spill_count: 0
    .wavefront_size: 64
  - .agpr_count:     36
    .args:
      - .actual_access:  read_only
        .address_space:  global
        .offset:         0
        .size:           8
        .value_kind:     global_buffer
      - .actual_access:  read_only
        .address_space:  global
        .offset:         8
        .size:           8
        .value_kind:     global_buffer
      - .actual_access:  read_only
        .address_space:  global
        .offset:         16
        .size:           8
        .value_kind:     global_buffer
      - .actual_access:  read_only
        .address_space:  global
        .offset:         24
        .size:           8
        .value_kind:     global_buffer
      - .actual_access:  read_only
        .address_space:  global
        .offset:         32
        .size:           8
        .value_kind:     global_buffer
      - .actual_access:  read_only
        .address_space:  global
        .offset:         40
        .size:           8
        .value_kind:     global_buffer
      - .actual_access:  write_only
        .address_space:  global
        .offset:         48
        .size:           8
        .value_kind:     global_buffer
      - .actual_access:  write_only
        .address_space:  global
        .offset:         56
        .size:           8
        .value_kind:     global_buffer
      - .actual_access:  read_only
        .address_space:  global
        .offset:         64
        .size:           8
        .value_kind:     global_buffer
      - .actual_access:  read_only
        .address_space:  global
        .offset:         72
        .size:           8
        .value_kind:     global_buffer
      - .actual_access:  read_only
        .address_space:  global
        .offset:         80
        .size:           8
        .value_kind:     global_buffer
      - .offset:         88
        .size:           4
        .value_kind:     by_value
      - .offset:         92
        .size:           4
        .value_kind:     by_value
      - .offset:         96
        .size:           4
        .value_kind:     by_value
      - .offset:         100
        .size:           4
        .value_kind:     by_value
      - .offset:         104
        .size:           4
        .value_kind:     by_value
      - .offset:         112
        .size:           8
        .value_kind:     by_value
      - .offset:         120
        .size:           8
        .value_kind:     by_value
      - .offset:         128
        .size:           8
        .value_kind:     by_value
    .group_segment_fixed_size: 65536
    .kernarg_segment_align: 8
    .kernarg_segment_size: 136
    .language:       OpenCL C
    .language_version:
      - 2
      - 0
    .max_flat_workgroup_size: 256
    .name:           _ZN12_GLOBAL__N_139chunk_gated_delta_rule_fwd_h_hip_kernelILi64ELb1ELb0ELb1ELb1ELb1ELb0ELb0ELb1EEEvPK12hip_bfloat16S3_S3_PKfS5_PKvPS1_S8_PvPKiSB_iiiiilll
    .private_segment_fixed_size: 0
    .sgpr_count:     69
    .sgpr_spill_count: 0
    .symbol:         _ZN12_GLOBAL__N_139chunk_gated_delta_rule_fwd_h_hip_kernelILi64ELb1ELb0ELb1ELb1ELb1ELb0ELb0ELb1EEEvPK12hip_bfloat16S3_S3_PKfS5_PKvPS1_S8_PvPKiSB_iiiiilll.kd
    .uniform_work_group_size: 1
    .uses_dynamic_stack: false
    .vgpr_count:     216
    .vgpr_spill_count: 0
    .wavefront_size: 64
  - .agpr_count:     36
    .args:
      - .actual_access:  read_only
        .address_space:  global
        .offset:         0
        .size:           8
        .value_kind:     global_buffer
      - .actual_access:  read_only
        .address_space:  global
        .offset:         8
        .size:           8
        .value_kind:     global_buffer
      - .actual_access:  read_only
        .address_space:  global
        .offset:         16
        .size:           8
        .value_kind:     global_buffer
      - .actual_access:  read_only
        .address_space:  global
        .offset:         24
        .size:           8
        .value_kind:     global_buffer
      - .actual_access:  read_only
        .address_space:  global
        .offset:         32
        .size:           8
        .value_kind:     global_buffer
      - .actual_access:  read_only
        .address_space:  global
        .offset:         40
        .size:           8
        .value_kind:     global_buffer
      - .actual_access:  write_only
        .address_space:  global
        .offset:         48
        .size:           8
        .value_kind:     global_buffer
      - .actual_access:  read_only
        .address_space:  global
        .offset:         56
        .size:           8
        .value_kind:     global_buffer
      - .actual_access:  read_only
        .address_space:  global
        .offset:         64
        .size:           8
        .value_kind:     global_buffer
      - .actual_access:  read_only
        .address_space:  global
        .offset:         72
        .size:           8
        .value_kind:     global_buffer
      - .actual_access:  read_only
        .address_space:  global
        .offset:         80
        .size:           8
        .value_kind:     global_buffer
      - .offset:         88
        .size:           4
        .value_kind:     by_value
      - .offset:         92
        .size:           4
        .value_kind:     by_value
      - .offset:         96
        .size:           4
        .value_kind:     by_value
      - .offset:         100
        .size:           4
        .value_kind:     by_value
      - .offset:         104
        .size:           4
        .value_kind:     by_value
      - .offset:         112
        .size:           8
        .value_kind:     by_value
      - .offset:         120
        .size:           8
        .value_kind:     by_value
      - .offset:         128
        .size:           8
        .value_kind:     by_value
    .group_segment_fixed_size: 65536
    .kernarg_segment_align: 8
    .kernarg_segment_size: 136
    .language:       OpenCL C
    .language_version:
      - 2
      - 0
    .max_flat_workgroup_size: 256
    .name:           _ZN12_GLOBAL__N_139chunk_gated_delta_rule_fwd_h_hip_kernelILi64ELb1ELb0ELb0ELb1ELb1ELb0ELb0ELb1EEEvPK12hip_bfloat16S3_S3_PKfS5_PKvPS1_S8_PvPKiSB_iiiiilll
    .private_segment_fixed_size: 0
    .sgpr_count:     67
    .sgpr_spill_count: 0
    .symbol:         _ZN12_GLOBAL__N_139chunk_gated_delta_rule_fwd_h_hip_kernelILi64ELb1ELb0ELb0ELb1ELb1ELb0ELb0ELb1EEEvPK12hip_bfloat16S3_S3_PKfS5_PKvPS1_S8_PvPKiSB_iiiiilll.kd
    .uniform_work_group_size: 1
    .uses_dynamic_stack: false
    .vgpr_count:     216
    .vgpr_spill_count: 0
    .wavefront_size: 64
  - .agpr_count:     36
    .args:
      - .actual_access:  read_only
        .address_space:  global
        .offset:         0
        .size:           8
        .value_kind:     global_buffer
      - .actual_access:  read_only
        .address_space:  global
        .offset:         8
        .size:           8
        .value_kind:     global_buffer
      - .actual_access:  read_only
        .address_space:  global
        .offset:         16
        .size:           8
        .value_kind:     global_buffer
      - .actual_access:  read_only
        .address_space:  global
        .offset:         24
        .size:           8
        .value_kind:     global_buffer
      - .actual_access:  read_only
        .address_space:  global
        .offset:         32
        .size:           8
        .value_kind:     global_buffer
      - .actual_access:  read_only
        .address_space:  global
        .offset:         40
        .size:           8
        .value_kind:     global_buffer
      - .actual_access:  write_only
        .address_space:  global
        .offset:         48
        .size:           8
        .value_kind:     global_buffer
      - .actual_access:  write_only
        .address_space:  global
        .offset:         56
        .size:           8
        .value_kind:     global_buffer
      - .actual_access:  write_only
        .address_space:  global
        .offset:         64
        .size:           8
        .value_kind:     global_buffer
      - .actual_access:  read_only
        .address_space:  global
        .offset:         72
        .size:           8
        .value_kind:     global_buffer
      - .actual_access:  read_only
        .address_space:  global
        .offset:         80
        .size:           8
        .value_kind:     global_buffer
      - .offset:         88
        .size:           4
        .value_kind:     by_value
      - .offset:         92
        .size:           4
        .value_kind:     by_value
      - .offset:         96
        .size:           4
        .value_kind:     by_value
      - .offset:         100
        .size:           4
        .value_kind:     by_value
      - .offset:         104
        .size:           4
        .value_kind:     by_value
      - .offset:         112
        .size:           8
        .value_kind:     by_value
      - .offset:         120
        .size:           8
        .value_kind:     by_value
      - .offset:         128
        .size:           8
        .value_kind:     by_value
    .group_segment_fixed_size: 65536
    .kernarg_segment_align: 8
    .kernarg_segment_size: 136
    .language:       OpenCL C
    .language_version:
      - 2
      - 0
    .max_flat_workgroup_size: 256
    .name:           _ZN12_GLOBAL__N_139chunk_gated_delta_rule_fwd_h_hip_kernelILi64ELb0ELb1ELb1ELb1ELb1ELb0ELb0ELb1EEEvPK12hip_bfloat16S3_S3_PKfS5_PKvPS1_S8_PvPKiSB_iiiiilll
    .private_segment_fixed_size: 0
    .sgpr_count:     73
    .sgpr_spill_count: 0
    .symbol:         _ZN12_GLOBAL__N_139chunk_gated_delta_rule_fwd_h_hip_kernelILi64ELb0ELb1ELb1ELb1ELb1ELb0ELb0ELb1EEEvPK12hip_bfloat16S3_S3_PKfS5_PKvPS1_S8_PvPKiSB_iiiiilll.kd
    .uniform_work_group_size: 1
    .uses_dynamic_stack: false
    .vgpr_count:     216
    .vgpr_spill_count: 0
    .wavefront_size: 64
  - .agpr_count:     36
    .args:
      - .actual_access:  read_only
        .address_space:  global
        .offset:         0
        .size:           8
        .value_kind:     global_buffer
      - .actual_access:  read_only
        .address_space:  global
        .offset:         8
        .size:           8
        .value_kind:     global_buffer
      - .actual_access:  read_only
        .address_space:  global
        .offset:         16
        .size:           8
        .value_kind:     global_buffer
      - .actual_access:  read_only
        .address_space:  global
        .offset:         24
        .size:           8
        .value_kind:     global_buffer
      - .actual_access:  read_only
        .address_space:  global
        .offset:         32
        .size:           8
        .value_kind:     global_buffer
      - .actual_access:  read_only
        .address_space:  global
        .offset:         40
        .size:           8
        .value_kind:     global_buffer
      - .actual_access:  write_only
        .address_space:  global
        .offset:         48
        .size:           8
        .value_kind:     global_buffer
      - .actual_access:  read_only
        .address_space:  global
        .offset:         56
        .size:           8
        .value_kind:     global_buffer
      - .actual_access:  write_only
        .address_space:  global
        .offset:         64
        .size:           8
        .value_kind:     global_buffer
      - .actual_access:  read_only
        .address_space:  global
        .offset:         72
        .size:           8
        .value_kind:     global_buffer
      - .actual_access:  read_only
        .address_space:  global
        .offset:         80
        .size:           8
        .value_kind:     global_buffer
      - .offset:         88
        .size:           4
        .value_kind:     by_value
      - .offset:         92
        .size:           4
        .value_kind:     by_value
      - .offset:         96
        .size:           4
        .value_kind:     by_value
      - .offset:         100
        .size:           4
        .value_kind:     by_value
      - .offset:         104
        .size:           4
        .value_kind:     by_value
      - .offset:         112
        .size:           8
        .value_kind:     by_value
      - .offset:         120
        .size:           8
        .value_kind:     by_value
      - .offset:         128
        .size:           8
        .value_kind:     by_value
    .group_segment_fixed_size: 65536
    .kernarg_segment_align: 8
    .kernarg_segment_size: 136
    .language:       OpenCL C
    .language_version:
      - 2
      - 0
    .max_flat_workgroup_size: 256
    .name:           _ZN12_GLOBAL__N_139chunk_gated_delta_rule_fwd_h_hip_kernelILi64ELb0ELb1ELb0ELb1ELb1ELb0ELb0ELb1EEEvPK12hip_bfloat16S3_S3_PKfS5_PKvPS1_S8_PvPKiSB_iiiiilll
    .private_segment_fixed_size: 0
    .sgpr_count:     71
    .sgpr_spill_count: 0
    .symbol:         _ZN12_GLOBAL__N_139chunk_gated_delta_rule_fwd_h_hip_kernelILi64ELb0ELb1ELb0ELb1ELb1ELb0ELb0ELb1EEEvPK12hip_bfloat16S3_S3_PKfS5_PKvPS1_S8_PvPKiSB_iiiiilll.kd
    .uniform_work_group_size: 1
    .uses_dynamic_stack: false
    .vgpr_count:     216
    .vgpr_spill_count: 0
    .wavefront_size: 64
  - .agpr_count:     36
    .args:
      - .actual_access:  read_only
        .address_space:  global
        .offset:         0
        .size:           8
        .value_kind:     global_buffer
      - .actual_access:  read_only
        .address_space:  global
        .offset:         8
        .size:           8
        .value_kind:     global_buffer
      - .actual_access:  read_only
        .address_space:  global
        .offset:         16
        .size:           8
        .value_kind:     global_buffer
      - .actual_access:  read_only
        .address_space:  global
        .offset:         24
        .size:           8
        .value_kind:     global_buffer
      - .actual_access:  read_only
        .address_space:  global
        .offset:         32
        .size:           8
        .value_kind:     global_buffer
      - .actual_access:  read_only
        .address_space:  global
        .offset:         40
        .size:           8
        .value_kind:     global_buffer
      - .actual_access:  write_only
        .address_space:  global
        .offset:         48
        .size:           8
        .value_kind:     global_buffer
      - .actual_access:  write_only
        .address_space:  global
        .offset:         56
        .size:           8
        .value_kind:     global_buffer
      - .actual_access:  read_only
        .address_space:  global
        .offset:         64
        .size:           8
        .value_kind:     global_buffer
      - .actual_access:  read_only
        .address_space:  global
        .offset:         72
        .size:           8
        .value_kind:     global_buffer
      - .actual_access:  read_only
        .address_space:  global
        .offset:         80
        .size:           8
        .value_kind:     global_buffer
      - .offset:         88
        .size:           4
        .value_kind:     by_value
      - .offset:         92
        .size:           4
        .value_kind:     by_value
      - .offset:         96
        .size:           4
        .value_kind:     by_value
      - .offset:         100
        .size:           4
        .value_kind:     by_value
      - .offset:         104
        .size:           4
        .value_kind:     by_value
      - .offset:         112
        .size:           8
        .value_kind:     by_value
      - .offset:         120
        .size:           8
        .value_kind:     by_value
      - .offset:         128
        .size:           8
        .value_kind:     by_value
    .group_segment_fixed_size: 65536
    .kernarg_segment_align: 8
    .kernarg_segment_size: 136
    .language:       OpenCL C
    .language_version:
      - 2
      - 0
    .max_flat_workgroup_size: 256
    .name:           _ZN12_GLOBAL__N_139chunk_gated_delta_rule_fwd_h_hip_kernelILi64ELb0ELb0ELb1ELb1ELb1ELb0ELb0ELb1EEEvPK12hip_bfloat16S3_S3_PKfS5_PKvPS1_S8_PvPKiSB_iiiiilll
    .private_segment_fixed_size: 0
    .sgpr_count:     68
    .sgpr_spill_count: 0
    .symbol:         _ZN12_GLOBAL__N_139chunk_gated_delta_rule_fwd_h_hip_kernelILi64ELb0ELb0ELb1ELb1ELb1ELb0ELb0ELb1EEEvPK12hip_bfloat16S3_S3_PKfS5_PKvPS1_S8_PvPKiSB_iiiiilll.kd
    .uniform_work_group_size: 1
    .uses_dynamic_stack: false
    .vgpr_count:     216
    .vgpr_spill_count: 0
    .wavefront_size: 64
  - .agpr_count:     36
    .args:
      - .actual_access:  read_only
        .address_space:  global
        .offset:         0
        .size:           8
        .value_kind:     global_buffer
      - .actual_access:  read_only
        .address_space:  global
        .offset:         8
        .size:           8
        .value_kind:     global_buffer
      - .actual_access:  read_only
        .address_space:  global
        .offset:         16
        .size:           8
        .value_kind:     global_buffer
      - .actual_access:  read_only
        .address_space:  global
        .offset:         24
        .size:           8
        .value_kind:     global_buffer
      - .actual_access:  read_only
        .address_space:  global
        .offset:         32
        .size:           8
        .value_kind:     global_buffer
      - .actual_access:  read_only
        .address_space:  global
        .offset:         40
        .size:           8
        .value_kind:     global_buffer
      - .actual_access:  write_only
        .address_space:  global
        .offset:         48
        .size:           8
        .value_kind:     global_buffer
      - .actual_access:  read_only
        .address_space:  global
        .offset:         56
        .size:           8
        .value_kind:     global_buffer
      - .actual_access:  read_only
        .address_space:  global
        .offset:         64
        .size:           8
        .value_kind:     global_buffer
      - .actual_access:  read_only
        .address_space:  global
        .offset:         72
        .size:           8
        .value_kind:     global_buffer
      - .actual_access:  read_only
        .address_space:  global
        .offset:         80
        .size:           8
        .value_kind:     global_buffer
      - .offset:         88
        .size:           4
        .value_kind:     by_value
      - .offset:         92
        .size:           4
        .value_kind:     by_value
      - .offset:         96
        .size:           4
        .value_kind:     by_value
      - .offset:         100
        .size:           4
        .value_kind:     by_value
      - .offset:         104
        .size:           4
        .value_kind:     by_value
      - .offset:         112
        .size:           8
        .value_kind:     by_value
      - .offset:         120
        .size:           8
        .value_kind:     by_value
      - .offset:         128
        .size:           8
        .value_kind:     by_value
    .group_segment_fixed_size: 65536
    .kernarg_segment_align: 8
    .kernarg_segment_size: 136
    .language:       OpenCL C
    .language_version:
      - 2
      - 0
    .max_flat_workgroup_size: 256
    .name:           _ZN12_GLOBAL__N_139chunk_gated_delta_rule_fwd_h_hip_kernelILi64ELb0ELb0ELb0ELb1ELb1ELb0ELb0ELb1EEEvPK12hip_bfloat16S3_S3_PKfS5_PKvPS1_S8_PvPKiSB_iiiiilll
    .private_segment_fixed_size: 0
    .sgpr_count:     66
    .sgpr_spill_count: 0
    .symbol:         _ZN12_GLOBAL__N_139chunk_gated_delta_rule_fwd_h_hip_kernelILi64ELb0ELb0ELb0ELb1ELb1ELb0ELb0ELb1EEEvPK12hip_bfloat16S3_S3_PKfS5_PKvPS1_S8_PvPKiSB_iiiiilll.kd
    .uniform_work_group_size: 1
    .uses_dynamic_stack: false
    .vgpr_count:     216
    .vgpr_spill_count: 0
    .wavefront_size: 64
  - .agpr_count:     36
    .args:
      - .actual_access:  read_only
        .address_space:  global
        .offset:         0
        .size:           8
        .value_kind:     global_buffer
      - .actual_access:  read_only
        .address_space:  global
        .offset:         8
        .size:           8
        .value_kind:     global_buffer
      - .actual_access:  read_only
        .address_space:  global
        .offset:         16
        .size:           8
        .value_kind:     global_buffer
      - .actual_access:  read_only
        .address_space:  global
        .offset:         24
        .size:           8
        .value_kind:     global_buffer
      - .actual_access:  read_only
        .address_space:  global
        .offset:         32
        .size:           8
        .value_kind:     global_buffer
      - .actual_access:  read_only
        .address_space:  global
        .offset:         40
        .size:           8
        .value_kind:     global_buffer
      - .actual_access:  write_only
        .address_space:  global
        .offset:         48
        .size:           8
        .value_kind:     global_buffer
      - .actual_access:  write_only
        .address_space:  global
        .offset:         56
        .size:           8
        .value_kind:     global_buffer
      - .actual_access:  write_only
        .address_space:  global
        .offset:         64
        .size:           8
        .value_kind:     global_buffer
      - .actual_access:  read_only
        .address_space:  global
        .offset:         72
        .size:           8
        .value_kind:     global_buffer
      - .actual_access:  read_only
        .address_space:  global
        .offset:         80
        .size:           8
        .value_kind:     global_buffer
      - .offset:         88
        .size:           4
        .value_kind:     by_value
      - .offset:         92
        .size:           4
        .value_kind:     by_value
      - .offset:         96
        .size:           4
        .value_kind:     by_value
      - .offset:         100
        .size:           4
        .value_kind:     by_value
      - .offset:         104
        .size:           4
        .value_kind:     by_value
      - .offset:         112
        .size:           8
        .value_kind:     by_value
      - .offset:         120
        .size:           8
        .value_kind:     by_value
      - .offset:         128
        .size:           8
        .value_kind:     by_value
    .group_segment_fixed_size: 65536
    .kernarg_segment_align: 8
    .kernarg_segment_size: 136
    .language:       OpenCL C
    .language_version:
      - 2
      - 0
    .max_flat_workgroup_size: 256
    .name:           _ZN12_GLOBAL__N_139chunk_gated_delta_rule_fwd_h_hip_kernelILi64ELb1ELb1ELb1ELb0ELb1ELb0ELb0ELb1EEEvPK12hip_bfloat16S3_S3_PKfS5_PKvPS1_S8_PvPKiSB_iiiiilll
    .private_segment_fixed_size: 0
    .sgpr_count:     78
    .sgpr_spill_count: 0
    .symbol:         _ZN12_GLOBAL__N_139chunk_gated_delta_rule_fwd_h_hip_kernelILi64ELb1ELb1ELb1ELb0ELb1ELb0ELb0ELb1EEEvPK12hip_bfloat16S3_S3_PKfS5_PKvPS1_S8_PvPKiSB_iiiiilll.kd
    .uniform_work_group_size: 1
    .uses_dynamic_stack: false
    .vgpr_count:     224
    .vgpr_spill_count: 0
    .wavefront_size: 64
  - .agpr_count:     36
    .args:
      - .actual_access:  read_only
        .address_space:  global
        .offset:         0
        .size:           8
        .value_kind:     global_buffer
      - .actual_access:  read_only
        .address_space:  global
        .offset:         8
        .size:           8
        .value_kind:     global_buffer
      - .actual_access:  read_only
        .address_space:  global
        .offset:         16
        .size:           8
        .value_kind:     global_buffer
      - .actual_access:  read_only
        .address_space:  global
        .offset:         24
        .size:           8
        .value_kind:     global_buffer
      - .actual_access:  read_only
        .address_space:  global
        .offset:         32
        .size:           8
        .value_kind:     global_buffer
      - .actual_access:  read_only
        .address_space:  global
        .offset:         40
        .size:           8
        .value_kind:     global_buffer
      - .actual_access:  write_only
        .address_space:  global
        .offset:         48
        .size:           8
        .value_kind:     global_buffer
      - .actual_access:  read_only
        .address_space:  global
        .offset:         56
        .size:           8
        .value_kind:     global_buffer
      - .actual_access:  write_only
        .address_space:  global
        .offset:         64
        .size:           8
        .value_kind:     global_buffer
      - .actual_access:  read_only
        .address_space:  global
        .offset:         72
        .size:           8
        .value_kind:     global_buffer
      - .actual_access:  read_only
        .address_space:  global
        .offset:         80
        .size:           8
        .value_kind:     global_buffer
      - .offset:         88
        .size:           4
        .value_kind:     by_value
      - .offset:         92
        .size:           4
        .value_kind:     by_value
      - .offset:         96
        .size:           4
        .value_kind:     by_value
      - .offset:         100
        .size:           4
        .value_kind:     by_value
      - .offset:         104
        .size:           4
        .value_kind:     by_value
      - .offset:         112
        .size:           8
        .value_kind:     by_value
      - .offset:         120
        .size:           8
        .value_kind:     by_value
      - .offset:         128
        .size:           8
        .value_kind:     by_value
    .group_segment_fixed_size: 65536
    .kernarg_segment_align: 8
    .kernarg_segment_size: 136
    .language:       OpenCL C
    .language_version:
      - 2
      - 0
    .max_flat_workgroup_size: 256
    .name:           _ZN12_GLOBAL__N_139chunk_gated_delta_rule_fwd_h_hip_kernelILi64ELb1ELb1ELb0ELb0ELb1ELb0ELb0ELb1EEEvPK12hip_bfloat16S3_S3_PKfS5_PKvPS1_S8_PvPKiSB_iiiiilll
    .private_segment_fixed_size: 0
    .sgpr_count:     76
    .sgpr_spill_count: 0
    .symbol:         _ZN12_GLOBAL__N_139chunk_gated_delta_rule_fwd_h_hip_kernelILi64ELb1ELb1ELb0ELb0ELb1ELb0ELb0ELb1EEEvPK12hip_bfloat16S3_S3_PKfS5_PKvPS1_S8_PvPKiSB_iiiiilll.kd
    .uniform_work_group_size: 1
    .uses_dynamic_stack: false
    .vgpr_count:     224
    .vgpr_spill_count: 0
    .wavefront_size: 64
  - .agpr_count:     36
    .args:
      - .actual_access:  read_only
        .address_space:  global
        .offset:         0
        .size:           8
        .value_kind:     global_buffer
      - .actual_access:  read_only
        .address_space:  global
        .offset:         8
        .size:           8
        .value_kind:     global_buffer
      - .actual_access:  read_only
        .address_space:  global
        .offset:         16
        .size:           8
        .value_kind:     global_buffer
      - .actual_access:  read_only
        .address_space:  global
        .offset:         24
        .size:           8
        .value_kind:     global_buffer
      - .actual_access:  read_only
        .address_space:  global
        .offset:         32
        .size:           8
        .value_kind:     global_buffer
      - .actual_access:  read_only
        .address_space:  global
        .offset:         40
        .size:           8
        .value_kind:     global_buffer
      - .actual_access:  write_only
        .address_space:  global
        .offset:         48
        .size:           8
        .value_kind:     global_buffer
      - .actual_access:  write_only
        .address_space:  global
        .offset:         56
        .size:           8
        .value_kind:     global_buffer
      - .actual_access:  read_only
        .address_space:  global
        .offset:         64
        .size:           8
        .value_kind:     global_buffer
      - .actual_access:  read_only
        .address_space:  global
        .offset:         72
        .size:           8
        .value_kind:     global_buffer
      - .actual_access:  read_only
        .address_space:  global
        .offset:         80
        .size:           8
        .value_kind:     global_buffer
      - .offset:         88
        .size:           4
        .value_kind:     by_value
      - .offset:         92
        .size:           4
        .value_kind:     by_value
      - .offset:         96
        .size:           4
        .value_kind:     by_value
      - .offset:         100
        .size:           4
        .value_kind:     by_value
      - .offset:         104
        .size:           4
        .value_kind:     by_value
      - .offset:         112
        .size:           8
        .value_kind:     by_value
      - .offset:         120
        .size:           8
        .value_kind:     by_value
      - .offset:         128
        .size:           8
        .value_kind:     by_value
    .group_segment_fixed_size: 65536
    .kernarg_segment_align: 8
    .kernarg_segment_size: 136
    .language:       OpenCL C
    .language_version:
      - 2
      - 0
    .max_flat_workgroup_size: 256
    .name:           _ZN12_GLOBAL__N_139chunk_gated_delta_rule_fwd_h_hip_kernelILi64ELb1ELb0ELb1ELb0ELb1ELb0ELb0ELb1EEEvPK12hip_bfloat16S3_S3_PKfS5_PKvPS1_S8_PvPKiSB_iiiiilll
    .private_segment_fixed_size: 0
    .sgpr_count:     74
    .sgpr_spill_count: 0
    .symbol:         _ZN12_GLOBAL__N_139chunk_gated_delta_rule_fwd_h_hip_kernelILi64ELb1ELb0ELb1ELb0ELb1ELb0ELb0ELb1EEEvPK12hip_bfloat16S3_S3_PKfS5_PKvPS1_S8_PvPKiSB_iiiiilll.kd
    .uniform_work_group_size: 1
    .uses_dynamic_stack: false
    .vgpr_count:     216
    .vgpr_spill_count: 0
    .wavefront_size: 64
  - .agpr_count:     36
    .args:
      - .actual_access:  read_only
        .address_space:  global
        .offset:         0
        .size:           8
        .value_kind:     global_buffer
      - .actual_access:  read_only
        .address_space:  global
        .offset:         8
        .size:           8
        .value_kind:     global_buffer
      - .actual_access:  read_only
        .address_space:  global
        .offset:         16
        .size:           8
        .value_kind:     global_buffer
      - .actual_access:  read_only
        .address_space:  global
        .offset:         24
        .size:           8
        .value_kind:     global_buffer
      - .actual_access:  read_only
        .address_space:  global
        .offset:         32
        .size:           8
        .value_kind:     global_buffer
      - .actual_access:  read_only
        .address_space:  global
        .offset:         40
        .size:           8
        .value_kind:     global_buffer
      - .actual_access:  write_only
        .address_space:  global
        .offset:         48
        .size:           8
        .value_kind:     global_buffer
      - .actual_access:  read_only
        .address_space:  global
        .offset:         56
        .size:           8
        .value_kind:     global_buffer
      - .actual_access:  read_only
        .address_space:  global
        .offset:         64
        .size:           8
        .value_kind:     global_buffer
      - .actual_access:  read_only
        .address_space:  global
        .offset:         72
        .size:           8
        .value_kind:     global_buffer
      - .actual_access:  read_only
        .address_space:  global
        .offset:         80
        .size:           8
        .value_kind:     global_buffer
      - .offset:         88
        .size:           4
        .value_kind:     by_value
      - .offset:         92
        .size:           4
        .value_kind:     by_value
      - .offset:         96
        .size:           4
        .value_kind:     by_value
      - .offset:         100
        .size:           4
        .value_kind:     by_value
      - .offset:         104
        .size:           4
        .value_kind:     by_value
      - .offset:         112
        .size:           8
        .value_kind:     by_value
      - .offset:         120
        .size:           8
        .value_kind:     by_value
      - .offset:         128
        .size:           8
        .value_kind:     by_value
    .group_segment_fixed_size: 65536
    .kernarg_segment_align: 8
    .kernarg_segment_size: 136
    .language:       OpenCL C
    .language_version:
      - 2
      - 0
    .max_flat_workgroup_size: 256
    .name:           _ZN12_GLOBAL__N_139chunk_gated_delta_rule_fwd_h_hip_kernelILi64ELb1ELb0ELb0ELb0ELb1ELb0ELb0ELb1EEEvPK12hip_bfloat16S3_S3_PKfS5_PKvPS1_S8_PvPKiSB_iiiiilll
    .private_segment_fixed_size: 0
    .sgpr_count:     72
    .sgpr_spill_count: 0
    .symbol:         _ZN12_GLOBAL__N_139chunk_gated_delta_rule_fwd_h_hip_kernelILi64ELb1ELb0ELb0ELb0ELb1ELb0ELb0ELb1EEEvPK12hip_bfloat16S3_S3_PKfS5_PKvPS1_S8_PvPKiSB_iiiiilll.kd
    .uniform_work_group_size: 1
    .uses_dynamic_stack: false
    .vgpr_count:     216
    .vgpr_spill_count: 0
    .wavefront_size: 64
  - .agpr_count:     36
    .args:
      - .actual_access:  read_only
        .address_space:  global
        .offset:         0
        .size:           8
        .value_kind:     global_buffer
      - .actual_access:  read_only
        .address_space:  global
        .offset:         8
        .size:           8
        .value_kind:     global_buffer
      - .actual_access:  read_only
        .address_space:  global
        .offset:         16
        .size:           8
        .value_kind:     global_buffer
      - .actual_access:  read_only
        .address_space:  global
        .offset:         24
        .size:           8
        .value_kind:     global_buffer
      - .actual_access:  read_only
        .address_space:  global
        .offset:         32
        .size:           8
        .value_kind:     global_buffer
      - .actual_access:  read_only
        .address_space:  global
        .offset:         40
        .size:           8
        .value_kind:     global_buffer
      - .actual_access:  write_only
        .address_space:  global
        .offset:         48
        .size:           8
        .value_kind:     global_buffer
      - .actual_access:  write_only
        .address_space:  global
        .offset:         56
        .size:           8
        .value_kind:     global_buffer
      - .actual_access:  write_only
        .address_space:  global
        .offset:         64
        .size:           8
        .value_kind:     global_buffer
      - .actual_access:  read_only
        .address_space:  global
        .offset:         72
        .size:           8
        .value_kind:     global_buffer
      - .actual_access:  read_only
        .address_space:  global
        .offset:         80
        .size:           8
        .value_kind:     global_buffer
      - .offset:         88
        .size:           4
        .value_kind:     by_value
      - .offset:         92
        .size:           4
        .value_kind:     by_value
      - .offset:         96
        .size:           4
        .value_kind:     by_value
      - .offset:         100
        .size:           4
        .value_kind:     by_value
      - .offset:         104
        .size:           4
        .value_kind:     by_value
      - .offset:         112
        .size:           8
        .value_kind:     by_value
      - .offset:         120
        .size:           8
        .value_kind:     by_value
      - .offset:         128
        .size:           8
        .value_kind:     by_value
    .group_segment_fixed_size: 65536
    .kernarg_segment_align: 8
    .kernarg_segment_size: 136
    .language:       OpenCL C
    .language_version:
      - 2
      - 0
    .max_flat_workgroup_size: 256
    .name:           _ZN12_GLOBAL__N_139chunk_gated_delta_rule_fwd_h_hip_kernelILi64ELb0ELb1ELb1ELb0ELb1ELb0ELb0ELb1EEEvPK12hip_bfloat16S3_S3_PKfS5_PKvPS1_S8_PvPKiSB_iiiiilll
    .private_segment_fixed_size: 0
    .sgpr_count:     73
    .sgpr_spill_count: 0
    .symbol:         _ZN12_GLOBAL__N_139chunk_gated_delta_rule_fwd_h_hip_kernelILi64ELb0ELb1ELb1ELb0ELb1ELb0ELb0ELb1EEEvPK12hip_bfloat16S3_S3_PKfS5_PKvPS1_S8_PvPKiSB_iiiiilll.kd
    .uniform_work_group_size: 1
    .uses_dynamic_stack: false
    .vgpr_count:     216
    .vgpr_spill_count: 0
    .wavefront_size: 64
  - .agpr_count:     36
    .args:
      - .actual_access:  read_only
        .address_space:  global
        .offset:         0
        .size:           8
        .value_kind:     global_buffer
      - .actual_access:  read_only
        .address_space:  global
        .offset:         8
        .size:           8
        .value_kind:     global_buffer
      - .actual_access:  read_only
        .address_space:  global
        .offset:         16
        .size:           8
        .value_kind:     global_buffer
      - .actual_access:  read_only
        .address_space:  global
        .offset:         24
        .size:           8
        .value_kind:     global_buffer
      - .actual_access:  read_only
        .address_space:  global
        .offset:         32
        .size:           8
        .value_kind:     global_buffer
      - .actual_access:  read_only
        .address_space:  global
        .offset:         40
        .size:           8
        .value_kind:     global_buffer
      - .actual_access:  write_only
        .address_space:  global
        .offset:         48
        .size:           8
        .value_kind:     global_buffer
      - .actual_access:  read_only
        .address_space:  global
        .offset:         56
        .size:           8
        .value_kind:     global_buffer
      - .actual_access:  write_only
        .address_space:  global
        .offset:         64
        .size:           8
        .value_kind:     global_buffer
      - .actual_access:  read_only
        .address_space:  global
        .offset:         72
        .size:           8
        .value_kind:     global_buffer
      - .actual_access:  read_only
        .address_space:  global
        .offset:         80
        .size:           8
        .value_kind:     global_buffer
      - .offset:         88
        .size:           4
        .value_kind:     by_value
      - .offset:         92
        .size:           4
        .value_kind:     by_value
      - .offset:         96
        .size:           4
        .value_kind:     by_value
      - .offset:         100
        .size:           4
        .value_kind:     by_value
      - .offset:         104
        .size:           4
        .value_kind:     by_value
      - .offset:         112
        .size:           8
        .value_kind:     by_value
      - .offset:         120
        .size:           8
        .value_kind:     by_value
      - .offset:         128
        .size:           8
        .value_kind:     by_value
    .group_segment_fixed_size: 65536
    .kernarg_segment_align: 8
    .kernarg_segment_size: 136
    .language:       OpenCL C
    .language_version:
      - 2
      - 0
    .max_flat_workgroup_size: 256
    .name:           _ZN12_GLOBAL__N_139chunk_gated_delta_rule_fwd_h_hip_kernelILi64ELb0ELb1ELb0ELb0ELb1ELb0ELb0ELb1EEEvPK12hip_bfloat16S3_S3_PKfS5_PKvPS1_S8_PvPKiSB_iiiiilll
    .private_segment_fixed_size: 0
    .sgpr_count:     71
    .sgpr_spill_count: 0
    .symbol:         _ZN12_GLOBAL__N_139chunk_gated_delta_rule_fwd_h_hip_kernelILi64ELb0ELb1ELb0ELb0ELb1ELb0ELb0ELb1EEEvPK12hip_bfloat16S3_S3_PKfS5_PKvPS1_S8_PvPKiSB_iiiiilll.kd
    .uniform_work_group_size: 1
    .uses_dynamic_stack: false
    .vgpr_count:     216
    .vgpr_spill_count: 0
    .wavefront_size: 64
  - .agpr_count:     36
    .args:
      - .actual_access:  read_only
        .address_space:  global
        .offset:         0
        .size:           8
        .value_kind:     global_buffer
      - .actual_access:  read_only
        .address_space:  global
        .offset:         8
        .size:           8
        .value_kind:     global_buffer
      - .actual_access:  read_only
        .address_space:  global
        .offset:         16
        .size:           8
        .value_kind:     global_buffer
      - .actual_access:  read_only
        .address_space:  global
        .offset:         24
        .size:           8
        .value_kind:     global_buffer
      - .actual_access:  read_only
        .address_space:  global
        .offset:         32
        .size:           8
        .value_kind:     global_buffer
      - .actual_access:  read_only
        .address_space:  global
        .offset:         40
        .size:           8
        .value_kind:     global_buffer
      - .actual_access:  write_only
        .address_space:  global
        .offset:         48
        .size:           8
        .value_kind:     global_buffer
      - .actual_access:  write_only
        .address_space:  global
        .offset:         56
        .size:           8
        .value_kind:     global_buffer
      - .actual_access:  read_only
        .address_space:  global
        .offset:         64
        .size:           8
        .value_kind:     global_buffer
      - .actual_access:  read_only
        .address_space:  global
        .offset:         72
        .size:           8
        .value_kind:     global_buffer
      - .actual_access:  read_only
        .address_space:  global
        .offset:         80
        .size:           8
        .value_kind:     global_buffer
      - .offset:         88
        .size:           4
        .value_kind:     by_value
      - .offset:         92
        .size:           4
        .value_kind:     by_value
      - .offset:         96
        .size:           4
        .value_kind:     by_value
      - .offset:         100
        .size:           4
        .value_kind:     by_value
      - .offset:         104
        .size:           4
        .value_kind:     by_value
      - .offset:         112
        .size:           8
        .value_kind:     by_value
      - .offset:         120
        .size:           8
        .value_kind:     by_value
      - .offset:         128
        .size:           8
        .value_kind:     by_value
    .group_segment_fixed_size: 65536
    .kernarg_segment_align: 8
    .kernarg_segment_size: 136
    .language:       OpenCL C
    .language_version:
      - 2
      - 0
    .max_flat_workgroup_size: 256
    .name:           _ZN12_GLOBAL__N_139chunk_gated_delta_rule_fwd_h_hip_kernelILi64ELb0ELb0ELb1ELb0ELb1ELb0ELb0ELb1EEEvPK12hip_bfloat16S3_S3_PKfS5_PKvPS1_S8_PvPKiSB_iiiiilll
    .private_segment_fixed_size: 0
    .sgpr_count:     71
    .sgpr_spill_count: 0
    .symbol:         _ZN12_GLOBAL__N_139chunk_gated_delta_rule_fwd_h_hip_kernelILi64ELb0ELb0ELb1ELb0ELb1ELb0ELb0ELb1EEEvPK12hip_bfloat16S3_S3_PKfS5_PKvPS1_S8_PvPKiSB_iiiiilll.kd
    .uniform_work_group_size: 1
    .uses_dynamic_stack: false
    .vgpr_count:     216
    .vgpr_spill_count: 0
    .wavefront_size: 64
  - .agpr_count:     36
    .args:
      - .actual_access:  read_only
        .address_space:  global
        .offset:         0
        .size:           8
        .value_kind:     global_buffer
      - .actual_access:  read_only
        .address_space:  global
        .offset:         8
        .size:           8
        .value_kind:     global_buffer
      - .actual_access:  read_only
        .address_space:  global
        .offset:         16
        .size:           8
        .value_kind:     global_buffer
      - .actual_access:  read_only
        .address_space:  global
        .offset:         24
        .size:           8
        .value_kind:     global_buffer
      - .actual_access:  read_only
        .address_space:  global
        .offset:         32
        .size:           8
        .value_kind:     global_buffer
      - .actual_access:  read_only
        .address_space:  global
        .offset:         40
        .size:           8
        .value_kind:     global_buffer
      - .actual_access:  write_only
        .address_space:  global
        .offset:         48
        .size:           8
        .value_kind:     global_buffer
      - .actual_access:  read_only
        .address_space:  global
        .offset:         56
        .size:           8
        .value_kind:     global_buffer
      - .actual_access:  read_only
        .address_space:  global
        .offset:         64
        .size:           8
        .value_kind:     global_buffer
      - .actual_access:  read_only
        .address_space:  global
        .offset:         72
        .size:           8
        .value_kind:     global_buffer
      - .actual_access:  read_only
        .address_space:  global
        .offset:         80
        .size:           8
        .value_kind:     global_buffer
      - .offset:         88
        .size:           4
        .value_kind:     by_value
      - .offset:         92
        .size:           4
        .value_kind:     by_value
      - .offset:         96
        .size:           4
        .value_kind:     by_value
      - .offset:         100
        .size:           4
        .value_kind:     by_value
      - .offset:         104
        .size:           4
        .value_kind:     by_value
      - .offset:         112
        .size:           8
        .value_kind:     by_value
      - .offset:         120
        .size:           8
        .value_kind:     by_value
      - .offset:         128
        .size:           8
        .value_kind:     by_value
    .group_segment_fixed_size: 65536
    .kernarg_segment_align: 8
    .kernarg_segment_size: 136
    .language:       OpenCL C
    .language_version:
      - 2
      - 0
    .max_flat_workgroup_size: 256
    .name:           _ZN12_GLOBAL__N_139chunk_gated_delta_rule_fwd_h_hip_kernelILi64ELb0ELb0ELb0ELb0ELb1ELb0ELb0ELb1EEEvPK12hip_bfloat16S3_S3_PKfS5_PKvPS1_S8_PvPKiSB_iiiiilll
    .private_segment_fixed_size: 0
    .sgpr_count:     69
    .sgpr_spill_count: 0
    .symbol:         _ZN12_GLOBAL__N_139chunk_gated_delta_rule_fwd_h_hip_kernelILi64ELb0ELb0ELb0ELb0ELb1ELb0ELb0ELb1EEEvPK12hip_bfloat16S3_S3_PKfS5_PKvPS1_S8_PvPKiSB_iiiiilll.kd
    .uniform_work_group_size: 1
    .uses_dynamic_stack: false
    .vgpr_count:     216
    .vgpr_spill_count: 0
    .wavefront_size: 64
  - .agpr_count:     40
    .args:
      - .actual_access:  read_only
        .address_space:  global
        .offset:         0
        .size:           8
        .value_kind:     global_buffer
      - .actual_access:  read_only
        .address_space:  global
        .offset:         8
        .size:           8
        .value_kind:     global_buffer
      - .actual_access:  read_only
        .address_space:  global
        .offset:         16
        .size:           8
        .value_kind:     global_buffer
      - .actual_access:  read_only
        .address_space:  global
        .offset:         24
        .size:           8
        .value_kind:     global_buffer
      - .actual_access:  read_only
        .address_space:  global
        .offset:         32
        .size:           8
        .value_kind:     global_buffer
      - .actual_access:  read_only
        .address_space:  global
        .offset:         40
        .size:           8
        .value_kind:     global_buffer
      - .actual_access:  write_only
        .address_space:  global
        .offset:         48
        .size:           8
        .value_kind:     global_buffer
      - .actual_access:  write_only
        .address_space:  global
        .offset:         56
        .size:           8
        .value_kind:     global_buffer
      - .actual_access:  write_only
        .address_space:  global
        .offset:         64
        .size:           8
        .value_kind:     global_buffer
      - .actual_access:  read_only
        .address_space:  global
        .offset:         72
        .size:           8
        .value_kind:     global_buffer
      - .actual_access:  read_only
        .address_space:  global
        .offset:         80
        .size:           8
        .value_kind:     global_buffer
      - .offset:         88
        .size:           4
        .value_kind:     by_value
      - .offset:         92
        .size:           4
        .value_kind:     by_value
      - .offset:         96
        .size:           4
        .value_kind:     by_value
      - .offset:         100
        .size:           4
        .value_kind:     by_value
      - .offset:         104
        .size:           4
        .value_kind:     by_value
      - .offset:         112
        .size:           8
        .value_kind:     by_value
      - .offset:         120
        .size:           8
        .value_kind:     by_value
      - .offset:         128
        .size:           8
        .value_kind:     by_value
    .group_segment_fixed_size: 65536
    .kernarg_segment_align: 8
    .kernarg_segment_size: 136
    .language:       OpenCL C
    .language_version:
      - 2
      - 0
    .max_flat_workgroup_size: 256
    .name:           _ZN12_GLOBAL__N_139chunk_gated_delta_rule_fwd_h_hip_kernelILi64ELb1ELb1ELb1ELb1ELb0ELb1ELb1ELb1EEEvPK12hip_bfloat16S3_S3_PKfS5_PKvPS1_S8_PvPKiSB_iiiiilll
    .private_segment_fixed_size: 0
    .sgpr_count:     75
    .sgpr_spill_count: 0
    .symbol:         _ZN12_GLOBAL__N_139chunk_gated_delta_rule_fwd_h_hip_kernelILi64ELb1ELb1ELb1ELb1ELb0ELb1ELb1ELb1EEEvPK12hip_bfloat16S3_S3_PKfS5_PKvPS1_S8_PvPKiSB_iiiiilll.kd
    .uniform_work_group_size: 1
    .uses_dynamic_stack: false
    .vgpr_count:     240
    .vgpr_spill_count: 0
    .wavefront_size: 64
  - .agpr_count:     40
    .args:
      - .actual_access:  read_only
        .address_space:  global
        .offset:         0
        .size:           8
        .value_kind:     global_buffer
      - .actual_access:  read_only
        .address_space:  global
        .offset:         8
        .size:           8
        .value_kind:     global_buffer
      - .actual_access:  read_only
        .address_space:  global
        .offset:         16
        .size:           8
        .value_kind:     global_buffer
      - .actual_access:  read_only
        .address_space:  global
        .offset:         24
        .size:           8
        .value_kind:     global_buffer
      - .actual_access:  read_only
        .address_space:  global
        .offset:         32
        .size:           8
        .value_kind:     global_buffer
      - .actual_access:  read_only
        .address_space:  global
        .offset:         40
        .size:           8
        .value_kind:     global_buffer
      - .actual_access:  write_only
        .address_space:  global
        .offset:         48
        .size:           8
        .value_kind:     global_buffer
      - .actual_access:  read_only
        .address_space:  global
        .offset:         56
        .size:           8
        .value_kind:     global_buffer
      - .actual_access:  write_only
        .address_space:  global
        .offset:         64
        .size:           8
        .value_kind:     global_buffer
      - .actual_access:  read_only
        .address_space:  global
        .offset:         72
        .size:           8
        .value_kind:     global_buffer
      - .actual_access:  read_only
        .address_space:  global
        .offset:         80
        .size:           8
        .value_kind:     global_buffer
      - .offset:         88
        .size:           4
        .value_kind:     by_value
      - .offset:         92
        .size:           4
        .value_kind:     by_value
      - .offset:         96
        .size:           4
        .value_kind:     by_value
      - .offset:         100
        .size:           4
        .value_kind:     by_value
      - .offset:         104
        .size:           4
        .value_kind:     by_value
      - .offset:         112
        .size:           8
        .value_kind:     by_value
      - .offset:         120
        .size:           8
        .value_kind:     by_value
      - .offset:         128
        .size:           8
        .value_kind:     by_value
    .group_segment_fixed_size: 65536
    .kernarg_segment_align: 8
    .kernarg_segment_size: 136
    .language:       OpenCL C
    .language_version:
      - 2
      - 0
    .max_flat_workgroup_size: 256
    .name:           _ZN12_GLOBAL__N_139chunk_gated_delta_rule_fwd_h_hip_kernelILi64ELb1ELb1ELb0ELb1ELb0ELb1ELb1ELb1EEEvPK12hip_bfloat16S3_S3_PKfS5_PKvPS1_S8_PvPKiSB_iiiiilll
    .private_segment_fixed_size: 0
    .sgpr_count:     73
    .sgpr_spill_count: 0
    .symbol:         _ZN12_GLOBAL__N_139chunk_gated_delta_rule_fwd_h_hip_kernelILi64ELb1ELb1ELb0ELb1ELb0ELb1ELb1ELb1EEEvPK12hip_bfloat16S3_S3_PKfS5_PKvPS1_S8_PvPKiSB_iiiiilll.kd
    .uniform_work_group_size: 1
    .uses_dynamic_stack: false
    .vgpr_count:     240
    .vgpr_spill_count: 0
    .wavefront_size: 64
  - .agpr_count:     40
    .args:
      - .actual_access:  read_only
        .address_space:  global
        .offset:         0
        .size:           8
        .value_kind:     global_buffer
      - .actual_access:  read_only
        .address_space:  global
        .offset:         8
        .size:           8
        .value_kind:     global_buffer
      - .actual_access:  read_only
        .address_space:  global
        .offset:         16
        .size:           8
        .value_kind:     global_buffer
      - .actual_access:  read_only
        .address_space:  global
        .offset:         24
        .size:           8
        .value_kind:     global_buffer
      - .actual_access:  read_only
        .address_space:  global
        .offset:         32
        .size:           8
        .value_kind:     global_buffer
      - .actual_access:  read_only
        .address_space:  global
        .offset:         40
        .size:           8
        .value_kind:     global_buffer
      - .actual_access:  write_only
        .address_space:  global
        .offset:         48
        .size:           8
        .value_kind:     global_buffer
      - .actual_access:  write_only
        .address_space:  global
        .offset:         56
        .size:           8
        .value_kind:     global_buffer
      - .actual_access:  read_only
        .address_space:  global
        .offset:         64
        .size:           8
        .value_kind:     global_buffer
      - .actual_access:  read_only
        .address_space:  global
        .offset:         72
        .size:           8
        .value_kind:     global_buffer
      - .actual_access:  read_only
        .address_space:  global
        .offset:         80
        .size:           8
        .value_kind:     global_buffer
      - .offset:         88
        .size:           4
        .value_kind:     by_value
      - .offset:         92
        .size:           4
        .value_kind:     by_value
      - .offset:         96
        .size:           4
        .value_kind:     by_value
      - .offset:         100
        .size:           4
        .value_kind:     by_value
      - .offset:         104
        .size:           4
        .value_kind:     by_value
      - .offset:         112
        .size:           8
        .value_kind:     by_value
      - .offset:         120
        .size:           8
        .value_kind:     by_value
      - .offset:         128
        .size:           8
        .value_kind:     by_value
    .group_segment_fixed_size: 65536
    .kernarg_segment_align: 8
    .kernarg_segment_size: 136
    .language:       OpenCL C
    .language_version:
      - 2
      - 0
    .max_flat_workgroup_size: 256
    .name:           _ZN12_GLOBAL__N_139chunk_gated_delta_rule_fwd_h_hip_kernelILi64ELb1ELb0ELb1ELb1ELb0ELb1ELb1ELb1EEEvPK12hip_bfloat16S3_S3_PKfS5_PKvPS1_S8_PvPKiSB_iiiiilll
    .private_segment_fixed_size: 0
    .sgpr_count:     71
    .sgpr_spill_count: 0
    .symbol:         _ZN12_GLOBAL__N_139chunk_gated_delta_rule_fwd_h_hip_kernelILi64ELb1ELb0ELb1ELb1ELb0ELb1ELb1ELb1EEEvPK12hip_bfloat16S3_S3_PKfS5_PKvPS1_S8_PvPKiSB_iiiiilll.kd
    .uniform_work_group_size: 1
    .uses_dynamic_stack: false
    .vgpr_count:     232
    .vgpr_spill_count: 0
    .wavefront_size: 64
  - .agpr_count:     40
    .args:
      - .actual_access:  read_only
        .address_space:  global
        .offset:         0
        .size:           8
        .value_kind:     global_buffer
      - .actual_access:  read_only
        .address_space:  global
        .offset:         8
        .size:           8
        .value_kind:     global_buffer
      - .actual_access:  read_only
        .address_space:  global
        .offset:         16
        .size:           8
        .value_kind:     global_buffer
      - .actual_access:  read_only
        .address_space:  global
        .offset:         24
        .size:           8
        .value_kind:     global_buffer
      - .actual_access:  read_only
        .address_space:  global
        .offset:         32
        .size:           8
        .value_kind:     global_buffer
      - .actual_access:  read_only
        .address_space:  global
        .offset:         40
        .size:           8
        .value_kind:     global_buffer
      - .actual_access:  write_only
        .address_space:  global
        .offset:         48
        .size:           8
        .value_kind:     global_buffer
      - .actual_access:  read_only
        .address_space:  global
        .offset:         56
        .size:           8
        .value_kind:     global_buffer
      - .actual_access:  read_only
        .address_space:  global
        .offset:         64
        .size:           8
        .value_kind:     global_buffer
      - .actual_access:  read_only
        .address_space:  global
        .offset:         72
        .size:           8
        .value_kind:     global_buffer
      - .actual_access:  read_only
        .address_space:  global
        .offset:         80
        .size:           8
        .value_kind:     global_buffer
      - .offset:         88
        .size:           4
        .value_kind:     by_value
      - .offset:         92
        .size:           4
        .value_kind:     by_value
      - .offset:         96
        .size:           4
        .value_kind:     by_value
      - .offset:         100
        .size:           4
        .value_kind:     by_value
      - .offset:         104
        .size:           4
        .value_kind:     by_value
      - .offset:         112
        .size:           8
        .value_kind:     by_value
      - .offset:         120
        .size:           8
        .value_kind:     by_value
      - .offset:         128
        .size:           8
        .value_kind:     by_value
    .group_segment_fixed_size: 65536
    .kernarg_segment_align: 8
    .kernarg_segment_size: 136
    .language:       OpenCL C
    .language_version:
      - 2
      - 0
    .max_flat_workgroup_size: 256
    .name:           _ZN12_GLOBAL__N_139chunk_gated_delta_rule_fwd_h_hip_kernelILi64ELb1ELb0ELb0ELb1ELb0ELb1ELb1ELb1EEEvPK12hip_bfloat16S3_S3_PKfS5_PKvPS1_S8_PvPKiSB_iiiiilll
    .private_segment_fixed_size: 0
    .sgpr_count:     69
    .sgpr_spill_count: 0
    .symbol:         _ZN12_GLOBAL__N_139chunk_gated_delta_rule_fwd_h_hip_kernelILi64ELb1ELb0ELb0ELb1ELb0ELb1ELb1ELb1EEEvPK12hip_bfloat16S3_S3_PKfS5_PKvPS1_S8_PvPKiSB_iiiiilll.kd
    .uniform_work_group_size: 1
    .uses_dynamic_stack: false
    .vgpr_count:     232
    .vgpr_spill_count: 0
    .wavefront_size: 64
  - .agpr_count:     40
    .args:
      - .actual_access:  read_only
        .address_space:  global
        .offset:         0
        .size:           8
        .value_kind:     global_buffer
      - .actual_access:  read_only
        .address_space:  global
        .offset:         8
        .size:           8
        .value_kind:     global_buffer
      - .actual_access:  read_only
        .address_space:  global
        .offset:         16
        .size:           8
        .value_kind:     global_buffer
      - .actual_access:  read_only
        .address_space:  global
        .offset:         24
        .size:           8
        .value_kind:     global_buffer
      - .actual_access:  read_only
        .address_space:  global
        .offset:         32
        .size:           8
        .value_kind:     global_buffer
      - .actual_access:  read_only
        .address_space:  global
        .offset:         40
        .size:           8
        .value_kind:     global_buffer
      - .actual_access:  write_only
        .address_space:  global
        .offset:         48
        .size:           8
        .value_kind:     global_buffer
      - .actual_access:  write_only
        .address_space:  global
        .offset:         56
        .size:           8
        .value_kind:     global_buffer
      - .actual_access:  write_only
        .address_space:  global
        .offset:         64
        .size:           8
        .value_kind:     global_buffer
      - .actual_access:  read_only
        .address_space:  global
        .offset:         72
        .size:           8
        .value_kind:     global_buffer
      - .actual_access:  read_only
        .address_space:  global
        .offset:         80
        .size:           8
        .value_kind:     global_buffer
      - .offset:         88
        .size:           4
        .value_kind:     by_value
      - .offset:         92
        .size:           4
        .value_kind:     by_value
      - .offset:         96
        .size:           4
        .value_kind:     by_value
      - .offset:         100
        .size:           4
        .value_kind:     by_value
      - .offset:         104
        .size:           4
        .value_kind:     by_value
      - .offset:         112
        .size:           8
        .value_kind:     by_value
      - .offset:         120
        .size:           8
        .value_kind:     by_value
      - .offset:         128
        .size:           8
        .value_kind:     by_value
    .group_segment_fixed_size: 65536
    .kernarg_segment_align: 8
    .kernarg_segment_size: 136
    .language:       OpenCL C
    .language_version:
      - 2
      - 0
    .max_flat_workgroup_size: 256
    .name:           _ZN12_GLOBAL__N_139chunk_gated_delta_rule_fwd_h_hip_kernelILi64ELb0ELb1ELb1ELb1ELb0ELb1ELb1ELb1EEEvPK12hip_bfloat16S3_S3_PKfS5_PKvPS1_S8_PvPKiSB_iiiiilll
    .private_segment_fixed_size: 0
    .sgpr_count:     75
    .sgpr_spill_count: 0
    .symbol:         _ZN12_GLOBAL__N_139chunk_gated_delta_rule_fwd_h_hip_kernelILi64ELb0ELb1ELb1ELb1ELb0ELb1ELb1ELb1EEEvPK12hip_bfloat16S3_S3_PKfS5_PKvPS1_S8_PvPKiSB_iiiiilll.kd
    .uniform_work_group_size: 1
    .uses_dynamic_stack: false
    .vgpr_count:     232
    .vgpr_spill_count: 0
    .wavefront_size: 64
  - .agpr_count:     40
    .args:
      - .actual_access:  read_only
        .address_space:  global
        .offset:         0
        .size:           8
        .value_kind:     global_buffer
      - .actual_access:  read_only
        .address_space:  global
        .offset:         8
        .size:           8
        .value_kind:     global_buffer
      - .actual_access:  read_only
        .address_space:  global
        .offset:         16
        .size:           8
        .value_kind:     global_buffer
      - .actual_access:  read_only
        .address_space:  global
        .offset:         24
        .size:           8
        .value_kind:     global_buffer
      - .actual_access:  read_only
        .address_space:  global
        .offset:         32
        .size:           8
        .value_kind:     global_buffer
      - .actual_access:  read_only
        .address_space:  global
        .offset:         40
        .size:           8
        .value_kind:     global_buffer
      - .actual_access:  write_only
        .address_space:  global
        .offset:         48
        .size:           8
        .value_kind:     global_buffer
      - .actual_access:  read_only
        .address_space:  global
        .offset:         56
        .size:           8
        .value_kind:     global_buffer
      - .actual_access:  write_only
        .address_space:  global
        .offset:         64
        .size:           8
        .value_kind:     global_buffer
      - .actual_access:  read_only
        .address_space:  global
        .offset:         72
        .size:           8
        .value_kind:     global_buffer
      - .actual_access:  read_only
        .address_space:  global
        .offset:         80
        .size:           8
        .value_kind:     global_buffer
      - .offset:         88
        .size:           4
        .value_kind:     by_value
      - .offset:         92
        .size:           4
        .value_kind:     by_value
      - .offset:         96
        .size:           4
        .value_kind:     by_value
      - .offset:         100
        .size:           4
        .value_kind:     by_value
      - .offset:         104
        .size:           4
        .value_kind:     by_value
      - .offset:         112
        .size:           8
        .value_kind:     by_value
      - .offset:         120
        .size:           8
        .value_kind:     by_value
      - .offset:         128
        .size:           8
        .value_kind:     by_value
    .group_segment_fixed_size: 65536
    .kernarg_segment_align: 8
    .kernarg_segment_size: 136
    .language:       OpenCL C
    .language_version:
      - 2
      - 0
    .max_flat_workgroup_size: 256
    .name:           _ZN12_GLOBAL__N_139chunk_gated_delta_rule_fwd_h_hip_kernelILi64ELb0ELb1ELb0ELb1ELb0ELb1ELb1ELb1EEEvPK12hip_bfloat16S3_S3_PKfS5_PKvPS1_S8_PvPKiSB_iiiiilll
    .private_segment_fixed_size: 0
    .sgpr_count:     73
    .sgpr_spill_count: 0
    .symbol:         _ZN12_GLOBAL__N_139chunk_gated_delta_rule_fwd_h_hip_kernelILi64ELb0ELb1ELb0ELb1ELb0ELb1ELb1ELb1EEEvPK12hip_bfloat16S3_S3_PKfS5_PKvPS1_S8_PvPKiSB_iiiiilll.kd
    .uniform_work_group_size: 1
    .uses_dynamic_stack: false
    .vgpr_count:     232
    .vgpr_spill_count: 0
    .wavefront_size: 64
  - .agpr_count:     40
    .args:
      - .actual_access:  read_only
        .address_space:  global
        .offset:         0
        .size:           8
        .value_kind:     global_buffer
      - .actual_access:  read_only
        .address_space:  global
        .offset:         8
        .size:           8
        .value_kind:     global_buffer
      - .actual_access:  read_only
        .address_space:  global
        .offset:         16
        .size:           8
        .value_kind:     global_buffer
      - .actual_access:  read_only
        .address_space:  global
        .offset:         24
        .size:           8
        .value_kind:     global_buffer
      - .actual_access:  read_only
        .address_space:  global
        .offset:         32
        .size:           8
        .value_kind:     global_buffer
      - .actual_access:  read_only
        .address_space:  global
        .offset:         40
        .size:           8
        .value_kind:     global_buffer
      - .actual_access:  write_only
        .address_space:  global
        .offset:         48
        .size:           8
        .value_kind:     global_buffer
      - .actual_access:  write_only
        .address_space:  global
        .offset:         56
        .size:           8
        .value_kind:     global_buffer
      - .actual_access:  read_only
        .address_space:  global
        .offset:         64
        .size:           8
        .value_kind:     global_buffer
      - .actual_access:  read_only
        .address_space:  global
        .offset:         72
        .size:           8
        .value_kind:     global_buffer
      - .actual_access:  read_only
        .address_space:  global
        .offset:         80
        .size:           8
        .value_kind:     global_buffer
      - .offset:         88
        .size:           4
        .value_kind:     by_value
      - .offset:         92
        .size:           4
        .value_kind:     by_value
      - .offset:         96
        .size:           4
        .value_kind:     by_value
      - .offset:         100
        .size:           4
        .value_kind:     by_value
      - .offset:         104
        .size:           4
        .value_kind:     by_value
      - .offset:         112
        .size:           8
        .value_kind:     by_value
      - .offset:         120
        .size:           8
        .value_kind:     by_value
      - .offset:         128
        .size:           8
        .value_kind:     by_value
    .group_segment_fixed_size: 65536
    .kernarg_segment_align: 8
    .kernarg_segment_size: 136
    .language:       OpenCL C
    .language_version:
      - 2
      - 0
    .max_flat_workgroup_size: 256
    .name:           _ZN12_GLOBAL__N_139chunk_gated_delta_rule_fwd_h_hip_kernelILi64ELb0ELb0ELb1ELb1ELb0ELb1ELb1ELb1EEEvPK12hip_bfloat16S3_S3_PKfS5_PKvPS1_S8_PvPKiSB_iiiiilll
    .private_segment_fixed_size: 0
    .sgpr_count:     70
    .sgpr_spill_count: 0
    .symbol:         _ZN12_GLOBAL__N_139chunk_gated_delta_rule_fwd_h_hip_kernelILi64ELb0ELb0ELb1ELb1ELb0ELb1ELb1ELb1EEEvPK12hip_bfloat16S3_S3_PKfS5_PKvPS1_S8_PvPKiSB_iiiiilll.kd
    .uniform_work_group_size: 1
    .uses_dynamic_stack: false
    .vgpr_count:     232
    .vgpr_spill_count: 0
    .wavefront_size: 64
  - .agpr_count:     40
    .args:
      - .actual_access:  read_only
        .address_space:  global
        .offset:         0
        .size:           8
        .value_kind:     global_buffer
      - .actual_access:  read_only
        .address_space:  global
        .offset:         8
        .size:           8
        .value_kind:     global_buffer
      - .actual_access:  read_only
        .address_space:  global
        .offset:         16
        .size:           8
        .value_kind:     global_buffer
      - .actual_access:  read_only
        .address_space:  global
        .offset:         24
        .size:           8
        .value_kind:     global_buffer
      - .actual_access:  read_only
        .address_space:  global
        .offset:         32
        .size:           8
        .value_kind:     global_buffer
      - .actual_access:  read_only
        .address_space:  global
        .offset:         40
        .size:           8
        .value_kind:     global_buffer
      - .actual_access:  write_only
        .address_space:  global
        .offset:         48
        .size:           8
        .value_kind:     global_buffer
      - .actual_access:  read_only
        .address_space:  global
        .offset:         56
        .size:           8
        .value_kind:     global_buffer
      - .actual_access:  read_only
        .address_space:  global
        .offset:         64
        .size:           8
        .value_kind:     global_buffer
      - .actual_access:  read_only
        .address_space:  global
        .offset:         72
        .size:           8
        .value_kind:     global_buffer
      - .actual_access:  read_only
        .address_space:  global
        .offset:         80
        .size:           8
        .value_kind:     global_buffer
      - .offset:         88
        .size:           4
        .value_kind:     by_value
      - .offset:         92
        .size:           4
        .value_kind:     by_value
      - .offset:         96
        .size:           4
        .value_kind:     by_value
      - .offset:         100
        .size:           4
        .value_kind:     by_value
      - .offset:         104
        .size:           4
        .value_kind:     by_value
      - .offset:         112
        .size:           8
        .value_kind:     by_value
      - .offset:         120
        .size:           8
        .value_kind:     by_value
      - .offset:         128
        .size:           8
        .value_kind:     by_value
    .group_segment_fixed_size: 65536
    .kernarg_segment_align: 8
    .kernarg_segment_size: 136
    .language:       OpenCL C
    .language_version:
      - 2
      - 0
    .max_flat_workgroup_size: 256
    .name:           _ZN12_GLOBAL__N_139chunk_gated_delta_rule_fwd_h_hip_kernelILi64ELb0ELb0ELb0ELb1ELb0ELb1ELb1ELb1EEEvPK12hip_bfloat16S3_S3_PKfS5_PKvPS1_S8_PvPKiSB_iiiiilll
    .private_segment_fixed_size: 0
    .sgpr_count:     68
    .sgpr_spill_count: 0
    .symbol:         _ZN12_GLOBAL__N_139chunk_gated_delta_rule_fwd_h_hip_kernelILi64ELb0ELb0ELb0ELb1ELb0ELb1ELb1ELb1EEEvPK12hip_bfloat16S3_S3_PKfS5_PKvPS1_S8_PvPKiSB_iiiiilll.kd
    .uniform_work_group_size: 1
    .uses_dynamic_stack: false
    .vgpr_count:     232
    .vgpr_spill_count: 0
    .wavefront_size: 64
  - .agpr_count:     40
    .args:
      - .actual_access:  read_only
        .address_space:  global
        .offset:         0
        .size:           8
        .value_kind:     global_buffer
      - .actual_access:  read_only
        .address_space:  global
        .offset:         8
        .size:           8
        .value_kind:     global_buffer
      - .actual_access:  read_only
        .address_space:  global
        .offset:         16
        .size:           8
        .value_kind:     global_buffer
      - .actual_access:  read_only
        .address_space:  global
        .offset:         24
        .size:           8
        .value_kind:     global_buffer
      - .actual_access:  read_only
        .address_space:  global
        .offset:         32
        .size:           8
        .value_kind:     global_buffer
      - .actual_access:  read_only
        .address_space:  global
        .offset:         40
        .size:           8
        .value_kind:     global_buffer
      - .actual_access:  write_only
        .address_space:  global
        .offset:         48
        .size:           8
        .value_kind:     global_buffer
      - .actual_access:  write_only
        .address_space:  global
        .offset:         56
        .size:           8
        .value_kind:     global_buffer
      - .actual_access:  write_only
        .address_space:  global
        .offset:         64
        .size:           8
        .value_kind:     global_buffer
      - .actual_access:  read_only
        .address_space:  global
        .offset:         72
        .size:           8
        .value_kind:     global_buffer
      - .actual_access:  read_only
        .address_space:  global
        .offset:         80
        .size:           8
        .value_kind:     global_buffer
      - .offset:         88
        .size:           4
        .value_kind:     by_value
      - .offset:         92
        .size:           4
        .value_kind:     by_value
      - .offset:         96
        .size:           4
        .value_kind:     by_value
      - .offset:         100
        .size:           4
        .value_kind:     by_value
      - .offset:         104
        .size:           4
        .value_kind:     by_value
      - .offset:         112
        .size:           8
        .value_kind:     by_value
      - .offset:         120
        .size:           8
        .value_kind:     by_value
      - .offset:         128
        .size:           8
        .value_kind:     by_value
    .group_segment_fixed_size: 65536
    .kernarg_segment_align: 8
    .kernarg_segment_size: 136
    .language:       OpenCL C
    .language_version:
      - 2
      - 0
    .max_flat_workgroup_size: 256
    .name:           _ZN12_GLOBAL__N_139chunk_gated_delta_rule_fwd_h_hip_kernelILi64ELb1ELb1ELb1ELb0ELb0ELb1ELb1ELb1EEEvPK12hip_bfloat16S3_S3_PKfS5_PKvPS1_S8_PvPKiSB_iiiiilll
    .private_segment_fixed_size: 0
    .sgpr_count:     81
    .sgpr_spill_count: 0
    .symbol:         _ZN12_GLOBAL__N_139chunk_gated_delta_rule_fwd_h_hip_kernelILi64ELb1ELb1ELb1ELb0ELb0ELb1ELb1ELb1EEEvPK12hip_bfloat16S3_S3_PKfS5_PKvPS1_S8_PvPKiSB_iiiiilll.kd
    .uniform_work_group_size: 1
    .uses_dynamic_stack: false
    .vgpr_count:     240
    .vgpr_spill_count: 0
    .wavefront_size: 64
  - .agpr_count:     40
    .args:
      - .actual_access:  read_only
        .address_space:  global
        .offset:         0
        .size:           8
        .value_kind:     global_buffer
      - .actual_access:  read_only
        .address_space:  global
        .offset:         8
        .size:           8
        .value_kind:     global_buffer
      - .actual_access:  read_only
        .address_space:  global
        .offset:         16
        .size:           8
        .value_kind:     global_buffer
      - .actual_access:  read_only
        .address_space:  global
        .offset:         24
        .size:           8
        .value_kind:     global_buffer
      - .actual_access:  read_only
        .address_space:  global
        .offset:         32
        .size:           8
        .value_kind:     global_buffer
      - .actual_access:  read_only
        .address_space:  global
        .offset:         40
        .size:           8
        .value_kind:     global_buffer
      - .actual_access:  write_only
        .address_space:  global
        .offset:         48
        .size:           8
        .value_kind:     global_buffer
      - .actual_access:  read_only
        .address_space:  global
        .offset:         56
        .size:           8
        .value_kind:     global_buffer
      - .actual_access:  write_only
        .address_space:  global
        .offset:         64
        .size:           8
        .value_kind:     global_buffer
      - .actual_access:  read_only
        .address_space:  global
        .offset:         72
        .size:           8
        .value_kind:     global_buffer
      - .actual_access:  read_only
        .address_space:  global
        .offset:         80
        .size:           8
        .value_kind:     global_buffer
      - .offset:         88
        .size:           4
        .value_kind:     by_value
      - .offset:         92
        .size:           4
        .value_kind:     by_value
      - .offset:         96
        .size:           4
        .value_kind:     by_value
      - .offset:         100
        .size:           4
        .value_kind:     by_value
      - .offset:         104
        .size:           4
        .value_kind:     by_value
      - .offset:         112
        .size:           8
        .value_kind:     by_value
      - .offset:         120
        .size:           8
        .value_kind:     by_value
      - .offset:         128
        .size:           8
        .value_kind:     by_value
    .group_segment_fixed_size: 65536
    .kernarg_segment_align: 8
    .kernarg_segment_size: 136
    .language:       OpenCL C
    .language_version:
      - 2
      - 0
    .max_flat_workgroup_size: 256
    .name:           _ZN12_GLOBAL__N_139chunk_gated_delta_rule_fwd_h_hip_kernelILi64ELb1ELb1ELb0ELb0ELb0ELb1ELb1ELb1EEEvPK12hip_bfloat16S3_S3_PKfS5_PKvPS1_S8_PvPKiSB_iiiiilll
    .private_segment_fixed_size: 0
    .sgpr_count:     79
    .sgpr_spill_count: 0
    .symbol:         _ZN12_GLOBAL__N_139chunk_gated_delta_rule_fwd_h_hip_kernelILi64ELb1ELb1ELb0ELb0ELb0ELb1ELb1ELb1EEEvPK12hip_bfloat16S3_S3_PKfS5_PKvPS1_S8_PvPKiSB_iiiiilll.kd
    .uniform_work_group_size: 1
    .uses_dynamic_stack: false
    .vgpr_count:     240
    .vgpr_spill_count: 0
    .wavefront_size: 64
  - .agpr_count:     40
    .args:
      - .actual_access:  read_only
        .address_space:  global
        .offset:         0
        .size:           8
        .value_kind:     global_buffer
      - .actual_access:  read_only
        .address_space:  global
        .offset:         8
        .size:           8
        .value_kind:     global_buffer
      - .actual_access:  read_only
        .address_space:  global
        .offset:         16
        .size:           8
        .value_kind:     global_buffer
      - .actual_access:  read_only
        .address_space:  global
        .offset:         24
        .size:           8
        .value_kind:     global_buffer
      - .actual_access:  read_only
        .address_space:  global
        .offset:         32
        .size:           8
        .value_kind:     global_buffer
      - .actual_access:  read_only
        .address_space:  global
        .offset:         40
        .size:           8
        .value_kind:     global_buffer
      - .actual_access:  write_only
        .address_space:  global
        .offset:         48
        .size:           8
        .value_kind:     global_buffer
      - .actual_access:  write_only
        .address_space:  global
        .offset:         56
        .size:           8
        .value_kind:     global_buffer
      - .actual_access:  read_only
        .address_space:  global
        .offset:         64
        .size:           8
        .value_kind:     global_buffer
      - .actual_access:  read_only
        .address_space:  global
        .offset:         72
        .size:           8
        .value_kind:     global_buffer
      - .actual_access:  read_only
        .address_space:  global
        .offset:         80
        .size:           8
        .value_kind:     global_buffer
      - .offset:         88
        .size:           4
        .value_kind:     by_value
      - .offset:         92
        .size:           4
        .value_kind:     by_value
      - .offset:         96
        .size:           4
        .value_kind:     by_value
      - .offset:         100
        .size:           4
        .value_kind:     by_value
      - .offset:         104
        .size:           4
        .value_kind:     by_value
      - .offset:         112
        .size:           8
        .value_kind:     by_value
      - .offset:         120
        .size:           8
        .value_kind:     by_value
      - .offset:         128
        .size:           8
        .value_kind:     by_value
    .group_segment_fixed_size: 65536
    .kernarg_segment_align: 8
    .kernarg_segment_size: 136
    .language:       OpenCL C
    .language_version:
      - 2
      - 0
    .max_flat_workgroup_size: 256
    .name:           _ZN12_GLOBAL__N_139chunk_gated_delta_rule_fwd_h_hip_kernelILi64ELb1ELb0ELb1ELb0ELb0ELb1ELb1ELb1EEEvPK12hip_bfloat16S3_S3_PKfS5_PKvPS1_S8_PvPKiSB_iiiiilll
    .private_segment_fixed_size: 0
    .sgpr_count:     77
    .sgpr_spill_count: 0
    .symbol:         _ZN12_GLOBAL__N_139chunk_gated_delta_rule_fwd_h_hip_kernelILi64ELb1ELb0ELb1ELb0ELb0ELb1ELb1ELb1EEEvPK12hip_bfloat16S3_S3_PKfS5_PKvPS1_S8_PvPKiSB_iiiiilll.kd
    .uniform_work_group_size: 1
    .uses_dynamic_stack: false
    .vgpr_count:     232
    .vgpr_spill_count: 0
    .wavefront_size: 64
  - .agpr_count:     40
    .args:
      - .actual_access:  read_only
        .address_space:  global
        .offset:         0
        .size:           8
        .value_kind:     global_buffer
      - .actual_access:  read_only
        .address_space:  global
        .offset:         8
        .size:           8
        .value_kind:     global_buffer
      - .actual_access:  read_only
        .address_space:  global
        .offset:         16
        .size:           8
        .value_kind:     global_buffer
      - .actual_access:  read_only
        .address_space:  global
        .offset:         24
        .size:           8
        .value_kind:     global_buffer
      - .actual_access:  read_only
        .address_space:  global
        .offset:         32
        .size:           8
        .value_kind:     global_buffer
      - .actual_access:  read_only
        .address_space:  global
        .offset:         40
        .size:           8
        .value_kind:     global_buffer
      - .actual_access:  write_only
        .address_space:  global
        .offset:         48
        .size:           8
        .value_kind:     global_buffer
      - .actual_access:  read_only
        .address_space:  global
        .offset:         56
        .size:           8
        .value_kind:     global_buffer
      - .actual_access:  read_only
        .address_space:  global
        .offset:         64
        .size:           8
        .value_kind:     global_buffer
      - .actual_access:  read_only
        .address_space:  global
        .offset:         72
        .size:           8
        .value_kind:     global_buffer
      - .actual_access:  read_only
        .address_space:  global
        .offset:         80
        .size:           8
        .value_kind:     global_buffer
      - .offset:         88
        .size:           4
        .value_kind:     by_value
      - .offset:         92
        .size:           4
        .value_kind:     by_value
      - .offset:         96
        .size:           4
        .value_kind:     by_value
      - .offset:         100
        .size:           4
        .value_kind:     by_value
      - .offset:         104
        .size:           4
        .value_kind:     by_value
      - .offset:         112
        .size:           8
        .value_kind:     by_value
      - .offset:         120
        .size:           8
        .value_kind:     by_value
      - .offset:         128
        .size:           8
        .value_kind:     by_value
    .group_segment_fixed_size: 65536
    .kernarg_segment_align: 8
    .kernarg_segment_size: 136
    .language:       OpenCL C
    .language_version:
      - 2
      - 0
    .max_flat_workgroup_size: 256
    .name:           _ZN12_GLOBAL__N_139chunk_gated_delta_rule_fwd_h_hip_kernelILi64ELb1ELb0ELb0ELb0ELb0ELb1ELb1ELb1EEEvPK12hip_bfloat16S3_S3_PKfS5_PKvPS1_S8_PvPKiSB_iiiiilll
    .private_segment_fixed_size: 0
    .sgpr_count:     75
    .sgpr_spill_count: 0
    .symbol:         _ZN12_GLOBAL__N_139chunk_gated_delta_rule_fwd_h_hip_kernelILi64ELb1ELb0ELb0ELb0ELb0ELb1ELb1ELb1EEEvPK12hip_bfloat16S3_S3_PKfS5_PKvPS1_S8_PvPKiSB_iiiiilll.kd
    .uniform_work_group_size: 1
    .uses_dynamic_stack: false
    .vgpr_count:     232
    .vgpr_spill_count: 0
    .wavefront_size: 64
  - .agpr_count:     40
    .args:
      - .actual_access:  read_only
        .address_space:  global
        .offset:         0
        .size:           8
        .value_kind:     global_buffer
      - .actual_access:  read_only
        .address_space:  global
        .offset:         8
        .size:           8
        .value_kind:     global_buffer
      - .actual_access:  read_only
        .address_space:  global
        .offset:         16
        .size:           8
        .value_kind:     global_buffer
      - .actual_access:  read_only
        .address_space:  global
        .offset:         24
        .size:           8
        .value_kind:     global_buffer
      - .actual_access:  read_only
        .address_space:  global
        .offset:         32
        .size:           8
        .value_kind:     global_buffer
      - .actual_access:  read_only
        .address_space:  global
        .offset:         40
        .size:           8
        .value_kind:     global_buffer
      - .actual_access:  write_only
        .address_space:  global
        .offset:         48
        .size:           8
        .value_kind:     global_buffer
      - .actual_access:  write_only
        .address_space:  global
        .offset:         56
        .size:           8
        .value_kind:     global_buffer
      - .actual_access:  write_only
        .address_space:  global
        .offset:         64
        .size:           8
        .value_kind:     global_buffer
      - .actual_access:  read_only
        .address_space:  global
        .offset:         72
        .size:           8
        .value_kind:     global_buffer
      - .actual_access:  read_only
        .address_space:  global
        .offset:         80
        .size:           8
        .value_kind:     global_buffer
      - .offset:         88
        .size:           4
        .value_kind:     by_value
      - .offset:         92
        .size:           4
        .value_kind:     by_value
      - .offset:         96
        .size:           4
        .value_kind:     by_value
      - .offset:         100
        .size:           4
        .value_kind:     by_value
      - .offset:         104
        .size:           4
        .value_kind:     by_value
      - .offset:         112
        .size:           8
        .value_kind:     by_value
      - .offset:         120
        .size:           8
        .value_kind:     by_value
      - .offset:         128
        .size:           8
        .value_kind:     by_value
    .group_segment_fixed_size: 65536
    .kernarg_segment_align: 8
    .kernarg_segment_size: 136
    .language:       OpenCL C
    .language_version:
      - 2
      - 0
    .max_flat_workgroup_size: 256
    .name:           _ZN12_GLOBAL__N_139chunk_gated_delta_rule_fwd_h_hip_kernelILi64ELb0ELb1ELb1ELb0ELb0ELb1ELb1ELb1EEEvPK12hip_bfloat16S3_S3_PKfS5_PKvPS1_S8_PvPKiSB_iiiiilll
    .private_segment_fixed_size: 0
    .sgpr_count:     76
    .sgpr_spill_count: 0
    .symbol:         _ZN12_GLOBAL__N_139chunk_gated_delta_rule_fwd_h_hip_kernelILi64ELb0ELb1ELb1ELb0ELb0ELb1ELb1ELb1EEEvPK12hip_bfloat16S3_S3_PKfS5_PKvPS1_S8_PvPKiSB_iiiiilll.kd
    .uniform_work_group_size: 1
    .uses_dynamic_stack: false
    .vgpr_count:     232
    .vgpr_spill_count: 0
    .wavefront_size: 64
  - .agpr_count:     40
    .args:
      - .actual_access:  read_only
        .address_space:  global
        .offset:         0
        .size:           8
        .value_kind:     global_buffer
      - .actual_access:  read_only
        .address_space:  global
        .offset:         8
        .size:           8
        .value_kind:     global_buffer
      - .actual_access:  read_only
        .address_space:  global
        .offset:         16
        .size:           8
        .value_kind:     global_buffer
      - .actual_access:  read_only
        .address_space:  global
        .offset:         24
        .size:           8
        .value_kind:     global_buffer
      - .actual_access:  read_only
        .address_space:  global
        .offset:         32
        .size:           8
        .value_kind:     global_buffer
      - .actual_access:  read_only
        .address_space:  global
        .offset:         40
        .size:           8
        .value_kind:     global_buffer
      - .actual_access:  write_only
        .address_space:  global
        .offset:         48
        .size:           8
        .value_kind:     global_buffer
      - .actual_access:  read_only
        .address_space:  global
        .offset:         56
        .size:           8
        .value_kind:     global_buffer
      - .actual_access:  write_only
        .address_space:  global
        .offset:         64
        .size:           8
        .value_kind:     global_buffer
      - .actual_access:  read_only
        .address_space:  global
        .offset:         72
        .size:           8
        .value_kind:     global_buffer
      - .actual_access:  read_only
        .address_space:  global
        .offset:         80
        .size:           8
        .value_kind:     global_buffer
      - .offset:         88
        .size:           4
        .value_kind:     by_value
      - .offset:         92
        .size:           4
        .value_kind:     by_value
      - .offset:         96
        .size:           4
        .value_kind:     by_value
      - .offset:         100
        .size:           4
        .value_kind:     by_value
      - .offset:         104
        .size:           4
        .value_kind:     by_value
      - .offset:         112
        .size:           8
        .value_kind:     by_value
      - .offset:         120
        .size:           8
        .value_kind:     by_value
      - .offset:         128
        .size:           8
        .value_kind:     by_value
    .group_segment_fixed_size: 65536
    .kernarg_segment_align: 8
    .kernarg_segment_size: 136
    .language:       OpenCL C
    .language_version:
      - 2
      - 0
    .max_flat_workgroup_size: 256
    .name:           _ZN12_GLOBAL__N_139chunk_gated_delta_rule_fwd_h_hip_kernelILi64ELb0ELb1ELb0ELb0ELb0ELb1ELb1ELb1EEEvPK12hip_bfloat16S3_S3_PKfS5_PKvPS1_S8_PvPKiSB_iiiiilll
    .private_segment_fixed_size: 0
    .sgpr_count:     74
    .sgpr_spill_count: 0
    .symbol:         _ZN12_GLOBAL__N_139chunk_gated_delta_rule_fwd_h_hip_kernelILi64ELb0ELb1ELb0ELb0ELb0ELb1ELb1ELb1EEEvPK12hip_bfloat16S3_S3_PKfS5_PKvPS1_S8_PvPKiSB_iiiiilll.kd
    .uniform_work_group_size: 1
    .uses_dynamic_stack: false
    .vgpr_count:     232
    .vgpr_spill_count: 0
    .wavefront_size: 64
  - .agpr_count:     40
    .args:
      - .actual_access:  read_only
        .address_space:  global
        .offset:         0
        .size:           8
        .value_kind:     global_buffer
      - .actual_access:  read_only
        .address_space:  global
        .offset:         8
        .size:           8
        .value_kind:     global_buffer
      - .actual_access:  read_only
        .address_space:  global
        .offset:         16
        .size:           8
        .value_kind:     global_buffer
      - .actual_access:  read_only
        .address_space:  global
        .offset:         24
        .size:           8
        .value_kind:     global_buffer
      - .actual_access:  read_only
        .address_space:  global
        .offset:         32
        .size:           8
        .value_kind:     global_buffer
      - .actual_access:  read_only
        .address_space:  global
        .offset:         40
        .size:           8
        .value_kind:     global_buffer
      - .actual_access:  write_only
        .address_space:  global
        .offset:         48
        .size:           8
        .value_kind:     global_buffer
      - .actual_access:  write_only
        .address_space:  global
        .offset:         56
        .size:           8
        .value_kind:     global_buffer
      - .actual_access:  read_only
        .address_space:  global
        .offset:         64
        .size:           8
        .value_kind:     global_buffer
      - .actual_access:  read_only
        .address_space:  global
        .offset:         72
        .size:           8
        .value_kind:     global_buffer
      - .actual_access:  read_only
        .address_space:  global
        .offset:         80
        .size:           8
        .value_kind:     global_buffer
      - .offset:         88
        .size:           4
        .value_kind:     by_value
      - .offset:         92
        .size:           4
        .value_kind:     by_value
      - .offset:         96
        .size:           4
        .value_kind:     by_value
      - .offset:         100
        .size:           4
        .value_kind:     by_value
      - .offset:         104
        .size:           4
        .value_kind:     by_value
      - .offset:         112
        .size:           8
        .value_kind:     by_value
      - .offset:         120
        .size:           8
        .value_kind:     by_value
      - .offset:         128
        .size:           8
        .value_kind:     by_value
    .group_segment_fixed_size: 65536
    .kernarg_segment_align: 8
    .kernarg_segment_size: 136
    .language:       OpenCL C
    .language_version:
      - 2
      - 0
    .max_flat_workgroup_size: 256
    .name:           _ZN12_GLOBAL__N_139chunk_gated_delta_rule_fwd_h_hip_kernelILi64ELb0ELb0ELb1ELb0ELb0ELb1ELb1ELb1EEEvPK12hip_bfloat16S3_S3_PKfS5_PKvPS1_S8_PvPKiSB_iiiiilll
    .private_segment_fixed_size: 0
    .sgpr_count:     74
    .sgpr_spill_count: 0
    .symbol:         _ZN12_GLOBAL__N_139chunk_gated_delta_rule_fwd_h_hip_kernelILi64ELb0ELb0ELb1ELb0ELb0ELb1ELb1ELb1EEEvPK12hip_bfloat16S3_S3_PKfS5_PKvPS1_S8_PvPKiSB_iiiiilll.kd
    .uniform_work_group_size: 1
    .uses_dynamic_stack: false
    .vgpr_count:     232
    .vgpr_spill_count: 0
    .wavefront_size: 64
  - .agpr_count:     40
    .args:
      - .actual_access:  read_only
        .address_space:  global
        .offset:         0
        .size:           8
        .value_kind:     global_buffer
      - .actual_access:  read_only
        .address_space:  global
        .offset:         8
        .size:           8
        .value_kind:     global_buffer
      - .actual_access:  read_only
        .address_space:  global
        .offset:         16
        .size:           8
        .value_kind:     global_buffer
      - .actual_access:  read_only
        .address_space:  global
        .offset:         24
        .size:           8
        .value_kind:     global_buffer
      - .actual_access:  read_only
        .address_space:  global
        .offset:         32
        .size:           8
        .value_kind:     global_buffer
      - .actual_access:  read_only
        .address_space:  global
        .offset:         40
        .size:           8
        .value_kind:     global_buffer
      - .actual_access:  write_only
        .address_space:  global
        .offset:         48
        .size:           8
        .value_kind:     global_buffer
      - .actual_access:  read_only
        .address_space:  global
        .offset:         56
        .size:           8
        .value_kind:     global_buffer
      - .actual_access:  read_only
        .address_space:  global
        .offset:         64
        .size:           8
        .value_kind:     global_buffer
      - .actual_access:  read_only
        .address_space:  global
        .offset:         72
        .size:           8
        .value_kind:     global_buffer
      - .actual_access:  read_only
        .address_space:  global
        .offset:         80
        .size:           8
        .value_kind:     global_buffer
      - .offset:         88
        .size:           4
        .value_kind:     by_value
      - .offset:         92
        .size:           4
        .value_kind:     by_value
      - .offset:         96
        .size:           4
        .value_kind:     by_value
      - .offset:         100
        .size:           4
        .value_kind:     by_value
      - .offset:         104
        .size:           4
        .value_kind:     by_value
      - .offset:         112
        .size:           8
        .value_kind:     by_value
      - .offset:         120
        .size:           8
        .value_kind:     by_value
      - .offset:         128
        .size:           8
        .value_kind:     by_value
    .group_segment_fixed_size: 65536
    .kernarg_segment_align: 8
    .kernarg_segment_size: 136
    .language:       OpenCL C
    .language_version:
      - 2
      - 0
    .max_flat_workgroup_size: 256
    .name:           _ZN12_GLOBAL__N_139chunk_gated_delta_rule_fwd_h_hip_kernelILi64ELb0ELb0ELb0ELb0ELb0ELb1ELb1ELb1EEEvPK12hip_bfloat16S3_S3_PKfS5_PKvPS1_S8_PvPKiSB_iiiiilll
    .private_segment_fixed_size: 0
    .sgpr_count:     72
    .sgpr_spill_count: 0
    .symbol:         _ZN12_GLOBAL__N_139chunk_gated_delta_rule_fwd_h_hip_kernelILi64ELb0ELb0ELb0ELb0ELb0ELb1ELb1ELb1EEEvPK12hip_bfloat16S3_S3_PKfS5_PKvPS1_S8_PvPKiSB_iiiiilll.kd
    .uniform_work_group_size: 1
    .uses_dynamic_stack: false
    .vgpr_count:     232
    .vgpr_spill_count: 0
    .wavefront_size: 64
  - .agpr_count:     40
    .args:
      - .actual_access:  read_only
        .address_space:  global
        .offset:         0
        .size:           8
        .value_kind:     global_buffer
      - .actual_access:  read_only
        .address_space:  global
        .offset:         8
        .size:           8
        .value_kind:     global_buffer
      - .actual_access:  read_only
        .address_space:  global
        .offset:         16
        .size:           8
        .value_kind:     global_buffer
      - .actual_access:  read_only
        .address_space:  global
        .offset:         24
        .size:           8
        .value_kind:     global_buffer
      - .actual_access:  read_only
        .address_space:  global
        .offset:         32
        .size:           8
        .value_kind:     global_buffer
      - .actual_access:  read_only
        .address_space:  global
        .offset:         40
        .size:           8
        .value_kind:     global_buffer
      - .actual_access:  write_only
        .address_space:  global
        .offset:         48
        .size:           8
        .value_kind:     global_buffer
      - .actual_access:  write_only
        .address_space:  global
        .offset:         56
        .size:           8
        .value_kind:     global_buffer
      - .actual_access:  write_only
        .address_space:  global
        .offset:         64
        .size:           8
        .value_kind:     global_buffer
      - .actual_access:  read_only
        .address_space:  global
        .offset:         72
        .size:           8
        .value_kind:     global_buffer
      - .actual_access:  read_only
        .address_space:  global
        .offset:         80
        .size:           8
        .value_kind:     global_buffer
      - .offset:         88
        .size:           4
        .value_kind:     by_value
      - .offset:         92
        .size:           4
        .value_kind:     by_value
      - .offset:         96
        .size:           4
        .value_kind:     by_value
      - .offset:         100
        .size:           4
        .value_kind:     by_value
      - .offset:         104
        .size:           4
        .value_kind:     by_value
      - .offset:         112
        .size:           8
        .value_kind:     by_value
      - .offset:         120
        .size:           8
        .value_kind:     by_value
      - .offset:         128
        .size:           8
        .value_kind:     by_value
    .group_segment_fixed_size: 65536
    .kernarg_segment_align: 8
    .kernarg_segment_size: 136
    .language:       OpenCL C
    .language_version:
      - 2
      - 0
    .max_flat_workgroup_size: 256
    .name:           _ZN12_GLOBAL__N_139chunk_gated_delta_rule_fwd_h_hip_kernelILi64ELb1ELb1ELb1ELb1ELb0ELb1ELb0ELb1EEEvPK12hip_bfloat16S3_S3_PKfS5_PKvPS1_S8_PvPKiSB_iiiiilll
    .private_segment_fixed_size: 0
    .sgpr_count:     75
    .sgpr_spill_count: 0
    .symbol:         _ZN12_GLOBAL__N_139chunk_gated_delta_rule_fwd_h_hip_kernelILi64ELb1ELb1ELb1ELb1ELb0ELb1ELb0ELb1EEEvPK12hip_bfloat16S3_S3_PKfS5_PKvPS1_S8_PvPKiSB_iiiiilll.kd
    .uniform_work_group_size: 1
    .uses_dynamic_stack: false
    .vgpr_count:     240
    .vgpr_spill_count: 0
    .wavefront_size: 64
  - .agpr_count:     40
    .args:
      - .actual_access:  read_only
        .address_space:  global
        .offset:         0
        .size:           8
        .value_kind:     global_buffer
      - .actual_access:  read_only
        .address_space:  global
        .offset:         8
        .size:           8
        .value_kind:     global_buffer
      - .actual_access:  read_only
        .address_space:  global
        .offset:         16
        .size:           8
        .value_kind:     global_buffer
      - .actual_access:  read_only
        .address_space:  global
        .offset:         24
        .size:           8
        .value_kind:     global_buffer
      - .actual_access:  read_only
        .address_space:  global
        .offset:         32
        .size:           8
        .value_kind:     global_buffer
      - .actual_access:  read_only
        .address_space:  global
        .offset:         40
        .size:           8
        .value_kind:     global_buffer
      - .actual_access:  write_only
        .address_space:  global
        .offset:         48
        .size:           8
        .value_kind:     global_buffer
      - .actual_access:  read_only
        .address_space:  global
        .offset:         56
        .size:           8
        .value_kind:     global_buffer
      - .actual_access:  write_only
        .address_space:  global
        .offset:         64
        .size:           8
        .value_kind:     global_buffer
      - .actual_access:  read_only
        .address_space:  global
        .offset:         72
        .size:           8
        .value_kind:     global_buffer
      - .actual_access:  read_only
        .address_space:  global
        .offset:         80
        .size:           8
        .value_kind:     global_buffer
      - .offset:         88
        .size:           4
        .value_kind:     by_value
      - .offset:         92
        .size:           4
        .value_kind:     by_value
      - .offset:         96
        .size:           4
        .value_kind:     by_value
      - .offset:         100
        .size:           4
        .value_kind:     by_value
      - .offset:         104
        .size:           4
        .value_kind:     by_value
      - .offset:         112
        .size:           8
        .value_kind:     by_value
      - .offset:         120
        .size:           8
        .value_kind:     by_value
      - .offset:         128
        .size:           8
        .value_kind:     by_value
    .group_segment_fixed_size: 65536
    .kernarg_segment_align: 8
    .kernarg_segment_size: 136
    .language:       OpenCL C
    .language_version:
      - 2
      - 0
    .max_flat_workgroup_size: 256
    .name:           _ZN12_GLOBAL__N_139chunk_gated_delta_rule_fwd_h_hip_kernelILi64ELb1ELb1ELb0ELb1ELb0ELb1ELb0ELb1EEEvPK12hip_bfloat16S3_S3_PKfS5_PKvPS1_S8_PvPKiSB_iiiiilll
    .private_segment_fixed_size: 0
    .sgpr_count:     73
    .sgpr_spill_count: 0
    .symbol:         _ZN12_GLOBAL__N_139chunk_gated_delta_rule_fwd_h_hip_kernelILi64ELb1ELb1ELb0ELb1ELb0ELb1ELb0ELb1EEEvPK12hip_bfloat16S3_S3_PKfS5_PKvPS1_S8_PvPKiSB_iiiiilll.kd
    .uniform_work_group_size: 1
    .uses_dynamic_stack: false
    .vgpr_count:     240
    .vgpr_spill_count: 0
    .wavefront_size: 64
  - .agpr_count:     40
    .args:
      - .actual_access:  read_only
        .address_space:  global
        .offset:         0
        .size:           8
        .value_kind:     global_buffer
      - .actual_access:  read_only
        .address_space:  global
        .offset:         8
        .size:           8
        .value_kind:     global_buffer
      - .actual_access:  read_only
        .address_space:  global
        .offset:         16
        .size:           8
        .value_kind:     global_buffer
      - .actual_access:  read_only
        .address_space:  global
        .offset:         24
        .size:           8
        .value_kind:     global_buffer
      - .actual_access:  read_only
        .address_space:  global
        .offset:         32
        .size:           8
        .value_kind:     global_buffer
      - .actual_access:  read_only
        .address_space:  global
        .offset:         40
        .size:           8
        .value_kind:     global_buffer
      - .actual_access:  write_only
        .address_space:  global
        .offset:         48
        .size:           8
        .value_kind:     global_buffer
      - .actual_access:  write_only
        .address_space:  global
        .offset:         56
        .size:           8
        .value_kind:     global_buffer
      - .actual_access:  read_only
        .address_space:  global
        .offset:         64
        .size:           8
        .value_kind:     global_buffer
      - .actual_access:  read_only
        .address_space:  global
        .offset:         72
        .size:           8
        .value_kind:     global_buffer
      - .actual_access:  read_only
        .address_space:  global
        .offset:         80
        .size:           8
        .value_kind:     global_buffer
      - .offset:         88
        .size:           4
        .value_kind:     by_value
      - .offset:         92
        .size:           4
        .value_kind:     by_value
      - .offset:         96
        .size:           4
        .value_kind:     by_value
      - .offset:         100
        .size:           4
        .value_kind:     by_value
      - .offset:         104
        .size:           4
        .value_kind:     by_value
      - .offset:         112
        .size:           8
        .value_kind:     by_value
      - .offset:         120
        .size:           8
        .value_kind:     by_value
      - .offset:         128
        .size:           8
        .value_kind:     by_value
    .group_segment_fixed_size: 65536
    .kernarg_segment_align: 8
    .kernarg_segment_size: 136
    .language:       OpenCL C
    .language_version:
      - 2
      - 0
    .max_flat_workgroup_size: 256
    .name:           _ZN12_GLOBAL__N_139chunk_gated_delta_rule_fwd_h_hip_kernelILi64ELb1ELb0ELb1ELb1ELb0ELb1ELb0ELb1EEEvPK12hip_bfloat16S3_S3_PKfS5_PKvPS1_S8_PvPKiSB_iiiiilll
    .private_segment_fixed_size: 0
    .sgpr_count:     71
    .sgpr_spill_count: 0
    .symbol:         _ZN12_GLOBAL__N_139chunk_gated_delta_rule_fwd_h_hip_kernelILi64ELb1ELb0ELb1ELb1ELb0ELb1ELb0ELb1EEEvPK12hip_bfloat16S3_S3_PKfS5_PKvPS1_S8_PvPKiSB_iiiiilll.kd
    .uniform_work_group_size: 1
    .uses_dynamic_stack: false
    .vgpr_count:     232
    .vgpr_spill_count: 0
    .wavefront_size: 64
  - .agpr_count:     40
    .args:
      - .actual_access:  read_only
        .address_space:  global
        .offset:         0
        .size:           8
        .value_kind:     global_buffer
      - .actual_access:  read_only
        .address_space:  global
        .offset:         8
        .size:           8
        .value_kind:     global_buffer
      - .actual_access:  read_only
        .address_space:  global
        .offset:         16
        .size:           8
        .value_kind:     global_buffer
      - .actual_access:  read_only
        .address_space:  global
        .offset:         24
        .size:           8
        .value_kind:     global_buffer
      - .actual_access:  read_only
        .address_space:  global
        .offset:         32
        .size:           8
        .value_kind:     global_buffer
      - .actual_access:  read_only
        .address_space:  global
        .offset:         40
        .size:           8
        .value_kind:     global_buffer
      - .actual_access:  write_only
        .address_space:  global
        .offset:         48
        .size:           8
        .value_kind:     global_buffer
      - .actual_access:  read_only
        .address_space:  global
        .offset:         56
        .size:           8
        .value_kind:     global_buffer
      - .actual_access:  read_only
        .address_space:  global
        .offset:         64
        .size:           8
        .value_kind:     global_buffer
      - .actual_access:  read_only
        .address_space:  global
        .offset:         72
        .size:           8
        .value_kind:     global_buffer
      - .actual_access:  read_only
        .address_space:  global
        .offset:         80
        .size:           8
        .value_kind:     global_buffer
      - .offset:         88
        .size:           4
        .value_kind:     by_value
      - .offset:         92
        .size:           4
        .value_kind:     by_value
      - .offset:         96
        .size:           4
        .value_kind:     by_value
      - .offset:         100
        .size:           4
        .value_kind:     by_value
      - .offset:         104
        .size:           4
        .value_kind:     by_value
      - .offset:         112
        .size:           8
        .value_kind:     by_value
      - .offset:         120
        .size:           8
        .value_kind:     by_value
      - .offset:         128
        .size:           8
        .value_kind:     by_value
    .group_segment_fixed_size: 65536
    .kernarg_segment_align: 8
    .kernarg_segment_size: 136
    .language:       OpenCL C
    .language_version:
      - 2
      - 0
    .max_flat_workgroup_size: 256
    .name:           _ZN12_GLOBAL__N_139chunk_gated_delta_rule_fwd_h_hip_kernelILi64ELb1ELb0ELb0ELb1ELb0ELb1ELb0ELb1EEEvPK12hip_bfloat16S3_S3_PKfS5_PKvPS1_S8_PvPKiSB_iiiiilll
    .private_segment_fixed_size: 0
    .sgpr_count:     69
    .sgpr_spill_count: 0
    .symbol:         _ZN12_GLOBAL__N_139chunk_gated_delta_rule_fwd_h_hip_kernelILi64ELb1ELb0ELb0ELb1ELb0ELb1ELb0ELb1EEEvPK12hip_bfloat16S3_S3_PKfS5_PKvPS1_S8_PvPKiSB_iiiiilll.kd
    .uniform_work_group_size: 1
    .uses_dynamic_stack: false
    .vgpr_count:     232
    .vgpr_spill_count: 0
    .wavefront_size: 64
  - .agpr_count:     40
    .args:
      - .actual_access:  read_only
        .address_space:  global
        .offset:         0
        .size:           8
        .value_kind:     global_buffer
      - .actual_access:  read_only
        .address_space:  global
        .offset:         8
        .size:           8
        .value_kind:     global_buffer
      - .actual_access:  read_only
        .address_space:  global
        .offset:         16
        .size:           8
        .value_kind:     global_buffer
      - .actual_access:  read_only
        .address_space:  global
        .offset:         24
        .size:           8
        .value_kind:     global_buffer
      - .actual_access:  read_only
        .address_space:  global
        .offset:         32
        .size:           8
        .value_kind:     global_buffer
      - .actual_access:  read_only
        .address_space:  global
        .offset:         40
        .size:           8
        .value_kind:     global_buffer
      - .actual_access:  write_only
        .address_space:  global
        .offset:         48
        .size:           8
        .value_kind:     global_buffer
      - .actual_access:  write_only
        .address_space:  global
        .offset:         56
        .size:           8
        .value_kind:     global_buffer
      - .actual_access:  write_only
        .address_space:  global
        .offset:         64
        .size:           8
        .value_kind:     global_buffer
      - .actual_access:  read_only
        .address_space:  global
        .offset:         72
        .size:           8
        .value_kind:     global_buffer
      - .actual_access:  read_only
        .address_space:  global
        .offset:         80
        .size:           8
        .value_kind:     global_buffer
      - .offset:         88
        .size:           4
        .value_kind:     by_value
      - .offset:         92
        .size:           4
        .value_kind:     by_value
      - .offset:         96
        .size:           4
        .value_kind:     by_value
      - .offset:         100
        .size:           4
        .value_kind:     by_value
      - .offset:         104
        .size:           4
        .value_kind:     by_value
      - .offset:         112
        .size:           8
        .value_kind:     by_value
      - .offset:         120
        .size:           8
        .value_kind:     by_value
      - .offset:         128
        .size:           8
        .value_kind:     by_value
    .group_segment_fixed_size: 65536
    .kernarg_segment_align: 8
    .kernarg_segment_size: 136
    .language:       OpenCL C
    .language_version:
      - 2
      - 0
    .max_flat_workgroup_size: 256
    .name:           _ZN12_GLOBAL__N_139chunk_gated_delta_rule_fwd_h_hip_kernelILi64ELb0ELb1ELb1ELb1ELb0ELb1ELb0ELb1EEEvPK12hip_bfloat16S3_S3_PKfS5_PKvPS1_S8_PvPKiSB_iiiiilll
    .private_segment_fixed_size: 0
    .sgpr_count:     75
    .sgpr_spill_count: 0
    .symbol:         _ZN12_GLOBAL__N_139chunk_gated_delta_rule_fwd_h_hip_kernelILi64ELb0ELb1ELb1ELb1ELb0ELb1ELb0ELb1EEEvPK12hip_bfloat16S3_S3_PKfS5_PKvPS1_S8_PvPKiSB_iiiiilll.kd
    .uniform_work_group_size: 1
    .uses_dynamic_stack: false
    .vgpr_count:     232
    .vgpr_spill_count: 0
    .wavefront_size: 64
  - .agpr_count:     40
    .args:
      - .actual_access:  read_only
        .address_space:  global
        .offset:         0
        .size:           8
        .value_kind:     global_buffer
      - .actual_access:  read_only
        .address_space:  global
        .offset:         8
        .size:           8
        .value_kind:     global_buffer
      - .actual_access:  read_only
        .address_space:  global
        .offset:         16
        .size:           8
        .value_kind:     global_buffer
      - .actual_access:  read_only
        .address_space:  global
        .offset:         24
        .size:           8
        .value_kind:     global_buffer
      - .actual_access:  read_only
        .address_space:  global
        .offset:         32
        .size:           8
        .value_kind:     global_buffer
      - .actual_access:  read_only
        .address_space:  global
        .offset:         40
        .size:           8
        .value_kind:     global_buffer
      - .actual_access:  write_only
        .address_space:  global
        .offset:         48
        .size:           8
        .value_kind:     global_buffer
      - .actual_access:  read_only
        .address_space:  global
        .offset:         56
        .size:           8
        .value_kind:     global_buffer
      - .actual_access:  write_only
        .address_space:  global
        .offset:         64
        .size:           8
        .value_kind:     global_buffer
      - .actual_access:  read_only
        .address_space:  global
        .offset:         72
        .size:           8
        .value_kind:     global_buffer
      - .actual_access:  read_only
        .address_space:  global
        .offset:         80
        .size:           8
        .value_kind:     global_buffer
      - .offset:         88
        .size:           4
        .value_kind:     by_value
      - .offset:         92
        .size:           4
        .value_kind:     by_value
      - .offset:         96
        .size:           4
        .value_kind:     by_value
      - .offset:         100
        .size:           4
        .value_kind:     by_value
      - .offset:         104
        .size:           4
        .value_kind:     by_value
      - .offset:         112
        .size:           8
        .value_kind:     by_value
      - .offset:         120
        .size:           8
        .value_kind:     by_value
      - .offset:         128
        .size:           8
        .value_kind:     by_value
    .group_segment_fixed_size: 65536
    .kernarg_segment_align: 8
    .kernarg_segment_size: 136
    .language:       OpenCL C
    .language_version:
      - 2
      - 0
    .max_flat_workgroup_size: 256
    .name:           _ZN12_GLOBAL__N_139chunk_gated_delta_rule_fwd_h_hip_kernelILi64ELb0ELb1ELb0ELb1ELb0ELb1ELb0ELb1EEEvPK12hip_bfloat16S3_S3_PKfS5_PKvPS1_S8_PvPKiSB_iiiiilll
    .private_segment_fixed_size: 0
    .sgpr_count:     73
    .sgpr_spill_count: 0
    .symbol:         _ZN12_GLOBAL__N_139chunk_gated_delta_rule_fwd_h_hip_kernelILi64ELb0ELb1ELb0ELb1ELb0ELb1ELb0ELb1EEEvPK12hip_bfloat16S3_S3_PKfS5_PKvPS1_S8_PvPKiSB_iiiiilll.kd
    .uniform_work_group_size: 1
    .uses_dynamic_stack: false
    .vgpr_count:     232
    .vgpr_spill_count: 0
    .wavefront_size: 64
  - .agpr_count:     40
    .args:
      - .actual_access:  read_only
        .address_space:  global
        .offset:         0
        .size:           8
        .value_kind:     global_buffer
      - .actual_access:  read_only
        .address_space:  global
        .offset:         8
        .size:           8
        .value_kind:     global_buffer
      - .actual_access:  read_only
        .address_space:  global
        .offset:         16
        .size:           8
        .value_kind:     global_buffer
      - .actual_access:  read_only
        .address_space:  global
        .offset:         24
        .size:           8
        .value_kind:     global_buffer
      - .actual_access:  read_only
        .address_space:  global
        .offset:         32
        .size:           8
        .value_kind:     global_buffer
      - .actual_access:  read_only
        .address_space:  global
        .offset:         40
        .size:           8
        .value_kind:     global_buffer
      - .actual_access:  write_only
        .address_space:  global
        .offset:         48
        .size:           8
        .value_kind:     global_buffer
      - .actual_access:  write_only
        .address_space:  global
        .offset:         56
        .size:           8
        .value_kind:     global_buffer
      - .actual_access:  read_only
        .address_space:  global
        .offset:         64
        .size:           8
        .value_kind:     global_buffer
      - .actual_access:  read_only
        .address_space:  global
        .offset:         72
        .size:           8
        .value_kind:     global_buffer
      - .actual_access:  read_only
        .address_space:  global
        .offset:         80
        .size:           8
        .value_kind:     global_buffer
      - .offset:         88
        .size:           4
        .value_kind:     by_value
      - .offset:         92
        .size:           4
        .value_kind:     by_value
      - .offset:         96
        .size:           4
        .value_kind:     by_value
      - .offset:         100
        .size:           4
        .value_kind:     by_value
      - .offset:         104
        .size:           4
        .value_kind:     by_value
      - .offset:         112
        .size:           8
        .value_kind:     by_value
      - .offset:         120
        .size:           8
        .value_kind:     by_value
      - .offset:         128
        .size:           8
        .value_kind:     by_value
    .group_segment_fixed_size: 65536
    .kernarg_segment_align: 8
    .kernarg_segment_size: 136
    .language:       OpenCL C
    .language_version:
      - 2
      - 0
    .max_flat_workgroup_size: 256
    .name:           _ZN12_GLOBAL__N_139chunk_gated_delta_rule_fwd_h_hip_kernelILi64ELb0ELb0ELb1ELb1ELb0ELb1ELb0ELb1EEEvPK12hip_bfloat16S3_S3_PKfS5_PKvPS1_S8_PvPKiSB_iiiiilll
    .private_segment_fixed_size: 0
    .sgpr_count:     70
    .sgpr_spill_count: 0
    .symbol:         _ZN12_GLOBAL__N_139chunk_gated_delta_rule_fwd_h_hip_kernelILi64ELb0ELb0ELb1ELb1ELb0ELb1ELb0ELb1EEEvPK12hip_bfloat16S3_S3_PKfS5_PKvPS1_S8_PvPKiSB_iiiiilll.kd
    .uniform_work_group_size: 1
    .uses_dynamic_stack: false
    .vgpr_count:     232
    .vgpr_spill_count: 0
    .wavefront_size: 64
  - .agpr_count:     40
    .args:
      - .actual_access:  read_only
        .address_space:  global
        .offset:         0
        .size:           8
        .value_kind:     global_buffer
      - .actual_access:  read_only
        .address_space:  global
        .offset:         8
        .size:           8
        .value_kind:     global_buffer
      - .actual_access:  read_only
        .address_space:  global
        .offset:         16
        .size:           8
        .value_kind:     global_buffer
      - .actual_access:  read_only
        .address_space:  global
        .offset:         24
        .size:           8
        .value_kind:     global_buffer
      - .actual_access:  read_only
        .address_space:  global
        .offset:         32
        .size:           8
        .value_kind:     global_buffer
      - .actual_access:  read_only
        .address_space:  global
        .offset:         40
        .size:           8
        .value_kind:     global_buffer
      - .actual_access:  write_only
        .address_space:  global
        .offset:         48
        .size:           8
        .value_kind:     global_buffer
      - .actual_access:  read_only
        .address_space:  global
        .offset:         56
        .size:           8
        .value_kind:     global_buffer
      - .actual_access:  read_only
        .address_space:  global
        .offset:         64
        .size:           8
        .value_kind:     global_buffer
      - .actual_access:  read_only
        .address_space:  global
        .offset:         72
        .size:           8
        .value_kind:     global_buffer
      - .actual_access:  read_only
        .address_space:  global
        .offset:         80
        .size:           8
        .value_kind:     global_buffer
      - .offset:         88
        .size:           4
        .value_kind:     by_value
      - .offset:         92
        .size:           4
        .value_kind:     by_value
      - .offset:         96
        .size:           4
        .value_kind:     by_value
      - .offset:         100
        .size:           4
        .value_kind:     by_value
      - .offset:         104
        .size:           4
        .value_kind:     by_value
      - .offset:         112
        .size:           8
        .value_kind:     by_value
      - .offset:         120
        .size:           8
        .value_kind:     by_value
      - .offset:         128
        .size:           8
        .value_kind:     by_value
    .group_segment_fixed_size: 65536
    .kernarg_segment_align: 8
    .kernarg_segment_size: 136
    .language:       OpenCL C
    .language_version:
      - 2
      - 0
    .max_flat_workgroup_size: 256
    .name:           _ZN12_GLOBAL__N_139chunk_gated_delta_rule_fwd_h_hip_kernelILi64ELb0ELb0ELb0ELb1ELb0ELb1ELb0ELb1EEEvPK12hip_bfloat16S3_S3_PKfS5_PKvPS1_S8_PvPKiSB_iiiiilll
    .private_segment_fixed_size: 0
    .sgpr_count:     68
    .sgpr_spill_count: 0
    .symbol:         _ZN12_GLOBAL__N_139chunk_gated_delta_rule_fwd_h_hip_kernelILi64ELb0ELb0ELb0ELb1ELb0ELb1ELb0ELb1EEEvPK12hip_bfloat16S3_S3_PKfS5_PKvPS1_S8_PvPKiSB_iiiiilll.kd
    .uniform_work_group_size: 1
    .uses_dynamic_stack: false
    .vgpr_count:     232
    .vgpr_spill_count: 0
    .wavefront_size: 64
  - .agpr_count:     40
    .args:
      - .actual_access:  read_only
        .address_space:  global
        .offset:         0
        .size:           8
        .value_kind:     global_buffer
      - .actual_access:  read_only
        .address_space:  global
        .offset:         8
        .size:           8
        .value_kind:     global_buffer
      - .actual_access:  read_only
        .address_space:  global
        .offset:         16
        .size:           8
        .value_kind:     global_buffer
      - .actual_access:  read_only
        .address_space:  global
        .offset:         24
        .size:           8
        .value_kind:     global_buffer
      - .actual_access:  read_only
        .address_space:  global
        .offset:         32
        .size:           8
        .value_kind:     global_buffer
      - .actual_access:  read_only
        .address_space:  global
        .offset:         40
        .size:           8
        .value_kind:     global_buffer
      - .actual_access:  write_only
        .address_space:  global
        .offset:         48
        .size:           8
        .value_kind:     global_buffer
      - .actual_access:  write_only
        .address_space:  global
        .offset:         56
        .size:           8
        .value_kind:     global_buffer
      - .actual_access:  write_only
        .address_space:  global
        .offset:         64
        .size:           8
        .value_kind:     global_buffer
      - .actual_access:  read_only
        .address_space:  global
        .offset:         72
        .size:           8
        .value_kind:     global_buffer
      - .actual_access:  read_only
        .address_space:  global
        .offset:         80
        .size:           8
        .value_kind:     global_buffer
      - .offset:         88
        .size:           4
        .value_kind:     by_value
      - .offset:         92
        .size:           4
        .value_kind:     by_value
      - .offset:         96
        .size:           4
        .value_kind:     by_value
      - .offset:         100
        .size:           4
        .value_kind:     by_value
      - .offset:         104
        .size:           4
        .value_kind:     by_value
      - .offset:         112
        .size:           8
        .value_kind:     by_value
      - .offset:         120
        .size:           8
        .value_kind:     by_value
      - .offset:         128
        .size:           8
        .value_kind:     by_value
    .group_segment_fixed_size: 65536
    .kernarg_segment_align: 8
    .kernarg_segment_size: 136
    .language:       OpenCL C
    .language_version:
      - 2
      - 0
    .max_flat_workgroup_size: 256
    .name:           _ZN12_GLOBAL__N_139chunk_gated_delta_rule_fwd_h_hip_kernelILi64ELb1ELb1ELb1ELb0ELb0ELb1ELb0ELb1EEEvPK12hip_bfloat16S3_S3_PKfS5_PKvPS1_S8_PvPKiSB_iiiiilll
    .private_segment_fixed_size: 0
    .sgpr_count:     81
    .sgpr_spill_count: 0
    .symbol:         _ZN12_GLOBAL__N_139chunk_gated_delta_rule_fwd_h_hip_kernelILi64ELb1ELb1ELb1ELb0ELb0ELb1ELb0ELb1EEEvPK12hip_bfloat16S3_S3_PKfS5_PKvPS1_S8_PvPKiSB_iiiiilll.kd
    .uniform_work_group_size: 1
    .uses_dynamic_stack: false
    .vgpr_count:     240
    .vgpr_spill_count: 0
    .wavefront_size: 64
  - .agpr_count:     40
    .args:
      - .actual_access:  read_only
        .address_space:  global
        .offset:         0
        .size:           8
        .value_kind:     global_buffer
      - .actual_access:  read_only
        .address_space:  global
        .offset:         8
        .size:           8
        .value_kind:     global_buffer
      - .actual_access:  read_only
        .address_space:  global
        .offset:         16
        .size:           8
        .value_kind:     global_buffer
      - .actual_access:  read_only
        .address_space:  global
        .offset:         24
        .size:           8
        .value_kind:     global_buffer
      - .actual_access:  read_only
        .address_space:  global
        .offset:         32
        .size:           8
        .value_kind:     global_buffer
      - .actual_access:  read_only
        .address_space:  global
        .offset:         40
        .size:           8
        .value_kind:     global_buffer
      - .actual_access:  write_only
        .address_space:  global
        .offset:         48
        .size:           8
        .value_kind:     global_buffer
      - .actual_access:  read_only
        .address_space:  global
        .offset:         56
        .size:           8
        .value_kind:     global_buffer
      - .actual_access:  write_only
        .address_space:  global
        .offset:         64
        .size:           8
        .value_kind:     global_buffer
      - .actual_access:  read_only
        .address_space:  global
        .offset:         72
        .size:           8
        .value_kind:     global_buffer
      - .actual_access:  read_only
        .address_space:  global
        .offset:         80
        .size:           8
        .value_kind:     global_buffer
      - .offset:         88
        .size:           4
        .value_kind:     by_value
      - .offset:         92
        .size:           4
        .value_kind:     by_value
      - .offset:         96
        .size:           4
        .value_kind:     by_value
      - .offset:         100
        .size:           4
        .value_kind:     by_value
      - .offset:         104
        .size:           4
        .value_kind:     by_value
      - .offset:         112
        .size:           8
        .value_kind:     by_value
      - .offset:         120
        .size:           8
        .value_kind:     by_value
      - .offset:         128
        .size:           8
        .value_kind:     by_value
    .group_segment_fixed_size: 65536
    .kernarg_segment_align: 8
    .kernarg_segment_size: 136
    .language:       OpenCL C
    .language_version:
      - 2
      - 0
    .max_flat_workgroup_size: 256
    .name:           _ZN12_GLOBAL__N_139chunk_gated_delta_rule_fwd_h_hip_kernelILi64ELb1ELb1ELb0ELb0ELb0ELb1ELb0ELb1EEEvPK12hip_bfloat16S3_S3_PKfS5_PKvPS1_S8_PvPKiSB_iiiiilll
    .private_segment_fixed_size: 0
    .sgpr_count:     79
    .sgpr_spill_count: 0
    .symbol:         _ZN12_GLOBAL__N_139chunk_gated_delta_rule_fwd_h_hip_kernelILi64ELb1ELb1ELb0ELb0ELb0ELb1ELb0ELb1EEEvPK12hip_bfloat16S3_S3_PKfS5_PKvPS1_S8_PvPKiSB_iiiiilll.kd
    .uniform_work_group_size: 1
    .uses_dynamic_stack: false
    .vgpr_count:     240
    .vgpr_spill_count: 0
    .wavefront_size: 64
  - .agpr_count:     40
    .args:
      - .actual_access:  read_only
        .address_space:  global
        .offset:         0
        .size:           8
        .value_kind:     global_buffer
      - .actual_access:  read_only
        .address_space:  global
        .offset:         8
        .size:           8
        .value_kind:     global_buffer
      - .actual_access:  read_only
        .address_space:  global
        .offset:         16
        .size:           8
        .value_kind:     global_buffer
      - .actual_access:  read_only
        .address_space:  global
        .offset:         24
        .size:           8
        .value_kind:     global_buffer
      - .actual_access:  read_only
        .address_space:  global
        .offset:         32
        .size:           8
        .value_kind:     global_buffer
      - .actual_access:  read_only
        .address_space:  global
        .offset:         40
        .size:           8
        .value_kind:     global_buffer
      - .actual_access:  write_only
        .address_space:  global
        .offset:         48
        .size:           8
        .value_kind:     global_buffer
      - .actual_access:  write_only
        .address_space:  global
        .offset:         56
        .size:           8
        .value_kind:     global_buffer
      - .actual_access:  read_only
        .address_space:  global
        .offset:         64
        .size:           8
        .value_kind:     global_buffer
      - .actual_access:  read_only
        .address_space:  global
        .offset:         72
        .size:           8
        .value_kind:     global_buffer
      - .actual_access:  read_only
        .address_space:  global
        .offset:         80
        .size:           8
        .value_kind:     global_buffer
      - .offset:         88
        .size:           4
        .value_kind:     by_value
      - .offset:         92
        .size:           4
        .value_kind:     by_value
      - .offset:         96
        .size:           4
        .value_kind:     by_value
      - .offset:         100
        .size:           4
        .value_kind:     by_value
      - .offset:         104
        .size:           4
        .value_kind:     by_value
      - .offset:         112
        .size:           8
        .value_kind:     by_value
      - .offset:         120
        .size:           8
        .value_kind:     by_value
      - .offset:         128
        .size:           8
        .value_kind:     by_value
    .group_segment_fixed_size: 65536
    .kernarg_segment_align: 8
    .kernarg_segment_size: 136
    .language:       OpenCL C
    .language_version:
      - 2
      - 0
    .max_flat_workgroup_size: 256
    .name:           _ZN12_GLOBAL__N_139chunk_gated_delta_rule_fwd_h_hip_kernelILi64ELb1ELb0ELb1ELb0ELb0ELb1ELb0ELb1EEEvPK12hip_bfloat16S3_S3_PKfS5_PKvPS1_S8_PvPKiSB_iiiiilll
    .private_segment_fixed_size: 0
    .sgpr_count:     77
    .sgpr_spill_count: 0
    .symbol:         _ZN12_GLOBAL__N_139chunk_gated_delta_rule_fwd_h_hip_kernelILi64ELb1ELb0ELb1ELb0ELb0ELb1ELb0ELb1EEEvPK12hip_bfloat16S3_S3_PKfS5_PKvPS1_S8_PvPKiSB_iiiiilll.kd
    .uniform_work_group_size: 1
    .uses_dynamic_stack: false
    .vgpr_count:     232
    .vgpr_spill_count: 0
    .wavefront_size: 64
  - .agpr_count:     40
    .args:
      - .actual_access:  read_only
        .address_space:  global
        .offset:         0
        .size:           8
        .value_kind:     global_buffer
      - .actual_access:  read_only
        .address_space:  global
        .offset:         8
        .size:           8
        .value_kind:     global_buffer
      - .actual_access:  read_only
        .address_space:  global
        .offset:         16
        .size:           8
        .value_kind:     global_buffer
      - .actual_access:  read_only
        .address_space:  global
        .offset:         24
        .size:           8
        .value_kind:     global_buffer
      - .actual_access:  read_only
        .address_space:  global
        .offset:         32
        .size:           8
        .value_kind:     global_buffer
      - .actual_access:  read_only
        .address_space:  global
        .offset:         40
        .size:           8
        .value_kind:     global_buffer
      - .actual_access:  write_only
        .address_space:  global
        .offset:         48
        .size:           8
        .value_kind:     global_buffer
      - .actual_access:  read_only
        .address_space:  global
        .offset:         56
        .size:           8
        .value_kind:     global_buffer
      - .actual_access:  read_only
        .address_space:  global
        .offset:         64
        .size:           8
        .value_kind:     global_buffer
      - .actual_access:  read_only
        .address_space:  global
        .offset:         72
        .size:           8
        .value_kind:     global_buffer
      - .actual_access:  read_only
        .address_space:  global
        .offset:         80
        .size:           8
        .value_kind:     global_buffer
      - .offset:         88
        .size:           4
        .value_kind:     by_value
      - .offset:         92
        .size:           4
        .value_kind:     by_value
      - .offset:         96
        .size:           4
        .value_kind:     by_value
      - .offset:         100
        .size:           4
        .value_kind:     by_value
      - .offset:         104
        .size:           4
        .value_kind:     by_value
      - .offset:         112
        .size:           8
        .value_kind:     by_value
      - .offset:         120
        .size:           8
        .value_kind:     by_value
      - .offset:         128
        .size:           8
        .value_kind:     by_value
    .group_segment_fixed_size: 65536
    .kernarg_segment_align: 8
    .kernarg_segment_size: 136
    .language:       OpenCL C
    .language_version:
      - 2
      - 0
    .max_flat_workgroup_size: 256
    .name:           _ZN12_GLOBAL__N_139chunk_gated_delta_rule_fwd_h_hip_kernelILi64ELb1ELb0ELb0ELb0ELb0ELb1ELb0ELb1EEEvPK12hip_bfloat16S3_S3_PKfS5_PKvPS1_S8_PvPKiSB_iiiiilll
    .private_segment_fixed_size: 0
    .sgpr_count:     75
    .sgpr_spill_count: 0
    .symbol:         _ZN12_GLOBAL__N_139chunk_gated_delta_rule_fwd_h_hip_kernelILi64ELb1ELb0ELb0ELb0ELb0ELb1ELb0ELb1EEEvPK12hip_bfloat16S3_S3_PKfS5_PKvPS1_S8_PvPKiSB_iiiiilll.kd
    .uniform_work_group_size: 1
    .uses_dynamic_stack: false
    .vgpr_count:     232
    .vgpr_spill_count: 0
    .wavefront_size: 64
  - .agpr_count:     40
    .args:
      - .actual_access:  read_only
        .address_space:  global
        .offset:         0
        .size:           8
        .value_kind:     global_buffer
      - .actual_access:  read_only
        .address_space:  global
        .offset:         8
        .size:           8
        .value_kind:     global_buffer
      - .actual_access:  read_only
        .address_space:  global
        .offset:         16
        .size:           8
        .value_kind:     global_buffer
      - .actual_access:  read_only
        .address_space:  global
        .offset:         24
        .size:           8
        .value_kind:     global_buffer
      - .actual_access:  read_only
        .address_space:  global
        .offset:         32
        .size:           8
        .value_kind:     global_buffer
      - .actual_access:  read_only
        .address_space:  global
        .offset:         40
        .size:           8
        .value_kind:     global_buffer
      - .actual_access:  write_only
        .address_space:  global
        .offset:         48
        .size:           8
        .value_kind:     global_buffer
      - .actual_access:  write_only
        .address_space:  global
        .offset:         56
        .size:           8
        .value_kind:     global_buffer
      - .actual_access:  write_only
        .address_space:  global
        .offset:         64
        .size:           8
        .value_kind:     global_buffer
      - .actual_access:  read_only
        .address_space:  global
        .offset:         72
        .size:           8
        .value_kind:     global_buffer
      - .actual_access:  read_only
        .address_space:  global
        .offset:         80
        .size:           8
        .value_kind:     global_buffer
      - .offset:         88
        .size:           4
        .value_kind:     by_value
      - .offset:         92
        .size:           4
        .value_kind:     by_value
      - .offset:         96
        .size:           4
        .value_kind:     by_value
      - .offset:         100
        .size:           4
        .value_kind:     by_value
      - .offset:         104
        .size:           4
        .value_kind:     by_value
      - .offset:         112
        .size:           8
        .value_kind:     by_value
      - .offset:         120
        .size:           8
        .value_kind:     by_value
      - .offset:         128
        .size:           8
        .value_kind:     by_value
    .group_segment_fixed_size: 65536
    .kernarg_segment_align: 8
    .kernarg_segment_size: 136
    .language:       OpenCL C
    .language_version:
      - 2
      - 0
    .max_flat_workgroup_size: 256
    .name:           _ZN12_GLOBAL__N_139chunk_gated_delta_rule_fwd_h_hip_kernelILi64ELb0ELb1ELb1ELb0ELb0ELb1ELb0ELb1EEEvPK12hip_bfloat16S3_S3_PKfS5_PKvPS1_S8_PvPKiSB_iiiiilll
    .private_segment_fixed_size: 0
    .sgpr_count:     76
    .sgpr_spill_count: 0
    .symbol:         _ZN12_GLOBAL__N_139chunk_gated_delta_rule_fwd_h_hip_kernelILi64ELb0ELb1ELb1ELb0ELb0ELb1ELb0ELb1EEEvPK12hip_bfloat16S3_S3_PKfS5_PKvPS1_S8_PvPKiSB_iiiiilll.kd
    .uniform_work_group_size: 1
    .uses_dynamic_stack: false
    .vgpr_count:     232
    .vgpr_spill_count: 0
    .wavefront_size: 64
  - .agpr_count:     40
    .args:
      - .actual_access:  read_only
        .address_space:  global
        .offset:         0
        .size:           8
        .value_kind:     global_buffer
      - .actual_access:  read_only
        .address_space:  global
        .offset:         8
        .size:           8
        .value_kind:     global_buffer
      - .actual_access:  read_only
        .address_space:  global
        .offset:         16
        .size:           8
        .value_kind:     global_buffer
      - .actual_access:  read_only
        .address_space:  global
        .offset:         24
        .size:           8
        .value_kind:     global_buffer
      - .actual_access:  read_only
        .address_space:  global
        .offset:         32
        .size:           8
        .value_kind:     global_buffer
      - .actual_access:  read_only
        .address_space:  global
        .offset:         40
        .size:           8
        .value_kind:     global_buffer
      - .actual_access:  write_only
        .address_space:  global
        .offset:         48
        .size:           8
        .value_kind:     global_buffer
      - .actual_access:  read_only
        .address_space:  global
        .offset:         56
        .size:           8
        .value_kind:     global_buffer
      - .actual_access:  write_only
        .address_space:  global
        .offset:         64
        .size:           8
        .value_kind:     global_buffer
      - .actual_access:  read_only
        .address_space:  global
        .offset:         72
        .size:           8
        .value_kind:     global_buffer
      - .actual_access:  read_only
        .address_space:  global
        .offset:         80
        .size:           8
        .value_kind:     global_buffer
      - .offset:         88
        .size:           4
        .value_kind:     by_value
      - .offset:         92
        .size:           4
        .value_kind:     by_value
      - .offset:         96
        .size:           4
        .value_kind:     by_value
      - .offset:         100
        .size:           4
        .value_kind:     by_value
      - .offset:         104
        .size:           4
        .value_kind:     by_value
      - .offset:         112
        .size:           8
        .value_kind:     by_value
      - .offset:         120
        .size:           8
        .value_kind:     by_value
      - .offset:         128
        .size:           8
        .value_kind:     by_value
    .group_segment_fixed_size: 65536
    .kernarg_segment_align: 8
    .kernarg_segment_size: 136
    .language:       OpenCL C
    .language_version:
      - 2
      - 0
    .max_flat_workgroup_size: 256
    .name:           _ZN12_GLOBAL__N_139chunk_gated_delta_rule_fwd_h_hip_kernelILi64ELb0ELb1ELb0ELb0ELb0ELb1ELb0ELb1EEEvPK12hip_bfloat16S3_S3_PKfS5_PKvPS1_S8_PvPKiSB_iiiiilll
    .private_segment_fixed_size: 0
    .sgpr_count:     74
    .sgpr_spill_count: 0
    .symbol:         _ZN12_GLOBAL__N_139chunk_gated_delta_rule_fwd_h_hip_kernelILi64ELb0ELb1ELb0ELb0ELb0ELb1ELb0ELb1EEEvPK12hip_bfloat16S3_S3_PKfS5_PKvPS1_S8_PvPKiSB_iiiiilll.kd
    .uniform_work_group_size: 1
    .uses_dynamic_stack: false
    .vgpr_count:     232
    .vgpr_spill_count: 0
    .wavefront_size: 64
  - .agpr_count:     40
    .args:
      - .actual_access:  read_only
        .address_space:  global
        .offset:         0
        .size:           8
        .value_kind:     global_buffer
      - .actual_access:  read_only
        .address_space:  global
        .offset:         8
        .size:           8
        .value_kind:     global_buffer
      - .actual_access:  read_only
        .address_space:  global
        .offset:         16
        .size:           8
        .value_kind:     global_buffer
      - .actual_access:  read_only
        .address_space:  global
        .offset:         24
        .size:           8
        .value_kind:     global_buffer
      - .actual_access:  read_only
        .address_space:  global
        .offset:         32
        .size:           8
        .value_kind:     global_buffer
      - .actual_access:  read_only
        .address_space:  global
        .offset:         40
        .size:           8
        .value_kind:     global_buffer
      - .actual_access:  write_only
        .address_space:  global
        .offset:         48
        .size:           8
        .value_kind:     global_buffer
      - .actual_access:  write_only
        .address_space:  global
        .offset:         56
        .size:           8
        .value_kind:     global_buffer
      - .actual_access:  read_only
        .address_space:  global
        .offset:         64
        .size:           8
        .value_kind:     global_buffer
      - .actual_access:  read_only
        .address_space:  global
        .offset:         72
        .size:           8
        .value_kind:     global_buffer
      - .actual_access:  read_only
        .address_space:  global
        .offset:         80
        .size:           8
        .value_kind:     global_buffer
      - .offset:         88
        .size:           4
        .value_kind:     by_value
      - .offset:         92
        .size:           4
        .value_kind:     by_value
      - .offset:         96
        .size:           4
        .value_kind:     by_value
      - .offset:         100
        .size:           4
        .value_kind:     by_value
      - .offset:         104
        .size:           4
        .value_kind:     by_value
      - .offset:         112
        .size:           8
        .value_kind:     by_value
      - .offset:         120
        .size:           8
        .value_kind:     by_value
      - .offset:         128
        .size:           8
        .value_kind:     by_value
    .group_segment_fixed_size: 65536
    .kernarg_segment_align: 8
    .kernarg_segment_size: 136
    .language:       OpenCL C
    .language_version:
      - 2
      - 0
    .max_flat_workgroup_size: 256
    .name:           _ZN12_GLOBAL__N_139chunk_gated_delta_rule_fwd_h_hip_kernelILi64ELb0ELb0ELb1ELb0ELb0ELb1ELb0ELb1EEEvPK12hip_bfloat16S3_S3_PKfS5_PKvPS1_S8_PvPKiSB_iiiiilll
    .private_segment_fixed_size: 0
    .sgpr_count:     74
    .sgpr_spill_count: 0
    .symbol:         _ZN12_GLOBAL__N_139chunk_gated_delta_rule_fwd_h_hip_kernelILi64ELb0ELb0ELb1ELb0ELb0ELb1ELb0ELb1EEEvPK12hip_bfloat16S3_S3_PKfS5_PKvPS1_S8_PvPKiSB_iiiiilll.kd
    .uniform_work_group_size: 1
    .uses_dynamic_stack: false
    .vgpr_count:     232
    .vgpr_spill_count: 0
    .wavefront_size: 64
  - .agpr_count:     40
    .args:
      - .actual_access:  read_only
        .address_space:  global
        .offset:         0
        .size:           8
        .value_kind:     global_buffer
      - .actual_access:  read_only
        .address_space:  global
        .offset:         8
        .size:           8
        .value_kind:     global_buffer
      - .actual_access:  read_only
        .address_space:  global
        .offset:         16
        .size:           8
        .value_kind:     global_buffer
      - .actual_access:  read_only
        .address_space:  global
        .offset:         24
        .size:           8
        .value_kind:     global_buffer
      - .actual_access:  read_only
        .address_space:  global
        .offset:         32
        .size:           8
        .value_kind:     global_buffer
      - .actual_access:  read_only
        .address_space:  global
        .offset:         40
        .size:           8
        .value_kind:     global_buffer
      - .actual_access:  write_only
        .address_space:  global
        .offset:         48
        .size:           8
        .value_kind:     global_buffer
      - .actual_access:  read_only
        .address_space:  global
        .offset:         56
        .size:           8
        .value_kind:     global_buffer
      - .actual_access:  read_only
        .address_space:  global
        .offset:         64
        .size:           8
        .value_kind:     global_buffer
      - .actual_access:  read_only
        .address_space:  global
        .offset:         72
        .size:           8
        .value_kind:     global_buffer
      - .actual_access:  read_only
        .address_space:  global
        .offset:         80
        .size:           8
        .value_kind:     global_buffer
      - .offset:         88
        .size:           4
        .value_kind:     by_value
      - .offset:         92
        .size:           4
        .value_kind:     by_value
      - .offset:         96
        .size:           4
        .value_kind:     by_value
      - .offset:         100
        .size:           4
        .value_kind:     by_value
      - .offset:         104
        .size:           4
        .value_kind:     by_value
      - .offset:         112
        .size:           8
        .value_kind:     by_value
      - .offset:         120
        .size:           8
        .value_kind:     by_value
      - .offset:         128
        .size:           8
        .value_kind:     by_value
    .group_segment_fixed_size: 65536
    .kernarg_segment_align: 8
    .kernarg_segment_size: 136
    .language:       OpenCL C
    .language_version:
      - 2
      - 0
    .max_flat_workgroup_size: 256
    .name:           _ZN12_GLOBAL__N_139chunk_gated_delta_rule_fwd_h_hip_kernelILi64ELb0ELb0ELb0ELb0ELb0ELb1ELb0ELb1EEEvPK12hip_bfloat16S3_S3_PKfS5_PKvPS1_S8_PvPKiSB_iiiiilll
    .private_segment_fixed_size: 0
    .sgpr_count:     72
    .sgpr_spill_count: 0
    .symbol:         _ZN12_GLOBAL__N_139chunk_gated_delta_rule_fwd_h_hip_kernelILi64ELb0ELb0ELb0ELb0ELb0ELb1ELb0ELb1EEEvPK12hip_bfloat16S3_S3_PKfS5_PKvPS1_S8_PvPKiSB_iiiiilll.kd
    .uniform_work_group_size: 1
    .uses_dynamic_stack: false
    .vgpr_count:     232
    .vgpr_spill_count: 0
    .wavefront_size: 64
  - .agpr_count:     36
    .args:
      - .actual_access:  read_only
        .address_space:  global
        .offset:         0
        .size:           8
        .value_kind:     global_buffer
      - .actual_access:  read_only
        .address_space:  global
        .offset:         8
        .size:           8
        .value_kind:     global_buffer
      - .actual_access:  read_only
        .address_space:  global
        .offset:         16
        .size:           8
        .value_kind:     global_buffer
      - .actual_access:  read_only
        .address_space:  global
        .offset:         24
        .size:           8
        .value_kind:     global_buffer
      - .actual_access:  read_only
        .address_space:  global
        .offset:         32
        .size:           8
        .value_kind:     global_buffer
      - .actual_access:  read_only
        .address_space:  global
        .offset:         40
        .size:           8
        .value_kind:     global_buffer
      - .actual_access:  write_only
        .address_space:  global
        .offset:         48
        .size:           8
        .value_kind:     global_buffer
      - .actual_access:  write_only
        .address_space:  global
        .offset:         56
        .size:           8
        .value_kind:     global_buffer
      - .actual_access:  write_only
        .address_space:  global
        .offset:         64
        .size:           8
        .value_kind:     global_buffer
      - .actual_access:  read_only
        .address_space:  global
        .offset:         72
        .size:           8
        .value_kind:     global_buffer
      - .actual_access:  read_only
        .address_space:  global
        .offset:         80
        .size:           8
        .value_kind:     global_buffer
      - .offset:         88
        .size:           4
        .value_kind:     by_value
      - .offset:         92
        .size:           4
        .value_kind:     by_value
      - .offset:         96
        .size:           4
        .value_kind:     by_value
      - .offset:         100
        .size:           4
        .value_kind:     by_value
      - .offset:         104
        .size:           4
        .value_kind:     by_value
      - .offset:         112
        .size:           8
        .value_kind:     by_value
      - .offset:         120
        .size:           8
        .value_kind:     by_value
      - .offset:         128
        .size:           8
        .value_kind:     by_value
    .group_segment_fixed_size: 65536
    .kernarg_segment_align: 8
    .kernarg_segment_size: 136
    .language:       OpenCL C
    .language_version:
      - 2
      - 0
    .max_flat_workgroup_size: 256
    .name:           _ZN12_GLOBAL__N_139chunk_gated_delta_rule_fwd_h_hip_kernelILi64ELb1ELb1ELb1ELb1ELb0ELb0ELb1ELb1EEEvPK12hip_bfloat16S3_S3_PKfS5_PKvPS1_S8_PvPKiSB_iiiiilll
    .private_segment_fixed_size: 0
    .sgpr_count:     73
    .sgpr_spill_count: 0
    .symbol:         _ZN12_GLOBAL__N_139chunk_gated_delta_rule_fwd_h_hip_kernelILi64ELb1ELb1ELb1ELb1ELb0ELb0ELb1ELb1EEEvPK12hip_bfloat16S3_S3_PKfS5_PKvPS1_S8_PvPKiSB_iiiiilll.kd
    .uniform_work_group_size: 1
    .uses_dynamic_stack: false
    .vgpr_count:     228
    .vgpr_spill_count: 0
    .wavefront_size: 64
  - .agpr_count:     36
    .args:
      - .actual_access:  read_only
        .address_space:  global
        .offset:         0
        .size:           8
        .value_kind:     global_buffer
      - .actual_access:  read_only
        .address_space:  global
        .offset:         8
        .size:           8
        .value_kind:     global_buffer
      - .actual_access:  read_only
        .address_space:  global
        .offset:         16
        .size:           8
        .value_kind:     global_buffer
      - .actual_access:  read_only
        .address_space:  global
        .offset:         24
        .size:           8
        .value_kind:     global_buffer
      - .actual_access:  read_only
        .address_space:  global
        .offset:         32
        .size:           8
        .value_kind:     global_buffer
      - .actual_access:  read_only
        .address_space:  global
        .offset:         40
        .size:           8
        .value_kind:     global_buffer
      - .actual_access:  write_only
        .address_space:  global
        .offset:         48
        .size:           8
        .value_kind:     global_buffer
      - .actual_access:  read_only
        .address_space:  global
        .offset:         56
        .size:           8
        .value_kind:     global_buffer
      - .actual_access:  write_only
        .address_space:  global
        .offset:         64
        .size:           8
        .value_kind:     global_buffer
      - .actual_access:  read_only
        .address_space:  global
        .offset:         72
        .size:           8
        .value_kind:     global_buffer
      - .actual_access:  read_only
        .address_space:  global
        .offset:         80
        .size:           8
        .value_kind:     global_buffer
      - .offset:         88
        .size:           4
        .value_kind:     by_value
      - .offset:         92
        .size:           4
        .value_kind:     by_value
      - .offset:         96
        .size:           4
        .value_kind:     by_value
      - .offset:         100
        .size:           4
        .value_kind:     by_value
      - .offset:         104
        .size:           4
        .value_kind:     by_value
      - .offset:         112
        .size:           8
        .value_kind:     by_value
      - .offset:         120
        .size:           8
        .value_kind:     by_value
      - .offset:         128
        .size:           8
        .value_kind:     by_value
    .group_segment_fixed_size: 65536
    .kernarg_segment_align: 8
    .kernarg_segment_size: 136
    .language:       OpenCL C
    .language_version:
      - 2
      - 0
    .max_flat_workgroup_size: 256
    .name:           _ZN12_GLOBAL__N_139chunk_gated_delta_rule_fwd_h_hip_kernelILi64ELb1ELb1ELb0ELb1ELb0ELb0ELb1ELb1EEEvPK12hip_bfloat16S3_S3_PKfS5_PKvPS1_S8_PvPKiSB_iiiiilll
    .private_segment_fixed_size: 0
    .sgpr_count:     71
    .sgpr_spill_count: 0
    .symbol:         _ZN12_GLOBAL__N_139chunk_gated_delta_rule_fwd_h_hip_kernelILi64ELb1ELb1ELb0ELb1ELb0ELb0ELb1ELb1EEEvPK12hip_bfloat16S3_S3_PKfS5_PKvPS1_S8_PvPKiSB_iiiiilll.kd
    .uniform_work_group_size: 1
    .uses_dynamic_stack: false
    .vgpr_count:     224
    .vgpr_spill_count: 0
    .wavefront_size: 64
  - .agpr_count:     36
    .args:
      - .actual_access:  read_only
        .address_space:  global
        .offset:         0
        .size:           8
        .value_kind:     global_buffer
      - .actual_access:  read_only
        .address_space:  global
        .offset:         8
        .size:           8
        .value_kind:     global_buffer
      - .actual_access:  read_only
        .address_space:  global
        .offset:         16
        .size:           8
        .value_kind:     global_buffer
      - .actual_access:  read_only
        .address_space:  global
        .offset:         24
        .size:           8
        .value_kind:     global_buffer
      - .actual_access:  read_only
        .address_space:  global
        .offset:         32
        .size:           8
        .value_kind:     global_buffer
      - .actual_access:  read_only
        .address_space:  global
        .offset:         40
        .size:           8
        .value_kind:     global_buffer
      - .actual_access:  write_only
        .address_space:  global
        .offset:         48
        .size:           8
        .value_kind:     global_buffer
      - .actual_access:  write_only
        .address_space:  global
        .offset:         56
        .size:           8
        .value_kind:     global_buffer
      - .actual_access:  read_only
        .address_space:  global
        .offset:         64
        .size:           8
        .value_kind:     global_buffer
      - .actual_access:  read_only
        .address_space:  global
        .offset:         72
        .size:           8
        .value_kind:     global_buffer
      - .actual_access:  read_only
        .address_space:  global
        .offset:         80
        .size:           8
        .value_kind:     global_buffer
      - .offset:         88
        .size:           4
        .value_kind:     by_value
      - .offset:         92
        .size:           4
        .value_kind:     by_value
      - .offset:         96
        .size:           4
        .value_kind:     by_value
      - .offset:         100
        .size:           4
        .value_kind:     by_value
      - .offset:         104
        .size:           4
        .value_kind:     by_value
      - .offset:         112
        .size:           8
        .value_kind:     by_value
      - .offset:         120
        .size:           8
        .value_kind:     by_value
      - .offset:         128
        .size:           8
        .value_kind:     by_value
    .group_segment_fixed_size: 65536
    .kernarg_segment_align: 8
    .kernarg_segment_size: 136
    .language:       OpenCL C
    .language_version:
      - 2
      - 0
    .max_flat_workgroup_size: 256
    .name:           _ZN12_GLOBAL__N_139chunk_gated_delta_rule_fwd_h_hip_kernelILi64ELb1ELb0ELb1ELb1ELb0ELb0ELb1ELb1EEEvPK12hip_bfloat16S3_S3_PKfS5_PKvPS1_S8_PvPKiSB_iiiiilll
    .private_segment_fixed_size: 0
    .sgpr_count:     69
    .sgpr_spill_count: 0
    .symbol:         _ZN12_GLOBAL__N_139chunk_gated_delta_rule_fwd_h_hip_kernelILi64ELb1ELb0ELb1ELb1ELb0ELb0ELb1ELb1EEEvPK12hip_bfloat16S3_S3_PKfS5_PKvPS1_S8_PvPKiSB_iiiiilll.kd
    .uniform_work_group_size: 1
    .uses_dynamic_stack: false
    .vgpr_count:     216
    .vgpr_spill_count: 0
    .wavefront_size: 64
  - .agpr_count:     36
    .args:
      - .actual_access:  read_only
        .address_space:  global
        .offset:         0
        .size:           8
        .value_kind:     global_buffer
      - .actual_access:  read_only
        .address_space:  global
        .offset:         8
        .size:           8
        .value_kind:     global_buffer
      - .actual_access:  read_only
        .address_space:  global
        .offset:         16
        .size:           8
        .value_kind:     global_buffer
      - .actual_access:  read_only
        .address_space:  global
        .offset:         24
        .size:           8
        .value_kind:     global_buffer
      - .actual_access:  read_only
        .address_space:  global
        .offset:         32
        .size:           8
        .value_kind:     global_buffer
      - .actual_access:  read_only
        .address_space:  global
        .offset:         40
        .size:           8
        .value_kind:     global_buffer
      - .actual_access:  write_only
        .address_space:  global
        .offset:         48
        .size:           8
        .value_kind:     global_buffer
      - .actual_access:  read_only
        .address_space:  global
        .offset:         56
        .size:           8
        .value_kind:     global_buffer
      - .actual_access:  read_only
        .address_space:  global
        .offset:         64
        .size:           8
        .value_kind:     global_buffer
      - .actual_access:  read_only
        .address_space:  global
        .offset:         72
        .size:           8
        .value_kind:     global_buffer
      - .actual_access:  read_only
        .address_space:  global
        .offset:         80
        .size:           8
        .value_kind:     global_buffer
      - .offset:         88
        .size:           4
        .value_kind:     by_value
      - .offset:         92
        .size:           4
        .value_kind:     by_value
      - .offset:         96
        .size:           4
        .value_kind:     by_value
      - .offset:         100
        .size:           4
        .value_kind:     by_value
      - .offset:         104
        .size:           4
        .value_kind:     by_value
      - .offset:         112
        .size:           8
        .value_kind:     by_value
      - .offset:         120
        .size:           8
        .value_kind:     by_value
      - .offset:         128
        .size:           8
        .value_kind:     by_value
    .group_segment_fixed_size: 65536
    .kernarg_segment_align: 8
    .kernarg_segment_size: 136
    .language:       OpenCL C
    .language_version:
      - 2
      - 0
    .max_flat_workgroup_size: 256
    .name:           _ZN12_GLOBAL__N_139chunk_gated_delta_rule_fwd_h_hip_kernelILi64ELb1ELb0ELb0ELb1ELb0ELb0ELb1ELb1EEEvPK12hip_bfloat16S3_S3_PKfS5_PKvPS1_S8_PvPKiSB_iiiiilll
    .private_segment_fixed_size: 0
    .sgpr_count:     67
    .sgpr_spill_count: 0
    .symbol:         _ZN12_GLOBAL__N_139chunk_gated_delta_rule_fwd_h_hip_kernelILi64ELb1ELb0ELb0ELb1ELb0ELb0ELb1ELb1EEEvPK12hip_bfloat16S3_S3_PKfS5_PKvPS1_S8_PvPKiSB_iiiiilll.kd
    .uniform_work_group_size: 1
    .uses_dynamic_stack: false
    .vgpr_count:     216
    .vgpr_spill_count: 0
    .wavefront_size: 64
  - .agpr_count:     36
    .args:
      - .actual_access:  read_only
        .address_space:  global
        .offset:         0
        .size:           8
        .value_kind:     global_buffer
      - .actual_access:  read_only
        .address_space:  global
        .offset:         8
        .size:           8
        .value_kind:     global_buffer
      - .actual_access:  read_only
        .address_space:  global
        .offset:         16
        .size:           8
        .value_kind:     global_buffer
      - .actual_access:  read_only
        .address_space:  global
        .offset:         24
        .size:           8
        .value_kind:     global_buffer
      - .actual_access:  read_only
        .address_space:  global
        .offset:         32
        .size:           8
        .value_kind:     global_buffer
      - .actual_access:  read_only
        .address_space:  global
        .offset:         40
        .size:           8
        .value_kind:     global_buffer
      - .actual_access:  write_only
        .address_space:  global
        .offset:         48
        .size:           8
        .value_kind:     global_buffer
      - .actual_access:  write_only
        .address_space:  global
        .offset:         56
        .size:           8
        .value_kind:     global_buffer
      - .actual_access:  write_only
        .address_space:  global
        .offset:         64
        .size:           8
        .value_kind:     global_buffer
      - .actual_access:  read_only
        .address_space:  global
        .offset:         72
        .size:           8
        .value_kind:     global_buffer
      - .actual_access:  read_only
        .address_space:  global
        .offset:         80
        .size:           8
        .value_kind:     global_buffer
      - .offset:         88
        .size:           4
        .value_kind:     by_value
      - .offset:         92
        .size:           4
        .value_kind:     by_value
      - .offset:         96
        .size:           4
        .value_kind:     by_value
      - .offset:         100
        .size:           4
        .value_kind:     by_value
      - .offset:         104
        .size:           4
        .value_kind:     by_value
      - .offset:         112
        .size:           8
        .value_kind:     by_value
      - .offset:         120
        .size:           8
        .value_kind:     by_value
      - .offset:         128
        .size:           8
        .value_kind:     by_value
    .group_segment_fixed_size: 65536
    .kernarg_segment_align: 8
    .kernarg_segment_size: 136
    .language:       OpenCL C
    .language_version:
      - 2
      - 0
    .max_flat_workgroup_size: 256
    .name:           _ZN12_GLOBAL__N_139chunk_gated_delta_rule_fwd_h_hip_kernelILi64ELb0ELb1ELb1ELb1ELb0ELb0ELb1ELb1EEEvPK12hip_bfloat16S3_S3_PKfS5_PKvPS1_S8_PvPKiSB_iiiiilll
    .private_segment_fixed_size: 0
    .sgpr_count:     73
    .sgpr_spill_count: 0
    .symbol:         _ZN12_GLOBAL__N_139chunk_gated_delta_rule_fwd_h_hip_kernelILi64ELb0ELb1ELb1ELb1ELb0ELb0ELb1ELb1EEEvPK12hip_bfloat16S3_S3_PKfS5_PKvPS1_S8_PvPKiSB_iiiiilll.kd
    .uniform_work_group_size: 1
    .uses_dynamic_stack: false
    .vgpr_count:     216
    .vgpr_spill_count: 0
    .wavefront_size: 64
  - .agpr_count:     36
    .args:
      - .actual_access:  read_only
        .address_space:  global
        .offset:         0
        .size:           8
        .value_kind:     global_buffer
      - .actual_access:  read_only
        .address_space:  global
        .offset:         8
        .size:           8
        .value_kind:     global_buffer
      - .actual_access:  read_only
        .address_space:  global
        .offset:         16
        .size:           8
        .value_kind:     global_buffer
      - .actual_access:  read_only
        .address_space:  global
        .offset:         24
        .size:           8
        .value_kind:     global_buffer
      - .actual_access:  read_only
        .address_space:  global
        .offset:         32
        .size:           8
        .value_kind:     global_buffer
      - .actual_access:  read_only
        .address_space:  global
        .offset:         40
        .size:           8
        .value_kind:     global_buffer
      - .actual_access:  write_only
        .address_space:  global
        .offset:         48
        .size:           8
        .value_kind:     global_buffer
      - .actual_access:  read_only
        .address_space:  global
        .offset:         56
        .size:           8
        .value_kind:     global_buffer
      - .actual_access:  write_only
        .address_space:  global
        .offset:         64
        .size:           8
        .value_kind:     global_buffer
      - .actual_access:  read_only
        .address_space:  global
        .offset:         72
        .size:           8
        .value_kind:     global_buffer
      - .actual_access:  read_only
        .address_space:  global
        .offset:         80
        .size:           8
        .value_kind:     global_buffer
      - .offset:         88
        .size:           4
        .value_kind:     by_value
      - .offset:         92
        .size:           4
        .value_kind:     by_value
      - .offset:         96
        .size:           4
        .value_kind:     by_value
      - .offset:         100
        .size:           4
        .value_kind:     by_value
      - .offset:         104
        .size:           4
        .value_kind:     by_value
      - .offset:         112
        .size:           8
        .value_kind:     by_value
      - .offset:         120
        .size:           8
        .value_kind:     by_value
      - .offset:         128
        .size:           8
        .value_kind:     by_value
    .group_segment_fixed_size: 65536
    .kernarg_segment_align: 8
    .kernarg_segment_size: 136
    .language:       OpenCL C
    .language_version:
      - 2
      - 0
    .max_flat_workgroup_size: 256
    .name:           _ZN12_GLOBAL__N_139chunk_gated_delta_rule_fwd_h_hip_kernelILi64ELb0ELb1ELb0ELb1ELb0ELb0ELb1ELb1EEEvPK12hip_bfloat16S3_S3_PKfS5_PKvPS1_S8_PvPKiSB_iiiiilll
    .private_segment_fixed_size: 0
    .sgpr_count:     71
    .sgpr_spill_count: 0
    .symbol:         _ZN12_GLOBAL__N_139chunk_gated_delta_rule_fwd_h_hip_kernelILi64ELb0ELb1ELb0ELb1ELb0ELb0ELb1ELb1EEEvPK12hip_bfloat16S3_S3_PKfS5_PKvPS1_S8_PvPKiSB_iiiiilll.kd
    .uniform_work_group_size: 1
    .uses_dynamic_stack: false
    .vgpr_count:     216
    .vgpr_spill_count: 0
    .wavefront_size: 64
  - .agpr_count:     36
    .args:
      - .actual_access:  read_only
        .address_space:  global
        .offset:         0
        .size:           8
        .value_kind:     global_buffer
      - .actual_access:  read_only
        .address_space:  global
        .offset:         8
        .size:           8
        .value_kind:     global_buffer
      - .actual_access:  read_only
        .address_space:  global
        .offset:         16
        .size:           8
        .value_kind:     global_buffer
      - .actual_access:  read_only
        .address_space:  global
        .offset:         24
        .size:           8
        .value_kind:     global_buffer
      - .actual_access:  read_only
        .address_space:  global
        .offset:         32
        .size:           8
        .value_kind:     global_buffer
      - .actual_access:  read_only
        .address_space:  global
        .offset:         40
        .size:           8
        .value_kind:     global_buffer
      - .actual_access:  write_only
        .address_space:  global
        .offset:         48
        .size:           8
        .value_kind:     global_buffer
      - .actual_access:  write_only
        .address_space:  global
        .offset:         56
        .size:           8
        .value_kind:     global_buffer
      - .actual_access:  read_only
        .address_space:  global
        .offset:         64
        .size:           8
        .value_kind:     global_buffer
      - .actual_access:  read_only
        .address_space:  global
        .offset:         72
        .size:           8
        .value_kind:     global_buffer
      - .actual_access:  read_only
        .address_space:  global
        .offset:         80
        .size:           8
        .value_kind:     global_buffer
      - .offset:         88
        .size:           4
        .value_kind:     by_value
      - .offset:         92
        .size:           4
        .value_kind:     by_value
      - .offset:         96
        .size:           4
        .value_kind:     by_value
      - .offset:         100
        .size:           4
        .value_kind:     by_value
      - .offset:         104
        .size:           4
        .value_kind:     by_value
      - .offset:         112
        .size:           8
        .value_kind:     by_value
      - .offset:         120
        .size:           8
        .value_kind:     by_value
      - .offset:         128
        .size:           8
        .value_kind:     by_value
    .group_segment_fixed_size: 65536
    .kernarg_segment_align: 8
    .kernarg_segment_size: 136
    .language:       OpenCL C
    .language_version:
      - 2
      - 0
    .max_flat_workgroup_size: 256
    .name:           _ZN12_GLOBAL__N_139chunk_gated_delta_rule_fwd_h_hip_kernelILi64ELb0ELb0ELb1ELb1ELb0ELb0ELb1ELb1EEEvPK12hip_bfloat16S3_S3_PKfS5_PKvPS1_S8_PvPKiSB_iiiiilll
    .private_segment_fixed_size: 0
    .sgpr_count:     68
    .sgpr_spill_count: 0
    .symbol:         _ZN12_GLOBAL__N_139chunk_gated_delta_rule_fwd_h_hip_kernelILi64ELb0ELb0ELb1ELb1ELb0ELb0ELb1ELb1EEEvPK12hip_bfloat16S3_S3_PKfS5_PKvPS1_S8_PvPKiSB_iiiiilll.kd
    .uniform_work_group_size: 1
    .uses_dynamic_stack: false
    .vgpr_count:     216
    .vgpr_spill_count: 0
    .wavefront_size: 64
  - .agpr_count:     36
    .args:
      - .actual_access:  read_only
        .address_space:  global
        .offset:         0
        .size:           8
        .value_kind:     global_buffer
      - .actual_access:  read_only
        .address_space:  global
        .offset:         8
        .size:           8
        .value_kind:     global_buffer
      - .actual_access:  read_only
        .address_space:  global
        .offset:         16
        .size:           8
        .value_kind:     global_buffer
      - .actual_access:  read_only
        .address_space:  global
        .offset:         24
        .size:           8
        .value_kind:     global_buffer
      - .actual_access:  read_only
        .address_space:  global
        .offset:         32
        .size:           8
        .value_kind:     global_buffer
      - .actual_access:  read_only
        .address_space:  global
        .offset:         40
        .size:           8
        .value_kind:     global_buffer
      - .actual_access:  write_only
        .address_space:  global
        .offset:         48
        .size:           8
        .value_kind:     global_buffer
      - .actual_access:  read_only
        .address_space:  global
        .offset:         56
        .size:           8
        .value_kind:     global_buffer
      - .actual_access:  read_only
        .address_space:  global
        .offset:         64
        .size:           8
        .value_kind:     global_buffer
      - .actual_access:  read_only
        .address_space:  global
        .offset:         72
        .size:           8
        .value_kind:     global_buffer
      - .actual_access:  read_only
        .address_space:  global
        .offset:         80
        .size:           8
        .value_kind:     global_buffer
      - .offset:         88
        .size:           4
        .value_kind:     by_value
      - .offset:         92
        .size:           4
        .value_kind:     by_value
      - .offset:         96
        .size:           4
        .value_kind:     by_value
      - .offset:         100
        .size:           4
        .value_kind:     by_value
      - .offset:         104
        .size:           4
        .value_kind:     by_value
      - .offset:         112
        .size:           8
        .value_kind:     by_value
      - .offset:         120
        .size:           8
        .value_kind:     by_value
      - .offset:         128
        .size:           8
        .value_kind:     by_value
    .group_segment_fixed_size: 65536
    .kernarg_segment_align: 8
    .kernarg_segment_size: 136
    .language:       OpenCL C
    .language_version:
      - 2
      - 0
    .max_flat_workgroup_size: 256
    .name:           _ZN12_GLOBAL__N_139chunk_gated_delta_rule_fwd_h_hip_kernelILi64ELb0ELb0ELb0ELb1ELb0ELb0ELb1ELb1EEEvPK12hip_bfloat16S3_S3_PKfS5_PKvPS1_S8_PvPKiSB_iiiiilll
    .private_segment_fixed_size: 0
    .sgpr_count:     66
    .sgpr_spill_count: 0
    .symbol:         _ZN12_GLOBAL__N_139chunk_gated_delta_rule_fwd_h_hip_kernelILi64ELb0ELb0ELb0ELb1ELb0ELb0ELb1ELb1EEEvPK12hip_bfloat16S3_S3_PKfS5_PKvPS1_S8_PvPKiSB_iiiiilll.kd
    .uniform_work_group_size: 1
    .uses_dynamic_stack: false
    .vgpr_count:     216
    .vgpr_spill_count: 0
    .wavefront_size: 64
  - .agpr_count:     36
    .args:
      - .actual_access:  read_only
        .address_space:  global
        .offset:         0
        .size:           8
        .value_kind:     global_buffer
      - .actual_access:  read_only
        .address_space:  global
        .offset:         8
        .size:           8
        .value_kind:     global_buffer
      - .actual_access:  read_only
        .address_space:  global
        .offset:         16
        .size:           8
        .value_kind:     global_buffer
      - .actual_access:  read_only
        .address_space:  global
        .offset:         24
        .size:           8
        .value_kind:     global_buffer
      - .actual_access:  read_only
        .address_space:  global
        .offset:         32
        .size:           8
        .value_kind:     global_buffer
      - .actual_access:  read_only
        .address_space:  global
        .offset:         40
        .size:           8
        .value_kind:     global_buffer
      - .actual_access:  write_only
        .address_space:  global
        .offset:         48
        .size:           8
        .value_kind:     global_buffer
      - .actual_access:  write_only
        .address_space:  global
        .offset:         56
        .size:           8
        .value_kind:     global_buffer
      - .actual_access:  write_only
        .address_space:  global
        .offset:         64
        .size:           8
        .value_kind:     global_buffer
      - .actual_access:  read_only
        .address_space:  global
        .offset:         72
        .size:           8
        .value_kind:     global_buffer
      - .actual_access:  read_only
        .address_space:  global
        .offset:         80
        .size:           8
        .value_kind:     global_buffer
      - .offset:         88
        .size:           4
        .value_kind:     by_value
      - .offset:         92
        .size:           4
        .value_kind:     by_value
      - .offset:         96
        .size:           4
        .value_kind:     by_value
      - .offset:         100
        .size:           4
        .value_kind:     by_value
      - .offset:         104
        .size:           4
        .value_kind:     by_value
      - .offset:         112
        .size:           8
        .value_kind:     by_value
      - .offset:         120
        .size:           8
        .value_kind:     by_value
      - .offset:         128
        .size:           8
        .value_kind:     by_value
    .group_segment_fixed_size: 65536
    .kernarg_segment_align: 8
    .kernarg_segment_size: 136
    .language:       OpenCL C
    .language_version:
      - 2
      - 0
    .max_flat_workgroup_size: 256
    .name:           _ZN12_GLOBAL__N_139chunk_gated_delta_rule_fwd_h_hip_kernelILi64ELb1ELb1ELb1ELb0ELb0ELb0ELb1ELb1EEEvPK12hip_bfloat16S3_S3_PKfS5_PKvPS1_S8_PvPKiSB_iiiiilll
    .private_segment_fixed_size: 0
    .sgpr_count:     78
    .sgpr_spill_count: 0
    .symbol:         _ZN12_GLOBAL__N_139chunk_gated_delta_rule_fwd_h_hip_kernelILi64ELb1ELb1ELb1ELb0ELb0ELb0ELb1ELb1EEEvPK12hip_bfloat16S3_S3_PKfS5_PKvPS1_S8_PvPKiSB_iiiiilll.kd
    .uniform_work_group_size: 1
    .uses_dynamic_stack: false
    .vgpr_count:     228
    .vgpr_spill_count: 0
    .wavefront_size: 64
  - .agpr_count:     36
    .args:
      - .actual_access:  read_only
        .address_space:  global
        .offset:         0
        .size:           8
        .value_kind:     global_buffer
      - .actual_access:  read_only
        .address_space:  global
        .offset:         8
        .size:           8
        .value_kind:     global_buffer
      - .actual_access:  read_only
        .address_space:  global
        .offset:         16
        .size:           8
        .value_kind:     global_buffer
      - .actual_access:  read_only
        .address_space:  global
        .offset:         24
        .size:           8
        .value_kind:     global_buffer
      - .actual_access:  read_only
        .address_space:  global
        .offset:         32
        .size:           8
        .value_kind:     global_buffer
      - .actual_access:  read_only
        .address_space:  global
        .offset:         40
        .size:           8
        .value_kind:     global_buffer
      - .actual_access:  write_only
        .address_space:  global
        .offset:         48
        .size:           8
        .value_kind:     global_buffer
      - .actual_access:  read_only
        .address_space:  global
        .offset:         56
        .size:           8
        .value_kind:     global_buffer
      - .actual_access:  write_only
        .address_space:  global
        .offset:         64
        .size:           8
        .value_kind:     global_buffer
      - .actual_access:  read_only
        .address_space:  global
        .offset:         72
        .size:           8
        .value_kind:     global_buffer
      - .actual_access:  read_only
        .address_space:  global
        .offset:         80
        .size:           8
        .value_kind:     global_buffer
      - .offset:         88
        .size:           4
        .value_kind:     by_value
      - .offset:         92
        .size:           4
        .value_kind:     by_value
      - .offset:         96
        .size:           4
        .value_kind:     by_value
      - .offset:         100
        .size:           4
        .value_kind:     by_value
      - .offset:         104
        .size:           4
        .value_kind:     by_value
      - .offset:         112
        .size:           8
        .value_kind:     by_value
      - .offset:         120
        .size:           8
        .value_kind:     by_value
      - .offset:         128
        .size:           8
        .value_kind:     by_value
    .group_segment_fixed_size: 65536
    .kernarg_segment_align: 8
    .kernarg_segment_size: 136
    .language:       OpenCL C
    .language_version:
      - 2
      - 0
    .max_flat_workgroup_size: 256
    .name:           _ZN12_GLOBAL__N_139chunk_gated_delta_rule_fwd_h_hip_kernelILi64ELb1ELb1ELb0ELb0ELb0ELb0ELb1ELb1EEEvPK12hip_bfloat16S3_S3_PKfS5_PKvPS1_S8_PvPKiSB_iiiiilll
    .private_segment_fixed_size: 0
    .sgpr_count:     76
    .sgpr_spill_count: 0
    .symbol:         _ZN12_GLOBAL__N_139chunk_gated_delta_rule_fwd_h_hip_kernelILi64ELb1ELb1ELb0ELb0ELb0ELb0ELb1ELb1EEEvPK12hip_bfloat16S3_S3_PKfS5_PKvPS1_S8_PvPKiSB_iiiiilll.kd
    .uniform_work_group_size: 1
    .uses_dynamic_stack: false
    .vgpr_count:     224
    .vgpr_spill_count: 0
    .wavefront_size: 64
  - .agpr_count:     36
    .args:
      - .actual_access:  read_only
        .address_space:  global
        .offset:         0
        .size:           8
        .value_kind:     global_buffer
      - .actual_access:  read_only
        .address_space:  global
        .offset:         8
        .size:           8
        .value_kind:     global_buffer
      - .actual_access:  read_only
        .address_space:  global
        .offset:         16
        .size:           8
        .value_kind:     global_buffer
      - .actual_access:  read_only
        .address_space:  global
        .offset:         24
        .size:           8
        .value_kind:     global_buffer
      - .actual_access:  read_only
        .address_space:  global
        .offset:         32
        .size:           8
        .value_kind:     global_buffer
      - .actual_access:  read_only
        .address_space:  global
        .offset:         40
        .size:           8
        .value_kind:     global_buffer
      - .actual_access:  write_only
        .address_space:  global
        .offset:         48
        .size:           8
        .value_kind:     global_buffer
      - .actual_access:  write_only
        .address_space:  global
        .offset:         56
        .size:           8
        .value_kind:     global_buffer
      - .actual_access:  read_only
        .address_space:  global
        .offset:         64
        .size:           8
        .value_kind:     global_buffer
      - .actual_access:  read_only
        .address_space:  global
        .offset:         72
        .size:           8
        .value_kind:     global_buffer
      - .actual_access:  read_only
        .address_space:  global
        .offset:         80
        .size:           8
        .value_kind:     global_buffer
      - .offset:         88
        .size:           4
        .value_kind:     by_value
      - .offset:         92
        .size:           4
        .value_kind:     by_value
      - .offset:         96
        .size:           4
        .value_kind:     by_value
      - .offset:         100
        .size:           4
        .value_kind:     by_value
      - .offset:         104
        .size:           4
        .value_kind:     by_value
      - .offset:         112
        .size:           8
        .value_kind:     by_value
      - .offset:         120
        .size:           8
        .value_kind:     by_value
      - .offset:         128
        .size:           8
        .value_kind:     by_value
    .group_segment_fixed_size: 65536
    .kernarg_segment_align: 8
    .kernarg_segment_size: 136
    .language:       OpenCL C
    .language_version:
      - 2
      - 0
    .max_flat_workgroup_size: 256
    .name:           _ZN12_GLOBAL__N_139chunk_gated_delta_rule_fwd_h_hip_kernelILi64ELb1ELb0ELb1ELb0ELb0ELb0ELb1ELb1EEEvPK12hip_bfloat16S3_S3_PKfS5_PKvPS1_S8_PvPKiSB_iiiiilll
    .private_segment_fixed_size: 0
    .sgpr_count:     74
    .sgpr_spill_count: 0
    .symbol:         _ZN12_GLOBAL__N_139chunk_gated_delta_rule_fwd_h_hip_kernelILi64ELb1ELb0ELb1ELb0ELb0ELb0ELb1ELb1EEEvPK12hip_bfloat16S3_S3_PKfS5_PKvPS1_S8_PvPKiSB_iiiiilll.kd
    .uniform_work_group_size: 1
    .uses_dynamic_stack: false
    .vgpr_count:     216
    .vgpr_spill_count: 0
    .wavefront_size: 64
  - .agpr_count:     36
    .args:
      - .actual_access:  read_only
        .address_space:  global
        .offset:         0
        .size:           8
        .value_kind:     global_buffer
      - .actual_access:  read_only
        .address_space:  global
        .offset:         8
        .size:           8
        .value_kind:     global_buffer
      - .actual_access:  read_only
        .address_space:  global
        .offset:         16
        .size:           8
        .value_kind:     global_buffer
      - .actual_access:  read_only
        .address_space:  global
        .offset:         24
        .size:           8
        .value_kind:     global_buffer
      - .actual_access:  read_only
        .address_space:  global
        .offset:         32
        .size:           8
        .value_kind:     global_buffer
      - .actual_access:  read_only
        .address_space:  global
        .offset:         40
        .size:           8
        .value_kind:     global_buffer
      - .actual_access:  write_only
        .address_space:  global
        .offset:         48
        .size:           8
        .value_kind:     global_buffer
      - .actual_access:  read_only
        .address_space:  global
        .offset:         56
        .size:           8
        .value_kind:     global_buffer
      - .actual_access:  read_only
        .address_space:  global
        .offset:         64
        .size:           8
        .value_kind:     global_buffer
      - .actual_access:  read_only
        .address_space:  global
        .offset:         72
        .size:           8
        .value_kind:     global_buffer
      - .actual_access:  read_only
        .address_space:  global
        .offset:         80
        .size:           8
        .value_kind:     global_buffer
      - .offset:         88
        .size:           4
        .value_kind:     by_value
      - .offset:         92
        .size:           4
        .value_kind:     by_value
      - .offset:         96
        .size:           4
        .value_kind:     by_value
      - .offset:         100
        .size:           4
        .value_kind:     by_value
      - .offset:         104
        .size:           4
        .value_kind:     by_value
      - .offset:         112
        .size:           8
        .value_kind:     by_value
      - .offset:         120
        .size:           8
        .value_kind:     by_value
      - .offset:         128
        .size:           8
        .value_kind:     by_value
    .group_segment_fixed_size: 65536
    .kernarg_segment_align: 8
    .kernarg_segment_size: 136
    .language:       OpenCL C
    .language_version:
      - 2
      - 0
    .max_flat_workgroup_size: 256
    .name:           _ZN12_GLOBAL__N_139chunk_gated_delta_rule_fwd_h_hip_kernelILi64ELb1ELb0ELb0ELb0ELb0ELb0ELb1ELb1EEEvPK12hip_bfloat16S3_S3_PKfS5_PKvPS1_S8_PvPKiSB_iiiiilll
    .private_segment_fixed_size: 0
    .sgpr_count:     72
    .sgpr_spill_count: 0
    .symbol:         _ZN12_GLOBAL__N_139chunk_gated_delta_rule_fwd_h_hip_kernelILi64ELb1ELb0ELb0ELb0ELb0ELb0ELb1ELb1EEEvPK12hip_bfloat16S3_S3_PKfS5_PKvPS1_S8_PvPKiSB_iiiiilll.kd
    .uniform_work_group_size: 1
    .uses_dynamic_stack: false
    .vgpr_count:     216
    .vgpr_spill_count: 0
    .wavefront_size: 64
  - .agpr_count:     36
    .args:
      - .actual_access:  read_only
        .address_space:  global
        .offset:         0
        .size:           8
        .value_kind:     global_buffer
      - .actual_access:  read_only
        .address_space:  global
        .offset:         8
        .size:           8
        .value_kind:     global_buffer
      - .actual_access:  read_only
        .address_space:  global
        .offset:         16
        .size:           8
        .value_kind:     global_buffer
      - .actual_access:  read_only
        .address_space:  global
        .offset:         24
        .size:           8
        .value_kind:     global_buffer
      - .actual_access:  read_only
        .address_space:  global
        .offset:         32
        .size:           8
        .value_kind:     global_buffer
      - .actual_access:  read_only
        .address_space:  global
        .offset:         40
        .size:           8
        .value_kind:     global_buffer
      - .actual_access:  write_only
        .address_space:  global
        .offset:         48
        .size:           8
        .value_kind:     global_buffer
      - .actual_access:  write_only
        .address_space:  global
        .offset:         56
        .size:           8
        .value_kind:     global_buffer
      - .actual_access:  write_only
        .address_space:  global
        .offset:         64
        .size:           8
        .value_kind:     global_buffer
      - .actual_access:  read_only
        .address_space:  global
        .offset:         72
        .size:           8
        .value_kind:     global_buffer
      - .actual_access:  read_only
        .address_space:  global
        .offset:         80
        .size:           8
        .value_kind:     global_buffer
      - .offset:         88
        .size:           4
        .value_kind:     by_value
      - .offset:         92
        .size:           4
        .value_kind:     by_value
      - .offset:         96
        .size:           4
        .value_kind:     by_value
      - .offset:         100
        .size:           4
        .value_kind:     by_value
      - .offset:         104
        .size:           4
        .value_kind:     by_value
      - .offset:         112
        .size:           8
        .value_kind:     by_value
      - .offset:         120
        .size:           8
        .value_kind:     by_value
      - .offset:         128
        .size:           8
        .value_kind:     by_value
    .group_segment_fixed_size: 65536
    .kernarg_segment_align: 8
    .kernarg_segment_size: 136
    .language:       OpenCL C
    .language_version:
      - 2
      - 0
    .max_flat_workgroup_size: 256
    .name:           _ZN12_GLOBAL__N_139chunk_gated_delta_rule_fwd_h_hip_kernelILi64ELb0ELb1ELb1ELb0ELb0ELb0ELb1ELb1EEEvPK12hip_bfloat16S3_S3_PKfS5_PKvPS1_S8_PvPKiSB_iiiiilll
    .private_segment_fixed_size: 0
    .sgpr_count:     73
    .sgpr_spill_count: 0
    .symbol:         _ZN12_GLOBAL__N_139chunk_gated_delta_rule_fwd_h_hip_kernelILi64ELb0ELb1ELb1ELb0ELb0ELb0ELb1ELb1EEEvPK12hip_bfloat16S3_S3_PKfS5_PKvPS1_S8_PvPKiSB_iiiiilll.kd
    .uniform_work_group_size: 1
    .uses_dynamic_stack: false
    .vgpr_count:     216
    .vgpr_spill_count: 0
    .wavefront_size: 64
  - .agpr_count:     36
    .args:
      - .actual_access:  read_only
        .address_space:  global
        .offset:         0
        .size:           8
        .value_kind:     global_buffer
      - .actual_access:  read_only
        .address_space:  global
        .offset:         8
        .size:           8
        .value_kind:     global_buffer
      - .actual_access:  read_only
        .address_space:  global
        .offset:         16
        .size:           8
        .value_kind:     global_buffer
      - .actual_access:  read_only
        .address_space:  global
        .offset:         24
        .size:           8
        .value_kind:     global_buffer
      - .actual_access:  read_only
        .address_space:  global
        .offset:         32
        .size:           8
        .value_kind:     global_buffer
      - .actual_access:  read_only
        .address_space:  global
        .offset:         40
        .size:           8
        .value_kind:     global_buffer
      - .actual_access:  write_only
        .address_space:  global
        .offset:         48
        .size:           8
        .value_kind:     global_buffer
      - .actual_access:  read_only
        .address_space:  global
        .offset:         56
        .size:           8
        .value_kind:     global_buffer
      - .actual_access:  write_only
        .address_space:  global
        .offset:         64
        .size:           8
        .value_kind:     global_buffer
      - .actual_access:  read_only
        .address_space:  global
        .offset:         72
        .size:           8
        .value_kind:     global_buffer
      - .actual_access:  read_only
        .address_space:  global
        .offset:         80
        .size:           8
        .value_kind:     global_buffer
      - .offset:         88
        .size:           4
        .value_kind:     by_value
      - .offset:         92
        .size:           4
        .value_kind:     by_value
      - .offset:         96
        .size:           4
        .value_kind:     by_value
      - .offset:         100
        .size:           4
        .value_kind:     by_value
      - .offset:         104
        .size:           4
        .value_kind:     by_value
      - .offset:         112
        .size:           8
        .value_kind:     by_value
      - .offset:         120
        .size:           8
        .value_kind:     by_value
      - .offset:         128
        .size:           8
        .value_kind:     by_value
    .group_segment_fixed_size: 65536
    .kernarg_segment_align: 8
    .kernarg_segment_size: 136
    .language:       OpenCL C
    .language_version:
      - 2
      - 0
    .max_flat_workgroup_size: 256
    .name:           _ZN12_GLOBAL__N_139chunk_gated_delta_rule_fwd_h_hip_kernelILi64ELb0ELb1ELb0ELb0ELb0ELb0ELb1ELb1EEEvPK12hip_bfloat16S3_S3_PKfS5_PKvPS1_S8_PvPKiSB_iiiiilll
    .private_segment_fixed_size: 0
    .sgpr_count:     71
    .sgpr_spill_count: 0
    .symbol:         _ZN12_GLOBAL__N_139chunk_gated_delta_rule_fwd_h_hip_kernelILi64ELb0ELb1ELb0ELb0ELb0ELb0ELb1ELb1EEEvPK12hip_bfloat16S3_S3_PKfS5_PKvPS1_S8_PvPKiSB_iiiiilll.kd
    .uniform_work_group_size: 1
    .uses_dynamic_stack: false
    .vgpr_count:     216
    .vgpr_spill_count: 0
    .wavefront_size: 64
  - .agpr_count:     36
    .args:
      - .actual_access:  read_only
        .address_space:  global
        .offset:         0
        .size:           8
        .value_kind:     global_buffer
      - .actual_access:  read_only
        .address_space:  global
        .offset:         8
        .size:           8
        .value_kind:     global_buffer
      - .actual_access:  read_only
        .address_space:  global
        .offset:         16
        .size:           8
        .value_kind:     global_buffer
      - .actual_access:  read_only
        .address_space:  global
        .offset:         24
        .size:           8
        .value_kind:     global_buffer
      - .actual_access:  read_only
        .address_space:  global
        .offset:         32
        .size:           8
        .value_kind:     global_buffer
      - .actual_access:  read_only
        .address_space:  global
        .offset:         40
        .size:           8
        .value_kind:     global_buffer
      - .actual_access:  write_only
        .address_space:  global
        .offset:         48
        .size:           8
        .value_kind:     global_buffer
      - .actual_access:  write_only
        .address_space:  global
        .offset:         56
        .size:           8
        .value_kind:     global_buffer
      - .actual_access:  read_only
        .address_space:  global
        .offset:         64
        .size:           8
        .value_kind:     global_buffer
      - .actual_access:  read_only
        .address_space:  global
        .offset:         72
        .size:           8
        .value_kind:     global_buffer
      - .actual_access:  read_only
        .address_space:  global
        .offset:         80
        .size:           8
        .value_kind:     global_buffer
      - .offset:         88
        .size:           4
        .value_kind:     by_value
      - .offset:         92
        .size:           4
        .value_kind:     by_value
      - .offset:         96
        .size:           4
        .value_kind:     by_value
      - .offset:         100
        .size:           4
        .value_kind:     by_value
      - .offset:         104
        .size:           4
        .value_kind:     by_value
      - .offset:         112
        .size:           8
        .value_kind:     by_value
      - .offset:         120
        .size:           8
        .value_kind:     by_value
      - .offset:         128
        .size:           8
        .value_kind:     by_value
    .group_segment_fixed_size: 65536
    .kernarg_segment_align: 8
    .kernarg_segment_size: 136
    .language:       OpenCL C
    .language_version:
      - 2
      - 0
    .max_flat_workgroup_size: 256
    .name:           _ZN12_GLOBAL__N_139chunk_gated_delta_rule_fwd_h_hip_kernelILi64ELb0ELb0ELb1ELb0ELb0ELb0ELb1ELb1EEEvPK12hip_bfloat16S3_S3_PKfS5_PKvPS1_S8_PvPKiSB_iiiiilll
    .private_segment_fixed_size: 0
    .sgpr_count:     71
    .sgpr_spill_count: 0
    .symbol:         _ZN12_GLOBAL__N_139chunk_gated_delta_rule_fwd_h_hip_kernelILi64ELb0ELb0ELb1ELb0ELb0ELb0ELb1ELb1EEEvPK12hip_bfloat16S3_S3_PKfS5_PKvPS1_S8_PvPKiSB_iiiiilll.kd
    .uniform_work_group_size: 1
    .uses_dynamic_stack: false
    .vgpr_count:     216
    .vgpr_spill_count: 0
    .wavefront_size: 64
  - .agpr_count:     36
    .args:
      - .actual_access:  read_only
        .address_space:  global
        .offset:         0
        .size:           8
        .value_kind:     global_buffer
      - .actual_access:  read_only
        .address_space:  global
        .offset:         8
        .size:           8
        .value_kind:     global_buffer
      - .actual_access:  read_only
        .address_space:  global
        .offset:         16
        .size:           8
        .value_kind:     global_buffer
      - .actual_access:  read_only
        .address_space:  global
        .offset:         24
        .size:           8
        .value_kind:     global_buffer
      - .actual_access:  read_only
        .address_space:  global
        .offset:         32
        .size:           8
        .value_kind:     global_buffer
      - .actual_access:  read_only
        .address_space:  global
        .offset:         40
        .size:           8
        .value_kind:     global_buffer
      - .actual_access:  write_only
        .address_space:  global
        .offset:         48
        .size:           8
        .value_kind:     global_buffer
      - .actual_access:  read_only
        .address_space:  global
        .offset:         56
        .size:           8
        .value_kind:     global_buffer
      - .actual_access:  read_only
        .address_space:  global
        .offset:         64
        .size:           8
        .value_kind:     global_buffer
      - .actual_access:  read_only
        .address_space:  global
        .offset:         72
        .size:           8
        .value_kind:     global_buffer
      - .actual_access:  read_only
        .address_space:  global
        .offset:         80
        .size:           8
        .value_kind:     global_buffer
      - .offset:         88
        .size:           4
        .value_kind:     by_value
      - .offset:         92
        .size:           4
        .value_kind:     by_value
      - .offset:         96
        .size:           4
        .value_kind:     by_value
      - .offset:         100
        .size:           4
        .value_kind:     by_value
      - .offset:         104
        .size:           4
        .value_kind:     by_value
      - .offset:         112
        .size:           8
        .value_kind:     by_value
      - .offset:         120
        .size:           8
        .value_kind:     by_value
      - .offset:         128
        .size:           8
        .value_kind:     by_value
    .group_segment_fixed_size: 65536
    .kernarg_segment_align: 8
    .kernarg_segment_size: 136
    .language:       OpenCL C
    .language_version:
      - 2
      - 0
    .max_flat_workgroup_size: 256
    .name:           _ZN12_GLOBAL__N_139chunk_gated_delta_rule_fwd_h_hip_kernelILi64ELb0ELb0ELb0ELb0ELb0ELb0ELb1ELb1EEEvPK12hip_bfloat16S3_S3_PKfS5_PKvPS1_S8_PvPKiSB_iiiiilll
    .private_segment_fixed_size: 0
    .sgpr_count:     69
    .sgpr_spill_count: 0
    .symbol:         _ZN12_GLOBAL__N_139chunk_gated_delta_rule_fwd_h_hip_kernelILi64ELb0ELb0ELb0ELb0ELb0ELb0ELb1ELb1EEEvPK12hip_bfloat16S3_S3_PKfS5_PKvPS1_S8_PvPKiSB_iiiiilll.kd
    .uniform_work_group_size: 1
    .uses_dynamic_stack: false
    .vgpr_count:     216
    .vgpr_spill_count: 0
    .wavefront_size: 64
  - .agpr_count:     36
    .args:
      - .actual_access:  read_only
        .address_space:  global
        .offset:         0
        .size:           8
        .value_kind:     global_buffer
      - .actual_access:  read_only
        .address_space:  global
        .offset:         8
        .size:           8
        .value_kind:     global_buffer
      - .actual_access:  read_only
        .address_space:  global
        .offset:         16
        .size:           8
        .value_kind:     global_buffer
      - .actual_access:  read_only
        .address_space:  global
        .offset:         24
        .size:           8
        .value_kind:     global_buffer
      - .actual_access:  read_only
        .address_space:  global
        .offset:         32
        .size:           8
        .value_kind:     global_buffer
      - .actual_access:  read_only
        .address_space:  global
        .offset:         40
        .size:           8
        .value_kind:     global_buffer
      - .actual_access:  write_only
        .address_space:  global
        .offset:         48
        .size:           8
        .value_kind:     global_buffer
      - .actual_access:  write_only
        .address_space:  global
        .offset:         56
        .size:           8
        .value_kind:     global_buffer
      - .actual_access:  write_only
        .address_space:  global
        .offset:         64
        .size:           8
        .value_kind:     global_buffer
      - .actual_access:  read_only
        .address_space:  global
        .offset:         72
        .size:           8
        .value_kind:     global_buffer
      - .actual_access:  read_only
        .address_space:  global
        .offset:         80
        .size:           8
        .value_kind:     global_buffer
      - .offset:         88
        .size:           4
        .value_kind:     by_value
      - .offset:         92
        .size:           4
        .value_kind:     by_value
      - .offset:         96
        .size:           4
        .value_kind:     by_value
      - .offset:         100
        .size:           4
        .value_kind:     by_value
      - .offset:         104
        .size:           4
        .value_kind:     by_value
      - .offset:         112
        .size:           8
        .value_kind:     by_value
      - .offset:         120
        .size:           8
        .value_kind:     by_value
      - .offset:         128
        .size:           8
        .value_kind:     by_value
    .group_segment_fixed_size: 65536
    .kernarg_segment_align: 8
    .kernarg_segment_size: 136
    .language:       OpenCL C
    .language_version:
      - 2
      - 0
    .max_flat_workgroup_size: 256
    .name:           _ZN12_GLOBAL__N_139chunk_gated_delta_rule_fwd_h_hip_kernelILi64ELb1ELb1ELb1ELb1ELb0ELb0ELb0ELb1EEEvPK12hip_bfloat16S3_S3_PKfS5_PKvPS1_S8_PvPKiSB_iiiiilll
    .private_segment_fixed_size: 0
    .sgpr_count:     73
    .sgpr_spill_count: 0
    .symbol:         _ZN12_GLOBAL__N_139chunk_gated_delta_rule_fwd_h_hip_kernelILi64ELb1ELb1ELb1ELb1ELb0ELb0ELb0ELb1EEEvPK12hip_bfloat16S3_S3_PKfS5_PKvPS1_S8_PvPKiSB_iiiiilll.kd
    .uniform_work_group_size: 1
    .uses_dynamic_stack: false
    .vgpr_count:     228
    .vgpr_spill_count: 0
    .wavefront_size: 64
  - .agpr_count:     36
    .args:
      - .actual_access:  read_only
        .address_space:  global
        .offset:         0
        .size:           8
        .value_kind:     global_buffer
      - .actual_access:  read_only
        .address_space:  global
        .offset:         8
        .size:           8
        .value_kind:     global_buffer
      - .actual_access:  read_only
        .address_space:  global
        .offset:         16
        .size:           8
        .value_kind:     global_buffer
      - .actual_access:  read_only
        .address_space:  global
        .offset:         24
        .size:           8
        .value_kind:     global_buffer
      - .actual_access:  read_only
        .address_space:  global
        .offset:         32
        .size:           8
        .value_kind:     global_buffer
      - .actual_access:  read_only
        .address_space:  global
        .offset:         40
        .size:           8
        .value_kind:     global_buffer
      - .actual_access:  write_only
        .address_space:  global
        .offset:         48
        .size:           8
        .value_kind:     global_buffer
      - .actual_access:  read_only
        .address_space:  global
        .offset:         56
        .size:           8
        .value_kind:     global_buffer
      - .actual_access:  write_only
        .address_space:  global
        .offset:         64
        .size:           8
        .value_kind:     global_buffer
      - .actual_access:  read_only
        .address_space:  global
        .offset:         72
        .size:           8
        .value_kind:     global_buffer
      - .actual_access:  read_only
        .address_space:  global
        .offset:         80
        .size:           8
        .value_kind:     global_buffer
      - .offset:         88
        .size:           4
        .value_kind:     by_value
      - .offset:         92
        .size:           4
        .value_kind:     by_value
      - .offset:         96
        .size:           4
        .value_kind:     by_value
      - .offset:         100
        .size:           4
        .value_kind:     by_value
      - .offset:         104
        .size:           4
        .value_kind:     by_value
      - .offset:         112
        .size:           8
        .value_kind:     by_value
      - .offset:         120
        .size:           8
        .value_kind:     by_value
      - .offset:         128
        .size:           8
        .value_kind:     by_value
    .group_segment_fixed_size: 65536
    .kernarg_segment_align: 8
    .kernarg_segment_size: 136
    .language:       OpenCL C
    .language_version:
      - 2
      - 0
    .max_flat_workgroup_size: 256
    .name:           _ZN12_GLOBAL__N_139chunk_gated_delta_rule_fwd_h_hip_kernelILi64ELb1ELb1ELb0ELb1ELb0ELb0ELb0ELb1EEEvPK12hip_bfloat16S3_S3_PKfS5_PKvPS1_S8_PvPKiSB_iiiiilll
    .private_segment_fixed_size: 0
    .sgpr_count:     71
    .sgpr_spill_count: 0
    .symbol:         _ZN12_GLOBAL__N_139chunk_gated_delta_rule_fwd_h_hip_kernelILi64ELb1ELb1ELb0ELb1ELb0ELb0ELb0ELb1EEEvPK12hip_bfloat16S3_S3_PKfS5_PKvPS1_S8_PvPKiSB_iiiiilll.kd
    .uniform_work_group_size: 1
    .uses_dynamic_stack: false
    .vgpr_count:     224
    .vgpr_spill_count: 0
    .wavefront_size: 64
  - .agpr_count:     36
    .args:
      - .actual_access:  read_only
        .address_space:  global
        .offset:         0
        .size:           8
        .value_kind:     global_buffer
      - .actual_access:  read_only
        .address_space:  global
        .offset:         8
        .size:           8
        .value_kind:     global_buffer
      - .actual_access:  read_only
        .address_space:  global
        .offset:         16
        .size:           8
        .value_kind:     global_buffer
      - .actual_access:  read_only
        .address_space:  global
        .offset:         24
        .size:           8
        .value_kind:     global_buffer
      - .actual_access:  read_only
        .address_space:  global
        .offset:         32
        .size:           8
        .value_kind:     global_buffer
      - .actual_access:  read_only
        .address_space:  global
        .offset:         40
        .size:           8
        .value_kind:     global_buffer
      - .actual_access:  write_only
        .address_space:  global
        .offset:         48
        .size:           8
        .value_kind:     global_buffer
      - .actual_access:  write_only
        .address_space:  global
        .offset:         56
        .size:           8
        .value_kind:     global_buffer
      - .actual_access:  read_only
        .address_space:  global
        .offset:         64
        .size:           8
        .value_kind:     global_buffer
      - .actual_access:  read_only
        .address_space:  global
        .offset:         72
        .size:           8
        .value_kind:     global_buffer
      - .actual_access:  read_only
        .address_space:  global
        .offset:         80
        .size:           8
        .value_kind:     global_buffer
      - .offset:         88
        .size:           4
        .value_kind:     by_value
      - .offset:         92
        .size:           4
        .value_kind:     by_value
      - .offset:         96
        .size:           4
        .value_kind:     by_value
      - .offset:         100
        .size:           4
        .value_kind:     by_value
      - .offset:         104
        .size:           4
        .value_kind:     by_value
      - .offset:         112
        .size:           8
        .value_kind:     by_value
      - .offset:         120
        .size:           8
        .value_kind:     by_value
      - .offset:         128
        .size:           8
        .value_kind:     by_value
    .group_segment_fixed_size: 65536
    .kernarg_segment_align: 8
    .kernarg_segment_size: 136
    .language:       OpenCL C
    .language_version:
      - 2
      - 0
    .max_flat_workgroup_size: 256
    .name:           _ZN12_GLOBAL__N_139chunk_gated_delta_rule_fwd_h_hip_kernelILi64ELb1ELb0ELb1ELb1ELb0ELb0ELb0ELb1EEEvPK12hip_bfloat16S3_S3_PKfS5_PKvPS1_S8_PvPKiSB_iiiiilll
    .private_segment_fixed_size: 0
    .sgpr_count:     69
    .sgpr_spill_count: 0
    .symbol:         _ZN12_GLOBAL__N_139chunk_gated_delta_rule_fwd_h_hip_kernelILi64ELb1ELb0ELb1ELb1ELb0ELb0ELb0ELb1EEEvPK12hip_bfloat16S3_S3_PKfS5_PKvPS1_S8_PvPKiSB_iiiiilll.kd
    .uniform_work_group_size: 1
    .uses_dynamic_stack: false
    .vgpr_count:     216
    .vgpr_spill_count: 0
    .wavefront_size: 64
  - .agpr_count:     36
    .args:
      - .actual_access:  read_only
        .address_space:  global
        .offset:         0
        .size:           8
        .value_kind:     global_buffer
      - .actual_access:  read_only
        .address_space:  global
        .offset:         8
        .size:           8
        .value_kind:     global_buffer
      - .actual_access:  read_only
        .address_space:  global
        .offset:         16
        .size:           8
        .value_kind:     global_buffer
      - .actual_access:  read_only
        .address_space:  global
        .offset:         24
        .size:           8
        .value_kind:     global_buffer
      - .actual_access:  read_only
        .address_space:  global
        .offset:         32
        .size:           8
        .value_kind:     global_buffer
      - .actual_access:  read_only
        .address_space:  global
        .offset:         40
        .size:           8
        .value_kind:     global_buffer
      - .actual_access:  write_only
        .address_space:  global
        .offset:         48
        .size:           8
        .value_kind:     global_buffer
      - .actual_access:  read_only
        .address_space:  global
        .offset:         56
        .size:           8
        .value_kind:     global_buffer
      - .actual_access:  read_only
        .address_space:  global
        .offset:         64
        .size:           8
        .value_kind:     global_buffer
      - .actual_access:  read_only
        .address_space:  global
        .offset:         72
        .size:           8
        .value_kind:     global_buffer
      - .actual_access:  read_only
        .address_space:  global
        .offset:         80
        .size:           8
        .value_kind:     global_buffer
      - .offset:         88
        .size:           4
        .value_kind:     by_value
      - .offset:         92
        .size:           4
        .value_kind:     by_value
      - .offset:         96
        .size:           4
        .value_kind:     by_value
      - .offset:         100
        .size:           4
        .value_kind:     by_value
      - .offset:         104
        .size:           4
        .value_kind:     by_value
      - .offset:         112
        .size:           8
        .value_kind:     by_value
      - .offset:         120
        .size:           8
        .value_kind:     by_value
      - .offset:         128
        .size:           8
        .value_kind:     by_value
    .group_segment_fixed_size: 65536
    .kernarg_segment_align: 8
    .kernarg_segment_size: 136
    .language:       OpenCL C
    .language_version:
      - 2
      - 0
    .max_flat_workgroup_size: 256
    .name:           _ZN12_GLOBAL__N_139chunk_gated_delta_rule_fwd_h_hip_kernelILi64ELb1ELb0ELb0ELb1ELb0ELb0ELb0ELb1EEEvPK12hip_bfloat16S3_S3_PKfS5_PKvPS1_S8_PvPKiSB_iiiiilll
    .private_segment_fixed_size: 0
    .sgpr_count:     67
    .sgpr_spill_count: 0
    .symbol:         _ZN12_GLOBAL__N_139chunk_gated_delta_rule_fwd_h_hip_kernelILi64ELb1ELb0ELb0ELb1ELb0ELb0ELb0ELb1EEEvPK12hip_bfloat16S3_S3_PKfS5_PKvPS1_S8_PvPKiSB_iiiiilll.kd
    .uniform_work_group_size: 1
    .uses_dynamic_stack: false
    .vgpr_count:     216
    .vgpr_spill_count: 0
    .wavefront_size: 64
  - .agpr_count:     36
    .args:
      - .actual_access:  read_only
        .address_space:  global
        .offset:         0
        .size:           8
        .value_kind:     global_buffer
      - .actual_access:  read_only
        .address_space:  global
        .offset:         8
        .size:           8
        .value_kind:     global_buffer
      - .actual_access:  read_only
        .address_space:  global
        .offset:         16
        .size:           8
        .value_kind:     global_buffer
      - .actual_access:  read_only
        .address_space:  global
        .offset:         24
        .size:           8
        .value_kind:     global_buffer
      - .actual_access:  read_only
        .address_space:  global
        .offset:         32
        .size:           8
        .value_kind:     global_buffer
      - .actual_access:  read_only
        .address_space:  global
        .offset:         40
        .size:           8
        .value_kind:     global_buffer
      - .actual_access:  write_only
        .address_space:  global
        .offset:         48
        .size:           8
        .value_kind:     global_buffer
      - .actual_access:  write_only
        .address_space:  global
        .offset:         56
        .size:           8
        .value_kind:     global_buffer
      - .actual_access:  write_only
        .address_space:  global
        .offset:         64
        .size:           8
        .value_kind:     global_buffer
      - .actual_access:  read_only
        .address_space:  global
        .offset:         72
        .size:           8
        .value_kind:     global_buffer
      - .actual_access:  read_only
        .address_space:  global
        .offset:         80
        .size:           8
        .value_kind:     global_buffer
      - .offset:         88
        .size:           4
        .value_kind:     by_value
      - .offset:         92
        .size:           4
        .value_kind:     by_value
      - .offset:         96
        .size:           4
        .value_kind:     by_value
      - .offset:         100
        .size:           4
        .value_kind:     by_value
      - .offset:         104
        .size:           4
        .value_kind:     by_value
      - .offset:         112
        .size:           8
        .value_kind:     by_value
      - .offset:         120
        .size:           8
        .value_kind:     by_value
      - .offset:         128
        .size:           8
        .value_kind:     by_value
    .group_segment_fixed_size: 65536
    .kernarg_segment_align: 8
    .kernarg_segment_size: 136
    .language:       OpenCL C
    .language_version:
      - 2
      - 0
    .max_flat_workgroup_size: 256
    .name:           _ZN12_GLOBAL__N_139chunk_gated_delta_rule_fwd_h_hip_kernelILi64ELb0ELb1ELb1ELb1ELb0ELb0ELb0ELb1EEEvPK12hip_bfloat16S3_S3_PKfS5_PKvPS1_S8_PvPKiSB_iiiiilll
    .private_segment_fixed_size: 0
    .sgpr_count:     73
    .sgpr_spill_count: 0
    .symbol:         _ZN12_GLOBAL__N_139chunk_gated_delta_rule_fwd_h_hip_kernelILi64ELb0ELb1ELb1ELb1ELb0ELb0ELb0ELb1EEEvPK12hip_bfloat16S3_S3_PKfS5_PKvPS1_S8_PvPKiSB_iiiiilll.kd
    .uniform_work_group_size: 1
    .uses_dynamic_stack: false
    .vgpr_count:     216
    .vgpr_spill_count: 0
    .wavefront_size: 64
  - .agpr_count:     36
    .args:
      - .actual_access:  read_only
        .address_space:  global
        .offset:         0
        .size:           8
        .value_kind:     global_buffer
      - .actual_access:  read_only
        .address_space:  global
        .offset:         8
        .size:           8
        .value_kind:     global_buffer
      - .actual_access:  read_only
        .address_space:  global
        .offset:         16
        .size:           8
        .value_kind:     global_buffer
      - .actual_access:  read_only
        .address_space:  global
        .offset:         24
        .size:           8
        .value_kind:     global_buffer
      - .actual_access:  read_only
        .address_space:  global
        .offset:         32
        .size:           8
        .value_kind:     global_buffer
      - .actual_access:  read_only
        .address_space:  global
        .offset:         40
        .size:           8
        .value_kind:     global_buffer
      - .actual_access:  write_only
        .address_space:  global
        .offset:         48
        .size:           8
        .value_kind:     global_buffer
      - .actual_access:  read_only
        .address_space:  global
        .offset:         56
        .size:           8
        .value_kind:     global_buffer
      - .actual_access:  write_only
        .address_space:  global
        .offset:         64
        .size:           8
        .value_kind:     global_buffer
      - .actual_access:  read_only
        .address_space:  global
        .offset:         72
        .size:           8
        .value_kind:     global_buffer
      - .actual_access:  read_only
        .address_space:  global
        .offset:         80
        .size:           8
        .value_kind:     global_buffer
      - .offset:         88
        .size:           4
        .value_kind:     by_value
      - .offset:         92
        .size:           4
        .value_kind:     by_value
      - .offset:         96
        .size:           4
        .value_kind:     by_value
      - .offset:         100
        .size:           4
        .value_kind:     by_value
      - .offset:         104
        .size:           4
        .value_kind:     by_value
      - .offset:         112
        .size:           8
        .value_kind:     by_value
      - .offset:         120
        .size:           8
        .value_kind:     by_value
      - .offset:         128
        .size:           8
        .value_kind:     by_value
    .group_segment_fixed_size: 65536
    .kernarg_segment_align: 8
    .kernarg_segment_size: 136
    .language:       OpenCL C
    .language_version:
      - 2
      - 0
    .max_flat_workgroup_size: 256
    .name:           _ZN12_GLOBAL__N_139chunk_gated_delta_rule_fwd_h_hip_kernelILi64ELb0ELb1ELb0ELb1ELb0ELb0ELb0ELb1EEEvPK12hip_bfloat16S3_S3_PKfS5_PKvPS1_S8_PvPKiSB_iiiiilll
    .private_segment_fixed_size: 0
    .sgpr_count:     71
    .sgpr_spill_count: 0
    .symbol:         _ZN12_GLOBAL__N_139chunk_gated_delta_rule_fwd_h_hip_kernelILi64ELb0ELb1ELb0ELb1ELb0ELb0ELb0ELb1EEEvPK12hip_bfloat16S3_S3_PKfS5_PKvPS1_S8_PvPKiSB_iiiiilll.kd
    .uniform_work_group_size: 1
    .uses_dynamic_stack: false
    .vgpr_count:     216
    .vgpr_spill_count: 0
    .wavefront_size: 64
  - .agpr_count:     36
    .args:
      - .actual_access:  read_only
        .address_space:  global
        .offset:         0
        .size:           8
        .value_kind:     global_buffer
      - .actual_access:  read_only
        .address_space:  global
        .offset:         8
        .size:           8
        .value_kind:     global_buffer
      - .actual_access:  read_only
        .address_space:  global
        .offset:         16
        .size:           8
        .value_kind:     global_buffer
      - .actual_access:  read_only
        .address_space:  global
        .offset:         24
        .size:           8
        .value_kind:     global_buffer
      - .actual_access:  read_only
        .address_space:  global
        .offset:         32
        .size:           8
        .value_kind:     global_buffer
      - .actual_access:  read_only
        .address_space:  global
        .offset:         40
        .size:           8
        .value_kind:     global_buffer
      - .actual_access:  write_only
        .address_space:  global
        .offset:         48
        .size:           8
        .value_kind:     global_buffer
      - .actual_access:  write_only
        .address_space:  global
        .offset:         56
        .size:           8
        .value_kind:     global_buffer
      - .actual_access:  read_only
        .address_space:  global
        .offset:         64
        .size:           8
        .value_kind:     global_buffer
      - .actual_access:  read_only
        .address_space:  global
        .offset:         72
        .size:           8
        .value_kind:     global_buffer
      - .actual_access:  read_only
        .address_space:  global
        .offset:         80
        .size:           8
        .value_kind:     global_buffer
      - .offset:         88
        .size:           4
        .value_kind:     by_value
      - .offset:         92
        .size:           4
        .value_kind:     by_value
      - .offset:         96
        .size:           4
        .value_kind:     by_value
      - .offset:         100
        .size:           4
        .value_kind:     by_value
      - .offset:         104
        .size:           4
        .value_kind:     by_value
      - .offset:         112
        .size:           8
        .value_kind:     by_value
      - .offset:         120
        .size:           8
        .value_kind:     by_value
      - .offset:         128
        .size:           8
        .value_kind:     by_value
    .group_segment_fixed_size: 65536
    .kernarg_segment_align: 8
    .kernarg_segment_size: 136
    .language:       OpenCL C
    .language_version:
      - 2
      - 0
    .max_flat_workgroup_size: 256
    .name:           _ZN12_GLOBAL__N_139chunk_gated_delta_rule_fwd_h_hip_kernelILi64ELb0ELb0ELb1ELb1ELb0ELb0ELb0ELb1EEEvPK12hip_bfloat16S3_S3_PKfS5_PKvPS1_S8_PvPKiSB_iiiiilll
    .private_segment_fixed_size: 0
    .sgpr_count:     68
    .sgpr_spill_count: 0
    .symbol:         _ZN12_GLOBAL__N_139chunk_gated_delta_rule_fwd_h_hip_kernelILi64ELb0ELb0ELb1ELb1ELb0ELb0ELb0ELb1EEEvPK12hip_bfloat16S3_S3_PKfS5_PKvPS1_S8_PvPKiSB_iiiiilll.kd
    .uniform_work_group_size: 1
    .uses_dynamic_stack: false
    .vgpr_count:     216
    .vgpr_spill_count: 0
    .wavefront_size: 64
  - .agpr_count:     36
    .args:
      - .actual_access:  read_only
        .address_space:  global
        .offset:         0
        .size:           8
        .value_kind:     global_buffer
      - .actual_access:  read_only
        .address_space:  global
        .offset:         8
        .size:           8
        .value_kind:     global_buffer
      - .actual_access:  read_only
        .address_space:  global
        .offset:         16
        .size:           8
        .value_kind:     global_buffer
      - .actual_access:  read_only
        .address_space:  global
        .offset:         24
        .size:           8
        .value_kind:     global_buffer
      - .actual_access:  read_only
        .address_space:  global
        .offset:         32
        .size:           8
        .value_kind:     global_buffer
      - .actual_access:  read_only
        .address_space:  global
        .offset:         40
        .size:           8
        .value_kind:     global_buffer
      - .actual_access:  write_only
        .address_space:  global
        .offset:         48
        .size:           8
        .value_kind:     global_buffer
      - .actual_access:  read_only
        .address_space:  global
        .offset:         56
        .size:           8
        .value_kind:     global_buffer
      - .actual_access:  read_only
        .address_space:  global
        .offset:         64
        .size:           8
        .value_kind:     global_buffer
      - .actual_access:  read_only
        .address_space:  global
        .offset:         72
        .size:           8
        .value_kind:     global_buffer
      - .actual_access:  read_only
        .address_space:  global
        .offset:         80
        .size:           8
        .value_kind:     global_buffer
      - .offset:         88
        .size:           4
        .value_kind:     by_value
      - .offset:         92
        .size:           4
        .value_kind:     by_value
      - .offset:         96
        .size:           4
        .value_kind:     by_value
      - .offset:         100
        .size:           4
        .value_kind:     by_value
      - .offset:         104
        .size:           4
        .value_kind:     by_value
      - .offset:         112
        .size:           8
        .value_kind:     by_value
      - .offset:         120
        .size:           8
        .value_kind:     by_value
      - .offset:         128
        .size:           8
        .value_kind:     by_value
    .group_segment_fixed_size: 65536
    .kernarg_segment_align: 8
    .kernarg_segment_size: 136
    .language:       OpenCL C
    .language_version:
      - 2
      - 0
    .max_flat_workgroup_size: 256
    .name:           _ZN12_GLOBAL__N_139chunk_gated_delta_rule_fwd_h_hip_kernelILi64ELb0ELb0ELb0ELb1ELb0ELb0ELb0ELb1EEEvPK12hip_bfloat16S3_S3_PKfS5_PKvPS1_S8_PvPKiSB_iiiiilll
    .private_segment_fixed_size: 0
    .sgpr_count:     66
    .sgpr_spill_count: 0
    .symbol:         _ZN12_GLOBAL__N_139chunk_gated_delta_rule_fwd_h_hip_kernelILi64ELb0ELb0ELb0ELb1ELb0ELb0ELb0ELb1EEEvPK12hip_bfloat16S3_S3_PKfS5_PKvPS1_S8_PvPKiSB_iiiiilll.kd
    .uniform_work_group_size: 1
    .uses_dynamic_stack: false
    .vgpr_count:     216
    .vgpr_spill_count: 0
    .wavefront_size: 64
  - .agpr_count:     36
    .args:
      - .actual_access:  read_only
        .address_space:  global
        .offset:         0
        .size:           8
        .value_kind:     global_buffer
      - .actual_access:  read_only
        .address_space:  global
        .offset:         8
        .size:           8
        .value_kind:     global_buffer
      - .actual_access:  read_only
        .address_space:  global
        .offset:         16
        .size:           8
        .value_kind:     global_buffer
      - .actual_access:  read_only
        .address_space:  global
        .offset:         24
        .size:           8
        .value_kind:     global_buffer
      - .actual_access:  read_only
        .address_space:  global
        .offset:         32
        .size:           8
        .value_kind:     global_buffer
      - .actual_access:  read_only
        .address_space:  global
        .offset:         40
        .size:           8
        .value_kind:     global_buffer
      - .actual_access:  write_only
        .address_space:  global
        .offset:         48
        .size:           8
        .value_kind:     global_buffer
      - .actual_access:  write_only
        .address_space:  global
        .offset:         56
        .size:           8
        .value_kind:     global_buffer
      - .actual_access:  write_only
        .address_space:  global
        .offset:         64
        .size:           8
        .value_kind:     global_buffer
      - .actual_access:  read_only
        .address_space:  global
        .offset:         72
        .size:           8
        .value_kind:     global_buffer
      - .actual_access:  read_only
        .address_space:  global
        .offset:         80
        .size:           8
        .value_kind:     global_buffer
      - .offset:         88
        .size:           4
        .value_kind:     by_value
      - .offset:         92
        .size:           4
        .value_kind:     by_value
      - .offset:         96
        .size:           4
        .value_kind:     by_value
      - .offset:         100
        .size:           4
        .value_kind:     by_value
      - .offset:         104
        .size:           4
        .value_kind:     by_value
      - .offset:         112
        .size:           8
        .value_kind:     by_value
      - .offset:         120
        .size:           8
        .value_kind:     by_value
      - .offset:         128
        .size:           8
        .value_kind:     by_value
    .group_segment_fixed_size: 65536
    .kernarg_segment_align: 8
    .kernarg_segment_size: 136
    .language:       OpenCL C
    .language_version:
      - 2
      - 0
    .max_flat_workgroup_size: 256
    .name:           _ZN12_GLOBAL__N_139chunk_gated_delta_rule_fwd_h_hip_kernelILi64ELb1ELb1ELb1ELb0ELb0ELb0ELb0ELb1EEEvPK12hip_bfloat16S3_S3_PKfS5_PKvPS1_S8_PvPKiSB_iiiiilll
    .private_segment_fixed_size: 0
    .sgpr_count:     78
    .sgpr_spill_count: 0
    .symbol:         _ZN12_GLOBAL__N_139chunk_gated_delta_rule_fwd_h_hip_kernelILi64ELb1ELb1ELb1ELb0ELb0ELb0ELb0ELb1EEEvPK12hip_bfloat16S3_S3_PKfS5_PKvPS1_S8_PvPKiSB_iiiiilll.kd
    .uniform_work_group_size: 1
    .uses_dynamic_stack: false
    .vgpr_count:     228
    .vgpr_spill_count: 0
    .wavefront_size: 64
  - .agpr_count:     36
    .args:
      - .actual_access:  read_only
        .address_space:  global
        .offset:         0
        .size:           8
        .value_kind:     global_buffer
      - .actual_access:  read_only
        .address_space:  global
        .offset:         8
        .size:           8
        .value_kind:     global_buffer
      - .actual_access:  read_only
        .address_space:  global
        .offset:         16
        .size:           8
        .value_kind:     global_buffer
      - .actual_access:  read_only
        .address_space:  global
        .offset:         24
        .size:           8
        .value_kind:     global_buffer
      - .actual_access:  read_only
        .address_space:  global
        .offset:         32
        .size:           8
        .value_kind:     global_buffer
      - .actual_access:  read_only
        .address_space:  global
        .offset:         40
        .size:           8
        .value_kind:     global_buffer
      - .actual_access:  write_only
        .address_space:  global
        .offset:         48
        .size:           8
        .value_kind:     global_buffer
      - .actual_access:  read_only
        .address_space:  global
        .offset:         56
        .size:           8
        .value_kind:     global_buffer
      - .actual_access:  write_only
        .address_space:  global
        .offset:         64
        .size:           8
        .value_kind:     global_buffer
      - .actual_access:  read_only
        .address_space:  global
        .offset:         72
        .size:           8
        .value_kind:     global_buffer
      - .actual_access:  read_only
        .address_space:  global
        .offset:         80
        .size:           8
        .value_kind:     global_buffer
      - .offset:         88
        .size:           4
        .value_kind:     by_value
      - .offset:         92
        .size:           4
        .value_kind:     by_value
      - .offset:         96
        .size:           4
        .value_kind:     by_value
      - .offset:         100
        .size:           4
        .value_kind:     by_value
      - .offset:         104
        .size:           4
        .value_kind:     by_value
      - .offset:         112
        .size:           8
        .value_kind:     by_value
      - .offset:         120
        .size:           8
        .value_kind:     by_value
      - .offset:         128
        .size:           8
        .value_kind:     by_value
    .group_segment_fixed_size: 65536
    .kernarg_segment_align: 8
    .kernarg_segment_size: 136
    .language:       OpenCL C
    .language_version:
      - 2
      - 0
    .max_flat_workgroup_size: 256
    .name:           _ZN12_GLOBAL__N_139chunk_gated_delta_rule_fwd_h_hip_kernelILi64ELb1ELb1ELb0ELb0ELb0ELb0ELb0ELb1EEEvPK12hip_bfloat16S3_S3_PKfS5_PKvPS1_S8_PvPKiSB_iiiiilll
    .private_segment_fixed_size: 0
    .sgpr_count:     76
    .sgpr_spill_count: 0
    .symbol:         _ZN12_GLOBAL__N_139chunk_gated_delta_rule_fwd_h_hip_kernelILi64ELb1ELb1ELb0ELb0ELb0ELb0ELb0ELb1EEEvPK12hip_bfloat16S3_S3_PKfS5_PKvPS1_S8_PvPKiSB_iiiiilll.kd
    .uniform_work_group_size: 1
    .uses_dynamic_stack: false
    .vgpr_count:     224
    .vgpr_spill_count: 0
    .wavefront_size: 64
  - .agpr_count:     36
    .args:
      - .actual_access:  read_only
        .address_space:  global
        .offset:         0
        .size:           8
        .value_kind:     global_buffer
      - .actual_access:  read_only
        .address_space:  global
        .offset:         8
        .size:           8
        .value_kind:     global_buffer
      - .actual_access:  read_only
        .address_space:  global
        .offset:         16
        .size:           8
        .value_kind:     global_buffer
      - .actual_access:  read_only
        .address_space:  global
        .offset:         24
        .size:           8
        .value_kind:     global_buffer
      - .actual_access:  read_only
        .address_space:  global
        .offset:         32
        .size:           8
        .value_kind:     global_buffer
      - .actual_access:  read_only
        .address_space:  global
        .offset:         40
        .size:           8
        .value_kind:     global_buffer
      - .actual_access:  write_only
        .address_space:  global
        .offset:         48
        .size:           8
        .value_kind:     global_buffer
      - .actual_access:  write_only
        .address_space:  global
        .offset:         56
        .size:           8
        .value_kind:     global_buffer
      - .actual_access:  read_only
        .address_space:  global
        .offset:         64
        .size:           8
        .value_kind:     global_buffer
      - .actual_access:  read_only
        .address_space:  global
        .offset:         72
        .size:           8
        .value_kind:     global_buffer
      - .actual_access:  read_only
        .address_space:  global
        .offset:         80
        .size:           8
        .value_kind:     global_buffer
      - .offset:         88
        .size:           4
        .value_kind:     by_value
      - .offset:         92
        .size:           4
        .value_kind:     by_value
      - .offset:         96
        .size:           4
        .value_kind:     by_value
      - .offset:         100
        .size:           4
        .value_kind:     by_value
      - .offset:         104
        .size:           4
        .value_kind:     by_value
      - .offset:         112
        .size:           8
        .value_kind:     by_value
      - .offset:         120
        .size:           8
        .value_kind:     by_value
      - .offset:         128
        .size:           8
        .value_kind:     by_value
    .group_segment_fixed_size: 65536
    .kernarg_segment_align: 8
    .kernarg_segment_size: 136
    .language:       OpenCL C
    .language_version:
      - 2
      - 0
    .max_flat_workgroup_size: 256
    .name:           _ZN12_GLOBAL__N_139chunk_gated_delta_rule_fwd_h_hip_kernelILi64ELb1ELb0ELb1ELb0ELb0ELb0ELb0ELb1EEEvPK12hip_bfloat16S3_S3_PKfS5_PKvPS1_S8_PvPKiSB_iiiiilll
    .private_segment_fixed_size: 0
    .sgpr_count:     74
    .sgpr_spill_count: 0
    .symbol:         _ZN12_GLOBAL__N_139chunk_gated_delta_rule_fwd_h_hip_kernelILi64ELb1ELb0ELb1ELb0ELb0ELb0ELb0ELb1EEEvPK12hip_bfloat16S3_S3_PKfS5_PKvPS1_S8_PvPKiSB_iiiiilll.kd
    .uniform_work_group_size: 1
    .uses_dynamic_stack: false
    .vgpr_count:     216
    .vgpr_spill_count: 0
    .wavefront_size: 64
  - .agpr_count:     36
    .args:
      - .actual_access:  read_only
        .address_space:  global
        .offset:         0
        .size:           8
        .value_kind:     global_buffer
      - .actual_access:  read_only
        .address_space:  global
        .offset:         8
        .size:           8
        .value_kind:     global_buffer
      - .actual_access:  read_only
        .address_space:  global
        .offset:         16
        .size:           8
        .value_kind:     global_buffer
      - .actual_access:  read_only
        .address_space:  global
        .offset:         24
        .size:           8
        .value_kind:     global_buffer
      - .actual_access:  read_only
        .address_space:  global
        .offset:         32
        .size:           8
        .value_kind:     global_buffer
      - .actual_access:  read_only
        .address_space:  global
        .offset:         40
        .size:           8
        .value_kind:     global_buffer
      - .actual_access:  write_only
        .address_space:  global
        .offset:         48
        .size:           8
        .value_kind:     global_buffer
      - .actual_access:  read_only
        .address_space:  global
        .offset:         56
        .size:           8
        .value_kind:     global_buffer
      - .actual_access:  read_only
        .address_space:  global
        .offset:         64
        .size:           8
        .value_kind:     global_buffer
      - .actual_access:  read_only
        .address_space:  global
        .offset:         72
        .size:           8
        .value_kind:     global_buffer
      - .actual_access:  read_only
        .address_space:  global
        .offset:         80
        .size:           8
        .value_kind:     global_buffer
      - .offset:         88
        .size:           4
        .value_kind:     by_value
      - .offset:         92
        .size:           4
        .value_kind:     by_value
      - .offset:         96
        .size:           4
        .value_kind:     by_value
      - .offset:         100
        .size:           4
        .value_kind:     by_value
      - .offset:         104
        .size:           4
        .value_kind:     by_value
      - .offset:         112
        .size:           8
        .value_kind:     by_value
      - .offset:         120
        .size:           8
        .value_kind:     by_value
      - .offset:         128
        .size:           8
        .value_kind:     by_value
    .group_segment_fixed_size: 65536
    .kernarg_segment_align: 8
    .kernarg_segment_size: 136
    .language:       OpenCL C
    .language_version:
      - 2
      - 0
    .max_flat_workgroup_size: 256
    .name:           _ZN12_GLOBAL__N_139chunk_gated_delta_rule_fwd_h_hip_kernelILi64ELb1ELb0ELb0ELb0ELb0ELb0ELb0ELb1EEEvPK12hip_bfloat16S3_S3_PKfS5_PKvPS1_S8_PvPKiSB_iiiiilll
    .private_segment_fixed_size: 0
    .sgpr_count:     72
    .sgpr_spill_count: 0
    .symbol:         _ZN12_GLOBAL__N_139chunk_gated_delta_rule_fwd_h_hip_kernelILi64ELb1ELb0ELb0ELb0ELb0ELb0ELb0ELb1EEEvPK12hip_bfloat16S3_S3_PKfS5_PKvPS1_S8_PvPKiSB_iiiiilll.kd
    .uniform_work_group_size: 1
    .uses_dynamic_stack: false
    .vgpr_count:     216
    .vgpr_spill_count: 0
    .wavefront_size: 64
  - .agpr_count:     36
    .args:
      - .actual_access:  read_only
        .address_space:  global
        .offset:         0
        .size:           8
        .value_kind:     global_buffer
      - .actual_access:  read_only
        .address_space:  global
        .offset:         8
        .size:           8
        .value_kind:     global_buffer
      - .actual_access:  read_only
        .address_space:  global
        .offset:         16
        .size:           8
        .value_kind:     global_buffer
      - .actual_access:  read_only
        .address_space:  global
        .offset:         24
        .size:           8
        .value_kind:     global_buffer
      - .actual_access:  read_only
        .address_space:  global
        .offset:         32
        .size:           8
        .value_kind:     global_buffer
      - .actual_access:  read_only
        .address_space:  global
        .offset:         40
        .size:           8
        .value_kind:     global_buffer
      - .actual_access:  write_only
        .address_space:  global
        .offset:         48
        .size:           8
        .value_kind:     global_buffer
      - .actual_access:  write_only
        .address_space:  global
        .offset:         56
        .size:           8
        .value_kind:     global_buffer
      - .actual_access:  write_only
        .address_space:  global
        .offset:         64
        .size:           8
        .value_kind:     global_buffer
      - .actual_access:  read_only
        .address_space:  global
        .offset:         72
        .size:           8
        .value_kind:     global_buffer
      - .actual_access:  read_only
        .address_space:  global
        .offset:         80
        .size:           8
        .value_kind:     global_buffer
      - .offset:         88
        .size:           4
        .value_kind:     by_value
      - .offset:         92
        .size:           4
        .value_kind:     by_value
      - .offset:         96
        .size:           4
        .value_kind:     by_value
      - .offset:         100
        .size:           4
        .value_kind:     by_value
      - .offset:         104
        .size:           4
        .value_kind:     by_value
      - .offset:         112
        .size:           8
        .value_kind:     by_value
      - .offset:         120
        .size:           8
        .value_kind:     by_value
      - .offset:         128
        .size:           8
        .value_kind:     by_value
    .group_segment_fixed_size: 65536
    .kernarg_segment_align: 8
    .kernarg_segment_size: 136
    .language:       OpenCL C
    .language_version:
      - 2
      - 0
    .max_flat_workgroup_size: 256
    .name:           _ZN12_GLOBAL__N_139chunk_gated_delta_rule_fwd_h_hip_kernelILi64ELb0ELb1ELb1ELb0ELb0ELb0ELb0ELb1EEEvPK12hip_bfloat16S3_S3_PKfS5_PKvPS1_S8_PvPKiSB_iiiiilll
    .private_segment_fixed_size: 0
    .sgpr_count:     73
    .sgpr_spill_count: 0
    .symbol:         _ZN12_GLOBAL__N_139chunk_gated_delta_rule_fwd_h_hip_kernelILi64ELb0ELb1ELb1ELb0ELb0ELb0ELb0ELb1EEEvPK12hip_bfloat16S3_S3_PKfS5_PKvPS1_S8_PvPKiSB_iiiiilll.kd
    .uniform_work_group_size: 1
    .uses_dynamic_stack: false
    .vgpr_count:     216
    .vgpr_spill_count: 0
    .wavefront_size: 64
  - .agpr_count:     36
    .args:
      - .actual_access:  read_only
        .address_space:  global
        .offset:         0
        .size:           8
        .value_kind:     global_buffer
      - .actual_access:  read_only
        .address_space:  global
        .offset:         8
        .size:           8
        .value_kind:     global_buffer
      - .actual_access:  read_only
        .address_space:  global
        .offset:         16
        .size:           8
        .value_kind:     global_buffer
      - .actual_access:  read_only
        .address_space:  global
        .offset:         24
        .size:           8
        .value_kind:     global_buffer
      - .actual_access:  read_only
        .address_space:  global
        .offset:         32
        .size:           8
        .value_kind:     global_buffer
      - .actual_access:  read_only
        .address_space:  global
        .offset:         40
        .size:           8
        .value_kind:     global_buffer
      - .actual_access:  write_only
        .address_space:  global
        .offset:         48
        .size:           8
        .value_kind:     global_buffer
      - .actual_access:  read_only
        .address_space:  global
        .offset:         56
        .size:           8
        .value_kind:     global_buffer
      - .actual_access:  write_only
        .address_space:  global
        .offset:         64
        .size:           8
        .value_kind:     global_buffer
      - .actual_access:  read_only
        .address_space:  global
        .offset:         72
        .size:           8
        .value_kind:     global_buffer
      - .actual_access:  read_only
        .address_space:  global
        .offset:         80
        .size:           8
        .value_kind:     global_buffer
      - .offset:         88
        .size:           4
        .value_kind:     by_value
      - .offset:         92
        .size:           4
        .value_kind:     by_value
      - .offset:         96
        .size:           4
        .value_kind:     by_value
      - .offset:         100
        .size:           4
        .value_kind:     by_value
      - .offset:         104
        .size:           4
        .value_kind:     by_value
      - .offset:         112
        .size:           8
        .value_kind:     by_value
      - .offset:         120
        .size:           8
        .value_kind:     by_value
      - .offset:         128
        .size:           8
        .value_kind:     by_value
    .group_segment_fixed_size: 65536
    .kernarg_segment_align: 8
    .kernarg_segment_size: 136
    .language:       OpenCL C
    .language_version:
      - 2
      - 0
    .max_flat_workgroup_size: 256
    .name:           _ZN12_GLOBAL__N_139chunk_gated_delta_rule_fwd_h_hip_kernelILi64ELb0ELb1ELb0ELb0ELb0ELb0ELb0ELb1EEEvPK12hip_bfloat16S3_S3_PKfS5_PKvPS1_S8_PvPKiSB_iiiiilll
    .private_segment_fixed_size: 0
    .sgpr_count:     71
    .sgpr_spill_count: 0
    .symbol:         _ZN12_GLOBAL__N_139chunk_gated_delta_rule_fwd_h_hip_kernelILi64ELb0ELb1ELb0ELb0ELb0ELb0ELb0ELb1EEEvPK12hip_bfloat16S3_S3_PKfS5_PKvPS1_S8_PvPKiSB_iiiiilll.kd
    .uniform_work_group_size: 1
    .uses_dynamic_stack: false
    .vgpr_count:     216
    .vgpr_spill_count: 0
    .wavefront_size: 64
  - .agpr_count:     36
    .args:
      - .actual_access:  read_only
        .address_space:  global
        .offset:         0
        .size:           8
        .value_kind:     global_buffer
      - .actual_access:  read_only
        .address_space:  global
        .offset:         8
        .size:           8
        .value_kind:     global_buffer
      - .actual_access:  read_only
        .address_space:  global
        .offset:         16
        .size:           8
        .value_kind:     global_buffer
      - .actual_access:  read_only
        .address_space:  global
        .offset:         24
        .size:           8
        .value_kind:     global_buffer
      - .actual_access:  read_only
        .address_space:  global
        .offset:         32
        .size:           8
        .value_kind:     global_buffer
      - .actual_access:  read_only
        .address_space:  global
        .offset:         40
        .size:           8
        .value_kind:     global_buffer
      - .actual_access:  write_only
        .address_space:  global
        .offset:         48
        .size:           8
        .value_kind:     global_buffer
      - .actual_access:  write_only
        .address_space:  global
        .offset:         56
        .size:           8
        .value_kind:     global_buffer
      - .actual_access:  read_only
        .address_space:  global
        .offset:         64
        .size:           8
        .value_kind:     global_buffer
      - .actual_access:  read_only
        .address_space:  global
        .offset:         72
        .size:           8
        .value_kind:     global_buffer
      - .actual_access:  read_only
        .address_space:  global
        .offset:         80
        .size:           8
        .value_kind:     global_buffer
      - .offset:         88
        .size:           4
        .value_kind:     by_value
      - .offset:         92
        .size:           4
        .value_kind:     by_value
      - .offset:         96
        .size:           4
        .value_kind:     by_value
      - .offset:         100
        .size:           4
        .value_kind:     by_value
      - .offset:         104
        .size:           4
        .value_kind:     by_value
      - .offset:         112
        .size:           8
        .value_kind:     by_value
      - .offset:         120
        .size:           8
        .value_kind:     by_value
      - .offset:         128
        .size:           8
        .value_kind:     by_value
    .group_segment_fixed_size: 65536
    .kernarg_segment_align: 8
    .kernarg_segment_size: 136
    .language:       OpenCL C
    .language_version:
      - 2
      - 0
    .max_flat_workgroup_size: 256
    .name:           _ZN12_GLOBAL__N_139chunk_gated_delta_rule_fwd_h_hip_kernelILi64ELb0ELb0ELb1ELb0ELb0ELb0ELb0ELb1EEEvPK12hip_bfloat16S3_S3_PKfS5_PKvPS1_S8_PvPKiSB_iiiiilll
    .private_segment_fixed_size: 0
    .sgpr_count:     71
    .sgpr_spill_count: 0
    .symbol:         _ZN12_GLOBAL__N_139chunk_gated_delta_rule_fwd_h_hip_kernelILi64ELb0ELb0ELb1ELb0ELb0ELb0ELb0ELb1EEEvPK12hip_bfloat16S3_S3_PKfS5_PKvPS1_S8_PvPKiSB_iiiiilll.kd
    .uniform_work_group_size: 1
    .uses_dynamic_stack: false
    .vgpr_count:     216
    .vgpr_spill_count: 0
    .wavefront_size: 64
  - .agpr_count:     36
    .args:
      - .actual_access:  read_only
        .address_space:  global
        .offset:         0
        .size:           8
        .value_kind:     global_buffer
      - .actual_access:  read_only
        .address_space:  global
        .offset:         8
        .size:           8
        .value_kind:     global_buffer
      - .actual_access:  read_only
        .address_space:  global
        .offset:         16
        .size:           8
        .value_kind:     global_buffer
      - .actual_access:  read_only
        .address_space:  global
        .offset:         24
        .size:           8
        .value_kind:     global_buffer
      - .actual_access:  read_only
        .address_space:  global
        .offset:         32
        .size:           8
        .value_kind:     global_buffer
      - .actual_access:  read_only
        .address_space:  global
        .offset:         40
        .size:           8
        .value_kind:     global_buffer
      - .actual_access:  write_only
        .address_space:  global
        .offset:         48
        .size:           8
        .value_kind:     global_buffer
      - .actual_access:  read_only
        .address_space:  global
        .offset:         56
        .size:           8
        .value_kind:     global_buffer
      - .actual_access:  read_only
        .address_space:  global
        .offset:         64
        .size:           8
        .value_kind:     global_buffer
      - .actual_access:  read_only
        .address_space:  global
        .offset:         72
        .size:           8
        .value_kind:     global_buffer
      - .actual_access:  read_only
        .address_space:  global
        .offset:         80
        .size:           8
        .value_kind:     global_buffer
      - .offset:         88
        .size:           4
        .value_kind:     by_value
      - .offset:         92
        .size:           4
        .value_kind:     by_value
      - .offset:         96
        .size:           4
        .value_kind:     by_value
      - .offset:         100
        .size:           4
        .value_kind:     by_value
      - .offset:         104
        .size:           4
        .value_kind:     by_value
      - .offset:         112
        .size:           8
        .value_kind:     by_value
      - .offset:         120
        .size:           8
        .value_kind:     by_value
      - .offset:         128
        .size:           8
        .value_kind:     by_value
    .group_segment_fixed_size: 65536
    .kernarg_segment_align: 8
    .kernarg_segment_size: 136
    .language:       OpenCL C
    .language_version:
      - 2
      - 0
    .max_flat_workgroup_size: 256
    .name:           _ZN12_GLOBAL__N_139chunk_gated_delta_rule_fwd_h_hip_kernelILi64ELb0ELb0ELb0ELb0ELb0ELb0ELb0ELb1EEEvPK12hip_bfloat16S3_S3_PKfS5_PKvPS1_S8_PvPKiSB_iiiiilll
    .private_segment_fixed_size: 0
    .sgpr_count:     69
    .sgpr_spill_count: 0
    .symbol:         _ZN12_GLOBAL__N_139chunk_gated_delta_rule_fwd_h_hip_kernelILi64ELb0ELb0ELb0ELb0ELb0ELb0ELb0ELb1EEEvPK12hip_bfloat16S3_S3_PKfS5_PKvPS1_S8_PvPKiSB_iiiiilll.kd
    .uniform_work_group_size: 1
    .uses_dynamic_stack: false
    .vgpr_count:     216
    .vgpr_spill_count: 0
    .wavefront_size: 64
  - .agpr_count:     40
    .args:
      - .actual_access:  read_only
        .address_space:  global
        .offset:         0
        .size:           8
        .value_kind:     global_buffer
      - .actual_access:  read_only
        .address_space:  global
        .offset:         8
        .size:           8
        .value_kind:     global_buffer
      - .actual_access:  read_only
        .address_space:  global
        .offset:         16
        .size:           8
        .value_kind:     global_buffer
      - .actual_access:  read_only
        .address_space:  global
        .offset:         24
        .size:           8
        .value_kind:     global_buffer
      - .actual_access:  read_only
        .address_space:  global
        .offset:         32
        .size:           8
        .value_kind:     global_buffer
      - .actual_access:  read_only
        .address_space:  global
        .offset:         40
        .size:           8
        .value_kind:     global_buffer
      - .actual_access:  write_only
        .address_space:  global
        .offset:         48
        .size:           8
        .value_kind:     global_buffer
      - .actual_access:  write_only
        .address_space:  global
        .offset:         56
        .size:           8
        .value_kind:     global_buffer
      - .actual_access:  write_only
        .address_space:  global
        .offset:         64
        .size:           8
        .value_kind:     global_buffer
      - .actual_access:  read_only
        .address_space:  global
        .offset:         72
        .size:           8
        .value_kind:     global_buffer
      - .actual_access:  read_only
        .address_space:  global
        .offset:         80
        .size:           8
        .value_kind:     global_buffer
      - .offset:         88
        .size:           4
        .value_kind:     by_value
      - .offset:         92
        .size:           4
        .value_kind:     by_value
      - .offset:         96
        .size:           4
        .value_kind:     by_value
      - .offset:         100
        .size:           4
        .value_kind:     by_value
      - .offset:         104
        .size:           4
        .value_kind:     by_value
      - .offset:         112
        .size:           8
        .value_kind:     by_value
      - .offset:         120
        .size:           8
        .value_kind:     by_value
      - .offset:         128
        .size:           8
        .value_kind:     by_value
    .group_segment_fixed_size: 65536
    .kernarg_segment_align: 8
    .kernarg_segment_size: 136
    .language:       OpenCL C
    .language_version:
      - 2
      - 0
    .max_flat_workgroup_size: 256
    .name:           _ZN12_GLOBAL__N_139chunk_gated_delta_rule_fwd_h_hip_kernelILi64ELb1ELb1ELb1ELb1ELb1ELb1ELb1ELb0EEEvPK12hip_bfloat16S3_S3_PKfS5_PKvPS1_S8_PvPKiSB_iiiiilll
    .private_segment_fixed_size: 0
    .sgpr_count:     75
    .sgpr_spill_count: 0
    .symbol:         _ZN12_GLOBAL__N_139chunk_gated_delta_rule_fwd_h_hip_kernelILi64ELb1ELb1ELb1ELb1ELb1ELb1ELb1ELb0EEEvPK12hip_bfloat16S3_S3_PKfS5_PKvPS1_S8_PvPKiSB_iiiiilll.kd
    .uniform_work_group_size: 1
    .uses_dynamic_stack: false
    .vgpr_count:     240
    .vgpr_spill_count: 0
    .wavefront_size: 64
  - .agpr_count:     40
    .args:
      - .actual_access:  read_only
        .address_space:  global
        .offset:         0
        .size:           8
        .value_kind:     global_buffer
      - .actual_access:  read_only
        .address_space:  global
        .offset:         8
        .size:           8
        .value_kind:     global_buffer
      - .actual_access:  read_only
        .address_space:  global
        .offset:         16
        .size:           8
        .value_kind:     global_buffer
      - .actual_access:  read_only
        .address_space:  global
        .offset:         24
        .size:           8
        .value_kind:     global_buffer
      - .actual_access:  read_only
        .address_space:  global
        .offset:         32
        .size:           8
        .value_kind:     global_buffer
      - .actual_access:  read_only
        .address_space:  global
        .offset:         40
        .size:           8
        .value_kind:     global_buffer
      - .actual_access:  write_only
        .address_space:  global
        .offset:         48
        .size:           8
        .value_kind:     global_buffer
      - .actual_access:  read_only
        .address_space:  global
        .offset:         56
        .size:           8
        .value_kind:     global_buffer
      - .actual_access:  write_only
        .address_space:  global
        .offset:         64
        .size:           8
        .value_kind:     global_buffer
      - .actual_access:  read_only
        .address_space:  global
        .offset:         72
        .size:           8
        .value_kind:     global_buffer
      - .actual_access:  read_only
        .address_space:  global
        .offset:         80
        .size:           8
        .value_kind:     global_buffer
      - .offset:         88
        .size:           4
        .value_kind:     by_value
      - .offset:         92
        .size:           4
        .value_kind:     by_value
      - .offset:         96
        .size:           4
        .value_kind:     by_value
      - .offset:         100
        .size:           4
        .value_kind:     by_value
      - .offset:         104
        .size:           4
        .value_kind:     by_value
      - .offset:         112
        .size:           8
        .value_kind:     by_value
      - .offset:         120
        .size:           8
        .value_kind:     by_value
      - .offset:         128
        .size:           8
        .value_kind:     by_value
    .group_segment_fixed_size: 65536
    .kernarg_segment_align: 8
    .kernarg_segment_size: 136
    .language:       OpenCL C
    .language_version:
      - 2
      - 0
    .max_flat_workgroup_size: 256
    .name:           _ZN12_GLOBAL__N_139chunk_gated_delta_rule_fwd_h_hip_kernelILi64ELb1ELb1ELb0ELb1ELb1ELb1ELb1ELb0EEEvPK12hip_bfloat16S3_S3_PKfS5_PKvPS1_S8_PvPKiSB_iiiiilll
    .private_segment_fixed_size: 0
    .sgpr_count:     73
    .sgpr_spill_count: 0
    .symbol:         _ZN12_GLOBAL__N_139chunk_gated_delta_rule_fwd_h_hip_kernelILi64ELb1ELb1ELb0ELb1ELb1ELb1ELb1ELb0EEEvPK12hip_bfloat16S3_S3_PKfS5_PKvPS1_S8_PvPKiSB_iiiiilll.kd
    .uniform_work_group_size: 1
    .uses_dynamic_stack: false
    .vgpr_count:     240
    .vgpr_spill_count: 0
    .wavefront_size: 64
  - .agpr_count:     40
    .args:
      - .actual_access:  read_only
        .address_space:  global
        .offset:         0
        .size:           8
        .value_kind:     global_buffer
      - .actual_access:  read_only
        .address_space:  global
        .offset:         8
        .size:           8
        .value_kind:     global_buffer
      - .actual_access:  read_only
        .address_space:  global
        .offset:         16
        .size:           8
        .value_kind:     global_buffer
      - .actual_access:  read_only
        .address_space:  global
        .offset:         24
        .size:           8
        .value_kind:     global_buffer
      - .actual_access:  read_only
        .address_space:  global
        .offset:         32
        .size:           8
        .value_kind:     global_buffer
      - .actual_access:  read_only
        .address_space:  global
        .offset:         40
        .size:           8
        .value_kind:     global_buffer
      - .actual_access:  write_only
        .address_space:  global
        .offset:         48
        .size:           8
        .value_kind:     global_buffer
      - .actual_access:  write_only
        .address_space:  global
        .offset:         56
        .size:           8
        .value_kind:     global_buffer
      - .actual_access:  read_only
        .address_space:  global
        .offset:         64
        .size:           8
        .value_kind:     global_buffer
      - .actual_access:  read_only
        .address_space:  global
        .offset:         72
        .size:           8
        .value_kind:     global_buffer
      - .actual_access:  read_only
        .address_space:  global
        .offset:         80
        .size:           8
        .value_kind:     global_buffer
      - .offset:         88
        .size:           4
        .value_kind:     by_value
      - .offset:         92
        .size:           4
        .value_kind:     by_value
      - .offset:         96
        .size:           4
        .value_kind:     by_value
      - .offset:         100
        .size:           4
        .value_kind:     by_value
      - .offset:         104
        .size:           4
        .value_kind:     by_value
      - .offset:         112
        .size:           8
        .value_kind:     by_value
      - .offset:         120
        .size:           8
        .value_kind:     by_value
      - .offset:         128
        .size:           8
        .value_kind:     by_value
    .group_segment_fixed_size: 65536
    .kernarg_segment_align: 8
    .kernarg_segment_size: 136
    .language:       OpenCL C
    .language_version:
      - 2
      - 0
    .max_flat_workgroup_size: 256
    .name:           _ZN12_GLOBAL__N_139chunk_gated_delta_rule_fwd_h_hip_kernelILi64ELb1ELb0ELb1ELb1ELb1ELb1ELb1ELb0EEEvPK12hip_bfloat16S3_S3_PKfS5_PKvPS1_S8_PvPKiSB_iiiiilll
    .private_segment_fixed_size: 0
    .sgpr_count:     71
    .sgpr_spill_count: 0
    .symbol:         _ZN12_GLOBAL__N_139chunk_gated_delta_rule_fwd_h_hip_kernelILi64ELb1ELb0ELb1ELb1ELb1ELb1ELb1ELb0EEEvPK12hip_bfloat16S3_S3_PKfS5_PKvPS1_S8_PvPKiSB_iiiiilll.kd
    .uniform_work_group_size: 1
    .uses_dynamic_stack: false
    .vgpr_count:     232
    .vgpr_spill_count: 0
    .wavefront_size: 64
  - .agpr_count:     40
    .args:
      - .actual_access:  read_only
        .address_space:  global
        .offset:         0
        .size:           8
        .value_kind:     global_buffer
      - .actual_access:  read_only
        .address_space:  global
        .offset:         8
        .size:           8
        .value_kind:     global_buffer
      - .actual_access:  read_only
        .address_space:  global
        .offset:         16
        .size:           8
        .value_kind:     global_buffer
      - .actual_access:  read_only
        .address_space:  global
        .offset:         24
        .size:           8
        .value_kind:     global_buffer
      - .actual_access:  read_only
        .address_space:  global
        .offset:         32
        .size:           8
        .value_kind:     global_buffer
      - .actual_access:  read_only
        .address_space:  global
        .offset:         40
        .size:           8
        .value_kind:     global_buffer
      - .actual_access:  write_only
        .address_space:  global
        .offset:         48
        .size:           8
        .value_kind:     global_buffer
      - .actual_access:  read_only
        .address_space:  global
        .offset:         56
        .size:           8
        .value_kind:     global_buffer
      - .actual_access:  read_only
        .address_space:  global
        .offset:         64
        .size:           8
        .value_kind:     global_buffer
      - .actual_access:  read_only
        .address_space:  global
        .offset:         72
        .size:           8
        .value_kind:     global_buffer
      - .actual_access:  read_only
        .address_space:  global
        .offset:         80
        .size:           8
        .value_kind:     global_buffer
      - .offset:         88
        .size:           4
        .value_kind:     by_value
      - .offset:         92
        .size:           4
        .value_kind:     by_value
      - .offset:         96
        .size:           4
        .value_kind:     by_value
      - .offset:         100
        .size:           4
        .value_kind:     by_value
      - .offset:         104
        .size:           4
        .value_kind:     by_value
      - .offset:         112
        .size:           8
        .value_kind:     by_value
      - .offset:         120
        .size:           8
        .value_kind:     by_value
      - .offset:         128
        .size:           8
        .value_kind:     by_value
    .group_segment_fixed_size: 65536
    .kernarg_segment_align: 8
    .kernarg_segment_size: 136
    .language:       OpenCL C
    .language_version:
      - 2
      - 0
    .max_flat_workgroup_size: 256
    .name:           _ZN12_GLOBAL__N_139chunk_gated_delta_rule_fwd_h_hip_kernelILi64ELb1ELb0ELb0ELb1ELb1ELb1ELb1ELb0EEEvPK12hip_bfloat16S3_S3_PKfS5_PKvPS1_S8_PvPKiSB_iiiiilll
    .private_segment_fixed_size: 0
    .sgpr_count:     69
    .sgpr_spill_count: 0
    .symbol:         _ZN12_GLOBAL__N_139chunk_gated_delta_rule_fwd_h_hip_kernelILi64ELb1ELb0ELb0ELb1ELb1ELb1ELb1ELb0EEEvPK12hip_bfloat16S3_S3_PKfS5_PKvPS1_S8_PvPKiSB_iiiiilll.kd
    .uniform_work_group_size: 1
    .uses_dynamic_stack: false
    .vgpr_count:     228
    .vgpr_spill_count: 0
    .wavefront_size: 64
  - .agpr_count:     40
    .args:
      - .actual_access:  read_only
        .address_space:  global
        .offset:         0
        .size:           8
        .value_kind:     global_buffer
      - .actual_access:  read_only
        .address_space:  global
        .offset:         8
        .size:           8
        .value_kind:     global_buffer
      - .actual_access:  read_only
        .address_space:  global
        .offset:         16
        .size:           8
        .value_kind:     global_buffer
      - .actual_access:  read_only
        .address_space:  global
        .offset:         24
        .size:           8
        .value_kind:     global_buffer
      - .actual_access:  read_only
        .address_space:  global
        .offset:         32
        .size:           8
        .value_kind:     global_buffer
      - .actual_access:  read_only
        .address_space:  global
        .offset:         40
        .size:           8
        .value_kind:     global_buffer
      - .actual_access:  write_only
        .address_space:  global
        .offset:         48
        .size:           8
        .value_kind:     global_buffer
      - .actual_access:  write_only
        .address_space:  global
        .offset:         56
        .size:           8
        .value_kind:     global_buffer
      - .actual_access:  write_only
        .address_space:  global
        .offset:         64
        .size:           8
        .value_kind:     global_buffer
      - .actual_access:  read_only
        .address_space:  global
        .offset:         72
        .size:           8
        .value_kind:     global_buffer
      - .actual_access:  read_only
        .address_space:  global
        .offset:         80
        .size:           8
        .value_kind:     global_buffer
      - .offset:         88
        .size:           4
        .value_kind:     by_value
      - .offset:         92
        .size:           4
        .value_kind:     by_value
      - .offset:         96
        .size:           4
        .value_kind:     by_value
      - .offset:         100
        .size:           4
        .value_kind:     by_value
      - .offset:         104
        .size:           4
        .value_kind:     by_value
      - .offset:         112
        .size:           8
        .value_kind:     by_value
      - .offset:         120
        .size:           8
        .value_kind:     by_value
      - .offset:         128
        .size:           8
        .value_kind:     by_value
    .group_segment_fixed_size: 65536
    .kernarg_segment_align: 8
    .kernarg_segment_size: 136
    .language:       OpenCL C
    .language_version:
      - 2
      - 0
    .max_flat_workgroup_size: 256
    .name:           _ZN12_GLOBAL__N_139chunk_gated_delta_rule_fwd_h_hip_kernelILi64ELb0ELb1ELb1ELb1ELb1ELb1ELb1ELb0EEEvPK12hip_bfloat16S3_S3_PKfS5_PKvPS1_S8_PvPKiSB_iiiiilll
    .private_segment_fixed_size: 0
    .sgpr_count:     75
    .sgpr_spill_count: 0
    .symbol:         _ZN12_GLOBAL__N_139chunk_gated_delta_rule_fwd_h_hip_kernelILi64ELb0ELb1ELb1ELb1ELb1ELb1ELb1ELb0EEEvPK12hip_bfloat16S3_S3_PKfS5_PKvPS1_S8_PvPKiSB_iiiiilll.kd
    .uniform_work_group_size: 1
    .uses_dynamic_stack: false
    .vgpr_count:     232
    .vgpr_spill_count: 0
    .wavefront_size: 64
  - .agpr_count:     40
    .args:
      - .actual_access:  read_only
        .address_space:  global
        .offset:         0
        .size:           8
        .value_kind:     global_buffer
      - .actual_access:  read_only
        .address_space:  global
        .offset:         8
        .size:           8
        .value_kind:     global_buffer
      - .actual_access:  read_only
        .address_space:  global
        .offset:         16
        .size:           8
        .value_kind:     global_buffer
      - .actual_access:  read_only
        .address_space:  global
        .offset:         24
        .size:           8
        .value_kind:     global_buffer
      - .actual_access:  read_only
        .address_space:  global
        .offset:         32
        .size:           8
        .value_kind:     global_buffer
      - .actual_access:  read_only
        .address_space:  global
        .offset:         40
        .size:           8
        .value_kind:     global_buffer
      - .actual_access:  write_only
        .address_space:  global
        .offset:         48
        .size:           8
        .value_kind:     global_buffer
      - .actual_access:  read_only
        .address_space:  global
        .offset:         56
        .size:           8
        .value_kind:     global_buffer
      - .actual_access:  write_only
        .address_space:  global
        .offset:         64
        .size:           8
        .value_kind:     global_buffer
      - .actual_access:  read_only
        .address_space:  global
        .offset:         72
        .size:           8
        .value_kind:     global_buffer
      - .actual_access:  read_only
        .address_space:  global
        .offset:         80
        .size:           8
        .value_kind:     global_buffer
      - .offset:         88
        .size:           4
        .value_kind:     by_value
      - .offset:         92
        .size:           4
        .value_kind:     by_value
      - .offset:         96
        .size:           4
        .value_kind:     by_value
      - .offset:         100
        .size:           4
        .value_kind:     by_value
      - .offset:         104
        .size:           4
        .value_kind:     by_value
      - .offset:         112
        .size:           8
        .value_kind:     by_value
      - .offset:         120
        .size:           8
        .value_kind:     by_value
      - .offset:         128
        .size:           8
        .value_kind:     by_value
    .group_segment_fixed_size: 65536
    .kernarg_segment_align: 8
    .kernarg_segment_size: 136
    .language:       OpenCL C
    .language_version:
      - 2
      - 0
    .max_flat_workgroup_size: 256
    .name:           _ZN12_GLOBAL__N_139chunk_gated_delta_rule_fwd_h_hip_kernelILi64ELb0ELb1ELb0ELb1ELb1ELb1ELb1ELb0EEEvPK12hip_bfloat16S3_S3_PKfS5_PKvPS1_S8_PvPKiSB_iiiiilll
    .private_segment_fixed_size: 0
    .sgpr_count:     73
    .sgpr_spill_count: 0
    .symbol:         _ZN12_GLOBAL__N_139chunk_gated_delta_rule_fwd_h_hip_kernelILi64ELb0ELb1ELb0ELb1ELb1ELb1ELb1ELb0EEEvPK12hip_bfloat16S3_S3_PKfS5_PKvPS1_S8_PvPKiSB_iiiiilll.kd
    .uniform_work_group_size: 1
    .uses_dynamic_stack: false
    .vgpr_count:     228
    .vgpr_spill_count: 0
    .wavefront_size: 64
  - .agpr_count:     40
    .args:
      - .actual_access:  read_only
        .address_space:  global
        .offset:         0
        .size:           8
        .value_kind:     global_buffer
      - .actual_access:  read_only
        .address_space:  global
        .offset:         8
        .size:           8
        .value_kind:     global_buffer
      - .actual_access:  read_only
        .address_space:  global
        .offset:         16
        .size:           8
        .value_kind:     global_buffer
      - .actual_access:  read_only
        .address_space:  global
        .offset:         24
        .size:           8
        .value_kind:     global_buffer
      - .actual_access:  read_only
        .address_space:  global
        .offset:         32
        .size:           8
        .value_kind:     global_buffer
      - .actual_access:  read_only
        .address_space:  global
        .offset:         40
        .size:           8
        .value_kind:     global_buffer
      - .actual_access:  write_only
        .address_space:  global
        .offset:         48
        .size:           8
        .value_kind:     global_buffer
      - .actual_access:  write_only
        .address_space:  global
        .offset:         56
        .size:           8
        .value_kind:     global_buffer
      - .actual_access:  read_only
        .address_space:  global
        .offset:         64
        .size:           8
        .value_kind:     global_buffer
      - .actual_access:  read_only
        .address_space:  global
        .offset:         72
        .size:           8
        .value_kind:     global_buffer
      - .actual_access:  read_only
        .address_space:  global
        .offset:         80
        .size:           8
        .value_kind:     global_buffer
      - .offset:         88
        .size:           4
        .value_kind:     by_value
      - .offset:         92
        .size:           4
        .value_kind:     by_value
      - .offset:         96
        .size:           4
        .value_kind:     by_value
      - .offset:         100
        .size:           4
        .value_kind:     by_value
      - .offset:         104
        .size:           4
        .value_kind:     by_value
      - .offset:         112
        .size:           8
        .value_kind:     by_value
      - .offset:         120
        .size:           8
        .value_kind:     by_value
      - .offset:         128
        .size:           8
        .value_kind:     by_value
    .group_segment_fixed_size: 65536
    .kernarg_segment_align: 8
    .kernarg_segment_size: 136
    .language:       OpenCL C
    .language_version:
      - 2
      - 0
    .max_flat_workgroup_size: 256
    .name:           _ZN12_GLOBAL__N_139chunk_gated_delta_rule_fwd_h_hip_kernelILi64ELb0ELb0ELb1ELb1ELb1ELb1ELb1ELb0EEEvPK12hip_bfloat16S3_S3_PKfS5_PKvPS1_S8_PvPKiSB_iiiiilll
    .private_segment_fixed_size: 0
    .sgpr_count:     70
    .sgpr_spill_count: 0
    .symbol:         _ZN12_GLOBAL__N_139chunk_gated_delta_rule_fwd_h_hip_kernelILi64ELb0ELb0ELb1ELb1ELb1ELb1ELb1ELb0EEEvPK12hip_bfloat16S3_S3_PKfS5_PKvPS1_S8_PvPKiSB_iiiiilll.kd
    .uniform_work_group_size: 1
    .uses_dynamic_stack: false
    .vgpr_count:     232
    .vgpr_spill_count: 0
    .wavefront_size: 64
  - .agpr_count:     40
    .args:
      - .actual_access:  read_only
        .address_space:  global
        .offset:         0
        .size:           8
        .value_kind:     global_buffer
      - .actual_access:  read_only
        .address_space:  global
        .offset:         8
        .size:           8
        .value_kind:     global_buffer
      - .actual_access:  read_only
        .address_space:  global
        .offset:         16
        .size:           8
        .value_kind:     global_buffer
      - .actual_access:  read_only
        .address_space:  global
        .offset:         24
        .size:           8
        .value_kind:     global_buffer
      - .actual_access:  read_only
        .address_space:  global
        .offset:         32
        .size:           8
        .value_kind:     global_buffer
      - .actual_access:  read_only
        .address_space:  global
        .offset:         40
        .size:           8
        .value_kind:     global_buffer
      - .actual_access:  write_only
        .address_space:  global
        .offset:         48
        .size:           8
        .value_kind:     global_buffer
      - .actual_access:  read_only
        .address_space:  global
        .offset:         56
        .size:           8
        .value_kind:     global_buffer
      - .actual_access:  read_only
        .address_space:  global
        .offset:         64
        .size:           8
        .value_kind:     global_buffer
      - .actual_access:  read_only
        .address_space:  global
        .offset:         72
        .size:           8
        .value_kind:     global_buffer
      - .actual_access:  read_only
        .address_space:  global
        .offset:         80
        .size:           8
        .value_kind:     global_buffer
      - .offset:         88
        .size:           4
        .value_kind:     by_value
      - .offset:         92
        .size:           4
        .value_kind:     by_value
      - .offset:         96
        .size:           4
        .value_kind:     by_value
      - .offset:         100
        .size:           4
        .value_kind:     by_value
      - .offset:         104
        .size:           4
        .value_kind:     by_value
      - .offset:         112
        .size:           8
        .value_kind:     by_value
      - .offset:         120
        .size:           8
        .value_kind:     by_value
      - .offset:         128
        .size:           8
        .value_kind:     by_value
    .group_segment_fixed_size: 65536
    .kernarg_segment_align: 8
    .kernarg_segment_size: 136
    .language:       OpenCL C
    .language_version:
      - 2
      - 0
    .max_flat_workgroup_size: 256
    .name:           _ZN12_GLOBAL__N_139chunk_gated_delta_rule_fwd_h_hip_kernelILi64ELb0ELb0ELb0ELb1ELb1ELb1ELb1ELb0EEEvPK12hip_bfloat16S3_S3_PKfS5_PKvPS1_S8_PvPKiSB_iiiiilll
    .private_segment_fixed_size: 0
    .sgpr_count:     68
    .sgpr_spill_count: 0
    .symbol:         _ZN12_GLOBAL__N_139chunk_gated_delta_rule_fwd_h_hip_kernelILi64ELb0ELb0ELb0ELb1ELb1ELb1ELb1ELb0EEEvPK12hip_bfloat16S3_S3_PKfS5_PKvPS1_S8_PvPKiSB_iiiiilll.kd
    .uniform_work_group_size: 1
    .uses_dynamic_stack: false
    .vgpr_count:     228
    .vgpr_spill_count: 0
    .wavefront_size: 64
  - .agpr_count:     40
    .args:
      - .actual_access:  read_only
        .address_space:  global
        .offset:         0
        .size:           8
        .value_kind:     global_buffer
      - .actual_access:  read_only
        .address_space:  global
        .offset:         8
        .size:           8
        .value_kind:     global_buffer
      - .actual_access:  read_only
        .address_space:  global
        .offset:         16
        .size:           8
        .value_kind:     global_buffer
      - .actual_access:  read_only
        .address_space:  global
        .offset:         24
        .size:           8
        .value_kind:     global_buffer
      - .actual_access:  read_only
        .address_space:  global
        .offset:         32
        .size:           8
        .value_kind:     global_buffer
      - .actual_access:  read_only
        .address_space:  global
        .offset:         40
        .size:           8
        .value_kind:     global_buffer
      - .actual_access:  write_only
        .address_space:  global
        .offset:         48
        .size:           8
        .value_kind:     global_buffer
      - .actual_access:  write_only
        .address_space:  global
        .offset:         56
        .size:           8
        .value_kind:     global_buffer
      - .actual_access:  write_only
        .address_space:  global
        .offset:         64
        .size:           8
        .value_kind:     global_buffer
      - .actual_access:  read_only
        .address_space:  global
        .offset:         72
        .size:           8
        .value_kind:     global_buffer
      - .actual_access:  read_only
        .address_space:  global
        .offset:         80
        .size:           8
        .value_kind:     global_buffer
      - .offset:         88
        .size:           4
        .value_kind:     by_value
      - .offset:         92
        .size:           4
        .value_kind:     by_value
      - .offset:         96
        .size:           4
        .value_kind:     by_value
      - .offset:         100
        .size:           4
        .value_kind:     by_value
      - .offset:         104
        .size:           4
        .value_kind:     by_value
      - .offset:         112
        .size:           8
        .value_kind:     by_value
      - .offset:         120
        .size:           8
        .value_kind:     by_value
      - .offset:         128
        .size:           8
        .value_kind:     by_value
    .group_segment_fixed_size: 65536
    .kernarg_segment_align: 8
    .kernarg_segment_size: 136
    .language:       OpenCL C
    .language_version:
      - 2
      - 0
    .max_flat_workgroup_size: 256
    .name:           _ZN12_GLOBAL__N_139chunk_gated_delta_rule_fwd_h_hip_kernelILi64ELb1ELb1ELb1ELb0ELb1ELb1ELb1ELb0EEEvPK12hip_bfloat16S3_S3_PKfS5_PKvPS1_S8_PvPKiSB_iiiiilll
    .private_segment_fixed_size: 0
    .sgpr_count:     81
    .sgpr_spill_count: 0
    .symbol:         _ZN12_GLOBAL__N_139chunk_gated_delta_rule_fwd_h_hip_kernelILi64ELb1ELb1ELb1ELb0ELb1ELb1ELb1ELb0EEEvPK12hip_bfloat16S3_S3_PKfS5_PKvPS1_S8_PvPKiSB_iiiiilll.kd
    .uniform_work_group_size: 1
    .uses_dynamic_stack: false
    .vgpr_count:     240
    .vgpr_spill_count: 0
    .wavefront_size: 64
  - .agpr_count:     40
    .args:
      - .actual_access:  read_only
        .address_space:  global
        .offset:         0
        .size:           8
        .value_kind:     global_buffer
      - .actual_access:  read_only
        .address_space:  global
        .offset:         8
        .size:           8
        .value_kind:     global_buffer
      - .actual_access:  read_only
        .address_space:  global
        .offset:         16
        .size:           8
        .value_kind:     global_buffer
      - .actual_access:  read_only
        .address_space:  global
        .offset:         24
        .size:           8
        .value_kind:     global_buffer
      - .actual_access:  read_only
        .address_space:  global
        .offset:         32
        .size:           8
        .value_kind:     global_buffer
      - .actual_access:  read_only
        .address_space:  global
        .offset:         40
        .size:           8
        .value_kind:     global_buffer
      - .actual_access:  write_only
        .address_space:  global
        .offset:         48
        .size:           8
        .value_kind:     global_buffer
      - .actual_access:  read_only
        .address_space:  global
        .offset:         56
        .size:           8
        .value_kind:     global_buffer
      - .actual_access:  write_only
        .address_space:  global
        .offset:         64
        .size:           8
        .value_kind:     global_buffer
      - .actual_access:  read_only
        .address_space:  global
        .offset:         72
        .size:           8
        .value_kind:     global_buffer
      - .actual_access:  read_only
        .address_space:  global
        .offset:         80
        .size:           8
        .value_kind:     global_buffer
      - .offset:         88
        .size:           4
        .value_kind:     by_value
      - .offset:         92
        .size:           4
        .value_kind:     by_value
      - .offset:         96
        .size:           4
        .value_kind:     by_value
      - .offset:         100
        .size:           4
        .value_kind:     by_value
      - .offset:         104
        .size:           4
        .value_kind:     by_value
      - .offset:         112
        .size:           8
        .value_kind:     by_value
      - .offset:         120
        .size:           8
        .value_kind:     by_value
      - .offset:         128
        .size:           8
        .value_kind:     by_value
    .group_segment_fixed_size: 65536
    .kernarg_segment_align: 8
    .kernarg_segment_size: 136
    .language:       OpenCL C
    .language_version:
      - 2
      - 0
    .max_flat_workgroup_size: 256
    .name:           _ZN12_GLOBAL__N_139chunk_gated_delta_rule_fwd_h_hip_kernelILi64ELb1ELb1ELb0ELb0ELb1ELb1ELb1ELb0EEEvPK12hip_bfloat16S3_S3_PKfS5_PKvPS1_S8_PvPKiSB_iiiiilll
    .private_segment_fixed_size: 0
    .sgpr_count:     79
    .sgpr_spill_count: 0
    .symbol:         _ZN12_GLOBAL__N_139chunk_gated_delta_rule_fwd_h_hip_kernelILi64ELb1ELb1ELb0ELb0ELb1ELb1ELb1ELb0EEEvPK12hip_bfloat16S3_S3_PKfS5_PKvPS1_S8_PvPKiSB_iiiiilll.kd
    .uniform_work_group_size: 1
    .uses_dynamic_stack: false
    .vgpr_count:     240
    .vgpr_spill_count: 0
    .wavefront_size: 64
  - .agpr_count:     40
    .args:
      - .actual_access:  read_only
        .address_space:  global
        .offset:         0
        .size:           8
        .value_kind:     global_buffer
      - .actual_access:  read_only
        .address_space:  global
        .offset:         8
        .size:           8
        .value_kind:     global_buffer
      - .actual_access:  read_only
        .address_space:  global
        .offset:         16
        .size:           8
        .value_kind:     global_buffer
      - .actual_access:  read_only
        .address_space:  global
        .offset:         24
        .size:           8
        .value_kind:     global_buffer
      - .actual_access:  read_only
        .address_space:  global
        .offset:         32
        .size:           8
        .value_kind:     global_buffer
      - .actual_access:  read_only
        .address_space:  global
        .offset:         40
        .size:           8
        .value_kind:     global_buffer
      - .actual_access:  write_only
        .address_space:  global
        .offset:         48
        .size:           8
        .value_kind:     global_buffer
      - .actual_access:  write_only
        .address_space:  global
        .offset:         56
        .size:           8
        .value_kind:     global_buffer
      - .actual_access:  read_only
        .address_space:  global
        .offset:         64
        .size:           8
        .value_kind:     global_buffer
      - .actual_access:  read_only
        .address_space:  global
        .offset:         72
        .size:           8
        .value_kind:     global_buffer
      - .actual_access:  read_only
        .address_space:  global
        .offset:         80
        .size:           8
        .value_kind:     global_buffer
      - .offset:         88
        .size:           4
        .value_kind:     by_value
      - .offset:         92
        .size:           4
        .value_kind:     by_value
      - .offset:         96
        .size:           4
        .value_kind:     by_value
      - .offset:         100
        .size:           4
        .value_kind:     by_value
      - .offset:         104
        .size:           4
        .value_kind:     by_value
      - .offset:         112
        .size:           8
        .value_kind:     by_value
      - .offset:         120
        .size:           8
        .value_kind:     by_value
      - .offset:         128
        .size:           8
        .value_kind:     by_value
    .group_segment_fixed_size: 65536
    .kernarg_segment_align: 8
    .kernarg_segment_size: 136
    .language:       OpenCL C
    .language_version:
      - 2
      - 0
    .max_flat_workgroup_size: 256
    .name:           _ZN12_GLOBAL__N_139chunk_gated_delta_rule_fwd_h_hip_kernelILi64ELb1ELb0ELb1ELb0ELb1ELb1ELb1ELb0EEEvPK12hip_bfloat16S3_S3_PKfS5_PKvPS1_S8_PvPKiSB_iiiiilll
    .private_segment_fixed_size: 0
    .sgpr_count:     77
    .sgpr_spill_count: 0
    .symbol:         _ZN12_GLOBAL__N_139chunk_gated_delta_rule_fwd_h_hip_kernelILi64ELb1ELb0ELb1ELb0ELb1ELb1ELb1ELb0EEEvPK12hip_bfloat16S3_S3_PKfS5_PKvPS1_S8_PvPKiSB_iiiiilll.kd
    .uniform_work_group_size: 1
    .uses_dynamic_stack: false
    .vgpr_count:     232
    .vgpr_spill_count: 0
    .wavefront_size: 64
  - .agpr_count:     40
    .args:
      - .actual_access:  read_only
        .address_space:  global
        .offset:         0
        .size:           8
        .value_kind:     global_buffer
      - .actual_access:  read_only
        .address_space:  global
        .offset:         8
        .size:           8
        .value_kind:     global_buffer
      - .actual_access:  read_only
        .address_space:  global
        .offset:         16
        .size:           8
        .value_kind:     global_buffer
      - .actual_access:  read_only
        .address_space:  global
        .offset:         24
        .size:           8
        .value_kind:     global_buffer
      - .actual_access:  read_only
        .address_space:  global
        .offset:         32
        .size:           8
        .value_kind:     global_buffer
      - .actual_access:  read_only
        .address_space:  global
        .offset:         40
        .size:           8
        .value_kind:     global_buffer
      - .actual_access:  write_only
        .address_space:  global
        .offset:         48
        .size:           8
        .value_kind:     global_buffer
      - .actual_access:  read_only
        .address_space:  global
        .offset:         56
        .size:           8
        .value_kind:     global_buffer
      - .actual_access:  read_only
        .address_space:  global
        .offset:         64
        .size:           8
        .value_kind:     global_buffer
      - .actual_access:  read_only
        .address_space:  global
        .offset:         72
        .size:           8
        .value_kind:     global_buffer
      - .actual_access:  read_only
        .address_space:  global
        .offset:         80
        .size:           8
        .value_kind:     global_buffer
      - .offset:         88
        .size:           4
        .value_kind:     by_value
      - .offset:         92
        .size:           4
        .value_kind:     by_value
      - .offset:         96
        .size:           4
        .value_kind:     by_value
      - .offset:         100
        .size:           4
        .value_kind:     by_value
      - .offset:         104
        .size:           4
        .value_kind:     by_value
      - .offset:         112
        .size:           8
        .value_kind:     by_value
      - .offset:         120
        .size:           8
        .value_kind:     by_value
      - .offset:         128
        .size:           8
        .value_kind:     by_value
    .group_segment_fixed_size: 65536
    .kernarg_segment_align: 8
    .kernarg_segment_size: 136
    .language:       OpenCL C
    .language_version:
      - 2
      - 0
    .max_flat_workgroup_size: 256
    .name:           _ZN12_GLOBAL__N_139chunk_gated_delta_rule_fwd_h_hip_kernelILi64ELb1ELb0ELb0ELb0ELb1ELb1ELb1ELb0EEEvPK12hip_bfloat16S3_S3_PKfS5_PKvPS1_S8_PvPKiSB_iiiiilll
    .private_segment_fixed_size: 0
    .sgpr_count:     75
    .sgpr_spill_count: 0
    .symbol:         _ZN12_GLOBAL__N_139chunk_gated_delta_rule_fwd_h_hip_kernelILi64ELb1ELb0ELb0ELb0ELb1ELb1ELb1ELb0EEEvPK12hip_bfloat16S3_S3_PKfS5_PKvPS1_S8_PvPKiSB_iiiiilll.kd
    .uniform_work_group_size: 1
    .uses_dynamic_stack: false
    .vgpr_count:     228
    .vgpr_spill_count: 0
    .wavefront_size: 64
  - .agpr_count:     40
    .args:
      - .actual_access:  read_only
        .address_space:  global
        .offset:         0
        .size:           8
        .value_kind:     global_buffer
      - .actual_access:  read_only
        .address_space:  global
        .offset:         8
        .size:           8
        .value_kind:     global_buffer
      - .actual_access:  read_only
        .address_space:  global
        .offset:         16
        .size:           8
        .value_kind:     global_buffer
      - .actual_access:  read_only
        .address_space:  global
        .offset:         24
        .size:           8
        .value_kind:     global_buffer
      - .actual_access:  read_only
        .address_space:  global
        .offset:         32
        .size:           8
        .value_kind:     global_buffer
      - .actual_access:  read_only
        .address_space:  global
        .offset:         40
        .size:           8
        .value_kind:     global_buffer
      - .actual_access:  write_only
        .address_space:  global
        .offset:         48
        .size:           8
        .value_kind:     global_buffer
      - .actual_access:  write_only
        .address_space:  global
        .offset:         56
        .size:           8
        .value_kind:     global_buffer
      - .actual_access:  write_only
        .address_space:  global
        .offset:         64
        .size:           8
        .value_kind:     global_buffer
      - .actual_access:  read_only
        .address_space:  global
        .offset:         72
        .size:           8
        .value_kind:     global_buffer
      - .actual_access:  read_only
        .address_space:  global
        .offset:         80
        .size:           8
        .value_kind:     global_buffer
      - .offset:         88
        .size:           4
        .value_kind:     by_value
      - .offset:         92
        .size:           4
        .value_kind:     by_value
      - .offset:         96
        .size:           4
        .value_kind:     by_value
      - .offset:         100
        .size:           4
        .value_kind:     by_value
      - .offset:         104
        .size:           4
        .value_kind:     by_value
      - .offset:         112
        .size:           8
        .value_kind:     by_value
      - .offset:         120
        .size:           8
        .value_kind:     by_value
      - .offset:         128
        .size:           8
        .value_kind:     by_value
    .group_segment_fixed_size: 65536
    .kernarg_segment_align: 8
    .kernarg_segment_size: 136
    .language:       OpenCL C
    .language_version:
      - 2
      - 0
    .max_flat_workgroup_size: 256
    .name:           _ZN12_GLOBAL__N_139chunk_gated_delta_rule_fwd_h_hip_kernelILi64ELb0ELb1ELb1ELb0ELb1ELb1ELb1ELb0EEEvPK12hip_bfloat16S3_S3_PKfS5_PKvPS1_S8_PvPKiSB_iiiiilll
    .private_segment_fixed_size: 0
    .sgpr_count:     76
    .sgpr_spill_count: 0
    .symbol:         _ZN12_GLOBAL__N_139chunk_gated_delta_rule_fwd_h_hip_kernelILi64ELb0ELb1ELb1ELb0ELb1ELb1ELb1ELb0EEEvPK12hip_bfloat16S3_S3_PKfS5_PKvPS1_S8_PvPKiSB_iiiiilll.kd
    .uniform_work_group_size: 1
    .uses_dynamic_stack: false
    .vgpr_count:     232
    .vgpr_spill_count: 0
    .wavefront_size: 64
  - .agpr_count:     40
    .args:
      - .actual_access:  read_only
        .address_space:  global
        .offset:         0
        .size:           8
        .value_kind:     global_buffer
      - .actual_access:  read_only
        .address_space:  global
        .offset:         8
        .size:           8
        .value_kind:     global_buffer
      - .actual_access:  read_only
        .address_space:  global
        .offset:         16
        .size:           8
        .value_kind:     global_buffer
      - .actual_access:  read_only
        .address_space:  global
        .offset:         24
        .size:           8
        .value_kind:     global_buffer
      - .actual_access:  read_only
        .address_space:  global
        .offset:         32
        .size:           8
        .value_kind:     global_buffer
      - .actual_access:  read_only
        .address_space:  global
        .offset:         40
        .size:           8
        .value_kind:     global_buffer
      - .actual_access:  write_only
        .address_space:  global
        .offset:         48
        .size:           8
        .value_kind:     global_buffer
      - .actual_access:  read_only
        .address_space:  global
        .offset:         56
        .size:           8
        .value_kind:     global_buffer
      - .actual_access:  write_only
        .address_space:  global
        .offset:         64
        .size:           8
        .value_kind:     global_buffer
      - .actual_access:  read_only
        .address_space:  global
        .offset:         72
        .size:           8
        .value_kind:     global_buffer
      - .actual_access:  read_only
        .address_space:  global
        .offset:         80
        .size:           8
        .value_kind:     global_buffer
      - .offset:         88
        .size:           4
        .value_kind:     by_value
      - .offset:         92
        .size:           4
        .value_kind:     by_value
      - .offset:         96
        .size:           4
        .value_kind:     by_value
      - .offset:         100
        .size:           4
        .value_kind:     by_value
      - .offset:         104
        .size:           4
        .value_kind:     by_value
      - .offset:         112
        .size:           8
        .value_kind:     by_value
      - .offset:         120
        .size:           8
        .value_kind:     by_value
      - .offset:         128
        .size:           8
        .value_kind:     by_value
    .group_segment_fixed_size: 65536
    .kernarg_segment_align: 8
    .kernarg_segment_size: 136
    .language:       OpenCL C
    .language_version:
      - 2
      - 0
    .max_flat_workgroup_size: 256
    .name:           _ZN12_GLOBAL__N_139chunk_gated_delta_rule_fwd_h_hip_kernelILi64ELb0ELb1ELb0ELb0ELb1ELb1ELb1ELb0EEEvPK12hip_bfloat16S3_S3_PKfS5_PKvPS1_S8_PvPKiSB_iiiiilll
    .private_segment_fixed_size: 0
    .sgpr_count:     74
    .sgpr_spill_count: 0
    .symbol:         _ZN12_GLOBAL__N_139chunk_gated_delta_rule_fwd_h_hip_kernelILi64ELb0ELb1ELb0ELb0ELb1ELb1ELb1ELb0EEEvPK12hip_bfloat16S3_S3_PKfS5_PKvPS1_S8_PvPKiSB_iiiiilll.kd
    .uniform_work_group_size: 1
    .uses_dynamic_stack: false
    .vgpr_count:     228
    .vgpr_spill_count: 0
    .wavefront_size: 64
  - .agpr_count:     40
    .args:
      - .actual_access:  read_only
        .address_space:  global
        .offset:         0
        .size:           8
        .value_kind:     global_buffer
      - .actual_access:  read_only
        .address_space:  global
        .offset:         8
        .size:           8
        .value_kind:     global_buffer
      - .actual_access:  read_only
        .address_space:  global
        .offset:         16
        .size:           8
        .value_kind:     global_buffer
      - .actual_access:  read_only
        .address_space:  global
        .offset:         24
        .size:           8
        .value_kind:     global_buffer
      - .actual_access:  read_only
        .address_space:  global
        .offset:         32
        .size:           8
        .value_kind:     global_buffer
      - .actual_access:  read_only
        .address_space:  global
        .offset:         40
        .size:           8
        .value_kind:     global_buffer
      - .actual_access:  write_only
        .address_space:  global
        .offset:         48
        .size:           8
        .value_kind:     global_buffer
      - .actual_access:  write_only
        .address_space:  global
        .offset:         56
        .size:           8
        .value_kind:     global_buffer
      - .actual_access:  read_only
        .address_space:  global
        .offset:         64
        .size:           8
        .value_kind:     global_buffer
      - .actual_access:  read_only
        .address_space:  global
        .offset:         72
        .size:           8
        .value_kind:     global_buffer
      - .actual_access:  read_only
        .address_space:  global
        .offset:         80
        .size:           8
        .value_kind:     global_buffer
      - .offset:         88
        .size:           4
        .value_kind:     by_value
      - .offset:         92
        .size:           4
        .value_kind:     by_value
      - .offset:         96
        .size:           4
        .value_kind:     by_value
      - .offset:         100
        .size:           4
        .value_kind:     by_value
      - .offset:         104
        .size:           4
        .value_kind:     by_value
      - .offset:         112
        .size:           8
        .value_kind:     by_value
      - .offset:         120
        .size:           8
        .value_kind:     by_value
      - .offset:         128
        .size:           8
        .value_kind:     by_value
    .group_segment_fixed_size: 65536
    .kernarg_segment_align: 8
    .kernarg_segment_size: 136
    .language:       OpenCL C
    .language_version:
      - 2
      - 0
    .max_flat_workgroup_size: 256
    .name:           _ZN12_GLOBAL__N_139chunk_gated_delta_rule_fwd_h_hip_kernelILi64ELb0ELb0ELb1ELb0ELb1ELb1ELb1ELb0EEEvPK12hip_bfloat16S3_S3_PKfS5_PKvPS1_S8_PvPKiSB_iiiiilll
    .private_segment_fixed_size: 0
    .sgpr_count:     74
    .sgpr_spill_count: 0
    .symbol:         _ZN12_GLOBAL__N_139chunk_gated_delta_rule_fwd_h_hip_kernelILi64ELb0ELb0ELb1ELb0ELb1ELb1ELb1ELb0EEEvPK12hip_bfloat16S3_S3_PKfS5_PKvPS1_S8_PvPKiSB_iiiiilll.kd
    .uniform_work_group_size: 1
    .uses_dynamic_stack: false
    .vgpr_count:     232
    .vgpr_spill_count: 0
    .wavefront_size: 64
  - .agpr_count:     40
    .args:
      - .actual_access:  read_only
        .address_space:  global
        .offset:         0
        .size:           8
        .value_kind:     global_buffer
      - .actual_access:  read_only
        .address_space:  global
        .offset:         8
        .size:           8
        .value_kind:     global_buffer
      - .actual_access:  read_only
        .address_space:  global
        .offset:         16
        .size:           8
        .value_kind:     global_buffer
      - .actual_access:  read_only
        .address_space:  global
        .offset:         24
        .size:           8
        .value_kind:     global_buffer
      - .actual_access:  read_only
        .address_space:  global
        .offset:         32
        .size:           8
        .value_kind:     global_buffer
      - .actual_access:  read_only
        .address_space:  global
        .offset:         40
        .size:           8
        .value_kind:     global_buffer
      - .actual_access:  write_only
        .address_space:  global
        .offset:         48
        .size:           8
        .value_kind:     global_buffer
      - .actual_access:  read_only
        .address_space:  global
        .offset:         56
        .size:           8
        .value_kind:     global_buffer
      - .actual_access:  read_only
        .address_space:  global
        .offset:         64
        .size:           8
        .value_kind:     global_buffer
      - .actual_access:  read_only
        .address_space:  global
        .offset:         72
        .size:           8
        .value_kind:     global_buffer
      - .actual_access:  read_only
        .address_space:  global
        .offset:         80
        .size:           8
        .value_kind:     global_buffer
      - .offset:         88
        .size:           4
        .value_kind:     by_value
      - .offset:         92
        .size:           4
        .value_kind:     by_value
      - .offset:         96
        .size:           4
        .value_kind:     by_value
      - .offset:         100
        .size:           4
        .value_kind:     by_value
      - .offset:         104
        .size:           4
        .value_kind:     by_value
      - .offset:         112
        .size:           8
        .value_kind:     by_value
      - .offset:         120
        .size:           8
        .value_kind:     by_value
      - .offset:         128
        .size:           8
        .value_kind:     by_value
    .group_segment_fixed_size: 65536
    .kernarg_segment_align: 8
    .kernarg_segment_size: 136
    .language:       OpenCL C
    .language_version:
      - 2
      - 0
    .max_flat_workgroup_size: 256
    .name:           _ZN12_GLOBAL__N_139chunk_gated_delta_rule_fwd_h_hip_kernelILi64ELb0ELb0ELb0ELb0ELb1ELb1ELb1ELb0EEEvPK12hip_bfloat16S3_S3_PKfS5_PKvPS1_S8_PvPKiSB_iiiiilll
    .private_segment_fixed_size: 0
    .sgpr_count:     72
    .sgpr_spill_count: 0
    .symbol:         _ZN12_GLOBAL__N_139chunk_gated_delta_rule_fwd_h_hip_kernelILi64ELb0ELb0ELb0ELb0ELb1ELb1ELb1ELb0EEEvPK12hip_bfloat16S3_S3_PKfS5_PKvPS1_S8_PvPKiSB_iiiiilll.kd
    .uniform_work_group_size: 1
    .uses_dynamic_stack: false
    .vgpr_count:     228
    .vgpr_spill_count: 0
    .wavefront_size: 64
  - .agpr_count:     40
    .args:
      - .actual_access:  read_only
        .address_space:  global
        .offset:         0
        .size:           8
        .value_kind:     global_buffer
      - .actual_access:  read_only
        .address_space:  global
        .offset:         8
        .size:           8
        .value_kind:     global_buffer
      - .actual_access:  read_only
        .address_space:  global
        .offset:         16
        .size:           8
        .value_kind:     global_buffer
      - .actual_access:  read_only
        .address_space:  global
        .offset:         24
        .size:           8
        .value_kind:     global_buffer
      - .actual_access:  read_only
        .address_space:  global
        .offset:         32
        .size:           8
        .value_kind:     global_buffer
      - .actual_access:  read_only
        .address_space:  global
        .offset:         40
        .size:           8
        .value_kind:     global_buffer
      - .actual_access:  write_only
        .address_space:  global
        .offset:         48
        .size:           8
        .value_kind:     global_buffer
      - .actual_access:  write_only
        .address_space:  global
        .offset:         56
        .size:           8
        .value_kind:     global_buffer
      - .actual_access:  write_only
        .address_space:  global
        .offset:         64
        .size:           8
        .value_kind:     global_buffer
      - .actual_access:  read_only
        .address_space:  global
        .offset:         72
        .size:           8
        .value_kind:     global_buffer
      - .actual_access:  read_only
        .address_space:  global
        .offset:         80
        .size:           8
        .value_kind:     global_buffer
      - .offset:         88
        .size:           4
        .value_kind:     by_value
      - .offset:         92
        .size:           4
        .value_kind:     by_value
      - .offset:         96
        .size:           4
        .value_kind:     by_value
      - .offset:         100
        .size:           4
        .value_kind:     by_value
      - .offset:         104
        .size:           4
        .value_kind:     by_value
      - .offset:         112
        .size:           8
        .value_kind:     by_value
      - .offset:         120
        .size:           8
        .value_kind:     by_value
      - .offset:         128
        .size:           8
        .value_kind:     by_value
    .group_segment_fixed_size: 65536
    .kernarg_segment_align: 8
    .kernarg_segment_size: 136
    .language:       OpenCL C
    .language_version:
      - 2
      - 0
    .max_flat_workgroup_size: 256
    .name:           _ZN12_GLOBAL__N_139chunk_gated_delta_rule_fwd_h_hip_kernelILi64ELb1ELb1ELb1ELb1ELb1ELb1ELb0ELb0EEEvPK12hip_bfloat16S3_S3_PKfS5_PKvPS1_S8_PvPKiSB_iiiiilll
    .private_segment_fixed_size: 0
    .sgpr_count:     75
    .sgpr_spill_count: 0
    .symbol:         _ZN12_GLOBAL__N_139chunk_gated_delta_rule_fwd_h_hip_kernelILi64ELb1ELb1ELb1ELb1ELb1ELb1ELb0ELb0EEEvPK12hip_bfloat16S3_S3_PKfS5_PKvPS1_S8_PvPKiSB_iiiiilll.kd
    .uniform_work_group_size: 1
    .uses_dynamic_stack: false
    .vgpr_count:     240
    .vgpr_spill_count: 0
    .wavefront_size: 64
  - .agpr_count:     40
    .args:
      - .actual_access:  read_only
        .address_space:  global
        .offset:         0
        .size:           8
        .value_kind:     global_buffer
      - .actual_access:  read_only
        .address_space:  global
        .offset:         8
        .size:           8
        .value_kind:     global_buffer
      - .actual_access:  read_only
        .address_space:  global
        .offset:         16
        .size:           8
        .value_kind:     global_buffer
      - .actual_access:  read_only
        .address_space:  global
        .offset:         24
        .size:           8
        .value_kind:     global_buffer
      - .actual_access:  read_only
        .address_space:  global
        .offset:         32
        .size:           8
        .value_kind:     global_buffer
      - .actual_access:  read_only
        .address_space:  global
        .offset:         40
        .size:           8
        .value_kind:     global_buffer
      - .actual_access:  write_only
        .address_space:  global
        .offset:         48
        .size:           8
        .value_kind:     global_buffer
      - .actual_access:  read_only
        .address_space:  global
        .offset:         56
        .size:           8
        .value_kind:     global_buffer
      - .actual_access:  write_only
        .address_space:  global
        .offset:         64
        .size:           8
        .value_kind:     global_buffer
      - .actual_access:  read_only
        .address_space:  global
        .offset:         72
        .size:           8
        .value_kind:     global_buffer
      - .actual_access:  read_only
        .address_space:  global
        .offset:         80
        .size:           8
        .value_kind:     global_buffer
      - .offset:         88
        .size:           4
        .value_kind:     by_value
      - .offset:         92
        .size:           4
        .value_kind:     by_value
      - .offset:         96
        .size:           4
        .value_kind:     by_value
      - .offset:         100
        .size:           4
        .value_kind:     by_value
      - .offset:         104
        .size:           4
        .value_kind:     by_value
      - .offset:         112
        .size:           8
        .value_kind:     by_value
      - .offset:         120
        .size:           8
        .value_kind:     by_value
      - .offset:         128
        .size:           8
        .value_kind:     by_value
    .group_segment_fixed_size: 65536
    .kernarg_segment_align: 8
    .kernarg_segment_size: 136
    .language:       OpenCL C
    .language_version:
      - 2
      - 0
    .max_flat_workgroup_size: 256
    .name:           _ZN12_GLOBAL__N_139chunk_gated_delta_rule_fwd_h_hip_kernelILi64ELb1ELb1ELb0ELb1ELb1ELb1ELb0ELb0EEEvPK12hip_bfloat16S3_S3_PKfS5_PKvPS1_S8_PvPKiSB_iiiiilll
    .private_segment_fixed_size: 0
    .sgpr_count:     73
    .sgpr_spill_count: 0
    .symbol:         _ZN12_GLOBAL__N_139chunk_gated_delta_rule_fwd_h_hip_kernelILi64ELb1ELb1ELb0ELb1ELb1ELb1ELb0ELb0EEEvPK12hip_bfloat16S3_S3_PKfS5_PKvPS1_S8_PvPKiSB_iiiiilll.kd
    .uniform_work_group_size: 1
    .uses_dynamic_stack: false
    .vgpr_count:     240
    .vgpr_spill_count: 0
    .wavefront_size: 64
  - .agpr_count:     40
    .args:
      - .actual_access:  read_only
        .address_space:  global
        .offset:         0
        .size:           8
        .value_kind:     global_buffer
      - .actual_access:  read_only
        .address_space:  global
        .offset:         8
        .size:           8
        .value_kind:     global_buffer
      - .actual_access:  read_only
        .address_space:  global
        .offset:         16
        .size:           8
        .value_kind:     global_buffer
      - .actual_access:  read_only
        .address_space:  global
        .offset:         24
        .size:           8
        .value_kind:     global_buffer
      - .actual_access:  read_only
        .address_space:  global
        .offset:         32
        .size:           8
        .value_kind:     global_buffer
      - .actual_access:  read_only
        .address_space:  global
        .offset:         40
        .size:           8
        .value_kind:     global_buffer
      - .actual_access:  write_only
        .address_space:  global
        .offset:         48
        .size:           8
        .value_kind:     global_buffer
      - .actual_access:  write_only
        .address_space:  global
        .offset:         56
        .size:           8
        .value_kind:     global_buffer
      - .actual_access:  read_only
        .address_space:  global
        .offset:         64
        .size:           8
        .value_kind:     global_buffer
      - .actual_access:  read_only
        .address_space:  global
        .offset:         72
        .size:           8
        .value_kind:     global_buffer
      - .actual_access:  read_only
        .address_space:  global
        .offset:         80
        .size:           8
        .value_kind:     global_buffer
      - .offset:         88
        .size:           4
        .value_kind:     by_value
      - .offset:         92
        .size:           4
        .value_kind:     by_value
      - .offset:         96
        .size:           4
        .value_kind:     by_value
      - .offset:         100
        .size:           4
        .value_kind:     by_value
      - .offset:         104
        .size:           4
        .value_kind:     by_value
      - .offset:         112
        .size:           8
        .value_kind:     by_value
      - .offset:         120
        .size:           8
        .value_kind:     by_value
      - .offset:         128
        .size:           8
        .value_kind:     by_value
    .group_segment_fixed_size: 65536
    .kernarg_segment_align: 8
    .kernarg_segment_size: 136
    .language:       OpenCL C
    .language_version:
      - 2
      - 0
    .max_flat_workgroup_size: 256
    .name:           _ZN12_GLOBAL__N_139chunk_gated_delta_rule_fwd_h_hip_kernelILi64ELb1ELb0ELb1ELb1ELb1ELb1ELb0ELb0EEEvPK12hip_bfloat16S3_S3_PKfS5_PKvPS1_S8_PvPKiSB_iiiiilll
    .private_segment_fixed_size: 0
    .sgpr_count:     71
    .sgpr_spill_count: 0
    .symbol:         _ZN12_GLOBAL__N_139chunk_gated_delta_rule_fwd_h_hip_kernelILi64ELb1ELb0ELb1ELb1ELb1ELb1ELb0ELb0EEEvPK12hip_bfloat16S3_S3_PKfS5_PKvPS1_S8_PvPKiSB_iiiiilll.kd
    .uniform_work_group_size: 1
    .uses_dynamic_stack: false
    .vgpr_count:     232
    .vgpr_spill_count: 0
    .wavefront_size: 64
  - .agpr_count:     40
    .args:
      - .actual_access:  read_only
        .address_space:  global
        .offset:         0
        .size:           8
        .value_kind:     global_buffer
      - .actual_access:  read_only
        .address_space:  global
        .offset:         8
        .size:           8
        .value_kind:     global_buffer
      - .actual_access:  read_only
        .address_space:  global
        .offset:         16
        .size:           8
        .value_kind:     global_buffer
      - .actual_access:  read_only
        .address_space:  global
        .offset:         24
        .size:           8
        .value_kind:     global_buffer
      - .actual_access:  read_only
        .address_space:  global
        .offset:         32
        .size:           8
        .value_kind:     global_buffer
      - .actual_access:  read_only
        .address_space:  global
        .offset:         40
        .size:           8
        .value_kind:     global_buffer
      - .actual_access:  write_only
        .address_space:  global
        .offset:         48
        .size:           8
        .value_kind:     global_buffer
      - .actual_access:  read_only
        .address_space:  global
        .offset:         56
        .size:           8
        .value_kind:     global_buffer
      - .actual_access:  read_only
        .address_space:  global
        .offset:         64
        .size:           8
        .value_kind:     global_buffer
      - .actual_access:  read_only
        .address_space:  global
        .offset:         72
        .size:           8
        .value_kind:     global_buffer
      - .actual_access:  read_only
        .address_space:  global
        .offset:         80
        .size:           8
        .value_kind:     global_buffer
      - .offset:         88
        .size:           4
        .value_kind:     by_value
      - .offset:         92
        .size:           4
        .value_kind:     by_value
      - .offset:         96
        .size:           4
        .value_kind:     by_value
      - .offset:         100
        .size:           4
        .value_kind:     by_value
      - .offset:         104
        .size:           4
        .value_kind:     by_value
      - .offset:         112
        .size:           8
        .value_kind:     by_value
      - .offset:         120
        .size:           8
        .value_kind:     by_value
      - .offset:         128
        .size:           8
        .value_kind:     by_value
    .group_segment_fixed_size: 65536
    .kernarg_segment_align: 8
    .kernarg_segment_size: 136
    .language:       OpenCL C
    .language_version:
      - 2
      - 0
    .max_flat_workgroup_size: 256
    .name:           _ZN12_GLOBAL__N_139chunk_gated_delta_rule_fwd_h_hip_kernelILi64ELb1ELb0ELb0ELb1ELb1ELb1ELb0ELb0EEEvPK12hip_bfloat16S3_S3_PKfS5_PKvPS1_S8_PvPKiSB_iiiiilll
    .private_segment_fixed_size: 0
    .sgpr_count:     69
    .sgpr_spill_count: 0
    .symbol:         _ZN12_GLOBAL__N_139chunk_gated_delta_rule_fwd_h_hip_kernelILi64ELb1ELb0ELb0ELb1ELb1ELb1ELb0ELb0EEEvPK12hip_bfloat16S3_S3_PKfS5_PKvPS1_S8_PvPKiSB_iiiiilll.kd
    .uniform_work_group_size: 1
    .uses_dynamic_stack: false
    .vgpr_count:     228
    .vgpr_spill_count: 0
    .wavefront_size: 64
  - .agpr_count:     40
    .args:
      - .actual_access:  read_only
        .address_space:  global
        .offset:         0
        .size:           8
        .value_kind:     global_buffer
      - .actual_access:  read_only
        .address_space:  global
        .offset:         8
        .size:           8
        .value_kind:     global_buffer
      - .actual_access:  read_only
        .address_space:  global
        .offset:         16
        .size:           8
        .value_kind:     global_buffer
      - .actual_access:  read_only
        .address_space:  global
        .offset:         24
        .size:           8
        .value_kind:     global_buffer
      - .actual_access:  read_only
        .address_space:  global
        .offset:         32
        .size:           8
        .value_kind:     global_buffer
      - .actual_access:  read_only
        .address_space:  global
        .offset:         40
        .size:           8
        .value_kind:     global_buffer
      - .actual_access:  write_only
        .address_space:  global
        .offset:         48
        .size:           8
        .value_kind:     global_buffer
      - .actual_access:  write_only
        .address_space:  global
        .offset:         56
        .size:           8
        .value_kind:     global_buffer
      - .actual_access:  write_only
        .address_space:  global
        .offset:         64
        .size:           8
        .value_kind:     global_buffer
      - .actual_access:  read_only
        .address_space:  global
        .offset:         72
        .size:           8
        .value_kind:     global_buffer
      - .actual_access:  read_only
        .address_space:  global
        .offset:         80
        .size:           8
        .value_kind:     global_buffer
      - .offset:         88
        .size:           4
        .value_kind:     by_value
      - .offset:         92
        .size:           4
        .value_kind:     by_value
      - .offset:         96
        .size:           4
        .value_kind:     by_value
      - .offset:         100
        .size:           4
        .value_kind:     by_value
      - .offset:         104
        .size:           4
        .value_kind:     by_value
      - .offset:         112
        .size:           8
        .value_kind:     by_value
      - .offset:         120
        .size:           8
        .value_kind:     by_value
      - .offset:         128
        .size:           8
        .value_kind:     by_value
    .group_segment_fixed_size: 65536
    .kernarg_segment_align: 8
    .kernarg_segment_size: 136
    .language:       OpenCL C
    .language_version:
      - 2
      - 0
    .max_flat_workgroup_size: 256
    .name:           _ZN12_GLOBAL__N_139chunk_gated_delta_rule_fwd_h_hip_kernelILi64ELb0ELb1ELb1ELb1ELb1ELb1ELb0ELb0EEEvPK12hip_bfloat16S3_S3_PKfS5_PKvPS1_S8_PvPKiSB_iiiiilll
    .private_segment_fixed_size: 0
    .sgpr_count:     75
    .sgpr_spill_count: 0
    .symbol:         _ZN12_GLOBAL__N_139chunk_gated_delta_rule_fwd_h_hip_kernelILi64ELb0ELb1ELb1ELb1ELb1ELb1ELb0ELb0EEEvPK12hip_bfloat16S3_S3_PKfS5_PKvPS1_S8_PvPKiSB_iiiiilll.kd
    .uniform_work_group_size: 1
    .uses_dynamic_stack: false
    .vgpr_count:     232
    .vgpr_spill_count: 0
    .wavefront_size: 64
  - .agpr_count:     40
    .args:
      - .actual_access:  read_only
        .address_space:  global
        .offset:         0
        .size:           8
        .value_kind:     global_buffer
      - .actual_access:  read_only
        .address_space:  global
        .offset:         8
        .size:           8
        .value_kind:     global_buffer
      - .actual_access:  read_only
        .address_space:  global
        .offset:         16
        .size:           8
        .value_kind:     global_buffer
      - .actual_access:  read_only
        .address_space:  global
        .offset:         24
        .size:           8
        .value_kind:     global_buffer
      - .actual_access:  read_only
        .address_space:  global
        .offset:         32
        .size:           8
        .value_kind:     global_buffer
      - .actual_access:  read_only
        .address_space:  global
        .offset:         40
        .size:           8
        .value_kind:     global_buffer
      - .actual_access:  write_only
        .address_space:  global
        .offset:         48
        .size:           8
        .value_kind:     global_buffer
      - .actual_access:  read_only
        .address_space:  global
        .offset:         56
        .size:           8
        .value_kind:     global_buffer
      - .actual_access:  write_only
        .address_space:  global
        .offset:         64
        .size:           8
        .value_kind:     global_buffer
      - .actual_access:  read_only
        .address_space:  global
        .offset:         72
        .size:           8
        .value_kind:     global_buffer
      - .actual_access:  read_only
        .address_space:  global
        .offset:         80
        .size:           8
        .value_kind:     global_buffer
      - .offset:         88
        .size:           4
        .value_kind:     by_value
      - .offset:         92
        .size:           4
        .value_kind:     by_value
      - .offset:         96
        .size:           4
        .value_kind:     by_value
      - .offset:         100
        .size:           4
        .value_kind:     by_value
      - .offset:         104
        .size:           4
        .value_kind:     by_value
      - .offset:         112
        .size:           8
        .value_kind:     by_value
      - .offset:         120
        .size:           8
        .value_kind:     by_value
      - .offset:         128
        .size:           8
        .value_kind:     by_value
    .group_segment_fixed_size: 65536
    .kernarg_segment_align: 8
    .kernarg_segment_size: 136
    .language:       OpenCL C
    .language_version:
      - 2
      - 0
    .max_flat_workgroup_size: 256
    .name:           _ZN12_GLOBAL__N_139chunk_gated_delta_rule_fwd_h_hip_kernelILi64ELb0ELb1ELb0ELb1ELb1ELb1ELb0ELb0EEEvPK12hip_bfloat16S3_S3_PKfS5_PKvPS1_S8_PvPKiSB_iiiiilll
    .private_segment_fixed_size: 0
    .sgpr_count:     73
    .sgpr_spill_count: 0
    .symbol:         _ZN12_GLOBAL__N_139chunk_gated_delta_rule_fwd_h_hip_kernelILi64ELb0ELb1ELb0ELb1ELb1ELb1ELb0ELb0EEEvPK12hip_bfloat16S3_S3_PKfS5_PKvPS1_S8_PvPKiSB_iiiiilll.kd
    .uniform_work_group_size: 1
    .uses_dynamic_stack: false
    .vgpr_count:     228
    .vgpr_spill_count: 0
    .wavefront_size: 64
  - .agpr_count:     40
    .args:
      - .actual_access:  read_only
        .address_space:  global
        .offset:         0
        .size:           8
        .value_kind:     global_buffer
      - .actual_access:  read_only
        .address_space:  global
        .offset:         8
        .size:           8
        .value_kind:     global_buffer
      - .actual_access:  read_only
        .address_space:  global
        .offset:         16
        .size:           8
        .value_kind:     global_buffer
      - .actual_access:  read_only
        .address_space:  global
        .offset:         24
        .size:           8
        .value_kind:     global_buffer
      - .actual_access:  read_only
        .address_space:  global
        .offset:         32
        .size:           8
        .value_kind:     global_buffer
      - .actual_access:  read_only
        .address_space:  global
        .offset:         40
        .size:           8
        .value_kind:     global_buffer
      - .actual_access:  write_only
        .address_space:  global
        .offset:         48
        .size:           8
        .value_kind:     global_buffer
      - .actual_access:  write_only
        .address_space:  global
        .offset:         56
        .size:           8
        .value_kind:     global_buffer
      - .actual_access:  read_only
        .address_space:  global
        .offset:         64
        .size:           8
        .value_kind:     global_buffer
      - .actual_access:  read_only
        .address_space:  global
        .offset:         72
        .size:           8
        .value_kind:     global_buffer
      - .actual_access:  read_only
        .address_space:  global
        .offset:         80
        .size:           8
        .value_kind:     global_buffer
      - .offset:         88
        .size:           4
        .value_kind:     by_value
      - .offset:         92
        .size:           4
        .value_kind:     by_value
      - .offset:         96
        .size:           4
        .value_kind:     by_value
      - .offset:         100
        .size:           4
        .value_kind:     by_value
      - .offset:         104
        .size:           4
        .value_kind:     by_value
      - .offset:         112
        .size:           8
        .value_kind:     by_value
      - .offset:         120
        .size:           8
        .value_kind:     by_value
      - .offset:         128
        .size:           8
        .value_kind:     by_value
    .group_segment_fixed_size: 65536
    .kernarg_segment_align: 8
    .kernarg_segment_size: 136
    .language:       OpenCL C
    .language_version:
      - 2
      - 0
    .max_flat_workgroup_size: 256
    .name:           _ZN12_GLOBAL__N_139chunk_gated_delta_rule_fwd_h_hip_kernelILi64ELb0ELb0ELb1ELb1ELb1ELb1ELb0ELb0EEEvPK12hip_bfloat16S3_S3_PKfS5_PKvPS1_S8_PvPKiSB_iiiiilll
    .private_segment_fixed_size: 0
    .sgpr_count:     70
    .sgpr_spill_count: 0
    .symbol:         _ZN12_GLOBAL__N_139chunk_gated_delta_rule_fwd_h_hip_kernelILi64ELb0ELb0ELb1ELb1ELb1ELb1ELb0ELb0EEEvPK12hip_bfloat16S3_S3_PKfS5_PKvPS1_S8_PvPKiSB_iiiiilll.kd
    .uniform_work_group_size: 1
    .uses_dynamic_stack: false
    .vgpr_count:     232
    .vgpr_spill_count: 0
    .wavefront_size: 64
  - .agpr_count:     40
    .args:
      - .actual_access:  read_only
        .address_space:  global
        .offset:         0
        .size:           8
        .value_kind:     global_buffer
      - .actual_access:  read_only
        .address_space:  global
        .offset:         8
        .size:           8
        .value_kind:     global_buffer
      - .actual_access:  read_only
        .address_space:  global
        .offset:         16
        .size:           8
        .value_kind:     global_buffer
      - .actual_access:  read_only
        .address_space:  global
        .offset:         24
        .size:           8
        .value_kind:     global_buffer
      - .actual_access:  read_only
        .address_space:  global
        .offset:         32
        .size:           8
        .value_kind:     global_buffer
      - .actual_access:  read_only
        .address_space:  global
        .offset:         40
        .size:           8
        .value_kind:     global_buffer
      - .actual_access:  write_only
        .address_space:  global
        .offset:         48
        .size:           8
        .value_kind:     global_buffer
      - .actual_access:  read_only
        .address_space:  global
        .offset:         56
        .size:           8
        .value_kind:     global_buffer
      - .actual_access:  read_only
        .address_space:  global
        .offset:         64
        .size:           8
        .value_kind:     global_buffer
      - .actual_access:  read_only
        .address_space:  global
        .offset:         72
        .size:           8
        .value_kind:     global_buffer
      - .actual_access:  read_only
        .address_space:  global
        .offset:         80
        .size:           8
        .value_kind:     global_buffer
      - .offset:         88
        .size:           4
        .value_kind:     by_value
      - .offset:         92
        .size:           4
        .value_kind:     by_value
      - .offset:         96
        .size:           4
        .value_kind:     by_value
      - .offset:         100
        .size:           4
        .value_kind:     by_value
      - .offset:         104
        .size:           4
        .value_kind:     by_value
      - .offset:         112
        .size:           8
        .value_kind:     by_value
      - .offset:         120
        .size:           8
        .value_kind:     by_value
      - .offset:         128
        .size:           8
        .value_kind:     by_value
    .group_segment_fixed_size: 65536
    .kernarg_segment_align: 8
    .kernarg_segment_size: 136
    .language:       OpenCL C
    .language_version:
      - 2
      - 0
    .max_flat_workgroup_size: 256
    .name:           _ZN12_GLOBAL__N_139chunk_gated_delta_rule_fwd_h_hip_kernelILi64ELb0ELb0ELb0ELb1ELb1ELb1ELb0ELb0EEEvPK12hip_bfloat16S3_S3_PKfS5_PKvPS1_S8_PvPKiSB_iiiiilll
    .private_segment_fixed_size: 0
    .sgpr_count:     68
    .sgpr_spill_count: 0
    .symbol:         _ZN12_GLOBAL__N_139chunk_gated_delta_rule_fwd_h_hip_kernelILi64ELb0ELb0ELb0ELb1ELb1ELb1ELb0ELb0EEEvPK12hip_bfloat16S3_S3_PKfS5_PKvPS1_S8_PvPKiSB_iiiiilll.kd
    .uniform_work_group_size: 1
    .uses_dynamic_stack: false
    .vgpr_count:     228
    .vgpr_spill_count: 0
    .wavefront_size: 64
  - .agpr_count:     40
    .args:
      - .actual_access:  read_only
        .address_space:  global
        .offset:         0
        .size:           8
        .value_kind:     global_buffer
      - .actual_access:  read_only
        .address_space:  global
        .offset:         8
        .size:           8
        .value_kind:     global_buffer
      - .actual_access:  read_only
        .address_space:  global
        .offset:         16
        .size:           8
        .value_kind:     global_buffer
      - .actual_access:  read_only
        .address_space:  global
        .offset:         24
        .size:           8
        .value_kind:     global_buffer
      - .actual_access:  read_only
        .address_space:  global
        .offset:         32
        .size:           8
        .value_kind:     global_buffer
      - .actual_access:  read_only
        .address_space:  global
        .offset:         40
        .size:           8
        .value_kind:     global_buffer
      - .actual_access:  write_only
        .address_space:  global
        .offset:         48
        .size:           8
        .value_kind:     global_buffer
      - .actual_access:  write_only
        .address_space:  global
        .offset:         56
        .size:           8
        .value_kind:     global_buffer
      - .actual_access:  write_only
        .address_space:  global
        .offset:         64
        .size:           8
        .value_kind:     global_buffer
      - .actual_access:  read_only
        .address_space:  global
        .offset:         72
        .size:           8
        .value_kind:     global_buffer
      - .actual_access:  read_only
        .address_space:  global
        .offset:         80
        .size:           8
        .value_kind:     global_buffer
      - .offset:         88
        .size:           4
        .value_kind:     by_value
      - .offset:         92
        .size:           4
        .value_kind:     by_value
      - .offset:         96
        .size:           4
        .value_kind:     by_value
      - .offset:         100
        .size:           4
        .value_kind:     by_value
      - .offset:         104
        .size:           4
        .value_kind:     by_value
      - .offset:         112
        .size:           8
        .value_kind:     by_value
      - .offset:         120
        .size:           8
        .value_kind:     by_value
      - .offset:         128
        .size:           8
        .value_kind:     by_value
    .group_segment_fixed_size: 65536
    .kernarg_segment_align: 8
    .kernarg_segment_size: 136
    .language:       OpenCL C
    .language_version:
      - 2
      - 0
    .max_flat_workgroup_size: 256
    .name:           _ZN12_GLOBAL__N_139chunk_gated_delta_rule_fwd_h_hip_kernelILi64ELb1ELb1ELb1ELb0ELb1ELb1ELb0ELb0EEEvPK12hip_bfloat16S3_S3_PKfS5_PKvPS1_S8_PvPKiSB_iiiiilll
    .private_segment_fixed_size: 0
    .sgpr_count:     81
    .sgpr_spill_count: 0
    .symbol:         _ZN12_GLOBAL__N_139chunk_gated_delta_rule_fwd_h_hip_kernelILi64ELb1ELb1ELb1ELb0ELb1ELb1ELb0ELb0EEEvPK12hip_bfloat16S3_S3_PKfS5_PKvPS1_S8_PvPKiSB_iiiiilll.kd
    .uniform_work_group_size: 1
    .uses_dynamic_stack: false
    .vgpr_count:     240
    .vgpr_spill_count: 0
    .wavefront_size: 64
  - .agpr_count:     40
    .args:
      - .actual_access:  read_only
        .address_space:  global
        .offset:         0
        .size:           8
        .value_kind:     global_buffer
      - .actual_access:  read_only
        .address_space:  global
        .offset:         8
        .size:           8
        .value_kind:     global_buffer
      - .actual_access:  read_only
        .address_space:  global
        .offset:         16
        .size:           8
        .value_kind:     global_buffer
      - .actual_access:  read_only
        .address_space:  global
        .offset:         24
        .size:           8
        .value_kind:     global_buffer
      - .actual_access:  read_only
        .address_space:  global
        .offset:         32
        .size:           8
        .value_kind:     global_buffer
      - .actual_access:  read_only
        .address_space:  global
        .offset:         40
        .size:           8
        .value_kind:     global_buffer
      - .actual_access:  write_only
        .address_space:  global
        .offset:         48
        .size:           8
        .value_kind:     global_buffer
      - .actual_access:  read_only
        .address_space:  global
        .offset:         56
        .size:           8
        .value_kind:     global_buffer
      - .actual_access:  write_only
        .address_space:  global
        .offset:         64
        .size:           8
        .value_kind:     global_buffer
      - .actual_access:  read_only
        .address_space:  global
        .offset:         72
        .size:           8
        .value_kind:     global_buffer
      - .actual_access:  read_only
        .address_space:  global
        .offset:         80
        .size:           8
        .value_kind:     global_buffer
      - .offset:         88
        .size:           4
        .value_kind:     by_value
      - .offset:         92
        .size:           4
        .value_kind:     by_value
      - .offset:         96
        .size:           4
        .value_kind:     by_value
      - .offset:         100
        .size:           4
        .value_kind:     by_value
      - .offset:         104
        .size:           4
        .value_kind:     by_value
      - .offset:         112
        .size:           8
        .value_kind:     by_value
      - .offset:         120
        .size:           8
        .value_kind:     by_value
      - .offset:         128
        .size:           8
        .value_kind:     by_value
    .group_segment_fixed_size: 65536
    .kernarg_segment_align: 8
    .kernarg_segment_size: 136
    .language:       OpenCL C
    .language_version:
      - 2
      - 0
    .max_flat_workgroup_size: 256
    .name:           _ZN12_GLOBAL__N_139chunk_gated_delta_rule_fwd_h_hip_kernelILi64ELb1ELb1ELb0ELb0ELb1ELb1ELb0ELb0EEEvPK12hip_bfloat16S3_S3_PKfS5_PKvPS1_S8_PvPKiSB_iiiiilll
    .private_segment_fixed_size: 0
    .sgpr_count:     79
    .sgpr_spill_count: 0
    .symbol:         _ZN12_GLOBAL__N_139chunk_gated_delta_rule_fwd_h_hip_kernelILi64ELb1ELb1ELb0ELb0ELb1ELb1ELb0ELb0EEEvPK12hip_bfloat16S3_S3_PKfS5_PKvPS1_S8_PvPKiSB_iiiiilll.kd
    .uniform_work_group_size: 1
    .uses_dynamic_stack: false
    .vgpr_count:     240
    .vgpr_spill_count: 0
    .wavefront_size: 64
  - .agpr_count:     40
    .args:
      - .actual_access:  read_only
        .address_space:  global
        .offset:         0
        .size:           8
        .value_kind:     global_buffer
      - .actual_access:  read_only
        .address_space:  global
        .offset:         8
        .size:           8
        .value_kind:     global_buffer
      - .actual_access:  read_only
        .address_space:  global
        .offset:         16
        .size:           8
        .value_kind:     global_buffer
      - .actual_access:  read_only
        .address_space:  global
        .offset:         24
        .size:           8
        .value_kind:     global_buffer
      - .actual_access:  read_only
        .address_space:  global
        .offset:         32
        .size:           8
        .value_kind:     global_buffer
      - .actual_access:  read_only
        .address_space:  global
        .offset:         40
        .size:           8
        .value_kind:     global_buffer
      - .actual_access:  write_only
        .address_space:  global
        .offset:         48
        .size:           8
        .value_kind:     global_buffer
      - .actual_access:  write_only
        .address_space:  global
        .offset:         56
        .size:           8
        .value_kind:     global_buffer
      - .actual_access:  read_only
        .address_space:  global
        .offset:         64
        .size:           8
        .value_kind:     global_buffer
      - .actual_access:  read_only
        .address_space:  global
        .offset:         72
        .size:           8
        .value_kind:     global_buffer
      - .actual_access:  read_only
        .address_space:  global
        .offset:         80
        .size:           8
        .value_kind:     global_buffer
      - .offset:         88
        .size:           4
        .value_kind:     by_value
      - .offset:         92
        .size:           4
        .value_kind:     by_value
      - .offset:         96
        .size:           4
        .value_kind:     by_value
      - .offset:         100
        .size:           4
        .value_kind:     by_value
      - .offset:         104
        .size:           4
        .value_kind:     by_value
      - .offset:         112
        .size:           8
        .value_kind:     by_value
      - .offset:         120
        .size:           8
        .value_kind:     by_value
      - .offset:         128
        .size:           8
        .value_kind:     by_value
    .group_segment_fixed_size: 65536
    .kernarg_segment_align: 8
    .kernarg_segment_size: 136
    .language:       OpenCL C
    .language_version:
      - 2
      - 0
    .max_flat_workgroup_size: 256
    .name:           _ZN12_GLOBAL__N_139chunk_gated_delta_rule_fwd_h_hip_kernelILi64ELb1ELb0ELb1ELb0ELb1ELb1ELb0ELb0EEEvPK12hip_bfloat16S3_S3_PKfS5_PKvPS1_S8_PvPKiSB_iiiiilll
    .private_segment_fixed_size: 0
    .sgpr_count:     77
    .sgpr_spill_count: 0
    .symbol:         _ZN12_GLOBAL__N_139chunk_gated_delta_rule_fwd_h_hip_kernelILi64ELb1ELb0ELb1ELb0ELb1ELb1ELb0ELb0EEEvPK12hip_bfloat16S3_S3_PKfS5_PKvPS1_S8_PvPKiSB_iiiiilll.kd
    .uniform_work_group_size: 1
    .uses_dynamic_stack: false
    .vgpr_count:     232
    .vgpr_spill_count: 0
    .wavefront_size: 64
  - .agpr_count:     40
    .args:
      - .actual_access:  read_only
        .address_space:  global
        .offset:         0
        .size:           8
        .value_kind:     global_buffer
      - .actual_access:  read_only
        .address_space:  global
        .offset:         8
        .size:           8
        .value_kind:     global_buffer
      - .actual_access:  read_only
        .address_space:  global
        .offset:         16
        .size:           8
        .value_kind:     global_buffer
      - .actual_access:  read_only
        .address_space:  global
        .offset:         24
        .size:           8
        .value_kind:     global_buffer
      - .actual_access:  read_only
        .address_space:  global
        .offset:         32
        .size:           8
        .value_kind:     global_buffer
      - .actual_access:  read_only
        .address_space:  global
        .offset:         40
        .size:           8
        .value_kind:     global_buffer
      - .actual_access:  write_only
        .address_space:  global
        .offset:         48
        .size:           8
        .value_kind:     global_buffer
      - .actual_access:  read_only
        .address_space:  global
        .offset:         56
        .size:           8
        .value_kind:     global_buffer
      - .actual_access:  read_only
        .address_space:  global
        .offset:         64
        .size:           8
        .value_kind:     global_buffer
      - .actual_access:  read_only
        .address_space:  global
        .offset:         72
        .size:           8
        .value_kind:     global_buffer
      - .actual_access:  read_only
        .address_space:  global
        .offset:         80
        .size:           8
        .value_kind:     global_buffer
      - .offset:         88
        .size:           4
        .value_kind:     by_value
      - .offset:         92
        .size:           4
        .value_kind:     by_value
      - .offset:         96
        .size:           4
        .value_kind:     by_value
      - .offset:         100
        .size:           4
        .value_kind:     by_value
      - .offset:         104
        .size:           4
        .value_kind:     by_value
      - .offset:         112
        .size:           8
        .value_kind:     by_value
      - .offset:         120
        .size:           8
        .value_kind:     by_value
      - .offset:         128
        .size:           8
        .value_kind:     by_value
    .group_segment_fixed_size: 65536
    .kernarg_segment_align: 8
    .kernarg_segment_size: 136
    .language:       OpenCL C
    .language_version:
      - 2
      - 0
    .max_flat_workgroup_size: 256
    .name:           _ZN12_GLOBAL__N_139chunk_gated_delta_rule_fwd_h_hip_kernelILi64ELb1ELb0ELb0ELb0ELb1ELb1ELb0ELb0EEEvPK12hip_bfloat16S3_S3_PKfS5_PKvPS1_S8_PvPKiSB_iiiiilll
    .private_segment_fixed_size: 0
    .sgpr_count:     75
    .sgpr_spill_count: 0
    .symbol:         _ZN12_GLOBAL__N_139chunk_gated_delta_rule_fwd_h_hip_kernelILi64ELb1ELb0ELb0ELb0ELb1ELb1ELb0ELb0EEEvPK12hip_bfloat16S3_S3_PKfS5_PKvPS1_S8_PvPKiSB_iiiiilll.kd
    .uniform_work_group_size: 1
    .uses_dynamic_stack: false
    .vgpr_count:     228
    .vgpr_spill_count: 0
    .wavefront_size: 64
  - .agpr_count:     40
    .args:
      - .actual_access:  read_only
        .address_space:  global
        .offset:         0
        .size:           8
        .value_kind:     global_buffer
      - .actual_access:  read_only
        .address_space:  global
        .offset:         8
        .size:           8
        .value_kind:     global_buffer
      - .actual_access:  read_only
        .address_space:  global
        .offset:         16
        .size:           8
        .value_kind:     global_buffer
      - .actual_access:  read_only
        .address_space:  global
        .offset:         24
        .size:           8
        .value_kind:     global_buffer
      - .actual_access:  read_only
        .address_space:  global
        .offset:         32
        .size:           8
        .value_kind:     global_buffer
      - .actual_access:  read_only
        .address_space:  global
        .offset:         40
        .size:           8
        .value_kind:     global_buffer
      - .actual_access:  write_only
        .address_space:  global
        .offset:         48
        .size:           8
        .value_kind:     global_buffer
      - .actual_access:  write_only
        .address_space:  global
        .offset:         56
        .size:           8
        .value_kind:     global_buffer
      - .actual_access:  write_only
        .address_space:  global
        .offset:         64
        .size:           8
        .value_kind:     global_buffer
      - .actual_access:  read_only
        .address_space:  global
        .offset:         72
        .size:           8
        .value_kind:     global_buffer
      - .actual_access:  read_only
        .address_space:  global
        .offset:         80
        .size:           8
        .value_kind:     global_buffer
      - .offset:         88
        .size:           4
        .value_kind:     by_value
      - .offset:         92
        .size:           4
        .value_kind:     by_value
      - .offset:         96
        .size:           4
        .value_kind:     by_value
      - .offset:         100
        .size:           4
        .value_kind:     by_value
      - .offset:         104
        .size:           4
        .value_kind:     by_value
      - .offset:         112
        .size:           8
        .value_kind:     by_value
      - .offset:         120
        .size:           8
        .value_kind:     by_value
      - .offset:         128
        .size:           8
        .value_kind:     by_value
    .group_segment_fixed_size: 65536
    .kernarg_segment_align: 8
    .kernarg_segment_size: 136
    .language:       OpenCL C
    .language_version:
      - 2
      - 0
    .max_flat_workgroup_size: 256
    .name:           _ZN12_GLOBAL__N_139chunk_gated_delta_rule_fwd_h_hip_kernelILi64ELb0ELb1ELb1ELb0ELb1ELb1ELb0ELb0EEEvPK12hip_bfloat16S3_S3_PKfS5_PKvPS1_S8_PvPKiSB_iiiiilll
    .private_segment_fixed_size: 0
    .sgpr_count:     76
    .sgpr_spill_count: 0
    .symbol:         _ZN12_GLOBAL__N_139chunk_gated_delta_rule_fwd_h_hip_kernelILi64ELb0ELb1ELb1ELb0ELb1ELb1ELb0ELb0EEEvPK12hip_bfloat16S3_S3_PKfS5_PKvPS1_S8_PvPKiSB_iiiiilll.kd
    .uniform_work_group_size: 1
    .uses_dynamic_stack: false
    .vgpr_count:     232
    .vgpr_spill_count: 0
    .wavefront_size: 64
  - .agpr_count:     40
    .args:
      - .actual_access:  read_only
        .address_space:  global
        .offset:         0
        .size:           8
        .value_kind:     global_buffer
      - .actual_access:  read_only
        .address_space:  global
        .offset:         8
        .size:           8
        .value_kind:     global_buffer
      - .actual_access:  read_only
        .address_space:  global
        .offset:         16
        .size:           8
        .value_kind:     global_buffer
      - .actual_access:  read_only
        .address_space:  global
        .offset:         24
        .size:           8
        .value_kind:     global_buffer
      - .actual_access:  read_only
        .address_space:  global
        .offset:         32
        .size:           8
        .value_kind:     global_buffer
      - .actual_access:  read_only
        .address_space:  global
        .offset:         40
        .size:           8
        .value_kind:     global_buffer
      - .actual_access:  write_only
        .address_space:  global
        .offset:         48
        .size:           8
        .value_kind:     global_buffer
      - .actual_access:  read_only
        .address_space:  global
        .offset:         56
        .size:           8
        .value_kind:     global_buffer
      - .actual_access:  write_only
        .address_space:  global
        .offset:         64
        .size:           8
        .value_kind:     global_buffer
      - .actual_access:  read_only
        .address_space:  global
        .offset:         72
        .size:           8
        .value_kind:     global_buffer
      - .actual_access:  read_only
        .address_space:  global
        .offset:         80
        .size:           8
        .value_kind:     global_buffer
      - .offset:         88
        .size:           4
        .value_kind:     by_value
      - .offset:         92
        .size:           4
        .value_kind:     by_value
      - .offset:         96
        .size:           4
        .value_kind:     by_value
      - .offset:         100
        .size:           4
        .value_kind:     by_value
      - .offset:         104
        .size:           4
        .value_kind:     by_value
      - .offset:         112
        .size:           8
        .value_kind:     by_value
      - .offset:         120
        .size:           8
        .value_kind:     by_value
      - .offset:         128
        .size:           8
        .value_kind:     by_value
    .group_segment_fixed_size: 65536
    .kernarg_segment_align: 8
    .kernarg_segment_size: 136
    .language:       OpenCL C
    .language_version:
      - 2
      - 0
    .max_flat_workgroup_size: 256
    .name:           _ZN12_GLOBAL__N_139chunk_gated_delta_rule_fwd_h_hip_kernelILi64ELb0ELb1ELb0ELb0ELb1ELb1ELb0ELb0EEEvPK12hip_bfloat16S3_S3_PKfS5_PKvPS1_S8_PvPKiSB_iiiiilll
    .private_segment_fixed_size: 0
    .sgpr_count:     74
    .sgpr_spill_count: 0
    .symbol:         _ZN12_GLOBAL__N_139chunk_gated_delta_rule_fwd_h_hip_kernelILi64ELb0ELb1ELb0ELb0ELb1ELb1ELb0ELb0EEEvPK12hip_bfloat16S3_S3_PKfS5_PKvPS1_S8_PvPKiSB_iiiiilll.kd
    .uniform_work_group_size: 1
    .uses_dynamic_stack: false
    .vgpr_count:     228
    .vgpr_spill_count: 0
    .wavefront_size: 64
  - .agpr_count:     40
    .args:
      - .actual_access:  read_only
        .address_space:  global
        .offset:         0
        .size:           8
        .value_kind:     global_buffer
      - .actual_access:  read_only
        .address_space:  global
        .offset:         8
        .size:           8
        .value_kind:     global_buffer
      - .actual_access:  read_only
        .address_space:  global
        .offset:         16
        .size:           8
        .value_kind:     global_buffer
      - .actual_access:  read_only
        .address_space:  global
        .offset:         24
        .size:           8
        .value_kind:     global_buffer
      - .actual_access:  read_only
        .address_space:  global
        .offset:         32
        .size:           8
        .value_kind:     global_buffer
      - .actual_access:  read_only
        .address_space:  global
        .offset:         40
        .size:           8
        .value_kind:     global_buffer
      - .actual_access:  write_only
        .address_space:  global
        .offset:         48
        .size:           8
        .value_kind:     global_buffer
      - .actual_access:  write_only
        .address_space:  global
        .offset:         56
        .size:           8
        .value_kind:     global_buffer
      - .actual_access:  read_only
        .address_space:  global
        .offset:         64
        .size:           8
        .value_kind:     global_buffer
      - .actual_access:  read_only
        .address_space:  global
        .offset:         72
        .size:           8
        .value_kind:     global_buffer
      - .actual_access:  read_only
        .address_space:  global
        .offset:         80
        .size:           8
        .value_kind:     global_buffer
      - .offset:         88
        .size:           4
        .value_kind:     by_value
      - .offset:         92
        .size:           4
        .value_kind:     by_value
      - .offset:         96
        .size:           4
        .value_kind:     by_value
      - .offset:         100
        .size:           4
        .value_kind:     by_value
      - .offset:         104
        .size:           4
        .value_kind:     by_value
      - .offset:         112
        .size:           8
        .value_kind:     by_value
      - .offset:         120
        .size:           8
        .value_kind:     by_value
      - .offset:         128
        .size:           8
        .value_kind:     by_value
    .group_segment_fixed_size: 65536
    .kernarg_segment_align: 8
    .kernarg_segment_size: 136
    .language:       OpenCL C
    .language_version:
      - 2
      - 0
    .max_flat_workgroup_size: 256
    .name:           _ZN12_GLOBAL__N_139chunk_gated_delta_rule_fwd_h_hip_kernelILi64ELb0ELb0ELb1ELb0ELb1ELb1ELb0ELb0EEEvPK12hip_bfloat16S3_S3_PKfS5_PKvPS1_S8_PvPKiSB_iiiiilll
    .private_segment_fixed_size: 0
    .sgpr_count:     74
    .sgpr_spill_count: 0
    .symbol:         _ZN12_GLOBAL__N_139chunk_gated_delta_rule_fwd_h_hip_kernelILi64ELb0ELb0ELb1ELb0ELb1ELb1ELb0ELb0EEEvPK12hip_bfloat16S3_S3_PKfS5_PKvPS1_S8_PvPKiSB_iiiiilll.kd
    .uniform_work_group_size: 1
    .uses_dynamic_stack: false
    .vgpr_count:     232
    .vgpr_spill_count: 0
    .wavefront_size: 64
  - .agpr_count:     40
    .args:
      - .actual_access:  read_only
        .address_space:  global
        .offset:         0
        .size:           8
        .value_kind:     global_buffer
      - .actual_access:  read_only
        .address_space:  global
        .offset:         8
        .size:           8
        .value_kind:     global_buffer
      - .actual_access:  read_only
        .address_space:  global
        .offset:         16
        .size:           8
        .value_kind:     global_buffer
      - .actual_access:  read_only
        .address_space:  global
        .offset:         24
        .size:           8
        .value_kind:     global_buffer
      - .actual_access:  read_only
        .address_space:  global
        .offset:         32
        .size:           8
        .value_kind:     global_buffer
      - .actual_access:  read_only
        .address_space:  global
        .offset:         40
        .size:           8
        .value_kind:     global_buffer
      - .actual_access:  write_only
        .address_space:  global
        .offset:         48
        .size:           8
        .value_kind:     global_buffer
      - .actual_access:  read_only
        .address_space:  global
        .offset:         56
        .size:           8
        .value_kind:     global_buffer
      - .actual_access:  read_only
        .address_space:  global
        .offset:         64
        .size:           8
        .value_kind:     global_buffer
      - .actual_access:  read_only
        .address_space:  global
        .offset:         72
        .size:           8
        .value_kind:     global_buffer
      - .actual_access:  read_only
        .address_space:  global
        .offset:         80
        .size:           8
        .value_kind:     global_buffer
      - .offset:         88
        .size:           4
        .value_kind:     by_value
      - .offset:         92
        .size:           4
        .value_kind:     by_value
      - .offset:         96
        .size:           4
        .value_kind:     by_value
      - .offset:         100
        .size:           4
        .value_kind:     by_value
      - .offset:         104
        .size:           4
        .value_kind:     by_value
      - .offset:         112
        .size:           8
        .value_kind:     by_value
      - .offset:         120
        .size:           8
        .value_kind:     by_value
      - .offset:         128
        .size:           8
        .value_kind:     by_value
    .group_segment_fixed_size: 65536
    .kernarg_segment_align: 8
    .kernarg_segment_size: 136
    .language:       OpenCL C
    .language_version:
      - 2
      - 0
    .max_flat_workgroup_size: 256
    .name:           _ZN12_GLOBAL__N_139chunk_gated_delta_rule_fwd_h_hip_kernelILi64ELb0ELb0ELb0ELb0ELb1ELb1ELb0ELb0EEEvPK12hip_bfloat16S3_S3_PKfS5_PKvPS1_S8_PvPKiSB_iiiiilll
    .private_segment_fixed_size: 0
    .sgpr_count:     72
    .sgpr_spill_count: 0
    .symbol:         _ZN12_GLOBAL__N_139chunk_gated_delta_rule_fwd_h_hip_kernelILi64ELb0ELb0ELb0ELb0ELb1ELb1ELb0ELb0EEEvPK12hip_bfloat16S3_S3_PKfS5_PKvPS1_S8_PvPKiSB_iiiiilll.kd
    .uniform_work_group_size: 1
    .uses_dynamic_stack: false
    .vgpr_count:     228
    .vgpr_spill_count: 0
    .wavefront_size: 64
  - .agpr_count:     36
    .args:
      - .actual_access:  read_only
        .address_space:  global
        .offset:         0
        .size:           8
        .value_kind:     global_buffer
      - .actual_access:  read_only
        .address_space:  global
        .offset:         8
        .size:           8
        .value_kind:     global_buffer
      - .actual_access:  read_only
        .address_space:  global
        .offset:         16
        .size:           8
        .value_kind:     global_buffer
      - .actual_access:  read_only
        .address_space:  global
        .offset:         24
        .size:           8
        .value_kind:     global_buffer
      - .actual_access:  read_only
        .address_space:  global
        .offset:         32
        .size:           8
        .value_kind:     global_buffer
      - .actual_access:  read_only
        .address_space:  global
        .offset:         40
        .size:           8
        .value_kind:     global_buffer
      - .actual_access:  write_only
        .address_space:  global
        .offset:         48
        .size:           8
        .value_kind:     global_buffer
      - .actual_access:  write_only
        .address_space:  global
        .offset:         56
        .size:           8
        .value_kind:     global_buffer
      - .actual_access:  write_only
        .address_space:  global
        .offset:         64
        .size:           8
        .value_kind:     global_buffer
      - .actual_access:  read_only
        .address_space:  global
        .offset:         72
        .size:           8
        .value_kind:     global_buffer
      - .actual_access:  read_only
        .address_space:  global
        .offset:         80
        .size:           8
        .value_kind:     global_buffer
      - .offset:         88
        .size:           4
        .value_kind:     by_value
      - .offset:         92
        .size:           4
        .value_kind:     by_value
      - .offset:         96
        .size:           4
        .value_kind:     by_value
      - .offset:         100
        .size:           4
        .value_kind:     by_value
      - .offset:         104
        .size:           4
        .value_kind:     by_value
      - .offset:         112
        .size:           8
        .value_kind:     by_value
      - .offset:         120
        .size:           8
        .value_kind:     by_value
      - .offset:         128
        .size:           8
        .value_kind:     by_value
    .group_segment_fixed_size: 65536
    .kernarg_segment_align: 8
    .kernarg_segment_size: 136
    .language:       OpenCL C
    .language_version:
      - 2
      - 0
    .max_flat_workgroup_size: 256
    .name:           _ZN12_GLOBAL__N_139chunk_gated_delta_rule_fwd_h_hip_kernelILi64ELb1ELb1ELb1ELb1ELb1ELb0ELb1ELb0EEEvPK12hip_bfloat16S3_S3_PKfS5_PKvPS1_S8_PvPKiSB_iiiiilll
    .private_segment_fixed_size: 0
    .sgpr_count:     73
    .sgpr_spill_count: 0
    .symbol:         _ZN12_GLOBAL__N_139chunk_gated_delta_rule_fwd_h_hip_kernelILi64ELb1ELb1ELb1ELb1ELb1ELb0ELb1ELb0EEEvPK12hip_bfloat16S3_S3_PKfS5_PKvPS1_S8_PvPKiSB_iiiiilll.kd
    .uniform_work_group_size: 1
    .uses_dynamic_stack: false
    .vgpr_count:     224
    .vgpr_spill_count: 0
    .wavefront_size: 64
  - .agpr_count:     36
    .args:
      - .actual_access:  read_only
        .address_space:  global
        .offset:         0
        .size:           8
        .value_kind:     global_buffer
      - .actual_access:  read_only
        .address_space:  global
        .offset:         8
        .size:           8
        .value_kind:     global_buffer
      - .actual_access:  read_only
        .address_space:  global
        .offset:         16
        .size:           8
        .value_kind:     global_buffer
      - .actual_access:  read_only
        .address_space:  global
        .offset:         24
        .size:           8
        .value_kind:     global_buffer
      - .actual_access:  read_only
        .address_space:  global
        .offset:         32
        .size:           8
        .value_kind:     global_buffer
      - .actual_access:  read_only
        .address_space:  global
        .offset:         40
        .size:           8
        .value_kind:     global_buffer
      - .actual_access:  write_only
        .address_space:  global
        .offset:         48
        .size:           8
        .value_kind:     global_buffer
      - .actual_access:  read_only
        .address_space:  global
        .offset:         56
        .size:           8
        .value_kind:     global_buffer
      - .actual_access:  write_only
        .address_space:  global
        .offset:         64
        .size:           8
        .value_kind:     global_buffer
      - .actual_access:  read_only
        .address_space:  global
        .offset:         72
        .size:           8
        .value_kind:     global_buffer
      - .actual_access:  read_only
        .address_space:  global
        .offset:         80
        .size:           8
        .value_kind:     global_buffer
      - .offset:         88
        .size:           4
        .value_kind:     by_value
      - .offset:         92
        .size:           4
        .value_kind:     by_value
      - .offset:         96
        .size:           4
        .value_kind:     by_value
      - .offset:         100
        .size:           4
        .value_kind:     by_value
      - .offset:         104
        .size:           4
        .value_kind:     by_value
      - .offset:         112
        .size:           8
        .value_kind:     by_value
      - .offset:         120
        .size:           8
        .value_kind:     by_value
      - .offset:         128
        .size:           8
        .value_kind:     by_value
    .group_segment_fixed_size: 65536
    .kernarg_segment_align: 8
    .kernarg_segment_size: 136
    .language:       OpenCL C
    .language_version:
      - 2
      - 0
    .max_flat_workgroup_size: 256
    .name:           _ZN12_GLOBAL__N_139chunk_gated_delta_rule_fwd_h_hip_kernelILi64ELb1ELb1ELb0ELb1ELb1ELb0ELb1ELb0EEEvPK12hip_bfloat16S3_S3_PKfS5_PKvPS1_S8_PvPKiSB_iiiiilll
    .private_segment_fixed_size: 0
    .sgpr_count:     71
    .sgpr_spill_count: 0
    .symbol:         _ZN12_GLOBAL__N_139chunk_gated_delta_rule_fwd_h_hip_kernelILi64ELb1ELb1ELb0ELb1ELb1ELb0ELb1ELb0EEEvPK12hip_bfloat16S3_S3_PKfS5_PKvPS1_S8_PvPKiSB_iiiiilll.kd
    .uniform_work_group_size: 1
    .uses_dynamic_stack: false
    .vgpr_count:     224
    .vgpr_spill_count: 0
    .wavefront_size: 64
  - .agpr_count:     36
    .args:
      - .actual_access:  read_only
        .address_space:  global
        .offset:         0
        .size:           8
        .value_kind:     global_buffer
      - .actual_access:  read_only
        .address_space:  global
        .offset:         8
        .size:           8
        .value_kind:     global_buffer
      - .actual_access:  read_only
        .address_space:  global
        .offset:         16
        .size:           8
        .value_kind:     global_buffer
      - .actual_access:  read_only
        .address_space:  global
        .offset:         24
        .size:           8
        .value_kind:     global_buffer
      - .actual_access:  read_only
        .address_space:  global
        .offset:         32
        .size:           8
        .value_kind:     global_buffer
      - .actual_access:  read_only
        .address_space:  global
        .offset:         40
        .size:           8
        .value_kind:     global_buffer
      - .actual_access:  write_only
        .address_space:  global
        .offset:         48
        .size:           8
        .value_kind:     global_buffer
      - .actual_access:  write_only
        .address_space:  global
        .offset:         56
        .size:           8
        .value_kind:     global_buffer
      - .actual_access:  read_only
        .address_space:  global
        .offset:         64
        .size:           8
        .value_kind:     global_buffer
      - .actual_access:  read_only
        .address_space:  global
        .offset:         72
        .size:           8
        .value_kind:     global_buffer
      - .actual_access:  read_only
        .address_space:  global
        .offset:         80
        .size:           8
        .value_kind:     global_buffer
      - .offset:         88
        .size:           4
        .value_kind:     by_value
      - .offset:         92
        .size:           4
        .value_kind:     by_value
      - .offset:         96
        .size:           4
        .value_kind:     by_value
      - .offset:         100
        .size:           4
        .value_kind:     by_value
      - .offset:         104
        .size:           4
        .value_kind:     by_value
      - .offset:         112
        .size:           8
        .value_kind:     by_value
      - .offset:         120
        .size:           8
        .value_kind:     by_value
      - .offset:         128
        .size:           8
        .value_kind:     by_value
    .group_segment_fixed_size: 65536
    .kernarg_segment_align: 8
    .kernarg_segment_size: 136
    .language:       OpenCL C
    .language_version:
      - 2
      - 0
    .max_flat_workgroup_size: 256
    .name:           _ZN12_GLOBAL__N_139chunk_gated_delta_rule_fwd_h_hip_kernelILi64ELb1ELb0ELb1ELb1ELb1ELb0ELb1ELb0EEEvPK12hip_bfloat16S3_S3_PKfS5_PKvPS1_S8_PvPKiSB_iiiiilll
    .private_segment_fixed_size: 0
    .sgpr_count:     69
    .sgpr_spill_count: 0
    .symbol:         _ZN12_GLOBAL__N_139chunk_gated_delta_rule_fwd_h_hip_kernelILi64ELb1ELb0ELb1ELb1ELb1ELb0ELb1ELb0EEEvPK12hip_bfloat16S3_S3_PKfS5_PKvPS1_S8_PvPKiSB_iiiiilll.kd
    .uniform_work_group_size: 1
    .uses_dynamic_stack: false
    .vgpr_count:     216
    .vgpr_spill_count: 0
    .wavefront_size: 64
  - .agpr_count:     36
    .args:
      - .actual_access:  read_only
        .address_space:  global
        .offset:         0
        .size:           8
        .value_kind:     global_buffer
      - .actual_access:  read_only
        .address_space:  global
        .offset:         8
        .size:           8
        .value_kind:     global_buffer
      - .actual_access:  read_only
        .address_space:  global
        .offset:         16
        .size:           8
        .value_kind:     global_buffer
      - .actual_access:  read_only
        .address_space:  global
        .offset:         24
        .size:           8
        .value_kind:     global_buffer
      - .actual_access:  read_only
        .address_space:  global
        .offset:         32
        .size:           8
        .value_kind:     global_buffer
      - .actual_access:  read_only
        .address_space:  global
        .offset:         40
        .size:           8
        .value_kind:     global_buffer
      - .actual_access:  write_only
        .address_space:  global
        .offset:         48
        .size:           8
        .value_kind:     global_buffer
      - .actual_access:  read_only
        .address_space:  global
        .offset:         56
        .size:           8
        .value_kind:     global_buffer
      - .actual_access:  read_only
        .address_space:  global
        .offset:         64
        .size:           8
        .value_kind:     global_buffer
      - .actual_access:  read_only
        .address_space:  global
        .offset:         72
        .size:           8
        .value_kind:     global_buffer
      - .actual_access:  read_only
        .address_space:  global
        .offset:         80
        .size:           8
        .value_kind:     global_buffer
      - .offset:         88
        .size:           4
        .value_kind:     by_value
      - .offset:         92
        .size:           4
        .value_kind:     by_value
      - .offset:         96
        .size:           4
        .value_kind:     by_value
      - .offset:         100
        .size:           4
        .value_kind:     by_value
      - .offset:         104
        .size:           4
        .value_kind:     by_value
      - .offset:         112
        .size:           8
        .value_kind:     by_value
      - .offset:         120
        .size:           8
        .value_kind:     by_value
      - .offset:         128
        .size:           8
        .value_kind:     by_value
    .group_segment_fixed_size: 65536
    .kernarg_segment_align: 8
    .kernarg_segment_size: 136
    .language:       OpenCL C
    .language_version:
      - 2
      - 0
    .max_flat_workgroup_size: 256
    .name:           _ZN12_GLOBAL__N_139chunk_gated_delta_rule_fwd_h_hip_kernelILi64ELb1ELb0ELb0ELb1ELb1ELb0ELb1ELb0EEEvPK12hip_bfloat16S3_S3_PKfS5_PKvPS1_S8_PvPKiSB_iiiiilll
    .private_segment_fixed_size: 0
    .sgpr_count:     67
    .sgpr_spill_count: 0
    .symbol:         _ZN12_GLOBAL__N_139chunk_gated_delta_rule_fwd_h_hip_kernelILi64ELb1ELb0ELb0ELb1ELb1ELb0ELb1ELb0EEEvPK12hip_bfloat16S3_S3_PKfS5_PKvPS1_S8_PvPKiSB_iiiiilll.kd
    .uniform_work_group_size: 1
    .uses_dynamic_stack: false
    .vgpr_count:     216
    .vgpr_spill_count: 0
    .wavefront_size: 64
  - .agpr_count:     36
    .args:
      - .actual_access:  read_only
        .address_space:  global
        .offset:         0
        .size:           8
        .value_kind:     global_buffer
      - .actual_access:  read_only
        .address_space:  global
        .offset:         8
        .size:           8
        .value_kind:     global_buffer
      - .actual_access:  read_only
        .address_space:  global
        .offset:         16
        .size:           8
        .value_kind:     global_buffer
      - .actual_access:  read_only
        .address_space:  global
        .offset:         24
        .size:           8
        .value_kind:     global_buffer
      - .actual_access:  read_only
        .address_space:  global
        .offset:         32
        .size:           8
        .value_kind:     global_buffer
      - .actual_access:  read_only
        .address_space:  global
        .offset:         40
        .size:           8
        .value_kind:     global_buffer
      - .actual_access:  write_only
        .address_space:  global
        .offset:         48
        .size:           8
        .value_kind:     global_buffer
      - .actual_access:  write_only
        .address_space:  global
        .offset:         56
        .size:           8
        .value_kind:     global_buffer
      - .actual_access:  write_only
        .address_space:  global
        .offset:         64
        .size:           8
        .value_kind:     global_buffer
      - .actual_access:  read_only
        .address_space:  global
        .offset:         72
        .size:           8
        .value_kind:     global_buffer
      - .actual_access:  read_only
        .address_space:  global
        .offset:         80
        .size:           8
        .value_kind:     global_buffer
      - .offset:         88
        .size:           4
        .value_kind:     by_value
      - .offset:         92
        .size:           4
        .value_kind:     by_value
      - .offset:         96
        .size:           4
        .value_kind:     by_value
      - .offset:         100
        .size:           4
        .value_kind:     by_value
      - .offset:         104
        .size:           4
        .value_kind:     by_value
      - .offset:         112
        .size:           8
        .value_kind:     by_value
      - .offset:         120
        .size:           8
        .value_kind:     by_value
      - .offset:         128
        .size:           8
        .value_kind:     by_value
    .group_segment_fixed_size: 65536
    .kernarg_segment_align: 8
    .kernarg_segment_size: 136
    .language:       OpenCL C
    .language_version:
      - 2
      - 0
    .max_flat_workgroup_size: 256
    .name:           _ZN12_GLOBAL__N_139chunk_gated_delta_rule_fwd_h_hip_kernelILi64ELb0ELb1ELb1ELb1ELb1ELb0ELb1ELb0EEEvPK12hip_bfloat16S3_S3_PKfS5_PKvPS1_S8_PvPKiSB_iiiiilll
    .private_segment_fixed_size: 0
    .sgpr_count:     73
    .sgpr_spill_count: 0
    .symbol:         _ZN12_GLOBAL__N_139chunk_gated_delta_rule_fwd_h_hip_kernelILi64ELb0ELb1ELb1ELb1ELb1ELb0ELb1ELb0EEEvPK12hip_bfloat16S3_S3_PKfS5_PKvPS1_S8_PvPKiSB_iiiiilll.kd
    .uniform_work_group_size: 1
    .uses_dynamic_stack: false
    .vgpr_count:     216
    .vgpr_spill_count: 0
    .wavefront_size: 64
  - .agpr_count:     36
    .args:
      - .actual_access:  read_only
        .address_space:  global
        .offset:         0
        .size:           8
        .value_kind:     global_buffer
      - .actual_access:  read_only
        .address_space:  global
        .offset:         8
        .size:           8
        .value_kind:     global_buffer
      - .actual_access:  read_only
        .address_space:  global
        .offset:         16
        .size:           8
        .value_kind:     global_buffer
      - .actual_access:  read_only
        .address_space:  global
        .offset:         24
        .size:           8
        .value_kind:     global_buffer
      - .actual_access:  read_only
        .address_space:  global
        .offset:         32
        .size:           8
        .value_kind:     global_buffer
      - .actual_access:  read_only
        .address_space:  global
        .offset:         40
        .size:           8
        .value_kind:     global_buffer
      - .actual_access:  write_only
        .address_space:  global
        .offset:         48
        .size:           8
        .value_kind:     global_buffer
      - .actual_access:  read_only
        .address_space:  global
        .offset:         56
        .size:           8
        .value_kind:     global_buffer
      - .actual_access:  write_only
        .address_space:  global
        .offset:         64
        .size:           8
        .value_kind:     global_buffer
      - .actual_access:  read_only
        .address_space:  global
        .offset:         72
        .size:           8
        .value_kind:     global_buffer
      - .actual_access:  read_only
        .address_space:  global
        .offset:         80
        .size:           8
        .value_kind:     global_buffer
      - .offset:         88
        .size:           4
        .value_kind:     by_value
      - .offset:         92
        .size:           4
        .value_kind:     by_value
      - .offset:         96
        .size:           4
        .value_kind:     by_value
      - .offset:         100
        .size:           4
        .value_kind:     by_value
      - .offset:         104
        .size:           4
        .value_kind:     by_value
      - .offset:         112
        .size:           8
        .value_kind:     by_value
      - .offset:         120
        .size:           8
        .value_kind:     by_value
      - .offset:         128
        .size:           8
        .value_kind:     by_value
    .group_segment_fixed_size: 65536
    .kernarg_segment_align: 8
    .kernarg_segment_size: 136
    .language:       OpenCL C
    .language_version:
      - 2
      - 0
    .max_flat_workgroup_size: 256
    .name:           _ZN12_GLOBAL__N_139chunk_gated_delta_rule_fwd_h_hip_kernelILi64ELb0ELb1ELb0ELb1ELb1ELb0ELb1ELb0EEEvPK12hip_bfloat16S3_S3_PKfS5_PKvPS1_S8_PvPKiSB_iiiiilll
    .private_segment_fixed_size: 0
    .sgpr_count:     71
    .sgpr_spill_count: 0
    .symbol:         _ZN12_GLOBAL__N_139chunk_gated_delta_rule_fwd_h_hip_kernelILi64ELb0ELb1ELb0ELb1ELb1ELb0ELb1ELb0EEEvPK12hip_bfloat16S3_S3_PKfS5_PKvPS1_S8_PvPKiSB_iiiiilll.kd
    .uniform_work_group_size: 1
    .uses_dynamic_stack: false
    .vgpr_count:     216
    .vgpr_spill_count: 0
    .wavefront_size: 64
  - .agpr_count:     36
    .args:
      - .actual_access:  read_only
        .address_space:  global
        .offset:         0
        .size:           8
        .value_kind:     global_buffer
      - .actual_access:  read_only
        .address_space:  global
        .offset:         8
        .size:           8
        .value_kind:     global_buffer
      - .actual_access:  read_only
        .address_space:  global
        .offset:         16
        .size:           8
        .value_kind:     global_buffer
      - .actual_access:  read_only
        .address_space:  global
        .offset:         24
        .size:           8
        .value_kind:     global_buffer
      - .actual_access:  read_only
        .address_space:  global
        .offset:         32
        .size:           8
        .value_kind:     global_buffer
      - .actual_access:  read_only
        .address_space:  global
        .offset:         40
        .size:           8
        .value_kind:     global_buffer
      - .actual_access:  write_only
        .address_space:  global
        .offset:         48
        .size:           8
        .value_kind:     global_buffer
      - .actual_access:  write_only
        .address_space:  global
        .offset:         56
        .size:           8
        .value_kind:     global_buffer
      - .actual_access:  read_only
        .address_space:  global
        .offset:         64
        .size:           8
        .value_kind:     global_buffer
      - .actual_access:  read_only
        .address_space:  global
        .offset:         72
        .size:           8
        .value_kind:     global_buffer
      - .actual_access:  read_only
        .address_space:  global
        .offset:         80
        .size:           8
        .value_kind:     global_buffer
      - .offset:         88
        .size:           4
        .value_kind:     by_value
      - .offset:         92
        .size:           4
        .value_kind:     by_value
      - .offset:         96
        .size:           4
        .value_kind:     by_value
      - .offset:         100
        .size:           4
        .value_kind:     by_value
      - .offset:         104
        .size:           4
        .value_kind:     by_value
      - .offset:         112
        .size:           8
        .value_kind:     by_value
      - .offset:         120
        .size:           8
        .value_kind:     by_value
      - .offset:         128
        .size:           8
        .value_kind:     by_value
    .group_segment_fixed_size: 65536
    .kernarg_segment_align: 8
    .kernarg_segment_size: 136
    .language:       OpenCL C
    .language_version:
      - 2
      - 0
    .max_flat_workgroup_size: 256
    .name:           _ZN12_GLOBAL__N_139chunk_gated_delta_rule_fwd_h_hip_kernelILi64ELb0ELb0ELb1ELb1ELb1ELb0ELb1ELb0EEEvPK12hip_bfloat16S3_S3_PKfS5_PKvPS1_S8_PvPKiSB_iiiiilll
    .private_segment_fixed_size: 0
    .sgpr_count:     68
    .sgpr_spill_count: 0
    .symbol:         _ZN12_GLOBAL__N_139chunk_gated_delta_rule_fwd_h_hip_kernelILi64ELb0ELb0ELb1ELb1ELb1ELb0ELb1ELb0EEEvPK12hip_bfloat16S3_S3_PKfS5_PKvPS1_S8_PvPKiSB_iiiiilll.kd
    .uniform_work_group_size: 1
    .uses_dynamic_stack: false
    .vgpr_count:     216
    .vgpr_spill_count: 0
    .wavefront_size: 64
  - .agpr_count:     36
    .args:
      - .actual_access:  read_only
        .address_space:  global
        .offset:         0
        .size:           8
        .value_kind:     global_buffer
      - .actual_access:  read_only
        .address_space:  global
        .offset:         8
        .size:           8
        .value_kind:     global_buffer
      - .actual_access:  read_only
        .address_space:  global
        .offset:         16
        .size:           8
        .value_kind:     global_buffer
      - .actual_access:  read_only
        .address_space:  global
        .offset:         24
        .size:           8
        .value_kind:     global_buffer
      - .actual_access:  read_only
        .address_space:  global
        .offset:         32
        .size:           8
        .value_kind:     global_buffer
      - .actual_access:  read_only
        .address_space:  global
        .offset:         40
        .size:           8
        .value_kind:     global_buffer
      - .actual_access:  write_only
        .address_space:  global
        .offset:         48
        .size:           8
        .value_kind:     global_buffer
      - .actual_access:  read_only
        .address_space:  global
        .offset:         56
        .size:           8
        .value_kind:     global_buffer
      - .actual_access:  read_only
        .address_space:  global
        .offset:         64
        .size:           8
        .value_kind:     global_buffer
      - .actual_access:  read_only
        .address_space:  global
        .offset:         72
        .size:           8
        .value_kind:     global_buffer
      - .actual_access:  read_only
        .address_space:  global
        .offset:         80
        .size:           8
        .value_kind:     global_buffer
      - .offset:         88
        .size:           4
        .value_kind:     by_value
      - .offset:         92
        .size:           4
        .value_kind:     by_value
      - .offset:         96
        .size:           4
        .value_kind:     by_value
      - .offset:         100
        .size:           4
        .value_kind:     by_value
      - .offset:         104
        .size:           4
        .value_kind:     by_value
      - .offset:         112
        .size:           8
        .value_kind:     by_value
      - .offset:         120
        .size:           8
        .value_kind:     by_value
      - .offset:         128
        .size:           8
        .value_kind:     by_value
    .group_segment_fixed_size: 65536
    .kernarg_segment_align: 8
    .kernarg_segment_size: 136
    .language:       OpenCL C
    .language_version:
      - 2
      - 0
    .max_flat_workgroup_size: 256
    .name:           _ZN12_GLOBAL__N_139chunk_gated_delta_rule_fwd_h_hip_kernelILi64ELb0ELb0ELb0ELb1ELb1ELb0ELb1ELb0EEEvPK12hip_bfloat16S3_S3_PKfS5_PKvPS1_S8_PvPKiSB_iiiiilll
    .private_segment_fixed_size: 0
    .sgpr_count:     66
    .sgpr_spill_count: 0
    .symbol:         _ZN12_GLOBAL__N_139chunk_gated_delta_rule_fwd_h_hip_kernelILi64ELb0ELb0ELb0ELb1ELb1ELb0ELb1ELb0EEEvPK12hip_bfloat16S3_S3_PKfS5_PKvPS1_S8_PvPKiSB_iiiiilll.kd
    .uniform_work_group_size: 1
    .uses_dynamic_stack: false
    .vgpr_count:     216
    .vgpr_spill_count: 0
    .wavefront_size: 64
  - .agpr_count:     36
    .args:
      - .actual_access:  read_only
        .address_space:  global
        .offset:         0
        .size:           8
        .value_kind:     global_buffer
      - .actual_access:  read_only
        .address_space:  global
        .offset:         8
        .size:           8
        .value_kind:     global_buffer
      - .actual_access:  read_only
        .address_space:  global
        .offset:         16
        .size:           8
        .value_kind:     global_buffer
      - .actual_access:  read_only
        .address_space:  global
        .offset:         24
        .size:           8
        .value_kind:     global_buffer
      - .actual_access:  read_only
        .address_space:  global
        .offset:         32
        .size:           8
        .value_kind:     global_buffer
      - .actual_access:  read_only
        .address_space:  global
        .offset:         40
        .size:           8
        .value_kind:     global_buffer
      - .actual_access:  write_only
        .address_space:  global
        .offset:         48
        .size:           8
        .value_kind:     global_buffer
      - .actual_access:  write_only
        .address_space:  global
        .offset:         56
        .size:           8
        .value_kind:     global_buffer
      - .actual_access:  write_only
        .address_space:  global
        .offset:         64
        .size:           8
        .value_kind:     global_buffer
      - .actual_access:  read_only
        .address_space:  global
        .offset:         72
        .size:           8
        .value_kind:     global_buffer
      - .actual_access:  read_only
        .address_space:  global
        .offset:         80
        .size:           8
        .value_kind:     global_buffer
      - .offset:         88
        .size:           4
        .value_kind:     by_value
      - .offset:         92
        .size:           4
        .value_kind:     by_value
      - .offset:         96
        .size:           4
        .value_kind:     by_value
      - .offset:         100
        .size:           4
        .value_kind:     by_value
      - .offset:         104
        .size:           4
        .value_kind:     by_value
      - .offset:         112
        .size:           8
        .value_kind:     by_value
      - .offset:         120
        .size:           8
        .value_kind:     by_value
      - .offset:         128
        .size:           8
        .value_kind:     by_value
    .group_segment_fixed_size: 65536
    .kernarg_segment_align: 8
    .kernarg_segment_size: 136
    .language:       OpenCL C
    .language_version:
      - 2
      - 0
    .max_flat_workgroup_size: 256
    .name:           _ZN12_GLOBAL__N_139chunk_gated_delta_rule_fwd_h_hip_kernelILi64ELb1ELb1ELb1ELb0ELb1ELb0ELb1ELb0EEEvPK12hip_bfloat16S3_S3_PKfS5_PKvPS1_S8_PvPKiSB_iiiiilll
    .private_segment_fixed_size: 0
    .sgpr_count:     78
    .sgpr_spill_count: 0
    .symbol:         _ZN12_GLOBAL__N_139chunk_gated_delta_rule_fwd_h_hip_kernelILi64ELb1ELb1ELb1ELb0ELb1ELb0ELb1ELb0EEEvPK12hip_bfloat16S3_S3_PKfS5_PKvPS1_S8_PvPKiSB_iiiiilll.kd
    .uniform_work_group_size: 1
    .uses_dynamic_stack: false
    .vgpr_count:     224
    .vgpr_spill_count: 0
    .wavefront_size: 64
  - .agpr_count:     36
    .args:
      - .actual_access:  read_only
        .address_space:  global
        .offset:         0
        .size:           8
        .value_kind:     global_buffer
      - .actual_access:  read_only
        .address_space:  global
        .offset:         8
        .size:           8
        .value_kind:     global_buffer
      - .actual_access:  read_only
        .address_space:  global
        .offset:         16
        .size:           8
        .value_kind:     global_buffer
      - .actual_access:  read_only
        .address_space:  global
        .offset:         24
        .size:           8
        .value_kind:     global_buffer
      - .actual_access:  read_only
        .address_space:  global
        .offset:         32
        .size:           8
        .value_kind:     global_buffer
      - .actual_access:  read_only
        .address_space:  global
        .offset:         40
        .size:           8
        .value_kind:     global_buffer
      - .actual_access:  write_only
        .address_space:  global
        .offset:         48
        .size:           8
        .value_kind:     global_buffer
      - .actual_access:  read_only
        .address_space:  global
        .offset:         56
        .size:           8
        .value_kind:     global_buffer
      - .actual_access:  write_only
        .address_space:  global
        .offset:         64
        .size:           8
        .value_kind:     global_buffer
      - .actual_access:  read_only
        .address_space:  global
        .offset:         72
        .size:           8
        .value_kind:     global_buffer
      - .actual_access:  read_only
        .address_space:  global
        .offset:         80
        .size:           8
        .value_kind:     global_buffer
      - .offset:         88
        .size:           4
        .value_kind:     by_value
      - .offset:         92
        .size:           4
        .value_kind:     by_value
      - .offset:         96
        .size:           4
        .value_kind:     by_value
      - .offset:         100
        .size:           4
        .value_kind:     by_value
      - .offset:         104
        .size:           4
        .value_kind:     by_value
      - .offset:         112
        .size:           8
        .value_kind:     by_value
      - .offset:         120
        .size:           8
        .value_kind:     by_value
      - .offset:         128
        .size:           8
        .value_kind:     by_value
    .group_segment_fixed_size: 65536
    .kernarg_segment_align: 8
    .kernarg_segment_size: 136
    .language:       OpenCL C
    .language_version:
      - 2
      - 0
    .max_flat_workgroup_size: 256
    .name:           _ZN12_GLOBAL__N_139chunk_gated_delta_rule_fwd_h_hip_kernelILi64ELb1ELb1ELb0ELb0ELb1ELb0ELb1ELb0EEEvPK12hip_bfloat16S3_S3_PKfS5_PKvPS1_S8_PvPKiSB_iiiiilll
    .private_segment_fixed_size: 0
    .sgpr_count:     76
    .sgpr_spill_count: 0
    .symbol:         _ZN12_GLOBAL__N_139chunk_gated_delta_rule_fwd_h_hip_kernelILi64ELb1ELb1ELb0ELb0ELb1ELb0ELb1ELb0EEEvPK12hip_bfloat16S3_S3_PKfS5_PKvPS1_S8_PvPKiSB_iiiiilll.kd
    .uniform_work_group_size: 1
    .uses_dynamic_stack: false
    .vgpr_count:     224
    .vgpr_spill_count: 0
    .wavefront_size: 64
  - .agpr_count:     36
    .args:
      - .actual_access:  read_only
        .address_space:  global
        .offset:         0
        .size:           8
        .value_kind:     global_buffer
      - .actual_access:  read_only
        .address_space:  global
        .offset:         8
        .size:           8
        .value_kind:     global_buffer
      - .actual_access:  read_only
        .address_space:  global
        .offset:         16
        .size:           8
        .value_kind:     global_buffer
      - .actual_access:  read_only
        .address_space:  global
        .offset:         24
        .size:           8
        .value_kind:     global_buffer
      - .actual_access:  read_only
        .address_space:  global
        .offset:         32
        .size:           8
        .value_kind:     global_buffer
      - .actual_access:  read_only
        .address_space:  global
        .offset:         40
        .size:           8
        .value_kind:     global_buffer
      - .actual_access:  write_only
        .address_space:  global
        .offset:         48
        .size:           8
        .value_kind:     global_buffer
      - .actual_access:  write_only
        .address_space:  global
        .offset:         56
        .size:           8
        .value_kind:     global_buffer
      - .actual_access:  read_only
        .address_space:  global
        .offset:         64
        .size:           8
        .value_kind:     global_buffer
      - .actual_access:  read_only
        .address_space:  global
        .offset:         72
        .size:           8
        .value_kind:     global_buffer
      - .actual_access:  read_only
        .address_space:  global
        .offset:         80
        .size:           8
        .value_kind:     global_buffer
      - .offset:         88
        .size:           4
        .value_kind:     by_value
      - .offset:         92
        .size:           4
        .value_kind:     by_value
      - .offset:         96
        .size:           4
        .value_kind:     by_value
      - .offset:         100
        .size:           4
        .value_kind:     by_value
      - .offset:         104
        .size:           4
        .value_kind:     by_value
      - .offset:         112
        .size:           8
        .value_kind:     by_value
      - .offset:         120
        .size:           8
        .value_kind:     by_value
      - .offset:         128
        .size:           8
        .value_kind:     by_value
    .group_segment_fixed_size: 65536
    .kernarg_segment_align: 8
    .kernarg_segment_size: 136
    .language:       OpenCL C
    .language_version:
      - 2
      - 0
    .max_flat_workgroup_size: 256
    .name:           _ZN12_GLOBAL__N_139chunk_gated_delta_rule_fwd_h_hip_kernelILi64ELb1ELb0ELb1ELb0ELb1ELb0ELb1ELb0EEEvPK12hip_bfloat16S3_S3_PKfS5_PKvPS1_S8_PvPKiSB_iiiiilll
    .private_segment_fixed_size: 0
    .sgpr_count:     74
    .sgpr_spill_count: 0
    .symbol:         _ZN12_GLOBAL__N_139chunk_gated_delta_rule_fwd_h_hip_kernelILi64ELb1ELb0ELb1ELb0ELb1ELb0ELb1ELb0EEEvPK12hip_bfloat16S3_S3_PKfS5_PKvPS1_S8_PvPKiSB_iiiiilll.kd
    .uniform_work_group_size: 1
    .uses_dynamic_stack: false
    .vgpr_count:     216
    .vgpr_spill_count: 0
    .wavefront_size: 64
  - .agpr_count:     36
    .args:
      - .actual_access:  read_only
        .address_space:  global
        .offset:         0
        .size:           8
        .value_kind:     global_buffer
      - .actual_access:  read_only
        .address_space:  global
        .offset:         8
        .size:           8
        .value_kind:     global_buffer
      - .actual_access:  read_only
        .address_space:  global
        .offset:         16
        .size:           8
        .value_kind:     global_buffer
      - .actual_access:  read_only
        .address_space:  global
        .offset:         24
        .size:           8
        .value_kind:     global_buffer
      - .actual_access:  read_only
        .address_space:  global
        .offset:         32
        .size:           8
        .value_kind:     global_buffer
      - .actual_access:  read_only
        .address_space:  global
        .offset:         40
        .size:           8
        .value_kind:     global_buffer
      - .actual_access:  write_only
        .address_space:  global
        .offset:         48
        .size:           8
        .value_kind:     global_buffer
      - .actual_access:  read_only
        .address_space:  global
        .offset:         56
        .size:           8
        .value_kind:     global_buffer
      - .actual_access:  read_only
        .address_space:  global
        .offset:         64
        .size:           8
        .value_kind:     global_buffer
      - .actual_access:  read_only
        .address_space:  global
        .offset:         72
        .size:           8
        .value_kind:     global_buffer
      - .actual_access:  read_only
        .address_space:  global
        .offset:         80
        .size:           8
        .value_kind:     global_buffer
      - .offset:         88
        .size:           4
        .value_kind:     by_value
      - .offset:         92
        .size:           4
        .value_kind:     by_value
      - .offset:         96
        .size:           4
        .value_kind:     by_value
      - .offset:         100
        .size:           4
        .value_kind:     by_value
      - .offset:         104
        .size:           4
        .value_kind:     by_value
      - .offset:         112
        .size:           8
        .value_kind:     by_value
      - .offset:         120
        .size:           8
        .value_kind:     by_value
      - .offset:         128
        .size:           8
        .value_kind:     by_value
    .group_segment_fixed_size: 65536
    .kernarg_segment_align: 8
    .kernarg_segment_size: 136
    .language:       OpenCL C
    .language_version:
      - 2
      - 0
    .max_flat_workgroup_size: 256
    .name:           _ZN12_GLOBAL__N_139chunk_gated_delta_rule_fwd_h_hip_kernelILi64ELb1ELb0ELb0ELb0ELb1ELb0ELb1ELb0EEEvPK12hip_bfloat16S3_S3_PKfS5_PKvPS1_S8_PvPKiSB_iiiiilll
    .private_segment_fixed_size: 0
    .sgpr_count:     72
    .sgpr_spill_count: 0
    .symbol:         _ZN12_GLOBAL__N_139chunk_gated_delta_rule_fwd_h_hip_kernelILi64ELb1ELb0ELb0ELb0ELb1ELb0ELb1ELb0EEEvPK12hip_bfloat16S3_S3_PKfS5_PKvPS1_S8_PvPKiSB_iiiiilll.kd
    .uniform_work_group_size: 1
    .uses_dynamic_stack: false
    .vgpr_count:     216
    .vgpr_spill_count: 0
    .wavefront_size: 64
  - .agpr_count:     36
    .args:
      - .actual_access:  read_only
        .address_space:  global
        .offset:         0
        .size:           8
        .value_kind:     global_buffer
      - .actual_access:  read_only
        .address_space:  global
        .offset:         8
        .size:           8
        .value_kind:     global_buffer
      - .actual_access:  read_only
        .address_space:  global
        .offset:         16
        .size:           8
        .value_kind:     global_buffer
      - .actual_access:  read_only
        .address_space:  global
        .offset:         24
        .size:           8
        .value_kind:     global_buffer
      - .actual_access:  read_only
        .address_space:  global
        .offset:         32
        .size:           8
        .value_kind:     global_buffer
      - .actual_access:  read_only
        .address_space:  global
        .offset:         40
        .size:           8
        .value_kind:     global_buffer
      - .actual_access:  write_only
        .address_space:  global
        .offset:         48
        .size:           8
        .value_kind:     global_buffer
      - .actual_access:  write_only
        .address_space:  global
        .offset:         56
        .size:           8
        .value_kind:     global_buffer
      - .actual_access:  write_only
        .address_space:  global
        .offset:         64
        .size:           8
        .value_kind:     global_buffer
      - .actual_access:  read_only
        .address_space:  global
        .offset:         72
        .size:           8
        .value_kind:     global_buffer
      - .actual_access:  read_only
        .address_space:  global
        .offset:         80
        .size:           8
        .value_kind:     global_buffer
      - .offset:         88
        .size:           4
        .value_kind:     by_value
      - .offset:         92
        .size:           4
        .value_kind:     by_value
      - .offset:         96
        .size:           4
        .value_kind:     by_value
      - .offset:         100
        .size:           4
        .value_kind:     by_value
      - .offset:         104
        .size:           4
        .value_kind:     by_value
      - .offset:         112
        .size:           8
        .value_kind:     by_value
      - .offset:         120
        .size:           8
        .value_kind:     by_value
      - .offset:         128
        .size:           8
        .value_kind:     by_value
    .group_segment_fixed_size: 65536
    .kernarg_segment_align: 8
    .kernarg_segment_size: 136
    .language:       OpenCL C
    .language_version:
      - 2
      - 0
    .max_flat_workgroup_size: 256
    .name:           _ZN12_GLOBAL__N_139chunk_gated_delta_rule_fwd_h_hip_kernelILi64ELb0ELb1ELb1ELb0ELb1ELb0ELb1ELb0EEEvPK12hip_bfloat16S3_S3_PKfS5_PKvPS1_S8_PvPKiSB_iiiiilll
    .private_segment_fixed_size: 0
    .sgpr_count:     73
    .sgpr_spill_count: 0
    .symbol:         _ZN12_GLOBAL__N_139chunk_gated_delta_rule_fwd_h_hip_kernelILi64ELb0ELb1ELb1ELb0ELb1ELb0ELb1ELb0EEEvPK12hip_bfloat16S3_S3_PKfS5_PKvPS1_S8_PvPKiSB_iiiiilll.kd
    .uniform_work_group_size: 1
    .uses_dynamic_stack: false
    .vgpr_count:     216
    .vgpr_spill_count: 0
    .wavefront_size: 64
  - .agpr_count:     36
    .args:
      - .actual_access:  read_only
        .address_space:  global
        .offset:         0
        .size:           8
        .value_kind:     global_buffer
      - .actual_access:  read_only
        .address_space:  global
        .offset:         8
        .size:           8
        .value_kind:     global_buffer
      - .actual_access:  read_only
        .address_space:  global
        .offset:         16
        .size:           8
        .value_kind:     global_buffer
      - .actual_access:  read_only
        .address_space:  global
        .offset:         24
        .size:           8
        .value_kind:     global_buffer
      - .actual_access:  read_only
        .address_space:  global
        .offset:         32
        .size:           8
        .value_kind:     global_buffer
      - .actual_access:  read_only
        .address_space:  global
        .offset:         40
        .size:           8
        .value_kind:     global_buffer
      - .actual_access:  write_only
        .address_space:  global
        .offset:         48
        .size:           8
        .value_kind:     global_buffer
      - .actual_access:  read_only
        .address_space:  global
        .offset:         56
        .size:           8
        .value_kind:     global_buffer
      - .actual_access:  write_only
        .address_space:  global
        .offset:         64
        .size:           8
        .value_kind:     global_buffer
      - .actual_access:  read_only
        .address_space:  global
        .offset:         72
        .size:           8
        .value_kind:     global_buffer
      - .actual_access:  read_only
        .address_space:  global
        .offset:         80
        .size:           8
        .value_kind:     global_buffer
      - .offset:         88
        .size:           4
        .value_kind:     by_value
      - .offset:         92
        .size:           4
        .value_kind:     by_value
      - .offset:         96
        .size:           4
        .value_kind:     by_value
      - .offset:         100
        .size:           4
        .value_kind:     by_value
      - .offset:         104
        .size:           4
        .value_kind:     by_value
      - .offset:         112
        .size:           8
        .value_kind:     by_value
      - .offset:         120
        .size:           8
        .value_kind:     by_value
      - .offset:         128
        .size:           8
        .value_kind:     by_value
    .group_segment_fixed_size: 65536
    .kernarg_segment_align: 8
    .kernarg_segment_size: 136
    .language:       OpenCL C
    .language_version:
      - 2
      - 0
    .max_flat_workgroup_size: 256
    .name:           _ZN12_GLOBAL__N_139chunk_gated_delta_rule_fwd_h_hip_kernelILi64ELb0ELb1ELb0ELb0ELb1ELb0ELb1ELb0EEEvPK12hip_bfloat16S3_S3_PKfS5_PKvPS1_S8_PvPKiSB_iiiiilll
    .private_segment_fixed_size: 0
    .sgpr_count:     71
    .sgpr_spill_count: 0
    .symbol:         _ZN12_GLOBAL__N_139chunk_gated_delta_rule_fwd_h_hip_kernelILi64ELb0ELb1ELb0ELb0ELb1ELb0ELb1ELb0EEEvPK12hip_bfloat16S3_S3_PKfS5_PKvPS1_S8_PvPKiSB_iiiiilll.kd
    .uniform_work_group_size: 1
    .uses_dynamic_stack: false
    .vgpr_count:     216
    .vgpr_spill_count: 0
    .wavefront_size: 64
  - .agpr_count:     36
    .args:
      - .actual_access:  read_only
        .address_space:  global
        .offset:         0
        .size:           8
        .value_kind:     global_buffer
      - .actual_access:  read_only
        .address_space:  global
        .offset:         8
        .size:           8
        .value_kind:     global_buffer
      - .actual_access:  read_only
        .address_space:  global
        .offset:         16
        .size:           8
        .value_kind:     global_buffer
      - .actual_access:  read_only
        .address_space:  global
        .offset:         24
        .size:           8
        .value_kind:     global_buffer
      - .actual_access:  read_only
        .address_space:  global
        .offset:         32
        .size:           8
        .value_kind:     global_buffer
      - .actual_access:  read_only
        .address_space:  global
        .offset:         40
        .size:           8
        .value_kind:     global_buffer
      - .actual_access:  write_only
        .address_space:  global
        .offset:         48
        .size:           8
        .value_kind:     global_buffer
      - .actual_access:  write_only
        .address_space:  global
        .offset:         56
        .size:           8
        .value_kind:     global_buffer
      - .actual_access:  read_only
        .address_space:  global
        .offset:         64
        .size:           8
        .value_kind:     global_buffer
      - .actual_access:  read_only
        .address_space:  global
        .offset:         72
        .size:           8
        .value_kind:     global_buffer
      - .actual_access:  read_only
        .address_space:  global
        .offset:         80
        .size:           8
        .value_kind:     global_buffer
      - .offset:         88
        .size:           4
        .value_kind:     by_value
      - .offset:         92
        .size:           4
        .value_kind:     by_value
      - .offset:         96
        .size:           4
        .value_kind:     by_value
      - .offset:         100
        .size:           4
        .value_kind:     by_value
      - .offset:         104
        .size:           4
        .value_kind:     by_value
      - .offset:         112
        .size:           8
        .value_kind:     by_value
      - .offset:         120
        .size:           8
        .value_kind:     by_value
      - .offset:         128
        .size:           8
        .value_kind:     by_value
    .group_segment_fixed_size: 65536
    .kernarg_segment_align: 8
    .kernarg_segment_size: 136
    .language:       OpenCL C
    .language_version:
      - 2
      - 0
    .max_flat_workgroup_size: 256
    .name:           _ZN12_GLOBAL__N_139chunk_gated_delta_rule_fwd_h_hip_kernelILi64ELb0ELb0ELb1ELb0ELb1ELb0ELb1ELb0EEEvPK12hip_bfloat16S3_S3_PKfS5_PKvPS1_S8_PvPKiSB_iiiiilll
    .private_segment_fixed_size: 0
    .sgpr_count:     71
    .sgpr_spill_count: 0
    .symbol:         _ZN12_GLOBAL__N_139chunk_gated_delta_rule_fwd_h_hip_kernelILi64ELb0ELb0ELb1ELb0ELb1ELb0ELb1ELb0EEEvPK12hip_bfloat16S3_S3_PKfS5_PKvPS1_S8_PvPKiSB_iiiiilll.kd
    .uniform_work_group_size: 1
    .uses_dynamic_stack: false
    .vgpr_count:     216
    .vgpr_spill_count: 0
    .wavefront_size: 64
  - .agpr_count:     36
    .args:
      - .actual_access:  read_only
        .address_space:  global
        .offset:         0
        .size:           8
        .value_kind:     global_buffer
      - .actual_access:  read_only
        .address_space:  global
        .offset:         8
        .size:           8
        .value_kind:     global_buffer
      - .actual_access:  read_only
        .address_space:  global
        .offset:         16
        .size:           8
        .value_kind:     global_buffer
      - .actual_access:  read_only
        .address_space:  global
        .offset:         24
        .size:           8
        .value_kind:     global_buffer
      - .actual_access:  read_only
        .address_space:  global
        .offset:         32
        .size:           8
        .value_kind:     global_buffer
      - .actual_access:  read_only
        .address_space:  global
        .offset:         40
        .size:           8
        .value_kind:     global_buffer
      - .actual_access:  write_only
        .address_space:  global
        .offset:         48
        .size:           8
        .value_kind:     global_buffer
      - .actual_access:  read_only
        .address_space:  global
        .offset:         56
        .size:           8
        .value_kind:     global_buffer
      - .actual_access:  read_only
        .address_space:  global
        .offset:         64
        .size:           8
        .value_kind:     global_buffer
      - .actual_access:  read_only
        .address_space:  global
        .offset:         72
        .size:           8
        .value_kind:     global_buffer
      - .actual_access:  read_only
        .address_space:  global
        .offset:         80
        .size:           8
        .value_kind:     global_buffer
      - .offset:         88
        .size:           4
        .value_kind:     by_value
      - .offset:         92
        .size:           4
        .value_kind:     by_value
      - .offset:         96
        .size:           4
        .value_kind:     by_value
      - .offset:         100
        .size:           4
        .value_kind:     by_value
      - .offset:         104
        .size:           4
        .value_kind:     by_value
      - .offset:         112
        .size:           8
        .value_kind:     by_value
      - .offset:         120
        .size:           8
        .value_kind:     by_value
      - .offset:         128
        .size:           8
        .value_kind:     by_value
    .group_segment_fixed_size: 65536
    .kernarg_segment_align: 8
    .kernarg_segment_size: 136
    .language:       OpenCL C
    .language_version:
      - 2
      - 0
    .max_flat_workgroup_size: 256
    .name:           _ZN12_GLOBAL__N_139chunk_gated_delta_rule_fwd_h_hip_kernelILi64ELb0ELb0ELb0ELb0ELb1ELb0ELb1ELb0EEEvPK12hip_bfloat16S3_S3_PKfS5_PKvPS1_S8_PvPKiSB_iiiiilll
    .private_segment_fixed_size: 0
    .sgpr_count:     69
    .sgpr_spill_count: 0
    .symbol:         _ZN12_GLOBAL__N_139chunk_gated_delta_rule_fwd_h_hip_kernelILi64ELb0ELb0ELb0ELb0ELb1ELb0ELb1ELb0EEEvPK12hip_bfloat16S3_S3_PKfS5_PKvPS1_S8_PvPKiSB_iiiiilll.kd
    .uniform_work_group_size: 1
    .uses_dynamic_stack: false
    .vgpr_count:     216
    .vgpr_spill_count: 0
    .wavefront_size: 64
  - .agpr_count:     36
    .args:
      - .actual_access:  read_only
        .address_space:  global
        .offset:         0
        .size:           8
        .value_kind:     global_buffer
      - .actual_access:  read_only
        .address_space:  global
        .offset:         8
        .size:           8
        .value_kind:     global_buffer
      - .actual_access:  read_only
        .address_space:  global
        .offset:         16
        .size:           8
        .value_kind:     global_buffer
      - .actual_access:  read_only
        .address_space:  global
        .offset:         24
        .size:           8
        .value_kind:     global_buffer
      - .actual_access:  read_only
        .address_space:  global
        .offset:         32
        .size:           8
        .value_kind:     global_buffer
      - .actual_access:  read_only
        .address_space:  global
        .offset:         40
        .size:           8
        .value_kind:     global_buffer
      - .actual_access:  write_only
        .address_space:  global
        .offset:         48
        .size:           8
        .value_kind:     global_buffer
      - .actual_access:  write_only
        .address_space:  global
        .offset:         56
        .size:           8
        .value_kind:     global_buffer
      - .actual_access:  write_only
        .address_space:  global
        .offset:         64
        .size:           8
        .value_kind:     global_buffer
      - .actual_access:  read_only
        .address_space:  global
        .offset:         72
        .size:           8
        .value_kind:     global_buffer
      - .actual_access:  read_only
        .address_space:  global
        .offset:         80
        .size:           8
        .value_kind:     global_buffer
      - .offset:         88
        .size:           4
        .value_kind:     by_value
      - .offset:         92
        .size:           4
        .value_kind:     by_value
      - .offset:         96
        .size:           4
        .value_kind:     by_value
      - .offset:         100
        .size:           4
        .value_kind:     by_value
      - .offset:         104
        .size:           4
        .value_kind:     by_value
      - .offset:         112
        .size:           8
        .value_kind:     by_value
      - .offset:         120
        .size:           8
        .value_kind:     by_value
      - .offset:         128
        .size:           8
        .value_kind:     by_value
    .group_segment_fixed_size: 65536
    .kernarg_segment_align: 8
    .kernarg_segment_size: 136
    .language:       OpenCL C
    .language_version:
      - 2
      - 0
    .max_flat_workgroup_size: 256
    .name:           _ZN12_GLOBAL__N_139chunk_gated_delta_rule_fwd_h_hip_kernelILi64ELb1ELb1ELb1ELb1ELb1ELb0ELb0ELb0EEEvPK12hip_bfloat16S3_S3_PKfS5_PKvPS1_S8_PvPKiSB_iiiiilll
    .private_segment_fixed_size: 0
    .sgpr_count:     73
    .sgpr_spill_count: 0
    .symbol:         _ZN12_GLOBAL__N_139chunk_gated_delta_rule_fwd_h_hip_kernelILi64ELb1ELb1ELb1ELb1ELb1ELb0ELb0ELb0EEEvPK12hip_bfloat16S3_S3_PKfS5_PKvPS1_S8_PvPKiSB_iiiiilll.kd
    .uniform_work_group_size: 1
    .uses_dynamic_stack: false
    .vgpr_count:     224
    .vgpr_spill_count: 0
    .wavefront_size: 64
  - .agpr_count:     36
    .args:
      - .actual_access:  read_only
        .address_space:  global
        .offset:         0
        .size:           8
        .value_kind:     global_buffer
      - .actual_access:  read_only
        .address_space:  global
        .offset:         8
        .size:           8
        .value_kind:     global_buffer
      - .actual_access:  read_only
        .address_space:  global
        .offset:         16
        .size:           8
        .value_kind:     global_buffer
      - .actual_access:  read_only
        .address_space:  global
        .offset:         24
        .size:           8
        .value_kind:     global_buffer
      - .actual_access:  read_only
        .address_space:  global
        .offset:         32
        .size:           8
        .value_kind:     global_buffer
      - .actual_access:  read_only
        .address_space:  global
        .offset:         40
        .size:           8
        .value_kind:     global_buffer
      - .actual_access:  write_only
        .address_space:  global
        .offset:         48
        .size:           8
        .value_kind:     global_buffer
      - .actual_access:  read_only
        .address_space:  global
        .offset:         56
        .size:           8
        .value_kind:     global_buffer
      - .actual_access:  write_only
        .address_space:  global
        .offset:         64
        .size:           8
        .value_kind:     global_buffer
      - .actual_access:  read_only
        .address_space:  global
        .offset:         72
        .size:           8
        .value_kind:     global_buffer
      - .actual_access:  read_only
        .address_space:  global
        .offset:         80
        .size:           8
        .value_kind:     global_buffer
      - .offset:         88
        .size:           4
        .value_kind:     by_value
      - .offset:         92
        .size:           4
        .value_kind:     by_value
      - .offset:         96
        .size:           4
        .value_kind:     by_value
      - .offset:         100
        .size:           4
        .value_kind:     by_value
      - .offset:         104
        .size:           4
        .value_kind:     by_value
      - .offset:         112
        .size:           8
        .value_kind:     by_value
      - .offset:         120
        .size:           8
        .value_kind:     by_value
      - .offset:         128
        .size:           8
        .value_kind:     by_value
    .group_segment_fixed_size: 65536
    .kernarg_segment_align: 8
    .kernarg_segment_size: 136
    .language:       OpenCL C
    .language_version:
      - 2
      - 0
    .max_flat_workgroup_size: 256
    .name:           _ZN12_GLOBAL__N_139chunk_gated_delta_rule_fwd_h_hip_kernelILi64ELb1ELb1ELb0ELb1ELb1ELb0ELb0ELb0EEEvPK12hip_bfloat16S3_S3_PKfS5_PKvPS1_S8_PvPKiSB_iiiiilll
    .private_segment_fixed_size: 0
    .sgpr_count:     71
    .sgpr_spill_count: 0
    .symbol:         _ZN12_GLOBAL__N_139chunk_gated_delta_rule_fwd_h_hip_kernelILi64ELb1ELb1ELb0ELb1ELb1ELb0ELb0ELb0EEEvPK12hip_bfloat16S3_S3_PKfS5_PKvPS1_S8_PvPKiSB_iiiiilll.kd
    .uniform_work_group_size: 1
    .uses_dynamic_stack: false
    .vgpr_count:     224
    .vgpr_spill_count: 0
    .wavefront_size: 64
  - .agpr_count:     36
    .args:
      - .actual_access:  read_only
        .address_space:  global
        .offset:         0
        .size:           8
        .value_kind:     global_buffer
      - .actual_access:  read_only
        .address_space:  global
        .offset:         8
        .size:           8
        .value_kind:     global_buffer
      - .actual_access:  read_only
        .address_space:  global
        .offset:         16
        .size:           8
        .value_kind:     global_buffer
      - .actual_access:  read_only
        .address_space:  global
        .offset:         24
        .size:           8
        .value_kind:     global_buffer
      - .actual_access:  read_only
        .address_space:  global
        .offset:         32
        .size:           8
        .value_kind:     global_buffer
      - .actual_access:  read_only
        .address_space:  global
        .offset:         40
        .size:           8
        .value_kind:     global_buffer
      - .actual_access:  write_only
        .address_space:  global
        .offset:         48
        .size:           8
        .value_kind:     global_buffer
      - .actual_access:  write_only
        .address_space:  global
        .offset:         56
        .size:           8
        .value_kind:     global_buffer
      - .actual_access:  read_only
        .address_space:  global
        .offset:         64
        .size:           8
        .value_kind:     global_buffer
      - .actual_access:  read_only
        .address_space:  global
        .offset:         72
        .size:           8
        .value_kind:     global_buffer
      - .actual_access:  read_only
        .address_space:  global
        .offset:         80
        .size:           8
        .value_kind:     global_buffer
      - .offset:         88
        .size:           4
        .value_kind:     by_value
      - .offset:         92
        .size:           4
        .value_kind:     by_value
      - .offset:         96
        .size:           4
        .value_kind:     by_value
      - .offset:         100
        .size:           4
        .value_kind:     by_value
      - .offset:         104
        .size:           4
        .value_kind:     by_value
      - .offset:         112
        .size:           8
        .value_kind:     by_value
      - .offset:         120
        .size:           8
        .value_kind:     by_value
      - .offset:         128
        .size:           8
        .value_kind:     by_value
    .group_segment_fixed_size: 65536
    .kernarg_segment_align: 8
    .kernarg_segment_size: 136
    .language:       OpenCL C
    .language_version:
      - 2
      - 0
    .max_flat_workgroup_size: 256
    .name:           _ZN12_GLOBAL__N_139chunk_gated_delta_rule_fwd_h_hip_kernelILi64ELb1ELb0ELb1ELb1ELb1ELb0ELb0ELb0EEEvPK12hip_bfloat16S3_S3_PKfS5_PKvPS1_S8_PvPKiSB_iiiiilll
    .private_segment_fixed_size: 0
    .sgpr_count:     69
    .sgpr_spill_count: 0
    .symbol:         _ZN12_GLOBAL__N_139chunk_gated_delta_rule_fwd_h_hip_kernelILi64ELb1ELb0ELb1ELb1ELb1ELb0ELb0ELb0EEEvPK12hip_bfloat16S3_S3_PKfS5_PKvPS1_S8_PvPKiSB_iiiiilll.kd
    .uniform_work_group_size: 1
    .uses_dynamic_stack: false
    .vgpr_count:     216
    .vgpr_spill_count: 0
    .wavefront_size: 64
  - .agpr_count:     36
    .args:
      - .actual_access:  read_only
        .address_space:  global
        .offset:         0
        .size:           8
        .value_kind:     global_buffer
      - .actual_access:  read_only
        .address_space:  global
        .offset:         8
        .size:           8
        .value_kind:     global_buffer
      - .actual_access:  read_only
        .address_space:  global
        .offset:         16
        .size:           8
        .value_kind:     global_buffer
      - .actual_access:  read_only
        .address_space:  global
        .offset:         24
        .size:           8
        .value_kind:     global_buffer
      - .actual_access:  read_only
        .address_space:  global
        .offset:         32
        .size:           8
        .value_kind:     global_buffer
      - .actual_access:  read_only
        .address_space:  global
        .offset:         40
        .size:           8
        .value_kind:     global_buffer
      - .actual_access:  write_only
        .address_space:  global
        .offset:         48
        .size:           8
        .value_kind:     global_buffer
      - .actual_access:  read_only
        .address_space:  global
        .offset:         56
        .size:           8
        .value_kind:     global_buffer
      - .actual_access:  read_only
        .address_space:  global
        .offset:         64
        .size:           8
        .value_kind:     global_buffer
      - .actual_access:  read_only
        .address_space:  global
        .offset:         72
        .size:           8
        .value_kind:     global_buffer
      - .actual_access:  read_only
        .address_space:  global
        .offset:         80
        .size:           8
        .value_kind:     global_buffer
      - .offset:         88
        .size:           4
        .value_kind:     by_value
      - .offset:         92
        .size:           4
        .value_kind:     by_value
      - .offset:         96
        .size:           4
        .value_kind:     by_value
      - .offset:         100
        .size:           4
        .value_kind:     by_value
      - .offset:         104
        .size:           4
        .value_kind:     by_value
      - .offset:         112
        .size:           8
        .value_kind:     by_value
      - .offset:         120
        .size:           8
        .value_kind:     by_value
      - .offset:         128
        .size:           8
        .value_kind:     by_value
    .group_segment_fixed_size: 65536
    .kernarg_segment_align: 8
    .kernarg_segment_size: 136
    .language:       OpenCL C
    .language_version:
      - 2
      - 0
    .max_flat_workgroup_size: 256
    .name:           _ZN12_GLOBAL__N_139chunk_gated_delta_rule_fwd_h_hip_kernelILi64ELb1ELb0ELb0ELb1ELb1ELb0ELb0ELb0EEEvPK12hip_bfloat16S3_S3_PKfS5_PKvPS1_S8_PvPKiSB_iiiiilll
    .private_segment_fixed_size: 0
    .sgpr_count:     67
    .sgpr_spill_count: 0
    .symbol:         _ZN12_GLOBAL__N_139chunk_gated_delta_rule_fwd_h_hip_kernelILi64ELb1ELb0ELb0ELb1ELb1ELb0ELb0ELb0EEEvPK12hip_bfloat16S3_S3_PKfS5_PKvPS1_S8_PvPKiSB_iiiiilll.kd
    .uniform_work_group_size: 1
    .uses_dynamic_stack: false
    .vgpr_count:     216
    .vgpr_spill_count: 0
    .wavefront_size: 64
  - .agpr_count:     36
    .args:
      - .actual_access:  read_only
        .address_space:  global
        .offset:         0
        .size:           8
        .value_kind:     global_buffer
      - .actual_access:  read_only
        .address_space:  global
        .offset:         8
        .size:           8
        .value_kind:     global_buffer
      - .actual_access:  read_only
        .address_space:  global
        .offset:         16
        .size:           8
        .value_kind:     global_buffer
      - .actual_access:  read_only
        .address_space:  global
        .offset:         24
        .size:           8
        .value_kind:     global_buffer
      - .actual_access:  read_only
        .address_space:  global
        .offset:         32
        .size:           8
        .value_kind:     global_buffer
      - .actual_access:  read_only
        .address_space:  global
        .offset:         40
        .size:           8
        .value_kind:     global_buffer
      - .actual_access:  write_only
        .address_space:  global
        .offset:         48
        .size:           8
        .value_kind:     global_buffer
      - .actual_access:  write_only
        .address_space:  global
        .offset:         56
        .size:           8
        .value_kind:     global_buffer
      - .actual_access:  write_only
        .address_space:  global
        .offset:         64
        .size:           8
        .value_kind:     global_buffer
      - .actual_access:  read_only
        .address_space:  global
        .offset:         72
        .size:           8
        .value_kind:     global_buffer
      - .actual_access:  read_only
        .address_space:  global
        .offset:         80
        .size:           8
        .value_kind:     global_buffer
      - .offset:         88
        .size:           4
        .value_kind:     by_value
      - .offset:         92
        .size:           4
        .value_kind:     by_value
      - .offset:         96
        .size:           4
        .value_kind:     by_value
      - .offset:         100
        .size:           4
        .value_kind:     by_value
      - .offset:         104
        .size:           4
        .value_kind:     by_value
      - .offset:         112
        .size:           8
        .value_kind:     by_value
      - .offset:         120
        .size:           8
        .value_kind:     by_value
      - .offset:         128
        .size:           8
        .value_kind:     by_value
    .group_segment_fixed_size: 65536
    .kernarg_segment_align: 8
    .kernarg_segment_size: 136
    .language:       OpenCL C
    .language_version:
      - 2
      - 0
    .max_flat_workgroup_size: 256
    .name:           _ZN12_GLOBAL__N_139chunk_gated_delta_rule_fwd_h_hip_kernelILi64ELb0ELb1ELb1ELb1ELb1ELb0ELb0ELb0EEEvPK12hip_bfloat16S3_S3_PKfS5_PKvPS1_S8_PvPKiSB_iiiiilll
    .private_segment_fixed_size: 0
    .sgpr_count:     73
    .sgpr_spill_count: 0
    .symbol:         _ZN12_GLOBAL__N_139chunk_gated_delta_rule_fwd_h_hip_kernelILi64ELb0ELb1ELb1ELb1ELb1ELb0ELb0ELb0EEEvPK12hip_bfloat16S3_S3_PKfS5_PKvPS1_S8_PvPKiSB_iiiiilll.kd
    .uniform_work_group_size: 1
    .uses_dynamic_stack: false
    .vgpr_count:     216
    .vgpr_spill_count: 0
    .wavefront_size: 64
  - .agpr_count:     36
    .args:
      - .actual_access:  read_only
        .address_space:  global
        .offset:         0
        .size:           8
        .value_kind:     global_buffer
      - .actual_access:  read_only
        .address_space:  global
        .offset:         8
        .size:           8
        .value_kind:     global_buffer
      - .actual_access:  read_only
        .address_space:  global
        .offset:         16
        .size:           8
        .value_kind:     global_buffer
      - .actual_access:  read_only
        .address_space:  global
        .offset:         24
        .size:           8
        .value_kind:     global_buffer
      - .actual_access:  read_only
        .address_space:  global
        .offset:         32
        .size:           8
        .value_kind:     global_buffer
      - .actual_access:  read_only
        .address_space:  global
        .offset:         40
        .size:           8
        .value_kind:     global_buffer
      - .actual_access:  write_only
        .address_space:  global
        .offset:         48
        .size:           8
        .value_kind:     global_buffer
      - .actual_access:  read_only
        .address_space:  global
        .offset:         56
        .size:           8
        .value_kind:     global_buffer
      - .actual_access:  write_only
        .address_space:  global
        .offset:         64
        .size:           8
        .value_kind:     global_buffer
      - .actual_access:  read_only
        .address_space:  global
        .offset:         72
        .size:           8
        .value_kind:     global_buffer
      - .actual_access:  read_only
        .address_space:  global
        .offset:         80
        .size:           8
        .value_kind:     global_buffer
      - .offset:         88
        .size:           4
        .value_kind:     by_value
      - .offset:         92
        .size:           4
        .value_kind:     by_value
      - .offset:         96
        .size:           4
        .value_kind:     by_value
      - .offset:         100
        .size:           4
        .value_kind:     by_value
      - .offset:         104
        .size:           4
        .value_kind:     by_value
      - .offset:         112
        .size:           8
        .value_kind:     by_value
      - .offset:         120
        .size:           8
        .value_kind:     by_value
      - .offset:         128
        .size:           8
        .value_kind:     by_value
    .group_segment_fixed_size: 65536
    .kernarg_segment_align: 8
    .kernarg_segment_size: 136
    .language:       OpenCL C
    .language_version:
      - 2
      - 0
    .max_flat_workgroup_size: 256
    .name:           _ZN12_GLOBAL__N_139chunk_gated_delta_rule_fwd_h_hip_kernelILi64ELb0ELb1ELb0ELb1ELb1ELb0ELb0ELb0EEEvPK12hip_bfloat16S3_S3_PKfS5_PKvPS1_S8_PvPKiSB_iiiiilll
    .private_segment_fixed_size: 0
    .sgpr_count:     71
    .sgpr_spill_count: 0
    .symbol:         _ZN12_GLOBAL__N_139chunk_gated_delta_rule_fwd_h_hip_kernelILi64ELb0ELb1ELb0ELb1ELb1ELb0ELb0ELb0EEEvPK12hip_bfloat16S3_S3_PKfS5_PKvPS1_S8_PvPKiSB_iiiiilll.kd
    .uniform_work_group_size: 1
    .uses_dynamic_stack: false
    .vgpr_count:     216
    .vgpr_spill_count: 0
    .wavefront_size: 64
  - .agpr_count:     36
    .args:
      - .actual_access:  read_only
        .address_space:  global
        .offset:         0
        .size:           8
        .value_kind:     global_buffer
      - .actual_access:  read_only
        .address_space:  global
        .offset:         8
        .size:           8
        .value_kind:     global_buffer
      - .actual_access:  read_only
        .address_space:  global
        .offset:         16
        .size:           8
        .value_kind:     global_buffer
      - .actual_access:  read_only
        .address_space:  global
        .offset:         24
        .size:           8
        .value_kind:     global_buffer
      - .actual_access:  read_only
        .address_space:  global
        .offset:         32
        .size:           8
        .value_kind:     global_buffer
      - .actual_access:  read_only
        .address_space:  global
        .offset:         40
        .size:           8
        .value_kind:     global_buffer
      - .actual_access:  write_only
        .address_space:  global
        .offset:         48
        .size:           8
        .value_kind:     global_buffer
      - .actual_access:  write_only
        .address_space:  global
        .offset:         56
        .size:           8
        .value_kind:     global_buffer
      - .actual_access:  read_only
        .address_space:  global
        .offset:         64
        .size:           8
        .value_kind:     global_buffer
      - .actual_access:  read_only
        .address_space:  global
        .offset:         72
        .size:           8
        .value_kind:     global_buffer
      - .actual_access:  read_only
        .address_space:  global
        .offset:         80
        .size:           8
        .value_kind:     global_buffer
      - .offset:         88
        .size:           4
        .value_kind:     by_value
      - .offset:         92
        .size:           4
        .value_kind:     by_value
      - .offset:         96
        .size:           4
        .value_kind:     by_value
      - .offset:         100
        .size:           4
        .value_kind:     by_value
      - .offset:         104
        .size:           4
        .value_kind:     by_value
      - .offset:         112
        .size:           8
        .value_kind:     by_value
      - .offset:         120
        .size:           8
        .value_kind:     by_value
      - .offset:         128
        .size:           8
        .value_kind:     by_value
    .group_segment_fixed_size: 65536
    .kernarg_segment_align: 8
    .kernarg_segment_size: 136
    .language:       OpenCL C
    .language_version:
      - 2
      - 0
    .max_flat_workgroup_size: 256
    .name:           _ZN12_GLOBAL__N_139chunk_gated_delta_rule_fwd_h_hip_kernelILi64ELb0ELb0ELb1ELb1ELb1ELb0ELb0ELb0EEEvPK12hip_bfloat16S3_S3_PKfS5_PKvPS1_S8_PvPKiSB_iiiiilll
    .private_segment_fixed_size: 0
    .sgpr_count:     68
    .sgpr_spill_count: 0
    .symbol:         _ZN12_GLOBAL__N_139chunk_gated_delta_rule_fwd_h_hip_kernelILi64ELb0ELb0ELb1ELb1ELb1ELb0ELb0ELb0EEEvPK12hip_bfloat16S3_S3_PKfS5_PKvPS1_S8_PvPKiSB_iiiiilll.kd
    .uniform_work_group_size: 1
    .uses_dynamic_stack: false
    .vgpr_count:     216
    .vgpr_spill_count: 0
    .wavefront_size: 64
  - .agpr_count:     36
    .args:
      - .actual_access:  read_only
        .address_space:  global
        .offset:         0
        .size:           8
        .value_kind:     global_buffer
      - .actual_access:  read_only
        .address_space:  global
        .offset:         8
        .size:           8
        .value_kind:     global_buffer
      - .actual_access:  read_only
        .address_space:  global
        .offset:         16
        .size:           8
        .value_kind:     global_buffer
      - .actual_access:  read_only
        .address_space:  global
        .offset:         24
        .size:           8
        .value_kind:     global_buffer
      - .actual_access:  read_only
        .address_space:  global
        .offset:         32
        .size:           8
        .value_kind:     global_buffer
      - .actual_access:  read_only
        .address_space:  global
        .offset:         40
        .size:           8
        .value_kind:     global_buffer
      - .actual_access:  write_only
        .address_space:  global
        .offset:         48
        .size:           8
        .value_kind:     global_buffer
      - .actual_access:  read_only
        .address_space:  global
        .offset:         56
        .size:           8
        .value_kind:     global_buffer
      - .actual_access:  read_only
        .address_space:  global
        .offset:         64
        .size:           8
        .value_kind:     global_buffer
      - .actual_access:  read_only
        .address_space:  global
        .offset:         72
        .size:           8
        .value_kind:     global_buffer
      - .actual_access:  read_only
        .address_space:  global
        .offset:         80
        .size:           8
        .value_kind:     global_buffer
      - .offset:         88
        .size:           4
        .value_kind:     by_value
      - .offset:         92
        .size:           4
        .value_kind:     by_value
      - .offset:         96
        .size:           4
        .value_kind:     by_value
      - .offset:         100
        .size:           4
        .value_kind:     by_value
      - .offset:         104
        .size:           4
        .value_kind:     by_value
      - .offset:         112
        .size:           8
        .value_kind:     by_value
      - .offset:         120
        .size:           8
        .value_kind:     by_value
      - .offset:         128
        .size:           8
        .value_kind:     by_value
    .group_segment_fixed_size: 65536
    .kernarg_segment_align: 8
    .kernarg_segment_size: 136
    .language:       OpenCL C
    .language_version:
      - 2
      - 0
    .max_flat_workgroup_size: 256
    .name:           _ZN12_GLOBAL__N_139chunk_gated_delta_rule_fwd_h_hip_kernelILi64ELb0ELb0ELb0ELb1ELb1ELb0ELb0ELb0EEEvPK12hip_bfloat16S3_S3_PKfS5_PKvPS1_S8_PvPKiSB_iiiiilll
    .private_segment_fixed_size: 0
    .sgpr_count:     66
    .sgpr_spill_count: 0
    .symbol:         _ZN12_GLOBAL__N_139chunk_gated_delta_rule_fwd_h_hip_kernelILi64ELb0ELb0ELb0ELb1ELb1ELb0ELb0ELb0EEEvPK12hip_bfloat16S3_S3_PKfS5_PKvPS1_S8_PvPKiSB_iiiiilll.kd
    .uniform_work_group_size: 1
    .uses_dynamic_stack: false
    .vgpr_count:     216
    .vgpr_spill_count: 0
    .wavefront_size: 64
  - .agpr_count:     36
    .args:
      - .actual_access:  read_only
        .address_space:  global
        .offset:         0
        .size:           8
        .value_kind:     global_buffer
      - .actual_access:  read_only
        .address_space:  global
        .offset:         8
        .size:           8
        .value_kind:     global_buffer
      - .actual_access:  read_only
        .address_space:  global
        .offset:         16
        .size:           8
        .value_kind:     global_buffer
      - .actual_access:  read_only
        .address_space:  global
        .offset:         24
        .size:           8
        .value_kind:     global_buffer
      - .actual_access:  read_only
        .address_space:  global
        .offset:         32
        .size:           8
        .value_kind:     global_buffer
      - .actual_access:  read_only
        .address_space:  global
        .offset:         40
        .size:           8
        .value_kind:     global_buffer
      - .actual_access:  write_only
        .address_space:  global
        .offset:         48
        .size:           8
        .value_kind:     global_buffer
      - .actual_access:  write_only
        .address_space:  global
        .offset:         56
        .size:           8
        .value_kind:     global_buffer
      - .actual_access:  write_only
        .address_space:  global
        .offset:         64
        .size:           8
        .value_kind:     global_buffer
      - .actual_access:  read_only
        .address_space:  global
        .offset:         72
        .size:           8
        .value_kind:     global_buffer
      - .actual_access:  read_only
        .address_space:  global
        .offset:         80
        .size:           8
        .value_kind:     global_buffer
      - .offset:         88
        .size:           4
        .value_kind:     by_value
      - .offset:         92
        .size:           4
        .value_kind:     by_value
      - .offset:         96
        .size:           4
        .value_kind:     by_value
      - .offset:         100
        .size:           4
        .value_kind:     by_value
      - .offset:         104
        .size:           4
        .value_kind:     by_value
      - .offset:         112
        .size:           8
        .value_kind:     by_value
      - .offset:         120
        .size:           8
        .value_kind:     by_value
      - .offset:         128
        .size:           8
        .value_kind:     by_value
    .group_segment_fixed_size: 65536
    .kernarg_segment_align: 8
    .kernarg_segment_size: 136
    .language:       OpenCL C
    .language_version:
      - 2
      - 0
    .max_flat_workgroup_size: 256
    .name:           _ZN12_GLOBAL__N_139chunk_gated_delta_rule_fwd_h_hip_kernelILi64ELb1ELb1ELb1ELb0ELb1ELb0ELb0ELb0EEEvPK12hip_bfloat16S3_S3_PKfS5_PKvPS1_S8_PvPKiSB_iiiiilll
    .private_segment_fixed_size: 0
    .sgpr_count:     78
    .sgpr_spill_count: 0
    .symbol:         _ZN12_GLOBAL__N_139chunk_gated_delta_rule_fwd_h_hip_kernelILi64ELb1ELb1ELb1ELb0ELb1ELb0ELb0ELb0EEEvPK12hip_bfloat16S3_S3_PKfS5_PKvPS1_S8_PvPKiSB_iiiiilll.kd
    .uniform_work_group_size: 1
    .uses_dynamic_stack: false
    .vgpr_count:     224
    .vgpr_spill_count: 0
    .wavefront_size: 64
  - .agpr_count:     36
    .args:
      - .actual_access:  read_only
        .address_space:  global
        .offset:         0
        .size:           8
        .value_kind:     global_buffer
      - .actual_access:  read_only
        .address_space:  global
        .offset:         8
        .size:           8
        .value_kind:     global_buffer
      - .actual_access:  read_only
        .address_space:  global
        .offset:         16
        .size:           8
        .value_kind:     global_buffer
      - .actual_access:  read_only
        .address_space:  global
        .offset:         24
        .size:           8
        .value_kind:     global_buffer
      - .actual_access:  read_only
        .address_space:  global
        .offset:         32
        .size:           8
        .value_kind:     global_buffer
      - .actual_access:  read_only
        .address_space:  global
        .offset:         40
        .size:           8
        .value_kind:     global_buffer
      - .actual_access:  write_only
        .address_space:  global
        .offset:         48
        .size:           8
        .value_kind:     global_buffer
      - .actual_access:  read_only
        .address_space:  global
        .offset:         56
        .size:           8
        .value_kind:     global_buffer
      - .actual_access:  write_only
        .address_space:  global
        .offset:         64
        .size:           8
        .value_kind:     global_buffer
      - .actual_access:  read_only
        .address_space:  global
        .offset:         72
        .size:           8
        .value_kind:     global_buffer
      - .actual_access:  read_only
        .address_space:  global
        .offset:         80
        .size:           8
        .value_kind:     global_buffer
      - .offset:         88
        .size:           4
        .value_kind:     by_value
      - .offset:         92
        .size:           4
        .value_kind:     by_value
      - .offset:         96
        .size:           4
        .value_kind:     by_value
      - .offset:         100
        .size:           4
        .value_kind:     by_value
      - .offset:         104
        .size:           4
        .value_kind:     by_value
      - .offset:         112
        .size:           8
        .value_kind:     by_value
      - .offset:         120
        .size:           8
        .value_kind:     by_value
      - .offset:         128
        .size:           8
        .value_kind:     by_value
    .group_segment_fixed_size: 65536
    .kernarg_segment_align: 8
    .kernarg_segment_size: 136
    .language:       OpenCL C
    .language_version:
      - 2
      - 0
    .max_flat_workgroup_size: 256
    .name:           _ZN12_GLOBAL__N_139chunk_gated_delta_rule_fwd_h_hip_kernelILi64ELb1ELb1ELb0ELb0ELb1ELb0ELb0ELb0EEEvPK12hip_bfloat16S3_S3_PKfS5_PKvPS1_S8_PvPKiSB_iiiiilll
    .private_segment_fixed_size: 0
    .sgpr_count:     76
    .sgpr_spill_count: 0
    .symbol:         _ZN12_GLOBAL__N_139chunk_gated_delta_rule_fwd_h_hip_kernelILi64ELb1ELb1ELb0ELb0ELb1ELb0ELb0ELb0EEEvPK12hip_bfloat16S3_S3_PKfS5_PKvPS1_S8_PvPKiSB_iiiiilll.kd
    .uniform_work_group_size: 1
    .uses_dynamic_stack: false
    .vgpr_count:     224
    .vgpr_spill_count: 0
    .wavefront_size: 64
  - .agpr_count:     36
    .args:
      - .actual_access:  read_only
        .address_space:  global
        .offset:         0
        .size:           8
        .value_kind:     global_buffer
      - .actual_access:  read_only
        .address_space:  global
        .offset:         8
        .size:           8
        .value_kind:     global_buffer
      - .actual_access:  read_only
        .address_space:  global
        .offset:         16
        .size:           8
        .value_kind:     global_buffer
      - .actual_access:  read_only
        .address_space:  global
        .offset:         24
        .size:           8
        .value_kind:     global_buffer
      - .actual_access:  read_only
        .address_space:  global
        .offset:         32
        .size:           8
        .value_kind:     global_buffer
      - .actual_access:  read_only
        .address_space:  global
        .offset:         40
        .size:           8
        .value_kind:     global_buffer
      - .actual_access:  write_only
        .address_space:  global
        .offset:         48
        .size:           8
        .value_kind:     global_buffer
      - .actual_access:  write_only
        .address_space:  global
        .offset:         56
        .size:           8
        .value_kind:     global_buffer
      - .actual_access:  read_only
        .address_space:  global
        .offset:         64
        .size:           8
        .value_kind:     global_buffer
      - .actual_access:  read_only
        .address_space:  global
        .offset:         72
        .size:           8
        .value_kind:     global_buffer
      - .actual_access:  read_only
        .address_space:  global
        .offset:         80
        .size:           8
        .value_kind:     global_buffer
      - .offset:         88
        .size:           4
        .value_kind:     by_value
      - .offset:         92
        .size:           4
        .value_kind:     by_value
      - .offset:         96
        .size:           4
        .value_kind:     by_value
      - .offset:         100
        .size:           4
        .value_kind:     by_value
      - .offset:         104
        .size:           4
        .value_kind:     by_value
      - .offset:         112
        .size:           8
        .value_kind:     by_value
      - .offset:         120
        .size:           8
        .value_kind:     by_value
      - .offset:         128
        .size:           8
        .value_kind:     by_value
    .group_segment_fixed_size: 65536
    .kernarg_segment_align: 8
    .kernarg_segment_size: 136
    .language:       OpenCL C
    .language_version:
      - 2
      - 0
    .max_flat_workgroup_size: 256
    .name:           _ZN12_GLOBAL__N_139chunk_gated_delta_rule_fwd_h_hip_kernelILi64ELb1ELb0ELb1ELb0ELb1ELb0ELb0ELb0EEEvPK12hip_bfloat16S3_S3_PKfS5_PKvPS1_S8_PvPKiSB_iiiiilll
    .private_segment_fixed_size: 0
    .sgpr_count:     74
    .sgpr_spill_count: 0
    .symbol:         _ZN12_GLOBAL__N_139chunk_gated_delta_rule_fwd_h_hip_kernelILi64ELb1ELb0ELb1ELb0ELb1ELb0ELb0ELb0EEEvPK12hip_bfloat16S3_S3_PKfS5_PKvPS1_S8_PvPKiSB_iiiiilll.kd
    .uniform_work_group_size: 1
    .uses_dynamic_stack: false
    .vgpr_count:     216
    .vgpr_spill_count: 0
    .wavefront_size: 64
  - .agpr_count:     36
    .args:
      - .actual_access:  read_only
        .address_space:  global
        .offset:         0
        .size:           8
        .value_kind:     global_buffer
      - .actual_access:  read_only
        .address_space:  global
        .offset:         8
        .size:           8
        .value_kind:     global_buffer
      - .actual_access:  read_only
        .address_space:  global
        .offset:         16
        .size:           8
        .value_kind:     global_buffer
      - .actual_access:  read_only
        .address_space:  global
        .offset:         24
        .size:           8
        .value_kind:     global_buffer
      - .actual_access:  read_only
        .address_space:  global
        .offset:         32
        .size:           8
        .value_kind:     global_buffer
      - .actual_access:  read_only
        .address_space:  global
        .offset:         40
        .size:           8
        .value_kind:     global_buffer
      - .actual_access:  write_only
        .address_space:  global
        .offset:         48
        .size:           8
        .value_kind:     global_buffer
      - .actual_access:  read_only
        .address_space:  global
        .offset:         56
        .size:           8
        .value_kind:     global_buffer
      - .actual_access:  read_only
        .address_space:  global
        .offset:         64
        .size:           8
        .value_kind:     global_buffer
      - .actual_access:  read_only
        .address_space:  global
        .offset:         72
        .size:           8
        .value_kind:     global_buffer
      - .actual_access:  read_only
        .address_space:  global
        .offset:         80
        .size:           8
        .value_kind:     global_buffer
      - .offset:         88
        .size:           4
        .value_kind:     by_value
      - .offset:         92
        .size:           4
        .value_kind:     by_value
      - .offset:         96
        .size:           4
        .value_kind:     by_value
      - .offset:         100
        .size:           4
        .value_kind:     by_value
      - .offset:         104
        .size:           4
        .value_kind:     by_value
      - .offset:         112
        .size:           8
        .value_kind:     by_value
      - .offset:         120
        .size:           8
        .value_kind:     by_value
      - .offset:         128
        .size:           8
        .value_kind:     by_value
    .group_segment_fixed_size: 65536
    .kernarg_segment_align: 8
    .kernarg_segment_size: 136
    .language:       OpenCL C
    .language_version:
      - 2
      - 0
    .max_flat_workgroup_size: 256
    .name:           _ZN12_GLOBAL__N_139chunk_gated_delta_rule_fwd_h_hip_kernelILi64ELb1ELb0ELb0ELb0ELb1ELb0ELb0ELb0EEEvPK12hip_bfloat16S3_S3_PKfS5_PKvPS1_S8_PvPKiSB_iiiiilll
    .private_segment_fixed_size: 0
    .sgpr_count:     72
    .sgpr_spill_count: 0
    .symbol:         _ZN12_GLOBAL__N_139chunk_gated_delta_rule_fwd_h_hip_kernelILi64ELb1ELb0ELb0ELb0ELb1ELb0ELb0ELb0EEEvPK12hip_bfloat16S3_S3_PKfS5_PKvPS1_S8_PvPKiSB_iiiiilll.kd
    .uniform_work_group_size: 1
    .uses_dynamic_stack: false
    .vgpr_count:     216
    .vgpr_spill_count: 0
    .wavefront_size: 64
  - .agpr_count:     36
    .args:
      - .actual_access:  read_only
        .address_space:  global
        .offset:         0
        .size:           8
        .value_kind:     global_buffer
      - .actual_access:  read_only
        .address_space:  global
        .offset:         8
        .size:           8
        .value_kind:     global_buffer
      - .actual_access:  read_only
        .address_space:  global
        .offset:         16
        .size:           8
        .value_kind:     global_buffer
      - .actual_access:  read_only
        .address_space:  global
        .offset:         24
        .size:           8
        .value_kind:     global_buffer
      - .actual_access:  read_only
        .address_space:  global
        .offset:         32
        .size:           8
        .value_kind:     global_buffer
      - .actual_access:  read_only
        .address_space:  global
        .offset:         40
        .size:           8
        .value_kind:     global_buffer
      - .actual_access:  write_only
        .address_space:  global
        .offset:         48
        .size:           8
        .value_kind:     global_buffer
      - .actual_access:  write_only
        .address_space:  global
        .offset:         56
        .size:           8
        .value_kind:     global_buffer
      - .actual_access:  write_only
        .address_space:  global
        .offset:         64
        .size:           8
        .value_kind:     global_buffer
      - .actual_access:  read_only
        .address_space:  global
        .offset:         72
        .size:           8
        .value_kind:     global_buffer
      - .actual_access:  read_only
        .address_space:  global
        .offset:         80
        .size:           8
        .value_kind:     global_buffer
      - .offset:         88
        .size:           4
        .value_kind:     by_value
      - .offset:         92
        .size:           4
        .value_kind:     by_value
      - .offset:         96
        .size:           4
        .value_kind:     by_value
      - .offset:         100
        .size:           4
        .value_kind:     by_value
      - .offset:         104
        .size:           4
        .value_kind:     by_value
      - .offset:         112
        .size:           8
        .value_kind:     by_value
      - .offset:         120
        .size:           8
        .value_kind:     by_value
      - .offset:         128
        .size:           8
        .value_kind:     by_value
    .group_segment_fixed_size: 65536
    .kernarg_segment_align: 8
    .kernarg_segment_size: 136
    .language:       OpenCL C
    .language_version:
      - 2
      - 0
    .max_flat_workgroup_size: 256
    .name:           _ZN12_GLOBAL__N_139chunk_gated_delta_rule_fwd_h_hip_kernelILi64ELb0ELb1ELb1ELb0ELb1ELb0ELb0ELb0EEEvPK12hip_bfloat16S3_S3_PKfS5_PKvPS1_S8_PvPKiSB_iiiiilll
    .private_segment_fixed_size: 0
    .sgpr_count:     73
    .sgpr_spill_count: 0
    .symbol:         _ZN12_GLOBAL__N_139chunk_gated_delta_rule_fwd_h_hip_kernelILi64ELb0ELb1ELb1ELb0ELb1ELb0ELb0ELb0EEEvPK12hip_bfloat16S3_S3_PKfS5_PKvPS1_S8_PvPKiSB_iiiiilll.kd
    .uniform_work_group_size: 1
    .uses_dynamic_stack: false
    .vgpr_count:     216
    .vgpr_spill_count: 0
    .wavefront_size: 64
  - .agpr_count:     36
    .args:
      - .actual_access:  read_only
        .address_space:  global
        .offset:         0
        .size:           8
        .value_kind:     global_buffer
      - .actual_access:  read_only
        .address_space:  global
        .offset:         8
        .size:           8
        .value_kind:     global_buffer
      - .actual_access:  read_only
        .address_space:  global
        .offset:         16
        .size:           8
        .value_kind:     global_buffer
      - .actual_access:  read_only
        .address_space:  global
        .offset:         24
        .size:           8
        .value_kind:     global_buffer
      - .actual_access:  read_only
        .address_space:  global
        .offset:         32
        .size:           8
        .value_kind:     global_buffer
      - .actual_access:  read_only
        .address_space:  global
        .offset:         40
        .size:           8
        .value_kind:     global_buffer
      - .actual_access:  write_only
        .address_space:  global
        .offset:         48
        .size:           8
        .value_kind:     global_buffer
      - .actual_access:  read_only
        .address_space:  global
        .offset:         56
        .size:           8
        .value_kind:     global_buffer
      - .actual_access:  write_only
        .address_space:  global
        .offset:         64
        .size:           8
        .value_kind:     global_buffer
      - .actual_access:  read_only
        .address_space:  global
        .offset:         72
        .size:           8
        .value_kind:     global_buffer
      - .actual_access:  read_only
        .address_space:  global
        .offset:         80
        .size:           8
        .value_kind:     global_buffer
      - .offset:         88
        .size:           4
        .value_kind:     by_value
      - .offset:         92
        .size:           4
        .value_kind:     by_value
      - .offset:         96
        .size:           4
        .value_kind:     by_value
      - .offset:         100
        .size:           4
        .value_kind:     by_value
      - .offset:         104
        .size:           4
        .value_kind:     by_value
      - .offset:         112
        .size:           8
        .value_kind:     by_value
      - .offset:         120
        .size:           8
        .value_kind:     by_value
      - .offset:         128
        .size:           8
        .value_kind:     by_value
    .group_segment_fixed_size: 65536
    .kernarg_segment_align: 8
    .kernarg_segment_size: 136
    .language:       OpenCL C
    .language_version:
      - 2
      - 0
    .max_flat_workgroup_size: 256
    .name:           _ZN12_GLOBAL__N_139chunk_gated_delta_rule_fwd_h_hip_kernelILi64ELb0ELb1ELb0ELb0ELb1ELb0ELb0ELb0EEEvPK12hip_bfloat16S3_S3_PKfS5_PKvPS1_S8_PvPKiSB_iiiiilll
    .private_segment_fixed_size: 0
    .sgpr_count:     71
    .sgpr_spill_count: 0
    .symbol:         _ZN12_GLOBAL__N_139chunk_gated_delta_rule_fwd_h_hip_kernelILi64ELb0ELb1ELb0ELb0ELb1ELb0ELb0ELb0EEEvPK12hip_bfloat16S3_S3_PKfS5_PKvPS1_S8_PvPKiSB_iiiiilll.kd
    .uniform_work_group_size: 1
    .uses_dynamic_stack: false
    .vgpr_count:     216
    .vgpr_spill_count: 0
    .wavefront_size: 64
  - .agpr_count:     36
    .args:
      - .actual_access:  read_only
        .address_space:  global
        .offset:         0
        .size:           8
        .value_kind:     global_buffer
      - .actual_access:  read_only
        .address_space:  global
        .offset:         8
        .size:           8
        .value_kind:     global_buffer
      - .actual_access:  read_only
        .address_space:  global
        .offset:         16
        .size:           8
        .value_kind:     global_buffer
      - .actual_access:  read_only
        .address_space:  global
        .offset:         24
        .size:           8
        .value_kind:     global_buffer
      - .actual_access:  read_only
        .address_space:  global
        .offset:         32
        .size:           8
        .value_kind:     global_buffer
      - .actual_access:  read_only
        .address_space:  global
        .offset:         40
        .size:           8
        .value_kind:     global_buffer
      - .actual_access:  write_only
        .address_space:  global
        .offset:         48
        .size:           8
        .value_kind:     global_buffer
      - .actual_access:  write_only
        .address_space:  global
        .offset:         56
        .size:           8
        .value_kind:     global_buffer
      - .actual_access:  read_only
        .address_space:  global
        .offset:         64
        .size:           8
        .value_kind:     global_buffer
      - .actual_access:  read_only
        .address_space:  global
        .offset:         72
        .size:           8
        .value_kind:     global_buffer
      - .actual_access:  read_only
        .address_space:  global
        .offset:         80
        .size:           8
        .value_kind:     global_buffer
      - .offset:         88
        .size:           4
        .value_kind:     by_value
      - .offset:         92
        .size:           4
        .value_kind:     by_value
      - .offset:         96
        .size:           4
        .value_kind:     by_value
      - .offset:         100
        .size:           4
        .value_kind:     by_value
      - .offset:         104
        .size:           4
        .value_kind:     by_value
      - .offset:         112
        .size:           8
        .value_kind:     by_value
      - .offset:         120
        .size:           8
        .value_kind:     by_value
      - .offset:         128
        .size:           8
        .value_kind:     by_value
    .group_segment_fixed_size: 65536
    .kernarg_segment_align: 8
    .kernarg_segment_size: 136
    .language:       OpenCL C
    .language_version:
      - 2
      - 0
    .max_flat_workgroup_size: 256
    .name:           _ZN12_GLOBAL__N_139chunk_gated_delta_rule_fwd_h_hip_kernelILi64ELb0ELb0ELb1ELb0ELb1ELb0ELb0ELb0EEEvPK12hip_bfloat16S3_S3_PKfS5_PKvPS1_S8_PvPKiSB_iiiiilll
    .private_segment_fixed_size: 0
    .sgpr_count:     71
    .sgpr_spill_count: 0
    .symbol:         _ZN12_GLOBAL__N_139chunk_gated_delta_rule_fwd_h_hip_kernelILi64ELb0ELb0ELb1ELb0ELb1ELb0ELb0ELb0EEEvPK12hip_bfloat16S3_S3_PKfS5_PKvPS1_S8_PvPKiSB_iiiiilll.kd
    .uniform_work_group_size: 1
    .uses_dynamic_stack: false
    .vgpr_count:     216
    .vgpr_spill_count: 0
    .wavefront_size: 64
  - .agpr_count:     36
    .args:
      - .actual_access:  read_only
        .address_space:  global
        .offset:         0
        .size:           8
        .value_kind:     global_buffer
      - .actual_access:  read_only
        .address_space:  global
        .offset:         8
        .size:           8
        .value_kind:     global_buffer
      - .actual_access:  read_only
        .address_space:  global
        .offset:         16
        .size:           8
        .value_kind:     global_buffer
      - .actual_access:  read_only
        .address_space:  global
        .offset:         24
        .size:           8
        .value_kind:     global_buffer
      - .actual_access:  read_only
        .address_space:  global
        .offset:         32
        .size:           8
        .value_kind:     global_buffer
      - .actual_access:  read_only
        .address_space:  global
        .offset:         40
        .size:           8
        .value_kind:     global_buffer
      - .actual_access:  write_only
        .address_space:  global
        .offset:         48
        .size:           8
        .value_kind:     global_buffer
      - .actual_access:  read_only
        .address_space:  global
        .offset:         56
        .size:           8
        .value_kind:     global_buffer
      - .actual_access:  read_only
        .address_space:  global
        .offset:         64
        .size:           8
        .value_kind:     global_buffer
      - .actual_access:  read_only
        .address_space:  global
        .offset:         72
        .size:           8
        .value_kind:     global_buffer
      - .actual_access:  read_only
        .address_space:  global
        .offset:         80
        .size:           8
        .value_kind:     global_buffer
      - .offset:         88
        .size:           4
        .value_kind:     by_value
      - .offset:         92
        .size:           4
        .value_kind:     by_value
      - .offset:         96
        .size:           4
        .value_kind:     by_value
      - .offset:         100
        .size:           4
        .value_kind:     by_value
      - .offset:         104
        .size:           4
        .value_kind:     by_value
      - .offset:         112
        .size:           8
        .value_kind:     by_value
      - .offset:         120
        .size:           8
        .value_kind:     by_value
      - .offset:         128
        .size:           8
        .value_kind:     by_value
    .group_segment_fixed_size: 65536
    .kernarg_segment_align: 8
    .kernarg_segment_size: 136
    .language:       OpenCL C
    .language_version:
      - 2
      - 0
    .max_flat_workgroup_size: 256
    .name:           _ZN12_GLOBAL__N_139chunk_gated_delta_rule_fwd_h_hip_kernelILi64ELb0ELb0ELb0ELb0ELb1ELb0ELb0ELb0EEEvPK12hip_bfloat16S3_S3_PKfS5_PKvPS1_S8_PvPKiSB_iiiiilll
    .private_segment_fixed_size: 0
    .sgpr_count:     69
    .sgpr_spill_count: 0
    .symbol:         _ZN12_GLOBAL__N_139chunk_gated_delta_rule_fwd_h_hip_kernelILi64ELb0ELb0ELb0ELb0ELb1ELb0ELb0ELb0EEEvPK12hip_bfloat16S3_S3_PKfS5_PKvPS1_S8_PvPKiSB_iiiiilll.kd
    .uniform_work_group_size: 1
    .uses_dynamic_stack: false
    .vgpr_count:     216
    .vgpr_spill_count: 0
    .wavefront_size: 64
  - .agpr_count:     40
    .args:
      - .actual_access:  read_only
        .address_space:  global
        .offset:         0
        .size:           8
        .value_kind:     global_buffer
      - .actual_access:  read_only
        .address_space:  global
        .offset:         8
        .size:           8
        .value_kind:     global_buffer
      - .actual_access:  read_only
        .address_space:  global
        .offset:         16
        .size:           8
        .value_kind:     global_buffer
      - .actual_access:  read_only
        .address_space:  global
        .offset:         24
        .size:           8
        .value_kind:     global_buffer
      - .actual_access:  read_only
        .address_space:  global
        .offset:         32
        .size:           8
        .value_kind:     global_buffer
      - .actual_access:  read_only
        .address_space:  global
        .offset:         40
        .size:           8
        .value_kind:     global_buffer
      - .actual_access:  write_only
        .address_space:  global
        .offset:         48
        .size:           8
        .value_kind:     global_buffer
      - .actual_access:  write_only
        .address_space:  global
        .offset:         56
        .size:           8
        .value_kind:     global_buffer
      - .actual_access:  write_only
        .address_space:  global
        .offset:         64
        .size:           8
        .value_kind:     global_buffer
      - .actual_access:  read_only
        .address_space:  global
        .offset:         72
        .size:           8
        .value_kind:     global_buffer
      - .actual_access:  read_only
        .address_space:  global
        .offset:         80
        .size:           8
        .value_kind:     global_buffer
      - .offset:         88
        .size:           4
        .value_kind:     by_value
      - .offset:         92
        .size:           4
        .value_kind:     by_value
      - .offset:         96
        .size:           4
        .value_kind:     by_value
      - .offset:         100
        .size:           4
        .value_kind:     by_value
      - .offset:         104
        .size:           4
        .value_kind:     by_value
      - .offset:         112
        .size:           8
        .value_kind:     by_value
      - .offset:         120
        .size:           8
        .value_kind:     by_value
      - .offset:         128
        .size:           8
        .value_kind:     by_value
    .group_segment_fixed_size: 65536
    .kernarg_segment_align: 8
    .kernarg_segment_size: 136
    .language:       OpenCL C
    .language_version:
      - 2
      - 0
    .max_flat_workgroup_size: 256
    .name:           _ZN12_GLOBAL__N_139chunk_gated_delta_rule_fwd_h_hip_kernelILi64ELb1ELb1ELb1ELb1ELb0ELb1ELb1ELb0EEEvPK12hip_bfloat16S3_S3_PKfS5_PKvPS1_S8_PvPKiSB_iiiiilll
    .private_segment_fixed_size: 0
    .sgpr_count:     75
    .sgpr_spill_count: 0
    .symbol:         _ZN12_GLOBAL__N_139chunk_gated_delta_rule_fwd_h_hip_kernelILi64ELb1ELb1ELb1ELb1ELb0ELb1ELb1ELb0EEEvPK12hip_bfloat16S3_S3_PKfS5_PKvPS1_S8_PvPKiSB_iiiiilll.kd
    .uniform_work_group_size: 1
    .uses_dynamic_stack: false
    .vgpr_count:     240
    .vgpr_spill_count: 0
    .wavefront_size: 64
  - .agpr_count:     40
    .args:
      - .actual_access:  read_only
        .address_space:  global
        .offset:         0
        .size:           8
        .value_kind:     global_buffer
      - .actual_access:  read_only
        .address_space:  global
        .offset:         8
        .size:           8
        .value_kind:     global_buffer
      - .actual_access:  read_only
        .address_space:  global
        .offset:         16
        .size:           8
        .value_kind:     global_buffer
      - .actual_access:  read_only
        .address_space:  global
        .offset:         24
        .size:           8
        .value_kind:     global_buffer
      - .actual_access:  read_only
        .address_space:  global
        .offset:         32
        .size:           8
        .value_kind:     global_buffer
      - .actual_access:  read_only
        .address_space:  global
        .offset:         40
        .size:           8
        .value_kind:     global_buffer
      - .actual_access:  write_only
        .address_space:  global
        .offset:         48
        .size:           8
        .value_kind:     global_buffer
      - .actual_access:  read_only
        .address_space:  global
        .offset:         56
        .size:           8
        .value_kind:     global_buffer
      - .actual_access:  write_only
        .address_space:  global
        .offset:         64
        .size:           8
        .value_kind:     global_buffer
      - .actual_access:  read_only
        .address_space:  global
        .offset:         72
        .size:           8
        .value_kind:     global_buffer
      - .actual_access:  read_only
        .address_space:  global
        .offset:         80
        .size:           8
        .value_kind:     global_buffer
      - .offset:         88
        .size:           4
        .value_kind:     by_value
      - .offset:         92
        .size:           4
        .value_kind:     by_value
      - .offset:         96
        .size:           4
        .value_kind:     by_value
      - .offset:         100
        .size:           4
        .value_kind:     by_value
      - .offset:         104
        .size:           4
        .value_kind:     by_value
      - .offset:         112
        .size:           8
        .value_kind:     by_value
      - .offset:         120
        .size:           8
        .value_kind:     by_value
      - .offset:         128
        .size:           8
        .value_kind:     by_value
    .group_segment_fixed_size: 65536
    .kernarg_segment_align: 8
    .kernarg_segment_size: 136
    .language:       OpenCL C
    .language_version:
      - 2
      - 0
    .max_flat_workgroup_size: 256
    .name:           _ZN12_GLOBAL__N_139chunk_gated_delta_rule_fwd_h_hip_kernelILi64ELb1ELb1ELb0ELb1ELb0ELb1ELb1ELb0EEEvPK12hip_bfloat16S3_S3_PKfS5_PKvPS1_S8_PvPKiSB_iiiiilll
    .private_segment_fixed_size: 0
    .sgpr_count:     73
    .sgpr_spill_count: 0
    .symbol:         _ZN12_GLOBAL__N_139chunk_gated_delta_rule_fwd_h_hip_kernelILi64ELb1ELb1ELb0ELb1ELb0ELb1ELb1ELb0EEEvPK12hip_bfloat16S3_S3_PKfS5_PKvPS1_S8_PvPKiSB_iiiiilll.kd
    .uniform_work_group_size: 1
    .uses_dynamic_stack: false
    .vgpr_count:     240
    .vgpr_spill_count: 0
    .wavefront_size: 64
  - .agpr_count:     40
    .args:
      - .actual_access:  read_only
        .address_space:  global
        .offset:         0
        .size:           8
        .value_kind:     global_buffer
      - .actual_access:  read_only
        .address_space:  global
        .offset:         8
        .size:           8
        .value_kind:     global_buffer
      - .actual_access:  read_only
        .address_space:  global
        .offset:         16
        .size:           8
        .value_kind:     global_buffer
      - .actual_access:  read_only
        .address_space:  global
        .offset:         24
        .size:           8
        .value_kind:     global_buffer
      - .actual_access:  read_only
        .address_space:  global
        .offset:         32
        .size:           8
        .value_kind:     global_buffer
      - .actual_access:  read_only
        .address_space:  global
        .offset:         40
        .size:           8
        .value_kind:     global_buffer
      - .actual_access:  write_only
        .address_space:  global
        .offset:         48
        .size:           8
        .value_kind:     global_buffer
      - .actual_access:  write_only
        .address_space:  global
        .offset:         56
        .size:           8
        .value_kind:     global_buffer
      - .actual_access:  read_only
        .address_space:  global
        .offset:         64
        .size:           8
        .value_kind:     global_buffer
      - .actual_access:  read_only
        .address_space:  global
        .offset:         72
        .size:           8
        .value_kind:     global_buffer
      - .actual_access:  read_only
        .address_space:  global
        .offset:         80
        .size:           8
        .value_kind:     global_buffer
      - .offset:         88
        .size:           4
        .value_kind:     by_value
      - .offset:         92
        .size:           4
        .value_kind:     by_value
      - .offset:         96
        .size:           4
        .value_kind:     by_value
      - .offset:         100
        .size:           4
        .value_kind:     by_value
      - .offset:         104
        .size:           4
        .value_kind:     by_value
      - .offset:         112
        .size:           8
        .value_kind:     by_value
      - .offset:         120
        .size:           8
        .value_kind:     by_value
      - .offset:         128
        .size:           8
        .value_kind:     by_value
    .group_segment_fixed_size: 65536
    .kernarg_segment_align: 8
    .kernarg_segment_size: 136
    .language:       OpenCL C
    .language_version:
      - 2
      - 0
    .max_flat_workgroup_size: 256
    .name:           _ZN12_GLOBAL__N_139chunk_gated_delta_rule_fwd_h_hip_kernelILi64ELb1ELb0ELb1ELb1ELb0ELb1ELb1ELb0EEEvPK12hip_bfloat16S3_S3_PKfS5_PKvPS1_S8_PvPKiSB_iiiiilll
    .private_segment_fixed_size: 0
    .sgpr_count:     71
    .sgpr_spill_count: 0
    .symbol:         _ZN12_GLOBAL__N_139chunk_gated_delta_rule_fwd_h_hip_kernelILi64ELb1ELb0ELb1ELb1ELb0ELb1ELb1ELb0EEEvPK12hip_bfloat16S3_S3_PKfS5_PKvPS1_S8_PvPKiSB_iiiiilll.kd
    .uniform_work_group_size: 1
    .uses_dynamic_stack: false
    .vgpr_count:     232
    .vgpr_spill_count: 0
    .wavefront_size: 64
  - .agpr_count:     40
    .args:
      - .actual_access:  read_only
        .address_space:  global
        .offset:         0
        .size:           8
        .value_kind:     global_buffer
      - .actual_access:  read_only
        .address_space:  global
        .offset:         8
        .size:           8
        .value_kind:     global_buffer
      - .actual_access:  read_only
        .address_space:  global
        .offset:         16
        .size:           8
        .value_kind:     global_buffer
      - .actual_access:  read_only
        .address_space:  global
        .offset:         24
        .size:           8
        .value_kind:     global_buffer
      - .actual_access:  read_only
        .address_space:  global
        .offset:         32
        .size:           8
        .value_kind:     global_buffer
      - .actual_access:  read_only
        .address_space:  global
        .offset:         40
        .size:           8
        .value_kind:     global_buffer
      - .actual_access:  write_only
        .address_space:  global
        .offset:         48
        .size:           8
        .value_kind:     global_buffer
      - .actual_access:  read_only
        .address_space:  global
        .offset:         56
        .size:           8
        .value_kind:     global_buffer
      - .actual_access:  read_only
        .address_space:  global
        .offset:         64
        .size:           8
        .value_kind:     global_buffer
      - .actual_access:  read_only
        .address_space:  global
        .offset:         72
        .size:           8
        .value_kind:     global_buffer
      - .actual_access:  read_only
        .address_space:  global
        .offset:         80
        .size:           8
        .value_kind:     global_buffer
      - .offset:         88
        .size:           4
        .value_kind:     by_value
      - .offset:         92
        .size:           4
        .value_kind:     by_value
      - .offset:         96
        .size:           4
        .value_kind:     by_value
      - .offset:         100
        .size:           4
        .value_kind:     by_value
      - .offset:         104
        .size:           4
        .value_kind:     by_value
      - .offset:         112
        .size:           8
        .value_kind:     by_value
      - .offset:         120
        .size:           8
        .value_kind:     by_value
      - .offset:         128
        .size:           8
        .value_kind:     by_value
    .group_segment_fixed_size: 65536
    .kernarg_segment_align: 8
    .kernarg_segment_size: 136
    .language:       OpenCL C
    .language_version:
      - 2
      - 0
    .max_flat_workgroup_size: 256
    .name:           _ZN12_GLOBAL__N_139chunk_gated_delta_rule_fwd_h_hip_kernelILi64ELb1ELb0ELb0ELb1ELb0ELb1ELb1ELb0EEEvPK12hip_bfloat16S3_S3_PKfS5_PKvPS1_S8_PvPKiSB_iiiiilll
    .private_segment_fixed_size: 0
    .sgpr_count:     69
    .sgpr_spill_count: 0
    .symbol:         _ZN12_GLOBAL__N_139chunk_gated_delta_rule_fwd_h_hip_kernelILi64ELb1ELb0ELb0ELb1ELb0ELb1ELb1ELb0EEEvPK12hip_bfloat16S3_S3_PKfS5_PKvPS1_S8_PvPKiSB_iiiiilll.kd
    .uniform_work_group_size: 1
    .uses_dynamic_stack: false
    .vgpr_count:     232
    .vgpr_spill_count: 0
    .wavefront_size: 64
  - .agpr_count:     40
    .args:
      - .actual_access:  read_only
        .address_space:  global
        .offset:         0
        .size:           8
        .value_kind:     global_buffer
      - .actual_access:  read_only
        .address_space:  global
        .offset:         8
        .size:           8
        .value_kind:     global_buffer
      - .actual_access:  read_only
        .address_space:  global
        .offset:         16
        .size:           8
        .value_kind:     global_buffer
      - .actual_access:  read_only
        .address_space:  global
        .offset:         24
        .size:           8
        .value_kind:     global_buffer
      - .actual_access:  read_only
        .address_space:  global
        .offset:         32
        .size:           8
        .value_kind:     global_buffer
      - .actual_access:  read_only
        .address_space:  global
        .offset:         40
        .size:           8
        .value_kind:     global_buffer
      - .actual_access:  write_only
        .address_space:  global
        .offset:         48
        .size:           8
        .value_kind:     global_buffer
      - .actual_access:  write_only
        .address_space:  global
        .offset:         56
        .size:           8
        .value_kind:     global_buffer
      - .actual_access:  write_only
        .address_space:  global
        .offset:         64
        .size:           8
        .value_kind:     global_buffer
      - .actual_access:  read_only
        .address_space:  global
        .offset:         72
        .size:           8
        .value_kind:     global_buffer
      - .actual_access:  read_only
        .address_space:  global
        .offset:         80
        .size:           8
        .value_kind:     global_buffer
      - .offset:         88
        .size:           4
        .value_kind:     by_value
      - .offset:         92
        .size:           4
        .value_kind:     by_value
      - .offset:         96
        .size:           4
        .value_kind:     by_value
      - .offset:         100
        .size:           4
        .value_kind:     by_value
      - .offset:         104
        .size:           4
        .value_kind:     by_value
      - .offset:         112
        .size:           8
        .value_kind:     by_value
      - .offset:         120
        .size:           8
        .value_kind:     by_value
      - .offset:         128
        .size:           8
        .value_kind:     by_value
    .group_segment_fixed_size: 65536
    .kernarg_segment_align: 8
    .kernarg_segment_size: 136
    .language:       OpenCL C
    .language_version:
      - 2
      - 0
    .max_flat_workgroup_size: 256
    .name:           _ZN12_GLOBAL__N_139chunk_gated_delta_rule_fwd_h_hip_kernelILi64ELb0ELb1ELb1ELb1ELb0ELb1ELb1ELb0EEEvPK12hip_bfloat16S3_S3_PKfS5_PKvPS1_S8_PvPKiSB_iiiiilll
    .private_segment_fixed_size: 0
    .sgpr_count:     75
    .sgpr_spill_count: 0
    .symbol:         _ZN12_GLOBAL__N_139chunk_gated_delta_rule_fwd_h_hip_kernelILi64ELb0ELb1ELb1ELb1ELb0ELb1ELb1ELb0EEEvPK12hip_bfloat16S3_S3_PKfS5_PKvPS1_S8_PvPKiSB_iiiiilll.kd
    .uniform_work_group_size: 1
    .uses_dynamic_stack: false
    .vgpr_count:     232
    .vgpr_spill_count: 0
    .wavefront_size: 64
  - .agpr_count:     40
    .args:
      - .actual_access:  read_only
        .address_space:  global
        .offset:         0
        .size:           8
        .value_kind:     global_buffer
      - .actual_access:  read_only
        .address_space:  global
        .offset:         8
        .size:           8
        .value_kind:     global_buffer
      - .actual_access:  read_only
        .address_space:  global
        .offset:         16
        .size:           8
        .value_kind:     global_buffer
      - .actual_access:  read_only
        .address_space:  global
        .offset:         24
        .size:           8
        .value_kind:     global_buffer
      - .actual_access:  read_only
        .address_space:  global
        .offset:         32
        .size:           8
        .value_kind:     global_buffer
      - .actual_access:  read_only
        .address_space:  global
        .offset:         40
        .size:           8
        .value_kind:     global_buffer
      - .actual_access:  write_only
        .address_space:  global
        .offset:         48
        .size:           8
        .value_kind:     global_buffer
      - .actual_access:  read_only
        .address_space:  global
        .offset:         56
        .size:           8
        .value_kind:     global_buffer
      - .actual_access:  write_only
        .address_space:  global
        .offset:         64
        .size:           8
        .value_kind:     global_buffer
      - .actual_access:  read_only
        .address_space:  global
        .offset:         72
        .size:           8
        .value_kind:     global_buffer
      - .actual_access:  read_only
        .address_space:  global
        .offset:         80
        .size:           8
        .value_kind:     global_buffer
      - .offset:         88
        .size:           4
        .value_kind:     by_value
      - .offset:         92
        .size:           4
        .value_kind:     by_value
      - .offset:         96
        .size:           4
        .value_kind:     by_value
      - .offset:         100
        .size:           4
        .value_kind:     by_value
      - .offset:         104
        .size:           4
        .value_kind:     by_value
      - .offset:         112
        .size:           8
        .value_kind:     by_value
      - .offset:         120
        .size:           8
        .value_kind:     by_value
      - .offset:         128
        .size:           8
        .value_kind:     by_value
    .group_segment_fixed_size: 65536
    .kernarg_segment_align: 8
    .kernarg_segment_size: 136
    .language:       OpenCL C
    .language_version:
      - 2
      - 0
    .max_flat_workgroup_size: 256
    .name:           _ZN12_GLOBAL__N_139chunk_gated_delta_rule_fwd_h_hip_kernelILi64ELb0ELb1ELb0ELb1ELb0ELb1ELb1ELb0EEEvPK12hip_bfloat16S3_S3_PKfS5_PKvPS1_S8_PvPKiSB_iiiiilll
    .private_segment_fixed_size: 0
    .sgpr_count:     73
    .sgpr_spill_count: 0
    .symbol:         _ZN12_GLOBAL__N_139chunk_gated_delta_rule_fwd_h_hip_kernelILi64ELb0ELb1ELb0ELb1ELb0ELb1ELb1ELb0EEEvPK12hip_bfloat16S3_S3_PKfS5_PKvPS1_S8_PvPKiSB_iiiiilll.kd
    .uniform_work_group_size: 1
    .uses_dynamic_stack: false
    .vgpr_count:     232
    .vgpr_spill_count: 0
    .wavefront_size: 64
  - .agpr_count:     40
    .args:
      - .actual_access:  read_only
        .address_space:  global
        .offset:         0
        .size:           8
        .value_kind:     global_buffer
      - .actual_access:  read_only
        .address_space:  global
        .offset:         8
        .size:           8
        .value_kind:     global_buffer
      - .actual_access:  read_only
        .address_space:  global
        .offset:         16
        .size:           8
        .value_kind:     global_buffer
      - .actual_access:  read_only
        .address_space:  global
        .offset:         24
        .size:           8
        .value_kind:     global_buffer
      - .actual_access:  read_only
        .address_space:  global
        .offset:         32
        .size:           8
        .value_kind:     global_buffer
      - .actual_access:  read_only
        .address_space:  global
        .offset:         40
        .size:           8
        .value_kind:     global_buffer
      - .actual_access:  write_only
        .address_space:  global
        .offset:         48
        .size:           8
        .value_kind:     global_buffer
      - .actual_access:  write_only
        .address_space:  global
        .offset:         56
        .size:           8
        .value_kind:     global_buffer
      - .actual_access:  read_only
        .address_space:  global
        .offset:         64
        .size:           8
        .value_kind:     global_buffer
      - .actual_access:  read_only
        .address_space:  global
        .offset:         72
        .size:           8
        .value_kind:     global_buffer
      - .actual_access:  read_only
        .address_space:  global
        .offset:         80
        .size:           8
        .value_kind:     global_buffer
      - .offset:         88
        .size:           4
        .value_kind:     by_value
      - .offset:         92
        .size:           4
        .value_kind:     by_value
      - .offset:         96
        .size:           4
        .value_kind:     by_value
      - .offset:         100
        .size:           4
        .value_kind:     by_value
      - .offset:         104
        .size:           4
        .value_kind:     by_value
      - .offset:         112
        .size:           8
        .value_kind:     by_value
      - .offset:         120
        .size:           8
        .value_kind:     by_value
      - .offset:         128
        .size:           8
        .value_kind:     by_value
    .group_segment_fixed_size: 65536
    .kernarg_segment_align: 8
    .kernarg_segment_size: 136
    .language:       OpenCL C
    .language_version:
      - 2
      - 0
    .max_flat_workgroup_size: 256
    .name:           _ZN12_GLOBAL__N_139chunk_gated_delta_rule_fwd_h_hip_kernelILi64ELb0ELb0ELb1ELb1ELb0ELb1ELb1ELb0EEEvPK12hip_bfloat16S3_S3_PKfS5_PKvPS1_S8_PvPKiSB_iiiiilll
    .private_segment_fixed_size: 0
    .sgpr_count:     70
    .sgpr_spill_count: 0
    .symbol:         _ZN12_GLOBAL__N_139chunk_gated_delta_rule_fwd_h_hip_kernelILi64ELb0ELb0ELb1ELb1ELb0ELb1ELb1ELb0EEEvPK12hip_bfloat16S3_S3_PKfS5_PKvPS1_S8_PvPKiSB_iiiiilll.kd
    .uniform_work_group_size: 1
    .uses_dynamic_stack: false
    .vgpr_count:     232
    .vgpr_spill_count: 0
    .wavefront_size: 64
  - .agpr_count:     40
    .args:
      - .actual_access:  read_only
        .address_space:  global
        .offset:         0
        .size:           8
        .value_kind:     global_buffer
      - .actual_access:  read_only
        .address_space:  global
        .offset:         8
        .size:           8
        .value_kind:     global_buffer
      - .actual_access:  read_only
        .address_space:  global
        .offset:         16
        .size:           8
        .value_kind:     global_buffer
      - .actual_access:  read_only
        .address_space:  global
        .offset:         24
        .size:           8
        .value_kind:     global_buffer
      - .actual_access:  read_only
        .address_space:  global
        .offset:         32
        .size:           8
        .value_kind:     global_buffer
      - .actual_access:  read_only
        .address_space:  global
        .offset:         40
        .size:           8
        .value_kind:     global_buffer
      - .actual_access:  write_only
        .address_space:  global
        .offset:         48
        .size:           8
        .value_kind:     global_buffer
      - .actual_access:  read_only
        .address_space:  global
        .offset:         56
        .size:           8
        .value_kind:     global_buffer
      - .actual_access:  read_only
        .address_space:  global
        .offset:         64
        .size:           8
        .value_kind:     global_buffer
      - .actual_access:  read_only
        .address_space:  global
        .offset:         72
        .size:           8
        .value_kind:     global_buffer
      - .actual_access:  read_only
        .address_space:  global
        .offset:         80
        .size:           8
        .value_kind:     global_buffer
      - .offset:         88
        .size:           4
        .value_kind:     by_value
      - .offset:         92
        .size:           4
        .value_kind:     by_value
      - .offset:         96
        .size:           4
        .value_kind:     by_value
      - .offset:         100
        .size:           4
        .value_kind:     by_value
      - .offset:         104
        .size:           4
        .value_kind:     by_value
      - .offset:         112
        .size:           8
        .value_kind:     by_value
      - .offset:         120
        .size:           8
        .value_kind:     by_value
      - .offset:         128
        .size:           8
        .value_kind:     by_value
    .group_segment_fixed_size: 65536
    .kernarg_segment_align: 8
    .kernarg_segment_size: 136
    .language:       OpenCL C
    .language_version:
      - 2
      - 0
    .max_flat_workgroup_size: 256
    .name:           _ZN12_GLOBAL__N_139chunk_gated_delta_rule_fwd_h_hip_kernelILi64ELb0ELb0ELb0ELb1ELb0ELb1ELb1ELb0EEEvPK12hip_bfloat16S3_S3_PKfS5_PKvPS1_S8_PvPKiSB_iiiiilll
    .private_segment_fixed_size: 0
    .sgpr_count:     68
    .sgpr_spill_count: 0
    .symbol:         _ZN12_GLOBAL__N_139chunk_gated_delta_rule_fwd_h_hip_kernelILi64ELb0ELb0ELb0ELb1ELb0ELb1ELb1ELb0EEEvPK12hip_bfloat16S3_S3_PKfS5_PKvPS1_S8_PvPKiSB_iiiiilll.kd
    .uniform_work_group_size: 1
    .uses_dynamic_stack: false
    .vgpr_count:     232
    .vgpr_spill_count: 0
    .wavefront_size: 64
  - .agpr_count:     40
    .args:
      - .actual_access:  read_only
        .address_space:  global
        .offset:         0
        .size:           8
        .value_kind:     global_buffer
      - .actual_access:  read_only
        .address_space:  global
        .offset:         8
        .size:           8
        .value_kind:     global_buffer
      - .actual_access:  read_only
        .address_space:  global
        .offset:         16
        .size:           8
        .value_kind:     global_buffer
      - .actual_access:  read_only
        .address_space:  global
        .offset:         24
        .size:           8
        .value_kind:     global_buffer
      - .actual_access:  read_only
        .address_space:  global
        .offset:         32
        .size:           8
        .value_kind:     global_buffer
      - .actual_access:  read_only
        .address_space:  global
        .offset:         40
        .size:           8
        .value_kind:     global_buffer
      - .actual_access:  write_only
        .address_space:  global
        .offset:         48
        .size:           8
        .value_kind:     global_buffer
      - .actual_access:  write_only
        .address_space:  global
        .offset:         56
        .size:           8
        .value_kind:     global_buffer
      - .actual_access:  write_only
        .address_space:  global
        .offset:         64
        .size:           8
        .value_kind:     global_buffer
      - .actual_access:  read_only
        .address_space:  global
        .offset:         72
        .size:           8
        .value_kind:     global_buffer
      - .actual_access:  read_only
        .address_space:  global
        .offset:         80
        .size:           8
        .value_kind:     global_buffer
      - .offset:         88
        .size:           4
        .value_kind:     by_value
      - .offset:         92
        .size:           4
        .value_kind:     by_value
      - .offset:         96
        .size:           4
        .value_kind:     by_value
      - .offset:         100
        .size:           4
        .value_kind:     by_value
      - .offset:         104
        .size:           4
        .value_kind:     by_value
      - .offset:         112
        .size:           8
        .value_kind:     by_value
      - .offset:         120
        .size:           8
        .value_kind:     by_value
      - .offset:         128
        .size:           8
        .value_kind:     by_value
    .group_segment_fixed_size: 65536
    .kernarg_segment_align: 8
    .kernarg_segment_size: 136
    .language:       OpenCL C
    .language_version:
      - 2
      - 0
    .max_flat_workgroup_size: 256
    .name:           _ZN12_GLOBAL__N_139chunk_gated_delta_rule_fwd_h_hip_kernelILi64ELb1ELb1ELb1ELb0ELb0ELb1ELb1ELb0EEEvPK12hip_bfloat16S3_S3_PKfS5_PKvPS1_S8_PvPKiSB_iiiiilll
    .private_segment_fixed_size: 0
    .sgpr_count:     81
    .sgpr_spill_count: 0
    .symbol:         _ZN12_GLOBAL__N_139chunk_gated_delta_rule_fwd_h_hip_kernelILi64ELb1ELb1ELb1ELb0ELb0ELb1ELb1ELb0EEEvPK12hip_bfloat16S3_S3_PKfS5_PKvPS1_S8_PvPKiSB_iiiiilll.kd
    .uniform_work_group_size: 1
    .uses_dynamic_stack: false
    .vgpr_count:     240
    .vgpr_spill_count: 0
    .wavefront_size: 64
  - .agpr_count:     40
    .args:
      - .actual_access:  read_only
        .address_space:  global
        .offset:         0
        .size:           8
        .value_kind:     global_buffer
      - .actual_access:  read_only
        .address_space:  global
        .offset:         8
        .size:           8
        .value_kind:     global_buffer
      - .actual_access:  read_only
        .address_space:  global
        .offset:         16
        .size:           8
        .value_kind:     global_buffer
      - .actual_access:  read_only
        .address_space:  global
        .offset:         24
        .size:           8
        .value_kind:     global_buffer
      - .actual_access:  read_only
        .address_space:  global
        .offset:         32
        .size:           8
        .value_kind:     global_buffer
      - .actual_access:  read_only
        .address_space:  global
        .offset:         40
        .size:           8
        .value_kind:     global_buffer
      - .actual_access:  write_only
        .address_space:  global
        .offset:         48
        .size:           8
        .value_kind:     global_buffer
      - .actual_access:  read_only
        .address_space:  global
        .offset:         56
        .size:           8
        .value_kind:     global_buffer
      - .actual_access:  write_only
        .address_space:  global
        .offset:         64
        .size:           8
        .value_kind:     global_buffer
      - .actual_access:  read_only
        .address_space:  global
        .offset:         72
        .size:           8
        .value_kind:     global_buffer
      - .actual_access:  read_only
        .address_space:  global
        .offset:         80
        .size:           8
        .value_kind:     global_buffer
      - .offset:         88
        .size:           4
        .value_kind:     by_value
      - .offset:         92
        .size:           4
        .value_kind:     by_value
      - .offset:         96
        .size:           4
        .value_kind:     by_value
      - .offset:         100
        .size:           4
        .value_kind:     by_value
      - .offset:         104
        .size:           4
        .value_kind:     by_value
      - .offset:         112
        .size:           8
        .value_kind:     by_value
      - .offset:         120
        .size:           8
        .value_kind:     by_value
      - .offset:         128
        .size:           8
        .value_kind:     by_value
    .group_segment_fixed_size: 65536
    .kernarg_segment_align: 8
    .kernarg_segment_size: 136
    .language:       OpenCL C
    .language_version:
      - 2
      - 0
    .max_flat_workgroup_size: 256
    .name:           _ZN12_GLOBAL__N_139chunk_gated_delta_rule_fwd_h_hip_kernelILi64ELb1ELb1ELb0ELb0ELb0ELb1ELb1ELb0EEEvPK12hip_bfloat16S3_S3_PKfS5_PKvPS1_S8_PvPKiSB_iiiiilll
    .private_segment_fixed_size: 0
    .sgpr_count:     79
    .sgpr_spill_count: 0
    .symbol:         _ZN12_GLOBAL__N_139chunk_gated_delta_rule_fwd_h_hip_kernelILi64ELb1ELb1ELb0ELb0ELb0ELb1ELb1ELb0EEEvPK12hip_bfloat16S3_S3_PKfS5_PKvPS1_S8_PvPKiSB_iiiiilll.kd
    .uniform_work_group_size: 1
    .uses_dynamic_stack: false
    .vgpr_count:     240
    .vgpr_spill_count: 0
    .wavefront_size: 64
  - .agpr_count:     40
    .args:
      - .actual_access:  read_only
        .address_space:  global
        .offset:         0
        .size:           8
        .value_kind:     global_buffer
      - .actual_access:  read_only
        .address_space:  global
        .offset:         8
        .size:           8
        .value_kind:     global_buffer
      - .actual_access:  read_only
        .address_space:  global
        .offset:         16
        .size:           8
        .value_kind:     global_buffer
      - .actual_access:  read_only
        .address_space:  global
        .offset:         24
        .size:           8
        .value_kind:     global_buffer
      - .actual_access:  read_only
        .address_space:  global
        .offset:         32
        .size:           8
        .value_kind:     global_buffer
      - .actual_access:  read_only
        .address_space:  global
        .offset:         40
        .size:           8
        .value_kind:     global_buffer
      - .actual_access:  write_only
        .address_space:  global
        .offset:         48
        .size:           8
        .value_kind:     global_buffer
      - .actual_access:  write_only
        .address_space:  global
        .offset:         56
        .size:           8
        .value_kind:     global_buffer
      - .actual_access:  read_only
        .address_space:  global
        .offset:         64
        .size:           8
        .value_kind:     global_buffer
      - .actual_access:  read_only
        .address_space:  global
        .offset:         72
        .size:           8
        .value_kind:     global_buffer
      - .actual_access:  read_only
        .address_space:  global
        .offset:         80
        .size:           8
        .value_kind:     global_buffer
      - .offset:         88
        .size:           4
        .value_kind:     by_value
      - .offset:         92
        .size:           4
        .value_kind:     by_value
      - .offset:         96
        .size:           4
        .value_kind:     by_value
      - .offset:         100
        .size:           4
        .value_kind:     by_value
      - .offset:         104
        .size:           4
        .value_kind:     by_value
      - .offset:         112
        .size:           8
        .value_kind:     by_value
      - .offset:         120
        .size:           8
        .value_kind:     by_value
      - .offset:         128
        .size:           8
        .value_kind:     by_value
    .group_segment_fixed_size: 65536
    .kernarg_segment_align: 8
    .kernarg_segment_size: 136
    .language:       OpenCL C
    .language_version:
      - 2
      - 0
    .max_flat_workgroup_size: 256
    .name:           _ZN12_GLOBAL__N_139chunk_gated_delta_rule_fwd_h_hip_kernelILi64ELb1ELb0ELb1ELb0ELb0ELb1ELb1ELb0EEEvPK12hip_bfloat16S3_S3_PKfS5_PKvPS1_S8_PvPKiSB_iiiiilll
    .private_segment_fixed_size: 0
    .sgpr_count:     77
    .sgpr_spill_count: 0
    .symbol:         _ZN12_GLOBAL__N_139chunk_gated_delta_rule_fwd_h_hip_kernelILi64ELb1ELb0ELb1ELb0ELb0ELb1ELb1ELb0EEEvPK12hip_bfloat16S3_S3_PKfS5_PKvPS1_S8_PvPKiSB_iiiiilll.kd
    .uniform_work_group_size: 1
    .uses_dynamic_stack: false
    .vgpr_count:     232
    .vgpr_spill_count: 0
    .wavefront_size: 64
  - .agpr_count:     40
    .args:
      - .actual_access:  read_only
        .address_space:  global
        .offset:         0
        .size:           8
        .value_kind:     global_buffer
      - .actual_access:  read_only
        .address_space:  global
        .offset:         8
        .size:           8
        .value_kind:     global_buffer
      - .actual_access:  read_only
        .address_space:  global
        .offset:         16
        .size:           8
        .value_kind:     global_buffer
      - .actual_access:  read_only
        .address_space:  global
        .offset:         24
        .size:           8
        .value_kind:     global_buffer
      - .actual_access:  read_only
        .address_space:  global
        .offset:         32
        .size:           8
        .value_kind:     global_buffer
      - .actual_access:  read_only
        .address_space:  global
        .offset:         40
        .size:           8
        .value_kind:     global_buffer
      - .actual_access:  write_only
        .address_space:  global
        .offset:         48
        .size:           8
        .value_kind:     global_buffer
      - .actual_access:  read_only
        .address_space:  global
        .offset:         56
        .size:           8
        .value_kind:     global_buffer
      - .actual_access:  read_only
        .address_space:  global
        .offset:         64
        .size:           8
        .value_kind:     global_buffer
      - .actual_access:  read_only
        .address_space:  global
        .offset:         72
        .size:           8
        .value_kind:     global_buffer
      - .actual_access:  read_only
        .address_space:  global
        .offset:         80
        .size:           8
        .value_kind:     global_buffer
      - .offset:         88
        .size:           4
        .value_kind:     by_value
      - .offset:         92
        .size:           4
        .value_kind:     by_value
      - .offset:         96
        .size:           4
        .value_kind:     by_value
      - .offset:         100
        .size:           4
        .value_kind:     by_value
      - .offset:         104
        .size:           4
        .value_kind:     by_value
      - .offset:         112
        .size:           8
        .value_kind:     by_value
      - .offset:         120
        .size:           8
        .value_kind:     by_value
      - .offset:         128
        .size:           8
        .value_kind:     by_value
    .group_segment_fixed_size: 65536
    .kernarg_segment_align: 8
    .kernarg_segment_size: 136
    .language:       OpenCL C
    .language_version:
      - 2
      - 0
    .max_flat_workgroup_size: 256
    .name:           _ZN12_GLOBAL__N_139chunk_gated_delta_rule_fwd_h_hip_kernelILi64ELb1ELb0ELb0ELb0ELb0ELb1ELb1ELb0EEEvPK12hip_bfloat16S3_S3_PKfS5_PKvPS1_S8_PvPKiSB_iiiiilll
    .private_segment_fixed_size: 0
    .sgpr_count:     75
    .sgpr_spill_count: 0
    .symbol:         _ZN12_GLOBAL__N_139chunk_gated_delta_rule_fwd_h_hip_kernelILi64ELb1ELb0ELb0ELb0ELb0ELb1ELb1ELb0EEEvPK12hip_bfloat16S3_S3_PKfS5_PKvPS1_S8_PvPKiSB_iiiiilll.kd
    .uniform_work_group_size: 1
    .uses_dynamic_stack: false
    .vgpr_count:     232
    .vgpr_spill_count: 0
    .wavefront_size: 64
  - .agpr_count:     40
    .args:
      - .actual_access:  read_only
        .address_space:  global
        .offset:         0
        .size:           8
        .value_kind:     global_buffer
      - .actual_access:  read_only
        .address_space:  global
        .offset:         8
        .size:           8
        .value_kind:     global_buffer
      - .actual_access:  read_only
        .address_space:  global
        .offset:         16
        .size:           8
        .value_kind:     global_buffer
      - .actual_access:  read_only
        .address_space:  global
        .offset:         24
        .size:           8
        .value_kind:     global_buffer
      - .actual_access:  read_only
        .address_space:  global
        .offset:         32
        .size:           8
        .value_kind:     global_buffer
      - .actual_access:  read_only
        .address_space:  global
        .offset:         40
        .size:           8
        .value_kind:     global_buffer
      - .actual_access:  write_only
        .address_space:  global
        .offset:         48
        .size:           8
        .value_kind:     global_buffer
      - .actual_access:  write_only
        .address_space:  global
        .offset:         56
        .size:           8
        .value_kind:     global_buffer
      - .actual_access:  write_only
        .address_space:  global
        .offset:         64
        .size:           8
        .value_kind:     global_buffer
      - .actual_access:  read_only
        .address_space:  global
        .offset:         72
        .size:           8
        .value_kind:     global_buffer
      - .actual_access:  read_only
        .address_space:  global
        .offset:         80
        .size:           8
        .value_kind:     global_buffer
      - .offset:         88
        .size:           4
        .value_kind:     by_value
      - .offset:         92
        .size:           4
        .value_kind:     by_value
      - .offset:         96
        .size:           4
        .value_kind:     by_value
      - .offset:         100
        .size:           4
        .value_kind:     by_value
      - .offset:         104
        .size:           4
        .value_kind:     by_value
      - .offset:         112
        .size:           8
        .value_kind:     by_value
      - .offset:         120
        .size:           8
        .value_kind:     by_value
      - .offset:         128
        .size:           8
        .value_kind:     by_value
    .group_segment_fixed_size: 65536
    .kernarg_segment_align: 8
    .kernarg_segment_size: 136
    .language:       OpenCL C
    .language_version:
      - 2
      - 0
    .max_flat_workgroup_size: 256
    .name:           _ZN12_GLOBAL__N_139chunk_gated_delta_rule_fwd_h_hip_kernelILi64ELb0ELb1ELb1ELb0ELb0ELb1ELb1ELb0EEEvPK12hip_bfloat16S3_S3_PKfS5_PKvPS1_S8_PvPKiSB_iiiiilll
    .private_segment_fixed_size: 0
    .sgpr_count:     76
    .sgpr_spill_count: 0
    .symbol:         _ZN12_GLOBAL__N_139chunk_gated_delta_rule_fwd_h_hip_kernelILi64ELb0ELb1ELb1ELb0ELb0ELb1ELb1ELb0EEEvPK12hip_bfloat16S3_S3_PKfS5_PKvPS1_S8_PvPKiSB_iiiiilll.kd
    .uniform_work_group_size: 1
    .uses_dynamic_stack: false
    .vgpr_count:     232
    .vgpr_spill_count: 0
    .wavefront_size: 64
  - .agpr_count:     40
    .args:
      - .actual_access:  read_only
        .address_space:  global
        .offset:         0
        .size:           8
        .value_kind:     global_buffer
      - .actual_access:  read_only
        .address_space:  global
        .offset:         8
        .size:           8
        .value_kind:     global_buffer
      - .actual_access:  read_only
        .address_space:  global
        .offset:         16
        .size:           8
        .value_kind:     global_buffer
      - .actual_access:  read_only
        .address_space:  global
        .offset:         24
        .size:           8
        .value_kind:     global_buffer
      - .actual_access:  read_only
        .address_space:  global
        .offset:         32
        .size:           8
        .value_kind:     global_buffer
      - .actual_access:  read_only
        .address_space:  global
        .offset:         40
        .size:           8
        .value_kind:     global_buffer
      - .actual_access:  write_only
        .address_space:  global
        .offset:         48
        .size:           8
        .value_kind:     global_buffer
      - .actual_access:  read_only
        .address_space:  global
        .offset:         56
        .size:           8
        .value_kind:     global_buffer
      - .actual_access:  write_only
        .address_space:  global
        .offset:         64
        .size:           8
        .value_kind:     global_buffer
      - .actual_access:  read_only
        .address_space:  global
        .offset:         72
        .size:           8
        .value_kind:     global_buffer
      - .actual_access:  read_only
        .address_space:  global
        .offset:         80
        .size:           8
        .value_kind:     global_buffer
      - .offset:         88
        .size:           4
        .value_kind:     by_value
      - .offset:         92
        .size:           4
        .value_kind:     by_value
      - .offset:         96
        .size:           4
        .value_kind:     by_value
      - .offset:         100
        .size:           4
        .value_kind:     by_value
      - .offset:         104
        .size:           4
        .value_kind:     by_value
      - .offset:         112
        .size:           8
        .value_kind:     by_value
      - .offset:         120
        .size:           8
        .value_kind:     by_value
      - .offset:         128
        .size:           8
        .value_kind:     by_value
    .group_segment_fixed_size: 65536
    .kernarg_segment_align: 8
    .kernarg_segment_size: 136
    .language:       OpenCL C
    .language_version:
      - 2
      - 0
    .max_flat_workgroup_size: 256
    .name:           _ZN12_GLOBAL__N_139chunk_gated_delta_rule_fwd_h_hip_kernelILi64ELb0ELb1ELb0ELb0ELb0ELb1ELb1ELb0EEEvPK12hip_bfloat16S3_S3_PKfS5_PKvPS1_S8_PvPKiSB_iiiiilll
    .private_segment_fixed_size: 0
    .sgpr_count:     74
    .sgpr_spill_count: 0
    .symbol:         _ZN12_GLOBAL__N_139chunk_gated_delta_rule_fwd_h_hip_kernelILi64ELb0ELb1ELb0ELb0ELb0ELb1ELb1ELb0EEEvPK12hip_bfloat16S3_S3_PKfS5_PKvPS1_S8_PvPKiSB_iiiiilll.kd
    .uniform_work_group_size: 1
    .uses_dynamic_stack: false
    .vgpr_count:     232
    .vgpr_spill_count: 0
    .wavefront_size: 64
  - .agpr_count:     40
    .args:
      - .actual_access:  read_only
        .address_space:  global
        .offset:         0
        .size:           8
        .value_kind:     global_buffer
      - .actual_access:  read_only
        .address_space:  global
        .offset:         8
        .size:           8
        .value_kind:     global_buffer
      - .actual_access:  read_only
        .address_space:  global
        .offset:         16
        .size:           8
        .value_kind:     global_buffer
      - .actual_access:  read_only
        .address_space:  global
        .offset:         24
        .size:           8
        .value_kind:     global_buffer
      - .actual_access:  read_only
        .address_space:  global
        .offset:         32
        .size:           8
        .value_kind:     global_buffer
      - .actual_access:  read_only
        .address_space:  global
        .offset:         40
        .size:           8
        .value_kind:     global_buffer
      - .actual_access:  write_only
        .address_space:  global
        .offset:         48
        .size:           8
        .value_kind:     global_buffer
      - .actual_access:  write_only
        .address_space:  global
        .offset:         56
        .size:           8
        .value_kind:     global_buffer
      - .actual_access:  read_only
        .address_space:  global
        .offset:         64
        .size:           8
        .value_kind:     global_buffer
      - .actual_access:  read_only
        .address_space:  global
        .offset:         72
        .size:           8
        .value_kind:     global_buffer
      - .actual_access:  read_only
        .address_space:  global
        .offset:         80
        .size:           8
        .value_kind:     global_buffer
      - .offset:         88
        .size:           4
        .value_kind:     by_value
      - .offset:         92
        .size:           4
        .value_kind:     by_value
      - .offset:         96
        .size:           4
        .value_kind:     by_value
      - .offset:         100
        .size:           4
        .value_kind:     by_value
      - .offset:         104
        .size:           4
        .value_kind:     by_value
      - .offset:         112
        .size:           8
        .value_kind:     by_value
      - .offset:         120
        .size:           8
        .value_kind:     by_value
      - .offset:         128
        .size:           8
        .value_kind:     by_value
    .group_segment_fixed_size: 65536
    .kernarg_segment_align: 8
    .kernarg_segment_size: 136
    .language:       OpenCL C
    .language_version:
      - 2
      - 0
    .max_flat_workgroup_size: 256
    .name:           _ZN12_GLOBAL__N_139chunk_gated_delta_rule_fwd_h_hip_kernelILi64ELb0ELb0ELb1ELb0ELb0ELb1ELb1ELb0EEEvPK12hip_bfloat16S3_S3_PKfS5_PKvPS1_S8_PvPKiSB_iiiiilll
    .private_segment_fixed_size: 0
    .sgpr_count:     74
    .sgpr_spill_count: 0
    .symbol:         _ZN12_GLOBAL__N_139chunk_gated_delta_rule_fwd_h_hip_kernelILi64ELb0ELb0ELb1ELb0ELb0ELb1ELb1ELb0EEEvPK12hip_bfloat16S3_S3_PKfS5_PKvPS1_S8_PvPKiSB_iiiiilll.kd
    .uniform_work_group_size: 1
    .uses_dynamic_stack: false
    .vgpr_count:     232
    .vgpr_spill_count: 0
    .wavefront_size: 64
  - .agpr_count:     40
    .args:
      - .actual_access:  read_only
        .address_space:  global
        .offset:         0
        .size:           8
        .value_kind:     global_buffer
      - .actual_access:  read_only
        .address_space:  global
        .offset:         8
        .size:           8
        .value_kind:     global_buffer
      - .actual_access:  read_only
        .address_space:  global
        .offset:         16
        .size:           8
        .value_kind:     global_buffer
      - .actual_access:  read_only
        .address_space:  global
        .offset:         24
        .size:           8
        .value_kind:     global_buffer
      - .actual_access:  read_only
        .address_space:  global
        .offset:         32
        .size:           8
        .value_kind:     global_buffer
      - .actual_access:  read_only
        .address_space:  global
        .offset:         40
        .size:           8
        .value_kind:     global_buffer
      - .actual_access:  write_only
        .address_space:  global
        .offset:         48
        .size:           8
        .value_kind:     global_buffer
      - .actual_access:  read_only
        .address_space:  global
        .offset:         56
        .size:           8
        .value_kind:     global_buffer
      - .actual_access:  read_only
        .address_space:  global
        .offset:         64
        .size:           8
        .value_kind:     global_buffer
      - .actual_access:  read_only
        .address_space:  global
        .offset:         72
        .size:           8
        .value_kind:     global_buffer
      - .actual_access:  read_only
        .address_space:  global
        .offset:         80
        .size:           8
        .value_kind:     global_buffer
      - .offset:         88
        .size:           4
        .value_kind:     by_value
      - .offset:         92
        .size:           4
        .value_kind:     by_value
      - .offset:         96
        .size:           4
        .value_kind:     by_value
      - .offset:         100
        .size:           4
        .value_kind:     by_value
      - .offset:         104
        .size:           4
        .value_kind:     by_value
      - .offset:         112
        .size:           8
        .value_kind:     by_value
      - .offset:         120
        .size:           8
        .value_kind:     by_value
      - .offset:         128
        .size:           8
        .value_kind:     by_value
    .group_segment_fixed_size: 65536
    .kernarg_segment_align: 8
    .kernarg_segment_size: 136
    .language:       OpenCL C
    .language_version:
      - 2
      - 0
    .max_flat_workgroup_size: 256
    .name:           _ZN12_GLOBAL__N_139chunk_gated_delta_rule_fwd_h_hip_kernelILi64ELb0ELb0ELb0ELb0ELb0ELb1ELb1ELb0EEEvPK12hip_bfloat16S3_S3_PKfS5_PKvPS1_S8_PvPKiSB_iiiiilll
    .private_segment_fixed_size: 0
    .sgpr_count:     72
    .sgpr_spill_count: 0
    .symbol:         _ZN12_GLOBAL__N_139chunk_gated_delta_rule_fwd_h_hip_kernelILi64ELb0ELb0ELb0ELb0ELb0ELb1ELb1ELb0EEEvPK12hip_bfloat16S3_S3_PKfS5_PKvPS1_S8_PvPKiSB_iiiiilll.kd
    .uniform_work_group_size: 1
    .uses_dynamic_stack: false
    .vgpr_count:     232
    .vgpr_spill_count: 0
    .wavefront_size: 64
  - .agpr_count:     40
    .args:
      - .actual_access:  read_only
        .address_space:  global
        .offset:         0
        .size:           8
        .value_kind:     global_buffer
      - .actual_access:  read_only
        .address_space:  global
        .offset:         8
        .size:           8
        .value_kind:     global_buffer
      - .actual_access:  read_only
        .address_space:  global
        .offset:         16
        .size:           8
        .value_kind:     global_buffer
      - .actual_access:  read_only
        .address_space:  global
        .offset:         24
        .size:           8
        .value_kind:     global_buffer
      - .actual_access:  read_only
        .address_space:  global
        .offset:         32
        .size:           8
        .value_kind:     global_buffer
      - .actual_access:  read_only
        .address_space:  global
        .offset:         40
        .size:           8
        .value_kind:     global_buffer
      - .actual_access:  write_only
        .address_space:  global
        .offset:         48
        .size:           8
        .value_kind:     global_buffer
      - .actual_access:  write_only
        .address_space:  global
        .offset:         56
        .size:           8
        .value_kind:     global_buffer
      - .actual_access:  write_only
        .address_space:  global
        .offset:         64
        .size:           8
        .value_kind:     global_buffer
      - .actual_access:  read_only
        .address_space:  global
        .offset:         72
        .size:           8
        .value_kind:     global_buffer
      - .actual_access:  read_only
        .address_space:  global
        .offset:         80
        .size:           8
        .value_kind:     global_buffer
      - .offset:         88
        .size:           4
        .value_kind:     by_value
      - .offset:         92
        .size:           4
        .value_kind:     by_value
      - .offset:         96
        .size:           4
        .value_kind:     by_value
      - .offset:         100
        .size:           4
        .value_kind:     by_value
      - .offset:         104
        .size:           4
        .value_kind:     by_value
      - .offset:         112
        .size:           8
        .value_kind:     by_value
      - .offset:         120
        .size:           8
        .value_kind:     by_value
      - .offset:         128
        .size:           8
        .value_kind:     by_value
    .group_segment_fixed_size: 65536
    .kernarg_segment_align: 8
    .kernarg_segment_size: 136
    .language:       OpenCL C
    .language_version:
      - 2
      - 0
    .max_flat_workgroup_size: 256
    .name:           _ZN12_GLOBAL__N_139chunk_gated_delta_rule_fwd_h_hip_kernelILi64ELb1ELb1ELb1ELb1ELb0ELb1ELb0ELb0EEEvPK12hip_bfloat16S3_S3_PKfS5_PKvPS1_S8_PvPKiSB_iiiiilll
    .private_segment_fixed_size: 0
    .sgpr_count:     75
    .sgpr_spill_count: 0
    .symbol:         _ZN12_GLOBAL__N_139chunk_gated_delta_rule_fwd_h_hip_kernelILi64ELb1ELb1ELb1ELb1ELb0ELb1ELb0ELb0EEEvPK12hip_bfloat16S3_S3_PKfS5_PKvPS1_S8_PvPKiSB_iiiiilll.kd
    .uniform_work_group_size: 1
    .uses_dynamic_stack: false
    .vgpr_count:     240
    .vgpr_spill_count: 0
    .wavefront_size: 64
  - .agpr_count:     40
    .args:
      - .actual_access:  read_only
        .address_space:  global
        .offset:         0
        .size:           8
        .value_kind:     global_buffer
      - .actual_access:  read_only
        .address_space:  global
        .offset:         8
        .size:           8
        .value_kind:     global_buffer
      - .actual_access:  read_only
        .address_space:  global
        .offset:         16
        .size:           8
        .value_kind:     global_buffer
      - .actual_access:  read_only
        .address_space:  global
        .offset:         24
        .size:           8
        .value_kind:     global_buffer
      - .actual_access:  read_only
        .address_space:  global
        .offset:         32
        .size:           8
        .value_kind:     global_buffer
      - .actual_access:  read_only
        .address_space:  global
        .offset:         40
        .size:           8
        .value_kind:     global_buffer
      - .actual_access:  write_only
        .address_space:  global
        .offset:         48
        .size:           8
        .value_kind:     global_buffer
      - .actual_access:  read_only
        .address_space:  global
        .offset:         56
        .size:           8
        .value_kind:     global_buffer
      - .actual_access:  write_only
        .address_space:  global
        .offset:         64
        .size:           8
        .value_kind:     global_buffer
      - .actual_access:  read_only
        .address_space:  global
        .offset:         72
        .size:           8
        .value_kind:     global_buffer
      - .actual_access:  read_only
        .address_space:  global
        .offset:         80
        .size:           8
        .value_kind:     global_buffer
      - .offset:         88
        .size:           4
        .value_kind:     by_value
      - .offset:         92
        .size:           4
        .value_kind:     by_value
      - .offset:         96
        .size:           4
        .value_kind:     by_value
      - .offset:         100
        .size:           4
        .value_kind:     by_value
      - .offset:         104
        .size:           4
        .value_kind:     by_value
      - .offset:         112
        .size:           8
        .value_kind:     by_value
      - .offset:         120
        .size:           8
        .value_kind:     by_value
      - .offset:         128
        .size:           8
        .value_kind:     by_value
    .group_segment_fixed_size: 65536
    .kernarg_segment_align: 8
    .kernarg_segment_size: 136
    .language:       OpenCL C
    .language_version:
      - 2
      - 0
    .max_flat_workgroup_size: 256
    .name:           _ZN12_GLOBAL__N_139chunk_gated_delta_rule_fwd_h_hip_kernelILi64ELb1ELb1ELb0ELb1ELb0ELb1ELb0ELb0EEEvPK12hip_bfloat16S3_S3_PKfS5_PKvPS1_S8_PvPKiSB_iiiiilll
    .private_segment_fixed_size: 0
    .sgpr_count:     73
    .sgpr_spill_count: 0
    .symbol:         _ZN12_GLOBAL__N_139chunk_gated_delta_rule_fwd_h_hip_kernelILi64ELb1ELb1ELb0ELb1ELb0ELb1ELb0ELb0EEEvPK12hip_bfloat16S3_S3_PKfS5_PKvPS1_S8_PvPKiSB_iiiiilll.kd
    .uniform_work_group_size: 1
    .uses_dynamic_stack: false
    .vgpr_count:     240
    .vgpr_spill_count: 0
    .wavefront_size: 64
  - .agpr_count:     40
    .args:
      - .actual_access:  read_only
        .address_space:  global
        .offset:         0
        .size:           8
        .value_kind:     global_buffer
      - .actual_access:  read_only
        .address_space:  global
        .offset:         8
        .size:           8
        .value_kind:     global_buffer
      - .actual_access:  read_only
        .address_space:  global
        .offset:         16
        .size:           8
        .value_kind:     global_buffer
      - .actual_access:  read_only
        .address_space:  global
        .offset:         24
        .size:           8
        .value_kind:     global_buffer
      - .actual_access:  read_only
        .address_space:  global
        .offset:         32
        .size:           8
        .value_kind:     global_buffer
      - .actual_access:  read_only
        .address_space:  global
        .offset:         40
        .size:           8
        .value_kind:     global_buffer
      - .actual_access:  write_only
        .address_space:  global
        .offset:         48
        .size:           8
        .value_kind:     global_buffer
      - .actual_access:  write_only
        .address_space:  global
        .offset:         56
        .size:           8
        .value_kind:     global_buffer
      - .actual_access:  read_only
        .address_space:  global
        .offset:         64
        .size:           8
        .value_kind:     global_buffer
      - .actual_access:  read_only
        .address_space:  global
        .offset:         72
        .size:           8
        .value_kind:     global_buffer
      - .actual_access:  read_only
        .address_space:  global
        .offset:         80
        .size:           8
        .value_kind:     global_buffer
      - .offset:         88
        .size:           4
        .value_kind:     by_value
      - .offset:         92
        .size:           4
        .value_kind:     by_value
      - .offset:         96
        .size:           4
        .value_kind:     by_value
      - .offset:         100
        .size:           4
        .value_kind:     by_value
      - .offset:         104
        .size:           4
        .value_kind:     by_value
      - .offset:         112
        .size:           8
        .value_kind:     by_value
      - .offset:         120
        .size:           8
        .value_kind:     by_value
      - .offset:         128
        .size:           8
        .value_kind:     by_value
    .group_segment_fixed_size: 65536
    .kernarg_segment_align: 8
    .kernarg_segment_size: 136
    .language:       OpenCL C
    .language_version:
      - 2
      - 0
    .max_flat_workgroup_size: 256
    .name:           _ZN12_GLOBAL__N_139chunk_gated_delta_rule_fwd_h_hip_kernelILi64ELb1ELb0ELb1ELb1ELb0ELb1ELb0ELb0EEEvPK12hip_bfloat16S3_S3_PKfS5_PKvPS1_S8_PvPKiSB_iiiiilll
    .private_segment_fixed_size: 0
    .sgpr_count:     71
    .sgpr_spill_count: 0
    .symbol:         _ZN12_GLOBAL__N_139chunk_gated_delta_rule_fwd_h_hip_kernelILi64ELb1ELb0ELb1ELb1ELb0ELb1ELb0ELb0EEEvPK12hip_bfloat16S3_S3_PKfS5_PKvPS1_S8_PvPKiSB_iiiiilll.kd
    .uniform_work_group_size: 1
    .uses_dynamic_stack: false
    .vgpr_count:     232
    .vgpr_spill_count: 0
    .wavefront_size: 64
  - .agpr_count:     40
    .args:
      - .actual_access:  read_only
        .address_space:  global
        .offset:         0
        .size:           8
        .value_kind:     global_buffer
      - .actual_access:  read_only
        .address_space:  global
        .offset:         8
        .size:           8
        .value_kind:     global_buffer
      - .actual_access:  read_only
        .address_space:  global
        .offset:         16
        .size:           8
        .value_kind:     global_buffer
      - .actual_access:  read_only
        .address_space:  global
        .offset:         24
        .size:           8
        .value_kind:     global_buffer
      - .actual_access:  read_only
        .address_space:  global
        .offset:         32
        .size:           8
        .value_kind:     global_buffer
      - .actual_access:  read_only
        .address_space:  global
        .offset:         40
        .size:           8
        .value_kind:     global_buffer
      - .actual_access:  write_only
        .address_space:  global
        .offset:         48
        .size:           8
        .value_kind:     global_buffer
      - .actual_access:  read_only
        .address_space:  global
        .offset:         56
        .size:           8
        .value_kind:     global_buffer
      - .actual_access:  read_only
        .address_space:  global
        .offset:         64
        .size:           8
        .value_kind:     global_buffer
      - .actual_access:  read_only
        .address_space:  global
        .offset:         72
        .size:           8
        .value_kind:     global_buffer
      - .actual_access:  read_only
        .address_space:  global
        .offset:         80
        .size:           8
        .value_kind:     global_buffer
      - .offset:         88
        .size:           4
        .value_kind:     by_value
      - .offset:         92
        .size:           4
        .value_kind:     by_value
      - .offset:         96
        .size:           4
        .value_kind:     by_value
      - .offset:         100
        .size:           4
        .value_kind:     by_value
      - .offset:         104
        .size:           4
        .value_kind:     by_value
      - .offset:         112
        .size:           8
        .value_kind:     by_value
      - .offset:         120
        .size:           8
        .value_kind:     by_value
      - .offset:         128
        .size:           8
        .value_kind:     by_value
    .group_segment_fixed_size: 65536
    .kernarg_segment_align: 8
    .kernarg_segment_size: 136
    .language:       OpenCL C
    .language_version:
      - 2
      - 0
    .max_flat_workgroup_size: 256
    .name:           _ZN12_GLOBAL__N_139chunk_gated_delta_rule_fwd_h_hip_kernelILi64ELb1ELb0ELb0ELb1ELb0ELb1ELb0ELb0EEEvPK12hip_bfloat16S3_S3_PKfS5_PKvPS1_S8_PvPKiSB_iiiiilll
    .private_segment_fixed_size: 0
    .sgpr_count:     69
    .sgpr_spill_count: 0
    .symbol:         _ZN12_GLOBAL__N_139chunk_gated_delta_rule_fwd_h_hip_kernelILi64ELb1ELb0ELb0ELb1ELb0ELb1ELb0ELb0EEEvPK12hip_bfloat16S3_S3_PKfS5_PKvPS1_S8_PvPKiSB_iiiiilll.kd
    .uniform_work_group_size: 1
    .uses_dynamic_stack: false
    .vgpr_count:     232
    .vgpr_spill_count: 0
    .wavefront_size: 64
  - .agpr_count:     40
    .args:
      - .actual_access:  read_only
        .address_space:  global
        .offset:         0
        .size:           8
        .value_kind:     global_buffer
      - .actual_access:  read_only
        .address_space:  global
        .offset:         8
        .size:           8
        .value_kind:     global_buffer
      - .actual_access:  read_only
        .address_space:  global
        .offset:         16
        .size:           8
        .value_kind:     global_buffer
      - .actual_access:  read_only
        .address_space:  global
        .offset:         24
        .size:           8
        .value_kind:     global_buffer
      - .actual_access:  read_only
        .address_space:  global
        .offset:         32
        .size:           8
        .value_kind:     global_buffer
      - .actual_access:  read_only
        .address_space:  global
        .offset:         40
        .size:           8
        .value_kind:     global_buffer
      - .actual_access:  write_only
        .address_space:  global
        .offset:         48
        .size:           8
        .value_kind:     global_buffer
      - .actual_access:  write_only
        .address_space:  global
        .offset:         56
        .size:           8
        .value_kind:     global_buffer
      - .actual_access:  write_only
        .address_space:  global
        .offset:         64
        .size:           8
        .value_kind:     global_buffer
      - .actual_access:  read_only
        .address_space:  global
        .offset:         72
        .size:           8
        .value_kind:     global_buffer
      - .actual_access:  read_only
        .address_space:  global
        .offset:         80
        .size:           8
        .value_kind:     global_buffer
      - .offset:         88
        .size:           4
        .value_kind:     by_value
      - .offset:         92
        .size:           4
        .value_kind:     by_value
      - .offset:         96
        .size:           4
        .value_kind:     by_value
      - .offset:         100
        .size:           4
        .value_kind:     by_value
      - .offset:         104
        .size:           4
        .value_kind:     by_value
      - .offset:         112
        .size:           8
        .value_kind:     by_value
      - .offset:         120
        .size:           8
        .value_kind:     by_value
      - .offset:         128
        .size:           8
        .value_kind:     by_value
    .group_segment_fixed_size: 65536
    .kernarg_segment_align: 8
    .kernarg_segment_size: 136
    .language:       OpenCL C
    .language_version:
      - 2
      - 0
    .max_flat_workgroup_size: 256
    .name:           _ZN12_GLOBAL__N_139chunk_gated_delta_rule_fwd_h_hip_kernelILi64ELb0ELb1ELb1ELb1ELb0ELb1ELb0ELb0EEEvPK12hip_bfloat16S3_S3_PKfS5_PKvPS1_S8_PvPKiSB_iiiiilll
    .private_segment_fixed_size: 0
    .sgpr_count:     75
    .sgpr_spill_count: 0
    .symbol:         _ZN12_GLOBAL__N_139chunk_gated_delta_rule_fwd_h_hip_kernelILi64ELb0ELb1ELb1ELb1ELb0ELb1ELb0ELb0EEEvPK12hip_bfloat16S3_S3_PKfS5_PKvPS1_S8_PvPKiSB_iiiiilll.kd
    .uniform_work_group_size: 1
    .uses_dynamic_stack: false
    .vgpr_count:     232
    .vgpr_spill_count: 0
    .wavefront_size: 64
  - .agpr_count:     40
    .args:
      - .actual_access:  read_only
        .address_space:  global
        .offset:         0
        .size:           8
        .value_kind:     global_buffer
      - .actual_access:  read_only
        .address_space:  global
        .offset:         8
        .size:           8
        .value_kind:     global_buffer
      - .actual_access:  read_only
        .address_space:  global
        .offset:         16
        .size:           8
        .value_kind:     global_buffer
      - .actual_access:  read_only
        .address_space:  global
        .offset:         24
        .size:           8
        .value_kind:     global_buffer
      - .actual_access:  read_only
        .address_space:  global
        .offset:         32
        .size:           8
        .value_kind:     global_buffer
      - .actual_access:  read_only
        .address_space:  global
        .offset:         40
        .size:           8
        .value_kind:     global_buffer
      - .actual_access:  write_only
        .address_space:  global
        .offset:         48
        .size:           8
        .value_kind:     global_buffer
      - .actual_access:  read_only
        .address_space:  global
        .offset:         56
        .size:           8
        .value_kind:     global_buffer
      - .actual_access:  write_only
        .address_space:  global
        .offset:         64
        .size:           8
        .value_kind:     global_buffer
      - .actual_access:  read_only
        .address_space:  global
        .offset:         72
        .size:           8
        .value_kind:     global_buffer
      - .actual_access:  read_only
        .address_space:  global
        .offset:         80
        .size:           8
        .value_kind:     global_buffer
      - .offset:         88
        .size:           4
        .value_kind:     by_value
      - .offset:         92
        .size:           4
        .value_kind:     by_value
      - .offset:         96
        .size:           4
        .value_kind:     by_value
      - .offset:         100
        .size:           4
        .value_kind:     by_value
      - .offset:         104
        .size:           4
        .value_kind:     by_value
      - .offset:         112
        .size:           8
        .value_kind:     by_value
      - .offset:         120
        .size:           8
        .value_kind:     by_value
      - .offset:         128
        .size:           8
        .value_kind:     by_value
    .group_segment_fixed_size: 65536
    .kernarg_segment_align: 8
    .kernarg_segment_size: 136
    .language:       OpenCL C
    .language_version:
      - 2
      - 0
    .max_flat_workgroup_size: 256
    .name:           _ZN12_GLOBAL__N_139chunk_gated_delta_rule_fwd_h_hip_kernelILi64ELb0ELb1ELb0ELb1ELb0ELb1ELb0ELb0EEEvPK12hip_bfloat16S3_S3_PKfS5_PKvPS1_S8_PvPKiSB_iiiiilll
    .private_segment_fixed_size: 0
    .sgpr_count:     73
    .sgpr_spill_count: 0
    .symbol:         _ZN12_GLOBAL__N_139chunk_gated_delta_rule_fwd_h_hip_kernelILi64ELb0ELb1ELb0ELb1ELb0ELb1ELb0ELb0EEEvPK12hip_bfloat16S3_S3_PKfS5_PKvPS1_S8_PvPKiSB_iiiiilll.kd
    .uniform_work_group_size: 1
    .uses_dynamic_stack: false
    .vgpr_count:     232
    .vgpr_spill_count: 0
    .wavefront_size: 64
  - .agpr_count:     40
    .args:
      - .actual_access:  read_only
        .address_space:  global
        .offset:         0
        .size:           8
        .value_kind:     global_buffer
      - .actual_access:  read_only
        .address_space:  global
        .offset:         8
        .size:           8
        .value_kind:     global_buffer
      - .actual_access:  read_only
        .address_space:  global
        .offset:         16
        .size:           8
        .value_kind:     global_buffer
      - .actual_access:  read_only
        .address_space:  global
        .offset:         24
        .size:           8
        .value_kind:     global_buffer
      - .actual_access:  read_only
        .address_space:  global
        .offset:         32
        .size:           8
        .value_kind:     global_buffer
      - .actual_access:  read_only
        .address_space:  global
        .offset:         40
        .size:           8
        .value_kind:     global_buffer
      - .actual_access:  write_only
        .address_space:  global
        .offset:         48
        .size:           8
        .value_kind:     global_buffer
      - .actual_access:  write_only
        .address_space:  global
        .offset:         56
        .size:           8
        .value_kind:     global_buffer
      - .actual_access:  read_only
        .address_space:  global
        .offset:         64
        .size:           8
        .value_kind:     global_buffer
      - .actual_access:  read_only
        .address_space:  global
        .offset:         72
        .size:           8
        .value_kind:     global_buffer
      - .actual_access:  read_only
        .address_space:  global
        .offset:         80
        .size:           8
        .value_kind:     global_buffer
      - .offset:         88
        .size:           4
        .value_kind:     by_value
      - .offset:         92
        .size:           4
        .value_kind:     by_value
      - .offset:         96
        .size:           4
        .value_kind:     by_value
      - .offset:         100
        .size:           4
        .value_kind:     by_value
      - .offset:         104
        .size:           4
        .value_kind:     by_value
      - .offset:         112
        .size:           8
        .value_kind:     by_value
      - .offset:         120
        .size:           8
        .value_kind:     by_value
      - .offset:         128
        .size:           8
        .value_kind:     by_value
    .group_segment_fixed_size: 65536
    .kernarg_segment_align: 8
    .kernarg_segment_size: 136
    .language:       OpenCL C
    .language_version:
      - 2
      - 0
    .max_flat_workgroup_size: 256
    .name:           _ZN12_GLOBAL__N_139chunk_gated_delta_rule_fwd_h_hip_kernelILi64ELb0ELb0ELb1ELb1ELb0ELb1ELb0ELb0EEEvPK12hip_bfloat16S3_S3_PKfS5_PKvPS1_S8_PvPKiSB_iiiiilll
    .private_segment_fixed_size: 0
    .sgpr_count:     70
    .sgpr_spill_count: 0
    .symbol:         _ZN12_GLOBAL__N_139chunk_gated_delta_rule_fwd_h_hip_kernelILi64ELb0ELb0ELb1ELb1ELb0ELb1ELb0ELb0EEEvPK12hip_bfloat16S3_S3_PKfS5_PKvPS1_S8_PvPKiSB_iiiiilll.kd
    .uniform_work_group_size: 1
    .uses_dynamic_stack: false
    .vgpr_count:     232
    .vgpr_spill_count: 0
    .wavefront_size: 64
  - .agpr_count:     40
    .args:
      - .actual_access:  read_only
        .address_space:  global
        .offset:         0
        .size:           8
        .value_kind:     global_buffer
      - .actual_access:  read_only
        .address_space:  global
        .offset:         8
        .size:           8
        .value_kind:     global_buffer
      - .actual_access:  read_only
        .address_space:  global
        .offset:         16
        .size:           8
        .value_kind:     global_buffer
      - .actual_access:  read_only
        .address_space:  global
        .offset:         24
        .size:           8
        .value_kind:     global_buffer
      - .actual_access:  read_only
        .address_space:  global
        .offset:         32
        .size:           8
        .value_kind:     global_buffer
      - .actual_access:  read_only
        .address_space:  global
        .offset:         40
        .size:           8
        .value_kind:     global_buffer
      - .actual_access:  write_only
        .address_space:  global
        .offset:         48
        .size:           8
        .value_kind:     global_buffer
      - .actual_access:  read_only
        .address_space:  global
        .offset:         56
        .size:           8
        .value_kind:     global_buffer
      - .actual_access:  read_only
        .address_space:  global
        .offset:         64
        .size:           8
        .value_kind:     global_buffer
      - .actual_access:  read_only
        .address_space:  global
        .offset:         72
        .size:           8
        .value_kind:     global_buffer
      - .actual_access:  read_only
        .address_space:  global
        .offset:         80
        .size:           8
        .value_kind:     global_buffer
      - .offset:         88
        .size:           4
        .value_kind:     by_value
      - .offset:         92
        .size:           4
        .value_kind:     by_value
      - .offset:         96
        .size:           4
        .value_kind:     by_value
      - .offset:         100
        .size:           4
        .value_kind:     by_value
      - .offset:         104
        .size:           4
        .value_kind:     by_value
      - .offset:         112
        .size:           8
        .value_kind:     by_value
      - .offset:         120
        .size:           8
        .value_kind:     by_value
      - .offset:         128
        .size:           8
        .value_kind:     by_value
    .group_segment_fixed_size: 65536
    .kernarg_segment_align: 8
    .kernarg_segment_size: 136
    .language:       OpenCL C
    .language_version:
      - 2
      - 0
    .max_flat_workgroup_size: 256
    .name:           _ZN12_GLOBAL__N_139chunk_gated_delta_rule_fwd_h_hip_kernelILi64ELb0ELb0ELb0ELb1ELb0ELb1ELb0ELb0EEEvPK12hip_bfloat16S3_S3_PKfS5_PKvPS1_S8_PvPKiSB_iiiiilll
    .private_segment_fixed_size: 0
    .sgpr_count:     68
    .sgpr_spill_count: 0
    .symbol:         _ZN12_GLOBAL__N_139chunk_gated_delta_rule_fwd_h_hip_kernelILi64ELb0ELb0ELb0ELb1ELb0ELb1ELb0ELb0EEEvPK12hip_bfloat16S3_S3_PKfS5_PKvPS1_S8_PvPKiSB_iiiiilll.kd
    .uniform_work_group_size: 1
    .uses_dynamic_stack: false
    .vgpr_count:     232
    .vgpr_spill_count: 0
    .wavefront_size: 64
  - .agpr_count:     40
    .args:
      - .actual_access:  read_only
        .address_space:  global
        .offset:         0
        .size:           8
        .value_kind:     global_buffer
      - .actual_access:  read_only
        .address_space:  global
        .offset:         8
        .size:           8
        .value_kind:     global_buffer
      - .actual_access:  read_only
        .address_space:  global
        .offset:         16
        .size:           8
        .value_kind:     global_buffer
      - .actual_access:  read_only
        .address_space:  global
        .offset:         24
        .size:           8
        .value_kind:     global_buffer
      - .actual_access:  read_only
        .address_space:  global
        .offset:         32
        .size:           8
        .value_kind:     global_buffer
      - .actual_access:  read_only
        .address_space:  global
        .offset:         40
        .size:           8
        .value_kind:     global_buffer
      - .actual_access:  write_only
        .address_space:  global
        .offset:         48
        .size:           8
        .value_kind:     global_buffer
      - .actual_access:  write_only
        .address_space:  global
        .offset:         56
        .size:           8
        .value_kind:     global_buffer
      - .actual_access:  write_only
        .address_space:  global
        .offset:         64
        .size:           8
        .value_kind:     global_buffer
      - .actual_access:  read_only
        .address_space:  global
        .offset:         72
        .size:           8
        .value_kind:     global_buffer
      - .actual_access:  read_only
        .address_space:  global
        .offset:         80
        .size:           8
        .value_kind:     global_buffer
      - .offset:         88
        .size:           4
        .value_kind:     by_value
      - .offset:         92
        .size:           4
        .value_kind:     by_value
      - .offset:         96
        .size:           4
        .value_kind:     by_value
      - .offset:         100
        .size:           4
        .value_kind:     by_value
      - .offset:         104
        .size:           4
        .value_kind:     by_value
      - .offset:         112
        .size:           8
        .value_kind:     by_value
      - .offset:         120
        .size:           8
        .value_kind:     by_value
      - .offset:         128
        .size:           8
        .value_kind:     by_value
    .group_segment_fixed_size: 65536
    .kernarg_segment_align: 8
    .kernarg_segment_size: 136
    .language:       OpenCL C
    .language_version:
      - 2
      - 0
    .max_flat_workgroup_size: 256
    .name:           _ZN12_GLOBAL__N_139chunk_gated_delta_rule_fwd_h_hip_kernelILi64ELb1ELb1ELb1ELb0ELb0ELb1ELb0ELb0EEEvPK12hip_bfloat16S3_S3_PKfS5_PKvPS1_S8_PvPKiSB_iiiiilll
    .private_segment_fixed_size: 0
    .sgpr_count:     81
    .sgpr_spill_count: 0
    .symbol:         _ZN12_GLOBAL__N_139chunk_gated_delta_rule_fwd_h_hip_kernelILi64ELb1ELb1ELb1ELb0ELb0ELb1ELb0ELb0EEEvPK12hip_bfloat16S3_S3_PKfS5_PKvPS1_S8_PvPKiSB_iiiiilll.kd
    .uniform_work_group_size: 1
    .uses_dynamic_stack: false
    .vgpr_count:     240
    .vgpr_spill_count: 0
    .wavefront_size: 64
  - .agpr_count:     40
    .args:
      - .actual_access:  read_only
        .address_space:  global
        .offset:         0
        .size:           8
        .value_kind:     global_buffer
      - .actual_access:  read_only
        .address_space:  global
        .offset:         8
        .size:           8
        .value_kind:     global_buffer
      - .actual_access:  read_only
        .address_space:  global
        .offset:         16
        .size:           8
        .value_kind:     global_buffer
      - .actual_access:  read_only
        .address_space:  global
        .offset:         24
        .size:           8
        .value_kind:     global_buffer
      - .actual_access:  read_only
        .address_space:  global
        .offset:         32
        .size:           8
        .value_kind:     global_buffer
      - .actual_access:  read_only
        .address_space:  global
        .offset:         40
        .size:           8
        .value_kind:     global_buffer
      - .actual_access:  write_only
        .address_space:  global
        .offset:         48
        .size:           8
        .value_kind:     global_buffer
      - .actual_access:  read_only
        .address_space:  global
        .offset:         56
        .size:           8
        .value_kind:     global_buffer
      - .actual_access:  write_only
        .address_space:  global
        .offset:         64
        .size:           8
        .value_kind:     global_buffer
      - .actual_access:  read_only
        .address_space:  global
        .offset:         72
        .size:           8
        .value_kind:     global_buffer
      - .actual_access:  read_only
        .address_space:  global
        .offset:         80
        .size:           8
        .value_kind:     global_buffer
      - .offset:         88
        .size:           4
        .value_kind:     by_value
      - .offset:         92
        .size:           4
        .value_kind:     by_value
      - .offset:         96
        .size:           4
        .value_kind:     by_value
      - .offset:         100
        .size:           4
        .value_kind:     by_value
      - .offset:         104
        .size:           4
        .value_kind:     by_value
      - .offset:         112
        .size:           8
        .value_kind:     by_value
      - .offset:         120
        .size:           8
        .value_kind:     by_value
      - .offset:         128
        .size:           8
        .value_kind:     by_value
    .group_segment_fixed_size: 65536
    .kernarg_segment_align: 8
    .kernarg_segment_size: 136
    .language:       OpenCL C
    .language_version:
      - 2
      - 0
    .max_flat_workgroup_size: 256
    .name:           _ZN12_GLOBAL__N_139chunk_gated_delta_rule_fwd_h_hip_kernelILi64ELb1ELb1ELb0ELb0ELb0ELb1ELb0ELb0EEEvPK12hip_bfloat16S3_S3_PKfS5_PKvPS1_S8_PvPKiSB_iiiiilll
    .private_segment_fixed_size: 0
    .sgpr_count:     79
    .sgpr_spill_count: 0
    .symbol:         _ZN12_GLOBAL__N_139chunk_gated_delta_rule_fwd_h_hip_kernelILi64ELb1ELb1ELb0ELb0ELb0ELb1ELb0ELb0EEEvPK12hip_bfloat16S3_S3_PKfS5_PKvPS1_S8_PvPKiSB_iiiiilll.kd
    .uniform_work_group_size: 1
    .uses_dynamic_stack: false
    .vgpr_count:     240
    .vgpr_spill_count: 0
    .wavefront_size: 64
  - .agpr_count:     40
    .args:
      - .actual_access:  read_only
        .address_space:  global
        .offset:         0
        .size:           8
        .value_kind:     global_buffer
      - .actual_access:  read_only
        .address_space:  global
        .offset:         8
        .size:           8
        .value_kind:     global_buffer
      - .actual_access:  read_only
        .address_space:  global
        .offset:         16
        .size:           8
        .value_kind:     global_buffer
      - .actual_access:  read_only
        .address_space:  global
        .offset:         24
        .size:           8
        .value_kind:     global_buffer
      - .actual_access:  read_only
        .address_space:  global
        .offset:         32
        .size:           8
        .value_kind:     global_buffer
      - .actual_access:  read_only
        .address_space:  global
        .offset:         40
        .size:           8
        .value_kind:     global_buffer
      - .actual_access:  write_only
        .address_space:  global
        .offset:         48
        .size:           8
        .value_kind:     global_buffer
      - .actual_access:  write_only
        .address_space:  global
        .offset:         56
        .size:           8
        .value_kind:     global_buffer
      - .actual_access:  read_only
        .address_space:  global
        .offset:         64
        .size:           8
        .value_kind:     global_buffer
      - .actual_access:  read_only
        .address_space:  global
        .offset:         72
        .size:           8
        .value_kind:     global_buffer
      - .actual_access:  read_only
        .address_space:  global
        .offset:         80
        .size:           8
        .value_kind:     global_buffer
      - .offset:         88
        .size:           4
        .value_kind:     by_value
      - .offset:         92
        .size:           4
        .value_kind:     by_value
      - .offset:         96
        .size:           4
        .value_kind:     by_value
      - .offset:         100
        .size:           4
        .value_kind:     by_value
      - .offset:         104
        .size:           4
        .value_kind:     by_value
      - .offset:         112
        .size:           8
        .value_kind:     by_value
      - .offset:         120
        .size:           8
        .value_kind:     by_value
      - .offset:         128
        .size:           8
        .value_kind:     by_value
    .group_segment_fixed_size: 65536
    .kernarg_segment_align: 8
    .kernarg_segment_size: 136
    .language:       OpenCL C
    .language_version:
      - 2
      - 0
    .max_flat_workgroup_size: 256
    .name:           _ZN12_GLOBAL__N_139chunk_gated_delta_rule_fwd_h_hip_kernelILi64ELb1ELb0ELb1ELb0ELb0ELb1ELb0ELb0EEEvPK12hip_bfloat16S3_S3_PKfS5_PKvPS1_S8_PvPKiSB_iiiiilll
    .private_segment_fixed_size: 0
    .sgpr_count:     77
    .sgpr_spill_count: 0
    .symbol:         _ZN12_GLOBAL__N_139chunk_gated_delta_rule_fwd_h_hip_kernelILi64ELb1ELb0ELb1ELb0ELb0ELb1ELb0ELb0EEEvPK12hip_bfloat16S3_S3_PKfS5_PKvPS1_S8_PvPKiSB_iiiiilll.kd
    .uniform_work_group_size: 1
    .uses_dynamic_stack: false
    .vgpr_count:     232
    .vgpr_spill_count: 0
    .wavefront_size: 64
  - .agpr_count:     40
    .args:
      - .actual_access:  read_only
        .address_space:  global
        .offset:         0
        .size:           8
        .value_kind:     global_buffer
      - .actual_access:  read_only
        .address_space:  global
        .offset:         8
        .size:           8
        .value_kind:     global_buffer
      - .actual_access:  read_only
        .address_space:  global
        .offset:         16
        .size:           8
        .value_kind:     global_buffer
      - .actual_access:  read_only
        .address_space:  global
        .offset:         24
        .size:           8
        .value_kind:     global_buffer
      - .actual_access:  read_only
        .address_space:  global
        .offset:         32
        .size:           8
        .value_kind:     global_buffer
      - .actual_access:  read_only
        .address_space:  global
        .offset:         40
        .size:           8
        .value_kind:     global_buffer
      - .actual_access:  write_only
        .address_space:  global
        .offset:         48
        .size:           8
        .value_kind:     global_buffer
      - .actual_access:  read_only
        .address_space:  global
        .offset:         56
        .size:           8
        .value_kind:     global_buffer
      - .actual_access:  read_only
        .address_space:  global
        .offset:         64
        .size:           8
        .value_kind:     global_buffer
      - .actual_access:  read_only
        .address_space:  global
        .offset:         72
        .size:           8
        .value_kind:     global_buffer
      - .actual_access:  read_only
        .address_space:  global
        .offset:         80
        .size:           8
        .value_kind:     global_buffer
      - .offset:         88
        .size:           4
        .value_kind:     by_value
      - .offset:         92
        .size:           4
        .value_kind:     by_value
      - .offset:         96
        .size:           4
        .value_kind:     by_value
      - .offset:         100
        .size:           4
        .value_kind:     by_value
      - .offset:         104
        .size:           4
        .value_kind:     by_value
      - .offset:         112
        .size:           8
        .value_kind:     by_value
      - .offset:         120
        .size:           8
        .value_kind:     by_value
      - .offset:         128
        .size:           8
        .value_kind:     by_value
    .group_segment_fixed_size: 65536
    .kernarg_segment_align: 8
    .kernarg_segment_size: 136
    .language:       OpenCL C
    .language_version:
      - 2
      - 0
    .max_flat_workgroup_size: 256
    .name:           _ZN12_GLOBAL__N_139chunk_gated_delta_rule_fwd_h_hip_kernelILi64ELb1ELb0ELb0ELb0ELb0ELb1ELb0ELb0EEEvPK12hip_bfloat16S3_S3_PKfS5_PKvPS1_S8_PvPKiSB_iiiiilll
    .private_segment_fixed_size: 0
    .sgpr_count:     75
    .sgpr_spill_count: 0
    .symbol:         _ZN12_GLOBAL__N_139chunk_gated_delta_rule_fwd_h_hip_kernelILi64ELb1ELb0ELb0ELb0ELb0ELb1ELb0ELb0EEEvPK12hip_bfloat16S3_S3_PKfS5_PKvPS1_S8_PvPKiSB_iiiiilll.kd
    .uniform_work_group_size: 1
    .uses_dynamic_stack: false
    .vgpr_count:     232
    .vgpr_spill_count: 0
    .wavefront_size: 64
  - .agpr_count:     40
    .args:
      - .actual_access:  read_only
        .address_space:  global
        .offset:         0
        .size:           8
        .value_kind:     global_buffer
      - .actual_access:  read_only
        .address_space:  global
        .offset:         8
        .size:           8
        .value_kind:     global_buffer
      - .actual_access:  read_only
        .address_space:  global
        .offset:         16
        .size:           8
        .value_kind:     global_buffer
      - .actual_access:  read_only
        .address_space:  global
        .offset:         24
        .size:           8
        .value_kind:     global_buffer
      - .actual_access:  read_only
        .address_space:  global
        .offset:         32
        .size:           8
        .value_kind:     global_buffer
      - .actual_access:  read_only
        .address_space:  global
        .offset:         40
        .size:           8
        .value_kind:     global_buffer
      - .actual_access:  write_only
        .address_space:  global
        .offset:         48
        .size:           8
        .value_kind:     global_buffer
      - .actual_access:  write_only
        .address_space:  global
        .offset:         56
        .size:           8
        .value_kind:     global_buffer
      - .actual_access:  write_only
        .address_space:  global
        .offset:         64
        .size:           8
        .value_kind:     global_buffer
      - .actual_access:  read_only
        .address_space:  global
        .offset:         72
        .size:           8
        .value_kind:     global_buffer
      - .actual_access:  read_only
        .address_space:  global
        .offset:         80
        .size:           8
        .value_kind:     global_buffer
      - .offset:         88
        .size:           4
        .value_kind:     by_value
      - .offset:         92
        .size:           4
        .value_kind:     by_value
      - .offset:         96
        .size:           4
        .value_kind:     by_value
      - .offset:         100
        .size:           4
        .value_kind:     by_value
      - .offset:         104
        .size:           4
        .value_kind:     by_value
      - .offset:         112
        .size:           8
        .value_kind:     by_value
      - .offset:         120
        .size:           8
        .value_kind:     by_value
      - .offset:         128
        .size:           8
        .value_kind:     by_value
    .group_segment_fixed_size: 65536
    .kernarg_segment_align: 8
    .kernarg_segment_size: 136
    .language:       OpenCL C
    .language_version:
      - 2
      - 0
    .max_flat_workgroup_size: 256
    .name:           _ZN12_GLOBAL__N_139chunk_gated_delta_rule_fwd_h_hip_kernelILi64ELb0ELb1ELb1ELb0ELb0ELb1ELb0ELb0EEEvPK12hip_bfloat16S3_S3_PKfS5_PKvPS1_S8_PvPKiSB_iiiiilll
    .private_segment_fixed_size: 0
    .sgpr_count:     76
    .sgpr_spill_count: 0
    .symbol:         _ZN12_GLOBAL__N_139chunk_gated_delta_rule_fwd_h_hip_kernelILi64ELb0ELb1ELb1ELb0ELb0ELb1ELb0ELb0EEEvPK12hip_bfloat16S3_S3_PKfS5_PKvPS1_S8_PvPKiSB_iiiiilll.kd
    .uniform_work_group_size: 1
    .uses_dynamic_stack: false
    .vgpr_count:     232
    .vgpr_spill_count: 0
    .wavefront_size: 64
  - .agpr_count:     40
    .args:
      - .actual_access:  read_only
        .address_space:  global
        .offset:         0
        .size:           8
        .value_kind:     global_buffer
      - .actual_access:  read_only
        .address_space:  global
        .offset:         8
        .size:           8
        .value_kind:     global_buffer
      - .actual_access:  read_only
        .address_space:  global
        .offset:         16
        .size:           8
        .value_kind:     global_buffer
      - .actual_access:  read_only
        .address_space:  global
        .offset:         24
        .size:           8
        .value_kind:     global_buffer
      - .actual_access:  read_only
        .address_space:  global
        .offset:         32
        .size:           8
        .value_kind:     global_buffer
      - .actual_access:  read_only
        .address_space:  global
        .offset:         40
        .size:           8
        .value_kind:     global_buffer
      - .actual_access:  write_only
        .address_space:  global
        .offset:         48
        .size:           8
        .value_kind:     global_buffer
      - .actual_access:  read_only
        .address_space:  global
        .offset:         56
        .size:           8
        .value_kind:     global_buffer
      - .actual_access:  write_only
        .address_space:  global
        .offset:         64
        .size:           8
        .value_kind:     global_buffer
      - .actual_access:  read_only
        .address_space:  global
        .offset:         72
        .size:           8
        .value_kind:     global_buffer
      - .actual_access:  read_only
        .address_space:  global
        .offset:         80
        .size:           8
        .value_kind:     global_buffer
      - .offset:         88
        .size:           4
        .value_kind:     by_value
      - .offset:         92
        .size:           4
        .value_kind:     by_value
      - .offset:         96
        .size:           4
        .value_kind:     by_value
      - .offset:         100
        .size:           4
        .value_kind:     by_value
      - .offset:         104
        .size:           4
        .value_kind:     by_value
      - .offset:         112
        .size:           8
        .value_kind:     by_value
      - .offset:         120
        .size:           8
        .value_kind:     by_value
      - .offset:         128
        .size:           8
        .value_kind:     by_value
    .group_segment_fixed_size: 65536
    .kernarg_segment_align: 8
    .kernarg_segment_size: 136
    .language:       OpenCL C
    .language_version:
      - 2
      - 0
    .max_flat_workgroup_size: 256
    .name:           _ZN12_GLOBAL__N_139chunk_gated_delta_rule_fwd_h_hip_kernelILi64ELb0ELb1ELb0ELb0ELb0ELb1ELb0ELb0EEEvPK12hip_bfloat16S3_S3_PKfS5_PKvPS1_S8_PvPKiSB_iiiiilll
    .private_segment_fixed_size: 0
    .sgpr_count:     74
    .sgpr_spill_count: 0
    .symbol:         _ZN12_GLOBAL__N_139chunk_gated_delta_rule_fwd_h_hip_kernelILi64ELb0ELb1ELb0ELb0ELb0ELb1ELb0ELb0EEEvPK12hip_bfloat16S3_S3_PKfS5_PKvPS1_S8_PvPKiSB_iiiiilll.kd
    .uniform_work_group_size: 1
    .uses_dynamic_stack: false
    .vgpr_count:     232
    .vgpr_spill_count: 0
    .wavefront_size: 64
  - .agpr_count:     40
    .args:
      - .actual_access:  read_only
        .address_space:  global
        .offset:         0
        .size:           8
        .value_kind:     global_buffer
      - .actual_access:  read_only
        .address_space:  global
        .offset:         8
        .size:           8
        .value_kind:     global_buffer
      - .actual_access:  read_only
        .address_space:  global
        .offset:         16
        .size:           8
        .value_kind:     global_buffer
      - .actual_access:  read_only
        .address_space:  global
        .offset:         24
        .size:           8
        .value_kind:     global_buffer
      - .actual_access:  read_only
        .address_space:  global
        .offset:         32
        .size:           8
        .value_kind:     global_buffer
      - .actual_access:  read_only
        .address_space:  global
        .offset:         40
        .size:           8
        .value_kind:     global_buffer
      - .actual_access:  write_only
        .address_space:  global
        .offset:         48
        .size:           8
        .value_kind:     global_buffer
      - .actual_access:  write_only
        .address_space:  global
        .offset:         56
        .size:           8
        .value_kind:     global_buffer
      - .actual_access:  read_only
        .address_space:  global
        .offset:         64
        .size:           8
        .value_kind:     global_buffer
      - .actual_access:  read_only
        .address_space:  global
        .offset:         72
        .size:           8
        .value_kind:     global_buffer
      - .actual_access:  read_only
        .address_space:  global
        .offset:         80
        .size:           8
        .value_kind:     global_buffer
      - .offset:         88
        .size:           4
        .value_kind:     by_value
      - .offset:         92
        .size:           4
        .value_kind:     by_value
      - .offset:         96
        .size:           4
        .value_kind:     by_value
      - .offset:         100
        .size:           4
        .value_kind:     by_value
      - .offset:         104
        .size:           4
        .value_kind:     by_value
      - .offset:         112
        .size:           8
        .value_kind:     by_value
      - .offset:         120
        .size:           8
        .value_kind:     by_value
      - .offset:         128
        .size:           8
        .value_kind:     by_value
    .group_segment_fixed_size: 65536
    .kernarg_segment_align: 8
    .kernarg_segment_size: 136
    .language:       OpenCL C
    .language_version:
      - 2
      - 0
    .max_flat_workgroup_size: 256
    .name:           _ZN12_GLOBAL__N_139chunk_gated_delta_rule_fwd_h_hip_kernelILi64ELb0ELb0ELb1ELb0ELb0ELb1ELb0ELb0EEEvPK12hip_bfloat16S3_S3_PKfS5_PKvPS1_S8_PvPKiSB_iiiiilll
    .private_segment_fixed_size: 0
    .sgpr_count:     74
    .sgpr_spill_count: 0
    .symbol:         _ZN12_GLOBAL__N_139chunk_gated_delta_rule_fwd_h_hip_kernelILi64ELb0ELb0ELb1ELb0ELb0ELb1ELb0ELb0EEEvPK12hip_bfloat16S3_S3_PKfS5_PKvPS1_S8_PvPKiSB_iiiiilll.kd
    .uniform_work_group_size: 1
    .uses_dynamic_stack: false
    .vgpr_count:     232
    .vgpr_spill_count: 0
    .wavefront_size: 64
  - .agpr_count:     40
    .args:
      - .actual_access:  read_only
        .address_space:  global
        .offset:         0
        .size:           8
        .value_kind:     global_buffer
      - .actual_access:  read_only
        .address_space:  global
        .offset:         8
        .size:           8
        .value_kind:     global_buffer
      - .actual_access:  read_only
        .address_space:  global
        .offset:         16
        .size:           8
        .value_kind:     global_buffer
      - .actual_access:  read_only
        .address_space:  global
        .offset:         24
        .size:           8
        .value_kind:     global_buffer
      - .actual_access:  read_only
        .address_space:  global
        .offset:         32
        .size:           8
        .value_kind:     global_buffer
      - .actual_access:  read_only
        .address_space:  global
        .offset:         40
        .size:           8
        .value_kind:     global_buffer
      - .actual_access:  write_only
        .address_space:  global
        .offset:         48
        .size:           8
        .value_kind:     global_buffer
      - .actual_access:  read_only
        .address_space:  global
        .offset:         56
        .size:           8
        .value_kind:     global_buffer
      - .actual_access:  read_only
        .address_space:  global
        .offset:         64
        .size:           8
        .value_kind:     global_buffer
      - .actual_access:  read_only
        .address_space:  global
        .offset:         72
        .size:           8
        .value_kind:     global_buffer
      - .actual_access:  read_only
        .address_space:  global
        .offset:         80
        .size:           8
        .value_kind:     global_buffer
      - .offset:         88
        .size:           4
        .value_kind:     by_value
      - .offset:         92
        .size:           4
        .value_kind:     by_value
      - .offset:         96
        .size:           4
        .value_kind:     by_value
      - .offset:         100
        .size:           4
        .value_kind:     by_value
      - .offset:         104
        .size:           4
        .value_kind:     by_value
      - .offset:         112
        .size:           8
        .value_kind:     by_value
      - .offset:         120
        .size:           8
        .value_kind:     by_value
      - .offset:         128
        .size:           8
        .value_kind:     by_value
    .group_segment_fixed_size: 65536
    .kernarg_segment_align: 8
    .kernarg_segment_size: 136
    .language:       OpenCL C
    .language_version:
      - 2
      - 0
    .max_flat_workgroup_size: 256
    .name:           _ZN12_GLOBAL__N_139chunk_gated_delta_rule_fwd_h_hip_kernelILi64ELb0ELb0ELb0ELb0ELb0ELb1ELb0ELb0EEEvPK12hip_bfloat16S3_S3_PKfS5_PKvPS1_S8_PvPKiSB_iiiiilll
    .private_segment_fixed_size: 0
    .sgpr_count:     72
    .sgpr_spill_count: 0
    .symbol:         _ZN12_GLOBAL__N_139chunk_gated_delta_rule_fwd_h_hip_kernelILi64ELb0ELb0ELb0ELb0ELb0ELb1ELb0ELb0EEEvPK12hip_bfloat16S3_S3_PKfS5_PKvPS1_S8_PvPKiSB_iiiiilll.kd
    .uniform_work_group_size: 1
    .uses_dynamic_stack: false
    .vgpr_count:     232
    .vgpr_spill_count: 0
    .wavefront_size: 64
  - .agpr_count:     36
    .args:
      - .actual_access:  read_only
        .address_space:  global
        .offset:         0
        .size:           8
        .value_kind:     global_buffer
      - .actual_access:  read_only
        .address_space:  global
        .offset:         8
        .size:           8
        .value_kind:     global_buffer
      - .actual_access:  read_only
        .address_space:  global
        .offset:         16
        .size:           8
        .value_kind:     global_buffer
      - .actual_access:  read_only
        .address_space:  global
        .offset:         24
        .size:           8
        .value_kind:     global_buffer
      - .actual_access:  read_only
        .address_space:  global
        .offset:         32
        .size:           8
        .value_kind:     global_buffer
      - .actual_access:  read_only
        .address_space:  global
        .offset:         40
        .size:           8
        .value_kind:     global_buffer
      - .actual_access:  write_only
        .address_space:  global
        .offset:         48
        .size:           8
        .value_kind:     global_buffer
      - .actual_access:  write_only
        .address_space:  global
        .offset:         56
        .size:           8
        .value_kind:     global_buffer
      - .actual_access:  write_only
        .address_space:  global
        .offset:         64
        .size:           8
        .value_kind:     global_buffer
      - .actual_access:  read_only
        .address_space:  global
        .offset:         72
        .size:           8
        .value_kind:     global_buffer
      - .actual_access:  read_only
        .address_space:  global
        .offset:         80
        .size:           8
        .value_kind:     global_buffer
      - .offset:         88
        .size:           4
        .value_kind:     by_value
      - .offset:         92
        .size:           4
        .value_kind:     by_value
      - .offset:         96
        .size:           4
        .value_kind:     by_value
      - .offset:         100
        .size:           4
        .value_kind:     by_value
      - .offset:         104
        .size:           4
        .value_kind:     by_value
      - .offset:         112
        .size:           8
        .value_kind:     by_value
      - .offset:         120
        .size:           8
        .value_kind:     by_value
      - .offset:         128
        .size:           8
        .value_kind:     by_value
    .group_segment_fixed_size: 65536
    .kernarg_segment_align: 8
    .kernarg_segment_size: 136
    .language:       OpenCL C
    .language_version:
      - 2
      - 0
    .max_flat_workgroup_size: 256
    .name:           _ZN12_GLOBAL__N_139chunk_gated_delta_rule_fwd_h_hip_kernelILi64ELb1ELb1ELb1ELb1ELb0ELb0ELb1ELb0EEEvPK12hip_bfloat16S3_S3_PKfS5_PKvPS1_S8_PvPKiSB_iiiiilll
    .private_segment_fixed_size: 0
    .sgpr_count:     73
    .sgpr_spill_count: 0
    .symbol:         _ZN12_GLOBAL__N_139chunk_gated_delta_rule_fwd_h_hip_kernelILi64ELb1ELb1ELb1ELb1ELb0ELb0ELb1ELb0EEEvPK12hip_bfloat16S3_S3_PKfS5_PKvPS1_S8_PvPKiSB_iiiiilll.kd
    .uniform_work_group_size: 1
    .uses_dynamic_stack: false
    .vgpr_count:     228
    .vgpr_spill_count: 0
    .wavefront_size: 64
  - .agpr_count:     36
    .args:
      - .actual_access:  read_only
        .address_space:  global
        .offset:         0
        .size:           8
        .value_kind:     global_buffer
      - .actual_access:  read_only
        .address_space:  global
        .offset:         8
        .size:           8
        .value_kind:     global_buffer
      - .actual_access:  read_only
        .address_space:  global
        .offset:         16
        .size:           8
        .value_kind:     global_buffer
      - .actual_access:  read_only
        .address_space:  global
        .offset:         24
        .size:           8
        .value_kind:     global_buffer
      - .actual_access:  read_only
        .address_space:  global
        .offset:         32
        .size:           8
        .value_kind:     global_buffer
      - .actual_access:  read_only
        .address_space:  global
        .offset:         40
        .size:           8
        .value_kind:     global_buffer
      - .actual_access:  write_only
        .address_space:  global
        .offset:         48
        .size:           8
        .value_kind:     global_buffer
      - .actual_access:  read_only
        .address_space:  global
        .offset:         56
        .size:           8
        .value_kind:     global_buffer
      - .actual_access:  write_only
        .address_space:  global
        .offset:         64
        .size:           8
        .value_kind:     global_buffer
      - .actual_access:  read_only
        .address_space:  global
        .offset:         72
        .size:           8
        .value_kind:     global_buffer
      - .actual_access:  read_only
        .address_space:  global
        .offset:         80
        .size:           8
        .value_kind:     global_buffer
      - .offset:         88
        .size:           4
        .value_kind:     by_value
      - .offset:         92
        .size:           4
        .value_kind:     by_value
      - .offset:         96
        .size:           4
        .value_kind:     by_value
      - .offset:         100
        .size:           4
        .value_kind:     by_value
      - .offset:         104
        .size:           4
        .value_kind:     by_value
      - .offset:         112
        .size:           8
        .value_kind:     by_value
      - .offset:         120
        .size:           8
        .value_kind:     by_value
      - .offset:         128
        .size:           8
        .value_kind:     by_value
    .group_segment_fixed_size: 65536
    .kernarg_segment_align: 8
    .kernarg_segment_size: 136
    .language:       OpenCL C
    .language_version:
      - 2
      - 0
    .max_flat_workgroup_size: 256
    .name:           _ZN12_GLOBAL__N_139chunk_gated_delta_rule_fwd_h_hip_kernelILi64ELb1ELb1ELb0ELb1ELb0ELb0ELb1ELb0EEEvPK12hip_bfloat16S3_S3_PKfS5_PKvPS1_S8_PvPKiSB_iiiiilll
    .private_segment_fixed_size: 0
    .sgpr_count:     71
    .sgpr_spill_count: 0
    .symbol:         _ZN12_GLOBAL__N_139chunk_gated_delta_rule_fwd_h_hip_kernelILi64ELb1ELb1ELb0ELb1ELb0ELb0ELb1ELb0EEEvPK12hip_bfloat16S3_S3_PKfS5_PKvPS1_S8_PvPKiSB_iiiiilll.kd
    .uniform_work_group_size: 1
    .uses_dynamic_stack: false
    .vgpr_count:     224
    .vgpr_spill_count: 0
    .wavefront_size: 64
  - .agpr_count:     36
    .args:
      - .actual_access:  read_only
        .address_space:  global
        .offset:         0
        .size:           8
        .value_kind:     global_buffer
      - .actual_access:  read_only
        .address_space:  global
        .offset:         8
        .size:           8
        .value_kind:     global_buffer
      - .actual_access:  read_only
        .address_space:  global
        .offset:         16
        .size:           8
        .value_kind:     global_buffer
      - .actual_access:  read_only
        .address_space:  global
        .offset:         24
        .size:           8
        .value_kind:     global_buffer
      - .actual_access:  read_only
        .address_space:  global
        .offset:         32
        .size:           8
        .value_kind:     global_buffer
      - .actual_access:  read_only
        .address_space:  global
        .offset:         40
        .size:           8
        .value_kind:     global_buffer
      - .actual_access:  write_only
        .address_space:  global
        .offset:         48
        .size:           8
        .value_kind:     global_buffer
      - .actual_access:  write_only
        .address_space:  global
        .offset:         56
        .size:           8
        .value_kind:     global_buffer
      - .actual_access:  read_only
        .address_space:  global
        .offset:         64
        .size:           8
        .value_kind:     global_buffer
      - .actual_access:  read_only
        .address_space:  global
        .offset:         72
        .size:           8
        .value_kind:     global_buffer
      - .actual_access:  read_only
        .address_space:  global
        .offset:         80
        .size:           8
        .value_kind:     global_buffer
      - .offset:         88
        .size:           4
        .value_kind:     by_value
      - .offset:         92
        .size:           4
        .value_kind:     by_value
      - .offset:         96
        .size:           4
        .value_kind:     by_value
      - .offset:         100
        .size:           4
        .value_kind:     by_value
      - .offset:         104
        .size:           4
        .value_kind:     by_value
      - .offset:         112
        .size:           8
        .value_kind:     by_value
      - .offset:         120
        .size:           8
        .value_kind:     by_value
      - .offset:         128
        .size:           8
        .value_kind:     by_value
    .group_segment_fixed_size: 65536
    .kernarg_segment_align: 8
    .kernarg_segment_size: 136
    .language:       OpenCL C
    .language_version:
      - 2
      - 0
    .max_flat_workgroup_size: 256
    .name:           _ZN12_GLOBAL__N_139chunk_gated_delta_rule_fwd_h_hip_kernelILi64ELb1ELb0ELb1ELb1ELb0ELb0ELb1ELb0EEEvPK12hip_bfloat16S3_S3_PKfS5_PKvPS1_S8_PvPKiSB_iiiiilll
    .private_segment_fixed_size: 0
    .sgpr_count:     69
    .sgpr_spill_count: 0
    .symbol:         _ZN12_GLOBAL__N_139chunk_gated_delta_rule_fwd_h_hip_kernelILi64ELb1ELb0ELb1ELb1ELb0ELb0ELb1ELb0EEEvPK12hip_bfloat16S3_S3_PKfS5_PKvPS1_S8_PvPKiSB_iiiiilll.kd
    .uniform_work_group_size: 1
    .uses_dynamic_stack: false
    .vgpr_count:     216
    .vgpr_spill_count: 0
    .wavefront_size: 64
  - .agpr_count:     36
    .args:
      - .actual_access:  read_only
        .address_space:  global
        .offset:         0
        .size:           8
        .value_kind:     global_buffer
      - .actual_access:  read_only
        .address_space:  global
        .offset:         8
        .size:           8
        .value_kind:     global_buffer
      - .actual_access:  read_only
        .address_space:  global
        .offset:         16
        .size:           8
        .value_kind:     global_buffer
      - .actual_access:  read_only
        .address_space:  global
        .offset:         24
        .size:           8
        .value_kind:     global_buffer
      - .actual_access:  read_only
        .address_space:  global
        .offset:         32
        .size:           8
        .value_kind:     global_buffer
      - .actual_access:  read_only
        .address_space:  global
        .offset:         40
        .size:           8
        .value_kind:     global_buffer
      - .actual_access:  write_only
        .address_space:  global
        .offset:         48
        .size:           8
        .value_kind:     global_buffer
      - .actual_access:  read_only
        .address_space:  global
        .offset:         56
        .size:           8
        .value_kind:     global_buffer
      - .actual_access:  read_only
        .address_space:  global
        .offset:         64
        .size:           8
        .value_kind:     global_buffer
      - .actual_access:  read_only
        .address_space:  global
        .offset:         72
        .size:           8
        .value_kind:     global_buffer
      - .actual_access:  read_only
        .address_space:  global
        .offset:         80
        .size:           8
        .value_kind:     global_buffer
      - .offset:         88
        .size:           4
        .value_kind:     by_value
      - .offset:         92
        .size:           4
        .value_kind:     by_value
      - .offset:         96
        .size:           4
        .value_kind:     by_value
      - .offset:         100
        .size:           4
        .value_kind:     by_value
      - .offset:         104
        .size:           4
        .value_kind:     by_value
      - .offset:         112
        .size:           8
        .value_kind:     by_value
      - .offset:         120
        .size:           8
        .value_kind:     by_value
      - .offset:         128
        .size:           8
        .value_kind:     by_value
    .group_segment_fixed_size: 65536
    .kernarg_segment_align: 8
    .kernarg_segment_size: 136
    .language:       OpenCL C
    .language_version:
      - 2
      - 0
    .max_flat_workgroup_size: 256
    .name:           _ZN12_GLOBAL__N_139chunk_gated_delta_rule_fwd_h_hip_kernelILi64ELb1ELb0ELb0ELb1ELb0ELb0ELb1ELb0EEEvPK12hip_bfloat16S3_S3_PKfS5_PKvPS1_S8_PvPKiSB_iiiiilll
    .private_segment_fixed_size: 0
    .sgpr_count:     67
    .sgpr_spill_count: 0
    .symbol:         _ZN12_GLOBAL__N_139chunk_gated_delta_rule_fwd_h_hip_kernelILi64ELb1ELb0ELb0ELb1ELb0ELb0ELb1ELb0EEEvPK12hip_bfloat16S3_S3_PKfS5_PKvPS1_S8_PvPKiSB_iiiiilll.kd
    .uniform_work_group_size: 1
    .uses_dynamic_stack: false
    .vgpr_count:     216
    .vgpr_spill_count: 0
    .wavefront_size: 64
  - .agpr_count:     36
    .args:
      - .actual_access:  read_only
        .address_space:  global
        .offset:         0
        .size:           8
        .value_kind:     global_buffer
      - .actual_access:  read_only
        .address_space:  global
        .offset:         8
        .size:           8
        .value_kind:     global_buffer
      - .actual_access:  read_only
        .address_space:  global
        .offset:         16
        .size:           8
        .value_kind:     global_buffer
      - .actual_access:  read_only
        .address_space:  global
        .offset:         24
        .size:           8
        .value_kind:     global_buffer
      - .actual_access:  read_only
        .address_space:  global
        .offset:         32
        .size:           8
        .value_kind:     global_buffer
      - .actual_access:  read_only
        .address_space:  global
        .offset:         40
        .size:           8
        .value_kind:     global_buffer
      - .actual_access:  write_only
        .address_space:  global
        .offset:         48
        .size:           8
        .value_kind:     global_buffer
      - .actual_access:  write_only
        .address_space:  global
        .offset:         56
        .size:           8
        .value_kind:     global_buffer
      - .actual_access:  write_only
        .address_space:  global
        .offset:         64
        .size:           8
        .value_kind:     global_buffer
      - .actual_access:  read_only
        .address_space:  global
        .offset:         72
        .size:           8
        .value_kind:     global_buffer
      - .actual_access:  read_only
        .address_space:  global
        .offset:         80
        .size:           8
        .value_kind:     global_buffer
      - .offset:         88
        .size:           4
        .value_kind:     by_value
      - .offset:         92
        .size:           4
        .value_kind:     by_value
      - .offset:         96
        .size:           4
        .value_kind:     by_value
      - .offset:         100
        .size:           4
        .value_kind:     by_value
      - .offset:         104
        .size:           4
        .value_kind:     by_value
      - .offset:         112
        .size:           8
        .value_kind:     by_value
      - .offset:         120
        .size:           8
        .value_kind:     by_value
      - .offset:         128
        .size:           8
        .value_kind:     by_value
    .group_segment_fixed_size: 65536
    .kernarg_segment_align: 8
    .kernarg_segment_size: 136
    .language:       OpenCL C
    .language_version:
      - 2
      - 0
    .max_flat_workgroup_size: 256
    .name:           _ZN12_GLOBAL__N_139chunk_gated_delta_rule_fwd_h_hip_kernelILi64ELb0ELb1ELb1ELb1ELb0ELb0ELb1ELb0EEEvPK12hip_bfloat16S3_S3_PKfS5_PKvPS1_S8_PvPKiSB_iiiiilll
    .private_segment_fixed_size: 0
    .sgpr_count:     73
    .sgpr_spill_count: 0
    .symbol:         _ZN12_GLOBAL__N_139chunk_gated_delta_rule_fwd_h_hip_kernelILi64ELb0ELb1ELb1ELb1ELb0ELb0ELb1ELb0EEEvPK12hip_bfloat16S3_S3_PKfS5_PKvPS1_S8_PvPKiSB_iiiiilll.kd
    .uniform_work_group_size: 1
    .uses_dynamic_stack: false
    .vgpr_count:     216
    .vgpr_spill_count: 0
    .wavefront_size: 64
  - .agpr_count:     36
    .args:
      - .actual_access:  read_only
        .address_space:  global
        .offset:         0
        .size:           8
        .value_kind:     global_buffer
      - .actual_access:  read_only
        .address_space:  global
        .offset:         8
        .size:           8
        .value_kind:     global_buffer
      - .actual_access:  read_only
        .address_space:  global
        .offset:         16
        .size:           8
        .value_kind:     global_buffer
      - .actual_access:  read_only
        .address_space:  global
        .offset:         24
        .size:           8
        .value_kind:     global_buffer
      - .actual_access:  read_only
        .address_space:  global
        .offset:         32
        .size:           8
        .value_kind:     global_buffer
      - .actual_access:  read_only
        .address_space:  global
        .offset:         40
        .size:           8
        .value_kind:     global_buffer
      - .actual_access:  write_only
        .address_space:  global
        .offset:         48
        .size:           8
        .value_kind:     global_buffer
      - .actual_access:  read_only
        .address_space:  global
        .offset:         56
        .size:           8
        .value_kind:     global_buffer
      - .actual_access:  write_only
        .address_space:  global
        .offset:         64
        .size:           8
        .value_kind:     global_buffer
      - .actual_access:  read_only
        .address_space:  global
        .offset:         72
        .size:           8
        .value_kind:     global_buffer
      - .actual_access:  read_only
        .address_space:  global
        .offset:         80
        .size:           8
        .value_kind:     global_buffer
      - .offset:         88
        .size:           4
        .value_kind:     by_value
      - .offset:         92
        .size:           4
        .value_kind:     by_value
      - .offset:         96
        .size:           4
        .value_kind:     by_value
      - .offset:         100
        .size:           4
        .value_kind:     by_value
      - .offset:         104
        .size:           4
        .value_kind:     by_value
      - .offset:         112
        .size:           8
        .value_kind:     by_value
      - .offset:         120
        .size:           8
        .value_kind:     by_value
      - .offset:         128
        .size:           8
        .value_kind:     by_value
    .group_segment_fixed_size: 65536
    .kernarg_segment_align: 8
    .kernarg_segment_size: 136
    .language:       OpenCL C
    .language_version:
      - 2
      - 0
    .max_flat_workgroup_size: 256
    .name:           _ZN12_GLOBAL__N_139chunk_gated_delta_rule_fwd_h_hip_kernelILi64ELb0ELb1ELb0ELb1ELb0ELb0ELb1ELb0EEEvPK12hip_bfloat16S3_S3_PKfS5_PKvPS1_S8_PvPKiSB_iiiiilll
    .private_segment_fixed_size: 0
    .sgpr_count:     71
    .sgpr_spill_count: 0
    .symbol:         _ZN12_GLOBAL__N_139chunk_gated_delta_rule_fwd_h_hip_kernelILi64ELb0ELb1ELb0ELb1ELb0ELb0ELb1ELb0EEEvPK12hip_bfloat16S3_S3_PKfS5_PKvPS1_S8_PvPKiSB_iiiiilll.kd
    .uniform_work_group_size: 1
    .uses_dynamic_stack: false
    .vgpr_count:     216
    .vgpr_spill_count: 0
    .wavefront_size: 64
  - .agpr_count:     36
    .args:
      - .actual_access:  read_only
        .address_space:  global
        .offset:         0
        .size:           8
        .value_kind:     global_buffer
      - .actual_access:  read_only
        .address_space:  global
        .offset:         8
        .size:           8
        .value_kind:     global_buffer
      - .actual_access:  read_only
        .address_space:  global
        .offset:         16
        .size:           8
        .value_kind:     global_buffer
      - .actual_access:  read_only
        .address_space:  global
        .offset:         24
        .size:           8
        .value_kind:     global_buffer
      - .actual_access:  read_only
        .address_space:  global
        .offset:         32
        .size:           8
        .value_kind:     global_buffer
      - .actual_access:  read_only
        .address_space:  global
        .offset:         40
        .size:           8
        .value_kind:     global_buffer
      - .actual_access:  write_only
        .address_space:  global
        .offset:         48
        .size:           8
        .value_kind:     global_buffer
      - .actual_access:  write_only
        .address_space:  global
        .offset:         56
        .size:           8
        .value_kind:     global_buffer
      - .actual_access:  read_only
        .address_space:  global
        .offset:         64
        .size:           8
        .value_kind:     global_buffer
      - .actual_access:  read_only
        .address_space:  global
        .offset:         72
        .size:           8
        .value_kind:     global_buffer
      - .actual_access:  read_only
        .address_space:  global
        .offset:         80
        .size:           8
        .value_kind:     global_buffer
      - .offset:         88
        .size:           4
        .value_kind:     by_value
      - .offset:         92
        .size:           4
        .value_kind:     by_value
      - .offset:         96
        .size:           4
        .value_kind:     by_value
      - .offset:         100
        .size:           4
        .value_kind:     by_value
      - .offset:         104
        .size:           4
        .value_kind:     by_value
      - .offset:         112
        .size:           8
        .value_kind:     by_value
      - .offset:         120
        .size:           8
        .value_kind:     by_value
      - .offset:         128
        .size:           8
        .value_kind:     by_value
    .group_segment_fixed_size: 65536
    .kernarg_segment_align: 8
    .kernarg_segment_size: 136
    .language:       OpenCL C
    .language_version:
      - 2
      - 0
    .max_flat_workgroup_size: 256
    .name:           _ZN12_GLOBAL__N_139chunk_gated_delta_rule_fwd_h_hip_kernelILi64ELb0ELb0ELb1ELb1ELb0ELb0ELb1ELb0EEEvPK12hip_bfloat16S3_S3_PKfS5_PKvPS1_S8_PvPKiSB_iiiiilll
    .private_segment_fixed_size: 0
    .sgpr_count:     68
    .sgpr_spill_count: 0
    .symbol:         _ZN12_GLOBAL__N_139chunk_gated_delta_rule_fwd_h_hip_kernelILi64ELb0ELb0ELb1ELb1ELb0ELb0ELb1ELb0EEEvPK12hip_bfloat16S3_S3_PKfS5_PKvPS1_S8_PvPKiSB_iiiiilll.kd
    .uniform_work_group_size: 1
    .uses_dynamic_stack: false
    .vgpr_count:     216
    .vgpr_spill_count: 0
    .wavefront_size: 64
  - .agpr_count:     36
    .args:
      - .actual_access:  read_only
        .address_space:  global
        .offset:         0
        .size:           8
        .value_kind:     global_buffer
      - .actual_access:  read_only
        .address_space:  global
        .offset:         8
        .size:           8
        .value_kind:     global_buffer
      - .actual_access:  read_only
        .address_space:  global
        .offset:         16
        .size:           8
        .value_kind:     global_buffer
      - .actual_access:  read_only
        .address_space:  global
        .offset:         24
        .size:           8
        .value_kind:     global_buffer
      - .actual_access:  read_only
        .address_space:  global
        .offset:         32
        .size:           8
        .value_kind:     global_buffer
      - .actual_access:  read_only
        .address_space:  global
        .offset:         40
        .size:           8
        .value_kind:     global_buffer
      - .actual_access:  write_only
        .address_space:  global
        .offset:         48
        .size:           8
        .value_kind:     global_buffer
      - .actual_access:  read_only
        .address_space:  global
        .offset:         56
        .size:           8
        .value_kind:     global_buffer
      - .actual_access:  read_only
        .address_space:  global
        .offset:         64
        .size:           8
        .value_kind:     global_buffer
      - .actual_access:  read_only
        .address_space:  global
        .offset:         72
        .size:           8
        .value_kind:     global_buffer
      - .actual_access:  read_only
        .address_space:  global
        .offset:         80
        .size:           8
        .value_kind:     global_buffer
      - .offset:         88
        .size:           4
        .value_kind:     by_value
      - .offset:         92
        .size:           4
        .value_kind:     by_value
      - .offset:         96
        .size:           4
        .value_kind:     by_value
      - .offset:         100
        .size:           4
        .value_kind:     by_value
      - .offset:         104
        .size:           4
        .value_kind:     by_value
      - .offset:         112
        .size:           8
        .value_kind:     by_value
      - .offset:         120
        .size:           8
        .value_kind:     by_value
      - .offset:         128
        .size:           8
        .value_kind:     by_value
    .group_segment_fixed_size: 65536
    .kernarg_segment_align: 8
    .kernarg_segment_size: 136
    .language:       OpenCL C
    .language_version:
      - 2
      - 0
    .max_flat_workgroup_size: 256
    .name:           _ZN12_GLOBAL__N_139chunk_gated_delta_rule_fwd_h_hip_kernelILi64ELb0ELb0ELb0ELb1ELb0ELb0ELb1ELb0EEEvPK12hip_bfloat16S3_S3_PKfS5_PKvPS1_S8_PvPKiSB_iiiiilll
    .private_segment_fixed_size: 0
    .sgpr_count:     66
    .sgpr_spill_count: 0
    .symbol:         _ZN12_GLOBAL__N_139chunk_gated_delta_rule_fwd_h_hip_kernelILi64ELb0ELb0ELb0ELb1ELb0ELb0ELb1ELb0EEEvPK12hip_bfloat16S3_S3_PKfS5_PKvPS1_S8_PvPKiSB_iiiiilll.kd
    .uniform_work_group_size: 1
    .uses_dynamic_stack: false
    .vgpr_count:     216
    .vgpr_spill_count: 0
    .wavefront_size: 64
  - .agpr_count:     36
    .args:
      - .actual_access:  read_only
        .address_space:  global
        .offset:         0
        .size:           8
        .value_kind:     global_buffer
      - .actual_access:  read_only
        .address_space:  global
        .offset:         8
        .size:           8
        .value_kind:     global_buffer
      - .actual_access:  read_only
        .address_space:  global
        .offset:         16
        .size:           8
        .value_kind:     global_buffer
      - .actual_access:  read_only
        .address_space:  global
        .offset:         24
        .size:           8
        .value_kind:     global_buffer
      - .actual_access:  read_only
        .address_space:  global
        .offset:         32
        .size:           8
        .value_kind:     global_buffer
      - .actual_access:  read_only
        .address_space:  global
        .offset:         40
        .size:           8
        .value_kind:     global_buffer
      - .actual_access:  write_only
        .address_space:  global
        .offset:         48
        .size:           8
        .value_kind:     global_buffer
      - .actual_access:  write_only
        .address_space:  global
        .offset:         56
        .size:           8
        .value_kind:     global_buffer
      - .actual_access:  write_only
        .address_space:  global
        .offset:         64
        .size:           8
        .value_kind:     global_buffer
      - .actual_access:  read_only
        .address_space:  global
        .offset:         72
        .size:           8
        .value_kind:     global_buffer
      - .actual_access:  read_only
        .address_space:  global
        .offset:         80
        .size:           8
        .value_kind:     global_buffer
      - .offset:         88
        .size:           4
        .value_kind:     by_value
      - .offset:         92
        .size:           4
        .value_kind:     by_value
      - .offset:         96
        .size:           4
        .value_kind:     by_value
      - .offset:         100
        .size:           4
        .value_kind:     by_value
      - .offset:         104
        .size:           4
        .value_kind:     by_value
      - .offset:         112
        .size:           8
        .value_kind:     by_value
      - .offset:         120
        .size:           8
        .value_kind:     by_value
      - .offset:         128
        .size:           8
        .value_kind:     by_value
    .group_segment_fixed_size: 65536
    .kernarg_segment_align: 8
    .kernarg_segment_size: 136
    .language:       OpenCL C
    .language_version:
      - 2
      - 0
    .max_flat_workgroup_size: 256
    .name:           _ZN12_GLOBAL__N_139chunk_gated_delta_rule_fwd_h_hip_kernelILi64ELb1ELb1ELb1ELb0ELb0ELb0ELb1ELb0EEEvPK12hip_bfloat16S3_S3_PKfS5_PKvPS1_S8_PvPKiSB_iiiiilll
    .private_segment_fixed_size: 0
    .sgpr_count:     78
    .sgpr_spill_count: 0
    .symbol:         _ZN12_GLOBAL__N_139chunk_gated_delta_rule_fwd_h_hip_kernelILi64ELb1ELb1ELb1ELb0ELb0ELb0ELb1ELb0EEEvPK12hip_bfloat16S3_S3_PKfS5_PKvPS1_S8_PvPKiSB_iiiiilll.kd
    .uniform_work_group_size: 1
    .uses_dynamic_stack: false
    .vgpr_count:     228
    .vgpr_spill_count: 0
    .wavefront_size: 64
  - .agpr_count:     36
    .args:
      - .actual_access:  read_only
        .address_space:  global
        .offset:         0
        .size:           8
        .value_kind:     global_buffer
      - .actual_access:  read_only
        .address_space:  global
        .offset:         8
        .size:           8
        .value_kind:     global_buffer
      - .actual_access:  read_only
        .address_space:  global
        .offset:         16
        .size:           8
        .value_kind:     global_buffer
      - .actual_access:  read_only
        .address_space:  global
        .offset:         24
        .size:           8
        .value_kind:     global_buffer
      - .actual_access:  read_only
        .address_space:  global
        .offset:         32
        .size:           8
        .value_kind:     global_buffer
      - .actual_access:  read_only
        .address_space:  global
        .offset:         40
        .size:           8
        .value_kind:     global_buffer
      - .actual_access:  write_only
        .address_space:  global
        .offset:         48
        .size:           8
        .value_kind:     global_buffer
      - .actual_access:  read_only
        .address_space:  global
        .offset:         56
        .size:           8
        .value_kind:     global_buffer
      - .actual_access:  write_only
        .address_space:  global
        .offset:         64
        .size:           8
        .value_kind:     global_buffer
      - .actual_access:  read_only
        .address_space:  global
        .offset:         72
        .size:           8
        .value_kind:     global_buffer
      - .actual_access:  read_only
        .address_space:  global
        .offset:         80
        .size:           8
        .value_kind:     global_buffer
      - .offset:         88
        .size:           4
        .value_kind:     by_value
      - .offset:         92
        .size:           4
        .value_kind:     by_value
      - .offset:         96
        .size:           4
        .value_kind:     by_value
      - .offset:         100
        .size:           4
        .value_kind:     by_value
      - .offset:         104
        .size:           4
        .value_kind:     by_value
      - .offset:         112
        .size:           8
        .value_kind:     by_value
      - .offset:         120
        .size:           8
        .value_kind:     by_value
      - .offset:         128
        .size:           8
        .value_kind:     by_value
    .group_segment_fixed_size: 65536
    .kernarg_segment_align: 8
    .kernarg_segment_size: 136
    .language:       OpenCL C
    .language_version:
      - 2
      - 0
    .max_flat_workgroup_size: 256
    .name:           _ZN12_GLOBAL__N_139chunk_gated_delta_rule_fwd_h_hip_kernelILi64ELb1ELb1ELb0ELb0ELb0ELb0ELb1ELb0EEEvPK12hip_bfloat16S3_S3_PKfS5_PKvPS1_S8_PvPKiSB_iiiiilll
    .private_segment_fixed_size: 0
    .sgpr_count:     76
    .sgpr_spill_count: 0
    .symbol:         _ZN12_GLOBAL__N_139chunk_gated_delta_rule_fwd_h_hip_kernelILi64ELb1ELb1ELb0ELb0ELb0ELb0ELb1ELb0EEEvPK12hip_bfloat16S3_S3_PKfS5_PKvPS1_S8_PvPKiSB_iiiiilll.kd
    .uniform_work_group_size: 1
    .uses_dynamic_stack: false
    .vgpr_count:     224
    .vgpr_spill_count: 0
    .wavefront_size: 64
  - .agpr_count:     36
    .args:
      - .actual_access:  read_only
        .address_space:  global
        .offset:         0
        .size:           8
        .value_kind:     global_buffer
      - .actual_access:  read_only
        .address_space:  global
        .offset:         8
        .size:           8
        .value_kind:     global_buffer
      - .actual_access:  read_only
        .address_space:  global
        .offset:         16
        .size:           8
        .value_kind:     global_buffer
      - .actual_access:  read_only
        .address_space:  global
        .offset:         24
        .size:           8
        .value_kind:     global_buffer
      - .actual_access:  read_only
        .address_space:  global
        .offset:         32
        .size:           8
        .value_kind:     global_buffer
      - .actual_access:  read_only
        .address_space:  global
        .offset:         40
        .size:           8
        .value_kind:     global_buffer
      - .actual_access:  write_only
        .address_space:  global
        .offset:         48
        .size:           8
        .value_kind:     global_buffer
      - .actual_access:  write_only
        .address_space:  global
        .offset:         56
        .size:           8
        .value_kind:     global_buffer
      - .actual_access:  read_only
        .address_space:  global
        .offset:         64
        .size:           8
        .value_kind:     global_buffer
      - .actual_access:  read_only
        .address_space:  global
        .offset:         72
        .size:           8
        .value_kind:     global_buffer
      - .actual_access:  read_only
        .address_space:  global
        .offset:         80
        .size:           8
        .value_kind:     global_buffer
      - .offset:         88
        .size:           4
        .value_kind:     by_value
      - .offset:         92
        .size:           4
        .value_kind:     by_value
      - .offset:         96
        .size:           4
        .value_kind:     by_value
      - .offset:         100
        .size:           4
        .value_kind:     by_value
      - .offset:         104
        .size:           4
        .value_kind:     by_value
      - .offset:         112
        .size:           8
        .value_kind:     by_value
      - .offset:         120
        .size:           8
        .value_kind:     by_value
      - .offset:         128
        .size:           8
        .value_kind:     by_value
    .group_segment_fixed_size: 65536
    .kernarg_segment_align: 8
    .kernarg_segment_size: 136
    .language:       OpenCL C
    .language_version:
      - 2
      - 0
    .max_flat_workgroup_size: 256
    .name:           _ZN12_GLOBAL__N_139chunk_gated_delta_rule_fwd_h_hip_kernelILi64ELb1ELb0ELb1ELb0ELb0ELb0ELb1ELb0EEEvPK12hip_bfloat16S3_S3_PKfS5_PKvPS1_S8_PvPKiSB_iiiiilll
    .private_segment_fixed_size: 0
    .sgpr_count:     74
    .sgpr_spill_count: 0
    .symbol:         _ZN12_GLOBAL__N_139chunk_gated_delta_rule_fwd_h_hip_kernelILi64ELb1ELb0ELb1ELb0ELb0ELb0ELb1ELb0EEEvPK12hip_bfloat16S3_S3_PKfS5_PKvPS1_S8_PvPKiSB_iiiiilll.kd
    .uniform_work_group_size: 1
    .uses_dynamic_stack: false
    .vgpr_count:     216
    .vgpr_spill_count: 0
    .wavefront_size: 64
  - .agpr_count:     36
    .args:
      - .actual_access:  read_only
        .address_space:  global
        .offset:         0
        .size:           8
        .value_kind:     global_buffer
      - .actual_access:  read_only
        .address_space:  global
        .offset:         8
        .size:           8
        .value_kind:     global_buffer
      - .actual_access:  read_only
        .address_space:  global
        .offset:         16
        .size:           8
        .value_kind:     global_buffer
      - .actual_access:  read_only
        .address_space:  global
        .offset:         24
        .size:           8
        .value_kind:     global_buffer
      - .actual_access:  read_only
        .address_space:  global
        .offset:         32
        .size:           8
        .value_kind:     global_buffer
      - .actual_access:  read_only
        .address_space:  global
        .offset:         40
        .size:           8
        .value_kind:     global_buffer
      - .actual_access:  write_only
        .address_space:  global
        .offset:         48
        .size:           8
        .value_kind:     global_buffer
      - .actual_access:  read_only
        .address_space:  global
        .offset:         56
        .size:           8
        .value_kind:     global_buffer
      - .actual_access:  read_only
        .address_space:  global
        .offset:         64
        .size:           8
        .value_kind:     global_buffer
      - .actual_access:  read_only
        .address_space:  global
        .offset:         72
        .size:           8
        .value_kind:     global_buffer
      - .actual_access:  read_only
        .address_space:  global
        .offset:         80
        .size:           8
        .value_kind:     global_buffer
      - .offset:         88
        .size:           4
        .value_kind:     by_value
      - .offset:         92
        .size:           4
        .value_kind:     by_value
      - .offset:         96
        .size:           4
        .value_kind:     by_value
      - .offset:         100
        .size:           4
        .value_kind:     by_value
      - .offset:         104
        .size:           4
        .value_kind:     by_value
      - .offset:         112
        .size:           8
        .value_kind:     by_value
      - .offset:         120
        .size:           8
        .value_kind:     by_value
      - .offset:         128
        .size:           8
        .value_kind:     by_value
    .group_segment_fixed_size: 65536
    .kernarg_segment_align: 8
    .kernarg_segment_size: 136
    .language:       OpenCL C
    .language_version:
      - 2
      - 0
    .max_flat_workgroup_size: 256
    .name:           _ZN12_GLOBAL__N_139chunk_gated_delta_rule_fwd_h_hip_kernelILi64ELb1ELb0ELb0ELb0ELb0ELb0ELb1ELb0EEEvPK12hip_bfloat16S3_S3_PKfS5_PKvPS1_S8_PvPKiSB_iiiiilll
    .private_segment_fixed_size: 0
    .sgpr_count:     72
    .sgpr_spill_count: 0
    .symbol:         _ZN12_GLOBAL__N_139chunk_gated_delta_rule_fwd_h_hip_kernelILi64ELb1ELb0ELb0ELb0ELb0ELb0ELb1ELb0EEEvPK12hip_bfloat16S3_S3_PKfS5_PKvPS1_S8_PvPKiSB_iiiiilll.kd
    .uniform_work_group_size: 1
    .uses_dynamic_stack: false
    .vgpr_count:     216
    .vgpr_spill_count: 0
    .wavefront_size: 64
  - .agpr_count:     36
    .args:
      - .actual_access:  read_only
        .address_space:  global
        .offset:         0
        .size:           8
        .value_kind:     global_buffer
      - .actual_access:  read_only
        .address_space:  global
        .offset:         8
        .size:           8
        .value_kind:     global_buffer
      - .actual_access:  read_only
        .address_space:  global
        .offset:         16
        .size:           8
        .value_kind:     global_buffer
      - .actual_access:  read_only
        .address_space:  global
        .offset:         24
        .size:           8
        .value_kind:     global_buffer
      - .actual_access:  read_only
        .address_space:  global
        .offset:         32
        .size:           8
        .value_kind:     global_buffer
      - .actual_access:  read_only
        .address_space:  global
        .offset:         40
        .size:           8
        .value_kind:     global_buffer
      - .actual_access:  write_only
        .address_space:  global
        .offset:         48
        .size:           8
        .value_kind:     global_buffer
      - .actual_access:  write_only
        .address_space:  global
        .offset:         56
        .size:           8
        .value_kind:     global_buffer
      - .actual_access:  write_only
        .address_space:  global
        .offset:         64
        .size:           8
        .value_kind:     global_buffer
      - .actual_access:  read_only
        .address_space:  global
        .offset:         72
        .size:           8
        .value_kind:     global_buffer
      - .actual_access:  read_only
        .address_space:  global
        .offset:         80
        .size:           8
        .value_kind:     global_buffer
      - .offset:         88
        .size:           4
        .value_kind:     by_value
      - .offset:         92
        .size:           4
        .value_kind:     by_value
      - .offset:         96
        .size:           4
        .value_kind:     by_value
      - .offset:         100
        .size:           4
        .value_kind:     by_value
      - .offset:         104
        .size:           4
        .value_kind:     by_value
      - .offset:         112
        .size:           8
        .value_kind:     by_value
      - .offset:         120
        .size:           8
        .value_kind:     by_value
      - .offset:         128
        .size:           8
        .value_kind:     by_value
    .group_segment_fixed_size: 65536
    .kernarg_segment_align: 8
    .kernarg_segment_size: 136
    .language:       OpenCL C
    .language_version:
      - 2
      - 0
    .max_flat_workgroup_size: 256
    .name:           _ZN12_GLOBAL__N_139chunk_gated_delta_rule_fwd_h_hip_kernelILi64ELb0ELb1ELb1ELb0ELb0ELb0ELb1ELb0EEEvPK12hip_bfloat16S3_S3_PKfS5_PKvPS1_S8_PvPKiSB_iiiiilll
    .private_segment_fixed_size: 0
    .sgpr_count:     73
    .sgpr_spill_count: 0
    .symbol:         _ZN12_GLOBAL__N_139chunk_gated_delta_rule_fwd_h_hip_kernelILi64ELb0ELb1ELb1ELb0ELb0ELb0ELb1ELb0EEEvPK12hip_bfloat16S3_S3_PKfS5_PKvPS1_S8_PvPKiSB_iiiiilll.kd
    .uniform_work_group_size: 1
    .uses_dynamic_stack: false
    .vgpr_count:     216
    .vgpr_spill_count: 0
    .wavefront_size: 64
  - .agpr_count:     36
    .args:
      - .actual_access:  read_only
        .address_space:  global
        .offset:         0
        .size:           8
        .value_kind:     global_buffer
      - .actual_access:  read_only
        .address_space:  global
        .offset:         8
        .size:           8
        .value_kind:     global_buffer
      - .actual_access:  read_only
        .address_space:  global
        .offset:         16
        .size:           8
        .value_kind:     global_buffer
      - .actual_access:  read_only
        .address_space:  global
        .offset:         24
        .size:           8
        .value_kind:     global_buffer
      - .actual_access:  read_only
        .address_space:  global
        .offset:         32
        .size:           8
        .value_kind:     global_buffer
      - .actual_access:  read_only
        .address_space:  global
        .offset:         40
        .size:           8
        .value_kind:     global_buffer
      - .actual_access:  write_only
        .address_space:  global
        .offset:         48
        .size:           8
        .value_kind:     global_buffer
      - .actual_access:  read_only
        .address_space:  global
        .offset:         56
        .size:           8
        .value_kind:     global_buffer
      - .actual_access:  write_only
        .address_space:  global
        .offset:         64
        .size:           8
        .value_kind:     global_buffer
      - .actual_access:  read_only
        .address_space:  global
        .offset:         72
        .size:           8
        .value_kind:     global_buffer
      - .actual_access:  read_only
        .address_space:  global
        .offset:         80
        .size:           8
        .value_kind:     global_buffer
      - .offset:         88
        .size:           4
        .value_kind:     by_value
      - .offset:         92
        .size:           4
        .value_kind:     by_value
      - .offset:         96
        .size:           4
        .value_kind:     by_value
      - .offset:         100
        .size:           4
        .value_kind:     by_value
      - .offset:         104
        .size:           4
        .value_kind:     by_value
      - .offset:         112
        .size:           8
        .value_kind:     by_value
      - .offset:         120
        .size:           8
        .value_kind:     by_value
      - .offset:         128
        .size:           8
        .value_kind:     by_value
    .group_segment_fixed_size: 65536
    .kernarg_segment_align: 8
    .kernarg_segment_size: 136
    .language:       OpenCL C
    .language_version:
      - 2
      - 0
    .max_flat_workgroup_size: 256
    .name:           _ZN12_GLOBAL__N_139chunk_gated_delta_rule_fwd_h_hip_kernelILi64ELb0ELb1ELb0ELb0ELb0ELb0ELb1ELb0EEEvPK12hip_bfloat16S3_S3_PKfS5_PKvPS1_S8_PvPKiSB_iiiiilll
    .private_segment_fixed_size: 0
    .sgpr_count:     71
    .sgpr_spill_count: 0
    .symbol:         _ZN12_GLOBAL__N_139chunk_gated_delta_rule_fwd_h_hip_kernelILi64ELb0ELb1ELb0ELb0ELb0ELb0ELb1ELb0EEEvPK12hip_bfloat16S3_S3_PKfS5_PKvPS1_S8_PvPKiSB_iiiiilll.kd
    .uniform_work_group_size: 1
    .uses_dynamic_stack: false
    .vgpr_count:     216
    .vgpr_spill_count: 0
    .wavefront_size: 64
  - .agpr_count:     36
    .args:
      - .actual_access:  read_only
        .address_space:  global
        .offset:         0
        .size:           8
        .value_kind:     global_buffer
      - .actual_access:  read_only
        .address_space:  global
        .offset:         8
        .size:           8
        .value_kind:     global_buffer
      - .actual_access:  read_only
        .address_space:  global
        .offset:         16
        .size:           8
        .value_kind:     global_buffer
      - .actual_access:  read_only
        .address_space:  global
        .offset:         24
        .size:           8
        .value_kind:     global_buffer
      - .actual_access:  read_only
        .address_space:  global
        .offset:         32
        .size:           8
        .value_kind:     global_buffer
      - .actual_access:  read_only
        .address_space:  global
        .offset:         40
        .size:           8
        .value_kind:     global_buffer
      - .actual_access:  write_only
        .address_space:  global
        .offset:         48
        .size:           8
        .value_kind:     global_buffer
      - .actual_access:  write_only
        .address_space:  global
        .offset:         56
        .size:           8
        .value_kind:     global_buffer
      - .actual_access:  read_only
        .address_space:  global
        .offset:         64
        .size:           8
        .value_kind:     global_buffer
      - .actual_access:  read_only
        .address_space:  global
        .offset:         72
        .size:           8
        .value_kind:     global_buffer
      - .actual_access:  read_only
        .address_space:  global
        .offset:         80
        .size:           8
        .value_kind:     global_buffer
      - .offset:         88
        .size:           4
        .value_kind:     by_value
      - .offset:         92
        .size:           4
        .value_kind:     by_value
      - .offset:         96
        .size:           4
        .value_kind:     by_value
      - .offset:         100
        .size:           4
        .value_kind:     by_value
      - .offset:         104
        .size:           4
        .value_kind:     by_value
      - .offset:         112
        .size:           8
        .value_kind:     by_value
      - .offset:         120
        .size:           8
        .value_kind:     by_value
      - .offset:         128
        .size:           8
        .value_kind:     by_value
    .group_segment_fixed_size: 65536
    .kernarg_segment_align: 8
    .kernarg_segment_size: 136
    .language:       OpenCL C
    .language_version:
      - 2
      - 0
    .max_flat_workgroup_size: 256
    .name:           _ZN12_GLOBAL__N_139chunk_gated_delta_rule_fwd_h_hip_kernelILi64ELb0ELb0ELb1ELb0ELb0ELb0ELb1ELb0EEEvPK12hip_bfloat16S3_S3_PKfS5_PKvPS1_S8_PvPKiSB_iiiiilll
    .private_segment_fixed_size: 0
    .sgpr_count:     71
    .sgpr_spill_count: 0
    .symbol:         _ZN12_GLOBAL__N_139chunk_gated_delta_rule_fwd_h_hip_kernelILi64ELb0ELb0ELb1ELb0ELb0ELb0ELb1ELb0EEEvPK12hip_bfloat16S3_S3_PKfS5_PKvPS1_S8_PvPKiSB_iiiiilll.kd
    .uniform_work_group_size: 1
    .uses_dynamic_stack: false
    .vgpr_count:     216
    .vgpr_spill_count: 0
    .wavefront_size: 64
  - .agpr_count:     36
    .args:
      - .actual_access:  read_only
        .address_space:  global
        .offset:         0
        .size:           8
        .value_kind:     global_buffer
      - .actual_access:  read_only
        .address_space:  global
        .offset:         8
        .size:           8
        .value_kind:     global_buffer
      - .actual_access:  read_only
        .address_space:  global
        .offset:         16
        .size:           8
        .value_kind:     global_buffer
      - .actual_access:  read_only
        .address_space:  global
        .offset:         24
        .size:           8
        .value_kind:     global_buffer
      - .actual_access:  read_only
        .address_space:  global
        .offset:         32
        .size:           8
        .value_kind:     global_buffer
      - .actual_access:  read_only
        .address_space:  global
        .offset:         40
        .size:           8
        .value_kind:     global_buffer
      - .actual_access:  write_only
        .address_space:  global
        .offset:         48
        .size:           8
        .value_kind:     global_buffer
      - .actual_access:  read_only
        .address_space:  global
        .offset:         56
        .size:           8
        .value_kind:     global_buffer
      - .actual_access:  read_only
        .address_space:  global
        .offset:         64
        .size:           8
        .value_kind:     global_buffer
      - .actual_access:  read_only
        .address_space:  global
        .offset:         72
        .size:           8
        .value_kind:     global_buffer
      - .actual_access:  read_only
        .address_space:  global
        .offset:         80
        .size:           8
        .value_kind:     global_buffer
      - .offset:         88
        .size:           4
        .value_kind:     by_value
      - .offset:         92
        .size:           4
        .value_kind:     by_value
      - .offset:         96
        .size:           4
        .value_kind:     by_value
      - .offset:         100
        .size:           4
        .value_kind:     by_value
      - .offset:         104
        .size:           4
        .value_kind:     by_value
      - .offset:         112
        .size:           8
        .value_kind:     by_value
      - .offset:         120
        .size:           8
        .value_kind:     by_value
      - .offset:         128
        .size:           8
        .value_kind:     by_value
    .group_segment_fixed_size: 65536
    .kernarg_segment_align: 8
    .kernarg_segment_size: 136
    .language:       OpenCL C
    .language_version:
      - 2
      - 0
    .max_flat_workgroup_size: 256
    .name:           _ZN12_GLOBAL__N_139chunk_gated_delta_rule_fwd_h_hip_kernelILi64ELb0ELb0ELb0ELb0ELb0ELb0ELb1ELb0EEEvPK12hip_bfloat16S3_S3_PKfS5_PKvPS1_S8_PvPKiSB_iiiiilll
    .private_segment_fixed_size: 0
    .sgpr_count:     69
    .sgpr_spill_count: 0
    .symbol:         _ZN12_GLOBAL__N_139chunk_gated_delta_rule_fwd_h_hip_kernelILi64ELb0ELb0ELb0ELb0ELb0ELb0ELb1ELb0EEEvPK12hip_bfloat16S3_S3_PKfS5_PKvPS1_S8_PvPKiSB_iiiiilll.kd
    .uniform_work_group_size: 1
    .uses_dynamic_stack: false
    .vgpr_count:     216
    .vgpr_spill_count: 0
    .wavefront_size: 64
  - .agpr_count:     36
    .args:
      - .actual_access:  read_only
        .address_space:  global
        .offset:         0
        .size:           8
        .value_kind:     global_buffer
      - .actual_access:  read_only
        .address_space:  global
        .offset:         8
        .size:           8
        .value_kind:     global_buffer
      - .actual_access:  read_only
        .address_space:  global
        .offset:         16
        .size:           8
        .value_kind:     global_buffer
      - .actual_access:  read_only
        .address_space:  global
        .offset:         24
        .size:           8
        .value_kind:     global_buffer
      - .actual_access:  read_only
        .address_space:  global
        .offset:         32
        .size:           8
        .value_kind:     global_buffer
      - .actual_access:  read_only
        .address_space:  global
        .offset:         40
        .size:           8
        .value_kind:     global_buffer
      - .actual_access:  write_only
        .address_space:  global
        .offset:         48
        .size:           8
        .value_kind:     global_buffer
      - .actual_access:  write_only
        .address_space:  global
        .offset:         56
        .size:           8
        .value_kind:     global_buffer
      - .actual_access:  write_only
        .address_space:  global
        .offset:         64
        .size:           8
        .value_kind:     global_buffer
      - .actual_access:  read_only
        .address_space:  global
        .offset:         72
        .size:           8
        .value_kind:     global_buffer
      - .actual_access:  read_only
        .address_space:  global
        .offset:         80
        .size:           8
        .value_kind:     global_buffer
      - .offset:         88
        .size:           4
        .value_kind:     by_value
      - .offset:         92
        .size:           4
        .value_kind:     by_value
      - .offset:         96
        .size:           4
        .value_kind:     by_value
      - .offset:         100
        .size:           4
        .value_kind:     by_value
      - .offset:         104
        .size:           4
        .value_kind:     by_value
      - .offset:         112
        .size:           8
        .value_kind:     by_value
      - .offset:         120
        .size:           8
        .value_kind:     by_value
      - .offset:         128
        .size:           8
        .value_kind:     by_value
    .group_segment_fixed_size: 65536
    .kernarg_segment_align: 8
    .kernarg_segment_size: 136
    .language:       OpenCL C
    .language_version:
      - 2
      - 0
    .max_flat_workgroup_size: 256
    .name:           _ZN12_GLOBAL__N_139chunk_gated_delta_rule_fwd_h_hip_kernelILi64ELb1ELb1ELb1ELb1ELb0ELb0ELb0ELb0EEEvPK12hip_bfloat16S3_S3_PKfS5_PKvPS1_S8_PvPKiSB_iiiiilll
    .private_segment_fixed_size: 0
    .sgpr_count:     73
    .sgpr_spill_count: 0
    .symbol:         _ZN12_GLOBAL__N_139chunk_gated_delta_rule_fwd_h_hip_kernelILi64ELb1ELb1ELb1ELb1ELb0ELb0ELb0ELb0EEEvPK12hip_bfloat16S3_S3_PKfS5_PKvPS1_S8_PvPKiSB_iiiiilll.kd
    .uniform_work_group_size: 1
    .uses_dynamic_stack: false
    .vgpr_count:     228
    .vgpr_spill_count: 0
    .wavefront_size: 64
  - .agpr_count:     36
    .args:
      - .actual_access:  read_only
        .address_space:  global
        .offset:         0
        .size:           8
        .value_kind:     global_buffer
      - .actual_access:  read_only
        .address_space:  global
        .offset:         8
        .size:           8
        .value_kind:     global_buffer
      - .actual_access:  read_only
        .address_space:  global
        .offset:         16
        .size:           8
        .value_kind:     global_buffer
      - .actual_access:  read_only
        .address_space:  global
        .offset:         24
        .size:           8
        .value_kind:     global_buffer
      - .actual_access:  read_only
        .address_space:  global
        .offset:         32
        .size:           8
        .value_kind:     global_buffer
      - .actual_access:  read_only
        .address_space:  global
        .offset:         40
        .size:           8
        .value_kind:     global_buffer
      - .actual_access:  write_only
        .address_space:  global
        .offset:         48
        .size:           8
        .value_kind:     global_buffer
      - .actual_access:  read_only
        .address_space:  global
        .offset:         56
        .size:           8
        .value_kind:     global_buffer
      - .actual_access:  write_only
        .address_space:  global
        .offset:         64
        .size:           8
        .value_kind:     global_buffer
      - .actual_access:  read_only
        .address_space:  global
        .offset:         72
        .size:           8
        .value_kind:     global_buffer
      - .actual_access:  read_only
        .address_space:  global
        .offset:         80
        .size:           8
        .value_kind:     global_buffer
      - .offset:         88
        .size:           4
        .value_kind:     by_value
      - .offset:         92
        .size:           4
        .value_kind:     by_value
      - .offset:         96
        .size:           4
        .value_kind:     by_value
      - .offset:         100
        .size:           4
        .value_kind:     by_value
      - .offset:         104
        .size:           4
        .value_kind:     by_value
      - .offset:         112
        .size:           8
        .value_kind:     by_value
      - .offset:         120
        .size:           8
        .value_kind:     by_value
      - .offset:         128
        .size:           8
        .value_kind:     by_value
    .group_segment_fixed_size: 65536
    .kernarg_segment_align: 8
    .kernarg_segment_size: 136
    .language:       OpenCL C
    .language_version:
      - 2
      - 0
    .max_flat_workgroup_size: 256
    .name:           _ZN12_GLOBAL__N_139chunk_gated_delta_rule_fwd_h_hip_kernelILi64ELb1ELb1ELb0ELb1ELb0ELb0ELb0ELb0EEEvPK12hip_bfloat16S3_S3_PKfS5_PKvPS1_S8_PvPKiSB_iiiiilll
    .private_segment_fixed_size: 0
    .sgpr_count:     71
    .sgpr_spill_count: 0
    .symbol:         _ZN12_GLOBAL__N_139chunk_gated_delta_rule_fwd_h_hip_kernelILi64ELb1ELb1ELb0ELb1ELb0ELb0ELb0ELb0EEEvPK12hip_bfloat16S3_S3_PKfS5_PKvPS1_S8_PvPKiSB_iiiiilll.kd
    .uniform_work_group_size: 1
    .uses_dynamic_stack: false
    .vgpr_count:     224
    .vgpr_spill_count: 0
    .wavefront_size: 64
  - .agpr_count:     36
    .args:
      - .actual_access:  read_only
        .address_space:  global
        .offset:         0
        .size:           8
        .value_kind:     global_buffer
      - .actual_access:  read_only
        .address_space:  global
        .offset:         8
        .size:           8
        .value_kind:     global_buffer
      - .actual_access:  read_only
        .address_space:  global
        .offset:         16
        .size:           8
        .value_kind:     global_buffer
      - .actual_access:  read_only
        .address_space:  global
        .offset:         24
        .size:           8
        .value_kind:     global_buffer
      - .actual_access:  read_only
        .address_space:  global
        .offset:         32
        .size:           8
        .value_kind:     global_buffer
      - .actual_access:  read_only
        .address_space:  global
        .offset:         40
        .size:           8
        .value_kind:     global_buffer
      - .actual_access:  write_only
        .address_space:  global
        .offset:         48
        .size:           8
        .value_kind:     global_buffer
      - .actual_access:  write_only
        .address_space:  global
        .offset:         56
        .size:           8
        .value_kind:     global_buffer
      - .actual_access:  read_only
        .address_space:  global
        .offset:         64
        .size:           8
        .value_kind:     global_buffer
      - .actual_access:  read_only
        .address_space:  global
        .offset:         72
        .size:           8
        .value_kind:     global_buffer
      - .actual_access:  read_only
        .address_space:  global
        .offset:         80
        .size:           8
        .value_kind:     global_buffer
      - .offset:         88
        .size:           4
        .value_kind:     by_value
      - .offset:         92
        .size:           4
        .value_kind:     by_value
      - .offset:         96
        .size:           4
        .value_kind:     by_value
      - .offset:         100
        .size:           4
        .value_kind:     by_value
      - .offset:         104
        .size:           4
        .value_kind:     by_value
      - .offset:         112
        .size:           8
        .value_kind:     by_value
      - .offset:         120
        .size:           8
        .value_kind:     by_value
      - .offset:         128
        .size:           8
        .value_kind:     by_value
    .group_segment_fixed_size: 65536
    .kernarg_segment_align: 8
    .kernarg_segment_size: 136
    .language:       OpenCL C
    .language_version:
      - 2
      - 0
    .max_flat_workgroup_size: 256
    .name:           _ZN12_GLOBAL__N_139chunk_gated_delta_rule_fwd_h_hip_kernelILi64ELb1ELb0ELb1ELb1ELb0ELb0ELb0ELb0EEEvPK12hip_bfloat16S3_S3_PKfS5_PKvPS1_S8_PvPKiSB_iiiiilll
    .private_segment_fixed_size: 0
    .sgpr_count:     69
    .sgpr_spill_count: 0
    .symbol:         _ZN12_GLOBAL__N_139chunk_gated_delta_rule_fwd_h_hip_kernelILi64ELb1ELb0ELb1ELb1ELb0ELb0ELb0ELb0EEEvPK12hip_bfloat16S3_S3_PKfS5_PKvPS1_S8_PvPKiSB_iiiiilll.kd
    .uniform_work_group_size: 1
    .uses_dynamic_stack: false
    .vgpr_count:     216
    .vgpr_spill_count: 0
    .wavefront_size: 64
  - .agpr_count:     36
    .args:
      - .actual_access:  read_only
        .address_space:  global
        .offset:         0
        .size:           8
        .value_kind:     global_buffer
      - .actual_access:  read_only
        .address_space:  global
        .offset:         8
        .size:           8
        .value_kind:     global_buffer
      - .actual_access:  read_only
        .address_space:  global
        .offset:         16
        .size:           8
        .value_kind:     global_buffer
      - .actual_access:  read_only
        .address_space:  global
        .offset:         24
        .size:           8
        .value_kind:     global_buffer
      - .actual_access:  read_only
        .address_space:  global
        .offset:         32
        .size:           8
        .value_kind:     global_buffer
      - .actual_access:  read_only
        .address_space:  global
        .offset:         40
        .size:           8
        .value_kind:     global_buffer
      - .actual_access:  write_only
        .address_space:  global
        .offset:         48
        .size:           8
        .value_kind:     global_buffer
      - .actual_access:  read_only
        .address_space:  global
        .offset:         56
        .size:           8
        .value_kind:     global_buffer
      - .actual_access:  read_only
        .address_space:  global
        .offset:         64
        .size:           8
        .value_kind:     global_buffer
      - .actual_access:  read_only
        .address_space:  global
        .offset:         72
        .size:           8
        .value_kind:     global_buffer
      - .actual_access:  read_only
        .address_space:  global
        .offset:         80
        .size:           8
        .value_kind:     global_buffer
      - .offset:         88
        .size:           4
        .value_kind:     by_value
      - .offset:         92
        .size:           4
        .value_kind:     by_value
      - .offset:         96
        .size:           4
        .value_kind:     by_value
      - .offset:         100
        .size:           4
        .value_kind:     by_value
      - .offset:         104
        .size:           4
        .value_kind:     by_value
      - .offset:         112
        .size:           8
        .value_kind:     by_value
      - .offset:         120
        .size:           8
        .value_kind:     by_value
      - .offset:         128
        .size:           8
        .value_kind:     by_value
    .group_segment_fixed_size: 65536
    .kernarg_segment_align: 8
    .kernarg_segment_size: 136
    .language:       OpenCL C
    .language_version:
      - 2
      - 0
    .max_flat_workgroup_size: 256
    .name:           _ZN12_GLOBAL__N_139chunk_gated_delta_rule_fwd_h_hip_kernelILi64ELb1ELb0ELb0ELb1ELb0ELb0ELb0ELb0EEEvPK12hip_bfloat16S3_S3_PKfS5_PKvPS1_S8_PvPKiSB_iiiiilll
    .private_segment_fixed_size: 0
    .sgpr_count:     67
    .sgpr_spill_count: 0
    .symbol:         _ZN12_GLOBAL__N_139chunk_gated_delta_rule_fwd_h_hip_kernelILi64ELb1ELb0ELb0ELb1ELb0ELb0ELb0ELb0EEEvPK12hip_bfloat16S3_S3_PKfS5_PKvPS1_S8_PvPKiSB_iiiiilll.kd
    .uniform_work_group_size: 1
    .uses_dynamic_stack: false
    .vgpr_count:     216
    .vgpr_spill_count: 0
    .wavefront_size: 64
  - .agpr_count:     36
    .args:
      - .actual_access:  read_only
        .address_space:  global
        .offset:         0
        .size:           8
        .value_kind:     global_buffer
      - .actual_access:  read_only
        .address_space:  global
        .offset:         8
        .size:           8
        .value_kind:     global_buffer
      - .actual_access:  read_only
        .address_space:  global
        .offset:         16
        .size:           8
        .value_kind:     global_buffer
      - .actual_access:  read_only
        .address_space:  global
        .offset:         24
        .size:           8
        .value_kind:     global_buffer
      - .actual_access:  read_only
        .address_space:  global
        .offset:         32
        .size:           8
        .value_kind:     global_buffer
      - .actual_access:  read_only
        .address_space:  global
        .offset:         40
        .size:           8
        .value_kind:     global_buffer
      - .actual_access:  write_only
        .address_space:  global
        .offset:         48
        .size:           8
        .value_kind:     global_buffer
      - .actual_access:  write_only
        .address_space:  global
        .offset:         56
        .size:           8
        .value_kind:     global_buffer
      - .actual_access:  write_only
        .address_space:  global
        .offset:         64
        .size:           8
        .value_kind:     global_buffer
      - .actual_access:  read_only
        .address_space:  global
        .offset:         72
        .size:           8
        .value_kind:     global_buffer
      - .actual_access:  read_only
        .address_space:  global
        .offset:         80
        .size:           8
        .value_kind:     global_buffer
      - .offset:         88
        .size:           4
        .value_kind:     by_value
      - .offset:         92
        .size:           4
        .value_kind:     by_value
      - .offset:         96
        .size:           4
        .value_kind:     by_value
      - .offset:         100
        .size:           4
        .value_kind:     by_value
      - .offset:         104
        .size:           4
        .value_kind:     by_value
      - .offset:         112
        .size:           8
        .value_kind:     by_value
      - .offset:         120
        .size:           8
        .value_kind:     by_value
      - .offset:         128
        .size:           8
        .value_kind:     by_value
    .group_segment_fixed_size: 65536
    .kernarg_segment_align: 8
    .kernarg_segment_size: 136
    .language:       OpenCL C
    .language_version:
      - 2
      - 0
    .max_flat_workgroup_size: 256
    .name:           _ZN12_GLOBAL__N_139chunk_gated_delta_rule_fwd_h_hip_kernelILi64ELb0ELb1ELb1ELb1ELb0ELb0ELb0ELb0EEEvPK12hip_bfloat16S3_S3_PKfS5_PKvPS1_S8_PvPKiSB_iiiiilll
    .private_segment_fixed_size: 0
    .sgpr_count:     73
    .sgpr_spill_count: 0
    .symbol:         _ZN12_GLOBAL__N_139chunk_gated_delta_rule_fwd_h_hip_kernelILi64ELb0ELb1ELb1ELb1ELb0ELb0ELb0ELb0EEEvPK12hip_bfloat16S3_S3_PKfS5_PKvPS1_S8_PvPKiSB_iiiiilll.kd
    .uniform_work_group_size: 1
    .uses_dynamic_stack: false
    .vgpr_count:     216
    .vgpr_spill_count: 0
    .wavefront_size: 64
  - .agpr_count:     36
    .args:
      - .actual_access:  read_only
        .address_space:  global
        .offset:         0
        .size:           8
        .value_kind:     global_buffer
      - .actual_access:  read_only
        .address_space:  global
        .offset:         8
        .size:           8
        .value_kind:     global_buffer
      - .actual_access:  read_only
        .address_space:  global
        .offset:         16
        .size:           8
        .value_kind:     global_buffer
      - .actual_access:  read_only
        .address_space:  global
        .offset:         24
        .size:           8
        .value_kind:     global_buffer
      - .actual_access:  read_only
        .address_space:  global
        .offset:         32
        .size:           8
        .value_kind:     global_buffer
      - .actual_access:  read_only
        .address_space:  global
        .offset:         40
        .size:           8
        .value_kind:     global_buffer
      - .actual_access:  write_only
        .address_space:  global
        .offset:         48
        .size:           8
        .value_kind:     global_buffer
      - .actual_access:  read_only
        .address_space:  global
        .offset:         56
        .size:           8
        .value_kind:     global_buffer
      - .actual_access:  write_only
        .address_space:  global
        .offset:         64
        .size:           8
        .value_kind:     global_buffer
      - .actual_access:  read_only
        .address_space:  global
        .offset:         72
        .size:           8
        .value_kind:     global_buffer
      - .actual_access:  read_only
        .address_space:  global
        .offset:         80
        .size:           8
        .value_kind:     global_buffer
      - .offset:         88
        .size:           4
        .value_kind:     by_value
      - .offset:         92
        .size:           4
        .value_kind:     by_value
      - .offset:         96
        .size:           4
        .value_kind:     by_value
      - .offset:         100
        .size:           4
        .value_kind:     by_value
      - .offset:         104
        .size:           4
        .value_kind:     by_value
      - .offset:         112
        .size:           8
        .value_kind:     by_value
      - .offset:         120
        .size:           8
        .value_kind:     by_value
      - .offset:         128
        .size:           8
        .value_kind:     by_value
    .group_segment_fixed_size: 65536
    .kernarg_segment_align: 8
    .kernarg_segment_size: 136
    .language:       OpenCL C
    .language_version:
      - 2
      - 0
    .max_flat_workgroup_size: 256
    .name:           _ZN12_GLOBAL__N_139chunk_gated_delta_rule_fwd_h_hip_kernelILi64ELb0ELb1ELb0ELb1ELb0ELb0ELb0ELb0EEEvPK12hip_bfloat16S3_S3_PKfS5_PKvPS1_S8_PvPKiSB_iiiiilll
    .private_segment_fixed_size: 0
    .sgpr_count:     71
    .sgpr_spill_count: 0
    .symbol:         _ZN12_GLOBAL__N_139chunk_gated_delta_rule_fwd_h_hip_kernelILi64ELb0ELb1ELb0ELb1ELb0ELb0ELb0ELb0EEEvPK12hip_bfloat16S3_S3_PKfS5_PKvPS1_S8_PvPKiSB_iiiiilll.kd
    .uniform_work_group_size: 1
    .uses_dynamic_stack: false
    .vgpr_count:     216
    .vgpr_spill_count: 0
    .wavefront_size: 64
  - .agpr_count:     36
    .args:
      - .actual_access:  read_only
        .address_space:  global
        .offset:         0
        .size:           8
        .value_kind:     global_buffer
      - .actual_access:  read_only
        .address_space:  global
        .offset:         8
        .size:           8
        .value_kind:     global_buffer
      - .actual_access:  read_only
        .address_space:  global
        .offset:         16
        .size:           8
        .value_kind:     global_buffer
      - .actual_access:  read_only
        .address_space:  global
        .offset:         24
        .size:           8
        .value_kind:     global_buffer
      - .actual_access:  read_only
        .address_space:  global
        .offset:         32
        .size:           8
        .value_kind:     global_buffer
      - .actual_access:  read_only
        .address_space:  global
        .offset:         40
        .size:           8
        .value_kind:     global_buffer
      - .actual_access:  write_only
        .address_space:  global
        .offset:         48
        .size:           8
        .value_kind:     global_buffer
      - .actual_access:  write_only
        .address_space:  global
        .offset:         56
        .size:           8
        .value_kind:     global_buffer
      - .actual_access:  read_only
        .address_space:  global
        .offset:         64
        .size:           8
        .value_kind:     global_buffer
      - .actual_access:  read_only
        .address_space:  global
        .offset:         72
        .size:           8
        .value_kind:     global_buffer
      - .actual_access:  read_only
        .address_space:  global
        .offset:         80
        .size:           8
        .value_kind:     global_buffer
      - .offset:         88
        .size:           4
        .value_kind:     by_value
      - .offset:         92
        .size:           4
        .value_kind:     by_value
      - .offset:         96
        .size:           4
        .value_kind:     by_value
      - .offset:         100
        .size:           4
        .value_kind:     by_value
      - .offset:         104
        .size:           4
        .value_kind:     by_value
      - .offset:         112
        .size:           8
        .value_kind:     by_value
      - .offset:         120
        .size:           8
        .value_kind:     by_value
      - .offset:         128
        .size:           8
        .value_kind:     by_value
    .group_segment_fixed_size: 65536
    .kernarg_segment_align: 8
    .kernarg_segment_size: 136
    .language:       OpenCL C
    .language_version:
      - 2
      - 0
    .max_flat_workgroup_size: 256
    .name:           _ZN12_GLOBAL__N_139chunk_gated_delta_rule_fwd_h_hip_kernelILi64ELb0ELb0ELb1ELb1ELb0ELb0ELb0ELb0EEEvPK12hip_bfloat16S3_S3_PKfS5_PKvPS1_S8_PvPKiSB_iiiiilll
    .private_segment_fixed_size: 0
    .sgpr_count:     68
    .sgpr_spill_count: 0
    .symbol:         _ZN12_GLOBAL__N_139chunk_gated_delta_rule_fwd_h_hip_kernelILi64ELb0ELb0ELb1ELb1ELb0ELb0ELb0ELb0EEEvPK12hip_bfloat16S3_S3_PKfS5_PKvPS1_S8_PvPKiSB_iiiiilll.kd
    .uniform_work_group_size: 1
    .uses_dynamic_stack: false
    .vgpr_count:     216
    .vgpr_spill_count: 0
    .wavefront_size: 64
  - .agpr_count:     36
    .args:
      - .actual_access:  read_only
        .address_space:  global
        .offset:         0
        .size:           8
        .value_kind:     global_buffer
      - .actual_access:  read_only
        .address_space:  global
        .offset:         8
        .size:           8
        .value_kind:     global_buffer
      - .actual_access:  read_only
        .address_space:  global
        .offset:         16
        .size:           8
        .value_kind:     global_buffer
      - .actual_access:  read_only
        .address_space:  global
        .offset:         24
        .size:           8
        .value_kind:     global_buffer
      - .actual_access:  read_only
        .address_space:  global
        .offset:         32
        .size:           8
        .value_kind:     global_buffer
      - .actual_access:  read_only
        .address_space:  global
        .offset:         40
        .size:           8
        .value_kind:     global_buffer
      - .actual_access:  write_only
        .address_space:  global
        .offset:         48
        .size:           8
        .value_kind:     global_buffer
      - .actual_access:  read_only
        .address_space:  global
        .offset:         56
        .size:           8
        .value_kind:     global_buffer
      - .actual_access:  read_only
        .address_space:  global
        .offset:         64
        .size:           8
        .value_kind:     global_buffer
      - .actual_access:  read_only
        .address_space:  global
        .offset:         72
        .size:           8
        .value_kind:     global_buffer
      - .actual_access:  read_only
        .address_space:  global
        .offset:         80
        .size:           8
        .value_kind:     global_buffer
      - .offset:         88
        .size:           4
        .value_kind:     by_value
      - .offset:         92
        .size:           4
        .value_kind:     by_value
      - .offset:         96
        .size:           4
        .value_kind:     by_value
      - .offset:         100
        .size:           4
        .value_kind:     by_value
      - .offset:         104
        .size:           4
        .value_kind:     by_value
      - .offset:         112
        .size:           8
        .value_kind:     by_value
      - .offset:         120
        .size:           8
        .value_kind:     by_value
      - .offset:         128
        .size:           8
        .value_kind:     by_value
    .group_segment_fixed_size: 65536
    .kernarg_segment_align: 8
    .kernarg_segment_size: 136
    .language:       OpenCL C
    .language_version:
      - 2
      - 0
    .max_flat_workgroup_size: 256
    .name:           _ZN12_GLOBAL__N_139chunk_gated_delta_rule_fwd_h_hip_kernelILi64ELb0ELb0ELb0ELb1ELb0ELb0ELb0ELb0EEEvPK12hip_bfloat16S3_S3_PKfS5_PKvPS1_S8_PvPKiSB_iiiiilll
    .private_segment_fixed_size: 0
    .sgpr_count:     66
    .sgpr_spill_count: 0
    .symbol:         _ZN12_GLOBAL__N_139chunk_gated_delta_rule_fwd_h_hip_kernelILi64ELb0ELb0ELb0ELb1ELb0ELb0ELb0ELb0EEEvPK12hip_bfloat16S3_S3_PKfS5_PKvPS1_S8_PvPKiSB_iiiiilll.kd
    .uniform_work_group_size: 1
    .uses_dynamic_stack: false
    .vgpr_count:     216
    .vgpr_spill_count: 0
    .wavefront_size: 64
  - .agpr_count:     36
    .args:
      - .actual_access:  read_only
        .address_space:  global
        .offset:         0
        .size:           8
        .value_kind:     global_buffer
      - .actual_access:  read_only
        .address_space:  global
        .offset:         8
        .size:           8
        .value_kind:     global_buffer
      - .actual_access:  read_only
        .address_space:  global
        .offset:         16
        .size:           8
        .value_kind:     global_buffer
      - .actual_access:  read_only
        .address_space:  global
        .offset:         24
        .size:           8
        .value_kind:     global_buffer
      - .actual_access:  read_only
        .address_space:  global
        .offset:         32
        .size:           8
        .value_kind:     global_buffer
      - .actual_access:  read_only
        .address_space:  global
        .offset:         40
        .size:           8
        .value_kind:     global_buffer
      - .actual_access:  write_only
        .address_space:  global
        .offset:         48
        .size:           8
        .value_kind:     global_buffer
      - .actual_access:  write_only
        .address_space:  global
        .offset:         56
        .size:           8
        .value_kind:     global_buffer
      - .actual_access:  write_only
        .address_space:  global
        .offset:         64
        .size:           8
        .value_kind:     global_buffer
      - .actual_access:  read_only
        .address_space:  global
        .offset:         72
        .size:           8
        .value_kind:     global_buffer
      - .actual_access:  read_only
        .address_space:  global
        .offset:         80
        .size:           8
        .value_kind:     global_buffer
      - .offset:         88
        .size:           4
        .value_kind:     by_value
      - .offset:         92
        .size:           4
        .value_kind:     by_value
      - .offset:         96
        .size:           4
        .value_kind:     by_value
      - .offset:         100
        .size:           4
        .value_kind:     by_value
      - .offset:         104
        .size:           4
        .value_kind:     by_value
      - .offset:         112
        .size:           8
        .value_kind:     by_value
      - .offset:         120
        .size:           8
        .value_kind:     by_value
      - .offset:         128
        .size:           8
        .value_kind:     by_value
    .group_segment_fixed_size: 65536
    .kernarg_segment_align: 8
    .kernarg_segment_size: 136
    .language:       OpenCL C
    .language_version:
      - 2
      - 0
    .max_flat_workgroup_size: 256
    .name:           _ZN12_GLOBAL__N_139chunk_gated_delta_rule_fwd_h_hip_kernelILi64ELb1ELb1ELb1ELb0ELb0ELb0ELb0ELb0EEEvPK12hip_bfloat16S3_S3_PKfS5_PKvPS1_S8_PvPKiSB_iiiiilll
    .private_segment_fixed_size: 0
    .sgpr_count:     78
    .sgpr_spill_count: 0
    .symbol:         _ZN12_GLOBAL__N_139chunk_gated_delta_rule_fwd_h_hip_kernelILi64ELb1ELb1ELb1ELb0ELb0ELb0ELb0ELb0EEEvPK12hip_bfloat16S3_S3_PKfS5_PKvPS1_S8_PvPKiSB_iiiiilll.kd
    .uniform_work_group_size: 1
    .uses_dynamic_stack: false
    .vgpr_count:     228
    .vgpr_spill_count: 0
    .wavefront_size: 64
  - .agpr_count:     36
    .args:
      - .actual_access:  read_only
        .address_space:  global
        .offset:         0
        .size:           8
        .value_kind:     global_buffer
      - .actual_access:  read_only
        .address_space:  global
        .offset:         8
        .size:           8
        .value_kind:     global_buffer
      - .actual_access:  read_only
        .address_space:  global
        .offset:         16
        .size:           8
        .value_kind:     global_buffer
      - .actual_access:  read_only
        .address_space:  global
        .offset:         24
        .size:           8
        .value_kind:     global_buffer
      - .actual_access:  read_only
        .address_space:  global
        .offset:         32
        .size:           8
        .value_kind:     global_buffer
      - .actual_access:  read_only
        .address_space:  global
        .offset:         40
        .size:           8
        .value_kind:     global_buffer
      - .actual_access:  write_only
        .address_space:  global
        .offset:         48
        .size:           8
        .value_kind:     global_buffer
      - .actual_access:  read_only
        .address_space:  global
        .offset:         56
        .size:           8
        .value_kind:     global_buffer
      - .actual_access:  write_only
        .address_space:  global
        .offset:         64
        .size:           8
        .value_kind:     global_buffer
      - .actual_access:  read_only
        .address_space:  global
        .offset:         72
        .size:           8
        .value_kind:     global_buffer
      - .actual_access:  read_only
        .address_space:  global
        .offset:         80
        .size:           8
        .value_kind:     global_buffer
      - .offset:         88
        .size:           4
        .value_kind:     by_value
      - .offset:         92
        .size:           4
        .value_kind:     by_value
      - .offset:         96
        .size:           4
        .value_kind:     by_value
      - .offset:         100
        .size:           4
        .value_kind:     by_value
      - .offset:         104
        .size:           4
        .value_kind:     by_value
      - .offset:         112
        .size:           8
        .value_kind:     by_value
      - .offset:         120
        .size:           8
        .value_kind:     by_value
      - .offset:         128
        .size:           8
        .value_kind:     by_value
    .group_segment_fixed_size: 65536
    .kernarg_segment_align: 8
    .kernarg_segment_size: 136
    .language:       OpenCL C
    .language_version:
      - 2
      - 0
    .max_flat_workgroup_size: 256
    .name:           _ZN12_GLOBAL__N_139chunk_gated_delta_rule_fwd_h_hip_kernelILi64ELb1ELb1ELb0ELb0ELb0ELb0ELb0ELb0EEEvPK12hip_bfloat16S3_S3_PKfS5_PKvPS1_S8_PvPKiSB_iiiiilll
    .private_segment_fixed_size: 0
    .sgpr_count:     76
    .sgpr_spill_count: 0
    .symbol:         _ZN12_GLOBAL__N_139chunk_gated_delta_rule_fwd_h_hip_kernelILi64ELb1ELb1ELb0ELb0ELb0ELb0ELb0ELb0EEEvPK12hip_bfloat16S3_S3_PKfS5_PKvPS1_S8_PvPKiSB_iiiiilll.kd
    .uniform_work_group_size: 1
    .uses_dynamic_stack: false
    .vgpr_count:     224
    .vgpr_spill_count: 0
    .wavefront_size: 64
  - .agpr_count:     36
    .args:
      - .actual_access:  read_only
        .address_space:  global
        .offset:         0
        .size:           8
        .value_kind:     global_buffer
      - .actual_access:  read_only
        .address_space:  global
        .offset:         8
        .size:           8
        .value_kind:     global_buffer
      - .actual_access:  read_only
        .address_space:  global
        .offset:         16
        .size:           8
        .value_kind:     global_buffer
      - .actual_access:  read_only
        .address_space:  global
        .offset:         24
        .size:           8
        .value_kind:     global_buffer
      - .actual_access:  read_only
        .address_space:  global
        .offset:         32
        .size:           8
        .value_kind:     global_buffer
      - .actual_access:  read_only
        .address_space:  global
        .offset:         40
        .size:           8
        .value_kind:     global_buffer
      - .actual_access:  write_only
        .address_space:  global
        .offset:         48
        .size:           8
        .value_kind:     global_buffer
      - .actual_access:  write_only
        .address_space:  global
        .offset:         56
        .size:           8
        .value_kind:     global_buffer
      - .actual_access:  read_only
        .address_space:  global
        .offset:         64
        .size:           8
        .value_kind:     global_buffer
      - .actual_access:  read_only
        .address_space:  global
        .offset:         72
        .size:           8
        .value_kind:     global_buffer
      - .actual_access:  read_only
        .address_space:  global
        .offset:         80
        .size:           8
        .value_kind:     global_buffer
      - .offset:         88
        .size:           4
        .value_kind:     by_value
      - .offset:         92
        .size:           4
        .value_kind:     by_value
      - .offset:         96
        .size:           4
        .value_kind:     by_value
      - .offset:         100
        .size:           4
        .value_kind:     by_value
      - .offset:         104
        .size:           4
        .value_kind:     by_value
      - .offset:         112
        .size:           8
        .value_kind:     by_value
      - .offset:         120
        .size:           8
        .value_kind:     by_value
      - .offset:         128
        .size:           8
        .value_kind:     by_value
    .group_segment_fixed_size: 65536
    .kernarg_segment_align: 8
    .kernarg_segment_size: 136
    .language:       OpenCL C
    .language_version:
      - 2
      - 0
    .max_flat_workgroup_size: 256
    .name:           _ZN12_GLOBAL__N_139chunk_gated_delta_rule_fwd_h_hip_kernelILi64ELb1ELb0ELb1ELb0ELb0ELb0ELb0ELb0EEEvPK12hip_bfloat16S3_S3_PKfS5_PKvPS1_S8_PvPKiSB_iiiiilll
    .private_segment_fixed_size: 0
    .sgpr_count:     74
    .sgpr_spill_count: 0
    .symbol:         _ZN12_GLOBAL__N_139chunk_gated_delta_rule_fwd_h_hip_kernelILi64ELb1ELb0ELb1ELb0ELb0ELb0ELb0ELb0EEEvPK12hip_bfloat16S3_S3_PKfS5_PKvPS1_S8_PvPKiSB_iiiiilll.kd
    .uniform_work_group_size: 1
    .uses_dynamic_stack: false
    .vgpr_count:     216
    .vgpr_spill_count: 0
    .wavefront_size: 64
  - .agpr_count:     36
    .args:
      - .actual_access:  read_only
        .address_space:  global
        .offset:         0
        .size:           8
        .value_kind:     global_buffer
      - .actual_access:  read_only
        .address_space:  global
        .offset:         8
        .size:           8
        .value_kind:     global_buffer
      - .actual_access:  read_only
        .address_space:  global
        .offset:         16
        .size:           8
        .value_kind:     global_buffer
      - .actual_access:  read_only
        .address_space:  global
        .offset:         24
        .size:           8
        .value_kind:     global_buffer
      - .actual_access:  read_only
        .address_space:  global
        .offset:         32
        .size:           8
        .value_kind:     global_buffer
      - .actual_access:  read_only
        .address_space:  global
        .offset:         40
        .size:           8
        .value_kind:     global_buffer
      - .actual_access:  write_only
        .address_space:  global
        .offset:         48
        .size:           8
        .value_kind:     global_buffer
      - .actual_access:  read_only
        .address_space:  global
        .offset:         56
        .size:           8
        .value_kind:     global_buffer
      - .actual_access:  read_only
        .address_space:  global
        .offset:         64
        .size:           8
        .value_kind:     global_buffer
      - .actual_access:  read_only
        .address_space:  global
        .offset:         72
        .size:           8
        .value_kind:     global_buffer
      - .actual_access:  read_only
        .address_space:  global
        .offset:         80
        .size:           8
        .value_kind:     global_buffer
      - .offset:         88
        .size:           4
        .value_kind:     by_value
      - .offset:         92
        .size:           4
        .value_kind:     by_value
      - .offset:         96
        .size:           4
        .value_kind:     by_value
      - .offset:         100
        .size:           4
        .value_kind:     by_value
      - .offset:         104
        .size:           4
        .value_kind:     by_value
      - .offset:         112
        .size:           8
        .value_kind:     by_value
      - .offset:         120
        .size:           8
        .value_kind:     by_value
      - .offset:         128
        .size:           8
        .value_kind:     by_value
    .group_segment_fixed_size: 65536
    .kernarg_segment_align: 8
    .kernarg_segment_size: 136
    .language:       OpenCL C
    .language_version:
      - 2
      - 0
    .max_flat_workgroup_size: 256
    .name:           _ZN12_GLOBAL__N_139chunk_gated_delta_rule_fwd_h_hip_kernelILi64ELb1ELb0ELb0ELb0ELb0ELb0ELb0ELb0EEEvPK12hip_bfloat16S3_S3_PKfS5_PKvPS1_S8_PvPKiSB_iiiiilll
    .private_segment_fixed_size: 0
    .sgpr_count:     72
    .sgpr_spill_count: 0
    .symbol:         _ZN12_GLOBAL__N_139chunk_gated_delta_rule_fwd_h_hip_kernelILi64ELb1ELb0ELb0ELb0ELb0ELb0ELb0ELb0EEEvPK12hip_bfloat16S3_S3_PKfS5_PKvPS1_S8_PvPKiSB_iiiiilll.kd
    .uniform_work_group_size: 1
    .uses_dynamic_stack: false
    .vgpr_count:     216
    .vgpr_spill_count: 0
    .wavefront_size: 64
  - .agpr_count:     36
    .args:
      - .actual_access:  read_only
        .address_space:  global
        .offset:         0
        .size:           8
        .value_kind:     global_buffer
      - .actual_access:  read_only
        .address_space:  global
        .offset:         8
        .size:           8
        .value_kind:     global_buffer
      - .actual_access:  read_only
        .address_space:  global
        .offset:         16
        .size:           8
        .value_kind:     global_buffer
      - .actual_access:  read_only
        .address_space:  global
        .offset:         24
        .size:           8
        .value_kind:     global_buffer
      - .actual_access:  read_only
        .address_space:  global
        .offset:         32
        .size:           8
        .value_kind:     global_buffer
      - .actual_access:  read_only
        .address_space:  global
        .offset:         40
        .size:           8
        .value_kind:     global_buffer
      - .actual_access:  write_only
        .address_space:  global
        .offset:         48
        .size:           8
        .value_kind:     global_buffer
      - .actual_access:  write_only
        .address_space:  global
        .offset:         56
        .size:           8
        .value_kind:     global_buffer
      - .actual_access:  write_only
        .address_space:  global
        .offset:         64
        .size:           8
        .value_kind:     global_buffer
      - .actual_access:  read_only
        .address_space:  global
        .offset:         72
        .size:           8
        .value_kind:     global_buffer
      - .actual_access:  read_only
        .address_space:  global
        .offset:         80
        .size:           8
        .value_kind:     global_buffer
      - .offset:         88
        .size:           4
        .value_kind:     by_value
      - .offset:         92
        .size:           4
        .value_kind:     by_value
      - .offset:         96
        .size:           4
        .value_kind:     by_value
      - .offset:         100
        .size:           4
        .value_kind:     by_value
      - .offset:         104
        .size:           4
        .value_kind:     by_value
      - .offset:         112
        .size:           8
        .value_kind:     by_value
      - .offset:         120
        .size:           8
        .value_kind:     by_value
      - .offset:         128
        .size:           8
        .value_kind:     by_value
    .group_segment_fixed_size: 65536
    .kernarg_segment_align: 8
    .kernarg_segment_size: 136
    .language:       OpenCL C
    .language_version:
      - 2
      - 0
    .max_flat_workgroup_size: 256
    .name:           _ZN12_GLOBAL__N_139chunk_gated_delta_rule_fwd_h_hip_kernelILi64ELb0ELb1ELb1ELb0ELb0ELb0ELb0ELb0EEEvPK12hip_bfloat16S3_S3_PKfS5_PKvPS1_S8_PvPKiSB_iiiiilll
    .private_segment_fixed_size: 0
    .sgpr_count:     73
    .sgpr_spill_count: 0
    .symbol:         _ZN12_GLOBAL__N_139chunk_gated_delta_rule_fwd_h_hip_kernelILi64ELb0ELb1ELb1ELb0ELb0ELb0ELb0ELb0EEEvPK12hip_bfloat16S3_S3_PKfS5_PKvPS1_S8_PvPKiSB_iiiiilll.kd
    .uniform_work_group_size: 1
    .uses_dynamic_stack: false
    .vgpr_count:     216
    .vgpr_spill_count: 0
    .wavefront_size: 64
  - .agpr_count:     36
    .args:
      - .actual_access:  read_only
        .address_space:  global
        .offset:         0
        .size:           8
        .value_kind:     global_buffer
      - .actual_access:  read_only
        .address_space:  global
        .offset:         8
        .size:           8
        .value_kind:     global_buffer
      - .actual_access:  read_only
        .address_space:  global
        .offset:         16
        .size:           8
        .value_kind:     global_buffer
      - .actual_access:  read_only
        .address_space:  global
        .offset:         24
        .size:           8
        .value_kind:     global_buffer
      - .actual_access:  read_only
        .address_space:  global
        .offset:         32
        .size:           8
        .value_kind:     global_buffer
      - .actual_access:  read_only
        .address_space:  global
        .offset:         40
        .size:           8
        .value_kind:     global_buffer
      - .actual_access:  write_only
        .address_space:  global
        .offset:         48
        .size:           8
        .value_kind:     global_buffer
      - .actual_access:  read_only
        .address_space:  global
        .offset:         56
        .size:           8
        .value_kind:     global_buffer
      - .actual_access:  write_only
        .address_space:  global
        .offset:         64
        .size:           8
        .value_kind:     global_buffer
      - .actual_access:  read_only
        .address_space:  global
        .offset:         72
        .size:           8
        .value_kind:     global_buffer
      - .actual_access:  read_only
        .address_space:  global
        .offset:         80
        .size:           8
        .value_kind:     global_buffer
      - .offset:         88
        .size:           4
        .value_kind:     by_value
      - .offset:         92
        .size:           4
        .value_kind:     by_value
      - .offset:         96
        .size:           4
        .value_kind:     by_value
      - .offset:         100
        .size:           4
        .value_kind:     by_value
      - .offset:         104
        .size:           4
        .value_kind:     by_value
      - .offset:         112
        .size:           8
        .value_kind:     by_value
      - .offset:         120
        .size:           8
        .value_kind:     by_value
      - .offset:         128
        .size:           8
        .value_kind:     by_value
    .group_segment_fixed_size: 65536
    .kernarg_segment_align: 8
    .kernarg_segment_size: 136
    .language:       OpenCL C
    .language_version:
      - 2
      - 0
    .max_flat_workgroup_size: 256
    .name:           _ZN12_GLOBAL__N_139chunk_gated_delta_rule_fwd_h_hip_kernelILi64ELb0ELb1ELb0ELb0ELb0ELb0ELb0ELb0EEEvPK12hip_bfloat16S3_S3_PKfS5_PKvPS1_S8_PvPKiSB_iiiiilll
    .private_segment_fixed_size: 0
    .sgpr_count:     71
    .sgpr_spill_count: 0
    .symbol:         _ZN12_GLOBAL__N_139chunk_gated_delta_rule_fwd_h_hip_kernelILi64ELb0ELb1ELb0ELb0ELb0ELb0ELb0ELb0EEEvPK12hip_bfloat16S3_S3_PKfS5_PKvPS1_S8_PvPKiSB_iiiiilll.kd
    .uniform_work_group_size: 1
    .uses_dynamic_stack: false
    .vgpr_count:     216
    .vgpr_spill_count: 0
    .wavefront_size: 64
  - .agpr_count:     36
    .args:
      - .actual_access:  read_only
        .address_space:  global
        .offset:         0
        .size:           8
        .value_kind:     global_buffer
      - .actual_access:  read_only
        .address_space:  global
        .offset:         8
        .size:           8
        .value_kind:     global_buffer
      - .actual_access:  read_only
        .address_space:  global
        .offset:         16
        .size:           8
        .value_kind:     global_buffer
      - .actual_access:  read_only
        .address_space:  global
        .offset:         24
        .size:           8
        .value_kind:     global_buffer
      - .actual_access:  read_only
        .address_space:  global
        .offset:         32
        .size:           8
        .value_kind:     global_buffer
      - .actual_access:  read_only
        .address_space:  global
        .offset:         40
        .size:           8
        .value_kind:     global_buffer
      - .actual_access:  write_only
        .address_space:  global
        .offset:         48
        .size:           8
        .value_kind:     global_buffer
      - .actual_access:  write_only
        .address_space:  global
        .offset:         56
        .size:           8
        .value_kind:     global_buffer
      - .actual_access:  read_only
        .address_space:  global
        .offset:         64
        .size:           8
        .value_kind:     global_buffer
      - .actual_access:  read_only
        .address_space:  global
        .offset:         72
        .size:           8
        .value_kind:     global_buffer
      - .actual_access:  read_only
        .address_space:  global
        .offset:         80
        .size:           8
        .value_kind:     global_buffer
      - .offset:         88
        .size:           4
        .value_kind:     by_value
      - .offset:         92
        .size:           4
        .value_kind:     by_value
      - .offset:         96
        .size:           4
        .value_kind:     by_value
      - .offset:         100
        .size:           4
        .value_kind:     by_value
      - .offset:         104
        .size:           4
        .value_kind:     by_value
      - .offset:         112
        .size:           8
        .value_kind:     by_value
      - .offset:         120
        .size:           8
        .value_kind:     by_value
      - .offset:         128
        .size:           8
        .value_kind:     by_value
    .group_segment_fixed_size: 65536
    .kernarg_segment_align: 8
    .kernarg_segment_size: 136
    .language:       OpenCL C
    .language_version:
      - 2
      - 0
    .max_flat_workgroup_size: 256
    .name:           _ZN12_GLOBAL__N_139chunk_gated_delta_rule_fwd_h_hip_kernelILi64ELb0ELb0ELb1ELb0ELb0ELb0ELb0ELb0EEEvPK12hip_bfloat16S3_S3_PKfS5_PKvPS1_S8_PvPKiSB_iiiiilll
    .private_segment_fixed_size: 0
    .sgpr_count:     71
    .sgpr_spill_count: 0
    .symbol:         _ZN12_GLOBAL__N_139chunk_gated_delta_rule_fwd_h_hip_kernelILi64ELb0ELb0ELb1ELb0ELb0ELb0ELb0ELb0EEEvPK12hip_bfloat16S3_S3_PKfS5_PKvPS1_S8_PvPKiSB_iiiiilll.kd
    .uniform_work_group_size: 1
    .uses_dynamic_stack: false
    .vgpr_count:     216
    .vgpr_spill_count: 0
    .wavefront_size: 64
  - .agpr_count:     36
    .args:
      - .actual_access:  read_only
        .address_space:  global
        .offset:         0
        .size:           8
        .value_kind:     global_buffer
      - .actual_access:  read_only
        .address_space:  global
        .offset:         8
        .size:           8
        .value_kind:     global_buffer
      - .actual_access:  read_only
        .address_space:  global
        .offset:         16
        .size:           8
        .value_kind:     global_buffer
      - .actual_access:  read_only
        .address_space:  global
        .offset:         24
        .size:           8
        .value_kind:     global_buffer
      - .actual_access:  read_only
        .address_space:  global
        .offset:         32
        .size:           8
        .value_kind:     global_buffer
      - .actual_access:  read_only
        .address_space:  global
        .offset:         40
        .size:           8
        .value_kind:     global_buffer
      - .actual_access:  write_only
        .address_space:  global
        .offset:         48
        .size:           8
        .value_kind:     global_buffer
      - .actual_access:  read_only
        .address_space:  global
        .offset:         56
        .size:           8
        .value_kind:     global_buffer
      - .actual_access:  read_only
        .address_space:  global
        .offset:         64
        .size:           8
        .value_kind:     global_buffer
      - .actual_access:  read_only
        .address_space:  global
        .offset:         72
        .size:           8
        .value_kind:     global_buffer
      - .actual_access:  read_only
        .address_space:  global
        .offset:         80
        .size:           8
        .value_kind:     global_buffer
      - .offset:         88
        .size:           4
        .value_kind:     by_value
      - .offset:         92
        .size:           4
        .value_kind:     by_value
      - .offset:         96
        .size:           4
        .value_kind:     by_value
      - .offset:         100
        .size:           4
        .value_kind:     by_value
      - .offset:         104
        .size:           4
        .value_kind:     by_value
      - .offset:         112
        .size:           8
        .value_kind:     by_value
      - .offset:         120
        .size:           8
        .value_kind:     by_value
      - .offset:         128
        .size:           8
        .value_kind:     by_value
    .group_segment_fixed_size: 65536
    .kernarg_segment_align: 8
    .kernarg_segment_size: 136
    .language:       OpenCL C
    .language_version:
      - 2
      - 0
    .max_flat_workgroup_size: 256
    .name:           _ZN12_GLOBAL__N_139chunk_gated_delta_rule_fwd_h_hip_kernelILi64ELb0ELb0ELb0ELb0ELb0ELb0ELb0ELb0EEEvPK12hip_bfloat16S3_S3_PKfS5_PKvPS1_S8_PvPKiSB_iiiiilll
    .private_segment_fixed_size: 0
    .sgpr_count:     69
    .sgpr_spill_count: 0
    .symbol:         _ZN12_GLOBAL__N_139chunk_gated_delta_rule_fwd_h_hip_kernelILi64ELb0ELb0ELb0ELb0ELb0ELb0ELb0ELb0EEEvPK12hip_bfloat16S3_S3_PKfS5_PKvPS1_S8_PvPKiSB_iiiiilll.kd
    .uniform_work_group_size: 1
    .uses_dynamic_stack: false
    .vgpr_count:     216
    .vgpr_spill_count: 0
    .wavefront_size: 64
  - .agpr_count:     20
    .args:
      - .actual_access:  read_only
        .address_space:  global
        .offset:         0
        .size:           8
        .value_kind:     global_buffer
      - .actual_access:  read_only
        .address_space:  global
        .offset:         8
        .size:           8
        .value_kind:     global_buffer
      - .actual_access:  read_only
        .address_space:  global
        .offset:         16
        .size:           8
        .value_kind:     global_buffer
      - .actual_access:  read_only
        .address_space:  global
        .offset:         24
        .size:           8
        .value_kind:     global_buffer
      - .actual_access:  read_only
        .address_space:  global
        .offset:         32
        .size:           8
        .value_kind:     global_buffer
      - .actual_access:  read_only
        .address_space:  global
        .offset:         40
        .size:           8
        .value_kind:     global_buffer
      - .actual_access:  write_only
        .address_space:  global
        .offset:         48
        .size:           8
        .value_kind:     global_buffer
      - .actual_access:  write_only
        .address_space:  global
        .offset:         56
        .size:           8
        .value_kind:     global_buffer
      - .actual_access:  write_only
        .address_space:  global
        .offset:         64
        .size:           8
        .value_kind:     global_buffer
      - .actual_access:  read_only
        .address_space:  global
        .offset:         72
        .size:           8
        .value_kind:     global_buffer
      - .actual_access:  read_only
        .address_space:  global
        .offset:         80
        .size:           8
        .value_kind:     global_buffer
      - .offset:         88
        .size:           4
        .value_kind:     by_value
      - .offset:         92
        .size:           4
        .value_kind:     by_value
      - .offset:         96
        .size:           4
        .value_kind:     by_value
      - .offset:         100
        .size:           4
        .value_kind:     by_value
      - .offset:         104
        .size:           4
        .value_kind:     by_value
      - .offset:         112
        .size:           8
        .value_kind:     by_value
      - .offset:         120
        .size:           8
        .value_kind:     by_value
      - .offset:         128
        .size:           8
        .value_kind:     by_value
    .group_segment_fixed_size: 49152
    .kernarg_segment_align: 8
    .kernarg_segment_size: 136
    .language:       OpenCL C
    .language_version:
      - 2
      - 0
    .max_flat_workgroup_size: 256
    .name:           _ZN12_GLOBAL__N_139chunk_gated_delta_rule_fwd_h_hip_kernelILi32ELb1ELb1ELb1ELb1ELb1ELb1ELb1ELb1EEEvPK12hip_bfloat16S3_S3_PKfS5_PKvPS1_S8_PvPKiSB_iiiiilll
    .private_segment_fixed_size: 0
    .sgpr_count:     76
    .sgpr_spill_count: 0
    .symbol:         _ZN12_GLOBAL__N_139chunk_gated_delta_rule_fwd_h_hip_kernelILi32ELb1ELb1ELb1ELb1ELb1ELb1ELb1ELb1EEEvPK12hip_bfloat16S3_S3_PKfS5_PKvPS1_S8_PvPKiSB_iiiiilll.kd
    .uniform_work_group_size: 1
    .uses_dynamic_stack: false
    .vgpr_count:     168
    .vgpr_spill_count: 0
    .wavefront_size: 64
  - .agpr_count:     20
    .args:
      - .actual_access:  read_only
        .address_space:  global
        .offset:         0
        .size:           8
        .value_kind:     global_buffer
      - .actual_access:  read_only
        .address_space:  global
        .offset:         8
        .size:           8
        .value_kind:     global_buffer
      - .actual_access:  read_only
        .address_space:  global
        .offset:         16
        .size:           8
        .value_kind:     global_buffer
      - .actual_access:  read_only
        .address_space:  global
        .offset:         24
        .size:           8
        .value_kind:     global_buffer
      - .actual_access:  read_only
        .address_space:  global
        .offset:         32
        .size:           8
        .value_kind:     global_buffer
      - .actual_access:  read_only
        .address_space:  global
        .offset:         40
        .size:           8
        .value_kind:     global_buffer
      - .actual_access:  write_only
        .address_space:  global
        .offset:         48
        .size:           8
        .value_kind:     global_buffer
      - .actual_access:  read_only
        .address_space:  global
        .offset:         56
        .size:           8
        .value_kind:     global_buffer
      - .actual_access:  write_only
        .address_space:  global
        .offset:         64
        .size:           8
        .value_kind:     global_buffer
      - .actual_access:  read_only
        .address_space:  global
        .offset:         72
        .size:           8
        .value_kind:     global_buffer
      - .actual_access:  read_only
        .address_space:  global
        .offset:         80
        .size:           8
        .value_kind:     global_buffer
      - .offset:         88
        .size:           4
        .value_kind:     by_value
      - .offset:         92
        .size:           4
        .value_kind:     by_value
      - .offset:         96
        .size:           4
        .value_kind:     by_value
      - .offset:         100
        .size:           4
        .value_kind:     by_value
      - .offset:         104
        .size:           4
        .value_kind:     by_value
      - .offset:         112
        .size:           8
        .value_kind:     by_value
      - .offset:         120
        .size:           8
        .value_kind:     by_value
      - .offset:         128
        .size:           8
        .value_kind:     by_value
    .group_segment_fixed_size: 49152
    .kernarg_segment_align: 8
    .kernarg_segment_size: 136
    .language:       OpenCL C
    .language_version:
      - 2
      - 0
    .max_flat_workgroup_size: 256
    .name:           _ZN12_GLOBAL__N_139chunk_gated_delta_rule_fwd_h_hip_kernelILi32ELb1ELb1ELb0ELb1ELb1ELb1ELb1ELb1EEEvPK12hip_bfloat16S3_S3_PKfS5_PKvPS1_S8_PvPKiSB_iiiiilll
    .private_segment_fixed_size: 0
    .sgpr_count:     72
    .sgpr_spill_count: 0
    .symbol:         _ZN12_GLOBAL__N_139chunk_gated_delta_rule_fwd_h_hip_kernelILi32ELb1ELb1ELb0ELb1ELb1ELb1ELb1ELb1EEEvPK12hip_bfloat16S3_S3_PKfS5_PKvPS1_S8_PvPKiSB_iiiiilll.kd
    .uniform_work_group_size: 1
    .uses_dynamic_stack: false
    .vgpr_count:     164
    .vgpr_spill_count: 0
    .wavefront_size: 64
  - .agpr_count:     20
    .args:
      - .actual_access:  read_only
        .address_space:  global
        .offset:         0
        .size:           8
        .value_kind:     global_buffer
      - .actual_access:  read_only
        .address_space:  global
        .offset:         8
        .size:           8
        .value_kind:     global_buffer
      - .actual_access:  read_only
        .address_space:  global
        .offset:         16
        .size:           8
        .value_kind:     global_buffer
      - .actual_access:  read_only
        .address_space:  global
        .offset:         24
        .size:           8
        .value_kind:     global_buffer
      - .actual_access:  read_only
        .address_space:  global
        .offset:         32
        .size:           8
        .value_kind:     global_buffer
      - .actual_access:  read_only
        .address_space:  global
        .offset:         40
        .size:           8
        .value_kind:     global_buffer
      - .actual_access:  write_only
        .address_space:  global
        .offset:         48
        .size:           8
        .value_kind:     global_buffer
      - .actual_access:  write_only
        .address_space:  global
        .offset:         56
        .size:           8
        .value_kind:     global_buffer
      - .actual_access:  read_only
        .address_space:  global
        .offset:         64
        .size:           8
        .value_kind:     global_buffer
      - .actual_access:  read_only
        .address_space:  global
        .offset:         72
        .size:           8
        .value_kind:     global_buffer
      - .actual_access:  read_only
        .address_space:  global
        .offset:         80
        .size:           8
        .value_kind:     global_buffer
      - .offset:         88
        .size:           4
        .value_kind:     by_value
      - .offset:         92
        .size:           4
        .value_kind:     by_value
      - .offset:         96
        .size:           4
        .value_kind:     by_value
      - .offset:         100
        .size:           4
        .value_kind:     by_value
      - .offset:         104
        .size:           4
        .value_kind:     by_value
      - .offset:         112
        .size:           8
        .value_kind:     by_value
      - .offset:         120
        .size:           8
        .value_kind:     by_value
      - .offset:         128
        .size:           8
        .value_kind:     by_value
    .group_segment_fixed_size: 49152
    .kernarg_segment_align: 8
    .kernarg_segment_size: 136
    .language:       OpenCL C
    .language_version:
      - 2
      - 0
    .max_flat_workgroup_size: 256
    .name:           _ZN12_GLOBAL__N_139chunk_gated_delta_rule_fwd_h_hip_kernelILi32ELb1ELb0ELb1ELb1ELb1ELb1ELb1ELb1EEEvPK12hip_bfloat16S3_S3_PKfS5_PKvPS1_S8_PvPKiSB_iiiiilll
    .private_segment_fixed_size: 0
    .sgpr_count:     70
    .sgpr_spill_count: 0
    .symbol:         _ZN12_GLOBAL__N_139chunk_gated_delta_rule_fwd_h_hip_kernelILi32ELb1ELb0ELb1ELb1ELb1ELb1ELb1ELb1EEEvPK12hip_bfloat16S3_S3_PKfS5_PKvPS1_S8_PvPKiSB_iiiiilll.kd
    .uniform_work_group_size: 1
    .uses_dynamic_stack: false
    .vgpr_count:     164
    .vgpr_spill_count: 0
    .wavefront_size: 64
  - .agpr_count:     20
    .args:
      - .actual_access:  read_only
        .address_space:  global
        .offset:         0
        .size:           8
        .value_kind:     global_buffer
      - .actual_access:  read_only
        .address_space:  global
        .offset:         8
        .size:           8
        .value_kind:     global_buffer
      - .actual_access:  read_only
        .address_space:  global
        .offset:         16
        .size:           8
        .value_kind:     global_buffer
      - .actual_access:  read_only
        .address_space:  global
        .offset:         24
        .size:           8
        .value_kind:     global_buffer
      - .actual_access:  read_only
        .address_space:  global
        .offset:         32
        .size:           8
        .value_kind:     global_buffer
      - .actual_access:  read_only
        .address_space:  global
        .offset:         40
        .size:           8
        .value_kind:     global_buffer
      - .actual_access:  write_only
        .address_space:  global
        .offset:         48
        .size:           8
        .value_kind:     global_buffer
      - .actual_access:  read_only
        .address_space:  global
        .offset:         56
        .size:           8
        .value_kind:     global_buffer
      - .actual_access:  read_only
        .address_space:  global
        .offset:         64
        .size:           8
        .value_kind:     global_buffer
      - .actual_access:  read_only
        .address_space:  global
        .offset:         72
        .size:           8
        .value_kind:     global_buffer
      - .actual_access:  read_only
        .address_space:  global
        .offset:         80
        .size:           8
        .value_kind:     global_buffer
      - .offset:         88
        .size:           4
        .value_kind:     by_value
      - .offset:         92
        .size:           4
        .value_kind:     by_value
      - .offset:         96
        .size:           4
        .value_kind:     by_value
      - .offset:         100
        .size:           4
        .value_kind:     by_value
      - .offset:         104
        .size:           4
        .value_kind:     by_value
      - .offset:         112
        .size:           8
        .value_kind:     by_value
      - .offset:         120
        .size:           8
        .value_kind:     by_value
      - .offset:         128
        .size:           8
        .value_kind:     by_value
    .group_segment_fixed_size: 49152
    .kernarg_segment_align: 8
    .kernarg_segment_size: 136
    .language:       OpenCL C
    .language_version:
      - 2
      - 0
    .max_flat_workgroup_size: 256
    .name:           _ZN12_GLOBAL__N_139chunk_gated_delta_rule_fwd_h_hip_kernelILi32ELb1ELb0ELb0ELb1ELb1ELb1ELb1ELb1EEEvPK12hip_bfloat16S3_S3_PKfS5_PKvPS1_S8_PvPKiSB_iiiiilll
    .private_segment_fixed_size: 0
    .sgpr_count:     68
    .sgpr_spill_count: 0
    .symbol:         _ZN12_GLOBAL__N_139chunk_gated_delta_rule_fwd_h_hip_kernelILi32ELb1ELb0ELb0ELb1ELb1ELb1ELb1ELb1EEEvPK12hip_bfloat16S3_S3_PKfS5_PKvPS1_S8_PvPKiSB_iiiiilll.kd
    .uniform_work_group_size: 1
    .uses_dynamic_stack: false
    .vgpr_count:     160
    .vgpr_spill_count: 0
    .wavefront_size: 64
  - .agpr_count:     20
    .args:
      - .actual_access:  read_only
        .address_space:  global
        .offset:         0
        .size:           8
        .value_kind:     global_buffer
      - .actual_access:  read_only
        .address_space:  global
        .offset:         8
        .size:           8
        .value_kind:     global_buffer
      - .actual_access:  read_only
        .address_space:  global
        .offset:         16
        .size:           8
        .value_kind:     global_buffer
      - .actual_access:  read_only
        .address_space:  global
        .offset:         24
        .size:           8
        .value_kind:     global_buffer
      - .actual_access:  read_only
        .address_space:  global
        .offset:         32
        .size:           8
        .value_kind:     global_buffer
      - .actual_access:  read_only
        .address_space:  global
        .offset:         40
        .size:           8
        .value_kind:     global_buffer
      - .actual_access:  write_only
        .address_space:  global
        .offset:         48
        .size:           8
        .value_kind:     global_buffer
      - .actual_access:  write_only
        .address_space:  global
        .offset:         56
        .size:           8
        .value_kind:     global_buffer
      - .actual_access:  write_only
        .address_space:  global
        .offset:         64
        .size:           8
        .value_kind:     global_buffer
      - .actual_access:  read_only
        .address_space:  global
        .offset:         72
        .size:           8
        .value_kind:     global_buffer
      - .actual_access:  read_only
        .address_space:  global
        .offset:         80
        .size:           8
        .value_kind:     global_buffer
      - .offset:         88
        .size:           4
        .value_kind:     by_value
      - .offset:         92
        .size:           4
        .value_kind:     by_value
      - .offset:         96
        .size:           4
        .value_kind:     by_value
      - .offset:         100
        .size:           4
        .value_kind:     by_value
      - .offset:         104
        .size:           4
        .value_kind:     by_value
      - .offset:         112
        .size:           8
        .value_kind:     by_value
      - .offset:         120
        .size:           8
        .value_kind:     by_value
      - .offset:         128
        .size:           8
        .value_kind:     by_value
    .group_segment_fixed_size: 49152
    .kernarg_segment_align: 8
    .kernarg_segment_size: 136
    .language:       OpenCL C
    .language_version:
      - 2
      - 0
    .max_flat_workgroup_size: 256
    .name:           _ZN12_GLOBAL__N_139chunk_gated_delta_rule_fwd_h_hip_kernelILi32ELb0ELb1ELb1ELb1ELb1ELb1ELb1ELb1EEEvPK12hip_bfloat16S3_S3_PKfS5_PKvPS1_S8_PvPKiSB_iiiiilll
    .private_segment_fixed_size: 0
    .sgpr_count:     76
    .sgpr_spill_count: 0
    .symbol:         _ZN12_GLOBAL__N_139chunk_gated_delta_rule_fwd_h_hip_kernelILi32ELb0ELb1ELb1ELb1ELb1ELb1ELb1ELb1EEEvPK12hip_bfloat16S3_S3_PKfS5_PKvPS1_S8_PvPKiSB_iiiiilll.kd
    .uniform_work_group_size: 1
    .uses_dynamic_stack: false
    .vgpr_count:     164
    .vgpr_spill_count: 0
    .wavefront_size: 64
  - .agpr_count:     20
    .args:
      - .actual_access:  read_only
        .address_space:  global
        .offset:         0
        .size:           8
        .value_kind:     global_buffer
      - .actual_access:  read_only
        .address_space:  global
        .offset:         8
        .size:           8
        .value_kind:     global_buffer
      - .actual_access:  read_only
        .address_space:  global
        .offset:         16
        .size:           8
        .value_kind:     global_buffer
      - .actual_access:  read_only
        .address_space:  global
        .offset:         24
        .size:           8
        .value_kind:     global_buffer
      - .actual_access:  read_only
        .address_space:  global
        .offset:         32
        .size:           8
        .value_kind:     global_buffer
      - .actual_access:  read_only
        .address_space:  global
        .offset:         40
        .size:           8
        .value_kind:     global_buffer
      - .actual_access:  write_only
        .address_space:  global
        .offset:         48
        .size:           8
        .value_kind:     global_buffer
      - .actual_access:  read_only
        .address_space:  global
        .offset:         56
        .size:           8
        .value_kind:     global_buffer
      - .actual_access:  write_only
        .address_space:  global
        .offset:         64
        .size:           8
        .value_kind:     global_buffer
      - .actual_access:  read_only
        .address_space:  global
        .offset:         72
        .size:           8
        .value_kind:     global_buffer
      - .actual_access:  read_only
        .address_space:  global
        .offset:         80
        .size:           8
        .value_kind:     global_buffer
      - .offset:         88
        .size:           4
        .value_kind:     by_value
      - .offset:         92
        .size:           4
        .value_kind:     by_value
      - .offset:         96
        .size:           4
        .value_kind:     by_value
      - .offset:         100
        .size:           4
        .value_kind:     by_value
      - .offset:         104
        .size:           4
        .value_kind:     by_value
      - .offset:         112
        .size:           8
        .value_kind:     by_value
      - .offset:         120
        .size:           8
        .value_kind:     by_value
      - .offset:         128
        .size:           8
        .value_kind:     by_value
    .group_segment_fixed_size: 49152
    .kernarg_segment_align: 8
    .kernarg_segment_size: 136
    .language:       OpenCL C
    .language_version:
      - 2
      - 0
    .max_flat_workgroup_size: 256
    .name:           _ZN12_GLOBAL__N_139chunk_gated_delta_rule_fwd_h_hip_kernelILi32ELb0ELb1ELb0ELb1ELb1ELb1ELb1ELb1EEEvPK12hip_bfloat16S3_S3_PKfS5_PKvPS1_S8_PvPKiSB_iiiiilll
    .private_segment_fixed_size: 0
    .sgpr_count:     72
    .sgpr_spill_count: 0
    .symbol:         _ZN12_GLOBAL__N_139chunk_gated_delta_rule_fwd_h_hip_kernelILi32ELb0ELb1ELb0ELb1ELb1ELb1ELb1ELb1EEEvPK12hip_bfloat16S3_S3_PKfS5_PKvPS1_S8_PvPKiSB_iiiiilll.kd
    .uniform_work_group_size: 1
    .uses_dynamic_stack: false
    .vgpr_count:     160
    .vgpr_spill_count: 0
    .wavefront_size: 64
  - .agpr_count:     20
    .args:
      - .actual_access:  read_only
        .address_space:  global
        .offset:         0
        .size:           8
        .value_kind:     global_buffer
      - .actual_access:  read_only
        .address_space:  global
        .offset:         8
        .size:           8
        .value_kind:     global_buffer
      - .actual_access:  read_only
        .address_space:  global
        .offset:         16
        .size:           8
        .value_kind:     global_buffer
      - .actual_access:  read_only
        .address_space:  global
        .offset:         24
        .size:           8
        .value_kind:     global_buffer
      - .actual_access:  read_only
        .address_space:  global
        .offset:         32
        .size:           8
        .value_kind:     global_buffer
      - .actual_access:  read_only
        .address_space:  global
        .offset:         40
        .size:           8
        .value_kind:     global_buffer
      - .actual_access:  write_only
        .address_space:  global
        .offset:         48
        .size:           8
        .value_kind:     global_buffer
      - .actual_access:  write_only
        .address_space:  global
        .offset:         56
        .size:           8
        .value_kind:     global_buffer
      - .actual_access:  read_only
        .address_space:  global
        .offset:         64
        .size:           8
        .value_kind:     global_buffer
      - .actual_access:  read_only
        .address_space:  global
        .offset:         72
        .size:           8
        .value_kind:     global_buffer
      - .actual_access:  read_only
        .address_space:  global
        .offset:         80
        .size:           8
        .value_kind:     global_buffer
      - .offset:         88
        .size:           4
        .value_kind:     by_value
      - .offset:         92
        .size:           4
        .value_kind:     by_value
      - .offset:         96
        .size:           4
        .value_kind:     by_value
      - .offset:         100
        .size:           4
        .value_kind:     by_value
      - .offset:         104
        .size:           4
        .value_kind:     by_value
      - .offset:         112
        .size:           8
        .value_kind:     by_value
      - .offset:         120
        .size:           8
        .value_kind:     by_value
      - .offset:         128
        .size:           8
        .value_kind:     by_value
    .group_segment_fixed_size: 49152
    .kernarg_segment_align: 8
    .kernarg_segment_size: 136
    .language:       OpenCL C
    .language_version:
      - 2
      - 0
    .max_flat_workgroup_size: 256
    .name:           _ZN12_GLOBAL__N_139chunk_gated_delta_rule_fwd_h_hip_kernelILi32ELb0ELb0ELb1ELb1ELb1ELb1ELb1ELb1EEEvPK12hip_bfloat16S3_S3_PKfS5_PKvPS1_S8_PvPKiSB_iiiiilll
    .private_segment_fixed_size: 0
    .sgpr_count:     69
    .sgpr_spill_count: 0
    .symbol:         _ZN12_GLOBAL__N_139chunk_gated_delta_rule_fwd_h_hip_kernelILi32ELb0ELb0ELb1ELb1ELb1ELb1ELb1ELb1EEEvPK12hip_bfloat16S3_S3_PKfS5_PKvPS1_S8_PvPKiSB_iiiiilll.kd
    .uniform_work_group_size: 1
    .uses_dynamic_stack: false
    .vgpr_count:     164
    .vgpr_spill_count: 0
    .wavefront_size: 64
  - .agpr_count:     20
    .args:
      - .actual_access:  read_only
        .address_space:  global
        .offset:         0
        .size:           8
        .value_kind:     global_buffer
      - .actual_access:  read_only
        .address_space:  global
        .offset:         8
        .size:           8
        .value_kind:     global_buffer
      - .actual_access:  read_only
        .address_space:  global
        .offset:         16
        .size:           8
        .value_kind:     global_buffer
      - .actual_access:  read_only
        .address_space:  global
        .offset:         24
        .size:           8
        .value_kind:     global_buffer
      - .actual_access:  read_only
        .address_space:  global
        .offset:         32
        .size:           8
        .value_kind:     global_buffer
      - .actual_access:  read_only
        .address_space:  global
        .offset:         40
        .size:           8
        .value_kind:     global_buffer
      - .actual_access:  write_only
        .address_space:  global
        .offset:         48
        .size:           8
        .value_kind:     global_buffer
      - .actual_access:  read_only
        .address_space:  global
        .offset:         56
        .size:           8
        .value_kind:     global_buffer
      - .actual_access:  read_only
        .address_space:  global
        .offset:         64
        .size:           8
        .value_kind:     global_buffer
      - .actual_access:  read_only
        .address_space:  global
        .offset:         72
        .size:           8
        .value_kind:     global_buffer
      - .actual_access:  read_only
        .address_space:  global
        .offset:         80
        .size:           8
        .value_kind:     global_buffer
      - .offset:         88
        .size:           4
        .value_kind:     by_value
      - .offset:         92
        .size:           4
        .value_kind:     by_value
      - .offset:         96
        .size:           4
        .value_kind:     by_value
      - .offset:         100
        .size:           4
        .value_kind:     by_value
      - .offset:         104
        .size:           4
        .value_kind:     by_value
      - .offset:         112
        .size:           8
        .value_kind:     by_value
      - .offset:         120
        .size:           8
        .value_kind:     by_value
      - .offset:         128
        .size:           8
        .value_kind:     by_value
    .group_segment_fixed_size: 49152
    .kernarg_segment_align: 8
    .kernarg_segment_size: 136
    .language:       OpenCL C
    .language_version:
      - 2
      - 0
    .max_flat_workgroup_size: 256
    .name:           _ZN12_GLOBAL__N_139chunk_gated_delta_rule_fwd_h_hip_kernelILi32ELb0ELb0ELb0ELb1ELb1ELb1ELb1ELb1EEEvPK12hip_bfloat16S3_S3_PKfS5_PKvPS1_S8_PvPKiSB_iiiiilll
    .private_segment_fixed_size: 0
    .sgpr_count:     67
    .sgpr_spill_count: 0
    .symbol:         _ZN12_GLOBAL__N_139chunk_gated_delta_rule_fwd_h_hip_kernelILi32ELb0ELb0ELb0ELb1ELb1ELb1ELb1ELb1EEEvPK12hip_bfloat16S3_S3_PKfS5_PKvPS1_S8_PvPKiSB_iiiiilll.kd
    .uniform_work_group_size: 1
    .uses_dynamic_stack: false
    .vgpr_count:     160
    .vgpr_spill_count: 0
    .wavefront_size: 64
  - .agpr_count:     20
    .args:
      - .actual_access:  read_only
        .address_space:  global
        .offset:         0
        .size:           8
        .value_kind:     global_buffer
      - .actual_access:  read_only
        .address_space:  global
        .offset:         8
        .size:           8
        .value_kind:     global_buffer
      - .actual_access:  read_only
        .address_space:  global
        .offset:         16
        .size:           8
        .value_kind:     global_buffer
      - .actual_access:  read_only
        .address_space:  global
        .offset:         24
        .size:           8
        .value_kind:     global_buffer
      - .actual_access:  read_only
        .address_space:  global
        .offset:         32
        .size:           8
        .value_kind:     global_buffer
      - .actual_access:  read_only
        .address_space:  global
        .offset:         40
        .size:           8
        .value_kind:     global_buffer
      - .actual_access:  write_only
        .address_space:  global
        .offset:         48
        .size:           8
        .value_kind:     global_buffer
      - .actual_access:  write_only
        .address_space:  global
        .offset:         56
        .size:           8
        .value_kind:     global_buffer
      - .actual_access:  write_only
        .address_space:  global
        .offset:         64
        .size:           8
        .value_kind:     global_buffer
      - .actual_access:  read_only
        .address_space:  global
        .offset:         72
        .size:           8
        .value_kind:     global_buffer
      - .actual_access:  read_only
        .address_space:  global
        .offset:         80
        .size:           8
        .value_kind:     global_buffer
      - .offset:         88
        .size:           4
        .value_kind:     by_value
      - .offset:         92
        .size:           4
        .value_kind:     by_value
      - .offset:         96
        .size:           4
        .value_kind:     by_value
      - .offset:         100
        .size:           4
        .value_kind:     by_value
      - .offset:         104
        .size:           4
        .value_kind:     by_value
      - .offset:         112
        .size:           8
        .value_kind:     by_value
      - .offset:         120
        .size:           8
        .value_kind:     by_value
      - .offset:         128
        .size:           8
        .value_kind:     by_value
    .group_segment_fixed_size: 49152
    .kernarg_segment_align: 8
    .kernarg_segment_size: 136
    .language:       OpenCL C
    .language_version:
      - 2
      - 0
    .max_flat_workgroup_size: 256
    .name:           _ZN12_GLOBAL__N_139chunk_gated_delta_rule_fwd_h_hip_kernelILi32ELb1ELb1ELb1ELb0ELb1ELb1ELb1ELb1EEEvPK12hip_bfloat16S3_S3_PKfS5_PKvPS1_S8_PvPKiSB_iiiiilll
    .private_segment_fixed_size: 0
    .sgpr_count:     82
    .sgpr_spill_count: 0
    .symbol:         _ZN12_GLOBAL__N_139chunk_gated_delta_rule_fwd_h_hip_kernelILi32ELb1ELb1ELb1ELb0ELb1ELb1ELb1ELb1EEEvPK12hip_bfloat16S3_S3_PKfS5_PKvPS1_S8_PvPKiSB_iiiiilll.kd
    .uniform_work_group_size: 1
    .uses_dynamic_stack: false
    .vgpr_count:     168
    .vgpr_spill_count: 0
    .wavefront_size: 64
  - .agpr_count:     20
    .args:
      - .actual_access:  read_only
        .address_space:  global
        .offset:         0
        .size:           8
        .value_kind:     global_buffer
      - .actual_access:  read_only
        .address_space:  global
        .offset:         8
        .size:           8
        .value_kind:     global_buffer
      - .actual_access:  read_only
        .address_space:  global
        .offset:         16
        .size:           8
        .value_kind:     global_buffer
      - .actual_access:  read_only
        .address_space:  global
        .offset:         24
        .size:           8
        .value_kind:     global_buffer
      - .actual_access:  read_only
        .address_space:  global
        .offset:         32
        .size:           8
        .value_kind:     global_buffer
      - .actual_access:  read_only
        .address_space:  global
        .offset:         40
        .size:           8
        .value_kind:     global_buffer
      - .actual_access:  write_only
        .address_space:  global
        .offset:         48
        .size:           8
        .value_kind:     global_buffer
      - .actual_access:  read_only
        .address_space:  global
        .offset:         56
        .size:           8
        .value_kind:     global_buffer
      - .actual_access:  write_only
        .address_space:  global
        .offset:         64
        .size:           8
        .value_kind:     global_buffer
      - .actual_access:  read_only
        .address_space:  global
        .offset:         72
        .size:           8
        .value_kind:     global_buffer
      - .actual_access:  read_only
        .address_space:  global
        .offset:         80
        .size:           8
        .value_kind:     global_buffer
      - .offset:         88
        .size:           4
        .value_kind:     by_value
      - .offset:         92
        .size:           4
        .value_kind:     by_value
      - .offset:         96
        .size:           4
        .value_kind:     by_value
      - .offset:         100
        .size:           4
        .value_kind:     by_value
      - .offset:         104
        .size:           4
        .value_kind:     by_value
      - .offset:         112
        .size:           8
        .value_kind:     by_value
      - .offset:         120
        .size:           8
        .value_kind:     by_value
      - .offset:         128
        .size:           8
        .value_kind:     by_value
    .group_segment_fixed_size: 49152
    .kernarg_segment_align: 8
    .kernarg_segment_size: 136
    .language:       OpenCL C
    .language_version:
      - 2
      - 0
    .max_flat_workgroup_size: 256
    .name:           _ZN12_GLOBAL__N_139chunk_gated_delta_rule_fwd_h_hip_kernelILi32ELb1ELb1ELb0ELb0ELb1ELb1ELb1ELb1EEEvPK12hip_bfloat16S3_S3_PKfS5_PKvPS1_S8_PvPKiSB_iiiiilll
    .private_segment_fixed_size: 0
    .sgpr_count:     78
    .sgpr_spill_count: 0
    .symbol:         _ZN12_GLOBAL__N_139chunk_gated_delta_rule_fwd_h_hip_kernelILi32ELb1ELb1ELb0ELb0ELb1ELb1ELb1ELb1EEEvPK12hip_bfloat16S3_S3_PKfS5_PKvPS1_S8_PvPKiSB_iiiiilll.kd
    .uniform_work_group_size: 1
    .uses_dynamic_stack: false
    .vgpr_count:     164
    .vgpr_spill_count: 0
    .wavefront_size: 64
  - .agpr_count:     20
    .args:
      - .actual_access:  read_only
        .address_space:  global
        .offset:         0
        .size:           8
        .value_kind:     global_buffer
      - .actual_access:  read_only
        .address_space:  global
        .offset:         8
        .size:           8
        .value_kind:     global_buffer
      - .actual_access:  read_only
        .address_space:  global
        .offset:         16
        .size:           8
        .value_kind:     global_buffer
      - .actual_access:  read_only
        .address_space:  global
        .offset:         24
        .size:           8
        .value_kind:     global_buffer
      - .actual_access:  read_only
        .address_space:  global
        .offset:         32
        .size:           8
        .value_kind:     global_buffer
      - .actual_access:  read_only
        .address_space:  global
        .offset:         40
        .size:           8
        .value_kind:     global_buffer
      - .actual_access:  write_only
        .address_space:  global
        .offset:         48
        .size:           8
        .value_kind:     global_buffer
      - .actual_access:  write_only
        .address_space:  global
        .offset:         56
        .size:           8
        .value_kind:     global_buffer
      - .actual_access:  read_only
        .address_space:  global
        .offset:         64
        .size:           8
        .value_kind:     global_buffer
      - .actual_access:  read_only
        .address_space:  global
        .offset:         72
        .size:           8
        .value_kind:     global_buffer
      - .actual_access:  read_only
        .address_space:  global
        .offset:         80
        .size:           8
        .value_kind:     global_buffer
      - .offset:         88
        .size:           4
        .value_kind:     by_value
      - .offset:         92
        .size:           4
        .value_kind:     by_value
      - .offset:         96
        .size:           4
        .value_kind:     by_value
      - .offset:         100
        .size:           4
        .value_kind:     by_value
      - .offset:         104
        .size:           4
        .value_kind:     by_value
      - .offset:         112
        .size:           8
        .value_kind:     by_value
      - .offset:         120
        .size:           8
        .value_kind:     by_value
      - .offset:         128
        .size:           8
        .value_kind:     by_value
    .group_segment_fixed_size: 49152
    .kernarg_segment_align: 8
    .kernarg_segment_size: 136
    .language:       OpenCL C
    .language_version:
      - 2
      - 0
    .max_flat_workgroup_size: 256
    .name:           _ZN12_GLOBAL__N_139chunk_gated_delta_rule_fwd_h_hip_kernelILi32ELb1ELb0ELb1ELb0ELb1ELb1ELb1ELb1EEEvPK12hip_bfloat16S3_S3_PKfS5_PKvPS1_S8_PvPKiSB_iiiiilll
    .private_segment_fixed_size: 0
    .sgpr_count:     76
    .sgpr_spill_count: 0
    .symbol:         _ZN12_GLOBAL__N_139chunk_gated_delta_rule_fwd_h_hip_kernelILi32ELb1ELb0ELb1ELb0ELb1ELb1ELb1ELb1EEEvPK12hip_bfloat16S3_S3_PKfS5_PKvPS1_S8_PvPKiSB_iiiiilll.kd
    .uniform_work_group_size: 1
    .uses_dynamic_stack: false
    .vgpr_count:     164
    .vgpr_spill_count: 0
    .wavefront_size: 64
  - .agpr_count:     20
    .args:
      - .actual_access:  read_only
        .address_space:  global
        .offset:         0
        .size:           8
        .value_kind:     global_buffer
      - .actual_access:  read_only
        .address_space:  global
        .offset:         8
        .size:           8
        .value_kind:     global_buffer
      - .actual_access:  read_only
        .address_space:  global
        .offset:         16
        .size:           8
        .value_kind:     global_buffer
      - .actual_access:  read_only
        .address_space:  global
        .offset:         24
        .size:           8
        .value_kind:     global_buffer
      - .actual_access:  read_only
        .address_space:  global
        .offset:         32
        .size:           8
        .value_kind:     global_buffer
      - .actual_access:  read_only
        .address_space:  global
        .offset:         40
        .size:           8
        .value_kind:     global_buffer
      - .actual_access:  write_only
        .address_space:  global
        .offset:         48
        .size:           8
        .value_kind:     global_buffer
      - .actual_access:  read_only
        .address_space:  global
        .offset:         56
        .size:           8
        .value_kind:     global_buffer
      - .actual_access:  read_only
        .address_space:  global
        .offset:         64
        .size:           8
        .value_kind:     global_buffer
      - .actual_access:  read_only
        .address_space:  global
        .offset:         72
        .size:           8
        .value_kind:     global_buffer
      - .actual_access:  read_only
        .address_space:  global
        .offset:         80
        .size:           8
        .value_kind:     global_buffer
      - .offset:         88
        .size:           4
        .value_kind:     by_value
      - .offset:         92
        .size:           4
        .value_kind:     by_value
      - .offset:         96
        .size:           4
        .value_kind:     by_value
      - .offset:         100
        .size:           4
        .value_kind:     by_value
      - .offset:         104
        .size:           4
        .value_kind:     by_value
      - .offset:         112
        .size:           8
        .value_kind:     by_value
      - .offset:         120
        .size:           8
        .value_kind:     by_value
      - .offset:         128
        .size:           8
        .value_kind:     by_value
    .group_segment_fixed_size: 49152
    .kernarg_segment_align: 8
    .kernarg_segment_size: 136
    .language:       OpenCL C
    .language_version:
      - 2
      - 0
    .max_flat_workgroup_size: 256
    .name:           _ZN12_GLOBAL__N_139chunk_gated_delta_rule_fwd_h_hip_kernelILi32ELb1ELb0ELb0ELb0ELb1ELb1ELb1ELb1EEEvPK12hip_bfloat16S3_S3_PKfS5_PKvPS1_S8_PvPKiSB_iiiiilll
    .private_segment_fixed_size: 0
    .sgpr_count:     74
    .sgpr_spill_count: 0
    .symbol:         _ZN12_GLOBAL__N_139chunk_gated_delta_rule_fwd_h_hip_kernelILi32ELb1ELb0ELb0ELb0ELb1ELb1ELb1ELb1EEEvPK12hip_bfloat16S3_S3_PKfS5_PKvPS1_S8_PvPKiSB_iiiiilll.kd
    .uniform_work_group_size: 1
    .uses_dynamic_stack: false
    .vgpr_count:     160
    .vgpr_spill_count: 0
    .wavefront_size: 64
  - .agpr_count:     20
    .args:
      - .actual_access:  read_only
        .address_space:  global
        .offset:         0
        .size:           8
        .value_kind:     global_buffer
      - .actual_access:  read_only
        .address_space:  global
        .offset:         8
        .size:           8
        .value_kind:     global_buffer
      - .actual_access:  read_only
        .address_space:  global
        .offset:         16
        .size:           8
        .value_kind:     global_buffer
      - .actual_access:  read_only
        .address_space:  global
        .offset:         24
        .size:           8
        .value_kind:     global_buffer
      - .actual_access:  read_only
        .address_space:  global
        .offset:         32
        .size:           8
        .value_kind:     global_buffer
      - .actual_access:  read_only
        .address_space:  global
        .offset:         40
        .size:           8
        .value_kind:     global_buffer
      - .actual_access:  write_only
        .address_space:  global
        .offset:         48
        .size:           8
        .value_kind:     global_buffer
      - .actual_access:  write_only
        .address_space:  global
        .offset:         56
        .size:           8
        .value_kind:     global_buffer
      - .actual_access:  write_only
        .address_space:  global
        .offset:         64
        .size:           8
        .value_kind:     global_buffer
      - .actual_access:  read_only
        .address_space:  global
        .offset:         72
        .size:           8
        .value_kind:     global_buffer
      - .actual_access:  read_only
        .address_space:  global
        .offset:         80
        .size:           8
        .value_kind:     global_buffer
      - .offset:         88
        .size:           4
        .value_kind:     by_value
      - .offset:         92
        .size:           4
        .value_kind:     by_value
      - .offset:         96
        .size:           4
        .value_kind:     by_value
      - .offset:         100
        .size:           4
        .value_kind:     by_value
      - .offset:         104
        .size:           4
        .value_kind:     by_value
      - .offset:         112
        .size:           8
        .value_kind:     by_value
      - .offset:         120
        .size:           8
        .value_kind:     by_value
      - .offset:         128
        .size:           8
        .value_kind:     by_value
    .group_segment_fixed_size: 49152
    .kernarg_segment_align: 8
    .kernarg_segment_size: 136
    .language:       OpenCL C
    .language_version:
      - 2
      - 0
    .max_flat_workgroup_size: 256
    .name:           _ZN12_GLOBAL__N_139chunk_gated_delta_rule_fwd_h_hip_kernelILi32ELb0ELb1ELb1ELb0ELb1ELb1ELb1ELb1EEEvPK12hip_bfloat16S3_S3_PKfS5_PKvPS1_S8_PvPKiSB_iiiiilll
    .private_segment_fixed_size: 0
    .sgpr_count:     78
    .sgpr_spill_count: 0
    .symbol:         _ZN12_GLOBAL__N_139chunk_gated_delta_rule_fwd_h_hip_kernelILi32ELb0ELb1ELb1ELb0ELb1ELb1ELb1ELb1EEEvPK12hip_bfloat16S3_S3_PKfS5_PKvPS1_S8_PvPKiSB_iiiiilll.kd
    .uniform_work_group_size: 1
    .uses_dynamic_stack: false
    .vgpr_count:     164
    .vgpr_spill_count: 0
    .wavefront_size: 64
  - .agpr_count:     20
    .args:
      - .actual_access:  read_only
        .address_space:  global
        .offset:         0
        .size:           8
        .value_kind:     global_buffer
      - .actual_access:  read_only
        .address_space:  global
        .offset:         8
        .size:           8
        .value_kind:     global_buffer
      - .actual_access:  read_only
        .address_space:  global
        .offset:         16
        .size:           8
        .value_kind:     global_buffer
      - .actual_access:  read_only
        .address_space:  global
        .offset:         24
        .size:           8
        .value_kind:     global_buffer
      - .actual_access:  read_only
        .address_space:  global
        .offset:         32
        .size:           8
        .value_kind:     global_buffer
      - .actual_access:  read_only
        .address_space:  global
        .offset:         40
        .size:           8
        .value_kind:     global_buffer
      - .actual_access:  write_only
        .address_space:  global
        .offset:         48
        .size:           8
        .value_kind:     global_buffer
      - .actual_access:  read_only
        .address_space:  global
        .offset:         56
        .size:           8
        .value_kind:     global_buffer
      - .actual_access:  write_only
        .address_space:  global
        .offset:         64
        .size:           8
        .value_kind:     global_buffer
      - .actual_access:  read_only
        .address_space:  global
        .offset:         72
        .size:           8
        .value_kind:     global_buffer
      - .actual_access:  read_only
        .address_space:  global
        .offset:         80
        .size:           8
        .value_kind:     global_buffer
      - .offset:         88
        .size:           4
        .value_kind:     by_value
      - .offset:         92
        .size:           4
        .value_kind:     by_value
      - .offset:         96
        .size:           4
        .value_kind:     by_value
      - .offset:         100
        .size:           4
        .value_kind:     by_value
      - .offset:         104
        .size:           4
        .value_kind:     by_value
      - .offset:         112
        .size:           8
        .value_kind:     by_value
      - .offset:         120
        .size:           8
        .value_kind:     by_value
      - .offset:         128
        .size:           8
        .value_kind:     by_value
    .group_segment_fixed_size: 49152
    .kernarg_segment_align: 8
    .kernarg_segment_size: 136
    .language:       OpenCL C
    .language_version:
      - 2
      - 0
    .max_flat_workgroup_size: 256
    .name:           _ZN12_GLOBAL__N_139chunk_gated_delta_rule_fwd_h_hip_kernelILi32ELb0ELb1ELb0ELb0ELb1ELb1ELb1ELb1EEEvPK12hip_bfloat16S3_S3_PKfS5_PKvPS1_S8_PvPKiSB_iiiiilll
    .private_segment_fixed_size: 0
    .sgpr_count:     73
    .sgpr_spill_count: 0
    .symbol:         _ZN12_GLOBAL__N_139chunk_gated_delta_rule_fwd_h_hip_kernelILi32ELb0ELb1ELb0ELb0ELb1ELb1ELb1ELb1EEEvPK12hip_bfloat16S3_S3_PKfS5_PKvPS1_S8_PvPKiSB_iiiiilll.kd
    .uniform_work_group_size: 1
    .uses_dynamic_stack: false
    .vgpr_count:     160
    .vgpr_spill_count: 0
    .wavefront_size: 64
  - .agpr_count:     20
    .args:
      - .actual_access:  read_only
        .address_space:  global
        .offset:         0
        .size:           8
        .value_kind:     global_buffer
      - .actual_access:  read_only
        .address_space:  global
        .offset:         8
        .size:           8
        .value_kind:     global_buffer
      - .actual_access:  read_only
        .address_space:  global
        .offset:         16
        .size:           8
        .value_kind:     global_buffer
      - .actual_access:  read_only
        .address_space:  global
        .offset:         24
        .size:           8
        .value_kind:     global_buffer
      - .actual_access:  read_only
        .address_space:  global
        .offset:         32
        .size:           8
        .value_kind:     global_buffer
      - .actual_access:  read_only
        .address_space:  global
        .offset:         40
        .size:           8
        .value_kind:     global_buffer
      - .actual_access:  write_only
        .address_space:  global
        .offset:         48
        .size:           8
        .value_kind:     global_buffer
      - .actual_access:  write_only
        .address_space:  global
        .offset:         56
        .size:           8
        .value_kind:     global_buffer
      - .actual_access:  read_only
        .address_space:  global
        .offset:         64
        .size:           8
        .value_kind:     global_buffer
      - .actual_access:  read_only
        .address_space:  global
        .offset:         72
        .size:           8
        .value_kind:     global_buffer
      - .actual_access:  read_only
        .address_space:  global
        .offset:         80
        .size:           8
        .value_kind:     global_buffer
      - .offset:         88
        .size:           4
        .value_kind:     by_value
      - .offset:         92
        .size:           4
        .value_kind:     by_value
      - .offset:         96
        .size:           4
        .value_kind:     by_value
      - .offset:         100
        .size:           4
        .value_kind:     by_value
      - .offset:         104
        .size:           4
        .value_kind:     by_value
      - .offset:         112
        .size:           8
        .value_kind:     by_value
      - .offset:         120
        .size:           8
        .value_kind:     by_value
      - .offset:         128
        .size:           8
        .value_kind:     by_value
    .group_segment_fixed_size: 49152
    .kernarg_segment_align: 8
    .kernarg_segment_size: 136
    .language:       OpenCL C
    .language_version:
      - 2
      - 0
    .max_flat_workgroup_size: 256
    .name:           _ZN12_GLOBAL__N_139chunk_gated_delta_rule_fwd_h_hip_kernelILi32ELb0ELb0ELb1ELb0ELb1ELb1ELb1ELb1EEEvPK12hip_bfloat16S3_S3_PKfS5_PKvPS1_S8_PvPKiSB_iiiiilll
    .private_segment_fixed_size: 0
    .sgpr_count:     73
    .sgpr_spill_count: 0
    .symbol:         _ZN12_GLOBAL__N_139chunk_gated_delta_rule_fwd_h_hip_kernelILi32ELb0ELb0ELb1ELb0ELb1ELb1ELb1ELb1EEEvPK12hip_bfloat16S3_S3_PKfS5_PKvPS1_S8_PvPKiSB_iiiiilll.kd
    .uniform_work_group_size: 1
    .uses_dynamic_stack: false
    .vgpr_count:     164
    .vgpr_spill_count: 0
    .wavefront_size: 64
  - .agpr_count:     20
    .args:
      - .actual_access:  read_only
        .address_space:  global
        .offset:         0
        .size:           8
        .value_kind:     global_buffer
      - .actual_access:  read_only
        .address_space:  global
        .offset:         8
        .size:           8
        .value_kind:     global_buffer
      - .actual_access:  read_only
        .address_space:  global
        .offset:         16
        .size:           8
        .value_kind:     global_buffer
      - .actual_access:  read_only
        .address_space:  global
        .offset:         24
        .size:           8
        .value_kind:     global_buffer
      - .actual_access:  read_only
        .address_space:  global
        .offset:         32
        .size:           8
        .value_kind:     global_buffer
      - .actual_access:  read_only
        .address_space:  global
        .offset:         40
        .size:           8
        .value_kind:     global_buffer
      - .actual_access:  write_only
        .address_space:  global
        .offset:         48
        .size:           8
        .value_kind:     global_buffer
      - .actual_access:  read_only
        .address_space:  global
        .offset:         56
        .size:           8
        .value_kind:     global_buffer
      - .actual_access:  read_only
        .address_space:  global
        .offset:         64
        .size:           8
        .value_kind:     global_buffer
      - .actual_access:  read_only
        .address_space:  global
        .offset:         72
        .size:           8
        .value_kind:     global_buffer
      - .actual_access:  read_only
        .address_space:  global
        .offset:         80
        .size:           8
        .value_kind:     global_buffer
      - .offset:         88
        .size:           4
        .value_kind:     by_value
      - .offset:         92
        .size:           4
        .value_kind:     by_value
      - .offset:         96
        .size:           4
        .value_kind:     by_value
      - .offset:         100
        .size:           4
        .value_kind:     by_value
      - .offset:         104
        .size:           4
        .value_kind:     by_value
      - .offset:         112
        .size:           8
        .value_kind:     by_value
      - .offset:         120
        .size:           8
        .value_kind:     by_value
      - .offset:         128
        .size:           8
        .value_kind:     by_value
    .group_segment_fixed_size: 49152
    .kernarg_segment_align: 8
    .kernarg_segment_size: 136
    .language:       OpenCL C
    .language_version:
      - 2
      - 0
    .max_flat_workgroup_size: 256
    .name:           _ZN12_GLOBAL__N_139chunk_gated_delta_rule_fwd_h_hip_kernelILi32ELb0ELb0ELb0ELb0ELb1ELb1ELb1ELb1EEEvPK12hip_bfloat16S3_S3_PKfS5_PKvPS1_S8_PvPKiSB_iiiiilll
    .private_segment_fixed_size: 0
    .sgpr_count:     71
    .sgpr_spill_count: 0
    .symbol:         _ZN12_GLOBAL__N_139chunk_gated_delta_rule_fwd_h_hip_kernelILi32ELb0ELb0ELb0ELb0ELb1ELb1ELb1ELb1EEEvPK12hip_bfloat16S3_S3_PKfS5_PKvPS1_S8_PvPKiSB_iiiiilll.kd
    .uniform_work_group_size: 1
    .uses_dynamic_stack: false
    .vgpr_count:     160
    .vgpr_spill_count: 0
    .wavefront_size: 64
  - .agpr_count:     20
    .args:
      - .actual_access:  read_only
        .address_space:  global
        .offset:         0
        .size:           8
        .value_kind:     global_buffer
      - .actual_access:  read_only
        .address_space:  global
        .offset:         8
        .size:           8
        .value_kind:     global_buffer
      - .actual_access:  read_only
        .address_space:  global
        .offset:         16
        .size:           8
        .value_kind:     global_buffer
      - .actual_access:  read_only
        .address_space:  global
        .offset:         24
        .size:           8
        .value_kind:     global_buffer
      - .actual_access:  read_only
        .address_space:  global
        .offset:         32
        .size:           8
        .value_kind:     global_buffer
      - .actual_access:  read_only
        .address_space:  global
        .offset:         40
        .size:           8
        .value_kind:     global_buffer
      - .actual_access:  write_only
        .address_space:  global
        .offset:         48
        .size:           8
        .value_kind:     global_buffer
      - .actual_access:  write_only
        .address_space:  global
        .offset:         56
        .size:           8
        .value_kind:     global_buffer
      - .actual_access:  write_only
        .address_space:  global
        .offset:         64
        .size:           8
        .value_kind:     global_buffer
      - .actual_access:  read_only
        .address_space:  global
        .offset:         72
        .size:           8
        .value_kind:     global_buffer
      - .actual_access:  read_only
        .address_space:  global
        .offset:         80
        .size:           8
        .value_kind:     global_buffer
      - .offset:         88
        .size:           4
        .value_kind:     by_value
      - .offset:         92
        .size:           4
        .value_kind:     by_value
      - .offset:         96
        .size:           4
        .value_kind:     by_value
      - .offset:         100
        .size:           4
        .value_kind:     by_value
      - .offset:         104
        .size:           4
        .value_kind:     by_value
      - .offset:         112
        .size:           8
        .value_kind:     by_value
      - .offset:         120
        .size:           8
        .value_kind:     by_value
      - .offset:         128
        .size:           8
        .value_kind:     by_value
    .group_segment_fixed_size: 49152
    .kernarg_segment_align: 8
    .kernarg_segment_size: 136
    .language:       OpenCL C
    .language_version:
      - 2
      - 0
    .max_flat_workgroup_size: 256
    .name:           _ZN12_GLOBAL__N_139chunk_gated_delta_rule_fwd_h_hip_kernelILi32ELb1ELb1ELb1ELb1ELb1ELb1ELb0ELb1EEEvPK12hip_bfloat16S3_S3_PKfS5_PKvPS1_S8_PvPKiSB_iiiiilll
    .private_segment_fixed_size: 0
    .sgpr_count:     76
    .sgpr_spill_count: 0
    .symbol:         _ZN12_GLOBAL__N_139chunk_gated_delta_rule_fwd_h_hip_kernelILi32ELb1ELb1ELb1ELb1ELb1ELb1ELb0ELb1EEEvPK12hip_bfloat16S3_S3_PKfS5_PKvPS1_S8_PvPKiSB_iiiiilll.kd
    .uniform_work_group_size: 1
    .uses_dynamic_stack: false
    .vgpr_count:     168
    .vgpr_spill_count: 0
    .wavefront_size: 64
  - .agpr_count:     20
    .args:
      - .actual_access:  read_only
        .address_space:  global
        .offset:         0
        .size:           8
        .value_kind:     global_buffer
      - .actual_access:  read_only
        .address_space:  global
        .offset:         8
        .size:           8
        .value_kind:     global_buffer
      - .actual_access:  read_only
        .address_space:  global
        .offset:         16
        .size:           8
        .value_kind:     global_buffer
      - .actual_access:  read_only
        .address_space:  global
        .offset:         24
        .size:           8
        .value_kind:     global_buffer
      - .actual_access:  read_only
        .address_space:  global
        .offset:         32
        .size:           8
        .value_kind:     global_buffer
      - .actual_access:  read_only
        .address_space:  global
        .offset:         40
        .size:           8
        .value_kind:     global_buffer
      - .actual_access:  write_only
        .address_space:  global
        .offset:         48
        .size:           8
        .value_kind:     global_buffer
      - .actual_access:  read_only
        .address_space:  global
        .offset:         56
        .size:           8
        .value_kind:     global_buffer
      - .actual_access:  write_only
        .address_space:  global
        .offset:         64
        .size:           8
        .value_kind:     global_buffer
      - .actual_access:  read_only
        .address_space:  global
        .offset:         72
        .size:           8
        .value_kind:     global_buffer
      - .actual_access:  read_only
        .address_space:  global
        .offset:         80
        .size:           8
        .value_kind:     global_buffer
      - .offset:         88
        .size:           4
        .value_kind:     by_value
      - .offset:         92
        .size:           4
        .value_kind:     by_value
      - .offset:         96
        .size:           4
        .value_kind:     by_value
      - .offset:         100
        .size:           4
        .value_kind:     by_value
      - .offset:         104
        .size:           4
        .value_kind:     by_value
      - .offset:         112
        .size:           8
        .value_kind:     by_value
      - .offset:         120
        .size:           8
        .value_kind:     by_value
      - .offset:         128
        .size:           8
        .value_kind:     by_value
    .group_segment_fixed_size: 49152
    .kernarg_segment_align: 8
    .kernarg_segment_size: 136
    .language:       OpenCL C
    .language_version:
      - 2
      - 0
    .max_flat_workgroup_size: 256
    .name:           _ZN12_GLOBAL__N_139chunk_gated_delta_rule_fwd_h_hip_kernelILi32ELb1ELb1ELb0ELb1ELb1ELb1ELb0ELb1EEEvPK12hip_bfloat16S3_S3_PKfS5_PKvPS1_S8_PvPKiSB_iiiiilll
    .private_segment_fixed_size: 0
    .sgpr_count:     72
    .sgpr_spill_count: 0
    .symbol:         _ZN12_GLOBAL__N_139chunk_gated_delta_rule_fwd_h_hip_kernelILi32ELb1ELb1ELb0ELb1ELb1ELb1ELb0ELb1EEEvPK12hip_bfloat16S3_S3_PKfS5_PKvPS1_S8_PvPKiSB_iiiiilll.kd
    .uniform_work_group_size: 1
    .uses_dynamic_stack: false
    .vgpr_count:     164
    .vgpr_spill_count: 0
    .wavefront_size: 64
  - .agpr_count:     20
    .args:
      - .actual_access:  read_only
        .address_space:  global
        .offset:         0
        .size:           8
        .value_kind:     global_buffer
      - .actual_access:  read_only
        .address_space:  global
        .offset:         8
        .size:           8
        .value_kind:     global_buffer
      - .actual_access:  read_only
        .address_space:  global
        .offset:         16
        .size:           8
        .value_kind:     global_buffer
      - .actual_access:  read_only
        .address_space:  global
        .offset:         24
        .size:           8
        .value_kind:     global_buffer
      - .actual_access:  read_only
        .address_space:  global
        .offset:         32
        .size:           8
        .value_kind:     global_buffer
      - .actual_access:  read_only
        .address_space:  global
        .offset:         40
        .size:           8
        .value_kind:     global_buffer
      - .actual_access:  write_only
        .address_space:  global
        .offset:         48
        .size:           8
        .value_kind:     global_buffer
      - .actual_access:  write_only
        .address_space:  global
        .offset:         56
        .size:           8
        .value_kind:     global_buffer
      - .actual_access:  read_only
        .address_space:  global
        .offset:         64
        .size:           8
        .value_kind:     global_buffer
      - .actual_access:  read_only
        .address_space:  global
        .offset:         72
        .size:           8
        .value_kind:     global_buffer
      - .actual_access:  read_only
        .address_space:  global
        .offset:         80
        .size:           8
        .value_kind:     global_buffer
      - .offset:         88
        .size:           4
        .value_kind:     by_value
      - .offset:         92
        .size:           4
        .value_kind:     by_value
      - .offset:         96
        .size:           4
        .value_kind:     by_value
      - .offset:         100
        .size:           4
        .value_kind:     by_value
      - .offset:         104
        .size:           4
        .value_kind:     by_value
      - .offset:         112
        .size:           8
        .value_kind:     by_value
      - .offset:         120
        .size:           8
        .value_kind:     by_value
      - .offset:         128
        .size:           8
        .value_kind:     by_value
    .group_segment_fixed_size: 49152
    .kernarg_segment_align: 8
    .kernarg_segment_size: 136
    .language:       OpenCL C
    .language_version:
      - 2
      - 0
    .max_flat_workgroup_size: 256
    .name:           _ZN12_GLOBAL__N_139chunk_gated_delta_rule_fwd_h_hip_kernelILi32ELb1ELb0ELb1ELb1ELb1ELb1ELb0ELb1EEEvPK12hip_bfloat16S3_S3_PKfS5_PKvPS1_S8_PvPKiSB_iiiiilll
    .private_segment_fixed_size: 0
    .sgpr_count:     70
    .sgpr_spill_count: 0
    .symbol:         _ZN12_GLOBAL__N_139chunk_gated_delta_rule_fwd_h_hip_kernelILi32ELb1ELb0ELb1ELb1ELb1ELb1ELb0ELb1EEEvPK12hip_bfloat16S3_S3_PKfS5_PKvPS1_S8_PvPKiSB_iiiiilll.kd
    .uniform_work_group_size: 1
    .uses_dynamic_stack: false
    .vgpr_count:     164
    .vgpr_spill_count: 0
    .wavefront_size: 64
  - .agpr_count:     20
    .args:
      - .actual_access:  read_only
        .address_space:  global
        .offset:         0
        .size:           8
        .value_kind:     global_buffer
      - .actual_access:  read_only
        .address_space:  global
        .offset:         8
        .size:           8
        .value_kind:     global_buffer
      - .actual_access:  read_only
        .address_space:  global
        .offset:         16
        .size:           8
        .value_kind:     global_buffer
      - .actual_access:  read_only
        .address_space:  global
        .offset:         24
        .size:           8
        .value_kind:     global_buffer
      - .actual_access:  read_only
        .address_space:  global
        .offset:         32
        .size:           8
        .value_kind:     global_buffer
      - .actual_access:  read_only
        .address_space:  global
        .offset:         40
        .size:           8
        .value_kind:     global_buffer
      - .actual_access:  write_only
        .address_space:  global
        .offset:         48
        .size:           8
        .value_kind:     global_buffer
      - .actual_access:  read_only
        .address_space:  global
        .offset:         56
        .size:           8
        .value_kind:     global_buffer
      - .actual_access:  read_only
        .address_space:  global
        .offset:         64
        .size:           8
        .value_kind:     global_buffer
      - .actual_access:  read_only
        .address_space:  global
        .offset:         72
        .size:           8
        .value_kind:     global_buffer
      - .actual_access:  read_only
        .address_space:  global
        .offset:         80
        .size:           8
        .value_kind:     global_buffer
      - .offset:         88
        .size:           4
        .value_kind:     by_value
      - .offset:         92
        .size:           4
        .value_kind:     by_value
      - .offset:         96
        .size:           4
        .value_kind:     by_value
      - .offset:         100
        .size:           4
        .value_kind:     by_value
      - .offset:         104
        .size:           4
        .value_kind:     by_value
      - .offset:         112
        .size:           8
        .value_kind:     by_value
      - .offset:         120
        .size:           8
        .value_kind:     by_value
      - .offset:         128
        .size:           8
        .value_kind:     by_value
    .group_segment_fixed_size: 49152
    .kernarg_segment_align: 8
    .kernarg_segment_size: 136
    .language:       OpenCL C
    .language_version:
      - 2
      - 0
    .max_flat_workgroup_size: 256
    .name:           _ZN12_GLOBAL__N_139chunk_gated_delta_rule_fwd_h_hip_kernelILi32ELb1ELb0ELb0ELb1ELb1ELb1ELb0ELb1EEEvPK12hip_bfloat16S3_S3_PKfS5_PKvPS1_S8_PvPKiSB_iiiiilll
    .private_segment_fixed_size: 0
    .sgpr_count:     68
    .sgpr_spill_count: 0
    .symbol:         _ZN12_GLOBAL__N_139chunk_gated_delta_rule_fwd_h_hip_kernelILi32ELb1ELb0ELb0ELb1ELb1ELb1ELb0ELb1EEEvPK12hip_bfloat16S3_S3_PKfS5_PKvPS1_S8_PvPKiSB_iiiiilll.kd
    .uniform_work_group_size: 1
    .uses_dynamic_stack: false
    .vgpr_count:     160
    .vgpr_spill_count: 0
    .wavefront_size: 64
  - .agpr_count:     20
    .args:
      - .actual_access:  read_only
        .address_space:  global
        .offset:         0
        .size:           8
        .value_kind:     global_buffer
      - .actual_access:  read_only
        .address_space:  global
        .offset:         8
        .size:           8
        .value_kind:     global_buffer
      - .actual_access:  read_only
        .address_space:  global
        .offset:         16
        .size:           8
        .value_kind:     global_buffer
      - .actual_access:  read_only
        .address_space:  global
        .offset:         24
        .size:           8
        .value_kind:     global_buffer
      - .actual_access:  read_only
        .address_space:  global
        .offset:         32
        .size:           8
        .value_kind:     global_buffer
      - .actual_access:  read_only
        .address_space:  global
        .offset:         40
        .size:           8
        .value_kind:     global_buffer
      - .actual_access:  write_only
        .address_space:  global
        .offset:         48
        .size:           8
        .value_kind:     global_buffer
      - .actual_access:  write_only
        .address_space:  global
        .offset:         56
        .size:           8
        .value_kind:     global_buffer
      - .actual_access:  write_only
        .address_space:  global
        .offset:         64
        .size:           8
        .value_kind:     global_buffer
      - .actual_access:  read_only
        .address_space:  global
        .offset:         72
        .size:           8
        .value_kind:     global_buffer
      - .actual_access:  read_only
        .address_space:  global
        .offset:         80
        .size:           8
        .value_kind:     global_buffer
      - .offset:         88
        .size:           4
        .value_kind:     by_value
      - .offset:         92
        .size:           4
        .value_kind:     by_value
      - .offset:         96
        .size:           4
        .value_kind:     by_value
      - .offset:         100
        .size:           4
        .value_kind:     by_value
      - .offset:         104
        .size:           4
        .value_kind:     by_value
      - .offset:         112
        .size:           8
        .value_kind:     by_value
      - .offset:         120
        .size:           8
        .value_kind:     by_value
      - .offset:         128
        .size:           8
        .value_kind:     by_value
    .group_segment_fixed_size: 49152
    .kernarg_segment_align: 8
    .kernarg_segment_size: 136
    .language:       OpenCL C
    .language_version:
      - 2
      - 0
    .max_flat_workgroup_size: 256
    .name:           _ZN12_GLOBAL__N_139chunk_gated_delta_rule_fwd_h_hip_kernelILi32ELb0ELb1ELb1ELb1ELb1ELb1ELb0ELb1EEEvPK12hip_bfloat16S3_S3_PKfS5_PKvPS1_S8_PvPKiSB_iiiiilll
    .private_segment_fixed_size: 0
    .sgpr_count:     76
    .sgpr_spill_count: 0
    .symbol:         _ZN12_GLOBAL__N_139chunk_gated_delta_rule_fwd_h_hip_kernelILi32ELb0ELb1ELb1ELb1ELb1ELb1ELb0ELb1EEEvPK12hip_bfloat16S3_S3_PKfS5_PKvPS1_S8_PvPKiSB_iiiiilll.kd
    .uniform_work_group_size: 1
    .uses_dynamic_stack: false
    .vgpr_count:     164
    .vgpr_spill_count: 0
    .wavefront_size: 64
  - .agpr_count:     20
    .args:
      - .actual_access:  read_only
        .address_space:  global
        .offset:         0
        .size:           8
        .value_kind:     global_buffer
      - .actual_access:  read_only
        .address_space:  global
        .offset:         8
        .size:           8
        .value_kind:     global_buffer
      - .actual_access:  read_only
        .address_space:  global
        .offset:         16
        .size:           8
        .value_kind:     global_buffer
      - .actual_access:  read_only
        .address_space:  global
        .offset:         24
        .size:           8
        .value_kind:     global_buffer
      - .actual_access:  read_only
        .address_space:  global
        .offset:         32
        .size:           8
        .value_kind:     global_buffer
      - .actual_access:  read_only
        .address_space:  global
        .offset:         40
        .size:           8
        .value_kind:     global_buffer
      - .actual_access:  write_only
        .address_space:  global
        .offset:         48
        .size:           8
        .value_kind:     global_buffer
      - .actual_access:  read_only
        .address_space:  global
        .offset:         56
        .size:           8
        .value_kind:     global_buffer
      - .actual_access:  write_only
        .address_space:  global
        .offset:         64
        .size:           8
        .value_kind:     global_buffer
      - .actual_access:  read_only
        .address_space:  global
        .offset:         72
        .size:           8
        .value_kind:     global_buffer
      - .actual_access:  read_only
        .address_space:  global
        .offset:         80
        .size:           8
        .value_kind:     global_buffer
      - .offset:         88
        .size:           4
        .value_kind:     by_value
      - .offset:         92
        .size:           4
        .value_kind:     by_value
      - .offset:         96
        .size:           4
        .value_kind:     by_value
      - .offset:         100
        .size:           4
        .value_kind:     by_value
      - .offset:         104
        .size:           4
        .value_kind:     by_value
      - .offset:         112
        .size:           8
        .value_kind:     by_value
      - .offset:         120
        .size:           8
        .value_kind:     by_value
      - .offset:         128
        .size:           8
        .value_kind:     by_value
    .group_segment_fixed_size: 49152
    .kernarg_segment_align: 8
    .kernarg_segment_size: 136
    .language:       OpenCL C
    .language_version:
      - 2
      - 0
    .max_flat_workgroup_size: 256
    .name:           _ZN12_GLOBAL__N_139chunk_gated_delta_rule_fwd_h_hip_kernelILi32ELb0ELb1ELb0ELb1ELb1ELb1ELb0ELb1EEEvPK12hip_bfloat16S3_S3_PKfS5_PKvPS1_S8_PvPKiSB_iiiiilll
    .private_segment_fixed_size: 0
    .sgpr_count:     72
    .sgpr_spill_count: 0
    .symbol:         _ZN12_GLOBAL__N_139chunk_gated_delta_rule_fwd_h_hip_kernelILi32ELb0ELb1ELb0ELb1ELb1ELb1ELb0ELb1EEEvPK12hip_bfloat16S3_S3_PKfS5_PKvPS1_S8_PvPKiSB_iiiiilll.kd
    .uniform_work_group_size: 1
    .uses_dynamic_stack: false
    .vgpr_count:     160
    .vgpr_spill_count: 0
    .wavefront_size: 64
  - .agpr_count:     20
    .args:
      - .actual_access:  read_only
        .address_space:  global
        .offset:         0
        .size:           8
        .value_kind:     global_buffer
      - .actual_access:  read_only
        .address_space:  global
        .offset:         8
        .size:           8
        .value_kind:     global_buffer
      - .actual_access:  read_only
        .address_space:  global
        .offset:         16
        .size:           8
        .value_kind:     global_buffer
      - .actual_access:  read_only
        .address_space:  global
        .offset:         24
        .size:           8
        .value_kind:     global_buffer
      - .actual_access:  read_only
        .address_space:  global
        .offset:         32
        .size:           8
        .value_kind:     global_buffer
      - .actual_access:  read_only
        .address_space:  global
        .offset:         40
        .size:           8
        .value_kind:     global_buffer
      - .actual_access:  write_only
        .address_space:  global
        .offset:         48
        .size:           8
        .value_kind:     global_buffer
      - .actual_access:  write_only
        .address_space:  global
        .offset:         56
        .size:           8
        .value_kind:     global_buffer
      - .actual_access:  read_only
        .address_space:  global
        .offset:         64
        .size:           8
        .value_kind:     global_buffer
      - .actual_access:  read_only
        .address_space:  global
        .offset:         72
        .size:           8
        .value_kind:     global_buffer
      - .actual_access:  read_only
        .address_space:  global
        .offset:         80
        .size:           8
        .value_kind:     global_buffer
      - .offset:         88
        .size:           4
        .value_kind:     by_value
      - .offset:         92
        .size:           4
        .value_kind:     by_value
      - .offset:         96
        .size:           4
        .value_kind:     by_value
      - .offset:         100
        .size:           4
        .value_kind:     by_value
      - .offset:         104
        .size:           4
        .value_kind:     by_value
      - .offset:         112
        .size:           8
        .value_kind:     by_value
      - .offset:         120
        .size:           8
        .value_kind:     by_value
      - .offset:         128
        .size:           8
        .value_kind:     by_value
    .group_segment_fixed_size: 49152
    .kernarg_segment_align: 8
    .kernarg_segment_size: 136
    .language:       OpenCL C
    .language_version:
      - 2
      - 0
    .max_flat_workgroup_size: 256
    .name:           _ZN12_GLOBAL__N_139chunk_gated_delta_rule_fwd_h_hip_kernelILi32ELb0ELb0ELb1ELb1ELb1ELb1ELb0ELb1EEEvPK12hip_bfloat16S3_S3_PKfS5_PKvPS1_S8_PvPKiSB_iiiiilll
    .private_segment_fixed_size: 0
    .sgpr_count:     69
    .sgpr_spill_count: 0
    .symbol:         _ZN12_GLOBAL__N_139chunk_gated_delta_rule_fwd_h_hip_kernelILi32ELb0ELb0ELb1ELb1ELb1ELb1ELb0ELb1EEEvPK12hip_bfloat16S3_S3_PKfS5_PKvPS1_S8_PvPKiSB_iiiiilll.kd
    .uniform_work_group_size: 1
    .uses_dynamic_stack: false
    .vgpr_count:     164
    .vgpr_spill_count: 0
    .wavefront_size: 64
  - .agpr_count:     20
    .args:
      - .actual_access:  read_only
        .address_space:  global
        .offset:         0
        .size:           8
        .value_kind:     global_buffer
      - .actual_access:  read_only
        .address_space:  global
        .offset:         8
        .size:           8
        .value_kind:     global_buffer
      - .actual_access:  read_only
        .address_space:  global
        .offset:         16
        .size:           8
        .value_kind:     global_buffer
      - .actual_access:  read_only
        .address_space:  global
        .offset:         24
        .size:           8
        .value_kind:     global_buffer
      - .actual_access:  read_only
        .address_space:  global
        .offset:         32
        .size:           8
        .value_kind:     global_buffer
      - .actual_access:  read_only
        .address_space:  global
        .offset:         40
        .size:           8
        .value_kind:     global_buffer
      - .actual_access:  write_only
        .address_space:  global
        .offset:         48
        .size:           8
        .value_kind:     global_buffer
      - .actual_access:  read_only
        .address_space:  global
        .offset:         56
        .size:           8
        .value_kind:     global_buffer
      - .actual_access:  read_only
        .address_space:  global
        .offset:         64
        .size:           8
        .value_kind:     global_buffer
      - .actual_access:  read_only
        .address_space:  global
        .offset:         72
        .size:           8
        .value_kind:     global_buffer
      - .actual_access:  read_only
        .address_space:  global
        .offset:         80
        .size:           8
        .value_kind:     global_buffer
      - .offset:         88
        .size:           4
        .value_kind:     by_value
      - .offset:         92
        .size:           4
        .value_kind:     by_value
      - .offset:         96
        .size:           4
        .value_kind:     by_value
      - .offset:         100
        .size:           4
        .value_kind:     by_value
      - .offset:         104
        .size:           4
        .value_kind:     by_value
      - .offset:         112
        .size:           8
        .value_kind:     by_value
      - .offset:         120
        .size:           8
        .value_kind:     by_value
      - .offset:         128
        .size:           8
        .value_kind:     by_value
    .group_segment_fixed_size: 49152
    .kernarg_segment_align: 8
    .kernarg_segment_size: 136
    .language:       OpenCL C
    .language_version:
      - 2
      - 0
    .max_flat_workgroup_size: 256
    .name:           _ZN12_GLOBAL__N_139chunk_gated_delta_rule_fwd_h_hip_kernelILi32ELb0ELb0ELb0ELb1ELb1ELb1ELb0ELb1EEEvPK12hip_bfloat16S3_S3_PKfS5_PKvPS1_S8_PvPKiSB_iiiiilll
    .private_segment_fixed_size: 0
    .sgpr_count:     67
    .sgpr_spill_count: 0
    .symbol:         _ZN12_GLOBAL__N_139chunk_gated_delta_rule_fwd_h_hip_kernelILi32ELb0ELb0ELb0ELb1ELb1ELb1ELb0ELb1EEEvPK12hip_bfloat16S3_S3_PKfS5_PKvPS1_S8_PvPKiSB_iiiiilll.kd
    .uniform_work_group_size: 1
    .uses_dynamic_stack: false
    .vgpr_count:     160
    .vgpr_spill_count: 0
    .wavefront_size: 64
  - .agpr_count:     20
    .args:
      - .actual_access:  read_only
        .address_space:  global
        .offset:         0
        .size:           8
        .value_kind:     global_buffer
      - .actual_access:  read_only
        .address_space:  global
        .offset:         8
        .size:           8
        .value_kind:     global_buffer
      - .actual_access:  read_only
        .address_space:  global
        .offset:         16
        .size:           8
        .value_kind:     global_buffer
      - .actual_access:  read_only
        .address_space:  global
        .offset:         24
        .size:           8
        .value_kind:     global_buffer
      - .actual_access:  read_only
        .address_space:  global
        .offset:         32
        .size:           8
        .value_kind:     global_buffer
      - .actual_access:  read_only
        .address_space:  global
        .offset:         40
        .size:           8
        .value_kind:     global_buffer
      - .actual_access:  write_only
        .address_space:  global
        .offset:         48
        .size:           8
        .value_kind:     global_buffer
      - .actual_access:  write_only
        .address_space:  global
        .offset:         56
        .size:           8
        .value_kind:     global_buffer
      - .actual_access:  write_only
        .address_space:  global
        .offset:         64
        .size:           8
        .value_kind:     global_buffer
      - .actual_access:  read_only
        .address_space:  global
        .offset:         72
        .size:           8
        .value_kind:     global_buffer
      - .actual_access:  read_only
        .address_space:  global
        .offset:         80
        .size:           8
        .value_kind:     global_buffer
      - .offset:         88
        .size:           4
        .value_kind:     by_value
      - .offset:         92
        .size:           4
        .value_kind:     by_value
      - .offset:         96
        .size:           4
        .value_kind:     by_value
      - .offset:         100
        .size:           4
        .value_kind:     by_value
      - .offset:         104
        .size:           4
        .value_kind:     by_value
      - .offset:         112
        .size:           8
        .value_kind:     by_value
      - .offset:         120
        .size:           8
        .value_kind:     by_value
      - .offset:         128
        .size:           8
        .value_kind:     by_value
    .group_segment_fixed_size: 49152
    .kernarg_segment_align: 8
    .kernarg_segment_size: 136
    .language:       OpenCL C
    .language_version:
      - 2
      - 0
    .max_flat_workgroup_size: 256
    .name:           _ZN12_GLOBAL__N_139chunk_gated_delta_rule_fwd_h_hip_kernelILi32ELb1ELb1ELb1ELb0ELb1ELb1ELb0ELb1EEEvPK12hip_bfloat16S3_S3_PKfS5_PKvPS1_S8_PvPKiSB_iiiiilll
    .private_segment_fixed_size: 0
    .sgpr_count:     82
    .sgpr_spill_count: 0
    .symbol:         _ZN12_GLOBAL__N_139chunk_gated_delta_rule_fwd_h_hip_kernelILi32ELb1ELb1ELb1ELb0ELb1ELb1ELb0ELb1EEEvPK12hip_bfloat16S3_S3_PKfS5_PKvPS1_S8_PvPKiSB_iiiiilll.kd
    .uniform_work_group_size: 1
    .uses_dynamic_stack: false
    .vgpr_count:     168
    .vgpr_spill_count: 0
    .wavefront_size: 64
  - .agpr_count:     20
    .args:
      - .actual_access:  read_only
        .address_space:  global
        .offset:         0
        .size:           8
        .value_kind:     global_buffer
      - .actual_access:  read_only
        .address_space:  global
        .offset:         8
        .size:           8
        .value_kind:     global_buffer
      - .actual_access:  read_only
        .address_space:  global
        .offset:         16
        .size:           8
        .value_kind:     global_buffer
      - .actual_access:  read_only
        .address_space:  global
        .offset:         24
        .size:           8
        .value_kind:     global_buffer
      - .actual_access:  read_only
        .address_space:  global
        .offset:         32
        .size:           8
        .value_kind:     global_buffer
      - .actual_access:  read_only
        .address_space:  global
        .offset:         40
        .size:           8
        .value_kind:     global_buffer
      - .actual_access:  write_only
        .address_space:  global
        .offset:         48
        .size:           8
        .value_kind:     global_buffer
      - .actual_access:  read_only
        .address_space:  global
        .offset:         56
        .size:           8
        .value_kind:     global_buffer
      - .actual_access:  write_only
        .address_space:  global
        .offset:         64
        .size:           8
        .value_kind:     global_buffer
      - .actual_access:  read_only
        .address_space:  global
        .offset:         72
        .size:           8
        .value_kind:     global_buffer
      - .actual_access:  read_only
        .address_space:  global
        .offset:         80
        .size:           8
        .value_kind:     global_buffer
      - .offset:         88
        .size:           4
        .value_kind:     by_value
      - .offset:         92
        .size:           4
        .value_kind:     by_value
      - .offset:         96
        .size:           4
        .value_kind:     by_value
      - .offset:         100
        .size:           4
        .value_kind:     by_value
      - .offset:         104
        .size:           4
        .value_kind:     by_value
      - .offset:         112
        .size:           8
        .value_kind:     by_value
      - .offset:         120
        .size:           8
        .value_kind:     by_value
      - .offset:         128
        .size:           8
        .value_kind:     by_value
    .group_segment_fixed_size: 49152
    .kernarg_segment_align: 8
    .kernarg_segment_size: 136
    .language:       OpenCL C
    .language_version:
      - 2
      - 0
    .max_flat_workgroup_size: 256
    .name:           _ZN12_GLOBAL__N_139chunk_gated_delta_rule_fwd_h_hip_kernelILi32ELb1ELb1ELb0ELb0ELb1ELb1ELb0ELb1EEEvPK12hip_bfloat16S3_S3_PKfS5_PKvPS1_S8_PvPKiSB_iiiiilll
    .private_segment_fixed_size: 0
    .sgpr_count:     78
    .sgpr_spill_count: 0
    .symbol:         _ZN12_GLOBAL__N_139chunk_gated_delta_rule_fwd_h_hip_kernelILi32ELb1ELb1ELb0ELb0ELb1ELb1ELb0ELb1EEEvPK12hip_bfloat16S3_S3_PKfS5_PKvPS1_S8_PvPKiSB_iiiiilll.kd
    .uniform_work_group_size: 1
    .uses_dynamic_stack: false
    .vgpr_count:     164
    .vgpr_spill_count: 0
    .wavefront_size: 64
  - .agpr_count:     20
    .args:
      - .actual_access:  read_only
        .address_space:  global
        .offset:         0
        .size:           8
        .value_kind:     global_buffer
      - .actual_access:  read_only
        .address_space:  global
        .offset:         8
        .size:           8
        .value_kind:     global_buffer
      - .actual_access:  read_only
        .address_space:  global
        .offset:         16
        .size:           8
        .value_kind:     global_buffer
      - .actual_access:  read_only
        .address_space:  global
        .offset:         24
        .size:           8
        .value_kind:     global_buffer
      - .actual_access:  read_only
        .address_space:  global
        .offset:         32
        .size:           8
        .value_kind:     global_buffer
      - .actual_access:  read_only
        .address_space:  global
        .offset:         40
        .size:           8
        .value_kind:     global_buffer
      - .actual_access:  write_only
        .address_space:  global
        .offset:         48
        .size:           8
        .value_kind:     global_buffer
      - .actual_access:  write_only
        .address_space:  global
        .offset:         56
        .size:           8
        .value_kind:     global_buffer
      - .actual_access:  read_only
        .address_space:  global
        .offset:         64
        .size:           8
        .value_kind:     global_buffer
      - .actual_access:  read_only
        .address_space:  global
        .offset:         72
        .size:           8
        .value_kind:     global_buffer
      - .actual_access:  read_only
        .address_space:  global
        .offset:         80
        .size:           8
        .value_kind:     global_buffer
      - .offset:         88
        .size:           4
        .value_kind:     by_value
      - .offset:         92
        .size:           4
        .value_kind:     by_value
      - .offset:         96
        .size:           4
        .value_kind:     by_value
      - .offset:         100
        .size:           4
        .value_kind:     by_value
      - .offset:         104
        .size:           4
        .value_kind:     by_value
      - .offset:         112
        .size:           8
        .value_kind:     by_value
      - .offset:         120
        .size:           8
        .value_kind:     by_value
      - .offset:         128
        .size:           8
        .value_kind:     by_value
    .group_segment_fixed_size: 49152
    .kernarg_segment_align: 8
    .kernarg_segment_size: 136
    .language:       OpenCL C
    .language_version:
      - 2
      - 0
    .max_flat_workgroup_size: 256
    .name:           _ZN12_GLOBAL__N_139chunk_gated_delta_rule_fwd_h_hip_kernelILi32ELb1ELb0ELb1ELb0ELb1ELb1ELb0ELb1EEEvPK12hip_bfloat16S3_S3_PKfS5_PKvPS1_S8_PvPKiSB_iiiiilll
    .private_segment_fixed_size: 0
    .sgpr_count:     76
    .sgpr_spill_count: 0
    .symbol:         _ZN12_GLOBAL__N_139chunk_gated_delta_rule_fwd_h_hip_kernelILi32ELb1ELb0ELb1ELb0ELb1ELb1ELb0ELb1EEEvPK12hip_bfloat16S3_S3_PKfS5_PKvPS1_S8_PvPKiSB_iiiiilll.kd
    .uniform_work_group_size: 1
    .uses_dynamic_stack: false
    .vgpr_count:     164
    .vgpr_spill_count: 0
    .wavefront_size: 64
  - .agpr_count:     20
    .args:
      - .actual_access:  read_only
        .address_space:  global
        .offset:         0
        .size:           8
        .value_kind:     global_buffer
      - .actual_access:  read_only
        .address_space:  global
        .offset:         8
        .size:           8
        .value_kind:     global_buffer
      - .actual_access:  read_only
        .address_space:  global
        .offset:         16
        .size:           8
        .value_kind:     global_buffer
      - .actual_access:  read_only
        .address_space:  global
        .offset:         24
        .size:           8
        .value_kind:     global_buffer
      - .actual_access:  read_only
        .address_space:  global
        .offset:         32
        .size:           8
        .value_kind:     global_buffer
      - .actual_access:  read_only
        .address_space:  global
        .offset:         40
        .size:           8
        .value_kind:     global_buffer
      - .actual_access:  write_only
        .address_space:  global
        .offset:         48
        .size:           8
        .value_kind:     global_buffer
      - .actual_access:  read_only
        .address_space:  global
        .offset:         56
        .size:           8
        .value_kind:     global_buffer
      - .actual_access:  read_only
        .address_space:  global
        .offset:         64
        .size:           8
        .value_kind:     global_buffer
      - .actual_access:  read_only
        .address_space:  global
        .offset:         72
        .size:           8
        .value_kind:     global_buffer
      - .actual_access:  read_only
        .address_space:  global
        .offset:         80
        .size:           8
        .value_kind:     global_buffer
      - .offset:         88
        .size:           4
        .value_kind:     by_value
      - .offset:         92
        .size:           4
        .value_kind:     by_value
      - .offset:         96
        .size:           4
        .value_kind:     by_value
      - .offset:         100
        .size:           4
        .value_kind:     by_value
      - .offset:         104
        .size:           4
        .value_kind:     by_value
      - .offset:         112
        .size:           8
        .value_kind:     by_value
      - .offset:         120
        .size:           8
        .value_kind:     by_value
      - .offset:         128
        .size:           8
        .value_kind:     by_value
    .group_segment_fixed_size: 49152
    .kernarg_segment_align: 8
    .kernarg_segment_size: 136
    .language:       OpenCL C
    .language_version:
      - 2
      - 0
    .max_flat_workgroup_size: 256
    .name:           _ZN12_GLOBAL__N_139chunk_gated_delta_rule_fwd_h_hip_kernelILi32ELb1ELb0ELb0ELb0ELb1ELb1ELb0ELb1EEEvPK12hip_bfloat16S3_S3_PKfS5_PKvPS1_S8_PvPKiSB_iiiiilll
    .private_segment_fixed_size: 0
    .sgpr_count:     74
    .sgpr_spill_count: 0
    .symbol:         _ZN12_GLOBAL__N_139chunk_gated_delta_rule_fwd_h_hip_kernelILi32ELb1ELb0ELb0ELb0ELb1ELb1ELb0ELb1EEEvPK12hip_bfloat16S3_S3_PKfS5_PKvPS1_S8_PvPKiSB_iiiiilll.kd
    .uniform_work_group_size: 1
    .uses_dynamic_stack: false
    .vgpr_count:     160
    .vgpr_spill_count: 0
    .wavefront_size: 64
  - .agpr_count:     20
    .args:
      - .actual_access:  read_only
        .address_space:  global
        .offset:         0
        .size:           8
        .value_kind:     global_buffer
      - .actual_access:  read_only
        .address_space:  global
        .offset:         8
        .size:           8
        .value_kind:     global_buffer
      - .actual_access:  read_only
        .address_space:  global
        .offset:         16
        .size:           8
        .value_kind:     global_buffer
      - .actual_access:  read_only
        .address_space:  global
        .offset:         24
        .size:           8
        .value_kind:     global_buffer
      - .actual_access:  read_only
        .address_space:  global
        .offset:         32
        .size:           8
        .value_kind:     global_buffer
      - .actual_access:  read_only
        .address_space:  global
        .offset:         40
        .size:           8
        .value_kind:     global_buffer
      - .actual_access:  write_only
        .address_space:  global
        .offset:         48
        .size:           8
        .value_kind:     global_buffer
      - .actual_access:  write_only
        .address_space:  global
        .offset:         56
        .size:           8
        .value_kind:     global_buffer
      - .actual_access:  write_only
        .address_space:  global
        .offset:         64
        .size:           8
        .value_kind:     global_buffer
      - .actual_access:  read_only
        .address_space:  global
        .offset:         72
        .size:           8
        .value_kind:     global_buffer
      - .actual_access:  read_only
        .address_space:  global
        .offset:         80
        .size:           8
        .value_kind:     global_buffer
      - .offset:         88
        .size:           4
        .value_kind:     by_value
      - .offset:         92
        .size:           4
        .value_kind:     by_value
      - .offset:         96
        .size:           4
        .value_kind:     by_value
      - .offset:         100
        .size:           4
        .value_kind:     by_value
      - .offset:         104
        .size:           4
        .value_kind:     by_value
      - .offset:         112
        .size:           8
        .value_kind:     by_value
      - .offset:         120
        .size:           8
        .value_kind:     by_value
      - .offset:         128
        .size:           8
        .value_kind:     by_value
    .group_segment_fixed_size: 49152
    .kernarg_segment_align: 8
    .kernarg_segment_size: 136
    .language:       OpenCL C
    .language_version:
      - 2
      - 0
    .max_flat_workgroup_size: 256
    .name:           _ZN12_GLOBAL__N_139chunk_gated_delta_rule_fwd_h_hip_kernelILi32ELb0ELb1ELb1ELb0ELb1ELb1ELb0ELb1EEEvPK12hip_bfloat16S3_S3_PKfS5_PKvPS1_S8_PvPKiSB_iiiiilll
    .private_segment_fixed_size: 0
    .sgpr_count:     78
    .sgpr_spill_count: 0
    .symbol:         _ZN12_GLOBAL__N_139chunk_gated_delta_rule_fwd_h_hip_kernelILi32ELb0ELb1ELb1ELb0ELb1ELb1ELb0ELb1EEEvPK12hip_bfloat16S3_S3_PKfS5_PKvPS1_S8_PvPKiSB_iiiiilll.kd
    .uniform_work_group_size: 1
    .uses_dynamic_stack: false
    .vgpr_count:     164
    .vgpr_spill_count: 0
    .wavefront_size: 64
  - .agpr_count:     20
    .args:
      - .actual_access:  read_only
        .address_space:  global
        .offset:         0
        .size:           8
        .value_kind:     global_buffer
      - .actual_access:  read_only
        .address_space:  global
        .offset:         8
        .size:           8
        .value_kind:     global_buffer
      - .actual_access:  read_only
        .address_space:  global
        .offset:         16
        .size:           8
        .value_kind:     global_buffer
      - .actual_access:  read_only
        .address_space:  global
        .offset:         24
        .size:           8
        .value_kind:     global_buffer
      - .actual_access:  read_only
        .address_space:  global
        .offset:         32
        .size:           8
        .value_kind:     global_buffer
      - .actual_access:  read_only
        .address_space:  global
        .offset:         40
        .size:           8
        .value_kind:     global_buffer
      - .actual_access:  write_only
        .address_space:  global
        .offset:         48
        .size:           8
        .value_kind:     global_buffer
      - .actual_access:  read_only
        .address_space:  global
        .offset:         56
        .size:           8
        .value_kind:     global_buffer
      - .actual_access:  write_only
        .address_space:  global
        .offset:         64
        .size:           8
        .value_kind:     global_buffer
      - .actual_access:  read_only
        .address_space:  global
        .offset:         72
        .size:           8
        .value_kind:     global_buffer
      - .actual_access:  read_only
        .address_space:  global
        .offset:         80
        .size:           8
        .value_kind:     global_buffer
      - .offset:         88
        .size:           4
        .value_kind:     by_value
      - .offset:         92
        .size:           4
        .value_kind:     by_value
      - .offset:         96
        .size:           4
        .value_kind:     by_value
      - .offset:         100
        .size:           4
        .value_kind:     by_value
      - .offset:         104
        .size:           4
        .value_kind:     by_value
      - .offset:         112
        .size:           8
        .value_kind:     by_value
      - .offset:         120
        .size:           8
        .value_kind:     by_value
      - .offset:         128
        .size:           8
        .value_kind:     by_value
    .group_segment_fixed_size: 49152
    .kernarg_segment_align: 8
    .kernarg_segment_size: 136
    .language:       OpenCL C
    .language_version:
      - 2
      - 0
    .max_flat_workgroup_size: 256
    .name:           _ZN12_GLOBAL__N_139chunk_gated_delta_rule_fwd_h_hip_kernelILi32ELb0ELb1ELb0ELb0ELb1ELb1ELb0ELb1EEEvPK12hip_bfloat16S3_S3_PKfS5_PKvPS1_S8_PvPKiSB_iiiiilll
    .private_segment_fixed_size: 0
    .sgpr_count:     73
    .sgpr_spill_count: 0
    .symbol:         _ZN12_GLOBAL__N_139chunk_gated_delta_rule_fwd_h_hip_kernelILi32ELb0ELb1ELb0ELb0ELb1ELb1ELb0ELb1EEEvPK12hip_bfloat16S3_S3_PKfS5_PKvPS1_S8_PvPKiSB_iiiiilll.kd
    .uniform_work_group_size: 1
    .uses_dynamic_stack: false
    .vgpr_count:     160
    .vgpr_spill_count: 0
    .wavefront_size: 64
  - .agpr_count:     20
    .args:
      - .actual_access:  read_only
        .address_space:  global
        .offset:         0
        .size:           8
        .value_kind:     global_buffer
      - .actual_access:  read_only
        .address_space:  global
        .offset:         8
        .size:           8
        .value_kind:     global_buffer
      - .actual_access:  read_only
        .address_space:  global
        .offset:         16
        .size:           8
        .value_kind:     global_buffer
      - .actual_access:  read_only
        .address_space:  global
        .offset:         24
        .size:           8
        .value_kind:     global_buffer
      - .actual_access:  read_only
        .address_space:  global
        .offset:         32
        .size:           8
        .value_kind:     global_buffer
      - .actual_access:  read_only
        .address_space:  global
        .offset:         40
        .size:           8
        .value_kind:     global_buffer
      - .actual_access:  write_only
        .address_space:  global
        .offset:         48
        .size:           8
        .value_kind:     global_buffer
      - .actual_access:  write_only
        .address_space:  global
        .offset:         56
        .size:           8
        .value_kind:     global_buffer
      - .actual_access:  read_only
        .address_space:  global
        .offset:         64
        .size:           8
        .value_kind:     global_buffer
      - .actual_access:  read_only
        .address_space:  global
        .offset:         72
        .size:           8
        .value_kind:     global_buffer
      - .actual_access:  read_only
        .address_space:  global
        .offset:         80
        .size:           8
        .value_kind:     global_buffer
      - .offset:         88
        .size:           4
        .value_kind:     by_value
      - .offset:         92
        .size:           4
        .value_kind:     by_value
      - .offset:         96
        .size:           4
        .value_kind:     by_value
      - .offset:         100
        .size:           4
        .value_kind:     by_value
      - .offset:         104
        .size:           4
        .value_kind:     by_value
      - .offset:         112
        .size:           8
        .value_kind:     by_value
      - .offset:         120
        .size:           8
        .value_kind:     by_value
      - .offset:         128
        .size:           8
        .value_kind:     by_value
    .group_segment_fixed_size: 49152
    .kernarg_segment_align: 8
    .kernarg_segment_size: 136
    .language:       OpenCL C
    .language_version:
      - 2
      - 0
    .max_flat_workgroup_size: 256
    .name:           _ZN12_GLOBAL__N_139chunk_gated_delta_rule_fwd_h_hip_kernelILi32ELb0ELb0ELb1ELb0ELb1ELb1ELb0ELb1EEEvPK12hip_bfloat16S3_S3_PKfS5_PKvPS1_S8_PvPKiSB_iiiiilll
    .private_segment_fixed_size: 0
    .sgpr_count:     73
    .sgpr_spill_count: 0
    .symbol:         _ZN12_GLOBAL__N_139chunk_gated_delta_rule_fwd_h_hip_kernelILi32ELb0ELb0ELb1ELb0ELb1ELb1ELb0ELb1EEEvPK12hip_bfloat16S3_S3_PKfS5_PKvPS1_S8_PvPKiSB_iiiiilll.kd
    .uniform_work_group_size: 1
    .uses_dynamic_stack: false
    .vgpr_count:     164
    .vgpr_spill_count: 0
    .wavefront_size: 64
  - .agpr_count:     20
    .args:
      - .actual_access:  read_only
        .address_space:  global
        .offset:         0
        .size:           8
        .value_kind:     global_buffer
      - .actual_access:  read_only
        .address_space:  global
        .offset:         8
        .size:           8
        .value_kind:     global_buffer
      - .actual_access:  read_only
        .address_space:  global
        .offset:         16
        .size:           8
        .value_kind:     global_buffer
      - .actual_access:  read_only
        .address_space:  global
        .offset:         24
        .size:           8
        .value_kind:     global_buffer
      - .actual_access:  read_only
        .address_space:  global
        .offset:         32
        .size:           8
        .value_kind:     global_buffer
      - .actual_access:  read_only
        .address_space:  global
        .offset:         40
        .size:           8
        .value_kind:     global_buffer
      - .actual_access:  write_only
        .address_space:  global
        .offset:         48
        .size:           8
        .value_kind:     global_buffer
      - .actual_access:  read_only
        .address_space:  global
        .offset:         56
        .size:           8
        .value_kind:     global_buffer
      - .actual_access:  read_only
        .address_space:  global
        .offset:         64
        .size:           8
        .value_kind:     global_buffer
      - .actual_access:  read_only
        .address_space:  global
        .offset:         72
        .size:           8
        .value_kind:     global_buffer
      - .actual_access:  read_only
        .address_space:  global
        .offset:         80
        .size:           8
        .value_kind:     global_buffer
      - .offset:         88
        .size:           4
        .value_kind:     by_value
      - .offset:         92
        .size:           4
        .value_kind:     by_value
      - .offset:         96
        .size:           4
        .value_kind:     by_value
      - .offset:         100
        .size:           4
        .value_kind:     by_value
      - .offset:         104
        .size:           4
        .value_kind:     by_value
      - .offset:         112
        .size:           8
        .value_kind:     by_value
      - .offset:         120
        .size:           8
        .value_kind:     by_value
      - .offset:         128
        .size:           8
        .value_kind:     by_value
    .group_segment_fixed_size: 49152
    .kernarg_segment_align: 8
    .kernarg_segment_size: 136
    .language:       OpenCL C
    .language_version:
      - 2
      - 0
    .max_flat_workgroup_size: 256
    .name:           _ZN12_GLOBAL__N_139chunk_gated_delta_rule_fwd_h_hip_kernelILi32ELb0ELb0ELb0ELb0ELb1ELb1ELb0ELb1EEEvPK12hip_bfloat16S3_S3_PKfS5_PKvPS1_S8_PvPKiSB_iiiiilll
    .private_segment_fixed_size: 0
    .sgpr_count:     71
    .sgpr_spill_count: 0
    .symbol:         _ZN12_GLOBAL__N_139chunk_gated_delta_rule_fwd_h_hip_kernelILi32ELb0ELb0ELb0ELb0ELb1ELb1ELb0ELb1EEEvPK12hip_bfloat16S3_S3_PKfS5_PKvPS1_S8_PvPKiSB_iiiiilll.kd
    .uniform_work_group_size: 1
    .uses_dynamic_stack: false
    .vgpr_count:     160
    .vgpr_spill_count: 0
    .wavefront_size: 64
  - .agpr_count:     16
    .args:
      - .actual_access:  read_only
        .address_space:  global
        .offset:         0
        .size:           8
        .value_kind:     global_buffer
      - .actual_access:  read_only
        .address_space:  global
        .offset:         8
        .size:           8
        .value_kind:     global_buffer
      - .actual_access:  read_only
        .address_space:  global
        .offset:         16
        .size:           8
        .value_kind:     global_buffer
      - .actual_access:  read_only
        .address_space:  global
        .offset:         24
        .size:           8
        .value_kind:     global_buffer
      - .actual_access:  read_only
        .address_space:  global
        .offset:         32
        .size:           8
        .value_kind:     global_buffer
      - .actual_access:  read_only
        .address_space:  global
        .offset:         40
        .size:           8
        .value_kind:     global_buffer
      - .actual_access:  write_only
        .address_space:  global
        .offset:         48
        .size:           8
        .value_kind:     global_buffer
      - .actual_access:  write_only
        .address_space:  global
        .offset:         56
        .size:           8
        .value_kind:     global_buffer
      - .actual_access:  write_only
        .address_space:  global
        .offset:         64
        .size:           8
        .value_kind:     global_buffer
      - .actual_access:  read_only
        .address_space:  global
        .offset:         72
        .size:           8
        .value_kind:     global_buffer
      - .actual_access:  read_only
        .address_space:  global
        .offset:         80
        .size:           8
        .value_kind:     global_buffer
      - .offset:         88
        .size:           4
        .value_kind:     by_value
      - .offset:         92
        .size:           4
        .value_kind:     by_value
      - .offset:         96
        .size:           4
        .value_kind:     by_value
      - .offset:         100
        .size:           4
        .value_kind:     by_value
      - .offset:         104
        .size:           4
        .value_kind:     by_value
      - .offset:         112
        .size:           8
        .value_kind:     by_value
      - .offset:         120
        .size:           8
        .value_kind:     by_value
      - .offset:         128
        .size:           8
        .value_kind:     by_value
    .group_segment_fixed_size: 49152
    .kernarg_segment_align: 8
    .kernarg_segment_size: 136
    .language:       OpenCL C
    .language_version:
      - 2
      - 0
    .max_flat_workgroup_size: 256
    .name:           _ZN12_GLOBAL__N_139chunk_gated_delta_rule_fwd_h_hip_kernelILi32ELb1ELb1ELb1ELb1ELb1ELb0ELb1ELb1EEEvPK12hip_bfloat16S3_S3_PKfS5_PKvPS1_S8_PvPKiSB_iiiiilll
    .private_segment_fixed_size: 0
    .sgpr_count:     74
    .sgpr_spill_count: 0
    .symbol:         _ZN12_GLOBAL__N_139chunk_gated_delta_rule_fwd_h_hip_kernelILi32ELb1ELb1ELb1ELb1ELb1ELb0ELb1ELb1EEEvPK12hip_bfloat16S3_S3_PKfS5_PKvPS1_S8_PvPKiSB_iiiiilll.kd
    .uniform_work_group_size: 1
    .uses_dynamic_stack: false
    .vgpr_count:     156
    .vgpr_spill_count: 0
    .wavefront_size: 64
  - .agpr_count:     16
    .args:
      - .actual_access:  read_only
        .address_space:  global
        .offset:         0
        .size:           8
        .value_kind:     global_buffer
      - .actual_access:  read_only
        .address_space:  global
        .offset:         8
        .size:           8
        .value_kind:     global_buffer
      - .actual_access:  read_only
        .address_space:  global
        .offset:         16
        .size:           8
        .value_kind:     global_buffer
      - .actual_access:  read_only
        .address_space:  global
        .offset:         24
        .size:           8
        .value_kind:     global_buffer
      - .actual_access:  read_only
        .address_space:  global
        .offset:         32
        .size:           8
        .value_kind:     global_buffer
      - .actual_access:  read_only
        .address_space:  global
        .offset:         40
        .size:           8
        .value_kind:     global_buffer
      - .actual_access:  write_only
        .address_space:  global
        .offset:         48
        .size:           8
        .value_kind:     global_buffer
      - .actual_access:  read_only
        .address_space:  global
        .offset:         56
        .size:           8
        .value_kind:     global_buffer
      - .actual_access:  write_only
        .address_space:  global
        .offset:         64
        .size:           8
        .value_kind:     global_buffer
      - .actual_access:  read_only
        .address_space:  global
        .offset:         72
        .size:           8
        .value_kind:     global_buffer
      - .actual_access:  read_only
        .address_space:  global
        .offset:         80
        .size:           8
        .value_kind:     global_buffer
      - .offset:         88
        .size:           4
        .value_kind:     by_value
      - .offset:         92
        .size:           4
        .value_kind:     by_value
      - .offset:         96
        .size:           4
        .value_kind:     by_value
      - .offset:         100
        .size:           4
        .value_kind:     by_value
      - .offset:         104
        .size:           4
        .value_kind:     by_value
      - .offset:         112
        .size:           8
        .value_kind:     by_value
      - .offset:         120
        .size:           8
        .value_kind:     by_value
      - .offset:         128
        .size:           8
        .value_kind:     by_value
    .group_segment_fixed_size: 49152
    .kernarg_segment_align: 8
    .kernarg_segment_size: 136
    .language:       OpenCL C
    .language_version:
      - 2
      - 0
    .max_flat_workgroup_size: 256
    .name:           _ZN12_GLOBAL__N_139chunk_gated_delta_rule_fwd_h_hip_kernelILi32ELb1ELb1ELb0ELb1ELb1ELb0ELb1ELb1EEEvPK12hip_bfloat16S3_S3_PKfS5_PKvPS1_S8_PvPKiSB_iiiiilll
    .private_segment_fixed_size: 0
    .sgpr_count:     70
    .sgpr_spill_count: 0
    .symbol:         _ZN12_GLOBAL__N_139chunk_gated_delta_rule_fwd_h_hip_kernelILi32ELb1ELb1ELb0ELb1ELb1ELb0ELb1ELb1EEEvPK12hip_bfloat16S3_S3_PKfS5_PKvPS1_S8_PvPKiSB_iiiiilll.kd
    .uniform_work_group_size: 1
    .uses_dynamic_stack: false
    .vgpr_count:     152
    .vgpr_spill_count: 0
    .wavefront_size: 64
  - .agpr_count:     16
    .args:
      - .actual_access:  read_only
        .address_space:  global
        .offset:         0
        .size:           8
        .value_kind:     global_buffer
      - .actual_access:  read_only
        .address_space:  global
        .offset:         8
        .size:           8
        .value_kind:     global_buffer
      - .actual_access:  read_only
        .address_space:  global
        .offset:         16
        .size:           8
        .value_kind:     global_buffer
      - .actual_access:  read_only
        .address_space:  global
        .offset:         24
        .size:           8
        .value_kind:     global_buffer
      - .actual_access:  read_only
        .address_space:  global
        .offset:         32
        .size:           8
        .value_kind:     global_buffer
      - .actual_access:  read_only
        .address_space:  global
        .offset:         40
        .size:           8
        .value_kind:     global_buffer
      - .actual_access:  write_only
        .address_space:  global
        .offset:         48
        .size:           8
        .value_kind:     global_buffer
      - .actual_access:  write_only
        .address_space:  global
        .offset:         56
        .size:           8
        .value_kind:     global_buffer
      - .actual_access:  read_only
        .address_space:  global
        .offset:         64
        .size:           8
        .value_kind:     global_buffer
      - .actual_access:  read_only
        .address_space:  global
        .offset:         72
        .size:           8
        .value_kind:     global_buffer
      - .actual_access:  read_only
        .address_space:  global
        .offset:         80
        .size:           8
        .value_kind:     global_buffer
      - .offset:         88
        .size:           4
        .value_kind:     by_value
      - .offset:         92
        .size:           4
        .value_kind:     by_value
      - .offset:         96
        .size:           4
        .value_kind:     by_value
      - .offset:         100
        .size:           4
        .value_kind:     by_value
      - .offset:         104
        .size:           4
        .value_kind:     by_value
      - .offset:         112
        .size:           8
        .value_kind:     by_value
      - .offset:         120
        .size:           8
        .value_kind:     by_value
      - .offset:         128
        .size:           8
        .value_kind:     by_value
    .group_segment_fixed_size: 49152
    .kernarg_segment_align: 8
    .kernarg_segment_size: 136
    .language:       OpenCL C
    .language_version:
      - 2
      - 0
    .max_flat_workgroup_size: 256
    .name:           _ZN12_GLOBAL__N_139chunk_gated_delta_rule_fwd_h_hip_kernelILi32ELb1ELb0ELb1ELb1ELb1ELb0ELb1ELb1EEEvPK12hip_bfloat16S3_S3_PKfS5_PKvPS1_S8_PvPKiSB_iiiiilll
    .private_segment_fixed_size: 0
    .sgpr_count:     70
    .sgpr_spill_count: 0
    .symbol:         _ZN12_GLOBAL__N_139chunk_gated_delta_rule_fwd_h_hip_kernelILi32ELb1ELb0ELb1ELb1ELb1ELb0ELb1ELb1EEEvPK12hip_bfloat16S3_S3_PKfS5_PKvPS1_S8_PvPKiSB_iiiiilll.kd
    .uniform_work_group_size: 1
    .uses_dynamic_stack: false
    .vgpr_count:     148
    .vgpr_spill_count: 0
    .wavefront_size: 64
  - .agpr_count:     16
    .args:
      - .actual_access:  read_only
        .address_space:  global
        .offset:         0
        .size:           8
        .value_kind:     global_buffer
      - .actual_access:  read_only
        .address_space:  global
        .offset:         8
        .size:           8
        .value_kind:     global_buffer
      - .actual_access:  read_only
        .address_space:  global
        .offset:         16
        .size:           8
        .value_kind:     global_buffer
      - .actual_access:  read_only
        .address_space:  global
        .offset:         24
        .size:           8
        .value_kind:     global_buffer
      - .actual_access:  read_only
        .address_space:  global
        .offset:         32
        .size:           8
        .value_kind:     global_buffer
      - .actual_access:  read_only
        .address_space:  global
        .offset:         40
        .size:           8
        .value_kind:     global_buffer
      - .actual_access:  write_only
        .address_space:  global
        .offset:         48
        .size:           8
        .value_kind:     global_buffer
      - .actual_access:  read_only
        .address_space:  global
        .offset:         56
        .size:           8
        .value_kind:     global_buffer
      - .actual_access:  read_only
        .address_space:  global
        .offset:         64
        .size:           8
        .value_kind:     global_buffer
      - .actual_access:  read_only
        .address_space:  global
        .offset:         72
        .size:           8
        .value_kind:     global_buffer
      - .actual_access:  read_only
        .address_space:  global
        .offset:         80
        .size:           8
        .value_kind:     global_buffer
      - .offset:         88
        .size:           4
        .value_kind:     by_value
      - .offset:         92
        .size:           4
        .value_kind:     by_value
      - .offset:         96
        .size:           4
        .value_kind:     by_value
      - .offset:         100
        .size:           4
        .value_kind:     by_value
      - .offset:         104
        .size:           4
        .value_kind:     by_value
      - .offset:         112
        .size:           8
        .value_kind:     by_value
      - .offset:         120
        .size:           8
        .value_kind:     by_value
      - .offset:         128
        .size:           8
        .value_kind:     by_value
    .group_segment_fixed_size: 49152
    .kernarg_segment_align: 8
    .kernarg_segment_size: 136
    .language:       OpenCL C
    .language_version:
      - 2
      - 0
    .max_flat_workgroup_size: 256
    .name:           _ZN12_GLOBAL__N_139chunk_gated_delta_rule_fwd_h_hip_kernelILi32ELb1ELb0ELb0ELb1ELb1ELb0ELb1ELb1EEEvPK12hip_bfloat16S3_S3_PKfS5_PKvPS1_S8_PvPKiSB_iiiiilll
    .private_segment_fixed_size: 0
    .sgpr_count:     66
    .sgpr_spill_count: 0
    .symbol:         _ZN12_GLOBAL__N_139chunk_gated_delta_rule_fwd_h_hip_kernelILi32ELb1ELb0ELb0ELb1ELb1ELb0ELb1ELb1EEEvPK12hip_bfloat16S3_S3_PKfS5_PKvPS1_S8_PvPKiSB_iiiiilll.kd
    .uniform_work_group_size: 1
    .uses_dynamic_stack: false
    .vgpr_count:     148
    .vgpr_spill_count: 0
    .wavefront_size: 64
  - .agpr_count:     16
    .args:
      - .actual_access:  read_only
        .address_space:  global
        .offset:         0
        .size:           8
        .value_kind:     global_buffer
      - .actual_access:  read_only
        .address_space:  global
        .offset:         8
        .size:           8
        .value_kind:     global_buffer
      - .actual_access:  read_only
        .address_space:  global
        .offset:         16
        .size:           8
        .value_kind:     global_buffer
      - .actual_access:  read_only
        .address_space:  global
        .offset:         24
        .size:           8
        .value_kind:     global_buffer
      - .actual_access:  read_only
        .address_space:  global
        .offset:         32
        .size:           8
        .value_kind:     global_buffer
      - .actual_access:  read_only
        .address_space:  global
        .offset:         40
        .size:           8
        .value_kind:     global_buffer
      - .actual_access:  write_only
        .address_space:  global
        .offset:         48
        .size:           8
        .value_kind:     global_buffer
      - .actual_access:  write_only
        .address_space:  global
        .offset:         56
        .size:           8
        .value_kind:     global_buffer
      - .actual_access:  write_only
        .address_space:  global
        .offset:         64
        .size:           8
        .value_kind:     global_buffer
      - .actual_access:  read_only
        .address_space:  global
        .offset:         72
        .size:           8
        .value_kind:     global_buffer
      - .actual_access:  read_only
        .address_space:  global
        .offset:         80
        .size:           8
        .value_kind:     global_buffer
      - .offset:         88
        .size:           4
        .value_kind:     by_value
      - .offset:         92
        .size:           4
        .value_kind:     by_value
      - .offset:         96
        .size:           4
        .value_kind:     by_value
      - .offset:         100
        .size:           4
        .value_kind:     by_value
      - .offset:         104
        .size:           4
        .value_kind:     by_value
      - .offset:         112
        .size:           8
        .value_kind:     by_value
      - .offset:         120
        .size:           8
        .value_kind:     by_value
      - .offset:         128
        .size:           8
        .value_kind:     by_value
    .group_segment_fixed_size: 49152
    .kernarg_segment_align: 8
    .kernarg_segment_size: 136
    .language:       OpenCL C
    .language_version:
      - 2
      - 0
    .max_flat_workgroup_size: 256
    .name:           _ZN12_GLOBAL__N_139chunk_gated_delta_rule_fwd_h_hip_kernelILi32ELb0ELb1ELb1ELb1ELb1ELb0ELb1ELb1EEEvPK12hip_bfloat16S3_S3_PKfS5_PKvPS1_S8_PvPKiSB_iiiiilll
    .private_segment_fixed_size: 0
    .sgpr_count:     74
    .sgpr_spill_count: 0
    .symbol:         _ZN12_GLOBAL__N_139chunk_gated_delta_rule_fwd_h_hip_kernelILi32ELb0ELb1ELb1ELb1ELb1ELb0ELb1ELb1EEEvPK12hip_bfloat16S3_S3_PKfS5_PKvPS1_S8_PvPKiSB_iiiiilll.kd
    .uniform_work_group_size: 1
    .uses_dynamic_stack: false
    .vgpr_count:     148
    .vgpr_spill_count: 0
    .wavefront_size: 64
  - .agpr_count:     16
    .args:
      - .actual_access:  read_only
        .address_space:  global
        .offset:         0
        .size:           8
        .value_kind:     global_buffer
      - .actual_access:  read_only
        .address_space:  global
        .offset:         8
        .size:           8
        .value_kind:     global_buffer
      - .actual_access:  read_only
        .address_space:  global
        .offset:         16
        .size:           8
        .value_kind:     global_buffer
      - .actual_access:  read_only
        .address_space:  global
        .offset:         24
        .size:           8
        .value_kind:     global_buffer
      - .actual_access:  read_only
        .address_space:  global
        .offset:         32
        .size:           8
        .value_kind:     global_buffer
      - .actual_access:  read_only
        .address_space:  global
        .offset:         40
        .size:           8
        .value_kind:     global_buffer
      - .actual_access:  write_only
        .address_space:  global
        .offset:         48
        .size:           8
        .value_kind:     global_buffer
      - .actual_access:  read_only
        .address_space:  global
        .offset:         56
        .size:           8
        .value_kind:     global_buffer
      - .actual_access:  write_only
        .address_space:  global
        .offset:         64
        .size:           8
        .value_kind:     global_buffer
      - .actual_access:  read_only
        .address_space:  global
        .offset:         72
        .size:           8
        .value_kind:     global_buffer
      - .actual_access:  read_only
        .address_space:  global
        .offset:         80
        .size:           8
        .value_kind:     global_buffer
      - .offset:         88
        .size:           4
        .value_kind:     by_value
      - .offset:         92
        .size:           4
        .value_kind:     by_value
      - .offset:         96
        .size:           4
        .value_kind:     by_value
      - .offset:         100
        .size:           4
        .value_kind:     by_value
      - .offset:         104
        .size:           4
        .value_kind:     by_value
      - .offset:         112
        .size:           8
        .value_kind:     by_value
      - .offset:         120
        .size:           8
        .value_kind:     by_value
      - .offset:         128
        .size:           8
        .value_kind:     by_value
    .group_segment_fixed_size: 49152
    .kernarg_segment_align: 8
    .kernarg_segment_size: 136
    .language:       OpenCL C
    .language_version:
      - 2
      - 0
    .max_flat_workgroup_size: 256
    .name:           _ZN12_GLOBAL__N_139chunk_gated_delta_rule_fwd_h_hip_kernelILi32ELb0ELb1ELb0ELb1ELb1ELb0ELb1ELb1EEEvPK12hip_bfloat16S3_S3_PKfS5_PKvPS1_S8_PvPKiSB_iiiiilll
    .private_segment_fixed_size: 0
    .sgpr_count:     70
    .sgpr_spill_count: 0
    .symbol:         _ZN12_GLOBAL__N_139chunk_gated_delta_rule_fwd_h_hip_kernelILi32ELb0ELb1ELb0ELb1ELb1ELb0ELb1ELb1EEEvPK12hip_bfloat16S3_S3_PKfS5_PKvPS1_S8_PvPKiSB_iiiiilll.kd
    .uniform_work_group_size: 1
    .uses_dynamic_stack: false
    .vgpr_count:     148
    .vgpr_spill_count: 0
    .wavefront_size: 64
  - .agpr_count:     20
    .args:
      - .actual_access:  read_only
        .address_space:  global
        .offset:         0
        .size:           8
        .value_kind:     global_buffer
      - .actual_access:  read_only
        .address_space:  global
        .offset:         8
        .size:           8
        .value_kind:     global_buffer
      - .actual_access:  read_only
        .address_space:  global
        .offset:         16
        .size:           8
        .value_kind:     global_buffer
      - .actual_access:  read_only
        .address_space:  global
        .offset:         24
        .size:           8
        .value_kind:     global_buffer
      - .actual_access:  read_only
        .address_space:  global
        .offset:         32
        .size:           8
        .value_kind:     global_buffer
      - .actual_access:  read_only
        .address_space:  global
        .offset:         40
        .size:           8
        .value_kind:     global_buffer
      - .actual_access:  write_only
        .address_space:  global
        .offset:         48
        .size:           8
        .value_kind:     global_buffer
      - .actual_access:  write_only
        .address_space:  global
        .offset:         56
        .size:           8
        .value_kind:     global_buffer
      - .actual_access:  read_only
        .address_space:  global
        .offset:         64
        .size:           8
        .value_kind:     global_buffer
      - .actual_access:  read_only
        .address_space:  global
        .offset:         72
        .size:           8
        .value_kind:     global_buffer
      - .actual_access:  read_only
        .address_space:  global
        .offset:         80
        .size:           8
        .value_kind:     global_buffer
      - .offset:         88
        .size:           4
        .value_kind:     by_value
      - .offset:         92
        .size:           4
        .value_kind:     by_value
      - .offset:         96
        .size:           4
        .value_kind:     by_value
      - .offset:         100
        .size:           4
        .value_kind:     by_value
      - .offset:         104
        .size:           4
        .value_kind:     by_value
      - .offset:         112
        .size:           8
        .value_kind:     by_value
      - .offset:         120
        .size:           8
        .value_kind:     by_value
      - .offset:         128
        .size:           8
        .value_kind:     by_value
    .group_segment_fixed_size: 49152
    .kernarg_segment_align: 8
    .kernarg_segment_size: 136
    .language:       OpenCL C
    .language_version:
      - 2
      - 0
    .max_flat_workgroup_size: 256
    .name:           _ZN12_GLOBAL__N_139chunk_gated_delta_rule_fwd_h_hip_kernelILi32ELb0ELb0ELb1ELb1ELb1ELb0ELb1ELb1EEEvPK12hip_bfloat16S3_S3_PKfS5_PKvPS1_S8_PvPKiSB_iiiiilll
    .private_segment_fixed_size: 0
    .sgpr_count:     68
    .sgpr_spill_count: 0
    .symbol:         _ZN12_GLOBAL__N_139chunk_gated_delta_rule_fwd_h_hip_kernelILi32ELb0ELb0ELb1ELb1ELb1ELb0ELb1ELb1EEEvPK12hip_bfloat16S3_S3_PKfS5_PKvPS1_S8_PvPKiSB_iiiiilll.kd
    .uniform_work_group_size: 1
    .uses_dynamic_stack: false
    .vgpr_count:     152
    .vgpr_spill_count: 0
    .wavefront_size: 64
  - .agpr_count:     20
    .args:
      - .actual_access:  read_only
        .address_space:  global
        .offset:         0
        .size:           8
        .value_kind:     global_buffer
      - .actual_access:  read_only
        .address_space:  global
        .offset:         8
        .size:           8
        .value_kind:     global_buffer
      - .actual_access:  read_only
        .address_space:  global
        .offset:         16
        .size:           8
        .value_kind:     global_buffer
      - .actual_access:  read_only
        .address_space:  global
        .offset:         24
        .size:           8
        .value_kind:     global_buffer
      - .actual_access:  read_only
        .address_space:  global
        .offset:         32
        .size:           8
        .value_kind:     global_buffer
      - .actual_access:  read_only
        .address_space:  global
        .offset:         40
        .size:           8
        .value_kind:     global_buffer
      - .actual_access:  write_only
        .address_space:  global
        .offset:         48
        .size:           8
        .value_kind:     global_buffer
      - .actual_access:  read_only
        .address_space:  global
        .offset:         56
        .size:           8
        .value_kind:     global_buffer
      - .actual_access:  read_only
        .address_space:  global
        .offset:         64
        .size:           8
        .value_kind:     global_buffer
      - .actual_access:  read_only
        .address_space:  global
        .offset:         72
        .size:           8
        .value_kind:     global_buffer
      - .actual_access:  read_only
        .address_space:  global
        .offset:         80
        .size:           8
        .value_kind:     global_buffer
      - .offset:         88
        .size:           4
        .value_kind:     by_value
      - .offset:         92
        .size:           4
        .value_kind:     by_value
      - .offset:         96
        .size:           4
        .value_kind:     by_value
      - .offset:         100
        .size:           4
        .value_kind:     by_value
      - .offset:         104
        .size:           4
        .value_kind:     by_value
      - .offset:         112
        .size:           8
        .value_kind:     by_value
      - .offset:         120
        .size:           8
        .value_kind:     by_value
      - .offset:         128
        .size:           8
        .value_kind:     by_value
    .group_segment_fixed_size: 49152
    .kernarg_segment_align: 8
    .kernarg_segment_size: 136
    .language:       OpenCL C
    .language_version:
      - 2
      - 0
    .max_flat_workgroup_size: 256
    .name:           _ZN12_GLOBAL__N_139chunk_gated_delta_rule_fwd_h_hip_kernelILi32ELb0ELb0ELb0ELb1ELb1ELb0ELb1ELb1EEEvPK12hip_bfloat16S3_S3_PKfS5_PKvPS1_S8_PvPKiSB_iiiiilll
    .private_segment_fixed_size: 0
    .sgpr_count:     65
    .sgpr_spill_count: 0
    .symbol:         _ZN12_GLOBAL__N_139chunk_gated_delta_rule_fwd_h_hip_kernelILi32ELb0ELb0ELb0ELb1ELb1ELb0ELb1ELb1EEEvPK12hip_bfloat16S3_S3_PKfS5_PKvPS1_S8_PvPKiSB_iiiiilll.kd
    .uniform_work_group_size: 1
    .uses_dynamic_stack: false
    .vgpr_count:     152
    .vgpr_spill_count: 0
    .wavefront_size: 64
  - .agpr_count:     16
    .args:
      - .actual_access:  read_only
        .address_space:  global
        .offset:         0
        .size:           8
        .value_kind:     global_buffer
      - .actual_access:  read_only
        .address_space:  global
        .offset:         8
        .size:           8
        .value_kind:     global_buffer
      - .actual_access:  read_only
        .address_space:  global
        .offset:         16
        .size:           8
        .value_kind:     global_buffer
      - .actual_access:  read_only
        .address_space:  global
        .offset:         24
        .size:           8
        .value_kind:     global_buffer
      - .actual_access:  read_only
        .address_space:  global
        .offset:         32
        .size:           8
        .value_kind:     global_buffer
      - .actual_access:  read_only
        .address_space:  global
        .offset:         40
        .size:           8
        .value_kind:     global_buffer
      - .actual_access:  write_only
        .address_space:  global
        .offset:         48
        .size:           8
        .value_kind:     global_buffer
      - .actual_access:  write_only
        .address_space:  global
        .offset:         56
        .size:           8
        .value_kind:     global_buffer
      - .actual_access:  write_only
        .address_space:  global
        .offset:         64
        .size:           8
        .value_kind:     global_buffer
      - .actual_access:  read_only
        .address_space:  global
        .offset:         72
        .size:           8
        .value_kind:     global_buffer
      - .actual_access:  read_only
        .address_space:  global
        .offset:         80
        .size:           8
        .value_kind:     global_buffer
      - .offset:         88
        .size:           4
        .value_kind:     by_value
      - .offset:         92
        .size:           4
        .value_kind:     by_value
      - .offset:         96
        .size:           4
        .value_kind:     by_value
      - .offset:         100
        .size:           4
        .value_kind:     by_value
      - .offset:         104
        .size:           4
        .value_kind:     by_value
      - .offset:         112
        .size:           8
        .value_kind:     by_value
      - .offset:         120
        .size:           8
        .value_kind:     by_value
      - .offset:         128
        .size:           8
        .value_kind:     by_value
    .group_segment_fixed_size: 49152
    .kernarg_segment_align: 8
    .kernarg_segment_size: 136
    .language:       OpenCL C
    .language_version:
      - 2
      - 0
    .max_flat_workgroup_size: 256
    .name:           _ZN12_GLOBAL__N_139chunk_gated_delta_rule_fwd_h_hip_kernelILi32ELb1ELb1ELb1ELb0ELb1ELb0ELb1ELb1EEEvPK12hip_bfloat16S3_S3_PKfS5_PKvPS1_S8_PvPKiSB_iiiiilll
    .private_segment_fixed_size: 0
    .sgpr_count:     80
    .sgpr_spill_count: 0
    .symbol:         _ZN12_GLOBAL__N_139chunk_gated_delta_rule_fwd_h_hip_kernelILi32ELb1ELb1ELb1ELb0ELb1ELb0ELb1ELb1EEEvPK12hip_bfloat16S3_S3_PKfS5_PKvPS1_S8_PvPKiSB_iiiiilll.kd
    .uniform_work_group_size: 1
    .uses_dynamic_stack: false
    .vgpr_count:     156
    .vgpr_spill_count: 0
    .wavefront_size: 64
  - .agpr_count:     16
    .args:
      - .actual_access:  read_only
        .address_space:  global
        .offset:         0
        .size:           8
        .value_kind:     global_buffer
      - .actual_access:  read_only
        .address_space:  global
        .offset:         8
        .size:           8
        .value_kind:     global_buffer
      - .actual_access:  read_only
        .address_space:  global
        .offset:         16
        .size:           8
        .value_kind:     global_buffer
      - .actual_access:  read_only
        .address_space:  global
        .offset:         24
        .size:           8
        .value_kind:     global_buffer
      - .actual_access:  read_only
        .address_space:  global
        .offset:         32
        .size:           8
        .value_kind:     global_buffer
      - .actual_access:  read_only
        .address_space:  global
        .offset:         40
        .size:           8
        .value_kind:     global_buffer
      - .actual_access:  write_only
        .address_space:  global
        .offset:         48
        .size:           8
        .value_kind:     global_buffer
      - .actual_access:  read_only
        .address_space:  global
        .offset:         56
        .size:           8
        .value_kind:     global_buffer
      - .actual_access:  write_only
        .address_space:  global
        .offset:         64
        .size:           8
        .value_kind:     global_buffer
      - .actual_access:  read_only
        .address_space:  global
        .offset:         72
        .size:           8
        .value_kind:     global_buffer
      - .actual_access:  read_only
        .address_space:  global
        .offset:         80
        .size:           8
        .value_kind:     global_buffer
      - .offset:         88
        .size:           4
        .value_kind:     by_value
      - .offset:         92
        .size:           4
        .value_kind:     by_value
      - .offset:         96
        .size:           4
        .value_kind:     by_value
      - .offset:         100
        .size:           4
        .value_kind:     by_value
      - .offset:         104
        .size:           4
        .value_kind:     by_value
      - .offset:         112
        .size:           8
        .value_kind:     by_value
      - .offset:         120
        .size:           8
        .value_kind:     by_value
      - .offset:         128
        .size:           8
        .value_kind:     by_value
    .group_segment_fixed_size: 49152
    .kernarg_segment_align: 8
    .kernarg_segment_size: 136
    .language:       OpenCL C
    .language_version:
      - 2
      - 0
    .max_flat_workgroup_size: 256
    .name:           _ZN12_GLOBAL__N_139chunk_gated_delta_rule_fwd_h_hip_kernelILi32ELb1ELb1ELb0ELb0ELb1ELb0ELb1ELb1EEEvPK12hip_bfloat16S3_S3_PKfS5_PKvPS1_S8_PvPKiSB_iiiiilll
    .private_segment_fixed_size: 0
    .sgpr_count:     75
    .sgpr_spill_count: 0
    .symbol:         _ZN12_GLOBAL__N_139chunk_gated_delta_rule_fwd_h_hip_kernelILi32ELb1ELb1ELb0ELb0ELb1ELb0ELb1ELb1EEEvPK12hip_bfloat16S3_S3_PKfS5_PKvPS1_S8_PvPKiSB_iiiiilll.kd
    .uniform_work_group_size: 1
    .uses_dynamic_stack: false
    .vgpr_count:     152
    .vgpr_spill_count: 0
    .wavefront_size: 64
  - .agpr_count:     16
    .args:
      - .actual_access:  read_only
        .address_space:  global
        .offset:         0
        .size:           8
        .value_kind:     global_buffer
      - .actual_access:  read_only
        .address_space:  global
        .offset:         8
        .size:           8
        .value_kind:     global_buffer
      - .actual_access:  read_only
        .address_space:  global
        .offset:         16
        .size:           8
        .value_kind:     global_buffer
      - .actual_access:  read_only
        .address_space:  global
        .offset:         24
        .size:           8
        .value_kind:     global_buffer
      - .actual_access:  read_only
        .address_space:  global
        .offset:         32
        .size:           8
        .value_kind:     global_buffer
      - .actual_access:  read_only
        .address_space:  global
        .offset:         40
        .size:           8
        .value_kind:     global_buffer
      - .actual_access:  write_only
        .address_space:  global
        .offset:         48
        .size:           8
        .value_kind:     global_buffer
      - .actual_access:  write_only
        .address_space:  global
        .offset:         56
        .size:           8
        .value_kind:     global_buffer
      - .actual_access:  read_only
        .address_space:  global
        .offset:         64
        .size:           8
        .value_kind:     global_buffer
      - .actual_access:  read_only
        .address_space:  global
        .offset:         72
        .size:           8
        .value_kind:     global_buffer
      - .actual_access:  read_only
        .address_space:  global
        .offset:         80
        .size:           8
        .value_kind:     global_buffer
      - .offset:         88
        .size:           4
        .value_kind:     by_value
      - .offset:         92
        .size:           4
        .value_kind:     by_value
      - .offset:         96
        .size:           4
        .value_kind:     by_value
      - .offset:         100
        .size:           4
        .value_kind:     by_value
      - .offset:         104
        .size:           4
        .value_kind:     by_value
      - .offset:         112
        .size:           8
        .value_kind:     by_value
      - .offset:         120
        .size:           8
        .value_kind:     by_value
      - .offset:         128
        .size:           8
        .value_kind:     by_value
    .group_segment_fixed_size: 49152
    .kernarg_segment_align: 8
    .kernarg_segment_size: 136
    .language:       OpenCL C
    .language_version:
      - 2
      - 0
    .max_flat_workgroup_size: 256
    .name:           _ZN12_GLOBAL__N_139chunk_gated_delta_rule_fwd_h_hip_kernelILi32ELb1ELb0ELb1ELb0ELb1ELb0ELb1ELb1EEEvPK12hip_bfloat16S3_S3_PKfS5_PKvPS1_S8_PvPKiSB_iiiiilll
    .private_segment_fixed_size: 0
    .sgpr_count:     76
    .sgpr_spill_count: 0
    .symbol:         _ZN12_GLOBAL__N_139chunk_gated_delta_rule_fwd_h_hip_kernelILi32ELb1ELb0ELb1ELb0ELb1ELb0ELb1ELb1EEEvPK12hip_bfloat16S3_S3_PKfS5_PKvPS1_S8_PvPKiSB_iiiiilll.kd
    .uniform_work_group_size: 1
    .uses_dynamic_stack: false
    .vgpr_count:     148
    .vgpr_spill_count: 0
    .wavefront_size: 64
  - .agpr_count:     16
    .args:
      - .actual_access:  read_only
        .address_space:  global
        .offset:         0
        .size:           8
        .value_kind:     global_buffer
      - .actual_access:  read_only
        .address_space:  global
        .offset:         8
        .size:           8
        .value_kind:     global_buffer
      - .actual_access:  read_only
        .address_space:  global
        .offset:         16
        .size:           8
        .value_kind:     global_buffer
      - .actual_access:  read_only
        .address_space:  global
        .offset:         24
        .size:           8
        .value_kind:     global_buffer
      - .actual_access:  read_only
        .address_space:  global
        .offset:         32
        .size:           8
        .value_kind:     global_buffer
      - .actual_access:  read_only
        .address_space:  global
        .offset:         40
        .size:           8
        .value_kind:     global_buffer
      - .actual_access:  write_only
        .address_space:  global
        .offset:         48
        .size:           8
        .value_kind:     global_buffer
      - .actual_access:  read_only
        .address_space:  global
        .offset:         56
        .size:           8
        .value_kind:     global_buffer
      - .actual_access:  read_only
        .address_space:  global
        .offset:         64
        .size:           8
        .value_kind:     global_buffer
      - .actual_access:  read_only
        .address_space:  global
        .offset:         72
        .size:           8
        .value_kind:     global_buffer
      - .actual_access:  read_only
        .address_space:  global
        .offset:         80
        .size:           8
        .value_kind:     global_buffer
      - .offset:         88
        .size:           4
        .value_kind:     by_value
      - .offset:         92
        .size:           4
        .value_kind:     by_value
      - .offset:         96
        .size:           4
        .value_kind:     by_value
      - .offset:         100
        .size:           4
        .value_kind:     by_value
      - .offset:         104
        .size:           4
        .value_kind:     by_value
      - .offset:         112
        .size:           8
        .value_kind:     by_value
      - .offset:         120
        .size:           8
        .value_kind:     by_value
      - .offset:         128
        .size:           8
        .value_kind:     by_value
    .group_segment_fixed_size: 49152
    .kernarg_segment_align: 8
    .kernarg_segment_size: 136
    .language:       OpenCL C
    .language_version:
      - 2
      - 0
    .max_flat_workgroup_size: 256
    .name:           _ZN12_GLOBAL__N_139chunk_gated_delta_rule_fwd_h_hip_kernelILi32ELb1ELb0ELb0ELb0ELb1ELb0ELb1ELb1EEEvPK12hip_bfloat16S3_S3_PKfS5_PKvPS1_S8_PvPKiSB_iiiiilll
    .private_segment_fixed_size: 0
    .sgpr_count:     71
    .sgpr_spill_count: 0
    .symbol:         _ZN12_GLOBAL__N_139chunk_gated_delta_rule_fwd_h_hip_kernelILi32ELb1ELb0ELb0ELb0ELb1ELb0ELb1ELb1EEEvPK12hip_bfloat16S3_S3_PKfS5_PKvPS1_S8_PvPKiSB_iiiiilll.kd
    .uniform_work_group_size: 1
    .uses_dynamic_stack: false
    .vgpr_count:     148
    .vgpr_spill_count: 0
    .wavefront_size: 64
  - .agpr_count:     16
    .args:
      - .actual_access:  read_only
        .address_space:  global
        .offset:         0
        .size:           8
        .value_kind:     global_buffer
      - .actual_access:  read_only
        .address_space:  global
        .offset:         8
        .size:           8
        .value_kind:     global_buffer
      - .actual_access:  read_only
        .address_space:  global
        .offset:         16
        .size:           8
        .value_kind:     global_buffer
      - .actual_access:  read_only
        .address_space:  global
        .offset:         24
        .size:           8
        .value_kind:     global_buffer
      - .actual_access:  read_only
        .address_space:  global
        .offset:         32
        .size:           8
        .value_kind:     global_buffer
      - .actual_access:  read_only
        .address_space:  global
        .offset:         40
        .size:           8
        .value_kind:     global_buffer
      - .actual_access:  write_only
        .address_space:  global
        .offset:         48
        .size:           8
        .value_kind:     global_buffer
      - .actual_access:  write_only
        .address_space:  global
        .offset:         56
        .size:           8
        .value_kind:     global_buffer
      - .actual_access:  write_only
        .address_space:  global
        .offset:         64
        .size:           8
        .value_kind:     global_buffer
      - .actual_access:  read_only
        .address_space:  global
        .offset:         72
        .size:           8
        .value_kind:     global_buffer
      - .actual_access:  read_only
        .address_space:  global
        .offset:         80
        .size:           8
        .value_kind:     global_buffer
      - .offset:         88
        .size:           4
        .value_kind:     by_value
      - .offset:         92
        .size:           4
        .value_kind:     by_value
      - .offset:         96
        .size:           4
        .value_kind:     by_value
      - .offset:         100
        .size:           4
        .value_kind:     by_value
      - .offset:         104
        .size:           4
        .value_kind:     by_value
      - .offset:         112
        .size:           8
        .value_kind:     by_value
      - .offset:         120
        .size:           8
        .value_kind:     by_value
      - .offset:         128
        .size:           8
        .value_kind:     by_value
    .group_segment_fixed_size: 49152
    .kernarg_segment_align: 8
    .kernarg_segment_size: 136
    .language:       OpenCL C
    .language_version:
      - 2
      - 0
    .max_flat_workgroup_size: 256
    .name:           _ZN12_GLOBAL__N_139chunk_gated_delta_rule_fwd_h_hip_kernelILi32ELb0ELb1ELb1ELb0ELb1ELb0ELb1ELb1EEEvPK12hip_bfloat16S3_S3_PKfS5_PKvPS1_S8_PvPKiSB_iiiiilll
    .private_segment_fixed_size: 0
    .sgpr_count:     74
    .sgpr_spill_count: 0
    .symbol:         _ZN12_GLOBAL__N_139chunk_gated_delta_rule_fwd_h_hip_kernelILi32ELb0ELb1ELb1ELb0ELb1ELb0ELb1ELb1EEEvPK12hip_bfloat16S3_S3_PKfS5_PKvPS1_S8_PvPKiSB_iiiiilll.kd
    .uniform_work_group_size: 1
    .uses_dynamic_stack: false
    .vgpr_count:     148
    .vgpr_spill_count: 0
    .wavefront_size: 64
  - .agpr_count:     16
    .args:
      - .actual_access:  read_only
        .address_space:  global
        .offset:         0
        .size:           8
        .value_kind:     global_buffer
      - .actual_access:  read_only
        .address_space:  global
        .offset:         8
        .size:           8
        .value_kind:     global_buffer
      - .actual_access:  read_only
        .address_space:  global
        .offset:         16
        .size:           8
        .value_kind:     global_buffer
      - .actual_access:  read_only
        .address_space:  global
        .offset:         24
        .size:           8
        .value_kind:     global_buffer
      - .actual_access:  read_only
        .address_space:  global
        .offset:         32
        .size:           8
        .value_kind:     global_buffer
      - .actual_access:  read_only
        .address_space:  global
        .offset:         40
        .size:           8
        .value_kind:     global_buffer
      - .actual_access:  write_only
        .address_space:  global
        .offset:         48
        .size:           8
        .value_kind:     global_buffer
      - .actual_access:  read_only
        .address_space:  global
        .offset:         56
        .size:           8
        .value_kind:     global_buffer
      - .actual_access:  write_only
        .address_space:  global
        .offset:         64
        .size:           8
        .value_kind:     global_buffer
      - .actual_access:  read_only
        .address_space:  global
        .offset:         72
        .size:           8
        .value_kind:     global_buffer
      - .actual_access:  read_only
        .address_space:  global
        .offset:         80
        .size:           8
        .value_kind:     global_buffer
      - .offset:         88
        .size:           4
        .value_kind:     by_value
      - .offset:         92
        .size:           4
        .value_kind:     by_value
      - .offset:         96
        .size:           4
        .value_kind:     by_value
      - .offset:         100
        .size:           4
        .value_kind:     by_value
      - .offset:         104
        .size:           4
        .value_kind:     by_value
      - .offset:         112
        .size:           8
        .value_kind:     by_value
      - .offset:         120
        .size:           8
        .value_kind:     by_value
      - .offset:         128
        .size:           8
        .value_kind:     by_value
    .group_segment_fixed_size: 49152
    .kernarg_segment_align: 8
    .kernarg_segment_size: 136
    .language:       OpenCL C
    .language_version:
      - 2
      - 0
    .max_flat_workgroup_size: 256
    .name:           _ZN12_GLOBAL__N_139chunk_gated_delta_rule_fwd_h_hip_kernelILi32ELb0ELb1ELb0ELb0ELb1ELb0ELb1ELb1EEEvPK12hip_bfloat16S3_S3_PKfS5_PKvPS1_S8_PvPKiSB_iiiiilll
    .private_segment_fixed_size: 0
    .sgpr_count:     70
    .sgpr_spill_count: 0
    .symbol:         _ZN12_GLOBAL__N_139chunk_gated_delta_rule_fwd_h_hip_kernelILi32ELb0ELb1ELb0ELb0ELb1ELb0ELb1ELb1EEEvPK12hip_bfloat16S3_S3_PKfS5_PKvPS1_S8_PvPKiSB_iiiiilll.kd
    .uniform_work_group_size: 1
    .uses_dynamic_stack: false
    .vgpr_count:     148
    .vgpr_spill_count: 0
    .wavefront_size: 64
  - .agpr_count:     20
    .args:
      - .actual_access:  read_only
        .address_space:  global
        .offset:         0
        .size:           8
        .value_kind:     global_buffer
      - .actual_access:  read_only
        .address_space:  global
        .offset:         8
        .size:           8
        .value_kind:     global_buffer
      - .actual_access:  read_only
        .address_space:  global
        .offset:         16
        .size:           8
        .value_kind:     global_buffer
      - .actual_access:  read_only
        .address_space:  global
        .offset:         24
        .size:           8
        .value_kind:     global_buffer
      - .actual_access:  read_only
        .address_space:  global
        .offset:         32
        .size:           8
        .value_kind:     global_buffer
      - .actual_access:  read_only
        .address_space:  global
        .offset:         40
        .size:           8
        .value_kind:     global_buffer
      - .actual_access:  write_only
        .address_space:  global
        .offset:         48
        .size:           8
        .value_kind:     global_buffer
      - .actual_access:  write_only
        .address_space:  global
        .offset:         56
        .size:           8
        .value_kind:     global_buffer
      - .actual_access:  read_only
        .address_space:  global
        .offset:         64
        .size:           8
        .value_kind:     global_buffer
      - .actual_access:  read_only
        .address_space:  global
        .offset:         72
        .size:           8
        .value_kind:     global_buffer
      - .actual_access:  read_only
        .address_space:  global
        .offset:         80
        .size:           8
        .value_kind:     global_buffer
      - .offset:         88
        .size:           4
        .value_kind:     by_value
      - .offset:         92
        .size:           4
        .value_kind:     by_value
      - .offset:         96
        .size:           4
        .value_kind:     by_value
      - .offset:         100
        .size:           4
        .value_kind:     by_value
      - .offset:         104
        .size:           4
        .value_kind:     by_value
      - .offset:         112
        .size:           8
        .value_kind:     by_value
      - .offset:         120
        .size:           8
        .value_kind:     by_value
      - .offset:         128
        .size:           8
        .value_kind:     by_value
    .group_segment_fixed_size: 49152
    .kernarg_segment_align: 8
    .kernarg_segment_size: 136
    .language:       OpenCL C
    .language_version:
      - 2
      - 0
    .max_flat_workgroup_size: 256
    .name:           _ZN12_GLOBAL__N_139chunk_gated_delta_rule_fwd_h_hip_kernelILi32ELb0ELb0ELb1ELb0ELb1ELb0ELb1ELb1EEEvPK12hip_bfloat16S3_S3_PKfS5_PKvPS1_S8_PvPKiSB_iiiiilll
    .private_segment_fixed_size: 0
    .sgpr_count:     72
    .sgpr_spill_count: 0
    .symbol:         _ZN12_GLOBAL__N_139chunk_gated_delta_rule_fwd_h_hip_kernelILi32ELb0ELb0ELb1ELb0ELb1ELb0ELb1ELb1EEEvPK12hip_bfloat16S3_S3_PKfS5_PKvPS1_S8_PvPKiSB_iiiiilll.kd
    .uniform_work_group_size: 1
    .uses_dynamic_stack: false
    .vgpr_count:     152
    .vgpr_spill_count: 0
    .wavefront_size: 64
  - .agpr_count:     20
    .args:
      - .actual_access:  read_only
        .address_space:  global
        .offset:         0
        .size:           8
        .value_kind:     global_buffer
      - .actual_access:  read_only
        .address_space:  global
        .offset:         8
        .size:           8
        .value_kind:     global_buffer
      - .actual_access:  read_only
        .address_space:  global
        .offset:         16
        .size:           8
        .value_kind:     global_buffer
      - .actual_access:  read_only
        .address_space:  global
        .offset:         24
        .size:           8
        .value_kind:     global_buffer
      - .actual_access:  read_only
        .address_space:  global
        .offset:         32
        .size:           8
        .value_kind:     global_buffer
      - .actual_access:  read_only
        .address_space:  global
        .offset:         40
        .size:           8
        .value_kind:     global_buffer
      - .actual_access:  write_only
        .address_space:  global
        .offset:         48
        .size:           8
        .value_kind:     global_buffer
      - .actual_access:  read_only
        .address_space:  global
        .offset:         56
        .size:           8
        .value_kind:     global_buffer
      - .actual_access:  read_only
        .address_space:  global
        .offset:         64
        .size:           8
        .value_kind:     global_buffer
      - .actual_access:  read_only
        .address_space:  global
        .offset:         72
        .size:           8
        .value_kind:     global_buffer
      - .actual_access:  read_only
        .address_space:  global
        .offset:         80
        .size:           8
        .value_kind:     global_buffer
      - .offset:         88
        .size:           4
        .value_kind:     by_value
      - .offset:         92
        .size:           4
        .value_kind:     by_value
      - .offset:         96
        .size:           4
        .value_kind:     by_value
      - .offset:         100
        .size:           4
        .value_kind:     by_value
      - .offset:         104
        .size:           4
        .value_kind:     by_value
      - .offset:         112
        .size:           8
        .value_kind:     by_value
      - .offset:         120
        .size:           8
        .value_kind:     by_value
      - .offset:         128
        .size:           8
        .value_kind:     by_value
    .group_segment_fixed_size: 49152
    .kernarg_segment_align: 8
    .kernarg_segment_size: 136
    .language:       OpenCL C
    .language_version:
      - 2
      - 0
    .max_flat_workgroup_size: 256
    .name:           _ZN12_GLOBAL__N_139chunk_gated_delta_rule_fwd_h_hip_kernelILi32ELb0ELb0ELb0ELb0ELb1ELb0ELb1ELb1EEEvPK12hip_bfloat16S3_S3_PKfS5_PKvPS1_S8_PvPKiSB_iiiiilll
    .private_segment_fixed_size: 0
    .sgpr_count:     68
    .sgpr_spill_count: 0
    .symbol:         _ZN12_GLOBAL__N_139chunk_gated_delta_rule_fwd_h_hip_kernelILi32ELb0ELb0ELb0ELb0ELb1ELb0ELb1ELb1EEEvPK12hip_bfloat16S3_S3_PKfS5_PKvPS1_S8_PvPKiSB_iiiiilll.kd
    .uniform_work_group_size: 1
    .uses_dynamic_stack: false
    .vgpr_count:     152
    .vgpr_spill_count: 0
    .wavefront_size: 64
  - .agpr_count:     16
    .args:
      - .actual_access:  read_only
        .address_space:  global
        .offset:         0
        .size:           8
        .value_kind:     global_buffer
      - .actual_access:  read_only
        .address_space:  global
        .offset:         8
        .size:           8
        .value_kind:     global_buffer
      - .actual_access:  read_only
        .address_space:  global
        .offset:         16
        .size:           8
        .value_kind:     global_buffer
      - .actual_access:  read_only
        .address_space:  global
        .offset:         24
        .size:           8
        .value_kind:     global_buffer
      - .actual_access:  read_only
        .address_space:  global
        .offset:         32
        .size:           8
        .value_kind:     global_buffer
      - .actual_access:  read_only
        .address_space:  global
        .offset:         40
        .size:           8
        .value_kind:     global_buffer
      - .actual_access:  write_only
        .address_space:  global
        .offset:         48
        .size:           8
        .value_kind:     global_buffer
      - .actual_access:  write_only
        .address_space:  global
        .offset:         56
        .size:           8
        .value_kind:     global_buffer
      - .actual_access:  write_only
        .address_space:  global
        .offset:         64
        .size:           8
        .value_kind:     global_buffer
      - .actual_access:  read_only
        .address_space:  global
        .offset:         72
        .size:           8
        .value_kind:     global_buffer
      - .actual_access:  read_only
        .address_space:  global
        .offset:         80
        .size:           8
        .value_kind:     global_buffer
      - .offset:         88
        .size:           4
        .value_kind:     by_value
      - .offset:         92
        .size:           4
        .value_kind:     by_value
      - .offset:         96
        .size:           4
        .value_kind:     by_value
      - .offset:         100
        .size:           4
        .value_kind:     by_value
      - .offset:         104
        .size:           4
        .value_kind:     by_value
      - .offset:         112
        .size:           8
        .value_kind:     by_value
      - .offset:         120
        .size:           8
        .value_kind:     by_value
      - .offset:         128
        .size:           8
        .value_kind:     by_value
    .group_segment_fixed_size: 49152
    .kernarg_segment_align: 8
    .kernarg_segment_size: 136
    .language:       OpenCL C
    .language_version:
      - 2
      - 0
    .max_flat_workgroup_size: 256
    .name:           _ZN12_GLOBAL__N_139chunk_gated_delta_rule_fwd_h_hip_kernelILi32ELb1ELb1ELb1ELb1ELb1ELb0ELb0ELb1EEEvPK12hip_bfloat16S3_S3_PKfS5_PKvPS1_S8_PvPKiSB_iiiiilll
    .private_segment_fixed_size: 0
    .sgpr_count:     74
    .sgpr_spill_count: 0
    .symbol:         _ZN12_GLOBAL__N_139chunk_gated_delta_rule_fwd_h_hip_kernelILi32ELb1ELb1ELb1ELb1ELb1ELb0ELb0ELb1EEEvPK12hip_bfloat16S3_S3_PKfS5_PKvPS1_S8_PvPKiSB_iiiiilll.kd
    .uniform_work_group_size: 1
    .uses_dynamic_stack: false
    .vgpr_count:     156
    .vgpr_spill_count: 0
    .wavefront_size: 64
  - .agpr_count:     16
    .args:
      - .actual_access:  read_only
        .address_space:  global
        .offset:         0
        .size:           8
        .value_kind:     global_buffer
      - .actual_access:  read_only
        .address_space:  global
        .offset:         8
        .size:           8
        .value_kind:     global_buffer
      - .actual_access:  read_only
        .address_space:  global
        .offset:         16
        .size:           8
        .value_kind:     global_buffer
      - .actual_access:  read_only
        .address_space:  global
        .offset:         24
        .size:           8
        .value_kind:     global_buffer
      - .actual_access:  read_only
        .address_space:  global
        .offset:         32
        .size:           8
        .value_kind:     global_buffer
      - .actual_access:  read_only
        .address_space:  global
        .offset:         40
        .size:           8
        .value_kind:     global_buffer
      - .actual_access:  write_only
        .address_space:  global
        .offset:         48
        .size:           8
        .value_kind:     global_buffer
      - .actual_access:  read_only
        .address_space:  global
        .offset:         56
        .size:           8
        .value_kind:     global_buffer
      - .actual_access:  write_only
        .address_space:  global
        .offset:         64
        .size:           8
        .value_kind:     global_buffer
      - .actual_access:  read_only
        .address_space:  global
        .offset:         72
        .size:           8
        .value_kind:     global_buffer
      - .actual_access:  read_only
        .address_space:  global
        .offset:         80
        .size:           8
        .value_kind:     global_buffer
      - .offset:         88
        .size:           4
        .value_kind:     by_value
      - .offset:         92
        .size:           4
        .value_kind:     by_value
      - .offset:         96
        .size:           4
        .value_kind:     by_value
      - .offset:         100
        .size:           4
        .value_kind:     by_value
      - .offset:         104
        .size:           4
        .value_kind:     by_value
      - .offset:         112
        .size:           8
        .value_kind:     by_value
      - .offset:         120
        .size:           8
        .value_kind:     by_value
      - .offset:         128
        .size:           8
        .value_kind:     by_value
    .group_segment_fixed_size: 49152
    .kernarg_segment_align: 8
    .kernarg_segment_size: 136
    .language:       OpenCL C
    .language_version:
      - 2
      - 0
    .max_flat_workgroup_size: 256
    .name:           _ZN12_GLOBAL__N_139chunk_gated_delta_rule_fwd_h_hip_kernelILi32ELb1ELb1ELb0ELb1ELb1ELb0ELb0ELb1EEEvPK12hip_bfloat16S3_S3_PKfS5_PKvPS1_S8_PvPKiSB_iiiiilll
    .private_segment_fixed_size: 0
    .sgpr_count:     70
    .sgpr_spill_count: 0
    .symbol:         _ZN12_GLOBAL__N_139chunk_gated_delta_rule_fwd_h_hip_kernelILi32ELb1ELb1ELb0ELb1ELb1ELb0ELb0ELb1EEEvPK12hip_bfloat16S3_S3_PKfS5_PKvPS1_S8_PvPKiSB_iiiiilll.kd
    .uniform_work_group_size: 1
    .uses_dynamic_stack: false
    .vgpr_count:     152
    .vgpr_spill_count: 0
    .wavefront_size: 64
  - .agpr_count:     16
    .args:
      - .actual_access:  read_only
        .address_space:  global
        .offset:         0
        .size:           8
        .value_kind:     global_buffer
      - .actual_access:  read_only
        .address_space:  global
        .offset:         8
        .size:           8
        .value_kind:     global_buffer
      - .actual_access:  read_only
        .address_space:  global
        .offset:         16
        .size:           8
        .value_kind:     global_buffer
      - .actual_access:  read_only
        .address_space:  global
        .offset:         24
        .size:           8
        .value_kind:     global_buffer
      - .actual_access:  read_only
        .address_space:  global
        .offset:         32
        .size:           8
        .value_kind:     global_buffer
      - .actual_access:  read_only
        .address_space:  global
        .offset:         40
        .size:           8
        .value_kind:     global_buffer
      - .actual_access:  write_only
        .address_space:  global
        .offset:         48
        .size:           8
        .value_kind:     global_buffer
      - .actual_access:  write_only
        .address_space:  global
        .offset:         56
        .size:           8
        .value_kind:     global_buffer
      - .actual_access:  read_only
        .address_space:  global
        .offset:         64
        .size:           8
        .value_kind:     global_buffer
      - .actual_access:  read_only
        .address_space:  global
        .offset:         72
        .size:           8
        .value_kind:     global_buffer
      - .actual_access:  read_only
        .address_space:  global
        .offset:         80
        .size:           8
        .value_kind:     global_buffer
      - .offset:         88
        .size:           4
        .value_kind:     by_value
      - .offset:         92
        .size:           4
        .value_kind:     by_value
      - .offset:         96
        .size:           4
        .value_kind:     by_value
      - .offset:         100
        .size:           4
        .value_kind:     by_value
      - .offset:         104
        .size:           4
        .value_kind:     by_value
      - .offset:         112
        .size:           8
        .value_kind:     by_value
      - .offset:         120
        .size:           8
        .value_kind:     by_value
      - .offset:         128
        .size:           8
        .value_kind:     by_value
    .group_segment_fixed_size: 49152
    .kernarg_segment_align: 8
    .kernarg_segment_size: 136
    .language:       OpenCL C
    .language_version:
      - 2
      - 0
    .max_flat_workgroup_size: 256
    .name:           _ZN12_GLOBAL__N_139chunk_gated_delta_rule_fwd_h_hip_kernelILi32ELb1ELb0ELb1ELb1ELb1ELb0ELb0ELb1EEEvPK12hip_bfloat16S3_S3_PKfS5_PKvPS1_S8_PvPKiSB_iiiiilll
    .private_segment_fixed_size: 0
    .sgpr_count:     70
    .sgpr_spill_count: 0
    .symbol:         _ZN12_GLOBAL__N_139chunk_gated_delta_rule_fwd_h_hip_kernelILi32ELb1ELb0ELb1ELb1ELb1ELb0ELb0ELb1EEEvPK12hip_bfloat16S3_S3_PKfS5_PKvPS1_S8_PvPKiSB_iiiiilll.kd
    .uniform_work_group_size: 1
    .uses_dynamic_stack: false
    .vgpr_count:     148
    .vgpr_spill_count: 0
    .wavefront_size: 64
  - .agpr_count:     16
    .args:
      - .actual_access:  read_only
        .address_space:  global
        .offset:         0
        .size:           8
        .value_kind:     global_buffer
      - .actual_access:  read_only
        .address_space:  global
        .offset:         8
        .size:           8
        .value_kind:     global_buffer
      - .actual_access:  read_only
        .address_space:  global
        .offset:         16
        .size:           8
        .value_kind:     global_buffer
      - .actual_access:  read_only
        .address_space:  global
        .offset:         24
        .size:           8
        .value_kind:     global_buffer
      - .actual_access:  read_only
        .address_space:  global
        .offset:         32
        .size:           8
        .value_kind:     global_buffer
      - .actual_access:  read_only
        .address_space:  global
        .offset:         40
        .size:           8
        .value_kind:     global_buffer
      - .actual_access:  write_only
        .address_space:  global
        .offset:         48
        .size:           8
        .value_kind:     global_buffer
      - .actual_access:  read_only
        .address_space:  global
        .offset:         56
        .size:           8
        .value_kind:     global_buffer
      - .actual_access:  read_only
        .address_space:  global
        .offset:         64
        .size:           8
        .value_kind:     global_buffer
      - .actual_access:  read_only
        .address_space:  global
        .offset:         72
        .size:           8
        .value_kind:     global_buffer
      - .actual_access:  read_only
        .address_space:  global
        .offset:         80
        .size:           8
        .value_kind:     global_buffer
      - .offset:         88
        .size:           4
        .value_kind:     by_value
      - .offset:         92
        .size:           4
        .value_kind:     by_value
      - .offset:         96
        .size:           4
        .value_kind:     by_value
      - .offset:         100
        .size:           4
        .value_kind:     by_value
      - .offset:         104
        .size:           4
        .value_kind:     by_value
      - .offset:         112
        .size:           8
        .value_kind:     by_value
      - .offset:         120
        .size:           8
        .value_kind:     by_value
      - .offset:         128
        .size:           8
        .value_kind:     by_value
    .group_segment_fixed_size: 49152
    .kernarg_segment_align: 8
    .kernarg_segment_size: 136
    .language:       OpenCL C
    .language_version:
      - 2
      - 0
    .max_flat_workgroup_size: 256
    .name:           _ZN12_GLOBAL__N_139chunk_gated_delta_rule_fwd_h_hip_kernelILi32ELb1ELb0ELb0ELb1ELb1ELb0ELb0ELb1EEEvPK12hip_bfloat16S3_S3_PKfS5_PKvPS1_S8_PvPKiSB_iiiiilll
    .private_segment_fixed_size: 0
    .sgpr_count:     66
    .sgpr_spill_count: 0
    .symbol:         _ZN12_GLOBAL__N_139chunk_gated_delta_rule_fwd_h_hip_kernelILi32ELb1ELb0ELb0ELb1ELb1ELb0ELb0ELb1EEEvPK12hip_bfloat16S3_S3_PKfS5_PKvPS1_S8_PvPKiSB_iiiiilll.kd
    .uniform_work_group_size: 1
    .uses_dynamic_stack: false
    .vgpr_count:     148
    .vgpr_spill_count: 0
    .wavefront_size: 64
  - .agpr_count:     16
    .args:
      - .actual_access:  read_only
        .address_space:  global
        .offset:         0
        .size:           8
        .value_kind:     global_buffer
      - .actual_access:  read_only
        .address_space:  global
        .offset:         8
        .size:           8
        .value_kind:     global_buffer
      - .actual_access:  read_only
        .address_space:  global
        .offset:         16
        .size:           8
        .value_kind:     global_buffer
      - .actual_access:  read_only
        .address_space:  global
        .offset:         24
        .size:           8
        .value_kind:     global_buffer
      - .actual_access:  read_only
        .address_space:  global
        .offset:         32
        .size:           8
        .value_kind:     global_buffer
      - .actual_access:  read_only
        .address_space:  global
        .offset:         40
        .size:           8
        .value_kind:     global_buffer
      - .actual_access:  write_only
        .address_space:  global
        .offset:         48
        .size:           8
        .value_kind:     global_buffer
      - .actual_access:  write_only
        .address_space:  global
        .offset:         56
        .size:           8
        .value_kind:     global_buffer
      - .actual_access:  write_only
        .address_space:  global
        .offset:         64
        .size:           8
        .value_kind:     global_buffer
      - .actual_access:  read_only
        .address_space:  global
        .offset:         72
        .size:           8
        .value_kind:     global_buffer
      - .actual_access:  read_only
        .address_space:  global
        .offset:         80
        .size:           8
        .value_kind:     global_buffer
      - .offset:         88
        .size:           4
        .value_kind:     by_value
      - .offset:         92
        .size:           4
        .value_kind:     by_value
      - .offset:         96
        .size:           4
        .value_kind:     by_value
      - .offset:         100
        .size:           4
        .value_kind:     by_value
      - .offset:         104
        .size:           4
        .value_kind:     by_value
      - .offset:         112
        .size:           8
        .value_kind:     by_value
      - .offset:         120
        .size:           8
        .value_kind:     by_value
      - .offset:         128
        .size:           8
        .value_kind:     by_value
    .group_segment_fixed_size: 49152
    .kernarg_segment_align: 8
    .kernarg_segment_size: 136
    .language:       OpenCL C
    .language_version:
      - 2
      - 0
    .max_flat_workgroup_size: 256
    .name:           _ZN12_GLOBAL__N_139chunk_gated_delta_rule_fwd_h_hip_kernelILi32ELb0ELb1ELb1ELb1ELb1ELb0ELb0ELb1EEEvPK12hip_bfloat16S3_S3_PKfS5_PKvPS1_S8_PvPKiSB_iiiiilll
    .private_segment_fixed_size: 0
    .sgpr_count:     74
    .sgpr_spill_count: 0
    .symbol:         _ZN12_GLOBAL__N_139chunk_gated_delta_rule_fwd_h_hip_kernelILi32ELb0ELb1ELb1ELb1ELb1ELb0ELb0ELb1EEEvPK12hip_bfloat16S3_S3_PKfS5_PKvPS1_S8_PvPKiSB_iiiiilll.kd
    .uniform_work_group_size: 1
    .uses_dynamic_stack: false
    .vgpr_count:     148
    .vgpr_spill_count: 0
    .wavefront_size: 64
  - .agpr_count:     16
    .args:
      - .actual_access:  read_only
        .address_space:  global
        .offset:         0
        .size:           8
        .value_kind:     global_buffer
      - .actual_access:  read_only
        .address_space:  global
        .offset:         8
        .size:           8
        .value_kind:     global_buffer
      - .actual_access:  read_only
        .address_space:  global
        .offset:         16
        .size:           8
        .value_kind:     global_buffer
      - .actual_access:  read_only
        .address_space:  global
        .offset:         24
        .size:           8
        .value_kind:     global_buffer
      - .actual_access:  read_only
        .address_space:  global
        .offset:         32
        .size:           8
        .value_kind:     global_buffer
      - .actual_access:  read_only
        .address_space:  global
        .offset:         40
        .size:           8
        .value_kind:     global_buffer
      - .actual_access:  write_only
        .address_space:  global
        .offset:         48
        .size:           8
        .value_kind:     global_buffer
      - .actual_access:  read_only
        .address_space:  global
        .offset:         56
        .size:           8
        .value_kind:     global_buffer
      - .actual_access:  write_only
        .address_space:  global
        .offset:         64
        .size:           8
        .value_kind:     global_buffer
      - .actual_access:  read_only
        .address_space:  global
        .offset:         72
        .size:           8
        .value_kind:     global_buffer
      - .actual_access:  read_only
        .address_space:  global
        .offset:         80
        .size:           8
        .value_kind:     global_buffer
      - .offset:         88
        .size:           4
        .value_kind:     by_value
      - .offset:         92
        .size:           4
        .value_kind:     by_value
      - .offset:         96
        .size:           4
        .value_kind:     by_value
      - .offset:         100
        .size:           4
        .value_kind:     by_value
      - .offset:         104
        .size:           4
        .value_kind:     by_value
      - .offset:         112
        .size:           8
        .value_kind:     by_value
      - .offset:         120
        .size:           8
        .value_kind:     by_value
      - .offset:         128
        .size:           8
        .value_kind:     by_value
    .group_segment_fixed_size: 49152
    .kernarg_segment_align: 8
    .kernarg_segment_size: 136
    .language:       OpenCL C
    .language_version:
      - 2
      - 0
    .max_flat_workgroup_size: 256
    .name:           _ZN12_GLOBAL__N_139chunk_gated_delta_rule_fwd_h_hip_kernelILi32ELb0ELb1ELb0ELb1ELb1ELb0ELb0ELb1EEEvPK12hip_bfloat16S3_S3_PKfS5_PKvPS1_S8_PvPKiSB_iiiiilll
    .private_segment_fixed_size: 0
    .sgpr_count:     70
    .sgpr_spill_count: 0
    .symbol:         _ZN12_GLOBAL__N_139chunk_gated_delta_rule_fwd_h_hip_kernelILi32ELb0ELb1ELb0ELb1ELb1ELb0ELb0ELb1EEEvPK12hip_bfloat16S3_S3_PKfS5_PKvPS1_S8_PvPKiSB_iiiiilll.kd
    .uniform_work_group_size: 1
    .uses_dynamic_stack: false
    .vgpr_count:     148
    .vgpr_spill_count: 0
    .wavefront_size: 64
  - .agpr_count:     20
    .args:
      - .actual_access:  read_only
        .address_space:  global
        .offset:         0
        .size:           8
        .value_kind:     global_buffer
      - .actual_access:  read_only
        .address_space:  global
        .offset:         8
        .size:           8
        .value_kind:     global_buffer
      - .actual_access:  read_only
        .address_space:  global
        .offset:         16
        .size:           8
        .value_kind:     global_buffer
      - .actual_access:  read_only
        .address_space:  global
        .offset:         24
        .size:           8
        .value_kind:     global_buffer
      - .actual_access:  read_only
        .address_space:  global
        .offset:         32
        .size:           8
        .value_kind:     global_buffer
      - .actual_access:  read_only
        .address_space:  global
        .offset:         40
        .size:           8
        .value_kind:     global_buffer
      - .actual_access:  write_only
        .address_space:  global
        .offset:         48
        .size:           8
        .value_kind:     global_buffer
      - .actual_access:  write_only
        .address_space:  global
        .offset:         56
        .size:           8
        .value_kind:     global_buffer
      - .actual_access:  read_only
        .address_space:  global
        .offset:         64
        .size:           8
        .value_kind:     global_buffer
      - .actual_access:  read_only
        .address_space:  global
        .offset:         72
        .size:           8
        .value_kind:     global_buffer
      - .actual_access:  read_only
        .address_space:  global
        .offset:         80
        .size:           8
        .value_kind:     global_buffer
      - .offset:         88
        .size:           4
        .value_kind:     by_value
      - .offset:         92
        .size:           4
        .value_kind:     by_value
      - .offset:         96
        .size:           4
        .value_kind:     by_value
      - .offset:         100
        .size:           4
        .value_kind:     by_value
      - .offset:         104
        .size:           4
        .value_kind:     by_value
      - .offset:         112
        .size:           8
        .value_kind:     by_value
      - .offset:         120
        .size:           8
        .value_kind:     by_value
      - .offset:         128
        .size:           8
        .value_kind:     by_value
    .group_segment_fixed_size: 49152
    .kernarg_segment_align: 8
    .kernarg_segment_size: 136
    .language:       OpenCL C
    .language_version:
      - 2
      - 0
    .max_flat_workgroup_size: 256
    .name:           _ZN12_GLOBAL__N_139chunk_gated_delta_rule_fwd_h_hip_kernelILi32ELb0ELb0ELb1ELb1ELb1ELb0ELb0ELb1EEEvPK12hip_bfloat16S3_S3_PKfS5_PKvPS1_S8_PvPKiSB_iiiiilll
    .private_segment_fixed_size: 0
    .sgpr_count:     68
    .sgpr_spill_count: 0
    .symbol:         _ZN12_GLOBAL__N_139chunk_gated_delta_rule_fwd_h_hip_kernelILi32ELb0ELb0ELb1ELb1ELb1ELb0ELb0ELb1EEEvPK12hip_bfloat16S3_S3_PKfS5_PKvPS1_S8_PvPKiSB_iiiiilll.kd
    .uniform_work_group_size: 1
    .uses_dynamic_stack: false
    .vgpr_count:     152
    .vgpr_spill_count: 0
    .wavefront_size: 64
  - .agpr_count:     20
    .args:
      - .actual_access:  read_only
        .address_space:  global
        .offset:         0
        .size:           8
        .value_kind:     global_buffer
      - .actual_access:  read_only
        .address_space:  global
        .offset:         8
        .size:           8
        .value_kind:     global_buffer
      - .actual_access:  read_only
        .address_space:  global
        .offset:         16
        .size:           8
        .value_kind:     global_buffer
      - .actual_access:  read_only
        .address_space:  global
        .offset:         24
        .size:           8
        .value_kind:     global_buffer
      - .actual_access:  read_only
        .address_space:  global
        .offset:         32
        .size:           8
        .value_kind:     global_buffer
      - .actual_access:  read_only
        .address_space:  global
        .offset:         40
        .size:           8
        .value_kind:     global_buffer
      - .actual_access:  write_only
        .address_space:  global
        .offset:         48
        .size:           8
        .value_kind:     global_buffer
      - .actual_access:  read_only
        .address_space:  global
        .offset:         56
        .size:           8
        .value_kind:     global_buffer
      - .actual_access:  read_only
        .address_space:  global
        .offset:         64
        .size:           8
        .value_kind:     global_buffer
      - .actual_access:  read_only
        .address_space:  global
        .offset:         72
        .size:           8
        .value_kind:     global_buffer
      - .actual_access:  read_only
        .address_space:  global
        .offset:         80
        .size:           8
        .value_kind:     global_buffer
      - .offset:         88
        .size:           4
        .value_kind:     by_value
      - .offset:         92
        .size:           4
        .value_kind:     by_value
      - .offset:         96
        .size:           4
        .value_kind:     by_value
      - .offset:         100
        .size:           4
        .value_kind:     by_value
      - .offset:         104
        .size:           4
        .value_kind:     by_value
      - .offset:         112
        .size:           8
        .value_kind:     by_value
      - .offset:         120
        .size:           8
        .value_kind:     by_value
      - .offset:         128
        .size:           8
        .value_kind:     by_value
    .group_segment_fixed_size: 49152
    .kernarg_segment_align: 8
    .kernarg_segment_size: 136
    .language:       OpenCL C
    .language_version:
      - 2
      - 0
    .max_flat_workgroup_size: 256
    .name:           _ZN12_GLOBAL__N_139chunk_gated_delta_rule_fwd_h_hip_kernelILi32ELb0ELb0ELb0ELb1ELb1ELb0ELb0ELb1EEEvPK12hip_bfloat16S3_S3_PKfS5_PKvPS1_S8_PvPKiSB_iiiiilll
    .private_segment_fixed_size: 0
    .sgpr_count:     65
    .sgpr_spill_count: 0
    .symbol:         _ZN12_GLOBAL__N_139chunk_gated_delta_rule_fwd_h_hip_kernelILi32ELb0ELb0ELb0ELb1ELb1ELb0ELb0ELb1EEEvPK12hip_bfloat16S3_S3_PKfS5_PKvPS1_S8_PvPKiSB_iiiiilll.kd
    .uniform_work_group_size: 1
    .uses_dynamic_stack: false
    .vgpr_count:     152
    .vgpr_spill_count: 0
    .wavefront_size: 64
  - .agpr_count:     16
    .args:
      - .actual_access:  read_only
        .address_space:  global
        .offset:         0
        .size:           8
        .value_kind:     global_buffer
      - .actual_access:  read_only
        .address_space:  global
        .offset:         8
        .size:           8
        .value_kind:     global_buffer
      - .actual_access:  read_only
        .address_space:  global
        .offset:         16
        .size:           8
        .value_kind:     global_buffer
      - .actual_access:  read_only
        .address_space:  global
        .offset:         24
        .size:           8
        .value_kind:     global_buffer
      - .actual_access:  read_only
        .address_space:  global
        .offset:         32
        .size:           8
        .value_kind:     global_buffer
      - .actual_access:  read_only
        .address_space:  global
        .offset:         40
        .size:           8
        .value_kind:     global_buffer
      - .actual_access:  write_only
        .address_space:  global
        .offset:         48
        .size:           8
        .value_kind:     global_buffer
      - .actual_access:  write_only
        .address_space:  global
        .offset:         56
        .size:           8
        .value_kind:     global_buffer
      - .actual_access:  write_only
        .address_space:  global
        .offset:         64
        .size:           8
        .value_kind:     global_buffer
      - .actual_access:  read_only
        .address_space:  global
        .offset:         72
        .size:           8
        .value_kind:     global_buffer
      - .actual_access:  read_only
        .address_space:  global
        .offset:         80
        .size:           8
        .value_kind:     global_buffer
      - .offset:         88
        .size:           4
        .value_kind:     by_value
      - .offset:         92
        .size:           4
        .value_kind:     by_value
      - .offset:         96
        .size:           4
        .value_kind:     by_value
      - .offset:         100
        .size:           4
        .value_kind:     by_value
      - .offset:         104
        .size:           4
        .value_kind:     by_value
      - .offset:         112
        .size:           8
        .value_kind:     by_value
      - .offset:         120
        .size:           8
        .value_kind:     by_value
      - .offset:         128
        .size:           8
        .value_kind:     by_value
    .group_segment_fixed_size: 49152
    .kernarg_segment_align: 8
    .kernarg_segment_size: 136
    .language:       OpenCL C
    .language_version:
      - 2
      - 0
    .max_flat_workgroup_size: 256
    .name:           _ZN12_GLOBAL__N_139chunk_gated_delta_rule_fwd_h_hip_kernelILi32ELb1ELb1ELb1ELb0ELb1ELb0ELb0ELb1EEEvPK12hip_bfloat16S3_S3_PKfS5_PKvPS1_S8_PvPKiSB_iiiiilll
    .private_segment_fixed_size: 0
    .sgpr_count:     80
    .sgpr_spill_count: 0
    .symbol:         _ZN12_GLOBAL__N_139chunk_gated_delta_rule_fwd_h_hip_kernelILi32ELb1ELb1ELb1ELb0ELb1ELb0ELb0ELb1EEEvPK12hip_bfloat16S3_S3_PKfS5_PKvPS1_S8_PvPKiSB_iiiiilll.kd
    .uniform_work_group_size: 1
    .uses_dynamic_stack: false
    .vgpr_count:     156
    .vgpr_spill_count: 0
    .wavefront_size: 64
  - .agpr_count:     16
    .args:
      - .actual_access:  read_only
        .address_space:  global
        .offset:         0
        .size:           8
        .value_kind:     global_buffer
      - .actual_access:  read_only
        .address_space:  global
        .offset:         8
        .size:           8
        .value_kind:     global_buffer
      - .actual_access:  read_only
        .address_space:  global
        .offset:         16
        .size:           8
        .value_kind:     global_buffer
      - .actual_access:  read_only
        .address_space:  global
        .offset:         24
        .size:           8
        .value_kind:     global_buffer
      - .actual_access:  read_only
        .address_space:  global
        .offset:         32
        .size:           8
        .value_kind:     global_buffer
      - .actual_access:  read_only
        .address_space:  global
        .offset:         40
        .size:           8
        .value_kind:     global_buffer
      - .actual_access:  write_only
        .address_space:  global
        .offset:         48
        .size:           8
        .value_kind:     global_buffer
      - .actual_access:  read_only
        .address_space:  global
        .offset:         56
        .size:           8
        .value_kind:     global_buffer
      - .actual_access:  write_only
        .address_space:  global
        .offset:         64
        .size:           8
        .value_kind:     global_buffer
      - .actual_access:  read_only
        .address_space:  global
        .offset:         72
        .size:           8
        .value_kind:     global_buffer
      - .actual_access:  read_only
        .address_space:  global
        .offset:         80
        .size:           8
        .value_kind:     global_buffer
      - .offset:         88
        .size:           4
        .value_kind:     by_value
      - .offset:         92
        .size:           4
        .value_kind:     by_value
      - .offset:         96
        .size:           4
        .value_kind:     by_value
      - .offset:         100
        .size:           4
        .value_kind:     by_value
      - .offset:         104
        .size:           4
        .value_kind:     by_value
      - .offset:         112
        .size:           8
        .value_kind:     by_value
      - .offset:         120
        .size:           8
        .value_kind:     by_value
      - .offset:         128
        .size:           8
        .value_kind:     by_value
    .group_segment_fixed_size: 49152
    .kernarg_segment_align: 8
    .kernarg_segment_size: 136
    .language:       OpenCL C
    .language_version:
      - 2
      - 0
    .max_flat_workgroup_size: 256
    .name:           _ZN12_GLOBAL__N_139chunk_gated_delta_rule_fwd_h_hip_kernelILi32ELb1ELb1ELb0ELb0ELb1ELb0ELb0ELb1EEEvPK12hip_bfloat16S3_S3_PKfS5_PKvPS1_S8_PvPKiSB_iiiiilll
    .private_segment_fixed_size: 0
    .sgpr_count:     75
    .sgpr_spill_count: 0
    .symbol:         _ZN12_GLOBAL__N_139chunk_gated_delta_rule_fwd_h_hip_kernelILi32ELb1ELb1ELb0ELb0ELb1ELb0ELb0ELb1EEEvPK12hip_bfloat16S3_S3_PKfS5_PKvPS1_S8_PvPKiSB_iiiiilll.kd
    .uniform_work_group_size: 1
    .uses_dynamic_stack: false
    .vgpr_count:     152
    .vgpr_spill_count: 0
    .wavefront_size: 64
  - .agpr_count:     16
    .args:
      - .actual_access:  read_only
        .address_space:  global
        .offset:         0
        .size:           8
        .value_kind:     global_buffer
      - .actual_access:  read_only
        .address_space:  global
        .offset:         8
        .size:           8
        .value_kind:     global_buffer
      - .actual_access:  read_only
        .address_space:  global
        .offset:         16
        .size:           8
        .value_kind:     global_buffer
      - .actual_access:  read_only
        .address_space:  global
        .offset:         24
        .size:           8
        .value_kind:     global_buffer
      - .actual_access:  read_only
        .address_space:  global
        .offset:         32
        .size:           8
        .value_kind:     global_buffer
      - .actual_access:  read_only
        .address_space:  global
        .offset:         40
        .size:           8
        .value_kind:     global_buffer
      - .actual_access:  write_only
        .address_space:  global
        .offset:         48
        .size:           8
        .value_kind:     global_buffer
      - .actual_access:  write_only
        .address_space:  global
        .offset:         56
        .size:           8
        .value_kind:     global_buffer
      - .actual_access:  read_only
        .address_space:  global
        .offset:         64
        .size:           8
        .value_kind:     global_buffer
      - .actual_access:  read_only
        .address_space:  global
        .offset:         72
        .size:           8
        .value_kind:     global_buffer
      - .actual_access:  read_only
        .address_space:  global
        .offset:         80
        .size:           8
        .value_kind:     global_buffer
      - .offset:         88
        .size:           4
        .value_kind:     by_value
      - .offset:         92
        .size:           4
        .value_kind:     by_value
      - .offset:         96
        .size:           4
        .value_kind:     by_value
      - .offset:         100
        .size:           4
        .value_kind:     by_value
      - .offset:         104
        .size:           4
        .value_kind:     by_value
      - .offset:         112
        .size:           8
        .value_kind:     by_value
      - .offset:         120
        .size:           8
        .value_kind:     by_value
      - .offset:         128
        .size:           8
        .value_kind:     by_value
    .group_segment_fixed_size: 49152
    .kernarg_segment_align: 8
    .kernarg_segment_size: 136
    .language:       OpenCL C
    .language_version:
      - 2
      - 0
    .max_flat_workgroup_size: 256
    .name:           _ZN12_GLOBAL__N_139chunk_gated_delta_rule_fwd_h_hip_kernelILi32ELb1ELb0ELb1ELb0ELb1ELb0ELb0ELb1EEEvPK12hip_bfloat16S3_S3_PKfS5_PKvPS1_S8_PvPKiSB_iiiiilll
    .private_segment_fixed_size: 0
    .sgpr_count:     76
    .sgpr_spill_count: 0
    .symbol:         _ZN12_GLOBAL__N_139chunk_gated_delta_rule_fwd_h_hip_kernelILi32ELb1ELb0ELb1ELb0ELb1ELb0ELb0ELb1EEEvPK12hip_bfloat16S3_S3_PKfS5_PKvPS1_S8_PvPKiSB_iiiiilll.kd
    .uniform_work_group_size: 1
    .uses_dynamic_stack: false
    .vgpr_count:     148
    .vgpr_spill_count: 0
    .wavefront_size: 64
  - .agpr_count:     16
    .args:
      - .actual_access:  read_only
        .address_space:  global
        .offset:         0
        .size:           8
        .value_kind:     global_buffer
      - .actual_access:  read_only
        .address_space:  global
        .offset:         8
        .size:           8
        .value_kind:     global_buffer
      - .actual_access:  read_only
        .address_space:  global
        .offset:         16
        .size:           8
        .value_kind:     global_buffer
      - .actual_access:  read_only
        .address_space:  global
        .offset:         24
        .size:           8
        .value_kind:     global_buffer
      - .actual_access:  read_only
        .address_space:  global
        .offset:         32
        .size:           8
        .value_kind:     global_buffer
      - .actual_access:  read_only
        .address_space:  global
        .offset:         40
        .size:           8
        .value_kind:     global_buffer
      - .actual_access:  write_only
        .address_space:  global
        .offset:         48
        .size:           8
        .value_kind:     global_buffer
      - .actual_access:  read_only
        .address_space:  global
        .offset:         56
        .size:           8
        .value_kind:     global_buffer
      - .actual_access:  read_only
        .address_space:  global
        .offset:         64
        .size:           8
        .value_kind:     global_buffer
      - .actual_access:  read_only
        .address_space:  global
        .offset:         72
        .size:           8
        .value_kind:     global_buffer
      - .actual_access:  read_only
        .address_space:  global
        .offset:         80
        .size:           8
        .value_kind:     global_buffer
      - .offset:         88
        .size:           4
        .value_kind:     by_value
      - .offset:         92
        .size:           4
        .value_kind:     by_value
      - .offset:         96
        .size:           4
        .value_kind:     by_value
      - .offset:         100
        .size:           4
        .value_kind:     by_value
      - .offset:         104
        .size:           4
        .value_kind:     by_value
      - .offset:         112
        .size:           8
        .value_kind:     by_value
      - .offset:         120
        .size:           8
        .value_kind:     by_value
      - .offset:         128
        .size:           8
        .value_kind:     by_value
    .group_segment_fixed_size: 49152
    .kernarg_segment_align: 8
    .kernarg_segment_size: 136
    .language:       OpenCL C
    .language_version:
      - 2
      - 0
    .max_flat_workgroup_size: 256
    .name:           _ZN12_GLOBAL__N_139chunk_gated_delta_rule_fwd_h_hip_kernelILi32ELb1ELb0ELb0ELb0ELb1ELb0ELb0ELb1EEEvPK12hip_bfloat16S3_S3_PKfS5_PKvPS1_S8_PvPKiSB_iiiiilll
    .private_segment_fixed_size: 0
    .sgpr_count:     71
    .sgpr_spill_count: 0
    .symbol:         _ZN12_GLOBAL__N_139chunk_gated_delta_rule_fwd_h_hip_kernelILi32ELb1ELb0ELb0ELb0ELb1ELb0ELb0ELb1EEEvPK12hip_bfloat16S3_S3_PKfS5_PKvPS1_S8_PvPKiSB_iiiiilll.kd
    .uniform_work_group_size: 1
    .uses_dynamic_stack: false
    .vgpr_count:     148
    .vgpr_spill_count: 0
    .wavefront_size: 64
  - .agpr_count:     16
    .args:
      - .actual_access:  read_only
        .address_space:  global
        .offset:         0
        .size:           8
        .value_kind:     global_buffer
      - .actual_access:  read_only
        .address_space:  global
        .offset:         8
        .size:           8
        .value_kind:     global_buffer
      - .actual_access:  read_only
        .address_space:  global
        .offset:         16
        .size:           8
        .value_kind:     global_buffer
      - .actual_access:  read_only
        .address_space:  global
        .offset:         24
        .size:           8
        .value_kind:     global_buffer
      - .actual_access:  read_only
        .address_space:  global
        .offset:         32
        .size:           8
        .value_kind:     global_buffer
      - .actual_access:  read_only
        .address_space:  global
        .offset:         40
        .size:           8
        .value_kind:     global_buffer
      - .actual_access:  write_only
        .address_space:  global
        .offset:         48
        .size:           8
        .value_kind:     global_buffer
      - .actual_access:  write_only
        .address_space:  global
        .offset:         56
        .size:           8
        .value_kind:     global_buffer
      - .actual_access:  write_only
        .address_space:  global
        .offset:         64
        .size:           8
        .value_kind:     global_buffer
      - .actual_access:  read_only
        .address_space:  global
        .offset:         72
        .size:           8
        .value_kind:     global_buffer
      - .actual_access:  read_only
        .address_space:  global
        .offset:         80
        .size:           8
        .value_kind:     global_buffer
      - .offset:         88
        .size:           4
        .value_kind:     by_value
      - .offset:         92
        .size:           4
        .value_kind:     by_value
      - .offset:         96
        .size:           4
        .value_kind:     by_value
      - .offset:         100
        .size:           4
        .value_kind:     by_value
      - .offset:         104
        .size:           4
        .value_kind:     by_value
      - .offset:         112
        .size:           8
        .value_kind:     by_value
      - .offset:         120
        .size:           8
        .value_kind:     by_value
      - .offset:         128
        .size:           8
        .value_kind:     by_value
    .group_segment_fixed_size: 49152
    .kernarg_segment_align: 8
    .kernarg_segment_size: 136
    .language:       OpenCL C
    .language_version:
      - 2
      - 0
    .max_flat_workgroup_size: 256
    .name:           _ZN12_GLOBAL__N_139chunk_gated_delta_rule_fwd_h_hip_kernelILi32ELb0ELb1ELb1ELb0ELb1ELb0ELb0ELb1EEEvPK12hip_bfloat16S3_S3_PKfS5_PKvPS1_S8_PvPKiSB_iiiiilll
    .private_segment_fixed_size: 0
    .sgpr_count:     74
    .sgpr_spill_count: 0
    .symbol:         _ZN12_GLOBAL__N_139chunk_gated_delta_rule_fwd_h_hip_kernelILi32ELb0ELb1ELb1ELb0ELb1ELb0ELb0ELb1EEEvPK12hip_bfloat16S3_S3_PKfS5_PKvPS1_S8_PvPKiSB_iiiiilll.kd
    .uniform_work_group_size: 1
    .uses_dynamic_stack: false
    .vgpr_count:     148
    .vgpr_spill_count: 0
    .wavefront_size: 64
  - .agpr_count:     16
    .args:
      - .actual_access:  read_only
        .address_space:  global
        .offset:         0
        .size:           8
        .value_kind:     global_buffer
      - .actual_access:  read_only
        .address_space:  global
        .offset:         8
        .size:           8
        .value_kind:     global_buffer
      - .actual_access:  read_only
        .address_space:  global
        .offset:         16
        .size:           8
        .value_kind:     global_buffer
      - .actual_access:  read_only
        .address_space:  global
        .offset:         24
        .size:           8
        .value_kind:     global_buffer
      - .actual_access:  read_only
        .address_space:  global
        .offset:         32
        .size:           8
        .value_kind:     global_buffer
      - .actual_access:  read_only
        .address_space:  global
        .offset:         40
        .size:           8
        .value_kind:     global_buffer
      - .actual_access:  write_only
        .address_space:  global
        .offset:         48
        .size:           8
        .value_kind:     global_buffer
      - .actual_access:  read_only
        .address_space:  global
        .offset:         56
        .size:           8
        .value_kind:     global_buffer
      - .actual_access:  write_only
        .address_space:  global
        .offset:         64
        .size:           8
        .value_kind:     global_buffer
      - .actual_access:  read_only
        .address_space:  global
        .offset:         72
        .size:           8
        .value_kind:     global_buffer
      - .actual_access:  read_only
        .address_space:  global
        .offset:         80
        .size:           8
        .value_kind:     global_buffer
      - .offset:         88
        .size:           4
        .value_kind:     by_value
      - .offset:         92
        .size:           4
        .value_kind:     by_value
      - .offset:         96
        .size:           4
        .value_kind:     by_value
      - .offset:         100
        .size:           4
        .value_kind:     by_value
      - .offset:         104
        .size:           4
        .value_kind:     by_value
      - .offset:         112
        .size:           8
        .value_kind:     by_value
      - .offset:         120
        .size:           8
        .value_kind:     by_value
      - .offset:         128
        .size:           8
        .value_kind:     by_value
    .group_segment_fixed_size: 49152
    .kernarg_segment_align: 8
    .kernarg_segment_size: 136
    .language:       OpenCL C
    .language_version:
      - 2
      - 0
    .max_flat_workgroup_size: 256
    .name:           _ZN12_GLOBAL__N_139chunk_gated_delta_rule_fwd_h_hip_kernelILi32ELb0ELb1ELb0ELb0ELb1ELb0ELb0ELb1EEEvPK12hip_bfloat16S3_S3_PKfS5_PKvPS1_S8_PvPKiSB_iiiiilll
    .private_segment_fixed_size: 0
    .sgpr_count:     70
    .sgpr_spill_count: 0
    .symbol:         _ZN12_GLOBAL__N_139chunk_gated_delta_rule_fwd_h_hip_kernelILi32ELb0ELb1ELb0ELb0ELb1ELb0ELb0ELb1EEEvPK12hip_bfloat16S3_S3_PKfS5_PKvPS1_S8_PvPKiSB_iiiiilll.kd
    .uniform_work_group_size: 1
    .uses_dynamic_stack: false
    .vgpr_count:     148
    .vgpr_spill_count: 0
    .wavefront_size: 64
  - .agpr_count:     20
    .args:
      - .actual_access:  read_only
        .address_space:  global
        .offset:         0
        .size:           8
        .value_kind:     global_buffer
      - .actual_access:  read_only
        .address_space:  global
        .offset:         8
        .size:           8
        .value_kind:     global_buffer
      - .actual_access:  read_only
        .address_space:  global
        .offset:         16
        .size:           8
        .value_kind:     global_buffer
      - .actual_access:  read_only
        .address_space:  global
        .offset:         24
        .size:           8
        .value_kind:     global_buffer
      - .actual_access:  read_only
        .address_space:  global
        .offset:         32
        .size:           8
        .value_kind:     global_buffer
      - .actual_access:  read_only
        .address_space:  global
        .offset:         40
        .size:           8
        .value_kind:     global_buffer
      - .actual_access:  write_only
        .address_space:  global
        .offset:         48
        .size:           8
        .value_kind:     global_buffer
      - .actual_access:  write_only
        .address_space:  global
        .offset:         56
        .size:           8
        .value_kind:     global_buffer
      - .actual_access:  read_only
        .address_space:  global
        .offset:         64
        .size:           8
        .value_kind:     global_buffer
      - .actual_access:  read_only
        .address_space:  global
        .offset:         72
        .size:           8
        .value_kind:     global_buffer
      - .actual_access:  read_only
        .address_space:  global
        .offset:         80
        .size:           8
        .value_kind:     global_buffer
      - .offset:         88
        .size:           4
        .value_kind:     by_value
      - .offset:         92
        .size:           4
        .value_kind:     by_value
      - .offset:         96
        .size:           4
        .value_kind:     by_value
      - .offset:         100
        .size:           4
        .value_kind:     by_value
      - .offset:         104
        .size:           4
        .value_kind:     by_value
      - .offset:         112
        .size:           8
        .value_kind:     by_value
      - .offset:         120
        .size:           8
        .value_kind:     by_value
      - .offset:         128
        .size:           8
        .value_kind:     by_value
    .group_segment_fixed_size: 49152
    .kernarg_segment_align: 8
    .kernarg_segment_size: 136
    .language:       OpenCL C
    .language_version:
      - 2
      - 0
    .max_flat_workgroup_size: 256
    .name:           _ZN12_GLOBAL__N_139chunk_gated_delta_rule_fwd_h_hip_kernelILi32ELb0ELb0ELb1ELb0ELb1ELb0ELb0ELb1EEEvPK12hip_bfloat16S3_S3_PKfS5_PKvPS1_S8_PvPKiSB_iiiiilll
    .private_segment_fixed_size: 0
    .sgpr_count:     72
    .sgpr_spill_count: 0
    .symbol:         _ZN12_GLOBAL__N_139chunk_gated_delta_rule_fwd_h_hip_kernelILi32ELb0ELb0ELb1ELb0ELb1ELb0ELb0ELb1EEEvPK12hip_bfloat16S3_S3_PKfS5_PKvPS1_S8_PvPKiSB_iiiiilll.kd
    .uniform_work_group_size: 1
    .uses_dynamic_stack: false
    .vgpr_count:     152
    .vgpr_spill_count: 0
    .wavefront_size: 64
  - .agpr_count:     20
    .args:
      - .actual_access:  read_only
        .address_space:  global
        .offset:         0
        .size:           8
        .value_kind:     global_buffer
      - .actual_access:  read_only
        .address_space:  global
        .offset:         8
        .size:           8
        .value_kind:     global_buffer
      - .actual_access:  read_only
        .address_space:  global
        .offset:         16
        .size:           8
        .value_kind:     global_buffer
      - .actual_access:  read_only
        .address_space:  global
        .offset:         24
        .size:           8
        .value_kind:     global_buffer
      - .actual_access:  read_only
        .address_space:  global
        .offset:         32
        .size:           8
        .value_kind:     global_buffer
      - .actual_access:  read_only
        .address_space:  global
        .offset:         40
        .size:           8
        .value_kind:     global_buffer
      - .actual_access:  write_only
        .address_space:  global
        .offset:         48
        .size:           8
        .value_kind:     global_buffer
      - .actual_access:  read_only
        .address_space:  global
        .offset:         56
        .size:           8
        .value_kind:     global_buffer
      - .actual_access:  read_only
        .address_space:  global
        .offset:         64
        .size:           8
        .value_kind:     global_buffer
      - .actual_access:  read_only
        .address_space:  global
        .offset:         72
        .size:           8
        .value_kind:     global_buffer
      - .actual_access:  read_only
        .address_space:  global
        .offset:         80
        .size:           8
        .value_kind:     global_buffer
      - .offset:         88
        .size:           4
        .value_kind:     by_value
      - .offset:         92
        .size:           4
        .value_kind:     by_value
      - .offset:         96
        .size:           4
        .value_kind:     by_value
      - .offset:         100
        .size:           4
        .value_kind:     by_value
      - .offset:         104
        .size:           4
        .value_kind:     by_value
      - .offset:         112
        .size:           8
        .value_kind:     by_value
      - .offset:         120
        .size:           8
        .value_kind:     by_value
      - .offset:         128
        .size:           8
        .value_kind:     by_value
    .group_segment_fixed_size: 49152
    .kernarg_segment_align: 8
    .kernarg_segment_size: 136
    .language:       OpenCL C
    .language_version:
      - 2
      - 0
    .max_flat_workgroup_size: 256
    .name:           _ZN12_GLOBAL__N_139chunk_gated_delta_rule_fwd_h_hip_kernelILi32ELb0ELb0ELb0ELb0ELb1ELb0ELb0ELb1EEEvPK12hip_bfloat16S3_S3_PKfS5_PKvPS1_S8_PvPKiSB_iiiiilll
    .private_segment_fixed_size: 0
    .sgpr_count:     68
    .sgpr_spill_count: 0
    .symbol:         _ZN12_GLOBAL__N_139chunk_gated_delta_rule_fwd_h_hip_kernelILi32ELb0ELb0ELb0ELb0ELb1ELb0ELb0ELb1EEEvPK12hip_bfloat16S3_S3_PKfS5_PKvPS1_S8_PvPKiSB_iiiiilll.kd
    .uniform_work_group_size: 1
    .uses_dynamic_stack: false
    .vgpr_count:     152
    .vgpr_spill_count: 0
    .wavefront_size: 64
  - .agpr_count:     24
    .args:
      - .actual_access:  read_only
        .address_space:  global
        .offset:         0
        .size:           8
        .value_kind:     global_buffer
      - .actual_access:  read_only
        .address_space:  global
        .offset:         8
        .size:           8
        .value_kind:     global_buffer
      - .actual_access:  read_only
        .address_space:  global
        .offset:         16
        .size:           8
        .value_kind:     global_buffer
      - .actual_access:  read_only
        .address_space:  global
        .offset:         24
        .size:           8
        .value_kind:     global_buffer
      - .actual_access:  read_only
        .address_space:  global
        .offset:         32
        .size:           8
        .value_kind:     global_buffer
      - .actual_access:  read_only
        .address_space:  global
        .offset:         40
        .size:           8
        .value_kind:     global_buffer
      - .actual_access:  write_only
        .address_space:  global
        .offset:         48
        .size:           8
        .value_kind:     global_buffer
      - .actual_access:  write_only
        .address_space:  global
        .offset:         56
        .size:           8
        .value_kind:     global_buffer
      - .actual_access:  write_only
        .address_space:  global
        .offset:         64
        .size:           8
        .value_kind:     global_buffer
      - .actual_access:  read_only
        .address_space:  global
        .offset:         72
        .size:           8
        .value_kind:     global_buffer
      - .actual_access:  read_only
        .address_space:  global
        .offset:         80
        .size:           8
        .value_kind:     global_buffer
      - .offset:         88
        .size:           4
        .value_kind:     by_value
      - .offset:         92
        .size:           4
        .value_kind:     by_value
      - .offset:         96
        .size:           4
        .value_kind:     by_value
      - .offset:         100
        .size:           4
        .value_kind:     by_value
      - .offset:         104
        .size:           4
        .value_kind:     by_value
      - .offset:         112
        .size:           8
        .value_kind:     by_value
      - .offset:         120
        .size:           8
        .value_kind:     by_value
      - .offset:         128
        .size:           8
        .value_kind:     by_value
    .group_segment_fixed_size: 49152
    .kernarg_segment_align: 8
    .kernarg_segment_size: 136
    .language:       OpenCL C
    .language_version:
      - 2
      - 0
    .max_flat_workgroup_size: 256
    .name:           _ZN12_GLOBAL__N_139chunk_gated_delta_rule_fwd_h_hip_kernelILi32ELb1ELb1ELb1ELb1ELb0ELb1ELb1ELb1EEEvPK12hip_bfloat16S3_S3_PKfS5_PKvPS1_S8_PvPKiSB_iiiiilll
    .private_segment_fixed_size: 0
    .sgpr_count:     76
    .sgpr_spill_count: 0
    .symbol:         _ZN12_GLOBAL__N_139chunk_gated_delta_rule_fwd_h_hip_kernelILi32ELb1ELb1ELb1ELb1ELb0ELb1ELb1ELb1EEEvPK12hip_bfloat16S3_S3_PKfS5_PKvPS1_S8_PvPKiSB_iiiiilll.kd
    .uniform_work_group_size: 1
    .uses_dynamic_stack: false
    .vgpr_count:     172
    .vgpr_spill_count: 0
    .wavefront_size: 64
  - .agpr_count:     24
    .args:
      - .actual_access:  read_only
        .address_space:  global
        .offset:         0
        .size:           8
        .value_kind:     global_buffer
      - .actual_access:  read_only
        .address_space:  global
        .offset:         8
        .size:           8
        .value_kind:     global_buffer
      - .actual_access:  read_only
        .address_space:  global
        .offset:         16
        .size:           8
        .value_kind:     global_buffer
      - .actual_access:  read_only
        .address_space:  global
        .offset:         24
        .size:           8
        .value_kind:     global_buffer
      - .actual_access:  read_only
        .address_space:  global
        .offset:         32
        .size:           8
        .value_kind:     global_buffer
      - .actual_access:  read_only
        .address_space:  global
        .offset:         40
        .size:           8
        .value_kind:     global_buffer
      - .actual_access:  write_only
        .address_space:  global
        .offset:         48
        .size:           8
        .value_kind:     global_buffer
      - .actual_access:  read_only
        .address_space:  global
        .offset:         56
        .size:           8
        .value_kind:     global_buffer
      - .actual_access:  write_only
        .address_space:  global
        .offset:         64
        .size:           8
        .value_kind:     global_buffer
      - .actual_access:  read_only
        .address_space:  global
        .offset:         72
        .size:           8
        .value_kind:     global_buffer
      - .actual_access:  read_only
        .address_space:  global
        .offset:         80
        .size:           8
        .value_kind:     global_buffer
      - .offset:         88
        .size:           4
        .value_kind:     by_value
      - .offset:         92
        .size:           4
        .value_kind:     by_value
      - .offset:         96
        .size:           4
        .value_kind:     by_value
      - .offset:         100
        .size:           4
        .value_kind:     by_value
      - .offset:         104
        .size:           4
        .value_kind:     by_value
      - .offset:         112
        .size:           8
        .value_kind:     by_value
      - .offset:         120
        .size:           8
        .value_kind:     by_value
      - .offset:         128
        .size:           8
        .value_kind:     by_value
    .group_segment_fixed_size: 49152
    .kernarg_segment_align: 8
    .kernarg_segment_size: 136
    .language:       OpenCL C
    .language_version:
      - 2
      - 0
    .max_flat_workgroup_size: 256
    .name:           _ZN12_GLOBAL__N_139chunk_gated_delta_rule_fwd_h_hip_kernelILi32ELb1ELb1ELb0ELb1ELb0ELb1ELb1ELb1EEEvPK12hip_bfloat16S3_S3_PKfS5_PKvPS1_S8_PvPKiSB_iiiiilll
    .private_segment_fixed_size: 0
    .sgpr_count:     72
    .sgpr_spill_count: 0
    .symbol:         _ZN12_GLOBAL__N_139chunk_gated_delta_rule_fwd_h_hip_kernelILi32ELb1ELb1ELb0ELb1ELb0ELb1ELb1ELb1EEEvPK12hip_bfloat16S3_S3_PKfS5_PKvPS1_S8_PvPKiSB_iiiiilll.kd
    .uniform_work_group_size: 1
    .uses_dynamic_stack: false
    .vgpr_count:     172
    .vgpr_spill_count: 0
    .wavefront_size: 64
  - .agpr_count:     24
    .args:
      - .actual_access:  read_only
        .address_space:  global
        .offset:         0
        .size:           8
        .value_kind:     global_buffer
      - .actual_access:  read_only
        .address_space:  global
        .offset:         8
        .size:           8
        .value_kind:     global_buffer
      - .actual_access:  read_only
        .address_space:  global
        .offset:         16
        .size:           8
        .value_kind:     global_buffer
      - .actual_access:  read_only
        .address_space:  global
        .offset:         24
        .size:           8
        .value_kind:     global_buffer
      - .actual_access:  read_only
        .address_space:  global
        .offset:         32
        .size:           8
        .value_kind:     global_buffer
      - .actual_access:  read_only
        .address_space:  global
        .offset:         40
        .size:           8
        .value_kind:     global_buffer
      - .actual_access:  write_only
        .address_space:  global
        .offset:         48
        .size:           8
        .value_kind:     global_buffer
      - .actual_access:  write_only
        .address_space:  global
        .offset:         56
        .size:           8
        .value_kind:     global_buffer
      - .actual_access:  read_only
        .address_space:  global
        .offset:         64
        .size:           8
        .value_kind:     global_buffer
      - .actual_access:  read_only
        .address_space:  global
        .offset:         72
        .size:           8
        .value_kind:     global_buffer
      - .actual_access:  read_only
        .address_space:  global
        .offset:         80
        .size:           8
        .value_kind:     global_buffer
      - .offset:         88
        .size:           4
        .value_kind:     by_value
      - .offset:         92
        .size:           4
        .value_kind:     by_value
      - .offset:         96
        .size:           4
        .value_kind:     by_value
      - .offset:         100
        .size:           4
        .value_kind:     by_value
      - .offset:         104
        .size:           4
        .value_kind:     by_value
      - .offset:         112
        .size:           8
        .value_kind:     by_value
      - .offset:         120
        .size:           8
        .value_kind:     by_value
      - .offset:         128
        .size:           8
        .value_kind:     by_value
    .group_segment_fixed_size: 49152
    .kernarg_segment_align: 8
    .kernarg_segment_size: 136
    .language:       OpenCL C
    .language_version:
      - 2
      - 0
    .max_flat_workgroup_size: 256
    .name:           _ZN12_GLOBAL__N_139chunk_gated_delta_rule_fwd_h_hip_kernelILi32ELb1ELb0ELb1ELb1ELb0ELb1ELb1ELb1EEEvPK12hip_bfloat16S3_S3_PKfS5_PKvPS1_S8_PvPKiSB_iiiiilll
    .private_segment_fixed_size: 0
    .sgpr_count:     70
    .sgpr_spill_count: 0
    .symbol:         _ZN12_GLOBAL__N_139chunk_gated_delta_rule_fwd_h_hip_kernelILi32ELb1ELb0ELb1ELb1ELb0ELb1ELb1ELb1EEEvPK12hip_bfloat16S3_S3_PKfS5_PKvPS1_S8_PvPKiSB_iiiiilll.kd
    .uniform_work_group_size: 1
    .uses_dynamic_stack: false
    .vgpr_count:     168
    .vgpr_spill_count: 0
    .wavefront_size: 64
  - .agpr_count:     24
    .args:
      - .actual_access:  read_only
        .address_space:  global
        .offset:         0
        .size:           8
        .value_kind:     global_buffer
      - .actual_access:  read_only
        .address_space:  global
        .offset:         8
        .size:           8
        .value_kind:     global_buffer
      - .actual_access:  read_only
        .address_space:  global
        .offset:         16
        .size:           8
        .value_kind:     global_buffer
      - .actual_access:  read_only
        .address_space:  global
        .offset:         24
        .size:           8
        .value_kind:     global_buffer
      - .actual_access:  read_only
        .address_space:  global
        .offset:         32
        .size:           8
        .value_kind:     global_buffer
      - .actual_access:  read_only
        .address_space:  global
        .offset:         40
        .size:           8
        .value_kind:     global_buffer
      - .actual_access:  write_only
        .address_space:  global
        .offset:         48
        .size:           8
        .value_kind:     global_buffer
      - .actual_access:  read_only
        .address_space:  global
        .offset:         56
        .size:           8
        .value_kind:     global_buffer
      - .actual_access:  read_only
        .address_space:  global
        .offset:         64
        .size:           8
        .value_kind:     global_buffer
      - .actual_access:  read_only
        .address_space:  global
        .offset:         72
        .size:           8
        .value_kind:     global_buffer
      - .actual_access:  read_only
        .address_space:  global
        .offset:         80
        .size:           8
        .value_kind:     global_buffer
      - .offset:         88
        .size:           4
        .value_kind:     by_value
      - .offset:         92
        .size:           4
        .value_kind:     by_value
      - .offset:         96
        .size:           4
        .value_kind:     by_value
      - .offset:         100
        .size:           4
        .value_kind:     by_value
      - .offset:         104
        .size:           4
        .value_kind:     by_value
      - .offset:         112
        .size:           8
        .value_kind:     by_value
      - .offset:         120
        .size:           8
        .value_kind:     by_value
      - .offset:         128
        .size:           8
        .value_kind:     by_value
    .group_segment_fixed_size: 49152
    .kernarg_segment_align: 8
    .kernarg_segment_size: 136
    .language:       OpenCL C
    .language_version:
      - 2
      - 0
    .max_flat_workgroup_size: 256
    .name:           _ZN12_GLOBAL__N_139chunk_gated_delta_rule_fwd_h_hip_kernelILi32ELb1ELb0ELb0ELb1ELb0ELb1ELb1ELb1EEEvPK12hip_bfloat16S3_S3_PKfS5_PKvPS1_S8_PvPKiSB_iiiiilll
    .private_segment_fixed_size: 0
    .sgpr_count:     68
    .sgpr_spill_count: 0
    .symbol:         _ZN12_GLOBAL__N_139chunk_gated_delta_rule_fwd_h_hip_kernelILi32ELb1ELb0ELb0ELb1ELb0ELb1ELb1ELb1EEEvPK12hip_bfloat16S3_S3_PKfS5_PKvPS1_S8_PvPKiSB_iiiiilll.kd
    .uniform_work_group_size: 1
    .uses_dynamic_stack: false
    .vgpr_count:     164
    .vgpr_spill_count: 0
    .wavefront_size: 64
  - .agpr_count:     24
    .args:
      - .actual_access:  read_only
        .address_space:  global
        .offset:         0
        .size:           8
        .value_kind:     global_buffer
      - .actual_access:  read_only
        .address_space:  global
        .offset:         8
        .size:           8
        .value_kind:     global_buffer
      - .actual_access:  read_only
        .address_space:  global
        .offset:         16
        .size:           8
        .value_kind:     global_buffer
      - .actual_access:  read_only
        .address_space:  global
        .offset:         24
        .size:           8
        .value_kind:     global_buffer
      - .actual_access:  read_only
        .address_space:  global
        .offset:         32
        .size:           8
        .value_kind:     global_buffer
      - .actual_access:  read_only
        .address_space:  global
        .offset:         40
        .size:           8
        .value_kind:     global_buffer
      - .actual_access:  write_only
        .address_space:  global
        .offset:         48
        .size:           8
        .value_kind:     global_buffer
      - .actual_access:  write_only
        .address_space:  global
        .offset:         56
        .size:           8
        .value_kind:     global_buffer
      - .actual_access:  write_only
        .address_space:  global
        .offset:         64
        .size:           8
        .value_kind:     global_buffer
      - .actual_access:  read_only
        .address_space:  global
        .offset:         72
        .size:           8
        .value_kind:     global_buffer
      - .actual_access:  read_only
        .address_space:  global
        .offset:         80
        .size:           8
        .value_kind:     global_buffer
      - .offset:         88
        .size:           4
        .value_kind:     by_value
      - .offset:         92
        .size:           4
        .value_kind:     by_value
      - .offset:         96
        .size:           4
        .value_kind:     by_value
      - .offset:         100
        .size:           4
        .value_kind:     by_value
      - .offset:         104
        .size:           4
        .value_kind:     by_value
      - .offset:         112
        .size:           8
        .value_kind:     by_value
      - .offset:         120
        .size:           8
        .value_kind:     by_value
      - .offset:         128
        .size:           8
        .value_kind:     by_value
    .group_segment_fixed_size: 49152
    .kernarg_segment_align: 8
    .kernarg_segment_size: 136
    .language:       OpenCL C
    .language_version:
      - 2
      - 0
    .max_flat_workgroup_size: 256
    .name:           _ZN12_GLOBAL__N_139chunk_gated_delta_rule_fwd_h_hip_kernelILi32ELb0ELb1ELb1ELb1ELb0ELb1ELb1ELb1EEEvPK12hip_bfloat16S3_S3_PKfS5_PKvPS1_S8_PvPKiSB_iiiiilll
    .private_segment_fixed_size: 0
    .sgpr_count:     76
    .sgpr_spill_count: 0
    .symbol:         _ZN12_GLOBAL__N_139chunk_gated_delta_rule_fwd_h_hip_kernelILi32ELb0ELb1ELb1ELb1ELb0ELb1ELb1ELb1EEEvPK12hip_bfloat16S3_S3_PKfS5_PKvPS1_S8_PvPKiSB_iiiiilll.kd
    .uniform_work_group_size: 1
    .uses_dynamic_stack: false
    .vgpr_count:     168
    .vgpr_spill_count: 0
    .wavefront_size: 64
  - .agpr_count:     24
    .args:
      - .actual_access:  read_only
        .address_space:  global
        .offset:         0
        .size:           8
        .value_kind:     global_buffer
      - .actual_access:  read_only
        .address_space:  global
        .offset:         8
        .size:           8
        .value_kind:     global_buffer
      - .actual_access:  read_only
        .address_space:  global
        .offset:         16
        .size:           8
        .value_kind:     global_buffer
      - .actual_access:  read_only
        .address_space:  global
        .offset:         24
        .size:           8
        .value_kind:     global_buffer
      - .actual_access:  read_only
        .address_space:  global
        .offset:         32
        .size:           8
        .value_kind:     global_buffer
      - .actual_access:  read_only
        .address_space:  global
        .offset:         40
        .size:           8
        .value_kind:     global_buffer
      - .actual_access:  write_only
        .address_space:  global
        .offset:         48
        .size:           8
        .value_kind:     global_buffer
      - .actual_access:  read_only
        .address_space:  global
        .offset:         56
        .size:           8
        .value_kind:     global_buffer
      - .actual_access:  write_only
        .address_space:  global
        .offset:         64
        .size:           8
        .value_kind:     global_buffer
      - .actual_access:  read_only
        .address_space:  global
        .offset:         72
        .size:           8
        .value_kind:     global_buffer
      - .actual_access:  read_only
        .address_space:  global
        .offset:         80
        .size:           8
        .value_kind:     global_buffer
      - .offset:         88
        .size:           4
        .value_kind:     by_value
      - .offset:         92
        .size:           4
        .value_kind:     by_value
      - .offset:         96
        .size:           4
        .value_kind:     by_value
      - .offset:         100
        .size:           4
        .value_kind:     by_value
      - .offset:         104
        .size:           4
        .value_kind:     by_value
      - .offset:         112
        .size:           8
        .value_kind:     by_value
      - .offset:         120
        .size:           8
        .value_kind:     by_value
      - .offset:         128
        .size:           8
        .value_kind:     by_value
    .group_segment_fixed_size: 49152
    .kernarg_segment_align: 8
    .kernarg_segment_size: 136
    .language:       OpenCL C
    .language_version:
      - 2
      - 0
    .max_flat_workgroup_size: 256
    .name:           _ZN12_GLOBAL__N_139chunk_gated_delta_rule_fwd_h_hip_kernelILi32ELb0ELb1ELb0ELb1ELb0ELb1ELb1ELb1EEEvPK12hip_bfloat16S3_S3_PKfS5_PKvPS1_S8_PvPKiSB_iiiiilll
    .private_segment_fixed_size: 0
    .sgpr_count:     72
    .sgpr_spill_count: 0
    .symbol:         _ZN12_GLOBAL__N_139chunk_gated_delta_rule_fwd_h_hip_kernelILi32ELb0ELb1ELb0ELb1ELb0ELb1ELb1ELb1EEEvPK12hip_bfloat16S3_S3_PKfS5_PKvPS1_S8_PvPKiSB_iiiiilll.kd
    .uniform_work_group_size: 1
    .uses_dynamic_stack: false
    .vgpr_count:     164
    .vgpr_spill_count: 0
    .wavefront_size: 64
  - .agpr_count:     24
    .args:
      - .actual_access:  read_only
        .address_space:  global
        .offset:         0
        .size:           8
        .value_kind:     global_buffer
      - .actual_access:  read_only
        .address_space:  global
        .offset:         8
        .size:           8
        .value_kind:     global_buffer
      - .actual_access:  read_only
        .address_space:  global
        .offset:         16
        .size:           8
        .value_kind:     global_buffer
      - .actual_access:  read_only
        .address_space:  global
        .offset:         24
        .size:           8
        .value_kind:     global_buffer
      - .actual_access:  read_only
        .address_space:  global
        .offset:         32
        .size:           8
        .value_kind:     global_buffer
      - .actual_access:  read_only
        .address_space:  global
        .offset:         40
        .size:           8
        .value_kind:     global_buffer
      - .actual_access:  write_only
        .address_space:  global
        .offset:         48
        .size:           8
        .value_kind:     global_buffer
      - .actual_access:  write_only
        .address_space:  global
        .offset:         56
        .size:           8
        .value_kind:     global_buffer
      - .actual_access:  read_only
        .address_space:  global
        .offset:         64
        .size:           8
        .value_kind:     global_buffer
      - .actual_access:  read_only
        .address_space:  global
        .offset:         72
        .size:           8
        .value_kind:     global_buffer
      - .actual_access:  read_only
        .address_space:  global
        .offset:         80
        .size:           8
        .value_kind:     global_buffer
      - .offset:         88
        .size:           4
        .value_kind:     by_value
      - .offset:         92
        .size:           4
        .value_kind:     by_value
      - .offset:         96
        .size:           4
        .value_kind:     by_value
      - .offset:         100
        .size:           4
        .value_kind:     by_value
      - .offset:         104
        .size:           4
        .value_kind:     by_value
      - .offset:         112
        .size:           8
        .value_kind:     by_value
      - .offset:         120
        .size:           8
        .value_kind:     by_value
      - .offset:         128
        .size:           8
        .value_kind:     by_value
    .group_segment_fixed_size: 49152
    .kernarg_segment_align: 8
    .kernarg_segment_size: 136
    .language:       OpenCL C
    .language_version:
      - 2
      - 0
    .max_flat_workgroup_size: 256
    .name:           _ZN12_GLOBAL__N_139chunk_gated_delta_rule_fwd_h_hip_kernelILi32ELb0ELb0ELb1ELb1ELb0ELb1ELb1ELb1EEEvPK12hip_bfloat16S3_S3_PKfS5_PKvPS1_S8_PvPKiSB_iiiiilll
    .private_segment_fixed_size: 0
    .sgpr_count:     69
    .sgpr_spill_count: 0
    .symbol:         _ZN12_GLOBAL__N_139chunk_gated_delta_rule_fwd_h_hip_kernelILi32ELb0ELb0ELb1ELb1ELb0ELb1ELb1ELb1EEEvPK12hip_bfloat16S3_S3_PKfS5_PKvPS1_S8_PvPKiSB_iiiiilll.kd
    .uniform_work_group_size: 1
    .uses_dynamic_stack: false
    .vgpr_count:     168
    .vgpr_spill_count: 0
    .wavefront_size: 64
  - .agpr_count:     24
    .args:
      - .actual_access:  read_only
        .address_space:  global
        .offset:         0
        .size:           8
        .value_kind:     global_buffer
      - .actual_access:  read_only
        .address_space:  global
        .offset:         8
        .size:           8
        .value_kind:     global_buffer
      - .actual_access:  read_only
        .address_space:  global
        .offset:         16
        .size:           8
        .value_kind:     global_buffer
      - .actual_access:  read_only
        .address_space:  global
        .offset:         24
        .size:           8
        .value_kind:     global_buffer
      - .actual_access:  read_only
        .address_space:  global
        .offset:         32
        .size:           8
        .value_kind:     global_buffer
      - .actual_access:  read_only
        .address_space:  global
        .offset:         40
        .size:           8
        .value_kind:     global_buffer
      - .actual_access:  write_only
        .address_space:  global
        .offset:         48
        .size:           8
        .value_kind:     global_buffer
      - .actual_access:  read_only
        .address_space:  global
        .offset:         56
        .size:           8
        .value_kind:     global_buffer
      - .actual_access:  read_only
        .address_space:  global
        .offset:         64
        .size:           8
        .value_kind:     global_buffer
      - .actual_access:  read_only
        .address_space:  global
        .offset:         72
        .size:           8
        .value_kind:     global_buffer
      - .actual_access:  read_only
        .address_space:  global
        .offset:         80
        .size:           8
        .value_kind:     global_buffer
      - .offset:         88
        .size:           4
        .value_kind:     by_value
      - .offset:         92
        .size:           4
        .value_kind:     by_value
      - .offset:         96
        .size:           4
        .value_kind:     by_value
      - .offset:         100
        .size:           4
        .value_kind:     by_value
      - .offset:         104
        .size:           4
        .value_kind:     by_value
      - .offset:         112
        .size:           8
        .value_kind:     by_value
      - .offset:         120
        .size:           8
        .value_kind:     by_value
      - .offset:         128
        .size:           8
        .value_kind:     by_value
    .group_segment_fixed_size: 49152
    .kernarg_segment_align: 8
    .kernarg_segment_size: 136
    .language:       OpenCL C
    .language_version:
      - 2
      - 0
    .max_flat_workgroup_size: 256
    .name:           _ZN12_GLOBAL__N_139chunk_gated_delta_rule_fwd_h_hip_kernelILi32ELb0ELb0ELb0ELb1ELb0ELb1ELb1ELb1EEEvPK12hip_bfloat16S3_S3_PKfS5_PKvPS1_S8_PvPKiSB_iiiiilll
    .private_segment_fixed_size: 0
    .sgpr_count:     67
    .sgpr_spill_count: 0
    .symbol:         _ZN12_GLOBAL__N_139chunk_gated_delta_rule_fwd_h_hip_kernelILi32ELb0ELb0ELb0ELb1ELb0ELb1ELb1ELb1EEEvPK12hip_bfloat16S3_S3_PKfS5_PKvPS1_S8_PvPKiSB_iiiiilll.kd
    .uniform_work_group_size: 1
    .uses_dynamic_stack: false
    .vgpr_count:     164
    .vgpr_spill_count: 0
    .wavefront_size: 64
  - .agpr_count:     24
    .args:
      - .actual_access:  read_only
        .address_space:  global
        .offset:         0
        .size:           8
        .value_kind:     global_buffer
      - .actual_access:  read_only
        .address_space:  global
        .offset:         8
        .size:           8
        .value_kind:     global_buffer
      - .actual_access:  read_only
        .address_space:  global
        .offset:         16
        .size:           8
        .value_kind:     global_buffer
      - .actual_access:  read_only
        .address_space:  global
        .offset:         24
        .size:           8
        .value_kind:     global_buffer
      - .actual_access:  read_only
        .address_space:  global
        .offset:         32
        .size:           8
        .value_kind:     global_buffer
      - .actual_access:  read_only
        .address_space:  global
        .offset:         40
        .size:           8
        .value_kind:     global_buffer
      - .actual_access:  write_only
        .address_space:  global
        .offset:         48
        .size:           8
        .value_kind:     global_buffer
      - .actual_access:  write_only
        .address_space:  global
        .offset:         56
        .size:           8
        .value_kind:     global_buffer
      - .actual_access:  write_only
        .address_space:  global
        .offset:         64
        .size:           8
        .value_kind:     global_buffer
      - .actual_access:  read_only
        .address_space:  global
        .offset:         72
        .size:           8
        .value_kind:     global_buffer
      - .actual_access:  read_only
        .address_space:  global
        .offset:         80
        .size:           8
        .value_kind:     global_buffer
      - .offset:         88
        .size:           4
        .value_kind:     by_value
      - .offset:         92
        .size:           4
        .value_kind:     by_value
      - .offset:         96
        .size:           4
        .value_kind:     by_value
      - .offset:         100
        .size:           4
        .value_kind:     by_value
      - .offset:         104
        .size:           4
        .value_kind:     by_value
      - .offset:         112
        .size:           8
        .value_kind:     by_value
      - .offset:         120
        .size:           8
        .value_kind:     by_value
      - .offset:         128
        .size:           8
        .value_kind:     by_value
    .group_segment_fixed_size: 49152
    .kernarg_segment_align: 8
    .kernarg_segment_size: 136
    .language:       OpenCL C
    .language_version:
      - 2
      - 0
    .max_flat_workgroup_size: 256
    .name:           _ZN12_GLOBAL__N_139chunk_gated_delta_rule_fwd_h_hip_kernelILi32ELb1ELb1ELb1ELb0ELb0ELb1ELb1ELb1EEEvPK12hip_bfloat16S3_S3_PKfS5_PKvPS1_S8_PvPKiSB_iiiiilll
    .private_segment_fixed_size: 0
    .sgpr_count:     82
    .sgpr_spill_count: 0
    .symbol:         _ZN12_GLOBAL__N_139chunk_gated_delta_rule_fwd_h_hip_kernelILi32ELb1ELb1ELb1ELb0ELb0ELb1ELb1ELb1EEEvPK12hip_bfloat16S3_S3_PKfS5_PKvPS1_S8_PvPKiSB_iiiiilll.kd
    .uniform_work_group_size: 1
    .uses_dynamic_stack: false
    .vgpr_count:     172
    .vgpr_spill_count: 0
    .wavefront_size: 64
  - .agpr_count:     24
    .args:
      - .actual_access:  read_only
        .address_space:  global
        .offset:         0
        .size:           8
        .value_kind:     global_buffer
      - .actual_access:  read_only
        .address_space:  global
        .offset:         8
        .size:           8
        .value_kind:     global_buffer
      - .actual_access:  read_only
        .address_space:  global
        .offset:         16
        .size:           8
        .value_kind:     global_buffer
      - .actual_access:  read_only
        .address_space:  global
        .offset:         24
        .size:           8
        .value_kind:     global_buffer
      - .actual_access:  read_only
        .address_space:  global
        .offset:         32
        .size:           8
        .value_kind:     global_buffer
      - .actual_access:  read_only
        .address_space:  global
        .offset:         40
        .size:           8
        .value_kind:     global_buffer
      - .actual_access:  write_only
        .address_space:  global
        .offset:         48
        .size:           8
        .value_kind:     global_buffer
      - .actual_access:  read_only
        .address_space:  global
        .offset:         56
        .size:           8
        .value_kind:     global_buffer
      - .actual_access:  write_only
        .address_space:  global
        .offset:         64
        .size:           8
        .value_kind:     global_buffer
      - .actual_access:  read_only
        .address_space:  global
        .offset:         72
        .size:           8
        .value_kind:     global_buffer
      - .actual_access:  read_only
        .address_space:  global
        .offset:         80
        .size:           8
        .value_kind:     global_buffer
      - .offset:         88
        .size:           4
        .value_kind:     by_value
      - .offset:         92
        .size:           4
        .value_kind:     by_value
      - .offset:         96
        .size:           4
        .value_kind:     by_value
      - .offset:         100
        .size:           4
        .value_kind:     by_value
      - .offset:         104
        .size:           4
        .value_kind:     by_value
      - .offset:         112
        .size:           8
        .value_kind:     by_value
      - .offset:         120
        .size:           8
        .value_kind:     by_value
      - .offset:         128
        .size:           8
        .value_kind:     by_value
    .group_segment_fixed_size: 49152
    .kernarg_segment_align: 8
    .kernarg_segment_size: 136
    .language:       OpenCL C
    .language_version:
      - 2
      - 0
    .max_flat_workgroup_size: 256
    .name:           _ZN12_GLOBAL__N_139chunk_gated_delta_rule_fwd_h_hip_kernelILi32ELb1ELb1ELb0ELb0ELb0ELb1ELb1ELb1EEEvPK12hip_bfloat16S3_S3_PKfS5_PKvPS1_S8_PvPKiSB_iiiiilll
    .private_segment_fixed_size: 0
    .sgpr_count:     78
    .sgpr_spill_count: 0
    .symbol:         _ZN12_GLOBAL__N_139chunk_gated_delta_rule_fwd_h_hip_kernelILi32ELb1ELb1ELb0ELb0ELb0ELb1ELb1ELb1EEEvPK12hip_bfloat16S3_S3_PKfS5_PKvPS1_S8_PvPKiSB_iiiiilll.kd
    .uniform_work_group_size: 1
    .uses_dynamic_stack: false
    .vgpr_count:     172
    .vgpr_spill_count: 0
    .wavefront_size: 64
  - .agpr_count:     24
    .args:
      - .actual_access:  read_only
        .address_space:  global
        .offset:         0
        .size:           8
        .value_kind:     global_buffer
      - .actual_access:  read_only
        .address_space:  global
        .offset:         8
        .size:           8
        .value_kind:     global_buffer
      - .actual_access:  read_only
        .address_space:  global
        .offset:         16
        .size:           8
        .value_kind:     global_buffer
      - .actual_access:  read_only
        .address_space:  global
        .offset:         24
        .size:           8
        .value_kind:     global_buffer
      - .actual_access:  read_only
        .address_space:  global
        .offset:         32
        .size:           8
        .value_kind:     global_buffer
      - .actual_access:  read_only
        .address_space:  global
        .offset:         40
        .size:           8
        .value_kind:     global_buffer
      - .actual_access:  write_only
        .address_space:  global
        .offset:         48
        .size:           8
        .value_kind:     global_buffer
      - .actual_access:  write_only
        .address_space:  global
        .offset:         56
        .size:           8
        .value_kind:     global_buffer
      - .actual_access:  read_only
        .address_space:  global
        .offset:         64
        .size:           8
        .value_kind:     global_buffer
      - .actual_access:  read_only
        .address_space:  global
        .offset:         72
        .size:           8
        .value_kind:     global_buffer
      - .actual_access:  read_only
        .address_space:  global
        .offset:         80
        .size:           8
        .value_kind:     global_buffer
      - .offset:         88
        .size:           4
        .value_kind:     by_value
      - .offset:         92
        .size:           4
        .value_kind:     by_value
      - .offset:         96
        .size:           4
        .value_kind:     by_value
      - .offset:         100
        .size:           4
        .value_kind:     by_value
      - .offset:         104
        .size:           4
        .value_kind:     by_value
      - .offset:         112
        .size:           8
        .value_kind:     by_value
      - .offset:         120
        .size:           8
        .value_kind:     by_value
      - .offset:         128
        .size:           8
        .value_kind:     by_value
    .group_segment_fixed_size: 49152
    .kernarg_segment_align: 8
    .kernarg_segment_size: 136
    .language:       OpenCL C
    .language_version:
      - 2
      - 0
    .max_flat_workgroup_size: 256
    .name:           _ZN12_GLOBAL__N_139chunk_gated_delta_rule_fwd_h_hip_kernelILi32ELb1ELb0ELb1ELb0ELb0ELb1ELb1ELb1EEEvPK12hip_bfloat16S3_S3_PKfS5_PKvPS1_S8_PvPKiSB_iiiiilll
    .private_segment_fixed_size: 0
    .sgpr_count:     76
    .sgpr_spill_count: 0
    .symbol:         _ZN12_GLOBAL__N_139chunk_gated_delta_rule_fwd_h_hip_kernelILi32ELb1ELb0ELb1ELb0ELb0ELb1ELb1ELb1EEEvPK12hip_bfloat16S3_S3_PKfS5_PKvPS1_S8_PvPKiSB_iiiiilll.kd
    .uniform_work_group_size: 1
    .uses_dynamic_stack: false
    .vgpr_count:     168
    .vgpr_spill_count: 0
    .wavefront_size: 64
  - .agpr_count:     24
    .args:
      - .actual_access:  read_only
        .address_space:  global
        .offset:         0
        .size:           8
        .value_kind:     global_buffer
      - .actual_access:  read_only
        .address_space:  global
        .offset:         8
        .size:           8
        .value_kind:     global_buffer
      - .actual_access:  read_only
        .address_space:  global
        .offset:         16
        .size:           8
        .value_kind:     global_buffer
      - .actual_access:  read_only
        .address_space:  global
        .offset:         24
        .size:           8
        .value_kind:     global_buffer
      - .actual_access:  read_only
        .address_space:  global
        .offset:         32
        .size:           8
        .value_kind:     global_buffer
      - .actual_access:  read_only
        .address_space:  global
        .offset:         40
        .size:           8
        .value_kind:     global_buffer
      - .actual_access:  write_only
        .address_space:  global
        .offset:         48
        .size:           8
        .value_kind:     global_buffer
      - .actual_access:  read_only
        .address_space:  global
        .offset:         56
        .size:           8
        .value_kind:     global_buffer
      - .actual_access:  read_only
        .address_space:  global
        .offset:         64
        .size:           8
        .value_kind:     global_buffer
      - .actual_access:  read_only
        .address_space:  global
        .offset:         72
        .size:           8
        .value_kind:     global_buffer
      - .actual_access:  read_only
        .address_space:  global
        .offset:         80
        .size:           8
        .value_kind:     global_buffer
      - .offset:         88
        .size:           4
        .value_kind:     by_value
      - .offset:         92
        .size:           4
        .value_kind:     by_value
      - .offset:         96
        .size:           4
        .value_kind:     by_value
      - .offset:         100
        .size:           4
        .value_kind:     by_value
      - .offset:         104
        .size:           4
        .value_kind:     by_value
      - .offset:         112
        .size:           8
        .value_kind:     by_value
      - .offset:         120
        .size:           8
        .value_kind:     by_value
      - .offset:         128
        .size:           8
        .value_kind:     by_value
    .group_segment_fixed_size: 49152
    .kernarg_segment_align: 8
    .kernarg_segment_size: 136
    .language:       OpenCL C
    .language_version:
      - 2
      - 0
    .max_flat_workgroup_size: 256
    .name:           _ZN12_GLOBAL__N_139chunk_gated_delta_rule_fwd_h_hip_kernelILi32ELb1ELb0ELb0ELb0ELb0ELb1ELb1ELb1EEEvPK12hip_bfloat16S3_S3_PKfS5_PKvPS1_S8_PvPKiSB_iiiiilll
    .private_segment_fixed_size: 0
    .sgpr_count:     74
    .sgpr_spill_count: 0
    .symbol:         _ZN12_GLOBAL__N_139chunk_gated_delta_rule_fwd_h_hip_kernelILi32ELb1ELb0ELb0ELb0ELb0ELb1ELb1ELb1EEEvPK12hip_bfloat16S3_S3_PKfS5_PKvPS1_S8_PvPKiSB_iiiiilll.kd
    .uniform_work_group_size: 1
    .uses_dynamic_stack: false
    .vgpr_count:     164
    .vgpr_spill_count: 0
    .wavefront_size: 64
  - .agpr_count:     24
    .args:
      - .actual_access:  read_only
        .address_space:  global
        .offset:         0
        .size:           8
        .value_kind:     global_buffer
      - .actual_access:  read_only
        .address_space:  global
        .offset:         8
        .size:           8
        .value_kind:     global_buffer
      - .actual_access:  read_only
        .address_space:  global
        .offset:         16
        .size:           8
        .value_kind:     global_buffer
      - .actual_access:  read_only
        .address_space:  global
        .offset:         24
        .size:           8
        .value_kind:     global_buffer
      - .actual_access:  read_only
        .address_space:  global
        .offset:         32
        .size:           8
        .value_kind:     global_buffer
      - .actual_access:  read_only
        .address_space:  global
        .offset:         40
        .size:           8
        .value_kind:     global_buffer
      - .actual_access:  write_only
        .address_space:  global
        .offset:         48
        .size:           8
        .value_kind:     global_buffer
      - .actual_access:  write_only
        .address_space:  global
        .offset:         56
        .size:           8
        .value_kind:     global_buffer
      - .actual_access:  write_only
        .address_space:  global
        .offset:         64
        .size:           8
        .value_kind:     global_buffer
      - .actual_access:  read_only
        .address_space:  global
        .offset:         72
        .size:           8
        .value_kind:     global_buffer
      - .actual_access:  read_only
        .address_space:  global
        .offset:         80
        .size:           8
        .value_kind:     global_buffer
      - .offset:         88
        .size:           4
        .value_kind:     by_value
      - .offset:         92
        .size:           4
        .value_kind:     by_value
      - .offset:         96
        .size:           4
        .value_kind:     by_value
      - .offset:         100
        .size:           4
        .value_kind:     by_value
      - .offset:         104
        .size:           4
        .value_kind:     by_value
      - .offset:         112
        .size:           8
        .value_kind:     by_value
      - .offset:         120
        .size:           8
        .value_kind:     by_value
      - .offset:         128
        .size:           8
        .value_kind:     by_value
    .group_segment_fixed_size: 49152
    .kernarg_segment_align: 8
    .kernarg_segment_size: 136
    .language:       OpenCL C
    .language_version:
      - 2
      - 0
    .max_flat_workgroup_size: 256
    .name:           _ZN12_GLOBAL__N_139chunk_gated_delta_rule_fwd_h_hip_kernelILi32ELb0ELb1ELb1ELb0ELb0ELb1ELb1ELb1EEEvPK12hip_bfloat16S3_S3_PKfS5_PKvPS1_S8_PvPKiSB_iiiiilll
    .private_segment_fixed_size: 0
    .sgpr_count:     78
    .sgpr_spill_count: 0
    .symbol:         _ZN12_GLOBAL__N_139chunk_gated_delta_rule_fwd_h_hip_kernelILi32ELb0ELb1ELb1ELb0ELb0ELb1ELb1ELb1EEEvPK12hip_bfloat16S3_S3_PKfS5_PKvPS1_S8_PvPKiSB_iiiiilll.kd
    .uniform_work_group_size: 1
    .uses_dynamic_stack: false
    .vgpr_count:     168
    .vgpr_spill_count: 0
    .wavefront_size: 64
  - .agpr_count:     24
    .args:
      - .actual_access:  read_only
        .address_space:  global
        .offset:         0
        .size:           8
        .value_kind:     global_buffer
      - .actual_access:  read_only
        .address_space:  global
        .offset:         8
        .size:           8
        .value_kind:     global_buffer
      - .actual_access:  read_only
        .address_space:  global
        .offset:         16
        .size:           8
        .value_kind:     global_buffer
      - .actual_access:  read_only
        .address_space:  global
        .offset:         24
        .size:           8
        .value_kind:     global_buffer
      - .actual_access:  read_only
        .address_space:  global
        .offset:         32
        .size:           8
        .value_kind:     global_buffer
      - .actual_access:  read_only
        .address_space:  global
        .offset:         40
        .size:           8
        .value_kind:     global_buffer
      - .actual_access:  write_only
        .address_space:  global
        .offset:         48
        .size:           8
        .value_kind:     global_buffer
      - .actual_access:  read_only
        .address_space:  global
        .offset:         56
        .size:           8
        .value_kind:     global_buffer
      - .actual_access:  write_only
        .address_space:  global
        .offset:         64
        .size:           8
        .value_kind:     global_buffer
      - .actual_access:  read_only
        .address_space:  global
        .offset:         72
        .size:           8
        .value_kind:     global_buffer
      - .actual_access:  read_only
        .address_space:  global
        .offset:         80
        .size:           8
        .value_kind:     global_buffer
      - .offset:         88
        .size:           4
        .value_kind:     by_value
      - .offset:         92
        .size:           4
        .value_kind:     by_value
      - .offset:         96
        .size:           4
        .value_kind:     by_value
      - .offset:         100
        .size:           4
        .value_kind:     by_value
      - .offset:         104
        .size:           4
        .value_kind:     by_value
      - .offset:         112
        .size:           8
        .value_kind:     by_value
      - .offset:         120
        .size:           8
        .value_kind:     by_value
      - .offset:         128
        .size:           8
        .value_kind:     by_value
    .group_segment_fixed_size: 49152
    .kernarg_segment_align: 8
    .kernarg_segment_size: 136
    .language:       OpenCL C
    .language_version:
      - 2
      - 0
    .max_flat_workgroup_size: 256
    .name:           _ZN12_GLOBAL__N_139chunk_gated_delta_rule_fwd_h_hip_kernelILi32ELb0ELb1ELb0ELb0ELb0ELb1ELb1ELb1EEEvPK12hip_bfloat16S3_S3_PKfS5_PKvPS1_S8_PvPKiSB_iiiiilll
    .private_segment_fixed_size: 0
    .sgpr_count:     73
    .sgpr_spill_count: 0
    .symbol:         _ZN12_GLOBAL__N_139chunk_gated_delta_rule_fwd_h_hip_kernelILi32ELb0ELb1ELb0ELb0ELb0ELb1ELb1ELb1EEEvPK12hip_bfloat16S3_S3_PKfS5_PKvPS1_S8_PvPKiSB_iiiiilll.kd
    .uniform_work_group_size: 1
    .uses_dynamic_stack: false
    .vgpr_count:     164
    .vgpr_spill_count: 0
    .wavefront_size: 64
  - .agpr_count:     24
    .args:
      - .actual_access:  read_only
        .address_space:  global
        .offset:         0
        .size:           8
        .value_kind:     global_buffer
      - .actual_access:  read_only
        .address_space:  global
        .offset:         8
        .size:           8
        .value_kind:     global_buffer
      - .actual_access:  read_only
        .address_space:  global
        .offset:         16
        .size:           8
        .value_kind:     global_buffer
      - .actual_access:  read_only
        .address_space:  global
        .offset:         24
        .size:           8
        .value_kind:     global_buffer
      - .actual_access:  read_only
        .address_space:  global
        .offset:         32
        .size:           8
        .value_kind:     global_buffer
      - .actual_access:  read_only
        .address_space:  global
        .offset:         40
        .size:           8
        .value_kind:     global_buffer
      - .actual_access:  write_only
        .address_space:  global
        .offset:         48
        .size:           8
        .value_kind:     global_buffer
      - .actual_access:  write_only
        .address_space:  global
        .offset:         56
        .size:           8
        .value_kind:     global_buffer
      - .actual_access:  read_only
        .address_space:  global
        .offset:         64
        .size:           8
        .value_kind:     global_buffer
      - .actual_access:  read_only
        .address_space:  global
        .offset:         72
        .size:           8
        .value_kind:     global_buffer
      - .actual_access:  read_only
        .address_space:  global
        .offset:         80
        .size:           8
        .value_kind:     global_buffer
      - .offset:         88
        .size:           4
        .value_kind:     by_value
      - .offset:         92
        .size:           4
        .value_kind:     by_value
      - .offset:         96
        .size:           4
        .value_kind:     by_value
      - .offset:         100
        .size:           4
        .value_kind:     by_value
      - .offset:         104
        .size:           4
        .value_kind:     by_value
      - .offset:         112
        .size:           8
        .value_kind:     by_value
      - .offset:         120
        .size:           8
        .value_kind:     by_value
      - .offset:         128
        .size:           8
        .value_kind:     by_value
    .group_segment_fixed_size: 49152
    .kernarg_segment_align: 8
    .kernarg_segment_size: 136
    .language:       OpenCL C
    .language_version:
      - 2
      - 0
    .max_flat_workgroup_size: 256
    .name:           _ZN12_GLOBAL__N_139chunk_gated_delta_rule_fwd_h_hip_kernelILi32ELb0ELb0ELb1ELb0ELb0ELb1ELb1ELb1EEEvPK12hip_bfloat16S3_S3_PKfS5_PKvPS1_S8_PvPKiSB_iiiiilll
    .private_segment_fixed_size: 0
    .sgpr_count:     73
    .sgpr_spill_count: 0
    .symbol:         _ZN12_GLOBAL__N_139chunk_gated_delta_rule_fwd_h_hip_kernelILi32ELb0ELb0ELb1ELb0ELb0ELb1ELb1ELb1EEEvPK12hip_bfloat16S3_S3_PKfS5_PKvPS1_S8_PvPKiSB_iiiiilll.kd
    .uniform_work_group_size: 1
    .uses_dynamic_stack: false
    .vgpr_count:     168
    .vgpr_spill_count: 0
    .wavefront_size: 64
  - .agpr_count:     24
    .args:
      - .actual_access:  read_only
        .address_space:  global
        .offset:         0
        .size:           8
        .value_kind:     global_buffer
      - .actual_access:  read_only
        .address_space:  global
        .offset:         8
        .size:           8
        .value_kind:     global_buffer
      - .actual_access:  read_only
        .address_space:  global
        .offset:         16
        .size:           8
        .value_kind:     global_buffer
      - .actual_access:  read_only
        .address_space:  global
        .offset:         24
        .size:           8
        .value_kind:     global_buffer
      - .actual_access:  read_only
        .address_space:  global
        .offset:         32
        .size:           8
        .value_kind:     global_buffer
      - .actual_access:  read_only
        .address_space:  global
        .offset:         40
        .size:           8
        .value_kind:     global_buffer
      - .actual_access:  write_only
        .address_space:  global
        .offset:         48
        .size:           8
        .value_kind:     global_buffer
      - .actual_access:  read_only
        .address_space:  global
        .offset:         56
        .size:           8
        .value_kind:     global_buffer
      - .actual_access:  read_only
        .address_space:  global
        .offset:         64
        .size:           8
        .value_kind:     global_buffer
      - .actual_access:  read_only
        .address_space:  global
        .offset:         72
        .size:           8
        .value_kind:     global_buffer
      - .actual_access:  read_only
        .address_space:  global
        .offset:         80
        .size:           8
        .value_kind:     global_buffer
      - .offset:         88
        .size:           4
        .value_kind:     by_value
      - .offset:         92
        .size:           4
        .value_kind:     by_value
      - .offset:         96
        .size:           4
        .value_kind:     by_value
      - .offset:         100
        .size:           4
        .value_kind:     by_value
      - .offset:         104
        .size:           4
        .value_kind:     by_value
      - .offset:         112
        .size:           8
        .value_kind:     by_value
      - .offset:         120
        .size:           8
        .value_kind:     by_value
      - .offset:         128
        .size:           8
        .value_kind:     by_value
    .group_segment_fixed_size: 49152
    .kernarg_segment_align: 8
    .kernarg_segment_size: 136
    .language:       OpenCL C
    .language_version:
      - 2
      - 0
    .max_flat_workgroup_size: 256
    .name:           _ZN12_GLOBAL__N_139chunk_gated_delta_rule_fwd_h_hip_kernelILi32ELb0ELb0ELb0ELb0ELb0ELb1ELb1ELb1EEEvPK12hip_bfloat16S3_S3_PKfS5_PKvPS1_S8_PvPKiSB_iiiiilll
    .private_segment_fixed_size: 0
    .sgpr_count:     71
    .sgpr_spill_count: 0
    .symbol:         _ZN12_GLOBAL__N_139chunk_gated_delta_rule_fwd_h_hip_kernelILi32ELb0ELb0ELb0ELb0ELb0ELb1ELb1ELb1EEEvPK12hip_bfloat16S3_S3_PKfS5_PKvPS1_S8_PvPKiSB_iiiiilll.kd
    .uniform_work_group_size: 1
    .uses_dynamic_stack: false
    .vgpr_count:     164
    .vgpr_spill_count: 0
    .wavefront_size: 64
  - .agpr_count:     24
    .args:
      - .actual_access:  read_only
        .address_space:  global
        .offset:         0
        .size:           8
        .value_kind:     global_buffer
      - .actual_access:  read_only
        .address_space:  global
        .offset:         8
        .size:           8
        .value_kind:     global_buffer
      - .actual_access:  read_only
        .address_space:  global
        .offset:         16
        .size:           8
        .value_kind:     global_buffer
      - .actual_access:  read_only
        .address_space:  global
        .offset:         24
        .size:           8
        .value_kind:     global_buffer
      - .actual_access:  read_only
        .address_space:  global
        .offset:         32
        .size:           8
        .value_kind:     global_buffer
      - .actual_access:  read_only
        .address_space:  global
        .offset:         40
        .size:           8
        .value_kind:     global_buffer
      - .actual_access:  write_only
        .address_space:  global
        .offset:         48
        .size:           8
        .value_kind:     global_buffer
      - .actual_access:  write_only
        .address_space:  global
        .offset:         56
        .size:           8
        .value_kind:     global_buffer
      - .actual_access:  write_only
        .address_space:  global
        .offset:         64
        .size:           8
        .value_kind:     global_buffer
      - .actual_access:  read_only
        .address_space:  global
        .offset:         72
        .size:           8
        .value_kind:     global_buffer
      - .actual_access:  read_only
        .address_space:  global
        .offset:         80
        .size:           8
        .value_kind:     global_buffer
      - .offset:         88
        .size:           4
        .value_kind:     by_value
      - .offset:         92
        .size:           4
        .value_kind:     by_value
      - .offset:         96
        .size:           4
        .value_kind:     by_value
      - .offset:         100
        .size:           4
        .value_kind:     by_value
      - .offset:         104
        .size:           4
        .value_kind:     by_value
      - .offset:         112
        .size:           8
        .value_kind:     by_value
      - .offset:         120
        .size:           8
        .value_kind:     by_value
      - .offset:         128
        .size:           8
        .value_kind:     by_value
    .group_segment_fixed_size: 49152
    .kernarg_segment_align: 8
    .kernarg_segment_size: 136
    .language:       OpenCL C
    .language_version:
      - 2
      - 0
    .max_flat_workgroup_size: 256
    .name:           _ZN12_GLOBAL__N_139chunk_gated_delta_rule_fwd_h_hip_kernelILi32ELb1ELb1ELb1ELb1ELb0ELb1ELb0ELb1EEEvPK12hip_bfloat16S3_S3_PKfS5_PKvPS1_S8_PvPKiSB_iiiiilll
    .private_segment_fixed_size: 0
    .sgpr_count:     76
    .sgpr_spill_count: 0
    .symbol:         _ZN12_GLOBAL__N_139chunk_gated_delta_rule_fwd_h_hip_kernelILi32ELb1ELb1ELb1ELb1ELb0ELb1ELb0ELb1EEEvPK12hip_bfloat16S3_S3_PKfS5_PKvPS1_S8_PvPKiSB_iiiiilll.kd
    .uniform_work_group_size: 1
    .uses_dynamic_stack: false
    .vgpr_count:     172
    .vgpr_spill_count: 0
    .wavefront_size: 64
  - .agpr_count:     24
    .args:
      - .actual_access:  read_only
        .address_space:  global
        .offset:         0
        .size:           8
        .value_kind:     global_buffer
      - .actual_access:  read_only
        .address_space:  global
        .offset:         8
        .size:           8
        .value_kind:     global_buffer
      - .actual_access:  read_only
        .address_space:  global
        .offset:         16
        .size:           8
        .value_kind:     global_buffer
      - .actual_access:  read_only
        .address_space:  global
        .offset:         24
        .size:           8
        .value_kind:     global_buffer
      - .actual_access:  read_only
        .address_space:  global
        .offset:         32
        .size:           8
        .value_kind:     global_buffer
      - .actual_access:  read_only
        .address_space:  global
        .offset:         40
        .size:           8
        .value_kind:     global_buffer
      - .actual_access:  write_only
        .address_space:  global
        .offset:         48
        .size:           8
        .value_kind:     global_buffer
      - .actual_access:  read_only
        .address_space:  global
        .offset:         56
        .size:           8
        .value_kind:     global_buffer
      - .actual_access:  write_only
        .address_space:  global
        .offset:         64
        .size:           8
        .value_kind:     global_buffer
      - .actual_access:  read_only
        .address_space:  global
        .offset:         72
        .size:           8
        .value_kind:     global_buffer
      - .actual_access:  read_only
        .address_space:  global
        .offset:         80
        .size:           8
        .value_kind:     global_buffer
      - .offset:         88
        .size:           4
        .value_kind:     by_value
      - .offset:         92
        .size:           4
        .value_kind:     by_value
      - .offset:         96
        .size:           4
        .value_kind:     by_value
      - .offset:         100
        .size:           4
        .value_kind:     by_value
      - .offset:         104
        .size:           4
        .value_kind:     by_value
      - .offset:         112
        .size:           8
        .value_kind:     by_value
      - .offset:         120
        .size:           8
        .value_kind:     by_value
      - .offset:         128
        .size:           8
        .value_kind:     by_value
    .group_segment_fixed_size: 49152
    .kernarg_segment_align: 8
    .kernarg_segment_size: 136
    .language:       OpenCL C
    .language_version:
      - 2
      - 0
    .max_flat_workgroup_size: 256
    .name:           _ZN12_GLOBAL__N_139chunk_gated_delta_rule_fwd_h_hip_kernelILi32ELb1ELb1ELb0ELb1ELb0ELb1ELb0ELb1EEEvPK12hip_bfloat16S3_S3_PKfS5_PKvPS1_S8_PvPKiSB_iiiiilll
    .private_segment_fixed_size: 0
    .sgpr_count:     72
    .sgpr_spill_count: 0
    .symbol:         _ZN12_GLOBAL__N_139chunk_gated_delta_rule_fwd_h_hip_kernelILi32ELb1ELb1ELb0ELb1ELb0ELb1ELb0ELb1EEEvPK12hip_bfloat16S3_S3_PKfS5_PKvPS1_S8_PvPKiSB_iiiiilll.kd
    .uniform_work_group_size: 1
    .uses_dynamic_stack: false
    .vgpr_count:     172
    .vgpr_spill_count: 0
    .wavefront_size: 64
  - .agpr_count:     24
    .args:
      - .actual_access:  read_only
        .address_space:  global
        .offset:         0
        .size:           8
        .value_kind:     global_buffer
      - .actual_access:  read_only
        .address_space:  global
        .offset:         8
        .size:           8
        .value_kind:     global_buffer
      - .actual_access:  read_only
        .address_space:  global
        .offset:         16
        .size:           8
        .value_kind:     global_buffer
      - .actual_access:  read_only
        .address_space:  global
        .offset:         24
        .size:           8
        .value_kind:     global_buffer
      - .actual_access:  read_only
        .address_space:  global
        .offset:         32
        .size:           8
        .value_kind:     global_buffer
      - .actual_access:  read_only
        .address_space:  global
        .offset:         40
        .size:           8
        .value_kind:     global_buffer
      - .actual_access:  write_only
        .address_space:  global
        .offset:         48
        .size:           8
        .value_kind:     global_buffer
      - .actual_access:  write_only
        .address_space:  global
        .offset:         56
        .size:           8
        .value_kind:     global_buffer
      - .actual_access:  read_only
        .address_space:  global
        .offset:         64
        .size:           8
        .value_kind:     global_buffer
      - .actual_access:  read_only
        .address_space:  global
        .offset:         72
        .size:           8
        .value_kind:     global_buffer
      - .actual_access:  read_only
        .address_space:  global
        .offset:         80
        .size:           8
        .value_kind:     global_buffer
      - .offset:         88
        .size:           4
        .value_kind:     by_value
      - .offset:         92
        .size:           4
        .value_kind:     by_value
      - .offset:         96
        .size:           4
        .value_kind:     by_value
      - .offset:         100
        .size:           4
        .value_kind:     by_value
      - .offset:         104
        .size:           4
        .value_kind:     by_value
      - .offset:         112
        .size:           8
        .value_kind:     by_value
      - .offset:         120
        .size:           8
        .value_kind:     by_value
      - .offset:         128
        .size:           8
        .value_kind:     by_value
    .group_segment_fixed_size: 49152
    .kernarg_segment_align: 8
    .kernarg_segment_size: 136
    .language:       OpenCL C
    .language_version:
      - 2
      - 0
    .max_flat_workgroup_size: 256
    .name:           _ZN12_GLOBAL__N_139chunk_gated_delta_rule_fwd_h_hip_kernelILi32ELb1ELb0ELb1ELb1ELb0ELb1ELb0ELb1EEEvPK12hip_bfloat16S3_S3_PKfS5_PKvPS1_S8_PvPKiSB_iiiiilll
    .private_segment_fixed_size: 0
    .sgpr_count:     70
    .sgpr_spill_count: 0
    .symbol:         _ZN12_GLOBAL__N_139chunk_gated_delta_rule_fwd_h_hip_kernelILi32ELb1ELb0ELb1ELb1ELb0ELb1ELb0ELb1EEEvPK12hip_bfloat16S3_S3_PKfS5_PKvPS1_S8_PvPKiSB_iiiiilll.kd
    .uniform_work_group_size: 1
    .uses_dynamic_stack: false
    .vgpr_count:     168
    .vgpr_spill_count: 0
    .wavefront_size: 64
  - .agpr_count:     24
    .args:
      - .actual_access:  read_only
        .address_space:  global
        .offset:         0
        .size:           8
        .value_kind:     global_buffer
      - .actual_access:  read_only
        .address_space:  global
        .offset:         8
        .size:           8
        .value_kind:     global_buffer
      - .actual_access:  read_only
        .address_space:  global
        .offset:         16
        .size:           8
        .value_kind:     global_buffer
      - .actual_access:  read_only
        .address_space:  global
        .offset:         24
        .size:           8
        .value_kind:     global_buffer
      - .actual_access:  read_only
        .address_space:  global
        .offset:         32
        .size:           8
        .value_kind:     global_buffer
      - .actual_access:  read_only
        .address_space:  global
        .offset:         40
        .size:           8
        .value_kind:     global_buffer
      - .actual_access:  write_only
        .address_space:  global
        .offset:         48
        .size:           8
        .value_kind:     global_buffer
      - .actual_access:  read_only
        .address_space:  global
        .offset:         56
        .size:           8
        .value_kind:     global_buffer
      - .actual_access:  read_only
        .address_space:  global
        .offset:         64
        .size:           8
        .value_kind:     global_buffer
      - .actual_access:  read_only
        .address_space:  global
        .offset:         72
        .size:           8
        .value_kind:     global_buffer
      - .actual_access:  read_only
        .address_space:  global
        .offset:         80
        .size:           8
        .value_kind:     global_buffer
      - .offset:         88
        .size:           4
        .value_kind:     by_value
      - .offset:         92
        .size:           4
        .value_kind:     by_value
      - .offset:         96
        .size:           4
        .value_kind:     by_value
      - .offset:         100
        .size:           4
        .value_kind:     by_value
      - .offset:         104
        .size:           4
        .value_kind:     by_value
      - .offset:         112
        .size:           8
        .value_kind:     by_value
      - .offset:         120
        .size:           8
        .value_kind:     by_value
      - .offset:         128
        .size:           8
        .value_kind:     by_value
    .group_segment_fixed_size: 49152
    .kernarg_segment_align: 8
    .kernarg_segment_size: 136
    .language:       OpenCL C
    .language_version:
      - 2
      - 0
    .max_flat_workgroup_size: 256
    .name:           _ZN12_GLOBAL__N_139chunk_gated_delta_rule_fwd_h_hip_kernelILi32ELb1ELb0ELb0ELb1ELb0ELb1ELb0ELb1EEEvPK12hip_bfloat16S3_S3_PKfS5_PKvPS1_S8_PvPKiSB_iiiiilll
    .private_segment_fixed_size: 0
    .sgpr_count:     68
    .sgpr_spill_count: 0
    .symbol:         _ZN12_GLOBAL__N_139chunk_gated_delta_rule_fwd_h_hip_kernelILi32ELb1ELb0ELb0ELb1ELb0ELb1ELb0ELb1EEEvPK12hip_bfloat16S3_S3_PKfS5_PKvPS1_S8_PvPKiSB_iiiiilll.kd
    .uniform_work_group_size: 1
    .uses_dynamic_stack: false
    .vgpr_count:     164
    .vgpr_spill_count: 0
    .wavefront_size: 64
  - .agpr_count:     24
    .args:
      - .actual_access:  read_only
        .address_space:  global
        .offset:         0
        .size:           8
        .value_kind:     global_buffer
      - .actual_access:  read_only
        .address_space:  global
        .offset:         8
        .size:           8
        .value_kind:     global_buffer
      - .actual_access:  read_only
        .address_space:  global
        .offset:         16
        .size:           8
        .value_kind:     global_buffer
      - .actual_access:  read_only
        .address_space:  global
        .offset:         24
        .size:           8
        .value_kind:     global_buffer
      - .actual_access:  read_only
        .address_space:  global
        .offset:         32
        .size:           8
        .value_kind:     global_buffer
      - .actual_access:  read_only
        .address_space:  global
        .offset:         40
        .size:           8
        .value_kind:     global_buffer
      - .actual_access:  write_only
        .address_space:  global
        .offset:         48
        .size:           8
        .value_kind:     global_buffer
      - .actual_access:  write_only
        .address_space:  global
        .offset:         56
        .size:           8
        .value_kind:     global_buffer
      - .actual_access:  write_only
        .address_space:  global
        .offset:         64
        .size:           8
        .value_kind:     global_buffer
      - .actual_access:  read_only
        .address_space:  global
        .offset:         72
        .size:           8
        .value_kind:     global_buffer
      - .actual_access:  read_only
        .address_space:  global
        .offset:         80
        .size:           8
        .value_kind:     global_buffer
      - .offset:         88
        .size:           4
        .value_kind:     by_value
      - .offset:         92
        .size:           4
        .value_kind:     by_value
      - .offset:         96
        .size:           4
        .value_kind:     by_value
      - .offset:         100
        .size:           4
        .value_kind:     by_value
      - .offset:         104
        .size:           4
        .value_kind:     by_value
      - .offset:         112
        .size:           8
        .value_kind:     by_value
      - .offset:         120
        .size:           8
        .value_kind:     by_value
      - .offset:         128
        .size:           8
        .value_kind:     by_value
    .group_segment_fixed_size: 49152
    .kernarg_segment_align: 8
    .kernarg_segment_size: 136
    .language:       OpenCL C
    .language_version:
      - 2
      - 0
    .max_flat_workgroup_size: 256
    .name:           _ZN12_GLOBAL__N_139chunk_gated_delta_rule_fwd_h_hip_kernelILi32ELb0ELb1ELb1ELb1ELb0ELb1ELb0ELb1EEEvPK12hip_bfloat16S3_S3_PKfS5_PKvPS1_S8_PvPKiSB_iiiiilll
    .private_segment_fixed_size: 0
    .sgpr_count:     76
    .sgpr_spill_count: 0
    .symbol:         _ZN12_GLOBAL__N_139chunk_gated_delta_rule_fwd_h_hip_kernelILi32ELb0ELb1ELb1ELb1ELb0ELb1ELb0ELb1EEEvPK12hip_bfloat16S3_S3_PKfS5_PKvPS1_S8_PvPKiSB_iiiiilll.kd
    .uniform_work_group_size: 1
    .uses_dynamic_stack: false
    .vgpr_count:     168
    .vgpr_spill_count: 0
    .wavefront_size: 64
  - .agpr_count:     24
    .args:
      - .actual_access:  read_only
        .address_space:  global
        .offset:         0
        .size:           8
        .value_kind:     global_buffer
      - .actual_access:  read_only
        .address_space:  global
        .offset:         8
        .size:           8
        .value_kind:     global_buffer
      - .actual_access:  read_only
        .address_space:  global
        .offset:         16
        .size:           8
        .value_kind:     global_buffer
      - .actual_access:  read_only
        .address_space:  global
        .offset:         24
        .size:           8
        .value_kind:     global_buffer
      - .actual_access:  read_only
        .address_space:  global
        .offset:         32
        .size:           8
        .value_kind:     global_buffer
      - .actual_access:  read_only
        .address_space:  global
        .offset:         40
        .size:           8
        .value_kind:     global_buffer
      - .actual_access:  write_only
        .address_space:  global
        .offset:         48
        .size:           8
        .value_kind:     global_buffer
      - .actual_access:  read_only
        .address_space:  global
        .offset:         56
        .size:           8
        .value_kind:     global_buffer
      - .actual_access:  write_only
        .address_space:  global
        .offset:         64
        .size:           8
        .value_kind:     global_buffer
      - .actual_access:  read_only
        .address_space:  global
        .offset:         72
        .size:           8
        .value_kind:     global_buffer
      - .actual_access:  read_only
        .address_space:  global
        .offset:         80
        .size:           8
        .value_kind:     global_buffer
      - .offset:         88
        .size:           4
        .value_kind:     by_value
      - .offset:         92
        .size:           4
        .value_kind:     by_value
      - .offset:         96
        .size:           4
        .value_kind:     by_value
      - .offset:         100
        .size:           4
        .value_kind:     by_value
      - .offset:         104
        .size:           4
        .value_kind:     by_value
      - .offset:         112
        .size:           8
        .value_kind:     by_value
      - .offset:         120
        .size:           8
        .value_kind:     by_value
      - .offset:         128
        .size:           8
        .value_kind:     by_value
    .group_segment_fixed_size: 49152
    .kernarg_segment_align: 8
    .kernarg_segment_size: 136
    .language:       OpenCL C
    .language_version:
      - 2
      - 0
    .max_flat_workgroup_size: 256
    .name:           _ZN12_GLOBAL__N_139chunk_gated_delta_rule_fwd_h_hip_kernelILi32ELb0ELb1ELb0ELb1ELb0ELb1ELb0ELb1EEEvPK12hip_bfloat16S3_S3_PKfS5_PKvPS1_S8_PvPKiSB_iiiiilll
    .private_segment_fixed_size: 0
    .sgpr_count:     72
    .sgpr_spill_count: 0
    .symbol:         _ZN12_GLOBAL__N_139chunk_gated_delta_rule_fwd_h_hip_kernelILi32ELb0ELb1ELb0ELb1ELb0ELb1ELb0ELb1EEEvPK12hip_bfloat16S3_S3_PKfS5_PKvPS1_S8_PvPKiSB_iiiiilll.kd
    .uniform_work_group_size: 1
    .uses_dynamic_stack: false
    .vgpr_count:     164
    .vgpr_spill_count: 0
    .wavefront_size: 64
  - .agpr_count:     24
    .args:
      - .actual_access:  read_only
        .address_space:  global
        .offset:         0
        .size:           8
        .value_kind:     global_buffer
      - .actual_access:  read_only
        .address_space:  global
        .offset:         8
        .size:           8
        .value_kind:     global_buffer
      - .actual_access:  read_only
        .address_space:  global
        .offset:         16
        .size:           8
        .value_kind:     global_buffer
      - .actual_access:  read_only
        .address_space:  global
        .offset:         24
        .size:           8
        .value_kind:     global_buffer
      - .actual_access:  read_only
        .address_space:  global
        .offset:         32
        .size:           8
        .value_kind:     global_buffer
      - .actual_access:  read_only
        .address_space:  global
        .offset:         40
        .size:           8
        .value_kind:     global_buffer
      - .actual_access:  write_only
        .address_space:  global
        .offset:         48
        .size:           8
        .value_kind:     global_buffer
      - .actual_access:  write_only
        .address_space:  global
        .offset:         56
        .size:           8
        .value_kind:     global_buffer
      - .actual_access:  read_only
        .address_space:  global
        .offset:         64
        .size:           8
        .value_kind:     global_buffer
      - .actual_access:  read_only
        .address_space:  global
        .offset:         72
        .size:           8
        .value_kind:     global_buffer
      - .actual_access:  read_only
        .address_space:  global
        .offset:         80
        .size:           8
        .value_kind:     global_buffer
      - .offset:         88
        .size:           4
        .value_kind:     by_value
      - .offset:         92
        .size:           4
        .value_kind:     by_value
      - .offset:         96
        .size:           4
        .value_kind:     by_value
      - .offset:         100
        .size:           4
        .value_kind:     by_value
      - .offset:         104
        .size:           4
        .value_kind:     by_value
      - .offset:         112
        .size:           8
        .value_kind:     by_value
      - .offset:         120
        .size:           8
        .value_kind:     by_value
      - .offset:         128
        .size:           8
        .value_kind:     by_value
    .group_segment_fixed_size: 49152
    .kernarg_segment_align: 8
    .kernarg_segment_size: 136
    .language:       OpenCL C
    .language_version:
      - 2
      - 0
    .max_flat_workgroup_size: 256
    .name:           _ZN12_GLOBAL__N_139chunk_gated_delta_rule_fwd_h_hip_kernelILi32ELb0ELb0ELb1ELb1ELb0ELb1ELb0ELb1EEEvPK12hip_bfloat16S3_S3_PKfS5_PKvPS1_S8_PvPKiSB_iiiiilll
    .private_segment_fixed_size: 0
    .sgpr_count:     69
    .sgpr_spill_count: 0
    .symbol:         _ZN12_GLOBAL__N_139chunk_gated_delta_rule_fwd_h_hip_kernelILi32ELb0ELb0ELb1ELb1ELb0ELb1ELb0ELb1EEEvPK12hip_bfloat16S3_S3_PKfS5_PKvPS1_S8_PvPKiSB_iiiiilll.kd
    .uniform_work_group_size: 1
    .uses_dynamic_stack: false
    .vgpr_count:     168
    .vgpr_spill_count: 0
    .wavefront_size: 64
  - .agpr_count:     24
    .args:
      - .actual_access:  read_only
        .address_space:  global
        .offset:         0
        .size:           8
        .value_kind:     global_buffer
      - .actual_access:  read_only
        .address_space:  global
        .offset:         8
        .size:           8
        .value_kind:     global_buffer
      - .actual_access:  read_only
        .address_space:  global
        .offset:         16
        .size:           8
        .value_kind:     global_buffer
      - .actual_access:  read_only
        .address_space:  global
        .offset:         24
        .size:           8
        .value_kind:     global_buffer
      - .actual_access:  read_only
        .address_space:  global
        .offset:         32
        .size:           8
        .value_kind:     global_buffer
      - .actual_access:  read_only
        .address_space:  global
        .offset:         40
        .size:           8
        .value_kind:     global_buffer
      - .actual_access:  write_only
        .address_space:  global
        .offset:         48
        .size:           8
        .value_kind:     global_buffer
      - .actual_access:  read_only
        .address_space:  global
        .offset:         56
        .size:           8
        .value_kind:     global_buffer
      - .actual_access:  read_only
        .address_space:  global
        .offset:         64
        .size:           8
        .value_kind:     global_buffer
      - .actual_access:  read_only
        .address_space:  global
        .offset:         72
        .size:           8
        .value_kind:     global_buffer
      - .actual_access:  read_only
        .address_space:  global
        .offset:         80
        .size:           8
        .value_kind:     global_buffer
      - .offset:         88
        .size:           4
        .value_kind:     by_value
      - .offset:         92
        .size:           4
        .value_kind:     by_value
      - .offset:         96
        .size:           4
        .value_kind:     by_value
      - .offset:         100
        .size:           4
        .value_kind:     by_value
      - .offset:         104
        .size:           4
        .value_kind:     by_value
      - .offset:         112
        .size:           8
        .value_kind:     by_value
      - .offset:         120
        .size:           8
        .value_kind:     by_value
      - .offset:         128
        .size:           8
        .value_kind:     by_value
    .group_segment_fixed_size: 49152
    .kernarg_segment_align: 8
    .kernarg_segment_size: 136
    .language:       OpenCL C
    .language_version:
      - 2
      - 0
    .max_flat_workgroup_size: 256
    .name:           _ZN12_GLOBAL__N_139chunk_gated_delta_rule_fwd_h_hip_kernelILi32ELb0ELb0ELb0ELb1ELb0ELb1ELb0ELb1EEEvPK12hip_bfloat16S3_S3_PKfS5_PKvPS1_S8_PvPKiSB_iiiiilll
    .private_segment_fixed_size: 0
    .sgpr_count:     67
    .sgpr_spill_count: 0
    .symbol:         _ZN12_GLOBAL__N_139chunk_gated_delta_rule_fwd_h_hip_kernelILi32ELb0ELb0ELb0ELb1ELb0ELb1ELb0ELb1EEEvPK12hip_bfloat16S3_S3_PKfS5_PKvPS1_S8_PvPKiSB_iiiiilll.kd
    .uniform_work_group_size: 1
    .uses_dynamic_stack: false
    .vgpr_count:     164
    .vgpr_spill_count: 0
    .wavefront_size: 64
  - .agpr_count:     24
    .args:
      - .actual_access:  read_only
        .address_space:  global
        .offset:         0
        .size:           8
        .value_kind:     global_buffer
      - .actual_access:  read_only
        .address_space:  global
        .offset:         8
        .size:           8
        .value_kind:     global_buffer
      - .actual_access:  read_only
        .address_space:  global
        .offset:         16
        .size:           8
        .value_kind:     global_buffer
      - .actual_access:  read_only
        .address_space:  global
        .offset:         24
        .size:           8
        .value_kind:     global_buffer
      - .actual_access:  read_only
        .address_space:  global
        .offset:         32
        .size:           8
        .value_kind:     global_buffer
      - .actual_access:  read_only
        .address_space:  global
        .offset:         40
        .size:           8
        .value_kind:     global_buffer
      - .actual_access:  write_only
        .address_space:  global
        .offset:         48
        .size:           8
        .value_kind:     global_buffer
      - .actual_access:  write_only
        .address_space:  global
        .offset:         56
        .size:           8
        .value_kind:     global_buffer
      - .actual_access:  write_only
        .address_space:  global
        .offset:         64
        .size:           8
        .value_kind:     global_buffer
      - .actual_access:  read_only
        .address_space:  global
        .offset:         72
        .size:           8
        .value_kind:     global_buffer
      - .actual_access:  read_only
        .address_space:  global
        .offset:         80
        .size:           8
        .value_kind:     global_buffer
      - .offset:         88
        .size:           4
        .value_kind:     by_value
      - .offset:         92
        .size:           4
        .value_kind:     by_value
      - .offset:         96
        .size:           4
        .value_kind:     by_value
      - .offset:         100
        .size:           4
        .value_kind:     by_value
      - .offset:         104
        .size:           4
        .value_kind:     by_value
      - .offset:         112
        .size:           8
        .value_kind:     by_value
      - .offset:         120
        .size:           8
        .value_kind:     by_value
      - .offset:         128
        .size:           8
        .value_kind:     by_value
    .group_segment_fixed_size: 49152
    .kernarg_segment_align: 8
    .kernarg_segment_size: 136
    .language:       OpenCL C
    .language_version:
      - 2
      - 0
    .max_flat_workgroup_size: 256
    .name:           _ZN12_GLOBAL__N_139chunk_gated_delta_rule_fwd_h_hip_kernelILi32ELb1ELb1ELb1ELb0ELb0ELb1ELb0ELb1EEEvPK12hip_bfloat16S3_S3_PKfS5_PKvPS1_S8_PvPKiSB_iiiiilll
    .private_segment_fixed_size: 0
    .sgpr_count:     82
    .sgpr_spill_count: 0
    .symbol:         _ZN12_GLOBAL__N_139chunk_gated_delta_rule_fwd_h_hip_kernelILi32ELb1ELb1ELb1ELb0ELb0ELb1ELb0ELb1EEEvPK12hip_bfloat16S3_S3_PKfS5_PKvPS1_S8_PvPKiSB_iiiiilll.kd
    .uniform_work_group_size: 1
    .uses_dynamic_stack: false
    .vgpr_count:     172
    .vgpr_spill_count: 0
    .wavefront_size: 64
  - .agpr_count:     24
    .args:
      - .actual_access:  read_only
        .address_space:  global
        .offset:         0
        .size:           8
        .value_kind:     global_buffer
      - .actual_access:  read_only
        .address_space:  global
        .offset:         8
        .size:           8
        .value_kind:     global_buffer
      - .actual_access:  read_only
        .address_space:  global
        .offset:         16
        .size:           8
        .value_kind:     global_buffer
      - .actual_access:  read_only
        .address_space:  global
        .offset:         24
        .size:           8
        .value_kind:     global_buffer
      - .actual_access:  read_only
        .address_space:  global
        .offset:         32
        .size:           8
        .value_kind:     global_buffer
      - .actual_access:  read_only
        .address_space:  global
        .offset:         40
        .size:           8
        .value_kind:     global_buffer
      - .actual_access:  write_only
        .address_space:  global
        .offset:         48
        .size:           8
        .value_kind:     global_buffer
      - .actual_access:  read_only
        .address_space:  global
        .offset:         56
        .size:           8
        .value_kind:     global_buffer
      - .actual_access:  write_only
        .address_space:  global
        .offset:         64
        .size:           8
        .value_kind:     global_buffer
      - .actual_access:  read_only
        .address_space:  global
        .offset:         72
        .size:           8
        .value_kind:     global_buffer
      - .actual_access:  read_only
        .address_space:  global
        .offset:         80
        .size:           8
        .value_kind:     global_buffer
      - .offset:         88
        .size:           4
        .value_kind:     by_value
      - .offset:         92
        .size:           4
        .value_kind:     by_value
      - .offset:         96
        .size:           4
        .value_kind:     by_value
      - .offset:         100
        .size:           4
        .value_kind:     by_value
      - .offset:         104
        .size:           4
        .value_kind:     by_value
      - .offset:         112
        .size:           8
        .value_kind:     by_value
      - .offset:         120
        .size:           8
        .value_kind:     by_value
      - .offset:         128
        .size:           8
        .value_kind:     by_value
    .group_segment_fixed_size: 49152
    .kernarg_segment_align: 8
    .kernarg_segment_size: 136
    .language:       OpenCL C
    .language_version:
      - 2
      - 0
    .max_flat_workgroup_size: 256
    .name:           _ZN12_GLOBAL__N_139chunk_gated_delta_rule_fwd_h_hip_kernelILi32ELb1ELb1ELb0ELb0ELb0ELb1ELb0ELb1EEEvPK12hip_bfloat16S3_S3_PKfS5_PKvPS1_S8_PvPKiSB_iiiiilll
    .private_segment_fixed_size: 0
    .sgpr_count:     78
    .sgpr_spill_count: 0
    .symbol:         _ZN12_GLOBAL__N_139chunk_gated_delta_rule_fwd_h_hip_kernelILi32ELb1ELb1ELb0ELb0ELb0ELb1ELb0ELb1EEEvPK12hip_bfloat16S3_S3_PKfS5_PKvPS1_S8_PvPKiSB_iiiiilll.kd
    .uniform_work_group_size: 1
    .uses_dynamic_stack: false
    .vgpr_count:     172
    .vgpr_spill_count: 0
    .wavefront_size: 64
  - .agpr_count:     24
    .args:
      - .actual_access:  read_only
        .address_space:  global
        .offset:         0
        .size:           8
        .value_kind:     global_buffer
      - .actual_access:  read_only
        .address_space:  global
        .offset:         8
        .size:           8
        .value_kind:     global_buffer
      - .actual_access:  read_only
        .address_space:  global
        .offset:         16
        .size:           8
        .value_kind:     global_buffer
      - .actual_access:  read_only
        .address_space:  global
        .offset:         24
        .size:           8
        .value_kind:     global_buffer
      - .actual_access:  read_only
        .address_space:  global
        .offset:         32
        .size:           8
        .value_kind:     global_buffer
      - .actual_access:  read_only
        .address_space:  global
        .offset:         40
        .size:           8
        .value_kind:     global_buffer
      - .actual_access:  write_only
        .address_space:  global
        .offset:         48
        .size:           8
        .value_kind:     global_buffer
      - .actual_access:  write_only
        .address_space:  global
        .offset:         56
        .size:           8
        .value_kind:     global_buffer
      - .actual_access:  read_only
        .address_space:  global
        .offset:         64
        .size:           8
        .value_kind:     global_buffer
      - .actual_access:  read_only
        .address_space:  global
        .offset:         72
        .size:           8
        .value_kind:     global_buffer
      - .actual_access:  read_only
        .address_space:  global
        .offset:         80
        .size:           8
        .value_kind:     global_buffer
      - .offset:         88
        .size:           4
        .value_kind:     by_value
      - .offset:         92
        .size:           4
        .value_kind:     by_value
      - .offset:         96
        .size:           4
        .value_kind:     by_value
      - .offset:         100
        .size:           4
        .value_kind:     by_value
      - .offset:         104
        .size:           4
        .value_kind:     by_value
      - .offset:         112
        .size:           8
        .value_kind:     by_value
      - .offset:         120
        .size:           8
        .value_kind:     by_value
      - .offset:         128
        .size:           8
        .value_kind:     by_value
    .group_segment_fixed_size: 49152
    .kernarg_segment_align: 8
    .kernarg_segment_size: 136
    .language:       OpenCL C
    .language_version:
      - 2
      - 0
    .max_flat_workgroup_size: 256
    .name:           _ZN12_GLOBAL__N_139chunk_gated_delta_rule_fwd_h_hip_kernelILi32ELb1ELb0ELb1ELb0ELb0ELb1ELb0ELb1EEEvPK12hip_bfloat16S3_S3_PKfS5_PKvPS1_S8_PvPKiSB_iiiiilll
    .private_segment_fixed_size: 0
    .sgpr_count:     76
    .sgpr_spill_count: 0
    .symbol:         _ZN12_GLOBAL__N_139chunk_gated_delta_rule_fwd_h_hip_kernelILi32ELb1ELb0ELb1ELb0ELb0ELb1ELb0ELb1EEEvPK12hip_bfloat16S3_S3_PKfS5_PKvPS1_S8_PvPKiSB_iiiiilll.kd
    .uniform_work_group_size: 1
    .uses_dynamic_stack: false
    .vgpr_count:     168
    .vgpr_spill_count: 0
    .wavefront_size: 64
  - .agpr_count:     24
    .args:
      - .actual_access:  read_only
        .address_space:  global
        .offset:         0
        .size:           8
        .value_kind:     global_buffer
      - .actual_access:  read_only
        .address_space:  global
        .offset:         8
        .size:           8
        .value_kind:     global_buffer
      - .actual_access:  read_only
        .address_space:  global
        .offset:         16
        .size:           8
        .value_kind:     global_buffer
      - .actual_access:  read_only
        .address_space:  global
        .offset:         24
        .size:           8
        .value_kind:     global_buffer
      - .actual_access:  read_only
        .address_space:  global
        .offset:         32
        .size:           8
        .value_kind:     global_buffer
      - .actual_access:  read_only
        .address_space:  global
        .offset:         40
        .size:           8
        .value_kind:     global_buffer
      - .actual_access:  write_only
        .address_space:  global
        .offset:         48
        .size:           8
        .value_kind:     global_buffer
      - .actual_access:  read_only
        .address_space:  global
        .offset:         56
        .size:           8
        .value_kind:     global_buffer
      - .actual_access:  read_only
        .address_space:  global
        .offset:         64
        .size:           8
        .value_kind:     global_buffer
      - .actual_access:  read_only
        .address_space:  global
        .offset:         72
        .size:           8
        .value_kind:     global_buffer
      - .actual_access:  read_only
        .address_space:  global
        .offset:         80
        .size:           8
        .value_kind:     global_buffer
      - .offset:         88
        .size:           4
        .value_kind:     by_value
      - .offset:         92
        .size:           4
        .value_kind:     by_value
      - .offset:         96
        .size:           4
        .value_kind:     by_value
      - .offset:         100
        .size:           4
        .value_kind:     by_value
      - .offset:         104
        .size:           4
        .value_kind:     by_value
      - .offset:         112
        .size:           8
        .value_kind:     by_value
      - .offset:         120
        .size:           8
        .value_kind:     by_value
      - .offset:         128
        .size:           8
        .value_kind:     by_value
    .group_segment_fixed_size: 49152
    .kernarg_segment_align: 8
    .kernarg_segment_size: 136
    .language:       OpenCL C
    .language_version:
      - 2
      - 0
    .max_flat_workgroup_size: 256
    .name:           _ZN12_GLOBAL__N_139chunk_gated_delta_rule_fwd_h_hip_kernelILi32ELb1ELb0ELb0ELb0ELb0ELb1ELb0ELb1EEEvPK12hip_bfloat16S3_S3_PKfS5_PKvPS1_S8_PvPKiSB_iiiiilll
    .private_segment_fixed_size: 0
    .sgpr_count:     74
    .sgpr_spill_count: 0
    .symbol:         _ZN12_GLOBAL__N_139chunk_gated_delta_rule_fwd_h_hip_kernelILi32ELb1ELb0ELb0ELb0ELb0ELb1ELb0ELb1EEEvPK12hip_bfloat16S3_S3_PKfS5_PKvPS1_S8_PvPKiSB_iiiiilll.kd
    .uniform_work_group_size: 1
    .uses_dynamic_stack: false
    .vgpr_count:     164
    .vgpr_spill_count: 0
    .wavefront_size: 64
  - .agpr_count:     24
    .args:
      - .actual_access:  read_only
        .address_space:  global
        .offset:         0
        .size:           8
        .value_kind:     global_buffer
      - .actual_access:  read_only
        .address_space:  global
        .offset:         8
        .size:           8
        .value_kind:     global_buffer
      - .actual_access:  read_only
        .address_space:  global
        .offset:         16
        .size:           8
        .value_kind:     global_buffer
      - .actual_access:  read_only
        .address_space:  global
        .offset:         24
        .size:           8
        .value_kind:     global_buffer
      - .actual_access:  read_only
        .address_space:  global
        .offset:         32
        .size:           8
        .value_kind:     global_buffer
      - .actual_access:  read_only
        .address_space:  global
        .offset:         40
        .size:           8
        .value_kind:     global_buffer
      - .actual_access:  write_only
        .address_space:  global
        .offset:         48
        .size:           8
        .value_kind:     global_buffer
      - .actual_access:  write_only
        .address_space:  global
        .offset:         56
        .size:           8
        .value_kind:     global_buffer
      - .actual_access:  write_only
        .address_space:  global
        .offset:         64
        .size:           8
        .value_kind:     global_buffer
      - .actual_access:  read_only
        .address_space:  global
        .offset:         72
        .size:           8
        .value_kind:     global_buffer
      - .actual_access:  read_only
        .address_space:  global
        .offset:         80
        .size:           8
        .value_kind:     global_buffer
      - .offset:         88
        .size:           4
        .value_kind:     by_value
      - .offset:         92
        .size:           4
        .value_kind:     by_value
      - .offset:         96
        .size:           4
        .value_kind:     by_value
      - .offset:         100
        .size:           4
        .value_kind:     by_value
      - .offset:         104
        .size:           4
        .value_kind:     by_value
      - .offset:         112
        .size:           8
        .value_kind:     by_value
      - .offset:         120
        .size:           8
        .value_kind:     by_value
      - .offset:         128
        .size:           8
        .value_kind:     by_value
    .group_segment_fixed_size: 49152
    .kernarg_segment_align: 8
    .kernarg_segment_size: 136
    .language:       OpenCL C
    .language_version:
      - 2
      - 0
    .max_flat_workgroup_size: 256
    .name:           _ZN12_GLOBAL__N_139chunk_gated_delta_rule_fwd_h_hip_kernelILi32ELb0ELb1ELb1ELb0ELb0ELb1ELb0ELb1EEEvPK12hip_bfloat16S3_S3_PKfS5_PKvPS1_S8_PvPKiSB_iiiiilll
    .private_segment_fixed_size: 0
    .sgpr_count:     78
    .sgpr_spill_count: 0
    .symbol:         _ZN12_GLOBAL__N_139chunk_gated_delta_rule_fwd_h_hip_kernelILi32ELb0ELb1ELb1ELb0ELb0ELb1ELb0ELb1EEEvPK12hip_bfloat16S3_S3_PKfS5_PKvPS1_S8_PvPKiSB_iiiiilll.kd
    .uniform_work_group_size: 1
    .uses_dynamic_stack: false
    .vgpr_count:     168
    .vgpr_spill_count: 0
    .wavefront_size: 64
  - .agpr_count:     24
    .args:
      - .actual_access:  read_only
        .address_space:  global
        .offset:         0
        .size:           8
        .value_kind:     global_buffer
      - .actual_access:  read_only
        .address_space:  global
        .offset:         8
        .size:           8
        .value_kind:     global_buffer
      - .actual_access:  read_only
        .address_space:  global
        .offset:         16
        .size:           8
        .value_kind:     global_buffer
      - .actual_access:  read_only
        .address_space:  global
        .offset:         24
        .size:           8
        .value_kind:     global_buffer
      - .actual_access:  read_only
        .address_space:  global
        .offset:         32
        .size:           8
        .value_kind:     global_buffer
      - .actual_access:  read_only
        .address_space:  global
        .offset:         40
        .size:           8
        .value_kind:     global_buffer
      - .actual_access:  write_only
        .address_space:  global
        .offset:         48
        .size:           8
        .value_kind:     global_buffer
      - .actual_access:  read_only
        .address_space:  global
        .offset:         56
        .size:           8
        .value_kind:     global_buffer
      - .actual_access:  write_only
        .address_space:  global
        .offset:         64
        .size:           8
        .value_kind:     global_buffer
      - .actual_access:  read_only
        .address_space:  global
        .offset:         72
        .size:           8
        .value_kind:     global_buffer
      - .actual_access:  read_only
        .address_space:  global
        .offset:         80
        .size:           8
        .value_kind:     global_buffer
      - .offset:         88
        .size:           4
        .value_kind:     by_value
      - .offset:         92
        .size:           4
        .value_kind:     by_value
      - .offset:         96
        .size:           4
        .value_kind:     by_value
      - .offset:         100
        .size:           4
        .value_kind:     by_value
      - .offset:         104
        .size:           4
        .value_kind:     by_value
      - .offset:         112
        .size:           8
        .value_kind:     by_value
      - .offset:         120
        .size:           8
        .value_kind:     by_value
      - .offset:         128
        .size:           8
        .value_kind:     by_value
    .group_segment_fixed_size: 49152
    .kernarg_segment_align: 8
    .kernarg_segment_size: 136
    .language:       OpenCL C
    .language_version:
      - 2
      - 0
    .max_flat_workgroup_size: 256
    .name:           _ZN12_GLOBAL__N_139chunk_gated_delta_rule_fwd_h_hip_kernelILi32ELb0ELb1ELb0ELb0ELb0ELb1ELb0ELb1EEEvPK12hip_bfloat16S3_S3_PKfS5_PKvPS1_S8_PvPKiSB_iiiiilll
    .private_segment_fixed_size: 0
    .sgpr_count:     73
    .sgpr_spill_count: 0
    .symbol:         _ZN12_GLOBAL__N_139chunk_gated_delta_rule_fwd_h_hip_kernelILi32ELb0ELb1ELb0ELb0ELb0ELb1ELb0ELb1EEEvPK12hip_bfloat16S3_S3_PKfS5_PKvPS1_S8_PvPKiSB_iiiiilll.kd
    .uniform_work_group_size: 1
    .uses_dynamic_stack: false
    .vgpr_count:     164
    .vgpr_spill_count: 0
    .wavefront_size: 64
  - .agpr_count:     24
    .args:
      - .actual_access:  read_only
        .address_space:  global
        .offset:         0
        .size:           8
        .value_kind:     global_buffer
      - .actual_access:  read_only
        .address_space:  global
        .offset:         8
        .size:           8
        .value_kind:     global_buffer
      - .actual_access:  read_only
        .address_space:  global
        .offset:         16
        .size:           8
        .value_kind:     global_buffer
      - .actual_access:  read_only
        .address_space:  global
        .offset:         24
        .size:           8
        .value_kind:     global_buffer
      - .actual_access:  read_only
        .address_space:  global
        .offset:         32
        .size:           8
        .value_kind:     global_buffer
      - .actual_access:  read_only
        .address_space:  global
        .offset:         40
        .size:           8
        .value_kind:     global_buffer
      - .actual_access:  write_only
        .address_space:  global
        .offset:         48
        .size:           8
        .value_kind:     global_buffer
      - .actual_access:  write_only
        .address_space:  global
        .offset:         56
        .size:           8
        .value_kind:     global_buffer
      - .actual_access:  read_only
        .address_space:  global
        .offset:         64
        .size:           8
        .value_kind:     global_buffer
      - .actual_access:  read_only
        .address_space:  global
        .offset:         72
        .size:           8
        .value_kind:     global_buffer
      - .actual_access:  read_only
        .address_space:  global
        .offset:         80
        .size:           8
        .value_kind:     global_buffer
      - .offset:         88
        .size:           4
        .value_kind:     by_value
      - .offset:         92
        .size:           4
        .value_kind:     by_value
      - .offset:         96
        .size:           4
        .value_kind:     by_value
      - .offset:         100
        .size:           4
        .value_kind:     by_value
      - .offset:         104
        .size:           4
        .value_kind:     by_value
      - .offset:         112
        .size:           8
        .value_kind:     by_value
      - .offset:         120
        .size:           8
        .value_kind:     by_value
      - .offset:         128
        .size:           8
        .value_kind:     by_value
    .group_segment_fixed_size: 49152
    .kernarg_segment_align: 8
    .kernarg_segment_size: 136
    .language:       OpenCL C
    .language_version:
      - 2
      - 0
    .max_flat_workgroup_size: 256
    .name:           _ZN12_GLOBAL__N_139chunk_gated_delta_rule_fwd_h_hip_kernelILi32ELb0ELb0ELb1ELb0ELb0ELb1ELb0ELb1EEEvPK12hip_bfloat16S3_S3_PKfS5_PKvPS1_S8_PvPKiSB_iiiiilll
    .private_segment_fixed_size: 0
    .sgpr_count:     73
    .sgpr_spill_count: 0
    .symbol:         _ZN12_GLOBAL__N_139chunk_gated_delta_rule_fwd_h_hip_kernelILi32ELb0ELb0ELb1ELb0ELb0ELb1ELb0ELb1EEEvPK12hip_bfloat16S3_S3_PKfS5_PKvPS1_S8_PvPKiSB_iiiiilll.kd
    .uniform_work_group_size: 1
    .uses_dynamic_stack: false
    .vgpr_count:     168
    .vgpr_spill_count: 0
    .wavefront_size: 64
  - .agpr_count:     24
    .args:
      - .actual_access:  read_only
        .address_space:  global
        .offset:         0
        .size:           8
        .value_kind:     global_buffer
      - .actual_access:  read_only
        .address_space:  global
        .offset:         8
        .size:           8
        .value_kind:     global_buffer
      - .actual_access:  read_only
        .address_space:  global
        .offset:         16
        .size:           8
        .value_kind:     global_buffer
      - .actual_access:  read_only
        .address_space:  global
        .offset:         24
        .size:           8
        .value_kind:     global_buffer
      - .actual_access:  read_only
        .address_space:  global
        .offset:         32
        .size:           8
        .value_kind:     global_buffer
      - .actual_access:  read_only
        .address_space:  global
        .offset:         40
        .size:           8
        .value_kind:     global_buffer
      - .actual_access:  write_only
        .address_space:  global
        .offset:         48
        .size:           8
        .value_kind:     global_buffer
      - .actual_access:  read_only
        .address_space:  global
        .offset:         56
        .size:           8
        .value_kind:     global_buffer
      - .actual_access:  read_only
        .address_space:  global
        .offset:         64
        .size:           8
        .value_kind:     global_buffer
      - .actual_access:  read_only
        .address_space:  global
        .offset:         72
        .size:           8
        .value_kind:     global_buffer
      - .actual_access:  read_only
        .address_space:  global
        .offset:         80
        .size:           8
        .value_kind:     global_buffer
      - .offset:         88
        .size:           4
        .value_kind:     by_value
      - .offset:         92
        .size:           4
        .value_kind:     by_value
      - .offset:         96
        .size:           4
        .value_kind:     by_value
      - .offset:         100
        .size:           4
        .value_kind:     by_value
      - .offset:         104
        .size:           4
        .value_kind:     by_value
      - .offset:         112
        .size:           8
        .value_kind:     by_value
      - .offset:         120
        .size:           8
        .value_kind:     by_value
      - .offset:         128
        .size:           8
        .value_kind:     by_value
    .group_segment_fixed_size: 49152
    .kernarg_segment_align: 8
    .kernarg_segment_size: 136
    .language:       OpenCL C
    .language_version:
      - 2
      - 0
    .max_flat_workgroup_size: 256
    .name:           _ZN12_GLOBAL__N_139chunk_gated_delta_rule_fwd_h_hip_kernelILi32ELb0ELb0ELb0ELb0ELb0ELb1ELb0ELb1EEEvPK12hip_bfloat16S3_S3_PKfS5_PKvPS1_S8_PvPKiSB_iiiiilll
    .private_segment_fixed_size: 0
    .sgpr_count:     71
    .sgpr_spill_count: 0
    .symbol:         _ZN12_GLOBAL__N_139chunk_gated_delta_rule_fwd_h_hip_kernelILi32ELb0ELb0ELb0ELb0ELb0ELb1ELb0ELb1EEEvPK12hip_bfloat16S3_S3_PKfS5_PKvPS1_S8_PvPKiSB_iiiiilll.kd
    .uniform_work_group_size: 1
    .uses_dynamic_stack: false
    .vgpr_count:     164
    .vgpr_spill_count: 0
    .wavefront_size: 64
  - .agpr_count:     16
    .args:
      - .actual_access:  read_only
        .address_space:  global
        .offset:         0
        .size:           8
        .value_kind:     global_buffer
      - .actual_access:  read_only
        .address_space:  global
        .offset:         8
        .size:           8
        .value_kind:     global_buffer
      - .actual_access:  read_only
        .address_space:  global
        .offset:         16
        .size:           8
        .value_kind:     global_buffer
      - .actual_access:  read_only
        .address_space:  global
        .offset:         24
        .size:           8
        .value_kind:     global_buffer
      - .actual_access:  read_only
        .address_space:  global
        .offset:         32
        .size:           8
        .value_kind:     global_buffer
      - .actual_access:  read_only
        .address_space:  global
        .offset:         40
        .size:           8
        .value_kind:     global_buffer
      - .actual_access:  write_only
        .address_space:  global
        .offset:         48
        .size:           8
        .value_kind:     global_buffer
      - .actual_access:  write_only
        .address_space:  global
        .offset:         56
        .size:           8
        .value_kind:     global_buffer
      - .actual_access:  write_only
        .address_space:  global
        .offset:         64
        .size:           8
        .value_kind:     global_buffer
      - .actual_access:  read_only
        .address_space:  global
        .offset:         72
        .size:           8
        .value_kind:     global_buffer
      - .actual_access:  read_only
        .address_space:  global
        .offset:         80
        .size:           8
        .value_kind:     global_buffer
      - .offset:         88
        .size:           4
        .value_kind:     by_value
      - .offset:         92
        .size:           4
        .value_kind:     by_value
      - .offset:         96
        .size:           4
        .value_kind:     by_value
      - .offset:         100
        .size:           4
        .value_kind:     by_value
      - .offset:         104
        .size:           4
        .value_kind:     by_value
      - .offset:         112
        .size:           8
        .value_kind:     by_value
      - .offset:         120
        .size:           8
        .value_kind:     by_value
      - .offset:         128
        .size:           8
        .value_kind:     by_value
    .group_segment_fixed_size: 49152
    .kernarg_segment_align: 8
    .kernarg_segment_size: 136
    .language:       OpenCL C
    .language_version:
      - 2
      - 0
    .max_flat_workgroup_size: 256
    .name:           _ZN12_GLOBAL__N_139chunk_gated_delta_rule_fwd_h_hip_kernelILi32ELb1ELb1ELb1ELb1ELb0ELb0ELb1ELb1EEEvPK12hip_bfloat16S3_S3_PKfS5_PKvPS1_S8_PvPKiSB_iiiiilll
    .private_segment_fixed_size: 0
    .sgpr_count:     74
    .sgpr_spill_count: 0
    .symbol:         _ZN12_GLOBAL__N_139chunk_gated_delta_rule_fwd_h_hip_kernelILi32ELb1ELb1ELb1ELb1ELb0ELb0ELb1ELb1EEEvPK12hip_bfloat16S3_S3_PKfS5_PKvPS1_S8_PvPKiSB_iiiiilll.kd
    .uniform_work_group_size: 1
    .uses_dynamic_stack: false
    .vgpr_count:     156
    .vgpr_spill_count: 0
    .wavefront_size: 64
  - .agpr_count:     16
    .args:
      - .actual_access:  read_only
        .address_space:  global
        .offset:         0
        .size:           8
        .value_kind:     global_buffer
      - .actual_access:  read_only
        .address_space:  global
        .offset:         8
        .size:           8
        .value_kind:     global_buffer
      - .actual_access:  read_only
        .address_space:  global
        .offset:         16
        .size:           8
        .value_kind:     global_buffer
      - .actual_access:  read_only
        .address_space:  global
        .offset:         24
        .size:           8
        .value_kind:     global_buffer
      - .actual_access:  read_only
        .address_space:  global
        .offset:         32
        .size:           8
        .value_kind:     global_buffer
      - .actual_access:  read_only
        .address_space:  global
        .offset:         40
        .size:           8
        .value_kind:     global_buffer
      - .actual_access:  write_only
        .address_space:  global
        .offset:         48
        .size:           8
        .value_kind:     global_buffer
      - .actual_access:  read_only
        .address_space:  global
        .offset:         56
        .size:           8
        .value_kind:     global_buffer
      - .actual_access:  write_only
        .address_space:  global
        .offset:         64
        .size:           8
        .value_kind:     global_buffer
      - .actual_access:  read_only
        .address_space:  global
        .offset:         72
        .size:           8
        .value_kind:     global_buffer
      - .actual_access:  read_only
        .address_space:  global
        .offset:         80
        .size:           8
        .value_kind:     global_buffer
      - .offset:         88
        .size:           4
        .value_kind:     by_value
      - .offset:         92
        .size:           4
        .value_kind:     by_value
      - .offset:         96
        .size:           4
        .value_kind:     by_value
      - .offset:         100
        .size:           4
        .value_kind:     by_value
      - .offset:         104
        .size:           4
        .value_kind:     by_value
      - .offset:         112
        .size:           8
        .value_kind:     by_value
      - .offset:         120
        .size:           8
        .value_kind:     by_value
      - .offset:         128
        .size:           8
        .value_kind:     by_value
    .group_segment_fixed_size: 49152
    .kernarg_segment_align: 8
    .kernarg_segment_size: 136
    .language:       OpenCL C
    .language_version:
      - 2
      - 0
    .max_flat_workgroup_size: 256
    .name:           _ZN12_GLOBAL__N_139chunk_gated_delta_rule_fwd_h_hip_kernelILi32ELb1ELb1ELb0ELb1ELb0ELb0ELb1ELb1EEEvPK12hip_bfloat16S3_S3_PKfS5_PKvPS1_S8_PvPKiSB_iiiiilll
    .private_segment_fixed_size: 0
    .sgpr_count:     70
    .sgpr_spill_count: 0
    .symbol:         _ZN12_GLOBAL__N_139chunk_gated_delta_rule_fwd_h_hip_kernelILi32ELb1ELb1ELb0ELb1ELb0ELb0ELb1ELb1EEEvPK12hip_bfloat16S3_S3_PKfS5_PKvPS1_S8_PvPKiSB_iiiiilll.kd
    .uniform_work_group_size: 1
    .uses_dynamic_stack: false
    .vgpr_count:     152
    .vgpr_spill_count: 0
    .wavefront_size: 64
  - .agpr_count:     16
    .args:
      - .actual_access:  read_only
        .address_space:  global
        .offset:         0
        .size:           8
        .value_kind:     global_buffer
      - .actual_access:  read_only
        .address_space:  global
        .offset:         8
        .size:           8
        .value_kind:     global_buffer
      - .actual_access:  read_only
        .address_space:  global
        .offset:         16
        .size:           8
        .value_kind:     global_buffer
      - .actual_access:  read_only
        .address_space:  global
        .offset:         24
        .size:           8
        .value_kind:     global_buffer
      - .actual_access:  read_only
        .address_space:  global
        .offset:         32
        .size:           8
        .value_kind:     global_buffer
      - .actual_access:  read_only
        .address_space:  global
        .offset:         40
        .size:           8
        .value_kind:     global_buffer
      - .actual_access:  write_only
        .address_space:  global
        .offset:         48
        .size:           8
        .value_kind:     global_buffer
      - .actual_access:  write_only
        .address_space:  global
        .offset:         56
        .size:           8
        .value_kind:     global_buffer
      - .actual_access:  read_only
        .address_space:  global
        .offset:         64
        .size:           8
        .value_kind:     global_buffer
      - .actual_access:  read_only
        .address_space:  global
        .offset:         72
        .size:           8
        .value_kind:     global_buffer
      - .actual_access:  read_only
        .address_space:  global
        .offset:         80
        .size:           8
        .value_kind:     global_buffer
      - .offset:         88
        .size:           4
        .value_kind:     by_value
      - .offset:         92
        .size:           4
        .value_kind:     by_value
      - .offset:         96
        .size:           4
        .value_kind:     by_value
      - .offset:         100
        .size:           4
        .value_kind:     by_value
      - .offset:         104
        .size:           4
        .value_kind:     by_value
      - .offset:         112
        .size:           8
        .value_kind:     by_value
      - .offset:         120
        .size:           8
        .value_kind:     by_value
      - .offset:         128
        .size:           8
        .value_kind:     by_value
    .group_segment_fixed_size: 49152
    .kernarg_segment_align: 8
    .kernarg_segment_size: 136
    .language:       OpenCL C
    .language_version:
      - 2
      - 0
    .max_flat_workgroup_size: 256
    .name:           _ZN12_GLOBAL__N_139chunk_gated_delta_rule_fwd_h_hip_kernelILi32ELb1ELb0ELb1ELb1ELb0ELb0ELb1ELb1EEEvPK12hip_bfloat16S3_S3_PKfS5_PKvPS1_S8_PvPKiSB_iiiiilll
    .private_segment_fixed_size: 0
    .sgpr_count:     70
    .sgpr_spill_count: 0
    .symbol:         _ZN12_GLOBAL__N_139chunk_gated_delta_rule_fwd_h_hip_kernelILi32ELb1ELb0ELb1ELb1ELb0ELb0ELb1ELb1EEEvPK12hip_bfloat16S3_S3_PKfS5_PKvPS1_S8_PvPKiSB_iiiiilll.kd
    .uniform_work_group_size: 1
    .uses_dynamic_stack: false
    .vgpr_count:     152
    .vgpr_spill_count: 0
    .wavefront_size: 64
  - .agpr_count:     16
    .args:
      - .actual_access:  read_only
        .address_space:  global
        .offset:         0
        .size:           8
        .value_kind:     global_buffer
      - .actual_access:  read_only
        .address_space:  global
        .offset:         8
        .size:           8
        .value_kind:     global_buffer
      - .actual_access:  read_only
        .address_space:  global
        .offset:         16
        .size:           8
        .value_kind:     global_buffer
      - .actual_access:  read_only
        .address_space:  global
        .offset:         24
        .size:           8
        .value_kind:     global_buffer
      - .actual_access:  read_only
        .address_space:  global
        .offset:         32
        .size:           8
        .value_kind:     global_buffer
      - .actual_access:  read_only
        .address_space:  global
        .offset:         40
        .size:           8
        .value_kind:     global_buffer
      - .actual_access:  write_only
        .address_space:  global
        .offset:         48
        .size:           8
        .value_kind:     global_buffer
      - .actual_access:  read_only
        .address_space:  global
        .offset:         56
        .size:           8
        .value_kind:     global_buffer
      - .actual_access:  read_only
        .address_space:  global
        .offset:         64
        .size:           8
        .value_kind:     global_buffer
      - .actual_access:  read_only
        .address_space:  global
        .offset:         72
        .size:           8
        .value_kind:     global_buffer
      - .actual_access:  read_only
        .address_space:  global
        .offset:         80
        .size:           8
        .value_kind:     global_buffer
      - .offset:         88
        .size:           4
        .value_kind:     by_value
      - .offset:         92
        .size:           4
        .value_kind:     by_value
      - .offset:         96
        .size:           4
        .value_kind:     by_value
      - .offset:         100
        .size:           4
        .value_kind:     by_value
      - .offset:         104
        .size:           4
        .value_kind:     by_value
      - .offset:         112
        .size:           8
        .value_kind:     by_value
      - .offset:         120
        .size:           8
        .value_kind:     by_value
      - .offset:         128
        .size:           8
        .value_kind:     by_value
    .group_segment_fixed_size: 49152
    .kernarg_segment_align: 8
    .kernarg_segment_size: 136
    .language:       OpenCL C
    .language_version:
      - 2
      - 0
    .max_flat_workgroup_size: 256
    .name:           _ZN12_GLOBAL__N_139chunk_gated_delta_rule_fwd_h_hip_kernelILi32ELb1ELb0ELb0ELb1ELb0ELb0ELb1ELb1EEEvPK12hip_bfloat16S3_S3_PKfS5_PKvPS1_S8_PvPKiSB_iiiiilll
    .private_segment_fixed_size: 0
    .sgpr_count:     66
    .sgpr_spill_count: 0
    .symbol:         _ZN12_GLOBAL__N_139chunk_gated_delta_rule_fwd_h_hip_kernelILi32ELb1ELb0ELb0ELb1ELb0ELb0ELb1ELb1EEEvPK12hip_bfloat16S3_S3_PKfS5_PKvPS1_S8_PvPKiSB_iiiiilll.kd
    .uniform_work_group_size: 1
    .uses_dynamic_stack: false
    .vgpr_count:     148
    .vgpr_spill_count: 0
    .wavefront_size: 64
  - .agpr_count:     16
    .args:
      - .actual_access:  read_only
        .address_space:  global
        .offset:         0
        .size:           8
        .value_kind:     global_buffer
      - .actual_access:  read_only
        .address_space:  global
        .offset:         8
        .size:           8
        .value_kind:     global_buffer
      - .actual_access:  read_only
        .address_space:  global
        .offset:         16
        .size:           8
        .value_kind:     global_buffer
      - .actual_access:  read_only
        .address_space:  global
        .offset:         24
        .size:           8
        .value_kind:     global_buffer
      - .actual_access:  read_only
        .address_space:  global
        .offset:         32
        .size:           8
        .value_kind:     global_buffer
      - .actual_access:  read_only
        .address_space:  global
        .offset:         40
        .size:           8
        .value_kind:     global_buffer
      - .actual_access:  write_only
        .address_space:  global
        .offset:         48
        .size:           8
        .value_kind:     global_buffer
      - .actual_access:  write_only
        .address_space:  global
        .offset:         56
        .size:           8
        .value_kind:     global_buffer
      - .actual_access:  write_only
        .address_space:  global
        .offset:         64
        .size:           8
        .value_kind:     global_buffer
      - .actual_access:  read_only
        .address_space:  global
        .offset:         72
        .size:           8
        .value_kind:     global_buffer
      - .actual_access:  read_only
        .address_space:  global
        .offset:         80
        .size:           8
        .value_kind:     global_buffer
      - .offset:         88
        .size:           4
        .value_kind:     by_value
      - .offset:         92
        .size:           4
        .value_kind:     by_value
      - .offset:         96
        .size:           4
        .value_kind:     by_value
      - .offset:         100
        .size:           4
        .value_kind:     by_value
      - .offset:         104
        .size:           4
        .value_kind:     by_value
      - .offset:         112
        .size:           8
        .value_kind:     by_value
      - .offset:         120
        .size:           8
        .value_kind:     by_value
      - .offset:         128
        .size:           8
        .value_kind:     by_value
    .group_segment_fixed_size: 49152
    .kernarg_segment_align: 8
    .kernarg_segment_size: 136
    .language:       OpenCL C
    .language_version:
      - 2
      - 0
    .max_flat_workgroup_size: 256
    .name:           _ZN12_GLOBAL__N_139chunk_gated_delta_rule_fwd_h_hip_kernelILi32ELb0ELb1ELb1ELb1ELb0ELb0ELb1ELb1EEEvPK12hip_bfloat16S3_S3_PKfS5_PKvPS1_S8_PvPKiSB_iiiiilll
    .private_segment_fixed_size: 0
    .sgpr_count:     74
    .sgpr_spill_count: 0
    .symbol:         _ZN12_GLOBAL__N_139chunk_gated_delta_rule_fwd_h_hip_kernelILi32ELb0ELb1ELb1ELb1ELb0ELb0ELb1ELb1EEEvPK12hip_bfloat16S3_S3_PKfS5_PKvPS1_S8_PvPKiSB_iiiiilll.kd
    .uniform_work_group_size: 1
    .uses_dynamic_stack: false
    .vgpr_count:     152
    .vgpr_spill_count: 0
    .wavefront_size: 64
  - .agpr_count:     16
    .args:
      - .actual_access:  read_only
        .address_space:  global
        .offset:         0
        .size:           8
        .value_kind:     global_buffer
      - .actual_access:  read_only
        .address_space:  global
        .offset:         8
        .size:           8
        .value_kind:     global_buffer
      - .actual_access:  read_only
        .address_space:  global
        .offset:         16
        .size:           8
        .value_kind:     global_buffer
      - .actual_access:  read_only
        .address_space:  global
        .offset:         24
        .size:           8
        .value_kind:     global_buffer
      - .actual_access:  read_only
        .address_space:  global
        .offset:         32
        .size:           8
        .value_kind:     global_buffer
      - .actual_access:  read_only
        .address_space:  global
        .offset:         40
        .size:           8
        .value_kind:     global_buffer
      - .actual_access:  write_only
        .address_space:  global
        .offset:         48
        .size:           8
        .value_kind:     global_buffer
      - .actual_access:  read_only
        .address_space:  global
        .offset:         56
        .size:           8
        .value_kind:     global_buffer
      - .actual_access:  write_only
        .address_space:  global
        .offset:         64
        .size:           8
        .value_kind:     global_buffer
      - .actual_access:  read_only
        .address_space:  global
        .offset:         72
        .size:           8
        .value_kind:     global_buffer
      - .actual_access:  read_only
        .address_space:  global
        .offset:         80
        .size:           8
        .value_kind:     global_buffer
      - .offset:         88
        .size:           4
        .value_kind:     by_value
      - .offset:         92
        .size:           4
        .value_kind:     by_value
      - .offset:         96
        .size:           4
        .value_kind:     by_value
      - .offset:         100
        .size:           4
        .value_kind:     by_value
      - .offset:         104
        .size:           4
        .value_kind:     by_value
      - .offset:         112
        .size:           8
        .value_kind:     by_value
      - .offset:         120
        .size:           8
        .value_kind:     by_value
      - .offset:         128
        .size:           8
        .value_kind:     by_value
    .group_segment_fixed_size: 49152
    .kernarg_segment_align: 8
    .kernarg_segment_size: 136
    .language:       OpenCL C
    .language_version:
      - 2
      - 0
    .max_flat_workgroup_size: 256
    .name:           _ZN12_GLOBAL__N_139chunk_gated_delta_rule_fwd_h_hip_kernelILi32ELb0ELb1ELb0ELb1ELb0ELb0ELb1ELb1EEEvPK12hip_bfloat16S3_S3_PKfS5_PKvPS1_S8_PvPKiSB_iiiiilll
    .private_segment_fixed_size: 0
    .sgpr_count:     70
    .sgpr_spill_count: 0
    .symbol:         _ZN12_GLOBAL__N_139chunk_gated_delta_rule_fwd_h_hip_kernelILi32ELb0ELb1ELb0ELb1ELb0ELb0ELb1ELb1EEEvPK12hip_bfloat16S3_S3_PKfS5_PKvPS1_S8_PvPKiSB_iiiiilll.kd
    .uniform_work_group_size: 1
    .uses_dynamic_stack: false
    .vgpr_count:     148
    .vgpr_spill_count: 0
    .wavefront_size: 64
  - .agpr_count:     20
    .args:
      - .actual_access:  read_only
        .address_space:  global
        .offset:         0
        .size:           8
        .value_kind:     global_buffer
      - .actual_access:  read_only
        .address_space:  global
        .offset:         8
        .size:           8
        .value_kind:     global_buffer
      - .actual_access:  read_only
        .address_space:  global
        .offset:         16
        .size:           8
        .value_kind:     global_buffer
      - .actual_access:  read_only
        .address_space:  global
        .offset:         24
        .size:           8
        .value_kind:     global_buffer
      - .actual_access:  read_only
        .address_space:  global
        .offset:         32
        .size:           8
        .value_kind:     global_buffer
      - .actual_access:  read_only
        .address_space:  global
        .offset:         40
        .size:           8
        .value_kind:     global_buffer
      - .actual_access:  write_only
        .address_space:  global
        .offset:         48
        .size:           8
        .value_kind:     global_buffer
      - .actual_access:  write_only
        .address_space:  global
        .offset:         56
        .size:           8
        .value_kind:     global_buffer
      - .actual_access:  read_only
        .address_space:  global
        .offset:         64
        .size:           8
        .value_kind:     global_buffer
      - .actual_access:  read_only
        .address_space:  global
        .offset:         72
        .size:           8
        .value_kind:     global_buffer
      - .actual_access:  read_only
        .address_space:  global
        .offset:         80
        .size:           8
        .value_kind:     global_buffer
      - .offset:         88
        .size:           4
        .value_kind:     by_value
      - .offset:         92
        .size:           4
        .value_kind:     by_value
      - .offset:         96
        .size:           4
        .value_kind:     by_value
      - .offset:         100
        .size:           4
        .value_kind:     by_value
      - .offset:         104
        .size:           4
        .value_kind:     by_value
      - .offset:         112
        .size:           8
        .value_kind:     by_value
      - .offset:         120
        .size:           8
        .value_kind:     by_value
      - .offset:         128
        .size:           8
        .value_kind:     by_value
    .group_segment_fixed_size: 49152
    .kernarg_segment_align: 8
    .kernarg_segment_size: 136
    .language:       OpenCL C
    .language_version:
      - 2
      - 0
    .max_flat_workgroup_size: 256
    .name:           _ZN12_GLOBAL__N_139chunk_gated_delta_rule_fwd_h_hip_kernelILi32ELb0ELb0ELb1ELb1ELb0ELb0ELb1ELb1EEEvPK12hip_bfloat16S3_S3_PKfS5_PKvPS1_S8_PvPKiSB_iiiiilll
    .private_segment_fixed_size: 0
    .sgpr_count:     68
    .sgpr_spill_count: 0
    .symbol:         _ZN12_GLOBAL__N_139chunk_gated_delta_rule_fwd_h_hip_kernelILi32ELb0ELb0ELb1ELb1ELb0ELb0ELb1ELb1EEEvPK12hip_bfloat16S3_S3_PKfS5_PKvPS1_S8_PvPKiSB_iiiiilll.kd
    .uniform_work_group_size: 1
    .uses_dynamic_stack: false
    .vgpr_count:     156
    .vgpr_spill_count: 0
    .wavefront_size: 64
  - .agpr_count:     20
    .args:
      - .actual_access:  read_only
        .address_space:  global
        .offset:         0
        .size:           8
        .value_kind:     global_buffer
      - .actual_access:  read_only
        .address_space:  global
        .offset:         8
        .size:           8
        .value_kind:     global_buffer
      - .actual_access:  read_only
        .address_space:  global
        .offset:         16
        .size:           8
        .value_kind:     global_buffer
      - .actual_access:  read_only
        .address_space:  global
        .offset:         24
        .size:           8
        .value_kind:     global_buffer
      - .actual_access:  read_only
        .address_space:  global
        .offset:         32
        .size:           8
        .value_kind:     global_buffer
      - .actual_access:  read_only
        .address_space:  global
        .offset:         40
        .size:           8
        .value_kind:     global_buffer
      - .actual_access:  write_only
        .address_space:  global
        .offset:         48
        .size:           8
        .value_kind:     global_buffer
      - .actual_access:  read_only
        .address_space:  global
        .offset:         56
        .size:           8
        .value_kind:     global_buffer
      - .actual_access:  read_only
        .address_space:  global
        .offset:         64
        .size:           8
        .value_kind:     global_buffer
      - .actual_access:  read_only
        .address_space:  global
        .offset:         72
        .size:           8
        .value_kind:     global_buffer
      - .actual_access:  read_only
        .address_space:  global
        .offset:         80
        .size:           8
        .value_kind:     global_buffer
      - .offset:         88
        .size:           4
        .value_kind:     by_value
      - .offset:         92
        .size:           4
        .value_kind:     by_value
      - .offset:         96
        .size:           4
        .value_kind:     by_value
      - .offset:         100
        .size:           4
        .value_kind:     by_value
      - .offset:         104
        .size:           4
        .value_kind:     by_value
      - .offset:         112
        .size:           8
        .value_kind:     by_value
      - .offset:         120
        .size:           8
        .value_kind:     by_value
      - .offset:         128
        .size:           8
        .value_kind:     by_value
    .group_segment_fixed_size: 49152
    .kernarg_segment_align: 8
    .kernarg_segment_size: 136
    .language:       OpenCL C
    .language_version:
      - 2
      - 0
    .max_flat_workgroup_size: 256
    .name:           _ZN12_GLOBAL__N_139chunk_gated_delta_rule_fwd_h_hip_kernelILi32ELb0ELb0ELb0ELb1ELb0ELb0ELb1ELb1EEEvPK12hip_bfloat16S3_S3_PKfS5_PKvPS1_S8_PvPKiSB_iiiiilll
    .private_segment_fixed_size: 0
    .sgpr_count:     65
    .sgpr_spill_count: 0
    .symbol:         _ZN12_GLOBAL__N_139chunk_gated_delta_rule_fwd_h_hip_kernelILi32ELb0ELb0ELb0ELb1ELb0ELb0ELb1ELb1EEEvPK12hip_bfloat16S3_S3_PKfS5_PKvPS1_S8_PvPKiSB_iiiiilll.kd
    .uniform_work_group_size: 1
    .uses_dynamic_stack: false
    .vgpr_count:     152
    .vgpr_spill_count: 0
    .wavefront_size: 64
  - .agpr_count:     16
    .args:
      - .actual_access:  read_only
        .address_space:  global
        .offset:         0
        .size:           8
        .value_kind:     global_buffer
      - .actual_access:  read_only
        .address_space:  global
        .offset:         8
        .size:           8
        .value_kind:     global_buffer
      - .actual_access:  read_only
        .address_space:  global
        .offset:         16
        .size:           8
        .value_kind:     global_buffer
      - .actual_access:  read_only
        .address_space:  global
        .offset:         24
        .size:           8
        .value_kind:     global_buffer
      - .actual_access:  read_only
        .address_space:  global
        .offset:         32
        .size:           8
        .value_kind:     global_buffer
      - .actual_access:  read_only
        .address_space:  global
        .offset:         40
        .size:           8
        .value_kind:     global_buffer
      - .actual_access:  write_only
        .address_space:  global
        .offset:         48
        .size:           8
        .value_kind:     global_buffer
      - .actual_access:  write_only
        .address_space:  global
        .offset:         56
        .size:           8
        .value_kind:     global_buffer
      - .actual_access:  write_only
        .address_space:  global
        .offset:         64
        .size:           8
        .value_kind:     global_buffer
      - .actual_access:  read_only
        .address_space:  global
        .offset:         72
        .size:           8
        .value_kind:     global_buffer
      - .actual_access:  read_only
        .address_space:  global
        .offset:         80
        .size:           8
        .value_kind:     global_buffer
      - .offset:         88
        .size:           4
        .value_kind:     by_value
      - .offset:         92
        .size:           4
        .value_kind:     by_value
      - .offset:         96
        .size:           4
        .value_kind:     by_value
      - .offset:         100
        .size:           4
        .value_kind:     by_value
      - .offset:         104
        .size:           4
        .value_kind:     by_value
      - .offset:         112
        .size:           8
        .value_kind:     by_value
      - .offset:         120
        .size:           8
        .value_kind:     by_value
      - .offset:         128
        .size:           8
        .value_kind:     by_value
    .group_segment_fixed_size: 49152
    .kernarg_segment_align: 8
    .kernarg_segment_size: 136
    .language:       OpenCL C
    .language_version:
      - 2
      - 0
    .max_flat_workgroup_size: 256
    .name:           _ZN12_GLOBAL__N_139chunk_gated_delta_rule_fwd_h_hip_kernelILi32ELb1ELb1ELb1ELb0ELb0ELb0ELb1ELb1EEEvPK12hip_bfloat16S3_S3_PKfS5_PKvPS1_S8_PvPKiSB_iiiiilll
    .private_segment_fixed_size: 0
    .sgpr_count:     80
    .sgpr_spill_count: 0
    .symbol:         _ZN12_GLOBAL__N_139chunk_gated_delta_rule_fwd_h_hip_kernelILi32ELb1ELb1ELb1ELb0ELb0ELb0ELb1ELb1EEEvPK12hip_bfloat16S3_S3_PKfS5_PKvPS1_S8_PvPKiSB_iiiiilll.kd
    .uniform_work_group_size: 1
    .uses_dynamic_stack: false
    .vgpr_count:     156
    .vgpr_spill_count: 0
    .wavefront_size: 64
  - .agpr_count:     16
    .args:
      - .actual_access:  read_only
        .address_space:  global
        .offset:         0
        .size:           8
        .value_kind:     global_buffer
      - .actual_access:  read_only
        .address_space:  global
        .offset:         8
        .size:           8
        .value_kind:     global_buffer
      - .actual_access:  read_only
        .address_space:  global
        .offset:         16
        .size:           8
        .value_kind:     global_buffer
      - .actual_access:  read_only
        .address_space:  global
        .offset:         24
        .size:           8
        .value_kind:     global_buffer
      - .actual_access:  read_only
        .address_space:  global
        .offset:         32
        .size:           8
        .value_kind:     global_buffer
      - .actual_access:  read_only
        .address_space:  global
        .offset:         40
        .size:           8
        .value_kind:     global_buffer
      - .actual_access:  write_only
        .address_space:  global
        .offset:         48
        .size:           8
        .value_kind:     global_buffer
      - .actual_access:  read_only
        .address_space:  global
        .offset:         56
        .size:           8
        .value_kind:     global_buffer
      - .actual_access:  write_only
        .address_space:  global
        .offset:         64
        .size:           8
        .value_kind:     global_buffer
      - .actual_access:  read_only
        .address_space:  global
        .offset:         72
        .size:           8
        .value_kind:     global_buffer
      - .actual_access:  read_only
        .address_space:  global
        .offset:         80
        .size:           8
        .value_kind:     global_buffer
      - .offset:         88
        .size:           4
        .value_kind:     by_value
      - .offset:         92
        .size:           4
        .value_kind:     by_value
      - .offset:         96
        .size:           4
        .value_kind:     by_value
      - .offset:         100
        .size:           4
        .value_kind:     by_value
      - .offset:         104
        .size:           4
        .value_kind:     by_value
      - .offset:         112
        .size:           8
        .value_kind:     by_value
      - .offset:         120
        .size:           8
        .value_kind:     by_value
      - .offset:         128
        .size:           8
        .value_kind:     by_value
    .group_segment_fixed_size: 49152
    .kernarg_segment_align: 8
    .kernarg_segment_size: 136
    .language:       OpenCL C
    .language_version:
      - 2
      - 0
    .max_flat_workgroup_size: 256
    .name:           _ZN12_GLOBAL__N_139chunk_gated_delta_rule_fwd_h_hip_kernelILi32ELb1ELb1ELb0ELb0ELb0ELb0ELb1ELb1EEEvPK12hip_bfloat16S3_S3_PKfS5_PKvPS1_S8_PvPKiSB_iiiiilll
    .private_segment_fixed_size: 0
    .sgpr_count:     75
    .sgpr_spill_count: 0
    .symbol:         _ZN12_GLOBAL__N_139chunk_gated_delta_rule_fwd_h_hip_kernelILi32ELb1ELb1ELb0ELb0ELb0ELb0ELb1ELb1EEEvPK12hip_bfloat16S3_S3_PKfS5_PKvPS1_S8_PvPKiSB_iiiiilll.kd
    .uniform_work_group_size: 1
    .uses_dynamic_stack: false
    .vgpr_count:     152
    .vgpr_spill_count: 0
    .wavefront_size: 64
  - .agpr_count:     16
    .args:
      - .actual_access:  read_only
        .address_space:  global
        .offset:         0
        .size:           8
        .value_kind:     global_buffer
      - .actual_access:  read_only
        .address_space:  global
        .offset:         8
        .size:           8
        .value_kind:     global_buffer
      - .actual_access:  read_only
        .address_space:  global
        .offset:         16
        .size:           8
        .value_kind:     global_buffer
      - .actual_access:  read_only
        .address_space:  global
        .offset:         24
        .size:           8
        .value_kind:     global_buffer
      - .actual_access:  read_only
        .address_space:  global
        .offset:         32
        .size:           8
        .value_kind:     global_buffer
      - .actual_access:  read_only
        .address_space:  global
        .offset:         40
        .size:           8
        .value_kind:     global_buffer
      - .actual_access:  write_only
        .address_space:  global
        .offset:         48
        .size:           8
        .value_kind:     global_buffer
      - .actual_access:  write_only
        .address_space:  global
        .offset:         56
        .size:           8
        .value_kind:     global_buffer
      - .actual_access:  read_only
        .address_space:  global
        .offset:         64
        .size:           8
        .value_kind:     global_buffer
      - .actual_access:  read_only
        .address_space:  global
        .offset:         72
        .size:           8
        .value_kind:     global_buffer
      - .actual_access:  read_only
        .address_space:  global
        .offset:         80
        .size:           8
        .value_kind:     global_buffer
      - .offset:         88
        .size:           4
        .value_kind:     by_value
      - .offset:         92
        .size:           4
        .value_kind:     by_value
      - .offset:         96
        .size:           4
        .value_kind:     by_value
      - .offset:         100
        .size:           4
        .value_kind:     by_value
      - .offset:         104
        .size:           4
        .value_kind:     by_value
      - .offset:         112
        .size:           8
        .value_kind:     by_value
      - .offset:         120
        .size:           8
        .value_kind:     by_value
      - .offset:         128
        .size:           8
        .value_kind:     by_value
    .group_segment_fixed_size: 49152
    .kernarg_segment_align: 8
    .kernarg_segment_size: 136
    .language:       OpenCL C
    .language_version:
      - 2
      - 0
    .max_flat_workgroup_size: 256
    .name:           _ZN12_GLOBAL__N_139chunk_gated_delta_rule_fwd_h_hip_kernelILi32ELb1ELb0ELb1ELb0ELb0ELb0ELb1ELb1EEEvPK12hip_bfloat16S3_S3_PKfS5_PKvPS1_S8_PvPKiSB_iiiiilll
    .private_segment_fixed_size: 0
    .sgpr_count:     76
    .sgpr_spill_count: 0
    .symbol:         _ZN12_GLOBAL__N_139chunk_gated_delta_rule_fwd_h_hip_kernelILi32ELb1ELb0ELb1ELb0ELb0ELb0ELb1ELb1EEEvPK12hip_bfloat16S3_S3_PKfS5_PKvPS1_S8_PvPKiSB_iiiiilll.kd
    .uniform_work_group_size: 1
    .uses_dynamic_stack: false
    .vgpr_count:     152
    .vgpr_spill_count: 0
    .wavefront_size: 64
  - .agpr_count:     16
    .args:
      - .actual_access:  read_only
        .address_space:  global
        .offset:         0
        .size:           8
        .value_kind:     global_buffer
      - .actual_access:  read_only
        .address_space:  global
        .offset:         8
        .size:           8
        .value_kind:     global_buffer
      - .actual_access:  read_only
        .address_space:  global
        .offset:         16
        .size:           8
        .value_kind:     global_buffer
      - .actual_access:  read_only
        .address_space:  global
        .offset:         24
        .size:           8
        .value_kind:     global_buffer
      - .actual_access:  read_only
        .address_space:  global
        .offset:         32
        .size:           8
        .value_kind:     global_buffer
      - .actual_access:  read_only
        .address_space:  global
        .offset:         40
        .size:           8
        .value_kind:     global_buffer
      - .actual_access:  write_only
        .address_space:  global
        .offset:         48
        .size:           8
        .value_kind:     global_buffer
      - .actual_access:  read_only
        .address_space:  global
        .offset:         56
        .size:           8
        .value_kind:     global_buffer
      - .actual_access:  read_only
        .address_space:  global
        .offset:         64
        .size:           8
        .value_kind:     global_buffer
      - .actual_access:  read_only
        .address_space:  global
        .offset:         72
        .size:           8
        .value_kind:     global_buffer
      - .actual_access:  read_only
        .address_space:  global
        .offset:         80
        .size:           8
        .value_kind:     global_buffer
      - .offset:         88
        .size:           4
        .value_kind:     by_value
      - .offset:         92
        .size:           4
        .value_kind:     by_value
      - .offset:         96
        .size:           4
        .value_kind:     by_value
      - .offset:         100
        .size:           4
        .value_kind:     by_value
      - .offset:         104
        .size:           4
        .value_kind:     by_value
      - .offset:         112
        .size:           8
        .value_kind:     by_value
      - .offset:         120
        .size:           8
        .value_kind:     by_value
      - .offset:         128
        .size:           8
        .value_kind:     by_value
    .group_segment_fixed_size: 49152
    .kernarg_segment_align: 8
    .kernarg_segment_size: 136
    .language:       OpenCL C
    .language_version:
      - 2
      - 0
    .max_flat_workgroup_size: 256
    .name:           _ZN12_GLOBAL__N_139chunk_gated_delta_rule_fwd_h_hip_kernelILi32ELb1ELb0ELb0ELb0ELb0ELb0ELb1ELb1EEEvPK12hip_bfloat16S3_S3_PKfS5_PKvPS1_S8_PvPKiSB_iiiiilll
    .private_segment_fixed_size: 0
    .sgpr_count:     71
    .sgpr_spill_count: 0
    .symbol:         _ZN12_GLOBAL__N_139chunk_gated_delta_rule_fwd_h_hip_kernelILi32ELb1ELb0ELb0ELb0ELb0ELb0ELb1ELb1EEEvPK12hip_bfloat16S3_S3_PKfS5_PKvPS1_S8_PvPKiSB_iiiiilll.kd
    .uniform_work_group_size: 1
    .uses_dynamic_stack: false
    .vgpr_count:     148
    .vgpr_spill_count: 0
    .wavefront_size: 64
  - .agpr_count:     16
    .args:
      - .actual_access:  read_only
        .address_space:  global
        .offset:         0
        .size:           8
        .value_kind:     global_buffer
      - .actual_access:  read_only
        .address_space:  global
        .offset:         8
        .size:           8
        .value_kind:     global_buffer
      - .actual_access:  read_only
        .address_space:  global
        .offset:         16
        .size:           8
        .value_kind:     global_buffer
      - .actual_access:  read_only
        .address_space:  global
        .offset:         24
        .size:           8
        .value_kind:     global_buffer
      - .actual_access:  read_only
        .address_space:  global
        .offset:         32
        .size:           8
        .value_kind:     global_buffer
      - .actual_access:  read_only
        .address_space:  global
        .offset:         40
        .size:           8
        .value_kind:     global_buffer
      - .actual_access:  write_only
        .address_space:  global
        .offset:         48
        .size:           8
        .value_kind:     global_buffer
      - .actual_access:  write_only
        .address_space:  global
        .offset:         56
        .size:           8
        .value_kind:     global_buffer
      - .actual_access:  write_only
        .address_space:  global
        .offset:         64
        .size:           8
        .value_kind:     global_buffer
      - .actual_access:  read_only
        .address_space:  global
        .offset:         72
        .size:           8
        .value_kind:     global_buffer
      - .actual_access:  read_only
        .address_space:  global
        .offset:         80
        .size:           8
        .value_kind:     global_buffer
      - .offset:         88
        .size:           4
        .value_kind:     by_value
      - .offset:         92
        .size:           4
        .value_kind:     by_value
      - .offset:         96
        .size:           4
        .value_kind:     by_value
      - .offset:         100
        .size:           4
        .value_kind:     by_value
      - .offset:         104
        .size:           4
        .value_kind:     by_value
      - .offset:         112
        .size:           8
        .value_kind:     by_value
      - .offset:         120
        .size:           8
        .value_kind:     by_value
      - .offset:         128
        .size:           8
        .value_kind:     by_value
    .group_segment_fixed_size: 49152
    .kernarg_segment_align: 8
    .kernarg_segment_size: 136
    .language:       OpenCL C
    .language_version:
      - 2
      - 0
    .max_flat_workgroup_size: 256
    .name:           _ZN12_GLOBAL__N_139chunk_gated_delta_rule_fwd_h_hip_kernelILi32ELb0ELb1ELb1ELb0ELb0ELb0ELb1ELb1EEEvPK12hip_bfloat16S3_S3_PKfS5_PKvPS1_S8_PvPKiSB_iiiiilll
    .private_segment_fixed_size: 0
    .sgpr_count:     74
    .sgpr_spill_count: 0
    .symbol:         _ZN12_GLOBAL__N_139chunk_gated_delta_rule_fwd_h_hip_kernelILi32ELb0ELb1ELb1ELb0ELb0ELb0ELb1ELb1EEEvPK12hip_bfloat16S3_S3_PKfS5_PKvPS1_S8_PvPKiSB_iiiiilll.kd
    .uniform_work_group_size: 1
    .uses_dynamic_stack: false
    .vgpr_count:     152
    .vgpr_spill_count: 0
    .wavefront_size: 64
  - .agpr_count:     16
    .args:
      - .actual_access:  read_only
        .address_space:  global
        .offset:         0
        .size:           8
        .value_kind:     global_buffer
      - .actual_access:  read_only
        .address_space:  global
        .offset:         8
        .size:           8
        .value_kind:     global_buffer
      - .actual_access:  read_only
        .address_space:  global
        .offset:         16
        .size:           8
        .value_kind:     global_buffer
      - .actual_access:  read_only
        .address_space:  global
        .offset:         24
        .size:           8
        .value_kind:     global_buffer
      - .actual_access:  read_only
        .address_space:  global
        .offset:         32
        .size:           8
        .value_kind:     global_buffer
      - .actual_access:  read_only
        .address_space:  global
        .offset:         40
        .size:           8
        .value_kind:     global_buffer
      - .actual_access:  write_only
        .address_space:  global
        .offset:         48
        .size:           8
        .value_kind:     global_buffer
      - .actual_access:  read_only
        .address_space:  global
        .offset:         56
        .size:           8
        .value_kind:     global_buffer
      - .actual_access:  write_only
        .address_space:  global
        .offset:         64
        .size:           8
        .value_kind:     global_buffer
      - .actual_access:  read_only
        .address_space:  global
        .offset:         72
        .size:           8
        .value_kind:     global_buffer
      - .actual_access:  read_only
        .address_space:  global
        .offset:         80
        .size:           8
        .value_kind:     global_buffer
      - .offset:         88
        .size:           4
        .value_kind:     by_value
      - .offset:         92
        .size:           4
        .value_kind:     by_value
      - .offset:         96
        .size:           4
        .value_kind:     by_value
      - .offset:         100
        .size:           4
        .value_kind:     by_value
      - .offset:         104
        .size:           4
        .value_kind:     by_value
      - .offset:         112
        .size:           8
        .value_kind:     by_value
      - .offset:         120
        .size:           8
        .value_kind:     by_value
      - .offset:         128
        .size:           8
        .value_kind:     by_value
    .group_segment_fixed_size: 49152
    .kernarg_segment_align: 8
    .kernarg_segment_size: 136
    .language:       OpenCL C
    .language_version:
      - 2
      - 0
    .max_flat_workgroup_size: 256
    .name:           _ZN12_GLOBAL__N_139chunk_gated_delta_rule_fwd_h_hip_kernelILi32ELb0ELb1ELb0ELb0ELb0ELb0ELb1ELb1EEEvPK12hip_bfloat16S3_S3_PKfS5_PKvPS1_S8_PvPKiSB_iiiiilll
    .private_segment_fixed_size: 0
    .sgpr_count:     70
    .sgpr_spill_count: 0
    .symbol:         _ZN12_GLOBAL__N_139chunk_gated_delta_rule_fwd_h_hip_kernelILi32ELb0ELb1ELb0ELb0ELb0ELb0ELb1ELb1EEEvPK12hip_bfloat16S3_S3_PKfS5_PKvPS1_S8_PvPKiSB_iiiiilll.kd
    .uniform_work_group_size: 1
    .uses_dynamic_stack: false
    .vgpr_count:     148
    .vgpr_spill_count: 0
    .wavefront_size: 64
  - .agpr_count:     20
    .args:
      - .actual_access:  read_only
        .address_space:  global
        .offset:         0
        .size:           8
        .value_kind:     global_buffer
      - .actual_access:  read_only
        .address_space:  global
        .offset:         8
        .size:           8
        .value_kind:     global_buffer
      - .actual_access:  read_only
        .address_space:  global
        .offset:         16
        .size:           8
        .value_kind:     global_buffer
      - .actual_access:  read_only
        .address_space:  global
        .offset:         24
        .size:           8
        .value_kind:     global_buffer
      - .actual_access:  read_only
        .address_space:  global
        .offset:         32
        .size:           8
        .value_kind:     global_buffer
      - .actual_access:  read_only
        .address_space:  global
        .offset:         40
        .size:           8
        .value_kind:     global_buffer
      - .actual_access:  write_only
        .address_space:  global
        .offset:         48
        .size:           8
        .value_kind:     global_buffer
      - .actual_access:  write_only
        .address_space:  global
        .offset:         56
        .size:           8
        .value_kind:     global_buffer
      - .actual_access:  read_only
        .address_space:  global
        .offset:         64
        .size:           8
        .value_kind:     global_buffer
      - .actual_access:  read_only
        .address_space:  global
        .offset:         72
        .size:           8
        .value_kind:     global_buffer
      - .actual_access:  read_only
        .address_space:  global
        .offset:         80
        .size:           8
        .value_kind:     global_buffer
      - .offset:         88
        .size:           4
        .value_kind:     by_value
      - .offset:         92
        .size:           4
        .value_kind:     by_value
      - .offset:         96
        .size:           4
        .value_kind:     by_value
      - .offset:         100
        .size:           4
        .value_kind:     by_value
      - .offset:         104
        .size:           4
        .value_kind:     by_value
      - .offset:         112
        .size:           8
        .value_kind:     by_value
      - .offset:         120
        .size:           8
        .value_kind:     by_value
      - .offset:         128
        .size:           8
        .value_kind:     by_value
    .group_segment_fixed_size: 49152
    .kernarg_segment_align: 8
    .kernarg_segment_size: 136
    .language:       OpenCL C
    .language_version:
      - 2
      - 0
    .max_flat_workgroup_size: 256
    .name:           _ZN12_GLOBAL__N_139chunk_gated_delta_rule_fwd_h_hip_kernelILi32ELb0ELb0ELb1ELb0ELb0ELb0ELb1ELb1EEEvPK12hip_bfloat16S3_S3_PKfS5_PKvPS1_S8_PvPKiSB_iiiiilll
    .private_segment_fixed_size: 0
    .sgpr_count:     72
    .sgpr_spill_count: 0
    .symbol:         _ZN12_GLOBAL__N_139chunk_gated_delta_rule_fwd_h_hip_kernelILi32ELb0ELb0ELb1ELb0ELb0ELb0ELb1ELb1EEEvPK12hip_bfloat16S3_S3_PKfS5_PKvPS1_S8_PvPKiSB_iiiiilll.kd
    .uniform_work_group_size: 1
    .uses_dynamic_stack: false
    .vgpr_count:     156
    .vgpr_spill_count: 0
    .wavefront_size: 64
  - .agpr_count:     20
    .args:
      - .actual_access:  read_only
        .address_space:  global
        .offset:         0
        .size:           8
        .value_kind:     global_buffer
      - .actual_access:  read_only
        .address_space:  global
        .offset:         8
        .size:           8
        .value_kind:     global_buffer
      - .actual_access:  read_only
        .address_space:  global
        .offset:         16
        .size:           8
        .value_kind:     global_buffer
      - .actual_access:  read_only
        .address_space:  global
        .offset:         24
        .size:           8
        .value_kind:     global_buffer
      - .actual_access:  read_only
        .address_space:  global
        .offset:         32
        .size:           8
        .value_kind:     global_buffer
      - .actual_access:  read_only
        .address_space:  global
        .offset:         40
        .size:           8
        .value_kind:     global_buffer
      - .actual_access:  write_only
        .address_space:  global
        .offset:         48
        .size:           8
        .value_kind:     global_buffer
      - .actual_access:  read_only
        .address_space:  global
        .offset:         56
        .size:           8
        .value_kind:     global_buffer
      - .actual_access:  read_only
        .address_space:  global
        .offset:         64
        .size:           8
        .value_kind:     global_buffer
      - .actual_access:  read_only
        .address_space:  global
        .offset:         72
        .size:           8
        .value_kind:     global_buffer
      - .actual_access:  read_only
        .address_space:  global
        .offset:         80
        .size:           8
        .value_kind:     global_buffer
      - .offset:         88
        .size:           4
        .value_kind:     by_value
      - .offset:         92
        .size:           4
        .value_kind:     by_value
      - .offset:         96
        .size:           4
        .value_kind:     by_value
      - .offset:         100
        .size:           4
        .value_kind:     by_value
      - .offset:         104
        .size:           4
        .value_kind:     by_value
      - .offset:         112
        .size:           8
        .value_kind:     by_value
      - .offset:         120
        .size:           8
        .value_kind:     by_value
      - .offset:         128
        .size:           8
        .value_kind:     by_value
    .group_segment_fixed_size: 49152
    .kernarg_segment_align: 8
    .kernarg_segment_size: 136
    .language:       OpenCL C
    .language_version:
      - 2
      - 0
    .max_flat_workgroup_size: 256
    .name:           _ZN12_GLOBAL__N_139chunk_gated_delta_rule_fwd_h_hip_kernelILi32ELb0ELb0ELb0ELb0ELb0ELb0ELb1ELb1EEEvPK12hip_bfloat16S3_S3_PKfS5_PKvPS1_S8_PvPKiSB_iiiiilll
    .private_segment_fixed_size: 0
    .sgpr_count:     68
    .sgpr_spill_count: 0
    .symbol:         _ZN12_GLOBAL__N_139chunk_gated_delta_rule_fwd_h_hip_kernelILi32ELb0ELb0ELb0ELb0ELb0ELb0ELb1ELb1EEEvPK12hip_bfloat16S3_S3_PKfS5_PKvPS1_S8_PvPKiSB_iiiiilll.kd
    .uniform_work_group_size: 1
    .uses_dynamic_stack: false
    .vgpr_count:     152
    .vgpr_spill_count: 0
    .wavefront_size: 64
  - .agpr_count:     16
    .args:
      - .actual_access:  read_only
        .address_space:  global
        .offset:         0
        .size:           8
        .value_kind:     global_buffer
      - .actual_access:  read_only
        .address_space:  global
        .offset:         8
        .size:           8
        .value_kind:     global_buffer
      - .actual_access:  read_only
        .address_space:  global
        .offset:         16
        .size:           8
        .value_kind:     global_buffer
      - .actual_access:  read_only
        .address_space:  global
        .offset:         24
        .size:           8
        .value_kind:     global_buffer
      - .actual_access:  read_only
        .address_space:  global
        .offset:         32
        .size:           8
        .value_kind:     global_buffer
      - .actual_access:  read_only
        .address_space:  global
        .offset:         40
        .size:           8
        .value_kind:     global_buffer
      - .actual_access:  write_only
        .address_space:  global
        .offset:         48
        .size:           8
        .value_kind:     global_buffer
      - .actual_access:  write_only
        .address_space:  global
        .offset:         56
        .size:           8
        .value_kind:     global_buffer
      - .actual_access:  write_only
        .address_space:  global
        .offset:         64
        .size:           8
        .value_kind:     global_buffer
      - .actual_access:  read_only
        .address_space:  global
        .offset:         72
        .size:           8
        .value_kind:     global_buffer
      - .actual_access:  read_only
        .address_space:  global
        .offset:         80
        .size:           8
        .value_kind:     global_buffer
      - .offset:         88
        .size:           4
        .value_kind:     by_value
      - .offset:         92
        .size:           4
        .value_kind:     by_value
      - .offset:         96
        .size:           4
        .value_kind:     by_value
      - .offset:         100
        .size:           4
        .value_kind:     by_value
      - .offset:         104
        .size:           4
        .value_kind:     by_value
      - .offset:         112
        .size:           8
        .value_kind:     by_value
      - .offset:         120
        .size:           8
        .value_kind:     by_value
      - .offset:         128
        .size:           8
        .value_kind:     by_value
    .group_segment_fixed_size: 49152
    .kernarg_segment_align: 8
    .kernarg_segment_size: 136
    .language:       OpenCL C
    .language_version:
      - 2
      - 0
    .max_flat_workgroup_size: 256
    .name:           _ZN12_GLOBAL__N_139chunk_gated_delta_rule_fwd_h_hip_kernelILi32ELb1ELb1ELb1ELb1ELb0ELb0ELb0ELb1EEEvPK12hip_bfloat16S3_S3_PKfS5_PKvPS1_S8_PvPKiSB_iiiiilll
    .private_segment_fixed_size: 0
    .sgpr_count:     74
    .sgpr_spill_count: 0
    .symbol:         _ZN12_GLOBAL__N_139chunk_gated_delta_rule_fwd_h_hip_kernelILi32ELb1ELb1ELb1ELb1ELb0ELb0ELb0ELb1EEEvPK12hip_bfloat16S3_S3_PKfS5_PKvPS1_S8_PvPKiSB_iiiiilll.kd
    .uniform_work_group_size: 1
    .uses_dynamic_stack: false
    .vgpr_count:     156
    .vgpr_spill_count: 0
    .wavefront_size: 64
  - .agpr_count:     16
    .args:
      - .actual_access:  read_only
        .address_space:  global
        .offset:         0
        .size:           8
        .value_kind:     global_buffer
      - .actual_access:  read_only
        .address_space:  global
        .offset:         8
        .size:           8
        .value_kind:     global_buffer
      - .actual_access:  read_only
        .address_space:  global
        .offset:         16
        .size:           8
        .value_kind:     global_buffer
      - .actual_access:  read_only
        .address_space:  global
        .offset:         24
        .size:           8
        .value_kind:     global_buffer
      - .actual_access:  read_only
        .address_space:  global
        .offset:         32
        .size:           8
        .value_kind:     global_buffer
      - .actual_access:  read_only
        .address_space:  global
        .offset:         40
        .size:           8
        .value_kind:     global_buffer
      - .actual_access:  write_only
        .address_space:  global
        .offset:         48
        .size:           8
        .value_kind:     global_buffer
      - .actual_access:  read_only
        .address_space:  global
        .offset:         56
        .size:           8
        .value_kind:     global_buffer
      - .actual_access:  write_only
        .address_space:  global
        .offset:         64
        .size:           8
        .value_kind:     global_buffer
      - .actual_access:  read_only
        .address_space:  global
        .offset:         72
        .size:           8
        .value_kind:     global_buffer
      - .actual_access:  read_only
        .address_space:  global
        .offset:         80
        .size:           8
        .value_kind:     global_buffer
      - .offset:         88
        .size:           4
        .value_kind:     by_value
      - .offset:         92
        .size:           4
        .value_kind:     by_value
      - .offset:         96
        .size:           4
        .value_kind:     by_value
      - .offset:         100
        .size:           4
        .value_kind:     by_value
      - .offset:         104
        .size:           4
        .value_kind:     by_value
      - .offset:         112
        .size:           8
        .value_kind:     by_value
      - .offset:         120
        .size:           8
        .value_kind:     by_value
      - .offset:         128
        .size:           8
        .value_kind:     by_value
    .group_segment_fixed_size: 49152
    .kernarg_segment_align: 8
    .kernarg_segment_size: 136
    .language:       OpenCL C
    .language_version:
      - 2
      - 0
    .max_flat_workgroup_size: 256
    .name:           _ZN12_GLOBAL__N_139chunk_gated_delta_rule_fwd_h_hip_kernelILi32ELb1ELb1ELb0ELb1ELb0ELb0ELb0ELb1EEEvPK12hip_bfloat16S3_S3_PKfS5_PKvPS1_S8_PvPKiSB_iiiiilll
    .private_segment_fixed_size: 0
    .sgpr_count:     70
    .sgpr_spill_count: 0
    .symbol:         _ZN12_GLOBAL__N_139chunk_gated_delta_rule_fwd_h_hip_kernelILi32ELb1ELb1ELb0ELb1ELb0ELb0ELb0ELb1EEEvPK12hip_bfloat16S3_S3_PKfS5_PKvPS1_S8_PvPKiSB_iiiiilll.kd
    .uniform_work_group_size: 1
    .uses_dynamic_stack: false
    .vgpr_count:     152
    .vgpr_spill_count: 0
    .wavefront_size: 64
  - .agpr_count:     16
    .args:
      - .actual_access:  read_only
        .address_space:  global
        .offset:         0
        .size:           8
        .value_kind:     global_buffer
      - .actual_access:  read_only
        .address_space:  global
        .offset:         8
        .size:           8
        .value_kind:     global_buffer
      - .actual_access:  read_only
        .address_space:  global
        .offset:         16
        .size:           8
        .value_kind:     global_buffer
      - .actual_access:  read_only
        .address_space:  global
        .offset:         24
        .size:           8
        .value_kind:     global_buffer
      - .actual_access:  read_only
        .address_space:  global
        .offset:         32
        .size:           8
        .value_kind:     global_buffer
      - .actual_access:  read_only
        .address_space:  global
        .offset:         40
        .size:           8
        .value_kind:     global_buffer
      - .actual_access:  write_only
        .address_space:  global
        .offset:         48
        .size:           8
        .value_kind:     global_buffer
      - .actual_access:  write_only
        .address_space:  global
        .offset:         56
        .size:           8
        .value_kind:     global_buffer
      - .actual_access:  read_only
        .address_space:  global
        .offset:         64
        .size:           8
        .value_kind:     global_buffer
      - .actual_access:  read_only
        .address_space:  global
        .offset:         72
        .size:           8
        .value_kind:     global_buffer
      - .actual_access:  read_only
        .address_space:  global
        .offset:         80
        .size:           8
        .value_kind:     global_buffer
      - .offset:         88
        .size:           4
        .value_kind:     by_value
      - .offset:         92
        .size:           4
        .value_kind:     by_value
      - .offset:         96
        .size:           4
        .value_kind:     by_value
      - .offset:         100
        .size:           4
        .value_kind:     by_value
      - .offset:         104
        .size:           4
        .value_kind:     by_value
      - .offset:         112
        .size:           8
        .value_kind:     by_value
      - .offset:         120
        .size:           8
        .value_kind:     by_value
      - .offset:         128
        .size:           8
        .value_kind:     by_value
    .group_segment_fixed_size: 49152
    .kernarg_segment_align: 8
    .kernarg_segment_size: 136
    .language:       OpenCL C
    .language_version:
      - 2
      - 0
    .max_flat_workgroup_size: 256
    .name:           _ZN12_GLOBAL__N_139chunk_gated_delta_rule_fwd_h_hip_kernelILi32ELb1ELb0ELb1ELb1ELb0ELb0ELb0ELb1EEEvPK12hip_bfloat16S3_S3_PKfS5_PKvPS1_S8_PvPKiSB_iiiiilll
    .private_segment_fixed_size: 0
    .sgpr_count:     70
    .sgpr_spill_count: 0
    .symbol:         _ZN12_GLOBAL__N_139chunk_gated_delta_rule_fwd_h_hip_kernelILi32ELb1ELb0ELb1ELb1ELb0ELb0ELb0ELb1EEEvPK12hip_bfloat16S3_S3_PKfS5_PKvPS1_S8_PvPKiSB_iiiiilll.kd
    .uniform_work_group_size: 1
    .uses_dynamic_stack: false
    .vgpr_count:     152
    .vgpr_spill_count: 0
    .wavefront_size: 64
  - .agpr_count:     16
    .args:
      - .actual_access:  read_only
        .address_space:  global
        .offset:         0
        .size:           8
        .value_kind:     global_buffer
      - .actual_access:  read_only
        .address_space:  global
        .offset:         8
        .size:           8
        .value_kind:     global_buffer
      - .actual_access:  read_only
        .address_space:  global
        .offset:         16
        .size:           8
        .value_kind:     global_buffer
      - .actual_access:  read_only
        .address_space:  global
        .offset:         24
        .size:           8
        .value_kind:     global_buffer
      - .actual_access:  read_only
        .address_space:  global
        .offset:         32
        .size:           8
        .value_kind:     global_buffer
      - .actual_access:  read_only
        .address_space:  global
        .offset:         40
        .size:           8
        .value_kind:     global_buffer
      - .actual_access:  write_only
        .address_space:  global
        .offset:         48
        .size:           8
        .value_kind:     global_buffer
      - .actual_access:  read_only
        .address_space:  global
        .offset:         56
        .size:           8
        .value_kind:     global_buffer
      - .actual_access:  read_only
        .address_space:  global
        .offset:         64
        .size:           8
        .value_kind:     global_buffer
      - .actual_access:  read_only
        .address_space:  global
        .offset:         72
        .size:           8
        .value_kind:     global_buffer
      - .actual_access:  read_only
        .address_space:  global
        .offset:         80
        .size:           8
        .value_kind:     global_buffer
      - .offset:         88
        .size:           4
        .value_kind:     by_value
      - .offset:         92
        .size:           4
        .value_kind:     by_value
      - .offset:         96
        .size:           4
        .value_kind:     by_value
      - .offset:         100
        .size:           4
        .value_kind:     by_value
      - .offset:         104
        .size:           4
        .value_kind:     by_value
      - .offset:         112
        .size:           8
        .value_kind:     by_value
      - .offset:         120
        .size:           8
        .value_kind:     by_value
      - .offset:         128
        .size:           8
        .value_kind:     by_value
    .group_segment_fixed_size: 49152
    .kernarg_segment_align: 8
    .kernarg_segment_size: 136
    .language:       OpenCL C
    .language_version:
      - 2
      - 0
    .max_flat_workgroup_size: 256
    .name:           _ZN12_GLOBAL__N_139chunk_gated_delta_rule_fwd_h_hip_kernelILi32ELb1ELb0ELb0ELb1ELb0ELb0ELb0ELb1EEEvPK12hip_bfloat16S3_S3_PKfS5_PKvPS1_S8_PvPKiSB_iiiiilll
    .private_segment_fixed_size: 0
    .sgpr_count:     66
    .sgpr_spill_count: 0
    .symbol:         _ZN12_GLOBAL__N_139chunk_gated_delta_rule_fwd_h_hip_kernelILi32ELb1ELb0ELb0ELb1ELb0ELb0ELb0ELb1EEEvPK12hip_bfloat16S3_S3_PKfS5_PKvPS1_S8_PvPKiSB_iiiiilll.kd
    .uniform_work_group_size: 1
    .uses_dynamic_stack: false
    .vgpr_count:     148
    .vgpr_spill_count: 0
    .wavefront_size: 64
  - .agpr_count:     16
    .args:
      - .actual_access:  read_only
        .address_space:  global
        .offset:         0
        .size:           8
        .value_kind:     global_buffer
      - .actual_access:  read_only
        .address_space:  global
        .offset:         8
        .size:           8
        .value_kind:     global_buffer
      - .actual_access:  read_only
        .address_space:  global
        .offset:         16
        .size:           8
        .value_kind:     global_buffer
      - .actual_access:  read_only
        .address_space:  global
        .offset:         24
        .size:           8
        .value_kind:     global_buffer
      - .actual_access:  read_only
        .address_space:  global
        .offset:         32
        .size:           8
        .value_kind:     global_buffer
      - .actual_access:  read_only
        .address_space:  global
        .offset:         40
        .size:           8
        .value_kind:     global_buffer
      - .actual_access:  write_only
        .address_space:  global
        .offset:         48
        .size:           8
        .value_kind:     global_buffer
      - .actual_access:  write_only
        .address_space:  global
        .offset:         56
        .size:           8
        .value_kind:     global_buffer
      - .actual_access:  write_only
        .address_space:  global
        .offset:         64
        .size:           8
        .value_kind:     global_buffer
      - .actual_access:  read_only
        .address_space:  global
        .offset:         72
        .size:           8
        .value_kind:     global_buffer
      - .actual_access:  read_only
        .address_space:  global
        .offset:         80
        .size:           8
        .value_kind:     global_buffer
      - .offset:         88
        .size:           4
        .value_kind:     by_value
      - .offset:         92
        .size:           4
        .value_kind:     by_value
      - .offset:         96
        .size:           4
        .value_kind:     by_value
      - .offset:         100
        .size:           4
        .value_kind:     by_value
      - .offset:         104
        .size:           4
        .value_kind:     by_value
      - .offset:         112
        .size:           8
        .value_kind:     by_value
      - .offset:         120
        .size:           8
        .value_kind:     by_value
      - .offset:         128
        .size:           8
        .value_kind:     by_value
    .group_segment_fixed_size: 49152
    .kernarg_segment_align: 8
    .kernarg_segment_size: 136
    .language:       OpenCL C
    .language_version:
      - 2
      - 0
    .max_flat_workgroup_size: 256
    .name:           _ZN12_GLOBAL__N_139chunk_gated_delta_rule_fwd_h_hip_kernelILi32ELb0ELb1ELb1ELb1ELb0ELb0ELb0ELb1EEEvPK12hip_bfloat16S3_S3_PKfS5_PKvPS1_S8_PvPKiSB_iiiiilll
    .private_segment_fixed_size: 0
    .sgpr_count:     74
    .sgpr_spill_count: 0
    .symbol:         _ZN12_GLOBAL__N_139chunk_gated_delta_rule_fwd_h_hip_kernelILi32ELb0ELb1ELb1ELb1ELb0ELb0ELb0ELb1EEEvPK12hip_bfloat16S3_S3_PKfS5_PKvPS1_S8_PvPKiSB_iiiiilll.kd
    .uniform_work_group_size: 1
    .uses_dynamic_stack: false
    .vgpr_count:     152
    .vgpr_spill_count: 0
    .wavefront_size: 64
  - .agpr_count:     16
    .args:
      - .actual_access:  read_only
        .address_space:  global
        .offset:         0
        .size:           8
        .value_kind:     global_buffer
      - .actual_access:  read_only
        .address_space:  global
        .offset:         8
        .size:           8
        .value_kind:     global_buffer
      - .actual_access:  read_only
        .address_space:  global
        .offset:         16
        .size:           8
        .value_kind:     global_buffer
      - .actual_access:  read_only
        .address_space:  global
        .offset:         24
        .size:           8
        .value_kind:     global_buffer
      - .actual_access:  read_only
        .address_space:  global
        .offset:         32
        .size:           8
        .value_kind:     global_buffer
      - .actual_access:  read_only
        .address_space:  global
        .offset:         40
        .size:           8
        .value_kind:     global_buffer
      - .actual_access:  write_only
        .address_space:  global
        .offset:         48
        .size:           8
        .value_kind:     global_buffer
      - .actual_access:  read_only
        .address_space:  global
        .offset:         56
        .size:           8
        .value_kind:     global_buffer
      - .actual_access:  write_only
        .address_space:  global
        .offset:         64
        .size:           8
        .value_kind:     global_buffer
      - .actual_access:  read_only
        .address_space:  global
        .offset:         72
        .size:           8
        .value_kind:     global_buffer
      - .actual_access:  read_only
        .address_space:  global
        .offset:         80
        .size:           8
        .value_kind:     global_buffer
      - .offset:         88
        .size:           4
        .value_kind:     by_value
      - .offset:         92
        .size:           4
        .value_kind:     by_value
      - .offset:         96
        .size:           4
        .value_kind:     by_value
      - .offset:         100
        .size:           4
        .value_kind:     by_value
      - .offset:         104
        .size:           4
        .value_kind:     by_value
      - .offset:         112
        .size:           8
        .value_kind:     by_value
      - .offset:         120
        .size:           8
        .value_kind:     by_value
      - .offset:         128
        .size:           8
        .value_kind:     by_value
    .group_segment_fixed_size: 49152
    .kernarg_segment_align: 8
    .kernarg_segment_size: 136
    .language:       OpenCL C
    .language_version:
      - 2
      - 0
    .max_flat_workgroup_size: 256
    .name:           _ZN12_GLOBAL__N_139chunk_gated_delta_rule_fwd_h_hip_kernelILi32ELb0ELb1ELb0ELb1ELb0ELb0ELb0ELb1EEEvPK12hip_bfloat16S3_S3_PKfS5_PKvPS1_S8_PvPKiSB_iiiiilll
    .private_segment_fixed_size: 0
    .sgpr_count:     70
    .sgpr_spill_count: 0
    .symbol:         _ZN12_GLOBAL__N_139chunk_gated_delta_rule_fwd_h_hip_kernelILi32ELb0ELb1ELb0ELb1ELb0ELb0ELb0ELb1EEEvPK12hip_bfloat16S3_S3_PKfS5_PKvPS1_S8_PvPKiSB_iiiiilll.kd
    .uniform_work_group_size: 1
    .uses_dynamic_stack: false
    .vgpr_count:     148
    .vgpr_spill_count: 0
    .wavefront_size: 64
  - .agpr_count:     20
    .args:
      - .actual_access:  read_only
        .address_space:  global
        .offset:         0
        .size:           8
        .value_kind:     global_buffer
      - .actual_access:  read_only
        .address_space:  global
        .offset:         8
        .size:           8
        .value_kind:     global_buffer
      - .actual_access:  read_only
        .address_space:  global
        .offset:         16
        .size:           8
        .value_kind:     global_buffer
      - .actual_access:  read_only
        .address_space:  global
        .offset:         24
        .size:           8
        .value_kind:     global_buffer
      - .actual_access:  read_only
        .address_space:  global
        .offset:         32
        .size:           8
        .value_kind:     global_buffer
      - .actual_access:  read_only
        .address_space:  global
        .offset:         40
        .size:           8
        .value_kind:     global_buffer
      - .actual_access:  write_only
        .address_space:  global
        .offset:         48
        .size:           8
        .value_kind:     global_buffer
      - .actual_access:  write_only
        .address_space:  global
        .offset:         56
        .size:           8
        .value_kind:     global_buffer
      - .actual_access:  read_only
        .address_space:  global
        .offset:         64
        .size:           8
        .value_kind:     global_buffer
      - .actual_access:  read_only
        .address_space:  global
        .offset:         72
        .size:           8
        .value_kind:     global_buffer
      - .actual_access:  read_only
        .address_space:  global
        .offset:         80
        .size:           8
        .value_kind:     global_buffer
      - .offset:         88
        .size:           4
        .value_kind:     by_value
      - .offset:         92
        .size:           4
        .value_kind:     by_value
      - .offset:         96
        .size:           4
        .value_kind:     by_value
      - .offset:         100
        .size:           4
        .value_kind:     by_value
      - .offset:         104
        .size:           4
        .value_kind:     by_value
      - .offset:         112
        .size:           8
        .value_kind:     by_value
      - .offset:         120
        .size:           8
        .value_kind:     by_value
      - .offset:         128
        .size:           8
        .value_kind:     by_value
    .group_segment_fixed_size: 49152
    .kernarg_segment_align: 8
    .kernarg_segment_size: 136
    .language:       OpenCL C
    .language_version:
      - 2
      - 0
    .max_flat_workgroup_size: 256
    .name:           _ZN12_GLOBAL__N_139chunk_gated_delta_rule_fwd_h_hip_kernelILi32ELb0ELb0ELb1ELb1ELb0ELb0ELb0ELb1EEEvPK12hip_bfloat16S3_S3_PKfS5_PKvPS1_S8_PvPKiSB_iiiiilll
    .private_segment_fixed_size: 0
    .sgpr_count:     68
    .sgpr_spill_count: 0
    .symbol:         _ZN12_GLOBAL__N_139chunk_gated_delta_rule_fwd_h_hip_kernelILi32ELb0ELb0ELb1ELb1ELb0ELb0ELb0ELb1EEEvPK12hip_bfloat16S3_S3_PKfS5_PKvPS1_S8_PvPKiSB_iiiiilll.kd
    .uniform_work_group_size: 1
    .uses_dynamic_stack: false
    .vgpr_count:     156
    .vgpr_spill_count: 0
    .wavefront_size: 64
  - .agpr_count:     20
    .args:
      - .actual_access:  read_only
        .address_space:  global
        .offset:         0
        .size:           8
        .value_kind:     global_buffer
      - .actual_access:  read_only
        .address_space:  global
        .offset:         8
        .size:           8
        .value_kind:     global_buffer
      - .actual_access:  read_only
        .address_space:  global
        .offset:         16
        .size:           8
        .value_kind:     global_buffer
      - .actual_access:  read_only
        .address_space:  global
        .offset:         24
        .size:           8
        .value_kind:     global_buffer
      - .actual_access:  read_only
        .address_space:  global
        .offset:         32
        .size:           8
        .value_kind:     global_buffer
      - .actual_access:  read_only
        .address_space:  global
        .offset:         40
        .size:           8
        .value_kind:     global_buffer
      - .actual_access:  write_only
        .address_space:  global
        .offset:         48
        .size:           8
        .value_kind:     global_buffer
      - .actual_access:  read_only
        .address_space:  global
        .offset:         56
        .size:           8
        .value_kind:     global_buffer
      - .actual_access:  read_only
        .address_space:  global
        .offset:         64
        .size:           8
        .value_kind:     global_buffer
      - .actual_access:  read_only
        .address_space:  global
        .offset:         72
        .size:           8
        .value_kind:     global_buffer
      - .actual_access:  read_only
        .address_space:  global
        .offset:         80
        .size:           8
        .value_kind:     global_buffer
      - .offset:         88
        .size:           4
        .value_kind:     by_value
      - .offset:         92
        .size:           4
        .value_kind:     by_value
      - .offset:         96
        .size:           4
        .value_kind:     by_value
      - .offset:         100
        .size:           4
        .value_kind:     by_value
      - .offset:         104
        .size:           4
        .value_kind:     by_value
      - .offset:         112
        .size:           8
        .value_kind:     by_value
      - .offset:         120
        .size:           8
        .value_kind:     by_value
      - .offset:         128
        .size:           8
        .value_kind:     by_value
    .group_segment_fixed_size: 49152
    .kernarg_segment_align: 8
    .kernarg_segment_size: 136
    .language:       OpenCL C
    .language_version:
      - 2
      - 0
    .max_flat_workgroup_size: 256
    .name:           _ZN12_GLOBAL__N_139chunk_gated_delta_rule_fwd_h_hip_kernelILi32ELb0ELb0ELb0ELb1ELb0ELb0ELb0ELb1EEEvPK12hip_bfloat16S3_S3_PKfS5_PKvPS1_S8_PvPKiSB_iiiiilll
    .private_segment_fixed_size: 0
    .sgpr_count:     65
    .sgpr_spill_count: 0
    .symbol:         _ZN12_GLOBAL__N_139chunk_gated_delta_rule_fwd_h_hip_kernelILi32ELb0ELb0ELb0ELb1ELb0ELb0ELb0ELb1EEEvPK12hip_bfloat16S3_S3_PKfS5_PKvPS1_S8_PvPKiSB_iiiiilll.kd
    .uniform_work_group_size: 1
    .uses_dynamic_stack: false
    .vgpr_count:     152
    .vgpr_spill_count: 0
    .wavefront_size: 64
  - .agpr_count:     16
    .args:
      - .actual_access:  read_only
        .address_space:  global
        .offset:         0
        .size:           8
        .value_kind:     global_buffer
      - .actual_access:  read_only
        .address_space:  global
        .offset:         8
        .size:           8
        .value_kind:     global_buffer
      - .actual_access:  read_only
        .address_space:  global
        .offset:         16
        .size:           8
        .value_kind:     global_buffer
      - .actual_access:  read_only
        .address_space:  global
        .offset:         24
        .size:           8
        .value_kind:     global_buffer
      - .actual_access:  read_only
        .address_space:  global
        .offset:         32
        .size:           8
        .value_kind:     global_buffer
      - .actual_access:  read_only
        .address_space:  global
        .offset:         40
        .size:           8
        .value_kind:     global_buffer
      - .actual_access:  write_only
        .address_space:  global
        .offset:         48
        .size:           8
        .value_kind:     global_buffer
      - .actual_access:  write_only
        .address_space:  global
        .offset:         56
        .size:           8
        .value_kind:     global_buffer
      - .actual_access:  write_only
        .address_space:  global
        .offset:         64
        .size:           8
        .value_kind:     global_buffer
      - .actual_access:  read_only
        .address_space:  global
        .offset:         72
        .size:           8
        .value_kind:     global_buffer
      - .actual_access:  read_only
        .address_space:  global
        .offset:         80
        .size:           8
        .value_kind:     global_buffer
      - .offset:         88
        .size:           4
        .value_kind:     by_value
      - .offset:         92
        .size:           4
        .value_kind:     by_value
      - .offset:         96
        .size:           4
        .value_kind:     by_value
      - .offset:         100
        .size:           4
        .value_kind:     by_value
      - .offset:         104
        .size:           4
        .value_kind:     by_value
      - .offset:         112
        .size:           8
        .value_kind:     by_value
      - .offset:         120
        .size:           8
        .value_kind:     by_value
      - .offset:         128
        .size:           8
        .value_kind:     by_value
    .group_segment_fixed_size: 49152
    .kernarg_segment_align: 8
    .kernarg_segment_size: 136
    .language:       OpenCL C
    .language_version:
      - 2
      - 0
    .max_flat_workgroup_size: 256
    .name:           _ZN12_GLOBAL__N_139chunk_gated_delta_rule_fwd_h_hip_kernelILi32ELb1ELb1ELb1ELb0ELb0ELb0ELb0ELb1EEEvPK12hip_bfloat16S3_S3_PKfS5_PKvPS1_S8_PvPKiSB_iiiiilll
    .private_segment_fixed_size: 0
    .sgpr_count:     80
    .sgpr_spill_count: 0
    .symbol:         _ZN12_GLOBAL__N_139chunk_gated_delta_rule_fwd_h_hip_kernelILi32ELb1ELb1ELb1ELb0ELb0ELb0ELb0ELb1EEEvPK12hip_bfloat16S3_S3_PKfS5_PKvPS1_S8_PvPKiSB_iiiiilll.kd
    .uniform_work_group_size: 1
    .uses_dynamic_stack: false
    .vgpr_count:     156
    .vgpr_spill_count: 0
    .wavefront_size: 64
  - .agpr_count:     16
    .args:
      - .actual_access:  read_only
        .address_space:  global
        .offset:         0
        .size:           8
        .value_kind:     global_buffer
      - .actual_access:  read_only
        .address_space:  global
        .offset:         8
        .size:           8
        .value_kind:     global_buffer
      - .actual_access:  read_only
        .address_space:  global
        .offset:         16
        .size:           8
        .value_kind:     global_buffer
      - .actual_access:  read_only
        .address_space:  global
        .offset:         24
        .size:           8
        .value_kind:     global_buffer
      - .actual_access:  read_only
        .address_space:  global
        .offset:         32
        .size:           8
        .value_kind:     global_buffer
      - .actual_access:  read_only
        .address_space:  global
        .offset:         40
        .size:           8
        .value_kind:     global_buffer
      - .actual_access:  write_only
        .address_space:  global
        .offset:         48
        .size:           8
        .value_kind:     global_buffer
      - .actual_access:  read_only
        .address_space:  global
        .offset:         56
        .size:           8
        .value_kind:     global_buffer
      - .actual_access:  write_only
        .address_space:  global
        .offset:         64
        .size:           8
        .value_kind:     global_buffer
      - .actual_access:  read_only
        .address_space:  global
        .offset:         72
        .size:           8
        .value_kind:     global_buffer
      - .actual_access:  read_only
        .address_space:  global
        .offset:         80
        .size:           8
        .value_kind:     global_buffer
      - .offset:         88
        .size:           4
        .value_kind:     by_value
      - .offset:         92
        .size:           4
        .value_kind:     by_value
      - .offset:         96
        .size:           4
        .value_kind:     by_value
      - .offset:         100
        .size:           4
        .value_kind:     by_value
      - .offset:         104
        .size:           4
        .value_kind:     by_value
      - .offset:         112
        .size:           8
        .value_kind:     by_value
      - .offset:         120
        .size:           8
        .value_kind:     by_value
      - .offset:         128
        .size:           8
        .value_kind:     by_value
    .group_segment_fixed_size: 49152
    .kernarg_segment_align: 8
    .kernarg_segment_size: 136
    .language:       OpenCL C
    .language_version:
      - 2
      - 0
    .max_flat_workgroup_size: 256
    .name:           _ZN12_GLOBAL__N_139chunk_gated_delta_rule_fwd_h_hip_kernelILi32ELb1ELb1ELb0ELb0ELb0ELb0ELb0ELb1EEEvPK12hip_bfloat16S3_S3_PKfS5_PKvPS1_S8_PvPKiSB_iiiiilll
    .private_segment_fixed_size: 0
    .sgpr_count:     75
    .sgpr_spill_count: 0
    .symbol:         _ZN12_GLOBAL__N_139chunk_gated_delta_rule_fwd_h_hip_kernelILi32ELb1ELb1ELb0ELb0ELb0ELb0ELb0ELb1EEEvPK12hip_bfloat16S3_S3_PKfS5_PKvPS1_S8_PvPKiSB_iiiiilll.kd
    .uniform_work_group_size: 1
    .uses_dynamic_stack: false
    .vgpr_count:     152
    .vgpr_spill_count: 0
    .wavefront_size: 64
  - .agpr_count:     16
    .args:
      - .actual_access:  read_only
        .address_space:  global
        .offset:         0
        .size:           8
        .value_kind:     global_buffer
      - .actual_access:  read_only
        .address_space:  global
        .offset:         8
        .size:           8
        .value_kind:     global_buffer
      - .actual_access:  read_only
        .address_space:  global
        .offset:         16
        .size:           8
        .value_kind:     global_buffer
      - .actual_access:  read_only
        .address_space:  global
        .offset:         24
        .size:           8
        .value_kind:     global_buffer
      - .actual_access:  read_only
        .address_space:  global
        .offset:         32
        .size:           8
        .value_kind:     global_buffer
      - .actual_access:  read_only
        .address_space:  global
        .offset:         40
        .size:           8
        .value_kind:     global_buffer
      - .actual_access:  write_only
        .address_space:  global
        .offset:         48
        .size:           8
        .value_kind:     global_buffer
      - .actual_access:  write_only
        .address_space:  global
        .offset:         56
        .size:           8
        .value_kind:     global_buffer
      - .actual_access:  read_only
        .address_space:  global
        .offset:         64
        .size:           8
        .value_kind:     global_buffer
      - .actual_access:  read_only
        .address_space:  global
        .offset:         72
        .size:           8
        .value_kind:     global_buffer
      - .actual_access:  read_only
        .address_space:  global
        .offset:         80
        .size:           8
        .value_kind:     global_buffer
      - .offset:         88
        .size:           4
        .value_kind:     by_value
      - .offset:         92
        .size:           4
        .value_kind:     by_value
      - .offset:         96
        .size:           4
        .value_kind:     by_value
      - .offset:         100
        .size:           4
        .value_kind:     by_value
      - .offset:         104
        .size:           4
        .value_kind:     by_value
      - .offset:         112
        .size:           8
        .value_kind:     by_value
      - .offset:         120
        .size:           8
        .value_kind:     by_value
      - .offset:         128
        .size:           8
        .value_kind:     by_value
    .group_segment_fixed_size: 49152
    .kernarg_segment_align: 8
    .kernarg_segment_size: 136
    .language:       OpenCL C
    .language_version:
      - 2
      - 0
    .max_flat_workgroup_size: 256
    .name:           _ZN12_GLOBAL__N_139chunk_gated_delta_rule_fwd_h_hip_kernelILi32ELb1ELb0ELb1ELb0ELb0ELb0ELb0ELb1EEEvPK12hip_bfloat16S3_S3_PKfS5_PKvPS1_S8_PvPKiSB_iiiiilll
    .private_segment_fixed_size: 0
    .sgpr_count:     76
    .sgpr_spill_count: 0
    .symbol:         _ZN12_GLOBAL__N_139chunk_gated_delta_rule_fwd_h_hip_kernelILi32ELb1ELb0ELb1ELb0ELb0ELb0ELb0ELb1EEEvPK12hip_bfloat16S3_S3_PKfS5_PKvPS1_S8_PvPKiSB_iiiiilll.kd
    .uniform_work_group_size: 1
    .uses_dynamic_stack: false
    .vgpr_count:     152
    .vgpr_spill_count: 0
    .wavefront_size: 64
  - .agpr_count:     16
    .args:
      - .actual_access:  read_only
        .address_space:  global
        .offset:         0
        .size:           8
        .value_kind:     global_buffer
      - .actual_access:  read_only
        .address_space:  global
        .offset:         8
        .size:           8
        .value_kind:     global_buffer
      - .actual_access:  read_only
        .address_space:  global
        .offset:         16
        .size:           8
        .value_kind:     global_buffer
      - .actual_access:  read_only
        .address_space:  global
        .offset:         24
        .size:           8
        .value_kind:     global_buffer
      - .actual_access:  read_only
        .address_space:  global
        .offset:         32
        .size:           8
        .value_kind:     global_buffer
      - .actual_access:  read_only
        .address_space:  global
        .offset:         40
        .size:           8
        .value_kind:     global_buffer
      - .actual_access:  write_only
        .address_space:  global
        .offset:         48
        .size:           8
        .value_kind:     global_buffer
      - .actual_access:  read_only
        .address_space:  global
        .offset:         56
        .size:           8
        .value_kind:     global_buffer
      - .actual_access:  read_only
        .address_space:  global
        .offset:         64
        .size:           8
        .value_kind:     global_buffer
      - .actual_access:  read_only
        .address_space:  global
        .offset:         72
        .size:           8
        .value_kind:     global_buffer
      - .actual_access:  read_only
        .address_space:  global
        .offset:         80
        .size:           8
        .value_kind:     global_buffer
      - .offset:         88
        .size:           4
        .value_kind:     by_value
      - .offset:         92
        .size:           4
        .value_kind:     by_value
      - .offset:         96
        .size:           4
        .value_kind:     by_value
      - .offset:         100
        .size:           4
        .value_kind:     by_value
      - .offset:         104
        .size:           4
        .value_kind:     by_value
      - .offset:         112
        .size:           8
        .value_kind:     by_value
      - .offset:         120
        .size:           8
        .value_kind:     by_value
      - .offset:         128
        .size:           8
        .value_kind:     by_value
    .group_segment_fixed_size: 49152
    .kernarg_segment_align: 8
    .kernarg_segment_size: 136
    .language:       OpenCL C
    .language_version:
      - 2
      - 0
    .max_flat_workgroup_size: 256
    .name:           _ZN12_GLOBAL__N_139chunk_gated_delta_rule_fwd_h_hip_kernelILi32ELb1ELb0ELb0ELb0ELb0ELb0ELb0ELb1EEEvPK12hip_bfloat16S3_S3_PKfS5_PKvPS1_S8_PvPKiSB_iiiiilll
    .private_segment_fixed_size: 0
    .sgpr_count:     71
    .sgpr_spill_count: 0
    .symbol:         _ZN12_GLOBAL__N_139chunk_gated_delta_rule_fwd_h_hip_kernelILi32ELb1ELb0ELb0ELb0ELb0ELb0ELb0ELb1EEEvPK12hip_bfloat16S3_S3_PKfS5_PKvPS1_S8_PvPKiSB_iiiiilll.kd
    .uniform_work_group_size: 1
    .uses_dynamic_stack: false
    .vgpr_count:     148
    .vgpr_spill_count: 0
    .wavefront_size: 64
  - .agpr_count:     16
    .args:
      - .actual_access:  read_only
        .address_space:  global
        .offset:         0
        .size:           8
        .value_kind:     global_buffer
      - .actual_access:  read_only
        .address_space:  global
        .offset:         8
        .size:           8
        .value_kind:     global_buffer
      - .actual_access:  read_only
        .address_space:  global
        .offset:         16
        .size:           8
        .value_kind:     global_buffer
      - .actual_access:  read_only
        .address_space:  global
        .offset:         24
        .size:           8
        .value_kind:     global_buffer
      - .actual_access:  read_only
        .address_space:  global
        .offset:         32
        .size:           8
        .value_kind:     global_buffer
      - .actual_access:  read_only
        .address_space:  global
        .offset:         40
        .size:           8
        .value_kind:     global_buffer
      - .actual_access:  write_only
        .address_space:  global
        .offset:         48
        .size:           8
        .value_kind:     global_buffer
      - .actual_access:  write_only
        .address_space:  global
        .offset:         56
        .size:           8
        .value_kind:     global_buffer
      - .actual_access:  write_only
        .address_space:  global
        .offset:         64
        .size:           8
        .value_kind:     global_buffer
      - .actual_access:  read_only
        .address_space:  global
        .offset:         72
        .size:           8
        .value_kind:     global_buffer
      - .actual_access:  read_only
        .address_space:  global
        .offset:         80
        .size:           8
        .value_kind:     global_buffer
      - .offset:         88
        .size:           4
        .value_kind:     by_value
      - .offset:         92
        .size:           4
        .value_kind:     by_value
      - .offset:         96
        .size:           4
        .value_kind:     by_value
      - .offset:         100
        .size:           4
        .value_kind:     by_value
      - .offset:         104
        .size:           4
        .value_kind:     by_value
      - .offset:         112
        .size:           8
        .value_kind:     by_value
      - .offset:         120
        .size:           8
        .value_kind:     by_value
      - .offset:         128
        .size:           8
        .value_kind:     by_value
    .group_segment_fixed_size: 49152
    .kernarg_segment_align: 8
    .kernarg_segment_size: 136
    .language:       OpenCL C
    .language_version:
      - 2
      - 0
    .max_flat_workgroup_size: 256
    .name:           _ZN12_GLOBAL__N_139chunk_gated_delta_rule_fwd_h_hip_kernelILi32ELb0ELb1ELb1ELb0ELb0ELb0ELb0ELb1EEEvPK12hip_bfloat16S3_S3_PKfS5_PKvPS1_S8_PvPKiSB_iiiiilll
    .private_segment_fixed_size: 0
    .sgpr_count:     74
    .sgpr_spill_count: 0
    .symbol:         _ZN12_GLOBAL__N_139chunk_gated_delta_rule_fwd_h_hip_kernelILi32ELb0ELb1ELb1ELb0ELb0ELb0ELb0ELb1EEEvPK12hip_bfloat16S3_S3_PKfS5_PKvPS1_S8_PvPKiSB_iiiiilll.kd
    .uniform_work_group_size: 1
    .uses_dynamic_stack: false
    .vgpr_count:     152
    .vgpr_spill_count: 0
    .wavefront_size: 64
  - .agpr_count:     16
    .args:
      - .actual_access:  read_only
        .address_space:  global
        .offset:         0
        .size:           8
        .value_kind:     global_buffer
      - .actual_access:  read_only
        .address_space:  global
        .offset:         8
        .size:           8
        .value_kind:     global_buffer
      - .actual_access:  read_only
        .address_space:  global
        .offset:         16
        .size:           8
        .value_kind:     global_buffer
      - .actual_access:  read_only
        .address_space:  global
        .offset:         24
        .size:           8
        .value_kind:     global_buffer
      - .actual_access:  read_only
        .address_space:  global
        .offset:         32
        .size:           8
        .value_kind:     global_buffer
      - .actual_access:  read_only
        .address_space:  global
        .offset:         40
        .size:           8
        .value_kind:     global_buffer
      - .actual_access:  write_only
        .address_space:  global
        .offset:         48
        .size:           8
        .value_kind:     global_buffer
      - .actual_access:  read_only
        .address_space:  global
        .offset:         56
        .size:           8
        .value_kind:     global_buffer
      - .actual_access:  write_only
        .address_space:  global
        .offset:         64
        .size:           8
        .value_kind:     global_buffer
      - .actual_access:  read_only
        .address_space:  global
        .offset:         72
        .size:           8
        .value_kind:     global_buffer
      - .actual_access:  read_only
        .address_space:  global
        .offset:         80
        .size:           8
        .value_kind:     global_buffer
      - .offset:         88
        .size:           4
        .value_kind:     by_value
      - .offset:         92
        .size:           4
        .value_kind:     by_value
      - .offset:         96
        .size:           4
        .value_kind:     by_value
      - .offset:         100
        .size:           4
        .value_kind:     by_value
      - .offset:         104
        .size:           4
        .value_kind:     by_value
      - .offset:         112
        .size:           8
        .value_kind:     by_value
      - .offset:         120
        .size:           8
        .value_kind:     by_value
      - .offset:         128
        .size:           8
        .value_kind:     by_value
    .group_segment_fixed_size: 49152
    .kernarg_segment_align: 8
    .kernarg_segment_size: 136
    .language:       OpenCL C
    .language_version:
      - 2
      - 0
    .max_flat_workgroup_size: 256
    .name:           _ZN12_GLOBAL__N_139chunk_gated_delta_rule_fwd_h_hip_kernelILi32ELb0ELb1ELb0ELb0ELb0ELb0ELb0ELb1EEEvPK12hip_bfloat16S3_S3_PKfS5_PKvPS1_S8_PvPKiSB_iiiiilll
    .private_segment_fixed_size: 0
    .sgpr_count:     70
    .sgpr_spill_count: 0
    .symbol:         _ZN12_GLOBAL__N_139chunk_gated_delta_rule_fwd_h_hip_kernelILi32ELb0ELb1ELb0ELb0ELb0ELb0ELb0ELb1EEEvPK12hip_bfloat16S3_S3_PKfS5_PKvPS1_S8_PvPKiSB_iiiiilll.kd
    .uniform_work_group_size: 1
    .uses_dynamic_stack: false
    .vgpr_count:     148
    .vgpr_spill_count: 0
    .wavefront_size: 64
  - .agpr_count:     20
    .args:
      - .actual_access:  read_only
        .address_space:  global
        .offset:         0
        .size:           8
        .value_kind:     global_buffer
      - .actual_access:  read_only
        .address_space:  global
        .offset:         8
        .size:           8
        .value_kind:     global_buffer
      - .actual_access:  read_only
        .address_space:  global
        .offset:         16
        .size:           8
        .value_kind:     global_buffer
      - .actual_access:  read_only
        .address_space:  global
        .offset:         24
        .size:           8
        .value_kind:     global_buffer
      - .actual_access:  read_only
        .address_space:  global
        .offset:         32
        .size:           8
        .value_kind:     global_buffer
      - .actual_access:  read_only
        .address_space:  global
        .offset:         40
        .size:           8
        .value_kind:     global_buffer
      - .actual_access:  write_only
        .address_space:  global
        .offset:         48
        .size:           8
        .value_kind:     global_buffer
      - .actual_access:  write_only
        .address_space:  global
        .offset:         56
        .size:           8
        .value_kind:     global_buffer
      - .actual_access:  read_only
        .address_space:  global
        .offset:         64
        .size:           8
        .value_kind:     global_buffer
      - .actual_access:  read_only
        .address_space:  global
        .offset:         72
        .size:           8
        .value_kind:     global_buffer
      - .actual_access:  read_only
        .address_space:  global
        .offset:         80
        .size:           8
        .value_kind:     global_buffer
      - .offset:         88
        .size:           4
        .value_kind:     by_value
      - .offset:         92
        .size:           4
        .value_kind:     by_value
      - .offset:         96
        .size:           4
        .value_kind:     by_value
      - .offset:         100
        .size:           4
        .value_kind:     by_value
      - .offset:         104
        .size:           4
        .value_kind:     by_value
      - .offset:         112
        .size:           8
        .value_kind:     by_value
      - .offset:         120
        .size:           8
        .value_kind:     by_value
      - .offset:         128
        .size:           8
        .value_kind:     by_value
    .group_segment_fixed_size: 49152
    .kernarg_segment_align: 8
    .kernarg_segment_size: 136
    .language:       OpenCL C
    .language_version:
      - 2
      - 0
    .max_flat_workgroup_size: 256
    .name:           _ZN12_GLOBAL__N_139chunk_gated_delta_rule_fwd_h_hip_kernelILi32ELb0ELb0ELb1ELb0ELb0ELb0ELb0ELb1EEEvPK12hip_bfloat16S3_S3_PKfS5_PKvPS1_S8_PvPKiSB_iiiiilll
    .private_segment_fixed_size: 0
    .sgpr_count:     72
    .sgpr_spill_count: 0
    .symbol:         _ZN12_GLOBAL__N_139chunk_gated_delta_rule_fwd_h_hip_kernelILi32ELb0ELb0ELb1ELb0ELb0ELb0ELb0ELb1EEEvPK12hip_bfloat16S3_S3_PKfS5_PKvPS1_S8_PvPKiSB_iiiiilll.kd
    .uniform_work_group_size: 1
    .uses_dynamic_stack: false
    .vgpr_count:     156
    .vgpr_spill_count: 0
    .wavefront_size: 64
  - .agpr_count:     20
    .args:
      - .actual_access:  read_only
        .address_space:  global
        .offset:         0
        .size:           8
        .value_kind:     global_buffer
      - .actual_access:  read_only
        .address_space:  global
        .offset:         8
        .size:           8
        .value_kind:     global_buffer
      - .actual_access:  read_only
        .address_space:  global
        .offset:         16
        .size:           8
        .value_kind:     global_buffer
      - .actual_access:  read_only
        .address_space:  global
        .offset:         24
        .size:           8
        .value_kind:     global_buffer
      - .actual_access:  read_only
        .address_space:  global
        .offset:         32
        .size:           8
        .value_kind:     global_buffer
      - .actual_access:  read_only
        .address_space:  global
        .offset:         40
        .size:           8
        .value_kind:     global_buffer
      - .actual_access:  write_only
        .address_space:  global
        .offset:         48
        .size:           8
        .value_kind:     global_buffer
      - .actual_access:  read_only
        .address_space:  global
        .offset:         56
        .size:           8
        .value_kind:     global_buffer
      - .actual_access:  read_only
        .address_space:  global
        .offset:         64
        .size:           8
        .value_kind:     global_buffer
      - .actual_access:  read_only
        .address_space:  global
        .offset:         72
        .size:           8
        .value_kind:     global_buffer
      - .actual_access:  read_only
        .address_space:  global
        .offset:         80
        .size:           8
        .value_kind:     global_buffer
      - .offset:         88
        .size:           4
        .value_kind:     by_value
      - .offset:         92
        .size:           4
        .value_kind:     by_value
      - .offset:         96
        .size:           4
        .value_kind:     by_value
      - .offset:         100
        .size:           4
        .value_kind:     by_value
      - .offset:         104
        .size:           4
        .value_kind:     by_value
      - .offset:         112
        .size:           8
        .value_kind:     by_value
      - .offset:         120
        .size:           8
        .value_kind:     by_value
      - .offset:         128
        .size:           8
        .value_kind:     by_value
    .group_segment_fixed_size: 49152
    .kernarg_segment_align: 8
    .kernarg_segment_size: 136
    .language:       OpenCL C
    .language_version:
      - 2
      - 0
    .max_flat_workgroup_size: 256
    .name:           _ZN12_GLOBAL__N_139chunk_gated_delta_rule_fwd_h_hip_kernelILi32ELb0ELb0ELb0ELb0ELb0ELb0ELb0ELb1EEEvPK12hip_bfloat16S3_S3_PKfS5_PKvPS1_S8_PvPKiSB_iiiiilll
    .private_segment_fixed_size: 0
    .sgpr_count:     68
    .sgpr_spill_count: 0
    .symbol:         _ZN12_GLOBAL__N_139chunk_gated_delta_rule_fwd_h_hip_kernelILi32ELb0ELb0ELb0ELb0ELb0ELb0ELb0ELb1EEEvPK12hip_bfloat16S3_S3_PKfS5_PKvPS1_S8_PvPKiSB_iiiiilll.kd
    .uniform_work_group_size: 1
    .uses_dynamic_stack: false
    .vgpr_count:     152
    .vgpr_spill_count: 0
    .wavefront_size: 64
  - .agpr_count:     20
    .args:
      - .actual_access:  read_only
        .address_space:  global
        .offset:         0
        .size:           8
        .value_kind:     global_buffer
      - .actual_access:  read_only
        .address_space:  global
        .offset:         8
        .size:           8
        .value_kind:     global_buffer
      - .actual_access:  read_only
        .address_space:  global
        .offset:         16
        .size:           8
        .value_kind:     global_buffer
      - .actual_access:  read_only
        .address_space:  global
        .offset:         24
        .size:           8
        .value_kind:     global_buffer
      - .actual_access:  read_only
        .address_space:  global
        .offset:         32
        .size:           8
        .value_kind:     global_buffer
      - .actual_access:  read_only
        .address_space:  global
        .offset:         40
        .size:           8
        .value_kind:     global_buffer
      - .actual_access:  write_only
        .address_space:  global
        .offset:         48
        .size:           8
        .value_kind:     global_buffer
      - .actual_access:  write_only
        .address_space:  global
        .offset:         56
        .size:           8
        .value_kind:     global_buffer
      - .actual_access:  write_only
        .address_space:  global
        .offset:         64
        .size:           8
        .value_kind:     global_buffer
      - .actual_access:  read_only
        .address_space:  global
        .offset:         72
        .size:           8
        .value_kind:     global_buffer
      - .actual_access:  read_only
        .address_space:  global
        .offset:         80
        .size:           8
        .value_kind:     global_buffer
      - .offset:         88
        .size:           4
        .value_kind:     by_value
      - .offset:         92
        .size:           4
        .value_kind:     by_value
      - .offset:         96
        .size:           4
        .value_kind:     by_value
      - .offset:         100
        .size:           4
        .value_kind:     by_value
      - .offset:         104
        .size:           4
        .value_kind:     by_value
      - .offset:         112
        .size:           8
        .value_kind:     by_value
      - .offset:         120
        .size:           8
        .value_kind:     by_value
      - .offset:         128
        .size:           8
        .value_kind:     by_value
    .group_segment_fixed_size: 49152
    .kernarg_segment_align: 8
    .kernarg_segment_size: 136
    .language:       OpenCL C
    .language_version:
      - 2
      - 0
    .max_flat_workgroup_size: 256
    .name:           _ZN12_GLOBAL__N_139chunk_gated_delta_rule_fwd_h_hip_kernelILi32ELb1ELb1ELb1ELb1ELb1ELb1ELb1ELb0EEEvPK12hip_bfloat16S3_S3_PKfS5_PKvPS1_S8_PvPKiSB_iiiiilll
    .private_segment_fixed_size: 0
    .sgpr_count:     76
    .sgpr_spill_count: 0
    .symbol:         _ZN12_GLOBAL__N_139chunk_gated_delta_rule_fwd_h_hip_kernelILi32ELb1ELb1ELb1ELb1ELb1ELb1ELb1ELb0EEEvPK12hip_bfloat16S3_S3_PKfS5_PKvPS1_S8_PvPKiSB_iiiiilll.kd
    .uniform_work_group_size: 1
    .uses_dynamic_stack: false
    .vgpr_count:     168
    .vgpr_spill_count: 0
    .wavefront_size: 64
  - .agpr_count:     20
    .args:
      - .actual_access:  read_only
        .address_space:  global
        .offset:         0
        .size:           8
        .value_kind:     global_buffer
      - .actual_access:  read_only
        .address_space:  global
        .offset:         8
        .size:           8
        .value_kind:     global_buffer
      - .actual_access:  read_only
        .address_space:  global
        .offset:         16
        .size:           8
        .value_kind:     global_buffer
      - .actual_access:  read_only
        .address_space:  global
        .offset:         24
        .size:           8
        .value_kind:     global_buffer
      - .actual_access:  read_only
        .address_space:  global
        .offset:         32
        .size:           8
        .value_kind:     global_buffer
      - .actual_access:  read_only
        .address_space:  global
        .offset:         40
        .size:           8
        .value_kind:     global_buffer
      - .actual_access:  write_only
        .address_space:  global
        .offset:         48
        .size:           8
        .value_kind:     global_buffer
      - .actual_access:  read_only
        .address_space:  global
        .offset:         56
        .size:           8
        .value_kind:     global_buffer
      - .actual_access:  write_only
        .address_space:  global
        .offset:         64
        .size:           8
        .value_kind:     global_buffer
      - .actual_access:  read_only
        .address_space:  global
        .offset:         72
        .size:           8
        .value_kind:     global_buffer
      - .actual_access:  read_only
        .address_space:  global
        .offset:         80
        .size:           8
        .value_kind:     global_buffer
      - .offset:         88
        .size:           4
        .value_kind:     by_value
      - .offset:         92
        .size:           4
        .value_kind:     by_value
      - .offset:         96
        .size:           4
        .value_kind:     by_value
      - .offset:         100
        .size:           4
        .value_kind:     by_value
      - .offset:         104
        .size:           4
        .value_kind:     by_value
      - .offset:         112
        .size:           8
        .value_kind:     by_value
      - .offset:         120
        .size:           8
        .value_kind:     by_value
      - .offset:         128
        .size:           8
        .value_kind:     by_value
    .group_segment_fixed_size: 49152
    .kernarg_segment_align: 8
    .kernarg_segment_size: 136
    .language:       OpenCL C
    .language_version:
      - 2
      - 0
    .max_flat_workgroup_size: 256
    .name:           _ZN12_GLOBAL__N_139chunk_gated_delta_rule_fwd_h_hip_kernelILi32ELb1ELb1ELb0ELb1ELb1ELb1ELb1ELb0EEEvPK12hip_bfloat16S3_S3_PKfS5_PKvPS1_S8_PvPKiSB_iiiiilll
    .private_segment_fixed_size: 0
    .sgpr_count:     72
    .sgpr_spill_count: 0
    .symbol:         _ZN12_GLOBAL__N_139chunk_gated_delta_rule_fwd_h_hip_kernelILi32ELb1ELb1ELb0ELb1ELb1ELb1ELb1ELb0EEEvPK12hip_bfloat16S3_S3_PKfS5_PKvPS1_S8_PvPKiSB_iiiiilll.kd
    .uniform_work_group_size: 1
    .uses_dynamic_stack: false
    .vgpr_count:     164
    .vgpr_spill_count: 0
    .wavefront_size: 64
  - .agpr_count:     20
    .args:
      - .actual_access:  read_only
        .address_space:  global
        .offset:         0
        .size:           8
        .value_kind:     global_buffer
      - .actual_access:  read_only
        .address_space:  global
        .offset:         8
        .size:           8
        .value_kind:     global_buffer
      - .actual_access:  read_only
        .address_space:  global
        .offset:         16
        .size:           8
        .value_kind:     global_buffer
      - .actual_access:  read_only
        .address_space:  global
        .offset:         24
        .size:           8
        .value_kind:     global_buffer
      - .actual_access:  read_only
        .address_space:  global
        .offset:         32
        .size:           8
        .value_kind:     global_buffer
      - .actual_access:  read_only
        .address_space:  global
        .offset:         40
        .size:           8
        .value_kind:     global_buffer
      - .actual_access:  write_only
        .address_space:  global
        .offset:         48
        .size:           8
        .value_kind:     global_buffer
      - .actual_access:  write_only
        .address_space:  global
        .offset:         56
        .size:           8
        .value_kind:     global_buffer
      - .actual_access:  read_only
        .address_space:  global
        .offset:         64
        .size:           8
        .value_kind:     global_buffer
      - .actual_access:  read_only
        .address_space:  global
        .offset:         72
        .size:           8
        .value_kind:     global_buffer
      - .actual_access:  read_only
        .address_space:  global
        .offset:         80
        .size:           8
        .value_kind:     global_buffer
      - .offset:         88
        .size:           4
        .value_kind:     by_value
      - .offset:         92
        .size:           4
        .value_kind:     by_value
      - .offset:         96
        .size:           4
        .value_kind:     by_value
      - .offset:         100
        .size:           4
        .value_kind:     by_value
      - .offset:         104
        .size:           4
        .value_kind:     by_value
      - .offset:         112
        .size:           8
        .value_kind:     by_value
      - .offset:         120
        .size:           8
        .value_kind:     by_value
      - .offset:         128
        .size:           8
        .value_kind:     by_value
    .group_segment_fixed_size: 49152
    .kernarg_segment_align: 8
    .kernarg_segment_size: 136
    .language:       OpenCL C
    .language_version:
      - 2
      - 0
    .max_flat_workgroup_size: 256
    .name:           _ZN12_GLOBAL__N_139chunk_gated_delta_rule_fwd_h_hip_kernelILi32ELb1ELb0ELb1ELb1ELb1ELb1ELb1ELb0EEEvPK12hip_bfloat16S3_S3_PKfS5_PKvPS1_S8_PvPKiSB_iiiiilll
    .private_segment_fixed_size: 0
    .sgpr_count:     70
    .sgpr_spill_count: 0
    .symbol:         _ZN12_GLOBAL__N_139chunk_gated_delta_rule_fwd_h_hip_kernelILi32ELb1ELb0ELb1ELb1ELb1ELb1ELb1ELb0EEEvPK12hip_bfloat16S3_S3_PKfS5_PKvPS1_S8_PvPKiSB_iiiiilll.kd
    .uniform_work_group_size: 1
    .uses_dynamic_stack: false
    .vgpr_count:     164
    .vgpr_spill_count: 0
    .wavefront_size: 64
  - .agpr_count:     20
    .args:
      - .actual_access:  read_only
        .address_space:  global
        .offset:         0
        .size:           8
        .value_kind:     global_buffer
      - .actual_access:  read_only
        .address_space:  global
        .offset:         8
        .size:           8
        .value_kind:     global_buffer
      - .actual_access:  read_only
        .address_space:  global
        .offset:         16
        .size:           8
        .value_kind:     global_buffer
      - .actual_access:  read_only
        .address_space:  global
        .offset:         24
        .size:           8
        .value_kind:     global_buffer
      - .actual_access:  read_only
        .address_space:  global
        .offset:         32
        .size:           8
        .value_kind:     global_buffer
      - .actual_access:  read_only
        .address_space:  global
        .offset:         40
        .size:           8
        .value_kind:     global_buffer
      - .actual_access:  write_only
        .address_space:  global
        .offset:         48
        .size:           8
        .value_kind:     global_buffer
      - .actual_access:  read_only
        .address_space:  global
        .offset:         56
        .size:           8
        .value_kind:     global_buffer
      - .actual_access:  read_only
        .address_space:  global
        .offset:         64
        .size:           8
        .value_kind:     global_buffer
      - .actual_access:  read_only
        .address_space:  global
        .offset:         72
        .size:           8
        .value_kind:     global_buffer
      - .actual_access:  read_only
        .address_space:  global
        .offset:         80
        .size:           8
        .value_kind:     global_buffer
      - .offset:         88
        .size:           4
        .value_kind:     by_value
      - .offset:         92
        .size:           4
        .value_kind:     by_value
      - .offset:         96
        .size:           4
        .value_kind:     by_value
      - .offset:         100
        .size:           4
        .value_kind:     by_value
      - .offset:         104
        .size:           4
        .value_kind:     by_value
      - .offset:         112
        .size:           8
        .value_kind:     by_value
      - .offset:         120
        .size:           8
        .value_kind:     by_value
      - .offset:         128
        .size:           8
        .value_kind:     by_value
    .group_segment_fixed_size: 49152
    .kernarg_segment_align: 8
    .kernarg_segment_size: 136
    .language:       OpenCL C
    .language_version:
      - 2
      - 0
    .max_flat_workgroup_size: 256
    .name:           _ZN12_GLOBAL__N_139chunk_gated_delta_rule_fwd_h_hip_kernelILi32ELb1ELb0ELb0ELb1ELb1ELb1ELb1ELb0EEEvPK12hip_bfloat16S3_S3_PKfS5_PKvPS1_S8_PvPKiSB_iiiiilll
    .private_segment_fixed_size: 0
    .sgpr_count:     68
    .sgpr_spill_count: 0
    .symbol:         _ZN12_GLOBAL__N_139chunk_gated_delta_rule_fwd_h_hip_kernelILi32ELb1ELb0ELb0ELb1ELb1ELb1ELb1ELb0EEEvPK12hip_bfloat16S3_S3_PKfS5_PKvPS1_S8_PvPKiSB_iiiiilll.kd
    .uniform_work_group_size: 1
    .uses_dynamic_stack: false
    .vgpr_count:     160
    .vgpr_spill_count: 0
    .wavefront_size: 64
  - .agpr_count:     20
    .args:
      - .actual_access:  read_only
        .address_space:  global
        .offset:         0
        .size:           8
        .value_kind:     global_buffer
      - .actual_access:  read_only
        .address_space:  global
        .offset:         8
        .size:           8
        .value_kind:     global_buffer
      - .actual_access:  read_only
        .address_space:  global
        .offset:         16
        .size:           8
        .value_kind:     global_buffer
      - .actual_access:  read_only
        .address_space:  global
        .offset:         24
        .size:           8
        .value_kind:     global_buffer
      - .actual_access:  read_only
        .address_space:  global
        .offset:         32
        .size:           8
        .value_kind:     global_buffer
      - .actual_access:  read_only
        .address_space:  global
        .offset:         40
        .size:           8
        .value_kind:     global_buffer
      - .actual_access:  write_only
        .address_space:  global
        .offset:         48
        .size:           8
        .value_kind:     global_buffer
      - .actual_access:  write_only
        .address_space:  global
        .offset:         56
        .size:           8
        .value_kind:     global_buffer
      - .actual_access:  write_only
        .address_space:  global
        .offset:         64
        .size:           8
        .value_kind:     global_buffer
      - .actual_access:  read_only
        .address_space:  global
        .offset:         72
        .size:           8
        .value_kind:     global_buffer
      - .actual_access:  read_only
        .address_space:  global
        .offset:         80
        .size:           8
        .value_kind:     global_buffer
      - .offset:         88
        .size:           4
        .value_kind:     by_value
      - .offset:         92
        .size:           4
        .value_kind:     by_value
      - .offset:         96
        .size:           4
        .value_kind:     by_value
      - .offset:         100
        .size:           4
        .value_kind:     by_value
      - .offset:         104
        .size:           4
        .value_kind:     by_value
      - .offset:         112
        .size:           8
        .value_kind:     by_value
      - .offset:         120
        .size:           8
        .value_kind:     by_value
      - .offset:         128
        .size:           8
        .value_kind:     by_value
    .group_segment_fixed_size: 49152
    .kernarg_segment_align: 8
    .kernarg_segment_size: 136
    .language:       OpenCL C
    .language_version:
      - 2
      - 0
    .max_flat_workgroup_size: 256
    .name:           _ZN12_GLOBAL__N_139chunk_gated_delta_rule_fwd_h_hip_kernelILi32ELb0ELb1ELb1ELb1ELb1ELb1ELb1ELb0EEEvPK12hip_bfloat16S3_S3_PKfS5_PKvPS1_S8_PvPKiSB_iiiiilll
    .private_segment_fixed_size: 0
    .sgpr_count:     76
    .sgpr_spill_count: 0
    .symbol:         _ZN12_GLOBAL__N_139chunk_gated_delta_rule_fwd_h_hip_kernelILi32ELb0ELb1ELb1ELb1ELb1ELb1ELb1ELb0EEEvPK12hip_bfloat16S3_S3_PKfS5_PKvPS1_S8_PvPKiSB_iiiiilll.kd
    .uniform_work_group_size: 1
    .uses_dynamic_stack: false
    .vgpr_count:     164
    .vgpr_spill_count: 0
    .wavefront_size: 64
  - .agpr_count:     20
    .args:
      - .actual_access:  read_only
        .address_space:  global
        .offset:         0
        .size:           8
        .value_kind:     global_buffer
      - .actual_access:  read_only
        .address_space:  global
        .offset:         8
        .size:           8
        .value_kind:     global_buffer
      - .actual_access:  read_only
        .address_space:  global
        .offset:         16
        .size:           8
        .value_kind:     global_buffer
      - .actual_access:  read_only
        .address_space:  global
        .offset:         24
        .size:           8
        .value_kind:     global_buffer
      - .actual_access:  read_only
        .address_space:  global
        .offset:         32
        .size:           8
        .value_kind:     global_buffer
      - .actual_access:  read_only
        .address_space:  global
        .offset:         40
        .size:           8
        .value_kind:     global_buffer
      - .actual_access:  write_only
        .address_space:  global
        .offset:         48
        .size:           8
        .value_kind:     global_buffer
      - .actual_access:  read_only
        .address_space:  global
        .offset:         56
        .size:           8
        .value_kind:     global_buffer
      - .actual_access:  write_only
        .address_space:  global
        .offset:         64
        .size:           8
        .value_kind:     global_buffer
      - .actual_access:  read_only
        .address_space:  global
        .offset:         72
        .size:           8
        .value_kind:     global_buffer
      - .actual_access:  read_only
        .address_space:  global
        .offset:         80
        .size:           8
        .value_kind:     global_buffer
      - .offset:         88
        .size:           4
        .value_kind:     by_value
      - .offset:         92
        .size:           4
        .value_kind:     by_value
      - .offset:         96
        .size:           4
        .value_kind:     by_value
      - .offset:         100
        .size:           4
        .value_kind:     by_value
      - .offset:         104
        .size:           4
        .value_kind:     by_value
      - .offset:         112
        .size:           8
        .value_kind:     by_value
      - .offset:         120
        .size:           8
        .value_kind:     by_value
      - .offset:         128
        .size:           8
        .value_kind:     by_value
    .group_segment_fixed_size: 49152
    .kernarg_segment_align: 8
    .kernarg_segment_size: 136
    .language:       OpenCL C
    .language_version:
      - 2
      - 0
    .max_flat_workgroup_size: 256
    .name:           _ZN12_GLOBAL__N_139chunk_gated_delta_rule_fwd_h_hip_kernelILi32ELb0ELb1ELb0ELb1ELb1ELb1ELb1ELb0EEEvPK12hip_bfloat16S3_S3_PKfS5_PKvPS1_S8_PvPKiSB_iiiiilll
    .private_segment_fixed_size: 0
    .sgpr_count:     72
    .sgpr_spill_count: 0
    .symbol:         _ZN12_GLOBAL__N_139chunk_gated_delta_rule_fwd_h_hip_kernelILi32ELb0ELb1ELb0ELb1ELb1ELb1ELb1ELb0EEEvPK12hip_bfloat16S3_S3_PKfS5_PKvPS1_S8_PvPKiSB_iiiiilll.kd
    .uniform_work_group_size: 1
    .uses_dynamic_stack: false
    .vgpr_count:     160
    .vgpr_spill_count: 0
    .wavefront_size: 64
  - .agpr_count:     20
    .args:
      - .actual_access:  read_only
        .address_space:  global
        .offset:         0
        .size:           8
        .value_kind:     global_buffer
      - .actual_access:  read_only
        .address_space:  global
        .offset:         8
        .size:           8
        .value_kind:     global_buffer
      - .actual_access:  read_only
        .address_space:  global
        .offset:         16
        .size:           8
        .value_kind:     global_buffer
      - .actual_access:  read_only
        .address_space:  global
        .offset:         24
        .size:           8
        .value_kind:     global_buffer
      - .actual_access:  read_only
        .address_space:  global
        .offset:         32
        .size:           8
        .value_kind:     global_buffer
      - .actual_access:  read_only
        .address_space:  global
        .offset:         40
        .size:           8
        .value_kind:     global_buffer
      - .actual_access:  write_only
        .address_space:  global
        .offset:         48
        .size:           8
        .value_kind:     global_buffer
      - .actual_access:  write_only
        .address_space:  global
        .offset:         56
        .size:           8
        .value_kind:     global_buffer
      - .actual_access:  read_only
        .address_space:  global
        .offset:         64
        .size:           8
        .value_kind:     global_buffer
      - .actual_access:  read_only
        .address_space:  global
        .offset:         72
        .size:           8
        .value_kind:     global_buffer
      - .actual_access:  read_only
        .address_space:  global
        .offset:         80
        .size:           8
        .value_kind:     global_buffer
      - .offset:         88
        .size:           4
        .value_kind:     by_value
      - .offset:         92
        .size:           4
        .value_kind:     by_value
      - .offset:         96
        .size:           4
        .value_kind:     by_value
      - .offset:         100
        .size:           4
        .value_kind:     by_value
      - .offset:         104
        .size:           4
        .value_kind:     by_value
      - .offset:         112
        .size:           8
        .value_kind:     by_value
      - .offset:         120
        .size:           8
        .value_kind:     by_value
      - .offset:         128
        .size:           8
        .value_kind:     by_value
    .group_segment_fixed_size: 49152
    .kernarg_segment_align: 8
    .kernarg_segment_size: 136
    .language:       OpenCL C
    .language_version:
      - 2
      - 0
    .max_flat_workgroup_size: 256
    .name:           _ZN12_GLOBAL__N_139chunk_gated_delta_rule_fwd_h_hip_kernelILi32ELb0ELb0ELb1ELb1ELb1ELb1ELb1ELb0EEEvPK12hip_bfloat16S3_S3_PKfS5_PKvPS1_S8_PvPKiSB_iiiiilll
    .private_segment_fixed_size: 0
    .sgpr_count:     69
    .sgpr_spill_count: 0
    .symbol:         _ZN12_GLOBAL__N_139chunk_gated_delta_rule_fwd_h_hip_kernelILi32ELb0ELb0ELb1ELb1ELb1ELb1ELb1ELb0EEEvPK12hip_bfloat16S3_S3_PKfS5_PKvPS1_S8_PvPKiSB_iiiiilll.kd
    .uniform_work_group_size: 1
    .uses_dynamic_stack: false
    .vgpr_count:     164
    .vgpr_spill_count: 0
    .wavefront_size: 64
  - .agpr_count:     20
    .args:
      - .actual_access:  read_only
        .address_space:  global
        .offset:         0
        .size:           8
        .value_kind:     global_buffer
      - .actual_access:  read_only
        .address_space:  global
        .offset:         8
        .size:           8
        .value_kind:     global_buffer
      - .actual_access:  read_only
        .address_space:  global
        .offset:         16
        .size:           8
        .value_kind:     global_buffer
      - .actual_access:  read_only
        .address_space:  global
        .offset:         24
        .size:           8
        .value_kind:     global_buffer
      - .actual_access:  read_only
        .address_space:  global
        .offset:         32
        .size:           8
        .value_kind:     global_buffer
      - .actual_access:  read_only
        .address_space:  global
        .offset:         40
        .size:           8
        .value_kind:     global_buffer
      - .actual_access:  write_only
        .address_space:  global
        .offset:         48
        .size:           8
        .value_kind:     global_buffer
      - .actual_access:  read_only
        .address_space:  global
        .offset:         56
        .size:           8
        .value_kind:     global_buffer
      - .actual_access:  read_only
        .address_space:  global
        .offset:         64
        .size:           8
        .value_kind:     global_buffer
      - .actual_access:  read_only
        .address_space:  global
        .offset:         72
        .size:           8
        .value_kind:     global_buffer
      - .actual_access:  read_only
        .address_space:  global
        .offset:         80
        .size:           8
        .value_kind:     global_buffer
      - .offset:         88
        .size:           4
        .value_kind:     by_value
      - .offset:         92
        .size:           4
        .value_kind:     by_value
      - .offset:         96
        .size:           4
        .value_kind:     by_value
      - .offset:         100
        .size:           4
        .value_kind:     by_value
      - .offset:         104
        .size:           4
        .value_kind:     by_value
      - .offset:         112
        .size:           8
        .value_kind:     by_value
      - .offset:         120
        .size:           8
        .value_kind:     by_value
      - .offset:         128
        .size:           8
        .value_kind:     by_value
    .group_segment_fixed_size: 49152
    .kernarg_segment_align: 8
    .kernarg_segment_size: 136
    .language:       OpenCL C
    .language_version:
      - 2
      - 0
    .max_flat_workgroup_size: 256
    .name:           _ZN12_GLOBAL__N_139chunk_gated_delta_rule_fwd_h_hip_kernelILi32ELb0ELb0ELb0ELb1ELb1ELb1ELb1ELb0EEEvPK12hip_bfloat16S3_S3_PKfS5_PKvPS1_S8_PvPKiSB_iiiiilll
    .private_segment_fixed_size: 0
    .sgpr_count:     67
    .sgpr_spill_count: 0
    .symbol:         _ZN12_GLOBAL__N_139chunk_gated_delta_rule_fwd_h_hip_kernelILi32ELb0ELb0ELb0ELb1ELb1ELb1ELb1ELb0EEEvPK12hip_bfloat16S3_S3_PKfS5_PKvPS1_S8_PvPKiSB_iiiiilll.kd
    .uniform_work_group_size: 1
    .uses_dynamic_stack: false
    .vgpr_count:     160
    .vgpr_spill_count: 0
    .wavefront_size: 64
  - .agpr_count:     20
    .args:
      - .actual_access:  read_only
        .address_space:  global
        .offset:         0
        .size:           8
        .value_kind:     global_buffer
      - .actual_access:  read_only
        .address_space:  global
        .offset:         8
        .size:           8
        .value_kind:     global_buffer
      - .actual_access:  read_only
        .address_space:  global
        .offset:         16
        .size:           8
        .value_kind:     global_buffer
      - .actual_access:  read_only
        .address_space:  global
        .offset:         24
        .size:           8
        .value_kind:     global_buffer
      - .actual_access:  read_only
        .address_space:  global
        .offset:         32
        .size:           8
        .value_kind:     global_buffer
      - .actual_access:  read_only
        .address_space:  global
        .offset:         40
        .size:           8
        .value_kind:     global_buffer
      - .actual_access:  write_only
        .address_space:  global
        .offset:         48
        .size:           8
        .value_kind:     global_buffer
      - .actual_access:  write_only
        .address_space:  global
        .offset:         56
        .size:           8
        .value_kind:     global_buffer
      - .actual_access:  write_only
        .address_space:  global
        .offset:         64
        .size:           8
        .value_kind:     global_buffer
      - .actual_access:  read_only
        .address_space:  global
        .offset:         72
        .size:           8
        .value_kind:     global_buffer
      - .actual_access:  read_only
        .address_space:  global
        .offset:         80
        .size:           8
        .value_kind:     global_buffer
      - .offset:         88
        .size:           4
        .value_kind:     by_value
      - .offset:         92
        .size:           4
        .value_kind:     by_value
      - .offset:         96
        .size:           4
        .value_kind:     by_value
      - .offset:         100
        .size:           4
        .value_kind:     by_value
      - .offset:         104
        .size:           4
        .value_kind:     by_value
      - .offset:         112
        .size:           8
        .value_kind:     by_value
      - .offset:         120
        .size:           8
        .value_kind:     by_value
      - .offset:         128
        .size:           8
        .value_kind:     by_value
    .group_segment_fixed_size: 49152
    .kernarg_segment_align: 8
    .kernarg_segment_size: 136
    .language:       OpenCL C
    .language_version:
      - 2
      - 0
    .max_flat_workgroup_size: 256
    .name:           _ZN12_GLOBAL__N_139chunk_gated_delta_rule_fwd_h_hip_kernelILi32ELb1ELb1ELb1ELb0ELb1ELb1ELb1ELb0EEEvPK12hip_bfloat16S3_S3_PKfS5_PKvPS1_S8_PvPKiSB_iiiiilll
    .private_segment_fixed_size: 0
    .sgpr_count:     82
    .sgpr_spill_count: 0
    .symbol:         _ZN12_GLOBAL__N_139chunk_gated_delta_rule_fwd_h_hip_kernelILi32ELb1ELb1ELb1ELb0ELb1ELb1ELb1ELb0EEEvPK12hip_bfloat16S3_S3_PKfS5_PKvPS1_S8_PvPKiSB_iiiiilll.kd
    .uniform_work_group_size: 1
    .uses_dynamic_stack: false
    .vgpr_count:     168
    .vgpr_spill_count: 0
    .wavefront_size: 64
  - .agpr_count:     20
    .args:
      - .actual_access:  read_only
        .address_space:  global
        .offset:         0
        .size:           8
        .value_kind:     global_buffer
      - .actual_access:  read_only
        .address_space:  global
        .offset:         8
        .size:           8
        .value_kind:     global_buffer
      - .actual_access:  read_only
        .address_space:  global
        .offset:         16
        .size:           8
        .value_kind:     global_buffer
      - .actual_access:  read_only
        .address_space:  global
        .offset:         24
        .size:           8
        .value_kind:     global_buffer
      - .actual_access:  read_only
        .address_space:  global
        .offset:         32
        .size:           8
        .value_kind:     global_buffer
      - .actual_access:  read_only
        .address_space:  global
        .offset:         40
        .size:           8
        .value_kind:     global_buffer
      - .actual_access:  write_only
        .address_space:  global
        .offset:         48
        .size:           8
        .value_kind:     global_buffer
      - .actual_access:  read_only
        .address_space:  global
        .offset:         56
        .size:           8
        .value_kind:     global_buffer
      - .actual_access:  write_only
        .address_space:  global
        .offset:         64
        .size:           8
        .value_kind:     global_buffer
      - .actual_access:  read_only
        .address_space:  global
        .offset:         72
        .size:           8
        .value_kind:     global_buffer
      - .actual_access:  read_only
        .address_space:  global
        .offset:         80
        .size:           8
        .value_kind:     global_buffer
      - .offset:         88
        .size:           4
        .value_kind:     by_value
      - .offset:         92
        .size:           4
        .value_kind:     by_value
      - .offset:         96
        .size:           4
        .value_kind:     by_value
      - .offset:         100
        .size:           4
        .value_kind:     by_value
      - .offset:         104
        .size:           4
        .value_kind:     by_value
      - .offset:         112
        .size:           8
        .value_kind:     by_value
      - .offset:         120
        .size:           8
        .value_kind:     by_value
      - .offset:         128
        .size:           8
        .value_kind:     by_value
    .group_segment_fixed_size: 49152
    .kernarg_segment_align: 8
    .kernarg_segment_size: 136
    .language:       OpenCL C
    .language_version:
      - 2
      - 0
    .max_flat_workgroup_size: 256
    .name:           _ZN12_GLOBAL__N_139chunk_gated_delta_rule_fwd_h_hip_kernelILi32ELb1ELb1ELb0ELb0ELb1ELb1ELb1ELb0EEEvPK12hip_bfloat16S3_S3_PKfS5_PKvPS1_S8_PvPKiSB_iiiiilll
    .private_segment_fixed_size: 0
    .sgpr_count:     78
    .sgpr_spill_count: 0
    .symbol:         _ZN12_GLOBAL__N_139chunk_gated_delta_rule_fwd_h_hip_kernelILi32ELb1ELb1ELb0ELb0ELb1ELb1ELb1ELb0EEEvPK12hip_bfloat16S3_S3_PKfS5_PKvPS1_S8_PvPKiSB_iiiiilll.kd
    .uniform_work_group_size: 1
    .uses_dynamic_stack: false
    .vgpr_count:     164
    .vgpr_spill_count: 0
    .wavefront_size: 64
  - .agpr_count:     20
    .args:
      - .actual_access:  read_only
        .address_space:  global
        .offset:         0
        .size:           8
        .value_kind:     global_buffer
      - .actual_access:  read_only
        .address_space:  global
        .offset:         8
        .size:           8
        .value_kind:     global_buffer
      - .actual_access:  read_only
        .address_space:  global
        .offset:         16
        .size:           8
        .value_kind:     global_buffer
      - .actual_access:  read_only
        .address_space:  global
        .offset:         24
        .size:           8
        .value_kind:     global_buffer
      - .actual_access:  read_only
        .address_space:  global
        .offset:         32
        .size:           8
        .value_kind:     global_buffer
      - .actual_access:  read_only
        .address_space:  global
        .offset:         40
        .size:           8
        .value_kind:     global_buffer
      - .actual_access:  write_only
        .address_space:  global
        .offset:         48
        .size:           8
        .value_kind:     global_buffer
      - .actual_access:  write_only
        .address_space:  global
        .offset:         56
        .size:           8
        .value_kind:     global_buffer
      - .actual_access:  read_only
        .address_space:  global
        .offset:         64
        .size:           8
        .value_kind:     global_buffer
      - .actual_access:  read_only
        .address_space:  global
        .offset:         72
        .size:           8
        .value_kind:     global_buffer
      - .actual_access:  read_only
        .address_space:  global
        .offset:         80
        .size:           8
        .value_kind:     global_buffer
      - .offset:         88
        .size:           4
        .value_kind:     by_value
      - .offset:         92
        .size:           4
        .value_kind:     by_value
      - .offset:         96
        .size:           4
        .value_kind:     by_value
      - .offset:         100
        .size:           4
        .value_kind:     by_value
      - .offset:         104
        .size:           4
        .value_kind:     by_value
      - .offset:         112
        .size:           8
        .value_kind:     by_value
      - .offset:         120
        .size:           8
        .value_kind:     by_value
      - .offset:         128
        .size:           8
        .value_kind:     by_value
    .group_segment_fixed_size: 49152
    .kernarg_segment_align: 8
    .kernarg_segment_size: 136
    .language:       OpenCL C
    .language_version:
      - 2
      - 0
    .max_flat_workgroup_size: 256
    .name:           _ZN12_GLOBAL__N_139chunk_gated_delta_rule_fwd_h_hip_kernelILi32ELb1ELb0ELb1ELb0ELb1ELb1ELb1ELb0EEEvPK12hip_bfloat16S3_S3_PKfS5_PKvPS1_S8_PvPKiSB_iiiiilll
    .private_segment_fixed_size: 0
    .sgpr_count:     76
    .sgpr_spill_count: 0
    .symbol:         _ZN12_GLOBAL__N_139chunk_gated_delta_rule_fwd_h_hip_kernelILi32ELb1ELb0ELb1ELb0ELb1ELb1ELb1ELb0EEEvPK12hip_bfloat16S3_S3_PKfS5_PKvPS1_S8_PvPKiSB_iiiiilll.kd
    .uniform_work_group_size: 1
    .uses_dynamic_stack: false
    .vgpr_count:     164
    .vgpr_spill_count: 0
    .wavefront_size: 64
  - .agpr_count:     20
    .args:
      - .actual_access:  read_only
        .address_space:  global
        .offset:         0
        .size:           8
        .value_kind:     global_buffer
      - .actual_access:  read_only
        .address_space:  global
        .offset:         8
        .size:           8
        .value_kind:     global_buffer
      - .actual_access:  read_only
        .address_space:  global
        .offset:         16
        .size:           8
        .value_kind:     global_buffer
      - .actual_access:  read_only
        .address_space:  global
        .offset:         24
        .size:           8
        .value_kind:     global_buffer
      - .actual_access:  read_only
        .address_space:  global
        .offset:         32
        .size:           8
        .value_kind:     global_buffer
      - .actual_access:  read_only
        .address_space:  global
        .offset:         40
        .size:           8
        .value_kind:     global_buffer
      - .actual_access:  write_only
        .address_space:  global
        .offset:         48
        .size:           8
        .value_kind:     global_buffer
      - .actual_access:  read_only
        .address_space:  global
        .offset:         56
        .size:           8
        .value_kind:     global_buffer
      - .actual_access:  read_only
        .address_space:  global
        .offset:         64
        .size:           8
        .value_kind:     global_buffer
      - .actual_access:  read_only
        .address_space:  global
        .offset:         72
        .size:           8
        .value_kind:     global_buffer
      - .actual_access:  read_only
        .address_space:  global
        .offset:         80
        .size:           8
        .value_kind:     global_buffer
      - .offset:         88
        .size:           4
        .value_kind:     by_value
      - .offset:         92
        .size:           4
        .value_kind:     by_value
      - .offset:         96
        .size:           4
        .value_kind:     by_value
      - .offset:         100
        .size:           4
        .value_kind:     by_value
      - .offset:         104
        .size:           4
        .value_kind:     by_value
      - .offset:         112
        .size:           8
        .value_kind:     by_value
      - .offset:         120
        .size:           8
        .value_kind:     by_value
      - .offset:         128
        .size:           8
        .value_kind:     by_value
    .group_segment_fixed_size: 49152
    .kernarg_segment_align: 8
    .kernarg_segment_size: 136
    .language:       OpenCL C
    .language_version:
      - 2
      - 0
    .max_flat_workgroup_size: 256
    .name:           _ZN12_GLOBAL__N_139chunk_gated_delta_rule_fwd_h_hip_kernelILi32ELb1ELb0ELb0ELb0ELb1ELb1ELb1ELb0EEEvPK12hip_bfloat16S3_S3_PKfS5_PKvPS1_S8_PvPKiSB_iiiiilll
    .private_segment_fixed_size: 0
    .sgpr_count:     74
    .sgpr_spill_count: 0
    .symbol:         _ZN12_GLOBAL__N_139chunk_gated_delta_rule_fwd_h_hip_kernelILi32ELb1ELb0ELb0ELb0ELb1ELb1ELb1ELb0EEEvPK12hip_bfloat16S3_S3_PKfS5_PKvPS1_S8_PvPKiSB_iiiiilll.kd
    .uniform_work_group_size: 1
    .uses_dynamic_stack: false
    .vgpr_count:     160
    .vgpr_spill_count: 0
    .wavefront_size: 64
  - .agpr_count:     20
    .args:
      - .actual_access:  read_only
        .address_space:  global
        .offset:         0
        .size:           8
        .value_kind:     global_buffer
      - .actual_access:  read_only
        .address_space:  global
        .offset:         8
        .size:           8
        .value_kind:     global_buffer
      - .actual_access:  read_only
        .address_space:  global
        .offset:         16
        .size:           8
        .value_kind:     global_buffer
      - .actual_access:  read_only
        .address_space:  global
        .offset:         24
        .size:           8
        .value_kind:     global_buffer
      - .actual_access:  read_only
        .address_space:  global
        .offset:         32
        .size:           8
        .value_kind:     global_buffer
      - .actual_access:  read_only
        .address_space:  global
        .offset:         40
        .size:           8
        .value_kind:     global_buffer
      - .actual_access:  write_only
        .address_space:  global
        .offset:         48
        .size:           8
        .value_kind:     global_buffer
      - .actual_access:  write_only
        .address_space:  global
        .offset:         56
        .size:           8
        .value_kind:     global_buffer
      - .actual_access:  write_only
        .address_space:  global
        .offset:         64
        .size:           8
        .value_kind:     global_buffer
      - .actual_access:  read_only
        .address_space:  global
        .offset:         72
        .size:           8
        .value_kind:     global_buffer
      - .actual_access:  read_only
        .address_space:  global
        .offset:         80
        .size:           8
        .value_kind:     global_buffer
      - .offset:         88
        .size:           4
        .value_kind:     by_value
      - .offset:         92
        .size:           4
        .value_kind:     by_value
      - .offset:         96
        .size:           4
        .value_kind:     by_value
      - .offset:         100
        .size:           4
        .value_kind:     by_value
      - .offset:         104
        .size:           4
        .value_kind:     by_value
      - .offset:         112
        .size:           8
        .value_kind:     by_value
      - .offset:         120
        .size:           8
        .value_kind:     by_value
      - .offset:         128
        .size:           8
        .value_kind:     by_value
    .group_segment_fixed_size: 49152
    .kernarg_segment_align: 8
    .kernarg_segment_size: 136
    .language:       OpenCL C
    .language_version:
      - 2
      - 0
    .max_flat_workgroup_size: 256
    .name:           _ZN12_GLOBAL__N_139chunk_gated_delta_rule_fwd_h_hip_kernelILi32ELb0ELb1ELb1ELb0ELb1ELb1ELb1ELb0EEEvPK12hip_bfloat16S3_S3_PKfS5_PKvPS1_S8_PvPKiSB_iiiiilll
    .private_segment_fixed_size: 0
    .sgpr_count:     78
    .sgpr_spill_count: 0
    .symbol:         _ZN12_GLOBAL__N_139chunk_gated_delta_rule_fwd_h_hip_kernelILi32ELb0ELb1ELb1ELb0ELb1ELb1ELb1ELb0EEEvPK12hip_bfloat16S3_S3_PKfS5_PKvPS1_S8_PvPKiSB_iiiiilll.kd
    .uniform_work_group_size: 1
    .uses_dynamic_stack: false
    .vgpr_count:     164
    .vgpr_spill_count: 0
    .wavefront_size: 64
  - .agpr_count:     20
    .args:
      - .actual_access:  read_only
        .address_space:  global
        .offset:         0
        .size:           8
        .value_kind:     global_buffer
      - .actual_access:  read_only
        .address_space:  global
        .offset:         8
        .size:           8
        .value_kind:     global_buffer
      - .actual_access:  read_only
        .address_space:  global
        .offset:         16
        .size:           8
        .value_kind:     global_buffer
      - .actual_access:  read_only
        .address_space:  global
        .offset:         24
        .size:           8
        .value_kind:     global_buffer
      - .actual_access:  read_only
        .address_space:  global
        .offset:         32
        .size:           8
        .value_kind:     global_buffer
      - .actual_access:  read_only
        .address_space:  global
        .offset:         40
        .size:           8
        .value_kind:     global_buffer
      - .actual_access:  write_only
        .address_space:  global
        .offset:         48
        .size:           8
        .value_kind:     global_buffer
      - .actual_access:  read_only
        .address_space:  global
        .offset:         56
        .size:           8
        .value_kind:     global_buffer
      - .actual_access:  write_only
        .address_space:  global
        .offset:         64
        .size:           8
        .value_kind:     global_buffer
      - .actual_access:  read_only
        .address_space:  global
        .offset:         72
        .size:           8
        .value_kind:     global_buffer
      - .actual_access:  read_only
        .address_space:  global
        .offset:         80
        .size:           8
        .value_kind:     global_buffer
      - .offset:         88
        .size:           4
        .value_kind:     by_value
      - .offset:         92
        .size:           4
        .value_kind:     by_value
      - .offset:         96
        .size:           4
        .value_kind:     by_value
      - .offset:         100
        .size:           4
        .value_kind:     by_value
      - .offset:         104
        .size:           4
        .value_kind:     by_value
      - .offset:         112
        .size:           8
        .value_kind:     by_value
      - .offset:         120
        .size:           8
        .value_kind:     by_value
      - .offset:         128
        .size:           8
        .value_kind:     by_value
    .group_segment_fixed_size: 49152
    .kernarg_segment_align: 8
    .kernarg_segment_size: 136
    .language:       OpenCL C
    .language_version:
      - 2
      - 0
    .max_flat_workgroup_size: 256
    .name:           _ZN12_GLOBAL__N_139chunk_gated_delta_rule_fwd_h_hip_kernelILi32ELb0ELb1ELb0ELb0ELb1ELb1ELb1ELb0EEEvPK12hip_bfloat16S3_S3_PKfS5_PKvPS1_S8_PvPKiSB_iiiiilll
    .private_segment_fixed_size: 0
    .sgpr_count:     73
    .sgpr_spill_count: 0
    .symbol:         _ZN12_GLOBAL__N_139chunk_gated_delta_rule_fwd_h_hip_kernelILi32ELb0ELb1ELb0ELb0ELb1ELb1ELb1ELb0EEEvPK12hip_bfloat16S3_S3_PKfS5_PKvPS1_S8_PvPKiSB_iiiiilll.kd
    .uniform_work_group_size: 1
    .uses_dynamic_stack: false
    .vgpr_count:     160
    .vgpr_spill_count: 0
    .wavefront_size: 64
  - .agpr_count:     20
    .args:
      - .actual_access:  read_only
        .address_space:  global
        .offset:         0
        .size:           8
        .value_kind:     global_buffer
      - .actual_access:  read_only
        .address_space:  global
        .offset:         8
        .size:           8
        .value_kind:     global_buffer
      - .actual_access:  read_only
        .address_space:  global
        .offset:         16
        .size:           8
        .value_kind:     global_buffer
      - .actual_access:  read_only
        .address_space:  global
        .offset:         24
        .size:           8
        .value_kind:     global_buffer
      - .actual_access:  read_only
        .address_space:  global
        .offset:         32
        .size:           8
        .value_kind:     global_buffer
      - .actual_access:  read_only
        .address_space:  global
        .offset:         40
        .size:           8
        .value_kind:     global_buffer
      - .actual_access:  write_only
        .address_space:  global
        .offset:         48
        .size:           8
        .value_kind:     global_buffer
      - .actual_access:  write_only
        .address_space:  global
        .offset:         56
        .size:           8
        .value_kind:     global_buffer
      - .actual_access:  read_only
        .address_space:  global
        .offset:         64
        .size:           8
        .value_kind:     global_buffer
      - .actual_access:  read_only
        .address_space:  global
        .offset:         72
        .size:           8
        .value_kind:     global_buffer
      - .actual_access:  read_only
        .address_space:  global
        .offset:         80
        .size:           8
        .value_kind:     global_buffer
      - .offset:         88
        .size:           4
        .value_kind:     by_value
      - .offset:         92
        .size:           4
        .value_kind:     by_value
      - .offset:         96
        .size:           4
        .value_kind:     by_value
      - .offset:         100
        .size:           4
        .value_kind:     by_value
      - .offset:         104
        .size:           4
        .value_kind:     by_value
      - .offset:         112
        .size:           8
        .value_kind:     by_value
      - .offset:         120
        .size:           8
        .value_kind:     by_value
      - .offset:         128
        .size:           8
        .value_kind:     by_value
    .group_segment_fixed_size: 49152
    .kernarg_segment_align: 8
    .kernarg_segment_size: 136
    .language:       OpenCL C
    .language_version:
      - 2
      - 0
    .max_flat_workgroup_size: 256
    .name:           _ZN12_GLOBAL__N_139chunk_gated_delta_rule_fwd_h_hip_kernelILi32ELb0ELb0ELb1ELb0ELb1ELb1ELb1ELb0EEEvPK12hip_bfloat16S3_S3_PKfS5_PKvPS1_S8_PvPKiSB_iiiiilll
    .private_segment_fixed_size: 0
    .sgpr_count:     73
    .sgpr_spill_count: 0
    .symbol:         _ZN12_GLOBAL__N_139chunk_gated_delta_rule_fwd_h_hip_kernelILi32ELb0ELb0ELb1ELb0ELb1ELb1ELb1ELb0EEEvPK12hip_bfloat16S3_S3_PKfS5_PKvPS1_S8_PvPKiSB_iiiiilll.kd
    .uniform_work_group_size: 1
    .uses_dynamic_stack: false
    .vgpr_count:     164
    .vgpr_spill_count: 0
    .wavefront_size: 64
  - .agpr_count:     20
    .args:
      - .actual_access:  read_only
        .address_space:  global
        .offset:         0
        .size:           8
        .value_kind:     global_buffer
      - .actual_access:  read_only
        .address_space:  global
        .offset:         8
        .size:           8
        .value_kind:     global_buffer
      - .actual_access:  read_only
        .address_space:  global
        .offset:         16
        .size:           8
        .value_kind:     global_buffer
      - .actual_access:  read_only
        .address_space:  global
        .offset:         24
        .size:           8
        .value_kind:     global_buffer
      - .actual_access:  read_only
        .address_space:  global
        .offset:         32
        .size:           8
        .value_kind:     global_buffer
      - .actual_access:  read_only
        .address_space:  global
        .offset:         40
        .size:           8
        .value_kind:     global_buffer
      - .actual_access:  write_only
        .address_space:  global
        .offset:         48
        .size:           8
        .value_kind:     global_buffer
      - .actual_access:  read_only
        .address_space:  global
        .offset:         56
        .size:           8
        .value_kind:     global_buffer
      - .actual_access:  read_only
        .address_space:  global
        .offset:         64
        .size:           8
        .value_kind:     global_buffer
      - .actual_access:  read_only
        .address_space:  global
        .offset:         72
        .size:           8
        .value_kind:     global_buffer
      - .actual_access:  read_only
        .address_space:  global
        .offset:         80
        .size:           8
        .value_kind:     global_buffer
      - .offset:         88
        .size:           4
        .value_kind:     by_value
      - .offset:         92
        .size:           4
        .value_kind:     by_value
      - .offset:         96
        .size:           4
        .value_kind:     by_value
      - .offset:         100
        .size:           4
        .value_kind:     by_value
      - .offset:         104
        .size:           4
        .value_kind:     by_value
      - .offset:         112
        .size:           8
        .value_kind:     by_value
      - .offset:         120
        .size:           8
        .value_kind:     by_value
      - .offset:         128
        .size:           8
        .value_kind:     by_value
    .group_segment_fixed_size: 49152
    .kernarg_segment_align: 8
    .kernarg_segment_size: 136
    .language:       OpenCL C
    .language_version:
      - 2
      - 0
    .max_flat_workgroup_size: 256
    .name:           _ZN12_GLOBAL__N_139chunk_gated_delta_rule_fwd_h_hip_kernelILi32ELb0ELb0ELb0ELb0ELb1ELb1ELb1ELb0EEEvPK12hip_bfloat16S3_S3_PKfS5_PKvPS1_S8_PvPKiSB_iiiiilll
    .private_segment_fixed_size: 0
    .sgpr_count:     71
    .sgpr_spill_count: 0
    .symbol:         _ZN12_GLOBAL__N_139chunk_gated_delta_rule_fwd_h_hip_kernelILi32ELb0ELb0ELb0ELb0ELb1ELb1ELb1ELb0EEEvPK12hip_bfloat16S3_S3_PKfS5_PKvPS1_S8_PvPKiSB_iiiiilll.kd
    .uniform_work_group_size: 1
    .uses_dynamic_stack: false
    .vgpr_count:     160
    .vgpr_spill_count: 0
    .wavefront_size: 64
  - .agpr_count:     20
    .args:
      - .actual_access:  read_only
        .address_space:  global
        .offset:         0
        .size:           8
        .value_kind:     global_buffer
      - .actual_access:  read_only
        .address_space:  global
        .offset:         8
        .size:           8
        .value_kind:     global_buffer
      - .actual_access:  read_only
        .address_space:  global
        .offset:         16
        .size:           8
        .value_kind:     global_buffer
      - .actual_access:  read_only
        .address_space:  global
        .offset:         24
        .size:           8
        .value_kind:     global_buffer
      - .actual_access:  read_only
        .address_space:  global
        .offset:         32
        .size:           8
        .value_kind:     global_buffer
      - .actual_access:  read_only
        .address_space:  global
        .offset:         40
        .size:           8
        .value_kind:     global_buffer
      - .actual_access:  write_only
        .address_space:  global
        .offset:         48
        .size:           8
        .value_kind:     global_buffer
      - .actual_access:  write_only
        .address_space:  global
        .offset:         56
        .size:           8
        .value_kind:     global_buffer
      - .actual_access:  write_only
        .address_space:  global
        .offset:         64
        .size:           8
        .value_kind:     global_buffer
      - .actual_access:  read_only
        .address_space:  global
        .offset:         72
        .size:           8
        .value_kind:     global_buffer
      - .actual_access:  read_only
        .address_space:  global
        .offset:         80
        .size:           8
        .value_kind:     global_buffer
      - .offset:         88
        .size:           4
        .value_kind:     by_value
      - .offset:         92
        .size:           4
        .value_kind:     by_value
      - .offset:         96
        .size:           4
        .value_kind:     by_value
      - .offset:         100
        .size:           4
        .value_kind:     by_value
      - .offset:         104
        .size:           4
        .value_kind:     by_value
      - .offset:         112
        .size:           8
        .value_kind:     by_value
      - .offset:         120
        .size:           8
        .value_kind:     by_value
      - .offset:         128
        .size:           8
        .value_kind:     by_value
    .group_segment_fixed_size: 49152
    .kernarg_segment_align: 8
    .kernarg_segment_size: 136
    .language:       OpenCL C
    .language_version:
      - 2
      - 0
    .max_flat_workgroup_size: 256
    .name:           _ZN12_GLOBAL__N_139chunk_gated_delta_rule_fwd_h_hip_kernelILi32ELb1ELb1ELb1ELb1ELb1ELb1ELb0ELb0EEEvPK12hip_bfloat16S3_S3_PKfS5_PKvPS1_S8_PvPKiSB_iiiiilll
    .private_segment_fixed_size: 0
    .sgpr_count:     76
    .sgpr_spill_count: 0
    .symbol:         _ZN12_GLOBAL__N_139chunk_gated_delta_rule_fwd_h_hip_kernelILi32ELb1ELb1ELb1ELb1ELb1ELb1ELb0ELb0EEEvPK12hip_bfloat16S3_S3_PKfS5_PKvPS1_S8_PvPKiSB_iiiiilll.kd
    .uniform_work_group_size: 1
    .uses_dynamic_stack: false
    .vgpr_count:     168
    .vgpr_spill_count: 0
    .wavefront_size: 64
  - .agpr_count:     20
    .args:
      - .actual_access:  read_only
        .address_space:  global
        .offset:         0
        .size:           8
        .value_kind:     global_buffer
      - .actual_access:  read_only
        .address_space:  global
        .offset:         8
        .size:           8
        .value_kind:     global_buffer
      - .actual_access:  read_only
        .address_space:  global
        .offset:         16
        .size:           8
        .value_kind:     global_buffer
      - .actual_access:  read_only
        .address_space:  global
        .offset:         24
        .size:           8
        .value_kind:     global_buffer
      - .actual_access:  read_only
        .address_space:  global
        .offset:         32
        .size:           8
        .value_kind:     global_buffer
      - .actual_access:  read_only
        .address_space:  global
        .offset:         40
        .size:           8
        .value_kind:     global_buffer
      - .actual_access:  write_only
        .address_space:  global
        .offset:         48
        .size:           8
        .value_kind:     global_buffer
      - .actual_access:  read_only
        .address_space:  global
        .offset:         56
        .size:           8
        .value_kind:     global_buffer
      - .actual_access:  write_only
        .address_space:  global
        .offset:         64
        .size:           8
        .value_kind:     global_buffer
      - .actual_access:  read_only
        .address_space:  global
        .offset:         72
        .size:           8
        .value_kind:     global_buffer
      - .actual_access:  read_only
        .address_space:  global
        .offset:         80
        .size:           8
        .value_kind:     global_buffer
      - .offset:         88
        .size:           4
        .value_kind:     by_value
      - .offset:         92
        .size:           4
        .value_kind:     by_value
      - .offset:         96
        .size:           4
        .value_kind:     by_value
      - .offset:         100
        .size:           4
        .value_kind:     by_value
      - .offset:         104
        .size:           4
        .value_kind:     by_value
      - .offset:         112
        .size:           8
        .value_kind:     by_value
      - .offset:         120
        .size:           8
        .value_kind:     by_value
      - .offset:         128
        .size:           8
        .value_kind:     by_value
    .group_segment_fixed_size: 49152
    .kernarg_segment_align: 8
    .kernarg_segment_size: 136
    .language:       OpenCL C
    .language_version:
      - 2
      - 0
    .max_flat_workgroup_size: 256
    .name:           _ZN12_GLOBAL__N_139chunk_gated_delta_rule_fwd_h_hip_kernelILi32ELb1ELb1ELb0ELb1ELb1ELb1ELb0ELb0EEEvPK12hip_bfloat16S3_S3_PKfS5_PKvPS1_S8_PvPKiSB_iiiiilll
    .private_segment_fixed_size: 0
    .sgpr_count:     72
    .sgpr_spill_count: 0
    .symbol:         _ZN12_GLOBAL__N_139chunk_gated_delta_rule_fwd_h_hip_kernelILi32ELb1ELb1ELb0ELb1ELb1ELb1ELb0ELb0EEEvPK12hip_bfloat16S3_S3_PKfS5_PKvPS1_S8_PvPKiSB_iiiiilll.kd
    .uniform_work_group_size: 1
    .uses_dynamic_stack: false
    .vgpr_count:     164
    .vgpr_spill_count: 0
    .wavefront_size: 64
  - .agpr_count:     20
    .args:
      - .actual_access:  read_only
        .address_space:  global
        .offset:         0
        .size:           8
        .value_kind:     global_buffer
      - .actual_access:  read_only
        .address_space:  global
        .offset:         8
        .size:           8
        .value_kind:     global_buffer
      - .actual_access:  read_only
        .address_space:  global
        .offset:         16
        .size:           8
        .value_kind:     global_buffer
      - .actual_access:  read_only
        .address_space:  global
        .offset:         24
        .size:           8
        .value_kind:     global_buffer
      - .actual_access:  read_only
        .address_space:  global
        .offset:         32
        .size:           8
        .value_kind:     global_buffer
      - .actual_access:  read_only
        .address_space:  global
        .offset:         40
        .size:           8
        .value_kind:     global_buffer
      - .actual_access:  write_only
        .address_space:  global
        .offset:         48
        .size:           8
        .value_kind:     global_buffer
      - .actual_access:  write_only
        .address_space:  global
        .offset:         56
        .size:           8
        .value_kind:     global_buffer
      - .actual_access:  read_only
        .address_space:  global
        .offset:         64
        .size:           8
        .value_kind:     global_buffer
      - .actual_access:  read_only
        .address_space:  global
        .offset:         72
        .size:           8
        .value_kind:     global_buffer
      - .actual_access:  read_only
        .address_space:  global
        .offset:         80
        .size:           8
        .value_kind:     global_buffer
      - .offset:         88
        .size:           4
        .value_kind:     by_value
      - .offset:         92
        .size:           4
        .value_kind:     by_value
      - .offset:         96
        .size:           4
        .value_kind:     by_value
      - .offset:         100
        .size:           4
        .value_kind:     by_value
      - .offset:         104
        .size:           4
        .value_kind:     by_value
      - .offset:         112
        .size:           8
        .value_kind:     by_value
      - .offset:         120
        .size:           8
        .value_kind:     by_value
      - .offset:         128
        .size:           8
        .value_kind:     by_value
    .group_segment_fixed_size: 49152
    .kernarg_segment_align: 8
    .kernarg_segment_size: 136
    .language:       OpenCL C
    .language_version:
      - 2
      - 0
    .max_flat_workgroup_size: 256
    .name:           _ZN12_GLOBAL__N_139chunk_gated_delta_rule_fwd_h_hip_kernelILi32ELb1ELb0ELb1ELb1ELb1ELb1ELb0ELb0EEEvPK12hip_bfloat16S3_S3_PKfS5_PKvPS1_S8_PvPKiSB_iiiiilll
    .private_segment_fixed_size: 0
    .sgpr_count:     70
    .sgpr_spill_count: 0
    .symbol:         _ZN12_GLOBAL__N_139chunk_gated_delta_rule_fwd_h_hip_kernelILi32ELb1ELb0ELb1ELb1ELb1ELb1ELb0ELb0EEEvPK12hip_bfloat16S3_S3_PKfS5_PKvPS1_S8_PvPKiSB_iiiiilll.kd
    .uniform_work_group_size: 1
    .uses_dynamic_stack: false
    .vgpr_count:     164
    .vgpr_spill_count: 0
    .wavefront_size: 64
  - .agpr_count:     20
    .args:
      - .actual_access:  read_only
        .address_space:  global
        .offset:         0
        .size:           8
        .value_kind:     global_buffer
      - .actual_access:  read_only
        .address_space:  global
        .offset:         8
        .size:           8
        .value_kind:     global_buffer
      - .actual_access:  read_only
        .address_space:  global
        .offset:         16
        .size:           8
        .value_kind:     global_buffer
      - .actual_access:  read_only
        .address_space:  global
        .offset:         24
        .size:           8
        .value_kind:     global_buffer
      - .actual_access:  read_only
        .address_space:  global
        .offset:         32
        .size:           8
        .value_kind:     global_buffer
      - .actual_access:  read_only
        .address_space:  global
        .offset:         40
        .size:           8
        .value_kind:     global_buffer
      - .actual_access:  write_only
        .address_space:  global
        .offset:         48
        .size:           8
        .value_kind:     global_buffer
      - .actual_access:  read_only
        .address_space:  global
        .offset:         56
        .size:           8
        .value_kind:     global_buffer
      - .actual_access:  read_only
        .address_space:  global
        .offset:         64
        .size:           8
        .value_kind:     global_buffer
      - .actual_access:  read_only
        .address_space:  global
        .offset:         72
        .size:           8
        .value_kind:     global_buffer
      - .actual_access:  read_only
        .address_space:  global
        .offset:         80
        .size:           8
        .value_kind:     global_buffer
      - .offset:         88
        .size:           4
        .value_kind:     by_value
      - .offset:         92
        .size:           4
        .value_kind:     by_value
      - .offset:         96
        .size:           4
        .value_kind:     by_value
      - .offset:         100
        .size:           4
        .value_kind:     by_value
      - .offset:         104
        .size:           4
        .value_kind:     by_value
      - .offset:         112
        .size:           8
        .value_kind:     by_value
      - .offset:         120
        .size:           8
        .value_kind:     by_value
      - .offset:         128
        .size:           8
        .value_kind:     by_value
    .group_segment_fixed_size: 49152
    .kernarg_segment_align: 8
    .kernarg_segment_size: 136
    .language:       OpenCL C
    .language_version:
      - 2
      - 0
    .max_flat_workgroup_size: 256
    .name:           _ZN12_GLOBAL__N_139chunk_gated_delta_rule_fwd_h_hip_kernelILi32ELb1ELb0ELb0ELb1ELb1ELb1ELb0ELb0EEEvPK12hip_bfloat16S3_S3_PKfS5_PKvPS1_S8_PvPKiSB_iiiiilll
    .private_segment_fixed_size: 0
    .sgpr_count:     68
    .sgpr_spill_count: 0
    .symbol:         _ZN12_GLOBAL__N_139chunk_gated_delta_rule_fwd_h_hip_kernelILi32ELb1ELb0ELb0ELb1ELb1ELb1ELb0ELb0EEEvPK12hip_bfloat16S3_S3_PKfS5_PKvPS1_S8_PvPKiSB_iiiiilll.kd
    .uniform_work_group_size: 1
    .uses_dynamic_stack: false
    .vgpr_count:     160
    .vgpr_spill_count: 0
    .wavefront_size: 64
  - .agpr_count:     20
    .args:
      - .actual_access:  read_only
        .address_space:  global
        .offset:         0
        .size:           8
        .value_kind:     global_buffer
      - .actual_access:  read_only
        .address_space:  global
        .offset:         8
        .size:           8
        .value_kind:     global_buffer
      - .actual_access:  read_only
        .address_space:  global
        .offset:         16
        .size:           8
        .value_kind:     global_buffer
      - .actual_access:  read_only
        .address_space:  global
        .offset:         24
        .size:           8
        .value_kind:     global_buffer
      - .actual_access:  read_only
        .address_space:  global
        .offset:         32
        .size:           8
        .value_kind:     global_buffer
      - .actual_access:  read_only
        .address_space:  global
        .offset:         40
        .size:           8
        .value_kind:     global_buffer
      - .actual_access:  write_only
        .address_space:  global
        .offset:         48
        .size:           8
        .value_kind:     global_buffer
      - .actual_access:  write_only
        .address_space:  global
        .offset:         56
        .size:           8
        .value_kind:     global_buffer
      - .actual_access:  write_only
        .address_space:  global
        .offset:         64
        .size:           8
        .value_kind:     global_buffer
      - .actual_access:  read_only
        .address_space:  global
        .offset:         72
        .size:           8
        .value_kind:     global_buffer
      - .actual_access:  read_only
        .address_space:  global
        .offset:         80
        .size:           8
        .value_kind:     global_buffer
      - .offset:         88
        .size:           4
        .value_kind:     by_value
      - .offset:         92
        .size:           4
        .value_kind:     by_value
      - .offset:         96
        .size:           4
        .value_kind:     by_value
      - .offset:         100
        .size:           4
        .value_kind:     by_value
      - .offset:         104
        .size:           4
        .value_kind:     by_value
      - .offset:         112
        .size:           8
        .value_kind:     by_value
      - .offset:         120
        .size:           8
        .value_kind:     by_value
      - .offset:         128
        .size:           8
        .value_kind:     by_value
    .group_segment_fixed_size: 49152
    .kernarg_segment_align: 8
    .kernarg_segment_size: 136
    .language:       OpenCL C
    .language_version:
      - 2
      - 0
    .max_flat_workgroup_size: 256
    .name:           _ZN12_GLOBAL__N_139chunk_gated_delta_rule_fwd_h_hip_kernelILi32ELb0ELb1ELb1ELb1ELb1ELb1ELb0ELb0EEEvPK12hip_bfloat16S3_S3_PKfS5_PKvPS1_S8_PvPKiSB_iiiiilll
    .private_segment_fixed_size: 0
    .sgpr_count:     76
    .sgpr_spill_count: 0
    .symbol:         _ZN12_GLOBAL__N_139chunk_gated_delta_rule_fwd_h_hip_kernelILi32ELb0ELb1ELb1ELb1ELb1ELb1ELb0ELb0EEEvPK12hip_bfloat16S3_S3_PKfS5_PKvPS1_S8_PvPKiSB_iiiiilll.kd
    .uniform_work_group_size: 1
    .uses_dynamic_stack: false
    .vgpr_count:     164
    .vgpr_spill_count: 0
    .wavefront_size: 64
  - .agpr_count:     20
    .args:
      - .actual_access:  read_only
        .address_space:  global
        .offset:         0
        .size:           8
        .value_kind:     global_buffer
      - .actual_access:  read_only
        .address_space:  global
        .offset:         8
        .size:           8
        .value_kind:     global_buffer
      - .actual_access:  read_only
        .address_space:  global
        .offset:         16
        .size:           8
        .value_kind:     global_buffer
      - .actual_access:  read_only
        .address_space:  global
        .offset:         24
        .size:           8
        .value_kind:     global_buffer
      - .actual_access:  read_only
        .address_space:  global
        .offset:         32
        .size:           8
        .value_kind:     global_buffer
      - .actual_access:  read_only
        .address_space:  global
        .offset:         40
        .size:           8
        .value_kind:     global_buffer
      - .actual_access:  write_only
        .address_space:  global
        .offset:         48
        .size:           8
        .value_kind:     global_buffer
      - .actual_access:  read_only
        .address_space:  global
        .offset:         56
        .size:           8
        .value_kind:     global_buffer
      - .actual_access:  write_only
        .address_space:  global
        .offset:         64
        .size:           8
        .value_kind:     global_buffer
      - .actual_access:  read_only
        .address_space:  global
        .offset:         72
        .size:           8
        .value_kind:     global_buffer
      - .actual_access:  read_only
        .address_space:  global
        .offset:         80
        .size:           8
        .value_kind:     global_buffer
      - .offset:         88
        .size:           4
        .value_kind:     by_value
      - .offset:         92
        .size:           4
        .value_kind:     by_value
      - .offset:         96
        .size:           4
        .value_kind:     by_value
      - .offset:         100
        .size:           4
        .value_kind:     by_value
      - .offset:         104
        .size:           4
        .value_kind:     by_value
      - .offset:         112
        .size:           8
        .value_kind:     by_value
      - .offset:         120
        .size:           8
        .value_kind:     by_value
      - .offset:         128
        .size:           8
        .value_kind:     by_value
    .group_segment_fixed_size: 49152
    .kernarg_segment_align: 8
    .kernarg_segment_size: 136
    .language:       OpenCL C
    .language_version:
      - 2
      - 0
    .max_flat_workgroup_size: 256
    .name:           _ZN12_GLOBAL__N_139chunk_gated_delta_rule_fwd_h_hip_kernelILi32ELb0ELb1ELb0ELb1ELb1ELb1ELb0ELb0EEEvPK12hip_bfloat16S3_S3_PKfS5_PKvPS1_S8_PvPKiSB_iiiiilll
    .private_segment_fixed_size: 0
    .sgpr_count:     72
    .sgpr_spill_count: 0
    .symbol:         _ZN12_GLOBAL__N_139chunk_gated_delta_rule_fwd_h_hip_kernelILi32ELb0ELb1ELb0ELb1ELb1ELb1ELb0ELb0EEEvPK12hip_bfloat16S3_S3_PKfS5_PKvPS1_S8_PvPKiSB_iiiiilll.kd
    .uniform_work_group_size: 1
    .uses_dynamic_stack: false
    .vgpr_count:     160
    .vgpr_spill_count: 0
    .wavefront_size: 64
  - .agpr_count:     20
    .args:
      - .actual_access:  read_only
        .address_space:  global
        .offset:         0
        .size:           8
        .value_kind:     global_buffer
      - .actual_access:  read_only
        .address_space:  global
        .offset:         8
        .size:           8
        .value_kind:     global_buffer
      - .actual_access:  read_only
        .address_space:  global
        .offset:         16
        .size:           8
        .value_kind:     global_buffer
      - .actual_access:  read_only
        .address_space:  global
        .offset:         24
        .size:           8
        .value_kind:     global_buffer
      - .actual_access:  read_only
        .address_space:  global
        .offset:         32
        .size:           8
        .value_kind:     global_buffer
      - .actual_access:  read_only
        .address_space:  global
        .offset:         40
        .size:           8
        .value_kind:     global_buffer
      - .actual_access:  write_only
        .address_space:  global
        .offset:         48
        .size:           8
        .value_kind:     global_buffer
      - .actual_access:  write_only
        .address_space:  global
        .offset:         56
        .size:           8
        .value_kind:     global_buffer
      - .actual_access:  read_only
        .address_space:  global
        .offset:         64
        .size:           8
        .value_kind:     global_buffer
      - .actual_access:  read_only
        .address_space:  global
        .offset:         72
        .size:           8
        .value_kind:     global_buffer
      - .actual_access:  read_only
        .address_space:  global
        .offset:         80
        .size:           8
        .value_kind:     global_buffer
      - .offset:         88
        .size:           4
        .value_kind:     by_value
      - .offset:         92
        .size:           4
        .value_kind:     by_value
      - .offset:         96
        .size:           4
        .value_kind:     by_value
      - .offset:         100
        .size:           4
        .value_kind:     by_value
      - .offset:         104
        .size:           4
        .value_kind:     by_value
      - .offset:         112
        .size:           8
        .value_kind:     by_value
      - .offset:         120
        .size:           8
        .value_kind:     by_value
      - .offset:         128
        .size:           8
        .value_kind:     by_value
    .group_segment_fixed_size: 49152
    .kernarg_segment_align: 8
    .kernarg_segment_size: 136
    .language:       OpenCL C
    .language_version:
      - 2
      - 0
    .max_flat_workgroup_size: 256
    .name:           _ZN12_GLOBAL__N_139chunk_gated_delta_rule_fwd_h_hip_kernelILi32ELb0ELb0ELb1ELb1ELb1ELb1ELb0ELb0EEEvPK12hip_bfloat16S3_S3_PKfS5_PKvPS1_S8_PvPKiSB_iiiiilll
    .private_segment_fixed_size: 0
    .sgpr_count:     69
    .sgpr_spill_count: 0
    .symbol:         _ZN12_GLOBAL__N_139chunk_gated_delta_rule_fwd_h_hip_kernelILi32ELb0ELb0ELb1ELb1ELb1ELb1ELb0ELb0EEEvPK12hip_bfloat16S3_S3_PKfS5_PKvPS1_S8_PvPKiSB_iiiiilll.kd
    .uniform_work_group_size: 1
    .uses_dynamic_stack: false
    .vgpr_count:     164
    .vgpr_spill_count: 0
    .wavefront_size: 64
  - .agpr_count:     20
    .args:
      - .actual_access:  read_only
        .address_space:  global
        .offset:         0
        .size:           8
        .value_kind:     global_buffer
      - .actual_access:  read_only
        .address_space:  global
        .offset:         8
        .size:           8
        .value_kind:     global_buffer
      - .actual_access:  read_only
        .address_space:  global
        .offset:         16
        .size:           8
        .value_kind:     global_buffer
      - .actual_access:  read_only
        .address_space:  global
        .offset:         24
        .size:           8
        .value_kind:     global_buffer
      - .actual_access:  read_only
        .address_space:  global
        .offset:         32
        .size:           8
        .value_kind:     global_buffer
      - .actual_access:  read_only
        .address_space:  global
        .offset:         40
        .size:           8
        .value_kind:     global_buffer
      - .actual_access:  write_only
        .address_space:  global
        .offset:         48
        .size:           8
        .value_kind:     global_buffer
      - .actual_access:  read_only
        .address_space:  global
        .offset:         56
        .size:           8
        .value_kind:     global_buffer
      - .actual_access:  read_only
        .address_space:  global
        .offset:         64
        .size:           8
        .value_kind:     global_buffer
      - .actual_access:  read_only
        .address_space:  global
        .offset:         72
        .size:           8
        .value_kind:     global_buffer
      - .actual_access:  read_only
        .address_space:  global
        .offset:         80
        .size:           8
        .value_kind:     global_buffer
      - .offset:         88
        .size:           4
        .value_kind:     by_value
      - .offset:         92
        .size:           4
        .value_kind:     by_value
      - .offset:         96
        .size:           4
        .value_kind:     by_value
      - .offset:         100
        .size:           4
        .value_kind:     by_value
      - .offset:         104
        .size:           4
        .value_kind:     by_value
      - .offset:         112
        .size:           8
        .value_kind:     by_value
      - .offset:         120
        .size:           8
        .value_kind:     by_value
      - .offset:         128
        .size:           8
        .value_kind:     by_value
    .group_segment_fixed_size: 49152
    .kernarg_segment_align: 8
    .kernarg_segment_size: 136
    .language:       OpenCL C
    .language_version:
      - 2
      - 0
    .max_flat_workgroup_size: 256
    .name:           _ZN12_GLOBAL__N_139chunk_gated_delta_rule_fwd_h_hip_kernelILi32ELb0ELb0ELb0ELb1ELb1ELb1ELb0ELb0EEEvPK12hip_bfloat16S3_S3_PKfS5_PKvPS1_S8_PvPKiSB_iiiiilll
    .private_segment_fixed_size: 0
    .sgpr_count:     67
    .sgpr_spill_count: 0
    .symbol:         _ZN12_GLOBAL__N_139chunk_gated_delta_rule_fwd_h_hip_kernelILi32ELb0ELb0ELb0ELb1ELb1ELb1ELb0ELb0EEEvPK12hip_bfloat16S3_S3_PKfS5_PKvPS1_S8_PvPKiSB_iiiiilll.kd
    .uniform_work_group_size: 1
    .uses_dynamic_stack: false
    .vgpr_count:     160
    .vgpr_spill_count: 0
    .wavefront_size: 64
  - .agpr_count:     20
    .args:
      - .actual_access:  read_only
        .address_space:  global
        .offset:         0
        .size:           8
        .value_kind:     global_buffer
      - .actual_access:  read_only
        .address_space:  global
        .offset:         8
        .size:           8
        .value_kind:     global_buffer
      - .actual_access:  read_only
        .address_space:  global
        .offset:         16
        .size:           8
        .value_kind:     global_buffer
      - .actual_access:  read_only
        .address_space:  global
        .offset:         24
        .size:           8
        .value_kind:     global_buffer
      - .actual_access:  read_only
        .address_space:  global
        .offset:         32
        .size:           8
        .value_kind:     global_buffer
      - .actual_access:  read_only
        .address_space:  global
        .offset:         40
        .size:           8
        .value_kind:     global_buffer
      - .actual_access:  write_only
        .address_space:  global
        .offset:         48
        .size:           8
        .value_kind:     global_buffer
      - .actual_access:  write_only
        .address_space:  global
        .offset:         56
        .size:           8
        .value_kind:     global_buffer
      - .actual_access:  write_only
        .address_space:  global
        .offset:         64
        .size:           8
        .value_kind:     global_buffer
      - .actual_access:  read_only
        .address_space:  global
        .offset:         72
        .size:           8
        .value_kind:     global_buffer
      - .actual_access:  read_only
        .address_space:  global
        .offset:         80
        .size:           8
        .value_kind:     global_buffer
      - .offset:         88
        .size:           4
        .value_kind:     by_value
      - .offset:         92
        .size:           4
        .value_kind:     by_value
      - .offset:         96
        .size:           4
        .value_kind:     by_value
      - .offset:         100
        .size:           4
        .value_kind:     by_value
      - .offset:         104
        .size:           4
        .value_kind:     by_value
      - .offset:         112
        .size:           8
        .value_kind:     by_value
      - .offset:         120
        .size:           8
        .value_kind:     by_value
      - .offset:         128
        .size:           8
        .value_kind:     by_value
    .group_segment_fixed_size: 49152
    .kernarg_segment_align: 8
    .kernarg_segment_size: 136
    .language:       OpenCL C
    .language_version:
      - 2
      - 0
    .max_flat_workgroup_size: 256
    .name:           _ZN12_GLOBAL__N_139chunk_gated_delta_rule_fwd_h_hip_kernelILi32ELb1ELb1ELb1ELb0ELb1ELb1ELb0ELb0EEEvPK12hip_bfloat16S3_S3_PKfS5_PKvPS1_S8_PvPKiSB_iiiiilll
    .private_segment_fixed_size: 0
    .sgpr_count:     82
    .sgpr_spill_count: 0
    .symbol:         _ZN12_GLOBAL__N_139chunk_gated_delta_rule_fwd_h_hip_kernelILi32ELb1ELb1ELb1ELb0ELb1ELb1ELb0ELb0EEEvPK12hip_bfloat16S3_S3_PKfS5_PKvPS1_S8_PvPKiSB_iiiiilll.kd
    .uniform_work_group_size: 1
    .uses_dynamic_stack: false
    .vgpr_count:     168
    .vgpr_spill_count: 0
    .wavefront_size: 64
  - .agpr_count:     20
    .args:
      - .actual_access:  read_only
        .address_space:  global
        .offset:         0
        .size:           8
        .value_kind:     global_buffer
      - .actual_access:  read_only
        .address_space:  global
        .offset:         8
        .size:           8
        .value_kind:     global_buffer
      - .actual_access:  read_only
        .address_space:  global
        .offset:         16
        .size:           8
        .value_kind:     global_buffer
      - .actual_access:  read_only
        .address_space:  global
        .offset:         24
        .size:           8
        .value_kind:     global_buffer
      - .actual_access:  read_only
        .address_space:  global
        .offset:         32
        .size:           8
        .value_kind:     global_buffer
      - .actual_access:  read_only
        .address_space:  global
        .offset:         40
        .size:           8
        .value_kind:     global_buffer
      - .actual_access:  write_only
        .address_space:  global
        .offset:         48
        .size:           8
        .value_kind:     global_buffer
      - .actual_access:  read_only
        .address_space:  global
        .offset:         56
        .size:           8
        .value_kind:     global_buffer
      - .actual_access:  write_only
        .address_space:  global
        .offset:         64
        .size:           8
        .value_kind:     global_buffer
      - .actual_access:  read_only
        .address_space:  global
        .offset:         72
        .size:           8
        .value_kind:     global_buffer
      - .actual_access:  read_only
        .address_space:  global
        .offset:         80
        .size:           8
        .value_kind:     global_buffer
      - .offset:         88
        .size:           4
        .value_kind:     by_value
      - .offset:         92
        .size:           4
        .value_kind:     by_value
      - .offset:         96
        .size:           4
        .value_kind:     by_value
      - .offset:         100
        .size:           4
        .value_kind:     by_value
      - .offset:         104
        .size:           4
        .value_kind:     by_value
      - .offset:         112
        .size:           8
        .value_kind:     by_value
      - .offset:         120
        .size:           8
        .value_kind:     by_value
      - .offset:         128
        .size:           8
        .value_kind:     by_value
    .group_segment_fixed_size: 49152
    .kernarg_segment_align: 8
    .kernarg_segment_size: 136
    .language:       OpenCL C
    .language_version:
      - 2
      - 0
    .max_flat_workgroup_size: 256
    .name:           _ZN12_GLOBAL__N_139chunk_gated_delta_rule_fwd_h_hip_kernelILi32ELb1ELb1ELb0ELb0ELb1ELb1ELb0ELb0EEEvPK12hip_bfloat16S3_S3_PKfS5_PKvPS1_S8_PvPKiSB_iiiiilll
    .private_segment_fixed_size: 0
    .sgpr_count:     78
    .sgpr_spill_count: 0
    .symbol:         _ZN12_GLOBAL__N_139chunk_gated_delta_rule_fwd_h_hip_kernelILi32ELb1ELb1ELb0ELb0ELb1ELb1ELb0ELb0EEEvPK12hip_bfloat16S3_S3_PKfS5_PKvPS1_S8_PvPKiSB_iiiiilll.kd
    .uniform_work_group_size: 1
    .uses_dynamic_stack: false
    .vgpr_count:     164
    .vgpr_spill_count: 0
    .wavefront_size: 64
  - .agpr_count:     20
    .args:
      - .actual_access:  read_only
        .address_space:  global
        .offset:         0
        .size:           8
        .value_kind:     global_buffer
      - .actual_access:  read_only
        .address_space:  global
        .offset:         8
        .size:           8
        .value_kind:     global_buffer
      - .actual_access:  read_only
        .address_space:  global
        .offset:         16
        .size:           8
        .value_kind:     global_buffer
      - .actual_access:  read_only
        .address_space:  global
        .offset:         24
        .size:           8
        .value_kind:     global_buffer
      - .actual_access:  read_only
        .address_space:  global
        .offset:         32
        .size:           8
        .value_kind:     global_buffer
      - .actual_access:  read_only
        .address_space:  global
        .offset:         40
        .size:           8
        .value_kind:     global_buffer
      - .actual_access:  write_only
        .address_space:  global
        .offset:         48
        .size:           8
        .value_kind:     global_buffer
      - .actual_access:  write_only
        .address_space:  global
        .offset:         56
        .size:           8
        .value_kind:     global_buffer
      - .actual_access:  read_only
        .address_space:  global
        .offset:         64
        .size:           8
        .value_kind:     global_buffer
      - .actual_access:  read_only
        .address_space:  global
        .offset:         72
        .size:           8
        .value_kind:     global_buffer
      - .actual_access:  read_only
        .address_space:  global
        .offset:         80
        .size:           8
        .value_kind:     global_buffer
      - .offset:         88
        .size:           4
        .value_kind:     by_value
      - .offset:         92
        .size:           4
        .value_kind:     by_value
      - .offset:         96
        .size:           4
        .value_kind:     by_value
      - .offset:         100
        .size:           4
        .value_kind:     by_value
      - .offset:         104
        .size:           4
        .value_kind:     by_value
      - .offset:         112
        .size:           8
        .value_kind:     by_value
      - .offset:         120
        .size:           8
        .value_kind:     by_value
      - .offset:         128
        .size:           8
        .value_kind:     by_value
    .group_segment_fixed_size: 49152
    .kernarg_segment_align: 8
    .kernarg_segment_size: 136
    .language:       OpenCL C
    .language_version:
      - 2
      - 0
    .max_flat_workgroup_size: 256
    .name:           _ZN12_GLOBAL__N_139chunk_gated_delta_rule_fwd_h_hip_kernelILi32ELb1ELb0ELb1ELb0ELb1ELb1ELb0ELb0EEEvPK12hip_bfloat16S3_S3_PKfS5_PKvPS1_S8_PvPKiSB_iiiiilll
    .private_segment_fixed_size: 0
    .sgpr_count:     76
    .sgpr_spill_count: 0
    .symbol:         _ZN12_GLOBAL__N_139chunk_gated_delta_rule_fwd_h_hip_kernelILi32ELb1ELb0ELb1ELb0ELb1ELb1ELb0ELb0EEEvPK12hip_bfloat16S3_S3_PKfS5_PKvPS1_S8_PvPKiSB_iiiiilll.kd
    .uniform_work_group_size: 1
    .uses_dynamic_stack: false
    .vgpr_count:     164
    .vgpr_spill_count: 0
    .wavefront_size: 64
  - .agpr_count:     20
    .args:
      - .actual_access:  read_only
        .address_space:  global
        .offset:         0
        .size:           8
        .value_kind:     global_buffer
      - .actual_access:  read_only
        .address_space:  global
        .offset:         8
        .size:           8
        .value_kind:     global_buffer
      - .actual_access:  read_only
        .address_space:  global
        .offset:         16
        .size:           8
        .value_kind:     global_buffer
      - .actual_access:  read_only
        .address_space:  global
        .offset:         24
        .size:           8
        .value_kind:     global_buffer
      - .actual_access:  read_only
        .address_space:  global
        .offset:         32
        .size:           8
        .value_kind:     global_buffer
      - .actual_access:  read_only
        .address_space:  global
        .offset:         40
        .size:           8
        .value_kind:     global_buffer
      - .actual_access:  write_only
        .address_space:  global
        .offset:         48
        .size:           8
        .value_kind:     global_buffer
      - .actual_access:  read_only
        .address_space:  global
        .offset:         56
        .size:           8
        .value_kind:     global_buffer
      - .actual_access:  read_only
        .address_space:  global
        .offset:         64
        .size:           8
        .value_kind:     global_buffer
      - .actual_access:  read_only
        .address_space:  global
        .offset:         72
        .size:           8
        .value_kind:     global_buffer
      - .actual_access:  read_only
        .address_space:  global
        .offset:         80
        .size:           8
        .value_kind:     global_buffer
      - .offset:         88
        .size:           4
        .value_kind:     by_value
      - .offset:         92
        .size:           4
        .value_kind:     by_value
      - .offset:         96
        .size:           4
        .value_kind:     by_value
      - .offset:         100
        .size:           4
        .value_kind:     by_value
      - .offset:         104
        .size:           4
        .value_kind:     by_value
      - .offset:         112
        .size:           8
        .value_kind:     by_value
      - .offset:         120
        .size:           8
        .value_kind:     by_value
      - .offset:         128
        .size:           8
        .value_kind:     by_value
    .group_segment_fixed_size: 49152
    .kernarg_segment_align: 8
    .kernarg_segment_size: 136
    .language:       OpenCL C
    .language_version:
      - 2
      - 0
    .max_flat_workgroup_size: 256
    .name:           _ZN12_GLOBAL__N_139chunk_gated_delta_rule_fwd_h_hip_kernelILi32ELb1ELb0ELb0ELb0ELb1ELb1ELb0ELb0EEEvPK12hip_bfloat16S3_S3_PKfS5_PKvPS1_S8_PvPKiSB_iiiiilll
    .private_segment_fixed_size: 0
    .sgpr_count:     74
    .sgpr_spill_count: 0
    .symbol:         _ZN12_GLOBAL__N_139chunk_gated_delta_rule_fwd_h_hip_kernelILi32ELb1ELb0ELb0ELb0ELb1ELb1ELb0ELb0EEEvPK12hip_bfloat16S3_S3_PKfS5_PKvPS1_S8_PvPKiSB_iiiiilll.kd
    .uniform_work_group_size: 1
    .uses_dynamic_stack: false
    .vgpr_count:     160
    .vgpr_spill_count: 0
    .wavefront_size: 64
  - .agpr_count:     20
    .args:
      - .actual_access:  read_only
        .address_space:  global
        .offset:         0
        .size:           8
        .value_kind:     global_buffer
      - .actual_access:  read_only
        .address_space:  global
        .offset:         8
        .size:           8
        .value_kind:     global_buffer
      - .actual_access:  read_only
        .address_space:  global
        .offset:         16
        .size:           8
        .value_kind:     global_buffer
      - .actual_access:  read_only
        .address_space:  global
        .offset:         24
        .size:           8
        .value_kind:     global_buffer
      - .actual_access:  read_only
        .address_space:  global
        .offset:         32
        .size:           8
        .value_kind:     global_buffer
      - .actual_access:  read_only
        .address_space:  global
        .offset:         40
        .size:           8
        .value_kind:     global_buffer
      - .actual_access:  write_only
        .address_space:  global
        .offset:         48
        .size:           8
        .value_kind:     global_buffer
      - .actual_access:  write_only
        .address_space:  global
        .offset:         56
        .size:           8
        .value_kind:     global_buffer
      - .actual_access:  write_only
        .address_space:  global
        .offset:         64
        .size:           8
        .value_kind:     global_buffer
      - .actual_access:  read_only
        .address_space:  global
        .offset:         72
        .size:           8
        .value_kind:     global_buffer
      - .actual_access:  read_only
        .address_space:  global
        .offset:         80
        .size:           8
        .value_kind:     global_buffer
      - .offset:         88
        .size:           4
        .value_kind:     by_value
      - .offset:         92
        .size:           4
        .value_kind:     by_value
      - .offset:         96
        .size:           4
        .value_kind:     by_value
      - .offset:         100
        .size:           4
        .value_kind:     by_value
      - .offset:         104
        .size:           4
        .value_kind:     by_value
      - .offset:         112
        .size:           8
        .value_kind:     by_value
      - .offset:         120
        .size:           8
        .value_kind:     by_value
      - .offset:         128
        .size:           8
        .value_kind:     by_value
    .group_segment_fixed_size: 49152
    .kernarg_segment_align: 8
    .kernarg_segment_size: 136
    .language:       OpenCL C
    .language_version:
      - 2
      - 0
    .max_flat_workgroup_size: 256
    .name:           _ZN12_GLOBAL__N_139chunk_gated_delta_rule_fwd_h_hip_kernelILi32ELb0ELb1ELb1ELb0ELb1ELb1ELb0ELb0EEEvPK12hip_bfloat16S3_S3_PKfS5_PKvPS1_S8_PvPKiSB_iiiiilll
    .private_segment_fixed_size: 0
    .sgpr_count:     78
    .sgpr_spill_count: 0
    .symbol:         _ZN12_GLOBAL__N_139chunk_gated_delta_rule_fwd_h_hip_kernelILi32ELb0ELb1ELb1ELb0ELb1ELb1ELb0ELb0EEEvPK12hip_bfloat16S3_S3_PKfS5_PKvPS1_S8_PvPKiSB_iiiiilll.kd
    .uniform_work_group_size: 1
    .uses_dynamic_stack: false
    .vgpr_count:     164
    .vgpr_spill_count: 0
    .wavefront_size: 64
  - .agpr_count:     20
    .args:
      - .actual_access:  read_only
        .address_space:  global
        .offset:         0
        .size:           8
        .value_kind:     global_buffer
      - .actual_access:  read_only
        .address_space:  global
        .offset:         8
        .size:           8
        .value_kind:     global_buffer
      - .actual_access:  read_only
        .address_space:  global
        .offset:         16
        .size:           8
        .value_kind:     global_buffer
      - .actual_access:  read_only
        .address_space:  global
        .offset:         24
        .size:           8
        .value_kind:     global_buffer
      - .actual_access:  read_only
        .address_space:  global
        .offset:         32
        .size:           8
        .value_kind:     global_buffer
      - .actual_access:  read_only
        .address_space:  global
        .offset:         40
        .size:           8
        .value_kind:     global_buffer
      - .actual_access:  write_only
        .address_space:  global
        .offset:         48
        .size:           8
        .value_kind:     global_buffer
      - .actual_access:  read_only
        .address_space:  global
        .offset:         56
        .size:           8
        .value_kind:     global_buffer
      - .actual_access:  write_only
        .address_space:  global
        .offset:         64
        .size:           8
        .value_kind:     global_buffer
      - .actual_access:  read_only
        .address_space:  global
        .offset:         72
        .size:           8
        .value_kind:     global_buffer
      - .actual_access:  read_only
        .address_space:  global
        .offset:         80
        .size:           8
        .value_kind:     global_buffer
      - .offset:         88
        .size:           4
        .value_kind:     by_value
      - .offset:         92
        .size:           4
        .value_kind:     by_value
      - .offset:         96
        .size:           4
        .value_kind:     by_value
      - .offset:         100
        .size:           4
        .value_kind:     by_value
      - .offset:         104
        .size:           4
        .value_kind:     by_value
      - .offset:         112
        .size:           8
        .value_kind:     by_value
      - .offset:         120
        .size:           8
        .value_kind:     by_value
      - .offset:         128
        .size:           8
        .value_kind:     by_value
    .group_segment_fixed_size: 49152
    .kernarg_segment_align: 8
    .kernarg_segment_size: 136
    .language:       OpenCL C
    .language_version:
      - 2
      - 0
    .max_flat_workgroup_size: 256
    .name:           _ZN12_GLOBAL__N_139chunk_gated_delta_rule_fwd_h_hip_kernelILi32ELb0ELb1ELb0ELb0ELb1ELb1ELb0ELb0EEEvPK12hip_bfloat16S3_S3_PKfS5_PKvPS1_S8_PvPKiSB_iiiiilll
    .private_segment_fixed_size: 0
    .sgpr_count:     73
    .sgpr_spill_count: 0
    .symbol:         _ZN12_GLOBAL__N_139chunk_gated_delta_rule_fwd_h_hip_kernelILi32ELb0ELb1ELb0ELb0ELb1ELb1ELb0ELb0EEEvPK12hip_bfloat16S3_S3_PKfS5_PKvPS1_S8_PvPKiSB_iiiiilll.kd
    .uniform_work_group_size: 1
    .uses_dynamic_stack: false
    .vgpr_count:     160
    .vgpr_spill_count: 0
    .wavefront_size: 64
  - .agpr_count:     20
    .args:
      - .actual_access:  read_only
        .address_space:  global
        .offset:         0
        .size:           8
        .value_kind:     global_buffer
      - .actual_access:  read_only
        .address_space:  global
        .offset:         8
        .size:           8
        .value_kind:     global_buffer
      - .actual_access:  read_only
        .address_space:  global
        .offset:         16
        .size:           8
        .value_kind:     global_buffer
      - .actual_access:  read_only
        .address_space:  global
        .offset:         24
        .size:           8
        .value_kind:     global_buffer
      - .actual_access:  read_only
        .address_space:  global
        .offset:         32
        .size:           8
        .value_kind:     global_buffer
      - .actual_access:  read_only
        .address_space:  global
        .offset:         40
        .size:           8
        .value_kind:     global_buffer
      - .actual_access:  write_only
        .address_space:  global
        .offset:         48
        .size:           8
        .value_kind:     global_buffer
      - .actual_access:  write_only
        .address_space:  global
        .offset:         56
        .size:           8
        .value_kind:     global_buffer
      - .actual_access:  read_only
        .address_space:  global
        .offset:         64
        .size:           8
        .value_kind:     global_buffer
      - .actual_access:  read_only
        .address_space:  global
        .offset:         72
        .size:           8
        .value_kind:     global_buffer
      - .actual_access:  read_only
        .address_space:  global
        .offset:         80
        .size:           8
        .value_kind:     global_buffer
      - .offset:         88
        .size:           4
        .value_kind:     by_value
      - .offset:         92
        .size:           4
        .value_kind:     by_value
      - .offset:         96
        .size:           4
        .value_kind:     by_value
      - .offset:         100
        .size:           4
        .value_kind:     by_value
      - .offset:         104
        .size:           4
        .value_kind:     by_value
      - .offset:         112
        .size:           8
        .value_kind:     by_value
      - .offset:         120
        .size:           8
        .value_kind:     by_value
      - .offset:         128
        .size:           8
        .value_kind:     by_value
    .group_segment_fixed_size: 49152
    .kernarg_segment_align: 8
    .kernarg_segment_size: 136
    .language:       OpenCL C
    .language_version:
      - 2
      - 0
    .max_flat_workgroup_size: 256
    .name:           _ZN12_GLOBAL__N_139chunk_gated_delta_rule_fwd_h_hip_kernelILi32ELb0ELb0ELb1ELb0ELb1ELb1ELb0ELb0EEEvPK12hip_bfloat16S3_S3_PKfS5_PKvPS1_S8_PvPKiSB_iiiiilll
    .private_segment_fixed_size: 0
    .sgpr_count:     73
    .sgpr_spill_count: 0
    .symbol:         _ZN12_GLOBAL__N_139chunk_gated_delta_rule_fwd_h_hip_kernelILi32ELb0ELb0ELb1ELb0ELb1ELb1ELb0ELb0EEEvPK12hip_bfloat16S3_S3_PKfS5_PKvPS1_S8_PvPKiSB_iiiiilll.kd
    .uniform_work_group_size: 1
    .uses_dynamic_stack: false
    .vgpr_count:     164
    .vgpr_spill_count: 0
    .wavefront_size: 64
  - .agpr_count:     20
    .args:
      - .actual_access:  read_only
        .address_space:  global
        .offset:         0
        .size:           8
        .value_kind:     global_buffer
      - .actual_access:  read_only
        .address_space:  global
        .offset:         8
        .size:           8
        .value_kind:     global_buffer
      - .actual_access:  read_only
        .address_space:  global
        .offset:         16
        .size:           8
        .value_kind:     global_buffer
      - .actual_access:  read_only
        .address_space:  global
        .offset:         24
        .size:           8
        .value_kind:     global_buffer
      - .actual_access:  read_only
        .address_space:  global
        .offset:         32
        .size:           8
        .value_kind:     global_buffer
      - .actual_access:  read_only
        .address_space:  global
        .offset:         40
        .size:           8
        .value_kind:     global_buffer
      - .actual_access:  write_only
        .address_space:  global
        .offset:         48
        .size:           8
        .value_kind:     global_buffer
      - .actual_access:  read_only
        .address_space:  global
        .offset:         56
        .size:           8
        .value_kind:     global_buffer
      - .actual_access:  read_only
        .address_space:  global
        .offset:         64
        .size:           8
        .value_kind:     global_buffer
      - .actual_access:  read_only
        .address_space:  global
        .offset:         72
        .size:           8
        .value_kind:     global_buffer
      - .actual_access:  read_only
        .address_space:  global
        .offset:         80
        .size:           8
        .value_kind:     global_buffer
      - .offset:         88
        .size:           4
        .value_kind:     by_value
      - .offset:         92
        .size:           4
        .value_kind:     by_value
      - .offset:         96
        .size:           4
        .value_kind:     by_value
      - .offset:         100
        .size:           4
        .value_kind:     by_value
      - .offset:         104
        .size:           4
        .value_kind:     by_value
      - .offset:         112
        .size:           8
        .value_kind:     by_value
      - .offset:         120
        .size:           8
        .value_kind:     by_value
      - .offset:         128
        .size:           8
        .value_kind:     by_value
    .group_segment_fixed_size: 49152
    .kernarg_segment_align: 8
    .kernarg_segment_size: 136
    .language:       OpenCL C
    .language_version:
      - 2
      - 0
    .max_flat_workgroup_size: 256
    .name:           _ZN12_GLOBAL__N_139chunk_gated_delta_rule_fwd_h_hip_kernelILi32ELb0ELb0ELb0ELb0ELb1ELb1ELb0ELb0EEEvPK12hip_bfloat16S3_S3_PKfS5_PKvPS1_S8_PvPKiSB_iiiiilll
    .private_segment_fixed_size: 0
    .sgpr_count:     71
    .sgpr_spill_count: 0
    .symbol:         _ZN12_GLOBAL__N_139chunk_gated_delta_rule_fwd_h_hip_kernelILi32ELb0ELb0ELb0ELb0ELb1ELb1ELb0ELb0EEEvPK12hip_bfloat16S3_S3_PKfS5_PKvPS1_S8_PvPKiSB_iiiiilll.kd
    .uniform_work_group_size: 1
    .uses_dynamic_stack: false
    .vgpr_count:     160
    .vgpr_spill_count: 0
    .wavefront_size: 64
  - .agpr_count:     16
    .args:
      - .actual_access:  read_only
        .address_space:  global
        .offset:         0
        .size:           8
        .value_kind:     global_buffer
      - .actual_access:  read_only
        .address_space:  global
        .offset:         8
        .size:           8
        .value_kind:     global_buffer
      - .actual_access:  read_only
        .address_space:  global
        .offset:         16
        .size:           8
        .value_kind:     global_buffer
      - .actual_access:  read_only
        .address_space:  global
        .offset:         24
        .size:           8
        .value_kind:     global_buffer
      - .actual_access:  read_only
        .address_space:  global
        .offset:         32
        .size:           8
        .value_kind:     global_buffer
      - .actual_access:  read_only
        .address_space:  global
        .offset:         40
        .size:           8
        .value_kind:     global_buffer
      - .actual_access:  write_only
        .address_space:  global
        .offset:         48
        .size:           8
        .value_kind:     global_buffer
      - .actual_access:  write_only
        .address_space:  global
        .offset:         56
        .size:           8
        .value_kind:     global_buffer
      - .actual_access:  write_only
        .address_space:  global
        .offset:         64
        .size:           8
        .value_kind:     global_buffer
      - .actual_access:  read_only
        .address_space:  global
        .offset:         72
        .size:           8
        .value_kind:     global_buffer
      - .actual_access:  read_only
        .address_space:  global
        .offset:         80
        .size:           8
        .value_kind:     global_buffer
      - .offset:         88
        .size:           4
        .value_kind:     by_value
      - .offset:         92
        .size:           4
        .value_kind:     by_value
      - .offset:         96
        .size:           4
        .value_kind:     by_value
      - .offset:         100
        .size:           4
        .value_kind:     by_value
      - .offset:         104
        .size:           4
        .value_kind:     by_value
      - .offset:         112
        .size:           8
        .value_kind:     by_value
      - .offset:         120
        .size:           8
        .value_kind:     by_value
      - .offset:         128
        .size:           8
        .value_kind:     by_value
    .group_segment_fixed_size: 49152
    .kernarg_segment_align: 8
    .kernarg_segment_size: 136
    .language:       OpenCL C
    .language_version:
      - 2
      - 0
    .max_flat_workgroup_size: 256
    .name:           _ZN12_GLOBAL__N_139chunk_gated_delta_rule_fwd_h_hip_kernelILi32ELb1ELb1ELb1ELb1ELb1ELb0ELb1ELb0EEEvPK12hip_bfloat16S3_S3_PKfS5_PKvPS1_S8_PvPKiSB_iiiiilll
    .private_segment_fixed_size: 0
    .sgpr_count:     74
    .sgpr_spill_count: 0
    .symbol:         _ZN12_GLOBAL__N_139chunk_gated_delta_rule_fwd_h_hip_kernelILi32ELb1ELb1ELb1ELb1ELb1ELb0ELb1ELb0EEEvPK12hip_bfloat16S3_S3_PKfS5_PKvPS1_S8_PvPKiSB_iiiiilll.kd
    .uniform_work_group_size: 1
    .uses_dynamic_stack: false
    .vgpr_count:     156
    .vgpr_spill_count: 0
    .wavefront_size: 64
  - .agpr_count:     16
    .args:
      - .actual_access:  read_only
        .address_space:  global
        .offset:         0
        .size:           8
        .value_kind:     global_buffer
      - .actual_access:  read_only
        .address_space:  global
        .offset:         8
        .size:           8
        .value_kind:     global_buffer
      - .actual_access:  read_only
        .address_space:  global
        .offset:         16
        .size:           8
        .value_kind:     global_buffer
      - .actual_access:  read_only
        .address_space:  global
        .offset:         24
        .size:           8
        .value_kind:     global_buffer
      - .actual_access:  read_only
        .address_space:  global
        .offset:         32
        .size:           8
        .value_kind:     global_buffer
      - .actual_access:  read_only
        .address_space:  global
        .offset:         40
        .size:           8
        .value_kind:     global_buffer
      - .actual_access:  write_only
        .address_space:  global
        .offset:         48
        .size:           8
        .value_kind:     global_buffer
      - .actual_access:  read_only
        .address_space:  global
        .offset:         56
        .size:           8
        .value_kind:     global_buffer
      - .actual_access:  write_only
        .address_space:  global
        .offset:         64
        .size:           8
        .value_kind:     global_buffer
      - .actual_access:  read_only
        .address_space:  global
        .offset:         72
        .size:           8
        .value_kind:     global_buffer
      - .actual_access:  read_only
        .address_space:  global
        .offset:         80
        .size:           8
        .value_kind:     global_buffer
      - .offset:         88
        .size:           4
        .value_kind:     by_value
      - .offset:         92
        .size:           4
        .value_kind:     by_value
      - .offset:         96
        .size:           4
        .value_kind:     by_value
      - .offset:         100
        .size:           4
        .value_kind:     by_value
      - .offset:         104
        .size:           4
        .value_kind:     by_value
      - .offset:         112
        .size:           8
        .value_kind:     by_value
      - .offset:         120
        .size:           8
        .value_kind:     by_value
      - .offset:         128
        .size:           8
        .value_kind:     by_value
    .group_segment_fixed_size: 49152
    .kernarg_segment_align: 8
    .kernarg_segment_size: 136
    .language:       OpenCL C
    .language_version:
      - 2
      - 0
    .max_flat_workgroup_size: 256
    .name:           _ZN12_GLOBAL__N_139chunk_gated_delta_rule_fwd_h_hip_kernelILi32ELb1ELb1ELb0ELb1ELb1ELb0ELb1ELb0EEEvPK12hip_bfloat16S3_S3_PKfS5_PKvPS1_S8_PvPKiSB_iiiiilll
    .private_segment_fixed_size: 0
    .sgpr_count:     70
    .sgpr_spill_count: 0
    .symbol:         _ZN12_GLOBAL__N_139chunk_gated_delta_rule_fwd_h_hip_kernelILi32ELb1ELb1ELb0ELb1ELb1ELb0ELb1ELb0EEEvPK12hip_bfloat16S3_S3_PKfS5_PKvPS1_S8_PvPKiSB_iiiiilll.kd
    .uniform_work_group_size: 1
    .uses_dynamic_stack: false
    .vgpr_count:     152
    .vgpr_spill_count: 0
    .wavefront_size: 64
  - .agpr_count:     20
    .args:
      - .actual_access:  read_only
        .address_space:  global
        .offset:         0
        .size:           8
        .value_kind:     global_buffer
      - .actual_access:  read_only
        .address_space:  global
        .offset:         8
        .size:           8
        .value_kind:     global_buffer
      - .actual_access:  read_only
        .address_space:  global
        .offset:         16
        .size:           8
        .value_kind:     global_buffer
      - .actual_access:  read_only
        .address_space:  global
        .offset:         24
        .size:           8
        .value_kind:     global_buffer
      - .actual_access:  read_only
        .address_space:  global
        .offset:         32
        .size:           8
        .value_kind:     global_buffer
      - .actual_access:  read_only
        .address_space:  global
        .offset:         40
        .size:           8
        .value_kind:     global_buffer
      - .actual_access:  write_only
        .address_space:  global
        .offset:         48
        .size:           8
        .value_kind:     global_buffer
      - .actual_access:  write_only
        .address_space:  global
        .offset:         56
        .size:           8
        .value_kind:     global_buffer
      - .actual_access:  read_only
        .address_space:  global
        .offset:         64
        .size:           8
        .value_kind:     global_buffer
      - .actual_access:  read_only
        .address_space:  global
        .offset:         72
        .size:           8
        .value_kind:     global_buffer
      - .actual_access:  read_only
        .address_space:  global
        .offset:         80
        .size:           8
        .value_kind:     global_buffer
      - .offset:         88
        .size:           4
        .value_kind:     by_value
      - .offset:         92
        .size:           4
        .value_kind:     by_value
      - .offset:         96
        .size:           4
        .value_kind:     by_value
      - .offset:         100
        .size:           4
        .value_kind:     by_value
      - .offset:         104
        .size:           4
        .value_kind:     by_value
      - .offset:         112
        .size:           8
        .value_kind:     by_value
      - .offset:         120
        .size:           8
        .value_kind:     by_value
      - .offset:         128
        .size:           8
        .value_kind:     by_value
    .group_segment_fixed_size: 49152
    .kernarg_segment_align: 8
    .kernarg_segment_size: 136
    .language:       OpenCL C
    .language_version:
      - 2
      - 0
    .max_flat_workgroup_size: 256
    .name:           _ZN12_GLOBAL__N_139chunk_gated_delta_rule_fwd_h_hip_kernelILi32ELb1ELb0ELb1ELb1ELb1ELb0ELb1ELb0EEEvPK12hip_bfloat16S3_S3_PKfS5_PKvPS1_S8_PvPKiSB_iiiiilll
    .private_segment_fixed_size: 0
    .sgpr_count:     70
    .sgpr_spill_count: 0
    .symbol:         _ZN12_GLOBAL__N_139chunk_gated_delta_rule_fwd_h_hip_kernelILi32ELb1ELb0ELb1ELb1ELb1ELb0ELb1ELb0EEEvPK12hip_bfloat16S3_S3_PKfS5_PKvPS1_S8_PvPKiSB_iiiiilll.kd
    .uniform_work_group_size: 1
    .uses_dynamic_stack: false
    .vgpr_count:     152
    .vgpr_spill_count: 0
    .wavefront_size: 64
  - .agpr_count:     20
    .args:
      - .actual_access:  read_only
        .address_space:  global
        .offset:         0
        .size:           8
        .value_kind:     global_buffer
      - .actual_access:  read_only
        .address_space:  global
        .offset:         8
        .size:           8
        .value_kind:     global_buffer
      - .actual_access:  read_only
        .address_space:  global
        .offset:         16
        .size:           8
        .value_kind:     global_buffer
      - .actual_access:  read_only
        .address_space:  global
        .offset:         24
        .size:           8
        .value_kind:     global_buffer
      - .actual_access:  read_only
        .address_space:  global
        .offset:         32
        .size:           8
        .value_kind:     global_buffer
      - .actual_access:  read_only
        .address_space:  global
        .offset:         40
        .size:           8
        .value_kind:     global_buffer
      - .actual_access:  write_only
        .address_space:  global
        .offset:         48
        .size:           8
        .value_kind:     global_buffer
      - .actual_access:  read_only
        .address_space:  global
        .offset:         56
        .size:           8
        .value_kind:     global_buffer
      - .actual_access:  read_only
        .address_space:  global
        .offset:         64
        .size:           8
        .value_kind:     global_buffer
      - .actual_access:  read_only
        .address_space:  global
        .offset:         72
        .size:           8
        .value_kind:     global_buffer
      - .actual_access:  read_only
        .address_space:  global
        .offset:         80
        .size:           8
        .value_kind:     global_buffer
      - .offset:         88
        .size:           4
        .value_kind:     by_value
      - .offset:         92
        .size:           4
        .value_kind:     by_value
      - .offset:         96
        .size:           4
        .value_kind:     by_value
      - .offset:         100
        .size:           4
        .value_kind:     by_value
      - .offset:         104
        .size:           4
        .value_kind:     by_value
      - .offset:         112
        .size:           8
        .value_kind:     by_value
      - .offset:         120
        .size:           8
        .value_kind:     by_value
      - .offset:         128
        .size:           8
        .value_kind:     by_value
    .group_segment_fixed_size: 49152
    .kernarg_segment_align: 8
    .kernarg_segment_size: 136
    .language:       OpenCL C
    .language_version:
      - 2
      - 0
    .max_flat_workgroup_size: 256
    .name:           _ZN12_GLOBAL__N_139chunk_gated_delta_rule_fwd_h_hip_kernelILi32ELb1ELb0ELb0ELb1ELb1ELb0ELb1ELb0EEEvPK12hip_bfloat16S3_S3_PKfS5_PKvPS1_S8_PvPKiSB_iiiiilll
    .private_segment_fixed_size: 0
    .sgpr_count:     66
    .sgpr_spill_count: 0
    .symbol:         _ZN12_GLOBAL__N_139chunk_gated_delta_rule_fwd_h_hip_kernelILi32ELb1ELb0ELb0ELb1ELb1ELb0ELb1ELb0EEEvPK12hip_bfloat16S3_S3_PKfS5_PKvPS1_S8_PvPKiSB_iiiiilll.kd
    .uniform_work_group_size: 1
    .uses_dynamic_stack: false
    .vgpr_count:     152
    .vgpr_spill_count: 0
    .wavefront_size: 64
  - .agpr_count:     16
    .args:
      - .actual_access:  read_only
        .address_space:  global
        .offset:         0
        .size:           8
        .value_kind:     global_buffer
      - .actual_access:  read_only
        .address_space:  global
        .offset:         8
        .size:           8
        .value_kind:     global_buffer
      - .actual_access:  read_only
        .address_space:  global
        .offset:         16
        .size:           8
        .value_kind:     global_buffer
      - .actual_access:  read_only
        .address_space:  global
        .offset:         24
        .size:           8
        .value_kind:     global_buffer
      - .actual_access:  read_only
        .address_space:  global
        .offset:         32
        .size:           8
        .value_kind:     global_buffer
      - .actual_access:  read_only
        .address_space:  global
        .offset:         40
        .size:           8
        .value_kind:     global_buffer
      - .actual_access:  write_only
        .address_space:  global
        .offset:         48
        .size:           8
        .value_kind:     global_buffer
      - .actual_access:  write_only
        .address_space:  global
        .offset:         56
        .size:           8
        .value_kind:     global_buffer
      - .actual_access:  write_only
        .address_space:  global
        .offset:         64
        .size:           8
        .value_kind:     global_buffer
      - .actual_access:  read_only
        .address_space:  global
        .offset:         72
        .size:           8
        .value_kind:     global_buffer
      - .actual_access:  read_only
        .address_space:  global
        .offset:         80
        .size:           8
        .value_kind:     global_buffer
      - .offset:         88
        .size:           4
        .value_kind:     by_value
      - .offset:         92
        .size:           4
        .value_kind:     by_value
      - .offset:         96
        .size:           4
        .value_kind:     by_value
      - .offset:         100
        .size:           4
        .value_kind:     by_value
      - .offset:         104
        .size:           4
        .value_kind:     by_value
      - .offset:         112
        .size:           8
        .value_kind:     by_value
      - .offset:         120
        .size:           8
        .value_kind:     by_value
      - .offset:         128
        .size:           8
        .value_kind:     by_value
    .group_segment_fixed_size: 49152
    .kernarg_segment_align: 8
    .kernarg_segment_size: 136
    .language:       OpenCL C
    .language_version:
      - 2
      - 0
    .max_flat_workgroup_size: 256
    .name:           _ZN12_GLOBAL__N_139chunk_gated_delta_rule_fwd_h_hip_kernelILi32ELb0ELb1ELb1ELb1ELb1ELb0ELb1ELb0EEEvPK12hip_bfloat16S3_S3_PKfS5_PKvPS1_S8_PvPKiSB_iiiiilll
    .private_segment_fixed_size: 0
    .sgpr_count:     74
    .sgpr_spill_count: 0
    .symbol:         _ZN12_GLOBAL__N_139chunk_gated_delta_rule_fwd_h_hip_kernelILi32ELb0ELb1ELb1ELb1ELb1ELb0ELb1ELb0EEEvPK12hip_bfloat16S3_S3_PKfS5_PKvPS1_S8_PvPKiSB_iiiiilll.kd
    .uniform_work_group_size: 1
    .uses_dynamic_stack: false
    .vgpr_count:     148
    .vgpr_spill_count: 0
    .wavefront_size: 64
  - .agpr_count:     16
    .args:
      - .actual_access:  read_only
        .address_space:  global
        .offset:         0
        .size:           8
        .value_kind:     global_buffer
      - .actual_access:  read_only
        .address_space:  global
        .offset:         8
        .size:           8
        .value_kind:     global_buffer
      - .actual_access:  read_only
        .address_space:  global
        .offset:         16
        .size:           8
        .value_kind:     global_buffer
      - .actual_access:  read_only
        .address_space:  global
        .offset:         24
        .size:           8
        .value_kind:     global_buffer
      - .actual_access:  read_only
        .address_space:  global
        .offset:         32
        .size:           8
        .value_kind:     global_buffer
      - .actual_access:  read_only
        .address_space:  global
        .offset:         40
        .size:           8
        .value_kind:     global_buffer
      - .actual_access:  write_only
        .address_space:  global
        .offset:         48
        .size:           8
        .value_kind:     global_buffer
      - .actual_access:  read_only
        .address_space:  global
        .offset:         56
        .size:           8
        .value_kind:     global_buffer
      - .actual_access:  write_only
        .address_space:  global
        .offset:         64
        .size:           8
        .value_kind:     global_buffer
      - .actual_access:  read_only
        .address_space:  global
        .offset:         72
        .size:           8
        .value_kind:     global_buffer
      - .actual_access:  read_only
        .address_space:  global
        .offset:         80
        .size:           8
        .value_kind:     global_buffer
      - .offset:         88
        .size:           4
        .value_kind:     by_value
      - .offset:         92
        .size:           4
        .value_kind:     by_value
      - .offset:         96
        .size:           4
        .value_kind:     by_value
      - .offset:         100
        .size:           4
        .value_kind:     by_value
      - .offset:         104
        .size:           4
        .value_kind:     by_value
      - .offset:         112
        .size:           8
        .value_kind:     by_value
      - .offset:         120
        .size:           8
        .value_kind:     by_value
      - .offset:         128
        .size:           8
        .value_kind:     by_value
    .group_segment_fixed_size: 49152
    .kernarg_segment_align: 8
    .kernarg_segment_size: 136
    .language:       OpenCL C
    .language_version:
      - 2
      - 0
    .max_flat_workgroup_size: 256
    .name:           _ZN12_GLOBAL__N_139chunk_gated_delta_rule_fwd_h_hip_kernelILi32ELb0ELb1ELb0ELb1ELb1ELb0ELb1ELb0EEEvPK12hip_bfloat16S3_S3_PKfS5_PKvPS1_S8_PvPKiSB_iiiiilll
    .private_segment_fixed_size: 0
    .sgpr_count:     70
    .sgpr_spill_count: 0
    .symbol:         _ZN12_GLOBAL__N_139chunk_gated_delta_rule_fwd_h_hip_kernelILi32ELb0ELb1ELb0ELb1ELb1ELb0ELb1ELb0EEEvPK12hip_bfloat16S3_S3_PKfS5_PKvPS1_S8_PvPKiSB_iiiiilll.kd
    .uniform_work_group_size: 1
    .uses_dynamic_stack: false
    .vgpr_count:     148
    .vgpr_spill_count: 0
    .wavefront_size: 64
  - .agpr_count:     20
    .args:
      - .actual_access:  read_only
        .address_space:  global
        .offset:         0
        .size:           8
        .value_kind:     global_buffer
      - .actual_access:  read_only
        .address_space:  global
        .offset:         8
        .size:           8
        .value_kind:     global_buffer
      - .actual_access:  read_only
        .address_space:  global
        .offset:         16
        .size:           8
        .value_kind:     global_buffer
      - .actual_access:  read_only
        .address_space:  global
        .offset:         24
        .size:           8
        .value_kind:     global_buffer
      - .actual_access:  read_only
        .address_space:  global
        .offset:         32
        .size:           8
        .value_kind:     global_buffer
      - .actual_access:  read_only
        .address_space:  global
        .offset:         40
        .size:           8
        .value_kind:     global_buffer
      - .actual_access:  write_only
        .address_space:  global
        .offset:         48
        .size:           8
        .value_kind:     global_buffer
      - .actual_access:  write_only
        .address_space:  global
        .offset:         56
        .size:           8
        .value_kind:     global_buffer
      - .actual_access:  read_only
        .address_space:  global
        .offset:         64
        .size:           8
        .value_kind:     global_buffer
      - .actual_access:  read_only
        .address_space:  global
        .offset:         72
        .size:           8
        .value_kind:     global_buffer
      - .actual_access:  read_only
        .address_space:  global
        .offset:         80
        .size:           8
        .value_kind:     global_buffer
      - .offset:         88
        .size:           4
        .value_kind:     by_value
      - .offset:         92
        .size:           4
        .value_kind:     by_value
      - .offset:         96
        .size:           4
        .value_kind:     by_value
      - .offset:         100
        .size:           4
        .value_kind:     by_value
      - .offset:         104
        .size:           4
        .value_kind:     by_value
      - .offset:         112
        .size:           8
        .value_kind:     by_value
      - .offset:         120
        .size:           8
        .value_kind:     by_value
      - .offset:         128
        .size:           8
        .value_kind:     by_value
    .group_segment_fixed_size: 49152
    .kernarg_segment_align: 8
    .kernarg_segment_size: 136
    .language:       OpenCL C
    .language_version:
      - 2
      - 0
    .max_flat_workgroup_size: 256
    .name:           _ZN12_GLOBAL__N_139chunk_gated_delta_rule_fwd_h_hip_kernelILi32ELb0ELb0ELb1ELb1ELb1ELb0ELb1ELb0EEEvPK12hip_bfloat16S3_S3_PKfS5_PKvPS1_S8_PvPKiSB_iiiiilll
    .private_segment_fixed_size: 0
    .sgpr_count:     68
    .sgpr_spill_count: 0
    .symbol:         _ZN12_GLOBAL__N_139chunk_gated_delta_rule_fwd_h_hip_kernelILi32ELb0ELb0ELb1ELb1ELb1ELb0ELb1ELb0EEEvPK12hip_bfloat16S3_S3_PKfS5_PKvPS1_S8_PvPKiSB_iiiiilll.kd
    .uniform_work_group_size: 1
    .uses_dynamic_stack: false
    .vgpr_count:     152
    .vgpr_spill_count: 0
    .wavefront_size: 64
  - .agpr_count:     20
    .args:
      - .actual_access:  read_only
        .address_space:  global
        .offset:         0
        .size:           8
        .value_kind:     global_buffer
      - .actual_access:  read_only
        .address_space:  global
        .offset:         8
        .size:           8
        .value_kind:     global_buffer
      - .actual_access:  read_only
        .address_space:  global
        .offset:         16
        .size:           8
        .value_kind:     global_buffer
      - .actual_access:  read_only
        .address_space:  global
        .offset:         24
        .size:           8
        .value_kind:     global_buffer
      - .actual_access:  read_only
        .address_space:  global
        .offset:         32
        .size:           8
        .value_kind:     global_buffer
      - .actual_access:  read_only
        .address_space:  global
        .offset:         40
        .size:           8
        .value_kind:     global_buffer
      - .actual_access:  write_only
        .address_space:  global
        .offset:         48
        .size:           8
        .value_kind:     global_buffer
      - .actual_access:  read_only
        .address_space:  global
        .offset:         56
        .size:           8
        .value_kind:     global_buffer
      - .actual_access:  read_only
        .address_space:  global
        .offset:         64
        .size:           8
        .value_kind:     global_buffer
      - .actual_access:  read_only
        .address_space:  global
        .offset:         72
        .size:           8
        .value_kind:     global_buffer
      - .actual_access:  read_only
        .address_space:  global
        .offset:         80
        .size:           8
        .value_kind:     global_buffer
      - .offset:         88
        .size:           4
        .value_kind:     by_value
      - .offset:         92
        .size:           4
        .value_kind:     by_value
      - .offset:         96
        .size:           4
        .value_kind:     by_value
      - .offset:         100
        .size:           4
        .value_kind:     by_value
      - .offset:         104
        .size:           4
        .value_kind:     by_value
      - .offset:         112
        .size:           8
        .value_kind:     by_value
      - .offset:         120
        .size:           8
        .value_kind:     by_value
      - .offset:         128
        .size:           8
        .value_kind:     by_value
    .group_segment_fixed_size: 49152
    .kernarg_segment_align: 8
    .kernarg_segment_size: 136
    .language:       OpenCL C
    .language_version:
      - 2
      - 0
    .max_flat_workgroup_size: 256
    .name:           _ZN12_GLOBAL__N_139chunk_gated_delta_rule_fwd_h_hip_kernelILi32ELb0ELb0ELb0ELb1ELb1ELb0ELb1ELb0EEEvPK12hip_bfloat16S3_S3_PKfS5_PKvPS1_S8_PvPKiSB_iiiiilll
    .private_segment_fixed_size: 0
    .sgpr_count:     65
    .sgpr_spill_count: 0
    .symbol:         _ZN12_GLOBAL__N_139chunk_gated_delta_rule_fwd_h_hip_kernelILi32ELb0ELb0ELb0ELb1ELb1ELb0ELb1ELb0EEEvPK12hip_bfloat16S3_S3_PKfS5_PKvPS1_S8_PvPKiSB_iiiiilll.kd
    .uniform_work_group_size: 1
    .uses_dynamic_stack: false
    .vgpr_count:     152
    .vgpr_spill_count: 0
    .wavefront_size: 64
  - .agpr_count:     16
    .args:
      - .actual_access:  read_only
        .address_space:  global
        .offset:         0
        .size:           8
        .value_kind:     global_buffer
      - .actual_access:  read_only
        .address_space:  global
        .offset:         8
        .size:           8
        .value_kind:     global_buffer
      - .actual_access:  read_only
        .address_space:  global
        .offset:         16
        .size:           8
        .value_kind:     global_buffer
      - .actual_access:  read_only
        .address_space:  global
        .offset:         24
        .size:           8
        .value_kind:     global_buffer
      - .actual_access:  read_only
        .address_space:  global
        .offset:         32
        .size:           8
        .value_kind:     global_buffer
      - .actual_access:  read_only
        .address_space:  global
        .offset:         40
        .size:           8
        .value_kind:     global_buffer
      - .actual_access:  write_only
        .address_space:  global
        .offset:         48
        .size:           8
        .value_kind:     global_buffer
      - .actual_access:  write_only
        .address_space:  global
        .offset:         56
        .size:           8
        .value_kind:     global_buffer
      - .actual_access:  write_only
        .address_space:  global
        .offset:         64
        .size:           8
        .value_kind:     global_buffer
      - .actual_access:  read_only
        .address_space:  global
        .offset:         72
        .size:           8
        .value_kind:     global_buffer
      - .actual_access:  read_only
        .address_space:  global
        .offset:         80
        .size:           8
        .value_kind:     global_buffer
      - .offset:         88
        .size:           4
        .value_kind:     by_value
      - .offset:         92
        .size:           4
        .value_kind:     by_value
      - .offset:         96
        .size:           4
        .value_kind:     by_value
      - .offset:         100
        .size:           4
        .value_kind:     by_value
      - .offset:         104
        .size:           4
        .value_kind:     by_value
      - .offset:         112
        .size:           8
        .value_kind:     by_value
      - .offset:         120
        .size:           8
        .value_kind:     by_value
      - .offset:         128
        .size:           8
        .value_kind:     by_value
    .group_segment_fixed_size: 49152
    .kernarg_segment_align: 8
    .kernarg_segment_size: 136
    .language:       OpenCL C
    .language_version:
      - 2
      - 0
    .max_flat_workgroup_size: 256
    .name:           _ZN12_GLOBAL__N_139chunk_gated_delta_rule_fwd_h_hip_kernelILi32ELb1ELb1ELb1ELb0ELb1ELb0ELb1ELb0EEEvPK12hip_bfloat16S3_S3_PKfS5_PKvPS1_S8_PvPKiSB_iiiiilll
    .private_segment_fixed_size: 0
    .sgpr_count:     80
    .sgpr_spill_count: 0
    .symbol:         _ZN12_GLOBAL__N_139chunk_gated_delta_rule_fwd_h_hip_kernelILi32ELb1ELb1ELb1ELb0ELb1ELb0ELb1ELb0EEEvPK12hip_bfloat16S3_S3_PKfS5_PKvPS1_S8_PvPKiSB_iiiiilll.kd
    .uniform_work_group_size: 1
    .uses_dynamic_stack: false
    .vgpr_count:     156
    .vgpr_spill_count: 0
    .wavefront_size: 64
  - .agpr_count:     16
    .args:
      - .actual_access:  read_only
        .address_space:  global
        .offset:         0
        .size:           8
        .value_kind:     global_buffer
      - .actual_access:  read_only
        .address_space:  global
        .offset:         8
        .size:           8
        .value_kind:     global_buffer
      - .actual_access:  read_only
        .address_space:  global
        .offset:         16
        .size:           8
        .value_kind:     global_buffer
      - .actual_access:  read_only
        .address_space:  global
        .offset:         24
        .size:           8
        .value_kind:     global_buffer
      - .actual_access:  read_only
        .address_space:  global
        .offset:         32
        .size:           8
        .value_kind:     global_buffer
      - .actual_access:  read_only
        .address_space:  global
        .offset:         40
        .size:           8
        .value_kind:     global_buffer
      - .actual_access:  write_only
        .address_space:  global
        .offset:         48
        .size:           8
        .value_kind:     global_buffer
      - .actual_access:  read_only
        .address_space:  global
        .offset:         56
        .size:           8
        .value_kind:     global_buffer
      - .actual_access:  write_only
        .address_space:  global
        .offset:         64
        .size:           8
        .value_kind:     global_buffer
      - .actual_access:  read_only
        .address_space:  global
        .offset:         72
        .size:           8
        .value_kind:     global_buffer
      - .actual_access:  read_only
        .address_space:  global
        .offset:         80
        .size:           8
        .value_kind:     global_buffer
      - .offset:         88
        .size:           4
        .value_kind:     by_value
      - .offset:         92
        .size:           4
        .value_kind:     by_value
      - .offset:         96
        .size:           4
        .value_kind:     by_value
      - .offset:         100
        .size:           4
        .value_kind:     by_value
      - .offset:         104
        .size:           4
        .value_kind:     by_value
      - .offset:         112
        .size:           8
        .value_kind:     by_value
      - .offset:         120
        .size:           8
        .value_kind:     by_value
      - .offset:         128
        .size:           8
        .value_kind:     by_value
    .group_segment_fixed_size: 49152
    .kernarg_segment_align: 8
    .kernarg_segment_size: 136
    .language:       OpenCL C
    .language_version:
      - 2
      - 0
    .max_flat_workgroup_size: 256
    .name:           _ZN12_GLOBAL__N_139chunk_gated_delta_rule_fwd_h_hip_kernelILi32ELb1ELb1ELb0ELb0ELb1ELb0ELb1ELb0EEEvPK12hip_bfloat16S3_S3_PKfS5_PKvPS1_S8_PvPKiSB_iiiiilll
    .private_segment_fixed_size: 0
    .sgpr_count:     75
    .sgpr_spill_count: 0
    .symbol:         _ZN12_GLOBAL__N_139chunk_gated_delta_rule_fwd_h_hip_kernelILi32ELb1ELb1ELb0ELb0ELb1ELb0ELb1ELb0EEEvPK12hip_bfloat16S3_S3_PKfS5_PKvPS1_S8_PvPKiSB_iiiiilll.kd
    .uniform_work_group_size: 1
    .uses_dynamic_stack: false
    .vgpr_count:     152
    .vgpr_spill_count: 0
    .wavefront_size: 64
  - .agpr_count:     20
    .args:
      - .actual_access:  read_only
        .address_space:  global
        .offset:         0
        .size:           8
        .value_kind:     global_buffer
      - .actual_access:  read_only
        .address_space:  global
        .offset:         8
        .size:           8
        .value_kind:     global_buffer
      - .actual_access:  read_only
        .address_space:  global
        .offset:         16
        .size:           8
        .value_kind:     global_buffer
      - .actual_access:  read_only
        .address_space:  global
        .offset:         24
        .size:           8
        .value_kind:     global_buffer
      - .actual_access:  read_only
        .address_space:  global
        .offset:         32
        .size:           8
        .value_kind:     global_buffer
      - .actual_access:  read_only
        .address_space:  global
        .offset:         40
        .size:           8
        .value_kind:     global_buffer
      - .actual_access:  write_only
        .address_space:  global
        .offset:         48
        .size:           8
        .value_kind:     global_buffer
      - .actual_access:  write_only
        .address_space:  global
        .offset:         56
        .size:           8
        .value_kind:     global_buffer
      - .actual_access:  read_only
        .address_space:  global
        .offset:         64
        .size:           8
        .value_kind:     global_buffer
      - .actual_access:  read_only
        .address_space:  global
        .offset:         72
        .size:           8
        .value_kind:     global_buffer
      - .actual_access:  read_only
        .address_space:  global
        .offset:         80
        .size:           8
        .value_kind:     global_buffer
      - .offset:         88
        .size:           4
        .value_kind:     by_value
      - .offset:         92
        .size:           4
        .value_kind:     by_value
      - .offset:         96
        .size:           4
        .value_kind:     by_value
      - .offset:         100
        .size:           4
        .value_kind:     by_value
      - .offset:         104
        .size:           4
        .value_kind:     by_value
      - .offset:         112
        .size:           8
        .value_kind:     by_value
      - .offset:         120
        .size:           8
        .value_kind:     by_value
      - .offset:         128
        .size:           8
        .value_kind:     by_value
    .group_segment_fixed_size: 49152
    .kernarg_segment_align: 8
    .kernarg_segment_size: 136
    .language:       OpenCL C
    .language_version:
      - 2
      - 0
    .max_flat_workgroup_size: 256
    .name:           _ZN12_GLOBAL__N_139chunk_gated_delta_rule_fwd_h_hip_kernelILi32ELb1ELb0ELb1ELb0ELb1ELb0ELb1ELb0EEEvPK12hip_bfloat16S3_S3_PKfS5_PKvPS1_S8_PvPKiSB_iiiiilll
    .private_segment_fixed_size: 0
    .sgpr_count:     76
    .sgpr_spill_count: 0
    .symbol:         _ZN12_GLOBAL__N_139chunk_gated_delta_rule_fwd_h_hip_kernelILi32ELb1ELb0ELb1ELb0ELb1ELb0ELb1ELb0EEEvPK12hip_bfloat16S3_S3_PKfS5_PKvPS1_S8_PvPKiSB_iiiiilll.kd
    .uniform_work_group_size: 1
    .uses_dynamic_stack: false
    .vgpr_count:     152
    .vgpr_spill_count: 0
    .wavefront_size: 64
  - .agpr_count:     20
    .args:
      - .actual_access:  read_only
        .address_space:  global
        .offset:         0
        .size:           8
        .value_kind:     global_buffer
      - .actual_access:  read_only
        .address_space:  global
        .offset:         8
        .size:           8
        .value_kind:     global_buffer
      - .actual_access:  read_only
        .address_space:  global
        .offset:         16
        .size:           8
        .value_kind:     global_buffer
      - .actual_access:  read_only
        .address_space:  global
        .offset:         24
        .size:           8
        .value_kind:     global_buffer
      - .actual_access:  read_only
        .address_space:  global
        .offset:         32
        .size:           8
        .value_kind:     global_buffer
      - .actual_access:  read_only
        .address_space:  global
        .offset:         40
        .size:           8
        .value_kind:     global_buffer
      - .actual_access:  write_only
        .address_space:  global
        .offset:         48
        .size:           8
        .value_kind:     global_buffer
      - .actual_access:  read_only
        .address_space:  global
        .offset:         56
        .size:           8
        .value_kind:     global_buffer
      - .actual_access:  read_only
        .address_space:  global
        .offset:         64
        .size:           8
        .value_kind:     global_buffer
      - .actual_access:  read_only
        .address_space:  global
        .offset:         72
        .size:           8
        .value_kind:     global_buffer
      - .actual_access:  read_only
        .address_space:  global
        .offset:         80
        .size:           8
        .value_kind:     global_buffer
      - .offset:         88
        .size:           4
        .value_kind:     by_value
      - .offset:         92
        .size:           4
        .value_kind:     by_value
      - .offset:         96
        .size:           4
        .value_kind:     by_value
      - .offset:         100
        .size:           4
        .value_kind:     by_value
      - .offset:         104
        .size:           4
        .value_kind:     by_value
      - .offset:         112
        .size:           8
        .value_kind:     by_value
      - .offset:         120
        .size:           8
        .value_kind:     by_value
      - .offset:         128
        .size:           8
        .value_kind:     by_value
    .group_segment_fixed_size: 49152
    .kernarg_segment_align: 8
    .kernarg_segment_size: 136
    .language:       OpenCL C
    .language_version:
      - 2
      - 0
    .max_flat_workgroup_size: 256
    .name:           _ZN12_GLOBAL__N_139chunk_gated_delta_rule_fwd_h_hip_kernelILi32ELb1ELb0ELb0ELb0ELb1ELb0ELb1ELb0EEEvPK12hip_bfloat16S3_S3_PKfS5_PKvPS1_S8_PvPKiSB_iiiiilll
    .private_segment_fixed_size: 0
    .sgpr_count:     71
    .sgpr_spill_count: 0
    .symbol:         _ZN12_GLOBAL__N_139chunk_gated_delta_rule_fwd_h_hip_kernelILi32ELb1ELb0ELb0ELb0ELb1ELb0ELb1ELb0EEEvPK12hip_bfloat16S3_S3_PKfS5_PKvPS1_S8_PvPKiSB_iiiiilll.kd
    .uniform_work_group_size: 1
    .uses_dynamic_stack: false
    .vgpr_count:     152
    .vgpr_spill_count: 0
    .wavefront_size: 64
  - .agpr_count:     16
    .args:
      - .actual_access:  read_only
        .address_space:  global
        .offset:         0
        .size:           8
        .value_kind:     global_buffer
      - .actual_access:  read_only
        .address_space:  global
        .offset:         8
        .size:           8
        .value_kind:     global_buffer
      - .actual_access:  read_only
        .address_space:  global
        .offset:         16
        .size:           8
        .value_kind:     global_buffer
      - .actual_access:  read_only
        .address_space:  global
        .offset:         24
        .size:           8
        .value_kind:     global_buffer
      - .actual_access:  read_only
        .address_space:  global
        .offset:         32
        .size:           8
        .value_kind:     global_buffer
      - .actual_access:  read_only
        .address_space:  global
        .offset:         40
        .size:           8
        .value_kind:     global_buffer
      - .actual_access:  write_only
        .address_space:  global
        .offset:         48
        .size:           8
        .value_kind:     global_buffer
      - .actual_access:  write_only
        .address_space:  global
        .offset:         56
        .size:           8
        .value_kind:     global_buffer
      - .actual_access:  write_only
        .address_space:  global
        .offset:         64
        .size:           8
        .value_kind:     global_buffer
      - .actual_access:  read_only
        .address_space:  global
        .offset:         72
        .size:           8
        .value_kind:     global_buffer
      - .actual_access:  read_only
        .address_space:  global
        .offset:         80
        .size:           8
        .value_kind:     global_buffer
      - .offset:         88
        .size:           4
        .value_kind:     by_value
      - .offset:         92
        .size:           4
        .value_kind:     by_value
      - .offset:         96
        .size:           4
        .value_kind:     by_value
      - .offset:         100
        .size:           4
        .value_kind:     by_value
      - .offset:         104
        .size:           4
        .value_kind:     by_value
      - .offset:         112
        .size:           8
        .value_kind:     by_value
      - .offset:         120
        .size:           8
        .value_kind:     by_value
      - .offset:         128
        .size:           8
        .value_kind:     by_value
    .group_segment_fixed_size: 49152
    .kernarg_segment_align: 8
    .kernarg_segment_size: 136
    .language:       OpenCL C
    .language_version:
      - 2
      - 0
    .max_flat_workgroup_size: 256
    .name:           _ZN12_GLOBAL__N_139chunk_gated_delta_rule_fwd_h_hip_kernelILi32ELb0ELb1ELb1ELb0ELb1ELb0ELb1ELb0EEEvPK12hip_bfloat16S3_S3_PKfS5_PKvPS1_S8_PvPKiSB_iiiiilll
    .private_segment_fixed_size: 0
    .sgpr_count:     74
    .sgpr_spill_count: 0
    .symbol:         _ZN12_GLOBAL__N_139chunk_gated_delta_rule_fwd_h_hip_kernelILi32ELb0ELb1ELb1ELb0ELb1ELb0ELb1ELb0EEEvPK12hip_bfloat16S3_S3_PKfS5_PKvPS1_S8_PvPKiSB_iiiiilll.kd
    .uniform_work_group_size: 1
    .uses_dynamic_stack: false
    .vgpr_count:     148
    .vgpr_spill_count: 0
    .wavefront_size: 64
  - .agpr_count:     16
    .args:
      - .actual_access:  read_only
        .address_space:  global
        .offset:         0
        .size:           8
        .value_kind:     global_buffer
      - .actual_access:  read_only
        .address_space:  global
        .offset:         8
        .size:           8
        .value_kind:     global_buffer
      - .actual_access:  read_only
        .address_space:  global
        .offset:         16
        .size:           8
        .value_kind:     global_buffer
      - .actual_access:  read_only
        .address_space:  global
        .offset:         24
        .size:           8
        .value_kind:     global_buffer
      - .actual_access:  read_only
        .address_space:  global
        .offset:         32
        .size:           8
        .value_kind:     global_buffer
      - .actual_access:  read_only
        .address_space:  global
        .offset:         40
        .size:           8
        .value_kind:     global_buffer
      - .actual_access:  write_only
        .address_space:  global
        .offset:         48
        .size:           8
        .value_kind:     global_buffer
      - .actual_access:  read_only
        .address_space:  global
        .offset:         56
        .size:           8
        .value_kind:     global_buffer
      - .actual_access:  write_only
        .address_space:  global
        .offset:         64
        .size:           8
        .value_kind:     global_buffer
      - .actual_access:  read_only
        .address_space:  global
        .offset:         72
        .size:           8
        .value_kind:     global_buffer
      - .actual_access:  read_only
        .address_space:  global
        .offset:         80
        .size:           8
        .value_kind:     global_buffer
      - .offset:         88
        .size:           4
        .value_kind:     by_value
      - .offset:         92
        .size:           4
        .value_kind:     by_value
      - .offset:         96
        .size:           4
        .value_kind:     by_value
      - .offset:         100
        .size:           4
        .value_kind:     by_value
      - .offset:         104
        .size:           4
        .value_kind:     by_value
      - .offset:         112
        .size:           8
        .value_kind:     by_value
      - .offset:         120
        .size:           8
        .value_kind:     by_value
      - .offset:         128
        .size:           8
        .value_kind:     by_value
    .group_segment_fixed_size: 49152
    .kernarg_segment_align: 8
    .kernarg_segment_size: 136
    .language:       OpenCL C
    .language_version:
      - 2
      - 0
    .max_flat_workgroup_size: 256
    .name:           _ZN12_GLOBAL__N_139chunk_gated_delta_rule_fwd_h_hip_kernelILi32ELb0ELb1ELb0ELb0ELb1ELb0ELb1ELb0EEEvPK12hip_bfloat16S3_S3_PKfS5_PKvPS1_S8_PvPKiSB_iiiiilll
    .private_segment_fixed_size: 0
    .sgpr_count:     70
    .sgpr_spill_count: 0
    .symbol:         _ZN12_GLOBAL__N_139chunk_gated_delta_rule_fwd_h_hip_kernelILi32ELb0ELb1ELb0ELb0ELb1ELb0ELb1ELb0EEEvPK12hip_bfloat16S3_S3_PKfS5_PKvPS1_S8_PvPKiSB_iiiiilll.kd
    .uniform_work_group_size: 1
    .uses_dynamic_stack: false
    .vgpr_count:     148
    .vgpr_spill_count: 0
    .wavefront_size: 64
  - .agpr_count:     20
    .args:
      - .actual_access:  read_only
        .address_space:  global
        .offset:         0
        .size:           8
        .value_kind:     global_buffer
      - .actual_access:  read_only
        .address_space:  global
        .offset:         8
        .size:           8
        .value_kind:     global_buffer
      - .actual_access:  read_only
        .address_space:  global
        .offset:         16
        .size:           8
        .value_kind:     global_buffer
      - .actual_access:  read_only
        .address_space:  global
        .offset:         24
        .size:           8
        .value_kind:     global_buffer
      - .actual_access:  read_only
        .address_space:  global
        .offset:         32
        .size:           8
        .value_kind:     global_buffer
      - .actual_access:  read_only
        .address_space:  global
        .offset:         40
        .size:           8
        .value_kind:     global_buffer
      - .actual_access:  write_only
        .address_space:  global
        .offset:         48
        .size:           8
        .value_kind:     global_buffer
      - .actual_access:  write_only
        .address_space:  global
        .offset:         56
        .size:           8
        .value_kind:     global_buffer
      - .actual_access:  read_only
        .address_space:  global
        .offset:         64
        .size:           8
        .value_kind:     global_buffer
      - .actual_access:  read_only
        .address_space:  global
        .offset:         72
        .size:           8
        .value_kind:     global_buffer
      - .actual_access:  read_only
        .address_space:  global
        .offset:         80
        .size:           8
        .value_kind:     global_buffer
      - .offset:         88
        .size:           4
        .value_kind:     by_value
      - .offset:         92
        .size:           4
        .value_kind:     by_value
      - .offset:         96
        .size:           4
        .value_kind:     by_value
      - .offset:         100
        .size:           4
        .value_kind:     by_value
      - .offset:         104
        .size:           4
        .value_kind:     by_value
      - .offset:         112
        .size:           8
        .value_kind:     by_value
      - .offset:         120
        .size:           8
        .value_kind:     by_value
      - .offset:         128
        .size:           8
        .value_kind:     by_value
    .group_segment_fixed_size: 49152
    .kernarg_segment_align: 8
    .kernarg_segment_size: 136
    .language:       OpenCL C
    .language_version:
      - 2
      - 0
    .max_flat_workgroup_size: 256
    .name:           _ZN12_GLOBAL__N_139chunk_gated_delta_rule_fwd_h_hip_kernelILi32ELb0ELb0ELb1ELb0ELb1ELb0ELb1ELb0EEEvPK12hip_bfloat16S3_S3_PKfS5_PKvPS1_S8_PvPKiSB_iiiiilll
    .private_segment_fixed_size: 0
    .sgpr_count:     72
    .sgpr_spill_count: 0
    .symbol:         _ZN12_GLOBAL__N_139chunk_gated_delta_rule_fwd_h_hip_kernelILi32ELb0ELb0ELb1ELb0ELb1ELb0ELb1ELb0EEEvPK12hip_bfloat16S3_S3_PKfS5_PKvPS1_S8_PvPKiSB_iiiiilll.kd
    .uniform_work_group_size: 1
    .uses_dynamic_stack: false
    .vgpr_count:     152
    .vgpr_spill_count: 0
    .wavefront_size: 64
  - .agpr_count:     20
    .args:
      - .actual_access:  read_only
        .address_space:  global
        .offset:         0
        .size:           8
        .value_kind:     global_buffer
      - .actual_access:  read_only
        .address_space:  global
        .offset:         8
        .size:           8
        .value_kind:     global_buffer
      - .actual_access:  read_only
        .address_space:  global
        .offset:         16
        .size:           8
        .value_kind:     global_buffer
      - .actual_access:  read_only
        .address_space:  global
        .offset:         24
        .size:           8
        .value_kind:     global_buffer
      - .actual_access:  read_only
        .address_space:  global
        .offset:         32
        .size:           8
        .value_kind:     global_buffer
      - .actual_access:  read_only
        .address_space:  global
        .offset:         40
        .size:           8
        .value_kind:     global_buffer
      - .actual_access:  write_only
        .address_space:  global
        .offset:         48
        .size:           8
        .value_kind:     global_buffer
      - .actual_access:  read_only
        .address_space:  global
        .offset:         56
        .size:           8
        .value_kind:     global_buffer
      - .actual_access:  read_only
        .address_space:  global
        .offset:         64
        .size:           8
        .value_kind:     global_buffer
      - .actual_access:  read_only
        .address_space:  global
        .offset:         72
        .size:           8
        .value_kind:     global_buffer
      - .actual_access:  read_only
        .address_space:  global
        .offset:         80
        .size:           8
        .value_kind:     global_buffer
      - .offset:         88
        .size:           4
        .value_kind:     by_value
      - .offset:         92
        .size:           4
        .value_kind:     by_value
      - .offset:         96
        .size:           4
        .value_kind:     by_value
      - .offset:         100
        .size:           4
        .value_kind:     by_value
      - .offset:         104
        .size:           4
        .value_kind:     by_value
      - .offset:         112
        .size:           8
        .value_kind:     by_value
      - .offset:         120
        .size:           8
        .value_kind:     by_value
      - .offset:         128
        .size:           8
        .value_kind:     by_value
    .group_segment_fixed_size: 49152
    .kernarg_segment_align: 8
    .kernarg_segment_size: 136
    .language:       OpenCL C
    .language_version:
      - 2
      - 0
    .max_flat_workgroup_size: 256
    .name:           _ZN12_GLOBAL__N_139chunk_gated_delta_rule_fwd_h_hip_kernelILi32ELb0ELb0ELb0ELb0ELb1ELb0ELb1ELb0EEEvPK12hip_bfloat16S3_S3_PKfS5_PKvPS1_S8_PvPKiSB_iiiiilll
    .private_segment_fixed_size: 0
    .sgpr_count:     68
    .sgpr_spill_count: 0
    .symbol:         _ZN12_GLOBAL__N_139chunk_gated_delta_rule_fwd_h_hip_kernelILi32ELb0ELb0ELb0ELb0ELb1ELb0ELb1ELb0EEEvPK12hip_bfloat16S3_S3_PKfS5_PKvPS1_S8_PvPKiSB_iiiiilll.kd
    .uniform_work_group_size: 1
    .uses_dynamic_stack: false
    .vgpr_count:     152
    .vgpr_spill_count: 0
    .wavefront_size: 64
  - .agpr_count:     16
    .args:
      - .actual_access:  read_only
        .address_space:  global
        .offset:         0
        .size:           8
        .value_kind:     global_buffer
      - .actual_access:  read_only
        .address_space:  global
        .offset:         8
        .size:           8
        .value_kind:     global_buffer
      - .actual_access:  read_only
        .address_space:  global
        .offset:         16
        .size:           8
        .value_kind:     global_buffer
      - .actual_access:  read_only
        .address_space:  global
        .offset:         24
        .size:           8
        .value_kind:     global_buffer
      - .actual_access:  read_only
        .address_space:  global
        .offset:         32
        .size:           8
        .value_kind:     global_buffer
      - .actual_access:  read_only
        .address_space:  global
        .offset:         40
        .size:           8
        .value_kind:     global_buffer
      - .actual_access:  write_only
        .address_space:  global
        .offset:         48
        .size:           8
        .value_kind:     global_buffer
      - .actual_access:  write_only
        .address_space:  global
        .offset:         56
        .size:           8
        .value_kind:     global_buffer
      - .actual_access:  write_only
        .address_space:  global
        .offset:         64
        .size:           8
        .value_kind:     global_buffer
      - .actual_access:  read_only
        .address_space:  global
        .offset:         72
        .size:           8
        .value_kind:     global_buffer
      - .actual_access:  read_only
        .address_space:  global
        .offset:         80
        .size:           8
        .value_kind:     global_buffer
      - .offset:         88
        .size:           4
        .value_kind:     by_value
      - .offset:         92
        .size:           4
        .value_kind:     by_value
      - .offset:         96
        .size:           4
        .value_kind:     by_value
      - .offset:         100
        .size:           4
        .value_kind:     by_value
      - .offset:         104
        .size:           4
        .value_kind:     by_value
      - .offset:         112
        .size:           8
        .value_kind:     by_value
      - .offset:         120
        .size:           8
        .value_kind:     by_value
      - .offset:         128
        .size:           8
        .value_kind:     by_value
    .group_segment_fixed_size: 49152
    .kernarg_segment_align: 8
    .kernarg_segment_size: 136
    .language:       OpenCL C
    .language_version:
      - 2
      - 0
    .max_flat_workgroup_size: 256
    .name:           _ZN12_GLOBAL__N_139chunk_gated_delta_rule_fwd_h_hip_kernelILi32ELb1ELb1ELb1ELb1ELb1ELb0ELb0ELb0EEEvPK12hip_bfloat16S3_S3_PKfS5_PKvPS1_S8_PvPKiSB_iiiiilll
    .private_segment_fixed_size: 0
    .sgpr_count:     74
    .sgpr_spill_count: 0
    .symbol:         _ZN12_GLOBAL__N_139chunk_gated_delta_rule_fwd_h_hip_kernelILi32ELb1ELb1ELb1ELb1ELb1ELb0ELb0ELb0EEEvPK12hip_bfloat16S3_S3_PKfS5_PKvPS1_S8_PvPKiSB_iiiiilll.kd
    .uniform_work_group_size: 1
    .uses_dynamic_stack: false
    .vgpr_count:     156
    .vgpr_spill_count: 0
    .wavefront_size: 64
  - .agpr_count:     16
    .args:
      - .actual_access:  read_only
        .address_space:  global
        .offset:         0
        .size:           8
        .value_kind:     global_buffer
      - .actual_access:  read_only
        .address_space:  global
        .offset:         8
        .size:           8
        .value_kind:     global_buffer
      - .actual_access:  read_only
        .address_space:  global
        .offset:         16
        .size:           8
        .value_kind:     global_buffer
      - .actual_access:  read_only
        .address_space:  global
        .offset:         24
        .size:           8
        .value_kind:     global_buffer
      - .actual_access:  read_only
        .address_space:  global
        .offset:         32
        .size:           8
        .value_kind:     global_buffer
      - .actual_access:  read_only
        .address_space:  global
        .offset:         40
        .size:           8
        .value_kind:     global_buffer
      - .actual_access:  write_only
        .address_space:  global
        .offset:         48
        .size:           8
        .value_kind:     global_buffer
      - .actual_access:  read_only
        .address_space:  global
        .offset:         56
        .size:           8
        .value_kind:     global_buffer
      - .actual_access:  write_only
        .address_space:  global
        .offset:         64
        .size:           8
        .value_kind:     global_buffer
      - .actual_access:  read_only
        .address_space:  global
        .offset:         72
        .size:           8
        .value_kind:     global_buffer
      - .actual_access:  read_only
        .address_space:  global
        .offset:         80
        .size:           8
        .value_kind:     global_buffer
      - .offset:         88
        .size:           4
        .value_kind:     by_value
      - .offset:         92
        .size:           4
        .value_kind:     by_value
      - .offset:         96
        .size:           4
        .value_kind:     by_value
      - .offset:         100
        .size:           4
        .value_kind:     by_value
      - .offset:         104
        .size:           4
        .value_kind:     by_value
      - .offset:         112
        .size:           8
        .value_kind:     by_value
      - .offset:         120
        .size:           8
        .value_kind:     by_value
      - .offset:         128
        .size:           8
        .value_kind:     by_value
    .group_segment_fixed_size: 49152
    .kernarg_segment_align: 8
    .kernarg_segment_size: 136
    .language:       OpenCL C
    .language_version:
      - 2
      - 0
    .max_flat_workgroup_size: 256
    .name:           _ZN12_GLOBAL__N_139chunk_gated_delta_rule_fwd_h_hip_kernelILi32ELb1ELb1ELb0ELb1ELb1ELb0ELb0ELb0EEEvPK12hip_bfloat16S3_S3_PKfS5_PKvPS1_S8_PvPKiSB_iiiiilll
    .private_segment_fixed_size: 0
    .sgpr_count:     70
    .sgpr_spill_count: 0
    .symbol:         _ZN12_GLOBAL__N_139chunk_gated_delta_rule_fwd_h_hip_kernelILi32ELb1ELb1ELb0ELb1ELb1ELb0ELb0ELb0EEEvPK12hip_bfloat16S3_S3_PKfS5_PKvPS1_S8_PvPKiSB_iiiiilll.kd
    .uniform_work_group_size: 1
    .uses_dynamic_stack: false
    .vgpr_count:     152
    .vgpr_spill_count: 0
    .wavefront_size: 64
  - .agpr_count:     20
    .args:
      - .actual_access:  read_only
        .address_space:  global
        .offset:         0
        .size:           8
        .value_kind:     global_buffer
      - .actual_access:  read_only
        .address_space:  global
        .offset:         8
        .size:           8
        .value_kind:     global_buffer
      - .actual_access:  read_only
        .address_space:  global
        .offset:         16
        .size:           8
        .value_kind:     global_buffer
      - .actual_access:  read_only
        .address_space:  global
        .offset:         24
        .size:           8
        .value_kind:     global_buffer
      - .actual_access:  read_only
        .address_space:  global
        .offset:         32
        .size:           8
        .value_kind:     global_buffer
      - .actual_access:  read_only
        .address_space:  global
        .offset:         40
        .size:           8
        .value_kind:     global_buffer
      - .actual_access:  write_only
        .address_space:  global
        .offset:         48
        .size:           8
        .value_kind:     global_buffer
      - .actual_access:  write_only
        .address_space:  global
        .offset:         56
        .size:           8
        .value_kind:     global_buffer
      - .actual_access:  read_only
        .address_space:  global
        .offset:         64
        .size:           8
        .value_kind:     global_buffer
      - .actual_access:  read_only
        .address_space:  global
        .offset:         72
        .size:           8
        .value_kind:     global_buffer
      - .actual_access:  read_only
        .address_space:  global
        .offset:         80
        .size:           8
        .value_kind:     global_buffer
      - .offset:         88
        .size:           4
        .value_kind:     by_value
      - .offset:         92
        .size:           4
        .value_kind:     by_value
      - .offset:         96
        .size:           4
        .value_kind:     by_value
      - .offset:         100
        .size:           4
        .value_kind:     by_value
      - .offset:         104
        .size:           4
        .value_kind:     by_value
      - .offset:         112
        .size:           8
        .value_kind:     by_value
      - .offset:         120
        .size:           8
        .value_kind:     by_value
      - .offset:         128
        .size:           8
        .value_kind:     by_value
    .group_segment_fixed_size: 49152
    .kernarg_segment_align: 8
    .kernarg_segment_size: 136
    .language:       OpenCL C
    .language_version:
      - 2
      - 0
    .max_flat_workgroup_size: 256
    .name:           _ZN12_GLOBAL__N_139chunk_gated_delta_rule_fwd_h_hip_kernelILi32ELb1ELb0ELb1ELb1ELb1ELb0ELb0ELb0EEEvPK12hip_bfloat16S3_S3_PKfS5_PKvPS1_S8_PvPKiSB_iiiiilll
    .private_segment_fixed_size: 0
    .sgpr_count:     70
    .sgpr_spill_count: 0
    .symbol:         _ZN12_GLOBAL__N_139chunk_gated_delta_rule_fwd_h_hip_kernelILi32ELb1ELb0ELb1ELb1ELb1ELb0ELb0ELb0EEEvPK12hip_bfloat16S3_S3_PKfS5_PKvPS1_S8_PvPKiSB_iiiiilll.kd
    .uniform_work_group_size: 1
    .uses_dynamic_stack: false
    .vgpr_count:     152
    .vgpr_spill_count: 0
    .wavefront_size: 64
  - .agpr_count:     20
    .args:
      - .actual_access:  read_only
        .address_space:  global
        .offset:         0
        .size:           8
        .value_kind:     global_buffer
      - .actual_access:  read_only
        .address_space:  global
        .offset:         8
        .size:           8
        .value_kind:     global_buffer
      - .actual_access:  read_only
        .address_space:  global
        .offset:         16
        .size:           8
        .value_kind:     global_buffer
      - .actual_access:  read_only
        .address_space:  global
        .offset:         24
        .size:           8
        .value_kind:     global_buffer
      - .actual_access:  read_only
        .address_space:  global
        .offset:         32
        .size:           8
        .value_kind:     global_buffer
      - .actual_access:  read_only
        .address_space:  global
        .offset:         40
        .size:           8
        .value_kind:     global_buffer
      - .actual_access:  write_only
        .address_space:  global
        .offset:         48
        .size:           8
        .value_kind:     global_buffer
      - .actual_access:  read_only
        .address_space:  global
        .offset:         56
        .size:           8
        .value_kind:     global_buffer
      - .actual_access:  read_only
        .address_space:  global
        .offset:         64
        .size:           8
        .value_kind:     global_buffer
      - .actual_access:  read_only
        .address_space:  global
        .offset:         72
        .size:           8
        .value_kind:     global_buffer
      - .actual_access:  read_only
        .address_space:  global
        .offset:         80
        .size:           8
        .value_kind:     global_buffer
      - .offset:         88
        .size:           4
        .value_kind:     by_value
      - .offset:         92
        .size:           4
        .value_kind:     by_value
      - .offset:         96
        .size:           4
        .value_kind:     by_value
      - .offset:         100
        .size:           4
        .value_kind:     by_value
      - .offset:         104
        .size:           4
        .value_kind:     by_value
      - .offset:         112
        .size:           8
        .value_kind:     by_value
      - .offset:         120
        .size:           8
        .value_kind:     by_value
      - .offset:         128
        .size:           8
        .value_kind:     by_value
    .group_segment_fixed_size: 49152
    .kernarg_segment_align: 8
    .kernarg_segment_size: 136
    .language:       OpenCL C
    .language_version:
      - 2
      - 0
    .max_flat_workgroup_size: 256
    .name:           _ZN12_GLOBAL__N_139chunk_gated_delta_rule_fwd_h_hip_kernelILi32ELb1ELb0ELb0ELb1ELb1ELb0ELb0ELb0EEEvPK12hip_bfloat16S3_S3_PKfS5_PKvPS1_S8_PvPKiSB_iiiiilll
    .private_segment_fixed_size: 0
    .sgpr_count:     66
    .sgpr_spill_count: 0
    .symbol:         _ZN12_GLOBAL__N_139chunk_gated_delta_rule_fwd_h_hip_kernelILi32ELb1ELb0ELb0ELb1ELb1ELb0ELb0ELb0EEEvPK12hip_bfloat16S3_S3_PKfS5_PKvPS1_S8_PvPKiSB_iiiiilll.kd
    .uniform_work_group_size: 1
    .uses_dynamic_stack: false
    .vgpr_count:     152
    .vgpr_spill_count: 0
    .wavefront_size: 64
  - .agpr_count:     16
    .args:
      - .actual_access:  read_only
        .address_space:  global
        .offset:         0
        .size:           8
        .value_kind:     global_buffer
      - .actual_access:  read_only
        .address_space:  global
        .offset:         8
        .size:           8
        .value_kind:     global_buffer
      - .actual_access:  read_only
        .address_space:  global
        .offset:         16
        .size:           8
        .value_kind:     global_buffer
      - .actual_access:  read_only
        .address_space:  global
        .offset:         24
        .size:           8
        .value_kind:     global_buffer
      - .actual_access:  read_only
        .address_space:  global
        .offset:         32
        .size:           8
        .value_kind:     global_buffer
      - .actual_access:  read_only
        .address_space:  global
        .offset:         40
        .size:           8
        .value_kind:     global_buffer
      - .actual_access:  write_only
        .address_space:  global
        .offset:         48
        .size:           8
        .value_kind:     global_buffer
      - .actual_access:  write_only
        .address_space:  global
        .offset:         56
        .size:           8
        .value_kind:     global_buffer
      - .actual_access:  write_only
        .address_space:  global
        .offset:         64
        .size:           8
        .value_kind:     global_buffer
      - .actual_access:  read_only
        .address_space:  global
        .offset:         72
        .size:           8
        .value_kind:     global_buffer
      - .actual_access:  read_only
        .address_space:  global
        .offset:         80
        .size:           8
        .value_kind:     global_buffer
      - .offset:         88
        .size:           4
        .value_kind:     by_value
      - .offset:         92
        .size:           4
        .value_kind:     by_value
      - .offset:         96
        .size:           4
        .value_kind:     by_value
      - .offset:         100
        .size:           4
        .value_kind:     by_value
      - .offset:         104
        .size:           4
        .value_kind:     by_value
      - .offset:         112
        .size:           8
        .value_kind:     by_value
      - .offset:         120
        .size:           8
        .value_kind:     by_value
      - .offset:         128
        .size:           8
        .value_kind:     by_value
    .group_segment_fixed_size: 49152
    .kernarg_segment_align: 8
    .kernarg_segment_size: 136
    .language:       OpenCL C
    .language_version:
      - 2
      - 0
    .max_flat_workgroup_size: 256
    .name:           _ZN12_GLOBAL__N_139chunk_gated_delta_rule_fwd_h_hip_kernelILi32ELb0ELb1ELb1ELb1ELb1ELb0ELb0ELb0EEEvPK12hip_bfloat16S3_S3_PKfS5_PKvPS1_S8_PvPKiSB_iiiiilll
    .private_segment_fixed_size: 0
    .sgpr_count:     74
    .sgpr_spill_count: 0
    .symbol:         _ZN12_GLOBAL__N_139chunk_gated_delta_rule_fwd_h_hip_kernelILi32ELb0ELb1ELb1ELb1ELb1ELb0ELb0ELb0EEEvPK12hip_bfloat16S3_S3_PKfS5_PKvPS1_S8_PvPKiSB_iiiiilll.kd
    .uniform_work_group_size: 1
    .uses_dynamic_stack: false
    .vgpr_count:     148
    .vgpr_spill_count: 0
    .wavefront_size: 64
  - .agpr_count:     16
    .args:
      - .actual_access:  read_only
        .address_space:  global
        .offset:         0
        .size:           8
        .value_kind:     global_buffer
      - .actual_access:  read_only
        .address_space:  global
        .offset:         8
        .size:           8
        .value_kind:     global_buffer
      - .actual_access:  read_only
        .address_space:  global
        .offset:         16
        .size:           8
        .value_kind:     global_buffer
      - .actual_access:  read_only
        .address_space:  global
        .offset:         24
        .size:           8
        .value_kind:     global_buffer
      - .actual_access:  read_only
        .address_space:  global
        .offset:         32
        .size:           8
        .value_kind:     global_buffer
      - .actual_access:  read_only
        .address_space:  global
        .offset:         40
        .size:           8
        .value_kind:     global_buffer
      - .actual_access:  write_only
        .address_space:  global
        .offset:         48
        .size:           8
        .value_kind:     global_buffer
      - .actual_access:  read_only
        .address_space:  global
        .offset:         56
        .size:           8
        .value_kind:     global_buffer
      - .actual_access:  write_only
        .address_space:  global
        .offset:         64
        .size:           8
        .value_kind:     global_buffer
      - .actual_access:  read_only
        .address_space:  global
        .offset:         72
        .size:           8
        .value_kind:     global_buffer
      - .actual_access:  read_only
        .address_space:  global
        .offset:         80
        .size:           8
        .value_kind:     global_buffer
      - .offset:         88
        .size:           4
        .value_kind:     by_value
      - .offset:         92
        .size:           4
        .value_kind:     by_value
      - .offset:         96
        .size:           4
        .value_kind:     by_value
      - .offset:         100
        .size:           4
        .value_kind:     by_value
      - .offset:         104
        .size:           4
        .value_kind:     by_value
      - .offset:         112
        .size:           8
        .value_kind:     by_value
      - .offset:         120
        .size:           8
        .value_kind:     by_value
      - .offset:         128
        .size:           8
        .value_kind:     by_value
    .group_segment_fixed_size: 49152
    .kernarg_segment_align: 8
    .kernarg_segment_size: 136
    .language:       OpenCL C
    .language_version:
      - 2
      - 0
    .max_flat_workgroup_size: 256
    .name:           _ZN12_GLOBAL__N_139chunk_gated_delta_rule_fwd_h_hip_kernelILi32ELb0ELb1ELb0ELb1ELb1ELb0ELb0ELb0EEEvPK12hip_bfloat16S3_S3_PKfS5_PKvPS1_S8_PvPKiSB_iiiiilll
    .private_segment_fixed_size: 0
    .sgpr_count:     70
    .sgpr_spill_count: 0
    .symbol:         _ZN12_GLOBAL__N_139chunk_gated_delta_rule_fwd_h_hip_kernelILi32ELb0ELb1ELb0ELb1ELb1ELb0ELb0ELb0EEEvPK12hip_bfloat16S3_S3_PKfS5_PKvPS1_S8_PvPKiSB_iiiiilll.kd
    .uniform_work_group_size: 1
    .uses_dynamic_stack: false
    .vgpr_count:     148
    .vgpr_spill_count: 0
    .wavefront_size: 64
  - .agpr_count:     20
    .args:
      - .actual_access:  read_only
        .address_space:  global
        .offset:         0
        .size:           8
        .value_kind:     global_buffer
      - .actual_access:  read_only
        .address_space:  global
        .offset:         8
        .size:           8
        .value_kind:     global_buffer
      - .actual_access:  read_only
        .address_space:  global
        .offset:         16
        .size:           8
        .value_kind:     global_buffer
      - .actual_access:  read_only
        .address_space:  global
        .offset:         24
        .size:           8
        .value_kind:     global_buffer
      - .actual_access:  read_only
        .address_space:  global
        .offset:         32
        .size:           8
        .value_kind:     global_buffer
      - .actual_access:  read_only
        .address_space:  global
        .offset:         40
        .size:           8
        .value_kind:     global_buffer
      - .actual_access:  write_only
        .address_space:  global
        .offset:         48
        .size:           8
        .value_kind:     global_buffer
      - .actual_access:  write_only
        .address_space:  global
        .offset:         56
        .size:           8
        .value_kind:     global_buffer
      - .actual_access:  read_only
        .address_space:  global
        .offset:         64
        .size:           8
        .value_kind:     global_buffer
      - .actual_access:  read_only
        .address_space:  global
        .offset:         72
        .size:           8
        .value_kind:     global_buffer
      - .actual_access:  read_only
        .address_space:  global
        .offset:         80
        .size:           8
        .value_kind:     global_buffer
      - .offset:         88
        .size:           4
        .value_kind:     by_value
      - .offset:         92
        .size:           4
        .value_kind:     by_value
      - .offset:         96
        .size:           4
        .value_kind:     by_value
      - .offset:         100
        .size:           4
        .value_kind:     by_value
      - .offset:         104
        .size:           4
        .value_kind:     by_value
      - .offset:         112
        .size:           8
        .value_kind:     by_value
      - .offset:         120
        .size:           8
        .value_kind:     by_value
      - .offset:         128
        .size:           8
        .value_kind:     by_value
    .group_segment_fixed_size: 49152
    .kernarg_segment_align: 8
    .kernarg_segment_size: 136
    .language:       OpenCL C
    .language_version:
      - 2
      - 0
    .max_flat_workgroup_size: 256
    .name:           _ZN12_GLOBAL__N_139chunk_gated_delta_rule_fwd_h_hip_kernelILi32ELb0ELb0ELb1ELb1ELb1ELb0ELb0ELb0EEEvPK12hip_bfloat16S3_S3_PKfS5_PKvPS1_S8_PvPKiSB_iiiiilll
    .private_segment_fixed_size: 0
    .sgpr_count:     68
    .sgpr_spill_count: 0
    .symbol:         _ZN12_GLOBAL__N_139chunk_gated_delta_rule_fwd_h_hip_kernelILi32ELb0ELb0ELb1ELb1ELb1ELb0ELb0ELb0EEEvPK12hip_bfloat16S3_S3_PKfS5_PKvPS1_S8_PvPKiSB_iiiiilll.kd
    .uniform_work_group_size: 1
    .uses_dynamic_stack: false
    .vgpr_count:     152
    .vgpr_spill_count: 0
    .wavefront_size: 64
  - .agpr_count:     20
    .args:
      - .actual_access:  read_only
        .address_space:  global
        .offset:         0
        .size:           8
        .value_kind:     global_buffer
      - .actual_access:  read_only
        .address_space:  global
        .offset:         8
        .size:           8
        .value_kind:     global_buffer
      - .actual_access:  read_only
        .address_space:  global
        .offset:         16
        .size:           8
        .value_kind:     global_buffer
      - .actual_access:  read_only
        .address_space:  global
        .offset:         24
        .size:           8
        .value_kind:     global_buffer
      - .actual_access:  read_only
        .address_space:  global
        .offset:         32
        .size:           8
        .value_kind:     global_buffer
      - .actual_access:  read_only
        .address_space:  global
        .offset:         40
        .size:           8
        .value_kind:     global_buffer
      - .actual_access:  write_only
        .address_space:  global
        .offset:         48
        .size:           8
        .value_kind:     global_buffer
      - .actual_access:  read_only
        .address_space:  global
        .offset:         56
        .size:           8
        .value_kind:     global_buffer
      - .actual_access:  read_only
        .address_space:  global
        .offset:         64
        .size:           8
        .value_kind:     global_buffer
      - .actual_access:  read_only
        .address_space:  global
        .offset:         72
        .size:           8
        .value_kind:     global_buffer
      - .actual_access:  read_only
        .address_space:  global
        .offset:         80
        .size:           8
        .value_kind:     global_buffer
      - .offset:         88
        .size:           4
        .value_kind:     by_value
      - .offset:         92
        .size:           4
        .value_kind:     by_value
      - .offset:         96
        .size:           4
        .value_kind:     by_value
      - .offset:         100
        .size:           4
        .value_kind:     by_value
      - .offset:         104
        .size:           4
        .value_kind:     by_value
      - .offset:         112
        .size:           8
        .value_kind:     by_value
      - .offset:         120
        .size:           8
        .value_kind:     by_value
      - .offset:         128
        .size:           8
        .value_kind:     by_value
    .group_segment_fixed_size: 49152
    .kernarg_segment_align: 8
    .kernarg_segment_size: 136
    .language:       OpenCL C
    .language_version:
      - 2
      - 0
    .max_flat_workgroup_size: 256
    .name:           _ZN12_GLOBAL__N_139chunk_gated_delta_rule_fwd_h_hip_kernelILi32ELb0ELb0ELb0ELb1ELb1ELb0ELb0ELb0EEEvPK12hip_bfloat16S3_S3_PKfS5_PKvPS1_S8_PvPKiSB_iiiiilll
    .private_segment_fixed_size: 0
    .sgpr_count:     65
    .sgpr_spill_count: 0
    .symbol:         _ZN12_GLOBAL__N_139chunk_gated_delta_rule_fwd_h_hip_kernelILi32ELb0ELb0ELb0ELb1ELb1ELb0ELb0ELb0EEEvPK12hip_bfloat16S3_S3_PKfS5_PKvPS1_S8_PvPKiSB_iiiiilll.kd
    .uniform_work_group_size: 1
    .uses_dynamic_stack: false
    .vgpr_count:     152
    .vgpr_spill_count: 0
    .wavefront_size: 64
  - .agpr_count:     16
    .args:
      - .actual_access:  read_only
        .address_space:  global
        .offset:         0
        .size:           8
        .value_kind:     global_buffer
      - .actual_access:  read_only
        .address_space:  global
        .offset:         8
        .size:           8
        .value_kind:     global_buffer
      - .actual_access:  read_only
        .address_space:  global
        .offset:         16
        .size:           8
        .value_kind:     global_buffer
      - .actual_access:  read_only
        .address_space:  global
        .offset:         24
        .size:           8
        .value_kind:     global_buffer
      - .actual_access:  read_only
        .address_space:  global
        .offset:         32
        .size:           8
        .value_kind:     global_buffer
      - .actual_access:  read_only
        .address_space:  global
        .offset:         40
        .size:           8
        .value_kind:     global_buffer
      - .actual_access:  write_only
        .address_space:  global
        .offset:         48
        .size:           8
        .value_kind:     global_buffer
      - .actual_access:  write_only
        .address_space:  global
        .offset:         56
        .size:           8
        .value_kind:     global_buffer
      - .actual_access:  write_only
        .address_space:  global
        .offset:         64
        .size:           8
        .value_kind:     global_buffer
      - .actual_access:  read_only
        .address_space:  global
        .offset:         72
        .size:           8
        .value_kind:     global_buffer
      - .actual_access:  read_only
        .address_space:  global
        .offset:         80
        .size:           8
        .value_kind:     global_buffer
      - .offset:         88
        .size:           4
        .value_kind:     by_value
      - .offset:         92
        .size:           4
        .value_kind:     by_value
      - .offset:         96
        .size:           4
        .value_kind:     by_value
      - .offset:         100
        .size:           4
        .value_kind:     by_value
      - .offset:         104
        .size:           4
        .value_kind:     by_value
      - .offset:         112
        .size:           8
        .value_kind:     by_value
      - .offset:         120
        .size:           8
        .value_kind:     by_value
      - .offset:         128
        .size:           8
        .value_kind:     by_value
    .group_segment_fixed_size: 49152
    .kernarg_segment_align: 8
    .kernarg_segment_size: 136
    .language:       OpenCL C
    .language_version:
      - 2
      - 0
    .max_flat_workgroup_size: 256
    .name:           _ZN12_GLOBAL__N_139chunk_gated_delta_rule_fwd_h_hip_kernelILi32ELb1ELb1ELb1ELb0ELb1ELb0ELb0ELb0EEEvPK12hip_bfloat16S3_S3_PKfS5_PKvPS1_S8_PvPKiSB_iiiiilll
    .private_segment_fixed_size: 0
    .sgpr_count:     80
    .sgpr_spill_count: 0
    .symbol:         _ZN12_GLOBAL__N_139chunk_gated_delta_rule_fwd_h_hip_kernelILi32ELb1ELb1ELb1ELb0ELb1ELb0ELb0ELb0EEEvPK12hip_bfloat16S3_S3_PKfS5_PKvPS1_S8_PvPKiSB_iiiiilll.kd
    .uniform_work_group_size: 1
    .uses_dynamic_stack: false
    .vgpr_count:     156
    .vgpr_spill_count: 0
    .wavefront_size: 64
  - .agpr_count:     16
    .args:
      - .actual_access:  read_only
        .address_space:  global
        .offset:         0
        .size:           8
        .value_kind:     global_buffer
      - .actual_access:  read_only
        .address_space:  global
        .offset:         8
        .size:           8
        .value_kind:     global_buffer
      - .actual_access:  read_only
        .address_space:  global
        .offset:         16
        .size:           8
        .value_kind:     global_buffer
      - .actual_access:  read_only
        .address_space:  global
        .offset:         24
        .size:           8
        .value_kind:     global_buffer
      - .actual_access:  read_only
        .address_space:  global
        .offset:         32
        .size:           8
        .value_kind:     global_buffer
      - .actual_access:  read_only
        .address_space:  global
        .offset:         40
        .size:           8
        .value_kind:     global_buffer
      - .actual_access:  write_only
        .address_space:  global
        .offset:         48
        .size:           8
        .value_kind:     global_buffer
      - .actual_access:  read_only
        .address_space:  global
        .offset:         56
        .size:           8
        .value_kind:     global_buffer
      - .actual_access:  write_only
        .address_space:  global
        .offset:         64
        .size:           8
        .value_kind:     global_buffer
      - .actual_access:  read_only
        .address_space:  global
        .offset:         72
        .size:           8
        .value_kind:     global_buffer
      - .actual_access:  read_only
        .address_space:  global
        .offset:         80
        .size:           8
        .value_kind:     global_buffer
      - .offset:         88
        .size:           4
        .value_kind:     by_value
      - .offset:         92
        .size:           4
        .value_kind:     by_value
      - .offset:         96
        .size:           4
        .value_kind:     by_value
      - .offset:         100
        .size:           4
        .value_kind:     by_value
      - .offset:         104
        .size:           4
        .value_kind:     by_value
      - .offset:         112
        .size:           8
        .value_kind:     by_value
      - .offset:         120
        .size:           8
        .value_kind:     by_value
      - .offset:         128
        .size:           8
        .value_kind:     by_value
    .group_segment_fixed_size: 49152
    .kernarg_segment_align: 8
    .kernarg_segment_size: 136
    .language:       OpenCL C
    .language_version:
      - 2
      - 0
    .max_flat_workgroup_size: 256
    .name:           _ZN12_GLOBAL__N_139chunk_gated_delta_rule_fwd_h_hip_kernelILi32ELb1ELb1ELb0ELb0ELb1ELb0ELb0ELb0EEEvPK12hip_bfloat16S3_S3_PKfS5_PKvPS1_S8_PvPKiSB_iiiiilll
    .private_segment_fixed_size: 0
    .sgpr_count:     75
    .sgpr_spill_count: 0
    .symbol:         _ZN12_GLOBAL__N_139chunk_gated_delta_rule_fwd_h_hip_kernelILi32ELb1ELb1ELb0ELb0ELb1ELb0ELb0ELb0EEEvPK12hip_bfloat16S3_S3_PKfS5_PKvPS1_S8_PvPKiSB_iiiiilll.kd
    .uniform_work_group_size: 1
    .uses_dynamic_stack: false
    .vgpr_count:     152
    .vgpr_spill_count: 0
    .wavefront_size: 64
  - .agpr_count:     20
    .args:
      - .actual_access:  read_only
        .address_space:  global
        .offset:         0
        .size:           8
        .value_kind:     global_buffer
      - .actual_access:  read_only
        .address_space:  global
        .offset:         8
        .size:           8
        .value_kind:     global_buffer
      - .actual_access:  read_only
        .address_space:  global
        .offset:         16
        .size:           8
        .value_kind:     global_buffer
      - .actual_access:  read_only
        .address_space:  global
        .offset:         24
        .size:           8
        .value_kind:     global_buffer
      - .actual_access:  read_only
        .address_space:  global
        .offset:         32
        .size:           8
        .value_kind:     global_buffer
      - .actual_access:  read_only
        .address_space:  global
        .offset:         40
        .size:           8
        .value_kind:     global_buffer
      - .actual_access:  write_only
        .address_space:  global
        .offset:         48
        .size:           8
        .value_kind:     global_buffer
      - .actual_access:  write_only
        .address_space:  global
        .offset:         56
        .size:           8
        .value_kind:     global_buffer
      - .actual_access:  read_only
        .address_space:  global
        .offset:         64
        .size:           8
        .value_kind:     global_buffer
      - .actual_access:  read_only
        .address_space:  global
        .offset:         72
        .size:           8
        .value_kind:     global_buffer
      - .actual_access:  read_only
        .address_space:  global
        .offset:         80
        .size:           8
        .value_kind:     global_buffer
      - .offset:         88
        .size:           4
        .value_kind:     by_value
      - .offset:         92
        .size:           4
        .value_kind:     by_value
      - .offset:         96
        .size:           4
        .value_kind:     by_value
      - .offset:         100
        .size:           4
        .value_kind:     by_value
      - .offset:         104
        .size:           4
        .value_kind:     by_value
      - .offset:         112
        .size:           8
        .value_kind:     by_value
      - .offset:         120
        .size:           8
        .value_kind:     by_value
      - .offset:         128
        .size:           8
        .value_kind:     by_value
    .group_segment_fixed_size: 49152
    .kernarg_segment_align: 8
    .kernarg_segment_size: 136
    .language:       OpenCL C
    .language_version:
      - 2
      - 0
    .max_flat_workgroup_size: 256
    .name:           _ZN12_GLOBAL__N_139chunk_gated_delta_rule_fwd_h_hip_kernelILi32ELb1ELb0ELb1ELb0ELb1ELb0ELb0ELb0EEEvPK12hip_bfloat16S3_S3_PKfS5_PKvPS1_S8_PvPKiSB_iiiiilll
    .private_segment_fixed_size: 0
    .sgpr_count:     76
    .sgpr_spill_count: 0
    .symbol:         _ZN12_GLOBAL__N_139chunk_gated_delta_rule_fwd_h_hip_kernelILi32ELb1ELb0ELb1ELb0ELb1ELb0ELb0ELb0EEEvPK12hip_bfloat16S3_S3_PKfS5_PKvPS1_S8_PvPKiSB_iiiiilll.kd
    .uniform_work_group_size: 1
    .uses_dynamic_stack: false
    .vgpr_count:     152
    .vgpr_spill_count: 0
    .wavefront_size: 64
  - .agpr_count:     20
    .args:
      - .actual_access:  read_only
        .address_space:  global
        .offset:         0
        .size:           8
        .value_kind:     global_buffer
      - .actual_access:  read_only
        .address_space:  global
        .offset:         8
        .size:           8
        .value_kind:     global_buffer
      - .actual_access:  read_only
        .address_space:  global
        .offset:         16
        .size:           8
        .value_kind:     global_buffer
      - .actual_access:  read_only
        .address_space:  global
        .offset:         24
        .size:           8
        .value_kind:     global_buffer
      - .actual_access:  read_only
        .address_space:  global
        .offset:         32
        .size:           8
        .value_kind:     global_buffer
      - .actual_access:  read_only
        .address_space:  global
        .offset:         40
        .size:           8
        .value_kind:     global_buffer
      - .actual_access:  write_only
        .address_space:  global
        .offset:         48
        .size:           8
        .value_kind:     global_buffer
      - .actual_access:  read_only
        .address_space:  global
        .offset:         56
        .size:           8
        .value_kind:     global_buffer
      - .actual_access:  read_only
        .address_space:  global
        .offset:         64
        .size:           8
        .value_kind:     global_buffer
      - .actual_access:  read_only
        .address_space:  global
        .offset:         72
        .size:           8
        .value_kind:     global_buffer
      - .actual_access:  read_only
        .address_space:  global
        .offset:         80
        .size:           8
        .value_kind:     global_buffer
      - .offset:         88
        .size:           4
        .value_kind:     by_value
      - .offset:         92
        .size:           4
        .value_kind:     by_value
      - .offset:         96
        .size:           4
        .value_kind:     by_value
      - .offset:         100
        .size:           4
        .value_kind:     by_value
      - .offset:         104
        .size:           4
        .value_kind:     by_value
      - .offset:         112
        .size:           8
        .value_kind:     by_value
      - .offset:         120
        .size:           8
        .value_kind:     by_value
      - .offset:         128
        .size:           8
        .value_kind:     by_value
    .group_segment_fixed_size: 49152
    .kernarg_segment_align: 8
    .kernarg_segment_size: 136
    .language:       OpenCL C
    .language_version:
      - 2
      - 0
    .max_flat_workgroup_size: 256
    .name:           _ZN12_GLOBAL__N_139chunk_gated_delta_rule_fwd_h_hip_kernelILi32ELb1ELb0ELb0ELb0ELb1ELb0ELb0ELb0EEEvPK12hip_bfloat16S3_S3_PKfS5_PKvPS1_S8_PvPKiSB_iiiiilll
    .private_segment_fixed_size: 0
    .sgpr_count:     71
    .sgpr_spill_count: 0
    .symbol:         _ZN12_GLOBAL__N_139chunk_gated_delta_rule_fwd_h_hip_kernelILi32ELb1ELb0ELb0ELb0ELb1ELb0ELb0ELb0EEEvPK12hip_bfloat16S3_S3_PKfS5_PKvPS1_S8_PvPKiSB_iiiiilll.kd
    .uniform_work_group_size: 1
    .uses_dynamic_stack: false
    .vgpr_count:     152
    .vgpr_spill_count: 0
    .wavefront_size: 64
  - .agpr_count:     16
    .args:
      - .actual_access:  read_only
        .address_space:  global
        .offset:         0
        .size:           8
        .value_kind:     global_buffer
      - .actual_access:  read_only
        .address_space:  global
        .offset:         8
        .size:           8
        .value_kind:     global_buffer
      - .actual_access:  read_only
        .address_space:  global
        .offset:         16
        .size:           8
        .value_kind:     global_buffer
      - .actual_access:  read_only
        .address_space:  global
        .offset:         24
        .size:           8
        .value_kind:     global_buffer
      - .actual_access:  read_only
        .address_space:  global
        .offset:         32
        .size:           8
        .value_kind:     global_buffer
      - .actual_access:  read_only
        .address_space:  global
        .offset:         40
        .size:           8
        .value_kind:     global_buffer
      - .actual_access:  write_only
        .address_space:  global
        .offset:         48
        .size:           8
        .value_kind:     global_buffer
      - .actual_access:  write_only
        .address_space:  global
        .offset:         56
        .size:           8
        .value_kind:     global_buffer
      - .actual_access:  write_only
        .address_space:  global
        .offset:         64
        .size:           8
        .value_kind:     global_buffer
      - .actual_access:  read_only
        .address_space:  global
        .offset:         72
        .size:           8
        .value_kind:     global_buffer
      - .actual_access:  read_only
        .address_space:  global
        .offset:         80
        .size:           8
        .value_kind:     global_buffer
      - .offset:         88
        .size:           4
        .value_kind:     by_value
      - .offset:         92
        .size:           4
        .value_kind:     by_value
      - .offset:         96
        .size:           4
        .value_kind:     by_value
      - .offset:         100
        .size:           4
        .value_kind:     by_value
      - .offset:         104
        .size:           4
        .value_kind:     by_value
      - .offset:         112
        .size:           8
        .value_kind:     by_value
      - .offset:         120
        .size:           8
        .value_kind:     by_value
      - .offset:         128
        .size:           8
        .value_kind:     by_value
    .group_segment_fixed_size: 49152
    .kernarg_segment_align: 8
    .kernarg_segment_size: 136
    .language:       OpenCL C
    .language_version:
      - 2
      - 0
    .max_flat_workgroup_size: 256
    .name:           _ZN12_GLOBAL__N_139chunk_gated_delta_rule_fwd_h_hip_kernelILi32ELb0ELb1ELb1ELb0ELb1ELb0ELb0ELb0EEEvPK12hip_bfloat16S3_S3_PKfS5_PKvPS1_S8_PvPKiSB_iiiiilll
    .private_segment_fixed_size: 0
    .sgpr_count:     74
    .sgpr_spill_count: 0
    .symbol:         _ZN12_GLOBAL__N_139chunk_gated_delta_rule_fwd_h_hip_kernelILi32ELb0ELb1ELb1ELb0ELb1ELb0ELb0ELb0EEEvPK12hip_bfloat16S3_S3_PKfS5_PKvPS1_S8_PvPKiSB_iiiiilll.kd
    .uniform_work_group_size: 1
    .uses_dynamic_stack: false
    .vgpr_count:     148
    .vgpr_spill_count: 0
    .wavefront_size: 64
  - .agpr_count:     16
    .args:
      - .actual_access:  read_only
        .address_space:  global
        .offset:         0
        .size:           8
        .value_kind:     global_buffer
      - .actual_access:  read_only
        .address_space:  global
        .offset:         8
        .size:           8
        .value_kind:     global_buffer
      - .actual_access:  read_only
        .address_space:  global
        .offset:         16
        .size:           8
        .value_kind:     global_buffer
      - .actual_access:  read_only
        .address_space:  global
        .offset:         24
        .size:           8
        .value_kind:     global_buffer
      - .actual_access:  read_only
        .address_space:  global
        .offset:         32
        .size:           8
        .value_kind:     global_buffer
      - .actual_access:  read_only
        .address_space:  global
        .offset:         40
        .size:           8
        .value_kind:     global_buffer
      - .actual_access:  write_only
        .address_space:  global
        .offset:         48
        .size:           8
        .value_kind:     global_buffer
      - .actual_access:  read_only
        .address_space:  global
        .offset:         56
        .size:           8
        .value_kind:     global_buffer
      - .actual_access:  write_only
        .address_space:  global
        .offset:         64
        .size:           8
        .value_kind:     global_buffer
      - .actual_access:  read_only
        .address_space:  global
        .offset:         72
        .size:           8
        .value_kind:     global_buffer
      - .actual_access:  read_only
        .address_space:  global
        .offset:         80
        .size:           8
        .value_kind:     global_buffer
      - .offset:         88
        .size:           4
        .value_kind:     by_value
      - .offset:         92
        .size:           4
        .value_kind:     by_value
      - .offset:         96
        .size:           4
        .value_kind:     by_value
      - .offset:         100
        .size:           4
        .value_kind:     by_value
      - .offset:         104
        .size:           4
        .value_kind:     by_value
      - .offset:         112
        .size:           8
        .value_kind:     by_value
      - .offset:         120
        .size:           8
        .value_kind:     by_value
      - .offset:         128
        .size:           8
        .value_kind:     by_value
    .group_segment_fixed_size: 49152
    .kernarg_segment_align: 8
    .kernarg_segment_size: 136
    .language:       OpenCL C
    .language_version:
      - 2
      - 0
    .max_flat_workgroup_size: 256
    .name:           _ZN12_GLOBAL__N_139chunk_gated_delta_rule_fwd_h_hip_kernelILi32ELb0ELb1ELb0ELb0ELb1ELb0ELb0ELb0EEEvPK12hip_bfloat16S3_S3_PKfS5_PKvPS1_S8_PvPKiSB_iiiiilll
    .private_segment_fixed_size: 0
    .sgpr_count:     70
    .sgpr_spill_count: 0
    .symbol:         _ZN12_GLOBAL__N_139chunk_gated_delta_rule_fwd_h_hip_kernelILi32ELb0ELb1ELb0ELb0ELb1ELb0ELb0ELb0EEEvPK12hip_bfloat16S3_S3_PKfS5_PKvPS1_S8_PvPKiSB_iiiiilll.kd
    .uniform_work_group_size: 1
    .uses_dynamic_stack: false
    .vgpr_count:     148
    .vgpr_spill_count: 0
    .wavefront_size: 64
  - .agpr_count:     20
    .args:
      - .actual_access:  read_only
        .address_space:  global
        .offset:         0
        .size:           8
        .value_kind:     global_buffer
      - .actual_access:  read_only
        .address_space:  global
        .offset:         8
        .size:           8
        .value_kind:     global_buffer
      - .actual_access:  read_only
        .address_space:  global
        .offset:         16
        .size:           8
        .value_kind:     global_buffer
      - .actual_access:  read_only
        .address_space:  global
        .offset:         24
        .size:           8
        .value_kind:     global_buffer
      - .actual_access:  read_only
        .address_space:  global
        .offset:         32
        .size:           8
        .value_kind:     global_buffer
      - .actual_access:  read_only
        .address_space:  global
        .offset:         40
        .size:           8
        .value_kind:     global_buffer
      - .actual_access:  write_only
        .address_space:  global
        .offset:         48
        .size:           8
        .value_kind:     global_buffer
      - .actual_access:  write_only
        .address_space:  global
        .offset:         56
        .size:           8
        .value_kind:     global_buffer
      - .actual_access:  read_only
        .address_space:  global
        .offset:         64
        .size:           8
        .value_kind:     global_buffer
      - .actual_access:  read_only
        .address_space:  global
        .offset:         72
        .size:           8
        .value_kind:     global_buffer
      - .actual_access:  read_only
        .address_space:  global
        .offset:         80
        .size:           8
        .value_kind:     global_buffer
      - .offset:         88
        .size:           4
        .value_kind:     by_value
      - .offset:         92
        .size:           4
        .value_kind:     by_value
      - .offset:         96
        .size:           4
        .value_kind:     by_value
      - .offset:         100
        .size:           4
        .value_kind:     by_value
      - .offset:         104
        .size:           4
        .value_kind:     by_value
      - .offset:         112
        .size:           8
        .value_kind:     by_value
      - .offset:         120
        .size:           8
        .value_kind:     by_value
      - .offset:         128
        .size:           8
        .value_kind:     by_value
    .group_segment_fixed_size: 49152
    .kernarg_segment_align: 8
    .kernarg_segment_size: 136
    .language:       OpenCL C
    .language_version:
      - 2
      - 0
    .max_flat_workgroup_size: 256
    .name:           _ZN12_GLOBAL__N_139chunk_gated_delta_rule_fwd_h_hip_kernelILi32ELb0ELb0ELb1ELb0ELb1ELb0ELb0ELb0EEEvPK12hip_bfloat16S3_S3_PKfS5_PKvPS1_S8_PvPKiSB_iiiiilll
    .private_segment_fixed_size: 0
    .sgpr_count:     72
    .sgpr_spill_count: 0
    .symbol:         _ZN12_GLOBAL__N_139chunk_gated_delta_rule_fwd_h_hip_kernelILi32ELb0ELb0ELb1ELb0ELb1ELb0ELb0ELb0EEEvPK12hip_bfloat16S3_S3_PKfS5_PKvPS1_S8_PvPKiSB_iiiiilll.kd
    .uniform_work_group_size: 1
    .uses_dynamic_stack: false
    .vgpr_count:     152
    .vgpr_spill_count: 0
    .wavefront_size: 64
  - .agpr_count:     20
    .args:
      - .actual_access:  read_only
        .address_space:  global
        .offset:         0
        .size:           8
        .value_kind:     global_buffer
      - .actual_access:  read_only
        .address_space:  global
        .offset:         8
        .size:           8
        .value_kind:     global_buffer
      - .actual_access:  read_only
        .address_space:  global
        .offset:         16
        .size:           8
        .value_kind:     global_buffer
      - .actual_access:  read_only
        .address_space:  global
        .offset:         24
        .size:           8
        .value_kind:     global_buffer
      - .actual_access:  read_only
        .address_space:  global
        .offset:         32
        .size:           8
        .value_kind:     global_buffer
      - .actual_access:  read_only
        .address_space:  global
        .offset:         40
        .size:           8
        .value_kind:     global_buffer
      - .actual_access:  write_only
        .address_space:  global
        .offset:         48
        .size:           8
        .value_kind:     global_buffer
      - .actual_access:  read_only
        .address_space:  global
        .offset:         56
        .size:           8
        .value_kind:     global_buffer
      - .actual_access:  read_only
        .address_space:  global
        .offset:         64
        .size:           8
        .value_kind:     global_buffer
      - .actual_access:  read_only
        .address_space:  global
        .offset:         72
        .size:           8
        .value_kind:     global_buffer
      - .actual_access:  read_only
        .address_space:  global
        .offset:         80
        .size:           8
        .value_kind:     global_buffer
      - .offset:         88
        .size:           4
        .value_kind:     by_value
      - .offset:         92
        .size:           4
        .value_kind:     by_value
      - .offset:         96
        .size:           4
        .value_kind:     by_value
      - .offset:         100
        .size:           4
        .value_kind:     by_value
      - .offset:         104
        .size:           4
        .value_kind:     by_value
      - .offset:         112
        .size:           8
        .value_kind:     by_value
      - .offset:         120
        .size:           8
        .value_kind:     by_value
      - .offset:         128
        .size:           8
        .value_kind:     by_value
    .group_segment_fixed_size: 49152
    .kernarg_segment_align: 8
    .kernarg_segment_size: 136
    .language:       OpenCL C
    .language_version:
      - 2
      - 0
    .max_flat_workgroup_size: 256
    .name:           _ZN12_GLOBAL__N_139chunk_gated_delta_rule_fwd_h_hip_kernelILi32ELb0ELb0ELb0ELb0ELb1ELb0ELb0ELb0EEEvPK12hip_bfloat16S3_S3_PKfS5_PKvPS1_S8_PvPKiSB_iiiiilll
    .private_segment_fixed_size: 0
    .sgpr_count:     68
    .sgpr_spill_count: 0
    .symbol:         _ZN12_GLOBAL__N_139chunk_gated_delta_rule_fwd_h_hip_kernelILi32ELb0ELb0ELb0ELb0ELb1ELb0ELb0ELb0EEEvPK12hip_bfloat16S3_S3_PKfS5_PKvPS1_S8_PvPKiSB_iiiiilll.kd
    .uniform_work_group_size: 1
    .uses_dynamic_stack: false
    .vgpr_count:     152
    .vgpr_spill_count: 0
    .wavefront_size: 64
  - .agpr_count:     24
    .args:
      - .actual_access:  read_only
        .address_space:  global
        .offset:         0
        .size:           8
        .value_kind:     global_buffer
      - .actual_access:  read_only
        .address_space:  global
        .offset:         8
        .size:           8
        .value_kind:     global_buffer
      - .actual_access:  read_only
        .address_space:  global
        .offset:         16
        .size:           8
        .value_kind:     global_buffer
      - .actual_access:  read_only
        .address_space:  global
        .offset:         24
        .size:           8
        .value_kind:     global_buffer
      - .actual_access:  read_only
        .address_space:  global
        .offset:         32
        .size:           8
        .value_kind:     global_buffer
      - .actual_access:  read_only
        .address_space:  global
        .offset:         40
        .size:           8
        .value_kind:     global_buffer
      - .actual_access:  write_only
        .address_space:  global
        .offset:         48
        .size:           8
        .value_kind:     global_buffer
      - .actual_access:  write_only
        .address_space:  global
        .offset:         56
        .size:           8
        .value_kind:     global_buffer
      - .actual_access:  write_only
        .address_space:  global
        .offset:         64
        .size:           8
        .value_kind:     global_buffer
      - .actual_access:  read_only
        .address_space:  global
        .offset:         72
        .size:           8
        .value_kind:     global_buffer
      - .actual_access:  read_only
        .address_space:  global
        .offset:         80
        .size:           8
        .value_kind:     global_buffer
      - .offset:         88
        .size:           4
        .value_kind:     by_value
      - .offset:         92
        .size:           4
        .value_kind:     by_value
      - .offset:         96
        .size:           4
        .value_kind:     by_value
      - .offset:         100
        .size:           4
        .value_kind:     by_value
      - .offset:         104
        .size:           4
        .value_kind:     by_value
      - .offset:         112
        .size:           8
        .value_kind:     by_value
      - .offset:         120
        .size:           8
        .value_kind:     by_value
      - .offset:         128
        .size:           8
        .value_kind:     by_value
    .group_segment_fixed_size: 49152
    .kernarg_segment_align: 8
    .kernarg_segment_size: 136
    .language:       OpenCL C
    .language_version:
      - 2
      - 0
    .max_flat_workgroup_size: 256
    .name:           _ZN12_GLOBAL__N_139chunk_gated_delta_rule_fwd_h_hip_kernelILi32ELb1ELb1ELb1ELb1ELb0ELb1ELb1ELb0EEEvPK12hip_bfloat16S3_S3_PKfS5_PKvPS1_S8_PvPKiSB_iiiiilll
    .private_segment_fixed_size: 0
    .sgpr_count:     76
    .sgpr_spill_count: 0
    .symbol:         _ZN12_GLOBAL__N_139chunk_gated_delta_rule_fwd_h_hip_kernelILi32ELb1ELb1ELb1ELb1ELb0ELb1ELb1ELb0EEEvPK12hip_bfloat16S3_S3_PKfS5_PKvPS1_S8_PvPKiSB_iiiiilll.kd
    .uniform_work_group_size: 1
    .uses_dynamic_stack: false
    .vgpr_count:     172
    .vgpr_spill_count: 0
    .wavefront_size: 64
  - .agpr_count:     24
    .args:
      - .actual_access:  read_only
        .address_space:  global
        .offset:         0
        .size:           8
        .value_kind:     global_buffer
      - .actual_access:  read_only
        .address_space:  global
        .offset:         8
        .size:           8
        .value_kind:     global_buffer
      - .actual_access:  read_only
        .address_space:  global
        .offset:         16
        .size:           8
        .value_kind:     global_buffer
      - .actual_access:  read_only
        .address_space:  global
        .offset:         24
        .size:           8
        .value_kind:     global_buffer
      - .actual_access:  read_only
        .address_space:  global
        .offset:         32
        .size:           8
        .value_kind:     global_buffer
      - .actual_access:  read_only
        .address_space:  global
        .offset:         40
        .size:           8
        .value_kind:     global_buffer
      - .actual_access:  write_only
        .address_space:  global
        .offset:         48
        .size:           8
        .value_kind:     global_buffer
      - .actual_access:  read_only
        .address_space:  global
        .offset:         56
        .size:           8
        .value_kind:     global_buffer
      - .actual_access:  write_only
        .address_space:  global
        .offset:         64
        .size:           8
        .value_kind:     global_buffer
      - .actual_access:  read_only
        .address_space:  global
        .offset:         72
        .size:           8
        .value_kind:     global_buffer
      - .actual_access:  read_only
        .address_space:  global
        .offset:         80
        .size:           8
        .value_kind:     global_buffer
      - .offset:         88
        .size:           4
        .value_kind:     by_value
      - .offset:         92
        .size:           4
        .value_kind:     by_value
      - .offset:         96
        .size:           4
        .value_kind:     by_value
      - .offset:         100
        .size:           4
        .value_kind:     by_value
      - .offset:         104
        .size:           4
        .value_kind:     by_value
      - .offset:         112
        .size:           8
        .value_kind:     by_value
      - .offset:         120
        .size:           8
        .value_kind:     by_value
      - .offset:         128
        .size:           8
        .value_kind:     by_value
    .group_segment_fixed_size: 49152
    .kernarg_segment_align: 8
    .kernarg_segment_size: 136
    .language:       OpenCL C
    .language_version:
      - 2
      - 0
    .max_flat_workgroup_size: 256
    .name:           _ZN12_GLOBAL__N_139chunk_gated_delta_rule_fwd_h_hip_kernelILi32ELb1ELb1ELb0ELb1ELb0ELb1ELb1ELb0EEEvPK12hip_bfloat16S3_S3_PKfS5_PKvPS1_S8_PvPKiSB_iiiiilll
    .private_segment_fixed_size: 0
    .sgpr_count:     72
    .sgpr_spill_count: 0
    .symbol:         _ZN12_GLOBAL__N_139chunk_gated_delta_rule_fwd_h_hip_kernelILi32ELb1ELb1ELb0ELb1ELb0ELb1ELb1ELb0EEEvPK12hip_bfloat16S3_S3_PKfS5_PKvPS1_S8_PvPKiSB_iiiiilll.kd
    .uniform_work_group_size: 1
    .uses_dynamic_stack: false
    .vgpr_count:     172
    .vgpr_spill_count: 0
    .wavefront_size: 64
  - .agpr_count:     24
    .args:
      - .actual_access:  read_only
        .address_space:  global
        .offset:         0
        .size:           8
        .value_kind:     global_buffer
      - .actual_access:  read_only
        .address_space:  global
        .offset:         8
        .size:           8
        .value_kind:     global_buffer
      - .actual_access:  read_only
        .address_space:  global
        .offset:         16
        .size:           8
        .value_kind:     global_buffer
      - .actual_access:  read_only
        .address_space:  global
        .offset:         24
        .size:           8
        .value_kind:     global_buffer
      - .actual_access:  read_only
        .address_space:  global
        .offset:         32
        .size:           8
        .value_kind:     global_buffer
      - .actual_access:  read_only
        .address_space:  global
        .offset:         40
        .size:           8
        .value_kind:     global_buffer
      - .actual_access:  write_only
        .address_space:  global
        .offset:         48
        .size:           8
        .value_kind:     global_buffer
      - .actual_access:  write_only
        .address_space:  global
        .offset:         56
        .size:           8
        .value_kind:     global_buffer
      - .actual_access:  read_only
        .address_space:  global
        .offset:         64
        .size:           8
        .value_kind:     global_buffer
      - .actual_access:  read_only
        .address_space:  global
        .offset:         72
        .size:           8
        .value_kind:     global_buffer
      - .actual_access:  read_only
        .address_space:  global
        .offset:         80
        .size:           8
        .value_kind:     global_buffer
      - .offset:         88
        .size:           4
        .value_kind:     by_value
      - .offset:         92
        .size:           4
        .value_kind:     by_value
      - .offset:         96
        .size:           4
        .value_kind:     by_value
      - .offset:         100
        .size:           4
        .value_kind:     by_value
      - .offset:         104
        .size:           4
        .value_kind:     by_value
      - .offset:         112
        .size:           8
        .value_kind:     by_value
      - .offset:         120
        .size:           8
        .value_kind:     by_value
      - .offset:         128
        .size:           8
        .value_kind:     by_value
    .group_segment_fixed_size: 49152
    .kernarg_segment_align: 8
    .kernarg_segment_size: 136
    .language:       OpenCL C
    .language_version:
      - 2
      - 0
    .max_flat_workgroup_size: 256
    .name:           _ZN12_GLOBAL__N_139chunk_gated_delta_rule_fwd_h_hip_kernelILi32ELb1ELb0ELb1ELb1ELb0ELb1ELb1ELb0EEEvPK12hip_bfloat16S3_S3_PKfS5_PKvPS1_S8_PvPKiSB_iiiiilll
    .private_segment_fixed_size: 0
    .sgpr_count:     70
    .sgpr_spill_count: 0
    .symbol:         _ZN12_GLOBAL__N_139chunk_gated_delta_rule_fwd_h_hip_kernelILi32ELb1ELb0ELb1ELb1ELb0ELb1ELb1ELb0EEEvPK12hip_bfloat16S3_S3_PKfS5_PKvPS1_S8_PvPKiSB_iiiiilll.kd
    .uniform_work_group_size: 1
    .uses_dynamic_stack: false
    .vgpr_count:     168
    .vgpr_spill_count: 0
    .wavefront_size: 64
  - .agpr_count:     24
    .args:
      - .actual_access:  read_only
        .address_space:  global
        .offset:         0
        .size:           8
        .value_kind:     global_buffer
      - .actual_access:  read_only
        .address_space:  global
        .offset:         8
        .size:           8
        .value_kind:     global_buffer
      - .actual_access:  read_only
        .address_space:  global
        .offset:         16
        .size:           8
        .value_kind:     global_buffer
      - .actual_access:  read_only
        .address_space:  global
        .offset:         24
        .size:           8
        .value_kind:     global_buffer
      - .actual_access:  read_only
        .address_space:  global
        .offset:         32
        .size:           8
        .value_kind:     global_buffer
      - .actual_access:  read_only
        .address_space:  global
        .offset:         40
        .size:           8
        .value_kind:     global_buffer
      - .actual_access:  write_only
        .address_space:  global
        .offset:         48
        .size:           8
        .value_kind:     global_buffer
      - .actual_access:  read_only
        .address_space:  global
        .offset:         56
        .size:           8
        .value_kind:     global_buffer
      - .actual_access:  read_only
        .address_space:  global
        .offset:         64
        .size:           8
        .value_kind:     global_buffer
      - .actual_access:  read_only
        .address_space:  global
        .offset:         72
        .size:           8
        .value_kind:     global_buffer
      - .actual_access:  read_only
        .address_space:  global
        .offset:         80
        .size:           8
        .value_kind:     global_buffer
      - .offset:         88
        .size:           4
        .value_kind:     by_value
      - .offset:         92
        .size:           4
        .value_kind:     by_value
      - .offset:         96
        .size:           4
        .value_kind:     by_value
      - .offset:         100
        .size:           4
        .value_kind:     by_value
      - .offset:         104
        .size:           4
        .value_kind:     by_value
      - .offset:         112
        .size:           8
        .value_kind:     by_value
      - .offset:         120
        .size:           8
        .value_kind:     by_value
      - .offset:         128
        .size:           8
        .value_kind:     by_value
    .group_segment_fixed_size: 49152
    .kernarg_segment_align: 8
    .kernarg_segment_size: 136
    .language:       OpenCL C
    .language_version:
      - 2
      - 0
    .max_flat_workgroup_size: 256
    .name:           _ZN12_GLOBAL__N_139chunk_gated_delta_rule_fwd_h_hip_kernelILi32ELb1ELb0ELb0ELb1ELb0ELb1ELb1ELb0EEEvPK12hip_bfloat16S3_S3_PKfS5_PKvPS1_S8_PvPKiSB_iiiiilll
    .private_segment_fixed_size: 0
    .sgpr_count:     68
    .sgpr_spill_count: 0
    .symbol:         _ZN12_GLOBAL__N_139chunk_gated_delta_rule_fwd_h_hip_kernelILi32ELb1ELb0ELb0ELb1ELb0ELb1ELb1ELb0EEEvPK12hip_bfloat16S3_S3_PKfS5_PKvPS1_S8_PvPKiSB_iiiiilll.kd
    .uniform_work_group_size: 1
    .uses_dynamic_stack: false
    .vgpr_count:     164
    .vgpr_spill_count: 0
    .wavefront_size: 64
  - .agpr_count:     24
    .args:
      - .actual_access:  read_only
        .address_space:  global
        .offset:         0
        .size:           8
        .value_kind:     global_buffer
      - .actual_access:  read_only
        .address_space:  global
        .offset:         8
        .size:           8
        .value_kind:     global_buffer
      - .actual_access:  read_only
        .address_space:  global
        .offset:         16
        .size:           8
        .value_kind:     global_buffer
      - .actual_access:  read_only
        .address_space:  global
        .offset:         24
        .size:           8
        .value_kind:     global_buffer
      - .actual_access:  read_only
        .address_space:  global
        .offset:         32
        .size:           8
        .value_kind:     global_buffer
      - .actual_access:  read_only
        .address_space:  global
        .offset:         40
        .size:           8
        .value_kind:     global_buffer
      - .actual_access:  write_only
        .address_space:  global
        .offset:         48
        .size:           8
        .value_kind:     global_buffer
      - .actual_access:  write_only
        .address_space:  global
        .offset:         56
        .size:           8
        .value_kind:     global_buffer
      - .actual_access:  write_only
        .address_space:  global
        .offset:         64
        .size:           8
        .value_kind:     global_buffer
      - .actual_access:  read_only
        .address_space:  global
        .offset:         72
        .size:           8
        .value_kind:     global_buffer
      - .actual_access:  read_only
        .address_space:  global
        .offset:         80
        .size:           8
        .value_kind:     global_buffer
      - .offset:         88
        .size:           4
        .value_kind:     by_value
      - .offset:         92
        .size:           4
        .value_kind:     by_value
      - .offset:         96
        .size:           4
        .value_kind:     by_value
      - .offset:         100
        .size:           4
        .value_kind:     by_value
      - .offset:         104
        .size:           4
        .value_kind:     by_value
      - .offset:         112
        .size:           8
        .value_kind:     by_value
      - .offset:         120
        .size:           8
        .value_kind:     by_value
      - .offset:         128
        .size:           8
        .value_kind:     by_value
    .group_segment_fixed_size: 49152
    .kernarg_segment_align: 8
    .kernarg_segment_size: 136
    .language:       OpenCL C
    .language_version:
      - 2
      - 0
    .max_flat_workgroup_size: 256
    .name:           _ZN12_GLOBAL__N_139chunk_gated_delta_rule_fwd_h_hip_kernelILi32ELb0ELb1ELb1ELb1ELb0ELb1ELb1ELb0EEEvPK12hip_bfloat16S3_S3_PKfS5_PKvPS1_S8_PvPKiSB_iiiiilll
    .private_segment_fixed_size: 0
    .sgpr_count:     76
    .sgpr_spill_count: 0
    .symbol:         _ZN12_GLOBAL__N_139chunk_gated_delta_rule_fwd_h_hip_kernelILi32ELb0ELb1ELb1ELb1ELb0ELb1ELb1ELb0EEEvPK12hip_bfloat16S3_S3_PKfS5_PKvPS1_S8_PvPKiSB_iiiiilll.kd
    .uniform_work_group_size: 1
    .uses_dynamic_stack: false
    .vgpr_count:     168
    .vgpr_spill_count: 0
    .wavefront_size: 64
  - .agpr_count:     24
    .args:
      - .actual_access:  read_only
        .address_space:  global
        .offset:         0
        .size:           8
        .value_kind:     global_buffer
      - .actual_access:  read_only
        .address_space:  global
        .offset:         8
        .size:           8
        .value_kind:     global_buffer
      - .actual_access:  read_only
        .address_space:  global
        .offset:         16
        .size:           8
        .value_kind:     global_buffer
      - .actual_access:  read_only
        .address_space:  global
        .offset:         24
        .size:           8
        .value_kind:     global_buffer
      - .actual_access:  read_only
        .address_space:  global
        .offset:         32
        .size:           8
        .value_kind:     global_buffer
      - .actual_access:  read_only
        .address_space:  global
        .offset:         40
        .size:           8
        .value_kind:     global_buffer
      - .actual_access:  write_only
        .address_space:  global
        .offset:         48
        .size:           8
        .value_kind:     global_buffer
      - .actual_access:  read_only
        .address_space:  global
        .offset:         56
        .size:           8
        .value_kind:     global_buffer
      - .actual_access:  write_only
        .address_space:  global
        .offset:         64
        .size:           8
        .value_kind:     global_buffer
      - .actual_access:  read_only
        .address_space:  global
        .offset:         72
        .size:           8
        .value_kind:     global_buffer
      - .actual_access:  read_only
        .address_space:  global
        .offset:         80
        .size:           8
        .value_kind:     global_buffer
      - .offset:         88
        .size:           4
        .value_kind:     by_value
      - .offset:         92
        .size:           4
        .value_kind:     by_value
      - .offset:         96
        .size:           4
        .value_kind:     by_value
      - .offset:         100
        .size:           4
        .value_kind:     by_value
      - .offset:         104
        .size:           4
        .value_kind:     by_value
      - .offset:         112
        .size:           8
        .value_kind:     by_value
      - .offset:         120
        .size:           8
        .value_kind:     by_value
      - .offset:         128
        .size:           8
        .value_kind:     by_value
    .group_segment_fixed_size: 49152
    .kernarg_segment_align: 8
    .kernarg_segment_size: 136
    .language:       OpenCL C
    .language_version:
      - 2
      - 0
    .max_flat_workgroup_size: 256
    .name:           _ZN12_GLOBAL__N_139chunk_gated_delta_rule_fwd_h_hip_kernelILi32ELb0ELb1ELb0ELb1ELb0ELb1ELb1ELb0EEEvPK12hip_bfloat16S3_S3_PKfS5_PKvPS1_S8_PvPKiSB_iiiiilll
    .private_segment_fixed_size: 0
    .sgpr_count:     72
    .sgpr_spill_count: 0
    .symbol:         _ZN12_GLOBAL__N_139chunk_gated_delta_rule_fwd_h_hip_kernelILi32ELb0ELb1ELb0ELb1ELb0ELb1ELb1ELb0EEEvPK12hip_bfloat16S3_S3_PKfS5_PKvPS1_S8_PvPKiSB_iiiiilll.kd
    .uniform_work_group_size: 1
    .uses_dynamic_stack: false
    .vgpr_count:     164
    .vgpr_spill_count: 0
    .wavefront_size: 64
  - .agpr_count:     24
    .args:
      - .actual_access:  read_only
        .address_space:  global
        .offset:         0
        .size:           8
        .value_kind:     global_buffer
      - .actual_access:  read_only
        .address_space:  global
        .offset:         8
        .size:           8
        .value_kind:     global_buffer
      - .actual_access:  read_only
        .address_space:  global
        .offset:         16
        .size:           8
        .value_kind:     global_buffer
      - .actual_access:  read_only
        .address_space:  global
        .offset:         24
        .size:           8
        .value_kind:     global_buffer
      - .actual_access:  read_only
        .address_space:  global
        .offset:         32
        .size:           8
        .value_kind:     global_buffer
      - .actual_access:  read_only
        .address_space:  global
        .offset:         40
        .size:           8
        .value_kind:     global_buffer
      - .actual_access:  write_only
        .address_space:  global
        .offset:         48
        .size:           8
        .value_kind:     global_buffer
      - .actual_access:  write_only
        .address_space:  global
        .offset:         56
        .size:           8
        .value_kind:     global_buffer
      - .actual_access:  read_only
        .address_space:  global
        .offset:         64
        .size:           8
        .value_kind:     global_buffer
      - .actual_access:  read_only
        .address_space:  global
        .offset:         72
        .size:           8
        .value_kind:     global_buffer
      - .actual_access:  read_only
        .address_space:  global
        .offset:         80
        .size:           8
        .value_kind:     global_buffer
      - .offset:         88
        .size:           4
        .value_kind:     by_value
      - .offset:         92
        .size:           4
        .value_kind:     by_value
      - .offset:         96
        .size:           4
        .value_kind:     by_value
      - .offset:         100
        .size:           4
        .value_kind:     by_value
      - .offset:         104
        .size:           4
        .value_kind:     by_value
      - .offset:         112
        .size:           8
        .value_kind:     by_value
      - .offset:         120
        .size:           8
        .value_kind:     by_value
      - .offset:         128
        .size:           8
        .value_kind:     by_value
    .group_segment_fixed_size: 49152
    .kernarg_segment_align: 8
    .kernarg_segment_size: 136
    .language:       OpenCL C
    .language_version:
      - 2
      - 0
    .max_flat_workgroup_size: 256
    .name:           _ZN12_GLOBAL__N_139chunk_gated_delta_rule_fwd_h_hip_kernelILi32ELb0ELb0ELb1ELb1ELb0ELb1ELb1ELb0EEEvPK12hip_bfloat16S3_S3_PKfS5_PKvPS1_S8_PvPKiSB_iiiiilll
    .private_segment_fixed_size: 0
    .sgpr_count:     69
    .sgpr_spill_count: 0
    .symbol:         _ZN12_GLOBAL__N_139chunk_gated_delta_rule_fwd_h_hip_kernelILi32ELb0ELb0ELb1ELb1ELb0ELb1ELb1ELb0EEEvPK12hip_bfloat16S3_S3_PKfS5_PKvPS1_S8_PvPKiSB_iiiiilll.kd
    .uniform_work_group_size: 1
    .uses_dynamic_stack: false
    .vgpr_count:     168
    .vgpr_spill_count: 0
    .wavefront_size: 64
  - .agpr_count:     24
    .args:
      - .actual_access:  read_only
        .address_space:  global
        .offset:         0
        .size:           8
        .value_kind:     global_buffer
      - .actual_access:  read_only
        .address_space:  global
        .offset:         8
        .size:           8
        .value_kind:     global_buffer
      - .actual_access:  read_only
        .address_space:  global
        .offset:         16
        .size:           8
        .value_kind:     global_buffer
      - .actual_access:  read_only
        .address_space:  global
        .offset:         24
        .size:           8
        .value_kind:     global_buffer
      - .actual_access:  read_only
        .address_space:  global
        .offset:         32
        .size:           8
        .value_kind:     global_buffer
      - .actual_access:  read_only
        .address_space:  global
        .offset:         40
        .size:           8
        .value_kind:     global_buffer
      - .actual_access:  write_only
        .address_space:  global
        .offset:         48
        .size:           8
        .value_kind:     global_buffer
      - .actual_access:  read_only
        .address_space:  global
        .offset:         56
        .size:           8
        .value_kind:     global_buffer
      - .actual_access:  read_only
        .address_space:  global
        .offset:         64
        .size:           8
        .value_kind:     global_buffer
      - .actual_access:  read_only
        .address_space:  global
        .offset:         72
        .size:           8
        .value_kind:     global_buffer
      - .actual_access:  read_only
        .address_space:  global
        .offset:         80
        .size:           8
        .value_kind:     global_buffer
      - .offset:         88
        .size:           4
        .value_kind:     by_value
      - .offset:         92
        .size:           4
        .value_kind:     by_value
      - .offset:         96
        .size:           4
        .value_kind:     by_value
      - .offset:         100
        .size:           4
        .value_kind:     by_value
      - .offset:         104
        .size:           4
        .value_kind:     by_value
      - .offset:         112
        .size:           8
        .value_kind:     by_value
      - .offset:         120
        .size:           8
        .value_kind:     by_value
      - .offset:         128
        .size:           8
        .value_kind:     by_value
    .group_segment_fixed_size: 49152
    .kernarg_segment_align: 8
    .kernarg_segment_size: 136
    .language:       OpenCL C
    .language_version:
      - 2
      - 0
    .max_flat_workgroup_size: 256
    .name:           _ZN12_GLOBAL__N_139chunk_gated_delta_rule_fwd_h_hip_kernelILi32ELb0ELb0ELb0ELb1ELb0ELb1ELb1ELb0EEEvPK12hip_bfloat16S3_S3_PKfS5_PKvPS1_S8_PvPKiSB_iiiiilll
    .private_segment_fixed_size: 0
    .sgpr_count:     67
    .sgpr_spill_count: 0
    .symbol:         _ZN12_GLOBAL__N_139chunk_gated_delta_rule_fwd_h_hip_kernelILi32ELb0ELb0ELb0ELb1ELb0ELb1ELb1ELb0EEEvPK12hip_bfloat16S3_S3_PKfS5_PKvPS1_S8_PvPKiSB_iiiiilll.kd
    .uniform_work_group_size: 1
    .uses_dynamic_stack: false
    .vgpr_count:     164
    .vgpr_spill_count: 0
    .wavefront_size: 64
  - .agpr_count:     24
    .args:
      - .actual_access:  read_only
        .address_space:  global
        .offset:         0
        .size:           8
        .value_kind:     global_buffer
      - .actual_access:  read_only
        .address_space:  global
        .offset:         8
        .size:           8
        .value_kind:     global_buffer
      - .actual_access:  read_only
        .address_space:  global
        .offset:         16
        .size:           8
        .value_kind:     global_buffer
      - .actual_access:  read_only
        .address_space:  global
        .offset:         24
        .size:           8
        .value_kind:     global_buffer
      - .actual_access:  read_only
        .address_space:  global
        .offset:         32
        .size:           8
        .value_kind:     global_buffer
      - .actual_access:  read_only
        .address_space:  global
        .offset:         40
        .size:           8
        .value_kind:     global_buffer
      - .actual_access:  write_only
        .address_space:  global
        .offset:         48
        .size:           8
        .value_kind:     global_buffer
      - .actual_access:  write_only
        .address_space:  global
        .offset:         56
        .size:           8
        .value_kind:     global_buffer
      - .actual_access:  write_only
        .address_space:  global
        .offset:         64
        .size:           8
        .value_kind:     global_buffer
      - .actual_access:  read_only
        .address_space:  global
        .offset:         72
        .size:           8
        .value_kind:     global_buffer
      - .actual_access:  read_only
        .address_space:  global
        .offset:         80
        .size:           8
        .value_kind:     global_buffer
      - .offset:         88
        .size:           4
        .value_kind:     by_value
      - .offset:         92
        .size:           4
        .value_kind:     by_value
      - .offset:         96
        .size:           4
        .value_kind:     by_value
      - .offset:         100
        .size:           4
        .value_kind:     by_value
      - .offset:         104
        .size:           4
        .value_kind:     by_value
      - .offset:         112
        .size:           8
        .value_kind:     by_value
      - .offset:         120
        .size:           8
        .value_kind:     by_value
      - .offset:         128
        .size:           8
        .value_kind:     by_value
    .group_segment_fixed_size: 49152
    .kernarg_segment_align: 8
    .kernarg_segment_size: 136
    .language:       OpenCL C
    .language_version:
      - 2
      - 0
    .max_flat_workgroup_size: 256
    .name:           _ZN12_GLOBAL__N_139chunk_gated_delta_rule_fwd_h_hip_kernelILi32ELb1ELb1ELb1ELb0ELb0ELb1ELb1ELb0EEEvPK12hip_bfloat16S3_S3_PKfS5_PKvPS1_S8_PvPKiSB_iiiiilll
    .private_segment_fixed_size: 0
    .sgpr_count:     82
    .sgpr_spill_count: 0
    .symbol:         _ZN12_GLOBAL__N_139chunk_gated_delta_rule_fwd_h_hip_kernelILi32ELb1ELb1ELb1ELb0ELb0ELb1ELb1ELb0EEEvPK12hip_bfloat16S3_S3_PKfS5_PKvPS1_S8_PvPKiSB_iiiiilll.kd
    .uniform_work_group_size: 1
    .uses_dynamic_stack: false
    .vgpr_count:     172
    .vgpr_spill_count: 0
    .wavefront_size: 64
  - .agpr_count:     24
    .args:
      - .actual_access:  read_only
        .address_space:  global
        .offset:         0
        .size:           8
        .value_kind:     global_buffer
      - .actual_access:  read_only
        .address_space:  global
        .offset:         8
        .size:           8
        .value_kind:     global_buffer
      - .actual_access:  read_only
        .address_space:  global
        .offset:         16
        .size:           8
        .value_kind:     global_buffer
      - .actual_access:  read_only
        .address_space:  global
        .offset:         24
        .size:           8
        .value_kind:     global_buffer
      - .actual_access:  read_only
        .address_space:  global
        .offset:         32
        .size:           8
        .value_kind:     global_buffer
      - .actual_access:  read_only
        .address_space:  global
        .offset:         40
        .size:           8
        .value_kind:     global_buffer
      - .actual_access:  write_only
        .address_space:  global
        .offset:         48
        .size:           8
        .value_kind:     global_buffer
      - .actual_access:  read_only
        .address_space:  global
        .offset:         56
        .size:           8
        .value_kind:     global_buffer
      - .actual_access:  write_only
        .address_space:  global
        .offset:         64
        .size:           8
        .value_kind:     global_buffer
      - .actual_access:  read_only
        .address_space:  global
        .offset:         72
        .size:           8
        .value_kind:     global_buffer
      - .actual_access:  read_only
        .address_space:  global
        .offset:         80
        .size:           8
        .value_kind:     global_buffer
      - .offset:         88
        .size:           4
        .value_kind:     by_value
      - .offset:         92
        .size:           4
        .value_kind:     by_value
      - .offset:         96
        .size:           4
        .value_kind:     by_value
      - .offset:         100
        .size:           4
        .value_kind:     by_value
      - .offset:         104
        .size:           4
        .value_kind:     by_value
      - .offset:         112
        .size:           8
        .value_kind:     by_value
      - .offset:         120
        .size:           8
        .value_kind:     by_value
      - .offset:         128
        .size:           8
        .value_kind:     by_value
    .group_segment_fixed_size: 49152
    .kernarg_segment_align: 8
    .kernarg_segment_size: 136
    .language:       OpenCL C
    .language_version:
      - 2
      - 0
    .max_flat_workgroup_size: 256
    .name:           _ZN12_GLOBAL__N_139chunk_gated_delta_rule_fwd_h_hip_kernelILi32ELb1ELb1ELb0ELb0ELb0ELb1ELb1ELb0EEEvPK12hip_bfloat16S3_S3_PKfS5_PKvPS1_S8_PvPKiSB_iiiiilll
    .private_segment_fixed_size: 0
    .sgpr_count:     78
    .sgpr_spill_count: 0
    .symbol:         _ZN12_GLOBAL__N_139chunk_gated_delta_rule_fwd_h_hip_kernelILi32ELb1ELb1ELb0ELb0ELb0ELb1ELb1ELb0EEEvPK12hip_bfloat16S3_S3_PKfS5_PKvPS1_S8_PvPKiSB_iiiiilll.kd
    .uniform_work_group_size: 1
    .uses_dynamic_stack: false
    .vgpr_count:     172
    .vgpr_spill_count: 0
    .wavefront_size: 64
  - .agpr_count:     24
    .args:
      - .actual_access:  read_only
        .address_space:  global
        .offset:         0
        .size:           8
        .value_kind:     global_buffer
      - .actual_access:  read_only
        .address_space:  global
        .offset:         8
        .size:           8
        .value_kind:     global_buffer
      - .actual_access:  read_only
        .address_space:  global
        .offset:         16
        .size:           8
        .value_kind:     global_buffer
      - .actual_access:  read_only
        .address_space:  global
        .offset:         24
        .size:           8
        .value_kind:     global_buffer
      - .actual_access:  read_only
        .address_space:  global
        .offset:         32
        .size:           8
        .value_kind:     global_buffer
      - .actual_access:  read_only
        .address_space:  global
        .offset:         40
        .size:           8
        .value_kind:     global_buffer
      - .actual_access:  write_only
        .address_space:  global
        .offset:         48
        .size:           8
        .value_kind:     global_buffer
      - .actual_access:  write_only
        .address_space:  global
        .offset:         56
        .size:           8
        .value_kind:     global_buffer
      - .actual_access:  read_only
        .address_space:  global
        .offset:         64
        .size:           8
        .value_kind:     global_buffer
      - .actual_access:  read_only
        .address_space:  global
        .offset:         72
        .size:           8
        .value_kind:     global_buffer
      - .actual_access:  read_only
        .address_space:  global
        .offset:         80
        .size:           8
        .value_kind:     global_buffer
      - .offset:         88
        .size:           4
        .value_kind:     by_value
      - .offset:         92
        .size:           4
        .value_kind:     by_value
      - .offset:         96
        .size:           4
        .value_kind:     by_value
      - .offset:         100
        .size:           4
        .value_kind:     by_value
      - .offset:         104
        .size:           4
        .value_kind:     by_value
      - .offset:         112
        .size:           8
        .value_kind:     by_value
      - .offset:         120
        .size:           8
        .value_kind:     by_value
      - .offset:         128
        .size:           8
        .value_kind:     by_value
    .group_segment_fixed_size: 49152
    .kernarg_segment_align: 8
    .kernarg_segment_size: 136
    .language:       OpenCL C
    .language_version:
      - 2
      - 0
    .max_flat_workgroup_size: 256
    .name:           _ZN12_GLOBAL__N_139chunk_gated_delta_rule_fwd_h_hip_kernelILi32ELb1ELb0ELb1ELb0ELb0ELb1ELb1ELb0EEEvPK12hip_bfloat16S3_S3_PKfS5_PKvPS1_S8_PvPKiSB_iiiiilll
    .private_segment_fixed_size: 0
    .sgpr_count:     76
    .sgpr_spill_count: 0
    .symbol:         _ZN12_GLOBAL__N_139chunk_gated_delta_rule_fwd_h_hip_kernelILi32ELb1ELb0ELb1ELb0ELb0ELb1ELb1ELb0EEEvPK12hip_bfloat16S3_S3_PKfS5_PKvPS1_S8_PvPKiSB_iiiiilll.kd
    .uniform_work_group_size: 1
    .uses_dynamic_stack: false
    .vgpr_count:     168
    .vgpr_spill_count: 0
    .wavefront_size: 64
  - .agpr_count:     24
    .args:
      - .actual_access:  read_only
        .address_space:  global
        .offset:         0
        .size:           8
        .value_kind:     global_buffer
      - .actual_access:  read_only
        .address_space:  global
        .offset:         8
        .size:           8
        .value_kind:     global_buffer
      - .actual_access:  read_only
        .address_space:  global
        .offset:         16
        .size:           8
        .value_kind:     global_buffer
      - .actual_access:  read_only
        .address_space:  global
        .offset:         24
        .size:           8
        .value_kind:     global_buffer
      - .actual_access:  read_only
        .address_space:  global
        .offset:         32
        .size:           8
        .value_kind:     global_buffer
      - .actual_access:  read_only
        .address_space:  global
        .offset:         40
        .size:           8
        .value_kind:     global_buffer
      - .actual_access:  write_only
        .address_space:  global
        .offset:         48
        .size:           8
        .value_kind:     global_buffer
      - .actual_access:  read_only
        .address_space:  global
        .offset:         56
        .size:           8
        .value_kind:     global_buffer
      - .actual_access:  read_only
        .address_space:  global
        .offset:         64
        .size:           8
        .value_kind:     global_buffer
      - .actual_access:  read_only
        .address_space:  global
        .offset:         72
        .size:           8
        .value_kind:     global_buffer
      - .actual_access:  read_only
        .address_space:  global
        .offset:         80
        .size:           8
        .value_kind:     global_buffer
      - .offset:         88
        .size:           4
        .value_kind:     by_value
      - .offset:         92
        .size:           4
        .value_kind:     by_value
      - .offset:         96
        .size:           4
        .value_kind:     by_value
      - .offset:         100
        .size:           4
        .value_kind:     by_value
      - .offset:         104
        .size:           4
        .value_kind:     by_value
      - .offset:         112
        .size:           8
        .value_kind:     by_value
      - .offset:         120
        .size:           8
        .value_kind:     by_value
      - .offset:         128
        .size:           8
        .value_kind:     by_value
    .group_segment_fixed_size: 49152
    .kernarg_segment_align: 8
    .kernarg_segment_size: 136
    .language:       OpenCL C
    .language_version:
      - 2
      - 0
    .max_flat_workgroup_size: 256
    .name:           _ZN12_GLOBAL__N_139chunk_gated_delta_rule_fwd_h_hip_kernelILi32ELb1ELb0ELb0ELb0ELb0ELb1ELb1ELb0EEEvPK12hip_bfloat16S3_S3_PKfS5_PKvPS1_S8_PvPKiSB_iiiiilll
    .private_segment_fixed_size: 0
    .sgpr_count:     74
    .sgpr_spill_count: 0
    .symbol:         _ZN12_GLOBAL__N_139chunk_gated_delta_rule_fwd_h_hip_kernelILi32ELb1ELb0ELb0ELb0ELb0ELb1ELb1ELb0EEEvPK12hip_bfloat16S3_S3_PKfS5_PKvPS1_S8_PvPKiSB_iiiiilll.kd
    .uniform_work_group_size: 1
    .uses_dynamic_stack: false
    .vgpr_count:     164
    .vgpr_spill_count: 0
    .wavefront_size: 64
  - .agpr_count:     24
    .args:
      - .actual_access:  read_only
        .address_space:  global
        .offset:         0
        .size:           8
        .value_kind:     global_buffer
      - .actual_access:  read_only
        .address_space:  global
        .offset:         8
        .size:           8
        .value_kind:     global_buffer
      - .actual_access:  read_only
        .address_space:  global
        .offset:         16
        .size:           8
        .value_kind:     global_buffer
      - .actual_access:  read_only
        .address_space:  global
        .offset:         24
        .size:           8
        .value_kind:     global_buffer
      - .actual_access:  read_only
        .address_space:  global
        .offset:         32
        .size:           8
        .value_kind:     global_buffer
      - .actual_access:  read_only
        .address_space:  global
        .offset:         40
        .size:           8
        .value_kind:     global_buffer
      - .actual_access:  write_only
        .address_space:  global
        .offset:         48
        .size:           8
        .value_kind:     global_buffer
      - .actual_access:  write_only
        .address_space:  global
        .offset:         56
        .size:           8
        .value_kind:     global_buffer
      - .actual_access:  write_only
        .address_space:  global
        .offset:         64
        .size:           8
        .value_kind:     global_buffer
      - .actual_access:  read_only
        .address_space:  global
        .offset:         72
        .size:           8
        .value_kind:     global_buffer
      - .actual_access:  read_only
        .address_space:  global
        .offset:         80
        .size:           8
        .value_kind:     global_buffer
      - .offset:         88
        .size:           4
        .value_kind:     by_value
      - .offset:         92
        .size:           4
        .value_kind:     by_value
      - .offset:         96
        .size:           4
        .value_kind:     by_value
      - .offset:         100
        .size:           4
        .value_kind:     by_value
      - .offset:         104
        .size:           4
        .value_kind:     by_value
      - .offset:         112
        .size:           8
        .value_kind:     by_value
      - .offset:         120
        .size:           8
        .value_kind:     by_value
      - .offset:         128
        .size:           8
        .value_kind:     by_value
    .group_segment_fixed_size: 49152
    .kernarg_segment_align: 8
    .kernarg_segment_size: 136
    .language:       OpenCL C
    .language_version:
      - 2
      - 0
    .max_flat_workgroup_size: 256
    .name:           _ZN12_GLOBAL__N_139chunk_gated_delta_rule_fwd_h_hip_kernelILi32ELb0ELb1ELb1ELb0ELb0ELb1ELb1ELb0EEEvPK12hip_bfloat16S3_S3_PKfS5_PKvPS1_S8_PvPKiSB_iiiiilll
    .private_segment_fixed_size: 0
    .sgpr_count:     78
    .sgpr_spill_count: 0
    .symbol:         _ZN12_GLOBAL__N_139chunk_gated_delta_rule_fwd_h_hip_kernelILi32ELb0ELb1ELb1ELb0ELb0ELb1ELb1ELb0EEEvPK12hip_bfloat16S3_S3_PKfS5_PKvPS1_S8_PvPKiSB_iiiiilll.kd
    .uniform_work_group_size: 1
    .uses_dynamic_stack: false
    .vgpr_count:     168
    .vgpr_spill_count: 0
    .wavefront_size: 64
  - .agpr_count:     24
    .args:
      - .actual_access:  read_only
        .address_space:  global
        .offset:         0
        .size:           8
        .value_kind:     global_buffer
      - .actual_access:  read_only
        .address_space:  global
        .offset:         8
        .size:           8
        .value_kind:     global_buffer
      - .actual_access:  read_only
        .address_space:  global
        .offset:         16
        .size:           8
        .value_kind:     global_buffer
      - .actual_access:  read_only
        .address_space:  global
        .offset:         24
        .size:           8
        .value_kind:     global_buffer
      - .actual_access:  read_only
        .address_space:  global
        .offset:         32
        .size:           8
        .value_kind:     global_buffer
      - .actual_access:  read_only
        .address_space:  global
        .offset:         40
        .size:           8
        .value_kind:     global_buffer
      - .actual_access:  write_only
        .address_space:  global
        .offset:         48
        .size:           8
        .value_kind:     global_buffer
      - .actual_access:  read_only
        .address_space:  global
        .offset:         56
        .size:           8
        .value_kind:     global_buffer
      - .actual_access:  write_only
        .address_space:  global
        .offset:         64
        .size:           8
        .value_kind:     global_buffer
      - .actual_access:  read_only
        .address_space:  global
        .offset:         72
        .size:           8
        .value_kind:     global_buffer
      - .actual_access:  read_only
        .address_space:  global
        .offset:         80
        .size:           8
        .value_kind:     global_buffer
      - .offset:         88
        .size:           4
        .value_kind:     by_value
      - .offset:         92
        .size:           4
        .value_kind:     by_value
      - .offset:         96
        .size:           4
        .value_kind:     by_value
      - .offset:         100
        .size:           4
        .value_kind:     by_value
      - .offset:         104
        .size:           4
        .value_kind:     by_value
      - .offset:         112
        .size:           8
        .value_kind:     by_value
      - .offset:         120
        .size:           8
        .value_kind:     by_value
      - .offset:         128
        .size:           8
        .value_kind:     by_value
    .group_segment_fixed_size: 49152
    .kernarg_segment_align: 8
    .kernarg_segment_size: 136
    .language:       OpenCL C
    .language_version:
      - 2
      - 0
    .max_flat_workgroup_size: 256
    .name:           _ZN12_GLOBAL__N_139chunk_gated_delta_rule_fwd_h_hip_kernelILi32ELb0ELb1ELb0ELb0ELb0ELb1ELb1ELb0EEEvPK12hip_bfloat16S3_S3_PKfS5_PKvPS1_S8_PvPKiSB_iiiiilll
    .private_segment_fixed_size: 0
    .sgpr_count:     73
    .sgpr_spill_count: 0
    .symbol:         _ZN12_GLOBAL__N_139chunk_gated_delta_rule_fwd_h_hip_kernelILi32ELb0ELb1ELb0ELb0ELb0ELb1ELb1ELb0EEEvPK12hip_bfloat16S3_S3_PKfS5_PKvPS1_S8_PvPKiSB_iiiiilll.kd
    .uniform_work_group_size: 1
    .uses_dynamic_stack: false
    .vgpr_count:     164
    .vgpr_spill_count: 0
    .wavefront_size: 64
  - .agpr_count:     24
    .args:
      - .actual_access:  read_only
        .address_space:  global
        .offset:         0
        .size:           8
        .value_kind:     global_buffer
      - .actual_access:  read_only
        .address_space:  global
        .offset:         8
        .size:           8
        .value_kind:     global_buffer
      - .actual_access:  read_only
        .address_space:  global
        .offset:         16
        .size:           8
        .value_kind:     global_buffer
      - .actual_access:  read_only
        .address_space:  global
        .offset:         24
        .size:           8
        .value_kind:     global_buffer
      - .actual_access:  read_only
        .address_space:  global
        .offset:         32
        .size:           8
        .value_kind:     global_buffer
      - .actual_access:  read_only
        .address_space:  global
        .offset:         40
        .size:           8
        .value_kind:     global_buffer
      - .actual_access:  write_only
        .address_space:  global
        .offset:         48
        .size:           8
        .value_kind:     global_buffer
      - .actual_access:  write_only
        .address_space:  global
        .offset:         56
        .size:           8
        .value_kind:     global_buffer
      - .actual_access:  read_only
        .address_space:  global
        .offset:         64
        .size:           8
        .value_kind:     global_buffer
      - .actual_access:  read_only
        .address_space:  global
        .offset:         72
        .size:           8
        .value_kind:     global_buffer
      - .actual_access:  read_only
        .address_space:  global
        .offset:         80
        .size:           8
        .value_kind:     global_buffer
      - .offset:         88
        .size:           4
        .value_kind:     by_value
      - .offset:         92
        .size:           4
        .value_kind:     by_value
      - .offset:         96
        .size:           4
        .value_kind:     by_value
      - .offset:         100
        .size:           4
        .value_kind:     by_value
      - .offset:         104
        .size:           4
        .value_kind:     by_value
      - .offset:         112
        .size:           8
        .value_kind:     by_value
      - .offset:         120
        .size:           8
        .value_kind:     by_value
      - .offset:         128
        .size:           8
        .value_kind:     by_value
    .group_segment_fixed_size: 49152
    .kernarg_segment_align: 8
    .kernarg_segment_size: 136
    .language:       OpenCL C
    .language_version:
      - 2
      - 0
    .max_flat_workgroup_size: 256
    .name:           _ZN12_GLOBAL__N_139chunk_gated_delta_rule_fwd_h_hip_kernelILi32ELb0ELb0ELb1ELb0ELb0ELb1ELb1ELb0EEEvPK12hip_bfloat16S3_S3_PKfS5_PKvPS1_S8_PvPKiSB_iiiiilll
    .private_segment_fixed_size: 0
    .sgpr_count:     73
    .sgpr_spill_count: 0
    .symbol:         _ZN12_GLOBAL__N_139chunk_gated_delta_rule_fwd_h_hip_kernelILi32ELb0ELb0ELb1ELb0ELb0ELb1ELb1ELb0EEEvPK12hip_bfloat16S3_S3_PKfS5_PKvPS1_S8_PvPKiSB_iiiiilll.kd
    .uniform_work_group_size: 1
    .uses_dynamic_stack: false
    .vgpr_count:     168
    .vgpr_spill_count: 0
    .wavefront_size: 64
  - .agpr_count:     24
    .args:
      - .actual_access:  read_only
        .address_space:  global
        .offset:         0
        .size:           8
        .value_kind:     global_buffer
      - .actual_access:  read_only
        .address_space:  global
        .offset:         8
        .size:           8
        .value_kind:     global_buffer
      - .actual_access:  read_only
        .address_space:  global
        .offset:         16
        .size:           8
        .value_kind:     global_buffer
      - .actual_access:  read_only
        .address_space:  global
        .offset:         24
        .size:           8
        .value_kind:     global_buffer
      - .actual_access:  read_only
        .address_space:  global
        .offset:         32
        .size:           8
        .value_kind:     global_buffer
      - .actual_access:  read_only
        .address_space:  global
        .offset:         40
        .size:           8
        .value_kind:     global_buffer
      - .actual_access:  write_only
        .address_space:  global
        .offset:         48
        .size:           8
        .value_kind:     global_buffer
      - .actual_access:  read_only
        .address_space:  global
        .offset:         56
        .size:           8
        .value_kind:     global_buffer
      - .actual_access:  read_only
        .address_space:  global
        .offset:         64
        .size:           8
        .value_kind:     global_buffer
      - .actual_access:  read_only
        .address_space:  global
        .offset:         72
        .size:           8
        .value_kind:     global_buffer
      - .actual_access:  read_only
        .address_space:  global
        .offset:         80
        .size:           8
        .value_kind:     global_buffer
      - .offset:         88
        .size:           4
        .value_kind:     by_value
      - .offset:         92
        .size:           4
        .value_kind:     by_value
      - .offset:         96
        .size:           4
        .value_kind:     by_value
      - .offset:         100
        .size:           4
        .value_kind:     by_value
      - .offset:         104
        .size:           4
        .value_kind:     by_value
      - .offset:         112
        .size:           8
        .value_kind:     by_value
      - .offset:         120
        .size:           8
        .value_kind:     by_value
      - .offset:         128
        .size:           8
        .value_kind:     by_value
    .group_segment_fixed_size: 49152
    .kernarg_segment_align: 8
    .kernarg_segment_size: 136
    .language:       OpenCL C
    .language_version:
      - 2
      - 0
    .max_flat_workgroup_size: 256
    .name:           _ZN12_GLOBAL__N_139chunk_gated_delta_rule_fwd_h_hip_kernelILi32ELb0ELb0ELb0ELb0ELb0ELb1ELb1ELb0EEEvPK12hip_bfloat16S3_S3_PKfS5_PKvPS1_S8_PvPKiSB_iiiiilll
    .private_segment_fixed_size: 0
    .sgpr_count:     71
    .sgpr_spill_count: 0
    .symbol:         _ZN12_GLOBAL__N_139chunk_gated_delta_rule_fwd_h_hip_kernelILi32ELb0ELb0ELb0ELb0ELb0ELb1ELb1ELb0EEEvPK12hip_bfloat16S3_S3_PKfS5_PKvPS1_S8_PvPKiSB_iiiiilll.kd
    .uniform_work_group_size: 1
    .uses_dynamic_stack: false
    .vgpr_count:     164
    .vgpr_spill_count: 0
    .wavefront_size: 64
  - .agpr_count:     24
    .args:
      - .actual_access:  read_only
        .address_space:  global
        .offset:         0
        .size:           8
        .value_kind:     global_buffer
      - .actual_access:  read_only
        .address_space:  global
        .offset:         8
        .size:           8
        .value_kind:     global_buffer
      - .actual_access:  read_only
        .address_space:  global
        .offset:         16
        .size:           8
        .value_kind:     global_buffer
      - .actual_access:  read_only
        .address_space:  global
        .offset:         24
        .size:           8
        .value_kind:     global_buffer
      - .actual_access:  read_only
        .address_space:  global
        .offset:         32
        .size:           8
        .value_kind:     global_buffer
      - .actual_access:  read_only
        .address_space:  global
        .offset:         40
        .size:           8
        .value_kind:     global_buffer
      - .actual_access:  write_only
        .address_space:  global
        .offset:         48
        .size:           8
        .value_kind:     global_buffer
      - .actual_access:  write_only
        .address_space:  global
        .offset:         56
        .size:           8
        .value_kind:     global_buffer
      - .actual_access:  write_only
        .address_space:  global
        .offset:         64
        .size:           8
        .value_kind:     global_buffer
      - .actual_access:  read_only
        .address_space:  global
        .offset:         72
        .size:           8
        .value_kind:     global_buffer
      - .actual_access:  read_only
        .address_space:  global
        .offset:         80
        .size:           8
        .value_kind:     global_buffer
      - .offset:         88
        .size:           4
        .value_kind:     by_value
      - .offset:         92
        .size:           4
        .value_kind:     by_value
      - .offset:         96
        .size:           4
        .value_kind:     by_value
      - .offset:         100
        .size:           4
        .value_kind:     by_value
      - .offset:         104
        .size:           4
        .value_kind:     by_value
      - .offset:         112
        .size:           8
        .value_kind:     by_value
      - .offset:         120
        .size:           8
        .value_kind:     by_value
      - .offset:         128
        .size:           8
        .value_kind:     by_value
    .group_segment_fixed_size: 49152
    .kernarg_segment_align: 8
    .kernarg_segment_size: 136
    .language:       OpenCL C
    .language_version:
      - 2
      - 0
    .max_flat_workgroup_size: 256
    .name:           _ZN12_GLOBAL__N_139chunk_gated_delta_rule_fwd_h_hip_kernelILi32ELb1ELb1ELb1ELb1ELb0ELb1ELb0ELb0EEEvPK12hip_bfloat16S3_S3_PKfS5_PKvPS1_S8_PvPKiSB_iiiiilll
    .private_segment_fixed_size: 0
    .sgpr_count:     76
    .sgpr_spill_count: 0
    .symbol:         _ZN12_GLOBAL__N_139chunk_gated_delta_rule_fwd_h_hip_kernelILi32ELb1ELb1ELb1ELb1ELb0ELb1ELb0ELb0EEEvPK12hip_bfloat16S3_S3_PKfS5_PKvPS1_S8_PvPKiSB_iiiiilll.kd
    .uniform_work_group_size: 1
    .uses_dynamic_stack: false
    .vgpr_count:     172
    .vgpr_spill_count: 0
    .wavefront_size: 64
  - .agpr_count:     24
    .args:
      - .actual_access:  read_only
        .address_space:  global
        .offset:         0
        .size:           8
        .value_kind:     global_buffer
      - .actual_access:  read_only
        .address_space:  global
        .offset:         8
        .size:           8
        .value_kind:     global_buffer
      - .actual_access:  read_only
        .address_space:  global
        .offset:         16
        .size:           8
        .value_kind:     global_buffer
      - .actual_access:  read_only
        .address_space:  global
        .offset:         24
        .size:           8
        .value_kind:     global_buffer
      - .actual_access:  read_only
        .address_space:  global
        .offset:         32
        .size:           8
        .value_kind:     global_buffer
      - .actual_access:  read_only
        .address_space:  global
        .offset:         40
        .size:           8
        .value_kind:     global_buffer
      - .actual_access:  write_only
        .address_space:  global
        .offset:         48
        .size:           8
        .value_kind:     global_buffer
      - .actual_access:  read_only
        .address_space:  global
        .offset:         56
        .size:           8
        .value_kind:     global_buffer
      - .actual_access:  write_only
        .address_space:  global
        .offset:         64
        .size:           8
        .value_kind:     global_buffer
      - .actual_access:  read_only
        .address_space:  global
        .offset:         72
        .size:           8
        .value_kind:     global_buffer
      - .actual_access:  read_only
        .address_space:  global
        .offset:         80
        .size:           8
        .value_kind:     global_buffer
      - .offset:         88
        .size:           4
        .value_kind:     by_value
      - .offset:         92
        .size:           4
        .value_kind:     by_value
      - .offset:         96
        .size:           4
        .value_kind:     by_value
      - .offset:         100
        .size:           4
        .value_kind:     by_value
      - .offset:         104
        .size:           4
        .value_kind:     by_value
      - .offset:         112
        .size:           8
        .value_kind:     by_value
      - .offset:         120
        .size:           8
        .value_kind:     by_value
      - .offset:         128
        .size:           8
        .value_kind:     by_value
    .group_segment_fixed_size: 49152
    .kernarg_segment_align: 8
    .kernarg_segment_size: 136
    .language:       OpenCL C
    .language_version:
      - 2
      - 0
    .max_flat_workgroup_size: 256
    .name:           _ZN12_GLOBAL__N_139chunk_gated_delta_rule_fwd_h_hip_kernelILi32ELb1ELb1ELb0ELb1ELb0ELb1ELb0ELb0EEEvPK12hip_bfloat16S3_S3_PKfS5_PKvPS1_S8_PvPKiSB_iiiiilll
    .private_segment_fixed_size: 0
    .sgpr_count:     72
    .sgpr_spill_count: 0
    .symbol:         _ZN12_GLOBAL__N_139chunk_gated_delta_rule_fwd_h_hip_kernelILi32ELb1ELb1ELb0ELb1ELb0ELb1ELb0ELb0EEEvPK12hip_bfloat16S3_S3_PKfS5_PKvPS1_S8_PvPKiSB_iiiiilll.kd
    .uniform_work_group_size: 1
    .uses_dynamic_stack: false
    .vgpr_count:     172
    .vgpr_spill_count: 0
    .wavefront_size: 64
  - .agpr_count:     24
    .args:
      - .actual_access:  read_only
        .address_space:  global
        .offset:         0
        .size:           8
        .value_kind:     global_buffer
      - .actual_access:  read_only
        .address_space:  global
        .offset:         8
        .size:           8
        .value_kind:     global_buffer
      - .actual_access:  read_only
        .address_space:  global
        .offset:         16
        .size:           8
        .value_kind:     global_buffer
      - .actual_access:  read_only
        .address_space:  global
        .offset:         24
        .size:           8
        .value_kind:     global_buffer
      - .actual_access:  read_only
        .address_space:  global
        .offset:         32
        .size:           8
        .value_kind:     global_buffer
      - .actual_access:  read_only
        .address_space:  global
        .offset:         40
        .size:           8
        .value_kind:     global_buffer
      - .actual_access:  write_only
        .address_space:  global
        .offset:         48
        .size:           8
        .value_kind:     global_buffer
      - .actual_access:  write_only
        .address_space:  global
        .offset:         56
        .size:           8
        .value_kind:     global_buffer
      - .actual_access:  read_only
        .address_space:  global
        .offset:         64
        .size:           8
        .value_kind:     global_buffer
      - .actual_access:  read_only
        .address_space:  global
        .offset:         72
        .size:           8
        .value_kind:     global_buffer
      - .actual_access:  read_only
        .address_space:  global
        .offset:         80
        .size:           8
        .value_kind:     global_buffer
      - .offset:         88
        .size:           4
        .value_kind:     by_value
      - .offset:         92
        .size:           4
        .value_kind:     by_value
      - .offset:         96
        .size:           4
        .value_kind:     by_value
      - .offset:         100
        .size:           4
        .value_kind:     by_value
      - .offset:         104
        .size:           4
        .value_kind:     by_value
      - .offset:         112
        .size:           8
        .value_kind:     by_value
      - .offset:         120
        .size:           8
        .value_kind:     by_value
      - .offset:         128
        .size:           8
        .value_kind:     by_value
    .group_segment_fixed_size: 49152
    .kernarg_segment_align: 8
    .kernarg_segment_size: 136
    .language:       OpenCL C
    .language_version:
      - 2
      - 0
    .max_flat_workgroup_size: 256
    .name:           _ZN12_GLOBAL__N_139chunk_gated_delta_rule_fwd_h_hip_kernelILi32ELb1ELb0ELb1ELb1ELb0ELb1ELb0ELb0EEEvPK12hip_bfloat16S3_S3_PKfS5_PKvPS1_S8_PvPKiSB_iiiiilll
    .private_segment_fixed_size: 0
    .sgpr_count:     70
    .sgpr_spill_count: 0
    .symbol:         _ZN12_GLOBAL__N_139chunk_gated_delta_rule_fwd_h_hip_kernelILi32ELb1ELb0ELb1ELb1ELb0ELb1ELb0ELb0EEEvPK12hip_bfloat16S3_S3_PKfS5_PKvPS1_S8_PvPKiSB_iiiiilll.kd
    .uniform_work_group_size: 1
    .uses_dynamic_stack: false
    .vgpr_count:     168
    .vgpr_spill_count: 0
    .wavefront_size: 64
  - .agpr_count:     24
    .args:
      - .actual_access:  read_only
        .address_space:  global
        .offset:         0
        .size:           8
        .value_kind:     global_buffer
      - .actual_access:  read_only
        .address_space:  global
        .offset:         8
        .size:           8
        .value_kind:     global_buffer
      - .actual_access:  read_only
        .address_space:  global
        .offset:         16
        .size:           8
        .value_kind:     global_buffer
      - .actual_access:  read_only
        .address_space:  global
        .offset:         24
        .size:           8
        .value_kind:     global_buffer
      - .actual_access:  read_only
        .address_space:  global
        .offset:         32
        .size:           8
        .value_kind:     global_buffer
      - .actual_access:  read_only
        .address_space:  global
        .offset:         40
        .size:           8
        .value_kind:     global_buffer
      - .actual_access:  write_only
        .address_space:  global
        .offset:         48
        .size:           8
        .value_kind:     global_buffer
      - .actual_access:  read_only
        .address_space:  global
        .offset:         56
        .size:           8
        .value_kind:     global_buffer
      - .actual_access:  read_only
        .address_space:  global
        .offset:         64
        .size:           8
        .value_kind:     global_buffer
      - .actual_access:  read_only
        .address_space:  global
        .offset:         72
        .size:           8
        .value_kind:     global_buffer
      - .actual_access:  read_only
        .address_space:  global
        .offset:         80
        .size:           8
        .value_kind:     global_buffer
      - .offset:         88
        .size:           4
        .value_kind:     by_value
      - .offset:         92
        .size:           4
        .value_kind:     by_value
      - .offset:         96
        .size:           4
        .value_kind:     by_value
      - .offset:         100
        .size:           4
        .value_kind:     by_value
      - .offset:         104
        .size:           4
        .value_kind:     by_value
      - .offset:         112
        .size:           8
        .value_kind:     by_value
      - .offset:         120
        .size:           8
        .value_kind:     by_value
      - .offset:         128
        .size:           8
        .value_kind:     by_value
    .group_segment_fixed_size: 49152
    .kernarg_segment_align: 8
    .kernarg_segment_size: 136
    .language:       OpenCL C
    .language_version:
      - 2
      - 0
    .max_flat_workgroup_size: 256
    .name:           _ZN12_GLOBAL__N_139chunk_gated_delta_rule_fwd_h_hip_kernelILi32ELb1ELb0ELb0ELb1ELb0ELb1ELb0ELb0EEEvPK12hip_bfloat16S3_S3_PKfS5_PKvPS1_S8_PvPKiSB_iiiiilll
    .private_segment_fixed_size: 0
    .sgpr_count:     68
    .sgpr_spill_count: 0
    .symbol:         _ZN12_GLOBAL__N_139chunk_gated_delta_rule_fwd_h_hip_kernelILi32ELb1ELb0ELb0ELb1ELb0ELb1ELb0ELb0EEEvPK12hip_bfloat16S3_S3_PKfS5_PKvPS1_S8_PvPKiSB_iiiiilll.kd
    .uniform_work_group_size: 1
    .uses_dynamic_stack: false
    .vgpr_count:     164
    .vgpr_spill_count: 0
    .wavefront_size: 64
  - .agpr_count:     24
    .args:
      - .actual_access:  read_only
        .address_space:  global
        .offset:         0
        .size:           8
        .value_kind:     global_buffer
      - .actual_access:  read_only
        .address_space:  global
        .offset:         8
        .size:           8
        .value_kind:     global_buffer
      - .actual_access:  read_only
        .address_space:  global
        .offset:         16
        .size:           8
        .value_kind:     global_buffer
      - .actual_access:  read_only
        .address_space:  global
        .offset:         24
        .size:           8
        .value_kind:     global_buffer
      - .actual_access:  read_only
        .address_space:  global
        .offset:         32
        .size:           8
        .value_kind:     global_buffer
      - .actual_access:  read_only
        .address_space:  global
        .offset:         40
        .size:           8
        .value_kind:     global_buffer
      - .actual_access:  write_only
        .address_space:  global
        .offset:         48
        .size:           8
        .value_kind:     global_buffer
      - .actual_access:  write_only
        .address_space:  global
        .offset:         56
        .size:           8
        .value_kind:     global_buffer
      - .actual_access:  write_only
        .address_space:  global
        .offset:         64
        .size:           8
        .value_kind:     global_buffer
      - .actual_access:  read_only
        .address_space:  global
        .offset:         72
        .size:           8
        .value_kind:     global_buffer
      - .actual_access:  read_only
        .address_space:  global
        .offset:         80
        .size:           8
        .value_kind:     global_buffer
      - .offset:         88
        .size:           4
        .value_kind:     by_value
      - .offset:         92
        .size:           4
        .value_kind:     by_value
      - .offset:         96
        .size:           4
        .value_kind:     by_value
      - .offset:         100
        .size:           4
        .value_kind:     by_value
      - .offset:         104
        .size:           4
        .value_kind:     by_value
      - .offset:         112
        .size:           8
        .value_kind:     by_value
      - .offset:         120
        .size:           8
        .value_kind:     by_value
      - .offset:         128
        .size:           8
        .value_kind:     by_value
    .group_segment_fixed_size: 49152
    .kernarg_segment_align: 8
    .kernarg_segment_size: 136
    .language:       OpenCL C
    .language_version:
      - 2
      - 0
    .max_flat_workgroup_size: 256
    .name:           _ZN12_GLOBAL__N_139chunk_gated_delta_rule_fwd_h_hip_kernelILi32ELb0ELb1ELb1ELb1ELb0ELb1ELb0ELb0EEEvPK12hip_bfloat16S3_S3_PKfS5_PKvPS1_S8_PvPKiSB_iiiiilll
    .private_segment_fixed_size: 0
    .sgpr_count:     76
    .sgpr_spill_count: 0
    .symbol:         _ZN12_GLOBAL__N_139chunk_gated_delta_rule_fwd_h_hip_kernelILi32ELb0ELb1ELb1ELb1ELb0ELb1ELb0ELb0EEEvPK12hip_bfloat16S3_S3_PKfS5_PKvPS1_S8_PvPKiSB_iiiiilll.kd
    .uniform_work_group_size: 1
    .uses_dynamic_stack: false
    .vgpr_count:     168
    .vgpr_spill_count: 0
    .wavefront_size: 64
  - .agpr_count:     24
    .args:
      - .actual_access:  read_only
        .address_space:  global
        .offset:         0
        .size:           8
        .value_kind:     global_buffer
      - .actual_access:  read_only
        .address_space:  global
        .offset:         8
        .size:           8
        .value_kind:     global_buffer
      - .actual_access:  read_only
        .address_space:  global
        .offset:         16
        .size:           8
        .value_kind:     global_buffer
      - .actual_access:  read_only
        .address_space:  global
        .offset:         24
        .size:           8
        .value_kind:     global_buffer
      - .actual_access:  read_only
        .address_space:  global
        .offset:         32
        .size:           8
        .value_kind:     global_buffer
      - .actual_access:  read_only
        .address_space:  global
        .offset:         40
        .size:           8
        .value_kind:     global_buffer
      - .actual_access:  write_only
        .address_space:  global
        .offset:         48
        .size:           8
        .value_kind:     global_buffer
      - .actual_access:  read_only
        .address_space:  global
        .offset:         56
        .size:           8
        .value_kind:     global_buffer
      - .actual_access:  write_only
        .address_space:  global
        .offset:         64
        .size:           8
        .value_kind:     global_buffer
      - .actual_access:  read_only
        .address_space:  global
        .offset:         72
        .size:           8
        .value_kind:     global_buffer
      - .actual_access:  read_only
        .address_space:  global
        .offset:         80
        .size:           8
        .value_kind:     global_buffer
      - .offset:         88
        .size:           4
        .value_kind:     by_value
      - .offset:         92
        .size:           4
        .value_kind:     by_value
      - .offset:         96
        .size:           4
        .value_kind:     by_value
      - .offset:         100
        .size:           4
        .value_kind:     by_value
      - .offset:         104
        .size:           4
        .value_kind:     by_value
      - .offset:         112
        .size:           8
        .value_kind:     by_value
      - .offset:         120
        .size:           8
        .value_kind:     by_value
      - .offset:         128
        .size:           8
        .value_kind:     by_value
    .group_segment_fixed_size: 49152
    .kernarg_segment_align: 8
    .kernarg_segment_size: 136
    .language:       OpenCL C
    .language_version:
      - 2
      - 0
    .max_flat_workgroup_size: 256
    .name:           _ZN12_GLOBAL__N_139chunk_gated_delta_rule_fwd_h_hip_kernelILi32ELb0ELb1ELb0ELb1ELb0ELb1ELb0ELb0EEEvPK12hip_bfloat16S3_S3_PKfS5_PKvPS1_S8_PvPKiSB_iiiiilll
    .private_segment_fixed_size: 0
    .sgpr_count:     72
    .sgpr_spill_count: 0
    .symbol:         _ZN12_GLOBAL__N_139chunk_gated_delta_rule_fwd_h_hip_kernelILi32ELb0ELb1ELb0ELb1ELb0ELb1ELb0ELb0EEEvPK12hip_bfloat16S3_S3_PKfS5_PKvPS1_S8_PvPKiSB_iiiiilll.kd
    .uniform_work_group_size: 1
    .uses_dynamic_stack: false
    .vgpr_count:     164
    .vgpr_spill_count: 0
    .wavefront_size: 64
  - .agpr_count:     24
    .args:
      - .actual_access:  read_only
        .address_space:  global
        .offset:         0
        .size:           8
        .value_kind:     global_buffer
      - .actual_access:  read_only
        .address_space:  global
        .offset:         8
        .size:           8
        .value_kind:     global_buffer
      - .actual_access:  read_only
        .address_space:  global
        .offset:         16
        .size:           8
        .value_kind:     global_buffer
      - .actual_access:  read_only
        .address_space:  global
        .offset:         24
        .size:           8
        .value_kind:     global_buffer
      - .actual_access:  read_only
        .address_space:  global
        .offset:         32
        .size:           8
        .value_kind:     global_buffer
      - .actual_access:  read_only
        .address_space:  global
        .offset:         40
        .size:           8
        .value_kind:     global_buffer
      - .actual_access:  write_only
        .address_space:  global
        .offset:         48
        .size:           8
        .value_kind:     global_buffer
      - .actual_access:  write_only
        .address_space:  global
        .offset:         56
        .size:           8
        .value_kind:     global_buffer
      - .actual_access:  read_only
        .address_space:  global
        .offset:         64
        .size:           8
        .value_kind:     global_buffer
      - .actual_access:  read_only
        .address_space:  global
        .offset:         72
        .size:           8
        .value_kind:     global_buffer
      - .actual_access:  read_only
        .address_space:  global
        .offset:         80
        .size:           8
        .value_kind:     global_buffer
      - .offset:         88
        .size:           4
        .value_kind:     by_value
      - .offset:         92
        .size:           4
        .value_kind:     by_value
      - .offset:         96
        .size:           4
        .value_kind:     by_value
      - .offset:         100
        .size:           4
        .value_kind:     by_value
      - .offset:         104
        .size:           4
        .value_kind:     by_value
      - .offset:         112
        .size:           8
        .value_kind:     by_value
      - .offset:         120
        .size:           8
        .value_kind:     by_value
      - .offset:         128
        .size:           8
        .value_kind:     by_value
    .group_segment_fixed_size: 49152
    .kernarg_segment_align: 8
    .kernarg_segment_size: 136
    .language:       OpenCL C
    .language_version:
      - 2
      - 0
    .max_flat_workgroup_size: 256
    .name:           _ZN12_GLOBAL__N_139chunk_gated_delta_rule_fwd_h_hip_kernelILi32ELb0ELb0ELb1ELb1ELb0ELb1ELb0ELb0EEEvPK12hip_bfloat16S3_S3_PKfS5_PKvPS1_S8_PvPKiSB_iiiiilll
    .private_segment_fixed_size: 0
    .sgpr_count:     69
    .sgpr_spill_count: 0
    .symbol:         _ZN12_GLOBAL__N_139chunk_gated_delta_rule_fwd_h_hip_kernelILi32ELb0ELb0ELb1ELb1ELb0ELb1ELb0ELb0EEEvPK12hip_bfloat16S3_S3_PKfS5_PKvPS1_S8_PvPKiSB_iiiiilll.kd
    .uniform_work_group_size: 1
    .uses_dynamic_stack: false
    .vgpr_count:     168
    .vgpr_spill_count: 0
    .wavefront_size: 64
  - .agpr_count:     24
    .args:
      - .actual_access:  read_only
        .address_space:  global
        .offset:         0
        .size:           8
        .value_kind:     global_buffer
      - .actual_access:  read_only
        .address_space:  global
        .offset:         8
        .size:           8
        .value_kind:     global_buffer
      - .actual_access:  read_only
        .address_space:  global
        .offset:         16
        .size:           8
        .value_kind:     global_buffer
      - .actual_access:  read_only
        .address_space:  global
        .offset:         24
        .size:           8
        .value_kind:     global_buffer
      - .actual_access:  read_only
        .address_space:  global
        .offset:         32
        .size:           8
        .value_kind:     global_buffer
      - .actual_access:  read_only
        .address_space:  global
        .offset:         40
        .size:           8
        .value_kind:     global_buffer
      - .actual_access:  write_only
        .address_space:  global
        .offset:         48
        .size:           8
        .value_kind:     global_buffer
      - .actual_access:  read_only
        .address_space:  global
        .offset:         56
        .size:           8
        .value_kind:     global_buffer
      - .actual_access:  read_only
        .address_space:  global
        .offset:         64
        .size:           8
        .value_kind:     global_buffer
      - .actual_access:  read_only
        .address_space:  global
        .offset:         72
        .size:           8
        .value_kind:     global_buffer
      - .actual_access:  read_only
        .address_space:  global
        .offset:         80
        .size:           8
        .value_kind:     global_buffer
      - .offset:         88
        .size:           4
        .value_kind:     by_value
      - .offset:         92
        .size:           4
        .value_kind:     by_value
      - .offset:         96
        .size:           4
        .value_kind:     by_value
      - .offset:         100
        .size:           4
        .value_kind:     by_value
      - .offset:         104
        .size:           4
        .value_kind:     by_value
      - .offset:         112
        .size:           8
        .value_kind:     by_value
      - .offset:         120
        .size:           8
        .value_kind:     by_value
      - .offset:         128
        .size:           8
        .value_kind:     by_value
    .group_segment_fixed_size: 49152
    .kernarg_segment_align: 8
    .kernarg_segment_size: 136
    .language:       OpenCL C
    .language_version:
      - 2
      - 0
    .max_flat_workgroup_size: 256
    .name:           _ZN12_GLOBAL__N_139chunk_gated_delta_rule_fwd_h_hip_kernelILi32ELb0ELb0ELb0ELb1ELb0ELb1ELb0ELb0EEEvPK12hip_bfloat16S3_S3_PKfS5_PKvPS1_S8_PvPKiSB_iiiiilll
    .private_segment_fixed_size: 0
    .sgpr_count:     67
    .sgpr_spill_count: 0
    .symbol:         _ZN12_GLOBAL__N_139chunk_gated_delta_rule_fwd_h_hip_kernelILi32ELb0ELb0ELb0ELb1ELb0ELb1ELb0ELb0EEEvPK12hip_bfloat16S3_S3_PKfS5_PKvPS1_S8_PvPKiSB_iiiiilll.kd
    .uniform_work_group_size: 1
    .uses_dynamic_stack: false
    .vgpr_count:     164
    .vgpr_spill_count: 0
    .wavefront_size: 64
  - .agpr_count:     24
    .args:
      - .actual_access:  read_only
        .address_space:  global
        .offset:         0
        .size:           8
        .value_kind:     global_buffer
      - .actual_access:  read_only
        .address_space:  global
        .offset:         8
        .size:           8
        .value_kind:     global_buffer
      - .actual_access:  read_only
        .address_space:  global
        .offset:         16
        .size:           8
        .value_kind:     global_buffer
      - .actual_access:  read_only
        .address_space:  global
        .offset:         24
        .size:           8
        .value_kind:     global_buffer
      - .actual_access:  read_only
        .address_space:  global
        .offset:         32
        .size:           8
        .value_kind:     global_buffer
      - .actual_access:  read_only
        .address_space:  global
        .offset:         40
        .size:           8
        .value_kind:     global_buffer
      - .actual_access:  write_only
        .address_space:  global
        .offset:         48
        .size:           8
        .value_kind:     global_buffer
      - .actual_access:  write_only
        .address_space:  global
        .offset:         56
        .size:           8
        .value_kind:     global_buffer
      - .actual_access:  write_only
        .address_space:  global
        .offset:         64
        .size:           8
        .value_kind:     global_buffer
      - .actual_access:  read_only
        .address_space:  global
        .offset:         72
        .size:           8
        .value_kind:     global_buffer
      - .actual_access:  read_only
        .address_space:  global
        .offset:         80
        .size:           8
        .value_kind:     global_buffer
      - .offset:         88
        .size:           4
        .value_kind:     by_value
      - .offset:         92
        .size:           4
        .value_kind:     by_value
      - .offset:         96
        .size:           4
        .value_kind:     by_value
      - .offset:         100
        .size:           4
        .value_kind:     by_value
      - .offset:         104
        .size:           4
        .value_kind:     by_value
      - .offset:         112
        .size:           8
        .value_kind:     by_value
      - .offset:         120
        .size:           8
        .value_kind:     by_value
      - .offset:         128
        .size:           8
        .value_kind:     by_value
    .group_segment_fixed_size: 49152
    .kernarg_segment_align: 8
    .kernarg_segment_size: 136
    .language:       OpenCL C
    .language_version:
      - 2
      - 0
    .max_flat_workgroup_size: 256
    .name:           _ZN12_GLOBAL__N_139chunk_gated_delta_rule_fwd_h_hip_kernelILi32ELb1ELb1ELb1ELb0ELb0ELb1ELb0ELb0EEEvPK12hip_bfloat16S3_S3_PKfS5_PKvPS1_S8_PvPKiSB_iiiiilll
    .private_segment_fixed_size: 0
    .sgpr_count:     82
    .sgpr_spill_count: 0
    .symbol:         _ZN12_GLOBAL__N_139chunk_gated_delta_rule_fwd_h_hip_kernelILi32ELb1ELb1ELb1ELb0ELb0ELb1ELb0ELb0EEEvPK12hip_bfloat16S3_S3_PKfS5_PKvPS1_S8_PvPKiSB_iiiiilll.kd
    .uniform_work_group_size: 1
    .uses_dynamic_stack: false
    .vgpr_count:     172
    .vgpr_spill_count: 0
    .wavefront_size: 64
  - .agpr_count:     24
    .args:
      - .actual_access:  read_only
        .address_space:  global
        .offset:         0
        .size:           8
        .value_kind:     global_buffer
      - .actual_access:  read_only
        .address_space:  global
        .offset:         8
        .size:           8
        .value_kind:     global_buffer
      - .actual_access:  read_only
        .address_space:  global
        .offset:         16
        .size:           8
        .value_kind:     global_buffer
      - .actual_access:  read_only
        .address_space:  global
        .offset:         24
        .size:           8
        .value_kind:     global_buffer
      - .actual_access:  read_only
        .address_space:  global
        .offset:         32
        .size:           8
        .value_kind:     global_buffer
      - .actual_access:  read_only
        .address_space:  global
        .offset:         40
        .size:           8
        .value_kind:     global_buffer
      - .actual_access:  write_only
        .address_space:  global
        .offset:         48
        .size:           8
        .value_kind:     global_buffer
      - .actual_access:  read_only
        .address_space:  global
        .offset:         56
        .size:           8
        .value_kind:     global_buffer
      - .actual_access:  write_only
        .address_space:  global
        .offset:         64
        .size:           8
        .value_kind:     global_buffer
      - .actual_access:  read_only
        .address_space:  global
        .offset:         72
        .size:           8
        .value_kind:     global_buffer
      - .actual_access:  read_only
        .address_space:  global
        .offset:         80
        .size:           8
        .value_kind:     global_buffer
      - .offset:         88
        .size:           4
        .value_kind:     by_value
      - .offset:         92
        .size:           4
        .value_kind:     by_value
      - .offset:         96
        .size:           4
        .value_kind:     by_value
      - .offset:         100
        .size:           4
        .value_kind:     by_value
      - .offset:         104
        .size:           4
        .value_kind:     by_value
      - .offset:         112
        .size:           8
        .value_kind:     by_value
      - .offset:         120
        .size:           8
        .value_kind:     by_value
      - .offset:         128
        .size:           8
        .value_kind:     by_value
    .group_segment_fixed_size: 49152
    .kernarg_segment_align: 8
    .kernarg_segment_size: 136
    .language:       OpenCL C
    .language_version:
      - 2
      - 0
    .max_flat_workgroup_size: 256
    .name:           _ZN12_GLOBAL__N_139chunk_gated_delta_rule_fwd_h_hip_kernelILi32ELb1ELb1ELb0ELb0ELb0ELb1ELb0ELb0EEEvPK12hip_bfloat16S3_S3_PKfS5_PKvPS1_S8_PvPKiSB_iiiiilll
    .private_segment_fixed_size: 0
    .sgpr_count:     78
    .sgpr_spill_count: 0
    .symbol:         _ZN12_GLOBAL__N_139chunk_gated_delta_rule_fwd_h_hip_kernelILi32ELb1ELb1ELb0ELb0ELb0ELb1ELb0ELb0EEEvPK12hip_bfloat16S3_S3_PKfS5_PKvPS1_S8_PvPKiSB_iiiiilll.kd
    .uniform_work_group_size: 1
    .uses_dynamic_stack: false
    .vgpr_count:     172
    .vgpr_spill_count: 0
    .wavefront_size: 64
  - .agpr_count:     24
    .args:
      - .actual_access:  read_only
        .address_space:  global
        .offset:         0
        .size:           8
        .value_kind:     global_buffer
      - .actual_access:  read_only
        .address_space:  global
        .offset:         8
        .size:           8
        .value_kind:     global_buffer
      - .actual_access:  read_only
        .address_space:  global
        .offset:         16
        .size:           8
        .value_kind:     global_buffer
      - .actual_access:  read_only
        .address_space:  global
        .offset:         24
        .size:           8
        .value_kind:     global_buffer
      - .actual_access:  read_only
        .address_space:  global
        .offset:         32
        .size:           8
        .value_kind:     global_buffer
      - .actual_access:  read_only
        .address_space:  global
        .offset:         40
        .size:           8
        .value_kind:     global_buffer
      - .actual_access:  write_only
        .address_space:  global
        .offset:         48
        .size:           8
        .value_kind:     global_buffer
      - .actual_access:  write_only
        .address_space:  global
        .offset:         56
        .size:           8
        .value_kind:     global_buffer
      - .actual_access:  read_only
        .address_space:  global
        .offset:         64
        .size:           8
        .value_kind:     global_buffer
      - .actual_access:  read_only
        .address_space:  global
        .offset:         72
        .size:           8
        .value_kind:     global_buffer
      - .actual_access:  read_only
        .address_space:  global
        .offset:         80
        .size:           8
        .value_kind:     global_buffer
      - .offset:         88
        .size:           4
        .value_kind:     by_value
      - .offset:         92
        .size:           4
        .value_kind:     by_value
      - .offset:         96
        .size:           4
        .value_kind:     by_value
      - .offset:         100
        .size:           4
        .value_kind:     by_value
      - .offset:         104
        .size:           4
        .value_kind:     by_value
      - .offset:         112
        .size:           8
        .value_kind:     by_value
      - .offset:         120
        .size:           8
        .value_kind:     by_value
      - .offset:         128
        .size:           8
        .value_kind:     by_value
    .group_segment_fixed_size: 49152
    .kernarg_segment_align: 8
    .kernarg_segment_size: 136
    .language:       OpenCL C
    .language_version:
      - 2
      - 0
    .max_flat_workgroup_size: 256
    .name:           _ZN12_GLOBAL__N_139chunk_gated_delta_rule_fwd_h_hip_kernelILi32ELb1ELb0ELb1ELb0ELb0ELb1ELb0ELb0EEEvPK12hip_bfloat16S3_S3_PKfS5_PKvPS1_S8_PvPKiSB_iiiiilll
    .private_segment_fixed_size: 0
    .sgpr_count:     76
    .sgpr_spill_count: 0
    .symbol:         _ZN12_GLOBAL__N_139chunk_gated_delta_rule_fwd_h_hip_kernelILi32ELb1ELb0ELb1ELb0ELb0ELb1ELb0ELb0EEEvPK12hip_bfloat16S3_S3_PKfS5_PKvPS1_S8_PvPKiSB_iiiiilll.kd
    .uniform_work_group_size: 1
    .uses_dynamic_stack: false
    .vgpr_count:     168
    .vgpr_spill_count: 0
    .wavefront_size: 64
  - .agpr_count:     24
    .args:
      - .actual_access:  read_only
        .address_space:  global
        .offset:         0
        .size:           8
        .value_kind:     global_buffer
      - .actual_access:  read_only
        .address_space:  global
        .offset:         8
        .size:           8
        .value_kind:     global_buffer
      - .actual_access:  read_only
        .address_space:  global
        .offset:         16
        .size:           8
        .value_kind:     global_buffer
      - .actual_access:  read_only
        .address_space:  global
        .offset:         24
        .size:           8
        .value_kind:     global_buffer
      - .actual_access:  read_only
        .address_space:  global
        .offset:         32
        .size:           8
        .value_kind:     global_buffer
      - .actual_access:  read_only
        .address_space:  global
        .offset:         40
        .size:           8
        .value_kind:     global_buffer
      - .actual_access:  write_only
        .address_space:  global
        .offset:         48
        .size:           8
        .value_kind:     global_buffer
      - .actual_access:  read_only
        .address_space:  global
        .offset:         56
        .size:           8
        .value_kind:     global_buffer
      - .actual_access:  read_only
        .address_space:  global
        .offset:         64
        .size:           8
        .value_kind:     global_buffer
      - .actual_access:  read_only
        .address_space:  global
        .offset:         72
        .size:           8
        .value_kind:     global_buffer
      - .actual_access:  read_only
        .address_space:  global
        .offset:         80
        .size:           8
        .value_kind:     global_buffer
      - .offset:         88
        .size:           4
        .value_kind:     by_value
      - .offset:         92
        .size:           4
        .value_kind:     by_value
      - .offset:         96
        .size:           4
        .value_kind:     by_value
      - .offset:         100
        .size:           4
        .value_kind:     by_value
      - .offset:         104
        .size:           4
        .value_kind:     by_value
      - .offset:         112
        .size:           8
        .value_kind:     by_value
      - .offset:         120
        .size:           8
        .value_kind:     by_value
      - .offset:         128
        .size:           8
        .value_kind:     by_value
    .group_segment_fixed_size: 49152
    .kernarg_segment_align: 8
    .kernarg_segment_size: 136
    .language:       OpenCL C
    .language_version:
      - 2
      - 0
    .max_flat_workgroup_size: 256
    .name:           _ZN12_GLOBAL__N_139chunk_gated_delta_rule_fwd_h_hip_kernelILi32ELb1ELb0ELb0ELb0ELb0ELb1ELb0ELb0EEEvPK12hip_bfloat16S3_S3_PKfS5_PKvPS1_S8_PvPKiSB_iiiiilll
    .private_segment_fixed_size: 0
    .sgpr_count:     74
    .sgpr_spill_count: 0
    .symbol:         _ZN12_GLOBAL__N_139chunk_gated_delta_rule_fwd_h_hip_kernelILi32ELb1ELb0ELb0ELb0ELb0ELb1ELb0ELb0EEEvPK12hip_bfloat16S3_S3_PKfS5_PKvPS1_S8_PvPKiSB_iiiiilll.kd
    .uniform_work_group_size: 1
    .uses_dynamic_stack: false
    .vgpr_count:     164
    .vgpr_spill_count: 0
    .wavefront_size: 64
  - .agpr_count:     24
    .args:
      - .actual_access:  read_only
        .address_space:  global
        .offset:         0
        .size:           8
        .value_kind:     global_buffer
      - .actual_access:  read_only
        .address_space:  global
        .offset:         8
        .size:           8
        .value_kind:     global_buffer
      - .actual_access:  read_only
        .address_space:  global
        .offset:         16
        .size:           8
        .value_kind:     global_buffer
      - .actual_access:  read_only
        .address_space:  global
        .offset:         24
        .size:           8
        .value_kind:     global_buffer
      - .actual_access:  read_only
        .address_space:  global
        .offset:         32
        .size:           8
        .value_kind:     global_buffer
      - .actual_access:  read_only
        .address_space:  global
        .offset:         40
        .size:           8
        .value_kind:     global_buffer
      - .actual_access:  write_only
        .address_space:  global
        .offset:         48
        .size:           8
        .value_kind:     global_buffer
      - .actual_access:  write_only
        .address_space:  global
        .offset:         56
        .size:           8
        .value_kind:     global_buffer
      - .actual_access:  write_only
        .address_space:  global
        .offset:         64
        .size:           8
        .value_kind:     global_buffer
      - .actual_access:  read_only
        .address_space:  global
        .offset:         72
        .size:           8
        .value_kind:     global_buffer
      - .actual_access:  read_only
        .address_space:  global
        .offset:         80
        .size:           8
        .value_kind:     global_buffer
      - .offset:         88
        .size:           4
        .value_kind:     by_value
      - .offset:         92
        .size:           4
        .value_kind:     by_value
      - .offset:         96
        .size:           4
        .value_kind:     by_value
      - .offset:         100
        .size:           4
        .value_kind:     by_value
      - .offset:         104
        .size:           4
        .value_kind:     by_value
      - .offset:         112
        .size:           8
        .value_kind:     by_value
      - .offset:         120
        .size:           8
        .value_kind:     by_value
      - .offset:         128
        .size:           8
        .value_kind:     by_value
    .group_segment_fixed_size: 49152
    .kernarg_segment_align: 8
    .kernarg_segment_size: 136
    .language:       OpenCL C
    .language_version:
      - 2
      - 0
    .max_flat_workgroup_size: 256
    .name:           _ZN12_GLOBAL__N_139chunk_gated_delta_rule_fwd_h_hip_kernelILi32ELb0ELb1ELb1ELb0ELb0ELb1ELb0ELb0EEEvPK12hip_bfloat16S3_S3_PKfS5_PKvPS1_S8_PvPKiSB_iiiiilll
    .private_segment_fixed_size: 0
    .sgpr_count:     78
    .sgpr_spill_count: 0
    .symbol:         _ZN12_GLOBAL__N_139chunk_gated_delta_rule_fwd_h_hip_kernelILi32ELb0ELb1ELb1ELb0ELb0ELb1ELb0ELb0EEEvPK12hip_bfloat16S3_S3_PKfS5_PKvPS1_S8_PvPKiSB_iiiiilll.kd
    .uniform_work_group_size: 1
    .uses_dynamic_stack: false
    .vgpr_count:     168
    .vgpr_spill_count: 0
    .wavefront_size: 64
  - .agpr_count:     24
    .args:
      - .actual_access:  read_only
        .address_space:  global
        .offset:         0
        .size:           8
        .value_kind:     global_buffer
      - .actual_access:  read_only
        .address_space:  global
        .offset:         8
        .size:           8
        .value_kind:     global_buffer
      - .actual_access:  read_only
        .address_space:  global
        .offset:         16
        .size:           8
        .value_kind:     global_buffer
      - .actual_access:  read_only
        .address_space:  global
        .offset:         24
        .size:           8
        .value_kind:     global_buffer
      - .actual_access:  read_only
        .address_space:  global
        .offset:         32
        .size:           8
        .value_kind:     global_buffer
      - .actual_access:  read_only
        .address_space:  global
        .offset:         40
        .size:           8
        .value_kind:     global_buffer
      - .actual_access:  write_only
        .address_space:  global
        .offset:         48
        .size:           8
        .value_kind:     global_buffer
      - .actual_access:  read_only
        .address_space:  global
        .offset:         56
        .size:           8
        .value_kind:     global_buffer
      - .actual_access:  write_only
        .address_space:  global
        .offset:         64
        .size:           8
        .value_kind:     global_buffer
      - .actual_access:  read_only
        .address_space:  global
        .offset:         72
        .size:           8
        .value_kind:     global_buffer
      - .actual_access:  read_only
        .address_space:  global
        .offset:         80
        .size:           8
        .value_kind:     global_buffer
      - .offset:         88
        .size:           4
        .value_kind:     by_value
      - .offset:         92
        .size:           4
        .value_kind:     by_value
      - .offset:         96
        .size:           4
        .value_kind:     by_value
      - .offset:         100
        .size:           4
        .value_kind:     by_value
      - .offset:         104
        .size:           4
        .value_kind:     by_value
      - .offset:         112
        .size:           8
        .value_kind:     by_value
      - .offset:         120
        .size:           8
        .value_kind:     by_value
      - .offset:         128
        .size:           8
        .value_kind:     by_value
    .group_segment_fixed_size: 49152
    .kernarg_segment_align: 8
    .kernarg_segment_size: 136
    .language:       OpenCL C
    .language_version:
      - 2
      - 0
    .max_flat_workgroup_size: 256
    .name:           _ZN12_GLOBAL__N_139chunk_gated_delta_rule_fwd_h_hip_kernelILi32ELb0ELb1ELb0ELb0ELb0ELb1ELb0ELb0EEEvPK12hip_bfloat16S3_S3_PKfS5_PKvPS1_S8_PvPKiSB_iiiiilll
    .private_segment_fixed_size: 0
    .sgpr_count:     73
    .sgpr_spill_count: 0
    .symbol:         _ZN12_GLOBAL__N_139chunk_gated_delta_rule_fwd_h_hip_kernelILi32ELb0ELb1ELb0ELb0ELb0ELb1ELb0ELb0EEEvPK12hip_bfloat16S3_S3_PKfS5_PKvPS1_S8_PvPKiSB_iiiiilll.kd
    .uniform_work_group_size: 1
    .uses_dynamic_stack: false
    .vgpr_count:     164
    .vgpr_spill_count: 0
    .wavefront_size: 64
  - .agpr_count:     24
    .args:
      - .actual_access:  read_only
        .address_space:  global
        .offset:         0
        .size:           8
        .value_kind:     global_buffer
      - .actual_access:  read_only
        .address_space:  global
        .offset:         8
        .size:           8
        .value_kind:     global_buffer
      - .actual_access:  read_only
        .address_space:  global
        .offset:         16
        .size:           8
        .value_kind:     global_buffer
      - .actual_access:  read_only
        .address_space:  global
        .offset:         24
        .size:           8
        .value_kind:     global_buffer
      - .actual_access:  read_only
        .address_space:  global
        .offset:         32
        .size:           8
        .value_kind:     global_buffer
      - .actual_access:  read_only
        .address_space:  global
        .offset:         40
        .size:           8
        .value_kind:     global_buffer
      - .actual_access:  write_only
        .address_space:  global
        .offset:         48
        .size:           8
        .value_kind:     global_buffer
      - .actual_access:  write_only
        .address_space:  global
        .offset:         56
        .size:           8
        .value_kind:     global_buffer
      - .actual_access:  read_only
        .address_space:  global
        .offset:         64
        .size:           8
        .value_kind:     global_buffer
      - .actual_access:  read_only
        .address_space:  global
        .offset:         72
        .size:           8
        .value_kind:     global_buffer
      - .actual_access:  read_only
        .address_space:  global
        .offset:         80
        .size:           8
        .value_kind:     global_buffer
      - .offset:         88
        .size:           4
        .value_kind:     by_value
      - .offset:         92
        .size:           4
        .value_kind:     by_value
      - .offset:         96
        .size:           4
        .value_kind:     by_value
      - .offset:         100
        .size:           4
        .value_kind:     by_value
      - .offset:         104
        .size:           4
        .value_kind:     by_value
      - .offset:         112
        .size:           8
        .value_kind:     by_value
      - .offset:         120
        .size:           8
        .value_kind:     by_value
      - .offset:         128
        .size:           8
        .value_kind:     by_value
    .group_segment_fixed_size: 49152
    .kernarg_segment_align: 8
    .kernarg_segment_size: 136
    .language:       OpenCL C
    .language_version:
      - 2
      - 0
    .max_flat_workgroup_size: 256
    .name:           _ZN12_GLOBAL__N_139chunk_gated_delta_rule_fwd_h_hip_kernelILi32ELb0ELb0ELb1ELb0ELb0ELb1ELb0ELb0EEEvPK12hip_bfloat16S3_S3_PKfS5_PKvPS1_S8_PvPKiSB_iiiiilll
    .private_segment_fixed_size: 0
    .sgpr_count:     73
    .sgpr_spill_count: 0
    .symbol:         _ZN12_GLOBAL__N_139chunk_gated_delta_rule_fwd_h_hip_kernelILi32ELb0ELb0ELb1ELb0ELb0ELb1ELb0ELb0EEEvPK12hip_bfloat16S3_S3_PKfS5_PKvPS1_S8_PvPKiSB_iiiiilll.kd
    .uniform_work_group_size: 1
    .uses_dynamic_stack: false
    .vgpr_count:     168
    .vgpr_spill_count: 0
    .wavefront_size: 64
  - .agpr_count:     24
    .args:
      - .actual_access:  read_only
        .address_space:  global
        .offset:         0
        .size:           8
        .value_kind:     global_buffer
      - .actual_access:  read_only
        .address_space:  global
        .offset:         8
        .size:           8
        .value_kind:     global_buffer
      - .actual_access:  read_only
        .address_space:  global
        .offset:         16
        .size:           8
        .value_kind:     global_buffer
      - .actual_access:  read_only
        .address_space:  global
        .offset:         24
        .size:           8
        .value_kind:     global_buffer
      - .actual_access:  read_only
        .address_space:  global
        .offset:         32
        .size:           8
        .value_kind:     global_buffer
      - .actual_access:  read_only
        .address_space:  global
        .offset:         40
        .size:           8
        .value_kind:     global_buffer
      - .actual_access:  write_only
        .address_space:  global
        .offset:         48
        .size:           8
        .value_kind:     global_buffer
      - .actual_access:  read_only
        .address_space:  global
        .offset:         56
        .size:           8
        .value_kind:     global_buffer
      - .actual_access:  read_only
        .address_space:  global
        .offset:         64
        .size:           8
        .value_kind:     global_buffer
      - .actual_access:  read_only
        .address_space:  global
        .offset:         72
        .size:           8
        .value_kind:     global_buffer
      - .actual_access:  read_only
        .address_space:  global
        .offset:         80
        .size:           8
        .value_kind:     global_buffer
      - .offset:         88
        .size:           4
        .value_kind:     by_value
      - .offset:         92
        .size:           4
        .value_kind:     by_value
      - .offset:         96
        .size:           4
        .value_kind:     by_value
      - .offset:         100
        .size:           4
        .value_kind:     by_value
      - .offset:         104
        .size:           4
        .value_kind:     by_value
      - .offset:         112
        .size:           8
        .value_kind:     by_value
      - .offset:         120
        .size:           8
        .value_kind:     by_value
      - .offset:         128
        .size:           8
        .value_kind:     by_value
    .group_segment_fixed_size: 49152
    .kernarg_segment_align: 8
    .kernarg_segment_size: 136
    .language:       OpenCL C
    .language_version:
      - 2
      - 0
    .max_flat_workgroup_size: 256
    .name:           _ZN12_GLOBAL__N_139chunk_gated_delta_rule_fwd_h_hip_kernelILi32ELb0ELb0ELb0ELb0ELb0ELb1ELb0ELb0EEEvPK12hip_bfloat16S3_S3_PKfS5_PKvPS1_S8_PvPKiSB_iiiiilll
    .private_segment_fixed_size: 0
    .sgpr_count:     71
    .sgpr_spill_count: 0
    .symbol:         _ZN12_GLOBAL__N_139chunk_gated_delta_rule_fwd_h_hip_kernelILi32ELb0ELb0ELb0ELb0ELb0ELb1ELb0ELb0EEEvPK12hip_bfloat16S3_S3_PKfS5_PKvPS1_S8_PvPKiSB_iiiiilll.kd
    .uniform_work_group_size: 1
    .uses_dynamic_stack: false
    .vgpr_count:     164
    .vgpr_spill_count: 0
    .wavefront_size: 64
  - .agpr_count:     16
    .args:
      - .actual_access:  read_only
        .address_space:  global
        .offset:         0
        .size:           8
        .value_kind:     global_buffer
      - .actual_access:  read_only
        .address_space:  global
        .offset:         8
        .size:           8
        .value_kind:     global_buffer
      - .actual_access:  read_only
        .address_space:  global
        .offset:         16
        .size:           8
        .value_kind:     global_buffer
      - .actual_access:  read_only
        .address_space:  global
        .offset:         24
        .size:           8
        .value_kind:     global_buffer
      - .actual_access:  read_only
        .address_space:  global
        .offset:         32
        .size:           8
        .value_kind:     global_buffer
      - .actual_access:  read_only
        .address_space:  global
        .offset:         40
        .size:           8
        .value_kind:     global_buffer
      - .actual_access:  write_only
        .address_space:  global
        .offset:         48
        .size:           8
        .value_kind:     global_buffer
      - .actual_access:  write_only
        .address_space:  global
        .offset:         56
        .size:           8
        .value_kind:     global_buffer
      - .actual_access:  write_only
        .address_space:  global
        .offset:         64
        .size:           8
        .value_kind:     global_buffer
      - .actual_access:  read_only
        .address_space:  global
        .offset:         72
        .size:           8
        .value_kind:     global_buffer
      - .actual_access:  read_only
        .address_space:  global
        .offset:         80
        .size:           8
        .value_kind:     global_buffer
      - .offset:         88
        .size:           4
        .value_kind:     by_value
      - .offset:         92
        .size:           4
        .value_kind:     by_value
      - .offset:         96
        .size:           4
        .value_kind:     by_value
      - .offset:         100
        .size:           4
        .value_kind:     by_value
      - .offset:         104
        .size:           4
        .value_kind:     by_value
      - .offset:         112
        .size:           8
        .value_kind:     by_value
      - .offset:         120
        .size:           8
        .value_kind:     by_value
      - .offset:         128
        .size:           8
        .value_kind:     by_value
    .group_segment_fixed_size: 49152
    .kernarg_segment_align: 8
    .kernarg_segment_size: 136
    .language:       OpenCL C
    .language_version:
      - 2
      - 0
    .max_flat_workgroup_size: 256
    .name:           _ZN12_GLOBAL__N_139chunk_gated_delta_rule_fwd_h_hip_kernelILi32ELb1ELb1ELb1ELb1ELb0ELb0ELb1ELb0EEEvPK12hip_bfloat16S3_S3_PKfS5_PKvPS1_S8_PvPKiSB_iiiiilll
    .private_segment_fixed_size: 0
    .sgpr_count:     74
    .sgpr_spill_count: 0
    .symbol:         _ZN12_GLOBAL__N_139chunk_gated_delta_rule_fwd_h_hip_kernelILi32ELb1ELb1ELb1ELb1ELb0ELb0ELb1ELb0EEEvPK12hip_bfloat16S3_S3_PKfS5_PKvPS1_S8_PvPKiSB_iiiiilll.kd
    .uniform_work_group_size: 1
    .uses_dynamic_stack: false
    .vgpr_count:     156
    .vgpr_spill_count: 0
    .wavefront_size: 64
  - .agpr_count:     16
    .args:
      - .actual_access:  read_only
        .address_space:  global
        .offset:         0
        .size:           8
        .value_kind:     global_buffer
      - .actual_access:  read_only
        .address_space:  global
        .offset:         8
        .size:           8
        .value_kind:     global_buffer
      - .actual_access:  read_only
        .address_space:  global
        .offset:         16
        .size:           8
        .value_kind:     global_buffer
      - .actual_access:  read_only
        .address_space:  global
        .offset:         24
        .size:           8
        .value_kind:     global_buffer
      - .actual_access:  read_only
        .address_space:  global
        .offset:         32
        .size:           8
        .value_kind:     global_buffer
      - .actual_access:  read_only
        .address_space:  global
        .offset:         40
        .size:           8
        .value_kind:     global_buffer
      - .actual_access:  write_only
        .address_space:  global
        .offset:         48
        .size:           8
        .value_kind:     global_buffer
      - .actual_access:  read_only
        .address_space:  global
        .offset:         56
        .size:           8
        .value_kind:     global_buffer
      - .actual_access:  write_only
        .address_space:  global
        .offset:         64
        .size:           8
        .value_kind:     global_buffer
      - .actual_access:  read_only
        .address_space:  global
        .offset:         72
        .size:           8
        .value_kind:     global_buffer
      - .actual_access:  read_only
        .address_space:  global
        .offset:         80
        .size:           8
        .value_kind:     global_buffer
      - .offset:         88
        .size:           4
        .value_kind:     by_value
      - .offset:         92
        .size:           4
        .value_kind:     by_value
      - .offset:         96
        .size:           4
        .value_kind:     by_value
      - .offset:         100
        .size:           4
        .value_kind:     by_value
      - .offset:         104
        .size:           4
        .value_kind:     by_value
      - .offset:         112
        .size:           8
        .value_kind:     by_value
      - .offset:         120
        .size:           8
        .value_kind:     by_value
      - .offset:         128
        .size:           8
        .value_kind:     by_value
    .group_segment_fixed_size: 49152
    .kernarg_segment_align: 8
    .kernarg_segment_size: 136
    .language:       OpenCL C
    .language_version:
      - 2
      - 0
    .max_flat_workgroup_size: 256
    .name:           _ZN12_GLOBAL__N_139chunk_gated_delta_rule_fwd_h_hip_kernelILi32ELb1ELb1ELb0ELb1ELb0ELb0ELb1ELb0EEEvPK12hip_bfloat16S3_S3_PKfS5_PKvPS1_S8_PvPKiSB_iiiiilll
    .private_segment_fixed_size: 0
    .sgpr_count:     70
    .sgpr_spill_count: 0
    .symbol:         _ZN12_GLOBAL__N_139chunk_gated_delta_rule_fwd_h_hip_kernelILi32ELb1ELb1ELb0ELb1ELb0ELb0ELb1ELb0EEEvPK12hip_bfloat16S3_S3_PKfS5_PKvPS1_S8_PvPKiSB_iiiiilll.kd
    .uniform_work_group_size: 1
    .uses_dynamic_stack: false
    .vgpr_count:     152
    .vgpr_spill_count: 0
    .wavefront_size: 64
  - .agpr_count:     20
    .args:
      - .actual_access:  read_only
        .address_space:  global
        .offset:         0
        .size:           8
        .value_kind:     global_buffer
      - .actual_access:  read_only
        .address_space:  global
        .offset:         8
        .size:           8
        .value_kind:     global_buffer
      - .actual_access:  read_only
        .address_space:  global
        .offset:         16
        .size:           8
        .value_kind:     global_buffer
      - .actual_access:  read_only
        .address_space:  global
        .offset:         24
        .size:           8
        .value_kind:     global_buffer
      - .actual_access:  read_only
        .address_space:  global
        .offset:         32
        .size:           8
        .value_kind:     global_buffer
      - .actual_access:  read_only
        .address_space:  global
        .offset:         40
        .size:           8
        .value_kind:     global_buffer
      - .actual_access:  write_only
        .address_space:  global
        .offset:         48
        .size:           8
        .value_kind:     global_buffer
      - .actual_access:  write_only
        .address_space:  global
        .offset:         56
        .size:           8
        .value_kind:     global_buffer
      - .actual_access:  read_only
        .address_space:  global
        .offset:         64
        .size:           8
        .value_kind:     global_buffer
      - .actual_access:  read_only
        .address_space:  global
        .offset:         72
        .size:           8
        .value_kind:     global_buffer
      - .actual_access:  read_only
        .address_space:  global
        .offset:         80
        .size:           8
        .value_kind:     global_buffer
      - .offset:         88
        .size:           4
        .value_kind:     by_value
      - .offset:         92
        .size:           4
        .value_kind:     by_value
      - .offset:         96
        .size:           4
        .value_kind:     by_value
      - .offset:         100
        .size:           4
        .value_kind:     by_value
      - .offset:         104
        .size:           4
        .value_kind:     by_value
      - .offset:         112
        .size:           8
        .value_kind:     by_value
      - .offset:         120
        .size:           8
        .value_kind:     by_value
      - .offset:         128
        .size:           8
        .value_kind:     by_value
    .group_segment_fixed_size: 49152
    .kernarg_segment_align: 8
    .kernarg_segment_size: 136
    .language:       OpenCL C
    .language_version:
      - 2
      - 0
    .max_flat_workgroup_size: 256
    .name:           _ZN12_GLOBAL__N_139chunk_gated_delta_rule_fwd_h_hip_kernelILi32ELb1ELb0ELb1ELb1ELb0ELb0ELb1ELb0EEEvPK12hip_bfloat16S3_S3_PKfS5_PKvPS1_S8_PvPKiSB_iiiiilll
    .private_segment_fixed_size: 0
    .sgpr_count:     70
    .sgpr_spill_count: 0
    .symbol:         _ZN12_GLOBAL__N_139chunk_gated_delta_rule_fwd_h_hip_kernelILi32ELb1ELb0ELb1ELb1ELb0ELb0ELb1ELb0EEEvPK12hip_bfloat16S3_S3_PKfS5_PKvPS1_S8_PvPKiSB_iiiiilll.kd
    .uniform_work_group_size: 1
    .uses_dynamic_stack: false
    .vgpr_count:     156
    .vgpr_spill_count: 0
    .wavefront_size: 64
  - .agpr_count:     20
    .args:
      - .actual_access:  read_only
        .address_space:  global
        .offset:         0
        .size:           8
        .value_kind:     global_buffer
      - .actual_access:  read_only
        .address_space:  global
        .offset:         8
        .size:           8
        .value_kind:     global_buffer
      - .actual_access:  read_only
        .address_space:  global
        .offset:         16
        .size:           8
        .value_kind:     global_buffer
      - .actual_access:  read_only
        .address_space:  global
        .offset:         24
        .size:           8
        .value_kind:     global_buffer
      - .actual_access:  read_only
        .address_space:  global
        .offset:         32
        .size:           8
        .value_kind:     global_buffer
      - .actual_access:  read_only
        .address_space:  global
        .offset:         40
        .size:           8
        .value_kind:     global_buffer
      - .actual_access:  write_only
        .address_space:  global
        .offset:         48
        .size:           8
        .value_kind:     global_buffer
      - .actual_access:  read_only
        .address_space:  global
        .offset:         56
        .size:           8
        .value_kind:     global_buffer
      - .actual_access:  read_only
        .address_space:  global
        .offset:         64
        .size:           8
        .value_kind:     global_buffer
      - .actual_access:  read_only
        .address_space:  global
        .offset:         72
        .size:           8
        .value_kind:     global_buffer
      - .actual_access:  read_only
        .address_space:  global
        .offset:         80
        .size:           8
        .value_kind:     global_buffer
      - .offset:         88
        .size:           4
        .value_kind:     by_value
      - .offset:         92
        .size:           4
        .value_kind:     by_value
      - .offset:         96
        .size:           4
        .value_kind:     by_value
      - .offset:         100
        .size:           4
        .value_kind:     by_value
      - .offset:         104
        .size:           4
        .value_kind:     by_value
      - .offset:         112
        .size:           8
        .value_kind:     by_value
      - .offset:         120
        .size:           8
        .value_kind:     by_value
      - .offset:         128
        .size:           8
        .value_kind:     by_value
    .group_segment_fixed_size: 49152
    .kernarg_segment_align: 8
    .kernarg_segment_size: 136
    .language:       OpenCL C
    .language_version:
      - 2
      - 0
    .max_flat_workgroup_size: 256
    .name:           _ZN12_GLOBAL__N_139chunk_gated_delta_rule_fwd_h_hip_kernelILi32ELb1ELb0ELb0ELb1ELb0ELb0ELb1ELb0EEEvPK12hip_bfloat16S3_S3_PKfS5_PKvPS1_S8_PvPKiSB_iiiiilll
    .private_segment_fixed_size: 0
    .sgpr_count:     66
    .sgpr_spill_count: 0
    .symbol:         _ZN12_GLOBAL__N_139chunk_gated_delta_rule_fwd_h_hip_kernelILi32ELb1ELb0ELb0ELb1ELb0ELb0ELb1ELb0EEEvPK12hip_bfloat16S3_S3_PKfS5_PKvPS1_S8_PvPKiSB_iiiiilll.kd
    .uniform_work_group_size: 1
    .uses_dynamic_stack: false
    .vgpr_count:     152
    .vgpr_spill_count: 0
    .wavefront_size: 64
  - .agpr_count:     16
    .args:
      - .actual_access:  read_only
        .address_space:  global
        .offset:         0
        .size:           8
        .value_kind:     global_buffer
      - .actual_access:  read_only
        .address_space:  global
        .offset:         8
        .size:           8
        .value_kind:     global_buffer
      - .actual_access:  read_only
        .address_space:  global
        .offset:         16
        .size:           8
        .value_kind:     global_buffer
      - .actual_access:  read_only
        .address_space:  global
        .offset:         24
        .size:           8
        .value_kind:     global_buffer
      - .actual_access:  read_only
        .address_space:  global
        .offset:         32
        .size:           8
        .value_kind:     global_buffer
      - .actual_access:  read_only
        .address_space:  global
        .offset:         40
        .size:           8
        .value_kind:     global_buffer
      - .actual_access:  write_only
        .address_space:  global
        .offset:         48
        .size:           8
        .value_kind:     global_buffer
      - .actual_access:  write_only
        .address_space:  global
        .offset:         56
        .size:           8
        .value_kind:     global_buffer
      - .actual_access:  write_only
        .address_space:  global
        .offset:         64
        .size:           8
        .value_kind:     global_buffer
      - .actual_access:  read_only
        .address_space:  global
        .offset:         72
        .size:           8
        .value_kind:     global_buffer
      - .actual_access:  read_only
        .address_space:  global
        .offset:         80
        .size:           8
        .value_kind:     global_buffer
      - .offset:         88
        .size:           4
        .value_kind:     by_value
      - .offset:         92
        .size:           4
        .value_kind:     by_value
      - .offset:         96
        .size:           4
        .value_kind:     by_value
      - .offset:         100
        .size:           4
        .value_kind:     by_value
      - .offset:         104
        .size:           4
        .value_kind:     by_value
      - .offset:         112
        .size:           8
        .value_kind:     by_value
      - .offset:         120
        .size:           8
        .value_kind:     by_value
      - .offset:         128
        .size:           8
        .value_kind:     by_value
    .group_segment_fixed_size: 49152
    .kernarg_segment_align: 8
    .kernarg_segment_size: 136
    .language:       OpenCL C
    .language_version:
      - 2
      - 0
    .max_flat_workgroup_size: 256
    .name:           _ZN12_GLOBAL__N_139chunk_gated_delta_rule_fwd_h_hip_kernelILi32ELb0ELb1ELb1ELb1ELb0ELb0ELb1ELb0EEEvPK12hip_bfloat16S3_S3_PKfS5_PKvPS1_S8_PvPKiSB_iiiiilll
    .private_segment_fixed_size: 0
    .sgpr_count:     74
    .sgpr_spill_count: 0
    .symbol:         _ZN12_GLOBAL__N_139chunk_gated_delta_rule_fwd_h_hip_kernelILi32ELb0ELb1ELb1ELb1ELb0ELb0ELb1ELb0EEEvPK12hip_bfloat16S3_S3_PKfS5_PKvPS1_S8_PvPKiSB_iiiiilll.kd
    .uniform_work_group_size: 1
    .uses_dynamic_stack: false
    .vgpr_count:     152
    .vgpr_spill_count: 0
    .wavefront_size: 64
  - .agpr_count:     16
    .args:
      - .actual_access:  read_only
        .address_space:  global
        .offset:         0
        .size:           8
        .value_kind:     global_buffer
      - .actual_access:  read_only
        .address_space:  global
        .offset:         8
        .size:           8
        .value_kind:     global_buffer
      - .actual_access:  read_only
        .address_space:  global
        .offset:         16
        .size:           8
        .value_kind:     global_buffer
      - .actual_access:  read_only
        .address_space:  global
        .offset:         24
        .size:           8
        .value_kind:     global_buffer
      - .actual_access:  read_only
        .address_space:  global
        .offset:         32
        .size:           8
        .value_kind:     global_buffer
      - .actual_access:  read_only
        .address_space:  global
        .offset:         40
        .size:           8
        .value_kind:     global_buffer
      - .actual_access:  write_only
        .address_space:  global
        .offset:         48
        .size:           8
        .value_kind:     global_buffer
      - .actual_access:  read_only
        .address_space:  global
        .offset:         56
        .size:           8
        .value_kind:     global_buffer
      - .actual_access:  write_only
        .address_space:  global
        .offset:         64
        .size:           8
        .value_kind:     global_buffer
      - .actual_access:  read_only
        .address_space:  global
        .offset:         72
        .size:           8
        .value_kind:     global_buffer
      - .actual_access:  read_only
        .address_space:  global
        .offset:         80
        .size:           8
        .value_kind:     global_buffer
      - .offset:         88
        .size:           4
        .value_kind:     by_value
      - .offset:         92
        .size:           4
        .value_kind:     by_value
      - .offset:         96
        .size:           4
        .value_kind:     by_value
      - .offset:         100
        .size:           4
        .value_kind:     by_value
      - .offset:         104
        .size:           4
        .value_kind:     by_value
      - .offset:         112
        .size:           8
        .value_kind:     by_value
      - .offset:         120
        .size:           8
        .value_kind:     by_value
      - .offset:         128
        .size:           8
        .value_kind:     by_value
    .group_segment_fixed_size: 49152
    .kernarg_segment_align: 8
    .kernarg_segment_size: 136
    .language:       OpenCL C
    .language_version:
      - 2
      - 0
    .max_flat_workgroup_size: 256
    .name:           _ZN12_GLOBAL__N_139chunk_gated_delta_rule_fwd_h_hip_kernelILi32ELb0ELb1ELb0ELb1ELb0ELb0ELb1ELb0EEEvPK12hip_bfloat16S3_S3_PKfS5_PKvPS1_S8_PvPKiSB_iiiiilll
    .private_segment_fixed_size: 0
    .sgpr_count:     70
    .sgpr_spill_count: 0
    .symbol:         _ZN12_GLOBAL__N_139chunk_gated_delta_rule_fwd_h_hip_kernelILi32ELb0ELb1ELb0ELb1ELb0ELb0ELb1ELb0EEEvPK12hip_bfloat16S3_S3_PKfS5_PKvPS1_S8_PvPKiSB_iiiiilll.kd
    .uniform_work_group_size: 1
    .uses_dynamic_stack: false
    .vgpr_count:     148
    .vgpr_spill_count: 0
    .wavefront_size: 64
  - .agpr_count:     20
    .args:
      - .actual_access:  read_only
        .address_space:  global
        .offset:         0
        .size:           8
        .value_kind:     global_buffer
      - .actual_access:  read_only
        .address_space:  global
        .offset:         8
        .size:           8
        .value_kind:     global_buffer
      - .actual_access:  read_only
        .address_space:  global
        .offset:         16
        .size:           8
        .value_kind:     global_buffer
      - .actual_access:  read_only
        .address_space:  global
        .offset:         24
        .size:           8
        .value_kind:     global_buffer
      - .actual_access:  read_only
        .address_space:  global
        .offset:         32
        .size:           8
        .value_kind:     global_buffer
      - .actual_access:  read_only
        .address_space:  global
        .offset:         40
        .size:           8
        .value_kind:     global_buffer
      - .actual_access:  write_only
        .address_space:  global
        .offset:         48
        .size:           8
        .value_kind:     global_buffer
      - .actual_access:  write_only
        .address_space:  global
        .offset:         56
        .size:           8
        .value_kind:     global_buffer
      - .actual_access:  read_only
        .address_space:  global
        .offset:         64
        .size:           8
        .value_kind:     global_buffer
      - .actual_access:  read_only
        .address_space:  global
        .offset:         72
        .size:           8
        .value_kind:     global_buffer
      - .actual_access:  read_only
        .address_space:  global
        .offset:         80
        .size:           8
        .value_kind:     global_buffer
      - .offset:         88
        .size:           4
        .value_kind:     by_value
      - .offset:         92
        .size:           4
        .value_kind:     by_value
      - .offset:         96
        .size:           4
        .value_kind:     by_value
      - .offset:         100
        .size:           4
        .value_kind:     by_value
      - .offset:         104
        .size:           4
        .value_kind:     by_value
      - .offset:         112
        .size:           8
        .value_kind:     by_value
      - .offset:         120
        .size:           8
        .value_kind:     by_value
      - .offset:         128
        .size:           8
        .value_kind:     by_value
    .group_segment_fixed_size: 49152
    .kernarg_segment_align: 8
    .kernarg_segment_size: 136
    .language:       OpenCL C
    .language_version:
      - 2
      - 0
    .max_flat_workgroup_size: 256
    .name:           _ZN12_GLOBAL__N_139chunk_gated_delta_rule_fwd_h_hip_kernelILi32ELb0ELb0ELb1ELb1ELb0ELb0ELb1ELb0EEEvPK12hip_bfloat16S3_S3_PKfS5_PKvPS1_S8_PvPKiSB_iiiiilll
    .private_segment_fixed_size: 0
    .sgpr_count:     68
    .sgpr_spill_count: 0
    .symbol:         _ZN12_GLOBAL__N_139chunk_gated_delta_rule_fwd_h_hip_kernelILi32ELb0ELb0ELb1ELb1ELb0ELb0ELb1ELb0EEEvPK12hip_bfloat16S3_S3_PKfS5_PKvPS1_S8_PvPKiSB_iiiiilll.kd
    .uniform_work_group_size: 1
    .uses_dynamic_stack: false
    .vgpr_count:     156
    .vgpr_spill_count: 0
    .wavefront_size: 64
  - .agpr_count:     20
    .args:
      - .actual_access:  read_only
        .address_space:  global
        .offset:         0
        .size:           8
        .value_kind:     global_buffer
      - .actual_access:  read_only
        .address_space:  global
        .offset:         8
        .size:           8
        .value_kind:     global_buffer
      - .actual_access:  read_only
        .address_space:  global
        .offset:         16
        .size:           8
        .value_kind:     global_buffer
      - .actual_access:  read_only
        .address_space:  global
        .offset:         24
        .size:           8
        .value_kind:     global_buffer
      - .actual_access:  read_only
        .address_space:  global
        .offset:         32
        .size:           8
        .value_kind:     global_buffer
      - .actual_access:  read_only
        .address_space:  global
        .offset:         40
        .size:           8
        .value_kind:     global_buffer
      - .actual_access:  write_only
        .address_space:  global
        .offset:         48
        .size:           8
        .value_kind:     global_buffer
      - .actual_access:  read_only
        .address_space:  global
        .offset:         56
        .size:           8
        .value_kind:     global_buffer
      - .actual_access:  read_only
        .address_space:  global
        .offset:         64
        .size:           8
        .value_kind:     global_buffer
      - .actual_access:  read_only
        .address_space:  global
        .offset:         72
        .size:           8
        .value_kind:     global_buffer
      - .actual_access:  read_only
        .address_space:  global
        .offset:         80
        .size:           8
        .value_kind:     global_buffer
      - .offset:         88
        .size:           4
        .value_kind:     by_value
      - .offset:         92
        .size:           4
        .value_kind:     by_value
      - .offset:         96
        .size:           4
        .value_kind:     by_value
      - .offset:         100
        .size:           4
        .value_kind:     by_value
      - .offset:         104
        .size:           4
        .value_kind:     by_value
      - .offset:         112
        .size:           8
        .value_kind:     by_value
      - .offset:         120
        .size:           8
        .value_kind:     by_value
      - .offset:         128
        .size:           8
        .value_kind:     by_value
    .group_segment_fixed_size: 49152
    .kernarg_segment_align: 8
    .kernarg_segment_size: 136
    .language:       OpenCL C
    .language_version:
      - 2
      - 0
    .max_flat_workgroup_size: 256
    .name:           _ZN12_GLOBAL__N_139chunk_gated_delta_rule_fwd_h_hip_kernelILi32ELb0ELb0ELb0ELb1ELb0ELb0ELb1ELb0EEEvPK12hip_bfloat16S3_S3_PKfS5_PKvPS1_S8_PvPKiSB_iiiiilll
    .private_segment_fixed_size: 0
    .sgpr_count:     65
    .sgpr_spill_count: 0
    .symbol:         _ZN12_GLOBAL__N_139chunk_gated_delta_rule_fwd_h_hip_kernelILi32ELb0ELb0ELb0ELb1ELb0ELb0ELb1ELb0EEEvPK12hip_bfloat16S3_S3_PKfS5_PKvPS1_S8_PvPKiSB_iiiiilll.kd
    .uniform_work_group_size: 1
    .uses_dynamic_stack: false
    .vgpr_count:     152
    .vgpr_spill_count: 0
    .wavefront_size: 64
  - .agpr_count:     16
    .args:
      - .actual_access:  read_only
        .address_space:  global
        .offset:         0
        .size:           8
        .value_kind:     global_buffer
      - .actual_access:  read_only
        .address_space:  global
        .offset:         8
        .size:           8
        .value_kind:     global_buffer
      - .actual_access:  read_only
        .address_space:  global
        .offset:         16
        .size:           8
        .value_kind:     global_buffer
      - .actual_access:  read_only
        .address_space:  global
        .offset:         24
        .size:           8
        .value_kind:     global_buffer
      - .actual_access:  read_only
        .address_space:  global
        .offset:         32
        .size:           8
        .value_kind:     global_buffer
      - .actual_access:  read_only
        .address_space:  global
        .offset:         40
        .size:           8
        .value_kind:     global_buffer
      - .actual_access:  write_only
        .address_space:  global
        .offset:         48
        .size:           8
        .value_kind:     global_buffer
      - .actual_access:  write_only
        .address_space:  global
        .offset:         56
        .size:           8
        .value_kind:     global_buffer
      - .actual_access:  write_only
        .address_space:  global
        .offset:         64
        .size:           8
        .value_kind:     global_buffer
      - .actual_access:  read_only
        .address_space:  global
        .offset:         72
        .size:           8
        .value_kind:     global_buffer
      - .actual_access:  read_only
        .address_space:  global
        .offset:         80
        .size:           8
        .value_kind:     global_buffer
      - .offset:         88
        .size:           4
        .value_kind:     by_value
      - .offset:         92
        .size:           4
        .value_kind:     by_value
      - .offset:         96
        .size:           4
        .value_kind:     by_value
      - .offset:         100
        .size:           4
        .value_kind:     by_value
      - .offset:         104
        .size:           4
        .value_kind:     by_value
      - .offset:         112
        .size:           8
        .value_kind:     by_value
      - .offset:         120
        .size:           8
        .value_kind:     by_value
      - .offset:         128
        .size:           8
        .value_kind:     by_value
    .group_segment_fixed_size: 49152
    .kernarg_segment_align: 8
    .kernarg_segment_size: 136
    .language:       OpenCL C
    .language_version:
      - 2
      - 0
    .max_flat_workgroup_size: 256
    .name:           _ZN12_GLOBAL__N_139chunk_gated_delta_rule_fwd_h_hip_kernelILi32ELb1ELb1ELb1ELb0ELb0ELb0ELb1ELb0EEEvPK12hip_bfloat16S3_S3_PKfS5_PKvPS1_S8_PvPKiSB_iiiiilll
    .private_segment_fixed_size: 0
    .sgpr_count:     80
    .sgpr_spill_count: 0
    .symbol:         _ZN12_GLOBAL__N_139chunk_gated_delta_rule_fwd_h_hip_kernelILi32ELb1ELb1ELb1ELb0ELb0ELb0ELb1ELb0EEEvPK12hip_bfloat16S3_S3_PKfS5_PKvPS1_S8_PvPKiSB_iiiiilll.kd
    .uniform_work_group_size: 1
    .uses_dynamic_stack: false
    .vgpr_count:     156
    .vgpr_spill_count: 0
    .wavefront_size: 64
  - .agpr_count:     16
    .args:
      - .actual_access:  read_only
        .address_space:  global
        .offset:         0
        .size:           8
        .value_kind:     global_buffer
      - .actual_access:  read_only
        .address_space:  global
        .offset:         8
        .size:           8
        .value_kind:     global_buffer
      - .actual_access:  read_only
        .address_space:  global
        .offset:         16
        .size:           8
        .value_kind:     global_buffer
      - .actual_access:  read_only
        .address_space:  global
        .offset:         24
        .size:           8
        .value_kind:     global_buffer
      - .actual_access:  read_only
        .address_space:  global
        .offset:         32
        .size:           8
        .value_kind:     global_buffer
      - .actual_access:  read_only
        .address_space:  global
        .offset:         40
        .size:           8
        .value_kind:     global_buffer
      - .actual_access:  write_only
        .address_space:  global
        .offset:         48
        .size:           8
        .value_kind:     global_buffer
      - .actual_access:  read_only
        .address_space:  global
        .offset:         56
        .size:           8
        .value_kind:     global_buffer
      - .actual_access:  write_only
        .address_space:  global
        .offset:         64
        .size:           8
        .value_kind:     global_buffer
      - .actual_access:  read_only
        .address_space:  global
        .offset:         72
        .size:           8
        .value_kind:     global_buffer
      - .actual_access:  read_only
        .address_space:  global
        .offset:         80
        .size:           8
        .value_kind:     global_buffer
      - .offset:         88
        .size:           4
        .value_kind:     by_value
      - .offset:         92
        .size:           4
        .value_kind:     by_value
      - .offset:         96
        .size:           4
        .value_kind:     by_value
      - .offset:         100
        .size:           4
        .value_kind:     by_value
      - .offset:         104
        .size:           4
        .value_kind:     by_value
      - .offset:         112
        .size:           8
        .value_kind:     by_value
      - .offset:         120
        .size:           8
        .value_kind:     by_value
      - .offset:         128
        .size:           8
        .value_kind:     by_value
    .group_segment_fixed_size: 49152
    .kernarg_segment_align: 8
    .kernarg_segment_size: 136
    .language:       OpenCL C
    .language_version:
      - 2
      - 0
    .max_flat_workgroup_size: 256
    .name:           _ZN12_GLOBAL__N_139chunk_gated_delta_rule_fwd_h_hip_kernelILi32ELb1ELb1ELb0ELb0ELb0ELb0ELb1ELb0EEEvPK12hip_bfloat16S3_S3_PKfS5_PKvPS1_S8_PvPKiSB_iiiiilll
    .private_segment_fixed_size: 0
    .sgpr_count:     75
    .sgpr_spill_count: 0
    .symbol:         _ZN12_GLOBAL__N_139chunk_gated_delta_rule_fwd_h_hip_kernelILi32ELb1ELb1ELb0ELb0ELb0ELb0ELb1ELb0EEEvPK12hip_bfloat16S3_S3_PKfS5_PKvPS1_S8_PvPKiSB_iiiiilll.kd
    .uniform_work_group_size: 1
    .uses_dynamic_stack: false
    .vgpr_count:     152
    .vgpr_spill_count: 0
    .wavefront_size: 64
  - .agpr_count:     20
    .args:
      - .actual_access:  read_only
        .address_space:  global
        .offset:         0
        .size:           8
        .value_kind:     global_buffer
      - .actual_access:  read_only
        .address_space:  global
        .offset:         8
        .size:           8
        .value_kind:     global_buffer
      - .actual_access:  read_only
        .address_space:  global
        .offset:         16
        .size:           8
        .value_kind:     global_buffer
      - .actual_access:  read_only
        .address_space:  global
        .offset:         24
        .size:           8
        .value_kind:     global_buffer
      - .actual_access:  read_only
        .address_space:  global
        .offset:         32
        .size:           8
        .value_kind:     global_buffer
      - .actual_access:  read_only
        .address_space:  global
        .offset:         40
        .size:           8
        .value_kind:     global_buffer
      - .actual_access:  write_only
        .address_space:  global
        .offset:         48
        .size:           8
        .value_kind:     global_buffer
      - .actual_access:  write_only
        .address_space:  global
        .offset:         56
        .size:           8
        .value_kind:     global_buffer
      - .actual_access:  read_only
        .address_space:  global
        .offset:         64
        .size:           8
        .value_kind:     global_buffer
      - .actual_access:  read_only
        .address_space:  global
        .offset:         72
        .size:           8
        .value_kind:     global_buffer
      - .actual_access:  read_only
        .address_space:  global
        .offset:         80
        .size:           8
        .value_kind:     global_buffer
      - .offset:         88
        .size:           4
        .value_kind:     by_value
      - .offset:         92
        .size:           4
        .value_kind:     by_value
      - .offset:         96
        .size:           4
        .value_kind:     by_value
      - .offset:         100
        .size:           4
        .value_kind:     by_value
      - .offset:         104
        .size:           4
        .value_kind:     by_value
      - .offset:         112
        .size:           8
        .value_kind:     by_value
      - .offset:         120
        .size:           8
        .value_kind:     by_value
      - .offset:         128
        .size:           8
        .value_kind:     by_value
    .group_segment_fixed_size: 49152
    .kernarg_segment_align: 8
    .kernarg_segment_size: 136
    .language:       OpenCL C
    .language_version:
      - 2
      - 0
    .max_flat_workgroup_size: 256
    .name:           _ZN12_GLOBAL__N_139chunk_gated_delta_rule_fwd_h_hip_kernelILi32ELb1ELb0ELb1ELb0ELb0ELb0ELb1ELb0EEEvPK12hip_bfloat16S3_S3_PKfS5_PKvPS1_S8_PvPKiSB_iiiiilll
    .private_segment_fixed_size: 0
    .sgpr_count:     76
    .sgpr_spill_count: 0
    .symbol:         _ZN12_GLOBAL__N_139chunk_gated_delta_rule_fwd_h_hip_kernelILi32ELb1ELb0ELb1ELb0ELb0ELb0ELb1ELb0EEEvPK12hip_bfloat16S3_S3_PKfS5_PKvPS1_S8_PvPKiSB_iiiiilll.kd
    .uniform_work_group_size: 1
    .uses_dynamic_stack: false
    .vgpr_count:     156
    .vgpr_spill_count: 0
    .wavefront_size: 64
  - .agpr_count:     20
    .args:
      - .actual_access:  read_only
        .address_space:  global
        .offset:         0
        .size:           8
        .value_kind:     global_buffer
      - .actual_access:  read_only
        .address_space:  global
        .offset:         8
        .size:           8
        .value_kind:     global_buffer
      - .actual_access:  read_only
        .address_space:  global
        .offset:         16
        .size:           8
        .value_kind:     global_buffer
      - .actual_access:  read_only
        .address_space:  global
        .offset:         24
        .size:           8
        .value_kind:     global_buffer
      - .actual_access:  read_only
        .address_space:  global
        .offset:         32
        .size:           8
        .value_kind:     global_buffer
      - .actual_access:  read_only
        .address_space:  global
        .offset:         40
        .size:           8
        .value_kind:     global_buffer
      - .actual_access:  write_only
        .address_space:  global
        .offset:         48
        .size:           8
        .value_kind:     global_buffer
      - .actual_access:  read_only
        .address_space:  global
        .offset:         56
        .size:           8
        .value_kind:     global_buffer
      - .actual_access:  read_only
        .address_space:  global
        .offset:         64
        .size:           8
        .value_kind:     global_buffer
      - .actual_access:  read_only
        .address_space:  global
        .offset:         72
        .size:           8
        .value_kind:     global_buffer
      - .actual_access:  read_only
        .address_space:  global
        .offset:         80
        .size:           8
        .value_kind:     global_buffer
      - .offset:         88
        .size:           4
        .value_kind:     by_value
      - .offset:         92
        .size:           4
        .value_kind:     by_value
      - .offset:         96
        .size:           4
        .value_kind:     by_value
      - .offset:         100
        .size:           4
        .value_kind:     by_value
      - .offset:         104
        .size:           4
        .value_kind:     by_value
      - .offset:         112
        .size:           8
        .value_kind:     by_value
      - .offset:         120
        .size:           8
        .value_kind:     by_value
      - .offset:         128
        .size:           8
        .value_kind:     by_value
    .group_segment_fixed_size: 49152
    .kernarg_segment_align: 8
    .kernarg_segment_size: 136
    .language:       OpenCL C
    .language_version:
      - 2
      - 0
    .max_flat_workgroup_size: 256
    .name:           _ZN12_GLOBAL__N_139chunk_gated_delta_rule_fwd_h_hip_kernelILi32ELb1ELb0ELb0ELb0ELb0ELb0ELb1ELb0EEEvPK12hip_bfloat16S3_S3_PKfS5_PKvPS1_S8_PvPKiSB_iiiiilll
    .private_segment_fixed_size: 0
    .sgpr_count:     71
    .sgpr_spill_count: 0
    .symbol:         _ZN12_GLOBAL__N_139chunk_gated_delta_rule_fwd_h_hip_kernelILi32ELb1ELb0ELb0ELb0ELb0ELb0ELb1ELb0EEEvPK12hip_bfloat16S3_S3_PKfS5_PKvPS1_S8_PvPKiSB_iiiiilll.kd
    .uniform_work_group_size: 1
    .uses_dynamic_stack: false
    .vgpr_count:     152
    .vgpr_spill_count: 0
    .wavefront_size: 64
  - .agpr_count:     16
    .args:
      - .actual_access:  read_only
        .address_space:  global
        .offset:         0
        .size:           8
        .value_kind:     global_buffer
      - .actual_access:  read_only
        .address_space:  global
        .offset:         8
        .size:           8
        .value_kind:     global_buffer
      - .actual_access:  read_only
        .address_space:  global
        .offset:         16
        .size:           8
        .value_kind:     global_buffer
      - .actual_access:  read_only
        .address_space:  global
        .offset:         24
        .size:           8
        .value_kind:     global_buffer
      - .actual_access:  read_only
        .address_space:  global
        .offset:         32
        .size:           8
        .value_kind:     global_buffer
      - .actual_access:  read_only
        .address_space:  global
        .offset:         40
        .size:           8
        .value_kind:     global_buffer
      - .actual_access:  write_only
        .address_space:  global
        .offset:         48
        .size:           8
        .value_kind:     global_buffer
      - .actual_access:  write_only
        .address_space:  global
        .offset:         56
        .size:           8
        .value_kind:     global_buffer
      - .actual_access:  write_only
        .address_space:  global
        .offset:         64
        .size:           8
        .value_kind:     global_buffer
      - .actual_access:  read_only
        .address_space:  global
        .offset:         72
        .size:           8
        .value_kind:     global_buffer
      - .actual_access:  read_only
        .address_space:  global
        .offset:         80
        .size:           8
        .value_kind:     global_buffer
      - .offset:         88
        .size:           4
        .value_kind:     by_value
      - .offset:         92
        .size:           4
        .value_kind:     by_value
      - .offset:         96
        .size:           4
        .value_kind:     by_value
      - .offset:         100
        .size:           4
        .value_kind:     by_value
      - .offset:         104
        .size:           4
        .value_kind:     by_value
      - .offset:         112
        .size:           8
        .value_kind:     by_value
      - .offset:         120
        .size:           8
        .value_kind:     by_value
      - .offset:         128
        .size:           8
        .value_kind:     by_value
    .group_segment_fixed_size: 49152
    .kernarg_segment_align: 8
    .kernarg_segment_size: 136
    .language:       OpenCL C
    .language_version:
      - 2
      - 0
    .max_flat_workgroup_size: 256
    .name:           _ZN12_GLOBAL__N_139chunk_gated_delta_rule_fwd_h_hip_kernelILi32ELb0ELb1ELb1ELb0ELb0ELb0ELb1ELb0EEEvPK12hip_bfloat16S3_S3_PKfS5_PKvPS1_S8_PvPKiSB_iiiiilll
    .private_segment_fixed_size: 0
    .sgpr_count:     74
    .sgpr_spill_count: 0
    .symbol:         _ZN12_GLOBAL__N_139chunk_gated_delta_rule_fwd_h_hip_kernelILi32ELb0ELb1ELb1ELb0ELb0ELb0ELb1ELb0EEEvPK12hip_bfloat16S3_S3_PKfS5_PKvPS1_S8_PvPKiSB_iiiiilll.kd
    .uniform_work_group_size: 1
    .uses_dynamic_stack: false
    .vgpr_count:     152
    .vgpr_spill_count: 0
    .wavefront_size: 64
  - .agpr_count:     16
    .args:
      - .actual_access:  read_only
        .address_space:  global
        .offset:         0
        .size:           8
        .value_kind:     global_buffer
      - .actual_access:  read_only
        .address_space:  global
        .offset:         8
        .size:           8
        .value_kind:     global_buffer
      - .actual_access:  read_only
        .address_space:  global
        .offset:         16
        .size:           8
        .value_kind:     global_buffer
      - .actual_access:  read_only
        .address_space:  global
        .offset:         24
        .size:           8
        .value_kind:     global_buffer
      - .actual_access:  read_only
        .address_space:  global
        .offset:         32
        .size:           8
        .value_kind:     global_buffer
      - .actual_access:  read_only
        .address_space:  global
        .offset:         40
        .size:           8
        .value_kind:     global_buffer
      - .actual_access:  write_only
        .address_space:  global
        .offset:         48
        .size:           8
        .value_kind:     global_buffer
      - .actual_access:  read_only
        .address_space:  global
        .offset:         56
        .size:           8
        .value_kind:     global_buffer
      - .actual_access:  write_only
        .address_space:  global
        .offset:         64
        .size:           8
        .value_kind:     global_buffer
      - .actual_access:  read_only
        .address_space:  global
        .offset:         72
        .size:           8
        .value_kind:     global_buffer
      - .actual_access:  read_only
        .address_space:  global
        .offset:         80
        .size:           8
        .value_kind:     global_buffer
      - .offset:         88
        .size:           4
        .value_kind:     by_value
      - .offset:         92
        .size:           4
        .value_kind:     by_value
      - .offset:         96
        .size:           4
        .value_kind:     by_value
      - .offset:         100
        .size:           4
        .value_kind:     by_value
      - .offset:         104
        .size:           4
        .value_kind:     by_value
      - .offset:         112
        .size:           8
        .value_kind:     by_value
      - .offset:         120
        .size:           8
        .value_kind:     by_value
      - .offset:         128
        .size:           8
        .value_kind:     by_value
    .group_segment_fixed_size: 49152
    .kernarg_segment_align: 8
    .kernarg_segment_size: 136
    .language:       OpenCL C
    .language_version:
      - 2
      - 0
    .max_flat_workgroup_size: 256
    .name:           _ZN12_GLOBAL__N_139chunk_gated_delta_rule_fwd_h_hip_kernelILi32ELb0ELb1ELb0ELb0ELb0ELb0ELb1ELb0EEEvPK12hip_bfloat16S3_S3_PKfS5_PKvPS1_S8_PvPKiSB_iiiiilll
    .private_segment_fixed_size: 0
    .sgpr_count:     70
    .sgpr_spill_count: 0
    .symbol:         _ZN12_GLOBAL__N_139chunk_gated_delta_rule_fwd_h_hip_kernelILi32ELb0ELb1ELb0ELb0ELb0ELb0ELb1ELb0EEEvPK12hip_bfloat16S3_S3_PKfS5_PKvPS1_S8_PvPKiSB_iiiiilll.kd
    .uniform_work_group_size: 1
    .uses_dynamic_stack: false
    .vgpr_count:     148
    .vgpr_spill_count: 0
    .wavefront_size: 64
  - .agpr_count:     20
    .args:
      - .actual_access:  read_only
        .address_space:  global
        .offset:         0
        .size:           8
        .value_kind:     global_buffer
      - .actual_access:  read_only
        .address_space:  global
        .offset:         8
        .size:           8
        .value_kind:     global_buffer
      - .actual_access:  read_only
        .address_space:  global
        .offset:         16
        .size:           8
        .value_kind:     global_buffer
      - .actual_access:  read_only
        .address_space:  global
        .offset:         24
        .size:           8
        .value_kind:     global_buffer
      - .actual_access:  read_only
        .address_space:  global
        .offset:         32
        .size:           8
        .value_kind:     global_buffer
      - .actual_access:  read_only
        .address_space:  global
        .offset:         40
        .size:           8
        .value_kind:     global_buffer
      - .actual_access:  write_only
        .address_space:  global
        .offset:         48
        .size:           8
        .value_kind:     global_buffer
      - .actual_access:  write_only
        .address_space:  global
        .offset:         56
        .size:           8
        .value_kind:     global_buffer
      - .actual_access:  read_only
        .address_space:  global
        .offset:         64
        .size:           8
        .value_kind:     global_buffer
      - .actual_access:  read_only
        .address_space:  global
        .offset:         72
        .size:           8
        .value_kind:     global_buffer
      - .actual_access:  read_only
        .address_space:  global
        .offset:         80
        .size:           8
        .value_kind:     global_buffer
      - .offset:         88
        .size:           4
        .value_kind:     by_value
      - .offset:         92
        .size:           4
        .value_kind:     by_value
      - .offset:         96
        .size:           4
        .value_kind:     by_value
      - .offset:         100
        .size:           4
        .value_kind:     by_value
      - .offset:         104
        .size:           4
        .value_kind:     by_value
      - .offset:         112
        .size:           8
        .value_kind:     by_value
      - .offset:         120
        .size:           8
        .value_kind:     by_value
      - .offset:         128
        .size:           8
        .value_kind:     by_value
    .group_segment_fixed_size: 49152
    .kernarg_segment_align: 8
    .kernarg_segment_size: 136
    .language:       OpenCL C
    .language_version:
      - 2
      - 0
    .max_flat_workgroup_size: 256
    .name:           _ZN12_GLOBAL__N_139chunk_gated_delta_rule_fwd_h_hip_kernelILi32ELb0ELb0ELb1ELb0ELb0ELb0ELb1ELb0EEEvPK12hip_bfloat16S3_S3_PKfS5_PKvPS1_S8_PvPKiSB_iiiiilll
    .private_segment_fixed_size: 0
    .sgpr_count:     72
    .sgpr_spill_count: 0
    .symbol:         _ZN12_GLOBAL__N_139chunk_gated_delta_rule_fwd_h_hip_kernelILi32ELb0ELb0ELb1ELb0ELb0ELb0ELb1ELb0EEEvPK12hip_bfloat16S3_S3_PKfS5_PKvPS1_S8_PvPKiSB_iiiiilll.kd
    .uniform_work_group_size: 1
    .uses_dynamic_stack: false
    .vgpr_count:     156
    .vgpr_spill_count: 0
    .wavefront_size: 64
  - .agpr_count:     20
    .args:
      - .actual_access:  read_only
        .address_space:  global
        .offset:         0
        .size:           8
        .value_kind:     global_buffer
      - .actual_access:  read_only
        .address_space:  global
        .offset:         8
        .size:           8
        .value_kind:     global_buffer
      - .actual_access:  read_only
        .address_space:  global
        .offset:         16
        .size:           8
        .value_kind:     global_buffer
      - .actual_access:  read_only
        .address_space:  global
        .offset:         24
        .size:           8
        .value_kind:     global_buffer
      - .actual_access:  read_only
        .address_space:  global
        .offset:         32
        .size:           8
        .value_kind:     global_buffer
      - .actual_access:  read_only
        .address_space:  global
        .offset:         40
        .size:           8
        .value_kind:     global_buffer
      - .actual_access:  write_only
        .address_space:  global
        .offset:         48
        .size:           8
        .value_kind:     global_buffer
      - .actual_access:  read_only
        .address_space:  global
        .offset:         56
        .size:           8
        .value_kind:     global_buffer
      - .actual_access:  read_only
        .address_space:  global
        .offset:         64
        .size:           8
        .value_kind:     global_buffer
      - .actual_access:  read_only
        .address_space:  global
        .offset:         72
        .size:           8
        .value_kind:     global_buffer
      - .actual_access:  read_only
        .address_space:  global
        .offset:         80
        .size:           8
        .value_kind:     global_buffer
      - .offset:         88
        .size:           4
        .value_kind:     by_value
      - .offset:         92
        .size:           4
        .value_kind:     by_value
      - .offset:         96
        .size:           4
        .value_kind:     by_value
      - .offset:         100
        .size:           4
        .value_kind:     by_value
      - .offset:         104
        .size:           4
        .value_kind:     by_value
      - .offset:         112
        .size:           8
        .value_kind:     by_value
      - .offset:         120
        .size:           8
        .value_kind:     by_value
      - .offset:         128
        .size:           8
        .value_kind:     by_value
    .group_segment_fixed_size: 49152
    .kernarg_segment_align: 8
    .kernarg_segment_size: 136
    .language:       OpenCL C
    .language_version:
      - 2
      - 0
    .max_flat_workgroup_size: 256
    .name:           _ZN12_GLOBAL__N_139chunk_gated_delta_rule_fwd_h_hip_kernelILi32ELb0ELb0ELb0ELb0ELb0ELb0ELb1ELb0EEEvPK12hip_bfloat16S3_S3_PKfS5_PKvPS1_S8_PvPKiSB_iiiiilll
    .private_segment_fixed_size: 0
    .sgpr_count:     68
    .sgpr_spill_count: 0
    .symbol:         _ZN12_GLOBAL__N_139chunk_gated_delta_rule_fwd_h_hip_kernelILi32ELb0ELb0ELb0ELb0ELb0ELb0ELb1ELb0EEEvPK12hip_bfloat16S3_S3_PKfS5_PKvPS1_S8_PvPKiSB_iiiiilll.kd
    .uniform_work_group_size: 1
    .uses_dynamic_stack: false
    .vgpr_count:     152
    .vgpr_spill_count: 0
    .wavefront_size: 64
  - .agpr_count:     16
    .args:
      - .actual_access:  read_only
        .address_space:  global
        .offset:         0
        .size:           8
        .value_kind:     global_buffer
      - .actual_access:  read_only
        .address_space:  global
        .offset:         8
        .size:           8
        .value_kind:     global_buffer
      - .actual_access:  read_only
        .address_space:  global
        .offset:         16
        .size:           8
        .value_kind:     global_buffer
      - .actual_access:  read_only
        .address_space:  global
        .offset:         24
        .size:           8
        .value_kind:     global_buffer
      - .actual_access:  read_only
        .address_space:  global
        .offset:         32
        .size:           8
        .value_kind:     global_buffer
      - .actual_access:  read_only
        .address_space:  global
        .offset:         40
        .size:           8
        .value_kind:     global_buffer
      - .actual_access:  write_only
        .address_space:  global
        .offset:         48
        .size:           8
        .value_kind:     global_buffer
      - .actual_access:  write_only
        .address_space:  global
        .offset:         56
        .size:           8
        .value_kind:     global_buffer
      - .actual_access:  write_only
        .address_space:  global
        .offset:         64
        .size:           8
        .value_kind:     global_buffer
      - .actual_access:  read_only
        .address_space:  global
        .offset:         72
        .size:           8
        .value_kind:     global_buffer
      - .actual_access:  read_only
        .address_space:  global
        .offset:         80
        .size:           8
        .value_kind:     global_buffer
      - .offset:         88
        .size:           4
        .value_kind:     by_value
      - .offset:         92
        .size:           4
        .value_kind:     by_value
      - .offset:         96
        .size:           4
        .value_kind:     by_value
      - .offset:         100
        .size:           4
        .value_kind:     by_value
      - .offset:         104
        .size:           4
        .value_kind:     by_value
      - .offset:         112
        .size:           8
        .value_kind:     by_value
      - .offset:         120
        .size:           8
        .value_kind:     by_value
      - .offset:         128
        .size:           8
        .value_kind:     by_value
    .group_segment_fixed_size: 49152
    .kernarg_segment_align: 8
    .kernarg_segment_size: 136
    .language:       OpenCL C
    .language_version:
      - 2
      - 0
    .max_flat_workgroup_size: 256
    .name:           _ZN12_GLOBAL__N_139chunk_gated_delta_rule_fwd_h_hip_kernelILi32ELb1ELb1ELb1ELb1ELb0ELb0ELb0ELb0EEEvPK12hip_bfloat16S3_S3_PKfS5_PKvPS1_S8_PvPKiSB_iiiiilll
    .private_segment_fixed_size: 0
    .sgpr_count:     74
    .sgpr_spill_count: 0
    .symbol:         _ZN12_GLOBAL__N_139chunk_gated_delta_rule_fwd_h_hip_kernelILi32ELb1ELb1ELb1ELb1ELb0ELb0ELb0ELb0EEEvPK12hip_bfloat16S3_S3_PKfS5_PKvPS1_S8_PvPKiSB_iiiiilll.kd
    .uniform_work_group_size: 1
    .uses_dynamic_stack: false
    .vgpr_count:     156
    .vgpr_spill_count: 0
    .wavefront_size: 64
  - .agpr_count:     16
    .args:
      - .actual_access:  read_only
        .address_space:  global
        .offset:         0
        .size:           8
        .value_kind:     global_buffer
      - .actual_access:  read_only
        .address_space:  global
        .offset:         8
        .size:           8
        .value_kind:     global_buffer
      - .actual_access:  read_only
        .address_space:  global
        .offset:         16
        .size:           8
        .value_kind:     global_buffer
      - .actual_access:  read_only
        .address_space:  global
        .offset:         24
        .size:           8
        .value_kind:     global_buffer
      - .actual_access:  read_only
        .address_space:  global
        .offset:         32
        .size:           8
        .value_kind:     global_buffer
      - .actual_access:  read_only
        .address_space:  global
        .offset:         40
        .size:           8
        .value_kind:     global_buffer
      - .actual_access:  write_only
        .address_space:  global
        .offset:         48
        .size:           8
        .value_kind:     global_buffer
      - .actual_access:  read_only
        .address_space:  global
        .offset:         56
        .size:           8
        .value_kind:     global_buffer
      - .actual_access:  write_only
        .address_space:  global
        .offset:         64
        .size:           8
        .value_kind:     global_buffer
      - .actual_access:  read_only
        .address_space:  global
        .offset:         72
        .size:           8
        .value_kind:     global_buffer
      - .actual_access:  read_only
        .address_space:  global
        .offset:         80
        .size:           8
        .value_kind:     global_buffer
      - .offset:         88
        .size:           4
        .value_kind:     by_value
      - .offset:         92
        .size:           4
        .value_kind:     by_value
      - .offset:         96
        .size:           4
        .value_kind:     by_value
      - .offset:         100
        .size:           4
        .value_kind:     by_value
      - .offset:         104
        .size:           4
        .value_kind:     by_value
      - .offset:         112
        .size:           8
        .value_kind:     by_value
      - .offset:         120
        .size:           8
        .value_kind:     by_value
      - .offset:         128
        .size:           8
        .value_kind:     by_value
    .group_segment_fixed_size: 49152
    .kernarg_segment_align: 8
    .kernarg_segment_size: 136
    .language:       OpenCL C
    .language_version:
      - 2
      - 0
    .max_flat_workgroup_size: 256
    .name:           _ZN12_GLOBAL__N_139chunk_gated_delta_rule_fwd_h_hip_kernelILi32ELb1ELb1ELb0ELb1ELb0ELb0ELb0ELb0EEEvPK12hip_bfloat16S3_S3_PKfS5_PKvPS1_S8_PvPKiSB_iiiiilll
    .private_segment_fixed_size: 0
    .sgpr_count:     70
    .sgpr_spill_count: 0
    .symbol:         _ZN12_GLOBAL__N_139chunk_gated_delta_rule_fwd_h_hip_kernelILi32ELb1ELb1ELb0ELb1ELb0ELb0ELb0ELb0EEEvPK12hip_bfloat16S3_S3_PKfS5_PKvPS1_S8_PvPKiSB_iiiiilll.kd
    .uniform_work_group_size: 1
    .uses_dynamic_stack: false
    .vgpr_count:     152
    .vgpr_spill_count: 0
    .wavefront_size: 64
  - .agpr_count:     20
    .args:
      - .actual_access:  read_only
        .address_space:  global
        .offset:         0
        .size:           8
        .value_kind:     global_buffer
      - .actual_access:  read_only
        .address_space:  global
        .offset:         8
        .size:           8
        .value_kind:     global_buffer
      - .actual_access:  read_only
        .address_space:  global
        .offset:         16
        .size:           8
        .value_kind:     global_buffer
      - .actual_access:  read_only
        .address_space:  global
        .offset:         24
        .size:           8
        .value_kind:     global_buffer
      - .actual_access:  read_only
        .address_space:  global
        .offset:         32
        .size:           8
        .value_kind:     global_buffer
      - .actual_access:  read_only
        .address_space:  global
        .offset:         40
        .size:           8
        .value_kind:     global_buffer
      - .actual_access:  write_only
        .address_space:  global
        .offset:         48
        .size:           8
        .value_kind:     global_buffer
      - .actual_access:  write_only
        .address_space:  global
        .offset:         56
        .size:           8
        .value_kind:     global_buffer
      - .actual_access:  read_only
        .address_space:  global
        .offset:         64
        .size:           8
        .value_kind:     global_buffer
      - .actual_access:  read_only
        .address_space:  global
        .offset:         72
        .size:           8
        .value_kind:     global_buffer
      - .actual_access:  read_only
        .address_space:  global
        .offset:         80
        .size:           8
        .value_kind:     global_buffer
      - .offset:         88
        .size:           4
        .value_kind:     by_value
      - .offset:         92
        .size:           4
        .value_kind:     by_value
      - .offset:         96
        .size:           4
        .value_kind:     by_value
      - .offset:         100
        .size:           4
        .value_kind:     by_value
      - .offset:         104
        .size:           4
        .value_kind:     by_value
      - .offset:         112
        .size:           8
        .value_kind:     by_value
      - .offset:         120
        .size:           8
        .value_kind:     by_value
      - .offset:         128
        .size:           8
        .value_kind:     by_value
    .group_segment_fixed_size: 49152
    .kernarg_segment_align: 8
    .kernarg_segment_size: 136
    .language:       OpenCL C
    .language_version:
      - 2
      - 0
    .max_flat_workgroup_size: 256
    .name:           _ZN12_GLOBAL__N_139chunk_gated_delta_rule_fwd_h_hip_kernelILi32ELb1ELb0ELb1ELb1ELb0ELb0ELb0ELb0EEEvPK12hip_bfloat16S3_S3_PKfS5_PKvPS1_S8_PvPKiSB_iiiiilll
    .private_segment_fixed_size: 0
    .sgpr_count:     70
    .sgpr_spill_count: 0
    .symbol:         _ZN12_GLOBAL__N_139chunk_gated_delta_rule_fwd_h_hip_kernelILi32ELb1ELb0ELb1ELb1ELb0ELb0ELb0ELb0EEEvPK12hip_bfloat16S3_S3_PKfS5_PKvPS1_S8_PvPKiSB_iiiiilll.kd
    .uniform_work_group_size: 1
    .uses_dynamic_stack: false
    .vgpr_count:     156
    .vgpr_spill_count: 0
    .wavefront_size: 64
  - .agpr_count:     20
    .args:
      - .actual_access:  read_only
        .address_space:  global
        .offset:         0
        .size:           8
        .value_kind:     global_buffer
      - .actual_access:  read_only
        .address_space:  global
        .offset:         8
        .size:           8
        .value_kind:     global_buffer
      - .actual_access:  read_only
        .address_space:  global
        .offset:         16
        .size:           8
        .value_kind:     global_buffer
      - .actual_access:  read_only
        .address_space:  global
        .offset:         24
        .size:           8
        .value_kind:     global_buffer
      - .actual_access:  read_only
        .address_space:  global
        .offset:         32
        .size:           8
        .value_kind:     global_buffer
      - .actual_access:  read_only
        .address_space:  global
        .offset:         40
        .size:           8
        .value_kind:     global_buffer
      - .actual_access:  write_only
        .address_space:  global
        .offset:         48
        .size:           8
        .value_kind:     global_buffer
      - .actual_access:  read_only
        .address_space:  global
        .offset:         56
        .size:           8
        .value_kind:     global_buffer
      - .actual_access:  read_only
        .address_space:  global
        .offset:         64
        .size:           8
        .value_kind:     global_buffer
      - .actual_access:  read_only
        .address_space:  global
        .offset:         72
        .size:           8
        .value_kind:     global_buffer
      - .actual_access:  read_only
        .address_space:  global
        .offset:         80
        .size:           8
        .value_kind:     global_buffer
      - .offset:         88
        .size:           4
        .value_kind:     by_value
      - .offset:         92
        .size:           4
        .value_kind:     by_value
      - .offset:         96
        .size:           4
        .value_kind:     by_value
      - .offset:         100
        .size:           4
        .value_kind:     by_value
      - .offset:         104
        .size:           4
        .value_kind:     by_value
      - .offset:         112
        .size:           8
        .value_kind:     by_value
      - .offset:         120
        .size:           8
        .value_kind:     by_value
      - .offset:         128
        .size:           8
        .value_kind:     by_value
    .group_segment_fixed_size: 49152
    .kernarg_segment_align: 8
    .kernarg_segment_size: 136
    .language:       OpenCL C
    .language_version:
      - 2
      - 0
    .max_flat_workgroup_size: 256
    .name:           _ZN12_GLOBAL__N_139chunk_gated_delta_rule_fwd_h_hip_kernelILi32ELb1ELb0ELb0ELb1ELb0ELb0ELb0ELb0EEEvPK12hip_bfloat16S3_S3_PKfS5_PKvPS1_S8_PvPKiSB_iiiiilll
    .private_segment_fixed_size: 0
    .sgpr_count:     66
    .sgpr_spill_count: 0
    .symbol:         _ZN12_GLOBAL__N_139chunk_gated_delta_rule_fwd_h_hip_kernelILi32ELb1ELb0ELb0ELb1ELb0ELb0ELb0ELb0EEEvPK12hip_bfloat16S3_S3_PKfS5_PKvPS1_S8_PvPKiSB_iiiiilll.kd
    .uniform_work_group_size: 1
    .uses_dynamic_stack: false
    .vgpr_count:     152
    .vgpr_spill_count: 0
    .wavefront_size: 64
  - .agpr_count:     16
    .args:
      - .actual_access:  read_only
        .address_space:  global
        .offset:         0
        .size:           8
        .value_kind:     global_buffer
      - .actual_access:  read_only
        .address_space:  global
        .offset:         8
        .size:           8
        .value_kind:     global_buffer
      - .actual_access:  read_only
        .address_space:  global
        .offset:         16
        .size:           8
        .value_kind:     global_buffer
      - .actual_access:  read_only
        .address_space:  global
        .offset:         24
        .size:           8
        .value_kind:     global_buffer
      - .actual_access:  read_only
        .address_space:  global
        .offset:         32
        .size:           8
        .value_kind:     global_buffer
      - .actual_access:  read_only
        .address_space:  global
        .offset:         40
        .size:           8
        .value_kind:     global_buffer
      - .actual_access:  write_only
        .address_space:  global
        .offset:         48
        .size:           8
        .value_kind:     global_buffer
      - .actual_access:  write_only
        .address_space:  global
        .offset:         56
        .size:           8
        .value_kind:     global_buffer
      - .actual_access:  write_only
        .address_space:  global
        .offset:         64
        .size:           8
        .value_kind:     global_buffer
      - .actual_access:  read_only
        .address_space:  global
        .offset:         72
        .size:           8
        .value_kind:     global_buffer
      - .actual_access:  read_only
        .address_space:  global
        .offset:         80
        .size:           8
        .value_kind:     global_buffer
      - .offset:         88
        .size:           4
        .value_kind:     by_value
      - .offset:         92
        .size:           4
        .value_kind:     by_value
      - .offset:         96
        .size:           4
        .value_kind:     by_value
      - .offset:         100
        .size:           4
        .value_kind:     by_value
      - .offset:         104
        .size:           4
        .value_kind:     by_value
      - .offset:         112
        .size:           8
        .value_kind:     by_value
      - .offset:         120
        .size:           8
        .value_kind:     by_value
      - .offset:         128
        .size:           8
        .value_kind:     by_value
    .group_segment_fixed_size: 49152
    .kernarg_segment_align: 8
    .kernarg_segment_size: 136
    .language:       OpenCL C
    .language_version:
      - 2
      - 0
    .max_flat_workgroup_size: 256
    .name:           _ZN12_GLOBAL__N_139chunk_gated_delta_rule_fwd_h_hip_kernelILi32ELb0ELb1ELb1ELb1ELb0ELb0ELb0ELb0EEEvPK12hip_bfloat16S3_S3_PKfS5_PKvPS1_S8_PvPKiSB_iiiiilll
    .private_segment_fixed_size: 0
    .sgpr_count:     74
    .sgpr_spill_count: 0
    .symbol:         _ZN12_GLOBAL__N_139chunk_gated_delta_rule_fwd_h_hip_kernelILi32ELb0ELb1ELb1ELb1ELb0ELb0ELb0ELb0EEEvPK12hip_bfloat16S3_S3_PKfS5_PKvPS1_S8_PvPKiSB_iiiiilll.kd
    .uniform_work_group_size: 1
    .uses_dynamic_stack: false
    .vgpr_count:     152
    .vgpr_spill_count: 0
    .wavefront_size: 64
  - .agpr_count:     16
    .args:
      - .actual_access:  read_only
        .address_space:  global
        .offset:         0
        .size:           8
        .value_kind:     global_buffer
      - .actual_access:  read_only
        .address_space:  global
        .offset:         8
        .size:           8
        .value_kind:     global_buffer
      - .actual_access:  read_only
        .address_space:  global
        .offset:         16
        .size:           8
        .value_kind:     global_buffer
      - .actual_access:  read_only
        .address_space:  global
        .offset:         24
        .size:           8
        .value_kind:     global_buffer
      - .actual_access:  read_only
        .address_space:  global
        .offset:         32
        .size:           8
        .value_kind:     global_buffer
      - .actual_access:  read_only
        .address_space:  global
        .offset:         40
        .size:           8
        .value_kind:     global_buffer
      - .actual_access:  write_only
        .address_space:  global
        .offset:         48
        .size:           8
        .value_kind:     global_buffer
      - .actual_access:  read_only
        .address_space:  global
        .offset:         56
        .size:           8
        .value_kind:     global_buffer
      - .actual_access:  write_only
        .address_space:  global
        .offset:         64
        .size:           8
        .value_kind:     global_buffer
      - .actual_access:  read_only
        .address_space:  global
        .offset:         72
        .size:           8
        .value_kind:     global_buffer
      - .actual_access:  read_only
        .address_space:  global
        .offset:         80
        .size:           8
        .value_kind:     global_buffer
      - .offset:         88
        .size:           4
        .value_kind:     by_value
      - .offset:         92
        .size:           4
        .value_kind:     by_value
      - .offset:         96
        .size:           4
        .value_kind:     by_value
      - .offset:         100
        .size:           4
        .value_kind:     by_value
      - .offset:         104
        .size:           4
        .value_kind:     by_value
      - .offset:         112
        .size:           8
        .value_kind:     by_value
      - .offset:         120
        .size:           8
        .value_kind:     by_value
      - .offset:         128
        .size:           8
        .value_kind:     by_value
    .group_segment_fixed_size: 49152
    .kernarg_segment_align: 8
    .kernarg_segment_size: 136
    .language:       OpenCL C
    .language_version:
      - 2
      - 0
    .max_flat_workgroup_size: 256
    .name:           _ZN12_GLOBAL__N_139chunk_gated_delta_rule_fwd_h_hip_kernelILi32ELb0ELb1ELb0ELb1ELb0ELb0ELb0ELb0EEEvPK12hip_bfloat16S3_S3_PKfS5_PKvPS1_S8_PvPKiSB_iiiiilll
    .private_segment_fixed_size: 0
    .sgpr_count:     70
    .sgpr_spill_count: 0
    .symbol:         _ZN12_GLOBAL__N_139chunk_gated_delta_rule_fwd_h_hip_kernelILi32ELb0ELb1ELb0ELb1ELb0ELb0ELb0ELb0EEEvPK12hip_bfloat16S3_S3_PKfS5_PKvPS1_S8_PvPKiSB_iiiiilll.kd
    .uniform_work_group_size: 1
    .uses_dynamic_stack: false
    .vgpr_count:     148
    .vgpr_spill_count: 0
    .wavefront_size: 64
  - .agpr_count:     20
    .args:
      - .actual_access:  read_only
        .address_space:  global
        .offset:         0
        .size:           8
        .value_kind:     global_buffer
      - .actual_access:  read_only
        .address_space:  global
        .offset:         8
        .size:           8
        .value_kind:     global_buffer
      - .actual_access:  read_only
        .address_space:  global
        .offset:         16
        .size:           8
        .value_kind:     global_buffer
      - .actual_access:  read_only
        .address_space:  global
        .offset:         24
        .size:           8
        .value_kind:     global_buffer
      - .actual_access:  read_only
        .address_space:  global
        .offset:         32
        .size:           8
        .value_kind:     global_buffer
      - .actual_access:  read_only
        .address_space:  global
        .offset:         40
        .size:           8
        .value_kind:     global_buffer
      - .actual_access:  write_only
        .address_space:  global
        .offset:         48
        .size:           8
        .value_kind:     global_buffer
      - .actual_access:  write_only
        .address_space:  global
        .offset:         56
        .size:           8
        .value_kind:     global_buffer
      - .actual_access:  read_only
        .address_space:  global
        .offset:         64
        .size:           8
        .value_kind:     global_buffer
      - .actual_access:  read_only
        .address_space:  global
        .offset:         72
        .size:           8
        .value_kind:     global_buffer
      - .actual_access:  read_only
        .address_space:  global
        .offset:         80
        .size:           8
        .value_kind:     global_buffer
      - .offset:         88
        .size:           4
        .value_kind:     by_value
      - .offset:         92
        .size:           4
        .value_kind:     by_value
      - .offset:         96
        .size:           4
        .value_kind:     by_value
      - .offset:         100
        .size:           4
        .value_kind:     by_value
      - .offset:         104
        .size:           4
        .value_kind:     by_value
      - .offset:         112
        .size:           8
        .value_kind:     by_value
      - .offset:         120
        .size:           8
        .value_kind:     by_value
      - .offset:         128
        .size:           8
        .value_kind:     by_value
    .group_segment_fixed_size: 49152
    .kernarg_segment_align: 8
    .kernarg_segment_size: 136
    .language:       OpenCL C
    .language_version:
      - 2
      - 0
    .max_flat_workgroup_size: 256
    .name:           _ZN12_GLOBAL__N_139chunk_gated_delta_rule_fwd_h_hip_kernelILi32ELb0ELb0ELb1ELb1ELb0ELb0ELb0ELb0EEEvPK12hip_bfloat16S3_S3_PKfS5_PKvPS1_S8_PvPKiSB_iiiiilll
    .private_segment_fixed_size: 0
    .sgpr_count:     68
    .sgpr_spill_count: 0
    .symbol:         _ZN12_GLOBAL__N_139chunk_gated_delta_rule_fwd_h_hip_kernelILi32ELb0ELb0ELb1ELb1ELb0ELb0ELb0ELb0EEEvPK12hip_bfloat16S3_S3_PKfS5_PKvPS1_S8_PvPKiSB_iiiiilll.kd
    .uniform_work_group_size: 1
    .uses_dynamic_stack: false
    .vgpr_count:     156
    .vgpr_spill_count: 0
    .wavefront_size: 64
  - .agpr_count:     20
    .args:
      - .actual_access:  read_only
        .address_space:  global
        .offset:         0
        .size:           8
        .value_kind:     global_buffer
      - .actual_access:  read_only
        .address_space:  global
        .offset:         8
        .size:           8
        .value_kind:     global_buffer
      - .actual_access:  read_only
        .address_space:  global
        .offset:         16
        .size:           8
        .value_kind:     global_buffer
      - .actual_access:  read_only
        .address_space:  global
        .offset:         24
        .size:           8
        .value_kind:     global_buffer
      - .actual_access:  read_only
        .address_space:  global
        .offset:         32
        .size:           8
        .value_kind:     global_buffer
      - .actual_access:  read_only
        .address_space:  global
        .offset:         40
        .size:           8
        .value_kind:     global_buffer
      - .actual_access:  write_only
        .address_space:  global
        .offset:         48
        .size:           8
        .value_kind:     global_buffer
      - .actual_access:  read_only
        .address_space:  global
        .offset:         56
        .size:           8
        .value_kind:     global_buffer
      - .actual_access:  read_only
        .address_space:  global
        .offset:         64
        .size:           8
        .value_kind:     global_buffer
      - .actual_access:  read_only
        .address_space:  global
        .offset:         72
        .size:           8
        .value_kind:     global_buffer
      - .actual_access:  read_only
        .address_space:  global
        .offset:         80
        .size:           8
        .value_kind:     global_buffer
      - .offset:         88
        .size:           4
        .value_kind:     by_value
      - .offset:         92
        .size:           4
        .value_kind:     by_value
      - .offset:         96
        .size:           4
        .value_kind:     by_value
      - .offset:         100
        .size:           4
        .value_kind:     by_value
      - .offset:         104
        .size:           4
        .value_kind:     by_value
      - .offset:         112
        .size:           8
        .value_kind:     by_value
      - .offset:         120
        .size:           8
        .value_kind:     by_value
      - .offset:         128
        .size:           8
        .value_kind:     by_value
    .group_segment_fixed_size: 49152
    .kernarg_segment_align: 8
    .kernarg_segment_size: 136
    .language:       OpenCL C
    .language_version:
      - 2
      - 0
    .max_flat_workgroup_size: 256
    .name:           _ZN12_GLOBAL__N_139chunk_gated_delta_rule_fwd_h_hip_kernelILi32ELb0ELb0ELb0ELb1ELb0ELb0ELb0ELb0EEEvPK12hip_bfloat16S3_S3_PKfS5_PKvPS1_S8_PvPKiSB_iiiiilll
    .private_segment_fixed_size: 0
    .sgpr_count:     65
    .sgpr_spill_count: 0
    .symbol:         _ZN12_GLOBAL__N_139chunk_gated_delta_rule_fwd_h_hip_kernelILi32ELb0ELb0ELb0ELb1ELb0ELb0ELb0ELb0EEEvPK12hip_bfloat16S3_S3_PKfS5_PKvPS1_S8_PvPKiSB_iiiiilll.kd
    .uniform_work_group_size: 1
    .uses_dynamic_stack: false
    .vgpr_count:     152
    .vgpr_spill_count: 0
    .wavefront_size: 64
  - .agpr_count:     16
    .args:
      - .actual_access:  read_only
        .address_space:  global
        .offset:         0
        .size:           8
        .value_kind:     global_buffer
      - .actual_access:  read_only
        .address_space:  global
        .offset:         8
        .size:           8
        .value_kind:     global_buffer
      - .actual_access:  read_only
        .address_space:  global
        .offset:         16
        .size:           8
        .value_kind:     global_buffer
      - .actual_access:  read_only
        .address_space:  global
        .offset:         24
        .size:           8
        .value_kind:     global_buffer
      - .actual_access:  read_only
        .address_space:  global
        .offset:         32
        .size:           8
        .value_kind:     global_buffer
      - .actual_access:  read_only
        .address_space:  global
        .offset:         40
        .size:           8
        .value_kind:     global_buffer
      - .actual_access:  write_only
        .address_space:  global
        .offset:         48
        .size:           8
        .value_kind:     global_buffer
      - .actual_access:  write_only
        .address_space:  global
        .offset:         56
        .size:           8
        .value_kind:     global_buffer
      - .actual_access:  write_only
        .address_space:  global
        .offset:         64
        .size:           8
        .value_kind:     global_buffer
      - .actual_access:  read_only
        .address_space:  global
        .offset:         72
        .size:           8
        .value_kind:     global_buffer
      - .actual_access:  read_only
        .address_space:  global
        .offset:         80
        .size:           8
        .value_kind:     global_buffer
      - .offset:         88
        .size:           4
        .value_kind:     by_value
      - .offset:         92
        .size:           4
        .value_kind:     by_value
      - .offset:         96
        .size:           4
        .value_kind:     by_value
      - .offset:         100
        .size:           4
        .value_kind:     by_value
      - .offset:         104
        .size:           4
        .value_kind:     by_value
      - .offset:         112
        .size:           8
        .value_kind:     by_value
      - .offset:         120
        .size:           8
        .value_kind:     by_value
      - .offset:         128
        .size:           8
        .value_kind:     by_value
    .group_segment_fixed_size: 49152
    .kernarg_segment_align: 8
    .kernarg_segment_size: 136
    .language:       OpenCL C
    .language_version:
      - 2
      - 0
    .max_flat_workgroup_size: 256
    .name:           _ZN12_GLOBAL__N_139chunk_gated_delta_rule_fwd_h_hip_kernelILi32ELb1ELb1ELb1ELb0ELb0ELb0ELb0ELb0EEEvPK12hip_bfloat16S3_S3_PKfS5_PKvPS1_S8_PvPKiSB_iiiiilll
    .private_segment_fixed_size: 0
    .sgpr_count:     80
    .sgpr_spill_count: 0
    .symbol:         _ZN12_GLOBAL__N_139chunk_gated_delta_rule_fwd_h_hip_kernelILi32ELb1ELb1ELb1ELb0ELb0ELb0ELb0ELb0EEEvPK12hip_bfloat16S3_S3_PKfS5_PKvPS1_S8_PvPKiSB_iiiiilll.kd
    .uniform_work_group_size: 1
    .uses_dynamic_stack: false
    .vgpr_count:     156
    .vgpr_spill_count: 0
    .wavefront_size: 64
  - .agpr_count:     16
    .args:
      - .actual_access:  read_only
        .address_space:  global
        .offset:         0
        .size:           8
        .value_kind:     global_buffer
      - .actual_access:  read_only
        .address_space:  global
        .offset:         8
        .size:           8
        .value_kind:     global_buffer
      - .actual_access:  read_only
        .address_space:  global
        .offset:         16
        .size:           8
        .value_kind:     global_buffer
      - .actual_access:  read_only
        .address_space:  global
        .offset:         24
        .size:           8
        .value_kind:     global_buffer
      - .actual_access:  read_only
        .address_space:  global
        .offset:         32
        .size:           8
        .value_kind:     global_buffer
      - .actual_access:  read_only
        .address_space:  global
        .offset:         40
        .size:           8
        .value_kind:     global_buffer
      - .actual_access:  write_only
        .address_space:  global
        .offset:         48
        .size:           8
        .value_kind:     global_buffer
      - .actual_access:  read_only
        .address_space:  global
        .offset:         56
        .size:           8
        .value_kind:     global_buffer
      - .actual_access:  write_only
        .address_space:  global
        .offset:         64
        .size:           8
        .value_kind:     global_buffer
      - .actual_access:  read_only
        .address_space:  global
        .offset:         72
        .size:           8
        .value_kind:     global_buffer
      - .actual_access:  read_only
        .address_space:  global
        .offset:         80
        .size:           8
        .value_kind:     global_buffer
      - .offset:         88
        .size:           4
        .value_kind:     by_value
      - .offset:         92
        .size:           4
        .value_kind:     by_value
      - .offset:         96
        .size:           4
        .value_kind:     by_value
      - .offset:         100
        .size:           4
        .value_kind:     by_value
      - .offset:         104
        .size:           4
        .value_kind:     by_value
      - .offset:         112
        .size:           8
        .value_kind:     by_value
      - .offset:         120
        .size:           8
        .value_kind:     by_value
      - .offset:         128
        .size:           8
        .value_kind:     by_value
    .group_segment_fixed_size: 49152
    .kernarg_segment_align: 8
    .kernarg_segment_size: 136
    .language:       OpenCL C
    .language_version:
      - 2
      - 0
    .max_flat_workgroup_size: 256
    .name:           _ZN12_GLOBAL__N_139chunk_gated_delta_rule_fwd_h_hip_kernelILi32ELb1ELb1ELb0ELb0ELb0ELb0ELb0ELb0EEEvPK12hip_bfloat16S3_S3_PKfS5_PKvPS1_S8_PvPKiSB_iiiiilll
    .private_segment_fixed_size: 0
    .sgpr_count:     75
    .sgpr_spill_count: 0
    .symbol:         _ZN12_GLOBAL__N_139chunk_gated_delta_rule_fwd_h_hip_kernelILi32ELb1ELb1ELb0ELb0ELb0ELb0ELb0ELb0EEEvPK12hip_bfloat16S3_S3_PKfS5_PKvPS1_S8_PvPKiSB_iiiiilll.kd
    .uniform_work_group_size: 1
    .uses_dynamic_stack: false
    .vgpr_count:     152
    .vgpr_spill_count: 0
    .wavefront_size: 64
  - .agpr_count:     20
    .args:
      - .actual_access:  read_only
        .address_space:  global
        .offset:         0
        .size:           8
        .value_kind:     global_buffer
      - .actual_access:  read_only
        .address_space:  global
        .offset:         8
        .size:           8
        .value_kind:     global_buffer
      - .actual_access:  read_only
        .address_space:  global
        .offset:         16
        .size:           8
        .value_kind:     global_buffer
      - .actual_access:  read_only
        .address_space:  global
        .offset:         24
        .size:           8
        .value_kind:     global_buffer
      - .actual_access:  read_only
        .address_space:  global
        .offset:         32
        .size:           8
        .value_kind:     global_buffer
      - .actual_access:  read_only
        .address_space:  global
        .offset:         40
        .size:           8
        .value_kind:     global_buffer
      - .actual_access:  write_only
        .address_space:  global
        .offset:         48
        .size:           8
        .value_kind:     global_buffer
      - .actual_access:  write_only
        .address_space:  global
        .offset:         56
        .size:           8
        .value_kind:     global_buffer
      - .actual_access:  read_only
        .address_space:  global
        .offset:         64
        .size:           8
        .value_kind:     global_buffer
      - .actual_access:  read_only
        .address_space:  global
        .offset:         72
        .size:           8
        .value_kind:     global_buffer
      - .actual_access:  read_only
        .address_space:  global
        .offset:         80
        .size:           8
        .value_kind:     global_buffer
      - .offset:         88
        .size:           4
        .value_kind:     by_value
      - .offset:         92
        .size:           4
        .value_kind:     by_value
      - .offset:         96
        .size:           4
        .value_kind:     by_value
      - .offset:         100
        .size:           4
        .value_kind:     by_value
      - .offset:         104
        .size:           4
        .value_kind:     by_value
      - .offset:         112
        .size:           8
        .value_kind:     by_value
      - .offset:         120
        .size:           8
        .value_kind:     by_value
      - .offset:         128
        .size:           8
        .value_kind:     by_value
    .group_segment_fixed_size: 49152
    .kernarg_segment_align: 8
    .kernarg_segment_size: 136
    .language:       OpenCL C
    .language_version:
      - 2
      - 0
    .max_flat_workgroup_size: 256
    .name:           _ZN12_GLOBAL__N_139chunk_gated_delta_rule_fwd_h_hip_kernelILi32ELb1ELb0ELb1ELb0ELb0ELb0ELb0ELb0EEEvPK12hip_bfloat16S3_S3_PKfS5_PKvPS1_S8_PvPKiSB_iiiiilll
    .private_segment_fixed_size: 0
    .sgpr_count:     76
    .sgpr_spill_count: 0
    .symbol:         _ZN12_GLOBAL__N_139chunk_gated_delta_rule_fwd_h_hip_kernelILi32ELb1ELb0ELb1ELb0ELb0ELb0ELb0ELb0EEEvPK12hip_bfloat16S3_S3_PKfS5_PKvPS1_S8_PvPKiSB_iiiiilll.kd
    .uniform_work_group_size: 1
    .uses_dynamic_stack: false
    .vgpr_count:     156
    .vgpr_spill_count: 0
    .wavefront_size: 64
  - .agpr_count:     20
    .args:
      - .actual_access:  read_only
        .address_space:  global
        .offset:         0
        .size:           8
        .value_kind:     global_buffer
      - .actual_access:  read_only
        .address_space:  global
        .offset:         8
        .size:           8
        .value_kind:     global_buffer
      - .actual_access:  read_only
        .address_space:  global
        .offset:         16
        .size:           8
        .value_kind:     global_buffer
      - .actual_access:  read_only
        .address_space:  global
        .offset:         24
        .size:           8
        .value_kind:     global_buffer
      - .actual_access:  read_only
        .address_space:  global
        .offset:         32
        .size:           8
        .value_kind:     global_buffer
      - .actual_access:  read_only
        .address_space:  global
        .offset:         40
        .size:           8
        .value_kind:     global_buffer
      - .actual_access:  write_only
        .address_space:  global
        .offset:         48
        .size:           8
        .value_kind:     global_buffer
      - .actual_access:  read_only
        .address_space:  global
        .offset:         56
        .size:           8
        .value_kind:     global_buffer
      - .actual_access:  read_only
        .address_space:  global
        .offset:         64
        .size:           8
        .value_kind:     global_buffer
      - .actual_access:  read_only
        .address_space:  global
        .offset:         72
        .size:           8
        .value_kind:     global_buffer
      - .actual_access:  read_only
        .address_space:  global
        .offset:         80
        .size:           8
        .value_kind:     global_buffer
      - .offset:         88
        .size:           4
        .value_kind:     by_value
      - .offset:         92
        .size:           4
        .value_kind:     by_value
      - .offset:         96
        .size:           4
        .value_kind:     by_value
      - .offset:         100
        .size:           4
        .value_kind:     by_value
      - .offset:         104
        .size:           4
        .value_kind:     by_value
      - .offset:         112
        .size:           8
        .value_kind:     by_value
      - .offset:         120
        .size:           8
        .value_kind:     by_value
      - .offset:         128
        .size:           8
        .value_kind:     by_value
    .group_segment_fixed_size: 49152
    .kernarg_segment_align: 8
    .kernarg_segment_size: 136
    .language:       OpenCL C
    .language_version:
      - 2
      - 0
    .max_flat_workgroup_size: 256
    .name:           _ZN12_GLOBAL__N_139chunk_gated_delta_rule_fwd_h_hip_kernelILi32ELb1ELb0ELb0ELb0ELb0ELb0ELb0ELb0EEEvPK12hip_bfloat16S3_S3_PKfS5_PKvPS1_S8_PvPKiSB_iiiiilll
    .private_segment_fixed_size: 0
    .sgpr_count:     71
    .sgpr_spill_count: 0
    .symbol:         _ZN12_GLOBAL__N_139chunk_gated_delta_rule_fwd_h_hip_kernelILi32ELb1ELb0ELb0ELb0ELb0ELb0ELb0ELb0EEEvPK12hip_bfloat16S3_S3_PKfS5_PKvPS1_S8_PvPKiSB_iiiiilll.kd
    .uniform_work_group_size: 1
    .uses_dynamic_stack: false
    .vgpr_count:     152
    .vgpr_spill_count: 0
    .wavefront_size: 64
  - .agpr_count:     16
    .args:
      - .actual_access:  read_only
        .address_space:  global
        .offset:         0
        .size:           8
        .value_kind:     global_buffer
      - .actual_access:  read_only
        .address_space:  global
        .offset:         8
        .size:           8
        .value_kind:     global_buffer
      - .actual_access:  read_only
        .address_space:  global
        .offset:         16
        .size:           8
        .value_kind:     global_buffer
      - .actual_access:  read_only
        .address_space:  global
        .offset:         24
        .size:           8
        .value_kind:     global_buffer
      - .actual_access:  read_only
        .address_space:  global
        .offset:         32
        .size:           8
        .value_kind:     global_buffer
      - .actual_access:  read_only
        .address_space:  global
        .offset:         40
        .size:           8
        .value_kind:     global_buffer
      - .actual_access:  write_only
        .address_space:  global
        .offset:         48
        .size:           8
        .value_kind:     global_buffer
      - .actual_access:  write_only
        .address_space:  global
        .offset:         56
        .size:           8
        .value_kind:     global_buffer
      - .actual_access:  write_only
        .address_space:  global
        .offset:         64
        .size:           8
        .value_kind:     global_buffer
      - .actual_access:  read_only
        .address_space:  global
        .offset:         72
        .size:           8
        .value_kind:     global_buffer
      - .actual_access:  read_only
        .address_space:  global
        .offset:         80
        .size:           8
        .value_kind:     global_buffer
      - .offset:         88
        .size:           4
        .value_kind:     by_value
      - .offset:         92
        .size:           4
        .value_kind:     by_value
      - .offset:         96
        .size:           4
        .value_kind:     by_value
      - .offset:         100
        .size:           4
        .value_kind:     by_value
      - .offset:         104
        .size:           4
        .value_kind:     by_value
      - .offset:         112
        .size:           8
        .value_kind:     by_value
      - .offset:         120
        .size:           8
        .value_kind:     by_value
      - .offset:         128
        .size:           8
        .value_kind:     by_value
    .group_segment_fixed_size: 49152
    .kernarg_segment_align: 8
    .kernarg_segment_size: 136
    .language:       OpenCL C
    .language_version:
      - 2
      - 0
    .max_flat_workgroup_size: 256
    .name:           _ZN12_GLOBAL__N_139chunk_gated_delta_rule_fwd_h_hip_kernelILi32ELb0ELb1ELb1ELb0ELb0ELb0ELb0ELb0EEEvPK12hip_bfloat16S3_S3_PKfS5_PKvPS1_S8_PvPKiSB_iiiiilll
    .private_segment_fixed_size: 0
    .sgpr_count:     74
    .sgpr_spill_count: 0
    .symbol:         _ZN12_GLOBAL__N_139chunk_gated_delta_rule_fwd_h_hip_kernelILi32ELb0ELb1ELb1ELb0ELb0ELb0ELb0ELb0EEEvPK12hip_bfloat16S3_S3_PKfS5_PKvPS1_S8_PvPKiSB_iiiiilll.kd
    .uniform_work_group_size: 1
    .uses_dynamic_stack: false
    .vgpr_count:     152
    .vgpr_spill_count: 0
    .wavefront_size: 64
  - .agpr_count:     16
    .args:
      - .actual_access:  read_only
        .address_space:  global
        .offset:         0
        .size:           8
        .value_kind:     global_buffer
      - .actual_access:  read_only
        .address_space:  global
        .offset:         8
        .size:           8
        .value_kind:     global_buffer
      - .actual_access:  read_only
        .address_space:  global
        .offset:         16
        .size:           8
        .value_kind:     global_buffer
      - .actual_access:  read_only
        .address_space:  global
        .offset:         24
        .size:           8
        .value_kind:     global_buffer
      - .actual_access:  read_only
        .address_space:  global
        .offset:         32
        .size:           8
        .value_kind:     global_buffer
      - .actual_access:  read_only
        .address_space:  global
        .offset:         40
        .size:           8
        .value_kind:     global_buffer
      - .actual_access:  write_only
        .address_space:  global
        .offset:         48
        .size:           8
        .value_kind:     global_buffer
      - .actual_access:  read_only
        .address_space:  global
        .offset:         56
        .size:           8
        .value_kind:     global_buffer
      - .actual_access:  write_only
        .address_space:  global
        .offset:         64
        .size:           8
        .value_kind:     global_buffer
      - .actual_access:  read_only
        .address_space:  global
        .offset:         72
        .size:           8
        .value_kind:     global_buffer
      - .actual_access:  read_only
        .address_space:  global
        .offset:         80
        .size:           8
        .value_kind:     global_buffer
      - .offset:         88
        .size:           4
        .value_kind:     by_value
      - .offset:         92
        .size:           4
        .value_kind:     by_value
      - .offset:         96
        .size:           4
        .value_kind:     by_value
      - .offset:         100
        .size:           4
        .value_kind:     by_value
      - .offset:         104
        .size:           4
        .value_kind:     by_value
      - .offset:         112
        .size:           8
        .value_kind:     by_value
      - .offset:         120
        .size:           8
        .value_kind:     by_value
      - .offset:         128
        .size:           8
        .value_kind:     by_value
    .group_segment_fixed_size: 49152
    .kernarg_segment_align: 8
    .kernarg_segment_size: 136
    .language:       OpenCL C
    .language_version:
      - 2
      - 0
    .max_flat_workgroup_size: 256
    .name:           _ZN12_GLOBAL__N_139chunk_gated_delta_rule_fwd_h_hip_kernelILi32ELb0ELb1ELb0ELb0ELb0ELb0ELb0ELb0EEEvPK12hip_bfloat16S3_S3_PKfS5_PKvPS1_S8_PvPKiSB_iiiiilll
    .private_segment_fixed_size: 0
    .sgpr_count:     70
    .sgpr_spill_count: 0
    .symbol:         _ZN12_GLOBAL__N_139chunk_gated_delta_rule_fwd_h_hip_kernelILi32ELb0ELb1ELb0ELb0ELb0ELb0ELb0ELb0EEEvPK12hip_bfloat16S3_S3_PKfS5_PKvPS1_S8_PvPKiSB_iiiiilll.kd
    .uniform_work_group_size: 1
    .uses_dynamic_stack: false
    .vgpr_count:     148
    .vgpr_spill_count: 0
    .wavefront_size: 64
  - .agpr_count:     20
    .args:
      - .actual_access:  read_only
        .address_space:  global
        .offset:         0
        .size:           8
        .value_kind:     global_buffer
      - .actual_access:  read_only
        .address_space:  global
        .offset:         8
        .size:           8
        .value_kind:     global_buffer
      - .actual_access:  read_only
        .address_space:  global
        .offset:         16
        .size:           8
        .value_kind:     global_buffer
      - .actual_access:  read_only
        .address_space:  global
        .offset:         24
        .size:           8
        .value_kind:     global_buffer
      - .actual_access:  read_only
        .address_space:  global
        .offset:         32
        .size:           8
        .value_kind:     global_buffer
      - .actual_access:  read_only
        .address_space:  global
        .offset:         40
        .size:           8
        .value_kind:     global_buffer
      - .actual_access:  write_only
        .address_space:  global
        .offset:         48
        .size:           8
        .value_kind:     global_buffer
      - .actual_access:  write_only
        .address_space:  global
        .offset:         56
        .size:           8
        .value_kind:     global_buffer
      - .actual_access:  read_only
        .address_space:  global
        .offset:         64
        .size:           8
        .value_kind:     global_buffer
      - .actual_access:  read_only
        .address_space:  global
        .offset:         72
        .size:           8
        .value_kind:     global_buffer
      - .actual_access:  read_only
        .address_space:  global
        .offset:         80
        .size:           8
        .value_kind:     global_buffer
      - .offset:         88
        .size:           4
        .value_kind:     by_value
      - .offset:         92
        .size:           4
        .value_kind:     by_value
      - .offset:         96
        .size:           4
        .value_kind:     by_value
      - .offset:         100
        .size:           4
        .value_kind:     by_value
      - .offset:         104
        .size:           4
        .value_kind:     by_value
      - .offset:         112
        .size:           8
        .value_kind:     by_value
      - .offset:         120
        .size:           8
        .value_kind:     by_value
      - .offset:         128
        .size:           8
        .value_kind:     by_value
    .group_segment_fixed_size: 49152
    .kernarg_segment_align: 8
    .kernarg_segment_size: 136
    .language:       OpenCL C
    .language_version:
      - 2
      - 0
    .max_flat_workgroup_size: 256
    .name:           _ZN12_GLOBAL__N_139chunk_gated_delta_rule_fwd_h_hip_kernelILi32ELb0ELb0ELb1ELb0ELb0ELb0ELb0ELb0EEEvPK12hip_bfloat16S3_S3_PKfS5_PKvPS1_S8_PvPKiSB_iiiiilll
    .private_segment_fixed_size: 0
    .sgpr_count:     72
    .sgpr_spill_count: 0
    .symbol:         _ZN12_GLOBAL__N_139chunk_gated_delta_rule_fwd_h_hip_kernelILi32ELb0ELb0ELb1ELb0ELb0ELb0ELb0ELb0EEEvPK12hip_bfloat16S3_S3_PKfS5_PKvPS1_S8_PvPKiSB_iiiiilll.kd
    .uniform_work_group_size: 1
    .uses_dynamic_stack: false
    .vgpr_count:     156
    .vgpr_spill_count: 0
    .wavefront_size: 64
  - .agpr_count:     20
    .args:
      - .actual_access:  read_only
        .address_space:  global
        .offset:         0
        .size:           8
        .value_kind:     global_buffer
      - .actual_access:  read_only
        .address_space:  global
        .offset:         8
        .size:           8
        .value_kind:     global_buffer
      - .actual_access:  read_only
        .address_space:  global
        .offset:         16
        .size:           8
        .value_kind:     global_buffer
      - .actual_access:  read_only
        .address_space:  global
        .offset:         24
        .size:           8
        .value_kind:     global_buffer
      - .actual_access:  read_only
        .address_space:  global
        .offset:         32
        .size:           8
        .value_kind:     global_buffer
      - .actual_access:  read_only
        .address_space:  global
        .offset:         40
        .size:           8
        .value_kind:     global_buffer
      - .actual_access:  write_only
        .address_space:  global
        .offset:         48
        .size:           8
        .value_kind:     global_buffer
      - .actual_access:  read_only
        .address_space:  global
        .offset:         56
        .size:           8
        .value_kind:     global_buffer
      - .actual_access:  read_only
        .address_space:  global
        .offset:         64
        .size:           8
        .value_kind:     global_buffer
      - .actual_access:  read_only
        .address_space:  global
        .offset:         72
        .size:           8
        .value_kind:     global_buffer
      - .actual_access:  read_only
        .address_space:  global
        .offset:         80
        .size:           8
        .value_kind:     global_buffer
      - .offset:         88
        .size:           4
        .value_kind:     by_value
      - .offset:         92
        .size:           4
        .value_kind:     by_value
      - .offset:         96
        .size:           4
        .value_kind:     by_value
      - .offset:         100
        .size:           4
        .value_kind:     by_value
      - .offset:         104
        .size:           4
        .value_kind:     by_value
      - .offset:         112
        .size:           8
        .value_kind:     by_value
      - .offset:         120
        .size:           8
        .value_kind:     by_value
      - .offset:         128
        .size:           8
        .value_kind:     by_value
    .group_segment_fixed_size: 49152
    .kernarg_segment_align: 8
    .kernarg_segment_size: 136
    .language:       OpenCL C
    .language_version:
      - 2
      - 0
    .max_flat_workgroup_size: 256
    .name:           _ZN12_GLOBAL__N_139chunk_gated_delta_rule_fwd_h_hip_kernelILi32ELb0ELb0ELb0ELb0ELb0ELb0ELb0ELb0EEEvPK12hip_bfloat16S3_S3_PKfS5_PKvPS1_S8_PvPKiSB_iiiiilll
    .private_segment_fixed_size: 0
    .sgpr_count:     68
    .sgpr_spill_count: 0
    .symbol:         _ZN12_GLOBAL__N_139chunk_gated_delta_rule_fwd_h_hip_kernelILi32ELb0ELb0ELb0ELb0ELb0ELb0ELb0ELb0EEEvPK12hip_bfloat16S3_S3_PKfS5_PKvPS1_S8_PvPKiSB_iiiiilll.kd
    .uniform_work_group_size: 1
    .uses_dynamic_stack: false
    .vgpr_count:     152
    .vgpr_spill_count: 0
    .wavefront_size: 64
  - .agpr_count:     12
    .args:
      - .actual_access:  read_only
        .address_space:  global
        .offset:         0
        .size:           8
        .value_kind:     global_buffer
      - .actual_access:  read_only
        .address_space:  global
        .offset:         8
        .size:           8
        .value_kind:     global_buffer
      - .actual_access:  read_only
        .address_space:  global
        .offset:         16
        .size:           8
        .value_kind:     global_buffer
      - .actual_access:  read_only
        .address_space:  global
        .offset:         24
        .size:           8
        .value_kind:     global_buffer
      - .actual_access:  read_only
        .address_space:  global
        .offset:         32
        .size:           8
        .value_kind:     global_buffer
      - .actual_access:  read_only
        .address_space:  global
        .offset:         40
        .size:           8
        .value_kind:     global_buffer
      - .actual_access:  write_only
        .address_space:  global
        .offset:         48
        .size:           8
        .value_kind:     global_buffer
      - .actual_access:  write_only
        .address_space:  global
        .offset:         56
        .size:           8
        .value_kind:     global_buffer
      - .actual_access:  write_only
        .address_space:  global
        .offset:         64
        .size:           8
        .value_kind:     global_buffer
      - .actual_access:  read_only
        .address_space:  global
        .offset:         72
        .size:           8
        .value_kind:     global_buffer
      - .actual_access:  read_only
        .address_space:  global
        .offset:         80
        .size:           8
        .value_kind:     global_buffer
      - .offset:         88
        .size:           4
        .value_kind:     by_value
      - .offset:         92
        .size:           4
        .value_kind:     by_value
      - .offset:         96
        .size:           4
        .value_kind:     by_value
      - .offset:         100
        .size:           4
        .value_kind:     by_value
      - .offset:         104
        .size:           4
        .value_kind:     by_value
      - .offset:         112
        .size:           8
        .value_kind:     by_value
      - .offset:         120
        .size:           8
        .value_kind:     by_value
      - .offset:         128
        .size:           8
        .value_kind:     by_value
    .group_segment_fixed_size: 40960
    .kernarg_segment_align: 8
    .kernarg_segment_size: 136
    .language:       OpenCL C
    .language_version:
      - 2
      - 0
    .max_flat_workgroup_size: 256
    .name:           _ZN12_GLOBAL__N_139chunk_gated_delta_rule_fwd_h_hip_kernelILi16ELb1ELb1ELb1ELb1ELb1ELb1ELb1ELb1EEEvPK12hip_bfloat16S3_S3_PKfS5_PKvPS1_S8_PvPKiSB_iiiiilll
    .private_segment_fixed_size: 0
    .sgpr_count:     76
    .sgpr_spill_count: 0
    .symbol:         _ZN12_GLOBAL__N_139chunk_gated_delta_rule_fwd_h_hip_kernelILi16ELb1ELb1ELb1ELb1ELb1ELb1ELb1ELb1EEEvPK12hip_bfloat16S3_S3_PKfS5_PKvPS1_S8_PvPKiSB_iiiiilll.kd
    .uniform_work_group_size: 1
    .uses_dynamic_stack: false
    .vgpr_count:     132
    .vgpr_spill_count: 0
    .wavefront_size: 64
  - .agpr_count:     12
    .args:
      - .actual_access:  read_only
        .address_space:  global
        .offset:         0
        .size:           8
        .value_kind:     global_buffer
      - .actual_access:  read_only
        .address_space:  global
        .offset:         8
        .size:           8
        .value_kind:     global_buffer
      - .actual_access:  read_only
        .address_space:  global
        .offset:         16
        .size:           8
        .value_kind:     global_buffer
      - .actual_access:  read_only
        .address_space:  global
        .offset:         24
        .size:           8
        .value_kind:     global_buffer
      - .actual_access:  read_only
        .address_space:  global
        .offset:         32
        .size:           8
        .value_kind:     global_buffer
      - .actual_access:  read_only
        .address_space:  global
        .offset:         40
        .size:           8
        .value_kind:     global_buffer
      - .actual_access:  write_only
        .address_space:  global
        .offset:         48
        .size:           8
        .value_kind:     global_buffer
      - .actual_access:  read_only
        .address_space:  global
        .offset:         56
        .size:           8
        .value_kind:     global_buffer
      - .actual_access:  write_only
        .address_space:  global
        .offset:         64
        .size:           8
        .value_kind:     global_buffer
      - .actual_access:  read_only
        .address_space:  global
        .offset:         72
        .size:           8
        .value_kind:     global_buffer
      - .actual_access:  read_only
        .address_space:  global
        .offset:         80
        .size:           8
        .value_kind:     global_buffer
      - .offset:         88
        .size:           4
        .value_kind:     by_value
      - .offset:         92
        .size:           4
        .value_kind:     by_value
      - .offset:         96
        .size:           4
        .value_kind:     by_value
      - .offset:         100
        .size:           4
        .value_kind:     by_value
      - .offset:         104
        .size:           4
        .value_kind:     by_value
      - .offset:         112
        .size:           8
        .value_kind:     by_value
      - .offset:         120
        .size:           8
        .value_kind:     by_value
      - .offset:         128
        .size:           8
        .value_kind:     by_value
    .group_segment_fixed_size: 40960
    .kernarg_segment_align: 8
    .kernarg_segment_size: 136
    .language:       OpenCL C
    .language_version:
      - 2
      - 0
    .max_flat_workgroup_size: 256
    .name:           _ZN12_GLOBAL__N_139chunk_gated_delta_rule_fwd_h_hip_kernelILi16ELb1ELb1ELb0ELb1ELb1ELb1ELb1ELb1EEEvPK12hip_bfloat16S3_S3_PKfS5_PKvPS1_S8_PvPKiSB_iiiiilll
    .private_segment_fixed_size: 0
    .sgpr_count:     71
    .sgpr_spill_count: 0
    .symbol:         _ZN12_GLOBAL__N_139chunk_gated_delta_rule_fwd_h_hip_kernelILi16ELb1ELb1ELb0ELb1ELb1ELb1ELb1ELb1EEEvPK12hip_bfloat16S3_S3_PKfS5_PKvPS1_S8_PvPKiSB_iiiiilll.kd
    .uniform_work_group_size: 1
    .uses_dynamic_stack: false
    .vgpr_count:     128
    .vgpr_spill_count: 0
    .wavefront_size: 64
  - .agpr_count:     12
    .args:
      - .actual_access:  read_only
        .address_space:  global
        .offset:         0
        .size:           8
        .value_kind:     global_buffer
      - .actual_access:  read_only
        .address_space:  global
        .offset:         8
        .size:           8
        .value_kind:     global_buffer
      - .actual_access:  read_only
        .address_space:  global
        .offset:         16
        .size:           8
        .value_kind:     global_buffer
      - .actual_access:  read_only
        .address_space:  global
        .offset:         24
        .size:           8
        .value_kind:     global_buffer
      - .actual_access:  read_only
        .address_space:  global
        .offset:         32
        .size:           8
        .value_kind:     global_buffer
      - .actual_access:  read_only
        .address_space:  global
        .offset:         40
        .size:           8
        .value_kind:     global_buffer
      - .actual_access:  write_only
        .address_space:  global
        .offset:         48
        .size:           8
        .value_kind:     global_buffer
      - .actual_access:  write_only
        .address_space:  global
        .offset:         56
        .size:           8
        .value_kind:     global_buffer
      - .actual_access:  read_only
        .address_space:  global
        .offset:         64
        .size:           8
        .value_kind:     global_buffer
      - .actual_access:  read_only
        .address_space:  global
        .offset:         72
        .size:           8
        .value_kind:     global_buffer
      - .actual_access:  read_only
        .address_space:  global
        .offset:         80
        .size:           8
        .value_kind:     global_buffer
      - .offset:         88
        .size:           4
        .value_kind:     by_value
      - .offset:         92
        .size:           4
        .value_kind:     by_value
      - .offset:         96
        .size:           4
        .value_kind:     by_value
      - .offset:         100
        .size:           4
        .value_kind:     by_value
      - .offset:         104
        .size:           4
        .value_kind:     by_value
      - .offset:         112
        .size:           8
        .value_kind:     by_value
      - .offset:         120
        .size:           8
        .value_kind:     by_value
      - .offset:         128
        .size:           8
        .value_kind:     by_value
    .group_segment_fixed_size: 40960
    .kernarg_segment_align: 8
    .kernarg_segment_size: 136
    .language:       OpenCL C
    .language_version:
      - 2
      - 0
    .max_flat_workgroup_size: 256
    .name:           _ZN12_GLOBAL__N_139chunk_gated_delta_rule_fwd_h_hip_kernelILi16ELb1ELb0ELb1ELb1ELb1ELb1ELb1ELb1EEEvPK12hip_bfloat16S3_S3_PKfS5_PKvPS1_S8_PvPKiSB_iiiiilll
    .private_segment_fixed_size: 0
    .sgpr_count:     69
    .sgpr_spill_count: 0
    .symbol:         _ZN12_GLOBAL__N_139chunk_gated_delta_rule_fwd_h_hip_kernelILi16ELb1ELb0ELb1ELb1ELb1ELb1ELb1ELb1EEEvPK12hip_bfloat16S3_S3_PKfS5_PKvPS1_S8_PvPKiSB_iiiiilll.kd
    .uniform_work_group_size: 1
    .uses_dynamic_stack: false
    .vgpr_count:     128
    .vgpr_spill_count: 0
    .wavefront_size: 64
  - .agpr_count:     12
    .args:
      - .actual_access:  read_only
        .address_space:  global
        .offset:         0
        .size:           8
        .value_kind:     global_buffer
      - .actual_access:  read_only
        .address_space:  global
        .offset:         8
        .size:           8
        .value_kind:     global_buffer
      - .actual_access:  read_only
        .address_space:  global
        .offset:         16
        .size:           8
        .value_kind:     global_buffer
      - .actual_access:  read_only
        .address_space:  global
        .offset:         24
        .size:           8
        .value_kind:     global_buffer
      - .actual_access:  read_only
        .address_space:  global
        .offset:         32
        .size:           8
        .value_kind:     global_buffer
      - .actual_access:  read_only
        .address_space:  global
        .offset:         40
        .size:           8
        .value_kind:     global_buffer
      - .actual_access:  write_only
        .address_space:  global
        .offset:         48
        .size:           8
        .value_kind:     global_buffer
      - .actual_access:  read_only
        .address_space:  global
        .offset:         56
        .size:           8
        .value_kind:     global_buffer
      - .actual_access:  read_only
        .address_space:  global
        .offset:         64
        .size:           8
        .value_kind:     global_buffer
      - .actual_access:  read_only
        .address_space:  global
        .offset:         72
        .size:           8
        .value_kind:     global_buffer
      - .actual_access:  read_only
        .address_space:  global
        .offset:         80
        .size:           8
        .value_kind:     global_buffer
      - .offset:         88
        .size:           4
        .value_kind:     by_value
      - .offset:         92
        .size:           4
        .value_kind:     by_value
      - .offset:         96
        .size:           4
        .value_kind:     by_value
      - .offset:         100
        .size:           4
        .value_kind:     by_value
      - .offset:         104
        .size:           4
        .value_kind:     by_value
      - .offset:         112
        .size:           8
        .value_kind:     by_value
      - .offset:         120
        .size:           8
        .value_kind:     by_value
      - .offset:         128
        .size:           8
        .value_kind:     by_value
    .group_segment_fixed_size: 40960
    .kernarg_segment_align: 8
    .kernarg_segment_size: 136
    .language:       OpenCL C
    .language_version:
      - 2
      - 0
    .max_flat_workgroup_size: 256
    .name:           _ZN12_GLOBAL__N_139chunk_gated_delta_rule_fwd_h_hip_kernelILi16ELb1ELb0ELb0ELb1ELb1ELb1ELb1ELb1EEEvPK12hip_bfloat16S3_S3_PKfS5_PKvPS1_S8_PvPKiSB_iiiiilll
    .private_segment_fixed_size: 0
    .sgpr_count:     67
    .sgpr_spill_count: 0
    .symbol:         _ZN12_GLOBAL__N_139chunk_gated_delta_rule_fwd_h_hip_kernelILi16ELb1ELb0ELb0ELb1ELb1ELb1ELb1ELb1EEEvPK12hip_bfloat16S3_S3_PKfS5_PKvPS1_S8_PvPKiSB_iiiiilll.kd
    .uniform_work_group_size: 1
    .uses_dynamic_stack: false
    .vgpr_count:     124
    .vgpr_spill_count: 0
    .wavefront_size: 64
  - .agpr_count:     12
    .args:
      - .actual_access:  read_only
        .address_space:  global
        .offset:         0
        .size:           8
        .value_kind:     global_buffer
      - .actual_access:  read_only
        .address_space:  global
        .offset:         8
        .size:           8
        .value_kind:     global_buffer
      - .actual_access:  read_only
        .address_space:  global
        .offset:         16
        .size:           8
        .value_kind:     global_buffer
      - .actual_access:  read_only
        .address_space:  global
        .offset:         24
        .size:           8
        .value_kind:     global_buffer
      - .actual_access:  read_only
        .address_space:  global
        .offset:         32
        .size:           8
        .value_kind:     global_buffer
      - .actual_access:  read_only
        .address_space:  global
        .offset:         40
        .size:           8
        .value_kind:     global_buffer
      - .actual_access:  write_only
        .address_space:  global
        .offset:         48
        .size:           8
        .value_kind:     global_buffer
      - .actual_access:  write_only
        .address_space:  global
        .offset:         56
        .size:           8
        .value_kind:     global_buffer
      - .actual_access:  write_only
        .address_space:  global
        .offset:         64
        .size:           8
        .value_kind:     global_buffer
      - .actual_access:  read_only
        .address_space:  global
        .offset:         72
        .size:           8
        .value_kind:     global_buffer
      - .actual_access:  read_only
        .address_space:  global
        .offset:         80
        .size:           8
        .value_kind:     global_buffer
      - .offset:         88
        .size:           4
        .value_kind:     by_value
      - .offset:         92
        .size:           4
        .value_kind:     by_value
      - .offset:         96
        .size:           4
        .value_kind:     by_value
      - .offset:         100
        .size:           4
        .value_kind:     by_value
      - .offset:         104
        .size:           4
        .value_kind:     by_value
      - .offset:         112
        .size:           8
        .value_kind:     by_value
      - .offset:         120
        .size:           8
        .value_kind:     by_value
      - .offset:         128
        .size:           8
        .value_kind:     by_value
    .group_segment_fixed_size: 40960
    .kernarg_segment_align: 8
    .kernarg_segment_size: 136
    .language:       OpenCL C
    .language_version:
      - 2
      - 0
    .max_flat_workgroup_size: 256
    .name:           _ZN12_GLOBAL__N_139chunk_gated_delta_rule_fwd_h_hip_kernelILi16ELb0ELb1ELb1ELb1ELb1ELb1ELb1ELb1EEEvPK12hip_bfloat16S3_S3_PKfS5_PKvPS1_S8_PvPKiSB_iiiiilll
    .private_segment_fixed_size: 0
    .sgpr_count:     76
    .sgpr_spill_count: 0
    .symbol:         _ZN12_GLOBAL__N_139chunk_gated_delta_rule_fwd_h_hip_kernelILi16ELb0ELb1ELb1ELb1ELb1ELb1ELb1ELb1EEEvPK12hip_bfloat16S3_S3_PKfS5_PKvPS1_S8_PvPKiSB_iiiiilll.kd
    .uniform_work_group_size: 1
    .uses_dynamic_stack: false
    .vgpr_count:     128
    .vgpr_spill_count: 0
    .wavefront_size: 64
  - .agpr_count:     12
    .args:
      - .actual_access:  read_only
        .address_space:  global
        .offset:         0
        .size:           8
        .value_kind:     global_buffer
      - .actual_access:  read_only
        .address_space:  global
        .offset:         8
        .size:           8
        .value_kind:     global_buffer
      - .actual_access:  read_only
        .address_space:  global
        .offset:         16
        .size:           8
        .value_kind:     global_buffer
      - .actual_access:  read_only
        .address_space:  global
        .offset:         24
        .size:           8
        .value_kind:     global_buffer
      - .actual_access:  read_only
        .address_space:  global
        .offset:         32
        .size:           8
        .value_kind:     global_buffer
      - .actual_access:  read_only
        .address_space:  global
        .offset:         40
        .size:           8
        .value_kind:     global_buffer
      - .actual_access:  write_only
        .address_space:  global
        .offset:         48
        .size:           8
        .value_kind:     global_buffer
      - .actual_access:  read_only
        .address_space:  global
        .offset:         56
        .size:           8
        .value_kind:     global_buffer
      - .actual_access:  write_only
        .address_space:  global
        .offset:         64
        .size:           8
        .value_kind:     global_buffer
      - .actual_access:  read_only
        .address_space:  global
        .offset:         72
        .size:           8
        .value_kind:     global_buffer
      - .actual_access:  read_only
        .address_space:  global
        .offset:         80
        .size:           8
        .value_kind:     global_buffer
      - .offset:         88
        .size:           4
        .value_kind:     by_value
      - .offset:         92
        .size:           4
        .value_kind:     by_value
      - .offset:         96
        .size:           4
        .value_kind:     by_value
      - .offset:         100
        .size:           4
        .value_kind:     by_value
      - .offset:         104
        .size:           4
        .value_kind:     by_value
      - .offset:         112
        .size:           8
        .value_kind:     by_value
      - .offset:         120
        .size:           8
        .value_kind:     by_value
      - .offset:         128
        .size:           8
        .value_kind:     by_value
    .group_segment_fixed_size: 40960
    .kernarg_segment_align: 8
    .kernarg_segment_size: 136
    .language:       OpenCL C
    .language_version:
      - 2
      - 0
    .max_flat_workgroup_size: 256
    .name:           _ZN12_GLOBAL__N_139chunk_gated_delta_rule_fwd_h_hip_kernelILi16ELb0ELb1ELb0ELb1ELb1ELb1ELb1ELb1EEEvPK12hip_bfloat16S3_S3_PKfS5_PKvPS1_S8_PvPKiSB_iiiiilll
    .private_segment_fixed_size: 0
    .sgpr_count:     71
    .sgpr_spill_count: 0
    .symbol:         _ZN12_GLOBAL__N_139chunk_gated_delta_rule_fwd_h_hip_kernelILi16ELb0ELb1ELb0ELb1ELb1ELb1ELb1ELb1EEEvPK12hip_bfloat16S3_S3_PKfS5_PKvPS1_S8_PvPKiSB_iiiiilll.kd
    .uniform_work_group_size: 1
    .uses_dynamic_stack: false
    .vgpr_count:     124
    .vgpr_spill_count: 0
    .wavefront_size: 64
  - .agpr_count:     12
    .args:
      - .actual_access:  read_only
        .address_space:  global
        .offset:         0
        .size:           8
        .value_kind:     global_buffer
      - .actual_access:  read_only
        .address_space:  global
        .offset:         8
        .size:           8
        .value_kind:     global_buffer
      - .actual_access:  read_only
        .address_space:  global
        .offset:         16
        .size:           8
        .value_kind:     global_buffer
      - .actual_access:  read_only
        .address_space:  global
        .offset:         24
        .size:           8
        .value_kind:     global_buffer
      - .actual_access:  read_only
        .address_space:  global
        .offset:         32
        .size:           8
        .value_kind:     global_buffer
      - .actual_access:  read_only
        .address_space:  global
        .offset:         40
        .size:           8
        .value_kind:     global_buffer
      - .actual_access:  write_only
        .address_space:  global
        .offset:         48
        .size:           8
        .value_kind:     global_buffer
      - .actual_access:  write_only
        .address_space:  global
        .offset:         56
        .size:           8
        .value_kind:     global_buffer
      - .actual_access:  read_only
        .address_space:  global
        .offset:         64
        .size:           8
        .value_kind:     global_buffer
      - .actual_access:  read_only
        .address_space:  global
        .offset:         72
        .size:           8
        .value_kind:     global_buffer
      - .actual_access:  read_only
        .address_space:  global
        .offset:         80
        .size:           8
        .value_kind:     global_buffer
      - .offset:         88
        .size:           4
        .value_kind:     by_value
      - .offset:         92
        .size:           4
        .value_kind:     by_value
      - .offset:         96
        .size:           4
        .value_kind:     by_value
      - .offset:         100
        .size:           4
        .value_kind:     by_value
      - .offset:         104
        .size:           4
        .value_kind:     by_value
      - .offset:         112
        .size:           8
        .value_kind:     by_value
      - .offset:         120
        .size:           8
        .value_kind:     by_value
      - .offset:         128
        .size:           8
        .value_kind:     by_value
    .group_segment_fixed_size: 40960
    .kernarg_segment_align: 8
    .kernarg_segment_size: 136
    .language:       OpenCL C
    .language_version:
      - 2
      - 0
    .max_flat_workgroup_size: 256
    .name:           _ZN12_GLOBAL__N_139chunk_gated_delta_rule_fwd_h_hip_kernelILi16ELb0ELb0ELb1ELb1ELb1ELb1ELb1ELb1EEEvPK12hip_bfloat16S3_S3_PKfS5_PKvPS1_S8_PvPKiSB_iiiiilll
    .private_segment_fixed_size: 0
    .sgpr_count:     68
    .sgpr_spill_count: 0
    .symbol:         _ZN12_GLOBAL__N_139chunk_gated_delta_rule_fwd_h_hip_kernelILi16ELb0ELb0ELb1ELb1ELb1ELb1ELb1ELb1EEEvPK12hip_bfloat16S3_S3_PKfS5_PKvPS1_S8_PvPKiSB_iiiiilll.kd
    .uniform_work_group_size: 1
    .uses_dynamic_stack: false
    .vgpr_count:     128
    .vgpr_spill_count: 0
    .wavefront_size: 64
  - .agpr_count:     12
    .args:
      - .actual_access:  read_only
        .address_space:  global
        .offset:         0
        .size:           8
        .value_kind:     global_buffer
      - .actual_access:  read_only
        .address_space:  global
        .offset:         8
        .size:           8
        .value_kind:     global_buffer
      - .actual_access:  read_only
        .address_space:  global
        .offset:         16
        .size:           8
        .value_kind:     global_buffer
      - .actual_access:  read_only
        .address_space:  global
        .offset:         24
        .size:           8
        .value_kind:     global_buffer
      - .actual_access:  read_only
        .address_space:  global
        .offset:         32
        .size:           8
        .value_kind:     global_buffer
      - .actual_access:  read_only
        .address_space:  global
        .offset:         40
        .size:           8
        .value_kind:     global_buffer
      - .actual_access:  write_only
        .address_space:  global
        .offset:         48
        .size:           8
        .value_kind:     global_buffer
      - .actual_access:  read_only
        .address_space:  global
        .offset:         56
        .size:           8
        .value_kind:     global_buffer
      - .actual_access:  read_only
        .address_space:  global
        .offset:         64
        .size:           8
        .value_kind:     global_buffer
      - .actual_access:  read_only
        .address_space:  global
        .offset:         72
        .size:           8
        .value_kind:     global_buffer
      - .actual_access:  read_only
        .address_space:  global
        .offset:         80
        .size:           8
        .value_kind:     global_buffer
      - .offset:         88
        .size:           4
        .value_kind:     by_value
      - .offset:         92
        .size:           4
        .value_kind:     by_value
      - .offset:         96
        .size:           4
        .value_kind:     by_value
      - .offset:         100
        .size:           4
        .value_kind:     by_value
      - .offset:         104
        .size:           4
        .value_kind:     by_value
      - .offset:         112
        .size:           8
        .value_kind:     by_value
      - .offset:         120
        .size:           8
        .value_kind:     by_value
      - .offset:         128
        .size:           8
        .value_kind:     by_value
    .group_segment_fixed_size: 40960
    .kernarg_segment_align: 8
    .kernarg_segment_size: 136
    .language:       OpenCL C
    .language_version:
      - 2
      - 0
    .max_flat_workgroup_size: 256
    .name:           _ZN12_GLOBAL__N_139chunk_gated_delta_rule_fwd_h_hip_kernelILi16ELb0ELb0ELb0ELb1ELb1ELb1ELb1ELb1EEEvPK12hip_bfloat16S3_S3_PKfS5_PKvPS1_S8_PvPKiSB_iiiiilll
    .private_segment_fixed_size: 0
    .sgpr_count:     66
    .sgpr_spill_count: 0
    .symbol:         _ZN12_GLOBAL__N_139chunk_gated_delta_rule_fwd_h_hip_kernelILi16ELb0ELb0ELb0ELb1ELb1ELb1ELb1ELb1EEEvPK12hip_bfloat16S3_S3_PKfS5_PKvPS1_S8_PvPKiSB_iiiiilll.kd
    .uniform_work_group_size: 1
    .uses_dynamic_stack: false
    .vgpr_count:     124
    .vgpr_spill_count: 0
    .wavefront_size: 64
  - .agpr_count:     12
    .args:
      - .actual_access:  read_only
        .address_space:  global
        .offset:         0
        .size:           8
        .value_kind:     global_buffer
      - .actual_access:  read_only
        .address_space:  global
        .offset:         8
        .size:           8
        .value_kind:     global_buffer
      - .actual_access:  read_only
        .address_space:  global
        .offset:         16
        .size:           8
        .value_kind:     global_buffer
      - .actual_access:  read_only
        .address_space:  global
        .offset:         24
        .size:           8
        .value_kind:     global_buffer
      - .actual_access:  read_only
        .address_space:  global
        .offset:         32
        .size:           8
        .value_kind:     global_buffer
      - .actual_access:  read_only
        .address_space:  global
        .offset:         40
        .size:           8
        .value_kind:     global_buffer
      - .actual_access:  write_only
        .address_space:  global
        .offset:         48
        .size:           8
        .value_kind:     global_buffer
      - .actual_access:  write_only
        .address_space:  global
        .offset:         56
        .size:           8
        .value_kind:     global_buffer
      - .actual_access:  write_only
        .address_space:  global
        .offset:         64
        .size:           8
        .value_kind:     global_buffer
      - .actual_access:  read_only
        .address_space:  global
        .offset:         72
        .size:           8
        .value_kind:     global_buffer
      - .actual_access:  read_only
        .address_space:  global
        .offset:         80
        .size:           8
        .value_kind:     global_buffer
      - .offset:         88
        .size:           4
        .value_kind:     by_value
      - .offset:         92
        .size:           4
        .value_kind:     by_value
      - .offset:         96
        .size:           4
        .value_kind:     by_value
      - .offset:         100
        .size:           4
        .value_kind:     by_value
      - .offset:         104
        .size:           4
        .value_kind:     by_value
      - .offset:         112
        .size:           8
        .value_kind:     by_value
      - .offset:         120
        .size:           8
        .value_kind:     by_value
      - .offset:         128
        .size:           8
        .value_kind:     by_value
    .group_segment_fixed_size: 40960
    .kernarg_segment_align: 8
    .kernarg_segment_size: 136
    .language:       OpenCL C
    .language_version:
      - 2
      - 0
    .max_flat_workgroup_size: 256
    .name:           _ZN12_GLOBAL__N_139chunk_gated_delta_rule_fwd_h_hip_kernelILi16ELb1ELb1ELb1ELb0ELb1ELb1ELb1ELb1EEEvPK12hip_bfloat16S3_S3_PKfS5_PKvPS1_S8_PvPKiSB_iiiiilll
    .private_segment_fixed_size: 0
    .sgpr_count:     82
    .sgpr_spill_count: 0
    .symbol:         _ZN12_GLOBAL__N_139chunk_gated_delta_rule_fwd_h_hip_kernelILi16ELb1ELb1ELb1ELb0ELb1ELb1ELb1ELb1EEEvPK12hip_bfloat16S3_S3_PKfS5_PKvPS1_S8_PvPKiSB_iiiiilll.kd
    .uniform_work_group_size: 1
    .uses_dynamic_stack: false
    .vgpr_count:     132
    .vgpr_spill_count: 0
    .wavefront_size: 64
  - .agpr_count:     12
    .args:
      - .actual_access:  read_only
        .address_space:  global
        .offset:         0
        .size:           8
        .value_kind:     global_buffer
      - .actual_access:  read_only
        .address_space:  global
        .offset:         8
        .size:           8
        .value_kind:     global_buffer
      - .actual_access:  read_only
        .address_space:  global
        .offset:         16
        .size:           8
        .value_kind:     global_buffer
      - .actual_access:  read_only
        .address_space:  global
        .offset:         24
        .size:           8
        .value_kind:     global_buffer
      - .actual_access:  read_only
        .address_space:  global
        .offset:         32
        .size:           8
        .value_kind:     global_buffer
      - .actual_access:  read_only
        .address_space:  global
        .offset:         40
        .size:           8
        .value_kind:     global_buffer
      - .actual_access:  write_only
        .address_space:  global
        .offset:         48
        .size:           8
        .value_kind:     global_buffer
      - .actual_access:  read_only
        .address_space:  global
        .offset:         56
        .size:           8
        .value_kind:     global_buffer
      - .actual_access:  write_only
        .address_space:  global
        .offset:         64
        .size:           8
        .value_kind:     global_buffer
      - .actual_access:  read_only
        .address_space:  global
        .offset:         72
        .size:           8
        .value_kind:     global_buffer
      - .actual_access:  read_only
        .address_space:  global
        .offset:         80
        .size:           8
        .value_kind:     global_buffer
      - .offset:         88
        .size:           4
        .value_kind:     by_value
      - .offset:         92
        .size:           4
        .value_kind:     by_value
      - .offset:         96
        .size:           4
        .value_kind:     by_value
      - .offset:         100
        .size:           4
        .value_kind:     by_value
      - .offset:         104
        .size:           4
        .value_kind:     by_value
      - .offset:         112
        .size:           8
        .value_kind:     by_value
      - .offset:         120
        .size:           8
        .value_kind:     by_value
      - .offset:         128
        .size:           8
        .value_kind:     by_value
    .group_segment_fixed_size: 40960
    .kernarg_segment_align: 8
    .kernarg_segment_size: 136
    .language:       OpenCL C
    .language_version:
      - 2
      - 0
    .max_flat_workgroup_size: 256
    .name:           _ZN12_GLOBAL__N_139chunk_gated_delta_rule_fwd_h_hip_kernelILi16ELb1ELb1ELb0ELb0ELb1ELb1ELb1ELb1EEEvPK12hip_bfloat16S3_S3_PKfS5_PKvPS1_S8_PvPKiSB_iiiiilll
    .private_segment_fixed_size: 0
    .sgpr_count:     77
    .sgpr_spill_count: 0
    .symbol:         _ZN12_GLOBAL__N_139chunk_gated_delta_rule_fwd_h_hip_kernelILi16ELb1ELb1ELb0ELb0ELb1ELb1ELb1ELb1EEEvPK12hip_bfloat16S3_S3_PKfS5_PKvPS1_S8_PvPKiSB_iiiiilll.kd
    .uniform_work_group_size: 1
    .uses_dynamic_stack: false
    .vgpr_count:     128
    .vgpr_spill_count: 0
    .wavefront_size: 64
  - .agpr_count:     12
    .args:
      - .actual_access:  read_only
        .address_space:  global
        .offset:         0
        .size:           8
        .value_kind:     global_buffer
      - .actual_access:  read_only
        .address_space:  global
        .offset:         8
        .size:           8
        .value_kind:     global_buffer
      - .actual_access:  read_only
        .address_space:  global
        .offset:         16
        .size:           8
        .value_kind:     global_buffer
      - .actual_access:  read_only
        .address_space:  global
        .offset:         24
        .size:           8
        .value_kind:     global_buffer
      - .actual_access:  read_only
        .address_space:  global
        .offset:         32
        .size:           8
        .value_kind:     global_buffer
      - .actual_access:  read_only
        .address_space:  global
        .offset:         40
        .size:           8
        .value_kind:     global_buffer
      - .actual_access:  write_only
        .address_space:  global
        .offset:         48
        .size:           8
        .value_kind:     global_buffer
      - .actual_access:  write_only
        .address_space:  global
        .offset:         56
        .size:           8
        .value_kind:     global_buffer
      - .actual_access:  read_only
        .address_space:  global
        .offset:         64
        .size:           8
        .value_kind:     global_buffer
      - .actual_access:  read_only
        .address_space:  global
        .offset:         72
        .size:           8
        .value_kind:     global_buffer
      - .actual_access:  read_only
        .address_space:  global
        .offset:         80
        .size:           8
        .value_kind:     global_buffer
      - .offset:         88
        .size:           4
        .value_kind:     by_value
      - .offset:         92
        .size:           4
        .value_kind:     by_value
      - .offset:         96
        .size:           4
        .value_kind:     by_value
      - .offset:         100
        .size:           4
        .value_kind:     by_value
      - .offset:         104
        .size:           4
        .value_kind:     by_value
      - .offset:         112
        .size:           8
        .value_kind:     by_value
      - .offset:         120
        .size:           8
        .value_kind:     by_value
      - .offset:         128
        .size:           8
        .value_kind:     by_value
    .group_segment_fixed_size: 40960
    .kernarg_segment_align: 8
    .kernarg_segment_size: 136
    .language:       OpenCL C
    .language_version:
      - 2
      - 0
    .max_flat_workgroup_size: 256
    .name:           _ZN12_GLOBAL__N_139chunk_gated_delta_rule_fwd_h_hip_kernelILi16ELb1ELb0ELb1ELb0ELb1ELb1ELb1ELb1EEEvPK12hip_bfloat16S3_S3_PKfS5_PKvPS1_S8_PvPKiSB_iiiiilll
    .private_segment_fixed_size: 0
    .sgpr_count:     78
    .sgpr_spill_count: 0
    .symbol:         _ZN12_GLOBAL__N_139chunk_gated_delta_rule_fwd_h_hip_kernelILi16ELb1ELb0ELb1ELb0ELb1ELb1ELb1ELb1EEEvPK12hip_bfloat16S3_S3_PKfS5_PKvPS1_S8_PvPKiSB_iiiiilll.kd
    .uniform_work_group_size: 1
    .uses_dynamic_stack: false
    .vgpr_count:     128
    .vgpr_spill_count: 0
    .wavefront_size: 64
  - .agpr_count:     12
    .args:
      - .actual_access:  read_only
        .address_space:  global
        .offset:         0
        .size:           8
        .value_kind:     global_buffer
      - .actual_access:  read_only
        .address_space:  global
        .offset:         8
        .size:           8
        .value_kind:     global_buffer
      - .actual_access:  read_only
        .address_space:  global
        .offset:         16
        .size:           8
        .value_kind:     global_buffer
      - .actual_access:  read_only
        .address_space:  global
        .offset:         24
        .size:           8
        .value_kind:     global_buffer
      - .actual_access:  read_only
        .address_space:  global
        .offset:         32
        .size:           8
        .value_kind:     global_buffer
      - .actual_access:  read_only
        .address_space:  global
        .offset:         40
        .size:           8
        .value_kind:     global_buffer
      - .actual_access:  write_only
        .address_space:  global
        .offset:         48
        .size:           8
        .value_kind:     global_buffer
      - .actual_access:  read_only
        .address_space:  global
        .offset:         56
        .size:           8
        .value_kind:     global_buffer
      - .actual_access:  read_only
        .address_space:  global
        .offset:         64
        .size:           8
        .value_kind:     global_buffer
      - .actual_access:  read_only
        .address_space:  global
        .offset:         72
        .size:           8
        .value_kind:     global_buffer
      - .actual_access:  read_only
        .address_space:  global
        .offset:         80
        .size:           8
        .value_kind:     global_buffer
      - .offset:         88
        .size:           4
        .value_kind:     by_value
      - .offset:         92
        .size:           4
        .value_kind:     by_value
      - .offset:         96
        .size:           4
        .value_kind:     by_value
      - .offset:         100
        .size:           4
        .value_kind:     by_value
      - .offset:         104
        .size:           4
        .value_kind:     by_value
      - .offset:         112
        .size:           8
        .value_kind:     by_value
      - .offset:         120
        .size:           8
        .value_kind:     by_value
      - .offset:         128
        .size:           8
        .value_kind:     by_value
    .group_segment_fixed_size: 40960
    .kernarg_segment_align: 8
    .kernarg_segment_size: 136
    .language:       OpenCL C
    .language_version:
      - 2
      - 0
    .max_flat_workgroup_size: 256
    .name:           _ZN12_GLOBAL__N_139chunk_gated_delta_rule_fwd_h_hip_kernelILi16ELb1ELb0ELb0ELb0ELb1ELb1ELb1ELb1EEEvPK12hip_bfloat16S3_S3_PKfS5_PKvPS1_S8_PvPKiSB_iiiiilll
    .private_segment_fixed_size: 0
    .sgpr_count:     73
    .sgpr_spill_count: 0
    .symbol:         _ZN12_GLOBAL__N_139chunk_gated_delta_rule_fwd_h_hip_kernelILi16ELb1ELb0ELb0ELb0ELb1ELb1ELb1ELb1EEEvPK12hip_bfloat16S3_S3_PKfS5_PKvPS1_S8_PvPKiSB_iiiiilll.kd
    .uniform_work_group_size: 1
    .uses_dynamic_stack: false
    .vgpr_count:     124
    .vgpr_spill_count: 0
    .wavefront_size: 64
  - .agpr_count:     12
    .args:
      - .actual_access:  read_only
        .address_space:  global
        .offset:         0
        .size:           8
        .value_kind:     global_buffer
      - .actual_access:  read_only
        .address_space:  global
        .offset:         8
        .size:           8
        .value_kind:     global_buffer
      - .actual_access:  read_only
        .address_space:  global
        .offset:         16
        .size:           8
        .value_kind:     global_buffer
      - .actual_access:  read_only
        .address_space:  global
        .offset:         24
        .size:           8
        .value_kind:     global_buffer
      - .actual_access:  read_only
        .address_space:  global
        .offset:         32
        .size:           8
        .value_kind:     global_buffer
      - .actual_access:  read_only
        .address_space:  global
        .offset:         40
        .size:           8
        .value_kind:     global_buffer
      - .actual_access:  write_only
        .address_space:  global
        .offset:         48
        .size:           8
        .value_kind:     global_buffer
      - .actual_access:  write_only
        .address_space:  global
        .offset:         56
        .size:           8
        .value_kind:     global_buffer
      - .actual_access:  write_only
        .address_space:  global
        .offset:         64
        .size:           8
        .value_kind:     global_buffer
      - .actual_access:  read_only
        .address_space:  global
        .offset:         72
        .size:           8
        .value_kind:     global_buffer
      - .actual_access:  read_only
        .address_space:  global
        .offset:         80
        .size:           8
        .value_kind:     global_buffer
      - .offset:         88
        .size:           4
        .value_kind:     by_value
      - .offset:         92
        .size:           4
        .value_kind:     by_value
      - .offset:         96
        .size:           4
        .value_kind:     by_value
      - .offset:         100
        .size:           4
        .value_kind:     by_value
      - .offset:         104
        .size:           4
        .value_kind:     by_value
      - .offset:         112
        .size:           8
        .value_kind:     by_value
      - .offset:         120
        .size:           8
        .value_kind:     by_value
      - .offset:         128
        .size:           8
        .value_kind:     by_value
    .group_segment_fixed_size: 40960
    .kernarg_segment_align: 8
    .kernarg_segment_size: 136
    .language:       OpenCL C
    .language_version:
      - 2
      - 0
    .max_flat_workgroup_size: 256
    .name:           _ZN12_GLOBAL__N_139chunk_gated_delta_rule_fwd_h_hip_kernelILi16ELb0ELb1ELb1ELb0ELb1ELb1ELb1ELb1EEEvPK12hip_bfloat16S3_S3_PKfS5_PKvPS1_S8_PvPKiSB_iiiiilll
    .private_segment_fixed_size: 0
    .sgpr_count:     76
    .sgpr_spill_count: 0
    .symbol:         _ZN12_GLOBAL__N_139chunk_gated_delta_rule_fwd_h_hip_kernelILi16ELb0ELb1ELb1ELb0ELb1ELb1ELb1ELb1EEEvPK12hip_bfloat16S3_S3_PKfS5_PKvPS1_S8_PvPKiSB_iiiiilll.kd
    .uniform_work_group_size: 1
    .uses_dynamic_stack: false
    .vgpr_count:     128
    .vgpr_spill_count: 0
    .wavefront_size: 64
  - .agpr_count:     12
    .args:
      - .actual_access:  read_only
        .address_space:  global
        .offset:         0
        .size:           8
        .value_kind:     global_buffer
      - .actual_access:  read_only
        .address_space:  global
        .offset:         8
        .size:           8
        .value_kind:     global_buffer
      - .actual_access:  read_only
        .address_space:  global
        .offset:         16
        .size:           8
        .value_kind:     global_buffer
      - .actual_access:  read_only
        .address_space:  global
        .offset:         24
        .size:           8
        .value_kind:     global_buffer
      - .actual_access:  read_only
        .address_space:  global
        .offset:         32
        .size:           8
        .value_kind:     global_buffer
      - .actual_access:  read_only
        .address_space:  global
        .offset:         40
        .size:           8
        .value_kind:     global_buffer
      - .actual_access:  write_only
        .address_space:  global
        .offset:         48
        .size:           8
        .value_kind:     global_buffer
      - .actual_access:  read_only
        .address_space:  global
        .offset:         56
        .size:           8
        .value_kind:     global_buffer
      - .actual_access:  write_only
        .address_space:  global
        .offset:         64
        .size:           8
        .value_kind:     global_buffer
      - .actual_access:  read_only
        .address_space:  global
        .offset:         72
        .size:           8
        .value_kind:     global_buffer
      - .actual_access:  read_only
        .address_space:  global
        .offset:         80
        .size:           8
        .value_kind:     global_buffer
      - .offset:         88
        .size:           4
        .value_kind:     by_value
      - .offset:         92
        .size:           4
        .value_kind:     by_value
      - .offset:         96
        .size:           4
        .value_kind:     by_value
      - .offset:         100
        .size:           4
        .value_kind:     by_value
      - .offset:         104
        .size:           4
        .value_kind:     by_value
      - .offset:         112
        .size:           8
        .value_kind:     by_value
      - .offset:         120
        .size:           8
        .value_kind:     by_value
      - .offset:         128
        .size:           8
        .value_kind:     by_value
    .group_segment_fixed_size: 40960
    .kernarg_segment_align: 8
    .kernarg_segment_size: 136
    .language:       OpenCL C
    .language_version:
      - 2
      - 0
    .max_flat_workgroup_size: 256
    .name:           _ZN12_GLOBAL__N_139chunk_gated_delta_rule_fwd_h_hip_kernelILi16ELb0ELb1ELb0ELb0ELb1ELb1ELb1ELb1EEEvPK12hip_bfloat16S3_S3_PKfS5_PKvPS1_S8_PvPKiSB_iiiiilll
    .private_segment_fixed_size: 0
    .sgpr_count:     72
    .sgpr_spill_count: 0
    .symbol:         _ZN12_GLOBAL__N_139chunk_gated_delta_rule_fwd_h_hip_kernelILi16ELb0ELb1ELb0ELb0ELb1ELb1ELb1ELb1EEEvPK12hip_bfloat16S3_S3_PKfS5_PKvPS1_S8_PvPKiSB_iiiiilll.kd
    .uniform_work_group_size: 1
    .uses_dynamic_stack: false
    .vgpr_count:     124
    .vgpr_spill_count: 0
    .wavefront_size: 64
  - .agpr_count:     12
    .args:
      - .actual_access:  read_only
        .address_space:  global
        .offset:         0
        .size:           8
        .value_kind:     global_buffer
      - .actual_access:  read_only
        .address_space:  global
        .offset:         8
        .size:           8
        .value_kind:     global_buffer
      - .actual_access:  read_only
        .address_space:  global
        .offset:         16
        .size:           8
        .value_kind:     global_buffer
      - .actual_access:  read_only
        .address_space:  global
        .offset:         24
        .size:           8
        .value_kind:     global_buffer
      - .actual_access:  read_only
        .address_space:  global
        .offset:         32
        .size:           8
        .value_kind:     global_buffer
      - .actual_access:  read_only
        .address_space:  global
        .offset:         40
        .size:           8
        .value_kind:     global_buffer
      - .actual_access:  write_only
        .address_space:  global
        .offset:         48
        .size:           8
        .value_kind:     global_buffer
      - .actual_access:  write_only
        .address_space:  global
        .offset:         56
        .size:           8
        .value_kind:     global_buffer
      - .actual_access:  read_only
        .address_space:  global
        .offset:         64
        .size:           8
        .value_kind:     global_buffer
      - .actual_access:  read_only
        .address_space:  global
        .offset:         72
        .size:           8
        .value_kind:     global_buffer
      - .actual_access:  read_only
        .address_space:  global
        .offset:         80
        .size:           8
        .value_kind:     global_buffer
      - .offset:         88
        .size:           4
        .value_kind:     by_value
      - .offset:         92
        .size:           4
        .value_kind:     by_value
      - .offset:         96
        .size:           4
        .value_kind:     by_value
      - .offset:         100
        .size:           4
        .value_kind:     by_value
      - .offset:         104
        .size:           4
        .value_kind:     by_value
      - .offset:         112
        .size:           8
        .value_kind:     by_value
      - .offset:         120
        .size:           8
        .value_kind:     by_value
      - .offset:         128
        .size:           8
        .value_kind:     by_value
    .group_segment_fixed_size: 40960
    .kernarg_segment_align: 8
    .kernarg_segment_size: 136
    .language:       OpenCL C
    .language_version:
      - 2
      - 0
    .max_flat_workgroup_size: 256
    .name:           _ZN12_GLOBAL__N_139chunk_gated_delta_rule_fwd_h_hip_kernelILi16ELb0ELb0ELb1ELb0ELb1ELb1ELb1ELb1EEEvPK12hip_bfloat16S3_S3_PKfS5_PKvPS1_S8_PvPKiSB_iiiiilll
    .private_segment_fixed_size: 0
    .sgpr_count:     74
    .sgpr_spill_count: 0
    .symbol:         _ZN12_GLOBAL__N_139chunk_gated_delta_rule_fwd_h_hip_kernelILi16ELb0ELb0ELb1ELb0ELb1ELb1ELb1ELb1EEEvPK12hip_bfloat16S3_S3_PKfS5_PKvPS1_S8_PvPKiSB_iiiiilll.kd
    .uniform_work_group_size: 1
    .uses_dynamic_stack: false
    .vgpr_count:     128
    .vgpr_spill_count: 0
    .wavefront_size: 64
  - .agpr_count:     12
    .args:
      - .actual_access:  read_only
        .address_space:  global
        .offset:         0
        .size:           8
        .value_kind:     global_buffer
      - .actual_access:  read_only
        .address_space:  global
        .offset:         8
        .size:           8
        .value_kind:     global_buffer
      - .actual_access:  read_only
        .address_space:  global
        .offset:         16
        .size:           8
        .value_kind:     global_buffer
      - .actual_access:  read_only
        .address_space:  global
        .offset:         24
        .size:           8
        .value_kind:     global_buffer
      - .actual_access:  read_only
        .address_space:  global
        .offset:         32
        .size:           8
        .value_kind:     global_buffer
      - .actual_access:  read_only
        .address_space:  global
        .offset:         40
        .size:           8
        .value_kind:     global_buffer
      - .actual_access:  write_only
        .address_space:  global
        .offset:         48
        .size:           8
        .value_kind:     global_buffer
      - .actual_access:  read_only
        .address_space:  global
        .offset:         56
        .size:           8
        .value_kind:     global_buffer
      - .actual_access:  read_only
        .address_space:  global
        .offset:         64
        .size:           8
        .value_kind:     global_buffer
      - .actual_access:  read_only
        .address_space:  global
        .offset:         72
        .size:           8
        .value_kind:     global_buffer
      - .actual_access:  read_only
        .address_space:  global
        .offset:         80
        .size:           8
        .value_kind:     global_buffer
      - .offset:         88
        .size:           4
        .value_kind:     by_value
      - .offset:         92
        .size:           4
        .value_kind:     by_value
      - .offset:         96
        .size:           4
        .value_kind:     by_value
      - .offset:         100
        .size:           4
        .value_kind:     by_value
      - .offset:         104
        .size:           4
        .value_kind:     by_value
      - .offset:         112
        .size:           8
        .value_kind:     by_value
      - .offset:         120
        .size:           8
        .value_kind:     by_value
      - .offset:         128
        .size:           8
        .value_kind:     by_value
    .group_segment_fixed_size: 40960
    .kernarg_segment_align: 8
    .kernarg_segment_size: 136
    .language:       OpenCL C
    .language_version:
      - 2
      - 0
    .max_flat_workgroup_size: 256
    .name:           _ZN12_GLOBAL__N_139chunk_gated_delta_rule_fwd_h_hip_kernelILi16ELb0ELb0ELb0ELb0ELb1ELb1ELb1ELb1EEEvPK12hip_bfloat16S3_S3_PKfS5_PKvPS1_S8_PvPKiSB_iiiiilll
    .private_segment_fixed_size: 0
    .sgpr_count:     70
    .sgpr_spill_count: 0
    .symbol:         _ZN12_GLOBAL__N_139chunk_gated_delta_rule_fwd_h_hip_kernelILi16ELb0ELb0ELb0ELb0ELb1ELb1ELb1ELb1EEEvPK12hip_bfloat16S3_S3_PKfS5_PKvPS1_S8_PvPKiSB_iiiiilll.kd
    .uniform_work_group_size: 1
    .uses_dynamic_stack: false
    .vgpr_count:     124
    .vgpr_spill_count: 0
    .wavefront_size: 64
  - .agpr_count:     12
    .args:
      - .actual_access:  read_only
        .address_space:  global
        .offset:         0
        .size:           8
        .value_kind:     global_buffer
      - .actual_access:  read_only
        .address_space:  global
        .offset:         8
        .size:           8
        .value_kind:     global_buffer
      - .actual_access:  read_only
        .address_space:  global
        .offset:         16
        .size:           8
        .value_kind:     global_buffer
      - .actual_access:  read_only
        .address_space:  global
        .offset:         24
        .size:           8
        .value_kind:     global_buffer
      - .actual_access:  read_only
        .address_space:  global
        .offset:         32
        .size:           8
        .value_kind:     global_buffer
      - .actual_access:  read_only
        .address_space:  global
        .offset:         40
        .size:           8
        .value_kind:     global_buffer
      - .actual_access:  write_only
        .address_space:  global
        .offset:         48
        .size:           8
        .value_kind:     global_buffer
      - .actual_access:  write_only
        .address_space:  global
        .offset:         56
        .size:           8
        .value_kind:     global_buffer
      - .actual_access:  write_only
        .address_space:  global
        .offset:         64
        .size:           8
        .value_kind:     global_buffer
      - .actual_access:  read_only
        .address_space:  global
        .offset:         72
        .size:           8
        .value_kind:     global_buffer
      - .actual_access:  read_only
        .address_space:  global
        .offset:         80
        .size:           8
        .value_kind:     global_buffer
      - .offset:         88
        .size:           4
        .value_kind:     by_value
      - .offset:         92
        .size:           4
        .value_kind:     by_value
      - .offset:         96
        .size:           4
        .value_kind:     by_value
      - .offset:         100
        .size:           4
        .value_kind:     by_value
      - .offset:         104
        .size:           4
        .value_kind:     by_value
      - .offset:         112
        .size:           8
        .value_kind:     by_value
      - .offset:         120
        .size:           8
        .value_kind:     by_value
      - .offset:         128
        .size:           8
        .value_kind:     by_value
    .group_segment_fixed_size: 40960
    .kernarg_segment_align: 8
    .kernarg_segment_size: 136
    .language:       OpenCL C
    .language_version:
      - 2
      - 0
    .max_flat_workgroup_size: 256
    .name:           _ZN12_GLOBAL__N_139chunk_gated_delta_rule_fwd_h_hip_kernelILi16ELb1ELb1ELb1ELb1ELb1ELb1ELb0ELb1EEEvPK12hip_bfloat16S3_S3_PKfS5_PKvPS1_S8_PvPKiSB_iiiiilll
    .private_segment_fixed_size: 0
    .sgpr_count:     76
    .sgpr_spill_count: 0
    .symbol:         _ZN12_GLOBAL__N_139chunk_gated_delta_rule_fwd_h_hip_kernelILi16ELb1ELb1ELb1ELb1ELb1ELb1ELb0ELb1EEEvPK12hip_bfloat16S3_S3_PKfS5_PKvPS1_S8_PvPKiSB_iiiiilll.kd
    .uniform_work_group_size: 1
    .uses_dynamic_stack: false
    .vgpr_count:     132
    .vgpr_spill_count: 0
    .wavefront_size: 64
  - .agpr_count:     12
    .args:
      - .actual_access:  read_only
        .address_space:  global
        .offset:         0
        .size:           8
        .value_kind:     global_buffer
      - .actual_access:  read_only
        .address_space:  global
        .offset:         8
        .size:           8
        .value_kind:     global_buffer
      - .actual_access:  read_only
        .address_space:  global
        .offset:         16
        .size:           8
        .value_kind:     global_buffer
      - .actual_access:  read_only
        .address_space:  global
        .offset:         24
        .size:           8
        .value_kind:     global_buffer
      - .actual_access:  read_only
        .address_space:  global
        .offset:         32
        .size:           8
        .value_kind:     global_buffer
      - .actual_access:  read_only
        .address_space:  global
        .offset:         40
        .size:           8
        .value_kind:     global_buffer
      - .actual_access:  write_only
        .address_space:  global
        .offset:         48
        .size:           8
        .value_kind:     global_buffer
      - .actual_access:  read_only
        .address_space:  global
        .offset:         56
        .size:           8
        .value_kind:     global_buffer
      - .actual_access:  write_only
        .address_space:  global
        .offset:         64
        .size:           8
        .value_kind:     global_buffer
      - .actual_access:  read_only
        .address_space:  global
        .offset:         72
        .size:           8
        .value_kind:     global_buffer
      - .actual_access:  read_only
        .address_space:  global
        .offset:         80
        .size:           8
        .value_kind:     global_buffer
      - .offset:         88
        .size:           4
        .value_kind:     by_value
      - .offset:         92
        .size:           4
        .value_kind:     by_value
      - .offset:         96
        .size:           4
        .value_kind:     by_value
      - .offset:         100
        .size:           4
        .value_kind:     by_value
      - .offset:         104
        .size:           4
        .value_kind:     by_value
      - .offset:         112
        .size:           8
        .value_kind:     by_value
      - .offset:         120
        .size:           8
        .value_kind:     by_value
      - .offset:         128
        .size:           8
        .value_kind:     by_value
    .group_segment_fixed_size: 40960
    .kernarg_segment_align: 8
    .kernarg_segment_size: 136
    .language:       OpenCL C
    .language_version:
      - 2
      - 0
    .max_flat_workgroup_size: 256
    .name:           _ZN12_GLOBAL__N_139chunk_gated_delta_rule_fwd_h_hip_kernelILi16ELb1ELb1ELb0ELb1ELb1ELb1ELb0ELb1EEEvPK12hip_bfloat16S3_S3_PKfS5_PKvPS1_S8_PvPKiSB_iiiiilll
    .private_segment_fixed_size: 0
    .sgpr_count:     71
    .sgpr_spill_count: 0
    .symbol:         _ZN12_GLOBAL__N_139chunk_gated_delta_rule_fwd_h_hip_kernelILi16ELb1ELb1ELb0ELb1ELb1ELb1ELb0ELb1EEEvPK12hip_bfloat16S3_S3_PKfS5_PKvPS1_S8_PvPKiSB_iiiiilll.kd
    .uniform_work_group_size: 1
    .uses_dynamic_stack: false
    .vgpr_count:     128
    .vgpr_spill_count: 0
    .wavefront_size: 64
  - .agpr_count:     12
    .args:
      - .actual_access:  read_only
        .address_space:  global
        .offset:         0
        .size:           8
        .value_kind:     global_buffer
      - .actual_access:  read_only
        .address_space:  global
        .offset:         8
        .size:           8
        .value_kind:     global_buffer
      - .actual_access:  read_only
        .address_space:  global
        .offset:         16
        .size:           8
        .value_kind:     global_buffer
      - .actual_access:  read_only
        .address_space:  global
        .offset:         24
        .size:           8
        .value_kind:     global_buffer
      - .actual_access:  read_only
        .address_space:  global
        .offset:         32
        .size:           8
        .value_kind:     global_buffer
      - .actual_access:  read_only
        .address_space:  global
        .offset:         40
        .size:           8
        .value_kind:     global_buffer
      - .actual_access:  write_only
        .address_space:  global
        .offset:         48
        .size:           8
        .value_kind:     global_buffer
      - .actual_access:  write_only
        .address_space:  global
        .offset:         56
        .size:           8
        .value_kind:     global_buffer
      - .actual_access:  read_only
        .address_space:  global
        .offset:         64
        .size:           8
        .value_kind:     global_buffer
      - .actual_access:  read_only
        .address_space:  global
        .offset:         72
        .size:           8
        .value_kind:     global_buffer
      - .actual_access:  read_only
        .address_space:  global
        .offset:         80
        .size:           8
        .value_kind:     global_buffer
      - .offset:         88
        .size:           4
        .value_kind:     by_value
      - .offset:         92
        .size:           4
        .value_kind:     by_value
      - .offset:         96
        .size:           4
        .value_kind:     by_value
      - .offset:         100
        .size:           4
        .value_kind:     by_value
      - .offset:         104
        .size:           4
        .value_kind:     by_value
      - .offset:         112
        .size:           8
        .value_kind:     by_value
      - .offset:         120
        .size:           8
        .value_kind:     by_value
      - .offset:         128
        .size:           8
        .value_kind:     by_value
    .group_segment_fixed_size: 40960
    .kernarg_segment_align: 8
    .kernarg_segment_size: 136
    .language:       OpenCL C
    .language_version:
      - 2
      - 0
    .max_flat_workgroup_size: 256
    .name:           _ZN12_GLOBAL__N_139chunk_gated_delta_rule_fwd_h_hip_kernelILi16ELb1ELb0ELb1ELb1ELb1ELb1ELb0ELb1EEEvPK12hip_bfloat16S3_S3_PKfS5_PKvPS1_S8_PvPKiSB_iiiiilll
    .private_segment_fixed_size: 0
    .sgpr_count:     69
    .sgpr_spill_count: 0
    .symbol:         _ZN12_GLOBAL__N_139chunk_gated_delta_rule_fwd_h_hip_kernelILi16ELb1ELb0ELb1ELb1ELb1ELb1ELb0ELb1EEEvPK12hip_bfloat16S3_S3_PKfS5_PKvPS1_S8_PvPKiSB_iiiiilll.kd
    .uniform_work_group_size: 1
    .uses_dynamic_stack: false
    .vgpr_count:     128
    .vgpr_spill_count: 0
    .wavefront_size: 64
  - .agpr_count:     12
    .args:
      - .actual_access:  read_only
        .address_space:  global
        .offset:         0
        .size:           8
        .value_kind:     global_buffer
      - .actual_access:  read_only
        .address_space:  global
        .offset:         8
        .size:           8
        .value_kind:     global_buffer
      - .actual_access:  read_only
        .address_space:  global
        .offset:         16
        .size:           8
        .value_kind:     global_buffer
      - .actual_access:  read_only
        .address_space:  global
        .offset:         24
        .size:           8
        .value_kind:     global_buffer
      - .actual_access:  read_only
        .address_space:  global
        .offset:         32
        .size:           8
        .value_kind:     global_buffer
      - .actual_access:  read_only
        .address_space:  global
        .offset:         40
        .size:           8
        .value_kind:     global_buffer
      - .actual_access:  write_only
        .address_space:  global
        .offset:         48
        .size:           8
        .value_kind:     global_buffer
      - .actual_access:  read_only
        .address_space:  global
        .offset:         56
        .size:           8
        .value_kind:     global_buffer
      - .actual_access:  read_only
        .address_space:  global
        .offset:         64
        .size:           8
        .value_kind:     global_buffer
      - .actual_access:  read_only
        .address_space:  global
        .offset:         72
        .size:           8
        .value_kind:     global_buffer
      - .actual_access:  read_only
        .address_space:  global
        .offset:         80
        .size:           8
        .value_kind:     global_buffer
      - .offset:         88
        .size:           4
        .value_kind:     by_value
      - .offset:         92
        .size:           4
        .value_kind:     by_value
      - .offset:         96
        .size:           4
        .value_kind:     by_value
      - .offset:         100
        .size:           4
        .value_kind:     by_value
      - .offset:         104
        .size:           4
        .value_kind:     by_value
      - .offset:         112
        .size:           8
        .value_kind:     by_value
      - .offset:         120
        .size:           8
        .value_kind:     by_value
      - .offset:         128
        .size:           8
        .value_kind:     by_value
    .group_segment_fixed_size: 40960
    .kernarg_segment_align: 8
    .kernarg_segment_size: 136
    .language:       OpenCL C
    .language_version:
      - 2
      - 0
    .max_flat_workgroup_size: 256
    .name:           _ZN12_GLOBAL__N_139chunk_gated_delta_rule_fwd_h_hip_kernelILi16ELb1ELb0ELb0ELb1ELb1ELb1ELb0ELb1EEEvPK12hip_bfloat16S3_S3_PKfS5_PKvPS1_S8_PvPKiSB_iiiiilll
    .private_segment_fixed_size: 0
    .sgpr_count:     67
    .sgpr_spill_count: 0
    .symbol:         _ZN12_GLOBAL__N_139chunk_gated_delta_rule_fwd_h_hip_kernelILi16ELb1ELb0ELb0ELb1ELb1ELb1ELb0ELb1EEEvPK12hip_bfloat16S3_S3_PKfS5_PKvPS1_S8_PvPKiSB_iiiiilll.kd
    .uniform_work_group_size: 1
    .uses_dynamic_stack: false
    .vgpr_count:     124
    .vgpr_spill_count: 0
    .wavefront_size: 64
  - .agpr_count:     12
    .args:
      - .actual_access:  read_only
        .address_space:  global
        .offset:         0
        .size:           8
        .value_kind:     global_buffer
      - .actual_access:  read_only
        .address_space:  global
        .offset:         8
        .size:           8
        .value_kind:     global_buffer
      - .actual_access:  read_only
        .address_space:  global
        .offset:         16
        .size:           8
        .value_kind:     global_buffer
      - .actual_access:  read_only
        .address_space:  global
        .offset:         24
        .size:           8
        .value_kind:     global_buffer
      - .actual_access:  read_only
        .address_space:  global
        .offset:         32
        .size:           8
        .value_kind:     global_buffer
      - .actual_access:  read_only
        .address_space:  global
        .offset:         40
        .size:           8
        .value_kind:     global_buffer
      - .actual_access:  write_only
        .address_space:  global
        .offset:         48
        .size:           8
        .value_kind:     global_buffer
      - .actual_access:  write_only
        .address_space:  global
        .offset:         56
        .size:           8
        .value_kind:     global_buffer
      - .actual_access:  write_only
        .address_space:  global
        .offset:         64
        .size:           8
        .value_kind:     global_buffer
      - .actual_access:  read_only
        .address_space:  global
        .offset:         72
        .size:           8
        .value_kind:     global_buffer
      - .actual_access:  read_only
        .address_space:  global
        .offset:         80
        .size:           8
        .value_kind:     global_buffer
      - .offset:         88
        .size:           4
        .value_kind:     by_value
      - .offset:         92
        .size:           4
        .value_kind:     by_value
      - .offset:         96
        .size:           4
        .value_kind:     by_value
      - .offset:         100
        .size:           4
        .value_kind:     by_value
      - .offset:         104
        .size:           4
        .value_kind:     by_value
      - .offset:         112
        .size:           8
        .value_kind:     by_value
      - .offset:         120
        .size:           8
        .value_kind:     by_value
      - .offset:         128
        .size:           8
        .value_kind:     by_value
    .group_segment_fixed_size: 40960
    .kernarg_segment_align: 8
    .kernarg_segment_size: 136
    .language:       OpenCL C
    .language_version:
      - 2
      - 0
    .max_flat_workgroup_size: 256
    .name:           _ZN12_GLOBAL__N_139chunk_gated_delta_rule_fwd_h_hip_kernelILi16ELb0ELb1ELb1ELb1ELb1ELb1ELb0ELb1EEEvPK12hip_bfloat16S3_S3_PKfS5_PKvPS1_S8_PvPKiSB_iiiiilll
    .private_segment_fixed_size: 0
    .sgpr_count:     76
    .sgpr_spill_count: 0
    .symbol:         _ZN12_GLOBAL__N_139chunk_gated_delta_rule_fwd_h_hip_kernelILi16ELb0ELb1ELb1ELb1ELb1ELb1ELb0ELb1EEEvPK12hip_bfloat16S3_S3_PKfS5_PKvPS1_S8_PvPKiSB_iiiiilll.kd
    .uniform_work_group_size: 1
    .uses_dynamic_stack: false
    .vgpr_count:     128
    .vgpr_spill_count: 0
    .wavefront_size: 64
  - .agpr_count:     12
    .args:
      - .actual_access:  read_only
        .address_space:  global
        .offset:         0
        .size:           8
        .value_kind:     global_buffer
      - .actual_access:  read_only
        .address_space:  global
        .offset:         8
        .size:           8
        .value_kind:     global_buffer
      - .actual_access:  read_only
        .address_space:  global
        .offset:         16
        .size:           8
        .value_kind:     global_buffer
      - .actual_access:  read_only
        .address_space:  global
        .offset:         24
        .size:           8
        .value_kind:     global_buffer
      - .actual_access:  read_only
        .address_space:  global
        .offset:         32
        .size:           8
        .value_kind:     global_buffer
      - .actual_access:  read_only
        .address_space:  global
        .offset:         40
        .size:           8
        .value_kind:     global_buffer
      - .actual_access:  write_only
        .address_space:  global
        .offset:         48
        .size:           8
        .value_kind:     global_buffer
      - .actual_access:  read_only
        .address_space:  global
        .offset:         56
        .size:           8
        .value_kind:     global_buffer
      - .actual_access:  write_only
        .address_space:  global
        .offset:         64
        .size:           8
        .value_kind:     global_buffer
      - .actual_access:  read_only
        .address_space:  global
        .offset:         72
        .size:           8
        .value_kind:     global_buffer
      - .actual_access:  read_only
        .address_space:  global
        .offset:         80
        .size:           8
        .value_kind:     global_buffer
      - .offset:         88
        .size:           4
        .value_kind:     by_value
      - .offset:         92
        .size:           4
        .value_kind:     by_value
      - .offset:         96
        .size:           4
        .value_kind:     by_value
      - .offset:         100
        .size:           4
        .value_kind:     by_value
      - .offset:         104
        .size:           4
        .value_kind:     by_value
      - .offset:         112
        .size:           8
        .value_kind:     by_value
      - .offset:         120
        .size:           8
        .value_kind:     by_value
      - .offset:         128
        .size:           8
        .value_kind:     by_value
    .group_segment_fixed_size: 40960
    .kernarg_segment_align: 8
    .kernarg_segment_size: 136
    .language:       OpenCL C
    .language_version:
      - 2
      - 0
    .max_flat_workgroup_size: 256
    .name:           _ZN12_GLOBAL__N_139chunk_gated_delta_rule_fwd_h_hip_kernelILi16ELb0ELb1ELb0ELb1ELb1ELb1ELb0ELb1EEEvPK12hip_bfloat16S3_S3_PKfS5_PKvPS1_S8_PvPKiSB_iiiiilll
    .private_segment_fixed_size: 0
    .sgpr_count:     71
    .sgpr_spill_count: 0
    .symbol:         _ZN12_GLOBAL__N_139chunk_gated_delta_rule_fwd_h_hip_kernelILi16ELb0ELb1ELb0ELb1ELb1ELb1ELb0ELb1EEEvPK12hip_bfloat16S3_S3_PKfS5_PKvPS1_S8_PvPKiSB_iiiiilll.kd
    .uniform_work_group_size: 1
    .uses_dynamic_stack: false
    .vgpr_count:     124
    .vgpr_spill_count: 0
    .wavefront_size: 64
  - .agpr_count:     12
    .args:
      - .actual_access:  read_only
        .address_space:  global
        .offset:         0
        .size:           8
        .value_kind:     global_buffer
      - .actual_access:  read_only
        .address_space:  global
        .offset:         8
        .size:           8
        .value_kind:     global_buffer
      - .actual_access:  read_only
        .address_space:  global
        .offset:         16
        .size:           8
        .value_kind:     global_buffer
      - .actual_access:  read_only
        .address_space:  global
        .offset:         24
        .size:           8
        .value_kind:     global_buffer
      - .actual_access:  read_only
        .address_space:  global
        .offset:         32
        .size:           8
        .value_kind:     global_buffer
      - .actual_access:  read_only
        .address_space:  global
        .offset:         40
        .size:           8
        .value_kind:     global_buffer
      - .actual_access:  write_only
        .address_space:  global
        .offset:         48
        .size:           8
        .value_kind:     global_buffer
      - .actual_access:  write_only
        .address_space:  global
        .offset:         56
        .size:           8
        .value_kind:     global_buffer
      - .actual_access:  read_only
        .address_space:  global
        .offset:         64
        .size:           8
        .value_kind:     global_buffer
      - .actual_access:  read_only
        .address_space:  global
        .offset:         72
        .size:           8
        .value_kind:     global_buffer
      - .actual_access:  read_only
        .address_space:  global
        .offset:         80
        .size:           8
        .value_kind:     global_buffer
      - .offset:         88
        .size:           4
        .value_kind:     by_value
      - .offset:         92
        .size:           4
        .value_kind:     by_value
      - .offset:         96
        .size:           4
        .value_kind:     by_value
      - .offset:         100
        .size:           4
        .value_kind:     by_value
      - .offset:         104
        .size:           4
        .value_kind:     by_value
      - .offset:         112
        .size:           8
        .value_kind:     by_value
      - .offset:         120
        .size:           8
        .value_kind:     by_value
      - .offset:         128
        .size:           8
        .value_kind:     by_value
    .group_segment_fixed_size: 40960
    .kernarg_segment_align: 8
    .kernarg_segment_size: 136
    .language:       OpenCL C
    .language_version:
      - 2
      - 0
    .max_flat_workgroup_size: 256
    .name:           _ZN12_GLOBAL__N_139chunk_gated_delta_rule_fwd_h_hip_kernelILi16ELb0ELb0ELb1ELb1ELb1ELb1ELb0ELb1EEEvPK12hip_bfloat16S3_S3_PKfS5_PKvPS1_S8_PvPKiSB_iiiiilll
    .private_segment_fixed_size: 0
    .sgpr_count:     68
    .sgpr_spill_count: 0
    .symbol:         _ZN12_GLOBAL__N_139chunk_gated_delta_rule_fwd_h_hip_kernelILi16ELb0ELb0ELb1ELb1ELb1ELb1ELb0ELb1EEEvPK12hip_bfloat16S3_S3_PKfS5_PKvPS1_S8_PvPKiSB_iiiiilll.kd
    .uniform_work_group_size: 1
    .uses_dynamic_stack: false
    .vgpr_count:     128
    .vgpr_spill_count: 0
    .wavefront_size: 64
  - .agpr_count:     12
    .args:
      - .actual_access:  read_only
        .address_space:  global
        .offset:         0
        .size:           8
        .value_kind:     global_buffer
      - .actual_access:  read_only
        .address_space:  global
        .offset:         8
        .size:           8
        .value_kind:     global_buffer
      - .actual_access:  read_only
        .address_space:  global
        .offset:         16
        .size:           8
        .value_kind:     global_buffer
      - .actual_access:  read_only
        .address_space:  global
        .offset:         24
        .size:           8
        .value_kind:     global_buffer
      - .actual_access:  read_only
        .address_space:  global
        .offset:         32
        .size:           8
        .value_kind:     global_buffer
      - .actual_access:  read_only
        .address_space:  global
        .offset:         40
        .size:           8
        .value_kind:     global_buffer
      - .actual_access:  write_only
        .address_space:  global
        .offset:         48
        .size:           8
        .value_kind:     global_buffer
      - .actual_access:  read_only
        .address_space:  global
        .offset:         56
        .size:           8
        .value_kind:     global_buffer
      - .actual_access:  read_only
        .address_space:  global
        .offset:         64
        .size:           8
        .value_kind:     global_buffer
      - .actual_access:  read_only
        .address_space:  global
        .offset:         72
        .size:           8
        .value_kind:     global_buffer
      - .actual_access:  read_only
        .address_space:  global
        .offset:         80
        .size:           8
        .value_kind:     global_buffer
      - .offset:         88
        .size:           4
        .value_kind:     by_value
      - .offset:         92
        .size:           4
        .value_kind:     by_value
      - .offset:         96
        .size:           4
        .value_kind:     by_value
      - .offset:         100
        .size:           4
        .value_kind:     by_value
      - .offset:         104
        .size:           4
        .value_kind:     by_value
      - .offset:         112
        .size:           8
        .value_kind:     by_value
      - .offset:         120
        .size:           8
        .value_kind:     by_value
      - .offset:         128
        .size:           8
        .value_kind:     by_value
    .group_segment_fixed_size: 40960
    .kernarg_segment_align: 8
    .kernarg_segment_size: 136
    .language:       OpenCL C
    .language_version:
      - 2
      - 0
    .max_flat_workgroup_size: 256
    .name:           _ZN12_GLOBAL__N_139chunk_gated_delta_rule_fwd_h_hip_kernelILi16ELb0ELb0ELb0ELb1ELb1ELb1ELb0ELb1EEEvPK12hip_bfloat16S3_S3_PKfS5_PKvPS1_S8_PvPKiSB_iiiiilll
    .private_segment_fixed_size: 0
    .sgpr_count:     66
    .sgpr_spill_count: 0
    .symbol:         _ZN12_GLOBAL__N_139chunk_gated_delta_rule_fwd_h_hip_kernelILi16ELb0ELb0ELb0ELb1ELb1ELb1ELb0ELb1EEEvPK12hip_bfloat16S3_S3_PKfS5_PKvPS1_S8_PvPKiSB_iiiiilll.kd
    .uniform_work_group_size: 1
    .uses_dynamic_stack: false
    .vgpr_count:     124
    .vgpr_spill_count: 0
    .wavefront_size: 64
  - .agpr_count:     12
    .args:
      - .actual_access:  read_only
        .address_space:  global
        .offset:         0
        .size:           8
        .value_kind:     global_buffer
      - .actual_access:  read_only
        .address_space:  global
        .offset:         8
        .size:           8
        .value_kind:     global_buffer
      - .actual_access:  read_only
        .address_space:  global
        .offset:         16
        .size:           8
        .value_kind:     global_buffer
      - .actual_access:  read_only
        .address_space:  global
        .offset:         24
        .size:           8
        .value_kind:     global_buffer
      - .actual_access:  read_only
        .address_space:  global
        .offset:         32
        .size:           8
        .value_kind:     global_buffer
      - .actual_access:  read_only
        .address_space:  global
        .offset:         40
        .size:           8
        .value_kind:     global_buffer
      - .actual_access:  write_only
        .address_space:  global
        .offset:         48
        .size:           8
        .value_kind:     global_buffer
      - .actual_access:  write_only
        .address_space:  global
        .offset:         56
        .size:           8
        .value_kind:     global_buffer
      - .actual_access:  write_only
        .address_space:  global
        .offset:         64
        .size:           8
        .value_kind:     global_buffer
      - .actual_access:  read_only
        .address_space:  global
        .offset:         72
        .size:           8
        .value_kind:     global_buffer
      - .actual_access:  read_only
        .address_space:  global
        .offset:         80
        .size:           8
        .value_kind:     global_buffer
      - .offset:         88
        .size:           4
        .value_kind:     by_value
      - .offset:         92
        .size:           4
        .value_kind:     by_value
      - .offset:         96
        .size:           4
        .value_kind:     by_value
      - .offset:         100
        .size:           4
        .value_kind:     by_value
      - .offset:         104
        .size:           4
        .value_kind:     by_value
      - .offset:         112
        .size:           8
        .value_kind:     by_value
      - .offset:         120
        .size:           8
        .value_kind:     by_value
      - .offset:         128
        .size:           8
        .value_kind:     by_value
    .group_segment_fixed_size: 40960
    .kernarg_segment_align: 8
    .kernarg_segment_size: 136
    .language:       OpenCL C
    .language_version:
      - 2
      - 0
    .max_flat_workgroup_size: 256
    .name:           _ZN12_GLOBAL__N_139chunk_gated_delta_rule_fwd_h_hip_kernelILi16ELb1ELb1ELb1ELb0ELb1ELb1ELb0ELb1EEEvPK12hip_bfloat16S3_S3_PKfS5_PKvPS1_S8_PvPKiSB_iiiiilll
    .private_segment_fixed_size: 0
    .sgpr_count:     82
    .sgpr_spill_count: 0
    .symbol:         _ZN12_GLOBAL__N_139chunk_gated_delta_rule_fwd_h_hip_kernelILi16ELb1ELb1ELb1ELb0ELb1ELb1ELb0ELb1EEEvPK12hip_bfloat16S3_S3_PKfS5_PKvPS1_S8_PvPKiSB_iiiiilll.kd
    .uniform_work_group_size: 1
    .uses_dynamic_stack: false
    .vgpr_count:     132
    .vgpr_spill_count: 0
    .wavefront_size: 64
  - .agpr_count:     12
    .args:
      - .actual_access:  read_only
        .address_space:  global
        .offset:         0
        .size:           8
        .value_kind:     global_buffer
      - .actual_access:  read_only
        .address_space:  global
        .offset:         8
        .size:           8
        .value_kind:     global_buffer
      - .actual_access:  read_only
        .address_space:  global
        .offset:         16
        .size:           8
        .value_kind:     global_buffer
      - .actual_access:  read_only
        .address_space:  global
        .offset:         24
        .size:           8
        .value_kind:     global_buffer
      - .actual_access:  read_only
        .address_space:  global
        .offset:         32
        .size:           8
        .value_kind:     global_buffer
      - .actual_access:  read_only
        .address_space:  global
        .offset:         40
        .size:           8
        .value_kind:     global_buffer
      - .actual_access:  write_only
        .address_space:  global
        .offset:         48
        .size:           8
        .value_kind:     global_buffer
      - .actual_access:  read_only
        .address_space:  global
        .offset:         56
        .size:           8
        .value_kind:     global_buffer
      - .actual_access:  write_only
        .address_space:  global
        .offset:         64
        .size:           8
        .value_kind:     global_buffer
      - .actual_access:  read_only
        .address_space:  global
        .offset:         72
        .size:           8
        .value_kind:     global_buffer
      - .actual_access:  read_only
        .address_space:  global
        .offset:         80
        .size:           8
        .value_kind:     global_buffer
      - .offset:         88
        .size:           4
        .value_kind:     by_value
      - .offset:         92
        .size:           4
        .value_kind:     by_value
      - .offset:         96
        .size:           4
        .value_kind:     by_value
      - .offset:         100
        .size:           4
        .value_kind:     by_value
      - .offset:         104
        .size:           4
        .value_kind:     by_value
      - .offset:         112
        .size:           8
        .value_kind:     by_value
      - .offset:         120
        .size:           8
        .value_kind:     by_value
      - .offset:         128
        .size:           8
        .value_kind:     by_value
    .group_segment_fixed_size: 40960
    .kernarg_segment_align: 8
    .kernarg_segment_size: 136
    .language:       OpenCL C
    .language_version:
      - 2
      - 0
    .max_flat_workgroup_size: 256
    .name:           _ZN12_GLOBAL__N_139chunk_gated_delta_rule_fwd_h_hip_kernelILi16ELb1ELb1ELb0ELb0ELb1ELb1ELb0ELb1EEEvPK12hip_bfloat16S3_S3_PKfS5_PKvPS1_S8_PvPKiSB_iiiiilll
    .private_segment_fixed_size: 0
    .sgpr_count:     77
    .sgpr_spill_count: 0
    .symbol:         _ZN12_GLOBAL__N_139chunk_gated_delta_rule_fwd_h_hip_kernelILi16ELb1ELb1ELb0ELb0ELb1ELb1ELb0ELb1EEEvPK12hip_bfloat16S3_S3_PKfS5_PKvPS1_S8_PvPKiSB_iiiiilll.kd
    .uniform_work_group_size: 1
    .uses_dynamic_stack: false
    .vgpr_count:     128
    .vgpr_spill_count: 0
    .wavefront_size: 64
  - .agpr_count:     12
    .args:
      - .actual_access:  read_only
        .address_space:  global
        .offset:         0
        .size:           8
        .value_kind:     global_buffer
      - .actual_access:  read_only
        .address_space:  global
        .offset:         8
        .size:           8
        .value_kind:     global_buffer
      - .actual_access:  read_only
        .address_space:  global
        .offset:         16
        .size:           8
        .value_kind:     global_buffer
      - .actual_access:  read_only
        .address_space:  global
        .offset:         24
        .size:           8
        .value_kind:     global_buffer
      - .actual_access:  read_only
        .address_space:  global
        .offset:         32
        .size:           8
        .value_kind:     global_buffer
      - .actual_access:  read_only
        .address_space:  global
        .offset:         40
        .size:           8
        .value_kind:     global_buffer
      - .actual_access:  write_only
        .address_space:  global
        .offset:         48
        .size:           8
        .value_kind:     global_buffer
      - .actual_access:  write_only
        .address_space:  global
        .offset:         56
        .size:           8
        .value_kind:     global_buffer
      - .actual_access:  read_only
        .address_space:  global
        .offset:         64
        .size:           8
        .value_kind:     global_buffer
      - .actual_access:  read_only
        .address_space:  global
        .offset:         72
        .size:           8
        .value_kind:     global_buffer
      - .actual_access:  read_only
        .address_space:  global
        .offset:         80
        .size:           8
        .value_kind:     global_buffer
      - .offset:         88
        .size:           4
        .value_kind:     by_value
      - .offset:         92
        .size:           4
        .value_kind:     by_value
      - .offset:         96
        .size:           4
        .value_kind:     by_value
      - .offset:         100
        .size:           4
        .value_kind:     by_value
      - .offset:         104
        .size:           4
        .value_kind:     by_value
      - .offset:         112
        .size:           8
        .value_kind:     by_value
      - .offset:         120
        .size:           8
        .value_kind:     by_value
      - .offset:         128
        .size:           8
        .value_kind:     by_value
    .group_segment_fixed_size: 40960
    .kernarg_segment_align: 8
    .kernarg_segment_size: 136
    .language:       OpenCL C
    .language_version:
      - 2
      - 0
    .max_flat_workgroup_size: 256
    .name:           _ZN12_GLOBAL__N_139chunk_gated_delta_rule_fwd_h_hip_kernelILi16ELb1ELb0ELb1ELb0ELb1ELb1ELb0ELb1EEEvPK12hip_bfloat16S3_S3_PKfS5_PKvPS1_S8_PvPKiSB_iiiiilll
    .private_segment_fixed_size: 0
    .sgpr_count:     78
    .sgpr_spill_count: 0
    .symbol:         _ZN12_GLOBAL__N_139chunk_gated_delta_rule_fwd_h_hip_kernelILi16ELb1ELb0ELb1ELb0ELb1ELb1ELb0ELb1EEEvPK12hip_bfloat16S3_S3_PKfS5_PKvPS1_S8_PvPKiSB_iiiiilll.kd
    .uniform_work_group_size: 1
    .uses_dynamic_stack: false
    .vgpr_count:     128
    .vgpr_spill_count: 0
    .wavefront_size: 64
  - .agpr_count:     12
    .args:
      - .actual_access:  read_only
        .address_space:  global
        .offset:         0
        .size:           8
        .value_kind:     global_buffer
      - .actual_access:  read_only
        .address_space:  global
        .offset:         8
        .size:           8
        .value_kind:     global_buffer
      - .actual_access:  read_only
        .address_space:  global
        .offset:         16
        .size:           8
        .value_kind:     global_buffer
      - .actual_access:  read_only
        .address_space:  global
        .offset:         24
        .size:           8
        .value_kind:     global_buffer
      - .actual_access:  read_only
        .address_space:  global
        .offset:         32
        .size:           8
        .value_kind:     global_buffer
      - .actual_access:  read_only
        .address_space:  global
        .offset:         40
        .size:           8
        .value_kind:     global_buffer
      - .actual_access:  write_only
        .address_space:  global
        .offset:         48
        .size:           8
        .value_kind:     global_buffer
      - .actual_access:  read_only
        .address_space:  global
        .offset:         56
        .size:           8
        .value_kind:     global_buffer
      - .actual_access:  read_only
        .address_space:  global
        .offset:         64
        .size:           8
        .value_kind:     global_buffer
      - .actual_access:  read_only
        .address_space:  global
        .offset:         72
        .size:           8
        .value_kind:     global_buffer
      - .actual_access:  read_only
        .address_space:  global
        .offset:         80
        .size:           8
        .value_kind:     global_buffer
      - .offset:         88
        .size:           4
        .value_kind:     by_value
      - .offset:         92
        .size:           4
        .value_kind:     by_value
      - .offset:         96
        .size:           4
        .value_kind:     by_value
      - .offset:         100
        .size:           4
        .value_kind:     by_value
      - .offset:         104
        .size:           4
        .value_kind:     by_value
      - .offset:         112
        .size:           8
        .value_kind:     by_value
      - .offset:         120
        .size:           8
        .value_kind:     by_value
      - .offset:         128
        .size:           8
        .value_kind:     by_value
    .group_segment_fixed_size: 40960
    .kernarg_segment_align: 8
    .kernarg_segment_size: 136
    .language:       OpenCL C
    .language_version:
      - 2
      - 0
    .max_flat_workgroup_size: 256
    .name:           _ZN12_GLOBAL__N_139chunk_gated_delta_rule_fwd_h_hip_kernelILi16ELb1ELb0ELb0ELb0ELb1ELb1ELb0ELb1EEEvPK12hip_bfloat16S3_S3_PKfS5_PKvPS1_S8_PvPKiSB_iiiiilll
    .private_segment_fixed_size: 0
    .sgpr_count:     73
    .sgpr_spill_count: 0
    .symbol:         _ZN12_GLOBAL__N_139chunk_gated_delta_rule_fwd_h_hip_kernelILi16ELb1ELb0ELb0ELb0ELb1ELb1ELb0ELb1EEEvPK12hip_bfloat16S3_S3_PKfS5_PKvPS1_S8_PvPKiSB_iiiiilll.kd
    .uniform_work_group_size: 1
    .uses_dynamic_stack: false
    .vgpr_count:     124
    .vgpr_spill_count: 0
    .wavefront_size: 64
  - .agpr_count:     12
    .args:
      - .actual_access:  read_only
        .address_space:  global
        .offset:         0
        .size:           8
        .value_kind:     global_buffer
      - .actual_access:  read_only
        .address_space:  global
        .offset:         8
        .size:           8
        .value_kind:     global_buffer
      - .actual_access:  read_only
        .address_space:  global
        .offset:         16
        .size:           8
        .value_kind:     global_buffer
      - .actual_access:  read_only
        .address_space:  global
        .offset:         24
        .size:           8
        .value_kind:     global_buffer
      - .actual_access:  read_only
        .address_space:  global
        .offset:         32
        .size:           8
        .value_kind:     global_buffer
      - .actual_access:  read_only
        .address_space:  global
        .offset:         40
        .size:           8
        .value_kind:     global_buffer
      - .actual_access:  write_only
        .address_space:  global
        .offset:         48
        .size:           8
        .value_kind:     global_buffer
      - .actual_access:  write_only
        .address_space:  global
        .offset:         56
        .size:           8
        .value_kind:     global_buffer
      - .actual_access:  write_only
        .address_space:  global
        .offset:         64
        .size:           8
        .value_kind:     global_buffer
      - .actual_access:  read_only
        .address_space:  global
        .offset:         72
        .size:           8
        .value_kind:     global_buffer
      - .actual_access:  read_only
        .address_space:  global
        .offset:         80
        .size:           8
        .value_kind:     global_buffer
      - .offset:         88
        .size:           4
        .value_kind:     by_value
      - .offset:         92
        .size:           4
        .value_kind:     by_value
      - .offset:         96
        .size:           4
        .value_kind:     by_value
      - .offset:         100
        .size:           4
        .value_kind:     by_value
      - .offset:         104
        .size:           4
        .value_kind:     by_value
      - .offset:         112
        .size:           8
        .value_kind:     by_value
      - .offset:         120
        .size:           8
        .value_kind:     by_value
      - .offset:         128
        .size:           8
        .value_kind:     by_value
    .group_segment_fixed_size: 40960
    .kernarg_segment_align: 8
    .kernarg_segment_size: 136
    .language:       OpenCL C
    .language_version:
      - 2
      - 0
    .max_flat_workgroup_size: 256
    .name:           _ZN12_GLOBAL__N_139chunk_gated_delta_rule_fwd_h_hip_kernelILi16ELb0ELb1ELb1ELb0ELb1ELb1ELb0ELb1EEEvPK12hip_bfloat16S3_S3_PKfS5_PKvPS1_S8_PvPKiSB_iiiiilll
    .private_segment_fixed_size: 0
    .sgpr_count:     76
    .sgpr_spill_count: 0
    .symbol:         _ZN12_GLOBAL__N_139chunk_gated_delta_rule_fwd_h_hip_kernelILi16ELb0ELb1ELb1ELb0ELb1ELb1ELb0ELb1EEEvPK12hip_bfloat16S3_S3_PKfS5_PKvPS1_S8_PvPKiSB_iiiiilll.kd
    .uniform_work_group_size: 1
    .uses_dynamic_stack: false
    .vgpr_count:     128
    .vgpr_spill_count: 0
    .wavefront_size: 64
  - .agpr_count:     12
    .args:
      - .actual_access:  read_only
        .address_space:  global
        .offset:         0
        .size:           8
        .value_kind:     global_buffer
      - .actual_access:  read_only
        .address_space:  global
        .offset:         8
        .size:           8
        .value_kind:     global_buffer
      - .actual_access:  read_only
        .address_space:  global
        .offset:         16
        .size:           8
        .value_kind:     global_buffer
      - .actual_access:  read_only
        .address_space:  global
        .offset:         24
        .size:           8
        .value_kind:     global_buffer
      - .actual_access:  read_only
        .address_space:  global
        .offset:         32
        .size:           8
        .value_kind:     global_buffer
      - .actual_access:  read_only
        .address_space:  global
        .offset:         40
        .size:           8
        .value_kind:     global_buffer
      - .actual_access:  write_only
        .address_space:  global
        .offset:         48
        .size:           8
        .value_kind:     global_buffer
      - .actual_access:  read_only
        .address_space:  global
        .offset:         56
        .size:           8
        .value_kind:     global_buffer
      - .actual_access:  write_only
        .address_space:  global
        .offset:         64
        .size:           8
        .value_kind:     global_buffer
      - .actual_access:  read_only
        .address_space:  global
        .offset:         72
        .size:           8
        .value_kind:     global_buffer
      - .actual_access:  read_only
        .address_space:  global
        .offset:         80
        .size:           8
        .value_kind:     global_buffer
      - .offset:         88
        .size:           4
        .value_kind:     by_value
      - .offset:         92
        .size:           4
        .value_kind:     by_value
      - .offset:         96
        .size:           4
        .value_kind:     by_value
      - .offset:         100
        .size:           4
        .value_kind:     by_value
      - .offset:         104
        .size:           4
        .value_kind:     by_value
      - .offset:         112
        .size:           8
        .value_kind:     by_value
      - .offset:         120
        .size:           8
        .value_kind:     by_value
      - .offset:         128
        .size:           8
        .value_kind:     by_value
    .group_segment_fixed_size: 40960
    .kernarg_segment_align: 8
    .kernarg_segment_size: 136
    .language:       OpenCL C
    .language_version:
      - 2
      - 0
    .max_flat_workgroup_size: 256
    .name:           _ZN12_GLOBAL__N_139chunk_gated_delta_rule_fwd_h_hip_kernelILi16ELb0ELb1ELb0ELb0ELb1ELb1ELb0ELb1EEEvPK12hip_bfloat16S3_S3_PKfS5_PKvPS1_S8_PvPKiSB_iiiiilll
    .private_segment_fixed_size: 0
    .sgpr_count:     72
    .sgpr_spill_count: 0
    .symbol:         _ZN12_GLOBAL__N_139chunk_gated_delta_rule_fwd_h_hip_kernelILi16ELb0ELb1ELb0ELb0ELb1ELb1ELb0ELb1EEEvPK12hip_bfloat16S3_S3_PKfS5_PKvPS1_S8_PvPKiSB_iiiiilll.kd
    .uniform_work_group_size: 1
    .uses_dynamic_stack: false
    .vgpr_count:     124
    .vgpr_spill_count: 0
    .wavefront_size: 64
  - .agpr_count:     12
    .args:
      - .actual_access:  read_only
        .address_space:  global
        .offset:         0
        .size:           8
        .value_kind:     global_buffer
      - .actual_access:  read_only
        .address_space:  global
        .offset:         8
        .size:           8
        .value_kind:     global_buffer
      - .actual_access:  read_only
        .address_space:  global
        .offset:         16
        .size:           8
        .value_kind:     global_buffer
      - .actual_access:  read_only
        .address_space:  global
        .offset:         24
        .size:           8
        .value_kind:     global_buffer
      - .actual_access:  read_only
        .address_space:  global
        .offset:         32
        .size:           8
        .value_kind:     global_buffer
      - .actual_access:  read_only
        .address_space:  global
        .offset:         40
        .size:           8
        .value_kind:     global_buffer
      - .actual_access:  write_only
        .address_space:  global
        .offset:         48
        .size:           8
        .value_kind:     global_buffer
      - .actual_access:  write_only
        .address_space:  global
        .offset:         56
        .size:           8
        .value_kind:     global_buffer
      - .actual_access:  read_only
        .address_space:  global
        .offset:         64
        .size:           8
        .value_kind:     global_buffer
      - .actual_access:  read_only
        .address_space:  global
        .offset:         72
        .size:           8
        .value_kind:     global_buffer
      - .actual_access:  read_only
        .address_space:  global
        .offset:         80
        .size:           8
        .value_kind:     global_buffer
      - .offset:         88
        .size:           4
        .value_kind:     by_value
      - .offset:         92
        .size:           4
        .value_kind:     by_value
      - .offset:         96
        .size:           4
        .value_kind:     by_value
      - .offset:         100
        .size:           4
        .value_kind:     by_value
      - .offset:         104
        .size:           4
        .value_kind:     by_value
      - .offset:         112
        .size:           8
        .value_kind:     by_value
      - .offset:         120
        .size:           8
        .value_kind:     by_value
      - .offset:         128
        .size:           8
        .value_kind:     by_value
    .group_segment_fixed_size: 40960
    .kernarg_segment_align: 8
    .kernarg_segment_size: 136
    .language:       OpenCL C
    .language_version:
      - 2
      - 0
    .max_flat_workgroup_size: 256
    .name:           _ZN12_GLOBAL__N_139chunk_gated_delta_rule_fwd_h_hip_kernelILi16ELb0ELb0ELb1ELb0ELb1ELb1ELb0ELb1EEEvPK12hip_bfloat16S3_S3_PKfS5_PKvPS1_S8_PvPKiSB_iiiiilll
    .private_segment_fixed_size: 0
    .sgpr_count:     74
    .sgpr_spill_count: 0
    .symbol:         _ZN12_GLOBAL__N_139chunk_gated_delta_rule_fwd_h_hip_kernelILi16ELb0ELb0ELb1ELb0ELb1ELb1ELb0ELb1EEEvPK12hip_bfloat16S3_S3_PKfS5_PKvPS1_S8_PvPKiSB_iiiiilll.kd
    .uniform_work_group_size: 1
    .uses_dynamic_stack: false
    .vgpr_count:     128
    .vgpr_spill_count: 0
    .wavefront_size: 64
  - .agpr_count:     12
    .args:
      - .actual_access:  read_only
        .address_space:  global
        .offset:         0
        .size:           8
        .value_kind:     global_buffer
      - .actual_access:  read_only
        .address_space:  global
        .offset:         8
        .size:           8
        .value_kind:     global_buffer
      - .actual_access:  read_only
        .address_space:  global
        .offset:         16
        .size:           8
        .value_kind:     global_buffer
      - .actual_access:  read_only
        .address_space:  global
        .offset:         24
        .size:           8
        .value_kind:     global_buffer
      - .actual_access:  read_only
        .address_space:  global
        .offset:         32
        .size:           8
        .value_kind:     global_buffer
      - .actual_access:  read_only
        .address_space:  global
        .offset:         40
        .size:           8
        .value_kind:     global_buffer
      - .actual_access:  write_only
        .address_space:  global
        .offset:         48
        .size:           8
        .value_kind:     global_buffer
      - .actual_access:  read_only
        .address_space:  global
        .offset:         56
        .size:           8
        .value_kind:     global_buffer
      - .actual_access:  read_only
        .address_space:  global
        .offset:         64
        .size:           8
        .value_kind:     global_buffer
      - .actual_access:  read_only
        .address_space:  global
        .offset:         72
        .size:           8
        .value_kind:     global_buffer
      - .actual_access:  read_only
        .address_space:  global
        .offset:         80
        .size:           8
        .value_kind:     global_buffer
      - .offset:         88
        .size:           4
        .value_kind:     by_value
      - .offset:         92
        .size:           4
        .value_kind:     by_value
      - .offset:         96
        .size:           4
        .value_kind:     by_value
      - .offset:         100
        .size:           4
        .value_kind:     by_value
      - .offset:         104
        .size:           4
        .value_kind:     by_value
      - .offset:         112
        .size:           8
        .value_kind:     by_value
      - .offset:         120
        .size:           8
        .value_kind:     by_value
      - .offset:         128
        .size:           8
        .value_kind:     by_value
    .group_segment_fixed_size: 40960
    .kernarg_segment_align: 8
    .kernarg_segment_size: 136
    .language:       OpenCL C
    .language_version:
      - 2
      - 0
    .max_flat_workgroup_size: 256
    .name:           _ZN12_GLOBAL__N_139chunk_gated_delta_rule_fwd_h_hip_kernelILi16ELb0ELb0ELb0ELb0ELb1ELb1ELb0ELb1EEEvPK12hip_bfloat16S3_S3_PKfS5_PKvPS1_S8_PvPKiSB_iiiiilll
    .private_segment_fixed_size: 0
    .sgpr_count:     70
    .sgpr_spill_count: 0
    .symbol:         _ZN12_GLOBAL__N_139chunk_gated_delta_rule_fwd_h_hip_kernelILi16ELb0ELb0ELb0ELb0ELb1ELb1ELb0ELb1EEEvPK12hip_bfloat16S3_S3_PKfS5_PKvPS1_S8_PvPKiSB_iiiiilll.kd
    .uniform_work_group_size: 1
    .uses_dynamic_stack: false
    .vgpr_count:     124
    .vgpr_spill_count: 0
    .wavefront_size: 64
  - .agpr_count:     8
    .args:
      - .actual_access:  read_only
        .address_space:  global
        .offset:         0
        .size:           8
        .value_kind:     global_buffer
      - .actual_access:  read_only
        .address_space:  global
        .offset:         8
        .size:           8
        .value_kind:     global_buffer
      - .actual_access:  read_only
        .address_space:  global
        .offset:         16
        .size:           8
        .value_kind:     global_buffer
      - .actual_access:  read_only
        .address_space:  global
        .offset:         24
        .size:           8
        .value_kind:     global_buffer
      - .actual_access:  read_only
        .address_space:  global
        .offset:         32
        .size:           8
        .value_kind:     global_buffer
      - .actual_access:  read_only
        .address_space:  global
        .offset:         40
        .size:           8
        .value_kind:     global_buffer
      - .actual_access:  write_only
        .address_space:  global
        .offset:         48
        .size:           8
        .value_kind:     global_buffer
      - .actual_access:  write_only
        .address_space:  global
        .offset:         56
        .size:           8
        .value_kind:     global_buffer
      - .actual_access:  write_only
        .address_space:  global
        .offset:         64
        .size:           8
        .value_kind:     global_buffer
      - .actual_access:  read_only
        .address_space:  global
        .offset:         72
        .size:           8
        .value_kind:     global_buffer
      - .actual_access:  read_only
        .address_space:  global
        .offset:         80
        .size:           8
        .value_kind:     global_buffer
      - .offset:         88
        .size:           4
        .value_kind:     by_value
      - .offset:         92
        .size:           4
        .value_kind:     by_value
      - .offset:         96
        .size:           4
        .value_kind:     by_value
      - .offset:         100
        .size:           4
        .value_kind:     by_value
      - .offset:         104
        .size:           4
        .value_kind:     by_value
      - .offset:         112
        .size:           8
        .value_kind:     by_value
      - .offset:         120
        .size:           8
        .value_kind:     by_value
      - .offset:         128
        .size:           8
        .value_kind:     by_value
    .group_segment_fixed_size: 40960
    .kernarg_segment_align: 8
    .kernarg_segment_size: 136
    .language:       OpenCL C
    .language_version:
      - 2
      - 0
    .max_flat_workgroup_size: 256
    .name:           _ZN12_GLOBAL__N_139chunk_gated_delta_rule_fwd_h_hip_kernelILi16ELb1ELb1ELb1ELb1ELb1ELb0ELb1ELb1EEEvPK12hip_bfloat16S3_S3_PKfS5_PKvPS1_S8_PvPKiSB_iiiiilll
    .private_segment_fixed_size: 0
    .sgpr_count:     74
    .sgpr_spill_count: 0
    .symbol:         _ZN12_GLOBAL__N_139chunk_gated_delta_rule_fwd_h_hip_kernelILi16ELb1ELb1ELb1ELb1ELb1ELb0ELb1ELb1EEEvPK12hip_bfloat16S3_S3_PKfS5_PKvPS1_S8_PvPKiSB_iiiiilll.kd
    .uniform_work_group_size: 1
    .uses_dynamic_stack: false
    .vgpr_count:     120
    .vgpr_spill_count: 0
    .wavefront_size: 64
  - .agpr_count:     8
    .args:
      - .actual_access:  read_only
        .address_space:  global
        .offset:         0
        .size:           8
        .value_kind:     global_buffer
      - .actual_access:  read_only
        .address_space:  global
        .offset:         8
        .size:           8
        .value_kind:     global_buffer
      - .actual_access:  read_only
        .address_space:  global
        .offset:         16
        .size:           8
        .value_kind:     global_buffer
      - .actual_access:  read_only
        .address_space:  global
        .offset:         24
        .size:           8
        .value_kind:     global_buffer
      - .actual_access:  read_only
        .address_space:  global
        .offset:         32
        .size:           8
        .value_kind:     global_buffer
      - .actual_access:  read_only
        .address_space:  global
        .offset:         40
        .size:           8
        .value_kind:     global_buffer
      - .actual_access:  write_only
        .address_space:  global
        .offset:         48
        .size:           8
        .value_kind:     global_buffer
      - .actual_access:  read_only
        .address_space:  global
        .offset:         56
        .size:           8
        .value_kind:     global_buffer
      - .actual_access:  write_only
        .address_space:  global
        .offset:         64
        .size:           8
        .value_kind:     global_buffer
      - .actual_access:  read_only
        .address_space:  global
        .offset:         72
        .size:           8
        .value_kind:     global_buffer
      - .actual_access:  read_only
        .address_space:  global
        .offset:         80
        .size:           8
        .value_kind:     global_buffer
      - .offset:         88
        .size:           4
        .value_kind:     by_value
      - .offset:         92
        .size:           4
        .value_kind:     by_value
      - .offset:         96
        .size:           4
        .value_kind:     by_value
      - .offset:         100
        .size:           4
        .value_kind:     by_value
      - .offset:         104
        .size:           4
        .value_kind:     by_value
      - .offset:         112
        .size:           8
        .value_kind:     by_value
      - .offset:         120
        .size:           8
        .value_kind:     by_value
      - .offset:         128
        .size:           8
        .value_kind:     by_value
    .group_segment_fixed_size: 40960
    .kernarg_segment_align: 8
    .kernarg_segment_size: 136
    .language:       OpenCL C
    .language_version:
      - 2
      - 0
    .max_flat_workgroup_size: 256
    .name:           _ZN12_GLOBAL__N_139chunk_gated_delta_rule_fwd_h_hip_kernelILi16ELb1ELb1ELb0ELb1ELb1ELb0ELb1ELb1EEEvPK12hip_bfloat16S3_S3_PKfS5_PKvPS1_S8_PvPKiSB_iiiiilll
    .private_segment_fixed_size: 0
    .sgpr_count:     69
    .sgpr_spill_count: 0
    .symbol:         _ZN12_GLOBAL__N_139chunk_gated_delta_rule_fwd_h_hip_kernelILi16ELb1ELb1ELb0ELb1ELb1ELb0ELb1ELb1EEEvPK12hip_bfloat16S3_S3_PKfS5_PKvPS1_S8_PvPKiSB_iiiiilll.kd
    .uniform_work_group_size: 1
    .uses_dynamic_stack: false
    .vgpr_count:     116
    .vgpr_spill_count: 0
    .wavefront_size: 64
  - .agpr_count:     8
    .args:
      - .actual_access:  read_only
        .address_space:  global
        .offset:         0
        .size:           8
        .value_kind:     global_buffer
      - .actual_access:  read_only
        .address_space:  global
        .offset:         8
        .size:           8
        .value_kind:     global_buffer
      - .actual_access:  read_only
        .address_space:  global
        .offset:         16
        .size:           8
        .value_kind:     global_buffer
      - .actual_access:  read_only
        .address_space:  global
        .offset:         24
        .size:           8
        .value_kind:     global_buffer
      - .actual_access:  read_only
        .address_space:  global
        .offset:         32
        .size:           8
        .value_kind:     global_buffer
      - .actual_access:  read_only
        .address_space:  global
        .offset:         40
        .size:           8
        .value_kind:     global_buffer
      - .actual_access:  write_only
        .address_space:  global
        .offset:         48
        .size:           8
        .value_kind:     global_buffer
      - .actual_access:  write_only
        .address_space:  global
        .offset:         56
        .size:           8
        .value_kind:     global_buffer
      - .actual_access:  read_only
        .address_space:  global
        .offset:         64
        .size:           8
        .value_kind:     global_buffer
      - .actual_access:  read_only
        .address_space:  global
        .offset:         72
        .size:           8
        .value_kind:     global_buffer
      - .actual_access:  read_only
        .address_space:  global
        .offset:         80
        .size:           8
        .value_kind:     global_buffer
      - .offset:         88
        .size:           4
        .value_kind:     by_value
      - .offset:         92
        .size:           4
        .value_kind:     by_value
      - .offset:         96
        .size:           4
        .value_kind:     by_value
      - .offset:         100
        .size:           4
        .value_kind:     by_value
      - .offset:         104
        .size:           4
        .value_kind:     by_value
      - .offset:         112
        .size:           8
        .value_kind:     by_value
      - .offset:         120
        .size:           8
        .value_kind:     by_value
      - .offset:         128
        .size:           8
        .value_kind:     by_value
    .group_segment_fixed_size: 40960
    .kernarg_segment_align: 8
    .kernarg_segment_size: 136
    .language:       OpenCL C
    .language_version:
      - 2
      - 0
    .max_flat_workgroup_size: 256
    .name:           _ZN12_GLOBAL__N_139chunk_gated_delta_rule_fwd_h_hip_kernelILi16ELb1ELb0ELb1ELb1ELb1ELb0ELb1ELb1EEEvPK12hip_bfloat16S3_S3_PKfS5_PKvPS1_S8_PvPKiSB_iiiiilll
    .private_segment_fixed_size: 0
    .sgpr_count:     70
    .sgpr_spill_count: 0
    .symbol:         _ZN12_GLOBAL__N_139chunk_gated_delta_rule_fwd_h_hip_kernelILi16ELb1ELb0ELb1ELb1ELb1ELb0ELb1ELb1EEEvPK12hip_bfloat16S3_S3_PKfS5_PKvPS1_S8_PvPKiSB_iiiiilll.kd
    .uniform_work_group_size: 1
    .uses_dynamic_stack: false
    .vgpr_count:     116
    .vgpr_spill_count: 0
    .wavefront_size: 64
  - .agpr_count:     8
    .args:
      - .actual_access:  read_only
        .address_space:  global
        .offset:         0
        .size:           8
        .value_kind:     global_buffer
      - .actual_access:  read_only
        .address_space:  global
        .offset:         8
        .size:           8
        .value_kind:     global_buffer
      - .actual_access:  read_only
        .address_space:  global
        .offset:         16
        .size:           8
        .value_kind:     global_buffer
      - .actual_access:  read_only
        .address_space:  global
        .offset:         24
        .size:           8
        .value_kind:     global_buffer
      - .actual_access:  read_only
        .address_space:  global
        .offset:         32
        .size:           8
        .value_kind:     global_buffer
      - .actual_access:  read_only
        .address_space:  global
        .offset:         40
        .size:           8
        .value_kind:     global_buffer
      - .actual_access:  write_only
        .address_space:  global
        .offset:         48
        .size:           8
        .value_kind:     global_buffer
      - .actual_access:  read_only
        .address_space:  global
        .offset:         56
        .size:           8
        .value_kind:     global_buffer
      - .actual_access:  read_only
        .address_space:  global
        .offset:         64
        .size:           8
        .value_kind:     global_buffer
      - .actual_access:  read_only
        .address_space:  global
        .offset:         72
        .size:           8
        .value_kind:     global_buffer
      - .actual_access:  read_only
        .address_space:  global
        .offset:         80
        .size:           8
        .value_kind:     global_buffer
      - .offset:         88
        .size:           4
        .value_kind:     by_value
      - .offset:         92
        .size:           4
        .value_kind:     by_value
      - .offset:         96
        .size:           4
        .value_kind:     by_value
      - .offset:         100
        .size:           4
        .value_kind:     by_value
      - .offset:         104
        .size:           4
        .value_kind:     by_value
      - .offset:         112
        .size:           8
        .value_kind:     by_value
      - .offset:         120
        .size:           8
        .value_kind:     by_value
      - .offset:         128
        .size:           8
        .value_kind:     by_value
    .group_segment_fixed_size: 40960
    .kernarg_segment_align: 8
    .kernarg_segment_size: 136
    .language:       OpenCL C
    .language_version:
      - 2
      - 0
    .max_flat_workgroup_size: 256
    .name:           _ZN12_GLOBAL__N_139chunk_gated_delta_rule_fwd_h_hip_kernelILi16ELb1ELb0ELb0ELb1ELb1ELb0ELb1ELb1EEEvPK12hip_bfloat16S3_S3_PKfS5_PKvPS1_S8_PvPKiSB_iiiiilll
    .private_segment_fixed_size: 0
    .sgpr_count:     65
    .sgpr_spill_count: 0
    .symbol:         _ZN12_GLOBAL__N_139chunk_gated_delta_rule_fwd_h_hip_kernelILi16ELb1ELb0ELb0ELb1ELb1ELb0ELb1ELb1EEEvPK12hip_bfloat16S3_S3_PKfS5_PKvPS1_S8_PvPKiSB_iiiiilll.kd
    .uniform_work_group_size: 1
    .uses_dynamic_stack: false
    .vgpr_count:     116
    .vgpr_spill_count: 0
    .wavefront_size: 64
  - .agpr_count:     8
    .args:
      - .actual_access:  read_only
        .address_space:  global
        .offset:         0
        .size:           8
        .value_kind:     global_buffer
      - .actual_access:  read_only
        .address_space:  global
        .offset:         8
        .size:           8
        .value_kind:     global_buffer
      - .actual_access:  read_only
        .address_space:  global
        .offset:         16
        .size:           8
        .value_kind:     global_buffer
      - .actual_access:  read_only
        .address_space:  global
        .offset:         24
        .size:           8
        .value_kind:     global_buffer
      - .actual_access:  read_only
        .address_space:  global
        .offset:         32
        .size:           8
        .value_kind:     global_buffer
      - .actual_access:  read_only
        .address_space:  global
        .offset:         40
        .size:           8
        .value_kind:     global_buffer
      - .actual_access:  write_only
        .address_space:  global
        .offset:         48
        .size:           8
        .value_kind:     global_buffer
      - .actual_access:  write_only
        .address_space:  global
        .offset:         56
        .size:           8
        .value_kind:     global_buffer
      - .actual_access:  write_only
        .address_space:  global
        .offset:         64
        .size:           8
        .value_kind:     global_buffer
      - .actual_access:  read_only
        .address_space:  global
        .offset:         72
        .size:           8
        .value_kind:     global_buffer
      - .actual_access:  read_only
        .address_space:  global
        .offset:         80
        .size:           8
        .value_kind:     global_buffer
      - .offset:         88
        .size:           4
        .value_kind:     by_value
      - .offset:         92
        .size:           4
        .value_kind:     by_value
      - .offset:         96
        .size:           4
        .value_kind:     by_value
      - .offset:         100
        .size:           4
        .value_kind:     by_value
      - .offset:         104
        .size:           4
        .value_kind:     by_value
      - .offset:         112
        .size:           8
        .value_kind:     by_value
      - .offset:         120
        .size:           8
        .value_kind:     by_value
      - .offset:         128
        .size:           8
        .value_kind:     by_value
    .group_segment_fixed_size: 40960
    .kernarg_segment_align: 8
    .kernarg_segment_size: 136
    .language:       OpenCL C
    .language_version:
      - 2
      - 0
    .max_flat_workgroup_size: 256
    .name:           _ZN12_GLOBAL__N_139chunk_gated_delta_rule_fwd_h_hip_kernelILi16ELb0ELb1ELb1ELb1ELb1ELb0ELb1ELb1EEEvPK12hip_bfloat16S3_S3_PKfS5_PKvPS1_S8_PvPKiSB_iiiiilll
    .private_segment_fixed_size: 0
    .sgpr_count:     72
    .sgpr_spill_count: 0
    .symbol:         _ZN12_GLOBAL__N_139chunk_gated_delta_rule_fwd_h_hip_kernelILi16ELb0ELb1ELb1ELb1ELb1ELb0ELb1ELb1EEEvPK12hip_bfloat16S3_S3_PKfS5_PKvPS1_S8_PvPKiSB_iiiiilll.kd
    .uniform_work_group_size: 1
    .uses_dynamic_stack: false
    .vgpr_count:     116
    .vgpr_spill_count: 0
    .wavefront_size: 64
  - .agpr_count:     8
    .args:
      - .actual_access:  read_only
        .address_space:  global
        .offset:         0
        .size:           8
        .value_kind:     global_buffer
      - .actual_access:  read_only
        .address_space:  global
        .offset:         8
        .size:           8
        .value_kind:     global_buffer
      - .actual_access:  read_only
        .address_space:  global
        .offset:         16
        .size:           8
        .value_kind:     global_buffer
      - .actual_access:  read_only
        .address_space:  global
        .offset:         24
        .size:           8
        .value_kind:     global_buffer
      - .actual_access:  read_only
        .address_space:  global
        .offset:         32
        .size:           8
        .value_kind:     global_buffer
      - .actual_access:  read_only
        .address_space:  global
        .offset:         40
        .size:           8
        .value_kind:     global_buffer
      - .actual_access:  write_only
        .address_space:  global
        .offset:         48
        .size:           8
        .value_kind:     global_buffer
      - .actual_access:  read_only
        .address_space:  global
        .offset:         56
        .size:           8
        .value_kind:     global_buffer
      - .actual_access:  write_only
        .address_space:  global
        .offset:         64
        .size:           8
        .value_kind:     global_buffer
      - .actual_access:  read_only
        .address_space:  global
        .offset:         72
        .size:           8
        .value_kind:     global_buffer
      - .actual_access:  read_only
        .address_space:  global
        .offset:         80
        .size:           8
        .value_kind:     global_buffer
      - .offset:         88
        .size:           4
        .value_kind:     by_value
      - .offset:         92
        .size:           4
        .value_kind:     by_value
      - .offset:         96
        .size:           4
        .value_kind:     by_value
      - .offset:         100
        .size:           4
        .value_kind:     by_value
      - .offset:         104
        .size:           4
        .value_kind:     by_value
      - .offset:         112
        .size:           8
        .value_kind:     by_value
      - .offset:         120
        .size:           8
        .value_kind:     by_value
      - .offset:         128
        .size:           8
        .value_kind:     by_value
    .group_segment_fixed_size: 40960
    .kernarg_segment_align: 8
    .kernarg_segment_size: 136
    .language:       OpenCL C
    .language_version:
      - 2
      - 0
    .max_flat_workgroup_size: 256
    .name:           _ZN12_GLOBAL__N_139chunk_gated_delta_rule_fwd_h_hip_kernelILi16ELb0ELb1ELb0ELb1ELb1ELb0ELb1ELb1EEEvPK12hip_bfloat16S3_S3_PKfS5_PKvPS1_S8_PvPKiSB_iiiiilll
    .private_segment_fixed_size: 0
    .sgpr_count:     69
    .sgpr_spill_count: 0
    .symbol:         _ZN12_GLOBAL__N_139chunk_gated_delta_rule_fwd_h_hip_kernelILi16ELb0ELb1ELb0ELb1ELb1ELb0ELb1ELb1EEEvPK12hip_bfloat16S3_S3_PKfS5_PKvPS1_S8_PvPKiSB_iiiiilll.kd
    .uniform_work_group_size: 1
    .uses_dynamic_stack: false
    .vgpr_count:     116
    .vgpr_spill_count: 0
    .wavefront_size: 64
  - .agpr_count:     8
    .args:
      - .actual_access:  read_only
        .address_space:  global
        .offset:         0
        .size:           8
        .value_kind:     global_buffer
      - .actual_access:  read_only
        .address_space:  global
        .offset:         8
        .size:           8
        .value_kind:     global_buffer
      - .actual_access:  read_only
        .address_space:  global
        .offset:         16
        .size:           8
        .value_kind:     global_buffer
      - .actual_access:  read_only
        .address_space:  global
        .offset:         24
        .size:           8
        .value_kind:     global_buffer
      - .actual_access:  read_only
        .address_space:  global
        .offset:         32
        .size:           8
        .value_kind:     global_buffer
      - .actual_access:  read_only
        .address_space:  global
        .offset:         40
        .size:           8
        .value_kind:     global_buffer
      - .actual_access:  write_only
        .address_space:  global
        .offset:         48
        .size:           8
        .value_kind:     global_buffer
      - .actual_access:  write_only
        .address_space:  global
        .offset:         56
        .size:           8
        .value_kind:     global_buffer
      - .actual_access:  read_only
        .address_space:  global
        .offset:         64
        .size:           8
        .value_kind:     global_buffer
      - .actual_access:  read_only
        .address_space:  global
        .offset:         72
        .size:           8
        .value_kind:     global_buffer
      - .actual_access:  read_only
        .address_space:  global
        .offset:         80
        .size:           8
        .value_kind:     global_buffer
      - .offset:         88
        .size:           4
        .value_kind:     by_value
      - .offset:         92
        .size:           4
        .value_kind:     by_value
      - .offset:         96
        .size:           4
        .value_kind:     by_value
      - .offset:         100
        .size:           4
        .value_kind:     by_value
      - .offset:         104
        .size:           4
        .value_kind:     by_value
      - .offset:         112
        .size:           8
        .value_kind:     by_value
      - .offset:         120
        .size:           8
        .value_kind:     by_value
      - .offset:         128
        .size:           8
        .value_kind:     by_value
    .group_segment_fixed_size: 40960
    .kernarg_segment_align: 8
    .kernarg_segment_size: 136
    .language:       OpenCL C
    .language_version:
      - 2
      - 0
    .max_flat_workgroup_size: 256
    .name:           _ZN12_GLOBAL__N_139chunk_gated_delta_rule_fwd_h_hip_kernelILi16ELb0ELb0ELb1ELb1ELb1ELb0ELb1ELb1EEEvPK12hip_bfloat16S3_S3_PKfS5_PKvPS1_S8_PvPKiSB_iiiiilll
    .private_segment_fixed_size: 0
    .sgpr_count:     68
    .sgpr_spill_count: 0
    .symbol:         _ZN12_GLOBAL__N_139chunk_gated_delta_rule_fwd_h_hip_kernelILi16ELb0ELb0ELb1ELb1ELb1ELb0ELb1ELb1EEEvPK12hip_bfloat16S3_S3_PKfS5_PKvPS1_S8_PvPKiSB_iiiiilll.kd
    .uniform_work_group_size: 1
    .uses_dynamic_stack: false
    .vgpr_count:     116
    .vgpr_spill_count: 0
    .wavefront_size: 64
  - .agpr_count:     8
    .args:
      - .actual_access:  read_only
        .address_space:  global
        .offset:         0
        .size:           8
        .value_kind:     global_buffer
      - .actual_access:  read_only
        .address_space:  global
        .offset:         8
        .size:           8
        .value_kind:     global_buffer
      - .actual_access:  read_only
        .address_space:  global
        .offset:         16
        .size:           8
        .value_kind:     global_buffer
      - .actual_access:  read_only
        .address_space:  global
        .offset:         24
        .size:           8
        .value_kind:     global_buffer
      - .actual_access:  read_only
        .address_space:  global
        .offset:         32
        .size:           8
        .value_kind:     global_buffer
      - .actual_access:  read_only
        .address_space:  global
        .offset:         40
        .size:           8
        .value_kind:     global_buffer
      - .actual_access:  write_only
        .address_space:  global
        .offset:         48
        .size:           8
        .value_kind:     global_buffer
      - .actual_access:  read_only
        .address_space:  global
        .offset:         56
        .size:           8
        .value_kind:     global_buffer
      - .actual_access:  read_only
        .address_space:  global
        .offset:         64
        .size:           8
        .value_kind:     global_buffer
      - .actual_access:  read_only
        .address_space:  global
        .offset:         72
        .size:           8
        .value_kind:     global_buffer
      - .actual_access:  read_only
        .address_space:  global
        .offset:         80
        .size:           8
        .value_kind:     global_buffer
      - .offset:         88
        .size:           4
        .value_kind:     by_value
      - .offset:         92
        .size:           4
        .value_kind:     by_value
      - .offset:         96
        .size:           4
        .value_kind:     by_value
      - .offset:         100
        .size:           4
        .value_kind:     by_value
      - .offset:         104
        .size:           4
        .value_kind:     by_value
      - .offset:         112
        .size:           8
        .value_kind:     by_value
      - .offset:         120
        .size:           8
        .value_kind:     by_value
      - .offset:         128
        .size:           8
        .value_kind:     by_value
    .group_segment_fixed_size: 40960
    .kernarg_segment_align: 8
    .kernarg_segment_size: 136
    .language:       OpenCL C
    .language_version:
      - 2
      - 0
    .max_flat_workgroup_size: 256
    .name:           _ZN12_GLOBAL__N_139chunk_gated_delta_rule_fwd_h_hip_kernelILi16ELb0ELb0ELb0ELb1ELb1ELb0ELb1ELb1EEEvPK12hip_bfloat16S3_S3_PKfS5_PKvPS1_S8_PvPKiSB_iiiiilll
    .private_segment_fixed_size: 0
    .sgpr_count:     64
    .sgpr_spill_count: 0
    .symbol:         _ZN12_GLOBAL__N_139chunk_gated_delta_rule_fwd_h_hip_kernelILi16ELb0ELb0ELb0ELb1ELb1ELb0ELb1ELb1EEEvPK12hip_bfloat16S3_S3_PKfS5_PKvPS1_S8_PvPKiSB_iiiiilll.kd
    .uniform_work_group_size: 1
    .uses_dynamic_stack: false
    .vgpr_count:     116
    .vgpr_spill_count: 0
    .wavefront_size: 64
  - .agpr_count:     8
    .args:
      - .actual_access:  read_only
        .address_space:  global
        .offset:         0
        .size:           8
        .value_kind:     global_buffer
      - .actual_access:  read_only
        .address_space:  global
        .offset:         8
        .size:           8
        .value_kind:     global_buffer
      - .actual_access:  read_only
        .address_space:  global
        .offset:         16
        .size:           8
        .value_kind:     global_buffer
      - .actual_access:  read_only
        .address_space:  global
        .offset:         24
        .size:           8
        .value_kind:     global_buffer
      - .actual_access:  read_only
        .address_space:  global
        .offset:         32
        .size:           8
        .value_kind:     global_buffer
      - .actual_access:  read_only
        .address_space:  global
        .offset:         40
        .size:           8
        .value_kind:     global_buffer
      - .actual_access:  write_only
        .address_space:  global
        .offset:         48
        .size:           8
        .value_kind:     global_buffer
      - .actual_access:  write_only
        .address_space:  global
        .offset:         56
        .size:           8
        .value_kind:     global_buffer
      - .actual_access:  write_only
        .address_space:  global
        .offset:         64
        .size:           8
        .value_kind:     global_buffer
      - .actual_access:  read_only
        .address_space:  global
        .offset:         72
        .size:           8
        .value_kind:     global_buffer
      - .actual_access:  read_only
        .address_space:  global
        .offset:         80
        .size:           8
        .value_kind:     global_buffer
      - .offset:         88
        .size:           4
        .value_kind:     by_value
      - .offset:         92
        .size:           4
        .value_kind:     by_value
      - .offset:         96
        .size:           4
        .value_kind:     by_value
      - .offset:         100
        .size:           4
        .value_kind:     by_value
      - .offset:         104
        .size:           4
        .value_kind:     by_value
      - .offset:         112
        .size:           8
        .value_kind:     by_value
      - .offset:         120
        .size:           8
        .value_kind:     by_value
      - .offset:         128
        .size:           8
        .value_kind:     by_value
    .group_segment_fixed_size: 40960
    .kernarg_segment_align: 8
    .kernarg_segment_size: 136
    .language:       OpenCL C
    .language_version:
      - 2
      - 0
    .max_flat_workgroup_size: 256
    .name:           _ZN12_GLOBAL__N_139chunk_gated_delta_rule_fwd_h_hip_kernelILi16ELb1ELb1ELb1ELb0ELb1ELb0ELb1ELb1EEEvPK12hip_bfloat16S3_S3_PKfS5_PKvPS1_S8_PvPKiSB_iiiiilll
    .private_segment_fixed_size: 0
    .sgpr_count:     78
    .sgpr_spill_count: 0
    .symbol:         _ZN12_GLOBAL__N_139chunk_gated_delta_rule_fwd_h_hip_kernelILi16ELb1ELb1ELb1ELb0ELb1ELb0ELb1ELb1EEEvPK12hip_bfloat16S3_S3_PKfS5_PKvPS1_S8_PvPKiSB_iiiiilll.kd
    .uniform_work_group_size: 1
    .uses_dynamic_stack: false
    .vgpr_count:     120
    .vgpr_spill_count: 0
    .wavefront_size: 64
  - .agpr_count:     8
    .args:
      - .actual_access:  read_only
        .address_space:  global
        .offset:         0
        .size:           8
        .value_kind:     global_buffer
      - .actual_access:  read_only
        .address_space:  global
        .offset:         8
        .size:           8
        .value_kind:     global_buffer
      - .actual_access:  read_only
        .address_space:  global
        .offset:         16
        .size:           8
        .value_kind:     global_buffer
      - .actual_access:  read_only
        .address_space:  global
        .offset:         24
        .size:           8
        .value_kind:     global_buffer
      - .actual_access:  read_only
        .address_space:  global
        .offset:         32
        .size:           8
        .value_kind:     global_buffer
      - .actual_access:  read_only
        .address_space:  global
        .offset:         40
        .size:           8
        .value_kind:     global_buffer
      - .actual_access:  write_only
        .address_space:  global
        .offset:         48
        .size:           8
        .value_kind:     global_buffer
      - .actual_access:  read_only
        .address_space:  global
        .offset:         56
        .size:           8
        .value_kind:     global_buffer
      - .actual_access:  write_only
        .address_space:  global
        .offset:         64
        .size:           8
        .value_kind:     global_buffer
      - .actual_access:  read_only
        .address_space:  global
        .offset:         72
        .size:           8
        .value_kind:     global_buffer
      - .actual_access:  read_only
        .address_space:  global
        .offset:         80
        .size:           8
        .value_kind:     global_buffer
      - .offset:         88
        .size:           4
        .value_kind:     by_value
      - .offset:         92
        .size:           4
        .value_kind:     by_value
      - .offset:         96
        .size:           4
        .value_kind:     by_value
      - .offset:         100
        .size:           4
        .value_kind:     by_value
      - .offset:         104
        .size:           4
        .value_kind:     by_value
      - .offset:         112
        .size:           8
        .value_kind:     by_value
      - .offset:         120
        .size:           8
        .value_kind:     by_value
      - .offset:         128
        .size:           8
        .value_kind:     by_value
    .group_segment_fixed_size: 40960
    .kernarg_segment_align: 8
    .kernarg_segment_size: 136
    .language:       OpenCL C
    .language_version:
      - 2
      - 0
    .max_flat_workgroup_size: 256
    .name:           _ZN12_GLOBAL__N_139chunk_gated_delta_rule_fwd_h_hip_kernelILi16ELb1ELb1ELb0ELb0ELb1ELb0ELb1ELb1EEEvPK12hip_bfloat16S3_S3_PKfS5_PKvPS1_S8_PvPKiSB_iiiiilll
    .private_segment_fixed_size: 0
    .sgpr_count:     74
    .sgpr_spill_count: 0
    .symbol:         _ZN12_GLOBAL__N_139chunk_gated_delta_rule_fwd_h_hip_kernelILi16ELb1ELb1ELb0ELb0ELb1ELb0ELb1ELb1EEEvPK12hip_bfloat16S3_S3_PKfS5_PKvPS1_S8_PvPKiSB_iiiiilll.kd
    .uniform_work_group_size: 1
    .uses_dynamic_stack: false
    .vgpr_count:     116
    .vgpr_spill_count: 0
    .wavefront_size: 64
  - .agpr_count:     8
    .args:
      - .actual_access:  read_only
        .address_space:  global
        .offset:         0
        .size:           8
        .value_kind:     global_buffer
      - .actual_access:  read_only
        .address_space:  global
        .offset:         8
        .size:           8
        .value_kind:     global_buffer
      - .actual_access:  read_only
        .address_space:  global
        .offset:         16
        .size:           8
        .value_kind:     global_buffer
      - .actual_access:  read_only
        .address_space:  global
        .offset:         24
        .size:           8
        .value_kind:     global_buffer
      - .actual_access:  read_only
        .address_space:  global
        .offset:         32
        .size:           8
        .value_kind:     global_buffer
      - .actual_access:  read_only
        .address_space:  global
        .offset:         40
        .size:           8
        .value_kind:     global_buffer
      - .actual_access:  write_only
        .address_space:  global
        .offset:         48
        .size:           8
        .value_kind:     global_buffer
      - .actual_access:  write_only
        .address_space:  global
        .offset:         56
        .size:           8
        .value_kind:     global_buffer
      - .actual_access:  read_only
        .address_space:  global
        .offset:         64
        .size:           8
        .value_kind:     global_buffer
      - .actual_access:  read_only
        .address_space:  global
        .offset:         72
        .size:           8
        .value_kind:     global_buffer
      - .actual_access:  read_only
        .address_space:  global
        .offset:         80
        .size:           8
        .value_kind:     global_buffer
      - .offset:         88
        .size:           4
        .value_kind:     by_value
      - .offset:         92
        .size:           4
        .value_kind:     by_value
      - .offset:         96
        .size:           4
        .value_kind:     by_value
      - .offset:         100
        .size:           4
        .value_kind:     by_value
      - .offset:         104
        .size:           4
        .value_kind:     by_value
      - .offset:         112
        .size:           8
        .value_kind:     by_value
      - .offset:         120
        .size:           8
        .value_kind:     by_value
      - .offset:         128
        .size:           8
        .value_kind:     by_value
    .group_segment_fixed_size: 40960
    .kernarg_segment_align: 8
    .kernarg_segment_size: 136
    .language:       OpenCL C
    .language_version:
      - 2
      - 0
    .max_flat_workgroup_size: 256
    .name:           _ZN12_GLOBAL__N_139chunk_gated_delta_rule_fwd_h_hip_kernelILi16ELb1ELb0ELb1ELb0ELb1ELb0ELb1ELb1EEEvPK12hip_bfloat16S3_S3_PKfS5_PKvPS1_S8_PvPKiSB_iiiiilll
    .private_segment_fixed_size: 0
    .sgpr_count:     74
    .sgpr_spill_count: 0
    .symbol:         _ZN12_GLOBAL__N_139chunk_gated_delta_rule_fwd_h_hip_kernelILi16ELb1ELb0ELb1ELb0ELb1ELb0ELb1ELb1EEEvPK12hip_bfloat16S3_S3_PKfS5_PKvPS1_S8_PvPKiSB_iiiiilll.kd
    .uniform_work_group_size: 1
    .uses_dynamic_stack: false
    .vgpr_count:     116
    .vgpr_spill_count: 0
    .wavefront_size: 64
  - .agpr_count:     8
    .args:
      - .actual_access:  read_only
        .address_space:  global
        .offset:         0
        .size:           8
        .value_kind:     global_buffer
      - .actual_access:  read_only
        .address_space:  global
        .offset:         8
        .size:           8
        .value_kind:     global_buffer
      - .actual_access:  read_only
        .address_space:  global
        .offset:         16
        .size:           8
        .value_kind:     global_buffer
      - .actual_access:  read_only
        .address_space:  global
        .offset:         24
        .size:           8
        .value_kind:     global_buffer
      - .actual_access:  read_only
        .address_space:  global
        .offset:         32
        .size:           8
        .value_kind:     global_buffer
      - .actual_access:  read_only
        .address_space:  global
        .offset:         40
        .size:           8
        .value_kind:     global_buffer
      - .actual_access:  write_only
        .address_space:  global
        .offset:         48
        .size:           8
        .value_kind:     global_buffer
      - .actual_access:  read_only
        .address_space:  global
        .offset:         56
        .size:           8
        .value_kind:     global_buffer
      - .actual_access:  read_only
        .address_space:  global
        .offset:         64
        .size:           8
        .value_kind:     global_buffer
      - .actual_access:  read_only
        .address_space:  global
        .offset:         72
        .size:           8
        .value_kind:     global_buffer
      - .actual_access:  read_only
        .address_space:  global
        .offset:         80
        .size:           8
        .value_kind:     global_buffer
      - .offset:         88
        .size:           4
        .value_kind:     by_value
      - .offset:         92
        .size:           4
        .value_kind:     by_value
      - .offset:         96
        .size:           4
        .value_kind:     by_value
      - .offset:         100
        .size:           4
        .value_kind:     by_value
      - .offset:         104
        .size:           4
        .value_kind:     by_value
      - .offset:         112
        .size:           8
        .value_kind:     by_value
      - .offset:         120
        .size:           8
        .value_kind:     by_value
      - .offset:         128
        .size:           8
        .value_kind:     by_value
    .group_segment_fixed_size: 40960
    .kernarg_segment_align: 8
    .kernarg_segment_size: 136
    .language:       OpenCL C
    .language_version:
      - 2
      - 0
    .max_flat_workgroup_size: 256
    .name:           _ZN12_GLOBAL__N_139chunk_gated_delta_rule_fwd_h_hip_kernelILi16ELb1ELb0ELb0ELb0ELb1ELb0ELb1ELb1EEEvPK12hip_bfloat16S3_S3_PKfS5_PKvPS1_S8_PvPKiSB_iiiiilll
    .private_segment_fixed_size: 0
    .sgpr_count:     70
    .sgpr_spill_count: 0
    .symbol:         _ZN12_GLOBAL__N_139chunk_gated_delta_rule_fwd_h_hip_kernelILi16ELb1ELb0ELb0ELb0ELb1ELb0ELb1ELb1EEEvPK12hip_bfloat16S3_S3_PKfS5_PKvPS1_S8_PvPKiSB_iiiiilll.kd
    .uniform_work_group_size: 1
    .uses_dynamic_stack: false
    .vgpr_count:     116
    .vgpr_spill_count: 0
    .wavefront_size: 64
  - .agpr_count:     8
    .args:
      - .actual_access:  read_only
        .address_space:  global
        .offset:         0
        .size:           8
        .value_kind:     global_buffer
      - .actual_access:  read_only
        .address_space:  global
        .offset:         8
        .size:           8
        .value_kind:     global_buffer
      - .actual_access:  read_only
        .address_space:  global
        .offset:         16
        .size:           8
        .value_kind:     global_buffer
      - .actual_access:  read_only
        .address_space:  global
        .offset:         24
        .size:           8
        .value_kind:     global_buffer
      - .actual_access:  read_only
        .address_space:  global
        .offset:         32
        .size:           8
        .value_kind:     global_buffer
      - .actual_access:  read_only
        .address_space:  global
        .offset:         40
        .size:           8
        .value_kind:     global_buffer
      - .actual_access:  write_only
        .address_space:  global
        .offset:         48
        .size:           8
        .value_kind:     global_buffer
      - .actual_access:  write_only
        .address_space:  global
        .offset:         56
        .size:           8
        .value_kind:     global_buffer
      - .actual_access:  write_only
        .address_space:  global
        .offset:         64
        .size:           8
        .value_kind:     global_buffer
      - .actual_access:  read_only
        .address_space:  global
        .offset:         72
        .size:           8
        .value_kind:     global_buffer
      - .actual_access:  read_only
        .address_space:  global
        .offset:         80
        .size:           8
        .value_kind:     global_buffer
      - .offset:         88
        .size:           4
        .value_kind:     by_value
      - .offset:         92
        .size:           4
        .value_kind:     by_value
      - .offset:         96
        .size:           4
        .value_kind:     by_value
      - .offset:         100
        .size:           4
        .value_kind:     by_value
      - .offset:         104
        .size:           4
        .value_kind:     by_value
      - .offset:         112
        .size:           8
        .value_kind:     by_value
      - .offset:         120
        .size:           8
        .value_kind:     by_value
      - .offset:         128
        .size:           8
        .value_kind:     by_value
    .group_segment_fixed_size: 40960
    .kernarg_segment_align: 8
    .kernarg_segment_size: 136
    .language:       OpenCL C
    .language_version:
      - 2
      - 0
    .max_flat_workgroup_size: 256
    .name:           _ZN12_GLOBAL__N_139chunk_gated_delta_rule_fwd_h_hip_kernelILi16ELb0ELb1ELb1ELb0ELb1ELb0ELb1ELb1EEEvPK12hip_bfloat16S3_S3_PKfS5_PKvPS1_S8_PvPKiSB_iiiiilll
    .private_segment_fixed_size: 0
    .sgpr_count:     74
    .sgpr_spill_count: 0
    .symbol:         _ZN12_GLOBAL__N_139chunk_gated_delta_rule_fwd_h_hip_kernelILi16ELb0ELb1ELb1ELb0ELb1ELb0ELb1ELb1EEEvPK12hip_bfloat16S3_S3_PKfS5_PKvPS1_S8_PvPKiSB_iiiiilll.kd
    .uniform_work_group_size: 1
    .uses_dynamic_stack: false
    .vgpr_count:     116
    .vgpr_spill_count: 0
    .wavefront_size: 64
  - .agpr_count:     8
    .args:
      - .actual_access:  read_only
        .address_space:  global
        .offset:         0
        .size:           8
        .value_kind:     global_buffer
      - .actual_access:  read_only
        .address_space:  global
        .offset:         8
        .size:           8
        .value_kind:     global_buffer
      - .actual_access:  read_only
        .address_space:  global
        .offset:         16
        .size:           8
        .value_kind:     global_buffer
      - .actual_access:  read_only
        .address_space:  global
        .offset:         24
        .size:           8
        .value_kind:     global_buffer
      - .actual_access:  read_only
        .address_space:  global
        .offset:         32
        .size:           8
        .value_kind:     global_buffer
      - .actual_access:  read_only
        .address_space:  global
        .offset:         40
        .size:           8
        .value_kind:     global_buffer
      - .actual_access:  write_only
        .address_space:  global
        .offset:         48
        .size:           8
        .value_kind:     global_buffer
      - .actual_access:  read_only
        .address_space:  global
        .offset:         56
        .size:           8
        .value_kind:     global_buffer
      - .actual_access:  write_only
        .address_space:  global
        .offset:         64
        .size:           8
        .value_kind:     global_buffer
      - .actual_access:  read_only
        .address_space:  global
        .offset:         72
        .size:           8
        .value_kind:     global_buffer
      - .actual_access:  read_only
        .address_space:  global
        .offset:         80
        .size:           8
        .value_kind:     global_buffer
      - .offset:         88
        .size:           4
        .value_kind:     by_value
      - .offset:         92
        .size:           4
        .value_kind:     by_value
      - .offset:         96
        .size:           4
        .value_kind:     by_value
      - .offset:         100
        .size:           4
        .value_kind:     by_value
      - .offset:         104
        .size:           4
        .value_kind:     by_value
      - .offset:         112
        .size:           8
        .value_kind:     by_value
      - .offset:         120
        .size:           8
        .value_kind:     by_value
      - .offset:         128
        .size:           8
        .value_kind:     by_value
    .group_segment_fixed_size: 40960
    .kernarg_segment_align: 8
    .kernarg_segment_size: 136
    .language:       OpenCL C
    .language_version:
      - 2
      - 0
    .max_flat_workgroup_size: 256
    .name:           _ZN12_GLOBAL__N_139chunk_gated_delta_rule_fwd_h_hip_kernelILi16ELb0ELb1ELb0ELb0ELb1ELb0ELb1ELb1EEEvPK12hip_bfloat16S3_S3_PKfS5_PKvPS1_S8_PvPKiSB_iiiiilll
    .private_segment_fixed_size: 0
    .sgpr_count:     69
    .sgpr_spill_count: 0
    .symbol:         _ZN12_GLOBAL__N_139chunk_gated_delta_rule_fwd_h_hip_kernelILi16ELb0ELb1ELb0ELb0ELb1ELb0ELb1ELb1EEEvPK12hip_bfloat16S3_S3_PKfS5_PKvPS1_S8_PvPKiSB_iiiiilll.kd
    .uniform_work_group_size: 1
    .uses_dynamic_stack: false
    .vgpr_count:     116
    .vgpr_spill_count: 0
    .wavefront_size: 64
  - .agpr_count:     8
    .args:
      - .actual_access:  read_only
        .address_space:  global
        .offset:         0
        .size:           8
        .value_kind:     global_buffer
      - .actual_access:  read_only
        .address_space:  global
        .offset:         8
        .size:           8
        .value_kind:     global_buffer
      - .actual_access:  read_only
        .address_space:  global
        .offset:         16
        .size:           8
        .value_kind:     global_buffer
      - .actual_access:  read_only
        .address_space:  global
        .offset:         24
        .size:           8
        .value_kind:     global_buffer
      - .actual_access:  read_only
        .address_space:  global
        .offset:         32
        .size:           8
        .value_kind:     global_buffer
      - .actual_access:  read_only
        .address_space:  global
        .offset:         40
        .size:           8
        .value_kind:     global_buffer
      - .actual_access:  write_only
        .address_space:  global
        .offset:         48
        .size:           8
        .value_kind:     global_buffer
      - .actual_access:  write_only
        .address_space:  global
        .offset:         56
        .size:           8
        .value_kind:     global_buffer
      - .actual_access:  read_only
        .address_space:  global
        .offset:         64
        .size:           8
        .value_kind:     global_buffer
      - .actual_access:  read_only
        .address_space:  global
        .offset:         72
        .size:           8
        .value_kind:     global_buffer
      - .actual_access:  read_only
        .address_space:  global
        .offset:         80
        .size:           8
        .value_kind:     global_buffer
      - .offset:         88
        .size:           4
        .value_kind:     by_value
      - .offset:         92
        .size:           4
        .value_kind:     by_value
      - .offset:         96
        .size:           4
        .value_kind:     by_value
      - .offset:         100
        .size:           4
        .value_kind:     by_value
      - .offset:         104
        .size:           4
        .value_kind:     by_value
      - .offset:         112
        .size:           8
        .value_kind:     by_value
      - .offset:         120
        .size:           8
        .value_kind:     by_value
      - .offset:         128
        .size:           8
        .value_kind:     by_value
    .group_segment_fixed_size: 40960
    .kernarg_segment_align: 8
    .kernarg_segment_size: 136
    .language:       OpenCL C
    .language_version:
      - 2
      - 0
    .max_flat_workgroup_size: 256
    .name:           _ZN12_GLOBAL__N_139chunk_gated_delta_rule_fwd_h_hip_kernelILi16ELb0ELb0ELb1ELb0ELb1ELb0ELb1ELb1EEEvPK12hip_bfloat16S3_S3_PKfS5_PKvPS1_S8_PvPKiSB_iiiiilll
    .private_segment_fixed_size: 0
    .sgpr_count:     72
    .sgpr_spill_count: 0
    .symbol:         _ZN12_GLOBAL__N_139chunk_gated_delta_rule_fwd_h_hip_kernelILi16ELb0ELb0ELb1ELb0ELb1ELb0ELb1ELb1EEEvPK12hip_bfloat16S3_S3_PKfS5_PKvPS1_S8_PvPKiSB_iiiiilll.kd
    .uniform_work_group_size: 1
    .uses_dynamic_stack: false
    .vgpr_count:     116
    .vgpr_spill_count: 0
    .wavefront_size: 64
  - .agpr_count:     8
    .args:
      - .actual_access:  read_only
        .address_space:  global
        .offset:         0
        .size:           8
        .value_kind:     global_buffer
      - .actual_access:  read_only
        .address_space:  global
        .offset:         8
        .size:           8
        .value_kind:     global_buffer
      - .actual_access:  read_only
        .address_space:  global
        .offset:         16
        .size:           8
        .value_kind:     global_buffer
      - .actual_access:  read_only
        .address_space:  global
        .offset:         24
        .size:           8
        .value_kind:     global_buffer
      - .actual_access:  read_only
        .address_space:  global
        .offset:         32
        .size:           8
        .value_kind:     global_buffer
      - .actual_access:  read_only
        .address_space:  global
        .offset:         40
        .size:           8
        .value_kind:     global_buffer
      - .actual_access:  write_only
        .address_space:  global
        .offset:         48
        .size:           8
        .value_kind:     global_buffer
      - .actual_access:  read_only
        .address_space:  global
        .offset:         56
        .size:           8
        .value_kind:     global_buffer
      - .actual_access:  read_only
        .address_space:  global
        .offset:         64
        .size:           8
        .value_kind:     global_buffer
      - .actual_access:  read_only
        .address_space:  global
        .offset:         72
        .size:           8
        .value_kind:     global_buffer
      - .actual_access:  read_only
        .address_space:  global
        .offset:         80
        .size:           8
        .value_kind:     global_buffer
      - .offset:         88
        .size:           4
        .value_kind:     by_value
      - .offset:         92
        .size:           4
        .value_kind:     by_value
      - .offset:         96
        .size:           4
        .value_kind:     by_value
      - .offset:         100
        .size:           4
        .value_kind:     by_value
      - .offset:         104
        .size:           4
        .value_kind:     by_value
      - .offset:         112
        .size:           8
        .value_kind:     by_value
      - .offset:         120
        .size:           8
        .value_kind:     by_value
      - .offset:         128
        .size:           8
        .value_kind:     by_value
    .group_segment_fixed_size: 40960
    .kernarg_segment_align: 8
    .kernarg_segment_size: 136
    .language:       OpenCL C
    .language_version:
      - 2
      - 0
    .max_flat_workgroup_size: 256
    .name:           _ZN12_GLOBAL__N_139chunk_gated_delta_rule_fwd_h_hip_kernelILi16ELb0ELb0ELb0ELb0ELb1ELb0ELb1ELb1EEEvPK12hip_bfloat16S3_S3_PKfS5_PKvPS1_S8_PvPKiSB_iiiiilll
    .private_segment_fixed_size: 0
    .sgpr_count:     67
    .sgpr_spill_count: 0
    .symbol:         _ZN12_GLOBAL__N_139chunk_gated_delta_rule_fwd_h_hip_kernelILi16ELb0ELb0ELb0ELb0ELb1ELb0ELb1ELb1EEEvPK12hip_bfloat16S3_S3_PKfS5_PKvPS1_S8_PvPKiSB_iiiiilll.kd
    .uniform_work_group_size: 1
    .uses_dynamic_stack: false
    .vgpr_count:     116
    .vgpr_spill_count: 0
    .wavefront_size: 64
  - .agpr_count:     8
    .args:
      - .actual_access:  read_only
        .address_space:  global
        .offset:         0
        .size:           8
        .value_kind:     global_buffer
      - .actual_access:  read_only
        .address_space:  global
        .offset:         8
        .size:           8
        .value_kind:     global_buffer
      - .actual_access:  read_only
        .address_space:  global
        .offset:         16
        .size:           8
        .value_kind:     global_buffer
      - .actual_access:  read_only
        .address_space:  global
        .offset:         24
        .size:           8
        .value_kind:     global_buffer
      - .actual_access:  read_only
        .address_space:  global
        .offset:         32
        .size:           8
        .value_kind:     global_buffer
      - .actual_access:  read_only
        .address_space:  global
        .offset:         40
        .size:           8
        .value_kind:     global_buffer
      - .actual_access:  write_only
        .address_space:  global
        .offset:         48
        .size:           8
        .value_kind:     global_buffer
      - .actual_access:  write_only
        .address_space:  global
        .offset:         56
        .size:           8
        .value_kind:     global_buffer
      - .actual_access:  write_only
        .address_space:  global
        .offset:         64
        .size:           8
        .value_kind:     global_buffer
      - .actual_access:  read_only
        .address_space:  global
        .offset:         72
        .size:           8
        .value_kind:     global_buffer
      - .actual_access:  read_only
        .address_space:  global
        .offset:         80
        .size:           8
        .value_kind:     global_buffer
      - .offset:         88
        .size:           4
        .value_kind:     by_value
      - .offset:         92
        .size:           4
        .value_kind:     by_value
      - .offset:         96
        .size:           4
        .value_kind:     by_value
      - .offset:         100
        .size:           4
        .value_kind:     by_value
      - .offset:         104
        .size:           4
        .value_kind:     by_value
      - .offset:         112
        .size:           8
        .value_kind:     by_value
      - .offset:         120
        .size:           8
        .value_kind:     by_value
      - .offset:         128
        .size:           8
        .value_kind:     by_value
    .group_segment_fixed_size: 40960
    .kernarg_segment_align: 8
    .kernarg_segment_size: 136
    .language:       OpenCL C
    .language_version:
      - 2
      - 0
    .max_flat_workgroup_size: 256
    .name:           _ZN12_GLOBAL__N_139chunk_gated_delta_rule_fwd_h_hip_kernelILi16ELb1ELb1ELb1ELb1ELb1ELb0ELb0ELb1EEEvPK12hip_bfloat16S3_S3_PKfS5_PKvPS1_S8_PvPKiSB_iiiiilll
    .private_segment_fixed_size: 0
    .sgpr_count:     74
    .sgpr_spill_count: 0
    .symbol:         _ZN12_GLOBAL__N_139chunk_gated_delta_rule_fwd_h_hip_kernelILi16ELb1ELb1ELb1ELb1ELb1ELb0ELb0ELb1EEEvPK12hip_bfloat16S3_S3_PKfS5_PKvPS1_S8_PvPKiSB_iiiiilll.kd
    .uniform_work_group_size: 1
    .uses_dynamic_stack: false
    .vgpr_count:     120
    .vgpr_spill_count: 0
    .wavefront_size: 64
  - .agpr_count:     8
    .args:
      - .actual_access:  read_only
        .address_space:  global
        .offset:         0
        .size:           8
        .value_kind:     global_buffer
      - .actual_access:  read_only
        .address_space:  global
        .offset:         8
        .size:           8
        .value_kind:     global_buffer
      - .actual_access:  read_only
        .address_space:  global
        .offset:         16
        .size:           8
        .value_kind:     global_buffer
      - .actual_access:  read_only
        .address_space:  global
        .offset:         24
        .size:           8
        .value_kind:     global_buffer
      - .actual_access:  read_only
        .address_space:  global
        .offset:         32
        .size:           8
        .value_kind:     global_buffer
      - .actual_access:  read_only
        .address_space:  global
        .offset:         40
        .size:           8
        .value_kind:     global_buffer
      - .actual_access:  write_only
        .address_space:  global
        .offset:         48
        .size:           8
        .value_kind:     global_buffer
      - .actual_access:  read_only
        .address_space:  global
        .offset:         56
        .size:           8
        .value_kind:     global_buffer
      - .actual_access:  write_only
        .address_space:  global
        .offset:         64
        .size:           8
        .value_kind:     global_buffer
      - .actual_access:  read_only
        .address_space:  global
        .offset:         72
        .size:           8
        .value_kind:     global_buffer
      - .actual_access:  read_only
        .address_space:  global
        .offset:         80
        .size:           8
        .value_kind:     global_buffer
      - .offset:         88
        .size:           4
        .value_kind:     by_value
      - .offset:         92
        .size:           4
        .value_kind:     by_value
      - .offset:         96
        .size:           4
        .value_kind:     by_value
      - .offset:         100
        .size:           4
        .value_kind:     by_value
      - .offset:         104
        .size:           4
        .value_kind:     by_value
      - .offset:         112
        .size:           8
        .value_kind:     by_value
      - .offset:         120
        .size:           8
        .value_kind:     by_value
      - .offset:         128
        .size:           8
        .value_kind:     by_value
    .group_segment_fixed_size: 40960
    .kernarg_segment_align: 8
    .kernarg_segment_size: 136
    .language:       OpenCL C
    .language_version:
      - 2
      - 0
    .max_flat_workgroup_size: 256
    .name:           _ZN12_GLOBAL__N_139chunk_gated_delta_rule_fwd_h_hip_kernelILi16ELb1ELb1ELb0ELb1ELb1ELb0ELb0ELb1EEEvPK12hip_bfloat16S3_S3_PKfS5_PKvPS1_S8_PvPKiSB_iiiiilll
    .private_segment_fixed_size: 0
    .sgpr_count:     69
    .sgpr_spill_count: 0
    .symbol:         _ZN12_GLOBAL__N_139chunk_gated_delta_rule_fwd_h_hip_kernelILi16ELb1ELb1ELb0ELb1ELb1ELb0ELb0ELb1EEEvPK12hip_bfloat16S3_S3_PKfS5_PKvPS1_S8_PvPKiSB_iiiiilll.kd
    .uniform_work_group_size: 1
    .uses_dynamic_stack: false
    .vgpr_count:     116
    .vgpr_spill_count: 0
    .wavefront_size: 64
  - .agpr_count:     8
    .args:
      - .actual_access:  read_only
        .address_space:  global
        .offset:         0
        .size:           8
        .value_kind:     global_buffer
      - .actual_access:  read_only
        .address_space:  global
        .offset:         8
        .size:           8
        .value_kind:     global_buffer
      - .actual_access:  read_only
        .address_space:  global
        .offset:         16
        .size:           8
        .value_kind:     global_buffer
      - .actual_access:  read_only
        .address_space:  global
        .offset:         24
        .size:           8
        .value_kind:     global_buffer
      - .actual_access:  read_only
        .address_space:  global
        .offset:         32
        .size:           8
        .value_kind:     global_buffer
      - .actual_access:  read_only
        .address_space:  global
        .offset:         40
        .size:           8
        .value_kind:     global_buffer
      - .actual_access:  write_only
        .address_space:  global
        .offset:         48
        .size:           8
        .value_kind:     global_buffer
      - .actual_access:  write_only
        .address_space:  global
        .offset:         56
        .size:           8
        .value_kind:     global_buffer
      - .actual_access:  read_only
        .address_space:  global
        .offset:         64
        .size:           8
        .value_kind:     global_buffer
      - .actual_access:  read_only
        .address_space:  global
        .offset:         72
        .size:           8
        .value_kind:     global_buffer
      - .actual_access:  read_only
        .address_space:  global
        .offset:         80
        .size:           8
        .value_kind:     global_buffer
      - .offset:         88
        .size:           4
        .value_kind:     by_value
      - .offset:         92
        .size:           4
        .value_kind:     by_value
      - .offset:         96
        .size:           4
        .value_kind:     by_value
      - .offset:         100
        .size:           4
        .value_kind:     by_value
      - .offset:         104
        .size:           4
        .value_kind:     by_value
      - .offset:         112
        .size:           8
        .value_kind:     by_value
      - .offset:         120
        .size:           8
        .value_kind:     by_value
      - .offset:         128
        .size:           8
        .value_kind:     by_value
    .group_segment_fixed_size: 40960
    .kernarg_segment_align: 8
    .kernarg_segment_size: 136
    .language:       OpenCL C
    .language_version:
      - 2
      - 0
    .max_flat_workgroup_size: 256
    .name:           _ZN12_GLOBAL__N_139chunk_gated_delta_rule_fwd_h_hip_kernelILi16ELb1ELb0ELb1ELb1ELb1ELb0ELb0ELb1EEEvPK12hip_bfloat16S3_S3_PKfS5_PKvPS1_S8_PvPKiSB_iiiiilll
    .private_segment_fixed_size: 0
    .sgpr_count:     70
    .sgpr_spill_count: 0
    .symbol:         _ZN12_GLOBAL__N_139chunk_gated_delta_rule_fwd_h_hip_kernelILi16ELb1ELb0ELb1ELb1ELb1ELb0ELb0ELb1EEEvPK12hip_bfloat16S3_S3_PKfS5_PKvPS1_S8_PvPKiSB_iiiiilll.kd
    .uniform_work_group_size: 1
    .uses_dynamic_stack: false
    .vgpr_count:     116
    .vgpr_spill_count: 0
    .wavefront_size: 64
  - .agpr_count:     8
    .args:
      - .actual_access:  read_only
        .address_space:  global
        .offset:         0
        .size:           8
        .value_kind:     global_buffer
      - .actual_access:  read_only
        .address_space:  global
        .offset:         8
        .size:           8
        .value_kind:     global_buffer
      - .actual_access:  read_only
        .address_space:  global
        .offset:         16
        .size:           8
        .value_kind:     global_buffer
      - .actual_access:  read_only
        .address_space:  global
        .offset:         24
        .size:           8
        .value_kind:     global_buffer
      - .actual_access:  read_only
        .address_space:  global
        .offset:         32
        .size:           8
        .value_kind:     global_buffer
      - .actual_access:  read_only
        .address_space:  global
        .offset:         40
        .size:           8
        .value_kind:     global_buffer
      - .actual_access:  write_only
        .address_space:  global
        .offset:         48
        .size:           8
        .value_kind:     global_buffer
      - .actual_access:  read_only
        .address_space:  global
        .offset:         56
        .size:           8
        .value_kind:     global_buffer
      - .actual_access:  read_only
        .address_space:  global
        .offset:         64
        .size:           8
        .value_kind:     global_buffer
      - .actual_access:  read_only
        .address_space:  global
        .offset:         72
        .size:           8
        .value_kind:     global_buffer
      - .actual_access:  read_only
        .address_space:  global
        .offset:         80
        .size:           8
        .value_kind:     global_buffer
      - .offset:         88
        .size:           4
        .value_kind:     by_value
      - .offset:         92
        .size:           4
        .value_kind:     by_value
      - .offset:         96
        .size:           4
        .value_kind:     by_value
      - .offset:         100
        .size:           4
        .value_kind:     by_value
      - .offset:         104
        .size:           4
        .value_kind:     by_value
      - .offset:         112
        .size:           8
        .value_kind:     by_value
      - .offset:         120
        .size:           8
        .value_kind:     by_value
      - .offset:         128
        .size:           8
        .value_kind:     by_value
    .group_segment_fixed_size: 40960
    .kernarg_segment_align: 8
    .kernarg_segment_size: 136
    .language:       OpenCL C
    .language_version:
      - 2
      - 0
    .max_flat_workgroup_size: 256
    .name:           _ZN12_GLOBAL__N_139chunk_gated_delta_rule_fwd_h_hip_kernelILi16ELb1ELb0ELb0ELb1ELb1ELb0ELb0ELb1EEEvPK12hip_bfloat16S3_S3_PKfS5_PKvPS1_S8_PvPKiSB_iiiiilll
    .private_segment_fixed_size: 0
    .sgpr_count:     65
    .sgpr_spill_count: 0
    .symbol:         _ZN12_GLOBAL__N_139chunk_gated_delta_rule_fwd_h_hip_kernelILi16ELb1ELb0ELb0ELb1ELb1ELb0ELb0ELb1EEEvPK12hip_bfloat16S3_S3_PKfS5_PKvPS1_S8_PvPKiSB_iiiiilll.kd
    .uniform_work_group_size: 1
    .uses_dynamic_stack: false
    .vgpr_count:     116
    .vgpr_spill_count: 0
    .wavefront_size: 64
  - .agpr_count:     8
    .args:
      - .actual_access:  read_only
        .address_space:  global
        .offset:         0
        .size:           8
        .value_kind:     global_buffer
      - .actual_access:  read_only
        .address_space:  global
        .offset:         8
        .size:           8
        .value_kind:     global_buffer
      - .actual_access:  read_only
        .address_space:  global
        .offset:         16
        .size:           8
        .value_kind:     global_buffer
      - .actual_access:  read_only
        .address_space:  global
        .offset:         24
        .size:           8
        .value_kind:     global_buffer
      - .actual_access:  read_only
        .address_space:  global
        .offset:         32
        .size:           8
        .value_kind:     global_buffer
      - .actual_access:  read_only
        .address_space:  global
        .offset:         40
        .size:           8
        .value_kind:     global_buffer
      - .actual_access:  write_only
        .address_space:  global
        .offset:         48
        .size:           8
        .value_kind:     global_buffer
      - .actual_access:  write_only
        .address_space:  global
        .offset:         56
        .size:           8
        .value_kind:     global_buffer
      - .actual_access:  write_only
        .address_space:  global
        .offset:         64
        .size:           8
        .value_kind:     global_buffer
      - .actual_access:  read_only
        .address_space:  global
        .offset:         72
        .size:           8
        .value_kind:     global_buffer
      - .actual_access:  read_only
        .address_space:  global
        .offset:         80
        .size:           8
        .value_kind:     global_buffer
      - .offset:         88
        .size:           4
        .value_kind:     by_value
      - .offset:         92
        .size:           4
        .value_kind:     by_value
      - .offset:         96
        .size:           4
        .value_kind:     by_value
      - .offset:         100
        .size:           4
        .value_kind:     by_value
      - .offset:         104
        .size:           4
        .value_kind:     by_value
      - .offset:         112
        .size:           8
        .value_kind:     by_value
      - .offset:         120
        .size:           8
        .value_kind:     by_value
      - .offset:         128
        .size:           8
        .value_kind:     by_value
    .group_segment_fixed_size: 40960
    .kernarg_segment_align: 8
    .kernarg_segment_size: 136
    .language:       OpenCL C
    .language_version:
      - 2
      - 0
    .max_flat_workgroup_size: 256
    .name:           _ZN12_GLOBAL__N_139chunk_gated_delta_rule_fwd_h_hip_kernelILi16ELb0ELb1ELb1ELb1ELb1ELb0ELb0ELb1EEEvPK12hip_bfloat16S3_S3_PKfS5_PKvPS1_S8_PvPKiSB_iiiiilll
    .private_segment_fixed_size: 0
    .sgpr_count:     72
    .sgpr_spill_count: 0
    .symbol:         _ZN12_GLOBAL__N_139chunk_gated_delta_rule_fwd_h_hip_kernelILi16ELb0ELb1ELb1ELb1ELb1ELb0ELb0ELb1EEEvPK12hip_bfloat16S3_S3_PKfS5_PKvPS1_S8_PvPKiSB_iiiiilll.kd
    .uniform_work_group_size: 1
    .uses_dynamic_stack: false
    .vgpr_count:     116
    .vgpr_spill_count: 0
    .wavefront_size: 64
  - .agpr_count:     8
    .args:
      - .actual_access:  read_only
        .address_space:  global
        .offset:         0
        .size:           8
        .value_kind:     global_buffer
      - .actual_access:  read_only
        .address_space:  global
        .offset:         8
        .size:           8
        .value_kind:     global_buffer
      - .actual_access:  read_only
        .address_space:  global
        .offset:         16
        .size:           8
        .value_kind:     global_buffer
      - .actual_access:  read_only
        .address_space:  global
        .offset:         24
        .size:           8
        .value_kind:     global_buffer
      - .actual_access:  read_only
        .address_space:  global
        .offset:         32
        .size:           8
        .value_kind:     global_buffer
      - .actual_access:  read_only
        .address_space:  global
        .offset:         40
        .size:           8
        .value_kind:     global_buffer
      - .actual_access:  write_only
        .address_space:  global
        .offset:         48
        .size:           8
        .value_kind:     global_buffer
      - .actual_access:  read_only
        .address_space:  global
        .offset:         56
        .size:           8
        .value_kind:     global_buffer
      - .actual_access:  write_only
        .address_space:  global
        .offset:         64
        .size:           8
        .value_kind:     global_buffer
      - .actual_access:  read_only
        .address_space:  global
        .offset:         72
        .size:           8
        .value_kind:     global_buffer
      - .actual_access:  read_only
        .address_space:  global
        .offset:         80
        .size:           8
        .value_kind:     global_buffer
      - .offset:         88
        .size:           4
        .value_kind:     by_value
      - .offset:         92
        .size:           4
        .value_kind:     by_value
      - .offset:         96
        .size:           4
        .value_kind:     by_value
      - .offset:         100
        .size:           4
        .value_kind:     by_value
      - .offset:         104
        .size:           4
        .value_kind:     by_value
      - .offset:         112
        .size:           8
        .value_kind:     by_value
      - .offset:         120
        .size:           8
        .value_kind:     by_value
      - .offset:         128
        .size:           8
        .value_kind:     by_value
    .group_segment_fixed_size: 40960
    .kernarg_segment_align: 8
    .kernarg_segment_size: 136
    .language:       OpenCL C
    .language_version:
      - 2
      - 0
    .max_flat_workgroup_size: 256
    .name:           _ZN12_GLOBAL__N_139chunk_gated_delta_rule_fwd_h_hip_kernelILi16ELb0ELb1ELb0ELb1ELb1ELb0ELb0ELb1EEEvPK12hip_bfloat16S3_S3_PKfS5_PKvPS1_S8_PvPKiSB_iiiiilll
    .private_segment_fixed_size: 0
    .sgpr_count:     69
    .sgpr_spill_count: 0
    .symbol:         _ZN12_GLOBAL__N_139chunk_gated_delta_rule_fwd_h_hip_kernelILi16ELb0ELb1ELb0ELb1ELb1ELb0ELb0ELb1EEEvPK12hip_bfloat16S3_S3_PKfS5_PKvPS1_S8_PvPKiSB_iiiiilll.kd
    .uniform_work_group_size: 1
    .uses_dynamic_stack: false
    .vgpr_count:     116
    .vgpr_spill_count: 0
    .wavefront_size: 64
  - .agpr_count:     8
    .args:
      - .actual_access:  read_only
        .address_space:  global
        .offset:         0
        .size:           8
        .value_kind:     global_buffer
      - .actual_access:  read_only
        .address_space:  global
        .offset:         8
        .size:           8
        .value_kind:     global_buffer
      - .actual_access:  read_only
        .address_space:  global
        .offset:         16
        .size:           8
        .value_kind:     global_buffer
      - .actual_access:  read_only
        .address_space:  global
        .offset:         24
        .size:           8
        .value_kind:     global_buffer
      - .actual_access:  read_only
        .address_space:  global
        .offset:         32
        .size:           8
        .value_kind:     global_buffer
      - .actual_access:  read_only
        .address_space:  global
        .offset:         40
        .size:           8
        .value_kind:     global_buffer
      - .actual_access:  write_only
        .address_space:  global
        .offset:         48
        .size:           8
        .value_kind:     global_buffer
      - .actual_access:  write_only
        .address_space:  global
        .offset:         56
        .size:           8
        .value_kind:     global_buffer
      - .actual_access:  read_only
        .address_space:  global
        .offset:         64
        .size:           8
        .value_kind:     global_buffer
      - .actual_access:  read_only
        .address_space:  global
        .offset:         72
        .size:           8
        .value_kind:     global_buffer
      - .actual_access:  read_only
        .address_space:  global
        .offset:         80
        .size:           8
        .value_kind:     global_buffer
      - .offset:         88
        .size:           4
        .value_kind:     by_value
      - .offset:         92
        .size:           4
        .value_kind:     by_value
      - .offset:         96
        .size:           4
        .value_kind:     by_value
      - .offset:         100
        .size:           4
        .value_kind:     by_value
      - .offset:         104
        .size:           4
        .value_kind:     by_value
      - .offset:         112
        .size:           8
        .value_kind:     by_value
      - .offset:         120
        .size:           8
        .value_kind:     by_value
      - .offset:         128
        .size:           8
        .value_kind:     by_value
    .group_segment_fixed_size: 40960
    .kernarg_segment_align: 8
    .kernarg_segment_size: 136
    .language:       OpenCL C
    .language_version:
      - 2
      - 0
    .max_flat_workgroup_size: 256
    .name:           _ZN12_GLOBAL__N_139chunk_gated_delta_rule_fwd_h_hip_kernelILi16ELb0ELb0ELb1ELb1ELb1ELb0ELb0ELb1EEEvPK12hip_bfloat16S3_S3_PKfS5_PKvPS1_S8_PvPKiSB_iiiiilll
    .private_segment_fixed_size: 0
    .sgpr_count:     68
    .sgpr_spill_count: 0
    .symbol:         _ZN12_GLOBAL__N_139chunk_gated_delta_rule_fwd_h_hip_kernelILi16ELb0ELb0ELb1ELb1ELb1ELb0ELb0ELb1EEEvPK12hip_bfloat16S3_S3_PKfS5_PKvPS1_S8_PvPKiSB_iiiiilll.kd
    .uniform_work_group_size: 1
    .uses_dynamic_stack: false
    .vgpr_count:     116
    .vgpr_spill_count: 0
    .wavefront_size: 64
  - .agpr_count:     8
    .args:
      - .actual_access:  read_only
        .address_space:  global
        .offset:         0
        .size:           8
        .value_kind:     global_buffer
      - .actual_access:  read_only
        .address_space:  global
        .offset:         8
        .size:           8
        .value_kind:     global_buffer
      - .actual_access:  read_only
        .address_space:  global
        .offset:         16
        .size:           8
        .value_kind:     global_buffer
      - .actual_access:  read_only
        .address_space:  global
        .offset:         24
        .size:           8
        .value_kind:     global_buffer
      - .actual_access:  read_only
        .address_space:  global
        .offset:         32
        .size:           8
        .value_kind:     global_buffer
      - .actual_access:  read_only
        .address_space:  global
        .offset:         40
        .size:           8
        .value_kind:     global_buffer
      - .actual_access:  write_only
        .address_space:  global
        .offset:         48
        .size:           8
        .value_kind:     global_buffer
      - .actual_access:  read_only
        .address_space:  global
        .offset:         56
        .size:           8
        .value_kind:     global_buffer
      - .actual_access:  read_only
        .address_space:  global
        .offset:         64
        .size:           8
        .value_kind:     global_buffer
      - .actual_access:  read_only
        .address_space:  global
        .offset:         72
        .size:           8
        .value_kind:     global_buffer
      - .actual_access:  read_only
        .address_space:  global
        .offset:         80
        .size:           8
        .value_kind:     global_buffer
      - .offset:         88
        .size:           4
        .value_kind:     by_value
      - .offset:         92
        .size:           4
        .value_kind:     by_value
      - .offset:         96
        .size:           4
        .value_kind:     by_value
      - .offset:         100
        .size:           4
        .value_kind:     by_value
      - .offset:         104
        .size:           4
        .value_kind:     by_value
      - .offset:         112
        .size:           8
        .value_kind:     by_value
      - .offset:         120
        .size:           8
        .value_kind:     by_value
      - .offset:         128
        .size:           8
        .value_kind:     by_value
    .group_segment_fixed_size: 40960
    .kernarg_segment_align: 8
    .kernarg_segment_size: 136
    .language:       OpenCL C
    .language_version:
      - 2
      - 0
    .max_flat_workgroup_size: 256
    .name:           _ZN12_GLOBAL__N_139chunk_gated_delta_rule_fwd_h_hip_kernelILi16ELb0ELb0ELb0ELb1ELb1ELb0ELb0ELb1EEEvPK12hip_bfloat16S3_S3_PKfS5_PKvPS1_S8_PvPKiSB_iiiiilll
    .private_segment_fixed_size: 0
    .sgpr_count:     64
    .sgpr_spill_count: 0
    .symbol:         _ZN12_GLOBAL__N_139chunk_gated_delta_rule_fwd_h_hip_kernelILi16ELb0ELb0ELb0ELb1ELb1ELb0ELb0ELb1EEEvPK12hip_bfloat16S3_S3_PKfS5_PKvPS1_S8_PvPKiSB_iiiiilll.kd
    .uniform_work_group_size: 1
    .uses_dynamic_stack: false
    .vgpr_count:     116
    .vgpr_spill_count: 0
    .wavefront_size: 64
  - .agpr_count:     8
    .args:
      - .actual_access:  read_only
        .address_space:  global
        .offset:         0
        .size:           8
        .value_kind:     global_buffer
      - .actual_access:  read_only
        .address_space:  global
        .offset:         8
        .size:           8
        .value_kind:     global_buffer
      - .actual_access:  read_only
        .address_space:  global
        .offset:         16
        .size:           8
        .value_kind:     global_buffer
      - .actual_access:  read_only
        .address_space:  global
        .offset:         24
        .size:           8
        .value_kind:     global_buffer
      - .actual_access:  read_only
        .address_space:  global
        .offset:         32
        .size:           8
        .value_kind:     global_buffer
      - .actual_access:  read_only
        .address_space:  global
        .offset:         40
        .size:           8
        .value_kind:     global_buffer
      - .actual_access:  write_only
        .address_space:  global
        .offset:         48
        .size:           8
        .value_kind:     global_buffer
      - .actual_access:  write_only
        .address_space:  global
        .offset:         56
        .size:           8
        .value_kind:     global_buffer
      - .actual_access:  write_only
        .address_space:  global
        .offset:         64
        .size:           8
        .value_kind:     global_buffer
      - .actual_access:  read_only
        .address_space:  global
        .offset:         72
        .size:           8
        .value_kind:     global_buffer
      - .actual_access:  read_only
        .address_space:  global
        .offset:         80
        .size:           8
        .value_kind:     global_buffer
      - .offset:         88
        .size:           4
        .value_kind:     by_value
      - .offset:         92
        .size:           4
        .value_kind:     by_value
      - .offset:         96
        .size:           4
        .value_kind:     by_value
      - .offset:         100
        .size:           4
        .value_kind:     by_value
      - .offset:         104
        .size:           4
        .value_kind:     by_value
      - .offset:         112
        .size:           8
        .value_kind:     by_value
      - .offset:         120
        .size:           8
        .value_kind:     by_value
      - .offset:         128
        .size:           8
        .value_kind:     by_value
    .group_segment_fixed_size: 40960
    .kernarg_segment_align: 8
    .kernarg_segment_size: 136
    .language:       OpenCL C
    .language_version:
      - 2
      - 0
    .max_flat_workgroup_size: 256
    .name:           _ZN12_GLOBAL__N_139chunk_gated_delta_rule_fwd_h_hip_kernelILi16ELb1ELb1ELb1ELb0ELb1ELb0ELb0ELb1EEEvPK12hip_bfloat16S3_S3_PKfS5_PKvPS1_S8_PvPKiSB_iiiiilll
    .private_segment_fixed_size: 0
    .sgpr_count:     78
    .sgpr_spill_count: 0
    .symbol:         _ZN12_GLOBAL__N_139chunk_gated_delta_rule_fwd_h_hip_kernelILi16ELb1ELb1ELb1ELb0ELb1ELb0ELb0ELb1EEEvPK12hip_bfloat16S3_S3_PKfS5_PKvPS1_S8_PvPKiSB_iiiiilll.kd
    .uniform_work_group_size: 1
    .uses_dynamic_stack: false
    .vgpr_count:     120
    .vgpr_spill_count: 0
    .wavefront_size: 64
  - .agpr_count:     8
    .args:
      - .actual_access:  read_only
        .address_space:  global
        .offset:         0
        .size:           8
        .value_kind:     global_buffer
      - .actual_access:  read_only
        .address_space:  global
        .offset:         8
        .size:           8
        .value_kind:     global_buffer
      - .actual_access:  read_only
        .address_space:  global
        .offset:         16
        .size:           8
        .value_kind:     global_buffer
      - .actual_access:  read_only
        .address_space:  global
        .offset:         24
        .size:           8
        .value_kind:     global_buffer
      - .actual_access:  read_only
        .address_space:  global
        .offset:         32
        .size:           8
        .value_kind:     global_buffer
      - .actual_access:  read_only
        .address_space:  global
        .offset:         40
        .size:           8
        .value_kind:     global_buffer
      - .actual_access:  write_only
        .address_space:  global
        .offset:         48
        .size:           8
        .value_kind:     global_buffer
      - .actual_access:  read_only
        .address_space:  global
        .offset:         56
        .size:           8
        .value_kind:     global_buffer
      - .actual_access:  write_only
        .address_space:  global
        .offset:         64
        .size:           8
        .value_kind:     global_buffer
      - .actual_access:  read_only
        .address_space:  global
        .offset:         72
        .size:           8
        .value_kind:     global_buffer
      - .actual_access:  read_only
        .address_space:  global
        .offset:         80
        .size:           8
        .value_kind:     global_buffer
      - .offset:         88
        .size:           4
        .value_kind:     by_value
      - .offset:         92
        .size:           4
        .value_kind:     by_value
      - .offset:         96
        .size:           4
        .value_kind:     by_value
      - .offset:         100
        .size:           4
        .value_kind:     by_value
      - .offset:         104
        .size:           4
        .value_kind:     by_value
      - .offset:         112
        .size:           8
        .value_kind:     by_value
      - .offset:         120
        .size:           8
        .value_kind:     by_value
      - .offset:         128
        .size:           8
        .value_kind:     by_value
    .group_segment_fixed_size: 40960
    .kernarg_segment_align: 8
    .kernarg_segment_size: 136
    .language:       OpenCL C
    .language_version:
      - 2
      - 0
    .max_flat_workgroup_size: 256
    .name:           _ZN12_GLOBAL__N_139chunk_gated_delta_rule_fwd_h_hip_kernelILi16ELb1ELb1ELb0ELb0ELb1ELb0ELb0ELb1EEEvPK12hip_bfloat16S3_S3_PKfS5_PKvPS1_S8_PvPKiSB_iiiiilll
    .private_segment_fixed_size: 0
    .sgpr_count:     74
    .sgpr_spill_count: 0
    .symbol:         _ZN12_GLOBAL__N_139chunk_gated_delta_rule_fwd_h_hip_kernelILi16ELb1ELb1ELb0ELb0ELb1ELb0ELb0ELb1EEEvPK12hip_bfloat16S3_S3_PKfS5_PKvPS1_S8_PvPKiSB_iiiiilll.kd
    .uniform_work_group_size: 1
    .uses_dynamic_stack: false
    .vgpr_count:     116
    .vgpr_spill_count: 0
    .wavefront_size: 64
  - .agpr_count:     8
    .args:
      - .actual_access:  read_only
        .address_space:  global
        .offset:         0
        .size:           8
        .value_kind:     global_buffer
      - .actual_access:  read_only
        .address_space:  global
        .offset:         8
        .size:           8
        .value_kind:     global_buffer
      - .actual_access:  read_only
        .address_space:  global
        .offset:         16
        .size:           8
        .value_kind:     global_buffer
      - .actual_access:  read_only
        .address_space:  global
        .offset:         24
        .size:           8
        .value_kind:     global_buffer
      - .actual_access:  read_only
        .address_space:  global
        .offset:         32
        .size:           8
        .value_kind:     global_buffer
      - .actual_access:  read_only
        .address_space:  global
        .offset:         40
        .size:           8
        .value_kind:     global_buffer
      - .actual_access:  write_only
        .address_space:  global
        .offset:         48
        .size:           8
        .value_kind:     global_buffer
      - .actual_access:  write_only
        .address_space:  global
        .offset:         56
        .size:           8
        .value_kind:     global_buffer
      - .actual_access:  read_only
        .address_space:  global
        .offset:         64
        .size:           8
        .value_kind:     global_buffer
      - .actual_access:  read_only
        .address_space:  global
        .offset:         72
        .size:           8
        .value_kind:     global_buffer
      - .actual_access:  read_only
        .address_space:  global
        .offset:         80
        .size:           8
        .value_kind:     global_buffer
      - .offset:         88
        .size:           4
        .value_kind:     by_value
      - .offset:         92
        .size:           4
        .value_kind:     by_value
      - .offset:         96
        .size:           4
        .value_kind:     by_value
      - .offset:         100
        .size:           4
        .value_kind:     by_value
      - .offset:         104
        .size:           4
        .value_kind:     by_value
      - .offset:         112
        .size:           8
        .value_kind:     by_value
      - .offset:         120
        .size:           8
        .value_kind:     by_value
      - .offset:         128
        .size:           8
        .value_kind:     by_value
    .group_segment_fixed_size: 40960
    .kernarg_segment_align: 8
    .kernarg_segment_size: 136
    .language:       OpenCL C
    .language_version:
      - 2
      - 0
    .max_flat_workgroup_size: 256
    .name:           _ZN12_GLOBAL__N_139chunk_gated_delta_rule_fwd_h_hip_kernelILi16ELb1ELb0ELb1ELb0ELb1ELb0ELb0ELb1EEEvPK12hip_bfloat16S3_S3_PKfS5_PKvPS1_S8_PvPKiSB_iiiiilll
    .private_segment_fixed_size: 0
    .sgpr_count:     74
    .sgpr_spill_count: 0
    .symbol:         _ZN12_GLOBAL__N_139chunk_gated_delta_rule_fwd_h_hip_kernelILi16ELb1ELb0ELb1ELb0ELb1ELb0ELb0ELb1EEEvPK12hip_bfloat16S3_S3_PKfS5_PKvPS1_S8_PvPKiSB_iiiiilll.kd
    .uniform_work_group_size: 1
    .uses_dynamic_stack: false
    .vgpr_count:     116
    .vgpr_spill_count: 0
    .wavefront_size: 64
  - .agpr_count:     8
    .args:
      - .actual_access:  read_only
        .address_space:  global
        .offset:         0
        .size:           8
        .value_kind:     global_buffer
      - .actual_access:  read_only
        .address_space:  global
        .offset:         8
        .size:           8
        .value_kind:     global_buffer
      - .actual_access:  read_only
        .address_space:  global
        .offset:         16
        .size:           8
        .value_kind:     global_buffer
      - .actual_access:  read_only
        .address_space:  global
        .offset:         24
        .size:           8
        .value_kind:     global_buffer
      - .actual_access:  read_only
        .address_space:  global
        .offset:         32
        .size:           8
        .value_kind:     global_buffer
      - .actual_access:  read_only
        .address_space:  global
        .offset:         40
        .size:           8
        .value_kind:     global_buffer
      - .actual_access:  write_only
        .address_space:  global
        .offset:         48
        .size:           8
        .value_kind:     global_buffer
      - .actual_access:  read_only
        .address_space:  global
        .offset:         56
        .size:           8
        .value_kind:     global_buffer
      - .actual_access:  read_only
        .address_space:  global
        .offset:         64
        .size:           8
        .value_kind:     global_buffer
      - .actual_access:  read_only
        .address_space:  global
        .offset:         72
        .size:           8
        .value_kind:     global_buffer
      - .actual_access:  read_only
        .address_space:  global
        .offset:         80
        .size:           8
        .value_kind:     global_buffer
      - .offset:         88
        .size:           4
        .value_kind:     by_value
      - .offset:         92
        .size:           4
        .value_kind:     by_value
      - .offset:         96
        .size:           4
        .value_kind:     by_value
      - .offset:         100
        .size:           4
        .value_kind:     by_value
      - .offset:         104
        .size:           4
        .value_kind:     by_value
      - .offset:         112
        .size:           8
        .value_kind:     by_value
      - .offset:         120
        .size:           8
        .value_kind:     by_value
      - .offset:         128
        .size:           8
        .value_kind:     by_value
    .group_segment_fixed_size: 40960
    .kernarg_segment_align: 8
    .kernarg_segment_size: 136
    .language:       OpenCL C
    .language_version:
      - 2
      - 0
    .max_flat_workgroup_size: 256
    .name:           _ZN12_GLOBAL__N_139chunk_gated_delta_rule_fwd_h_hip_kernelILi16ELb1ELb0ELb0ELb0ELb1ELb0ELb0ELb1EEEvPK12hip_bfloat16S3_S3_PKfS5_PKvPS1_S8_PvPKiSB_iiiiilll
    .private_segment_fixed_size: 0
    .sgpr_count:     70
    .sgpr_spill_count: 0
    .symbol:         _ZN12_GLOBAL__N_139chunk_gated_delta_rule_fwd_h_hip_kernelILi16ELb1ELb0ELb0ELb0ELb1ELb0ELb0ELb1EEEvPK12hip_bfloat16S3_S3_PKfS5_PKvPS1_S8_PvPKiSB_iiiiilll.kd
    .uniform_work_group_size: 1
    .uses_dynamic_stack: false
    .vgpr_count:     116
    .vgpr_spill_count: 0
    .wavefront_size: 64
  - .agpr_count:     8
    .args:
      - .actual_access:  read_only
        .address_space:  global
        .offset:         0
        .size:           8
        .value_kind:     global_buffer
      - .actual_access:  read_only
        .address_space:  global
        .offset:         8
        .size:           8
        .value_kind:     global_buffer
      - .actual_access:  read_only
        .address_space:  global
        .offset:         16
        .size:           8
        .value_kind:     global_buffer
      - .actual_access:  read_only
        .address_space:  global
        .offset:         24
        .size:           8
        .value_kind:     global_buffer
      - .actual_access:  read_only
        .address_space:  global
        .offset:         32
        .size:           8
        .value_kind:     global_buffer
      - .actual_access:  read_only
        .address_space:  global
        .offset:         40
        .size:           8
        .value_kind:     global_buffer
      - .actual_access:  write_only
        .address_space:  global
        .offset:         48
        .size:           8
        .value_kind:     global_buffer
      - .actual_access:  write_only
        .address_space:  global
        .offset:         56
        .size:           8
        .value_kind:     global_buffer
      - .actual_access:  write_only
        .address_space:  global
        .offset:         64
        .size:           8
        .value_kind:     global_buffer
      - .actual_access:  read_only
        .address_space:  global
        .offset:         72
        .size:           8
        .value_kind:     global_buffer
      - .actual_access:  read_only
        .address_space:  global
        .offset:         80
        .size:           8
        .value_kind:     global_buffer
      - .offset:         88
        .size:           4
        .value_kind:     by_value
      - .offset:         92
        .size:           4
        .value_kind:     by_value
      - .offset:         96
        .size:           4
        .value_kind:     by_value
      - .offset:         100
        .size:           4
        .value_kind:     by_value
      - .offset:         104
        .size:           4
        .value_kind:     by_value
      - .offset:         112
        .size:           8
        .value_kind:     by_value
      - .offset:         120
        .size:           8
        .value_kind:     by_value
      - .offset:         128
        .size:           8
        .value_kind:     by_value
    .group_segment_fixed_size: 40960
    .kernarg_segment_align: 8
    .kernarg_segment_size: 136
    .language:       OpenCL C
    .language_version:
      - 2
      - 0
    .max_flat_workgroup_size: 256
    .name:           _ZN12_GLOBAL__N_139chunk_gated_delta_rule_fwd_h_hip_kernelILi16ELb0ELb1ELb1ELb0ELb1ELb0ELb0ELb1EEEvPK12hip_bfloat16S3_S3_PKfS5_PKvPS1_S8_PvPKiSB_iiiiilll
    .private_segment_fixed_size: 0
    .sgpr_count:     74
    .sgpr_spill_count: 0
    .symbol:         _ZN12_GLOBAL__N_139chunk_gated_delta_rule_fwd_h_hip_kernelILi16ELb0ELb1ELb1ELb0ELb1ELb0ELb0ELb1EEEvPK12hip_bfloat16S3_S3_PKfS5_PKvPS1_S8_PvPKiSB_iiiiilll.kd
    .uniform_work_group_size: 1
    .uses_dynamic_stack: false
    .vgpr_count:     116
    .vgpr_spill_count: 0
    .wavefront_size: 64
  - .agpr_count:     8
    .args:
      - .actual_access:  read_only
        .address_space:  global
        .offset:         0
        .size:           8
        .value_kind:     global_buffer
      - .actual_access:  read_only
        .address_space:  global
        .offset:         8
        .size:           8
        .value_kind:     global_buffer
      - .actual_access:  read_only
        .address_space:  global
        .offset:         16
        .size:           8
        .value_kind:     global_buffer
      - .actual_access:  read_only
        .address_space:  global
        .offset:         24
        .size:           8
        .value_kind:     global_buffer
      - .actual_access:  read_only
        .address_space:  global
        .offset:         32
        .size:           8
        .value_kind:     global_buffer
      - .actual_access:  read_only
        .address_space:  global
        .offset:         40
        .size:           8
        .value_kind:     global_buffer
      - .actual_access:  write_only
        .address_space:  global
        .offset:         48
        .size:           8
        .value_kind:     global_buffer
      - .actual_access:  read_only
        .address_space:  global
        .offset:         56
        .size:           8
        .value_kind:     global_buffer
      - .actual_access:  write_only
        .address_space:  global
        .offset:         64
        .size:           8
        .value_kind:     global_buffer
      - .actual_access:  read_only
        .address_space:  global
        .offset:         72
        .size:           8
        .value_kind:     global_buffer
      - .actual_access:  read_only
        .address_space:  global
        .offset:         80
        .size:           8
        .value_kind:     global_buffer
      - .offset:         88
        .size:           4
        .value_kind:     by_value
      - .offset:         92
        .size:           4
        .value_kind:     by_value
      - .offset:         96
        .size:           4
        .value_kind:     by_value
      - .offset:         100
        .size:           4
        .value_kind:     by_value
      - .offset:         104
        .size:           4
        .value_kind:     by_value
      - .offset:         112
        .size:           8
        .value_kind:     by_value
      - .offset:         120
        .size:           8
        .value_kind:     by_value
      - .offset:         128
        .size:           8
        .value_kind:     by_value
    .group_segment_fixed_size: 40960
    .kernarg_segment_align: 8
    .kernarg_segment_size: 136
    .language:       OpenCL C
    .language_version:
      - 2
      - 0
    .max_flat_workgroup_size: 256
    .name:           _ZN12_GLOBAL__N_139chunk_gated_delta_rule_fwd_h_hip_kernelILi16ELb0ELb1ELb0ELb0ELb1ELb0ELb0ELb1EEEvPK12hip_bfloat16S3_S3_PKfS5_PKvPS1_S8_PvPKiSB_iiiiilll
    .private_segment_fixed_size: 0
    .sgpr_count:     69
    .sgpr_spill_count: 0
    .symbol:         _ZN12_GLOBAL__N_139chunk_gated_delta_rule_fwd_h_hip_kernelILi16ELb0ELb1ELb0ELb0ELb1ELb0ELb0ELb1EEEvPK12hip_bfloat16S3_S3_PKfS5_PKvPS1_S8_PvPKiSB_iiiiilll.kd
    .uniform_work_group_size: 1
    .uses_dynamic_stack: false
    .vgpr_count:     116
    .vgpr_spill_count: 0
    .wavefront_size: 64
  - .agpr_count:     8
    .args:
      - .actual_access:  read_only
        .address_space:  global
        .offset:         0
        .size:           8
        .value_kind:     global_buffer
      - .actual_access:  read_only
        .address_space:  global
        .offset:         8
        .size:           8
        .value_kind:     global_buffer
      - .actual_access:  read_only
        .address_space:  global
        .offset:         16
        .size:           8
        .value_kind:     global_buffer
      - .actual_access:  read_only
        .address_space:  global
        .offset:         24
        .size:           8
        .value_kind:     global_buffer
      - .actual_access:  read_only
        .address_space:  global
        .offset:         32
        .size:           8
        .value_kind:     global_buffer
      - .actual_access:  read_only
        .address_space:  global
        .offset:         40
        .size:           8
        .value_kind:     global_buffer
      - .actual_access:  write_only
        .address_space:  global
        .offset:         48
        .size:           8
        .value_kind:     global_buffer
      - .actual_access:  write_only
        .address_space:  global
        .offset:         56
        .size:           8
        .value_kind:     global_buffer
      - .actual_access:  read_only
        .address_space:  global
        .offset:         64
        .size:           8
        .value_kind:     global_buffer
      - .actual_access:  read_only
        .address_space:  global
        .offset:         72
        .size:           8
        .value_kind:     global_buffer
      - .actual_access:  read_only
        .address_space:  global
        .offset:         80
        .size:           8
        .value_kind:     global_buffer
      - .offset:         88
        .size:           4
        .value_kind:     by_value
      - .offset:         92
        .size:           4
        .value_kind:     by_value
      - .offset:         96
        .size:           4
        .value_kind:     by_value
      - .offset:         100
        .size:           4
        .value_kind:     by_value
      - .offset:         104
        .size:           4
        .value_kind:     by_value
      - .offset:         112
        .size:           8
        .value_kind:     by_value
      - .offset:         120
        .size:           8
        .value_kind:     by_value
      - .offset:         128
        .size:           8
        .value_kind:     by_value
    .group_segment_fixed_size: 40960
    .kernarg_segment_align: 8
    .kernarg_segment_size: 136
    .language:       OpenCL C
    .language_version:
      - 2
      - 0
    .max_flat_workgroup_size: 256
    .name:           _ZN12_GLOBAL__N_139chunk_gated_delta_rule_fwd_h_hip_kernelILi16ELb0ELb0ELb1ELb0ELb1ELb0ELb0ELb1EEEvPK12hip_bfloat16S3_S3_PKfS5_PKvPS1_S8_PvPKiSB_iiiiilll
    .private_segment_fixed_size: 0
    .sgpr_count:     72
    .sgpr_spill_count: 0
    .symbol:         _ZN12_GLOBAL__N_139chunk_gated_delta_rule_fwd_h_hip_kernelILi16ELb0ELb0ELb1ELb0ELb1ELb0ELb0ELb1EEEvPK12hip_bfloat16S3_S3_PKfS5_PKvPS1_S8_PvPKiSB_iiiiilll.kd
    .uniform_work_group_size: 1
    .uses_dynamic_stack: false
    .vgpr_count:     116
    .vgpr_spill_count: 0
    .wavefront_size: 64
  - .agpr_count:     8
    .args:
      - .actual_access:  read_only
        .address_space:  global
        .offset:         0
        .size:           8
        .value_kind:     global_buffer
      - .actual_access:  read_only
        .address_space:  global
        .offset:         8
        .size:           8
        .value_kind:     global_buffer
      - .actual_access:  read_only
        .address_space:  global
        .offset:         16
        .size:           8
        .value_kind:     global_buffer
      - .actual_access:  read_only
        .address_space:  global
        .offset:         24
        .size:           8
        .value_kind:     global_buffer
      - .actual_access:  read_only
        .address_space:  global
        .offset:         32
        .size:           8
        .value_kind:     global_buffer
      - .actual_access:  read_only
        .address_space:  global
        .offset:         40
        .size:           8
        .value_kind:     global_buffer
      - .actual_access:  write_only
        .address_space:  global
        .offset:         48
        .size:           8
        .value_kind:     global_buffer
      - .actual_access:  read_only
        .address_space:  global
        .offset:         56
        .size:           8
        .value_kind:     global_buffer
      - .actual_access:  read_only
        .address_space:  global
        .offset:         64
        .size:           8
        .value_kind:     global_buffer
      - .actual_access:  read_only
        .address_space:  global
        .offset:         72
        .size:           8
        .value_kind:     global_buffer
      - .actual_access:  read_only
        .address_space:  global
        .offset:         80
        .size:           8
        .value_kind:     global_buffer
      - .offset:         88
        .size:           4
        .value_kind:     by_value
      - .offset:         92
        .size:           4
        .value_kind:     by_value
      - .offset:         96
        .size:           4
        .value_kind:     by_value
      - .offset:         100
        .size:           4
        .value_kind:     by_value
      - .offset:         104
        .size:           4
        .value_kind:     by_value
      - .offset:         112
        .size:           8
        .value_kind:     by_value
      - .offset:         120
        .size:           8
        .value_kind:     by_value
      - .offset:         128
        .size:           8
        .value_kind:     by_value
    .group_segment_fixed_size: 40960
    .kernarg_segment_align: 8
    .kernarg_segment_size: 136
    .language:       OpenCL C
    .language_version:
      - 2
      - 0
    .max_flat_workgroup_size: 256
    .name:           _ZN12_GLOBAL__N_139chunk_gated_delta_rule_fwd_h_hip_kernelILi16ELb0ELb0ELb0ELb0ELb1ELb0ELb0ELb1EEEvPK12hip_bfloat16S3_S3_PKfS5_PKvPS1_S8_PvPKiSB_iiiiilll
    .private_segment_fixed_size: 0
    .sgpr_count:     67
    .sgpr_spill_count: 0
    .symbol:         _ZN12_GLOBAL__N_139chunk_gated_delta_rule_fwd_h_hip_kernelILi16ELb0ELb0ELb0ELb0ELb1ELb0ELb0ELb1EEEvPK12hip_bfloat16S3_S3_PKfS5_PKvPS1_S8_PvPKiSB_iiiiilll.kd
    .uniform_work_group_size: 1
    .uses_dynamic_stack: false
    .vgpr_count:     116
    .vgpr_spill_count: 0
    .wavefront_size: 64
  - .agpr_count:     12
    .args:
      - .actual_access:  read_only
        .address_space:  global
        .offset:         0
        .size:           8
        .value_kind:     global_buffer
      - .actual_access:  read_only
        .address_space:  global
        .offset:         8
        .size:           8
        .value_kind:     global_buffer
      - .actual_access:  read_only
        .address_space:  global
        .offset:         16
        .size:           8
        .value_kind:     global_buffer
      - .actual_access:  read_only
        .address_space:  global
        .offset:         24
        .size:           8
        .value_kind:     global_buffer
      - .actual_access:  read_only
        .address_space:  global
        .offset:         32
        .size:           8
        .value_kind:     global_buffer
      - .actual_access:  read_only
        .address_space:  global
        .offset:         40
        .size:           8
        .value_kind:     global_buffer
      - .actual_access:  write_only
        .address_space:  global
        .offset:         48
        .size:           8
        .value_kind:     global_buffer
      - .actual_access:  write_only
        .address_space:  global
        .offset:         56
        .size:           8
        .value_kind:     global_buffer
      - .actual_access:  write_only
        .address_space:  global
        .offset:         64
        .size:           8
        .value_kind:     global_buffer
      - .actual_access:  read_only
        .address_space:  global
        .offset:         72
        .size:           8
        .value_kind:     global_buffer
      - .actual_access:  read_only
        .address_space:  global
        .offset:         80
        .size:           8
        .value_kind:     global_buffer
      - .offset:         88
        .size:           4
        .value_kind:     by_value
      - .offset:         92
        .size:           4
        .value_kind:     by_value
      - .offset:         96
        .size:           4
        .value_kind:     by_value
      - .offset:         100
        .size:           4
        .value_kind:     by_value
      - .offset:         104
        .size:           4
        .value_kind:     by_value
      - .offset:         112
        .size:           8
        .value_kind:     by_value
      - .offset:         120
        .size:           8
        .value_kind:     by_value
      - .offset:         128
        .size:           8
        .value_kind:     by_value
    .group_segment_fixed_size: 40960
    .kernarg_segment_align: 8
    .kernarg_segment_size: 136
    .language:       OpenCL C
    .language_version:
      - 2
      - 0
    .max_flat_workgroup_size: 256
    .name:           _ZN12_GLOBAL__N_139chunk_gated_delta_rule_fwd_h_hip_kernelILi16ELb1ELb1ELb1ELb1ELb0ELb1ELb1ELb1EEEvPK12hip_bfloat16S3_S3_PKfS5_PKvPS1_S8_PvPKiSB_iiiiilll
    .private_segment_fixed_size: 0
    .sgpr_count:     76
    .sgpr_spill_count: 0
    .symbol:         _ZN12_GLOBAL__N_139chunk_gated_delta_rule_fwd_h_hip_kernelILi16ELb1ELb1ELb1ELb1ELb0ELb1ELb1ELb1EEEvPK12hip_bfloat16S3_S3_PKfS5_PKvPS1_S8_PvPKiSB_iiiiilll.kd
    .uniform_work_group_size: 1
    .uses_dynamic_stack: false
    .vgpr_count:     132
    .vgpr_spill_count: 0
    .wavefront_size: 64
  - .agpr_count:     12
    .args:
      - .actual_access:  read_only
        .address_space:  global
        .offset:         0
        .size:           8
        .value_kind:     global_buffer
      - .actual_access:  read_only
        .address_space:  global
        .offset:         8
        .size:           8
        .value_kind:     global_buffer
      - .actual_access:  read_only
        .address_space:  global
        .offset:         16
        .size:           8
        .value_kind:     global_buffer
      - .actual_access:  read_only
        .address_space:  global
        .offset:         24
        .size:           8
        .value_kind:     global_buffer
      - .actual_access:  read_only
        .address_space:  global
        .offset:         32
        .size:           8
        .value_kind:     global_buffer
      - .actual_access:  read_only
        .address_space:  global
        .offset:         40
        .size:           8
        .value_kind:     global_buffer
      - .actual_access:  write_only
        .address_space:  global
        .offset:         48
        .size:           8
        .value_kind:     global_buffer
      - .actual_access:  read_only
        .address_space:  global
        .offset:         56
        .size:           8
        .value_kind:     global_buffer
      - .actual_access:  write_only
        .address_space:  global
        .offset:         64
        .size:           8
        .value_kind:     global_buffer
      - .actual_access:  read_only
        .address_space:  global
        .offset:         72
        .size:           8
        .value_kind:     global_buffer
      - .actual_access:  read_only
        .address_space:  global
        .offset:         80
        .size:           8
        .value_kind:     global_buffer
      - .offset:         88
        .size:           4
        .value_kind:     by_value
      - .offset:         92
        .size:           4
        .value_kind:     by_value
      - .offset:         96
        .size:           4
        .value_kind:     by_value
      - .offset:         100
        .size:           4
        .value_kind:     by_value
      - .offset:         104
        .size:           4
        .value_kind:     by_value
      - .offset:         112
        .size:           8
        .value_kind:     by_value
      - .offset:         120
        .size:           8
        .value_kind:     by_value
      - .offset:         128
        .size:           8
        .value_kind:     by_value
    .group_segment_fixed_size: 40960
    .kernarg_segment_align: 8
    .kernarg_segment_size: 136
    .language:       OpenCL C
    .language_version:
      - 2
      - 0
    .max_flat_workgroup_size: 256
    .name:           _ZN12_GLOBAL__N_139chunk_gated_delta_rule_fwd_h_hip_kernelILi16ELb1ELb1ELb0ELb1ELb0ELb1ELb1ELb1EEEvPK12hip_bfloat16S3_S3_PKfS5_PKvPS1_S8_PvPKiSB_iiiiilll
    .private_segment_fixed_size: 0
    .sgpr_count:     71
    .sgpr_spill_count: 0
    .symbol:         _ZN12_GLOBAL__N_139chunk_gated_delta_rule_fwd_h_hip_kernelILi16ELb1ELb1ELb0ELb1ELb0ELb1ELb1ELb1EEEvPK12hip_bfloat16S3_S3_PKfS5_PKvPS1_S8_PvPKiSB_iiiiilll.kd
    .uniform_work_group_size: 1
    .uses_dynamic_stack: false
    .vgpr_count:     128
    .vgpr_spill_count: 0
    .wavefront_size: 64
  - .agpr_count:     12
    .args:
      - .actual_access:  read_only
        .address_space:  global
        .offset:         0
        .size:           8
        .value_kind:     global_buffer
      - .actual_access:  read_only
        .address_space:  global
        .offset:         8
        .size:           8
        .value_kind:     global_buffer
      - .actual_access:  read_only
        .address_space:  global
        .offset:         16
        .size:           8
        .value_kind:     global_buffer
      - .actual_access:  read_only
        .address_space:  global
        .offset:         24
        .size:           8
        .value_kind:     global_buffer
      - .actual_access:  read_only
        .address_space:  global
        .offset:         32
        .size:           8
        .value_kind:     global_buffer
      - .actual_access:  read_only
        .address_space:  global
        .offset:         40
        .size:           8
        .value_kind:     global_buffer
      - .actual_access:  write_only
        .address_space:  global
        .offset:         48
        .size:           8
        .value_kind:     global_buffer
      - .actual_access:  write_only
        .address_space:  global
        .offset:         56
        .size:           8
        .value_kind:     global_buffer
      - .actual_access:  read_only
        .address_space:  global
        .offset:         64
        .size:           8
        .value_kind:     global_buffer
      - .actual_access:  read_only
        .address_space:  global
        .offset:         72
        .size:           8
        .value_kind:     global_buffer
      - .actual_access:  read_only
        .address_space:  global
        .offset:         80
        .size:           8
        .value_kind:     global_buffer
      - .offset:         88
        .size:           4
        .value_kind:     by_value
      - .offset:         92
        .size:           4
        .value_kind:     by_value
      - .offset:         96
        .size:           4
        .value_kind:     by_value
      - .offset:         100
        .size:           4
        .value_kind:     by_value
      - .offset:         104
        .size:           4
        .value_kind:     by_value
      - .offset:         112
        .size:           8
        .value_kind:     by_value
      - .offset:         120
        .size:           8
        .value_kind:     by_value
      - .offset:         128
        .size:           8
        .value_kind:     by_value
    .group_segment_fixed_size: 40960
    .kernarg_segment_align: 8
    .kernarg_segment_size: 136
    .language:       OpenCL C
    .language_version:
      - 2
      - 0
    .max_flat_workgroup_size: 256
    .name:           _ZN12_GLOBAL__N_139chunk_gated_delta_rule_fwd_h_hip_kernelILi16ELb1ELb0ELb1ELb1ELb0ELb1ELb1ELb1EEEvPK12hip_bfloat16S3_S3_PKfS5_PKvPS1_S8_PvPKiSB_iiiiilll
    .private_segment_fixed_size: 0
    .sgpr_count:     69
    .sgpr_spill_count: 0
    .symbol:         _ZN12_GLOBAL__N_139chunk_gated_delta_rule_fwd_h_hip_kernelILi16ELb1ELb0ELb1ELb1ELb0ELb1ELb1ELb1EEEvPK12hip_bfloat16S3_S3_PKfS5_PKvPS1_S8_PvPKiSB_iiiiilll.kd
    .uniform_work_group_size: 1
    .uses_dynamic_stack: false
    .vgpr_count:     128
    .vgpr_spill_count: 0
    .wavefront_size: 64
  - .agpr_count:     12
    .args:
      - .actual_access:  read_only
        .address_space:  global
        .offset:         0
        .size:           8
        .value_kind:     global_buffer
      - .actual_access:  read_only
        .address_space:  global
        .offset:         8
        .size:           8
        .value_kind:     global_buffer
      - .actual_access:  read_only
        .address_space:  global
        .offset:         16
        .size:           8
        .value_kind:     global_buffer
      - .actual_access:  read_only
        .address_space:  global
        .offset:         24
        .size:           8
        .value_kind:     global_buffer
      - .actual_access:  read_only
        .address_space:  global
        .offset:         32
        .size:           8
        .value_kind:     global_buffer
      - .actual_access:  read_only
        .address_space:  global
        .offset:         40
        .size:           8
        .value_kind:     global_buffer
      - .actual_access:  write_only
        .address_space:  global
        .offset:         48
        .size:           8
        .value_kind:     global_buffer
      - .actual_access:  read_only
        .address_space:  global
        .offset:         56
        .size:           8
        .value_kind:     global_buffer
      - .actual_access:  read_only
        .address_space:  global
        .offset:         64
        .size:           8
        .value_kind:     global_buffer
      - .actual_access:  read_only
        .address_space:  global
        .offset:         72
        .size:           8
        .value_kind:     global_buffer
      - .actual_access:  read_only
        .address_space:  global
        .offset:         80
        .size:           8
        .value_kind:     global_buffer
      - .offset:         88
        .size:           4
        .value_kind:     by_value
      - .offset:         92
        .size:           4
        .value_kind:     by_value
      - .offset:         96
        .size:           4
        .value_kind:     by_value
      - .offset:         100
        .size:           4
        .value_kind:     by_value
      - .offset:         104
        .size:           4
        .value_kind:     by_value
      - .offset:         112
        .size:           8
        .value_kind:     by_value
      - .offset:         120
        .size:           8
        .value_kind:     by_value
      - .offset:         128
        .size:           8
        .value_kind:     by_value
    .group_segment_fixed_size: 40960
    .kernarg_segment_align: 8
    .kernarg_segment_size: 136
    .language:       OpenCL C
    .language_version:
      - 2
      - 0
    .max_flat_workgroup_size: 256
    .name:           _ZN12_GLOBAL__N_139chunk_gated_delta_rule_fwd_h_hip_kernelILi16ELb1ELb0ELb0ELb1ELb0ELb1ELb1ELb1EEEvPK12hip_bfloat16S3_S3_PKfS5_PKvPS1_S8_PvPKiSB_iiiiilll
    .private_segment_fixed_size: 0
    .sgpr_count:     67
    .sgpr_spill_count: 0
    .symbol:         _ZN12_GLOBAL__N_139chunk_gated_delta_rule_fwd_h_hip_kernelILi16ELb1ELb0ELb0ELb1ELb0ELb1ELb1ELb1EEEvPK12hip_bfloat16S3_S3_PKfS5_PKvPS1_S8_PvPKiSB_iiiiilll.kd
    .uniform_work_group_size: 1
    .uses_dynamic_stack: false
    .vgpr_count:     128
    .vgpr_spill_count: 0
    .wavefront_size: 64
  - .agpr_count:     12
    .args:
      - .actual_access:  read_only
        .address_space:  global
        .offset:         0
        .size:           8
        .value_kind:     global_buffer
      - .actual_access:  read_only
        .address_space:  global
        .offset:         8
        .size:           8
        .value_kind:     global_buffer
      - .actual_access:  read_only
        .address_space:  global
        .offset:         16
        .size:           8
        .value_kind:     global_buffer
      - .actual_access:  read_only
        .address_space:  global
        .offset:         24
        .size:           8
        .value_kind:     global_buffer
      - .actual_access:  read_only
        .address_space:  global
        .offset:         32
        .size:           8
        .value_kind:     global_buffer
      - .actual_access:  read_only
        .address_space:  global
        .offset:         40
        .size:           8
        .value_kind:     global_buffer
      - .actual_access:  write_only
        .address_space:  global
        .offset:         48
        .size:           8
        .value_kind:     global_buffer
      - .actual_access:  write_only
        .address_space:  global
        .offset:         56
        .size:           8
        .value_kind:     global_buffer
      - .actual_access:  write_only
        .address_space:  global
        .offset:         64
        .size:           8
        .value_kind:     global_buffer
      - .actual_access:  read_only
        .address_space:  global
        .offset:         72
        .size:           8
        .value_kind:     global_buffer
      - .actual_access:  read_only
        .address_space:  global
        .offset:         80
        .size:           8
        .value_kind:     global_buffer
      - .offset:         88
        .size:           4
        .value_kind:     by_value
      - .offset:         92
        .size:           4
        .value_kind:     by_value
      - .offset:         96
        .size:           4
        .value_kind:     by_value
      - .offset:         100
        .size:           4
        .value_kind:     by_value
      - .offset:         104
        .size:           4
        .value_kind:     by_value
      - .offset:         112
        .size:           8
        .value_kind:     by_value
      - .offset:         120
        .size:           8
        .value_kind:     by_value
      - .offset:         128
        .size:           8
        .value_kind:     by_value
    .group_segment_fixed_size: 40960
    .kernarg_segment_align: 8
    .kernarg_segment_size: 136
    .language:       OpenCL C
    .language_version:
      - 2
      - 0
    .max_flat_workgroup_size: 256
    .name:           _ZN12_GLOBAL__N_139chunk_gated_delta_rule_fwd_h_hip_kernelILi16ELb0ELb1ELb1ELb1ELb0ELb1ELb1ELb1EEEvPK12hip_bfloat16S3_S3_PKfS5_PKvPS1_S8_PvPKiSB_iiiiilll
    .private_segment_fixed_size: 0
    .sgpr_count:     76
    .sgpr_spill_count: 0
    .symbol:         _ZN12_GLOBAL__N_139chunk_gated_delta_rule_fwd_h_hip_kernelILi16ELb0ELb1ELb1ELb1ELb0ELb1ELb1ELb1EEEvPK12hip_bfloat16S3_S3_PKfS5_PKvPS1_S8_PvPKiSB_iiiiilll.kd
    .uniform_work_group_size: 1
    .uses_dynamic_stack: false
    .vgpr_count:     128
    .vgpr_spill_count: 0
    .wavefront_size: 64
  - .agpr_count:     12
    .args:
      - .actual_access:  read_only
        .address_space:  global
        .offset:         0
        .size:           8
        .value_kind:     global_buffer
      - .actual_access:  read_only
        .address_space:  global
        .offset:         8
        .size:           8
        .value_kind:     global_buffer
      - .actual_access:  read_only
        .address_space:  global
        .offset:         16
        .size:           8
        .value_kind:     global_buffer
      - .actual_access:  read_only
        .address_space:  global
        .offset:         24
        .size:           8
        .value_kind:     global_buffer
      - .actual_access:  read_only
        .address_space:  global
        .offset:         32
        .size:           8
        .value_kind:     global_buffer
      - .actual_access:  read_only
        .address_space:  global
        .offset:         40
        .size:           8
        .value_kind:     global_buffer
      - .actual_access:  write_only
        .address_space:  global
        .offset:         48
        .size:           8
        .value_kind:     global_buffer
      - .actual_access:  read_only
        .address_space:  global
        .offset:         56
        .size:           8
        .value_kind:     global_buffer
      - .actual_access:  write_only
        .address_space:  global
        .offset:         64
        .size:           8
        .value_kind:     global_buffer
      - .actual_access:  read_only
        .address_space:  global
        .offset:         72
        .size:           8
        .value_kind:     global_buffer
      - .actual_access:  read_only
        .address_space:  global
        .offset:         80
        .size:           8
        .value_kind:     global_buffer
      - .offset:         88
        .size:           4
        .value_kind:     by_value
      - .offset:         92
        .size:           4
        .value_kind:     by_value
      - .offset:         96
        .size:           4
        .value_kind:     by_value
      - .offset:         100
        .size:           4
        .value_kind:     by_value
      - .offset:         104
        .size:           4
        .value_kind:     by_value
      - .offset:         112
        .size:           8
        .value_kind:     by_value
      - .offset:         120
        .size:           8
        .value_kind:     by_value
      - .offset:         128
        .size:           8
        .value_kind:     by_value
    .group_segment_fixed_size: 40960
    .kernarg_segment_align: 8
    .kernarg_segment_size: 136
    .language:       OpenCL C
    .language_version:
      - 2
      - 0
    .max_flat_workgroup_size: 256
    .name:           _ZN12_GLOBAL__N_139chunk_gated_delta_rule_fwd_h_hip_kernelILi16ELb0ELb1ELb0ELb1ELb0ELb1ELb1ELb1EEEvPK12hip_bfloat16S3_S3_PKfS5_PKvPS1_S8_PvPKiSB_iiiiilll
    .private_segment_fixed_size: 0
    .sgpr_count:     71
    .sgpr_spill_count: 0
    .symbol:         _ZN12_GLOBAL__N_139chunk_gated_delta_rule_fwd_h_hip_kernelILi16ELb0ELb1ELb0ELb1ELb0ELb1ELb1ELb1EEEvPK12hip_bfloat16S3_S3_PKfS5_PKvPS1_S8_PvPKiSB_iiiiilll.kd
    .uniform_work_group_size: 1
    .uses_dynamic_stack: false
    .vgpr_count:     128
    .vgpr_spill_count: 0
    .wavefront_size: 64
  - .agpr_count:     12
    .args:
      - .actual_access:  read_only
        .address_space:  global
        .offset:         0
        .size:           8
        .value_kind:     global_buffer
      - .actual_access:  read_only
        .address_space:  global
        .offset:         8
        .size:           8
        .value_kind:     global_buffer
      - .actual_access:  read_only
        .address_space:  global
        .offset:         16
        .size:           8
        .value_kind:     global_buffer
      - .actual_access:  read_only
        .address_space:  global
        .offset:         24
        .size:           8
        .value_kind:     global_buffer
      - .actual_access:  read_only
        .address_space:  global
        .offset:         32
        .size:           8
        .value_kind:     global_buffer
      - .actual_access:  read_only
        .address_space:  global
        .offset:         40
        .size:           8
        .value_kind:     global_buffer
      - .actual_access:  write_only
        .address_space:  global
        .offset:         48
        .size:           8
        .value_kind:     global_buffer
      - .actual_access:  write_only
        .address_space:  global
        .offset:         56
        .size:           8
        .value_kind:     global_buffer
      - .actual_access:  read_only
        .address_space:  global
        .offset:         64
        .size:           8
        .value_kind:     global_buffer
      - .actual_access:  read_only
        .address_space:  global
        .offset:         72
        .size:           8
        .value_kind:     global_buffer
      - .actual_access:  read_only
        .address_space:  global
        .offset:         80
        .size:           8
        .value_kind:     global_buffer
      - .offset:         88
        .size:           4
        .value_kind:     by_value
      - .offset:         92
        .size:           4
        .value_kind:     by_value
      - .offset:         96
        .size:           4
        .value_kind:     by_value
      - .offset:         100
        .size:           4
        .value_kind:     by_value
      - .offset:         104
        .size:           4
        .value_kind:     by_value
      - .offset:         112
        .size:           8
        .value_kind:     by_value
      - .offset:         120
        .size:           8
        .value_kind:     by_value
      - .offset:         128
        .size:           8
        .value_kind:     by_value
    .group_segment_fixed_size: 40960
    .kernarg_segment_align: 8
    .kernarg_segment_size: 136
    .language:       OpenCL C
    .language_version:
      - 2
      - 0
    .max_flat_workgroup_size: 256
    .name:           _ZN12_GLOBAL__N_139chunk_gated_delta_rule_fwd_h_hip_kernelILi16ELb0ELb0ELb1ELb1ELb0ELb1ELb1ELb1EEEvPK12hip_bfloat16S3_S3_PKfS5_PKvPS1_S8_PvPKiSB_iiiiilll
    .private_segment_fixed_size: 0
    .sgpr_count:     68
    .sgpr_spill_count: 0
    .symbol:         _ZN12_GLOBAL__N_139chunk_gated_delta_rule_fwd_h_hip_kernelILi16ELb0ELb0ELb1ELb1ELb0ELb1ELb1ELb1EEEvPK12hip_bfloat16S3_S3_PKfS5_PKvPS1_S8_PvPKiSB_iiiiilll.kd
    .uniform_work_group_size: 1
    .uses_dynamic_stack: false
    .vgpr_count:     128
    .vgpr_spill_count: 0
    .wavefront_size: 64
  - .agpr_count:     12
    .args:
      - .actual_access:  read_only
        .address_space:  global
        .offset:         0
        .size:           8
        .value_kind:     global_buffer
      - .actual_access:  read_only
        .address_space:  global
        .offset:         8
        .size:           8
        .value_kind:     global_buffer
      - .actual_access:  read_only
        .address_space:  global
        .offset:         16
        .size:           8
        .value_kind:     global_buffer
      - .actual_access:  read_only
        .address_space:  global
        .offset:         24
        .size:           8
        .value_kind:     global_buffer
      - .actual_access:  read_only
        .address_space:  global
        .offset:         32
        .size:           8
        .value_kind:     global_buffer
      - .actual_access:  read_only
        .address_space:  global
        .offset:         40
        .size:           8
        .value_kind:     global_buffer
      - .actual_access:  write_only
        .address_space:  global
        .offset:         48
        .size:           8
        .value_kind:     global_buffer
      - .actual_access:  read_only
        .address_space:  global
        .offset:         56
        .size:           8
        .value_kind:     global_buffer
      - .actual_access:  read_only
        .address_space:  global
        .offset:         64
        .size:           8
        .value_kind:     global_buffer
      - .actual_access:  read_only
        .address_space:  global
        .offset:         72
        .size:           8
        .value_kind:     global_buffer
      - .actual_access:  read_only
        .address_space:  global
        .offset:         80
        .size:           8
        .value_kind:     global_buffer
      - .offset:         88
        .size:           4
        .value_kind:     by_value
      - .offset:         92
        .size:           4
        .value_kind:     by_value
      - .offset:         96
        .size:           4
        .value_kind:     by_value
      - .offset:         100
        .size:           4
        .value_kind:     by_value
      - .offset:         104
        .size:           4
        .value_kind:     by_value
      - .offset:         112
        .size:           8
        .value_kind:     by_value
      - .offset:         120
        .size:           8
        .value_kind:     by_value
      - .offset:         128
        .size:           8
        .value_kind:     by_value
    .group_segment_fixed_size: 40960
    .kernarg_segment_align: 8
    .kernarg_segment_size: 136
    .language:       OpenCL C
    .language_version:
      - 2
      - 0
    .max_flat_workgroup_size: 256
    .name:           _ZN12_GLOBAL__N_139chunk_gated_delta_rule_fwd_h_hip_kernelILi16ELb0ELb0ELb0ELb1ELb0ELb1ELb1ELb1EEEvPK12hip_bfloat16S3_S3_PKfS5_PKvPS1_S8_PvPKiSB_iiiiilll
    .private_segment_fixed_size: 0
    .sgpr_count:     66
    .sgpr_spill_count: 0
    .symbol:         _ZN12_GLOBAL__N_139chunk_gated_delta_rule_fwd_h_hip_kernelILi16ELb0ELb0ELb0ELb1ELb0ELb1ELb1ELb1EEEvPK12hip_bfloat16S3_S3_PKfS5_PKvPS1_S8_PvPKiSB_iiiiilll.kd
    .uniform_work_group_size: 1
    .uses_dynamic_stack: false
    .vgpr_count:     128
    .vgpr_spill_count: 0
    .wavefront_size: 64
  - .agpr_count:     12
    .args:
      - .actual_access:  read_only
        .address_space:  global
        .offset:         0
        .size:           8
        .value_kind:     global_buffer
      - .actual_access:  read_only
        .address_space:  global
        .offset:         8
        .size:           8
        .value_kind:     global_buffer
      - .actual_access:  read_only
        .address_space:  global
        .offset:         16
        .size:           8
        .value_kind:     global_buffer
      - .actual_access:  read_only
        .address_space:  global
        .offset:         24
        .size:           8
        .value_kind:     global_buffer
      - .actual_access:  read_only
        .address_space:  global
        .offset:         32
        .size:           8
        .value_kind:     global_buffer
      - .actual_access:  read_only
        .address_space:  global
        .offset:         40
        .size:           8
        .value_kind:     global_buffer
      - .actual_access:  write_only
        .address_space:  global
        .offset:         48
        .size:           8
        .value_kind:     global_buffer
      - .actual_access:  write_only
        .address_space:  global
        .offset:         56
        .size:           8
        .value_kind:     global_buffer
      - .actual_access:  write_only
        .address_space:  global
        .offset:         64
        .size:           8
        .value_kind:     global_buffer
      - .actual_access:  read_only
        .address_space:  global
        .offset:         72
        .size:           8
        .value_kind:     global_buffer
      - .actual_access:  read_only
        .address_space:  global
        .offset:         80
        .size:           8
        .value_kind:     global_buffer
      - .offset:         88
        .size:           4
        .value_kind:     by_value
      - .offset:         92
        .size:           4
        .value_kind:     by_value
      - .offset:         96
        .size:           4
        .value_kind:     by_value
      - .offset:         100
        .size:           4
        .value_kind:     by_value
      - .offset:         104
        .size:           4
        .value_kind:     by_value
      - .offset:         112
        .size:           8
        .value_kind:     by_value
      - .offset:         120
        .size:           8
        .value_kind:     by_value
      - .offset:         128
        .size:           8
        .value_kind:     by_value
    .group_segment_fixed_size: 40960
    .kernarg_segment_align: 8
    .kernarg_segment_size: 136
    .language:       OpenCL C
    .language_version:
      - 2
      - 0
    .max_flat_workgroup_size: 256
    .name:           _ZN12_GLOBAL__N_139chunk_gated_delta_rule_fwd_h_hip_kernelILi16ELb1ELb1ELb1ELb0ELb0ELb1ELb1ELb1EEEvPK12hip_bfloat16S3_S3_PKfS5_PKvPS1_S8_PvPKiSB_iiiiilll
    .private_segment_fixed_size: 0
    .sgpr_count:     82
    .sgpr_spill_count: 0
    .symbol:         _ZN12_GLOBAL__N_139chunk_gated_delta_rule_fwd_h_hip_kernelILi16ELb1ELb1ELb1ELb0ELb0ELb1ELb1ELb1EEEvPK12hip_bfloat16S3_S3_PKfS5_PKvPS1_S8_PvPKiSB_iiiiilll.kd
    .uniform_work_group_size: 1
    .uses_dynamic_stack: false
    .vgpr_count:     132
    .vgpr_spill_count: 0
    .wavefront_size: 64
  - .agpr_count:     12
    .args:
      - .actual_access:  read_only
        .address_space:  global
        .offset:         0
        .size:           8
        .value_kind:     global_buffer
      - .actual_access:  read_only
        .address_space:  global
        .offset:         8
        .size:           8
        .value_kind:     global_buffer
      - .actual_access:  read_only
        .address_space:  global
        .offset:         16
        .size:           8
        .value_kind:     global_buffer
      - .actual_access:  read_only
        .address_space:  global
        .offset:         24
        .size:           8
        .value_kind:     global_buffer
      - .actual_access:  read_only
        .address_space:  global
        .offset:         32
        .size:           8
        .value_kind:     global_buffer
      - .actual_access:  read_only
        .address_space:  global
        .offset:         40
        .size:           8
        .value_kind:     global_buffer
      - .actual_access:  write_only
        .address_space:  global
        .offset:         48
        .size:           8
        .value_kind:     global_buffer
      - .actual_access:  read_only
        .address_space:  global
        .offset:         56
        .size:           8
        .value_kind:     global_buffer
      - .actual_access:  write_only
        .address_space:  global
        .offset:         64
        .size:           8
        .value_kind:     global_buffer
      - .actual_access:  read_only
        .address_space:  global
        .offset:         72
        .size:           8
        .value_kind:     global_buffer
      - .actual_access:  read_only
        .address_space:  global
        .offset:         80
        .size:           8
        .value_kind:     global_buffer
      - .offset:         88
        .size:           4
        .value_kind:     by_value
      - .offset:         92
        .size:           4
        .value_kind:     by_value
      - .offset:         96
        .size:           4
        .value_kind:     by_value
      - .offset:         100
        .size:           4
        .value_kind:     by_value
      - .offset:         104
        .size:           4
        .value_kind:     by_value
      - .offset:         112
        .size:           8
        .value_kind:     by_value
      - .offset:         120
        .size:           8
        .value_kind:     by_value
      - .offset:         128
        .size:           8
        .value_kind:     by_value
    .group_segment_fixed_size: 40960
    .kernarg_segment_align: 8
    .kernarg_segment_size: 136
    .language:       OpenCL C
    .language_version:
      - 2
      - 0
    .max_flat_workgroup_size: 256
    .name:           _ZN12_GLOBAL__N_139chunk_gated_delta_rule_fwd_h_hip_kernelILi16ELb1ELb1ELb0ELb0ELb0ELb1ELb1ELb1EEEvPK12hip_bfloat16S3_S3_PKfS5_PKvPS1_S8_PvPKiSB_iiiiilll
    .private_segment_fixed_size: 0
    .sgpr_count:     77
    .sgpr_spill_count: 0
    .symbol:         _ZN12_GLOBAL__N_139chunk_gated_delta_rule_fwd_h_hip_kernelILi16ELb1ELb1ELb0ELb0ELb0ELb1ELb1ELb1EEEvPK12hip_bfloat16S3_S3_PKfS5_PKvPS1_S8_PvPKiSB_iiiiilll.kd
    .uniform_work_group_size: 1
    .uses_dynamic_stack: false
    .vgpr_count:     128
    .vgpr_spill_count: 0
    .wavefront_size: 64
  - .agpr_count:     12
    .args:
      - .actual_access:  read_only
        .address_space:  global
        .offset:         0
        .size:           8
        .value_kind:     global_buffer
      - .actual_access:  read_only
        .address_space:  global
        .offset:         8
        .size:           8
        .value_kind:     global_buffer
      - .actual_access:  read_only
        .address_space:  global
        .offset:         16
        .size:           8
        .value_kind:     global_buffer
      - .actual_access:  read_only
        .address_space:  global
        .offset:         24
        .size:           8
        .value_kind:     global_buffer
      - .actual_access:  read_only
        .address_space:  global
        .offset:         32
        .size:           8
        .value_kind:     global_buffer
      - .actual_access:  read_only
        .address_space:  global
        .offset:         40
        .size:           8
        .value_kind:     global_buffer
      - .actual_access:  write_only
        .address_space:  global
        .offset:         48
        .size:           8
        .value_kind:     global_buffer
      - .actual_access:  write_only
        .address_space:  global
        .offset:         56
        .size:           8
        .value_kind:     global_buffer
      - .actual_access:  read_only
        .address_space:  global
        .offset:         64
        .size:           8
        .value_kind:     global_buffer
      - .actual_access:  read_only
        .address_space:  global
        .offset:         72
        .size:           8
        .value_kind:     global_buffer
      - .actual_access:  read_only
        .address_space:  global
        .offset:         80
        .size:           8
        .value_kind:     global_buffer
      - .offset:         88
        .size:           4
        .value_kind:     by_value
      - .offset:         92
        .size:           4
        .value_kind:     by_value
      - .offset:         96
        .size:           4
        .value_kind:     by_value
      - .offset:         100
        .size:           4
        .value_kind:     by_value
      - .offset:         104
        .size:           4
        .value_kind:     by_value
      - .offset:         112
        .size:           8
        .value_kind:     by_value
      - .offset:         120
        .size:           8
        .value_kind:     by_value
      - .offset:         128
        .size:           8
        .value_kind:     by_value
    .group_segment_fixed_size: 40960
    .kernarg_segment_align: 8
    .kernarg_segment_size: 136
    .language:       OpenCL C
    .language_version:
      - 2
      - 0
    .max_flat_workgroup_size: 256
    .name:           _ZN12_GLOBAL__N_139chunk_gated_delta_rule_fwd_h_hip_kernelILi16ELb1ELb0ELb1ELb0ELb0ELb1ELb1ELb1EEEvPK12hip_bfloat16S3_S3_PKfS5_PKvPS1_S8_PvPKiSB_iiiiilll
    .private_segment_fixed_size: 0
    .sgpr_count:     78
    .sgpr_spill_count: 0
    .symbol:         _ZN12_GLOBAL__N_139chunk_gated_delta_rule_fwd_h_hip_kernelILi16ELb1ELb0ELb1ELb0ELb0ELb1ELb1ELb1EEEvPK12hip_bfloat16S3_S3_PKfS5_PKvPS1_S8_PvPKiSB_iiiiilll.kd
    .uniform_work_group_size: 1
    .uses_dynamic_stack: false
    .vgpr_count:     128
    .vgpr_spill_count: 0
    .wavefront_size: 64
  - .agpr_count:     12
    .args:
      - .actual_access:  read_only
        .address_space:  global
        .offset:         0
        .size:           8
        .value_kind:     global_buffer
      - .actual_access:  read_only
        .address_space:  global
        .offset:         8
        .size:           8
        .value_kind:     global_buffer
      - .actual_access:  read_only
        .address_space:  global
        .offset:         16
        .size:           8
        .value_kind:     global_buffer
      - .actual_access:  read_only
        .address_space:  global
        .offset:         24
        .size:           8
        .value_kind:     global_buffer
      - .actual_access:  read_only
        .address_space:  global
        .offset:         32
        .size:           8
        .value_kind:     global_buffer
      - .actual_access:  read_only
        .address_space:  global
        .offset:         40
        .size:           8
        .value_kind:     global_buffer
      - .actual_access:  write_only
        .address_space:  global
        .offset:         48
        .size:           8
        .value_kind:     global_buffer
      - .actual_access:  read_only
        .address_space:  global
        .offset:         56
        .size:           8
        .value_kind:     global_buffer
      - .actual_access:  read_only
        .address_space:  global
        .offset:         64
        .size:           8
        .value_kind:     global_buffer
      - .actual_access:  read_only
        .address_space:  global
        .offset:         72
        .size:           8
        .value_kind:     global_buffer
      - .actual_access:  read_only
        .address_space:  global
        .offset:         80
        .size:           8
        .value_kind:     global_buffer
      - .offset:         88
        .size:           4
        .value_kind:     by_value
      - .offset:         92
        .size:           4
        .value_kind:     by_value
      - .offset:         96
        .size:           4
        .value_kind:     by_value
      - .offset:         100
        .size:           4
        .value_kind:     by_value
      - .offset:         104
        .size:           4
        .value_kind:     by_value
      - .offset:         112
        .size:           8
        .value_kind:     by_value
      - .offset:         120
        .size:           8
        .value_kind:     by_value
      - .offset:         128
        .size:           8
        .value_kind:     by_value
    .group_segment_fixed_size: 40960
    .kernarg_segment_align: 8
    .kernarg_segment_size: 136
    .language:       OpenCL C
    .language_version:
      - 2
      - 0
    .max_flat_workgroup_size: 256
    .name:           _ZN12_GLOBAL__N_139chunk_gated_delta_rule_fwd_h_hip_kernelILi16ELb1ELb0ELb0ELb0ELb0ELb1ELb1ELb1EEEvPK12hip_bfloat16S3_S3_PKfS5_PKvPS1_S8_PvPKiSB_iiiiilll
    .private_segment_fixed_size: 0
    .sgpr_count:     73
    .sgpr_spill_count: 0
    .symbol:         _ZN12_GLOBAL__N_139chunk_gated_delta_rule_fwd_h_hip_kernelILi16ELb1ELb0ELb0ELb0ELb0ELb1ELb1ELb1EEEvPK12hip_bfloat16S3_S3_PKfS5_PKvPS1_S8_PvPKiSB_iiiiilll.kd
    .uniform_work_group_size: 1
    .uses_dynamic_stack: false
    .vgpr_count:     128
    .vgpr_spill_count: 0
    .wavefront_size: 64
  - .agpr_count:     12
    .args:
      - .actual_access:  read_only
        .address_space:  global
        .offset:         0
        .size:           8
        .value_kind:     global_buffer
      - .actual_access:  read_only
        .address_space:  global
        .offset:         8
        .size:           8
        .value_kind:     global_buffer
      - .actual_access:  read_only
        .address_space:  global
        .offset:         16
        .size:           8
        .value_kind:     global_buffer
      - .actual_access:  read_only
        .address_space:  global
        .offset:         24
        .size:           8
        .value_kind:     global_buffer
      - .actual_access:  read_only
        .address_space:  global
        .offset:         32
        .size:           8
        .value_kind:     global_buffer
      - .actual_access:  read_only
        .address_space:  global
        .offset:         40
        .size:           8
        .value_kind:     global_buffer
      - .actual_access:  write_only
        .address_space:  global
        .offset:         48
        .size:           8
        .value_kind:     global_buffer
      - .actual_access:  write_only
        .address_space:  global
        .offset:         56
        .size:           8
        .value_kind:     global_buffer
      - .actual_access:  write_only
        .address_space:  global
        .offset:         64
        .size:           8
        .value_kind:     global_buffer
      - .actual_access:  read_only
        .address_space:  global
        .offset:         72
        .size:           8
        .value_kind:     global_buffer
      - .actual_access:  read_only
        .address_space:  global
        .offset:         80
        .size:           8
        .value_kind:     global_buffer
      - .offset:         88
        .size:           4
        .value_kind:     by_value
      - .offset:         92
        .size:           4
        .value_kind:     by_value
      - .offset:         96
        .size:           4
        .value_kind:     by_value
      - .offset:         100
        .size:           4
        .value_kind:     by_value
      - .offset:         104
        .size:           4
        .value_kind:     by_value
      - .offset:         112
        .size:           8
        .value_kind:     by_value
      - .offset:         120
        .size:           8
        .value_kind:     by_value
      - .offset:         128
        .size:           8
        .value_kind:     by_value
    .group_segment_fixed_size: 40960
    .kernarg_segment_align: 8
    .kernarg_segment_size: 136
    .language:       OpenCL C
    .language_version:
      - 2
      - 0
    .max_flat_workgroup_size: 256
    .name:           _ZN12_GLOBAL__N_139chunk_gated_delta_rule_fwd_h_hip_kernelILi16ELb0ELb1ELb1ELb0ELb0ELb1ELb1ELb1EEEvPK12hip_bfloat16S3_S3_PKfS5_PKvPS1_S8_PvPKiSB_iiiiilll
    .private_segment_fixed_size: 0
    .sgpr_count:     76
    .sgpr_spill_count: 0
    .symbol:         _ZN12_GLOBAL__N_139chunk_gated_delta_rule_fwd_h_hip_kernelILi16ELb0ELb1ELb1ELb0ELb0ELb1ELb1ELb1EEEvPK12hip_bfloat16S3_S3_PKfS5_PKvPS1_S8_PvPKiSB_iiiiilll.kd
    .uniform_work_group_size: 1
    .uses_dynamic_stack: false
    .vgpr_count:     128
    .vgpr_spill_count: 0
    .wavefront_size: 64
  - .agpr_count:     12
    .args:
      - .actual_access:  read_only
        .address_space:  global
        .offset:         0
        .size:           8
        .value_kind:     global_buffer
      - .actual_access:  read_only
        .address_space:  global
        .offset:         8
        .size:           8
        .value_kind:     global_buffer
      - .actual_access:  read_only
        .address_space:  global
        .offset:         16
        .size:           8
        .value_kind:     global_buffer
      - .actual_access:  read_only
        .address_space:  global
        .offset:         24
        .size:           8
        .value_kind:     global_buffer
      - .actual_access:  read_only
        .address_space:  global
        .offset:         32
        .size:           8
        .value_kind:     global_buffer
      - .actual_access:  read_only
        .address_space:  global
        .offset:         40
        .size:           8
        .value_kind:     global_buffer
      - .actual_access:  write_only
        .address_space:  global
        .offset:         48
        .size:           8
        .value_kind:     global_buffer
      - .actual_access:  read_only
        .address_space:  global
        .offset:         56
        .size:           8
        .value_kind:     global_buffer
      - .actual_access:  write_only
        .address_space:  global
        .offset:         64
        .size:           8
        .value_kind:     global_buffer
      - .actual_access:  read_only
        .address_space:  global
        .offset:         72
        .size:           8
        .value_kind:     global_buffer
      - .actual_access:  read_only
        .address_space:  global
        .offset:         80
        .size:           8
        .value_kind:     global_buffer
      - .offset:         88
        .size:           4
        .value_kind:     by_value
      - .offset:         92
        .size:           4
        .value_kind:     by_value
      - .offset:         96
        .size:           4
        .value_kind:     by_value
      - .offset:         100
        .size:           4
        .value_kind:     by_value
      - .offset:         104
        .size:           4
        .value_kind:     by_value
      - .offset:         112
        .size:           8
        .value_kind:     by_value
      - .offset:         120
        .size:           8
        .value_kind:     by_value
      - .offset:         128
        .size:           8
        .value_kind:     by_value
    .group_segment_fixed_size: 40960
    .kernarg_segment_align: 8
    .kernarg_segment_size: 136
    .language:       OpenCL C
    .language_version:
      - 2
      - 0
    .max_flat_workgroup_size: 256
    .name:           _ZN12_GLOBAL__N_139chunk_gated_delta_rule_fwd_h_hip_kernelILi16ELb0ELb1ELb0ELb0ELb0ELb1ELb1ELb1EEEvPK12hip_bfloat16S3_S3_PKfS5_PKvPS1_S8_PvPKiSB_iiiiilll
    .private_segment_fixed_size: 0
    .sgpr_count:     72
    .sgpr_spill_count: 0
    .symbol:         _ZN12_GLOBAL__N_139chunk_gated_delta_rule_fwd_h_hip_kernelILi16ELb0ELb1ELb0ELb0ELb0ELb1ELb1ELb1EEEvPK12hip_bfloat16S3_S3_PKfS5_PKvPS1_S8_PvPKiSB_iiiiilll.kd
    .uniform_work_group_size: 1
    .uses_dynamic_stack: false
    .vgpr_count:     128
    .vgpr_spill_count: 0
    .wavefront_size: 64
  - .agpr_count:     12
    .args:
      - .actual_access:  read_only
        .address_space:  global
        .offset:         0
        .size:           8
        .value_kind:     global_buffer
      - .actual_access:  read_only
        .address_space:  global
        .offset:         8
        .size:           8
        .value_kind:     global_buffer
      - .actual_access:  read_only
        .address_space:  global
        .offset:         16
        .size:           8
        .value_kind:     global_buffer
      - .actual_access:  read_only
        .address_space:  global
        .offset:         24
        .size:           8
        .value_kind:     global_buffer
      - .actual_access:  read_only
        .address_space:  global
        .offset:         32
        .size:           8
        .value_kind:     global_buffer
      - .actual_access:  read_only
        .address_space:  global
        .offset:         40
        .size:           8
        .value_kind:     global_buffer
      - .actual_access:  write_only
        .address_space:  global
        .offset:         48
        .size:           8
        .value_kind:     global_buffer
      - .actual_access:  write_only
        .address_space:  global
        .offset:         56
        .size:           8
        .value_kind:     global_buffer
      - .actual_access:  read_only
        .address_space:  global
        .offset:         64
        .size:           8
        .value_kind:     global_buffer
      - .actual_access:  read_only
        .address_space:  global
        .offset:         72
        .size:           8
        .value_kind:     global_buffer
      - .actual_access:  read_only
        .address_space:  global
        .offset:         80
        .size:           8
        .value_kind:     global_buffer
      - .offset:         88
        .size:           4
        .value_kind:     by_value
      - .offset:         92
        .size:           4
        .value_kind:     by_value
      - .offset:         96
        .size:           4
        .value_kind:     by_value
      - .offset:         100
        .size:           4
        .value_kind:     by_value
      - .offset:         104
        .size:           4
        .value_kind:     by_value
      - .offset:         112
        .size:           8
        .value_kind:     by_value
      - .offset:         120
        .size:           8
        .value_kind:     by_value
      - .offset:         128
        .size:           8
        .value_kind:     by_value
    .group_segment_fixed_size: 40960
    .kernarg_segment_align: 8
    .kernarg_segment_size: 136
    .language:       OpenCL C
    .language_version:
      - 2
      - 0
    .max_flat_workgroup_size: 256
    .name:           _ZN12_GLOBAL__N_139chunk_gated_delta_rule_fwd_h_hip_kernelILi16ELb0ELb0ELb1ELb0ELb0ELb1ELb1ELb1EEEvPK12hip_bfloat16S3_S3_PKfS5_PKvPS1_S8_PvPKiSB_iiiiilll
    .private_segment_fixed_size: 0
    .sgpr_count:     74
    .sgpr_spill_count: 0
    .symbol:         _ZN12_GLOBAL__N_139chunk_gated_delta_rule_fwd_h_hip_kernelILi16ELb0ELb0ELb1ELb0ELb0ELb1ELb1ELb1EEEvPK12hip_bfloat16S3_S3_PKfS5_PKvPS1_S8_PvPKiSB_iiiiilll.kd
    .uniform_work_group_size: 1
    .uses_dynamic_stack: false
    .vgpr_count:     128
    .vgpr_spill_count: 0
    .wavefront_size: 64
  - .agpr_count:     12
    .args:
      - .actual_access:  read_only
        .address_space:  global
        .offset:         0
        .size:           8
        .value_kind:     global_buffer
      - .actual_access:  read_only
        .address_space:  global
        .offset:         8
        .size:           8
        .value_kind:     global_buffer
      - .actual_access:  read_only
        .address_space:  global
        .offset:         16
        .size:           8
        .value_kind:     global_buffer
      - .actual_access:  read_only
        .address_space:  global
        .offset:         24
        .size:           8
        .value_kind:     global_buffer
      - .actual_access:  read_only
        .address_space:  global
        .offset:         32
        .size:           8
        .value_kind:     global_buffer
      - .actual_access:  read_only
        .address_space:  global
        .offset:         40
        .size:           8
        .value_kind:     global_buffer
      - .actual_access:  write_only
        .address_space:  global
        .offset:         48
        .size:           8
        .value_kind:     global_buffer
      - .actual_access:  read_only
        .address_space:  global
        .offset:         56
        .size:           8
        .value_kind:     global_buffer
      - .actual_access:  read_only
        .address_space:  global
        .offset:         64
        .size:           8
        .value_kind:     global_buffer
      - .actual_access:  read_only
        .address_space:  global
        .offset:         72
        .size:           8
        .value_kind:     global_buffer
      - .actual_access:  read_only
        .address_space:  global
        .offset:         80
        .size:           8
        .value_kind:     global_buffer
      - .offset:         88
        .size:           4
        .value_kind:     by_value
      - .offset:         92
        .size:           4
        .value_kind:     by_value
      - .offset:         96
        .size:           4
        .value_kind:     by_value
      - .offset:         100
        .size:           4
        .value_kind:     by_value
      - .offset:         104
        .size:           4
        .value_kind:     by_value
      - .offset:         112
        .size:           8
        .value_kind:     by_value
      - .offset:         120
        .size:           8
        .value_kind:     by_value
      - .offset:         128
        .size:           8
        .value_kind:     by_value
    .group_segment_fixed_size: 40960
    .kernarg_segment_align: 8
    .kernarg_segment_size: 136
    .language:       OpenCL C
    .language_version:
      - 2
      - 0
    .max_flat_workgroup_size: 256
    .name:           _ZN12_GLOBAL__N_139chunk_gated_delta_rule_fwd_h_hip_kernelILi16ELb0ELb0ELb0ELb0ELb0ELb1ELb1ELb1EEEvPK12hip_bfloat16S3_S3_PKfS5_PKvPS1_S8_PvPKiSB_iiiiilll
    .private_segment_fixed_size: 0
    .sgpr_count:     70
    .sgpr_spill_count: 0
    .symbol:         _ZN12_GLOBAL__N_139chunk_gated_delta_rule_fwd_h_hip_kernelILi16ELb0ELb0ELb0ELb0ELb0ELb1ELb1ELb1EEEvPK12hip_bfloat16S3_S3_PKfS5_PKvPS1_S8_PvPKiSB_iiiiilll.kd
    .uniform_work_group_size: 1
    .uses_dynamic_stack: false
    .vgpr_count:     128
    .vgpr_spill_count: 0
    .wavefront_size: 64
  - .agpr_count:     12
    .args:
      - .actual_access:  read_only
        .address_space:  global
        .offset:         0
        .size:           8
        .value_kind:     global_buffer
      - .actual_access:  read_only
        .address_space:  global
        .offset:         8
        .size:           8
        .value_kind:     global_buffer
      - .actual_access:  read_only
        .address_space:  global
        .offset:         16
        .size:           8
        .value_kind:     global_buffer
      - .actual_access:  read_only
        .address_space:  global
        .offset:         24
        .size:           8
        .value_kind:     global_buffer
      - .actual_access:  read_only
        .address_space:  global
        .offset:         32
        .size:           8
        .value_kind:     global_buffer
      - .actual_access:  read_only
        .address_space:  global
        .offset:         40
        .size:           8
        .value_kind:     global_buffer
      - .actual_access:  write_only
        .address_space:  global
        .offset:         48
        .size:           8
        .value_kind:     global_buffer
      - .actual_access:  write_only
        .address_space:  global
        .offset:         56
        .size:           8
        .value_kind:     global_buffer
      - .actual_access:  write_only
        .address_space:  global
        .offset:         64
        .size:           8
        .value_kind:     global_buffer
      - .actual_access:  read_only
        .address_space:  global
        .offset:         72
        .size:           8
        .value_kind:     global_buffer
      - .actual_access:  read_only
        .address_space:  global
        .offset:         80
        .size:           8
        .value_kind:     global_buffer
      - .offset:         88
        .size:           4
        .value_kind:     by_value
      - .offset:         92
        .size:           4
        .value_kind:     by_value
      - .offset:         96
        .size:           4
        .value_kind:     by_value
      - .offset:         100
        .size:           4
        .value_kind:     by_value
      - .offset:         104
        .size:           4
        .value_kind:     by_value
      - .offset:         112
        .size:           8
        .value_kind:     by_value
      - .offset:         120
        .size:           8
        .value_kind:     by_value
      - .offset:         128
        .size:           8
        .value_kind:     by_value
    .group_segment_fixed_size: 40960
    .kernarg_segment_align: 8
    .kernarg_segment_size: 136
    .language:       OpenCL C
    .language_version:
      - 2
      - 0
    .max_flat_workgroup_size: 256
    .name:           _ZN12_GLOBAL__N_139chunk_gated_delta_rule_fwd_h_hip_kernelILi16ELb1ELb1ELb1ELb1ELb0ELb1ELb0ELb1EEEvPK12hip_bfloat16S3_S3_PKfS5_PKvPS1_S8_PvPKiSB_iiiiilll
    .private_segment_fixed_size: 0
    .sgpr_count:     76
    .sgpr_spill_count: 0
    .symbol:         _ZN12_GLOBAL__N_139chunk_gated_delta_rule_fwd_h_hip_kernelILi16ELb1ELb1ELb1ELb1ELb0ELb1ELb0ELb1EEEvPK12hip_bfloat16S3_S3_PKfS5_PKvPS1_S8_PvPKiSB_iiiiilll.kd
    .uniform_work_group_size: 1
    .uses_dynamic_stack: false
    .vgpr_count:     132
    .vgpr_spill_count: 0
    .wavefront_size: 64
  - .agpr_count:     12
    .args:
      - .actual_access:  read_only
        .address_space:  global
        .offset:         0
        .size:           8
        .value_kind:     global_buffer
      - .actual_access:  read_only
        .address_space:  global
        .offset:         8
        .size:           8
        .value_kind:     global_buffer
      - .actual_access:  read_only
        .address_space:  global
        .offset:         16
        .size:           8
        .value_kind:     global_buffer
      - .actual_access:  read_only
        .address_space:  global
        .offset:         24
        .size:           8
        .value_kind:     global_buffer
      - .actual_access:  read_only
        .address_space:  global
        .offset:         32
        .size:           8
        .value_kind:     global_buffer
      - .actual_access:  read_only
        .address_space:  global
        .offset:         40
        .size:           8
        .value_kind:     global_buffer
      - .actual_access:  write_only
        .address_space:  global
        .offset:         48
        .size:           8
        .value_kind:     global_buffer
      - .actual_access:  read_only
        .address_space:  global
        .offset:         56
        .size:           8
        .value_kind:     global_buffer
      - .actual_access:  write_only
        .address_space:  global
        .offset:         64
        .size:           8
        .value_kind:     global_buffer
      - .actual_access:  read_only
        .address_space:  global
        .offset:         72
        .size:           8
        .value_kind:     global_buffer
      - .actual_access:  read_only
        .address_space:  global
        .offset:         80
        .size:           8
        .value_kind:     global_buffer
      - .offset:         88
        .size:           4
        .value_kind:     by_value
      - .offset:         92
        .size:           4
        .value_kind:     by_value
      - .offset:         96
        .size:           4
        .value_kind:     by_value
      - .offset:         100
        .size:           4
        .value_kind:     by_value
      - .offset:         104
        .size:           4
        .value_kind:     by_value
      - .offset:         112
        .size:           8
        .value_kind:     by_value
      - .offset:         120
        .size:           8
        .value_kind:     by_value
      - .offset:         128
        .size:           8
        .value_kind:     by_value
    .group_segment_fixed_size: 40960
    .kernarg_segment_align: 8
    .kernarg_segment_size: 136
    .language:       OpenCL C
    .language_version:
      - 2
      - 0
    .max_flat_workgroup_size: 256
    .name:           _ZN12_GLOBAL__N_139chunk_gated_delta_rule_fwd_h_hip_kernelILi16ELb1ELb1ELb0ELb1ELb0ELb1ELb0ELb1EEEvPK12hip_bfloat16S3_S3_PKfS5_PKvPS1_S8_PvPKiSB_iiiiilll
    .private_segment_fixed_size: 0
    .sgpr_count:     71
    .sgpr_spill_count: 0
    .symbol:         _ZN12_GLOBAL__N_139chunk_gated_delta_rule_fwd_h_hip_kernelILi16ELb1ELb1ELb0ELb1ELb0ELb1ELb0ELb1EEEvPK12hip_bfloat16S3_S3_PKfS5_PKvPS1_S8_PvPKiSB_iiiiilll.kd
    .uniform_work_group_size: 1
    .uses_dynamic_stack: false
    .vgpr_count:     128
    .vgpr_spill_count: 0
    .wavefront_size: 64
  - .agpr_count:     12
    .args:
      - .actual_access:  read_only
        .address_space:  global
        .offset:         0
        .size:           8
        .value_kind:     global_buffer
      - .actual_access:  read_only
        .address_space:  global
        .offset:         8
        .size:           8
        .value_kind:     global_buffer
      - .actual_access:  read_only
        .address_space:  global
        .offset:         16
        .size:           8
        .value_kind:     global_buffer
      - .actual_access:  read_only
        .address_space:  global
        .offset:         24
        .size:           8
        .value_kind:     global_buffer
      - .actual_access:  read_only
        .address_space:  global
        .offset:         32
        .size:           8
        .value_kind:     global_buffer
      - .actual_access:  read_only
        .address_space:  global
        .offset:         40
        .size:           8
        .value_kind:     global_buffer
      - .actual_access:  write_only
        .address_space:  global
        .offset:         48
        .size:           8
        .value_kind:     global_buffer
      - .actual_access:  write_only
        .address_space:  global
        .offset:         56
        .size:           8
        .value_kind:     global_buffer
      - .actual_access:  read_only
        .address_space:  global
        .offset:         64
        .size:           8
        .value_kind:     global_buffer
      - .actual_access:  read_only
        .address_space:  global
        .offset:         72
        .size:           8
        .value_kind:     global_buffer
      - .actual_access:  read_only
        .address_space:  global
        .offset:         80
        .size:           8
        .value_kind:     global_buffer
      - .offset:         88
        .size:           4
        .value_kind:     by_value
      - .offset:         92
        .size:           4
        .value_kind:     by_value
      - .offset:         96
        .size:           4
        .value_kind:     by_value
      - .offset:         100
        .size:           4
        .value_kind:     by_value
      - .offset:         104
        .size:           4
        .value_kind:     by_value
      - .offset:         112
        .size:           8
        .value_kind:     by_value
      - .offset:         120
        .size:           8
        .value_kind:     by_value
      - .offset:         128
        .size:           8
        .value_kind:     by_value
    .group_segment_fixed_size: 40960
    .kernarg_segment_align: 8
    .kernarg_segment_size: 136
    .language:       OpenCL C
    .language_version:
      - 2
      - 0
    .max_flat_workgroup_size: 256
    .name:           _ZN12_GLOBAL__N_139chunk_gated_delta_rule_fwd_h_hip_kernelILi16ELb1ELb0ELb1ELb1ELb0ELb1ELb0ELb1EEEvPK12hip_bfloat16S3_S3_PKfS5_PKvPS1_S8_PvPKiSB_iiiiilll
    .private_segment_fixed_size: 0
    .sgpr_count:     69
    .sgpr_spill_count: 0
    .symbol:         _ZN12_GLOBAL__N_139chunk_gated_delta_rule_fwd_h_hip_kernelILi16ELb1ELb0ELb1ELb1ELb0ELb1ELb0ELb1EEEvPK12hip_bfloat16S3_S3_PKfS5_PKvPS1_S8_PvPKiSB_iiiiilll.kd
    .uniform_work_group_size: 1
    .uses_dynamic_stack: false
    .vgpr_count:     128
    .vgpr_spill_count: 0
    .wavefront_size: 64
  - .agpr_count:     12
    .args:
      - .actual_access:  read_only
        .address_space:  global
        .offset:         0
        .size:           8
        .value_kind:     global_buffer
      - .actual_access:  read_only
        .address_space:  global
        .offset:         8
        .size:           8
        .value_kind:     global_buffer
      - .actual_access:  read_only
        .address_space:  global
        .offset:         16
        .size:           8
        .value_kind:     global_buffer
      - .actual_access:  read_only
        .address_space:  global
        .offset:         24
        .size:           8
        .value_kind:     global_buffer
      - .actual_access:  read_only
        .address_space:  global
        .offset:         32
        .size:           8
        .value_kind:     global_buffer
      - .actual_access:  read_only
        .address_space:  global
        .offset:         40
        .size:           8
        .value_kind:     global_buffer
      - .actual_access:  write_only
        .address_space:  global
        .offset:         48
        .size:           8
        .value_kind:     global_buffer
      - .actual_access:  read_only
        .address_space:  global
        .offset:         56
        .size:           8
        .value_kind:     global_buffer
      - .actual_access:  read_only
        .address_space:  global
        .offset:         64
        .size:           8
        .value_kind:     global_buffer
      - .actual_access:  read_only
        .address_space:  global
        .offset:         72
        .size:           8
        .value_kind:     global_buffer
      - .actual_access:  read_only
        .address_space:  global
        .offset:         80
        .size:           8
        .value_kind:     global_buffer
      - .offset:         88
        .size:           4
        .value_kind:     by_value
      - .offset:         92
        .size:           4
        .value_kind:     by_value
      - .offset:         96
        .size:           4
        .value_kind:     by_value
      - .offset:         100
        .size:           4
        .value_kind:     by_value
      - .offset:         104
        .size:           4
        .value_kind:     by_value
      - .offset:         112
        .size:           8
        .value_kind:     by_value
      - .offset:         120
        .size:           8
        .value_kind:     by_value
      - .offset:         128
        .size:           8
        .value_kind:     by_value
    .group_segment_fixed_size: 40960
    .kernarg_segment_align: 8
    .kernarg_segment_size: 136
    .language:       OpenCL C
    .language_version:
      - 2
      - 0
    .max_flat_workgroup_size: 256
    .name:           _ZN12_GLOBAL__N_139chunk_gated_delta_rule_fwd_h_hip_kernelILi16ELb1ELb0ELb0ELb1ELb0ELb1ELb0ELb1EEEvPK12hip_bfloat16S3_S3_PKfS5_PKvPS1_S8_PvPKiSB_iiiiilll
    .private_segment_fixed_size: 0
    .sgpr_count:     67
    .sgpr_spill_count: 0
    .symbol:         _ZN12_GLOBAL__N_139chunk_gated_delta_rule_fwd_h_hip_kernelILi16ELb1ELb0ELb0ELb1ELb0ELb1ELb0ELb1EEEvPK12hip_bfloat16S3_S3_PKfS5_PKvPS1_S8_PvPKiSB_iiiiilll.kd
    .uniform_work_group_size: 1
    .uses_dynamic_stack: false
    .vgpr_count:     128
    .vgpr_spill_count: 0
    .wavefront_size: 64
  - .agpr_count:     12
    .args:
      - .actual_access:  read_only
        .address_space:  global
        .offset:         0
        .size:           8
        .value_kind:     global_buffer
      - .actual_access:  read_only
        .address_space:  global
        .offset:         8
        .size:           8
        .value_kind:     global_buffer
      - .actual_access:  read_only
        .address_space:  global
        .offset:         16
        .size:           8
        .value_kind:     global_buffer
      - .actual_access:  read_only
        .address_space:  global
        .offset:         24
        .size:           8
        .value_kind:     global_buffer
      - .actual_access:  read_only
        .address_space:  global
        .offset:         32
        .size:           8
        .value_kind:     global_buffer
      - .actual_access:  read_only
        .address_space:  global
        .offset:         40
        .size:           8
        .value_kind:     global_buffer
      - .actual_access:  write_only
        .address_space:  global
        .offset:         48
        .size:           8
        .value_kind:     global_buffer
      - .actual_access:  write_only
        .address_space:  global
        .offset:         56
        .size:           8
        .value_kind:     global_buffer
      - .actual_access:  write_only
        .address_space:  global
        .offset:         64
        .size:           8
        .value_kind:     global_buffer
      - .actual_access:  read_only
        .address_space:  global
        .offset:         72
        .size:           8
        .value_kind:     global_buffer
      - .actual_access:  read_only
        .address_space:  global
        .offset:         80
        .size:           8
        .value_kind:     global_buffer
      - .offset:         88
        .size:           4
        .value_kind:     by_value
      - .offset:         92
        .size:           4
        .value_kind:     by_value
      - .offset:         96
        .size:           4
        .value_kind:     by_value
      - .offset:         100
        .size:           4
        .value_kind:     by_value
      - .offset:         104
        .size:           4
        .value_kind:     by_value
      - .offset:         112
        .size:           8
        .value_kind:     by_value
      - .offset:         120
        .size:           8
        .value_kind:     by_value
      - .offset:         128
        .size:           8
        .value_kind:     by_value
    .group_segment_fixed_size: 40960
    .kernarg_segment_align: 8
    .kernarg_segment_size: 136
    .language:       OpenCL C
    .language_version:
      - 2
      - 0
    .max_flat_workgroup_size: 256
    .name:           _ZN12_GLOBAL__N_139chunk_gated_delta_rule_fwd_h_hip_kernelILi16ELb0ELb1ELb1ELb1ELb0ELb1ELb0ELb1EEEvPK12hip_bfloat16S3_S3_PKfS5_PKvPS1_S8_PvPKiSB_iiiiilll
    .private_segment_fixed_size: 0
    .sgpr_count:     76
    .sgpr_spill_count: 0
    .symbol:         _ZN12_GLOBAL__N_139chunk_gated_delta_rule_fwd_h_hip_kernelILi16ELb0ELb1ELb1ELb1ELb0ELb1ELb0ELb1EEEvPK12hip_bfloat16S3_S3_PKfS5_PKvPS1_S8_PvPKiSB_iiiiilll.kd
    .uniform_work_group_size: 1
    .uses_dynamic_stack: false
    .vgpr_count:     128
    .vgpr_spill_count: 0
    .wavefront_size: 64
  - .agpr_count:     12
    .args:
      - .actual_access:  read_only
        .address_space:  global
        .offset:         0
        .size:           8
        .value_kind:     global_buffer
      - .actual_access:  read_only
        .address_space:  global
        .offset:         8
        .size:           8
        .value_kind:     global_buffer
      - .actual_access:  read_only
        .address_space:  global
        .offset:         16
        .size:           8
        .value_kind:     global_buffer
      - .actual_access:  read_only
        .address_space:  global
        .offset:         24
        .size:           8
        .value_kind:     global_buffer
      - .actual_access:  read_only
        .address_space:  global
        .offset:         32
        .size:           8
        .value_kind:     global_buffer
      - .actual_access:  read_only
        .address_space:  global
        .offset:         40
        .size:           8
        .value_kind:     global_buffer
      - .actual_access:  write_only
        .address_space:  global
        .offset:         48
        .size:           8
        .value_kind:     global_buffer
      - .actual_access:  read_only
        .address_space:  global
        .offset:         56
        .size:           8
        .value_kind:     global_buffer
      - .actual_access:  write_only
        .address_space:  global
        .offset:         64
        .size:           8
        .value_kind:     global_buffer
      - .actual_access:  read_only
        .address_space:  global
        .offset:         72
        .size:           8
        .value_kind:     global_buffer
      - .actual_access:  read_only
        .address_space:  global
        .offset:         80
        .size:           8
        .value_kind:     global_buffer
      - .offset:         88
        .size:           4
        .value_kind:     by_value
      - .offset:         92
        .size:           4
        .value_kind:     by_value
      - .offset:         96
        .size:           4
        .value_kind:     by_value
      - .offset:         100
        .size:           4
        .value_kind:     by_value
      - .offset:         104
        .size:           4
        .value_kind:     by_value
      - .offset:         112
        .size:           8
        .value_kind:     by_value
      - .offset:         120
        .size:           8
        .value_kind:     by_value
      - .offset:         128
        .size:           8
        .value_kind:     by_value
    .group_segment_fixed_size: 40960
    .kernarg_segment_align: 8
    .kernarg_segment_size: 136
    .language:       OpenCL C
    .language_version:
      - 2
      - 0
    .max_flat_workgroup_size: 256
    .name:           _ZN12_GLOBAL__N_139chunk_gated_delta_rule_fwd_h_hip_kernelILi16ELb0ELb1ELb0ELb1ELb0ELb1ELb0ELb1EEEvPK12hip_bfloat16S3_S3_PKfS5_PKvPS1_S8_PvPKiSB_iiiiilll
    .private_segment_fixed_size: 0
    .sgpr_count:     71
    .sgpr_spill_count: 0
    .symbol:         _ZN12_GLOBAL__N_139chunk_gated_delta_rule_fwd_h_hip_kernelILi16ELb0ELb1ELb0ELb1ELb0ELb1ELb0ELb1EEEvPK12hip_bfloat16S3_S3_PKfS5_PKvPS1_S8_PvPKiSB_iiiiilll.kd
    .uniform_work_group_size: 1
    .uses_dynamic_stack: false
    .vgpr_count:     128
    .vgpr_spill_count: 0
    .wavefront_size: 64
  - .agpr_count:     12
    .args:
      - .actual_access:  read_only
        .address_space:  global
        .offset:         0
        .size:           8
        .value_kind:     global_buffer
      - .actual_access:  read_only
        .address_space:  global
        .offset:         8
        .size:           8
        .value_kind:     global_buffer
      - .actual_access:  read_only
        .address_space:  global
        .offset:         16
        .size:           8
        .value_kind:     global_buffer
      - .actual_access:  read_only
        .address_space:  global
        .offset:         24
        .size:           8
        .value_kind:     global_buffer
      - .actual_access:  read_only
        .address_space:  global
        .offset:         32
        .size:           8
        .value_kind:     global_buffer
      - .actual_access:  read_only
        .address_space:  global
        .offset:         40
        .size:           8
        .value_kind:     global_buffer
      - .actual_access:  write_only
        .address_space:  global
        .offset:         48
        .size:           8
        .value_kind:     global_buffer
      - .actual_access:  write_only
        .address_space:  global
        .offset:         56
        .size:           8
        .value_kind:     global_buffer
      - .actual_access:  read_only
        .address_space:  global
        .offset:         64
        .size:           8
        .value_kind:     global_buffer
      - .actual_access:  read_only
        .address_space:  global
        .offset:         72
        .size:           8
        .value_kind:     global_buffer
      - .actual_access:  read_only
        .address_space:  global
        .offset:         80
        .size:           8
        .value_kind:     global_buffer
      - .offset:         88
        .size:           4
        .value_kind:     by_value
      - .offset:         92
        .size:           4
        .value_kind:     by_value
      - .offset:         96
        .size:           4
        .value_kind:     by_value
      - .offset:         100
        .size:           4
        .value_kind:     by_value
      - .offset:         104
        .size:           4
        .value_kind:     by_value
      - .offset:         112
        .size:           8
        .value_kind:     by_value
      - .offset:         120
        .size:           8
        .value_kind:     by_value
      - .offset:         128
        .size:           8
        .value_kind:     by_value
    .group_segment_fixed_size: 40960
    .kernarg_segment_align: 8
    .kernarg_segment_size: 136
    .language:       OpenCL C
    .language_version:
      - 2
      - 0
    .max_flat_workgroup_size: 256
    .name:           _ZN12_GLOBAL__N_139chunk_gated_delta_rule_fwd_h_hip_kernelILi16ELb0ELb0ELb1ELb1ELb0ELb1ELb0ELb1EEEvPK12hip_bfloat16S3_S3_PKfS5_PKvPS1_S8_PvPKiSB_iiiiilll
    .private_segment_fixed_size: 0
    .sgpr_count:     68
    .sgpr_spill_count: 0
    .symbol:         _ZN12_GLOBAL__N_139chunk_gated_delta_rule_fwd_h_hip_kernelILi16ELb0ELb0ELb1ELb1ELb0ELb1ELb0ELb1EEEvPK12hip_bfloat16S3_S3_PKfS5_PKvPS1_S8_PvPKiSB_iiiiilll.kd
    .uniform_work_group_size: 1
    .uses_dynamic_stack: false
    .vgpr_count:     128
    .vgpr_spill_count: 0
    .wavefront_size: 64
  - .agpr_count:     12
    .args:
      - .actual_access:  read_only
        .address_space:  global
        .offset:         0
        .size:           8
        .value_kind:     global_buffer
      - .actual_access:  read_only
        .address_space:  global
        .offset:         8
        .size:           8
        .value_kind:     global_buffer
      - .actual_access:  read_only
        .address_space:  global
        .offset:         16
        .size:           8
        .value_kind:     global_buffer
      - .actual_access:  read_only
        .address_space:  global
        .offset:         24
        .size:           8
        .value_kind:     global_buffer
      - .actual_access:  read_only
        .address_space:  global
        .offset:         32
        .size:           8
        .value_kind:     global_buffer
      - .actual_access:  read_only
        .address_space:  global
        .offset:         40
        .size:           8
        .value_kind:     global_buffer
      - .actual_access:  write_only
        .address_space:  global
        .offset:         48
        .size:           8
        .value_kind:     global_buffer
      - .actual_access:  read_only
        .address_space:  global
        .offset:         56
        .size:           8
        .value_kind:     global_buffer
      - .actual_access:  read_only
        .address_space:  global
        .offset:         64
        .size:           8
        .value_kind:     global_buffer
      - .actual_access:  read_only
        .address_space:  global
        .offset:         72
        .size:           8
        .value_kind:     global_buffer
      - .actual_access:  read_only
        .address_space:  global
        .offset:         80
        .size:           8
        .value_kind:     global_buffer
      - .offset:         88
        .size:           4
        .value_kind:     by_value
      - .offset:         92
        .size:           4
        .value_kind:     by_value
      - .offset:         96
        .size:           4
        .value_kind:     by_value
      - .offset:         100
        .size:           4
        .value_kind:     by_value
      - .offset:         104
        .size:           4
        .value_kind:     by_value
      - .offset:         112
        .size:           8
        .value_kind:     by_value
      - .offset:         120
        .size:           8
        .value_kind:     by_value
      - .offset:         128
        .size:           8
        .value_kind:     by_value
    .group_segment_fixed_size: 40960
    .kernarg_segment_align: 8
    .kernarg_segment_size: 136
    .language:       OpenCL C
    .language_version:
      - 2
      - 0
    .max_flat_workgroup_size: 256
    .name:           _ZN12_GLOBAL__N_139chunk_gated_delta_rule_fwd_h_hip_kernelILi16ELb0ELb0ELb0ELb1ELb0ELb1ELb0ELb1EEEvPK12hip_bfloat16S3_S3_PKfS5_PKvPS1_S8_PvPKiSB_iiiiilll
    .private_segment_fixed_size: 0
    .sgpr_count:     66
    .sgpr_spill_count: 0
    .symbol:         _ZN12_GLOBAL__N_139chunk_gated_delta_rule_fwd_h_hip_kernelILi16ELb0ELb0ELb0ELb1ELb0ELb1ELb0ELb1EEEvPK12hip_bfloat16S3_S3_PKfS5_PKvPS1_S8_PvPKiSB_iiiiilll.kd
    .uniform_work_group_size: 1
    .uses_dynamic_stack: false
    .vgpr_count:     128
    .vgpr_spill_count: 0
    .wavefront_size: 64
  - .agpr_count:     12
    .args:
      - .actual_access:  read_only
        .address_space:  global
        .offset:         0
        .size:           8
        .value_kind:     global_buffer
      - .actual_access:  read_only
        .address_space:  global
        .offset:         8
        .size:           8
        .value_kind:     global_buffer
      - .actual_access:  read_only
        .address_space:  global
        .offset:         16
        .size:           8
        .value_kind:     global_buffer
      - .actual_access:  read_only
        .address_space:  global
        .offset:         24
        .size:           8
        .value_kind:     global_buffer
      - .actual_access:  read_only
        .address_space:  global
        .offset:         32
        .size:           8
        .value_kind:     global_buffer
      - .actual_access:  read_only
        .address_space:  global
        .offset:         40
        .size:           8
        .value_kind:     global_buffer
      - .actual_access:  write_only
        .address_space:  global
        .offset:         48
        .size:           8
        .value_kind:     global_buffer
      - .actual_access:  write_only
        .address_space:  global
        .offset:         56
        .size:           8
        .value_kind:     global_buffer
      - .actual_access:  write_only
        .address_space:  global
        .offset:         64
        .size:           8
        .value_kind:     global_buffer
      - .actual_access:  read_only
        .address_space:  global
        .offset:         72
        .size:           8
        .value_kind:     global_buffer
      - .actual_access:  read_only
        .address_space:  global
        .offset:         80
        .size:           8
        .value_kind:     global_buffer
      - .offset:         88
        .size:           4
        .value_kind:     by_value
      - .offset:         92
        .size:           4
        .value_kind:     by_value
      - .offset:         96
        .size:           4
        .value_kind:     by_value
      - .offset:         100
        .size:           4
        .value_kind:     by_value
      - .offset:         104
        .size:           4
        .value_kind:     by_value
      - .offset:         112
        .size:           8
        .value_kind:     by_value
      - .offset:         120
        .size:           8
        .value_kind:     by_value
      - .offset:         128
        .size:           8
        .value_kind:     by_value
    .group_segment_fixed_size: 40960
    .kernarg_segment_align: 8
    .kernarg_segment_size: 136
    .language:       OpenCL C
    .language_version:
      - 2
      - 0
    .max_flat_workgroup_size: 256
    .name:           _ZN12_GLOBAL__N_139chunk_gated_delta_rule_fwd_h_hip_kernelILi16ELb1ELb1ELb1ELb0ELb0ELb1ELb0ELb1EEEvPK12hip_bfloat16S3_S3_PKfS5_PKvPS1_S8_PvPKiSB_iiiiilll
    .private_segment_fixed_size: 0
    .sgpr_count:     82
    .sgpr_spill_count: 0
    .symbol:         _ZN12_GLOBAL__N_139chunk_gated_delta_rule_fwd_h_hip_kernelILi16ELb1ELb1ELb1ELb0ELb0ELb1ELb0ELb1EEEvPK12hip_bfloat16S3_S3_PKfS5_PKvPS1_S8_PvPKiSB_iiiiilll.kd
    .uniform_work_group_size: 1
    .uses_dynamic_stack: false
    .vgpr_count:     132
    .vgpr_spill_count: 0
    .wavefront_size: 64
  - .agpr_count:     12
    .args:
      - .actual_access:  read_only
        .address_space:  global
        .offset:         0
        .size:           8
        .value_kind:     global_buffer
      - .actual_access:  read_only
        .address_space:  global
        .offset:         8
        .size:           8
        .value_kind:     global_buffer
      - .actual_access:  read_only
        .address_space:  global
        .offset:         16
        .size:           8
        .value_kind:     global_buffer
      - .actual_access:  read_only
        .address_space:  global
        .offset:         24
        .size:           8
        .value_kind:     global_buffer
      - .actual_access:  read_only
        .address_space:  global
        .offset:         32
        .size:           8
        .value_kind:     global_buffer
      - .actual_access:  read_only
        .address_space:  global
        .offset:         40
        .size:           8
        .value_kind:     global_buffer
      - .actual_access:  write_only
        .address_space:  global
        .offset:         48
        .size:           8
        .value_kind:     global_buffer
      - .actual_access:  read_only
        .address_space:  global
        .offset:         56
        .size:           8
        .value_kind:     global_buffer
      - .actual_access:  write_only
        .address_space:  global
        .offset:         64
        .size:           8
        .value_kind:     global_buffer
      - .actual_access:  read_only
        .address_space:  global
        .offset:         72
        .size:           8
        .value_kind:     global_buffer
      - .actual_access:  read_only
        .address_space:  global
        .offset:         80
        .size:           8
        .value_kind:     global_buffer
      - .offset:         88
        .size:           4
        .value_kind:     by_value
      - .offset:         92
        .size:           4
        .value_kind:     by_value
      - .offset:         96
        .size:           4
        .value_kind:     by_value
      - .offset:         100
        .size:           4
        .value_kind:     by_value
      - .offset:         104
        .size:           4
        .value_kind:     by_value
      - .offset:         112
        .size:           8
        .value_kind:     by_value
      - .offset:         120
        .size:           8
        .value_kind:     by_value
      - .offset:         128
        .size:           8
        .value_kind:     by_value
    .group_segment_fixed_size: 40960
    .kernarg_segment_align: 8
    .kernarg_segment_size: 136
    .language:       OpenCL C
    .language_version:
      - 2
      - 0
    .max_flat_workgroup_size: 256
    .name:           _ZN12_GLOBAL__N_139chunk_gated_delta_rule_fwd_h_hip_kernelILi16ELb1ELb1ELb0ELb0ELb0ELb1ELb0ELb1EEEvPK12hip_bfloat16S3_S3_PKfS5_PKvPS1_S8_PvPKiSB_iiiiilll
    .private_segment_fixed_size: 0
    .sgpr_count:     77
    .sgpr_spill_count: 0
    .symbol:         _ZN12_GLOBAL__N_139chunk_gated_delta_rule_fwd_h_hip_kernelILi16ELb1ELb1ELb0ELb0ELb0ELb1ELb0ELb1EEEvPK12hip_bfloat16S3_S3_PKfS5_PKvPS1_S8_PvPKiSB_iiiiilll.kd
    .uniform_work_group_size: 1
    .uses_dynamic_stack: false
    .vgpr_count:     128
    .vgpr_spill_count: 0
    .wavefront_size: 64
  - .agpr_count:     12
    .args:
      - .actual_access:  read_only
        .address_space:  global
        .offset:         0
        .size:           8
        .value_kind:     global_buffer
      - .actual_access:  read_only
        .address_space:  global
        .offset:         8
        .size:           8
        .value_kind:     global_buffer
      - .actual_access:  read_only
        .address_space:  global
        .offset:         16
        .size:           8
        .value_kind:     global_buffer
      - .actual_access:  read_only
        .address_space:  global
        .offset:         24
        .size:           8
        .value_kind:     global_buffer
      - .actual_access:  read_only
        .address_space:  global
        .offset:         32
        .size:           8
        .value_kind:     global_buffer
      - .actual_access:  read_only
        .address_space:  global
        .offset:         40
        .size:           8
        .value_kind:     global_buffer
      - .actual_access:  write_only
        .address_space:  global
        .offset:         48
        .size:           8
        .value_kind:     global_buffer
      - .actual_access:  write_only
        .address_space:  global
        .offset:         56
        .size:           8
        .value_kind:     global_buffer
      - .actual_access:  read_only
        .address_space:  global
        .offset:         64
        .size:           8
        .value_kind:     global_buffer
      - .actual_access:  read_only
        .address_space:  global
        .offset:         72
        .size:           8
        .value_kind:     global_buffer
      - .actual_access:  read_only
        .address_space:  global
        .offset:         80
        .size:           8
        .value_kind:     global_buffer
      - .offset:         88
        .size:           4
        .value_kind:     by_value
      - .offset:         92
        .size:           4
        .value_kind:     by_value
      - .offset:         96
        .size:           4
        .value_kind:     by_value
      - .offset:         100
        .size:           4
        .value_kind:     by_value
      - .offset:         104
        .size:           4
        .value_kind:     by_value
      - .offset:         112
        .size:           8
        .value_kind:     by_value
      - .offset:         120
        .size:           8
        .value_kind:     by_value
      - .offset:         128
        .size:           8
        .value_kind:     by_value
    .group_segment_fixed_size: 40960
    .kernarg_segment_align: 8
    .kernarg_segment_size: 136
    .language:       OpenCL C
    .language_version:
      - 2
      - 0
    .max_flat_workgroup_size: 256
    .name:           _ZN12_GLOBAL__N_139chunk_gated_delta_rule_fwd_h_hip_kernelILi16ELb1ELb0ELb1ELb0ELb0ELb1ELb0ELb1EEEvPK12hip_bfloat16S3_S3_PKfS5_PKvPS1_S8_PvPKiSB_iiiiilll
    .private_segment_fixed_size: 0
    .sgpr_count:     78
    .sgpr_spill_count: 0
    .symbol:         _ZN12_GLOBAL__N_139chunk_gated_delta_rule_fwd_h_hip_kernelILi16ELb1ELb0ELb1ELb0ELb0ELb1ELb0ELb1EEEvPK12hip_bfloat16S3_S3_PKfS5_PKvPS1_S8_PvPKiSB_iiiiilll.kd
    .uniform_work_group_size: 1
    .uses_dynamic_stack: false
    .vgpr_count:     128
    .vgpr_spill_count: 0
    .wavefront_size: 64
  - .agpr_count:     12
    .args:
      - .actual_access:  read_only
        .address_space:  global
        .offset:         0
        .size:           8
        .value_kind:     global_buffer
      - .actual_access:  read_only
        .address_space:  global
        .offset:         8
        .size:           8
        .value_kind:     global_buffer
      - .actual_access:  read_only
        .address_space:  global
        .offset:         16
        .size:           8
        .value_kind:     global_buffer
      - .actual_access:  read_only
        .address_space:  global
        .offset:         24
        .size:           8
        .value_kind:     global_buffer
      - .actual_access:  read_only
        .address_space:  global
        .offset:         32
        .size:           8
        .value_kind:     global_buffer
      - .actual_access:  read_only
        .address_space:  global
        .offset:         40
        .size:           8
        .value_kind:     global_buffer
      - .actual_access:  write_only
        .address_space:  global
        .offset:         48
        .size:           8
        .value_kind:     global_buffer
      - .actual_access:  read_only
        .address_space:  global
        .offset:         56
        .size:           8
        .value_kind:     global_buffer
      - .actual_access:  read_only
        .address_space:  global
        .offset:         64
        .size:           8
        .value_kind:     global_buffer
      - .actual_access:  read_only
        .address_space:  global
        .offset:         72
        .size:           8
        .value_kind:     global_buffer
      - .actual_access:  read_only
        .address_space:  global
        .offset:         80
        .size:           8
        .value_kind:     global_buffer
      - .offset:         88
        .size:           4
        .value_kind:     by_value
      - .offset:         92
        .size:           4
        .value_kind:     by_value
      - .offset:         96
        .size:           4
        .value_kind:     by_value
      - .offset:         100
        .size:           4
        .value_kind:     by_value
      - .offset:         104
        .size:           4
        .value_kind:     by_value
      - .offset:         112
        .size:           8
        .value_kind:     by_value
      - .offset:         120
        .size:           8
        .value_kind:     by_value
      - .offset:         128
        .size:           8
        .value_kind:     by_value
    .group_segment_fixed_size: 40960
    .kernarg_segment_align: 8
    .kernarg_segment_size: 136
    .language:       OpenCL C
    .language_version:
      - 2
      - 0
    .max_flat_workgroup_size: 256
    .name:           _ZN12_GLOBAL__N_139chunk_gated_delta_rule_fwd_h_hip_kernelILi16ELb1ELb0ELb0ELb0ELb0ELb1ELb0ELb1EEEvPK12hip_bfloat16S3_S3_PKfS5_PKvPS1_S8_PvPKiSB_iiiiilll
    .private_segment_fixed_size: 0
    .sgpr_count:     73
    .sgpr_spill_count: 0
    .symbol:         _ZN12_GLOBAL__N_139chunk_gated_delta_rule_fwd_h_hip_kernelILi16ELb1ELb0ELb0ELb0ELb0ELb1ELb0ELb1EEEvPK12hip_bfloat16S3_S3_PKfS5_PKvPS1_S8_PvPKiSB_iiiiilll.kd
    .uniform_work_group_size: 1
    .uses_dynamic_stack: false
    .vgpr_count:     128
    .vgpr_spill_count: 0
    .wavefront_size: 64
  - .agpr_count:     12
    .args:
      - .actual_access:  read_only
        .address_space:  global
        .offset:         0
        .size:           8
        .value_kind:     global_buffer
      - .actual_access:  read_only
        .address_space:  global
        .offset:         8
        .size:           8
        .value_kind:     global_buffer
      - .actual_access:  read_only
        .address_space:  global
        .offset:         16
        .size:           8
        .value_kind:     global_buffer
      - .actual_access:  read_only
        .address_space:  global
        .offset:         24
        .size:           8
        .value_kind:     global_buffer
      - .actual_access:  read_only
        .address_space:  global
        .offset:         32
        .size:           8
        .value_kind:     global_buffer
      - .actual_access:  read_only
        .address_space:  global
        .offset:         40
        .size:           8
        .value_kind:     global_buffer
      - .actual_access:  write_only
        .address_space:  global
        .offset:         48
        .size:           8
        .value_kind:     global_buffer
      - .actual_access:  write_only
        .address_space:  global
        .offset:         56
        .size:           8
        .value_kind:     global_buffer
      - .actual_access:  write_only
        .address_space:  global
        .offset:         64
        .size:           8
        .value_kind:     global_buffer
      - .actual_access:  read_only
        .address_space:  global
        .offset:         72
        .size:           8
        .value_kind:     global_buffer
      - .actual_access:  read_only
        .address_space:  global
        .offset:         80
        .size:           8
        .value_kind:     global_buffer
      - .offset:         88
        .size:           4
        .value_kind:     by_value
      - .offset:         92
        .size:           4
        .value_kind:     by_value
      - .offset:         96
        .size:           4
        .value_kind:     by_value
      - .offset:         100
        .size:           4
        .value_kind:     by_value
      - .offset:         104
        .size:           4
        .value_kind:     by_value
      - .offset:         112
        .size:           8
        .value_kind:     by_value
      - .offset:         120
        .size:           8
        .value_kind:     by_value
      - .offset:         128
        .size:           8
        .value_kind:     by_value
    .group_segment_fixed_size: 40960
    .kernarg_segment_align: 8
    .kernarg_segment_size: 136
    .language:       OpenCL C
    .language_version:
      - 2
      - 0
    .max_flat_workgroup_size: 256
    .name:           _ZN12_GLOBAL__N_139chunk_gated_delta_rule_fwd_h_hip_kernelILi16ELb0ELb1ELb1ELb0ELb0ELb1ELb0ELb1EEEvPK12hip_bfloat16S3_S3_PKfS5_PKvPS1_S8_PvPKiSB_iiiiilll
    .private_segment_fixed_size: 0
    .sgpr_count:     76
    .sgpr_spill_count: 0
    .symbol:         _ZN12_GLOBAL__N_139chunk_gated_delta_rule_fwd_h_hip_kernelILi16ELb0ELb1ELb1ELb0ELb0ELb1ELb0ELb1EEEvPK12hip_bfloat16S3_S3_PKfS5_PKvPS1_S8_PvPKiSB_iiiiilll.kd
    .uniform_work_group_size: 1
    .uses_dynamic_stack: false
    .vgpr_count:     128
    .vgpr_spill_count: 0
    .wavefront_size: 64
  - .agpr_count:     12
    .args:
      - .actual_access:  read_only
        .address_space:  global
        .offset:         0
        .size:           8
        .value_kind:     global_buffer
      - .actual_access:  read_only
        .address_space:  global
        .offset:         8
        .size:           8
        .value_kind:     global_buffer
      - .actual_access:  read_only
        .address_space:  global
        .offset:         16
        .size:           8
        .value_kind:     global_buffer
      - .actual_access:  read_only
        .address_space:  global
        .offset:         24
        .size:           8
        .value_kind:     global_buffer
      - .actual_access:  read_only
        .address_space:  global
        .offset:         32
        .size:           8
        .value_kind:     global_buffer
      - .actual_access:  read_only
        .address_space:  global
        .offset:         40
        .size:           8
        .value_kind:     global_buffer
      - .actual_access:  write_only
        .address_space:  global
        .offset:         48
        .size:           8
        .value_kind:     global_buffer
      - .actual_access:  read_only
        .address_space:  global
        .offset:         56
        .size:           8
        .value_kind:     global_buffer
      - .actual_access:  write_only
        .address_space:  global
        .offset:         64
        .size:           8
        .value_kind:     global_buffer
      - .actual_access:  read_only
        .address_space:  global
        .offset:         72
        .size:           8
        .value_kind:     global_buffer
      - .actual_access:  read_only
        .address_space:  global
        .offset:         80
        .size:           8
        .value_kind:     global_buffer
      - .offset:         88
        .size:           4
        .value_kind:     by_value
      - .offset:         92
        .size:           4
        .value_kind:     by_value
      - .offset:         96
        .size:           4
        .value_kind:     by_value
      - .offset:         100
        .size:           4
        .value_kind:     by_value
      - .offset:         104
        .size:           4
        .value_kind:     by_value
      - .offset:         112
        .size:           8
        .value_kind:     by_value
      - .offset:         120
        .size:           8
        .value_kind:     by_value
      - .offset:         128
        .size:           8
        .value_kind:     by_value
    .group_segment_fixed_size: 40960
    .kernarg_segment_align: 8
    .kernarg_segment_size: 136
    .language:       OpenCL C
    .language_version:
      - 2
      - 0
    .max_flat_workgroup_size: 256
    .name:           _ZN12_GLOBAL__N_139chunk_gated_delta_rule_fwd_h_hip_kernelILi16ELb0ELb1ELb0ELb0ELb0ELb1ELb0ELb1EEEvPK12hip_bfloat16S3_S3_PKfS5_PKvPS1_S8_PvPKiSB_iiiiilll
    .private_segment_fixed_size: 0
    .sgpr_count:     72
    .sgpr_spill_count: 0
    .symbol:         _ZN12_GLOBAL__N_139chunk_gated_delta_rule_fwd_h_hip_kernelILi16ELb0ELb1ELb0ELb0ELb0ELb1ELb0ELb1EEEvPK12hip_bfloat16S3_S3_PKfS5_PKvPS1_S8_PvPKiSB_iiiiilll.kd
    .uniform_work_group_size: 1
    .uses_dynamic_stack: false
    .vgpr_count:     128
    .vgpr_spill_count: 0
    .wavefront_size: 64
  - .agpr_count:     12
    .args:
      - .actual_access:  read_only
        .address_space:  global
        .offset:         0
        .size:           8
        .value_kind:     global_buffer
      - .actual_access:  read_only
        .address_space:  global
        .offset:         8
        .size:           8
        .value_kind:     global_buffer
      - .actual_access:  read_only
        .address_space:  global
        .offset:         16
        .size:           8
        .value_kind:     global_buffer
      - .actual_access:  read_only
        .address_space:  global
        .offset:         24
        .size:           8
        .value_kind:     global_buffer
      - .actual_access:  read_only
        .address_space:  global
        .offset:         32
        .size:           8
        .value_kind:     global_buffer
      - .actual_access:  read_only
        .address_space:  global
        .offset:         40
        .size:           8
        .value_kind:     global_buffer
      - .actual_access:  write_only
        .address_space:  global
        .offset:         48
        .size:           8
        .value_kind:     global_buffer
      - .actual_access:  write_only
        .address_space:  global
        .offset:         56
        .size:           8
        .value_kind:     global_buffer
      - .actual_access:  read_only
        .address_space:  global
        .offset:         64
        .size:           8
        .value_kind:     global_buffer
      - .actual_access:  read_only
        .address_space:  global
        .offset:         72
        .size:           8
        .value_kind:     global_buffer
      - .actual_access:  read_only
        .address_space:  global
        .offset:         80
        .size:           8
        .value_kind:     global_buffer
      - .offset:         88
        .size:           4
        .value_kind:     by_value
      - .offset:         92
        .size:           4
        .value_kind:     by_value
      - .offset:         96
        .size:           4
        .value_kind:     by_value
      - .offset:         100
        .size:           4
        .value_kind:     by_value
      - .offset:         104
        .size:           4
        .value_kind:     by_value
      - .offset:         112
        .size:           8
        .value_kind:     by_value
      - .offset:         120
        .size:           8
        .value_kind:     by_value
      - .offset:         128
        .size:           8
        .value_kind:     by_value
    .group_segment_fixed_size: 40960
    .kernarg_segment_align: 8
    .kernarg_segment_size: 136
    .language:       OpenCL C
    .language_version:
      - 2
      - 0
    .max_flat_workgroup_size: 256
    .name:           _ZN12_GLOBAL__N_139chunk_gated_delta_rule_fwd_h_hip_kernelILi16ELb0ELb0ELb1ELb0ELb0ELb1ELb0ELb1EEEvPK12hip_bfloat16S3_S3_PKfS5_PKvPS1_S8_PvPKiSB_iiiiilll
    .private_segment_fixed_size: 0
    .sgpr_count:     74
    .sgpr_spill_count: 0
    .symbol:         _ZN12_GLOBAL__N_139chunk_gated_delta_rule_fwd_h_hip_kernelILi16ELb0ELb0ELb1ELb0ELb0ELb1ELb0ELb1EEEvPK12hip_bfloat16S3_S3_PKfS5_PKvPS1_S8_PvPKiSB_iiiiilll.kd
    .uniform_work_group_size: 1
    .uses_dynamic_stack: false
    .vgpr_count:     128
    .vgpr_spill_count: 0
    .wavefront_size: 64
  - .agpr_count:     12
    .args:
      - .actual_access:  read_only
        .address_space:  global
        .offset:         0
        .size:           8
        .value_kind:     global_buffer
      - .actual_access:  read_only
        .address_space:  global
        .offset:         8
        .size:           8
        .value_kind:     global_buffer
      - .actual_access:  read_only
        .address_space:  global
        .offset:         16
        .size:           8
        .value_kind:     global_buffer
      - .actual_access:  read_only
        .address_space:  global
        .offset:         24
        .size:           8
        .value_kind:     global_buffer
      - .actual_access:  read_only
        .address_space:  global
        .offset:         32
        .size:           8
        .value_kind:     global_buffer
      - .actual_access:  read_only
        .address_space:  global
        .offset:         40
        .size:           8
        .value_kind:     global_buffer
      - .actual_access:  write_only
        .address_space:  global
        .offset:         48
        .size:           8
        .value_kind:     global_buffer
      - .actual_access:  read_only
        .address_space:  global
        .offset:         56
        .size:           8
        .value_kind:     global_buffer
      - .actual_access:  read_only
        .address_space:  global
        .offset:         64
        .size:           8
        .value_kind:     global_buffer
      - .actual_access:  read_only
        .address_space:  global
        .offset:         72
        .size:           8
        .value_kind:     global_buffer
      - .actual_access:  read_only
        .address_space:  global
        .offset:         80
        .size:           8
        .value_kind:     global_buffer
      - .offset:         88
        .size:           4
        .value_kind:     by_value
      - .offset:         92
        .size:           4
        .value_kind:     by_value
      - .offset:         96
        .size:           4
        .value_kind:     by_value
      - .offset:         100
        .size:           4
        .value_kind:     by_value
      - .offset:         104
        .size:           4
        .value_kind:     by_value
      - .offset:         112
        .size:           8
        .value_kind:     by_value
      - .offset:         120
        .size:           8
        .value_kind:     by_value
      - .offset:         128
        .size:           8
        .value_kind:     by_value
    .group_segment_fixed_size: 40960
    .kernarg_segment_align: 8
    .kernarg_segment_size: 136
    .language:       OpenCL C
    .language_version:
      - 2
      - 0
    .max_flat_workgroup_size: 256
    .name:           _ZN12_GLOBAL__N_139chunk_gated_delta_rule_fwd_h_hip_kernelILi16ELb0ELb0ELb0ELb0ELb0ELb1ELb0ELb1EEEvPK12hip_bfloat16S3_S3_PKfS5_PKvPS1_S8_PvPKiSB_iiiiilll
    .private_segment_fixed_size: 0
    .sgpr_count:     70
    .sgpr_spill_count: 0
    .symbol:         _ZN12_GLOBAL__N_139chunk_gated_delta_rule_fwd_h_hip_kernelILi16ELb0ELb0ELb0ELb0ELb0ELb1ELb0ELb1EEEvPK12hip_bfloat16S3_S3_PKfS5_PKvPS1_S8_PvPKiSB_iiiiilll.kd
    .uniform_work_group_size: 1
    .uses_dynamic_stack: false
    .vgpr_count:     128
    .vgpr_spill_count: 0
    .wavefront_size: 64
  - .agpr_count:     8
    .args:
      - .actual_access:  read_only
        .address_space:  global
        .offset:         0
        .size:           8
        .value_kind:     global_buffer
      - .actual_access:  read_only
        .address_space:  global
        .offset:         8
        .size:           8
        .value_kind:     global_buffer
      - .actual_access:  read_only
        .address_space:  global
        .offset:         16
        .size:           8
        .value_kind:     global_buffer
      - .actual_access:  read_only
        .address_space:  global
        .offset:         24
        .size:           8
        .value_kind:     global_buffer
      - .actual_access:  read_only
        .address_space:  global
        .offset:         32
        .size:           8
        .value_kind:     global_buffer
      - .actual_access:  read_only
        .address_space:  global
        .offset:         40
        .size:           8
        .value_kind:     global_buffer
      - .actual_access:  write_only
        .address_space:  global
        .offset:         48
        .size:           8
        .value_kind:     global_buffer
      - .actual_access:  write_only
        .address_space:  global
        .offset:         56
        .size:           8
        .value_kind:     global_buffer
      - .actual_access:  write_only
        .address_space:  global
        .offset:         64
        .size:           8
        .value_kind:     global_buffer
      - .actual_access:  read_only
        .address_space:  global
        .offset:         72
        .size:           8
        .value_kind:     global_buffer
      - .actual_access:  read_only
        .address_space:  global
        .offset:         80
        .size:           8
        .value_kind:     global_buffer
      - .offset:         88
        .size:           4
        .value_kind:     by_value
      - .offset:         92
        .size:           4
        .value_kind:     by_value
      - .offset:         96
        .size:           4
        .value_kind:     by_value
      - .offset:         100
        .size:           4
        .value_kind:     by_value
      - .offset:         104
        .size:           4
        .value_kind:     by_value
      - .offset:         112
        .size:           8
        .value_kind:     by_value
      - .offset:         120
        .size:           8
        .value_kind:     by_value
      - .offset:         128
        .size:           8
        .value_kind:     by_value
    .group_segment_fixed_size: 40960
    .kernarg_segment_align: 8
    .kernarg_segment_size: 136
    .language:       OpenCL C
    .language_version:
      - 2
      - 0
    .max_flat_workgroup_size: 256
    .name:           _ZN12_GLOBAL__N_139chunk_gated_delta_rule_fwd_h_hip_kernelILi16ELb1ELb1ELb1ELb1ELb0ELb0ELb1ELb1EEEvPK12hip_bfloat16S3_S3_PKfS5_PKvPS1_S8_PvPKiSB_iiiiilll
    .private_segment_fixed_size: 0
    .sgpr_count:     74
    .sgpr_spill_count: 0
    .symbol:         _ZN12_GLOBAL__N_139chunk_gated_delta_rule_fwd_h_hip_kernelILi16ELb1ELb1ELb1ELb1ELb0ELb0ELb1ELb1EEEvPK12hip_bfloat16S3_S3_PKfS5_PKvPS1_S8_PvPKiSB_iiiiilll.kd
    .uniform_work_group_size: 1
    .uses_dynamic_stack: false
    .vgpr_count:     120
    .vgpr_spill_count: 0
    .wavefront_size: 64
  - .agpr_count:     8
    .args:
      - .actual_access:  read_only
        .address_space:  global
        .offset:         0
        .size:           8
        .value_kind:     global_buffer
      - .actual_access:  read_only
        .address_space:  global
        .offset:         8
        .size:           8
        .value_kind:     global_buffer
      - .actual_access:  read_only
        .address_space:  global
        .offset:         16
        .size:           8
        .value_kind:     global_buffer
      - .actual_access:  read_only
        .address_space:  global
        .offset:         24
        .size:           8
        .value_kind:     global_buffer
      - .actual_access:  read_only
        .address_space:  global
        .offset:         32
        .size:           8
        .value_kind:     global_buffer
      - .actual_access:  read_only
        .address_space:  global
        .offset:         40
        .size:           8
        .value_kind:     global_buffer
      - .actual_access:  write_only
        .address_space:  global
        .offset:         48
        .size:           8
        .value_kind:     global_buffer
      - .actual_access:  read_only
        .address_space:  global
        .offset:         56
        .size:           8
        .value_kind:     global_buffer
      - .actual_access:  write_only
        .address_space:  global
        .offset:         64
        .size:           8
        .value_kind:     global_buffer
      - .actual_access:  read_only
        .address_space:  global
        .offset:         72
        .size:           8
        .value_kind:     global_buffer
      - .actual_access:  read_only
        .address_space:  global
        .offset:         80
        .size:           8
        .value_kind:     global_buffer
      - .offset:         88
        .size:           4
        .value_kind:     by_value
      - .offset:         92
        .size:           4
        .value_kind:     by_value
      - .offset:         96
        .size:           4
        .value_kind:     by_value
      - .offset:         100
        .size:           4
        .value_kind:     by_value
      - .offset:         104
        .size:           4
        .value_kind:     by_value
      - .offset:         112
        .size:           8
        .value_kind:     by_value
      - .offset:         120
        .size:           8
        .value_kind:     by_value
      - .offset:         128
        .size:           8
        .value_kind:     by_value
    .group_segment_fixed_size: 40960
    .kernarg_segment_align: 8
    .kernarg_segment_size: 136
    .language:       OpenCL C
    .language_version:
      - 2
      - 0
    .max_flat_workgroup_size: 256
    .name:           _ZN12_GLOBAL__N_139chunk_gated_delta_rule_fwd_h_hip_kernelILi16ELb1ELb1ELb0ELb1ELb0ELb0ELb1ELb1EEEvPK12hip_bfloat16S3_S3_PKfS5_PKvPS1_S8_PvPKiSB_iiiiilll
    .private_segment_fixed_size: 0
    .sgpr_count:     69
    .sgpr_spill_count: 0
    .symbol:         _ZN12_GLOBAL__N_139chunk_gated_delta_rule_fwd_h_hip_kernelILi16ELb1ELb1ELb0ELb1ELb0ELb0ELb1ELb1EEEvPK12hip_bfloat16S3_S3_PKfS5_PKvPS1_S8_PvPKiSB_iiiiilll.kd
    .uniform_work_group_size: 1
    .uses_dynamic_stack: false
    .vgpr_count:     120
    .vgpr_spill_count: 0
    .wavefront_size: 64
  - .agpr_count:     8
    .args:
      - .actual_access:  read_only
        .address_space:  global
        .offset:         0
        .size:           8
        .value_kind:     global_buffer
      - .actual_access:  read_only
        .address_space:  global
        .offset:         8
        .size:           8
        .value_kind:     global_buffer
      - .actual_access:  read_only
        .address_space:  global
        .offset:         16
        .size:           8
        .value_kind:     global_buffer
      - .actual_access:  read_only
        .address_space:  global
        .offset:         24
        .size:           8
        .value_kind:     global_buffer
      - .actual_access:  read_only
        .address_space:  global
        .offset:         32
        .size:           8
        .value_kind:     global_buffer
      - .actual_access:  read_only
        .address_space:  global
        .offset:         40
        .size:           8
        .value_kind:     global_buffer
      - .actual_access:  write_only
        .address_space:  global
        .offset:         48
        .size:           8
        .value_kind:     global_buffer
      - .actual_access:  write_only
        .address_space:  global
        .offset:         56
        .size:           8
        .value_kind:     global_buffer
      - .actual_access:  read_only
        .address_space:  global
        .offset:         64
        .size:           8
        .value_kind:     global_buffer
      - .actual_access:  read_only
        .address_space:  global
        .offset:         72
        .size:           8
        .value_kind:     global_buffer
      - .actual_access:  read_only
        .address_space:  global
        .offset:         80
        .size:           8
        .value_kind:     global_buffer
      - .offset:         88
        .size:           4
        .value_kind:     by_value
      - .offset:         92
        .size:           4
        .value_kind:     by_value
      - .offset:         96
        .size:           4
        .value_kind:     by_value
      - .offset:         100
        .size:           4
        .value_kind:     by_value
      - .offset:         104
        .size:           4
        .value_kind:     by_value
      - .offset:         112
        .size:           8
        .value_kind:     by_value
      - .offset:         120
        .size:           8
        .value_kind:     by_value
      - .offset:         128
        .size:           8
        .value_kind:     by_value
    .group_segment_fixed_size: 40960
    .kernarg_segment_align: 8
    .kernarg_segment_size: 136
    .language:       OpenCL C
    .language_version:
      - 2
      - 0
    .max_flat_workgroup_size: 256
    .name:           _ZN12_GLOBAL__N_139chunk_gated_delta_rule_fwd_h_hip_kernelILi16ELb1ELb0ELb1ELb1ELb0ELb0ELb1ELb1EEEvPK12hip_bfloat16S3_S3_PKfS5_PKvPS1_S8_PvPKiSB_iiiiilll
    .private_segment_fixed_size: 0
    .sgpr_count:     70
    .sgpr_spill_count: 0
    .symbol:         _ZN12_GLOBAL__N_139chunk_gated_delta_rule_fwd_h_hip_kernelILi16ELb1ELb0ELb1ELb1ELb0ELb0ELb1ELb1EEEvPK12hip_bfloat16S3_S3_PKfS5_PKvPS1_S8_PvPKiSB_iiiiilll.kd
    .uniform_work_group_size: 1
    .uses_dynamic_stack: false
    .vgpr_count:     116
    .vgpr_spill_count: 0
    .wavefront_size: 64
  - .agpr_count:     8
    .args:
      - .actual_access:  read_only
        .address_space:  global
        .offset:         0
        .size:           8
        .value_kind:     global_buffer
      - .actual_access:  read_only
        .address_space:  global
        .offset:         8
        .size:           8
        .value_kind:     global_buffer
      - .actual_access:  read_only
        .address_space:  global
        .offset:         16
        .size:           8
        .value_kind:     global_buffer
      - .actual_access:  read_only
        .address_space:  global
        .offset:         24
        .size:           8
        .value_kind:     global_buffer
      - .actual_access:  read_only
        .address_space:  global
        .offset:         32
        .size:           8
        .value_kind:     global_buffer
      - .actual_access:  read_only
        .address_space:  global
        .offset:         40
        .size:           8
        .value_kind:     global_buffer
      - .actual_access:  write_only
        .address_space:  global
        .offset:         48
        .size:           8
        .value_kind:     global_buffer
      - .actual_access:  read_only
        .address_space:  global
        .offset:         56
        .size:           8
        .value_kind:     global_buffer
      - .actual_access:  read_only
        .address_space:  global
        .offset:         64
        .size:           8
        .value_kind:     global_buffer
      - .actual_access:  read_only
        .address_space:  global
        .offset:         72
        .size:           8
        .value_kind:     global_buffer
      - .actual_access:  read_only
        .address_space:  global
        .offset:         80
        .size:           8
        .value_kind:     global_buffer
      - .offset:         88
        .size:           4
        .value_kind:     by_value
      - .offset:         92
        .size:           4
        .value_kind:     by_value
      - .offset:         96
        .size:           4
        .value_kind:     by_value
      - .offset:         100
        .size:           4
        .value_kind:     by_value
      - .offset:         104
        .size:           4
        .value_kind:     by_value
      - .offset:         112
        .size:           8
        .value_kind:     by_value
      - .offset:         120
        .size:           8
        .value_kind:     by_value
      - .offset:         128
        .size:           8
        .value_kind:     by_value
    .group_segment_fixed_size: 40960
    .kernarg_segment_align: 8
    .kernarg_segment_size: 136
    .language:       OpenCL C
    .language_version:
      - 2
      - 0
    .max_flat_workgroup_size: 256
    .name:           _ZN12_GLOBAL__N_139chunk_gated_delta_rule_fwd_h_hip_kernelILi16ELb1ELb0ELb0ELb1ELb0ELb0ELb1ELb1EEEvPK12hip_bfloat16S3_S3_PKfS5_PKvPS1_S8_PvPKiSB_iiiiilll
    .private_segment_fixed_size: 0
    .sgpr_count:     65
    .sgpr_spill_count: 0
    .symbol:         _ZN12_GLOBAL__N_139chunk_gated_delta_rule_fwd_h_hip_kernelILi16ELb1ELb0ELb0ELb1ELb0ELb0ELb1ELb1EEEvPK12hip_bfloat16S3_S3_PKfS5_PKvPS1_S8_PvPKiSB_iiiiilll.kd
    .uniform_work_group_size: 1
    .uses_dynamic_stack: false
    .vgpr_count:     116
    .vgpr_spill_count: 0
    .wavefront_size: 64
  - .agpr_count:     8
    .args:
      - .actual_access:  read_only
        .address_space:  global
        .offset:         0
        .size:           8
        .value_kind:     global_buffer
      - .actual_access:  read_only
        .address_space:  global
        .offset:         8
        .size:           8
        .value_kind:     global_buffer
      - .actual_access:  read_only
        .address_space:  global
        .offset:         16
        .size:           8
        .value_kind:     global_buffer
      - .actual_access:  read_only
        .address_space:  global
        .offset:         24
        .size:           8
        .value_kind:     global_buffer
      - .actual_access:  read_only
        .address_space:  global
        .offset:         32
        .size:           8
        .value_kind:     global_buffer
      - .actual_access:  read_only
        .address_space:  global
        .offset:         40
        .size:           8
        .value_kind:     global_buffer
      - .actual_access:  write_only
        .address_space:  global
        .offset:         48
        .size:           8
        .value_kind:     global_buffer
      - .actual_access:  write_only
        .address_space:  global
        .offset:         56
        .size:           8
        .value_kind:     global_buffer
      - .actual_access:  write_only
        .address_space:  global
        .offset:         64
        .size:           8
        .value_kind:     global_buffer
      - .actual_access:  read_only
        .address_space:  global
        .offset:         72
        .size:           8
        .value_kind:     global_buffer
      - .actual_access:  read_only
        .address_space:  global
        .offset:         80
        .size:           8
        .value_kind:     global_buffer
      - .offset:         88
        .size:           4
        .value_kind:     by_value
      - .offset:         92
        .size:           4
        .value_kind:     by_value
      - .offset:         96
        .size:           4
        .value_kind:     by_value
      - .offset:         100
        .size:           4
        .value_kind:     by_value
      - .offset:         104
        .size:           4
        .value_kind:     by_value
      - .offset:         112
        .size:           8
        .value_kind:     by_value
      - .offset:         120
        .size:           8
        .value_kind:     by_value
      - .offset:         128
        .size:           8
        .value_kind:     by_value
    .group_segment_fixed_size: 40960
    .kernarg_segment_align: 8
    .kernarg_segment_size: 136
    .language:       OpenCL C
    .language_version:
      - 2
      - 0
    .max_flat_workgroup_size: 256
    .name:           _ZN12_GLOBAL__N_139chunk_gated_delta_rule_fwd_h_hip_kernelILi16ELb0ELb1ELb1ELb1ELb0ELb0ELb1ELb1EEEvPK12hip_bfloat16S3_S3_PKfS5_PKvPS1_S8_PvPKiSB_iiiiilll
    .private_segment_fixed_size: 0
    .sgpr_count:     72
    .sgpr_spill_count: 0
    .symbol:         _ZN12_GLOBAL__N_139chunk_gated_delta_rule_fwd_h_hip_kernelILi16ELb0ELb1ELb1ELb1ELb0ELb0ELb1ELb1EEEvPK12hip_bfloat16S3_S3_PKfS5_PKvPS1_S8_PvPKiSB_iiiiilll.kd
    .uniform_work_group_size: 1
    .uses_dynamic_stack: false
    .vgpr_count:     116
    .vgpr_spill_count: 0
    .wavefront_size: 64
  - .agpr_count:     8
    .args:
      - .actual_access:  read_only
        .address_space:  global
        .offset:         0
        .size:           8
        .value_kind:     global_buffer
      - .actual_access:  read_only
        .address_space:  global
        .offset:         8
        .size:           8
        .value_kind:     global_buffer
      - .actual_access:  read_only
        .address_space:  global
        .offset:         16
        .size:           8
        .value_kind:     global_buffer
      - .actual_access:  read_only
        .address_space:  global
        .offset:         24
        .size:           8
        .value_kind:     global_buffer
      - .actual_access:  read_only
        .address_space:  global
        .offset:         32
        .size:           8
        .value_kind:     global_buffer
      - .actual_access:  read_only
        .address_space:  global
        .offset:         40
        .size:           8
        .value_kind:     global_buffer
      - .actual_access:  write_only
        .address_space:  global
        .offset:         48
        .size:           8
        .value_kind:     global_buffer
      - .actual_access:  read_only
        .address_space:  global
        .offset:         56
        .size:           8
        .value_kind:     global_buffer
      - .actual_access:  write_only
        .address_space:  global
        .offset:         64
        .size:           8
        .value_kind:     global_buffer
      - .actual_access:  read_only
        .address_space:  global
        .offset:         72
        .size:           8
        .value_kind:     global_buffer
      - .actual_access:  read_only
        .address_space:  global
        .offset:         80
        .size:           8
        .value_kind:     global_buffer
      - .offset:         88
        .size:           4
        .value_kind:     by_value
      - .offset:         92
        .size:           4
        .value_kind:     by_value
      - .offset:         96
        .size:           4
        .value_kind:     by_value
      - .offset:         100
        .size:           4
        .value_kind:     by_value
      - .offset:         104
        .size:           4
        .value_kind:     by_value
      - .offset:         112
        .size:           8
        .value_kind:     by_value
      - .offset:         120
        .size:           8
        .value_kind:     by_value
      - .offset:         128
        .size:           8
        .value_kind:     by_value
    .group_segment_fixed_size: 40960
    .kernarg_segment_align: 8
    .kernarg_segment_size: 136
    .language:       OpenCL C
    .language_version:
      - 2
      - 0
    .max_flat_workgroup_size: 256
    .name:           _ZN12_GLOBAL__N_139chunk_gated_delta_rule_fwd_h_hip_kernelILi16ELb0ELb1ELb0ELb1ELb0ELb0ELb1ELb1EEEvPK12hip_bfloat16S3_S3_PKfS5_PKvPS1_S8_PvPKiSB_iiiiilll
    .private_segment_fixed_size: 0
    .sgpr_count:     69
    .sgpr_spill_count: 0
    .symbol:         _ZN12_GLOBAL__N_139chunk_gated_delta_rule_fwd_h_hip_kernelILi16ELb0ELb1ELb0ELb1ELb0ELb0ELb1ELb1EEEvPK12hip_bfloat16S3_S3_PKfS5_PKvPS1_S8_PvPKiSB_iiiiilll.kd
    .uniform_work_group_size: 1
    .uses_dynamic_stack: false
    .vgpr_count:     116
    .vgpr_spill_count: 0
    .wavefront_size: 64
  - .agpr_count:     8
    .args:
      - .actual_access:  read_only
        .address_space:  global
        .offset:         0
        .size:           8
        .value_kind:     global_buffer
      - .actual_access:  read_only
        .address_space:  global
        .offset:         8
        .size:           8
        .value_kind:     global_buffer
      - .actual_access:  read_only
        .address_space:  global
        .offset:         16
        .size:           8
        .value_kind:     global_buffer
      - .actual_access:  read_only
        .address_space:  global
        .offset:         24
        .size:           8
        .value_kind:     global_buffer
      - .actual_access:  read_only
        .address_space:  global
        .offset:         32
        .size:           8
        .value_kind:     global_buffer
      - .actual_access:  read_only
        .address_space:  global
        .offset:         40
        .size:           8
        .value_kind:     global_buffer
      - .actual_access:  write_only
        .address_space:  global
        .offset:         48
        .size:           8
        .value_kind:     global_buffer
      - .actual_access:  write_only
        .address_space:  global
        .offset:         56
        .size:           8
        .value_kind:     global_buffer
      - .actual_access:  read_only
        .address_space:  global
        .offset:         64
        .size:           8
        .value_kind:     global_buffer
      - .actual_access:  read_only
        .address_space:  global
        .offset:         72
        .size:           8
        .value_kind:     global_buffer
      - .actual_access:  read_only
        .address_space:  global
        .offset:         80
        .size:           8
        .value_kind:     global_buffer
      - .offset:         88
        .size:           4
        .value_kind:     by_value
      - .offset:         92
        .size:           4
        .value_kind:     by_value
      - .offset:         96
        .size:           4
        .value_kind:     by_value
      - .offset:         100
        .size:           4
        .value_kind:     by_value
      - .offset:         104
        .size:           4
        .value_kind:     by_value
      - .offset:         112
        .size:           8
        .value_kind:     by_value
      - .offset:         120
        .size:           8
        .value_kind:     by_value
      - .offset:         128
        .size:           8
        .value_kind:     by_value
    .group_segment_fixed_size: 40960
    .kernarg_segment_align: 8
    .kernarg_segment_size: 136
    .language:       OpenCL C
    .language_version:
      - 2
      - 0
    .max_flat_workgroup_size: 256
    .name:           _ZN12_GLOBAL__N_139chunk_gated_delta_rule_fwd_h_hip_kernelILi16ELb0ELb0ELb1ELb1ELb0ELb0ELb1ELb1EEEvPK12hip_bfloat16S3_S3_PKfS5_PKvPS1_S8_PvPKiSB_iiiiilll
    .private_segment_fixed_size: 0
    .sgpr_count:     68
    .sgpr_spill_count: 0
    .symbol:         _ZN12_GLOBAL__N_139chunk_gated_delta_rule_fwd_h_hip_kernelILi16ELb0ELb0ELb1ELb1ELb0ELb0ELb1ELb1EEEvPK12hip_bfloat16S3_S3_PKfS5_PKvPS1_S8_PvPKiSB_iiiiilll.kd
    .uniform_work_group_size: 1
    .uses_dynamic_stack: false
    .vgpr_count:     116
    .vgpr_spill_count: 0
    .wavefront_size: 64
  - .agpr_count:     8
    .args:
      - .actual_access:  read_only
        .address_space:  global
        .offset:         0
        .size:           8
        .value_kind:     global_buffer
      - .actual_access:  read_only
        .address_space:  global
        .offset:         8
        .size:           8
        .value_kind:     global_buffer
      - .actual_access:  read_only
        .address_space:  global
        .offset:         16
        .size:           8
        .value_kind:     global_buffer
      - .actual_access:  read_only
        .address_space:  global
        .offset:         24
        .size:           8
        .value_kind:     global_buffer
      - .actual_access:  read_only
        .address_space:  global
        .offset:         32
        .size:           8
        .value_kind:     global_buffer
      - .actual_access:  read_only
        .address_space:  global
        .offset:         40
        .size:           8
        .value_kind:     global_buffer
      - .actual_access:  write_only
        .address_space:  global
        .offset:         48
        .size:           8
        .value_kind:     global_buffer
      - .actual_access:  read_only
        .address_space:  global
        .offset:         56
        .size:           8
        .value_kind:     global_buffer
      - .actual_access:  read_only
        .address_space:  global
        .offset:         64
        .size:           8
        .value_kind:     global_buffer
      - .actual_access:  read_only
        .address_space:  global
        .offset:         72
        .size:           8
        .value_kind:     global_buffer
      - .actual_access:  read_only
        .address_space:  global
        .offset:         80
        .size:           8
        .value_kind:     global_buffer
      - .offset:         88
        .size:           4
        .value_kind:     by_value
      - .offset:         92
        .size:           4
        .value_kind:     by_value
      - .offset:         96
        .size:           4
        .value_kind:     by_value
      - .offset:         100
        .size:           4
        .value_kind:     by_value
      - .offset:         104
        .size:           4
        .value_kind:     by_value
      - .offset:         112
        .size:           8
        .value_kind:     by_value
      - .offset:         120
        .size:           8
        .value_kind:     by_value
      - .offset:         128
        .size:           8
        .value_kind:     by_value
    .group_segment_fixed_size: 40960
    .kernarg_segment_align: 8
    .kernarg_segment_size: 136
    .language:       OpenCL C
    .language_version:
      - 2
      - 0
    .max_flat_workgroup_size: 256
    .name:           _ZN12_GLOBAL__N_139chunk_gated_delta_rule_fwd_h_hip_kernelILi16ELb0ELb0ELb0ELb1ELb0ELb0ELb1ELb1EEEvPK12hip_bfloat16S3_S3_PKfS5_PKvPS1_S8_PvPKiSB_iiiiilll
    .private_segment_fixed_size: 0
    .sgpr_count:     64
    .sgpr_spill_count: 0
    .symbol:         _ZN12_GLOBAL__N_139chunk_gated_delta_rule_fwd_h_hip_kernelILi16ELb0ELb0ELb0ELb1ELb0ELb0ELb1ELb1EEEvPK12hip_bfloat16S3_S3_PKfS5_PKvPS1_S8_PvPKiSB_iiiiilll.kd
    .uniform_work_group_size: 1
    .uses_dynamic_stack: false
    .vgpr_count:     116
    .vgpr_spill_count: 0
    .wavefront_size: 64
  - .agpr_count:     8
    .args:
      - .actual_access:  read_only
        .address_space:  global
        .offset:         0
        .size:           8
        .value_kind:     global_buffer
      - .actual_access:  read_only
        .address_space:  global
        .offset:         8
        .size:           8
        .value_kind:     global_buffer
      - .actual_access:  read_only
        .address_space:  global
        .offset:         16
        .size:           8
        .value_kind:     global_buffer
      - .actual_access:  read_only
        .address_space:  global
        .offset:         24
        .size:           8
        .value_kind:     global_buffer
      - .actual_access:  read_only
        .address_space:  global
        .offset:         32
        .size:           8
        .value_kind:     global_buffer
      - .actual_access:  read_only
        .address_space:  global
        .offset:         40
        .size:           8
        .value_kind:     global_buffer
      - .actual_access:  write_only
        .address_space:  global
        .offset:         48
        .size:           8
        .value_kind:     global_buffer
      - .actual_access:  write_only
        .address_space:  global
        .offset:         56
        .size:           8
        .value_kind:     global_buffer
      - .actual_access:  write_only
        .address_space:  global
        .offset:         64
        .size:           8
        .value_kind:     global_buffer
      - .actual_access:  read_only
        .address_space:  global
        .offset:         72
        .size:           8
        .value_kind:     global_buffer
      - .actual_access:  read_only
        .address_space:  global
        .offset:         80
        .size:           8
        .value_kind:     global_buffer
      - .offset:         88
        .size:           4
        .value_kind:     by_value
      - .offset:         92
        .size:           4
        .value_kind:     by_value
      - .offset:         96
        .size:           4
        .value_kind:     by_value
      - .offset:         100
        .size:           4
        .value_kind:     by_value
      - .offset:         104
        .size:           4
        .value_kind:     by_value
      - .offset:         112
        .size:           8
        .value_kind:     by_value
      - .offset:         120
        .size:           8
        .value_kind:     by_value
      - .offset:         128
        .size:           8
        .value_kind:     by_value
    .group_segment_fixed_size: 40960
    .kernarg_segment_align: 8
    .kernarg_segment_size: 136
    .language:       OpenCL C
    .language_version:
      - 2
      - 0
    .max_flat_workgroup_size: 256
    .name:           _ZN12_GLOBAL__N_139chunk_gated_delta_rule_fwd_h_hip_kernelILi16ELb1ELb1ELb1ELb0ELb0ELb0ELb1ELb1EEEvPK12hip_bfloat16S3_S3_PKfS5_PKvPS1_S8_PvPKiSB_iiiiilll
    .private_segment_fixed_size: 0
    .sgpr_count:     78
    .sgpr_spill_count: 0
    .symbol:         _ZN12_GLOBAL__N_139chunk_gated_delta_rule_fwd_h_hip_kernelILi16ELb1ELb1ELb1ELb0ELb0ELb0ELb1ELb1EEEvPK12hip_bfloat16S3_S3_PKfS5_PKvPS1_S8_PvPKiSB_iiiiilll.kd
    .uniform_work_group_size: 1
    .uses_dynamic_stack: false
    .vgpr_count:     120
    .vgpr_spill_count: 0
    .wavefront_size: 64
  - .agpr_count:     8
    .args:
      - .actual_access:  read_only
        .address_space:  global
        .offset:         0
        .size:           8
        .value_kind:     global_buffer
      - .actual_access:  read_only
        .address_space:  global
        .offset:         8
        .size:           8
        .value_kind:     global_buffer
      - .actual_access:  read_only
        .address_space:  global
        .offset:         16
        .size:           8
        .value_kind:     global_buffer
      - .actual_access:  read_only
        .address_space:  global
        .offset:         24
        .size:           8
        .value_kind:     global_buffer
      - .actual_access:  read_only
        .address_space:  global
        .offset:         32
        .size:           8
        .value_kind:     global_buffer
      - .actual_access:  read_only
        .address_space:  global
        .offset:         40
        .size:           8
        .value_kind:     global_buffer
      - .actual_access:  write_only
        .address_space:  global
        .offset:         48
        .size:           8
        .value_kind:     global_buffer
      - .actual_access:  read_only
        .address_space:  global
        .offset:         56
        .size:           8
        .value_kind:     global_buffer
      - .actual_access:  write_only
        .address_space:  global
        .offset:         64
        .size:           8
        .value_kind:     global_buffer
      - .actual_access:  read_only
        .address_space:  global
        .offset:         72
        .size:           8
        .value_kind:     global_buffer
      - .actual_access:  read_only
        .address_space:  global
        .offset:         80
        .size:           8
        .value_kind:     global_buffer
      - .offset:         88
        .size:           4
        .value_kind:     by_value
      - .offset:         92
        .size:           4
        .value_kind:     by_value
      - .offset:         96
        .size:           4
        .value_kind:     by_value
      - .offset:         100
        .size:           4
        .value_kind:     by_value
      - .offset:         104
        .size:           4
        .value_kind:     by_value
      - .offset:         112
        .size:           8
        .value_kind:     by_value
      - .offset:         120
        .size:           8
        .value_kind:     by_value
      - .offset:         128
        .size:           8
        .value_kind:     by_value
    .group_segment_fixed_size: 40960
    .kernarg_segment_align: 8
    .kernarg_segment_size: 136
    .language:       OpenCL C
    .language_version:
      - 2
      - 0
    .max_flat_workgroup_size: 256
    .name:           _ZN12_GLOBAL__N_139chunk_gated_delta_rule_fwd_h_hip_kernelILi16ELb1ELb1ELb0ELb0ELb0ELb0ELb1ELb1EEEvPK12hip_bfloat16S3_S3_PKfS5_PKvPS1_S8_PvPKiSB_iiiiilll
    .private_segment_fixed_size: 0
    .sgpr_count:     74
    .sgpr_spill_count: 0
    .symbol:         _ZN12_GLOBAL__N_139chunk_gated_delta_rule_fwd_h_hip_kernelILi16ELb1ELb1ELb0ELb0ELb0ELb0ELb1ELb1EEEvPK12hip_bfloat16S3_S3_PKfS5_PKvPS1_S8_PvPKiSB_iiiiilll.kd
    .uniform_work_group_size: 1
    .uses_dynamic_stack: false
    .vgpr_count:     120
    .vgpr_spill_count: 0
    .wavefront_size: 64
  - .agpr_count:     8
    .args:
      - .actual_access:  read_only
        .address_space:  global
        .offset:         0
        .size:           8
        .value_kind:     global_buffer
      - .actual_access:  read_only
        .address_space:  global
        .offset:         8
        .size:           8
        .value_kind:     global_buffer
      - .actual_access:  read_only
        .address_space:  global
        .offset:         16
        .size:           8
        .value_kind:     global_buffer
      - .actual_access:  read_only
        .address_space:  global
        .offset:         24
        .size:           8
        .value_kind:     global_buffer
      - .actual_access:  read_only
        .address_space:  global
        .offset:         32
        .size:           8
        .value_kind:     global_buffer
      - .actual_access:  read_only
        .address_space:  global
        .offset:         40
        .size:           8
        .value_kind:     global_buffer
      - .actual_access:  write_only
        .address_space:  global
        .offset:         48
        .size:           8
        .value_kind:     global_buffer
      - .actual_access:  write_only
        .address_space:  global
        .offset:         56
        .size:           8
        .value_kind:     global_buffer
      - .actual_access:  read_only
        .address_space:  global
        .offset:         64
        .size:           8
        .value_kind:     global_buffer
      - .actual_access:  read_only
        .address_space:  global
        .offset:         72
        .size:           8
        .value_kind:     global_buffer
      - .actual_access:  read_only
        .address_space:  global
        .offset:         80
        .size:           8
        .value_kind:     global_buffer
      - .offset:         88
        .size:           4
        .value_kind:     by_value
      - .offset:         92
        .size:           4
        .value_kind:     by_value
      - .offset:         96
        .size:           4
        .value_kind:     by_value
      - .offset:         100
        .size:           4
        .value_kind:     by_value
      - .offset:         104
        .size:           4
        .value_kind:     by_value
      - .offset:         112
        .size:           8
        .value_kind:     by_value
      - .offset:         120
        .size:           8
        .value_kind:     by_value
      - .offset:         128
        .size:           8
        .value_kind:     by_value
    .group_segment_fixed_size: 40960
    .kernarg_segment_align: 8
    .kernarg_segment_size: 136
    .language:       OpenCL C
    .language_version:
      - 2
      - 0
    .max_flat_workgroup_size: 256
    .name:           _ZN12_GLOBAL__N_139chunk_gated_delta_rule_fwd_h_hip_kernelILi16ELb1ELb0ELb1ELb0ELb0ELb0ELb1ELb1EEEvPK12hip_bfloat16S3_S3_PKfS5_PKvPS1_S8_PvPKiSB_iiiiilll
    .private_segment_fixed_size: 0
    .sgpr_count:     74
    .sgpr_spill_count: 0
    .symbol:         _ZN12_GLOBAL__N_139chunk_gated_delta_rule_fwd_h_hip_kernelILi16ELb1ELb0ELb1ELb0ELb0ELb0ELb1ELb1EEEvPK12hip_bfloat16S3_S3_PKfS5_PKvPS1_S8_PvPKiSB_iiiiilll.kd
    .uniform_work_group_size: 1
    .uses_dynamic_stack: false
    .vgpr_count:     116
    .vgpr_spill_count: 0
    .wavefront_size: 64
  - .agpr_count:     8
    .args:
      - .actual_access:  read_only
        .address_space:  global
        .offset:         0
        .size:           8
        .value_kind:     global_buffer
      - .actual_access:  read_only
        .address_space:  global
        .offset:         8
        .size:           8
        .value_kind:     global_buffer
      - .actual_access:  read_only
        .address_space:  global
        .offset:         16
        .size:           8
        .value_kind:     global_buffer
      - .actual_access:  read_only
        .address_space:  global
        .offset:         24
        .size:           8
        .value_kind:     global_buffer
      - .actual_access:  read_only
        .address_space:  global
        .offset:         32
        .size:           8
        .value_kind:     global_buffer
      - .actual_access:  read_only
        .address_space:  global
        .offset:         40
        .size:           8
        .value_kind:     global_buffer
      - .actual_access:  write_only
        .address_space:  global
        .offset:         48
        .size:           8
        .value_kind:     global_buffer
      - .actual_access:  read_only
        .address_space:  global
        .offset:         56
        .size:           8
        .value_kind:     global_buffer
      - .actual_access:  read_only
        .address_space:  global
        .offset:         64
        .size:           8
        .value_kind:     global_buffer
      - .actual_access:  read_only
        .address_space:  global
        .offset:         72
        .size:           8
        .value_kind:     global_buffer
      - .actual_access:  read_only
        .address_space:  global
        .offset:         80
        .size:           8
        .value_kind:     global_buffer
      - .offset:         88
        .size:           4
        .value_kind:     by_value
      - .offset:         92
        .size:           4
        .value_kind:     by_value
      - .offset:         96
        .size:           4
        .value_kind:     by_value
      - .offset:         100
        .size:           4
        .value_kind:     by_value
      - .offset:         104
        .size:           4
        .value_kind:     by_value
      - .offset:         112
        .size:           8
        .value_kind:     by_value
      - .offset:         120
        .size:           8
        .value_kind:     by_value
      - .offset:         128
        .size:           8
        .value_kind:     by_value
    .group_segment_fixed_size: 40960
    .kernarg_segment_align: 8
    .kernarg_segment_size: 136
    .language:       OpenCL C
    .language_version:
      - 2
      - 0
    .max_flat_workgroup_size: 256
    .name:           _ZN12_GLOBAL__N_139chunk_gated_delta_rule_fwd_h_hip_kernelILi16ELb1ELb0ELb0ELb0ELb0ELb0ELb1ELb1EEEvPK12hip_bfloat16S3_S3_PKfS5_PKvPS1_S8_PvPKiSB_iiiiilll
    .private_segment_fixed_size: 0
    .sgpr_count:     70
    .sgpr_spill_count: 0
    .symbol:         _ZN12_GLOBAL__N_139chunk_gated_delta_rule_fwd_h_hip_kernelILi16ELb1ELb0ELb0ELb0ELb0ELb0ELb1ELb1EEEvPK12hip_bfloat16S3_S3_PKfS5_PKvPS1_S8_PvPKiSB_iiiiilll.kd
    .uniform_work_group_size: 1
    .uses_dynamic_stack: false
    .vgpr_count:     116
    .vgpr_spill_count: 0
    .wavefront_size: 64
  - .agpr_count:     8
    .args:
      - .actual_access:  read_only
        .address_space:  global
        .offset:         0
        .size:           8
        .value_kind:     global_buffer
      - .actual_access:  read_only
        .address_space:  global
        .offset:         8
        .size:           8
        .value_kind:     global_buffer
      - .actual_access:  read_only
        .address_space:  global
        .offset:         16
        .size:           8
        .value_kind:     global_buffer
      - .actual_access:  read_only
        .address_space:  global
        .offset:         24
        .size:           8
        .value_kind:     global_buffer
      - .actual_access:  read_only
        .address_space:  global
        .offset:         32
        .size:           8
        .value_kind:     global_buffer
      - .actual_access:  read_only
        .address_space:  global
        .offset:         40
        .size:           8
        .value_kind:     global_buffer
      - .actual_access:  write_only
        .address_space:  global
        .offset:         48
        .size:           8
        .value_kind:     global_buffer
      - .actual_access:  write_only
        .address_space:  global
        .offset:         56
        .size:           8
        .value_kind:     global_buffer
      - .actual_access:  write_only
        .address_space:  global
        .offset:         64
        .size:           8
        .value_kind:     global_buffer
      - .actual_access:  read_only
        .address_space:  global
        .offset:         72
        .size:           8
        .value_kind:     global_buffer
      - .actual_access:  read_only
        .address_space:  global
        .offset:         80
        .size:           8
        .value_kind:     global_buffer
      - .offset:         88
        .size:           4
        .value_kind:     by_value
      - .offset:         92
        .size:           4
        .value_kind:     by_value
      - .offset:         96
        .size:           4
        .value_kind:     by_value
      - .offset:         100
        .size:           4
        .value_kind:     by_value
      - .offset:         104
        .size:           4
        .value_kind:     by_value
      - .offset:         112
        .size:           8
        .value_kind:     by_value
      - .offset:         120
        .size:           8
        .value_kind:     by_value
      - .offset:         128
        .size:           8
        .value_kind:     by_value
    .group_segment_fixed_size: 40960
    .kernarg_segment_align: 8
    .kernarg_segment_size: 136
    .language:       OpenCL C
    .language_version:
      - 2
      - 0
    .max_flat_workgroup_size: 256
    .name:           _ZN12_GLOBAL__N_139chunk_gated_delta_rule_fwd_h_hip_kernelILi16ELb0ELb1ELb1ELb0ELb0ELb0ELb1ELb1EEEvPK12hip_bfloat16S3_S3_PKfS5_PKvPS1_S8_PvPKiSB_iiiiilll
    .private_segment_fixed_size: 0
    .sgpr_count:     74
    .sgpr_spill_count: 0
    .symbol:         _ZN12_GLOBAL__N_139chunk_gated_delta_rule_fwd_h_hip_kernelILi16ELb0ELb1ELb1ELb0ELb0ELb0ELb1ELb1EEEvPK12hip_bfloat16S3_S3_PKfS5_PKvPS1_S8_PvPKiSB_iiiiilll.kd
    .uniform_work_group_size: 1
    .uses_dynamic_stack: false
    .vgpr_count:     116
    .vgpr_spill_count: 0
    .wavefront_size: 64
  - .agpr_count:     8
    .args:
      - .actual_access:  read_only
        .address_space:  global
        .offset:         0
        .size:           8
        .value_kind:     global_buffer
      - .actual_access:  read_only
        .address_space:  global
        .offset:         8
        .size:           8
        .value_kind:     global_buffer
      - .actual_access:  read_only
        .address_space:  global
        .offset:         16
        .size:           8
        .value_kind:     global_buffer
      - .actual_access:  read_only
        .address_space:  global
        .offset:         24
        .size:           8
        .value_kind:     global_buffer
      - .actual_access:  read_only
        .address_space:  global
        .offset:         32
        .size:           8
        .value_kind:     global_buffer
      - .actual_access:  read_only
        .address_space:  global
        .offset:         40
        .size:           8
        .value_kind:     global_buffer
      - .actual_access:  write_only
        .address_space:  global
        .offset:         48
        .size:           8
        .value_kind:     global_buffer
      - .actual_access:  read_only
        .address_space:  global
        .offset:         56
        .size:           8
        .value_kind:     global_buffer
      - .actual_access:  write_only
        .address_space:  global
        .offset:         64
        .size:           8
        .value_kind:     global_buffer
      - .actual_access:  read_only
        .address_space:  global
        .offset:         72
        .size:           8
        .value_kind:     global_buffer
      - .actual_access:  read_only
        .address_space:  global
        .offset:         80
        .size:           8
        .value_kind:     global_buffer
      - .offset:         88
        .size:           4
        .value_kind:     by_value
      - .offset:         92
        .size:           4
        .value_kind:     by_value
      - .offset:         96
        .size:           4
        .value_kind:     by_value
      - .offset:         100
        .size:           4
        .value_kind:     by_value
      - .offset:         104
        .size:           4
        .value_kind:     by_value
      - .offset:         112
        .size:           8
        .value_kind:     by_value
      - .offset:         120
        .size:           8
        .value_kind:     by_value
      - .offset:         128
        .size:           8
        .value_kind:     by_value
    .group_segment_fixed_size: 40960
    .kernarg_segment_align: 8
    .kernarg_segment_size: 136
    .language:       OpenCL C
    .language_version:
      - 2
      - 0
    .max_flat_workgroup_size: 256
    .name:           _ZN12_GLOBAL__N_139chunk_gated_delta_rule_fwd_h_hip_kernelILi16ELb0ELb1ELb0ELb0ELb0ELb0ELb1ELb1EEEvPK12hip_bfloat16S3_S3_PKfS5_PKvPS1_S8_PvPKiSB_iiiiilll
    .private_segment_fixed_size: 0
    .sgpr_count:     69
    .sgpr_spill_count: 0
    .symbol:         _ZN12_GLOBAL__N_139chunk_gated_delta_rule_fwd_h_hip_kernelILi16ELb0ELb1ELb0ELb0ELb0ELb0ELb1ELb1EEEvPK12hip_bfloat16S3_S3_PKfS5_PKvPS1_S8_PvPKiSB_iiiiilll.kd
    .uniform_work_group_size: 1
    .uses_dynamic_stack: false
    .vgpr_count:     116
    .vgpr_spill_count: 0
    .wavefront_size: 64
  - .agpr_count:     8
    .args:
      - .actual_access:  read_only
        .address_space:  global
        .offset:         0
        .size:           8
        .value_kind:     global_buffer
      - .actual_access:  read_only
        .address_space:  global
        .offset:         8
        .size:           8
        .value_kind:     global_buffer
      - .actual_access:  read_only
        .address_space:  global
        .offset:         16
        .size:           8
        .value_kind:     global_buffer
      - .actual_access:  read_only
        .address_space:  global
        .offset:         24
        .size:           8
        .value_kind:     global_buffer
      - .actual_access:  read_only
        .address_space:  global
        .offset:         32
        .size:           8
        .value_kind:     global_buffer
      - .actual_access:  read_only
        .address_space:  global
        .offset:         40
        .size:           8
        .value_kind:     global_buffer
      - .actual_access:  write_only
        .address_space:  global
        .offset:         48
        .size:           8
        .value_kind:     global_buffer
      - .actual_access:  write_only
        .address_space:  global
        .offset:         56
        .size:           8
        .value_kind:     global_buffer
      - .actual_access:  read_only
        .address_space:  global
        .offset:         64
        .size:           8
        .value_kind:     global_buffer
      - .actual_access:  read_only
        .address_space:  global
        .offset:         72
        .size:           8
        .value_kind:     global_buffer
      - .actual_access:  read_only
        .address_space:  global
        .offset:         80
        .size:           8
        .value_kind:     global_buffer
      - .offset:         88
        .size:           4
        .value_kind:     by_value
      - .offset:         92
        .size:           4
        .value_kind:     by_value
      - .offset:         96
        .size:           4
        .value_kind:     by_value
      - .offset:         100
        .size:           4
        .value_kind:     by_value
      - .offset:         104
        .size:           4
        .value_kind:     by_value
      - .offset:         112
        .size:           8
        .value_kind:     by_value
      - .offset:         120
        .size:           8
        .value_kind:     by_value
      - .offset:         128
        .size:           8
        .value_kind:     by_value
    .group_segment_fixed_size: 40960
    .kernarg_segment_align: 8
    .kernarg_segment_size: 136
    .language:       OpenCL C
    .language_version:
      - 2
      - 0
    .max_flat_workgroup_size: 256
    .name:           _ZN12_GLOBAL__N_139chunk_gated_delta_rule_fwd_h_hip_kernelILi16ELb0ELb0ELb1ELb0ELb0ELb0ELb1ELb1EEEvPK12hip_bfloat16S3_S3_PKfS5_PKvPS1_S8_PvPKiSB_iiiiilll
    .private_segment_fixed_size: 0
    .sgpr_count:     72
    .sgpr_spill_count: 0
    .symbol:         _ZN12_GLOBAL__N_139chunk_gated_delta_rule_fwd_h_hip_kernelILi16ELb0ELb0ELb1ELb0ELb0ELb0ELb1ELb1EEEvPK12hip_bfloat16S3_S3_PKfS5_PKvPS1_S8_PvPKiSB_iiiiilll.kd
    .uniform_work_group_size: 1
    .uses_dynamic_stack: false
    .vgpr_count:     116
    .vgpr_spill_count: 0
    .wavefront_size: 64
  - .agpr_count:     8
    .args:
      - .actual_access:  read_only
        .address_space:  global
        .offset:         0
        .size:           8
        .value_kind:     global_buffer
      - .actual_access:  read_only
        .address_space:  global
        .offset:         8
        .size:           8
        .value_kind:     global_buffer
      - .actual_access:  read_only
        .address_space:  global
        .offset:         16
        .size:           8
        .value_kind:     global_buffer
      - .actual_access:  read_only
        .address_space:  global
        .offset:         24
        .size:           8
        .value_kind:     global_buffer
      - .actual_access:  read_only
        .address_space:  global
        .offset:         32
        .size:           8
        .value_kind:     global_buffer
      - .actual_access:  read_only
        .address_space:  global
        .offset:         40
        .size:           8
        .value_kind:     global_buffer
      - .actual_access:  write_only
        .address_space:  global
        .offset:         48
        .size:           8
        .value_kind:     global_buffer
      - .actual_access:  read_only
        .address_space:  global
        .offset:         56
        .size:           8
        .value_kind:     global_buffer
      - .actual_access:  read_only
        .address_space:  global
        .offset:         64
        .size:           8
        .value_kind:     global_buffer
      - .actual_access:  read_only
        .address_space:  global
        .offset:         72
        .size:           8
        .value_kind:     global_buffer
      - .actual_access:  read_only
        .address_space:  global
        .offset:         80
        .size:           8
        .value_kind:     global_buffer
      - .offset:         88
        .size:           4
        .value_kind:     by_value
      - .offset:         92
        .size:           4
        .value_kind:     by_value
      - .offset:         96
        .size:           4
        .value_kind:     by_value
      - .offset:         100
        .size:           4
        .value_kind:     by_value
      - .offset:         104
        .size:           4
        .value_kind:     by_value
      - .offset:         112
        .size:           8
        .value_kind:     by_value
      - .offset:         120
        .size:           8
        .value_kind:     by_value
      - .offset:         128
        .size:           8
        .value_kind:     by_value
    .group_segment_fixed_size: 40960
    .kernarg_segment_align: 8
    .kernarg_segment_size: 136
    .language:       OpenCL C
    .language_version:
      - 2
      - 0
    .max_flat_workgroup_size: 256
    .name:           _ZN12_GLOBAL__N_139chunk_gated_delta_rule_fwd_h_hip_kernelILi16ELb0ELb0ELb0ELb0ELb0ELb0ELb1ELb1EEEvPK12hip_bfloat16S3_S3_PKfS5_PKvPS1_S8_PvPKiSB_iiiiilll
    .private_segment_fixed_size: 0
    .sgpr_count:     67
    .sgpr_spill_count: 0
    .symbol:         _ZN12_GLOBAL__N_139chunk_gated_delta_rule_fwd_h_hip_kernelILi16ELb0ELb0ELb0ELb0ELb0ELb0ELb1ELb1EEEvPK12hip_bfloat16S3_S3_PKfS5_PKvPS1_S8_PvPKiSB_iiiiilll.kd
    .uniform_work_group_size: 1
    .uses_dynamic_stack: false
    .vgpr_count:     116
    .vgpr_spill_count: 0
    .wavefront_size: 64
  - .agpr_count:     8
    .args:
      - .actual_access:  read_only
        .address_space:  global
        .offset:         0
        .size:           8
        .value_kind:     global_buffer
      - .actual_access:  read_only
        .address_space:  global
        .offset:         8
        .size:           8
        .value_kind:     global_buffer
      - .actual_access:  read_only
        .address_space:  global
        .offset:         16
        .size:           8
        .value_kind:     global_buffer
      - .actual_access:  read_only
        .address_space:  global
        .offset:         24
        .size:           8
        .value_kind:     global_buffer
      - .actual_access:  read_only
        .address_space:  global
        .offset:         32
        .size:           8
        .value_kind:     global_buffer
      - .actual_access:  read_only
        .address_space:  global
        .offset:         40
        .size:           8
        .value_kind:     global_buffer
      - .actual_access:  write_only
        .address_space:  global
        .offset:         48
        .size:           8
        .value_kind:     global_buffer
      - .actual_access:  write_only
        .address_space:  global
        .offset:         56
        .size:           8
        .value_kind:     global_buffer
      - .actual_access:  write_only
        .address_space:  global
        .offset:         64
        .size:           8
        .value_kind:     global_buffer
      - .actual_access:  read_only
        .address_space:  global
        .offset:         72
        .size:           8
        .value_kind:     global_buffer
      - .actual_access:  read_only
        .address_space:  global
        .offset:         80
        .size:           8
        .value_kind:     global_buffer
      - .offset:         88
        .size:           4
        .value_kind:     by_value
      - .offset:         92
        .size:           4
        .value_kind:     by_value
      - .offset:         96
        .size:           4
        .value_kind:     by_value
      - .offset:         100
        .size:           4
        .value_kind:     by_value
      - .offset:         104
        .size:           4
        .value_kind:     by_value
      - .offset:         112
        .size:           8
        .value_kind:     by_value
      - .offset:         120
        .size:           8
        .value_kind:     by_value
      - .offset:         128
        .size:           8
        .value_kind:     by_value
    .group_segment_fixed_size: 40960
    .kernarg_segment_align: 8
    .kernarg_segment_size: 136
    .language:       OpenCL C
    .language_version:
      - 2
      - 0
    .max_flat_workgroup_size: 256
    .name:           _ZN12_GLOBAL__N_139chunk_gated_delta_rule_fwd_h_hip_kernelILi16ELb1ELb1ELb1ELb1ELb0ELb0ELb0ELb1EEEvPK12hip_bfloat16S3_S3_PKfS5_PKvPS1_S8_PvPKiSB_iiiiilll
    .private_segment_fixed_size: 0
    .sgpr_count:     74
    .sgpr_spill_count: 0
    .symbol:         _ZN12_GLOBAL__N_139chunk_gated_delta_rule_fwd_h_hip_kernelILi16ELb1ELb1ELb1ELb1ELb0ELb0ELb0ELb1EEEvPK12hip_bfloat16S3_S3_PKfS5_PKvPS1_S8_PvPKiSB_iiiiilll.kd
    .uniform_work_group_size: 1
    .uses_dynamic_stack: false
    .vgpr_count:     120
    .vgpr_spill_count: 0
    .wavefront_size: 64
  - .agpr_count:     8
    .args:
      - .actual_access:  read_only
        .address_space:  global
        .offset:         0
        .size:           8
        .value_kind:     global_buffer
      - .actual_access:  read_only
        .address_space:  global
        .offset:         8
        .size:           8
        .value_kind:     global_buffer
      - .actual_access:  read_only
        .address_space:  global
        .offset:         16
        .size:           8
        .value_kind:     global_buffer
      - .actual_access:  read_only
        .address_space:  global
        .offset:         24
        .size:           8
        .value_kind:     global_buffer
      - .actual_access:  read_only
        .address_space:  global
        .offset:         32
        .size:           8
        .value_kind:     global_buffer
      - .actual_access:  read_only
        .address_space:  global
        .offset:         40
        .size:           8
        .value_kind:     global_buffer
      - .actual_access:  write_only
        .address_space:  global
        .offset:         48
        .size:           8
        .value_kind:     global_buffer
      - .actual_access:  read_only
        .address_space:  global
        .offset:         56
        .size:           8
        .value_kind:     global_buffer
      - .actual_access:  write_only
        .address_space:  global
        .offset:         64
        .size:           8
        .value_kind:     global_buffer
      - .actual_access:  read_only
        .address_space:  global
        .offset:         72
        .size:           8
        .value_kind:     global_buffer
      - .actual_access:  read_only
        .address_space:  global
        .offset:         80
        .size:           8
        .value_kind:     global_buffer
      - .offset:         88
        .size:           4
        .value_kind:     by_value
      - .offset:         92
        .size:           4
        .value_kind:     by_value
      - .offset:         96
        .size:           4
        .value_kind:     by_value
      - .offset:         100
        .size:           4
        .value_kind:     by_value
      - .offset:         104
        .size:           4
        .value_kind:     by_value
      - .offset:         112
        .size:           8
        .value_kind:     by_value
      - .offset:         120
        .size:           8
        .value_kind:     by_value
      - .offset:         128
        .size:           8
        .value_kind:     by_value
    .group_segment_fixed_size: 40960
    .kernarg_segment_align: 8
    .kernarg_segment_size: 136
    .language:       OpenCL C
    .language_version:
      - 2
      - 0
    .max_flat_workgroup_size: 256
    .name:           _ZN12_GLOBAL__N_139chunk_gated_delta_rule_fwd_h_hip_kernelILi16ELb1ELb1ELb0ELb1ELb0ELb0ELb0ELb1EEEvPK12hip_bfloat16S3_S3_PKfS5_PKvPS1_S8_PvPKiSB_iiiiilll
    .private_segment_fixed_size: 0
    .sgpr_count:     69
    .sgpr_spill_count: 0
    .symbol:         _ZN12_GLOBAL__N_139chunk_gated_delta_rule_fwd_h_hip_kernelILi16ELb1ELb1ELb0ELb1ELb0ELb0ELb0ELb1EEEvPK12hip_bfloat16S3_S3_PKfS5_PKvPS1_S8_PvPKiSB_iiiiilll.kd
    .uniform_work_group_size: 1
    .uses_dynamic_stack: false
    .vgpr_count:     120
    .vgpr_spill_count: 0
    .wavefront_size: 64
  - .agpr_count:     8
    .args:
      - .actual_access:  read_only
        .address_space:  global
        .offset:         0
        .size:           8
        .value_kind:     global_buffer
      - .actual_access:  read_only
        .address_space:  global
        .offset:         8
        .size:           8
        .value_kind:     global_buffer
      - .actual_access:  read_only
        .address_space:  global
        .offset:         16
        .size:           8
        .value_kind:     global_buffer
      - .actual_access:  read_only
        .address_space:  global
        .offset:         24
        .size:           8
        .value_kind:     global_buffer
      - .actual_access:  read_only
        .address_space:  global
        .offset:         32
        .size:           8
        .value_kind:     global_buffer
      - .actual_access:  read_only
        .address_space:  global
        .offset:         40
        .size:           8
        .value_kind:     global_buffer
      - .actual_access:  write_only
        .address_space:  global
        .offset:         48
        .size:           8
        .value_kind:     global_buffer
      - .actual_access:  write_only
        .address_space:  global
        .offset:         56
        .size:           8
        .value_kind:     global_buffer
      - .actual_access:  read_only
        .address_space:  global
        .offset:         64
        .size:           8
        .value_kind:     global_buffer
      - .actual_access:  read_only
        .address_space:  global
        .offset:         72
        .size:           8
        .value_kind:     global_buffer
      - .actual_access:  read_only
        .address_space:  global
        .offset:         80
        .size:           8
        .value_kind:     global_buffer
      - .offset:         88
        .size:           4
        .value_kind:     by_value
      - .offset:         92
        .size:           4
        .value_kind:     by_value
      - .offset:         96
        .size:           4
        .value_kind:     by_value
      - .offset:         100
        .size:           4
        .value_kind:     by_value
      - .offset:         104
        .size:           4
        .value_kind:     by_value
      - .offset:         112
        .size:           8
        .value_kind:     by_value
      - .offset:         120
        .size:           8
        .value_kind:     by_value
      - .offset:         128
        .size:           8
        .value_kind:     by_value
    .group_segment_fixed_size: 40960
    .kernarg_segment_align: 8
    .kernarg_segment_size: 136
    .language:       OpenCL C
    .language_version:
      - 2
      - 0
    .max_flat_workgroup_size: 256
    .name:           _ZN12_GLOBAL__N_139chunk_gated_delta_rule_fwd_h_hip_kernelILi16ELb1ELb0ELb1ELb1ELb0ELb0ELb0ELb1EEEvPK12hip_bfloat16S3_S3_PKfS5_PKvPS1_S8_PvPKiSB_iiiiilll
    .private_segment_fixed_size: 0
    .sgpr_count:     70
    .sgpr_spill_count: 0
    .symbol:         _ZN12_GLOBAL__N_139chunk_gated_delta_rule_fwd_h_hip_kernelILi16ELb1ELb0ELb1ELb1ELb0ELb0ELb0ELb1EEEvPK12hip_bfloat16S3_S3_PKfS5_PKvPS1_S8_PvPKiSB_iiiiilll.kd
    .uniform_work_group_size: 1
    .uses_dynamic_stack: false
    .vgpr_count:     116
    .vgpr_spill_count: 0
    .wavefront_size: 64
  - .agpr_count:     8
    .args:
      - .actual_access:  read_only
        .address_space:  global
        .offset:         0
        .size:           8
        .value_kind:     global_buffer
      - .actual_access:  read_only
        .address_space:  global
        .offset:         8
        .size:           8
        .value_kind:     global_buffer
      - .actual_access:  read_only
        .address_space:  global
        .offset:         16
        .size:           8
        .value_kind:     global_buffer
      - .actual_access:  read_only
        .address_space:  global
        .offset:         24
        .size:           8
        .value_kind:     global_buffer
      - .actual_access:  read_only
        .address_space:  global
        .offset:         32
        .size:           8
        .value_kind:     global_buffer
      - .actual_access:  read_only
        .address_space:  global
        .offset:         40
        .size:           8
        .value_kind:     global_buffer
      - .actual_access:  write_only
        .address_space:  global
        .offset:         48
        .size:           8
        .value_kind:     global_buffer
      - .actual_access:  read_only
        .address_space:  global
        .offset:         56
        .size:           8
        .value_kind:     global_buffer
      - .actual_access:  read_only
        .address_space:  global
        .offset:         64
        .size:           8
        .value_kind:     global_buffer
      - .actual_access:  read_only
        .address_space:  global
        .offset:         72
        .size:           8
        .value_kind:     global_buffer
      - .actual_access:  read_only
        .address_space:  global
        .offset:         80
        .size:           8
        .value_kind:     global_buffer
      - .offset:         88
        .size:           4
        .value_kind:     by_value
      - .offset:         92
        .size:           4
        .value_kind:     by_value
      - .offset:         96
        .size:           4
        .value_kind:     by_value
      - .offset:         100
        .size:           4
        .value_kind:     by_value
      - .offset:         104
        .size:           4
        .value_kind:     by_value
      - .offset:         112
        .size:           8
        .value_kind:     by_value
      - .offset:         120
        .size:           8
        .value_kind:     by_value
      - .offset:         128
        .size:           8
        .value_kind:     by_value
    .group_segment_fixed_size: 40960
    .kernarg_segment_align: 8
    .kernarg_segment_size: 136
    .language:       OpenCL C
    .language_version:
      - 2
      - 0
    .max_flat_workgroup_size: 256
    .name:           _ZN12_GLOBAL__N_139chunk_gated_delta_rule_fwd_h_hip_kernelILi16ELb1ELb0ELb0ELb1ELb0ELb0ELb0ELb1EEEvPK12hip_bfloat16S3_S3_PKfS5_PKvPS1_S8_PvPKiSB_iiiiilll
    .private_segment_fixed_size: 0
    .sgpr_count:     65
    .sgpr_spill_count: 0
    .symbol:         _ZN12_GLOBAL__N_139chunk_gated_delta_rule_fwd_h_hip_kernelILi16ELb1ELb0ELb0ELb1ELb0ELb0ELb0ELb1EEEvPK12hip_bfloat16S3_S3_PKfS5_PKvPS1_S8_PvPKiSB_iiiiilll.kd
    .uniform_work_group_size: 1
    .uses_dynamic_stack: false
    .vgpr_count:     116
    .vgpr_spill_count: 0
    .wavefront_size: 64
  - .agpr_count:     8
    .args:
      - .actual_access:  read_only
        .address_space:  global
        .offset:         0
        .size:           8
        .value_kind:     global_buffer
      - .actual_access:  read_only
        .address_space:  global
        .offset:         8
        .size:           8
        .value_kind:     global_buffer
      - .actual_access:  read_only
        .address_space:  global
        .offset:         16
        .size:           8
        .value_kind:     global_buffer
      - .actual_access:  read_only
        .address_space:  global
        .offset:         24
        .size:           8
        .value_kind:     global_buffer
      - .actual_access:  read_only
        .address_space:  global
        .offset:         32
        .size:           8
        .value_kind:     global_buffer
      - .actual_access:  read_only
        .address_space:  global
        .offset:         40
        .size:           8
        .value_kind:     global_buffer
      - .actual_access:  write_only
        .address_space:  global
        .offset:         48
        .size:           8
        .value_kind:     global_buffer
      - .actual_access:  write_only
        .address_space:  global
        .offset:         56
        .size:           8
        .value_kind:     global_buffer
      - .actual_access:  write_only
        .address_space:  global
        .offset:         64
        .size:           8
        .value_kind:     global_buffer
      - .actual_access:  read_only
        .address_space:  global
        .offset:         72
        .size:           8
        .value_kind:     global_buffer
      - .actual_access:  read_only
        .address_space:  global
        .offset:         80
        .size:           8
        .value_kind:     global_buffer
      - .offset:         88
        .size:           4
        .value_kind:     by_value
      - .offset:         92
        .size:           4
        .value_kind:     by_value
      - .offset:         96
        .size:           4
        .value_kind:     by_value
      - .offset:         100
        .size:           4
        .value_kind:     by_value
      - .offset:         104
        .size:           4
        .value_kind:     by_value
      - .offset:         112
        .size:           8
        .value_kind:     by_value
      - .offset:         120
        .size:           8
        .value_kind:     by_value
      - .offset:         128
        .size:           8
        .value_kind:     by_value
    .group_segment_fixed_size: 40960
    .kernarg_segment_align: 8
    .kernarg_segment_size: 136
    .language:       OpenCL C
    .language_version:
      - 2
      - 0
    .max_flat_workgroup_size: 256
    .name:           _ZN12_GLOBAL__N_139chunk_gated_delta_rule_fwd_h_hip_kernelILi16ELb0ELb1ELb1ELb1ELb0ELb0ELb0ELb1EEEvPK12hip_bfloat16S3_S3_PKfS5_PKvPS1_S8_PvPKiSB_iiiiilll
    .private_segment_fixed_size: 0
    .sgpr_count:     72
    .sgpr_spill_count: 0
    .symbol:         _ZN12_GLOBAL__N_139chunk_gated_delta_rule_fwd_h_hip_kernelILi16ELb0ELb1ELb1ELb1ELb0ELb0ELb0ELb1EEEvPK12hip_bfloat16S3_S3_PKfS5_PKvPS1_S8_PvPKiSB_iiiiilll.kd
    .uniform_work_group_size: 1
    .uses_dynamic_stack: false
    .vgpr_count:     116
    .vgpr_spill_count: 0
    .wavefront_size: 64
  - .agpr_count:     8
    .args:
      - .actual_access:  read_only
        .address_space:  global
        .offset:         0
        .size:           8
        .value_kind:     global_buffer
      - .actual_access:  read_only
        .address_space:  global
        .offset:         8
        .size:           8
        .value_kind:     global_buffer
      - .actual_access:  read_only
        .address_space:  global
        .offset:         16
        .size:           8
        .value_kind:     global_buffer
      - .actual_access:  read_only
        .address_space:  global
        .offset:         24
        .size:           8
        .value_kind:     global_buffer
      - .actual_access:  read_only
        .address_space:  global
        .offset:         32
        .size:           8
        .value_kind:     global_buffer
      - .actual_access:  read_only
        .address_space:  global
        .offset:         40
        .size:           8
        .value_kind:     global_buffer
      - .actual_access:  write_only
        .address_space:  global
        .offset:         48
        .size:           8
        .value_kind:     global_buffer
      - .actual_access:  read_only
        .address_space:  global
        .offset:         56
        .size:           8
        .value_kind:     global_buffer
      - .actual_access:  write_only
        .address_space:  global
        .offset:         64
        .size:           8
        .value_kind:     global_buffer
      - .actual_access:  read_only
        .address_space:  global
        .offset:         72
        .size:           8
        .value_kind:     global_buffer
      - .actual_access:  read_only
        .address_space:  global
        .offset:         80
        .size:           8
        .value_kind:     global_buffer
      - .offset:         88
        .size:           4
        .value_kind:     by_value
      - .offset:         92
        .size:           4
        .value_kind:     by_value
      - .offset:         96
        .size:           4
        .value_kind:     by_value
      - .offset:         100
        .size:           4
        .value_kind:     by_value
      - .offset:         104
        .size:           4
        .value_kind:     by_value
      - .offset:         112
        .size:           8
        .value_kind:     by_value
      - .offset:         120
        .size:           8
        .value_kind:     by_value
      - .offset:         128
        .size:           8
        .value_kind:     by_value
    .group_segment_fixed_size: 40960
    .kernarg_segment_align: 8
    .kernarg_segment_size: 136
    .language:       OpenCL C
    .language_version:
      - 2
      - 0
    .max_flat_workgroup_size: 256
    .name:           _ZN12_GLOBAL__N_139chunk_gated_delta_rule_fwd_h_hip_kernelILi16ELb0ELb1ELb0ELb1ELb0ELb0ELb0ELb1EEEvPK12hip_bfloat16S3_S3_PKfS5_PKvPS1_S8_PvPKiSB_iiiiilll
    .private_segment_fixed_size: 0
    .sgpr_count:     69
    .sgpr_spill_count: 0
    .symbol:         _ZN12_GLOBAL__N_139chunk_gated_delta_rule_fwd_h_hip_kernelILi16ELb0ELb1ELb0ELb1ELb0ELb0ELb0ELb1EEEvPK12hip_bfloat16S3_S3_PKfS5_PKvPS1_S8_PvPKiSB_iiiiilll.kd
    .uniform_work_group_size: 1
    .uses_dynamic_stack: false
    .vgpr_count:     116
    .vgpr_spill_count: 0
    .wavefront_size: 64
  - .agpr_count:     8
    .args:
      - .actual_access:  read_only
        .address_space:  global
        .offset:         0
        .size:           8
        .value_kind:     global_buffer
      - .actual_access:  read_only
        .address_space:  global
        .offset:         8
        .size:           8
        .value_kind:     global_buffer
      - .actual_access:  read_only
        .address_space:  global
        .offset:         16
        .size:           8
        .value_kind:     global_buffer
      - .actual_access:  read_only
        .address_space:  global
        .offset:         24
        .size:           8
        .value_kind:     global_buffer
      - .actual_access:  read_only
        .address_space:  global
        .offset:         32
        .size:           8
        .value_kind:     global_buffer
      - .actual_access:  read_only
        .address_space:  global
        .offset:         40
        .size:           8
        .value_kind:     global_buffer
      - .actual_access:  write_only
        .address_space:  global
        .offset:         48
        .size:           8
        .value_kind:     global_buffer
      - .actual_access:  write_only
        .address_space:  global
        .offset:         56
        .size:           8
        .value_kind:     global_buffer
      - .actual_access:  read_only
        .address_space:  global
        .offset:         64
        .size:           8
        .value_kind:     global_buffer
      - .actual_access:  read_only
        .address_space:  global
        .offset:         72
        .size:           8
        .value_kind:     global_buffer
      - .actual_access:  read_only
        .address_space:  global
        .offset:         80
        .size:           8
        .value_kind:     global_buffer
      - .offset:         88
        .size:           4
        .value_kind:     by_value
      - .offset:         92
        .size:           4
        .value_kind:     by_value
      - .offset:         96
        .size:           4
        .value_kind:     by_value
      - .offset:         100
        .size:           4
        .value_kind:     by_value
      - .offset:         104
        .size:           4
        .value_kind:     by_value
      - .offset:         112
        .size:           8
        .value_kind:     by_value
      - .offset:         120
        .size:           8
        .value_kind:     by_value
      - .offset:         128
        .size:           8
        .value_kind:     by_value
    .group_segment_fixed_size: 40960
    .kernarg_segment_align: 8
    .kernarg_segment_size: 136
    .language:       OpenCL C
    .language_version:
      - 2
      - 0
    .max_flat_workgroup_size: 256
    .name:           _ZN12_GLOBAL__N_139chunk_gated_delta_rule_fwd_h_hip_kernelILi16ELb0ELb0ELb1ELb1ELb0ELb0ELb0ELb1EEEvPK12hip_bfloat16S3_S3_PKfS5_PKvPS1_S8_PvPKiSB_iiiiilll
    .private_segment_fixed_size: 0
    .sgpr_count:     68
    .sgpr_spill_count: 0
    .symbol:         _ZN12_GLOBAL__N_139chunk_gated_delta_rule_fwd_h_hip_kernelILi16ELb0ELb0ELb1ELb1ELb0ELb0ELb0ELb1EEEvPK12hip_bfloat16S3_S3_PKfS5_PKvPS1_S8_PvPKiSB_iiiiilll.kd
    .uniform_work_group_size: 1
    .uses_dynamic_stack: false
    .vgpr_count:     116
    .vgpr_spill_count: 0
    .wavefront_size: 64
  - .agpr_count:     8
    .args:
      - .actual_access:  read_only
        .address_space:  global
        .offset:         0
        .size:           8
        .value_kind:     global_buffer
      - .actual_access:  read_only
        .address_space:  global
        .offset:         8
        .size:           8
        .value_kind:     global_buffer
      - .actual_access:  read_only
        .address_space:  global
        .offset:         16
        .size:           8
        .value_kind:     global_buffer
      - .actual_access:  read_only
        .address_space:  global
        .offset:         24
        .size:           8
        .value_kind:     global_buffer
      - .actual_access:  read_only
        .address_space:  global
        .offset:         32
        .size:           8
        .value_kind:     global_buffer
      - .actual_access:  read_only
        .address_space:  global
        .offset:         40
        .size:           8
        .value_kind:     global_buffer
      - .actual_access:  write_only
        .address_space:  global
        .offset:         48
        .size:           8
        .value_kind:     global_buffer
      - .actual_access:  read_only
        .address_space:  global
        .offset:         56
        .size:           8
        .value_kind:     global_buffer
      - .actual_access:  read_only
        .address_space:  global
        .offset:         64
        .size:           8
        .value_kind:     global_buffer
      - .actual_access:  read_only
        .address_space:  global
        .offset:         72
        .size:           8
        .value_kind:     global_buffer
      - .actual_access:  read_only
        .address_space:  global
        .offset:         80
        .size:           8
        .value_kind:     global_buffer
      - .offset:         88
        .size:           4
        .value_kind:     by_value
      - .offset:         92
        .size:           4
        .value_kind:     by_value
      - .offset:         96
        .size:           4
        .value_kind:     by_value
      - .offset:         100
        .size:           4
        .value_kind:     by_value
      - .offset:         104
        .size:           4
        .value_kind:     by_value
      - .offset:         112
        .size:           8
        .value_kind:     by_value
      - .offset:         120
        .size:           8
        .value_kind:     by_value
      - .offset:         128
        .size:           8
        .value_kind:     by_value
    .group_segment_fixed_size: 40960
    .kernarg_segment_align: 8
    .kernarg_segment_size: 136
    .language:       OpenCL C
    .language_version:
      - 2
      - 0
    .max_flat_workgroup_size: 256
    .name:           _ZN12_GLOBAL__N_139chunk_gated_delta_rule_fwd_h_hip_kernelILi16ELb0ELb0ELb0ELb1ELb0ELb0ELb0ELb1EEEvPK12hip_bfloat16S3_S3_PKfS5_PKvPS1_S8_PvPKiSB_iiiiilll
    .private_segment_fixed_size: 0
    .sgpr_count:     64
    .sgpr_spill_count: 0
    .symbol:         _ZN12_GLOBAL__N_139chunk_gated_delta_rule_fwd_h_hip_kernelILi16ELb0ELb0ELb0ELb1ELb0ELb0ELb0ELb1EEEvPK12hip_bfloat16S3_S3_PKfS5_PKvPS1_S8_PvPKiSB_iiiiilll.kd
    .uniform_work_group_size: 1
    .uses_dynamic_stack: false
    .vgpr_count:     116
    .vgpr_spill_count: 0
    .wavefront_size: 64
  - .agpr_count:     8
    .args:
      - .actual_access:  read_only
        .address_space:  global
        .offset:         0
        .size:           8
        .value_kind:     global_buffer
      - .actual_access:  read_only
        .address_space:  global
        .offset:         8
        .size:           8
        .value_kind:     global_buffer
      - .actual_access:  read_only
        .address_space:  global
        .offset:         16
        .size:           8
        .value_kind:     global_buffer
      - .actual_access:  read_only
        .address_space:  global
        .offset:         24
        .size:           8
        .value_kind:     global_buffer
      - .actual_access:  read_only
        .address_space:  global
        .offset:         32
        .size:           8
        .value_kind:     global_buffer
      - .actual_access:  read_only
        .address_space:  global
        .offset:         40
        .size:           8
        .value_kind:     global_buffer
      - .actual_access:  write_only
        .address_space:  global
        .offset:         48
        .size:           8
        .value_kind:     global_buffer
      - .actual_access:  write_only
        .address_space:  global
        .offset:         56
        .size:           8
        .value_kind:     global_buffer
      - .actual_access:  write_only
        .address_space:  global
        .offset:         64
        .size:           8
        .value_kind:     global_buffer
      - .actual_access:  read_only
        .address_space:  global
        .offset:         72
        .size:           8
        .value_kind:     global_buffer
      - .actual_access:  read_only
        .address_space:  global
        .offset:         80
        .size:           8
        .value_kind:     global_buffer
      - .offset:         88
        .size:           4
        .value_kind:     by_value
      - .offset:         92
        .size:           4
        .value_kind:     by_value
      - .offset:         96
        .size:           4
        .value_kind:     by_value
      - .offset:         100
        .size:           4
        .value_kind:     by_value
      - .offset:         104
        .size:           4
        .value_kind:     by_value
      - .offset:         112
        .size:           8
        .value_kind:     by_value
      - .offset:         120
        .size:           8
        .value_kind:     by_value
      - .offset:         128
        .size:           8
        .value_kind:     by_value
    .group_segment_fixed_size: 40960
    .kernarg_segment_align: 8
    .kernarg_segment_size: 136
    .language:       OpenCL C
    .language_version:
      - 2
      - 0
    .max_flat_workgroup_size: 256
    .name:           _ZN12_GLOBAL__N_139chunk_gated_delta_rule_fwd_h_hip_kernelILi16ELb1ELb1ELb1ELb0ELb0ELb0ELb0ELb1EEEvPK12hip_bfloat16S3_S3_PKfS5_PKvPS1_S8_PvPKiSB_iiiiilll
    .private_segment_fixed_size: 0
    .sgpr_count:     78
    .sgpr_spill_count: 0
    .symbol:         _ZN12_GLOBAL__N_139chunk_gated_delta_rule_fwd_h_hip_kernelILi16ELb1ELb1ELb1ELb0ELb0ELb0ELb0ELb1EEEvPK12hip_bfloat16S3_S3_PKfS5_PKvPS1_S8_PvPKiSB_iiiiilll.kd
    .uniform_work_group_size: 1
    .uses_dynamic_stack: false
    .vgpr_count:     120
    .vgpr_spill_count: 0
    .wavefront_size: 64
  - .agpr_count:     8
    .args:
      - .actual_access:  read_only
        .address_space:  global
        .offset:         0
        .size:           8
        .value_kind:     global_buffer
      - .actual_access:  read_only
        .address_space:  global
        .offset:         8
        .size:           8
        .value_kind:     global_buffer
      - .actual_access:  read_only
        .address_space:  global
        .offset:         16
        .size:           8
        .value_kind:     global_buffer
      - .actual_access:  read_only
        .address_space:  global
        .offset:         24
        .size:           8
        .value_kind:     global_buffer
      - .actual_access:  read_only
        .address_space:  global
        .offset:         32
        .size:           8
        .value_kind:     global_buffer
      - .actual_access:  read_only
        .address_space:  global
        .offset:         40
        .size:           8
        .value_kind:     global_buffer
      - .actual_access:  write_only
        .address_space:  global
        .offset:         48
        .size:           8
        .value_kind:     global_buffer
      - .actual_access:  read_only
        .address_space:  global
        .offset:         56
        .size:           8
        .value_kind:     global_buffer
      - .actual_access:  write_only
        .address_space:  global
        .offset:         64
        .size:           8
        .value_kind:     global_buffer
      - .actual_access:  read_only
        .address_space:  global
        .offset:         72
        .size:           8
        .value_kind:     global_buffer
      - .actual_access:  read_only
        .address_space:  global
        .offset:         80
        .size:           8
        .value_kind:     global_buffer
      - .offset:         88
        .size:           4
        .value_kind:     by_value
      - .offset:         92
        .size:           4
        .value_kind:     by_value
      - .offset:         96
        .size:           4
        .value_kind:     by_value
      - .offset:         100
        .size:           4
        .value_kind:     by_value
      - .offset:         104
        .size:           4
        .value_kind:     by_value
      - .offset:         112
        .size:           8
        .value_kind:     by_value
      - .offset:         120
        .size:           8
        .value_kind:     by_value
      - .offset:         128
        .size:           8
        .value_kind:     by_value
    .group_segment_fixed_size: 40960
    .kernarg_segment_align: 8
    .kernarg_segment_size: 136
    .language:       OpenCL C
    .language_version:
      - 2
      - 0
    .max_flat_workgroup_size: 256
    .name:           _ZN12_GLOBAL__N_139chunk_gated_delta_rule_fwd_h_hip_kernelILi16ELb1ELb1ELb0ELb0ELb0ELb0ELb0ELb1EEEvPK12hip_bfloat16S3_S3_PKfS5_PKvPS1_S8_PvPKiSB_iiiiilll
    .private_segment_fixed_size: 0
    .sgpr_count:     74
    .sgpr_spill_count: 0
    .symbol:         _ZN12_GLOBAL__N_139chunk_gated_delta_rule_fwd_h_hip_kernelILi16ELb1ELb1ELb0ELb0ELb0ELb0ELb0ELb1EEEvPK12hip_bfloat16S3_S3_PKfS5_PKvPS1_S8_PvPKiSB_iiiiilll.kd
    .uniform_work_group_size: 1
    .uses_dynamic_stack: false
    .vgpr_count:     120
    .vgpr_spill_count: 0
    .wavefront_size: 64
  - .agpr_count:     8
    .args:
      - .actual_access:  read_only
        .address_space:  global
        .offset:         0
        .size:           8
        .value_kind:     global_buffer
      - .actual_access:  read_only
        .address_space:  global
        .offset:         8
        .size:           8
        .value_kind:     global_buffer
      - .actual_access:  read_only
        .address_space:  global
        .offset:         16
        .size:           8
        .value_kind:     global_buffer
      - .actual_access:  read_only
        .address_space:  global
        .offset:         24
        .size:           8
        .value_kind:     global_buffer
      - .actual_access:  read_only
        .address_space:  global
        .offset:         32
        .size:           8
        .value_kind:     global_buffer
      - .actual_access:  read_only
        .address_space:  global
        .offset:         40
        .size:           8
        .value_kind:     global_buffer
      - .actual_access:  write_only
        .address_space:  global
        .offset:         48
        .size:           8
        .value_kind:     global_buffer
      - .actual_access:  write_only
        .address_space:  global
        .offset:         56
        .size:           8
        .value_kind:     global_buffer
      - .actual_access:  read_only
        .address_space:  global
        .offset:         64
        .size:           8
        .value_kind:     global_buffer
      - .actual_access:  read_only
        .address_space:  global
        .offset:         72
        .size:           8
        .value_kind:     global_buffer
      - .actual_access:  read_only
        .address_space:  global
        .offset:         80
        .size:           8
        .value_kind:     global_buffer
      - .offset:         88
        .size:           4
        .value_kind:     by_value
      - .offset:         92
        .size:           4
        .value_kind:     by_value
      - .offset:         96
        .size:           4
        .value_kind:     by_value
      - .offset:         100
        .size:           4
        .value_kind:     by_value
      - .offset:         104
        .size:           4
        .value_kind:     by_value
      - .offset:         112
        .size:           8
        .value_kind:     by_value
      - .offset:         120
        .size:           8
        .value_kind:     by_value
      - .offset:         128
        .size:           8
        .value_kind:     by_value
    .group_segment_fixed_size: 40960
    .kernarg_segment_align: 8
    .kernarg_segment_size: 136
    .language:       OpenCL C
    .language_version:
      - 2
      - 0
    .max_flat_workgroup_size: 256
    .name:           _ZN12_GLOBAL__N_139chunk_gated_delta_rule_fwd_h_hip_kernelILi16ELb1ELb0ELb1ELb0ELb0ELb0ELb0ELb1EEEvPK12hip_bfloat16S3_S3_PKfS5_PKvPS1_S8_PvPKiSB_iiiiilll
    .private_segment_fixed_size: 0
    .sgpr_count:     74
    .sgpr_spill_count: 0
    .symbol:         _ZN12_GLOBAL__N_139chunk_gated_delta_rule_fwd_h_hip_kernelILi16ELb1ELb0ELb1ELb0ELb0ELb0ELb0ELb1EEEvPK12hip_bfloat16S3_S3_PKfS5_PKvPS1_S8_PvPKiSB_iiiiilll.kd
    .uniform_work_group_size: 1
    .uses_dynamic_stack: false
    .vgpr_count:     116
    .vgpr_spill_count: 0
    .wavefront_size: 64
  - .agpr_count:     8
    .args:
      - .actual_access:  read_only
        .address_space:  global
        .offset:         0
        .size:           8
        .value_kind:     global_buffer
      - .actual_access:  read_only
        .address_space:  global
        .offset:         8
        .size:           8
        .value_kind:     global_buffer
      - .actual_access:  read_only
        .address_space:  global
        .offset:         16
        .size:           8
        .value_kind:     global_buffer
      - .actual_access:  read_only
        .address_space:  global
        .offset:         24
        .size:           8
        .value_kind:     global_buffer
      - .actual_access:  read_only
        .address_space:  global
        .offset:         32
        .size:           8
        .value_kind:     global_buffer
      - .actual_access:  read_only
        .address_space:  global
        .offset:         40
        .size:           8
        .value_kind:     global_buffer
      - .actual_access:  write_only
        .address_space:  global
        .offset:         48
        .size:           8
        .value_kind:     global_buffer
      - .actual_access:  read_only
        .address_space:  global
        .offset:         56
        .size:           8
        .value_kind:     global_buffer
      - .actual_access:  read_only
        .address_space:  global
        .offset:         64
        .size:           8
        .value_kind:     global_buffer
      - .actual_access:  read_only
        .address_space:  global
        .offset:         72
        .size:           8
        .value_kind:     global_buffer
      - .actual_access:  read_only
        .address_space:  global
        .offset:         80
        .size:           8
        .value_kind:     global_buffer
      - .offset:         88
        .size:           4
        .value_kind:     by_value
      - .offset:         92
        .size:           4
        .value_kind:     by_value
      - .offset:         96
        .size:           4
        .value_kind:     by_value
      - .offset:         100
        .size:           4
        .value_kind:     by_value
      - .offset:         104
        .size:           4
        .value_kind:     by_value
      - .offset:         112
        .size:           8
        .value_kind:     by_value
      - .offset:         120
        .size:           8
        .value_kind:     by_value
      - .offset:         128
        .size:           8
        .value_kind:     by_value
    .group_segment_fixed_size: 40960
    .kernarg_segment_align: 8
    .kernarg_segment_size: 136
    .language:       OpenCL C
    .language_version:
      - 2
      - 0
    .max_flat_workgroup_size: 256
    .name:           _ZN12_GLOBAL__N_139chunk_gated_delta_rule_fwd_h_hip_kernelILi16ELb1ELb0ELb0ELb0ELb0ELb0ELb0ELb1EEEvPK12hip_bfloat16S3_S3_PKfS5_PKvPS1_S8_PvPKiSB_iiiiilll
    .private_segment_fixed_size: 0
    .sgpr_count:     70
    .sgpr_spill_count: 0
    .symbol:         _ZN12_GLOBAL__N_139chunk_gated_delta_rule_fwd_h_hip_kernelILi16ELb1ELb0ELb0ELb0ELb0ELb0ELb0ELb1EEEvPK12hip_bfloat16S3_S3_PKfS5_PKvPS1_S8_PvPKiSB_iiiiilll.kd
    .uniform_work_group_size: 1
    .uses_dynamic_stack: false
    .vgpr_count:     116
    .vgpr_spill_count: 0
    .wavefront_size: 64
  - .agpr_count:     8
    .args:
      - .actual_access:  read_only
        .address_space:  global
        .offset:         0
        .size:           8
        .value_kind:     global_buffer
      - .actual_access:  read_only
        .address_space:  global
        .offset:         8
        .size:           8
        .value_kind:     global_buffer
      - .actual_access:  read_only
        .address_space:  global
        .offset:         16
        .size:           8
        .value_kind:     global_buffer
      - .actual_access:  read_only
        .address_space:  global
        .offset:         24
        .size:           8
        .value_kind:     global_buffer
      - .actual_access:  read_only
        .address_space:  global
        .offset:         32
        .size:           8
        .value_kind:     global_buffer
      - .actual_access:  read_only
        .address_space:  global
        .offset:         40
        .size:           8
        .value_kind:     global_buffer
      - .actual_access:  write_only
        .address_space:  global
        .offset:         48
        .size:           8
        .value_kind:     global_buffer
      - .actual_access:  write_only
        .address_space:  global
        .offset:         56
        .size:           8
        .value_kind:     global_buffer
      - .actual_access:  write_only
        .address_space:  global
        .offset:         64
        .size:           8
        .value_kind:     global_buffer
      - .actual_access:  read_only
        .address_space:  global
        .offset:         72
        .size:           8
        .value_kind:     global_buffer
      - .actual_access:  read_only
        .address_space:  global
        .offset:         80
        .size:           8
        .value_kind:     global_buffer
      - .offset:         88
        .size:           4
        .value_kind:     by_value
      - .offset:         92
        .size:           4
        .value_kind:     by_value
      - .offset:         96
        .size:           4
        .value_kind:     by_value
      - .offset:         100
        .size:           4
        .value_kind:     by_value
      - .offset:         104
        .size:           4
        .value_kind:     by_value
      - .offset:         112
        .size:           8
        .value_kind:     by_value
      - .offset:         120
        .size:           8
        .value_kind:     by_value
      - .offset:         128
        .size:           8
        .value_kind:     by_value
    .group_segment_fixed_size: 40960
    .kernarg_segment_align: 8
    .kernarg_segment_size: 136
    .language:       OpenCL C
    .language_version:
      - 2
      - 0
    .max_flat_workgroup_size: 256
    .name:           _ZN12_GLOBAL__N_139chunk_gated_delta_rule_fwd_h_hip_kernelILi16ELb0ELb1ELb1ELb0ELb0ELb0ELb0ELb1EEEvPK12hip_bfloat16S3_S3_PKfS5_PKvPS1_S8_PvPKiSB_iiiiilll
    .private_segment_fixed_size: 0
    .sgpr_count:     74
    .sgpr_spill_count: 0
    .symbol:         _ZN12_GLOBAL__N_139chunk_gated_delta_rule_fwd_h_hip_kernelILi16ELb0ELb1ELb1ELb0ELb0ELb0ELb0ELb1EEEvPK12hip_bfloat16S3_S3_PKfS5_PKvPS1_S8_PvPKiSB_iiiiilll.kd
    .uniform_work_group_size: 1
    .uses_dynamic_stack: false
    .vgpr_count:     116
    .vgpr_spill_count: 0
    .wavefront_size: 64
  - .agpr_count:     8
    .args:
      - .actual_access:  read_only
        .address_space:  global
        .offset:         0
        .size:           8
        .value_kind:     global_buffer
      - .actual_access:  read_only
        .address_space:  global
        .offset:         8
        .size:           8
        .value_kind:     global_buffer
      - .actual_access:  read_only
        .address_space:  global
        .offset:         16
        .size:           8
        .value_kind:     global_buffer
      - .actual_access:  read_only
        .address_space:  global
        .offset:         24
        .size:           8
        .value_kind:     global_buffer
      - .actual_access:  read_only
        .address_space:  global
        .offset:         32
        .size:           8
        .value_kind:     global_buffer
      - .actual_access:  read_only
        .address_space:  global
        .offset:         40
        .size:           8
        .value_kind:     global_buffer
      - .actual_access:  write_only
        .address_space:  global
        .offset:         48
        .size:           8
        .value_kind:     global_buffer
      - .actual_access:  read_only
        .address_space:  global
        .offset:         56
        .size:           8
        .value_kind:     global_buffer
      - .actual_access:  write_only
        .address_space:  global
        .offset:         64
        .size:           8
        .value_kind:     global_buffer
      - .actual_access:  read_only
        .address_space:  global
        .offset:         72
        .size:           8
        .value_kind:     global_buffer
      - .actual_access:  read_only
        .address_space:  global
        .offset:         80
        .size:           8
        .value_kind:     global_buffer
      - .offset:         88
        .size:           4
        .value_kind:     by_value
      - .offset:         92
        .size:           4
        .value_kind:     by_value
      - .offset:         96
        .size:           4
        .value_kind:     by_value
      - .offset:         100
        .size:           4
        .value_kind:     by_value
      - .offset:         104
        .size:           4
        .value_kind:     by_value
      - .offset:         112
        .size:           8
        .value_kind:     by_value
      - .offset:         120
        .size:           8
        .value_kind:     by_value
      - .offset:         128
        .size:           8
        .value_kind:     by_value
    .group_segment_fixed_size: 40960
    .kernarg_segment_align: 8
    .kernarg_segment_size: 136
    .language:       OpenCL C
    .language_version:
      - 2
      - 0
    .max_flat_workgroup_size: 256
    .name:           _ZN12_GLOBAL__N_139chunk_gated_delta_rule_fwd_h_hip_kernelILi16ELb0ELb1ELb0ELb0ELb0ELb0ELb0ELb1EEEvPK12hip_bfloat16S3_S3_PKfS5_PKvPS1_S8_PvPKiSB_iiiiilll
    .private_segment_fixed_size: 0
    .sgpr_count:     69
    .sgpr_spill_count: 0
    .symbol:         _ZN12_GLOBAL__N_139chunk_gated_delta_rule_fwd_h_hip_kernelILi16ELb0ELb1ELb0ELb0ELb0ELb0ELb0ELb1EEEvPK12hip_bfloat16S3_S3_PKfS5_PKvPS1_S8_PvPKiSB_iiiiilll.kd
    .uniform_work_group_size: 1
    .uses_dynamic_stack: false
    .vgpr_count:     116
    .vgpr_spill_count: 0
    .wavefront_size: 64
  - .agpr_count:     8
    .args:
      - .actual_access:  read_only
        .address_space:  global
        .offset:         0
        .size:           8
        .value_kind:     global_buffer
      - .actual_access:  read_only
        .address_space:  global
        .offset:         8
        .size:           8
        .value_kind:     global_buffer
      - .actual_access:  read_only
        .address_space:  global
        .offset:         16
        .size:           8
        .value_kind:     global_buffer
      - .actual_access:  read_only
        .address_space:  global
        .offset:         24
        .size:           8
        .value_kind:     global_buffer
      - .actual_access:  read_only
        .address_space:  global
        .offset:         32
        .size:           8
        .value_kind:     global_buffer
      - .actual_access:  read_only
        .address_space:  global
        .offset:         40
        .size:           8
        .value_kind:     global_buffer
      - .actual_access:  write_only
        .address_space:  global
        .offset:         48
        .size:           8
        .value_kind:     global_buffer
      - .actual_access:  write_only
        .address_space:  global
        .offset:         56
        .size:           8
        .value_kind:     global_buffer
      - .actual_access:  read_only
        .address_space:  global
        .offset:         64
        .size:           8
        .value_kind:     global_buffer
      - .actual_access:  read_only
        .address_space:  global
        .offset:         72
        .size:           8
        .value_kind:     global_buffer
      - .actual_access:  read_only
        .address_space:  global
        .offset:         80
        .size:           8
        .value_kind:     global_buffer
      - .offset:         88
        .size:           4
        .value_kind:     by_value
      - .offset:         92
        .size:           4
        .value_kind:     by_value
      - .offset:         96
        .size:           4
        .value_kind:     by_value
      - .offset:         100
        .size:           4
        .value_kind:     by_value
      - .offset:         104
        .size:           4
        .value_kind:     by_value
      - .offset:         112
        .size:           8
        .value_kind:     by_value
      - .offset:         120
        .size:           8
        .value_kind:     by_value
      - .offset:         128
        .size:           8
        .value_kind:     by_value
    .group_segment_fixed_size: 40960
    .kernarg_segment_align: 8
    .kernarg_segment_size: 136
    .language:       OpenCL C
    .language_version:
      - 2
      - 0
    .max_flat_workgroup_size: 256
    .name:           _ZN12_GLOBAL__N_139chunk_gated_delta_rule_fwd_h_hip_kernelILi16ELb0ELb0ELb1ELb0ELb0ELb0ELb0ELb1EEEvPK12hip_bfloat16S3_S3_PKfS5_PKvPS1_S8_PvPKiSB_iiiiilll
    .private_segment_fixed_size: 0
    .sgpr_count:     72
    .sgpr_spill_count: 0
    .symbol:         _ZN12_GLOBAL__N_139chunk_gated_delta_rule_fwd_h_hip_kernelILi16ELb0ELb0ELb1ELb0ELb0ELb0ELb0ELb1EEEvPK12hip_bfloat16S3_S3_PKfS5_PKvPS1_S8_PvPKiSB_iiiiilll.kd
    .uniform_work_group_size: 1
    .uses_dynamic_stack: false
    .vgpr_count:     116
    .vgpr_spill_count: 0
    .wavefront_size: 64
  - .agpr_count:     8
    .args:
      - .actual_access:  read_only
        .address_space:  global
        .offset:         0
        .size:           8
        .value_kind:     global_buffer
      - .actual_access:  read_only
        .address_space:  global
        .offset:         8
        .size:           8
        .value_kind:     global_buffer
      - .actual_access:  read_only
        .address_space:  global
        .offset:         16
        .size:           8
        .value_kind:     global_buffer
      - .actual_access:  read_only
        .address_space:  global
        .offset:         24
        .size:           8
        .value_kind:     global_buffer
      - .actual_access:  read_only
        .address_space:  global
        .offset:         32
        .size:           8
        .value_kind:     global_buffer
      - .actual_access:  read_only
        .address_space:  global
        .offset:         40
        .size:           8
        .value_kind:     global_buffer
      - .actual_access:  write_only
        .address_space:  global
        .offset:         48
        .size:           8
        .value_kind:     global_buffer
      - .actual_access:  read_only
        .address_space:  global
        .offset:         56
        .size:           8
        .value_kind:     global_buffer
      - .actual_access:  read_only
        .address_space:  global
        .offset:         64
        .size:           8
        .value_kind:     global_buffer
      - .actual_access:  read_only
        .address_space:  global
        .offset:         72
        .size:           8
        .value_kind:     global_buffer
      - .actual_access:  read_only
        .address_space:  global
        .offset:         80
        .size:           8
        .value_kind:     global_buffer
      - .offset:         88
        .size:           4
        .value_kind:     by_value
      - .offset:         92
        .size:           4
        .value_kind:     by_value
      - .offset:         96
        .size:           4
        .value_kind:     by_value
      - .offset:         100
        .size:           4
        .value_kind:     by_value
      - .offset:         104
        .size:           4
        .value_kind:     by_value
      - .offset:         112
        .size:           8
        .value_kind:     by_value
      - .offset:         120
        .size:           8
        .value_kind:     by_value
      - .offset:         128
        .size:           8
        .value_kind:     by_value
    .group_segment_fixed_size: 40960
    .kernarg_segment_align: 8
    .kernarg_segment_size: 136
    .language:       OpenCL C
    .language_version:
      - 2
      - 0
    .max_flat_workgroup_size: 256
    .name:           _ZN12_GLOBAL__N_139chunk_gated_delta_rule_fwd_h_hip_kernelILi16ELb0ELb0ELb0ELb0ELb0ELb0ELb0ELb1EEEvPK12hip_bfloat16S3_S3_PKfS5_PKvPS1_S8_PvPKiSB_iiiiilll
    .private_segment_fixed_size: 0
    .sgpr_count:     67
    .sgpr_spill_count: 0
    .symbol:         _ZN12_GLOBAL__N_139chunk_gated_delta_rule_fwd_h_hip_kernelILi16ELb0ELb0ELb0ELb0ELb0ELb0ELb0ELb1EEEvPK12hip_bfloat16S3_S3_PKfS5_PKvPS1_S8_PvPKiSB_iiiiilll.kd
    .uniform_work_group_size: 1
    .uses_dynamic_stack: false
    .vgpr_count:     116
    .vgpr_spill_count: 0
    .wavefront_size: 64
  - .agpr_count:     12
    .args:
      - .actual_access:  read_only
        .address_space:  global
        .offset:         0
        .size:           8
        .value_kind:     global_buffer
      - .actual_access:  read_only
        .address_space:  global
        .offset:         8
        .size:           8
        .value_kind:     global_buffer
      - .actual_access:  read_only
        .address_space:  global
        .offset:         16
        .size:           8
        .value_kind:     global_buffer
      - .actual_access:  read_only
        .address_space:  global
        .offset:         24
        .size:           8
        .value_kind:     global_buffer
      - .actual_access:  read_only
        .address_space:  global
        .offset:         32
        .size:           8
        .value_kind:     global_buffer
      - .actual_access:  read_only
        .address_space:  global
        .offset:         40
        .size:           8
        .value_kind:     global_buffer
      - .actual_access:  write_only
        .address_space:  global
        .offset:         48
        .size:           8
        .value_kind:     global_buffer
      - .actual_access:  write_only
        .address_space:  global
        .offset:         56
        .size:           8
        .value_kind:     global_buffer
      - .actual_access:  write_only
        .address_space:  global
        .offset:         64
        .size:           8
        .value_kind:     global_buffer
      - .actual_access:  read_only
        .address_space:  global
        .offset:         72
        .size:           8
        .value_kind:     global_buffer
      - .actual_access:  read_only
        .address_space:  global
        .offset:         80
        .size:           8
        .value_kind:     global_buffer
      - .offset:         88
        .size:           4
        .value_kind:     by_value
      - .offset:         92
        .size:           4
        .value_kind:     by_value
      - .offset:         96
        .size:           4
        .value_kind:     by_value
      - .offset:         100
        .size:           4
        .value_kind:     by_value
      - .offset:         104
        .size:           4
        .value_kind:     by_value
      - .offset:         112
        .size:           8
        .value_kind:     by_value
      - .offset:         120
        .size:           8
        .value_kind:     by_value
      - .offset:         128
        .size:           8
        .value_kind:     by_value
    .group_segment_fixed_size: 40960
    .kernarg_segment_align: 8
    .kernarg_segment_size: 136
    .language:       OpenCL C
    .language_version:
      - 2
      - 0
    .max_flat_workgroup_size: 256
    .name:           _ZN12_GLOBAL__N_139chunk_gated_delta_rule_fwd_h_hip_kernelILi16ELb1ELb1ELb1ELb1ELb1ELb1ELb1ELb0EEEvPK12hip_bfloat16S3_S3_PKfS5_PKvPS1_S8_PvPKiSB_iiiiilll
    .private_segment_fixed_size: 0
    .sgpr_count:     76
    .sgpr_spill_count: 0
    .symbol:         _ZN12_GLOBAL__N_139chunk_gated_delta_rule_fwd_h_hip_kernelILi16ELb1ELb1ELb1ELb1ELb1ELb1ELb1ELb0EEEvPK12hip_bfloat16S3_S3_PKfS5_PKvPS1_S8_PvPKiSB_iiiiilll.kd
    .uniform_work_group_size: 1
    .uses_dynamic_stack: false
    .vgpr_count:     132
    .vgpr_spill_count: 0
    .wavefront_size: 64
  - .agpr_count:     12
    .args:
      - .actual_access:  read_only
        .address_space:  global
        .offset:         0
        .size:           8
        .value_kind:     global_buffer
      - .actual_access:  read_only
        .address_space:  global
        .offset:         8
        .size:           8
        .value_kind:     global_buffer
      - .actual_access:  read_only
        .address_space:  global
        .offset:         16
        .size:           8
        .value_kind:     global_buffer
      - .actual_access:  read_only
        .address_space:  global
        .offset:         24
        .size:           8
        .value_kind:     global_buffer
      - .actual_access:  read_only
        .address_space:  global
        .offset:         32
        .size:           8
        .value_kind:     global_buffer
      - .actual_access:  read_only
        .address_space:  global
        .offset:         40
        .size:           8
        .value_kind:     global_buffer
      - .actual_access:  write_only
        .address_space:  global
        .offset:         48
        .size:           8
        .value_kind:     global_buffer
      - .actual_access:  read_only
        .address_space:  global
        .offset:         56
        .size:           8
        .value_kind:     global_buffer
      - .actual_access:  write_only
        .address_space:  global
        .offset:         64
        .size:           8
        .value_kind:     global_buffer
      - .actual_access:  read_only
        .address_space:  global
        .offset:         72
        .size:           8
        .value_kind:     global_buffer
      - .actual_access:  read_only
        .address_space:  global
        .offset:         80
        .size:           8
        .value_kind:     global_buffer
      - .offset:         88
        .size:           4
        .value_kind:     by_value
      - .offset:         92
        .size:           4
        .value_kind:     by_value
      - .offset:         96
        .size:           4
        .value_kind:     by_value
      - .offset:         100
        .size:           4
        .value_kind:     by_value
      - .offset:         104
        .size:           4
        .value_kind:     by_value
      - .offset:         112
        .size:           8
        .value_kind:     by_value
      - .offset:         120
        .size:           8
        .value_kind:     by_value
      - .offset:         128
        .size:           8
        .value_kind:     by_value
    .group_segment_fixed_size: 40960
    .kernarg_segment_align: 8
    .kernarg_segment_size: 136
    .language:       OpenCL C
    .language_version:
      - 2
      - 0
    .max_flat_workgroup_size: 256
    .name:           _ZN12_GLOBAL__N_139chunk_gated_delta_rule_fwd_h_hip_kernelILi16ELb1ELb1ELb0ELb1ELb1ELb1ELb1ELb0EEEvPK12hip_bfloat16S3_S3_PKfS5_PKvPS1_S8_PvPKiSB_iiiiilll
    .private_segment_fixed_size: 0
    .sgpr_count:     71
    .sgpr_spill_count: 0
    .symbol:         _ZN12_GLOBAL__N_139chunk_gated_delta_rule_fwd_h_hip_kernelILi16ELb1ELb1ELb0ELb1ELb1ELb1ELb1ELb0EEEvPK12hip_bfloat16S3_S3_PKfS5_PKvPS1_S8_PvPKiSB_iiiiilll.kd
    .uniform_work_group_size: 1
    .uses_dynamic_stack: false
    .vgpr_count:     128
    .vgpr_spill_count: 0
    .wavefront_size: 64
  - .agpr_count:     12
    .args:
      - .actual_access:  read_only
        .address_space:  global
        .offset:         0
        .size:           8
        .value_kind:     global_buffer
      - .actual_access:  read_only
        .address_space:  global
        .offset:         8
        .size:           8
        .value_kind:     global_buffer
      - .actual_access:  read_only
        .address_space:  global
        .offset:         16
        .size:           8
        .value_kind:     global_buffer
      - .actual_access:  read_only
        .address_space:  global
        .offset:         24
        .size:           8
        .value_kind:     global_buffer
      - .actual_access:  read_only
        .address_space:  global
        .offset:         32
        .size:           8
        .value_kind:     global_buffer
      - .actual_access:  read_only
        .address_space:  global
        .offset:         40
        .size:           8
        .value_kind:     global_buffer
      - .actual_access:  write_only
        .address_space:  global
        .offset:         48
        .size:           8
        .value_kind:     global_buffer
      - .actual_access:  write_only
        .address_space:  global
        .offset:         56
        .size:           8
        .value_kind:     global_buffer
      - .actual_access:  read_only
        .address_space:  global
        .offset:         64
        .size:           8
        .value_kind:     global_buffer
      - .actual_access:  read_only
        .address_space:  global
        .offset:         72
        .size:           8
        .value_kind:     global_buffer
      - .actual_access:  read_only
        .address_space:  global
        .offset:         80
        .size:           8
        .value_kind:     global_buffer
      - .offset:         88
        .size:           4
        .value_kind:     by_value
      - .offset:         92
        .size:           4
        .value_kind:     by_value
      - .offset:         96
        .size:           4
        .value_kind:     by_value
      - .offset:         100
        .size:           4
        .value_kind:     by_value
      - .offset:         104
        .size:           4
        .value_kind:     by_value
      - .offset:         112
        .size:           8
        .value_kind:     by_value
      - .offset:         120
        .size:           8
        .value_kind:     by_value
      - .offset:         128
        .size:           8
        .value_kind:     by_value
    .group_segment_fixed_size: 40960
    .kernarg_segment_align: 8
    .kernarg_segment_size: 136
    .language:       OpenCL C
    .language_version:
      - 2
      - 0
    .max_flat_workgroup_size: 256
    .name:           _ZN12_GLOBAL__N_139chunk_gated_delta_rule_fwd_h_hip_kernelILi16ELb1ELb0ELb1ELb1ELb1ELb1ELb1ELb0EEEvPK12hip_bfloat16S3_S3_PKfS5_PKvPS1_S8_PvPKiSB_iiiiilll
    .private_segment_fixed_size: 0
    .sgpr_count:     69
    .sgpr_spill_count: 0
    .symbol:         _ZN12_GLOBAL__N_139chunk_gated_delta_rule_fwd_h_hip_kernelILi16ELb1ELb0ELb1ELb1ELb1ELb1ELb1ELb0EEEvPK12hip_bfloat16S3_S3_PKfS5_PKvPS1_S8_PvPKiSB_iiiiilll.kd
    .uniform_work_group_size: 1
    .uses_dynamic_stack: false
    .vgpr_count:     128
    .vgpr_spill_count: 0
    .wavefront_size: 64
  - .agpr_count:     12
    .args:
      - .actual_access:  read_only
        .address_space:  global
        .offset:         0
        .size:           8
        .value_kind:     global_buffer
      - .actual_access:  read_only
        .address_space:  global
        .offset:         8
        .size:           8
        .value_kind:     global_buffer
      - .actual_access:  read_only
        .address_space:  global
        .offset:         16
        .size:           8
        .value_kind:     global_buffer
      - .actual_access:  read_only
        .address_space:  global
        .offset:         24
        .size:           8
        .value_kind:     global_buffer
      - .actual_access:  read_only
        .address_space:  global
        .offset:         32
        .size:           8
        .value_kind:     global_buffer
      - .actual_access:  read_only
        .address_space:  global
        .offset:         40
        .size:           8
        .value_kind:     global_buffer
      - .actual_access:  write_only
        .address_space:  global
        .offset:         48
        .size:           8
        .value_kind:     global_buffer
      - .actual_access:  read_only
        .address_space:  global
        .offset:         56
        .size:           8
        .value_kind:     global_buffer
      - .actual_access:  read_only
        .address_space:  global
        .offset:         64
        .size:           8
        .value_kind:     global_buffer
      - .actual_access:  read_only
        .address_space:  global
        .offset:         72
        .size:           8
        .value_kind:     global_buffer
      - .actual_access:  read_only
        .address_space:  global
        .offset:         80
        .size:           8
        .value_kind:     global_buffer
      - .offset:         88
        .size:           4
        .value_kind:     by_value
      - .offset:         92
        .size:           4
        .value_kind:     by_value
      - .offset:         96
        .size:           4
        .value_kind:     by_value
      - .offset:         100
        .size:           4
        .value_kind:     by_value
      - .offset:         104
        .size:           4
        .value_kind:     by_value
      - .offset:         112
        .size:           8
        .value_kind:     by_value
      - .offset:         120
        .size:           8
        .value_kind:     by_value
      - .offset:         128
        .size:           8
        .value_kind:     by_value
    .group_segment_fixed_size: 40960
    .kernarg_segment_align: 8
    .kernarg_segment_size: 136
    .language:       OpenCL C
    .language_version:
      - 2
      - 0
    .max_flat_workgroup_size: 256
    .name:           _ZN12_GLOBAL__N_139chunk_gated_delta_rule_fwd_h_hip_kernelILi16ELb1ELb0ELb0ELb1ELb1ELb1ELb1ELb0EEEvPK12hip_bfloat16S3_S3_PKfS5_PKvPS1_S8_PvPKiSB_iiiiilll
    .private_segment_fixed_size: 0
    .sgpr_count:     67
    .sgpr_spill_count: 0
    .symbol:         _ZN12_GLOBAL__N_139chunk_gated_delta_rule_fwd_h_hip_kernelILi16ELb1ELb0ELb0ELb1ELb1ELb1ELb1ELb0EEEvPK12hip_bfloat16S3_S3_PKfS5_PKvPS1_S8_PvPKiSB_iiiiilll.kd
    .uniform_work_group_size: 1
    .uses_dynamic_stack: false
    .vgpr_count:     124
    .vgpr_spill_count: 0
    .wavefront_size: 64
  - .agpr_count:     12
    .args:
      - .actual_access:  read_only
        .address_space:  global
        .offset:         0
        .size:           8
        .value_kind:     global_buffer
      - .actual_access:  read_only
        .address_space:  global
        .offset:         8
        .size:           8
        .value_kind:     global_buffer
      - .actual_access:  read_only
        .address_space:  global
        .offset:         16
        .size:           8
        .value_kind:     global_buffer
      - .actual_access:  read_only
        .address_space:  global
        .offset:         24
        .size:           8
        .value_kind:     global_buffer
      - .actual_access:  read_only
        .address_space:  global
        .offset:         32
        .size:           8
        .value_kind:     global_buffer
      - .actual_access:  read_only
        .address_space:  global
        .offset:         40
        .size:           8
        .value_kind:     global_buffer
      - .actual_access:  write_only
        .address_space:  global
        .offset:         48
        .size:           8
        .value_kind:     global_buffer
      - .actual_access:  write_only
        .address_space:  global
        .offset:         56
        .size:           8
        .value_kind:     global_buffer
      - .actual_access:  write_only
        .address_space:  global
        .offset:         64
        .size:           8
        .value_kind:     global_buffer
      - .actual_access:  read_only
        .address_space:  global
        .offset:         72
        .size:           8
        .value_kind:     global_buffer
      - .actual_access:  read_only
        .address_space:  global
        .offset:         80
        .size:           8
        .value_kind:     global_buffer
      - .offset:         88
        .size:           4
        .value_kind:     by_value
      - .offset:         92
        .size:           4
        .value_kind:     by_value
      - .offset:         96
        .size:           4
        .value_kind:     by_value
      - .offset:         100
        .size:           4
        .value_kind:     by_value
      - .offset:         104
        .size:           4
        .value_kind:     by_value
      - .offset:         112
        .size:           8
        .value_kind:     by_value
      - .offset:         120
        .size:           8
        .value_kind:     by_value
      - .offset:         128
        .size:           8
        .value_kind:     by_value
    .group_segment_fixed_size: 40960
    .kernarg_segment_align: 8
    .kernarg_segment_size: 136
    .language:       OpenCL C
    .language_version:
      - 2
      - 0
    .max_flat_workgroup_size: 256
    .name:           _ZN12_GLOBAL__N_139chunk_gated_delta_rule_fwd_h_hip_kernelILi16ELb0ELb1ELb1ELb1ELb1ELb1ELb1ELb0EEEvPK12hip_bfloat16S3_S3_PKfS5_PKvPS1_S8_PvPKiSB_iiiiilll
    .private_segment_fixed_size: 0
    .sgpr_count:     76
    .sgpr_spill_count: 0
    .symbol:         _ZN12_GLOBAL__N_139chunk_gated_delta_rule_fwd_h_hip_kernelILi16ELb0ELb1ELb1ELb1ELb1ELb1ELb1ELb0EEEvPK12hip_bfloat16S3_S3_PKfS5_PKvPS1_S8_PvPKiSB_iiiiilll.kd
    .uniform_work_group_size: 1
    .uses_dynamic_stack: false
    .vgpr_count:     128
    .vgpr_spill_count: 0
    .wavefront_size: 64
  - .agpr_count:     12
    .args:
      - .actual_access:  read_only
        .address_space:  global
        .offset:         0
        .size:           8
        .value_kind:     global_buffer
      - .actual_access:  read_only
        .address_space:  global
        .offset:         8
        .size:           8
        .value_kind:     global_buffer
      - .actual_access:  read_only
        .address_space:  global
        .offset:         16
        .size:           8
        .value_kind:     global_buffer
      - .actual_access:  read_only
        .address_space:  global
        .offset:         24
        .size:           8
        .value_kind:     global_buffer
      - .actual_access:  read_only
        .address_space:  global
        .offset:         32
        .size:           8
        .value_kind:     global_buffer
      - .actual_access:  read_only
        .address_space:  global
        .offset:         40
        .size:           8
        .value_kind:     global_buffer
      - .actual_access:  write_only
        .address_space:  global
        .offset:         48
        .size:           8
        .value_kind:     global_buffer
      - .actual_access:  read_only
        .address_space:  global
        .offset:         56
        .size:           8
        .value_kind:     global_buffer
      - .actual_access:  write_only
        .address_space:  global
        .offset:         64
        .size:           8
        .value_kind:     global_buffer
      - .actual_access:  read_only
        .address_space:  global
        .offset:         72
        .size:           8
        .value_kind:     global_buffer
      - .actual_access:  read_only
        .address_space:  global
        .offset:         80
        .size:           8
        .value_kind:     global_buffer
      - .offset:         88
        .size:           4
        .value_kind:     by_value
      - .offset:         92
        .size:           4
        .value_kind:     by_value
      - .offset:         96
        .size:           4
        .value_kind:     by_value
      - .offset:         100
        .size:           4
        .value_kind:     by_value
      - .offset:         104
        .size:           4
        .value_kind:     by_value
      - .offset:         112
        .size:           8
        .value_kind:     by_value
      - .offset:         120
        .size:           8
        .value_kind:     by_value
      - .offset:         128
        .size:           8
        .value_kind:     by_value
    .group_segment_fixed_size: 40960
    .kernarg_segment_align: 8
    .kernarg_segment_size: 136
    .language:       OpenCL C
    .language_version:
      - 2
      - 0
    .max_flat_workgroup_size: 256
    .name:           _ZN12_GLOBAL__N_139chunk_gated_delta_rule_fwd_h_hip_kernelILi16ELb0ELb1ELb0ELb1ELb1ELb1ELb1ELb0EEEvPK12hip_bfloat16S3_S3_PKfS5_PKvPS1_S8_PvPKiSB_iiiiilll
    .private_segment_fixed_size: 0
    .sgpr_count:     71
    .sgpr_spill_count: 0
    .symbol:         _ZN12_GLOBAL__N_139chunk_gated_delta_rule_fwd_h_hip_kernelILi16ELb0ELb1ELb0ELb1ELb1ELb1ELb1ELb0EEEvPK12hip_bfloat16S3_S3_PKfS5_PKvPS1_S8_PvPKiSB_iiiiilll.kd
    .uniform_work_group_size: 1
    .uses_dynamic_stack: false
    .vgpr_count:     124
    .vgpr_spill_count: 0
    .wavefront_size: 64
  - .agpr_count:     12
    .args:
      - .actual_access:  read_only
        .address_space:  global
        .offset:         0
        .size:           8
        .value_kind:     global_buffer
      - .actual_access:  read_only
        .address_space:  global
        .offset:         8
        .size:           8
        .value_kind:     global_buffer
      - .actual_access:  read_only
        .address_space:  global
        .offset:         16
        .size:           8
        .value_kind:     global_buffer
      - .actual_access:  read_only
        .address_space:  global
        .offset:         24
        .size:           8
        .value_kind:     global_buffer
      - .actual_access:  read_only
        .address_space:  global
        .offset:         32
        .size:           8
        .value_kind:     global_buffer
      - .actual_access:  read_only
        .address_space:  global
        .offset:         40
        .size:           8
        .value_kind:     global_buffer
      - .actual_access:  write_only
        .address_space:  global
        .offset:         48
        .size:           8
        .value_kind:     global_buffer
      - .actual_access:  write_only
        .address_space:  global
        .offset:         56
        .size:           8
        .value_kind:     global_buffer
      - .actual_access:  read_only
        .address_space:  global
        .offset:         64
        .size:           8
        .value_kind:     global_buffer
      - .actual_access:  read_only
        .address_space:  global
        .offset:         72
        .size:           8
        .value_kind:     global_buffer
      - .actual_access:  read_only
        .address_space:  global
        .offset:         80
        .size:           8
        .value_kind:     global_buffer
      - .offset:         88
        .size:           4
        .value_kind:     by_value
      - .offset:         92
        .size:           4
        .value_kind:     by_value
      - .offset:         96
        .size:           4
        .value_kind:     by_value
      - .offset:         100
        .size:           4
        .value_kind:     by_value
      - .offset:         104
        .size:           4
        .value_kind:     by_value
      - .offset:         112
        .size:           8
        .value_kind:     by_value
      - .offset:         120
        .size:           8
        .value_kind:     by_value
      - .offset:         128
        .size:           8
        .value_kind:     by_value
    .group_segment_fixed_size: 40960
    .kernarg_segment_align: 8
    .kernarg_segment_size: 136
    .language:       OpenCL C
    .language_version:
      - 2
      - 0
    .max_flat_workgroup_size: 256
    .name:           _ZN12_GLOBAL__N_139chunk_gated_delta_rule_fwd_h_hip_kernelILi16ELb0ELb0ELb1ELb1ELb1ELb1ELb1ELb0EEEvPK12hip_bfloat16S3_S3_PKfS5_PKvPS1_S8_PvPKiSB_iiiiilll
    .private_segment_fixed_size: 0
    .sgpr_count:     68
    .sgpr_spill_count: 0
    .symbol:         _ZN12_GLOBAL__N_139chunk_gated_delta_rule_fwd_h_hip_kernelILi16ELb0ELb0ELb1ELb1ELb1ELb1ELb1ELb0EEEvPK12hip_bfloat16S3_S3_PKfS5_PKvPS1_S8_PvPKiSB_iiiiilll.kd
    .uniform_work_group_size: 1
    .uses_dynamic_stack: false
    .vgpr_count:     128
    .vgpr_spill_count: 0
    .wavefront_size: 64
  - .agpr_count:     12
    .args:
      - .actual_access:  read_only
        .address_space:  global
        .offset:         0
        .size:           8
        .value_kind:     global_buffer
      - .actual_access:  read_only
        .address_space:  global
        .offset:         8
        .size:           8
        .value_kind:     global_buffer
      - .actual_access:  read_only
        .address_space:  global
        .offset:         16
        .size:           8
        .value_kind:     global_buffer
      - .actual_access:  read_only
        .address_space:  global
        .offset:         24
        .size:           8
        .value_kind:     global_buffer
      - .actual_access:  read_only
        .address_space:  global
        .offset:         32
        .size:           8
        .value_kind:     global_buffer
      - .actual_access:  read_only
        .address_space:  global
        .offset:         40
        .size:           8
        .value_kind:     global_buffer
      - .actual_access:  write_only
        .address_space:  global
        .offset:         48
        .size:           8
        .value_kind:     global_buffer
      - .actual_access:  read_only
        .address_space:  global
        .offset:         56
        .size:           8
        .value_kind:     global_buffer
      - .actual_access:  read_only
        .address_space:  global
        .offset:         64
        .size:           8
        .value_kind:     global_buffer
      - .actual_access:  read_only
        .address_space:  global
        .offset:         72
        .size:           8
        .value_kind:     global_buffer
      - .actual_access:  read_only
        .address_space:  global
        .offset:         80
        .size:           8
        .value_kind:     global_buffer
      - .offset:         88
        .size:           4
        .value_kind:     by_value
      - .offset:         92
        .size:           4
        .value_kind:     by_value
      - .offset:         96
        .size:           4
        .value_kind:     by_value
      - .offset:         100
        .size:           4
        .value_kind:     by_value
      - .offset:         104
        .size:           4
        .value_kind:     by_value
      - .offset:         112
        .size:           8
        .value_kind:     by_value
      - .offset:         120
        .size:           8
        .value_kind:     by_value
      - .offset:         128
        .size:           8
        .value_kind:     by_value
    .group_segment_fixed_size: 40960
    .kernarg_segment_align: 8
    .kernarg_segment_size: 136
    .language:       OpenCL C
    .language_version:
      - 2
      - 0
    .max_flat_workgroup_size: 256
    .name:           _ZN12_GLOBAL__N_139chunk_gated_delta_rule_fwd_h_hip_kernelILi16ELb0ELb0ELb0ELb1ELb1ELb1ELb1ELb0EEEvPK12hip_bfloat16S3_S3_PKfS5_PKvPS1_S8_PvPKiSB_iiiiilll
    .private_segment_fixed_size: 0
    .sgpr_count:     66
    .sgpr_spill_count: 0
    .symbol:         _ZN12_GLOBAL__N_139chunk_gated_delta_rule_fwd_h_hip_kernelILi16ELb0ELb0ELb0ELb1ELb1ELb1ELb1ELb0EEEvPK12hip_bfloat16S3_S3_PKfS5_PKvPS1_S8_PvPKiSB_iiiiilll.kd
    .uniform_work_group_size: 1
    .uses_dynamic_stack: false
    .vgpr_count:     124
    .vgpr_spill_count: 0
    .wavefront_size: 64
  - .agpr_count:     12
    .args:
      - .actual_access:  read_only
        .address_space:  global
        .offset:         0
        .size:           8
        .value_kind:     global_buffer
      - .actual_access:  read_only
        .address_space:  global
        .offset:         8
        .size:           8
        .value_kind:     global_buffer
      - .actual_access:  read_only
        .address_space:  global
        .offset:         16
        .size:           8
        .value_kind:     global_buffer
      - .actual_access:  read_only
        .address_space:  global
        .offset:         24
        .size:           8
        .value_kind:     global_buffer
      - .actual_access:  read_only
        .address_space:  global
        .offset:         32
        .size:           8
        .value_kind:     global_buffer
      - .actual_access:  read_only
        .address_space:  global
        .offset:         40
        .size:           8
        .value_kind:     global_buffer
      - .actual_access:  write_only
        .address_space:  global
        .offset:         48
        .size:           8
        .value_kind:     global_buffer
      - .actual_access:  write_only
        .address_space:  global
        .offset:         56
        .size:           8
        .value_kind:     global_buffer
      - .actual_access:  write_only
        .address_space:  global
        .offset:         64
        .size:           8
        .value_kind:     global_buffer
      - .actual_access:  read_only
        .address_space:  global
        .offset:         72
        .size:           8
        .value_kind:     global_buffer
      - .actual_access:  read_only
        .address_space:  global
        .offset:         80
        .size:           8
        .value_kind:     global_buffer
      - .offset:         88
        .size:           4
        .value_kind:     by_value
      - .offset:         92
        .size:           4
        .value_kind:     by_value
      - .offset:         96
        .size:           4
        .value_kind:     by_value
      - .offset:         100
        .size:           4
        .value_kind:     by_value
      - .offset:         104
        .size:           4
        .value_kind:     by_value
      - .offset:         112
        .size:           8
        .value_kind:     by_value
      - .offset:         120
        .size:           8
        .value_kind:     by_value
      - .offset:         128
        .size:           8
        .value_kind:     by_value
    .group_segment_fixed_size: 40960
    .kernarg_segment_align: 8
    .kernarg_segment_size: 136
    .language:       OpenCL C
    .language_version:
      - 2
      - 0
    .max_flat_workgroup_size: 256
    .name:           _ZN12_GLOBAL__N_139chunk_gated_delta_rule_fwd_h_hip_kernelILi16ELb1ELb1ELb1ELb0ELb1ELb1ELb1ELb0EEEvPK12hip_bfloat16S3_S3_PKfS5_PKvPS1_S8_PvPKiSB_iiiiilll
    .private_segment_fixed_size: 0
    .sgpr_count:     82
    .sgpr_spill_count: 0
    .symbol:         _ZN12_GLOBAL__N_139chunk_gated_delta_rule_fwd_h_hip_kernelILi16ELb1ELb1ELb1ELb0ELb1ELb1ELb1ELb0EEEvPK12hip_bfloat16S3_S3_PKfS5_PKvPS1_S8_PvPKiSB_iiiiilll.kd
    .uniform_work_group_size: 1
    .uses_dynamic_stack: false
    .vgpr_count:     132
    .vgpr_spill_count: 0
    .wavefront_size: 64
  - .agpr_count:     12
    .args:
      - .actual_access:  read_only
        .address_space:  global
        .offset:         0
        .size:           8
        .value_kind:     global_buffer
      - .actual_access:  read_only
        .address_space:  global
        .offset:         8
        .size:           8
        .value_kind:     global_buffer
      - .actual_access:  read_only
        .address_space:  global
        .offset:         16
        .size:           8
        .value_kind:     global_buffer
      - .actual_access:  read_only
        .address_space:  global
        .offset:         24
        .size:           8
        .value_kind:     global_buffer
      - .actual_access:  read_only
        .address_space:  global
        .offset:         32
        .size:           8
        .value_kind:     global_buffer
      - .actual_access:  read_only
        .address_space:  global
        .offset:         40
        .size:           8
        .value_kind:     global_buffer
      - .actual_access:  write_only
        .address_space:  global
        .offset:         48
        .size:           8
        .value_kind:     global_buffer
      - .actual_access:  read_only
        .address_space:  global
        .offset:         56
        .size:           8
        .value_kind:     global_buffer
      - .actual_access:  write_only
        .address_space:  global
        .offset:         64
        .size:           8
        .value_kind:     global_buffer
      - .actual_access:  read_only
        .address_space:  global
        .offset:         72
        .size:           8
        .value_kind:     global_buffer
      - .actual_access:  read_only
        .address_space:  global
        .offset:         80
        .size:           8
        .value_kind:     global_buffer
      - .offset:         88
        .size:           4
        .value_kind:     by_value
      - .offset:         92
        .size:           4
        .value_kind:     by_value
      - .offset:         96
        .size:           4
        .value_kind:     by_value
      - .offset:         100
        .size:           4
        .value_kind:     by_value
      - .offset:         104
        .size:           4
        .value_kind:     by_value
      - .offset:         112
        .size:           8
        .value_kind:     by_value
      - .offset:         120
        .size:           8
        .value_kind:     by_value
      - .offset:         128
        .size:           8
        .value_kind:     by_value
    .group_segment_fixed_size: 40960
    .kernarg_segment_align: 8
    .kernarg_segment_size: 136
    .language:       OpenCL C
    .language_version:
      - 2
      - 0
    .max_flat_workgroup_size: 256
    .name:           _ZN12_GLOBAL__N_139chunk_gated_delta_rule_fwd_h_hip_kernelILi16ELb1ELb1ELb0ELb0ELb1ELb1ELb1ELb0EEEvPK12hip_bfloat16S3_S3_PKfS5_PKvPS1_S8_PvPKiSB_iiiiilll
    .private_segment_fixed_size: 0
    .sgpr_count:     77
    .sgpr_spill_count: 0
    .symbol:         _ZN12_GLOBAL__N_139chunk_gated_delta_rule_fwd_h_hip_kernelILi16ELb1ELb1ELb0ELb0ELb1ELb1ELb1ELb0EEEvPK12hip_bfloat16S3_S3_PKfS5_PKvPS1_S8_PvPKiSB_iiiiilll.kd
    .uniform_work_group_size: 1
    .uses_dynamic_stack: false
    .vgpr_count:     128
    .vgpr_spill_count: 0
    .wavefront_size: 64
  - .agpr_count:     12
    .args:
      - .actual_access:  read_only
        .address_space:  global
        .offset:         0
        .size:           8
        .value_kind:     global_buffer
      - .actual_access:  read_only
        .address_space:  global
        .offset:         8
        .size:           8
        .value_kind:     global_buffer
      - .actual_access:  read_only
        .address_space:  global
        .offset:         16
        .size:           8
        .value_kind:     global_buffer
      - .actual_access:  read_only
        .address_space:  global
        .offset:         24
        .size:           8
        .value_kind:     global_buffer
      - .actual_access:  read_only
        .address_space:  global
        .offset:         32
        .size:           8
        .value_kind:     global_buffer
      - .actual_access:  read_only
        .address_space:  global
        .offset:         40
        .size:           8
        .value_kind:     global_buffer
      - .actual_access:  write_only
        .address_space:  global
        .offset:         48
        .size:           8
        .value_kind:     global_buffer
      - .actual_access:  write_only
        .address_space:  global
        .offset:         56
        .size:           8
        .value_kind:     global_buffer
      - .actual_access:  read_only
        .address_space:  global
        .offset:         64
        .size:           8
        .value_kind:     global_buffer
      - .actual_access:  read_only
        .address_space:  global
        .offset:         72
        .size:           8
        .value_kind:     global_buffer
      - .actual_access:  read_only
        .address_space:  global
        .offset:         80
        .size:           8
        .value_kind:     global_buffer
      - .offset:         88
        .size:           4
        .value_kind:     by_value
      - .offset:         92
        .size:           4
        .value_kind:     by_value
      - .offset:         96
        .size:           4
        .value_kind:     by_value
      - .offset:         100
        .size:           4
        .value_kind:     by_value
      - .offset:         104
        .size:           4
        .value_kind:     by_value
      - .offset:         112
        .size:           8
        .value_kind:     by_value
      - .offset:         120
        .size:           8
        .value_kind:     by_value
      - .offset:         128
        .size:           8
        .value_kind:     by_value
    .group_segment_fixed_size: 40960
    .kernarg_segment_align: 8
    .kernarg_segment_size: 136
    .language:       OpenCL C
    .language_version:
      - 2
      - 0
    .max_flat_workgroup_size: 256
    .name:           _ZN12_GLOBAL__N_139chunk_gated_delta_rule_fwd_h_hip_kernelILi16ELb1ELb0ELb1ELb0ELb1ELb1ELb1ELb0EEEvPK12hip_bfloat16S3_S3_PKfS5_PKvPS1_S8_PvPKiSB_iiiiilll
    .private_segment_fixed_size: 0
    .sgpr_count:     78
    .sgpr_spill_count: 0
    .symbol:         _ZN12_GLOBAL__N_139chunk_gated_delta_rule_fwd_h_hip_kernelILi16ELb1ELb0ELb1ELb0ELb1ELb1ELb1ELb0EEEvPK12hip_bfloat16S3_S3_PKfS5_PKvPS1_S8_PvPKiSB_iiiiilll.kd
    .uniform_work_group_size: 1
    .uses_dynamic_stack: false
    .vgpr_count:     128
    .vgpr_spill_count: 0
    .wavefront_size: 64
  - .agpr_count:     12
    .args:
      - .actual_access:  read_only
        .address_space:  global
        .offset:         0
        .size:           8
        .value_kind:     global_buffer
      - .actual_access:  read_only
        .address_space:  global
        .offset:         8
        .size:           8
        .value_kind:     global_buffer
      - .actual_access:  read_only
        .address_space:  global
        .offset:         16
        .size:           8
        .value_kind:     global_buffer
      - .actual_access:  read_only
        .address_space:  global
        .offset:         24
        .size:           8
        .value_kind:     global_buffer
      - .actual_access:  read_only
        .address_space:  global
        .offset:         32
        .size:           8
        .value_kind:     global_buffer
      - .actual_access:  read_only
        .address_space:  global
        .offset:         40
        .size:           8
        .value_kind:     global_buffer
      - .actual_access:  write_only
        .address_space:  global
        .offset:         48
        .size:           8
        .value_kind:     global_buffer
      - .actual_access:  read_only
        .address_space:  global
        .offset:         56
        .size:           8
        .value_kind:     global_buffer
      - .actual_access:  read_only
        .address_space:  global
        .offset:         64
        .size:           8
        .value_kind:     global_buffer
      - .actual_access:  read_only
        .address_space:  global
        .offset:         72
        .size:           8
        .value_kind:     global_buffer
      - .actual_access:  read_only
        .address_space:  global
        .offset:         80
        .size:           8
        .value_kind:     global_buffer
      - .offset:         88
        .size:           4
        .value_kind:     by_value
      - .offset:         92
        .size:           4
        .value_kind:     by_value
      - .offset:         96
        .size:           4
        .value_kind:     by_value
      - .offset:         100
        .size:           4
        .value_kind:     by_value
      - .offset:         104
        .size:           4
        .value_kind:     by_value
      - .offset:         112
        .size:           8
        .value_kind:     by_value
      - .offset:         120
        .size:           8
        .value_kind:     by_value
      - .offset:         128
        .size:           8
        .value_kind:     by_value
    .group_segment_fixed_size: 40960
    .kernarg_segment_align: 8
    .kernarg_segment_size: 136
    .language:       OpenCL C
    .language_version:
      - 2
      - 0
    .max_flat_workgroup_size: 256
    .name:           _ZN12_GLOBAL__N_139chunk_gated_delta_rule_fwd_h_hip_kernelILi16ELb1ELb0ELb0ELb0ELb1ELb1ELb1ELb0EEEvPK12hip_bfloat16S3_S3_PKfS5_PKvPS1_S8_PvPKiSB_iiiiilll
    .private_segment_fixed_size: 0
    .sgpr_count:     73
    .sgpr_spill_count: 0
    .symbol:         _ZN12_GLOBAL__N_139chunk_gated_delta_rule_fwd_h_hip_kernelILi16ELb1ELb0ELb0ELb0ELb1ELb1ELb1ELb0EEEvPK12hip_bfloat16S3_S3_PKfS5_PKvPS1_S8_PvPKiSB_iiiiilll.kd
    .uniform_work_group_size: 1
    .uses_dynamic_stack: false
    .vgpr_count:     124
    .vgpr_spill_count: 0
    .wavefront_size: 64
  - .agpr_count:     12
    .args:
      - .actual_access:  read_only
        .address_space:  global
        .offset:         0
        .size:           8
        .value_kind:     global_buffer
      - .actual_access:  read_only
        .address_space:  global
        .offset:         8
        .size:           8
        .value_kind:     global_buffer
      - .actual_access:  read_only
        .address_space:  global
        .offset:         16
        .size:           8
        .value_kind:     global_buffer
      - .actual_access:  read_only
        .address_space:  global
        .offset:         24
        .size:           8
        .value_kind:     global_buffer
      - .actual_access:  read_only
        .address_space:  global
        .offset:         32
        .size:           8
        .value_kind:     global_buffer
      - .actual_access:  read_only
        .address_space:  global
        .offset:         40
        .size:           8
        .value_kind:     global_buffer
      - .actual_access:  write_only
        .address_space:  global
        .offset:         48
        .size:           8
        .value_kind:     global_buffer
      - .actual_access:  write_only
        .address_space:  global
        .offset:         56
        .size:           8
        .value_kind:     global_buffer
      - .actual_access:  write_only
        .address_space:  global
        .offset:         64
        .size:           8
        .value_kind:     global_buffer
      - .actual_access:  read_only
        .address_space:  global
        .offset:         72
        .size:           8
        .value_kind:     global_buffer
      - .actual_access:  read_only
        .address_space:  global
        .offset:         80
        .size:           8
        .value_kind:     global_buffer
      - .offset:         88
        .size:           4
        .value_kind:     by_value
      - .offset:         92
        .size:           4
        .value_kind:     by_value
      - .offset:         96
        .size:           4
        .value_kind:     by_value
      - .offset:         100
        .size:           4
        .value_kind:     by_value
      - .offset:         104
        .size:           4
        .value_kind:     by_value
      - .offset:         112
        .size:           8
        .value_kind:     by_value
      - .offset:         120
        .size:           8
        .value_kind:     by_value
      - .offset:         128
        .size:           8
        .value_kind:     by_value
    .group_segment_fixed_size: 40960
    .kernarg_segment_align: 8
    .kernarg_segment_size: 136
    .language:       OpenCL C
    .language_version:
      - 2
      - 0
    .max_flat_workgroup_size: 256
    .name:           _ZN12_GLOBAL__N_139chunk_gated_delta_rule_fwd_h_hip_kernelILi16ELb0ELb1ELb1ELb0ELb1ELb1ELb1ELb0EEEvPK12hip_bfloat16S3_S3_PKfS5_PKvPS1_S8_PvPKiSB_iiiiilll
    .private_segment_fixed_size: 0
    .sgpr_count:     76
    .sgpr_spill_count: 0
    .symbol:         _ZN12_GLOBAL__N_139chunk_gated_delta_rule_fwd_h_hip_kernelILi16ELb0ELb1ELb1ELb0ELb1ELb1ELb1ELb0EEEvPK12hip_bfloat16S3_S3_PKfS5_PKvPS1_S8_PvPKiSB_iiiiilll.kd
    .uniform_work_group_size: 1
    .uses_dynamic_stack: false
    .vgpr_count:     128
    .vgpr_spill_count: 0
    .wavefront_size: 64
  - .agpr_count:     12
    .args:
      - .actual_access:  read_only
        .address_space:  global
        .offset:         0
        .size:           8
        .value_kind:     global_buffer
      - .actual_access:  read_only
        .address_space:  global
        .offset:         8
        .size:           8
        .value_kind:     global_buffer
      - .actual_access:  read_only
        .address_space:  global
        .offset:         16
        .size:           8
        .value_kind:     global_buffer
      - .actual_access:  read_only
        .address_space:  global
        .offset:         24
        .size:           8
        .value_kind:     global_buffer
      - .actual_access:  read_only
        .address_space:  global
        .offset:         32
        .size:           8
        .value_kind:     global_buffer
      - .actual_access:  read_only
        .address_space:  global
        .offset:         40
        .size:           8
        .value_kind:     global_buffer
      - .actual_access:  write_only
        .address_space:  global
        .offset:         48
        .size:           8
        .value_kind:     global_buffer
      - .actual_access:  read_only
        .address_space:  global
        .offset:         56
        .size:           8
        .value_kind:     global_buffer
      - .actual_access:  write_only
        .address_space:  global
        .offset:         64
        .size:           8
        .value_kind:     global_buffer
      - .actual_access:  read_only
        .address_space:  global
        .offset:         72
        .size:           8
        .value_kind:     global_buffer
      - .actual_access:  read_only
        .address_space:  global
        .offset:         80
        .size:           8
        .value_kind:     global_buffer
      - .offset:         88
        .size:           4
        .value_kind:     by_value
      - .offset:         92
        .size:           4
        .value_kind:     by_value
      - .offset:         96
        .size:           4
        .value_kind:     by_value
      - .offset:         100
        .size:           4
        .value_kind:     by_value
      - .offset:         104
        .size:           4
        .value_kind:     by_value
      - .offset:         112
        .size:           8
        .value_kind:     by_value
      - .offset:         120
        .size:           8
        .value_kind:     by_value
      - .offset:         128
        .size:           8
        .value_kind:     by_value
    .group_segment_fixed_size: 40960
    .kernarg_segment_align: 8
    .kernarg_segment_size: 136
    .language:       OpenCL C
    .language_version:
      - 2
      - 0
    .max_flat_workgroup_size: 256
    .name:           _ZN12_GLOBAL__N_139chunk_gated_delta_rule_fwd_h_hip_kernelILi16ELb0ELb1ELb0ELb0ELb1ELb1ELb1ELb0EEEvPK12hip_bfloat16S3_S3_PKfS5_PKvPS1_S8_PvPKiSB_iiiiilll
    .private_segment_fixed_size: 0
    .sgpr_count:     72
    .sgpr_spill_count: 0
    .symbol:         _ZN12_GLOBAL__N_139chunk_gated_delta_rule_fwd_h_hip_kernelILi16ELb0ELb1ELb0ELb0ELb1ELb1ELb1ELb0EEEvPK12hip_bfloat16S3_S3_PKfS5_PKvPS1_S8_PvPKiSB_iiiiilll.kd
    .uniform_work_group_size: 1
    .uses_dynamic_stack: false
    .vgpr_count:     124
    .vgpr_spill_count: 0
    .wavefront_size: 64
  - .agpr_count:     12
    .args:
      - .actual_access:  read_only
        .address_space:  global
        .offset:         0
        .size:           8
        .value_kind:     global_buffer
      - .actual_access:  read_only
        .address_space:  global
        .offset:         8
        .size:           8
        .value_kind:     global_buffer
      - .actual_access:  read_only
        .address_space:  global
        .offset:         16
        .size:           8
        .value_kind:     global_buffer
      - .actual_access:  read_only
        .address_space:  global
        .offset:         24
        .size:           8
        .value_kind:     global_buffer
      - .actual_access:  read_only
        .address_space:  global
        .offset:         32
        .size:           8
        .value_kind:     global_buffer
      - .actual_access:  read_only
        .address_space:  global
        .offset:         40
        .size:           8
        .value_kind:     global_buffer
      - .actual_access:  write_only
        .address_space:  global
        .offset:         48
        .size:           8
        .value_kind:     global_buffer
      - .actual_access:  write_only
        .address_space:  global
        .offset:         56
        .size:           8
        .value_kind:     global_buffer
      - .actual_access:  read_only
        .address_space:  global
        .offset:         64
        .size:           8
        .value_kind:     global_buffer
      - .actual_access:  read_only
        .address_space:  global
        .offset:         72
        .size:           8
        .value_kind:     global_buffer
      - .actual_access:  read_only
        .address_space:  global
        .offset:         80
        .size:           8
        .value_kind:     global_buffer
      - .offset:         88
        .size:           4
        .value_kind:     by_value
      - .offset:         92
        .size:           4
        .value_kind:     by_value
      - .offset:         96
        .size:           4
        .value_kind:     by_value
      - .offset:         100
        .size:           4
        .value_kind:     by_value
      - .offset:         104
        .size:           4
        .value_kind:     by_value
      - .offset:         112
        .size:           8
        .value_kind:     by_value
      - .offset:         120
        .size:           8
        .value_kind:     by_value
      - .offset:         128
        .size:           8
        .value_kind:     by_value
    .group_segment_fixed_size: 40960
    .kernarg_segment_align: 8
    .kernarg_segment_size: 136
    .language:       OpenCL C
    .language_version:
      - 2
      - 0
    .max_flat_workgroup_size: 256
    .name:           _ZN12_GLOBAL__N_139chunk_gated_delta_rule_fwd_h_hip_kernelILi16ELb0ELb0ELb1ELb0ELb1ELb1ELb1ELb0EEEvPK12hip_bfloat16S3_S3_PKfS5_PKvPS1_S8_PvPKiSB_iiiiilll
    .private_segment_fixed_size: 0
    .sgpr_count:     74
    .sgpr_spill_count: 0
    .symbol:         _ZN12_GLOBAL__N_139chunk_gated_delta_rule_fwd_h_hip_kernelILi16ELb0ELb0ELb1ELb0ELb1ELb1ELb1ELb0EEEvPK12hip_bfloat16S3_S3_PKfS5_PKvPS1_S8_PvPKiSB_iiiiilll.kd
    .uniform_work_group_size: 1
    .uses_dynamic_stack: false
    .vgpr_count:     128
    .vgpr_spill_count: 0
    .wavefront_size: 64
  - .agpr_count:     12
    .args:
      - .actual_access:  read_only
        .address_space:  global
        .offset:         0
        .size:           8
        .value_kind:     global_buffer
      - .actual_access:  read_only
        .address_space:  global
        .offset:         8
        .size:           8
        .value_kind:     global_buffer
      - .actual_access:  read_only
        .address_space:  global
        .offset:         16
        .size:           8
        .value_kind:     global_buffer
      - .actual_access:  read_only
        .address_space:  global
        .offset:         24
        .size:           8
        .value_kind:     global_buffer
      - .actual_access:  read_only
        .address_space:  global
        .offset:         32
        .size:           8
        .value_kind:     global_buffer
      - .actual_access:  read_only
        .address_space:  global
        .offset:         40
        .size:           8
        .value_kind:     global_buffer
      - .actual_access:  write_only
        .address_space:  global
        .offset:         48
        .size:           8
        .value_kind:     global_buffer
      - .actual_access:  read_only
        .address_space:  global
        .offset:         56
        .size:           8
        .value_kind:     global_buffer
      - .actual_access:  read_only
        .address_space:  global
        .offset:         64
        .size:           8
        .value_kind:     global_buffer
      - .actual_access:  read_only
        .address_space:  global
        .offset:         72
        .size:           8
        .value_kind:     global_buffer
      - .actual_access:  read_only
        .address_space:  global
        .offset:         80
        .size:           8
        .value_kind:     global_buffer
      - .offset:         88
        .size:           4
        .value_kind:     by_value
      - .offset:         92
        .size:           4
        .value_kind:     by_value
      - .offset:         96
        .size:           4
        .value_kind:     by_value
      - .offset:         100
        .size:           4
        .value_kind:     by_value
      - .offset:         104
        .size:           4
        .value_kind:     by_value
      - .offset:         112
        .size:           8
        .value_kind:     by_value
      - .offset:         120
        .size:           8
        .value_kind:     by_value
      - .offset:         128
        .size:           8
        .value_kind:     by_value
    .group_segment_fixed_size: 40960
    .kernarg_segment_align: 8
    .kernarg_segment_size: 136
    .language:       OpenCL C
    .language_version:
      - 2
      - 0
    .max_flat_workgroup_size: 256
    .name:           _ZN12_GLOBAL__N_139chunk_gated_delta_rule_fwd_h_hip_kernelILi16ELb0ELb0ELb0ELb0ELb1ELb1ELb1ELb0EEEvPK12hip_bfloat16S3_S3_PKfS5_PKvPS1_S8_PvPKiSB_iiiiilll
    .private_segment_fixed_size: 0
    .sgpr_count:     70
    .sgpr_spill_count: 0
    .symbol:         _ZN12_GLOBAL__N_139chunk_gated_delta_rule_fwd_h_hip_kernelILi16ELb0ELb0ELb0ELb0ELb1ELb1ELb1ELb0EEEvPK12hip_bfloat16S3_S3_PKfS5_PKvPS1_S8_PvPKiSB_iiiiilll.kd
    .uniform_work_group_size: 1
    .uses_dynamic_stack: false
    .vgpr_count:     124
    .vgpr_spill_count: 0
    .wavefront_size: 64
  - .agpr_count:     12
    .args:
      - .actual_access:  read_only
        .address_space:  global
        .offset:         0
        .size:           8
        .value_kind:     global_buffer
      - .actual_access:  read_only
        .address_space:  global
        .offset:         8
        .size:           8
        .value_kind:     global_buffer
      - .actual_access:  read_only
        .address_space:  global
        .offset:         16
        .size:           8
        .value_kind:     global_buffer
      - .actual_access:  read_only
        .address_space:  global
        .offset:         24
        .size:           8
        .value_kind:     global_buffer
      - .actual_access:  read_only
        .address_space:  global
        .offset:         32
        .size:           8
        .value_kind:     global_buffer
      - .actual_access:  read_only
        .address_space:  global
        .offset:         40
        .size:           8
        .value_kind:     global_buffer
      - .actual_access:  write_only
        .address_space:  global
        .offset:         48
        .size:           8
        .value_kind:     global_buffer
      - .actual_access:  write_only
        .address_space:  global
        .offset:         56
        .size:           8
        .value_kind:     global_buffer
      - .actual_access:  write_only
        .address_space:  global
        .offset:         64
        .size:           8
        .value_kind:     global_buffer
      - .actual_access:  read_only
        .address_space:  global
        .offset:         72
        .size:           8
        .value_kind:     global_buffer
      - .actual_access:  read_only
        .address_space:  global
        .offset:         80
        .size:           8
        .value_kind:     global_buffer
      - .offset:         88
        .size:           4
        .value_kind:     by_value
      - .offset:         92
        .size:           4
        .value_kind:     by_value
      - .offset:         96
        .size:           4
        .value_kind:     by_value
      - .offset:         100
        .size:           4
        .value_kind:     by_value
      - .offset:         104
        .size:           4
        .value_kind:     by_value
      - .offset:         112
        .size:           8
        .value_kind:     by_value
      - .offset:         120
        .size:           8
        .value_kind:     by_value
      - .offset:         128
        .size:           8
        .value_kind:     by_value
    .group_segment_fixed_size: 40960
    .kernarg_segment_align: 8
    .kernarg_segment_size: 136
    .language:       OpenCL C
    .language_version:
      - 2
      - 0
    .max_flat_workgroup_size: 256
    .name:           _ZN12_GLOBAL__N_139chunk_gated_delta_rule_fwd_h_hip_kernelILi16ELb1ELb1ELb1ELb1ELb1ELb1ELb0ELb0EEEvPK12hip_bfloat16S3_S3_PKfS5_PKvPS1_S8_PvPKiSB_iiiiilll
    .private_segment_fixed_size: 0
    .sgpr_count:     76
    .sgpr_spill_count: 0
    .symbol:         _ZN12_GLOBAL__N_139chunk_gated_delta_rule_fwd_h_hip_kernelILi16ELb1ELb1ELb1ELb1ELb1ELb1ELb0ELb0EEEvPK12hip_bfloat16S3_S3_PKfS5_PKvPS1_S8_PvPKiSB_iiiiilll.kd
    .uniform_work_group_size: 1
    .uses_dynamic_stack: false
    .vgpr_count:     132
    .vgpr_spill_count: 0
    .wavefront_size: 64
  - .agpr_count:     12
    .args:
      - .actual_access:  read_only
        .address_space:  global
        .offset:         0
        .size:           8
        .value_kind:     global_buffer
      - .actual_access:  read_only
        .address_space:  global
        .offset:         8
        .size:           8
        .value_kind:     global_buffer
      - .actual_access:  read_only
        .address_space:  global
        .offset:         16
        .size:           8
        .value_kind:     global_buffer
      - .actual_access:  read_only
        .address_space:  global
        .offset:         24
        .size:           8
        .value_kind:     global_buffer
      - .actual_access:  read_only
        .address_space:  global
        .offset:         32
        .size:           8
        .value_kind:     global_buffer
      - .actual_access:  read_only
        .address_space:  global
        .offset:         40
        .size:           8
        .value_kind:     global_buffer
      - .actual_access:  write_only
        .address_space:  global
        .offset:         48
        .size:           8
        .value_kind:     global_buffer
      - .actual_access:  read_only
        .address_space:  global
        .offset:         56
        .size:           8
        .value_kind:     global_buffer
      - .actual_access:  write_only
        .address_space:  global
        .offset:         64
        .size:           8
        .value_kind:     global_buffer
      - .actual_access:  read_only
        .address_space:  global
        .offset:         72
        .size:           8
        .value_kind:     global_buffer
      - .actual_access:  read_only
        .address_space:  global
        .offset:         80
        .size:           8
        .value_kind:     global_buffer
      - .offset:         88
        .size:           4
        .value_kind:     by_value
      - .offset:         92
        .size:           4
        .value_kind:     by_value
      - .offset:         96
        .size:           4
        .value_kind:     by_value
      - .offset:         100
        .size:           4
        .value_kind:     by_value
      - .offset:         104
        .size:           4
        .value_kind:     by_value
      - .offset:         112
        .size:           8
        .value_kind:     by_value
      - .offset:         120
        .size:           8
        .value_kind:     by_value
      - .offset:         128
        .size:           8
        .value_kind:     by_value
    .group_segment_fixed_size: 40960
    .kernarg_segment_align: 8
    .kernarg_segment_size: 136
    .language:       OpenCL C
    .language_version:
      - 2
      - 0
    .max_flat_workgroup_size: 256
    .name:           _ZN12_GLOBAL__N_139chunk_gated_delta_rule_fwd_h_hip_kernelILi16ELb1ELb1ELb0ELb1ELb1ELb1ELb0ELb0EEEvPK12hip_bfloat16S3_S3_PKfS5_PKvPS1_S8_PvPKiSB_iiiiilll
    .private_segment_fixed_size: 0
    .sgpr_count:     71
    .sgpr_spill_count: 0
    .symbol:         _ZN12_GLOBAL__N_139chunk_gated_delta_rule_fwd_h_hip_kernelILi16ELb1ELb1ELb0ELb1ELb1ELb1ELb0ELb0EEEvPK12hip_bfloat16S3_S3_PKfS5_PKvPS1_S8_PvPKiSB_iiiiilll.kd
    .uniform_work_group_size: 1
    .uses_dynamic_stack: false
    .vgpr_count:     128
    .vgpr_spill_count: 0
    .wavefront_size: 64
  - .agpr_count:     12
    .args:
      - .actual_access:  read_only
        .address_space:  global
        .offset:         0
        .size:           8
        .value_kind:     global_buffer
      - .actual_access:  read_only
        .address_space:  global
        .offset:         8
        .size:           8
        .value_kind:     global_buffer
      - .actual_access:  read_only
        .address_space:  global
        .offset:         16
        .size:           8
        .value_kind:     global_buffer
      - .actual_access:  read_only
        .address_space:  global
        .offset:         24
        .size:           8
        .value_kind:     global_buffer
      - .actual_access:  read_only
        .address_space:  global
        .offset:         32
        .size:           8
        .value_kind:     global_buffer
      - .actual_access:  read_only
        .address_space:  global
        .offset:         40
        .size:           8
        .value_kind:     global_buffer
      - .actual_access:  write_only
        .address_space:  global
        .offset:         48
        .size:           8
        .value_kind:     global_buffer
      - .actual_access:  write_only
        .address_space:  global
        .offset:         56
        .size:           8
        .value_kind:     global_buffer
      - .actual_access:  read_only
        .address_space:  global
        .offset:         64
        .size:           8
        .value_kind:     global_buffer
      - .actual_access:  read_only
        .address_space:  global
        .offset:         72
        .size:           8
        .value_kind:     global_buffer
      - .actual_access:  read_only
        .address_space:  global
        .offset:         80
        .size:           8
        .value_kind:     global_buffer
      - .offset:         88
        .size:           4
        .value_kind:     by_value
      - .offset:         92
        .size:           4
        .value_kind:     by_value
      - .offset:         96
        .size:           4
        .value_kind:     by_value
      - .offset:         100
        .size:           4
        .value_kind:     by_value
      - .offset:         104
        .size:           4
        .value_kind:     by_value
      - .offset:         112
        .size:           8
        .value_kind:     by_value
      - .offset:         120
        .size:           8
        .value_kind:     by_value
      - .offset:         128
        .size:           8
        .value_kind:     by_value
    .group_segment_fixed_size: 40960
    .kernarg_segment_align: 8
    .kernarg_segment_size: 136
    .language:       OpenCL C
    .language_version:
      - 2
      - 0
    .max_flat_workgroup_size: 256
    .name:           _ZN12_GLOBAL__N_139chunk_gated_delta_rule_fwd_h_hip_kernelILi16ELb1ELb0ELb1ELb1ELb1ELb1ELb0ELb0EEEvPK12hip_bfloat16S3_S3_PKfS5_PKvPS1_S8_PvPKiSB_iiiiilll
    .private_segment_fixed_size: 0
    .sgpr_count:     69
    .sgpr_spill_count: 0
    .symbol:         _ZN12_GLOBAL__N_139chunk_gated_delta_rule_fwd_h_hip_kernelILi16ELb1ELb0ELb1ELb1ELb1ELb1ELb0ELb0EEEvPK12hip_bfloat16S3_S3_PKfS5_PKvPS1_S8_PvPKiSB_iiiiilll.kd
    .uniform_work_group_size: 1
    .uses_dynamic_stack: false
    .vgpr_count:     128
    .vgpr_spill_count: 0
    .wavefront_size: 64
  - .agpr_count:     12
    .args:
      - .actual_access:  read_only
        .address_space:  global
        .offset:         0
        .size:           8
        .value_kind:     global_buffer
      - .actual_access:  read_only
        .address_space:  global
        .offset:         8
        .size:           8
        .value_kind:     global_buffer
      - .actual_access:  read_only
        .address_space:  global
        .offset:         16
        .size:           8
        .value_kind:     global_buffer
      - .actual_access:  read_only
        .address_space:  global
        .offset:         24
        .size:           8
        .value_kind:     global_buffer
      - .actual_access:  read_only
        .address_space:  global
        .offset:         32
        .size:           8
        .value_kind:     global_buffer
      - .actual_access:  read_only
        .address_space:  global
        .offset:         40
        .size:           8
        .value_kind:     global_buffer
      - .actual_access:  write_only
        .address_space:  global
        .offset:         48
        .size:           8
        .value_kind:     global_buffer
      - .actual_access:  read_only
        .address_space:  global
        .offset:         56
        .size:           8
        .value_kind:     global_buffer
      - .actual_access:  read_only
        .address_space:  global
        .offset:         64
        .size:           8
        .value_kind:     global_buffer
      - .actual_access:  read_only
        .address_space:  global
        .offset:         72
        .size:           8
        .value_kind:     global_buffer
      - .actual_access:  read_only
        .address_space:  global
        .offset:         80
        .size:           8
        .value_kind:     global_buffer
      - .offset:         88
        .size:           4
        .value_kind:     by_value
      - .offset:         92
        .size:           4
        .value_kind:     by_value
      - .offset:         96
        .size:           4
        .value_kind:     by_value
      - .offset:         100
        .size:           4
        .value_kind:     by_value
      - .offset:         104
        .size:           4
        .value_kind:     by_value
      - .offset:         112
        .size:           8
        .value_kind:     by_value
      - .offset:         120
        .size:           8
        .value_kind:     by_value
      - .offset:         128
        .size:           8
        .value_kind:     by_value
    .group_segment_fixed_size: 40960
    .kernarg_segment_align: 8
    .kernarg_segment_size: 136
    .language:       OpenCL C
    .language_version:
      - 2
      - 0
    .max_flat_workgroup_size: 256
    .name:           _ZN12_GLOBAL__N_139chunk_gated_delta_rule_fwd_h_hip_kernelILi16ELb1ELb0ELb0ELb1ELb1ELb1ELb0ELb0EEEvPK12hip_bfloat16S3_S3_PKfS5_PKvPS1_S8_PvPKiSB_iiiiilll
    .private_segment_fixed_size: 0
    .sgpr_count:     67
    .sgpr_spill_count: 0
    .symbol:         _ZN12_GLOBAL__N_139chunk_gated_delta_rule_fwd_h_hip_kernelILi16ELb1ELb0ELb0ELb1ELb1ELb1ELb0ELb0EEEvPK12hip_bfloat16S3_S3_PKfS5_PKvPS1_S8_PvPKiSB_iiiiilll.kd
    .uniform_work_group_size: 1
    .uses_dynamic_stack: false
    .vgpr_count:     124
    .vgpr_spill_count: 0
    .wavefront_size: 64
  - .agpr_count:     12
    .args:
      - .actual_access:  read_only
        .address_space:  global
        .offset:         0
        .size:           8
        .value_kind:     global_buffer
      - .actual_access:  read_only
        .address_space:  global
        .offset:         8
        .size:           8
        .value_kind:     global_buffer
      - .actual_access:  read_only
        .address_space:  global
        .offset:         16
        .size:           8
        .value_kind:     global_buffer
      - .actual_access:  read_only
        .address_space:  global
        .offset:         24
        .size:           8
        .value_kind:     global_buffer
      - .actual_access:  read_only
        .address_space:  global
        .offset:         32
        .size:           8
        .value_kind:     global_buffer
      - .actual_access:  read_only
        .address_space:  global
        .offset:         40
        .size:           8
        .value_kind:     global_buffer
      - .actual_access:  write_only
        .address_space:  global
        .offset:         48
        .size:           8
        .value_kind:     global_buffer
      - .actual_access:  write_only
        .address_space:  global
        .offset:         56
        .size:           8
        .value_kind:     global_buffer
      - .actual_access:  write_only
        .address_space:  global
        .offset:         64
        .size:           8
        .value_kind:     global_buffer
      - .actual_access:  read_only
        .address_space:  global
        .offset:         72
        .size:           8
        .value_kind:     global_buffer
      - .actual_access:  read_only
        .address_space:  global
        .offset:         80
        .size:           8
        .value_kind:     global_buffer
      - .offset:         88
        .size:           4
        .value_kind:     by_value
      - .offset:         92
        .size:           4
        .value_kind:     by_value
      - .offset:         96
        .size:           4
        .value_kind:     by_value
      - .offset:         100
        .size:           4
        .value_kind:     by_value
      - .offset:         104
        .size:           4
        .value_kind:     by_value
      - .offset:         112
        .size:           8
        .value_kind:     by_value
      - .offset:         120
        .size:           8
        .value_kind:     by_value
      - .offset:         128
        .size:           8
        .value_kind:     by_value
    .group_segment_fixed_size: 40960
    .kernarg_segment_align: 8
    .kernarg_segment_size: 136
    .language:       OpenCL C
    .language_version:
      - 2
      - 0
    .max_flat_workgroup_size: 256
    .name:           _ZN12_GLOBAL__N_139chunk_gated_delta_rule_fwd_h_hip_kernelILi16ELb0ELb1ELb1ELb1ELb1ELb1ELb0ELb0EEEvPK12hip_bfloat16S3_S3_PKfS5_PKvPS1_S8_PvPKiSB_iiiiilll
    .private_segment_fixed_size: 0
    .sgpr_count:     76
    .sgpr_spill_count: 0
    .symbol:         _ZN12_GLOBAL__N_139chunk_gated_delta_rule_fwd_h_hip_kernelILi16ELb0ELb1ELb1ELb1ELb1ELb1ELb0ELb0EEEvPK12hip_bfloat16S3_S3_PKfS5_PKvPS1_S8_PvPKiSB_iiiiilll.kd
    .uniform_work_group_size: 1
    .uses_dynamic_stack: false
    .vgpr_count:     128
    .vgpr_spill_count: 0
    .wavefront_size: 64
  - .agpr_count:     12
    .args:
      - .actual_access:  read_only
        .address_space:  global
        .offset:         0
        .size:           8
        .value_kind:     global_buffer
      - .actual_access:  read_only
        .address_space:  global
        .offset:         8
        .size:           8
        .value_kind:     global_buffer
      - .actual_access:  read_only
        .address_space:  global
        .offset:         16
        .size:           8
        .value_kind:     global_buffer
      - .actual_access:  read_only
        .address_space:  global
        .offset:         24
        .size:           8
        .value_kind:     global_buffer
      - .actual_access:  read_only
        .address_space:  global
        .offset:         32
        .size:           8
        .value_kind:     global_buffer
      - .actual_access:  read_only
        .address_space:  global
        .offset:         40
        .size:           8
        .value_kind:     global_buffer
      - .actual_access:  write_only
        .address_space:  global
        .offset:         48
        .size:           8
        .value_kind:     global_buffer
      - .actual_access:  read_only
        .address_space:  global
        .offset:         56
        .size:           8
        .value_kind:     global_buffer
      - .actual_access:  write_only
        .address_space:  global
        .offset:         64
        .size:           8
        .value_kind:     global_buffer
      - .actual_access:  read_only
        .address_space:  global
        .offset:         72
        .size:           8
        .value_kind:     global_buffer
      - .actual_access:  read_only
        .address_space:  global
        .offset:         80
        .size:           8
        .value_kind:     global_buffer
      - .offset:         88
        .size:           4
        .value_kind:     by_value
      - .offset:         92
        .size:           4
        .value_kind:     by_value
      - .offset:         96
        .size:           4
        .value_kind:     by_value
      - .offset:         100
        .size:           4
        .value_kind:     by_value
      - .offset:         104
        .size:           4
        .value_kind:     by_value
      - .offset:         112
        .size:           8
        .value_kind:     by_value
      - .offset:         120
        .size:           8
        .value_kind:     by_value
      - .offset:         128
        .size:           8
        .value_kind:     by_value
    .group_segment_fixed_size: 40960
    .kernarg_segment_align: 8
    .kernarg_segment_size: 136
    .language:       OpenCL C
    .language_version:
      - 2
      - 0
    .max_flat_workgroup_size: 256
    .name:           _ZN12_GLOBAL__N_139chunk_gated_delta_rule_fwd_h_hip_kernelILi16ELb0ELb1ELb0ELb1ELb1ELb1ELb0ELb0EEEvPK12hip_bfloat16S3_S3_PKfS5_PKvPS1_S8_PvPKiSB_iiiiilll
    .private_segment_fixed_size: 0
    .sgpr_count:     71
    .sgpr_spill_count: 0
    .symbol:         _ZN12_GLOBAL__N_139chunk_gated_delta_rule_fwd_h_hip_kernelILi16ELb0ELb1ELb0ELb1ELb1ELb1ELb0ELb0EEEvPK12hip_bfloat16S3_S3_PKfS5_PKvPS1_S8_PvPKiSB_iiiiilll.kd
    .uniform_work_group_size: 1
    .uses_dynamic_stack: false
    .vgpr_count:     124
    .vgpr_spill_count: 0
    .wavefront_size: 64
  - .agpr_count:     12
    .args:
      - .actual_access:  read_only
        .address_space:  global
        .offset:         0
        .size:           8
        .value_kind:     global_buffer
      - .actual_access:  read_only
        .address_space:  global
        .offset:         8
        .size:           8
        .value_kind:     global_buffer
      - .actual_access:  read_only
        .address_space:  global
        .offset:         16
        .size:           8
        .value_kind:     global_buffer
      - .actual_access:  read_only
        .address_space:  global
        .offset:         24
        .size:           8
        .value_kind:     global_buffer
      - .actual_access:  read_only
        .address_space:  global
        .offset:         32
        .size:           8
        .value_kind:     global_buffer
      - .actual_access:  read_only
        .address_space:  global
        .offset:         40
        .size:           8
        .value_kind:     global_buffer
      - .actual_access:  write_only
        .address_space:  global
        .offset:         48
        .size:           8
        .value_kind:     global_buffer
      - .actual_access:  write_only
        .address_space:  global
        .offset:         56
        .size:           8
        .value_kind:     global_buffer
      - .actual_access:  read_only
        .address_space:  global
        .offset:         64
        .size:           8
        .value_kind:     global_buffer
      - .actual_access:  read_only
        .address_space:  global
        .offset:         72
        .size:           8
        .value_kind:     global_buffer
      - .actual_access:  read_only
        .address_space:  global
        .offset:         80
        .size:           8
        .value_kind:     global_buffer
      - .offset:         88
        .size:           4
        .value_kind:     by_value
      - .offset:         92
        .size:           4
        .value_kind:     by_value
      - .offset:         96
        .size:           4
        .value_kind:     by_value
      - .offset:         100
        .size:           4
        .value_kind:     by_value
      - .offset:         104
        .size:           4
        .value_kind:     by_value
      - .offset:         112
        .size:           8
        .value_kind:     by_value
      - .offset:         120
        .size:           8
        .value_kind:     by_value
      - .offset:         128
        .size:           8
        .value_kind:     by_value
    .group_segment_fixed_size: 40960
    .kernarg_segment_align: 8
    .kernarg_segment_size: 136
    .language:       OpenCL C
    .language_version:
      - 2
      - 0
    .max_flat_workgroup_size: 256
    .name:           _ZN12_GLOBAL__N_139chunk_gated_delta_rule_fwd_h_hip_kernelILi16ELb0ELb0ELb1ELb1ELb1ELb1ELb0ELb0EEEvPK12hip_bfloat16S3_S3_PKfS5_PKvPS1_S8_PvPKiSB_iiiiilll
    .private_segment_fixed_size: 0
    .sgpr_count:     68
    .sgpr_spill_count: 0
    .symbol:         _ZN12_GLOBAL__N_139chunk_gated_delta_rule_fwd_h_hip_kernelILi16ELb0ELb0ELb1ELb1ELb1ELb1ELb0ELb0EEEvPK12hip_bfloat16S3_S3_PKfS5_PKvPS1_S8_PvPKiSB_iiiiilll.kd
    .uniform_work_group_size: 1
    .uses_dynamic_stack: false
    .vgpr_count:     128
    .vgpr_spill_count: 0
    .wavefront_size: 64
  - .agpr_count:     12
    .args:
      - .actual_access:  read_only
        .address_space:  global
        .offset:         0
        .size:           8
        .value_kind:     global_buffer
      - .actual_access:  read_only
        .address_space:  global
        .offset:         8
        .size:           8
        .value_kind:     global_buffer
      - .actual_access:  read_only
        .address_space:  global
        .offset:         16
        .size:           8
        .value_kind:     global_buffer
      - .actual_access:  read_only
        .address_space:  global
        .offset:         24
        .size:           8
        .value_kind:     global_buffer
      - .actual_access:  read_only
        .address_space:  global
        .offset:         32
        .size:           8
        .value_kind:     global_buffer
      - .actual_access:  read_only
        .address_space:  global
        .offset:         40
        .size:           8
        .value_kind:     global_buffer
      - .actual_access:  write_only
        .address_space:  global
        .offset:         48
        .size:           8
        .value_kind:     global_buffer
      - .actual_access:  read_only
        .address_space:  global
        .offset:         56
        .size:           8
        .value_kind:     global_buffer
      - .actual_access:  read_only
        .address_space:  global
        .offset:         64
        .size:           8
        .value_kind:     global_buffer
      - .actual_access:  read_only
        .address_space:  global
        .offset:         72
        .size:           8
        .value_kind:     global_buffer
      - .actual_access:  read_only
        .address_space:  global
        .offset:         80
        .size:           8
        .value_kind:     global_buffer
      - .offset:         88
        .size:           4
        .value_kind:     by_value
      - .offset:         92
        .size:           4
        .value_kind:     by_value
      - .offset:         96
        .size:           4
        .value_kind:     by_value
      - .offset:         100
        .size:           4
        .value_kind:     by_value
      - .offset:         104
        .size:           4
        .value_kind:     by_value
      - .offset:         112
        .size:           8
        .value_kind:     by_value
      - .offset:         120
        .size:           8
        .value_kind:     by_value
      - .offset:         128
        .size:           8
        .value_kind:     by_value
    .group_segment_fixed_size: 40960
    .kernarg_segment_align: 8
    .kernarg_segment_size: 136
    .language:       OpenCL C
    .language_version:
      - 2
      - 0
    .max_flat_workgroup_size: 256
    .name:           _ZN12_GLOBAL__N_139chunk_gated_delta_rule_fwd_h_hip_kernelILi16ELb0ELb0ELb0ELb1ELb1ELb1ELb0ELb0EEEvPK12hip_bfloat16S3_S3_PKfS5_PKvPS1_S8_PvPKiSB_iiiiilll
    .private_segment_fixed_size: 0
    .sgpr_count:     66
    .sgpr_spill_count: 0
    .symbol:         _ZN12_GLOBAL__N_139chunk_gated_delta_rule_fwd_h_hip_kernelILi16ELb0ELb0ELb0ELb1ELb1ELb1ELb0ELb0EEEvPK12hip_bfloat16S3_S3_PKfS5_PKvPS1_S8_PvPKiSB_iiiiilll.kd
    .uniform_work_group_size: 1
    .uses_dynamic_stack: false
    .vgpr_count:     124
    .vgpr_spill_count: 0
    .wavefront_size: 64
  - .agpr_count:     12
    .args:
      - .actual_access:  read_only
        .address_space:  global
        .offset:         0
        .size:           8
        .value_kind:     global_buffer
      - .actual_access:  read_only
        .address_space:  global
        .offset:         8
        .size:           8
        .value_kind:     global_buffer
      - .actual_access:  read_only
        .address_space:  global
        .offset:         16
        .size:           8
        .value_kind:     global_buffer
      - .actual_access:  read_only
        .address_space:  global
        .offset:         24
        .size:           8
        .value_kind:     global_buffer
      - .actual_access:  read_only
        .address_space:  global
        .offset:         32
        .size:           8
        .value_kind:     global_buffer
      - .actual_access:  read_only
        .address_space:  global
        .offset:         40
        .size:           8
        .value_kind:     global_buffer
      - .actual_access:  write_only
        .address_space:  global
        .offset:         48
        .size:           8
        .value_kind:     global_buffer
      - .actual_access:  write_only
        .address_space:  global
        .offset:         56
        .size:           8
        .value_kind:     global_buffer
      - .actual_access:  write_only
        .address_space:  global
        .offset:         64
        .size:           8
        .value_kind:     global_buffer
      - .actual_access:  read_only
        .address_space:  global
        .offset:         72
        .size:           8
        .value_kind:     global_buffer
      - .actual_access:  read_only
        .address_space:  global
        .offset:         80
        .size:           8
        .value_kind:     global_buffer
      - .offset:         88
        .size:           4
        .value_kind:     by_value
      - .offset:         92
        .size:           4
        .value_kind:     by_value
      - .offset:         96
        .size:           4
        .value_kind:     by_value
      - .offset:         100
        .size:           4
        .value_kind:     by_value
      - .offset:         104
        .size:           4
        .value_kind:     by_value
      - .offset:         112
        .size:           8
        .value_kind:     by_value
      - .offset:         120
        .size:           8
        .value_kind:     by_value
      - .offset:         128
        .size:           8
        .value_kind:     by_value
    .group_segment_fixed_size: 40960
    .kernarg_segment_align: 8
    .kernarg_segment_size: 136
    .language:       OpenCL C
    .language_version:
      - 2
      - 0
    .max_flat_workgroup_size: 256
    .name:           _ZN12_GLOBAL__N_139chunk_gated_delta_rule_fwd_h_hip_kernelILi16ELb1ELb1ELb1ELb0ELb1ELb1ELb0ELb0EEEvPK12hip_bfloat16S3_S3_PKfS5_PKvPS1_S8_PvPKiSB_iiiiilll
    .private_segment_fixed_size: 0
    .sgpr_count:     82
    .sgpr_spill_count: 0
    .symbol:         _ZN12_GLOBAL__N_139chunk_gated_delta_rule_fwd_h_hip_kernelILi16ELb1ELb1ELb1ELb0ELb1ELb1ELb0ELb0EEEvPK12hip_bfloat16S3_S3_PKfS5_PKvPS1_S8_PvPKiSB_iiiiilll.kd
    .uniform_work_group_size: 1
    .uses_dynamic_stack: false
    .vgpr_count:     132
    .vgpr_spill_count: 0
    .wavefront_size: 64
  - .agpr_count:     12
    .args:
      - .actual_access:  read_only
        .address_space:  global
        .offset:         0
        .size:           8
        .value_kind:     global_buffer
      - .actual_access:  read_only
        .address_space:  global
        .offset:         8
        .size:           8
        .value_kind:     global_buffer
      - .actual_access:  read_only
        .address_space:  global
        .offset:         16
        .size:           8
        .value_kind:     global_buffer
      - .actual_access:  read_only
        .address_space:  global
        .offset:         24
        .size:           8
        .value_kind:     global_buffer
      - .actual_access:  read_only
        .address_space:  global
        .offset:         32
        .size:           8
        .value_kind:     global_buffer
      - .actual_access:  read_only
        .address_space:  global
        .offset:         40
        .size:           8
        .value_kind:     global_buffer
      - .actual_access:  write_only
        .address_space:  global
        .offset:         48
        .size:           8
        .value_kind:     global_buffer
      - .actual_access:  read_only
        .address_space:  global
        .offset:         56
        .size:           8
        .value_kind:     global_buffer
      - .actual_access:  write_only
        .address_space:  global
        .offset:         64
        .size:           8
        .value_kind:     global_buffer
      - .actual_access:  read_only
        .address_space:  global
        .offset:         72
        .size:           8
        .value_kind:     global_buffer
      - .actual_access:  read_only
        .address_space:  global
        .offset:         80
        .size:           8
        .value_kind:     global_buffer
      - .offset:         88
        .size:           4
        .value_kind:     by_value
      - .offset:         92
        .size:           4
        .value_kind:     by_value
      - .offset:         96
        .size:           4
        .value_kind:     by_value
      - .offset:         100
        .size:           4
        .value_kind:     by_value
      - .offset:         104
        .size:           4
        .value_kind:     by_value
      - .offset:         112
        .size:           8
        .value_kind:     by_value
      - .offset:         120
        .size:           8
        .value_kind:     by_value
      - .offset:         128
        .size:           8
        .value_kind:     by_value
    .group_segment_fixed_size: 40960
    .kernarg_segment_align: 8
    .kernarg_segment_size: 136
    .language:       OpenCL C
    .language_version:
      - 2
      - 0
    .max_flat_workgroup_size: 256
    .name:           _ZN12_GLOBAL__N_139chunk_gated_delta_rule_fwd_h_hip_kernelILi16ELb1ELb1ELb0ELb0ELb1ELb1ELb0ELb0EEEvPK12hip_bfloat16S3_S3_PKfS5_PKvPS1_S8_PvPKiSB_iiiiilll
    .private_segment_fixed_size: 0
    .sgpr_count:     77
    .sgpr_spill_count: 0
    .symbol:         _ZN12_GLOBAL__N_139chunk_gated_delta_rule_fwd_h_hip_kernelILi16ELb1ELb1ELb0ELb0ELb1ELb1ELb0ELb0EEEvPK12hip_bfloat16S3_S3_PKfS5_PKvPS1_S8_PvPKiSB_iiiiilll.kd
    .uniform_work_group_size: 1
    .uses_dynamic_stack: false
    .vgpr_count:     128
    .vgpr_spill_count: 0
    .wavefront_size: 64
  - .agpr_count:     12
    .args:
      - .actual_access:  read_only
        .address_space:  global
        .offset:         0
        .size:           8
        .value_kind:     global_buffer
      - .actual_access:  read_only
        .address_space:  global
        .offset:         8
        .size:           8
        .value_kind:     global_buffer
      - .actual_access:  read_only
        .address_space:  global
        .offset:         16
        .size:           8
        .value_kind:     global_buffer
      - .actual_access:  read_only
        .address_space:  global
        .offset:         24
        .size:           8
        .value_kind:     global_buffer
      - .actual_access:  read_only
        .address_space:  global
        .offset:         32
        .size:           8
        .value_kind:     global_buffer
      - .actual_access:  read_only
        .address_space:  global
        .offset:         40
        .size:           8
        .value_kind:     global_buffer
      - .actual_access:  write_only
        .address_space:  global
        .offset:         48
        .size:           8
        .value_kind:     global_buffer
      - .actual_access:  write_only
        .address_space:  global
        .offset:         56
        .size:           8
        .value_kind:     global_buffer
      - .actual_access:  read_only
        .address_space:  global
        .offset:         64
        .size:           8
        .value_kind:     global_buffer
      - .actual_access:  read_only
        .address_space:  global
        .offset:         72
        .size:           8
        .value_kind:     global_buffer
      - .actual_access:  read_only
        .address_space:  global
        .offset:         80
        .size:           8
        .value_kind:     global_buffer
      - .offset:         88
        .size:           4
        .value_kind:     by_value
      - .offset:         92
        .size:           4
        .value_kind:     by_value
      - .offset:         96
        .size:           4
        .value_kind:     by_value
      - .offset:         100
        .size:           4
        .value_kind:     by_value
      - .offset:         104
        .size:           4
        .value_kind:     by_value
      - .offset:         112
        .size:           8
        .value_kind:     by_value
      - .offset:         120
        .size:           8
        .value_kind:     by_value
      - .offset:         128
        .size:           8
        .value_kind:     by_value
    .group_segment_fixed_size: 40960
    .kernarg_segment_align: 8
    .kernarg_segment_size: 136
    .language:       OpenCL C
    .language_version:
      - 2
      - 0
    .max_flat_workgroup_size: 256
    .name:           _ZN12_GLOBAL__N_139chunk_gated_delta_rule_fwd_h_hip_kernelILi16ELb1ELb0ELb1ELb0ELb1ELb1ELb0ELb0EEEvPK12hip_bfloat16S3_S3_PKfS5_PKvPS1_S8_PvPKiSB_iiiiilll
    .private_segment_fixed_size: 0
    .sgpr_count:     78
    .sgpr_spill_count: 0
    .symbol:         _ZN12_GLOBAL__N_139chunk_gated_delta_rule_fwd_h_hip_kernelILi16ELb1ELb0ELb1ELb0ELb1ELb1ELb0ELb0EEEvPK12hip_bfloat16S3_S3_PKfS5_PKvPS1_S8_PvPKiSB_iiiiilll.kd
    .uniform_work_group_size: 1
    .uses_dynamic_stack: false
    .vgpr_count:     128
    .vgpr_spill_count: 0
    .wavefront_size: 64
  - .agpr_count:     12
    .args:
      - .actual_access:  read_only
        .address_space:  global
        .offset:         0
        .size:           8
        .value_kind:     global_buffer
      - .actual_access:  read_only
        .address_space:  global
        .offset:         8
        .size:           8
        .value_kind:     global_buffer
      - .actual_access:  read_only
        .address_space:  global
        .offset:         16
        .size:           8
        .value_kind:     global_buffer
      - .actual_access:  read_only
        .address_space:  global
        .offset:         24
        .size:           8
        .value_kind:     global_buffer
      - .actual_access:  read_only
        .address_space:  global
        .offset:         32
        .size:           8
        .value_kind:     global_buffer
      - .actual_access:  read_only
        .address_space:  global
        .offset:         40
        .size:           8
        .value_kind:     global_buffer
      - .actual_access:  write_only
        .address_space:  global
        .offset:         48
        .size:           8
        .value_kind:     global_buffer
      - .actual_access:  read_only
        .address_space:  global
        .offset:         56
        .size:           8
        .value_kind:     global_buffer
      - .actual_access:  read_only
        .address_space:  global
        .offset:         64
        .size:           8
        .value_kind:     global_buffer
      - .actual_access:  read_only
        .address_space:  global
        .offset:         72
        .size:           8
        .value_kind:     global_buffer
      - .actual_access:  read_only
        .address_space:  global
        .offset:         80
        .size:           8
        .value_kind:     global_buffer
      - .offset:         88
        .size:           4
        .value_kind:     by_value
      - .offset:         92
        .size:           4
        .value_kind:     by_value
      - .offset:         96
        .size:           4
        .value_kind:     by_value
      - .offset:         100
        .size:           4
        .value_kind:     by_value
      - .offset:         104
        .size:           4
        .value_kind:     by_value
      - .offset:         112
        .size:           8
        .value_kind:     by_value
      - .offset:         120
        .size:           8
        .value_kind:     by_value
      - .offset:         128
        .size:           8
        .value_kind:     by_value
    .group_segment_fixed_size: 40960
    .kernarg_segment_align: 8
    .kernarg_segment_size: 136
    .language:       OpenCL C
    .language_version:
      - 2
      - 0
    .max_flat_workgroup_size: 256
    .name:           _ZN12_GLOBAL__N_139chunk_gated_delta_rule_fwd_h_hip_kernelILi16ELb1ELb0ELb0ELb0ELb1ELb1ELb0ELb0EEEvPK12hip_bfloat16S3_S3_PKfS5_PKvPS1_S8_PvPKiSB_iiiiilll
    .private_segment_fixed_size: 0
    .sgpr_count:     73
    .sgpr_spill_count: 0
    .symbol:         _ZN12_GLOBAL__N_139chunk_gated_delta_rule_fwd_h_hip_kernelILi16ELb1ELb0ELb0ELb0ELb1ELb1ELb0ELb0EEEvPK12hip_bfloat16S3_S3_PKfS5_PKvPS1_S8_PvPKiSB_iiiiilll.kd
    .uniform_work_group_size: 1
    .uses_dynamic_stack: false
    .vgpr_count:     124
    .vgpr_spill_count: 0
    .wavefront_size: 64
  - .agpr_count:     12
    .args:
      - .actual_access:  read_only
        .address_space:  global
        .offset:         0
        .size:           8
        .value_kind:     global_buffer
      - .actual_access:  read_only
        .address_space:  global
        .offset:         8
        .size:           8
        .value_kind:     global_buffer
      - .actual_access:  read_only
        .address_space:  global
        .offset:         16
        .size:           8
        .value_kind:     global_buffer
      - .actual_access:  read_only
        .address_space:  global
        .offset:         24
        .size:           8
        .value_kind:     global_buffer
      - .actual_access:  read_only
        .address_space:  global
        .offset:         32
        .size:           8
        .value_kind:     global_buffer
      - .actual_access:  read_only
        .address_space:  global
        .offset:         40
        .size:           8
        .value_kind:     global_buffer
      - .actual_access:  write_only
        .address_space:  global
        .offset:         48
        .size:           8
        .value_kind:     global_buffer
      - .actual_access:  write_only
        .address_space:  global
        .offset:         56
        .size:           8
        .value_kind:     global_buffer
      - .actual_access:  write_only
        .address_space:  global
        .offset:         64
        .size:           8
        .value_kind:     global_buffer
      - .actual_access:  read_only
        .address_space:  global
        .offset:         72
        .size:           8
        .value_kind:     global_buffer
      - .actual_access:  read_only
        .address_space:  global
        .offset:         80
        .size:           8
        .value_kind:     global_buffer
      - .offset:         88
        .size:           4
        .value_kind:     by_value
      - .offset:         92
        .size:           4
        .value_kind:     by_value
      - .offset:         96
        .size:           4
        .value_kind:     by_value
      - .offset:         100
        .size:           4
        .value_kind:     by_value
      - .offset:         104
        .size:           4
        .value_kind:     by_value
      - .offset:         112
        .size:           8
        .value_kind:     by_value
      - .offset:         120
        .size:           8
        .value_kind:     by_value
      - .offset:         128
        .size:           8
        .value_kind:     by_value
    .group_segment_fixed_size: 40960
    .kernarg_segment_align: 8
    .kernarg_segment_size: 136
    .language:       OpenCL C
    .language_version:
      - 2
      - 0
    .max_flat_workgroup_size: 256
    .name:           _ZN12_GLOBAL__N_139chunk_gated_delta_rule_fwd_h_hip_kernelILi16ELb0ELb1ELb1ELb0ELb1ELb1ELb0ELb0EEEvPK12hip_bfloat16S3_S3_PKfS5_PKvPS1_S8_PvPKiSB_iiiiilll
    .private_segment_fixed_size: 0
    .sgpr_count:     76
    .sgpr_spill_count: 0
    .symbol:         _ZN12_GLOBAL__N_139chunk_gated_delta_rule_fwd_h_hip_kernelILi16ELb0ELb1ELb1ELb0ELb1ELb1ELb0ELb0EEEvPK12hip_bfloat16S3_S3_PKfS5_PKvPS1_S8_PvPKiSB_iiiiilll.kd
    .uniform_work_group_size: 1
    .uses_dynamic_stack: false
    .vgpr_count:     128
    .vgpr_spill_count: 0
    .wavefront_size: 64
  - .agpr_count:     12
    .args:
      - .actual_access:  read_only
        .address_space:  global
        .offset:         0
        .size:           8
        .value_kind:     global_buffer
      - .actual_access:  read_only
        .address_space:  global
        .offset:         8
        .size:           8
        .value_kind:     global_buffer
      - .actual_access:  read_only
        .address_space:  global
        .offset:         16
        .size:           8
        .value_kind:     global_buffer
      - .actual_access:  read_only
        .address_space:  global
        .offset:         24
        .size:           8
        .value_kind:     global_buffer
      - .actual_access:  read_only
        .address_space:  global
        .offset:         32
        .size:           8
        .value_kind:     global_buffer
      - .actual_access:  read_only
        .address_space:  global
        .offset:         40
        .size:           8
        .value_kind:     global_buffer
      - .actual_access:  write_only
        .address_space:  global
        .offset:         48
        .size:           8
        .value_kind:     global_buffer
      - .actual_access:  read_only
        .address_space:  global
        .offset:         56
        .size:           8
        .value_kind:     global_buffer
      - .actual_access:  write_only
        .address_space:  global
        .offset:         64
        .size:           8
        .value_kind:     global_buffer
      - .actual_access:  read_only
        .address_space:  global
        .offset:         72
        .size:           8
        .value_kind:     global_buffer
      - .actual_access:  read_only
        .address_space:  global
        .offset:         80
        .size:           8
        .value_kind:     global_buffer
      - .offset:         88
        .size:           4
        .value_kind:     by_value
      - .offset:         92
        .size:           4
        .value_kind:     by_value
      - .offset:         96
        .size:           4
        .value_kind:     by_value
      - .offset:         100
        .size:           4
        .value_kind:     by_value
      - .offset:         104
        .size:           4
        .value_kind:     by_value
      - .offset:         112
        .size:           8
        .value_kind:     by_value
      - .offset:         120
        .size:           8
        .value_kind:     by_value
      - .offset:         128
        .size:           8
        .value_kind:     by_value
    .group_segment_fixed_size: 40960
    .kernarg_segment_align: 8
    .kernarg_segment_size: 136
    .language:       OpenCL C
    .language_version:
      - 2
      - 0
    .max_flat_workgroup_size: 256
    .name:           _ZN12_GLOBAL__N_139chunk_gated_delta_rule_fwd_h_hip_kernelILi16ELb0ELb1ELb0ELb0ELb1ELb1ELb0ELb0EEEvPK12hip_bfloat16S3_S3_PKfS5_PKvPS1_S8_PvPKiSB_iiiiilll
    .private_segment_fixed_size: 0
    .sgpr_count:     72
    .sgpr_spill_count: 0
    .symbol:         _ZN12_GLOBAL__N_139chunk_gated_delta_rule_fwd_h_hip_kernelILi16ELb0ELb1ELb0ELb0ELb1ELb1ELb0ELb0EEEvPK12hip_bfloat16S3_S3_PKfS5_PKvPS1_S8_PvPKiSB_iiiiilll.kd
    .uniform_work_group_size: 1
    .uses_dynamic_stack: false
    .vgpr_count:     124
    .vgpr_spill_count: 0
    .wavefront_size: 64
  - .agpr_count:     12
    .args:
      - .actual_access:  read_only
        .address_space:  global
        .offset:         0
        .size:           8
        .value_kind:     global_buffer
      - .actual_access:  read_only
        .address_space:  global
        .offset:         8
        .size:           8
        .value_kind:     global_buffer
      - .actual_access:  read_only
        .address_space:  global
        .offset:         16
        .size:           8
        .value_kind:     global_buffer
      - .actual_access:  read_only
        .address_space:  global
        .offset:         24
        .size:           8
        .value_kind:     global_buffer
      - .actual_access:  read_only
        .address_space:  global
        .offset:         32
        .size:           8
        .value_kind:     global_buffer
      - .actual_access:  read_only
        .address_space:  global
        .offset:         40
        .size:           8
        .value_kind:     global_buffer
      - .actual_access:  write_only
        .address_space:  global
        .offset:         48
        .size:           8
        .value_kind:     global_buffer
      - .actual_access:  write_only
        .address_space:  global
        .offset:         56
        .size:           8
        .value_kind:     global_buffer
      - .actual_access:  read_only
        .address_space:  global
        .offset:         64
        .size:           8
        .value_kind:     global_buffer
      - .actual_access:  read_only
        .address_space:  global
        .offset:         72
        .size:           8
        .value_kind:     global_buffer
      - .actual_access:  read_only
        .address_space:  global
        .offset:         80
        .size:           8
        .value_kind:     global_buffer
      - .offset:         88
        .size:           4
        .value_kind:     by_value
      - .offset:         92
        .size:           4
        .value_kind:     by_value
      - .offset:         96
        .size:           4
        .value_kind:     by_value
      - .offset:         100
        .size:           4
        .value_kind:     by_value
      - .offset:         104
        .size:           4
        .value_kind:     by_value
      - .offset:         112
        .size:           8
        .value_kind:     by_value
      - .offset:         120
        .size:           8
        .value_kind:     by_value
      - .offset:         128
        .size:           8
        .value_kind:     by_value
    .group_segment_fixed_size: 40960
    .kernarg_segment_align: 8
    .kernarg_segment_size: 136
    .language:       OpenCL C
    .language_version:
      - 2
      - 0
    .max_flat_workgroup_size: 256
    .name:           _ZN12_GLOBAL__N_139chunk_gated_delta_rule_fwd_h_hip_kernelILi16ELb0ELb0ELb1ELb0ELb1ELb1ELb0ELb0EEEvPK12hip_bfloat16S3_S3_PKfS5_PKvPS1_S8_PvPKiSB_iiiiilll
    .private_segment_fixed_size: 0
    .sgpr_count:     74
    .sgpr_spill_count: 0
    .symbol:         _ZN12_GLOBAL__N_139chunk_gated_delta_rule_fwd_h_hip_kernelILi16ELb0ELb0ELb1ELb0ELb1ELb1ELb0ELb0EEEvPK12hip_bfloat16S3_S3_PKfS5_PKvPS1_S8_PvPKiSB_iiiiilll.kd
    .uniform_work_group_size: 1
    .uses_dynamic_stack: false
    .vgpr_count:     128
    .vgpr_spill_count: 0
    .wavefront_size: 64
  - .agpr_count:     12
    .args:
      - .actual_access:  read_only
        .address_space:  global
        .offset:         0
        .size:           8
        .value_kind:     global_buffer
      - .actual_access:  read_only
        .address_space:  global
        .offset:         8
        .size:           8
        .value_kind:     global_buffer
      - .actual_access:  read_only
        .address_space:  global
        .offset:         16
        .size:           8
        .value_kind:     global_buffer
      - .actual_access:  read_only
        .address_space:  global
        .offset:         24
        .size:           8
        .value_kind:     global_buffer
      - .actual_access:  read_only
        .address_space:  global
        .offset:         32
        .size:           8
        .value_kind:     global_buffer
      - .actual_access:  read_only
        .address_space:  global
        .offset:         40
        .size:           8
        .value_kind:     global_buffer
      - .actual_access:  write_only
        .address_space:  global
        .offset:         48
        .size:           8
        .value_kind:     global_buffer
      - .actual_access:  read_only
        .address_space:  global
        .offset:         56
        .size:           8
        .value_kind:     global_buffer
      - .actual_access:  read_only
        .address_space:  global
        .offset:         64
        .size:           8
        .value_kind:     global_buffer
      - .actual_access:  read_only
        .address_space:  global
        .offset:         72
        .size:           8
        .value_kind:     global_buffer
      - .actual_access:  read_only
        .address_space:  global
        .offset:         80
        .size:           8
        .value_kind:     global_buffer
      - .offset:         88
        .size:           4
        .value_kind:     by_value
      - .offset:         92
        .size:           4
        .value_kind:     by_value
      - .offset:         96
        .size:           4
        .value_kind:     by_value
      - .offset:         100
        .size:           4
        .value_kind:     by_value
      - .offset:         104
        .size:           4
        .value_kind:     by_value
      - .offset:         112
        .size:           8
        .value_kind:     by_value
      - .offset:         120
        .size:           8
        .value_kind:     by_value
      - .offset:         128
        .size:           8
        .value_kind:     by_value
    .group_segment_fixed_size: 40960
    .kernarg_segment_align: 8
    .kernarg_segment_size: 136
    .language:       OpenCL C
    .language_version:
      - 2
      - 0
    .max_flat_workgroup_size: 256
    .name:           _ZN12_GLOBAL__N_139chunk_gated_delta_rule_fwd_h_hip_kernelILi16ELb0ELb0ELb0ELb0ELb1ELb1ELb0ELb0EEEvPK12hip_bfloat16S3_S3_PKfS5_PKvPS1_S8_PvPKiSB_iiiiilll
    .private_segment_fixed_size: 0
    .sgpr_count:     70
    .sgpr_spill_count: 0
    .symbol:         _ZN12_GLOBAL__N_139chunk_gated_delta_rule_fwd_h_hip_kernelILi16ELb0ELb0ELb0ELb0ELb1ELb1ELb0ELb0EEEvPK12hip_bfloat16S3_S3_PKfS5_PKvPS1_S8_PvPKiSB_iiiiilll.kd
    .uniform_work_group_size: 1
    .uses_dynamic_stack: false
    .vgpr_count:     124
    .vgpr_spill_count: 0
    .wavefront_size: 64
  - .agpr_count:     8
    .args:
      - .actual_access:  read_only
        .address_space:  global
        .offset:         0
        .size:           8
        .value_kind:     global_buffer
      - .actual_access:  read_only
        .address_space:  global
        .offset:         8
        .size:           8
        .value_kind:     global_buffer
      - .actual_access:  read_only
        .address_space:  global
        .offset:         16
        .size:           8
        .value_kind:     global_buffer
      - .actual_access:  read_only
        .address_space:  global
        .offset:         24
        .size:           8
        .value_kind:     global_buffer
      - .actual_access:  read_only
        .address_space:  global
        .offset:         32
        .size:           8
        .value_kind:     global_buffer
      - .actual_access:  read_only
        .address_space:  global
        .offset:         40
        .size:           8
        .value_kind:     global_buffer
      - .actual_access:  write_only
        .address_space:  global
        .offset:         48
        .size:           8
        .value_kind:     global_buffer
      - .actual_access:  write_only
        .address_space:  global
        .offset:         56
        .size:           8
        .value_kind:     global_buffer
      - .actual_access:  write_only
        .address_space:  global
        .offset:         64
        .size:           8
        .value_kind:     global_buffer
      - .actual_access:  read_only
        .address_space:  global
        .offset:         72
        .size:           8
        .value_kind:     global_buffer
      - .actual_access:  read_only
        .address_space:  global
        .offset:         80
        .size:           8
        .value_kind:     global_buffer
      - .offset:         88
        .size:           4
        .value_kind:     by_value
      - .offset:         92
        .size:           4
        .value_kind:     by_value
      - .offset:         96
        .size:           4
        .value_kind:     by_value
      - .offset:         100
        .size:           4
        .value_kind:     by_value
      - .offset:         104
        .size:           4
        .value_kind:     by_value
      - .offset:         112
        .size:           8
        .value_kind:     by_value
      - .offset:         120
        .size:           8
        .value_kind:     by_value
      - .offset:         128
        .size:           8
        .value_kind:     by_value
    .group_segment_fixed_size: 40960
    .kernarg_segment_align: 8
    .kernarg_segment_size: 136
    .language:       OpenCL C
    .language_version:
      - 2
      - 0
    .max_flat_workgroup_size: 256
    .name:           _ZN12_GLOBAL__N_139chunk_gated_delta_rule_fwd_h_hip_kernelILi16ELb1ELb1ELb1ELb1ELb1ELb0ELb1ELb0EEEvPK12hip_bfloat16S3_S3_PKfS5_PKvPS1_S8_PvPKiSB_iiiiilll
    .private_segment_fixed_size: 0
    .sgpr_count:     74
    .sgpr_spill_count: 0
    .symbol:         _ZN12_GLOBAL__N_139chunk_gated_delta_rule_fwd_h_hip_kernelILi16ELb1ELb1ELb1ELb1ELb1ELb0ELb1ELb0EEEvPK12hip_bfloat16S3_S3_PKfS5_PKvPS1_S8_PvPKiSB_iiiiilll.kd
    .uniform_work_group_size: 1
    .uses_dynamic_stack: false
    .vgpr_count:     120
    .vgpr_spill_count: 0
    .wavefront_size: 64
  - .agpr_count:     8
    .args:
      - .actual_access:  read_only
        .address_space:  global
        .offset:         0
        .size:           8
        .value_kind:     global_buffer
      - .actual_access:  read_only
        .address_space:  global
        .offset:         8
        .size:           8
        .value_kind:     global_buffer
      - .actual_access:  read_only
        .address_space:  global
        .offset:         16
        .size:           8
        .value_kind:     global_buffer
      - .actual_access:  read_only
        .address_space:  global
        .offset:         24
        .size:           8
        .value_kind:     global_buffer
      - .actual_access:  read_only
        .address_space:  global
        .offset:         32
        .size:           8
        .value_kind:     global_buffer
      - .actual_access:  read_only
        .address_space:  global
        .offset:         40
        .size:           8
        .value_kind:     global_buffer
      - .actual_access:  write_only
        .address_space:  global
        .offset:         48
        .size:           8
        .value_kind:     global_buffer
      - .actual_access:  read_only
        .address_space:  global
        .offset:         56
        .size:           8
        .value_kind:     global_buffer
      - .actual_access:  write_only
        .address_space:  global
        .offset:         64
        .size:           8
        .value_kind:     global_buffer
      - .actual_access:  read_only
        .address_space:  global
        .offset:         72
        .size:           8
        .value_kind:     global_buffer
      - .actual_access:  read_only
        .address_space:  global
        .offset:         80
        .size:           8
        .value_kind:     global_buffer
      - .offset:         88
        .size:           4
        .value_kind:     by_value
      - .offset:         92
        .size:           4
        .value_kind:     by_value
      - .offset:         96
        .size:           4
        .value_kind:     by_value
      - .offset:         100
        .size:           4
        .value_kind:     by_value
      - .offset:         104
        .size:           4
        .value_kind:     by_value
      - .offset:         112
        .size:           8
        .value_kind:     by_value
      - .offset:         120
        .size:           8
        .value_kind:     by_value
      - .offset:         128
        .size:           8
        .value_kind:     by_value
    .group_segment_fixed_size: 40960
    .kernarg_segment_align: 8
    .kernarg_segment_size: 136
    .language:       OpenCL C
    .language_version:
      - 2
      - 0
    .max_flat_workgroup_size: 256
    .name:           _ZN12_GLOBAL__N_139chunk_gated_delta_rule_fwd_h_hip_kernelILi16ELb1ELb1ELb0ELb1ELb1ELb0ELb1ELb0EEEvPK12hip_bfloat16S3_S3_PKfS5_PKvPS1_S8_PvPKiSB_iiiiilll
    .private_segment_fixed_size: 0
    .sgpr_count:     69
    .sgpr_spill_count: 0
    .symbol:         _ZN12_GLOBAL__N_139chunk_gated_delta_rule_fwd_h_hip_kernelILi16ELb1ELb1ELb0ELb1ELb1ELb0ELb1ELb0EEEvPK12hip_bfloat16S3_S3_PKfS5_PKvPS1_S8_PvPKiSB_iiiiilll.kd
    .uniform_work_group_size: 1
    .uses_dynamic_stack: false
    .vgpr_count:     116
    .vgpr_spill_count: 0
    .wavefront_size: 64
  - .agpr_count:     8
    .args:
      - .actual_access:  read_only
        .address_space:  global
        .offset:         0
        .size:           8
        .value_kind:     global_buffer
      - .actual_access:  read_only
        .address_space:  global
        .offset:         8
        .size:           8
        .value_kind:     global_buffer
      - .actual_access:  read_only
        .address_space:  global
        .offset:         16
        .size:           8
        .value_kind:     global_buffer
      - .actual_access:  read_only
        .address_space:  global
        .offset:         24
        .size:           8
        .value_kind:     global_buffer
      - .actual_access:  read_only
        .address_space:  global
        .offset:         32
        .size:           8
        .value_kind:     global_buffer
      - .actual_access:  read_only
        .address_space:  global
        .offset:         40
        .size:           8
        .value_kind:     global_buffer
      - .actual_access:  write_only
        .address_space:  global
        .offset:         48
        .size:           8
        .value_kind:     global_buffer
      - .actual_access:  write_only
        .address_space:  global
        .offset:         56
        .size:           8
        .value_kind:     global_buffer
      - .actual_access:  read_only
        .address_space:  global
        .offset:         64
        .size:           8
        .value_kind:     global_buffer
      - .actual_access:  read_only
        .address_space:  global
        .offset:         72
        .size:           8
        .value_kind:     global_buffer
      - .actual_access:  read_only
        .address_space:  global
        .offset:         80
        .size:           8
        .value_kind:     global_buffer
      - .offset:         88
        .size:           4
        .value_kind:     by_value
      - .offset:         92
        .size:           4
        .value_kind:     by_value
      - .offset:         96
        .size:           4
        .value_kind:     by_value
      - .offset:         100
        .size:           4
        .value_kind:     by_value
      - .offset:         104
        .size:           4
        .value_kind:     by_value
      - .offset:         112
        .size:           8
        .value_kind:     by_value
      - .offset:         120
        .size:           8
        .value_kind:     by_value
      - .offset:         128
        .size:           8
        .value_kind:     by_value
    .group_segment_fixed_size: 40960
    .kernarg_segment_align: 8
    .kernarg_segment_size: 136
    .language:       OpenCL C
    .language_version:
      - 2
      - 0
    .max_flat_workgroup_size: 256
    .name:           _ZN12_GLOBAL__N_139chunk_gated_delta_rule_fwd_h_hip_kernelILi16ELb1ELb0ELb1ELb1ELb1ELb0ELb1ELb0EEEvPK12hip_bfloat16S3_S3_PKfS5_PKvPS1_S8_PvPKiSB_iiiiilll
    .private_segment_fixed_size: 0
    .sgpr_count:     70
    .sgpr_spill_count: 0
    .symbol:         _ZN12_GLOBAL__N_139chunk_gated_delta_rule_fwd_h_hip_kernelILi16ELb1ELb0ELb1ELb1ELb1ELb0ELb1ELb0EEEvPK12hip_bfloat16S3_S3_PKfS5_PKvPS1_S8_PvPKiSB_iiiiilll.kd
    .uniform_work_group_size: 1
    .uses_dynamic_stack: false
    .vgpr_count:     116
    .vgpr_spill_count: 0
    .wavefront_size: 64
  - .agpr_count:     8
    .args:
      - .actual_access:  read_only
        .address_space:  global
        .offset:         0
        .size:           8
        .value_kind:     global_buffer
      - .actual_access:  read_only
        .address_space:  global
        .offset:         8
        .size:           8
        .value_kind:     global_buffer
      - .actual_access:  read_only
        .address_space:  global
        .offset:         16
        .size:           8
        .value_kind:     global_buffer
      - .actual_access:  read_only
        .address_space:  global
        .offset:         24
        .size:           8
        .value_kind:     global_buffer
      - .actual_access:  read_only
        .address_space:  global
        .offset:         32
        .size:           8
        .value_kind:     global_buffer
      - .actual_access:  read_only
        .address_space:  global
        .offset:         40
        .size:           8
        .value_kind:     global_buffer
      - .actual_access:  write_only
        .address_space:  global
        .offset:         48
        .size:           8
        .value_kind:     global_buffer
      - .actual_access:  read_only
        .address_space:  global
        .offset:         56
        .size:           8
        .value_kind:     global_buffer
      - .actual_access:  read_only
        .address_space:  global
        .offset:         64
        .size:           8
        .value_kind:     global_buffer
      - .actual_access:  read_only
        .address_space:  global
        .offset:         72
        .size:           8
        .value_kind:     global_buffer
      - .actual_access:  read_only
        .address_space:  global
        .offset:         80
        .size:           8
        .value_kind:     global_buffer
      - .offset:         88
        .size:           4
        .value_kind:     by_value
      - .offset:         92
        .size:           4
        .value_kind:     by_value
      - .offset:         96
        .size:           4
        .value_kind:     by_value
      - .offset:         100
        .size:           4
        .value_kind:     by_value
      - .offset:         104
        .size:           4
        .value_kind:     by_value
      - .offset:         112
        .size:           8
        .value_kind:     by_value
      - .offset:         120
        .size:           8
        .value_kind:     by_value
      - .offset:         128
        .size:           8
        .value_kind:     by_value
    .group_segment_fixed_size: 40960
    .kernarg_segment_align: 8
    .kernarg_segment_size: 136
    .language:       OpenCL C
    .language_version:
      - 2
      - 0
    .max_flat_workgroup_size: 256
    .name:           _ZN12_GLOBAL__N_139chunk_gated_delta_rule_fwd_h_hip_kernelILi16ELb1ELb0ELb0ELb1ELb1ELb0ELb1ELb0EEEvPK12hip_bfloat16S3_S3_PKfS5_PKvPS1_S8_PvPKiSB_iiiiilll
    .private_segment_fixed_size: 0
    .sgpr_count:     65
    .sgpr_spill_count: 0
    .symbol:         _ZN12_GLOBAL__N_139chunk_gated_delta_rule_fwd_h_hip_kernelILi16ELb1ELb0ELb0ELb1ELb1ELb0ELb1ELb0EEEvPK12hip_bfloat16S3_S3_PKfS5_PKvPS1_S8_PvPKiSB_iiiiilll.kd
    .uniform_work_group_size: 1
    .uses_dynamic_stack: false
    .vgpr_count:     116
    .vgpr_spill_count: 0
    .wavefront_size: 64
  - .agpr_count:     8
    .args:
      - .actual_access:  read_only
        .address_space:  global
        .offset:         0
        .size:           8
        .value_kind:     global_buffer
      - .actual_access:  read_only
        .address_space:  global
        .offset:         8
        .size:           8
        .value_kind:     global_buffer
      - .actual_access:  read_only
        .address_space:  global
        .offset:         16
        .size:           8
        .value_kind:     global_buffer
      - .actual_access:  read_only
        .address_space:  global
        .offset:         24
        .size:           8
        .value_kind:     global_buffer
      - .actual_access:  read_only
        .address_space:  global
        .offset:         32
        .size:           8
        .value_kind:     global_buffer
      - .actual_access:  read_only
        .address_space:  global
        .offset:         40
        .size:           8
        .value_kind:     global_buffer
      - .actual_access:  write_only
        .address_space:  global
        .offset:         48
        .size:           8
        .value_kind:     global_buffer
      - .actual_access:  write_only
        .address_space:  global
        .offset:         56
        .size:           8
        .value_kind:     global_buffer
      - .actual_access:  write_only
        .address_space:  global
        .offset:         64
        .size:           8
        .value_kind:     global_buffer
      - .actual_access:  read_only
        .address_space:  global
        .offset:         72
        .size:           8
        .value_kind:     global_buffer
      - .actual_access:  read_only
        .address_space:  global
        .offset:         80
        .size:           8
        .value_kind:     global_buffer
      - .offset:         88
        .size:           4
        .value_kind:     by_value
      - .offset:         92
        .size:           4
        .value_kind:     by_value
      - .offset:         96
        .size:           4
        .value_kind:     by_value
      - .offset:         100
        .size:           4
        .value_kind:     by_value
      - .offset:         104
        .size:           4
        .value_kind:     by_value
      - .offset:         112
        .size:           8
        .value_kind:     by_value
      - .offset:         120
        .size:           8
        .value_kind:     by_value
      - .offset:         128
        .size:           8
        .value_kind:     by_value
    .group_segment_fixed_size: 40960
    .kernarg_segment_align: 8
    .kernarg_segment_size: 136
    .language:       OpenCL C
    .language_version:
      - 2
      - 0
    .max_flat_workgroup_size: 256
    .name:           _ZN12_GLOBAL__N_139chunk_gated_delta_rule_fwd_h_hip_kernelILi16ELb0ELb1ELb1ELb1ELb1ELb0ELb1ELb0EEEvPK12hip_bfloat16S3_S3_PKfS5_PKvPS1_S8_PvPKiSB_iiiiilll
    .private_segment_fixed_size: 0
    .sgpr_count:     72
    .sgpr_spill_count: 0
    .symbol:         _ZN12_GLOBAL__N_139chunk_gated_delta_rule_fwd_h_hip_kernelILi16ELb0ELb1ELb1ELb1ELb1ELb0ELb1ELb0EEEvPK12hip_bfloat16S3_S3_PKfS5_PKvPS1_S8_PvPKiSB_iiiiilll.kd
    .uniform_work_group_size: 1
    .uses_dynamic_stack: false
    .vgpr_count:     116
    .vgpr_spill_count: 0
    .wavefront_size: 64
  - .agpr_count:     8
    .args:
      - .actual_access:  read_only
        .address_space:  global
        .offset:         0
        .size:           8
        .value_kind:     global_buffer
      - .actual_access:  read_only
        .address_space:  global
        .offset:         8
        .size:           8
        .value_kind:     global_buffer
      - .actual_access:  read_only
        .address_space:  global
        .offset:         16
        .size:           8
        .value_kind:     global_buffer
      - .actual_access:  read_only
        .address_space:  global
        .offset:         24
        .size:           8
        .value_kind:     global_buffer
      - .actual_access:  read_only
        .address_space:  global
        .offset:         32
        .size:           8
        .value_kind:     global_buffer
      - .actual_access:  read_only
        .address_space:  global
        .offset:         40
        .size:           8
        .value_kind:     global_buffer
      - .actual_access:  write_only
        .address_space:  global
        .offset:         48
        .size:           8
        .value_kind:     global_buffer
      - .actual_access:  read_only
        .address_space:  global
        .offset:         56
        .size:           8
        .value_kind:     global_buffer
      - .actual_access:  write_only
        .address_space:  global
        .offset:         64
        .size:           8
        .value_kind:     global_buffer
      - .actual_access:  read_only
        .address_space:  global
        .offset:         72
        .size:           8
        .value_kind:     global_buffer
      - .actual_access:  read_only
        .address_space:  global
        .offset:         80
        .size:           8
        .value_kind:     global_buffer
      - .offset:         88
        .size:           4
        .value_kind:     by_value
      - .offset:         92
        .size:           4
        .value_kind:     by_value
      - .offset:         96
        .size:           4
        .value_kind:     by_value
      - .offset:         100
        .size:           4
        .value_kind:     by_value
      - .offset:         104
        .size:           4
        .value_kind:     by_value
      - .offset:         112
        .size:           8
        .value_kind:     by_value
      - .offset:         120
        .size:           8
        .value_kind:     by_value
      - .offset:         128
        .size:           8
        .value_kind:     by_value
    .group_segment_fixed_size: 40960
    .kernarg_segment_align: 8
    .kernarg_segment_size: 136
    .language:       OpenCL C
    .language_version:
      - 2
      - 0
    .max_flat_workgroup_size: 256
    .name:           _ZN12_GLOBAL__N_139chunk_gated_delta_rule_fwd_h_hip_kernelILi16ELb0ELb1ELb0ELb1ELb1ELb0ELb1ELb0EEEvPK12hip_bfloat16S3_S3_PKfS5_PKvPS1_S8_PvPKiSB_iiiiilll
    .private_segment_fixed_size: 0
    .sgpr_count:     69
    .sgpr_spill_count: 0
    .symbol:         _ZN12_GLOBAL__N_139chunk_gated_delta_rule_fwd_h_hip_kernelILi16ELb0ELb1ELb0ELb1ELb1ELb0ELb1ELb0EEEvPK12hip_bfloat16S3_S3_PKfS5_PKvPS1_S8_PvPKiSB_iiiiilll.kd
    .uniform_work_group_size: 1
    .uses_dynamic_stack: false
    .vgpr_count:     116
    .vgpr_spill_count: 0
    .wavefront_size: 64
  - .agpr_count:     8
    .args:
      - .actual_access:  read_only
        .address_space:  global
        .offset:         0
        .size:           8
        .value_kind:     global_buffer
      - .actual_access:  read_only
        .address_space:  global
        .offset:         8
        .size:           8
        .value_kind:     global_buffer
      - .actual_access:  read_only
        .address_space:  global
        .offset:         16
        .size:           8
        .value_kind:     global_buffer
      - .actual_access:  read_only
        .address_space:  global
        .offset:         24
        .size:           8
        .value_kind:     global_buffer
      - .actual_access:  read_only
        .address_space:  global
        .offset:         32
        .size:           8
        .value_kind:     global_buffer
      - .actual_access:  read_only
        .address_space:  global
        .offset:         40
        .size:           8
        .value_kind:     global_buffer
      - .actual_access:  write_only
        .address_space:  global
        .offset:         48
        .size:           8
        .value_kind:     global_buffer
      - .actual_access:  write_only
        .address_space:  global
        .offset:         56
        .size:           8
        .value_kind:     global_buffer
      - .actual_access:  read_only
        .address_space:  global
        .offset:         64
        .size:           8
        .value_kind:     global_buffer
      - .actual_access:  read_only
        .address_space:  global
        .offset:         72
        .size:           8
        .value_kind:     global_buffer
      - .actual_access:  read_only
        .address_space:  global
        .offset:         80
        .size:           8
        .value_kind:     global_buffer
      - .offset:         88
        .size:           4
        .value_kind:     by_value
      - .offset:         92
        .size:           4
        .value_kind:     by_value
      - .offset:         96
        .size:           4
        .value_kind:     by_value
      - .offset:         100
        .size:           4
        .value_kind:     by_value
      - .offset:         104
        .size:           4
        .value_kind:     by_value
      - .offset:         112
        .size:           8
        .value_kind:     by_value
      - .offset:         120
        .size:           8
        .value_kind:     by_value
      - .offset:         128
        .size:           8
        .value_kind:     by_value
    .group_segment_fixed_size: 40960
    .kernarg_segment_align: 8
    .kernarg_segment_size: 136
    .language:       OpenCL C
    .language_version:
      - 2
      - 0
    .max_flat_workgroup_size: 256
    .name:           _ZN12_GLOBAL__N_139chunk_gated_delta_rule_fwd_h_hip_kernelILi16ELb0ELb0ELb1ELb1ELb1ELb0ELb1ELb0EEEvPK12hip_bfloat16S3_S3_PKfS5_PKvPS1_S8_PvPKiSB_iiiiilll
    .private_segment_fixed_size: 0
    .sgpr_count:     68
    .sgpr_spill_count: 0
    .symbol:         _ZN12_GLOBAL__N_139chunk_gated_delta_rule_fwd_h_hip_kernelILi16ELb0ELb0ELb1ELb1ELb1ELb0ELb1ELb0EEEvPK12hip_bfloat16S3_S3_PKfS5_PKvPS1_S8_PvPKiSB_iiiiilll.kd
    .uniform_work_group_size: 1
    .uses_dynamic_stack: false
    .vgpr_count:     116
    .vgpr_spill_count: 0
    .wavefront_size: 64
  - .agpr_count:     8
    .args:
      - .actual_access:  read_only
        .address_space:  global
        .offset:         0
        .size:           8
        .value_kind:     global_buffer
      - .actual_access:  read_only
        .address_space:  global
        .offset:         8
        .size:           8
        .value_kind:     global_buffer
      - .actual_access:  read_only
        .address_space:  global
        .offset:         16
        .size:           8
        .value_kind:     global_buffer
      - .actual_access:  read_only
        .address_space:  global
        .offset:         24
        .size:           8
        .value_kind:     global_buffer
      - .actual_access:  read_only
        .address_space:  global
        .offset:         32
        .size:           8
        .value_kind:     global_buffer
      - .actual_access:  read_only
        .address_space:  global
        .offset:         40
        .size:           8
        .value_kind:     global_buffer
      - .actual_access:  write_only
        .address_space:  global
        .offset:         48
        .size:           8
        .value_kind:     global_buffer
      - .actual_access:  read_only
        .address_space:  global
        .offset:         56
        .size:           8
        .value_kind:     global_buffer
      - .actual_access:  read_only
        .address_space:  global
        .offset:         64
        .size:           8
        .value_kind:     global_buffer
      - .actual_access:  read_only
        .address_space:  global
        .offset:         72
        .size:           8
        .value_kind:     global_buffer
      - .actual_access:  read_only
        .address_space:  global
        .offset:         80
        .size:           8
        .value_kind:     global_buffer
      - .offset:         88
        .size:           4
        .value_kind:     by_value
      - .offset:         92
        .size:           4
        .value_kind:     by_value
      - .offset:         96
        .size:           4
        .value_kind:     by_value
      - .offset:         100
        .size:           4
        .value_kind:     by_value
      - .offset:         104
        .size:           4
        .value_kind:     by_value
      - .offset:         112
        .size:           8
        .value_kind:     by_value
      - .offset:         120
        .size:           8
        .value_kind:     by_value
      - .offset:         128
        .size:           8
        .value_kind:     by_value
    .group_segment_fixed_size: 40960
    .kernarg_segment_align: 8
    .kernarg_segment_size: 136
    .language:       OpenCL C
    .language_version:
      - 2
      - 0
    .max_flat_workgroup_size: 256
    .name:           _ZN12_GLOBAL__N_139chunk_gated_delta_rule_fwd_h_hip_kernelILi16ELb0ELb0ELb0ELb1ELb1ELb0ELb1ELb0EEEvPK12hip_bfloat16S3_S3_PKfS5_PKvPS1_S8_PvPKiSB_iiiiilll
    .private_segment_fixed_size: 0
    .sgpr_count:     64
    .sgpr_spill_count: 0
    .symbol:         _ZN12_GLOBAL__N_139chunk_gated_delta_rule_fwd_h_hip_kernelILi16ELb0ELb0ELb0ELb1ELb1ELb0ELb1ELb0EEEvPK12hip_bfloat16S3_S3_PKfS5_PKvPS1_S8_PvPKiSB_iiiiilll.kd
    .uniform_work_group_size: 1
    .uses_dynamic_stack: false
    .vgpr_count:     116
    .vgpr_spill_count: 0
    .wavefront_size: 64
  - .agpr_count:     8
    .args:
      - .actual_access:  read_only
        .address_space:  global
        .offset:         0
        .size:           8
        .value_kind:     global_buffer
      - .actual_access:  read_only
        .address_space:  global
        .offset:         8
        .size:           8
        .value_kind:     global_buffer
      - .actual_access:  read_only
        .address_space:  global
        .offset:         16
        .size:           8
        .value_kind:     global_buffer
      - .actual_access:  read_only
        .address_space:  global
        .offset:         24
        .size:           8
        .value_kind:     global_buffer
      - .actual_access:  read_only
        .address_space:  global
        .offset:         32
        .size:           8
        .value_kind:     global_buffer
      - .actual_access:  read_only
        .address_space:  global
        .offset:         40
        .size:           8
        .value_kind:     global_buffer
      - .actual_access:  write_only
        .address_space:  global
        .offset:         48
        .size:           8
        .value_kind:     global_buffer
      - .actual_access:  write_only
        .address_space:  global
        .offset:         56
        .size:           8
        .value_kind:     global_buffer
      - .actual_access:  write_only
        .address_space:  global
        .offset:         64
        .size:           8
        .value_kind:     global_buffer
      - .actual_access:  read_only
        .address_space:  global
        .offset:         72
        .size:           8
        .value_kind:     global_buffer
      - .actual_access:  read_only
        .address_space:  global
        .offset:         80
        .size:           8
        .value_kind:     global_buffer
      - .offset:         88
        .size:           4
        .value_kind:     by_value
      - .offset:         92
        .size:           4
        .value_kind:     by_value
      - .offset:         96
        .size:           4
        .value_kind:     by_value
      - .offset:         100
        .size:           4
        .value_kind:     by_value
      - .offset:         104
        .size:           4
        .value_kind:     by_value
      - .offset:         112
        .size:           8
        .value_kind:     by_value
      - .offset:         120
        .size:           8
        .value_kind:     by_value
      - .offset:         128
        .size:           8
        .value_kind:     by_value
    .group_segment_fixed_size: 40960
    .kernarg_segment_align: 8
    .kernarg_segment_size: 136
    .language:       OpenCL C
    .language_version:
      - 2
      - 0
    .max_flat_workgroup_size: 256
    .name:           _ZN12_GLOBAL__N_139chunk_gated_delta_rule_fwd_h_hip_kernelILi16ELb1ELb1ELb1ELb0ELb1ELb0ELb1ELb0EEEvPK12hip_bfloat16S3_S3_PKfS5_PKvPS1_S8_PvPKiSB_iiiiilll
    .private_segment_fixed_size: 0
    .sgpr_count:     78
    .sgpr_spill_count: 0
    .symbol:         _ZN12_GLOBAL__N_139chunk_gated_delta_rule_fwd_h_hip_kernelILi16ELb1ELb1ELb1ELb0ELb1ELb0ELb1ELb0EEEvPK12hip_bfloat16S3_S3_PKfS5_PKvPS1_S8_PvPKiSB_iiiiilll.kd
    .uniform_work_group_size: 1
    .uses_dynamic_stack: false
    .vgpr_count:     120
    .vgpr_spill_count: 0
    .wavefront_size: 64
  - .agpr_count:     8
    .args:
      - .actual_access:  read_only
        .address_space:  global
        .offset:         0
        .size:           8
        .value_kind:     global_buffer
      - .actual_access:  read_only
        .address_space:  global
        .offset:         8
        .size:           8
        .value_kind:     global_buffer
      - .actual_access:  read_only
        .address_space:  global
        .offset:         16
        .size:           8
        .value_kind:     global_buffer
      - .actual_access:  read_only
        .address_space:  global
        .offset:         24
        .size:           8
        .value_kind:     global_buffer
      - .actual_access:  read_only
        .address_space:  global
        .offset:         32
        .size:           8
        .value_kind:     global_buffer
      - .actual_access:  read_only
        .address_space:  global
        .offset:         40
        .size:           8
        .value_kind:     global_buffer
      - .actual_access:  write_only
        .address_space:  global
        .offset:         48
        .size:           8
        .value_kind:     global_buffer
      - .actual_access:  read_only
        .address_space:  global
        .offset:         56
        .size:           8
        .value_kind:     global_buffer
      - .actual_access:  write_only
        .address_space:  global
        .offset:         64
        .size:           8
        .value_kind:     global_buffer
      - .actual_access:  read_only
        .address_space:  global
        .offset:         72
        .size:           8
        .value_kind:     global_buffer
      - .actual_access:  read_only
        .address_space:  global
        .offset:         80
        .size:           8
        .value_kind:     global_buffer
      - .offset:         88
        .size:           4
        .value_kind:     by_value
      - .offset:         92
        .size:           4
        .value_kind:     by_value
      - .offset:         96
        .size:           4
        .value_kind:     by_value
      - .offset:         100
        .size:           4
        .value_kind:     by_value
      - .offset:         104
        .size:           4
        .value_kind:     by_value
      - .offset:         112
        .size:           8
        .value_kind:     by_value
      - .offset:         120
        .size:           8
        .value_kind:     by_value
      - .offset:         128
        .size:           8
        .value_kind:     by_value
    .group_segment_fixed_size: 40960
    .kernarg_segment_align: 8
    .kernarg_segment_size: 136
    .language:       OpenCL C
    .language_version:
      - 2
      - 0
    .max_flat_workgroup_size: 256
    .name:           _ZN12_GLOBAL__N_139chunk_gated_delta_rule_fwd_h_hip_kernelILi16ELb1ELb1ELb0ELb0ELb1ELb0ELb1ELb0EEEvPK12hip_bfloat16S3_S3_PKfS5_PKvPS1_S8_PvPKiSB_iiiiilll
    .private_segment_fixed_size: 0
    .sgpr_count:     74
    .sgpr_spill_count: 0
    .symbol:         _ZN12_GLOBAL__N_139chunk_gated_delta_rule_fwd_h_hip_kernelILi16ELb1ELb1ELb0ELb0ELb1ELb0ELb1ELb0EEEvPK12hip_bfloat16S3_S3_PKfS5_PKvPS1_S8_PvPKiSB_iiiiilll.kd
    .uniform_work_group_size: 1
    .uses_dynamic_stack: false
    .vgpr_count:     116
    .vgpr_spill_count: 0
    .wavefront_size: 64
  - .agpr_count:     8
    .args:
      - .actual_access:  read_only
        .address_space:  global
        .offset:         0
        .size:           8
        .value_kind:     global_buffer
      - .actual_access:  read_only
        .address_space:  global
        .offset:         8
        .size:           8
        .value_kind:     global_buffer
      - .actual_access:  read_only
        .address_space:  global
        .offset:         16
        .size:           8
        .value_kind:     global_buffer
      - .actual_access:  read_only
        .address_space:  global
        .offset:         24
        .size:           8
        .value_kind:     global_buffer
      - .actual_access:  read_only
        .address_space:  global
        .offset:         32
        .size:           8
        .value_kind:     global_buffer
      - .actual_access:  read_only
        .address_space:  global
        .offset:         40
        .size:           8
        .value_kind:     global_buffer
      - .actual_access:  write_only
        .address_space:  global
        .offset:         48
        .size:           8
        .value_kind:     global_buffer
      - .actual_access:  write_only
        .address_space:  global
        .offset:         56
        .size:           8
        .value_kind:     global_buffer
      - .actual_access:  read_only
        .address_space:  global
        .offset:         64
        .size:           8
        .value_kind:     global_buffer
      - .actual_access:  read_only
        .address_space:  global
        .offset:         72
        .size:           8
        .value_kind:     global_buffer
      - .actual_access:  read_only
        .address_space:  global
        .offset:         80
        .size:           8
        .value_kind:     global_buffer
      - .offset:         88
        .size:           4
        .value_kind:     by_value
      - .offset:         92
        .size:           4
        .value_kind:     by_value
      - .offset:         96
        .size:           4
        .value_kind:     by_value
      - .offset:         100
        .size:           4
        .value_kind:     by_value
      - .offset:         104
        .size:           4
        .value_kind:     by_value
      - .offset:         112
        .size:           8
        .value_kind:     by_value
      - .offset:         120
        .size:           8
        .value_kind:     by_value
      - .offset:         128
        .size:           8
        .value_kind:     by_value
    .group_segment_fixed_size: 40960
    .kernarg_segment_align: 8
    .kernarg_segment_size: 136
    .language:       OpenCL C
    .language_version:
      - 2
      - 0
    .max_flat_workgroup_size: 256
    .name:           _ZN12_GLOBAL__N_139chunk_gated_delta_rule_fwd_h_hip_kernelILi16ELb1ELb0ELb1ELb0ELb1ELb0ELb1ELb0EEEvPK12hip_bfloat16S3_S3_PKfS5_PKvPS1_S8_PvPKiSB_iiiiilll
    .private_segment_fixed_size: 0
    .sgpr_count:     74
    .sgpr_spill_count: 0
    .symbol:         _ZN12_GLOBAL__N_139chunk_gated_delta_rule_fwd_h_hip_kernelILi16ELb1ELb0ELb1ELb0ELb1ELb0ELb1ELb0EEEvPK12hip_bfloat16S3_S3_PKfS5_PKvPS1_S8_PvPKiSB_iiiiilll.kd
    .uniform_work_group_size: 1
    .uses_dynamic_stack: false
    .vgpr_count:     116
    .vgpr_spill_count: 0
    .wavefront_size: 64
  - .agpr_count:     8
    .args:
      - .actual_access:  read_only
        .address_space:  global
        .offset:         0
        .size:           8
        .value_kind:     global_buffer
      - .actual_access:  read_only
        .address_space:  global
        .offset:         8
        .size:           8
        .value_kind:     global_buffer
      - .actual_access:  read_only
        .address_space:  global
        .offset:         16
        .size:           8
        .value_kind:     global_buffer
      - .actual_access:  read_only
        .address_space:  global
        .offset:         24
        .size:           8
        .value_kind:     global_buffer
      - .actual_access:  read_only
        .address_space:  global
        .offset:         32
        .size:           8
        .value_kind:     global_buffer
      - .actual_access:  read_only
        .address_space:  global
        .offset:         40
        .size:           8
        .value_kind:     global_buffer
      - .actual_access:  write_only
        .address_space:  global
        .offset:         48
        .size:           8
        .value_kind:     global_buffer
      - .actual_access:  read_only
        .address_space:  global
        .offset:         56
        .size:           8
        .value_kind:     global_buffer
      - .actual_access:  read_only
        .address_space:  global
        .offset:         64
        .size:           8
        .value_kind:     global_buffer
      - .actual_access:  read_only
        .address_space:  global
        .offset:         72
        .size:           8
        .value_kind:     global_buffer
      - .actual_access:  read_only
        .address_space:  global
        .offset:         80
        .size:           8
        .value_kind:     global_buffer
      - .offset:         88
        .size:           4
        .value_kind:     by_value
      - .offset:         92
        .size:           4
        .value_kind:     by_value
      - .offset:         96
        .size:           4
        .value_kind:     by_value
      - .offset:         100
        .size:           4
        .value_kind:     by_value
      - .offset:         104
        .size:           4
        .value_kind:     by_value
      - .offset:         112
        .size:           8
        .value_kind:     by_value
      - .offset:         120
        .size:           8
        .value_kind:     by_value
      - .offset:         128
        .size:           8
        .value_kind:     by_value
    .group_segment_fixed_size: 40960
    .kernarg_segment_align: 8
    .kernarg_segment_size: 136
    .language:       OpenCL C
    .language_version:
      - 2
      - 0
    .max_flat_workgroup_size: 256
    .name:           _ZN12_GLOBAL__N_139chunk_gated_delta_rule_fwd_h_hip_kernelILi16ELb1ELb0ELb0ELb0ELb1ELb0ELb1ELb0EEEvPK12hip_bfloat16S3_S3_PKfS5_PKvPS1_S8_PvPKiSB_iiiiilll
    .private_segment_fixed_size: 0
    .sgpr_count:     70
    .sgpr_spill_count: 0
    .symbol:         _ZN12_GLOBAL__N_139chunk_gated_delta_rule_fwd_h_hip_kernelILi16ELb1ELb0ELb0ELb0ELb1ELb0ELb1ELb0EEEvPK12hip_bfloat16S3_S3_PKfS5_PKvPS1_S8_PvPKiSB_iiiiilll.kd
    .uniform_work_group_size: 1
    .uses_dynamic_stack: false
    .vgpr_count:     116
    .vgpr_spill_count: 0
    .wavefront_size: 64
  - .agpr_count:     8
    .args:
      - .actual_access:  read_only
        .address_space:  global
        .offset:         0
        .size:           8
        .value_kind:     global_buffer
      - .actual_access:  read_only
        .address_space:  global
        .offset:         8
        .size:           8
        .value_kind:     global_buffer
      - .actual_access:  read_only
        .address_space:  global
        .offset:         16
        .size:           8
        .value_kind:     global_buffer
      - .actual_access:  read_only
        .address_space:  global
        .offset:         24
        .size:           8
        .value_kind:     global_buffer
      - .actual_access:  read_only
        .address_space:  global
        .offset:         32
        .size:           8
        .value_kind:     global_buffer
      - .actual_access:  read_only
        .address_space:  global
        .offset:         40
        .size:           8
        .value_kind:     global_buffer
      - .actual_access:  write_only
        .address_space:  global
        .offset:         48
        .size:           8
        .value_kind:     global_buffer
      - .actual_access:  write_only
        .address_space:  global
        .offset:         56
        .size:           8
        .value_kind:     global_buffer
      - .actual_access:  write_only
        .address_space:  global
        .offset:         64
        .size:           8
        .value_kind:     global_buffer
      - .actual_access:  read_only
        .address_space:  global
        .offset:         72
        .size:           8
        .value_kind:     global_buffer
      - .actual_access:  read_only
        .address_space:  global
        .offset:         80
        .size:           8
        .value_kind:     global_buffer
      - .offset:         88
        .size:           4
        .value_kind:     by_value
      - .offset:         92
        .size:           4
        .value_kind:     by_value
      - .offset:         96
        .size:           4
        .value_kind:     by_value
      - .offset:         100
        .size:           4
        .value_kind:     by_value
      - .offset:         104
        .size:           4
        .value_kind:     by_value
      - .offset:         112
        .size:           8
        .value_kind:     by_value
      - .offset:         120
        .size:           8
        .value_kind:     by_value
      - .offset:         128
        .size:           8
        .value_kind:     by_value
    .group_segment_fixed_size: 40960
    .kernarg_segment_align: 8
    .kernarg_segment_size: 136
    .language:       OpenCL C
    .language_version:
      - 2
      - 0
    .max_flat_workgroup_size: 256
    .name:           _ZN12_GLOBAL__N_139chunk_gated_delta_rule_fwd_h_hip_kernelILi16ELb0ELb1ELb1ELb0ELb1ELb0ELb1ELb0EEEvPK12hip_bfloat16S3_S3_PKfS5_PKvPS1_S8_PvPKiSB_iiiiilll
    .private_segment_fixed_size: 0
    .sgpr_count:     74
    .sgpr_spill_count: 0
    .symbol:         _ZN12_GLOBAL__N_139chunk_gated_delta_rule_fwd_h_hip_kernelILi16ELb0ELb1ELb1ELb0ELb1ELb0ELb1ELb0EEEvPK12hip_bfloat16S3_S3_PKfS5_PKvPS1_S8_PvPKiSB_iiiiilll.kd
    .uniform_work_group_size: 1
    .uses_dynamic_stack: false
    .vgpr_count:     116
    .vgpr_spill_count: 0
    .wavefront_size: 64
  - .agpr_count:     8
    .args:
      - .actual_access:  read_only
        .address_space:  global
        .offset:         0
        .size:           8
        .value_kind:     global_buffer
      - .actual_access:  read_only
        .address_space:  global
        .offset:         8
        .size:           8
        .value_kind:     global_buffer
      - .actual_access:  read_only
        .address_space:  global
        .offset:         16
        .size:           8
        .value_kind:     global_buffer
      - .actual_access:  read_only
        .address_space:  global
        .offset:         24
        .size:           8
        .value_kind:     global_buffer
      - .actual_access:  read_only
        .address_space:  global
        .offset:         32
        .size:           8
        .value_kind:     global_buffer
      - .actual_access:  read_only
        .address_space:  global
        .offset:         40
        .size:           8
        .value_kind:     global_buffer
      - .actual_access:  write_only
        .address_space:  global
        .offset:         48
        .size:           8
        .value_kind:     global_buffer
      - .actual_access:  read_only
        .address_space:  global
        .offset:         56
        .size:           8
        .value_kind:     global_buffer
      - .actual_access:  write_only
        .address_space:  global
        .offset:         64
        .size:           8
        .value_kind:     global_buffer
      - .actual_access:  read_only
        .address_space:  global
        .offset:         72
        .size:           8
        .value_kind:     global_buffer
      - .actual_access:  read_only
        .address_space:  global
        .offset:         80
        .size:           8
        .value_kind:     global_buffer
      - .offset:         88
        .size:           4
        .value_kind:     by_value
      - .offset:         92
        .size:           4
        .value_kind:     by_value
      - .offset:         96
        .size:           4
        .value_kind:     by_value
      - .offset:         100
        .size:           4
        .value_kind:     by_value
      - .offset:         104
        .size:           4
        .value_kind:     by_value
      - .offset:         112
        .size:           8
        .value_kind:     by_value
      - .offset:         120
        .size:           8
        .value_kind:     by_value
      - .offset:         128
        .size:           8
        .value_kind:     by_value
    .group_segment_fixed_size: 40960
    .kernarg_segment_align: 8
    .kernarg_segment_size: 136
    .language:       OpenCL C
    .language_version:
      - 2
      - 0
    .max_flat_workgroup_size: 256
    .name:           _ZN12_GLOBAL__N_139chunk_gated_delta_rule_fwd_h_hip_kernelILi16ELb0ELb1ELb0ELb0ELb1ELb0ELb1ELb0EEEvPK12hip_bfloat16S3_S3_PKfS5_PKvPS1_S8_PvPKiSB_iiiiilll
    .private_segment_fixed_size: 0
    .sgpr_count:     69
    .sgpr_spill_count: 0
    .symbol:         _ZN12_GLOBAL__N_139chunk_gated_delta_rule_fwd_h_hip_kernelILi16ELb0ELb1ELb0ELb0ELb1ELb0ELb1ELb0EEEvPK12hip_bfloat16S3_S3_PKfS5_PKvPS1_S8_PvPKiSB_iiiiilll.kd
    .uniform_work_group_size: 1
    .uses_dynamic_stack: false
    .vgpr_count:     116
    .vgpr_spill_count: 0
    .wavefront_size: 64
  - .agpr_count:     8
    .args:
      - .actual_access:  read_only
        .address_space:  global
        .offset:         0
        .size:           8
        .value_kind:     global_buffer
      - .actual_access:  read_only
        .address_space:  global
        .offset:         8
        .size:           8
        .value_kind:     global_buffer
      - .actual_access:  read_only
        .address_space:  global
        .offset:         16
        .size:           8
        .value_kind:     global_buffer
      - .actual_access:  read_only
        .address_space:  global
        .offset:         24
        .size:           8
        .value_kind:     global_buffer
      - .actual_access:  read_only
        .address_space:  global
        .offset:         32
        .size:           8
        .value_kind:     global_buffer
      - .actual_access:  read_only
        .address_space:  global
        .offset:         40
        .size:           8
        .value_kind:     global_buffer
      - .actual_access:  write_only
        .address_space:  global
        .offset:         48
        .size:           8
        .value_kind:     global_buffer
      - .actual_access:  write_only
        .address_space:  global
        .offset:         56
        .size:           8
        .value_kind:     global_buffer
      - .actual_access:  read_only
        .address_space:  global
        .offset:         64
        .size:           8
        .value_kind:     global_buffer
      - .actual_access:  read_only
        .address_space:  global
        .offset:         72
        .size:           8
        .value_kind:     global_buffer
      - .actual_access:  read_only
        .address_space:  global
        .offset:         80
        .size:           8
        .value_kind:     global_buffer
      - .offset:         88
        .size:           4
        .value_kind:     by_value
      - .offset:         92
        .size:           4
        .value_kind:     by_value
      - .offset:         96
        .size:           4
        .value_kind:     by_value
      - .offset:         100
        .size:           4
        .value_kind:     by_value
      - .offset:         104
        .size:           4
        .value_kind:     by_value
      - .offset:         112
        .size:           8
        .value_kind:     by_value
      - .offset:         120
        .size:           8
        .value_kind:     by_value
      - .offset:         128
        .size:           8
        .value_kind:     by_value
    .group_segment_fixed_size: 40960
    .kernarg_segment_align: 8
    .kernarg_segment_size: 136
    .language:       OpenCL C
    .language_version:
      - 2
      - 0
    .max_flat_workgroup_size: 256
    .name:           _ZN12_GLOBAL__N_139chunk_gated_delta_rule_fwd_h_hip_kernelILi16ELb0ELb0ELb1ELb0ELb1ELb0ELb1ELb0EEEvPK12hip_bfloat16S3_S3_PKfS5_PKvPS1_S8_PvPKiSB_iiiiilll
    .private_segment_fixed_size: 0
    .sgpr_count:     72
    .sgpr_spill_count: 0
    .symbol:         _ZN12_GLOBAL__N_139chunk_gated_delta_rule_fwd_h_hip_kernelILi16ELb0ELb0ELb1ELb0ELb1ELb0ELb1ELb0EEEvPK12hip_bfloat16S3_S3_PKfS5_PKvPS1_S8_PvPKiSB_iiiiilll.kd
    .uniform_work_group_size: 1
    .uses_dynamic_stack: false
    .vgpr_count:     116
    .vgpr_spill_count: 0
    .wavefront_size: 64
  - .agpr_count:     8
    .args:
      - .actual_access:  read_only
        .address_space:  global
        .offset:         0
        .size:           8
        .value_kind:     global_buffer
      - .actual_access:  read_only
        .address_space:  global
        .offset:         8
        .size:           8
        .value_kind:     global_buffer
      - .actual_access:  read_only
        .address_space:  global
        .offset:         16
        .size:           8
        .value_kind:     global_buffer
      - .actual_access:  read_only
        .address_space:  global
        .offset:         24
        .size:           8
        .value_kind:     global_buffer
      - .actual_access:  read_only
        .address_space:  global
        .offset:         32
        .size:           8
        .value_kind:     global_buffer
      - .actual_access:  read_only
        .address_space:  global
        .offset:         40
        .size:           8
        .value_kind:     global_buffer
      - .actual_access:  write_only
        .address_space:  global
        .offset:         48
        .size:           8
        .value_kind:     global_buffer
      - .actual_access:  read_only
        .address_space:  global
        .offset:         56
        .size:           8
        .value_kind:     global_buffer
      - .actual_access:  read_only
        .address_space:  global
        .offset:         64
        .size:           8
        .value_kind:     global_buffer
      - .actual_access:  read_only
        .address_space:  global
        .offset:         72
        .size:           8
        .value_kind:     global_buffer
      - .actual_access:  read_only
        .address_space:  global
        .offset:         80
        .size:           8
        .value_kind:     global_buffer
      - .offset:         88
        .size:           4
        .value_kind:     by_value
      - .offset:         92
        .size:           4
        .value_kind:     by_value
      - .offset:         96
        .size:           4
        .value_kind:     by_value
      - .offset:         100
        .size:           4
        .value_kind:     by_value
      - .offset:         104
        .size:           4
        .value_kind:     by_value
      - .offset:         112
        .size:           8
        .value_kind:     by_value
      - .offset:         120
        .size:           8
        .value_kind:     by_value
      - .offset:         128
        .size:           8
        .value_kind:     by_value
    .group_segment_fixed_size: 40960
    .kernarg_segment_align: 8
    .kernarg_segment_size: 136
    .language:       OpenCL C
    .language_version:
      - 2
      - 0
    .max_flat_workgroup_size: 256
    .name:           _ZN12_GLOBAL__N_139chunk_gated_delta_rule_fwd_h_hip_kernelILi16ELb0ELb0ELb0ELb0ELb1ELb0ELb1ELb0EEEvPK12hip_bfloat16S3_S3_PKfS5_PKvPS1_S8_PvPKiSB_iiiiilll
    .private_segment_fixed_size: 0
    .sgpr_count:     67
    .sgpr_spill_count: 0
    .symbol:         _ZN12_GLOBAL__N_139chunk_gated_delta_rule_fwd_h_hip_kernelILi16ELb0ELb0ELb0ELb0ELb1ELb0ELb1ELb0EEEvPK12hip_bfloat16S3_S3_PKfS5_PKvPS1_S8_PvPKiSB_iiiiilll.kd
    .uniform_work_group_size: 1
    .uses_dynamic_stack: false
    .vgpr_count:     116
    .vgpr_spill_count: 0
    .wavefront_size: 64
  - .agpr_count:     8
    .args:
      - .actual_access:  read_only
        .address_space:  global
        .offset:         0
        .size:           8
        .value_kind:     global_buffer
      - .actual_access:  read_only
        .address_space:  global
        .offset:         8
        .size:           8
        .value_kind:     global_buffer
      - .actual_access:  read_only
        .address_space:  global
        .offset:         16
        .size:           8
        .value_kind:     global_buffer
      - .actual_access:  read_only
        .address_space:  global
        .offset:         24
        .size:           8
        .value_kind:     global_buffer
      - .actual_access:  read_only
        .address_space:  global
        .offset:         32
        .size:           8
        .value_kind:     global_buffer
      - .actual_access:  read_only
        .address_space:  global
        .offset:         40
        .size:           8
        .value_kind:     global_buffer
      - .actual_access:  write_only
        .address_space:  global
        .offset:         48
        .size:           8
        .value_kind:     global_buffer
      - .actual_access:  write_only
        .address_space:  global
        .offset:         56
        .size:           8
        .value_kind:     global_buffer
      - .actual_access:  write_only
        .address_space:  global
        .offset:         64
        .size:           8
        .value_kind:     global_buffer
      - .actual_access:  read_only
        .address_space:  global
        .offset:         72
        .size:           8
        .value_kind:     global_buffer
      - .actual_access:  read_only
        .address_space:  global
        .offset:         80
        .size:           8
        .value_kind:     global_buffer
      - .offset:         88
        .size:           4
        .value_kind:     by_value
      - .offset:         92
        .size:           4
        .value_kind:     by_value
      - .offset:         96
        .size:           4
        .value_kind:     by_value
      - .offset:         100
        .size:           4
        .value_kind:     by_value
      - .offset:         104
        .size:           4
        .value_kind:     by_value
      - .offset:         112
        .size:           8
        .value_kind:     by_value
      - .offset:         120
        .size:           8
        .value_kind:     by_value
      - .offset:         128
        .size:           8
        .value_kind:     by_value
    .group_segment_fixed_size: 40960
    .kernarg_segment_align: 8
    .kernarg_segment_size: 136
    .language:       OpenCL C
    .language_version:
      - 2
      - 0
    .max_flat_workgroup_size: 256
    .name:           _ZN12_GLOBAL__N_139chunk_gated_delta_rule_fwd_h_hip_kernelILi16ELb1ELb1ELb1ELb1ELb1ELb0ELb0ELb0EEEvPK12hip_bfloat16S3_S3_PKfS5_PKvPS1_S8_PvPKiSB_iiiiilll
    .private_segment_fixed_size: 0
    .sgpr_count:     74
    .sgpr_spill_count: 0
    .symbol:         _ZN12_GLOBAL__N_139chunk_gated_delta_rule_fwd_h_hip_kernelILi16ELb1ELb1ELb1ELb1ELb1ELb0ELb0ELb0EEEvPK12hip_bfloat16S3_S3_PKfS5_PKvPS1_S8_PvPKiSB_iiiiilll.kd
    .uniform_work_group_size: 1
    .uses_dynamic_stack: false
    .vgpr_count:     120
    .vgpr_spill_count: 0
    .wavefront_size: 64
  - .agpr_count:     8
    .args:
      - .actual_access:  read_only
        .address_space:  global
        .offset:         0
        .size:           8
        .value_kind:     global_buffer
      - .actual_access:  read_only
        .address_space:  global
        .offset:         8
        .size:           8
        .value_kind:     global_buffer
      - .actual_access:  read_only
        .address_space:  global
        .offset:         16
        .size:           8
        .value_kind:     global_buffer
      - .actual_access:  read_only
        .address_space:  global
        .offset:         24
        .size:           8
        .value_kind:     global_buffer
      - .actual_access:  read_only
        .address_space:  global
        .offset:         32
        .size:           8
        .value_kind:     global_buffer
      - .actual_access:  read_only
        .address_space:  global
        .offset:         40
        .size:           8
        .value_kind:     global_buffer
      - .actual_access:  write_only
        .address_space:  global
        .offset:         48
        .size:           8
        .value_kind:     global_buffer
      - .actual_access:  read_only
        .address_space:  global
        .offset:         56
        .size:           8
        .value_kind:     global_buffer
      - .actual_access:  write_only
        .address_space:  global
        .offset:         64
        .size:           8
        .value_kind:     global_buffer
      - .actual_access:  read_only
        .address_space:  global
        .offset:         72
        .size:           8
        .value_kind:     global_buffer
      - .actual_access:  read_only
        .address_space:  global
        .offset:         80
        .size:           8
        .value_kind:     global_buffer
      - .offset:         88
        .size:           4
        .value_kind:     by_value
      - .offset:         92
        .size:           4
        .value_kind:     by_value
      - .offset:         96
        .size:           4
        .value_kind:     by_value
      - .offset:         100
        .size:           4
        .value_kind:     by_value
      - .offset:         104
        .size:           4
        .value_kind:     by_value
      - .offset:         112
        .size:           8
        .value_kind:     by_value
      - .offset:         120
        .size:           8
        .value_kind:     by_value
      - .offset:         128
        .size:           8
        .value_kind:     by_value
    .group_segment_fixed_size: 40960
    .kernarg_segment_align: 8
    .kernarg_segment_size: 136
    .language:       OpenCL C
    .language_version:
      - 2
      - 0
    .max_flat_workgroup_size: 256
    .name:           _ZN12_GLOBAL__N_139chunk_gated_delta_rule_fwd_h_hip_kernelILi16ELb1ELb1ELb0ELb1ELb1ELb0ELb0ELb0EEEvPK12hip_bfloat16S3_S3_PKfS5_PKvPS1_S8_PvPKiSB_iiiiilll
    .private_segment_fixed_size: 0
    .sgpr_count:     69
    .sgpr_spill_count: 0
    .symbol:         _ZN12_GLOBAL__N_139chunk_gated_delta_rule_fwd_h_hip_kernelILi16ELb1ELb1ELb0ELb1ELb1ELb0ELb0ELb0EEEvPK12hip_bfloat16S3_S3_PKfS5_PKvPS1_S8_PvPKiSB_iiiiilll.kd
    .uniform_work_group_size: 1
    .uses_dynamic_stack: false
    .vgpr_count:     116
    .vgpr_spill_count: 0
    .wavefront_size: 64
  - .agpr_count:     8
    .args:
      - .actual_access:  read_only
        .address_space:  global
        .offset:         0
        .size:           8
        .value_kind:     global_buffer
      - .actual_access:  read_only
        .address_space:  global
        .offset:         8
        .size:           8
        .value_kind:     global_buffer
      - .actual_access:  read_only
        .address_space:  global
        .offset:         16
        .size:           8
        .value_kind:     global_buffer
      - .actual_access:  read_only
        .address_space:  global
        .offset:         24
        .size:           8
        .value_kind:     global_buffer
      - .actual_access:  read_only
        .address_space:  global
        .offset:         32
        .size:           8
        .value_kind:     global_buffer
      - .actual_access:  read_only
        .address_space:  global
        .offset:         40
        .size:           8
        .value_kind:     global_buffer
      - .actual_access:  write_only
        .address_space:  global
        .offset:         48
        .size:           8
        .value_kind:     global_buffer
      - .actual_access:  write_only
        .address_space:  global
        .offset:         56
        .size:           8
        .value_kind:     global_buffer
      - .actual_access:  read_only
        .address_space:  global
        .offset:         64
        .size:           8
        .value_kind:     global_buffer
      - .actual_access:  read_only
        .address_space:  global
        .offset:         72
        .size:           8
        .value_kind:     global_buffer
      - .actual_access:  read_only
        .address_space:  global
        .offset:         80
        .size:           8
        .value_kind:     global_buffer
      - .offset:         88
        .size:           4
        .value_kind:     by_value
      - .offset:         92
        .size:           4
        .value_kind:     by_value
      - .offset:         96
        .size:           4
        .value_kind:     by_value
      - .offset:         100
        .size:           4
        .value_kind:     by_value
      - .offset:         104
        .size:           4
        .value_kind:     by_value
      - .offset:         112
        .size:           8
        .value_kind:     by_value
      - .offset:         120
        .size:           8
        .value_kind:     by_value
      - .offset:         128
        .size:           8
        .value_kind:     by_value
    .group_segment_fixed_size: 40960
    .kernarg_segment_align: 8
    .kernarg_segment_size: 136
    .language:       OpenCL C
    .language_version:
      - 2
      - 0
    .max_flat_workgroup_size: 256
    .name:           _ZN12_GLOBAL__N_139chunk_gated_delta_rule_fwd_h_hip_kernelILi16ELb1ELb0ELb1ELb1ELb1ELb0ELb0ELb0EEEvPK12hip_bfloat16S3_S3_PKfS5_PKvPS1_S8_PvPKiSB_iiiiilll
    .private_segment_fixed_size: 0
    .sgpr_count:     70
    .sgpr_spill_count: 0
    .symbol:         _ZN12_GLOBAL__N_139chunk_gated_delta_rule_fwd_h_hip_kernelILi16ELb1ELb0ELb1ELb1ELb1ELb0ELb0ELb0EEEvPK12hip_bfloat16S3_S3_PKfS5_PKvPS1_S8_PvPKiSB_iiiiilll.kd
    .uniform_work_group_size: 1
    .uses_dynamic_stack: false
    .vgpr_count:     116
    .vgpr_spill_count: 0
    .wavefront_size: 64
  - .agpr_count:     8
    .args:
      - .actual_access:  read_only
        .address_space:  global
        .offset:         0
        .size:           8
        .value_kind:     global_buffer
      - .actual_access:  read_only
        .address_space:  global
        .offset:         8
        .size:           8
        .value_kind:     global_buffer
      - .actual_access:  read_only
        .address_space:  global
        .offset:         16
        .size:           8
        .value_kind:     global_buffer
      - .actual_access:  read_only
        .address_space:  global
        .offset:         24
        .size:           8
        .value_kind:     global_buffer
      - .actual_access:  read_only
        .address_space:  global
        .offset:         32
        .size:           8
        .value_kind:     global_buffer
      - .actual_access:  read_only
        .address_space:  global
        .offset:         40
        .size:           8
        .value_kind:     global_buffer
      - .actual_access:  write_only
        .address_space:  global
        .offset:         48
        .size:           8
        .value_kind:     global_buffer
      - .actual_access:  read_only
        .address_space:  global
        .offset:         56
        .size:           8
        .value_kind:     global_buffer
      - .actual_access:  read_only
        .address_space:  global
        .offset:         64
        .size:           8
        .value_kind:     global_buffer
      - .actual_access:  read_only
        .address_space:  global
        .offset:         72
        .size:           8
        .value_kind:     global_buffer
      - .actual_access:  read_only
        .address_space:  global
        .offset:         80
        .size:           8
        .value_kind:     global_buffer
      - .offset:         88
        .size:           4
        .value_kind:     by_value
      - .offset:         92
        .size:           4
        .value_kind:     by_value
      - .offset:         96
        .size:           4
        .value_kind:     by_value
      - .offset:         100
        .size:           4
        .value_kind:     by_value
      - .offset:         104
        .size:           4
        .value_kind:     by_value
      - .offset:         112
        .size:           8
        .value_kind:     by_value
      - .offset:         120
        .size:           8
        .value_kind:     by_value
      - .offset:         128
        .size:           8
        .value_kind:     by_value
    .group_segment_fixed_size: 40960
    .kernarg_segment_align: 8
    .kernarg_segment_size: 136
    .language:       OpenCL C
    .language_version:
      - 2
      - 0
    .max_flat_workgroup_size: 256
    .name:           _ZN12_GLOBAL__N_139chunk_gated_delta_rule_fwd_h_hip_kernelILi16ELb1ELb0ELb0ELb1ELb1ELb0ELb0ELb0EEEvPK12hip_bfloat16S3_S3_PKfS5_PKvPS1_S8_PvPKiSB_iiiiilll
    .private_segment_fixed_size: 0
    .sgpr_count:     65
    .sgpr_spill_count: 0
    .symbol:         _ZN12_GLOBAL__N_139chunk_gated_delta_rule_fwd_h_hip_kernelILi16ELb1ELb0ELb0ELb1ELb1ELb0ELb0ELb0EEEvPK12hip_bfloat16S3_S3_PKfS5_PKvPS1_S8_PvPKiSB_iiiiilll.kd
    .uniform_work_group_size: 1
    .uses_dynamic_stack: false
    .vgpr_count:     116
    .vgpr_spill_count: 0
    .wavefront_size: 64
  - .agpr_count:     8
    .args:
      - .actual_access:  read_only
        .address_space:  global
        .offset:         0
        .size:           8
        .value_kind:     global_buffer
      - .actual_access:  read_only
        .address_space:  global
        .offset:         8
        .size:           8
        .value_kind:     global_buffer
      - .actual_access:  read_only
        .address_space:  global
        .offset:         16
        .size:           8
        .value_kind:     global_buffer
      - .actual_access:  read_only
        .address_space:  global
        .offset:         24
        .size:           8
        .value_kind:     global_buffer
      - .actual_access:  read_only
        .address_space:  global
        .offset:         32
        .size:           8
        .value_kind:     global_buffer
      - .actual_access:  read_only
        .address_space:  global
        .offset:         40
        .size:           8
        .value_kind:     global_buffer
      - .actual_access:  write_only
        .address_space:  global
        .offset:         48
        .size:           8
        .value_kind:     global_buffer
      - .actual_access:  write_only
        .address_space:  global
        .offset:         56
        .size:           8
        .value_kind:     global_buffer
      - .actual_access:  write_only
        .address_space:  global
        .offset:         64
        .size:           8
        .value_kind:     global_buffer
      - .actual_access:  read_only
        .address_space:  global
        .offset:         72
        .size:           8
        .value_kind:     global_buffer
      - .actual_access:  read_only
        .address_space:  global
        .offset:         80
        .size:           8
        .value_kind:     global_buffer
      - .offset:         88
        .size:           4
        .value_kind:     by_value
      - .offset:         92
        .size:           4
        .value_kind:     by_value
      - .offset:         96
        .size:           4
        .value_kind:     by_value
      - .offset:         100
        .size:           4
        .value_kind:     by_value
      - .offset:         104
        .size:           4
        .value_kind:     by_value
      - .offset:         112
        .size:           8
        .value_kind:     by_value
      - .offset:         120
        .size:           8
        .value_kind:     by_value
      - .offset:         128
        .size:           8
        .value_kind:     by_value
    .group_segment_fixed_size: 40960
    .kernarg_segment_align: 8
    .kernarg_segment_size: 136
    .language:       OpenCL C
    .language_version:
      - 2
      - 0
    .max_flat_workgroup_size: 256
    .name:           _ZN12_GLOBAL__N_139chunk_gated_delta_rule_fwd_h_hip_kernelILi16ELb0ELb1ELb1ELb1ELb1ELb0ELb0ELb0EEEvPK12hip_bfloat16S3_S3_PKfS5_PKvPS1_S8_PvPKiSB_iiiiilll
    .private_segment_fixed_size: 0
    .sgpr_count:     72
    .sgpr_spill_count: 0
    .symbol:         _ZN12_GLOBAL__N_139chunk_gated_delta_rule_fwd_h_hip_kernelILi16ELb0ELb1ELb1ELb1ELb1ELb0ELb0ELb0EEEvPK12hip_bfloat16S3_S3_PKfS5_PKvPS1_S8_PvPKiSB_iiiiilll.kd
    .uniform_work_group_size: 1
    .uses_dynamic_stack: false
    .vgpr_count:     116
    .vgpr_spill_count: 0
    .wavefront_size: 64
  - .agpr_count:     8
    .args:
      - .actual_access:  read_only
        .address_space:  global
        .offset:         0
        .size:           8
        .value_kind:     global_buffer
      - .actual_access:  read_only
        .address_space:  global
        .offset:         8
        .size:           8
        .value_kind:     global_buffer
      - .actual_access:  read_only
        .address_space:  global
        .offset:         16
        .size:           8
        .value_kind:     global_buffer
      - .actual_access:  read_only
        .address_space:  global
        .offset:         24
        .size:           8
        .value_kind:     global_buffer
      - .actual_access:  read_only
        .address_space:  global
        .offset:         32
        .size:           8
        .value_kind:     global_buffer
      - .actual_access:  read_only
        .address_space:  global
        .offset:         40
        .size:           8
        .value_kind:     global_buffer
      - .actual_access:  write_only
        .address_space:  global
        .offset:         48
        .size:           8
        .value_kind:     global_buffer
      - .actual_access:  read_only
        .address_space:  global
        .offset:         56
        .size:           8
        .value_kind:     global_buffer
      - .actual_access:  write_only
        .address_space:  global
        .offset:         64
        .size:           8
        .value_kind:     global_buffer
      - .actual_access:  read_only
        .address_space:  global
        .offset:         72
        .size:           8
        .value_kind:     global_buffer
      - .actual_access:  read_only
        .address_space:  global
        .offset:         80
        .size:           8
        .value_kind:     global_buffer
      - .offset:         88
        .size:           4
        .value_kind:     by_value
      - .offset:         92
        .size:           4
        .value_kind:     by_value
      - .offset:         96
        .size:           4
        .value_kind:     by_value
      - .offset:         100
        .size:           4
        .value_kind:     by_value
      - .offset:         104
        .size:           4
        .value_kind:     by_value
      - .offset:         112
        .size:           8
        .value_kind:     by_value
      - .offset:         120
        .size:           8
        .value_kind:     by_value
      - .offset:         128
        .size:           8
        .value_kind:     by_value
    .group_segment_fixed_size: 40960
    .kernarg_segment_align: 8
    .kernarg_segment_size: 136
    .language:       OpenCL C
    .language_version:
      - 2
      - 0
    .max_flat_workgroup_size: 256
    .name:           _ZN12_GLOBAL__N_139chunk_gated_delta_rule_fwd_h_hip_kernelILi16ELb0ELb1ELb0ELb1ELb1ELb0ELb0ELb0EEEvPK12hip_bfloat16S3_S3_PKfS5_PKvPS1_S8_PvPKiSB_iiiiilll
    .private_segment_fixed_size: 0
    .sgpr_count:     69
    .sgpr_spill_count: 0
    .symbol:         _ZN12_GLOBAL__N_139chunk_gated_delta_rule_fwd_h_hip_kernelILi16ELb0ELb1ELb0ELb1ELb1ELb0ELb0ELb0EEEvPK12hip_bfloat16S3_S3_PKfS5_PKvPS1_S8_PvPKiSB_iiiiilll.kd
    .uniform_work_group_size: 1
    .uses_dynamic_stack: false
    .vgpr_count:     116
    .vgpr_spill_count: 0
    .wavefront_size: 64
  - .agpr_count:     8
    .args:
      - .actual_access:  read_only
        .address_space:  global
        .offset:         0
        .size:           8
        .value_kind:     global_buffer
      - .actual_access:  read_only
        .address_space:  global
        .offset:         8
        .size:           8
        .value_kind:     global_buffer
      - .actual_access:  read_only
        .address_space:  global
        .offset:         16
        .size:           8
        .value_kind:     global_buffer
      - .actual_access:  read_only
        .address_space:  global
        .offset:         24
        .size:           8
        .value_kind:     global_buffer
      - .actual_access:  read_only
        .address_space:  global
        .offset:         32
        .size:           8
        .value_kind:     global_buffer
      - .actual_access:  read_only
        .address_space:  global
        .offset:         40
        .size:           8
        .value_kind:     global_buffer
      - .actual_access:  write_only
        .address_space:  global
        .offset:         48
        .size:           8
        .value_kind:     global_buffer
      - .actual_access:  write_only
        .address_space:  global
        .offset:         56
        .size:           8
        .value_kind:     global_buffer
      - .actual_access:  read_only
        .address_space:  global
        .offset:         64
        .size:           8
        .value_kind:     global_buffer
      - .actual_access:  read_only
        .address_space:  global
        .offset:         72
        .size:           8
        .value_kind:     global_buffer
      - .actual_access:  read_only
        .address_space:  global
        .offset:         80
        .size:           8
        .value_kind:     global_buffer
      - .offset:         88
        .size:           4
        .value_kind:     by_value
      - .offset:         92
        .size:           4
        .value_kind:     by_value
      - .offset:         96
        .size:           4
        .value_kind:     by_value
      - .offset:         100
        .size:           4
        .value_kind:     by_value
      - .offset:         104
        .size:           4
        .value_kind:     by_value
      - .offset:         112
        .size:           8
        .value_kind:     by_value
      - .offset:         120
        .size:           8
        .value_kind:     by_value
      - .offset:         128
        .size:           8
        .value_kind:     by_value
    .group_segment_fixed_size: 40960
    .kernarg_segment_align: 8
    .kernarg_segment_size: 136
    .language:       OpenCL C
    .language_version:
      - 2
      - 0
    .max_flat_workgroup_size: 256
    .name:           _ZN12_GLOBAL__N_139chunk_gated_delta_rule_fwd_h_hip_kernelILi16ELb0ELb0ELb1ELb1ELb1ELb0ELb0ELb0EEEvPK12hip_bfloat16S3_S3_PKfS5_PKvPS1_S8_PvPKiSB_iiiiilll
    .private_segment_fixed_size: 0
    .sgpr_count:     68
    .sgpr_spill_count: 0
    .symbol:         _ZN12_GLOBAL__N_139chunk_gated_delta_rule_fwd_h_hip_kernelILi16ELb0ELb0ELb1ELb1ELb1ELb0ELb0ELb0EEEvPK12hip_bfloat16S3_S3_PKfS5_PKvPS1_S8_PvPKiSB_iiiiilll.kd
    .uniform_work_group_size: 1
    .uses_dynamic_stack: false
    .vgpr_count:     116
    .vgpr_spill_count: 0
    .wavefront_size: 64
  - .agpr_count:     8
    .args:
      - .actual_access:  read_only
        .address_space:  global
        .offset:         0
        .size:           8
        .value_kind:     global_buffer
      - .actual_access:  read_only
        .address_space:  global
        .offset:         8
        .size:           8
        .value_kind:     global_buffer
      - .actual_access:  read_only
        .address_space:  global
        .offset:         16
        .size:           8
        .value_kind:     global_buffer
      - .actual_access:  read_only
        .address_space:  global
        .offset:         24
        .size:           8
        .value_kind:     global_buffer
      - .actual_access:  read_only
        .address_space:  global
        .offset:         32
        .size:           8
        .value_kind:     global_buffer
      - .actual_access:  read_only
        .address_space:  global
        .offset:         40
        .size:           8
        .value_kind:     global_buffer
      - .actual_access:  write_only
        .address_space:  global
        .offset:         48
        .size:           8
        .value_kind:     global_buffer
      - .actual_access:  read_only
        .address_space:  global
        .offset:         56
        .size:           8
        .value_kind:     global_buffer
      - .actual_access:  read_only
        .address_space:  global
        .offset:         64
        .size:           8
        .value_kind:     global_buffer
      - .actual_access:  read_only
        .address_space:  global
        .offset:         72
        .size:           8
        .value_kind:     global_buffer
      - .actual_access:  read_only
        .address_space:  global
        .offset:         80
        .size:           8
        .value_kind:     global_buffer
      - .offset:         88
        .size:           4
        .value_kind:     by_value
      - .offset:         92
        .size:           4
        .value_kind:     by_value
      - .offset:         96
        .size:           4
        .value_kind:     by_value
      - .offset:         100
        .size:           4
        .value_kind:     by_value
      - .offset:         104
        .size:           4
        .value_kind:     by_value
      - .offset:         112
        .size:           8
        .value_kind:     by_value
      - .offset:         120
        .size:           8
        .value_kind:     by_value
      - .offset:         128
        .size:           8
        .value_kind:     by_value
    .group_segment_fixed_size: 40960
    .kernarg_segment_align: 8
    .kernarg_segment_size: 136
    .language:       OpenCL C
    .language_version:
      - 2
      - 0
    .max_flat_workgroup_size: 256
    .name:           _ZN12_GLOBAL__N_139chunk_gated_delta_rule_fwd_h_hip_kernelILi16ELb0ELb0ELb0ELb1ELb1ELb0ELb0ELb0EEEvPK12hip_bfloat16S3_S3_PKfS5_PKvPS1_S8_PvPKiSB_iiiiilll
    .private_segment_fixed_size: 0
    .sgpr_count:     64
    .sgpr_spill_count: 0
    .symbol:         _ZN12_GLOBAL__N_139chunk_gated_delta_rule_fwd_h_hip_kernelILi16ELb0ELb0ELb0ELb1ELb1ELb0ELb0ELb0EEEvPK12hip_bfloat16S3_S3_PKfS5_PKvPS1_S8_PvPKiSB_iiiiilll.kd
    .uniform_work_group_size: 1
    .uses_dynamic_stack: false
    .vgpr_count:     116
    .vgpr_spill_count: 0
    .wavefront_size: 64
  - .agpr_count:     8
    .args:
      - .actual_access:  read_only
        .address_space:  global
        .offset:         0
        .size:           8
        .value_kind:     global_buffer
      - .actual_access:  read_only
        .address_space:  global
        .offset:         8
        .size:           8
        .value_kind:     global_buffer
      - .actual_access:  read_only
        .address_space:  global
        .offset:         16
        .size:           8
        .value_kind:     global_buffer
      - .actual_access:  read_only
        .address_space:  global
        .offset:         24
        .size:           8
        .value_kind:     global_buffer
      - .actual_access:  read_only
        .address_space:  global
        .offset:         32
        .size:           8
        .value_kind:     global_buffer
      - .actual_access:  read_only
        .address_space:  global
        .offset:         40
        .size:           8
        .value_kind:     global_buffer
      - .actual_access:  write_only
        .address_space:  global
        .offset:         48
        .size:           8
        .value_kind:     global_buffer
      - .actual_access:  write_only
        .address_space:  global
        .offset:         56
        .size:           8
        .value_kind:     global_buffer
      - .actual_access:  write_only
        .address_space:  global
        .offset:         64
        .size:           8
        .value_kind:     global_buffer
      - .actual_access:  read_only
        .address_space:  global
        .offset:         72
        .size:           8
        .value_kind:     global_buffer
      - .actual_access:  read_only
        .address_space:  global
        .offset:         80
        .size:           8
        .value_kind:     global_buffer
      - .offset:         88
        .size:           4
        .value_kind:     by_value
      - .offset:         92
        .size:           4
        .value_kind:     by_value
      - .offset:         96
        .size:           4
        .value_kind:     by_value
      - .offset:         100
        .size:           4
        .value_kind:     by_value
      - .offset:         104
        .size:           4
        .value_kind:     by_value
      - .offset:         112
        .size:           8
        .value_kind:     by_value
      - .offset:         120
        .size:           8
        .value_kind:     by_value
      - .offset:         128
        .size:           8
        .value_kind:     by_value
    .group_segment_fixed_size: 40960
    .kernarg_segment_align: 8
    .kernarg_segment_size: 136
    .language:       OpenCL C
    .language_version:
      - 2
      - 0
    .max_flat_workgroup_size: 256
    .name:           _ZN12_GLOBAL__N_139chunk_gated_delta_rule_fwd_h_hip_kernelILi16ELb1ELb1ELb1ELb0ELb1ELb0ELb0ELb0EEEvPK12hip_bfloat16S3_S3_PKfS5_PKvPS1_S8_PvPKiSB_iiiiilll
    .private_segment_fixed_size: 0
    .sgpr_count:     78
    .sgpr_spill_count: 0
    .symbol:         _ZN12_GLOBAL__N_139chunk_gated_delta_rule_fwd_h_hip_kernelILi16ELb1ELb1ELb1ELb0ELb1ELb0ELb0ELb0EEEvPK12hip_bfloat16S3_S3_PKfS5_PKvPS1_S8_PvPKiSB_iiiiilll.kd
    .uniform_work_group_size: 1
    .uses_dynamic_stack: false
    .vgpr_count:     120
    .vgpr_spill_count: 0
    .wavefront_size: 64
  - .agpr_count:     8
    .args:
      - .actual_access:  read_only
        .address_space:  global
        .offset:         0
        .size:           8
        .value_kind:     global_buffer
      - .actual_access:  read_only
        .address_space:  global
        .offset:         8
        .size:           8
        .value_kind:     global_buffer
      - .actual_access:  read_only
        .address_space:  global
        .offset:         16
        .size:           8
        .value_kind:     global_buffer
      - .actual_access:  read_only
        .address_space:  global
        .offset:         24
        .size:           8
        .value_kind:     global_buffer
      - .actual_access:  read_only
        .address_space:  global
        .offset:         32
        .size:           8
        .value_kind:     global_buffer
      - .actual_access:  read_only
        .address_space:  global
        .offset:         40
        .size:           8
        .value_kind:     global_buffer
      - .actual_access:  write_only
        .address_space:  global
        .offset:         48
        .size:           8
        .value_kind:     global_buffer
      - .actual_access:  read_only
        .address_space:  global
        .offset:         56
        .size:           8
        .value_kind:     global_buffer
      - .actual_access:  write_only
        .address_space:  global
        .offset:         64
        .size:           8
        .value_kind:     global_buffer
      - .actual_access:  read_only
        .address_space:  global
        .offset:         72
        .size:           8
        .value_kind:     global_buffer
      - .actual_access:  read_only
        .address_space:  global
        .offset:         80
        .size:           8
        .value_kind:     global_buffer
      - .offset:         88
        .size:           4
        .value_kind:     by_value
      - .offset:         92
        .size:           4
        .value_kind:     by_value
      - .offset:         96
        .size:           4
        .value_kind:     by_value
      - .offset:         100
        .size:           4
        .value_kind:     by_value
      - .offset:         104
        .size:           4
        .value_kind:     by_value
      - .offset:         112
        .size:           8
        .value_kind:     by_value
      - .offset:         120
        .size:           8
        .value_kind:     by_value
      - .offset:         128
        .size:           8
        .value_kind:     by_value
    .group_segment_fixed_size: 40960
    .kernarg_segment_align: 8
    .kernarg_segment_size: 136
    .language:       OpenCL C
    .language_version:
      - 2
      - 0
    .max_flat_workgroup_size: 256
    .name:           _ZN12_GLOBAL__N_139chunk_gated_delta_rule_fwd_h_hip_kernelILi16ELb1ELb1ELb0ELb0ELb1ELb0ELb0ELb0EEEvPK12hip_bfloat16S3_S3_PKfS5_PKvPS1_S8_PvPKiSB_iiiiilll
    .private_segment_fixed_size: 0
    .sgpr_count:     74
    .sgpr_spill_count: 0
    .symbol:         _ZN12_GLOBAL__N_139chunk_gated_delta_rule_fwd_h_hip_kernelILi16ELb1ELb1ELb0ELb0ELb1ELb0ELb0ELb0EEEvPK12hip_bfloat16S3_S3_PKfS5_PKvPS1_S8_PvPKiSB_iiiiilll.kd
    .uniform_work_group_size: 1
    .uses_dynamic_stack: false
    .vgpr_count:     116
    .vgpr_spill_count: 0
    .wavefront_size: 64
  - .agpr_count:     8
    .args:
      - .actual_access:  read_only
        .address_space:  global
        .offset:         0
        .size:           8
        .value_kind:     global_buffer
      - .actual_access:  read_only
        .address_space:  global
        .offset:         8
        .size:           8
        .value_kind:     global_buffer
      - .actual_access:  read_only
        .address_space:  global
        .offset:         16
        .size:           8
        .value_kind:     global_buffer
      - .actual_access:  read_only
        .address_space:  global
        .offset:         24
        .size:           8
        .value_kind:     global_buffer
      - .actual_access:  read_only
        .address_space:  global
        .offset:         32
        .size:           8
        .value_kind:     global_buffer
      - .actual_access:  read_only
        .address_space:  global
        .offset:         40
        .size:           8
        .value_kind:     global_buffer
      - .actual_access:  write_only
        .address_space:  global
        .offset:         48
        .size:           8
        .value_kind:     global_buffer
      - .actual_access:  write_only
        .address_space:  global
        .offset:         56
        .size:           8
        .value_kind:     global_buffer
      - .actual_access:  read_only
        .address_space:  global
        .offset:         64
        .size:           8
        .value_kind:     global_buffer
      - .actual_access:  read_only
        .address_space:  global
        .offset:         72
        .size:           8
        .value_kind:     global_buffer
      - .actual_access:  read_only
        .address_space:  global
        .offset:         80
        .size:           8
        .value_kind:     global_buffer
      - .offset:         88
        .size:           4
        .value_kind:     by_value
      - .offset:         92
        .size:           4
        .value_kind:     by_value
      - .offset:         96
        .size:           4
        .value_kind:     by_value
      - .offset:         100
        .size:           4
        .value_kind:     by_value
      - .offset:         104
        .size:           4
        .value_kind:     by_value
      - .offset:         112
        .size:           8
        .value_kind:     by_value
      - .offset:         120
        .size:           8
        .value_kind:     by_value
      - .offset:         128
        .size:           8
        .value_kind:     by_value
    .group_segment_fixed_size: 40960
    .kernarg_segment_align: 8
    .kernarg_segment_size: 136
    .language:       OpenCL C
    .language_version:
      - 2
      - 0
    .max_flat_workgroup_size: 256
    .name:           _ZN12_GLOBAL__N_139chunk_gated_delta_rule_fwd_h_hip_kernelILi16ELb1ELb0ELb1ELb0ELb1ELb0ELb0ELb0EEEvPK12hip_bfloat16S3_S3_PKfS5_PKvPS1_S8_PvPKiSB_iiiiilll
    .private_segment_fixed_size: 0
    .sgpr_count:     74
    .sgpr_spill_count: 0
    .symbol:         _ZN12_GLOBAL__N_139chunk_gated_delta_rule_fwd_h_hip_kernelILi16ELb1ELb0ELb1ELb0ELb1ELb0ELb0ELb0EEEvPK12hip_bfloat16S3_S3_PKfS5_PKvPS1_S8_PvPKiSB_iiiiilll.kd
    .uniform_work_group_size: 1
    .uses_dynamic_stack: false
    .vgpr_count:     116
    .vgpr_spill_count: 0
    .wavefront_size: 64
  - .agpr_count:     8
    .args:
      - .actual_access:  read_only
        .address_space:  global
        .offset:         0
        .size:           8
        .value_kind:     global_buffer
      - .actual_access:  read_only
        .address_space:  global
        .offset:         8
        .size:           8
        .value_kind:     global_buffer
      - .actual_access:  read_only
        .address_space:  global
        .offset:         16
        .size:           8
        .value_kind:     global_buffer
      - .actual_access:  read_only
        .address_space:  global
        .offset:         24
        .size:           8
        .value_kind:     global_buffer
      - .actual_access:  read_only
        .address_space:  global
        .offset:         32
        .size:           8
        .value_kind:     global_buffer
      - .actual_access:  read_only
        .address_space:  global
        .offset:         40
        .size:           8
        .value_kind:     global_buffer
      - .actual_access:  write_only
        .address_space:  global
        .offset:         48
        .size:           8
        .value_kind:     global_buffer
      - .actual_access:  read_only
        .address_space:  global
        .offset:         56
        .size:           8
        .value_kind:     global_buffer
      - .actual_access:  read_only
        .address_space:  global
        .offset:         64
        .size:           8
        .value_kind:     global_buffer
      - .actual_access:  read_only
        .address_space:  global
        .offset:         72
        .size:           8
        .value_kind:     global_buffer
      - .actual_access:  read_only
        .address_space:  global
        .offset:         80
        .size:           8
        .value_kind:     global_buffer
      - .offset:         88
        .size:           4
        .value_kind:     by_value
      - .offset:         92
        .size:           4
        .value_kind:     by_value
      - .offset:         96
        .size:           4
        .value_kind:     by_value
      - .offset:         100
        .size:           4
        .value_kind:     by_value
      - .offset:         104
        .size:           4
        .value_kind:     by_value
      - .offset:         112
        .size:           8
        .value_kind:     by_value
      - .offset:         120
        .size:           8
        .value_kind:     by_value
      - .offset:         128
        .size:           8
        .value_kind:     by_value
    .group_segment_fixed_size: 40960
    .kernarg_segment_align: 8
    .kernarg_segment_size: 136
    .language:       OpenCL C
    .language_version:
      - 2
      - 0
    .max_flat_workgroup_size: 256
    .name:           _ZN12_GLOBAL__N_139chunk_gated_delta_rule_fwd_h_hip_kernelILi16ELb1ELb0ELb0ELb0ELb1ELb0ELb0ELb0EEEvPK12hip_bfloat16S3_S3_PKfS5_PKvPS1_S8_PvPKiSB_iiiiilll
    .private_segment_fixed_size: 0
    .sgpr_count:     70
    .sgpr_spill_count: 0
    .symbol:         _ZN12_GLOBAL__N_139chunk_gated_delta_rule_fwd_h_hip_kernelILi16ELb1ELb0ELb0ELb0ELb1ELb0ELb0ELb0EEEvPK12hip_bfloat16S3_S3_PKfS5_PKvPS1_S8_PvPKiSB_iiiiilll.kd
    .uniform_work_group_size: 1
    .uses_dynamic_stack: false
    .vgpr_count:     116
    .vgpr_spill_count: 0
    .wavefront_size: 64
  - .agpr_count:     8
    .args:
      - .actual_access:  read_only
        .address_space:  global
        .offset:         0
        .size:           8
        .value_kind:     global_buffer
      - .actual_access:  read_only
        .address_space:  global
        .offset:         8
        .size:           8
        .value_kind:     global_buffer
      - .actual_access:  read_only
        .address_space:  global
        .offset:         16
        .size:           8
        .value_kind:     global_buffer
      - .actual_access:  read_only
        .address_space:  global
        .offset:         24
        .size:           8
        .value_kind:     global_buffer
      - .actual_access:  read_only
        .address_space:  global
        .offset:         32
        .size:           8
        .value_kind:     global_buffer
      - .actual_access:  read_only
        .address_space:  global
        .offset:         40
        .size:           8
        .value_kind:     global_buffer
      - .actual_access:  write_only
        .address_space:  global
        .offset:         48
        .size:           8
        .value_kind:     global_buffer
      - .actual_access:  write_only
        .address_space:  global
        .offset:         56
        .size:           8
        .value_kind:     global_buffer
      - .actual_access:  write_only
        .address_space:  global
        .offset:         64
        .size:           8
        .value_kind:     global_buffer
      - .actual_access:  read_only
        .address_space:  global
        .offset:         72
        .size:           8
        .value_kind:     global_buffer
      - .actual_access:  read_only
        .address_space:  global
        .offset:         80
        .size:           8
        .value_kind:     global_buffer
      - .offset:         88
        .size:           4
        .value_kind:     by_value
      - .offset:         92
        .size:           4
        .value_kind:     by_value
      - .offset:         96
        .size:           4
        .value_kind:     by_value
      - .offset:         100
        .size:           4
        .value_kind:     by_value
      - .offset:         104
        .size:           4
        .value_kind:     by_value
      - .offset:         112
        .size:           8
        .value_kind:     by_value
      - .offset:         120
        .size:           8
        .value_kind:     by_value
      - .offset:         128
        .size:           8
        .value_kind:     by_value
    .group_segment_fixed_size: 40960
    .kernarg_segment_align: 8
    .kernarg_segment_size: 136
    .language:       OpenCL C
    .language_version:
      - 2
      - 0
    .max_flat_workgroup_size: 256
    .name:           _ZN12_GLOBAL__N_139chunk_gated_delta_rule_fwd_h_hip_kernelILi16ELb0ELb1ELb1ELb0ELb1ELb0ELb0ELb0EEEvPK12hip_bfloat16S3_S3_PKfS5_PKvPS1_S8_PvPKiSB_iiiiilll
    .private_segment_fixed_size: 0
    .sgpr_count:     74
    .sgpr_spill_count: 0
    .symbol:         _ZN12_GLOBAL__N_139chunk_gated_delta_rule_fwd_h_hip_kernelILi16ELb0ELb1ELb1ELb0ELb1ELb0ELb0ELb0EEEvPK12hip_bfloat16S3_S3_PKfS5_PKvPS1_S8_PvPKiSB_iiiiilll.kd
    .uniform_work_group_size: 1
    .uses_dynamic_stack: false
    .vgpr_count:     116
    .vgpr_spill_count: 0
    .wavefront_size: 64
  - .agpr_count:     8
    .args:
      - .actual_access:  read_only
        .address_space:  global
        .offset:         0
        .size:           8
        .value_kind:     global_buffer
      - .actual_access:  read_only
        .address_space:  global
        .offset:         8
        .size:           8
        .value_kind:     global_buffer
      - .actual_access:  read_only
        .address_space:  global
        .offset:         16
        .size:           8
        .value_kind:     global_buffer
      - .actual_access:  read_only
        .address_space:  global
        .offset:         24
        .size:           8
        .value_kind:     global_buffer
      - .actual_access:  read_only
        .address_space:  global
        .offset:         32
        .size:           8
        .value_kind:     global_buffer
      - .actual_access:  read_only
        .address_space:  global
        .offset:         40
        .size:           8
        .value_kind:     global_buffer
      - .actual_access:  write_only
        .address_space:  global
        .offset:         48
        .size:           8
        .value_kind:     global_buffer
      - .actual_access:  read_only
        .address_space:  global
        .offset:         56
        .size:           8
        .value_kind:     global_buffer
      - .actual_access:  write_only
        .address_space:  global
        .offset:         64
        .size:           8
        .value_kind:     global_buffer
      - .actual_access:  read_only
        .address_space:  global
        .offset:         72
        .size:           8
        .value_kind:     global_buffer
      - .actual_access:  read_only
        .address_space:  global
        .offset:         80
        .size:           8
        .value_kind:     global_buffer
      - .offset:         88
        .size:           4
        .value_kind:     by_value
      - .offset:         92
        .size:           4
        .value_kind:     by_value
      - .offset:         96
        .size:           4
        .value_kind:     by_value
      - .offset:         100
        .size:           4
        .value_kind:     by_value
      - .offset:         104
        .size:           4
        .value_kind:     by_value
      - .offset:         112
        .size:           8
        .value_kind:     by_value
      - .offset:         120
        .size:           8
        .value_kind:     by_value
      - .offset:         128
        .size:           8
        .value_kind:     by_value
    .group_segment_fixed_size: 40960
    .kernarg_segment_align: 8
    .kernarg_segment_size: 136
    .language:       OpenCL C
    .language_version:
      - 2
      - 0
    .max_flat_workgroup_size: 256
    .name:           _ZN12_GLOBAL__N_139chunk_gated_delta_rule_fwd_h_hip_kernelILi16ELb0ELb1ELb0ELb0ELb1ELb0ELb0ELb0EEEvPK12hip_bfloat16S3_S3_PKfS5_PKvPS1_S8_PvPKiSB_iiiiilll
    .private_segment_fixed_size: 0
    .sgpr_count:     69
    .sgpr_spill_count: 0
    .symbol:         _ZN12_GLOBAL__N_139chunk_gated_delta_rule_fwd_h_hip_kernelILi16ELb0ELb1ELb0ELb0ELb1ELb0ELb0ELb0EEEvPK12hip_bfloat16S3_S3_PKfS5_PKvPS1_S8_PvPKiSB_iiiiilll.kd
    .uniform_work_group_size: 1
    .uses_dynamic_stack: false
    .vgpr_count:     116
    .vgpr_spill_count: 0
    .wavefront_size: 64
  - .agpr_count:     8
    .args:
      - .actual_access:  read_only
        .address_space:  global
        .offset:         0
        .size:           8
        .value_kind:     global_buffer
      - .actual_access:  read_only
        .address_space:  global
        .offset:         8
        .size:           8
        .value_kind:     global_buffer
      - .actual_access:  read_only
        .address_space:  global
        .offset:         16
        .size:           8
        .value_kind:     global_buffer
      - .actual_access:  read_only
        .address_space:  global
        .offset:         24
        .size:           8
        .value_kind:     global_buffer
      - .actual_access:  read_only
        .address_space:  global
        .offset:         32
        .size:           8
        .value_kind:     global_buffer
      - .actual_access:  read_only
        .address_space:  global
        .offset:         40
        .size:           8
        .value_kind:     global_buffer
      - .actual_access:  write_only
        .address_space:  global
        .offset:         48
        .size:           8
        .value_kind:     global_buffer
      - .actual_access:  write_only
        .address_space:  global
        .offset:         56
        .size:           8
        .value_kind:     global_buffer
      - .actual_access:  read_only
        .address_space:  global
        .offset:         64
        .size:           8
        .value_kind:     global_buffer
      - .actual_access:  read_only
        .address_space:  global
        .offset:         72
        .size:           8
        .value_kind:     global_buffer
      - .actual_access:  read_only
        .address_space:  global
        .offset:         80
        .size:           8
        .value_kind:     global_buffer
      - .offset:         88
        .size:           4
        .value_kind:     by_value
      - .offset:         92
        .size:           4
        .value_kind:     by_value
      - .offset:         96
        .size:           4
        .value_kind:     by_value
      - .offset:         100
        .size:           4
        .value_kind:     by_value
      - .offset:         104
        .size:           4
        .value_kind:     by_value
      - .offset:         112
        .size:           8
        .value_kind:     by_value
      - .offset:         120
        .size:           8
        .value_kind:     by_value
      - .offset:         128
        .size:           8
        .value_kind:     by_value
    .group_segment_fixed_size: 40960
    .kernarg_segment_align: 8
    .kernarg_segment_size: 136
    .language:       OpenCL C
    .language_version:
      - 2
      - 0
    .max_flat_workgroup_size: 256
    .name:           _ZN12_GLOBAL__N_139chunk_gated_delta_rule_fwd_h_hip_kernelILi16ELb0ELb0ELb1ELb0ELb1ELb0ELb0ELb0EEEvPK12hip_bfloat16S3_S3_PKfS5_PKvPS1_S8_PvPKiSB_iiiiilll
    .private_segment_fixed_size: 0
    .sgpr_count:     72
    .sgpr_spill_count: 0
    .symbol:         _ZN12_GLOBAL__N_139chunk_gated_delta_rule_fwd_h_hip_kernelILi16ELb0ELb0ELb1ELb0ELb1ELb0ELb0ELb0EEEvPK12hip_bfloat16S3_S3_PKfS5_PKvPS1_S8_PvPKiSB_iiiiilll.kd
    .uniform_work_group_size: 1
    .uses_dynamic_stack: false
    .vgpr_count:     116
    .vgpr_spill_count: 0
    .wavefront_size: 64
  - .agpr_count:     8
    .args:
      - .actual_access:  read_only
        .address_space:  global
        .offset:         0
        .size:           8
        .value_kind:     global_buffer
      - .actual_access:  read_only
        .address_space:  global
        .offset:         8
        .size:           8
        .value_kind:     global_buffer
      - .actual_access:  read_only
        .address_space:  global
        .offset:         16
        .size:           8
        .value_kind:     global_buffer
      - .actual_access:  read_only
        .address_space:  global
        .offset:         24
        .size:           8
        .value_kind:     global_buffer
      - .actual_access:  read_only
        .address_space:  global
        .offset:         32
        .size:           8
        .value_kind:     global_buffer
      - .actual_access:  read_only
        .address_space:  global
        .offset:         40
        .size:           8
        .value_kind:     global_buffer
      - .actual_access:  write_only
        .address_space:  global
        .offset:         48
        .size:           8
        .value_kind:     global_buffer
      - .actual_access:  read_only
        .address_space:  global
        .offset:         56
        .size:           8
        .value_kind:     global_buffer
      - .actual_access:  read_only
        .address_space:  global
        .offset:         64
        .size:           8
        .value_kind:     global_buffer
      - .actual_access:  read_only
        .address_space:  global
        .offset:         72
        .size:           8
        .value_kind:     global_buffer
      - .actual_access:  read_only
        .address_space:  global
        .offset:         80
        .size:           8
        .value_kind:     global_buffer
      - .offset:         88
        .size:           4
        .value_kind:     by_value
      - .offset:         92
        .size:           4
        .value_kind:     by_value
      - .offset:         96
        .size:           4
        .value_kind:     by_value
      - .offset:         100
        .size:           4
        .value_kind:     by_value
      - .offset:         104
        .size:           4
        .value_kind:     by_value
      - .offset:         112
        .size:           8
        .value_kind:     by_value
      - .offset:         120
        .size:           8
        .value_kind:     by_value
      - .offset:         128
        .size:           8
        .value_kind:     by_value
    .group_segment_fixed_size: 40960
    .kernarg_segment_align: 8
    .kernarg_segment_size: 136
    .language:       OpenCL C
    .language_version:
      - 2
      - 0
    .max_flat_workgroup_size: 256
    .name:           _ZN12_GLOBAL__N_139chunk_gated_delta_rule_fwd_h_hip_kernelILi16ELb0ELb0ELb0ELb0ELb1ELb0ELb0ELb0EEEvPK12hip_bfloat16S3_S3_PKfS5_PKvPS1_S8_PvPKiSB_iiiiilll
    .private_segment_fixed_size: 0
    .sgpr_count:     67
    .sgpr_spill_count: 0
    .symbol:         _ZN12_GLOBAL__N_139chunk_gated_delta_rule_fwd_h_hip_kernelILi16ELb0ELb0ELb0ELb0ELb1ELb0ELb0ELb0EEEvPK12hip_bfloat16S3_S3_PKfS5_PKvPS1_S8_PvPKiSB_iiiiilll.kd
    .uniform_work_group_size: 1
    .uses_dynamic_stack: false
    .vgpr_count:     116
    .vgpr_spill_count: 0
    .wavefront_size: 64
  - .agpr_count:     12
    .args:
      - .actual_access:  read_only
        .address_space:  global
        .offset:         0
        .size:           8
        .value_kind:     global_buffer
      - .actual_access:  read_only
        .address_space:  global
        .offset:         8
        .size:           8
        .value_kind:     global_buffer
      - .actual_access:  read_only
        .address_space:  global
        .offset:         16
        .size:           8
        .value_kind:     global_buffer
      - .actual_access:  read_only
        .address_space:  global
        .offset:         24
        .size:           8
        .value_kind:     global_buffer
      - .actual_access:  read_only
        .address_space:  global
        .offset:         32
        .size:           8
        .value_kind:     global_buffer
      - .actual_access:  read_only
        .address_space:  global
        .offset:         40
        .size:           8
        .value_kind:     global_buffer
      - .actual_access:  write_only
        .address_space:  global
        .offset:         48
        .size:           8
        .value_kind:     global_buffer
      - .actual_access:  write_only
        .address_space:  global
        .offset:         56
        .size:           8
        .value_kind:     global_buffer
      - .actual_access:  write_only
        .address_space:  global
        .offset:         64
        .size:           8
        .value_kind:     global_buffer
      - .actual_access:  read_only
        .address_space:  global
        .offset:         72
        .size:           8
        .value_kind:     global_buffer
      - .actual_access:  read_only
        .address_space:  global
        .offset:         80
        .size:           8
        .value_kind:     global_buffer
      - .offset:         88
        .size:           4
        .value_kind:     by_value
      - .offset:         92
        .size:           4
        .value_kind:     by_value
      - .offset:         96
        .size:           4
        .value_kind:     by_value
      - .offset:         100
        .size:           4
        .value_kind:     by_value
      - .offset:         104
        .size:           4
        .value_kind:     by_value
      - .offset:         112
        .size:           8
        .value_kind:     by_value
      - .offset:         120
        .size:           8
        .value_kind:     by_value
      - .offset:         128
        .size:           8
        .value_kind:     by_value
    .group_segment_fixed_size: 40960
    .kernarg_segment_align: 8
    .kernarg_segment_size: 136
    .language:       OpenCL C
    .language_version:
      - 2
      - 0
    .max_flat_workgroup_size: 256
    .name:           _ZN12_GLOBAL__N_139chunk_gated_delta_rule_fwd_h_hip_kernelILi16ELb1ELb1ELb1ELb1ELb0ELb1ELb1ELb0EEEvPK12hip_bfloat16S3_S3_PKfS5_PKvPS1_S8_PvPKiSB_iiiiilll
    .private_segment_fixed_size: 0
    .sgpr_count:     76
    .sgpr_spill_count: 0
    .symbol:         _ZN12_GLOBAL__N_139chunk_gated_delta_rule_fwd_h_hip_kernelILi16ELb1ELb1ELb1ELb1ELb0ELb1ELb1ELb0EEEvPK12hip_bfloat16S3_S3_PKfS5_PKvPS1_S8_PvPKiSB_iiiiilll.kd
    .uniform_work_group_size: 1
    .uses_dynamic_stack: false
    .vgpr_count:     132
    .vgpr_spill_count: 0
    .wavefront_size: 64
  - .agpr_count:     12
    .args:
      - .actual_access:  read_only
        .address_space:  global
        .offset:         0
        .size:           8
        .value_kind:     global_buffer
      - .actual_access:  read_only
        .address_space:  global
        .offset:         8
        .size:           8
        .value_kind:     global_buffer
      - .actual_access:  read_only
        .address_space:  global
        .offset:         16
        .size:           8
        .value_kind:     global_buffer
      - .actual_access:  read_only
        .address_space:  global
        .offset:         24
        .size:           8
        .value_kind:     global_buffer
      - .actual_access:  read_only
        .address_space:  global
        .offset:         32
        .size:           8
        .value_kind:     global_buffer
      - .actual_access:  read_only
        .address_space:  global
        .offset:         40
        .size:           8
        .value_kind:     global_buffer
      - .actual_access:  write_only
        .address_space:  global
        .offset:         48
        .size:           8
        .value_kind:     global_buffer
      - .actual_access:  read_only
        .address_space:  global
        .offset:         56
        .size:           8
        .value_kind:     global_buffer
      - .actual_access:  write_only
        .address_space:  global
        .offset:         64
        .size:           8
        .value_kind:     global_buffer
      - .actual_access:  read_only
        .address_space:  global
        .offset:         72
        .size:           8
        .value_kind:     global_buffer
      - .actual_access:  read_only
        .address_space:  global
        .offset:         80
        .size:           8
        .value_kind:     global_buffer
      - .offset:         88
        .size:           4
        .value_kind:     by_value
      - .offset:         92
        .size:           4
        .value_kind:     by_value
      - .offset:         96
        .size:           4
        .value_kind:     by_value
      - .offset:         100
        .size:           4
        .value_kind:     by_value
      - .offset:         104
        .size:           4
        .value_kind:     by_value
      - .offset:         112
        .size:           8
        .value_kind:     by_value
      - .offset:         120
        .size:           8
        .value_kind:     by_value
      - .offset:         128
        .size:           8
        .value_kind:     by_value
    .group_segment_fixed_size: 40960
    .kernarg_segment_align: 8
    .kernarg_segment_size: 136
    .language:       OpenCL C
    .language_version:
      - 2
      - 0
    .max_flat_workgroup_size: 256
    .name:           _ZN12_GLOBAL__N_139chunk_gated_delta_rule_fwd_h_hip_kernelILi16ELb1ELb1ELb0ELb1ELb0ELb1ELb1ELb0EEEvPK12hip_bfloat16S3_S3_PKfS5_PKvPS1_S8_PvPKiSB_iiiiilll
    .private_segment_fixed_size: 0
    .sgpr_count:     71
    .sgpr_spill_count: 0
    .symbol:         _ZN12_GLOBAL__N_139chunk_gated_delta_rule_fwd_h_hip_kernelILi16ELb1ELb1ELb0ELb1ELb0ELb1ELb1ELb0EEEvPK12hip_bfloat16S3_S3_PKfS5_PKvPS1_S8_PvPKiSB_iiiiilll.kd
    .uniform_work_group_size: 1
    .uses_dynamic_stack: false
    .vgpr_count:     128
    .vgpr_spill_count: 0
    .wavefront_size: 64
  - .agpr_count:     12
    .args:
      - .actual_access:  read_only
        .address_space:  global
        .offset:         0
        .size:           8
        .value_kind:     global_buffer
      - .actual_access:  read_only
        .address_space:  global
        .offset:         8
        .size:           8
        .value_kind:     global_buffer
      - .actual_access:  read_only
        .address_space:  global
        .offset:         16
        .size:           8
        .value_kind:     global_buffer
      - .actual_access:  read_only
        .address_space:  global
        .offset:         24
        .size:           8
        .value_kind:     global_buffer
      - .actual_access:  read_only
        .address_space:  global
        .offset:         32
        .size:           8
        .value_kind:     global_buffer
      - .actual_access:  read_only
        .address_space:  global
        .offset:         40
        .size:           8
        .value_kind:     global_buffer
      - .actual_access:  write_only
        .address_space:  global
        .offset:         48
        .size:           8
        .value_kind:     global_buffer
      - .actual_access:  write_only
        .address_space:  global
        .offset:         56
        .size:           8
        .value_kind:     global_buffer
      - .actual_access:  read_only
        .address_space:  global
        .offset:         64
        .size:           8
        .value_kind:     global_buffer
      - .actual_access:  read_only
        .address_space:  global
        .offset:         72
        .size:           8
        .value_kind:     global_buffer
      - .actual_access:  read_only
        .address_space:  global
        .offset:         80
        .size:           8
        .value_kind:     global_buffer
      - .offset:         88
        .size:           4
        .value_kind:     by_value
      - .offset:         92
        .size:           4
        .value_kind:     by_value
      - .offset:         96
        .size:           4
        .value_kind:     by_value
      - .offset:         100
        .size:           4
        .value_kind:     by_value
      - .offset:         104
        .size:           4
        .value_kind:     by_value
      - .offset:         112
        .size:           8
        .value_kind:     by_value
      - .offset:         120
        .size:           8
        .value_kind:     by_value
      - .offset:         128
        .size:           8
        .value_kind:     by_value
    .group_segment_fixed_size: 40960
    .kernarg_segment_align: 8
    .kernarg_segment_size: 136
    .language:       OpenCL C
    .language_version:
      - 2
      - 0
    .max_flat_workgroup_size: 256
    .name:           _ZN12_GLOBAL__N_139chunk_gated_delta_rule_fwd_h_hip_kernelILi16ELb1ELb0ELb1ELb1ELb0ELb1ELb1ELb0EEEvPK12hip_bfloat16S3_S3_PKfS5_PKvPS1_S8_PvPKiSB_iiiiilll
    .private_segment_fixed_size: 0
    .sgpr_count:     69
    .sgpr_spill_count: 0
    .symbol:         _ZN12_GLOBAL__N_139chunk_gated_delta_rule_fwd_h_hip_kernelILi16ELb1ELb0ELb1ELb1ELb0ELb1ELb1ELb0EEEvPK12hip_bfloat16S3_S3_PKfS5_PKvPS1_S8_PvPKiSB_iiiiilll.kd
    .uniform_work_group_size: 1
    .uses_dynamic_stack: false
    .vgpr_count:     128
    .vgpr_spill_count: 0
    .wavefront_size: 64
  - .agpr_count:     12
    .args:
      - .actual_access:  read_only
        .address_space:  global
        .offset:         0
        .size:           8
        .value_kind:     global_buffer
      - .actual_access:  read_only
        .address_space:  global
        .offset:         8
        .size:           8
        .value_kind:     global_buffer
      - .actual_access:  read_only
        .address_space:  global
        .offset:         16
        .size:           8
        .value_kind:     global_buffer
      - .actual_access:  read_only
        .address_space:  global
        .offset:         24
        .size:           8
        .value_kind:     global_buffer
      - .actual_access:  read_only
        .address_space:  global
        .offset:         32
        .size:           8
        .value_kind:     global_buffer
      - .actual_access:  read_only
        .address_space:  global
        .offset:         40
        .size:           8
        .value_kind:     global_buffer
      - .actual_access:  write_only
        .address_space:  global
        .offset:         48
        .size:           8
        .value_kind:     global_buffer
      - .actual_access:  read_only
        .address_space:  global
        .offset:         56
        .size:           8
        .value_kind:     global_buffer
      - .actual_access:  read_only
        .address_space:  global
        .offset:         64
        .size:           8
        .value_kind:     global_buffer
      - .actual_access:  read_only
        .address_space:  global
        .offset:         72
        .size:           8
        .value_kind:     global_buffer
      - .actual_access:  read_only
        .address_space:  global
        .offset:         80
        .size:           8
        .value_kind:     global_buffer
      - .offset:         88
        .size:           4
        .value_kind:     by_value
      - .offset:         92
        .size:           4
        .value_kind:     by_value
      - .offset:         96
        .size:           4
        .value_kind:     by_value
      - .offset:         100
        .size:           4
        .value_kind:     by_value
      - .offset:         104
        .size:           4
        .value_kind:     by_value
      - .offset:         112
        .size:           8
        .value_kind:     by_value
      - .offset:         120
        .size:           8
        .value_kind:     by_value
      - .offset:         128
        .size:           8
        .value_kind:     by_value
    .group_segment_fixed_size: 40960
    .kernarg_segment_align: 8
    .kernarg_segment_size: 136
    .language:       OpenCL C
    .language_version:
      - 2
      - 0
    .max_flat_workgroup_size: 256
    .name:           _ZN12_GLOBAL__N_139chunk_gated_delta_rule_fwd_h_hip_kernelILi16ELb1ELb0ELb0ELb1ELb0ELb1ELb1ELb0EEEvPK12hip_bfloat16S3_S3_PKfS5_PKvPS1_S8_PvPKiSB_iiiiilll
    .private_segment_fixed_size: 0
    .sgpr_count:     67
    .sgpr_spill_count: 0
    .symbol:         _ZN12_GLOBAL__N_139chunk_gated_delta_rule_fwd_h_hip_kernelILi16ELb1ELb0ELb0ELb1ELb0ELb1ELb1ELb0EEEvPK12hip_bfloat16S3_S3_PKfS5_PKvPS1_S8_PvPKiSB_iiiiilll.kd
    .uniform_work_group_size: 1
    .uses_dynamic_stack: false
    .vgpr_count:     128
    .vgpr_spill_count: 0
    .wavefront_size: 64
  - .agpr_count:     12
    .args:
      - .actual_access:  read_only
        .address_space:  global
        .offset:         0
        .size:           8
        .value_kind:     global_buffer
      - .actual_access:  read_only
        .address_space:  global
        .offset:         8
        .size:           8
        .value_kind:     global_buffer
      - .actual_access:  read_only
        .address_space:  global
        .offset:         16
        .size:           8
        .value_kind:     global_buffer
      - .actual_access:  read_only
        .address_space:  global
        .offset:         24
        .size:           8
        .value_kind:     global_buffer
      - .actual_access:  read_only
        .address_space:  global
        .offset:         32
        .size:           8
        .value_kind:     global_buffer
      - .actual_access:  read_only
        .address_space:  global
        .offset:         40
        .size:           8
        .value_kind:     global_buffer
      - .actual_access:  write_only
        .address_space:  global
        .offset:         48
        .size:           8
        .value_kind:     global_buffer
      - .actual_access:  write_only
        .address_space:  global
        .offset:         56
        .size:           8
        .value_kind:     global_buffer
      - .actual_access:  write_only
        .address_space:  global
        .offset:         64
        .size:           8
        .value_kind:     global_buffer
      - .actual_access:  read_only
        .address_space:  global
        .offset:         72
        .size:           8
        .value_kind:     global_buffer
      - .actual_access:  read_only
        .address_space:  global
        .offset:         80
        .size:           8
        .value_kind:     global_buffer
      - .offset:         88
        .size:           4
        .value_kind:     by_value
      - .offset:         92
        .size:           4
        .value_kind:     by_value
      - .offset:         96
        .size:           4
        .value_kind:     by_value
      - .offset:         100
        .size:           4
        .value_kind:     by_value
      - .offset:         104
        .size:           4
        .value_kind:     by_value
      - .offset:         112
        .size:           8
        .value_kind:     by_value
      - .offset:         120
        .size:           8
        .value_kind:     by_value
      - .offset:         128
        .size:           8
        .value_kind:     by_value
    .group_segment_fixed_size: 40960
    .kernarg_segment_align: 8
    .kernarg_segment_size: 136
    .language:       OpenCL C
    .language_version:
      - 2
      - 0
    .max_flat_workgroup_size: 256
    .name:           _ZN12_GLOBAL__N_139chunk_gated_delta_rule_fwd_h_hip_kernelILi16ELb0ELb1ELb1ELb1ELb0ELb1ELb1ELb0EEEvPK12hip_bfloat16S3_S3_PKfS5_PKvPS1_S8_PvPKiSB_iiiiilll
    .private_segment_fixed_size: 0
    .sgpr_count:     76
    .sgpr_spill_count: 0
    .symbol:         _ZN12_GLOBAL__N_139chunk_gated_delta_rule_fwd_h_hip_kernelILi16ELb0ELb1ELb1ELb1ELb0ELb1ELb1ELb0EEEvPK12hip_bfloat16S3_S3_PKfS5_PKvPS1_S8_PvPKiSB_iiiiilll.kd
    .uniform_work_group_size: 1
    .uses_dynamic_stack: false
    .vgpr_count:     128
    .vgpr_spill_count: 0
    .wavefront_size: 64
  - .agpr_count:     12
    .args:
      - .actual_access:  read_only
        .address_space:  global
        .offset:         0
        .size:           8
        .value_kind:     global_buffer
      - .actual_access:  read_only
        .address_space:  global
        .offset:         8
        .size:           8
        .value_kind:     global_buffer
      - .actual_access:  read_only
        .address_space:  global
        .offset:         16
        .size:           8
        .value_kind:     global_buffer
      - .actual_access:  read_only
        .address_space:  global
        .offset:         24
        .size:           8
        .value_kind:     global_buffer
      - .actual_access:  read_only
        .address_space:  global
        .offset:         32
        .size:           8
        .value_kind:     global_buffer
      - .actual_access:  read_only
        .address_space:  global
        .offset:         40
        .size:           8
        .value_kind:     global_buffer
      - .actual_access:  write_only
        .address_space:  global
        .offset:         48
        .size:           8
        .value_kind:     global_buffer
      - .actual_access:  read_only
        .address_space:  global
        .offset:         56
        .size:           8
        .value_kind:     global_buffer
      - .actual_access:  write_only
        .address_space:  global
        .offset:         64
        .size:           8
        .value_kind:     global_buffer
      - .actual_access:  read_only
        .address_space:  global
        .offset:         72
        .size:           8
        .value_kind:     global_buffer
      - .actual_access:  read_only
        .address_space:  global
        .offset:         80
        .size:           8
        .value_kind:     global_buffer
      - .offset:         88
        .size:           4
        .value_kind:     by_value
      - .offset:         92
        .size:           4
        .value_kind:     by_value
      - .offset:         96
        .size:           4
        .value_kind:     by_value
      - .offset:         100
        .size:           4
        .value_kind:     by_value
      - .offset:         104
        .size:           4
        .value_kind:     by_value
      - .offset:         112
        .size:           8
        .value_kind:     by_value
      - .offset:         120
        .size:           8
        .value_kind:     by_value
      - .offset:         128
        .size:           8
        .value_kind:     by_value
    .group_segment_fixed_size: 40960
    .kernarg_segment_align: 8
    .kernarg_segment_size: 136
    .language:       OpenCL C
    .language_version:
      - 2
      - 0
    .max_flat_workgroup_size: 256
    .name:           _ZN12_GLOBAL__N_139chunk_gated_delta_rule_fwd_h_hip_kernelILi16ELb0ELb1ELb0ELb1ELb0ELb1ELb1ELb0EEEvPK12hip_bfloat16S3_S3_PKfS5_PKvPS1_S8_PvPKiSB_iiiiilll
    .private_segment_fixed_size: 0
    .sgpr_count:     71
    .sgpr_spill_count: 0
    .symbol:         _ZN12_GLOBAL__N_139chunk_gated_delta_rule_fwd_h_hip_kernelILi16ELb0ELb1ELb0ELb1ELb0ELb1ELb1ELb0EEEvPK12hip_bfloat16S3_S3_PKfS5_PKvPS1_S8_PvPKiSB_iiiiilll.kd
    .uniform_work_group_size: 1
    .uses_dynamic_stack: false
    .vgpr_count:     128
    .vgpr_spill_count: 0
    .wavefront_size: 64
  - .agpr_count:     12
    .args:
      - .actual_access:  read_only
        .address_space:  global
        .offset:         0
        .size:           8
        .value_kind:     global_buffer
      - .actual_access:  read_only
        .address_space:  global
        .offset:         8
        .size:           8
        .value_kind:     global_buffer
      - .actual_access:  read_only
        .address_space:  global
        .offset:         16
        .size:           8
        .value_kind:     global_buffer
      - .actual_access:  read_only
        .address_space:  global
        .offset:         24
        .size:           8
        .value_kind:     global_buffer
      - .actual_access:  read_only
        .address_space:  global
        .offset:         32
        .size:           8
        .value_kind:     global_buffer
      - .actual_access:  read_only
        .address_space:  global
        .offset:         40
        .size:           8
        .value_kind:     global_buffer
      - .actual_access:  write_only
        .address_space:  global
        .offset:         48
        .size:           8
        .value_kind:     global_buffer
      - .actual_access:  write_only
        .address_space:  global
        .offset:         56
        .size:           8
        .value_kind:     global_buffer
      - .actual_access:  read_only
        .address_space:  global
        .offset:         64
        .size:           8
        .value_kind:     global_buffer
      - .actual_access:  read_only
        .address_space:  global
        .offset:         72
        .size:           8
        .value_kind:     global_buffer
      - .actual_access:  read_only
        .address_space:  global
        .offset:         80
        .size:           8
        .value_kind:     global_buffer
      - .offset:         88
        .size:           4
        .value_kind:     by_value
      - .offset:         92
        .size:           4
        .value_kind:     by_value
      - .offset:         96
        .size:           4
        .value_kind:     by_value
      - .offset:         100
        .size:           4
        .value_kind:     by_value
      - .offset:         104
        .size:           4
        .value_kind:     by_value
      - .offset:         112
        .size:           8
        .value_kind:     by_value
      - .offset:         120
        .size:           8
        .value_kind:     by_value
      - .offset:         128
        .size:           8
        .value_kind:     by_value
    .group_segment_fixed_size: 40960
    .kernarg_segment_align: 8
    .kernarg_segment_size: 136
    .language:       OpenCL C
    .language_version:
      - 2
      - 0
    .max_flat_workgroup_size: 256
    .name:           _ZN12_GLOBAL__N_139chunk_gated_delta_rule_fwd_h_hip_kernelILi16ELb0ELb0ELb1ELb1ELb0ELb1ELb1ELb0EEEvPK12hip_bfloat16S3_S3_PKfS5_PKvPS1_S8_PvPKiSB_iiiiilll
    .private_segment_fixed_size: 0
    .sgpr_count:     68
    .sgpr_spill_count: 0
    .symbol:         _ZN12_GLOBAL__N_139chunk_gated_delta_rule_fwd_h_hip_kernelILi16ELb0ELb0ELb1ELb1ELb0ELb1ELb1ELb0EEEvPK12hip_bfloat16S3_S3_PKfS5_PKvPS1_S8_PvPKiSB_iiiiilll.kd
    .uniform_work_group_size: 1
    .uses_dynamic_stack: false
    .vgpr_count:     128
    .vgpr_spill_count: 0
    .wavefront_size: 64
  - .agpr_count:     12
    .args:
      - .actual_access:  read_only
        .address_space:  global
        .offset:         0
        .size:           8
        .value_kind:     global_buffer
      - .actual_access:  read_only
        .address_space:  global
        .offset:         8
        .size:           8
        .value_kind:     global_buffer
      - .actual_access:  read_only
        .address_space:  global
        .offset:         16
        .size:           8
        .value_kind:     global_buffer
      - .actual_access:  read_only
        .address_space:  global
        .offset:         24
        .size:           8
        .value_kind:     global_buffer
      - .actual_access:  read_only
        .address_space:  global
        .offset:         32
        .size:           8
        .value_kind:     global_buffer
      - .actual_access:  read_only
        .address_space:  global
        .offset:         40
        .size:           8
        .value_kind:     global_buffer
      - .actual_access:  write_only
        .address_space:  global
        .offset:         48
        .size:           8
        .value_kind:     global_buffer
      - .actual_access:  read_only
        .address_space:  global
        .offset:         56
        .size:           8
        .value_kind:     global_buffer
      - .actual_access:  read_only
        .address_space:  global
        .offset:         64
        .size:           8
        .value_kind:     global_buffer
      - .actual_access:  read_only
        .address_space:  global
        .offset:         72
        .size:           8
        .value_kind:     global_buffer
      - .actual_access:  read_only
        .address_space:  global
        .offset:         80
        .size:           8
        .value_kind:     global_buffer
      - .offset:         88
        .size:           4
        .value_kind:     by_value
      - .offset:         92
        .size:           4
        .value_kind:     by_value
      - .offset:         96
        .size:           4
        .value_kind:     by_value
      - .offset:         100
        .size:           4
        .value_kind:     by_value
      - .offset:         104
        .size:           4
        .value_kind:     by_value
      - .offset:         112
        .size:           8
        .value_kind:     by_value
      - .offset:         120
        .size:           8
        .value_kind:     by_value
      - .offset:         128
        .size:           8
        .value_kind:     by_value
    .group_segment_fixed_size: 40960
    .kernarg_segment_align: 8
    .kernarg_segment_size: 136
    .language:       OpenCL C
    .language_version:
      - 2
      - 0
    .max_flat_workgroup_size: 256
    .name:           _ZN12_GLOBAL__N_139chunk_gated_delta_rule_fwd_h_hip_kernelILi16ELb0ELb0ELb0ELb1ELb0ELb1ELb1ELb0EEEvPK12hip_bfloat16S3_S3_PKfS5_PKvPS1_S8_PvPKiSB_iiiiilll
    .private_segment_fixed_size: 0
    .sgpr_count:     66
    .sgpr_spill_count: 0
    .symbol:         _ZN12_GLOBAL__N_139chunk_gated_delta_rule_fwd_h_hip_kernelILi16ELb0ELb0ELb0ELb1ELb0ELb1ELb1ELb0EEEvPK12hip_bfloat16S3_S3_PKfS5_PKvPS1_S8_PvPKiSB_iiiiilll.kd
    .uniform_work_group_size: 1
    .uses_dynamic_stack: false
    .vgpr_count:     128
    .vgpr_spill_count: 0
    .wavefront_size: 64
  - .agpr_count:     12
    .args:
      - .actual_access:  read_only
        .address_space:  global
        .offset:         0
        .size:           8
        .value_kind:     global_buffer
      - .actual_access:  read_only
        .address_space:  global
        .offset:         8
        .size:           8
        .value_kind:     global_buffer
      - .actual_access:  read_only
        .address_space:  global
        .offset:         16
        .size:           8
        .value_kind:     global_buffer
      - .actual_access:  read_only
        .address_space:  global
        .offset:         24
        .size:           8
        .value_kind:     global_buffer
      - .actual_access:  read_only
        .address_space:  global
        .offset:         32
        .size:           8
        .value_kind:     global_buffer
      - .actual_access:  read_only
        .address_space:  global
        .offset:         40
        .size:           8
        .value_kind:     global_buffer
      - .actual_access:  write_only
        .address_space:  global
        .offset:         48
        .size:           8
        .value_kind:     global_buffer
      - .actual_access:  write_only
        .address_space:  global
        .offset:         56
        .size:           8
        .value_kind:     global_buffer
      - .actual_access:  write_only
        .address_space:  global
        .offset:         64
        .size:           8
        .value_kind:     global_buffer
      - .actual_access:  read_only
        .address_space:  global
        .offset:         72
        .size:           8
        .value_kind:     global_buffer
      - .actual_access:  read_only
        .address_space:  global
        .offset:         80
        .size:           8
        .value_kind:     global_buffer
      - .offset:         88
        .size:           4
        .value_kind:     by_value
      - .offset:         92
        .size:           4
        .value_kind:     by_value
      - .offset:         96
        .size:           4
        .value_kind:     by_value
      - .offset:         100
        .size:           4
        .value_kind:     by_value
      - .offset:         104
        .size:           4
        .value_kind:     by_value
      - .offset:         112
        .size:           8
        .value_kind:     by_value
      - .offset:         120
        .size:           8
        .value_kind:     by_value
      - .offset:         128
        .size:           8
        .value_kind:     by_value
    .group_segment_fixed_size: 40960
    .kernarg_segment_align: 8
    .kernarg_segment_size: 136
    .language:       OpenCL C
    .language_version:
      - 2
      - 0
    .max_flat_workgroup_size: 256
    .name:           _ZN12_GLOBAL__N_139chunk_gated_delta_rule_fwd_h_hip_kernelILi16ELb1ELb1ELb1ELb0ELb0ELb1ELb1ELb0EEEvPK12hip_bfloat16S3_S3_PKfS5_PKvPS1_S8_PvPKiSB_iiiiilll
    .private_segment_fixed_size: 0
    .sgpr_count:     82
    .sgpr_spill_count: 0
    .symbol:         _ZN12_GLOBAL__N_139chunk_gated_delta_rule_fwd_h_hip_kernelILi16ELb1ELb1ELb1ELb0ELb0ELb1ELb1ELb0EEEvPK12hip_bfloat16S3_S3_PKfS5_PKvPS1_S8_PvPKiSB_iiiiilll.kd
    .uniform_work_group_size: 1
    .uses_dynamic_stack: false
    .vgpr_count:     132
    .vgpr_spill_count: 0
    .wavefront_size: 64
  - .agpr_count:     12
    .args:
      - .actual_access:  read_only
        .address_space:  global
        .offset:         0
        .size:           8
        .value_kind:     global_buffer
      - .actual_access:  read_only
        .address_space:  global
        .offset:         8
        .size:           8
        .value_kind:     global_buffer
      - .actual_access:  read_only
        .address_space:  global
        .offset:         16
        .size:           8
        .value_kind:     global_buffer
      - .actual_access:  read_only
        .address_space:  global
        .offset:         24
        .size:           8
        .value_kind:     global_buffer
      - .actual_access:  read_only
        .address_space:  global
        .offset:         32
        .size:           8
        .value_kind:     global_buffer
      - .actual_access:  read_only
        .address_space:  global
        .offset:         40
        .size:           8
        .value_kind:     global_buffer
      - .actual_access:  write_only
        .address_space:  global
        .offset:         48
        .size:           8
        .value_kind:     global_buffer
      - .actual_access:  read_only
        .address_space:  global
        .offset:         56
        .size:           8
        .value_kind:     global_buffer
      - .actual_access:  write_only
        .address_space:  global
        .offset:         64
        .size:           8
        .value_kind:     global_buffer
      - .actual_access:  read_only
        .address_space:  global
        .offset:         72
        .size:           8
        .value_kind:     global_buffer
      - .actual_access:  read_only
        .address_space:  global
        .offset:         80
        .size:           8
        .value_kind:     global_buffer
      - .offset:         88
        .size:           4
        .value_kind:     by_value
      - .offset:         92
        .size:           4
        .value_kind:     by_value
      - .offset:         96
        .size:           4
        .value_kind:     by_value
      - .offset:         100
        .size:           4
        .value_kind:     by_value
      - .offset:         104
        .size:           4
        .value_kind:     by_value
      - .offset:         112
        .size:           8
        .value_kind:     by_value
      - .offset:         120
        .size:           8
        .value_kind:     by_value
      - .offset:         128
        .size:           8
        .value_kind:     by_value
    .group_segment_fixed_size: 40960
    .kernarg_segment_align: 8
    .kernarg_segment_size: 136
    .language:       OpenCL C
    .language_version:
      - 2
      - 0
    .max_flat_workgroup_size: 256
    .name:           _ZN12_GLOBAL__N_139chunk_gated_delta_rule_fwd_h_hip_kernelILi16ELb1ELb1ELb0ELb0ELb0ELb1ELb1ELb0EEEvPK12hip_bfloat16S3_S3_PKfS5_PKvPS1_S8_PvPKiSB_iiiiilll
    .private_segment_fixed_size: 0
    .sgpr_count:     77
    .sgpr_spill_count: 0
    .symbol:         _ZN12_GLOBAL__N_139chunk_gated_delta_rule_fwd_h_hip_kernelILi16ELb1ELb1ELb0ELb0ELb0ELb1ELb1ELb0EEEvPK12hip_bfloat16S3_S3_PKfS5_PKvPS1_S8_PvPKiSB_iiiiilll.kd
    .uniform_work_group_size: 1
    .uses_dynamic_stack: false
    .vgpr_count:     128
    .vgpr_spill_count: 0
    .wavefront_size: 64
  - .agpr_count:     12
    .args:
      - .actual_access:  read_only
        .address_space:  global
        .offset:         0
        .size:           8
        .value_kind:     global_buffer
      - .actual_access:  read_only
        .address_space:  global
        .offset:         8
        .size:           8
        .value_kind:     global_buffer
      - .actual_access:  read_only
        .address_space:  global
        .offset:         16
        .size:           8
        .value_kind:     global_buffer
      - .actual_access:  read_only
        .address_space:  global
        .offset:         24
        .size:           8
        .value_kind:     global_buffer
      - .actual_access:  read_only
        .address_space:  global
        .offset:         32
        .size:           8
        .value_kind:     global_buffer
      - .actual_access:  read_only
        .address_space:  global
        .offset:         40
        .size:           8
        .value_kind:     global_buffer
      - .actual_access:  write_only
        .address_space:  global
        .offset:         48
        .size:           8
        .value_kind:     global_buffer
      - .actual_access:  write_only
        .address_space:  global
        .offset:         56
        .size:           8
        .value_kind:     global_buffer
      - .actual_access:  read_only
        .address_space:  global
        .offset:         64
        .size:           8
        .value_kind:     global_buffer
      - .actual_access:  read_only
        .address_space:  global
        .offset:         72
        .size:           8
        .value_kind:     global_buffer
      - .actual_access:  read_only
        .address_space:  global
        .offset:         80
        .size:           8
        .value_kind:     global_buffer
      - .offset:         88
        .size:           4
        .value_kind:     by_value
      - .offset:         92
        .size:           4
        .value_kind:     by_value
      - .offset:         96
        .size:           4
        .value_kind:     by_value
      - .offset:         100
        .size:           4
        .value_kind:     by_value
      - .offset:         104
        .size:           4
        .value_kind:     by_value
      - .offset:         112
        .size:           8
        .value_kind:     by_value
      - .offset:         120
        .size:           8
        .value_kind:     by_value
      - .offset:         128
        .size:           8
        .value_kind:     by_value
    .group_segment_fixed_size: 40960
    .kernarg_segment_align: 8
    .kernarg_segment_size: 136
    .language:       OpenCL C
    .language_version:
      - 2
      - 0
    .max_flat_workgroup_size: 256
    .name:           _ZN12_GLOBAL__N_139chunk_gated_delta_rule_fwd_h_hip_kernelILi16ELb1ELb0ELb1ELb0ELb0ELb1ELb1ELb0EEEvPK12hip_bfloat16S3_S3_PKfS5_PKvPS1_S8_PvPKiSB_iiiiilll
    .private_segment_fixed_size: 0
    .sgpr_count:     78
    .sgpr_spill_count: 0
    .symbol:         _ZN12_GLOBAL__N_139chunk_gated_delta_rule_fwd_h_hip_kernelILi16ELb1ELb0ELb1ELb0ELb0ELb1ELb1ELb0EEEvPK12hip_bfloat16S3_S3_PKfS5_PKvPS1_S8_PvPKiSB_iiiiilll.kd
    .uniform_work_group_size: 1
    .uses_dynamic_stack: false
    .vgpr_count:     128
    .vgpr_spill_count: 0
    .wavefront_size: 64
  - .agpr_count:     12
    .args:
      - .actual_access:  read_only
        .address_space:  global
        .offset:         0
        .size:           8
        .value_kind:     global_buffer
      - .actual_access:  read_only
        .address_space:  global
        .offset:         8
        .size:           8
        .value_kind:     global_buffer
      - .actual_access:  read_only
        .address_space:  global
        .offset:         16
        .size:           8
        .value_kind:     global_buffer
      - .actual_access:  read_only
        .address_space:  global
        .offset:         24
        .size:           8
        .value_kind:     global_buffer
      - .actual_access:  read_only
        .address_space:  global
        .offset:         32
        .size:           8
        .value_kind:     global_buffer
      - .actual_access:  read_only
        .address_space:  global
        .offset:         40
        .size:           8
        .value_kind:     global_buffer
      - .actual_access:  write_only
        .address_space:  global
        .offset:         48
        .size:           8
        .value_kind:     global_buffer
      - .actual_access:  read_only
        .address_space:  global
        .offset:         56
        .size:           8
        .value_kind:     global_buffer
      - .actual_access:  read_only
        .address_space:  global
        .offset:         64
        .size:           8
        .value_kind:     global_buffer
      - .actual_access:  read_only
        .address_space:  global
        .offset:         72
        .size:           8
        .value_kind:     global_buffer
      - .actual_access:  read_only
        .address_space:  global
        .offset:         80
        .size:           8
        .value_kind:     global_buffer
      - .offset:         88
        .size:           4
        .value_kind:     by_value
      - .offset:         92
        .size:           4
        .value_kind:     by_value
      - .offset:         96
        .size:           4
        .value_kind:     by_value
      - .offset:         100
        .size:           4
        .value_kind:     by_value
      - .offset:         104
        .size:           4
        .value_kind:     by_value
      - .offset:         112
        .size:           8
        .value_kind:     by_value
      - .offset:         120
        .size:           8
        .value_kind:     by_value
      - .offset:         128
        .size:           8
        .value_kind:     by_value
    .group_segment_fixed_size: 40960
    .kernarg_segment_align: 8
    .kernarg_segment_size: 136
    .language:       OpenCL C
    .language_version:
      - 2
      - 0
    .max_flat_workgroup_size: 256
    .name:           _ZN12_GLOBAL__N_139chunk_gated_delta_rule_fwd_h_hip_kernelILi16ELb1ELb0ELb0ELb0ELb0ELb1ELb1ELb0EEEvPK12hip_bfloat16S3_S3_PKfS5_PKvPS1_S8_PvPKiSB_iiiiilll
    .private_segment_fixed_size: 0
    .sgpr_count:     73
    .sgpr_spill_count: 0
    .symbol:         _ZN12_GLOBAL__N_139chunk_gated_delta_rule_fwd_h_hip_kernelILi16ELb1ELb0ELb0ELb0ELb0ELb1ELb1ELb0EEEvPK12hip_bfloat16S3_S3_PKfS5_PKvPS1_S8_PvPKiSB_iiiiilll.kd
    .uniform_work_group_size: 1
    .uses_dynamic_stack: false
    .vgpr_count:     128
    .vgpr_spill_count: 0
    .wavefront_size: 64
  - .agpr_count:     12
    .args:
      - .actual_access:  read_only
        .address_space:  global
        .offset:         0
        .size:           8
        .value_kind:     global_buffer
      - .actual_access:  read_only
        .address_space:  global
        .offset:         8
        .size:           8
        .value_kind:     global_buffer
      - .actual_access:  read_only
        .address_space:  global
        .offset:         16
        .size:           8
        .value_kind:     global_buffer
      - .actual_access:  read_only
        .address_space:  global
        .offset:         24
        .size:           8
        .value_kind:     global_buffer
      - .actual_access:  read_only
        .address_space:  global
        .offset:         32
        .size:           8
        .value_kind:     global_buffer
      - .actual_access:  read_only
        .address_space:  global
        .offset:         40
        .size:           8
        .value_kind:     global_buffer
      - .actual_access:  write_only
        .address_space:  global
        .offset:         48
        .size:           8
        .value_kind:     global_buffer
      - .actual_access:  write_only
        .address_space:  global
        .offset:         56
        .size:           8
        .value_kind:     global_buffer
      - .actual_access:  write_only
        .address_space:  global
        .offset:         64
        .size:           8
        .value_kind:     global_buffer
      - .actual_access:  read_only
        .address_space:  global
        .offset:         72
        .size:           8
        .value_kind:     global_buffer
      - .actual_access:  read_only
        .address_space:  global
        .offset:         80
        .size:           8
        .value_kind:     global_buffer
      - .offset:         88
        .size:           4
        .value_kind:     by_value
      - .offset:         92
        .size:           4
        .value_kind:     by_value
      - .offset:         96
        .size:           4
        .value_kind:     by_value
      - .offset:         100
        .size:           4
        .value_kind:     by_value
      - .offset:         104
        .size:           4
        .value_kind:     by_value
      - .offset:         112
        .size:           8
        .value_kind:     by_value
      - .offset:         120
        .size:           8
        .value_kind:     by_value
      - .offset:         128
        .size:           8
        .value_kind:     by_value
    .group_segment_fixed_size: 40960
    .kernarg_segment_align: 8
    .kernarg_segment_size: 136
    .language:       OpenCL C
    .language_version:
      - 2
      - 0
    .max_flat_workgroup_size: 256
    .name:           _ZN12_GLOBAL__N_139chunk_gated_delta_rule_fwd_h_hip_kernelILi16ELb0ELb1ELb1ELb0ELb0ELb1ELb1ELb0EEEvPK12hip_bfloat16S3_S3_PKfS5_PKvPS1_S8_PvPKiSB_iiiiilll
    .private_segment_fixed_size: 0
    .sgpr_count:     76
    .sgpr_spill_count: 0
    .symbol:         _ZN12_GLOBAL__N_139chunk_gated_delta_rule_fwd_h_hip_kernelILi16ELb0ELb1ELb1ELb0ELb0ELb1ELb1ELb0EEEvPK12hip_bfloat16S3_S3_PKfS5_PKvPS1_S8_PvPKiSB_iiiiilll.kd
    .uniform_work_group_size: 1
    .uses_dynamic_stack: false
    .vgpr_count:     128
    .vgpr_spill_count: 0
    .wavefront_size: 64
  - .agpr_count:     12
    .args:
      - .actual_access:  read_only
        .address_space:  global
        .offset:         0
        .size:           8
        .value_kind:     global_buffer
      - .actual_access:  read_only
        .address_space:  global
        .offset:         8
        .size:           8
        .value_kind:     global_buffer
      - .actual_access:  read_only
        .address_space:  global
        .offset:         16
        .size:           8
        .value_kind:     global_buffer
      - .actual_access:  read_only
        .address_space:  global
        .offset:         24
        .size:           8
        .value_kind:     global_buffer
      - .actual_access:  read_only
        .address_space:  global
        .offset:         32
        .size:           8
        .value_kind:     global_buffer
      - .actual_access:  read_only
        .address_space:  global
        .offset:         40
        .size:           8
        .value_kind:     global_buffer
      - .actual_access:  write_only
        .address_space:  global
        .offset:         48
        .size:           8
        .value_kind:     global_buffer
      - .actual_access:  read_only
        .address_space:  global
        .offset:         56
        .size:           8
        .value_kind:     global_buffer
      - .actual_access:  write_only
        .address_space:  global
        .offset:         64
        .size:           8
        .value_kind:     global_buffer
      - .actual_access:  read_only
        .address_space:  global
        .offset:         72
        .size:           8
        .value_kind:     global_buffer
      - .actual_access:  read_only
        .address_space:  global
        .offset:         80
        .size:           8
        .value_kind:     global_buffer
      - .offset:         88
        .size:           4
        .value_kind:     by_value
      - .offset:         92
        .size:           4
        .value_kind:     by_value
      - .offset:         96
        .size:           4
        .value_kind:     by_value
      - .offset:         100
        .size:           4
        .value_kind:     by_value
      - .offset:         104
        .size:           4
        .value_kind:     by_value
      - .offset:         112
        .size:           8
        .value_kind:     by_value
      - .offset:         120
        .size:           8
        .value_kind:     by_value
      - .offset:         128
        .size:           8
        .value_kind:     by_value
    .group_segment_fixed_size: 40960
    .kernarg_segment_align: 8
    .kernarg_segment_size: 136
    .language:       OpenCL C
    .language_version:
      - 2
      - 0
    .max_flat_workgroup_size: 256
    .name:           _ZN12_GLOBAL__N_139chunk_gated_delta_rule_fwd_h_hip_kernelILi16ELb0ELb1ELb0ELb0ELb0ELb1ELb1ELb0EEEvPK12hip_bfloat16S3_S3_PKfS5_PKvPS1_S8_PvPKiSB_iiiiilll
    .private_segment_fixed_size: 0
    .sgpr_count:     72
    .sgpr_spill_count: 0
    .symbol:         _ZN12_GLOBAL__N_139chunk_gated_delta_rule_fwd_h_hip_kernelILi16ELb0ELb1ELb0ELb0ELb0ELb1ELb1ELb0EEEvPK12hip_bfloat16S3_S3_PKfS5_PKvPS1_S8_PvPKiSB_iiiiilll.kd
    .uniform_work_group_size: 1
    .uses_dynamic_stack: false
    .vgpr_count:     128
    .vgpr_spill_count: 0
    .wavefront_size: 64
  - .agpr_count:     12
    .args:
      - .actual_access:  read_only
        .address_space:  global
        .offset:         0
        .size:           8
        .value_kind:     global_buffer
      - .actual_access:  read_only
        .address_space:  global
        .offset:         8
        .size:           8
        .value_kind:     global_buffer
      - .actual_access:  read_only
        .address_space:  global
        .offset:         16
        .size:           8
        .value_kind:     global_buffer
      - .actual_access:  read_only
        .address_space:  global
        .offset:         24
        .size:           8
        .value_kind:     global_buffer
      - .actual_access:  read_only
        .address_space:  global
        .offset:         32
        .size:           8
        .value_kind:     global_buffer
      - .actual_access:  read_only
        .address_space:  global
        .offset:         40
        .size:           8
        .value_kind:     global_buffer
      - .actual_access:  write_only
        .address_space:  global
        .offset:         48
        .size:           8
        .value_kind:     global_buffer
      - .actual_access:  write_only
        .address_space:  global
        .offset:         56
        .size:           8
        .value_kind:     global_buffer
      - .actual_access:  read_only
        .address_space:  global
        .offset:         64
        .size:           8
        .value_kind:     global_buffer
      - .actual_access:  read_only
        .address_space:  global
        .offset:         72
        .size:           8
        .value_kind:     global_buffer
      - .actual_access:  read_only
        .address_space:  global
        .offset:         80
        .size:           8
        .value_kind:     global_buffer
      - .offset:         88
        .size:           4
        .value_kind:     by_value
      - .offset:         92
        .size:           4
        .value_kind:     by_value
      - .offset:         96
        .size:           4
        .value_kind:     by_value
      - .offset:         100
        .size:           4
        .value_kind:     by_value
      - .offset:         104
        .size:           4
        .value_kind:     by_value
      - .offset:         112
        .size:           8
        .value_kind:     by_value
      - .offset:         120
        .size:           8
        .value_kind:     by_value
      - .offset:         128
        .size:           8
        .value_kind:     by_value
    .group_segment_fixed_size: 40960
    .kernarg_segment_align: 8
    .kernarg_segment_size: 136
    .language:       OpenCL C
    .language_version:
      - 2
      - 0
    .max_flat_workgroup_size: 256
    .name:           _ZN12_GLOBAL__N_139chunk_gated_delta_rule_fwd_h_hip_kernelILi16ELb0ELb0ELb1ELb0ELb0ELb1ELb1ELb0EEEvPK12hip_bfloat16S3_S3_PKfS5_PKvPS1_S8_PvPKiSB_iiiiilll
    .private_segment_fixed_size: 0
    .sgpr_count:     74
    .sgpr_spill_count: 0
    .symbol:         _ZN12_GLOBAL__N_139chunk_gated_delta_rule_fwd_h_hip_kernelILi16ELb0ELb0ELb1ELb0ELb0ELb1ELb1ELb0EEEvPK12hip_bfloat16S3_S3_PKfS5_PKvPS1_S8_PvPKiSB_iiiiilll.kd
    .uniform_work_group_size: 1
    .uses_dynamic_stack: false
    .vgpr_count:     128
    .vgpr_spill_count: 0
    .wavefront_size: 64
  - .agpr_count:     12
    .args:
      - .actual_access:  read_only
        .address_space:  global
        .offset:         0
        .size:           8
        .value_kind:     global_buffer
      - .actual_access:  read_only
        .address_space:  global
        .offset:         8
        .size:           8
        .value_kind:     global_buffer
      - .actual_access:  read_only
        .address_space:  global
        .offset:         16
        .size:           8
        .value_kind:     global_buffer
      - .actual_access:  read_only
        .address_space:  global
        .offset:         24
        .size:           8
        .value_kind:     global_buffer
      - .actual_access:  read_only
        .address_space:  global
        .offset:         32
        .size:           8
        .value_kind:     global_buffer
      - .actual_access:  read_only
        .address_space:  global
        .offset:         40
        .size:           8
        .value_kind:     global_buffer
      - .actual_access:  write_only
        .address_space:  global
        .offset:         48
        .size:           8
        .value_kind:     global_buffer
      - .actual_access:  read_only
        .address_space:  global
        .offset:         56
        .size:           8
        .value_kind:     global_buffer
      - .actual_access:  read_only
        .address_space:  global
        .offset:         64
        .size:           8
        .value_kind:     global_buffer
      - .actual_access:  read_only
        .address_space:  global
        .offset:         72
        .size:           8
        .value_kind:     global_buffer
      - .actual_access:  read_only
        .address_space:  global
        .offset:         80
        .size:           8
        .value_kind:     global_buffer
      - .offset:         88
        .size:           4
        .value_kind:     by_value
      - .offset:         92
        .size:           4
        .value_kind:     by_value
      - .offset:         96
        .size:           4
        .value_kind:     by_value
      - .offset:         100
        .size:           4
        .value_kind:     by_value
      - .offset:         104
        .size:           4
        .value_kind:     by_value
      - .offset:         112
        .size:           8
        .value_kind:     by_value
      - .offset:         120
        .size:           8
        .value_kind:     by_value
      - .offset:         128
        .size:           8
        .value_kind:     by_value
    .group_segment_fixed_size: 40960
    .kernarg_segment_align: 8
    .kernarg_segment_size: 136
    .language:       OpenCL C
    .language_version:
      - 2
      - 0
    .max_flat_workgroup_size: 256
    .name:           _ZN12_GLOBAL__N_139chunk_gated_delta_rule_fwd_h_hip_kernelILi16ELb0ELb0ELb0ELb0ELb0ELb1ELb1ELb0EEEvPK12hip_bfloat16S3_S3_PKfS5_PKvPS1_S8_PvPKiSB_iiiiilll
    .private_segment_fixed_size: 0
    .sgpr_count:     70
    .sgpr_spill_count: 0
    .symbol:         _ZN12_GLOBAL__N_139chunk_gated_delta_rule_fwd_h_hip_kernelILi16ELb0ELb0ELb0ELb0ELb0ELb1ELb1ELb0EEEvPK12hip_bfloat16S3_S3_PKfS5_PKvPS1_S8_PvPKiSB_iiiiilll.kd
    .uniform_work_group_size: 1
    .uses_dynamic_stack: false
    .vgpr_count:     128
    .vgpr_spill_count: 0
    .wavefront_size: 64
  - .agpr_count:     12
    .args:
      - .actual_access:  read_only
        .address_space:  global
        .offset:         0
        .size:           8
        .value_kind:     global_buffer
      - .actual_access:  read_only
        .address_space:  global
        .offset:         8
        .size:           8
        .value_kind:     global_buffer
      - .actual_access:  read_only
        .address_space:  global
        .offset:         16
        .size:           8
        .value_kind:     global_buffer
      - .actual_access:  read_only
        .address_space:  global
        .offset:         24
        .size:           8
        .value_kind:     global_buffer
      - .actual_access:  read_only
        .address_space:  global
        .offset:         32
        .size:           8
        .value_kind:     global_buffer
      - .actual_access:  read_only
        .address_space:  global
        .offset:         40
        .size:           8
        .value_kind:     global_buffer
      - .actual_access:  write_only
        .address_space:  global
        .offset:         48
        .size:           8
        .value_kind:     global_buffer
      - .actual_access:  write_only
        .address_space:  global
        .offset:         56
        .size:           8
        .value_kind:     global_buffer
      - .actual_access:  write_only
        .address_space:  global
        .offset:         64
        .size:           8
        .value_kind:     global_buffer
      - .actual_access:  read_only
        .address_space:  global
        .offset:         72
        .size:           8
        .value_kind:     global_buffer
      - .actual_access:  read_only
        .address_space:  global
        .offset:         80
        .size:           8
        .value_kind:     global_buffer
      - .offset:         88
        .size:           4
        .value_kind:     by_value
      - .offset:         92
        .size:           4
        .value_kind:     by_value
      - .offset:         96
        .size:           4
        .value_kind:     by_value
      - .offset:         100
        .size:           4
        .value_kind:     by_value
      - .offset:         104
        .size:           4
        .value_kind:     by_value
      - .offset:         112
        .size:           8
        .value_kind:     by_value
      - .offset:         120
        .size:           8
        .value_kind:     by_value
      - .offset:         128
        .size:           8
        .value_kind:     by_value
    .group_segment_fixed_size: 40960
    .kernarg_segment_align: 8
    .kernarg_segment_size: 136
    .language:       OpenCL C
    .language_version:
      - 2
      - 0
    .max_flat_workgroup_size: 256
    .name:           _ZN12_GLOBAL__N_139chunk_gated_delta_rule_fwd_h_hip_kernelILi16ELb1ELb1ELb1ELb1ELb0ELb1ELb0ELb0EEEvPK12hip_bfloat16S3_S3_PKfS5_PKvPS1_S8_PvPKiSB_iiiiilll
    .private_segment_fixed_size: 0
    .sgpr_count:     76
    .sgpr_spill_count: 0
    .symbol:         _ZN12_GLOBAL__N_139chunk_gated_delta_rule_fwd_h_hip_kernelILi16ELb1ELb1ELb1ELb1ELb0ELb1ELb0ELb0EEEvPK12hip_bfloat16S3_S3_PKfS5_PKvPS1_S8_PvPKiSB_iiiiilll.kd
    .uniform_work_group_size: 1
    .uses_dynamic_stack: false
    .vgpr_count:     132
    .vgpr_spill_count: 0
    .wavefront_size: 64
  - .agpr_count:     12
    .args:
      - .actual_access:  read_only
        .address_space:  global
        .offset:         0
        .size:           8
        .value_kind:     global_buffer
      - .actual_access:  read_only
        .address_space:  global
        .offset:         8
        .size:           8
        .value_kind:     global_buffer
      - .actual_access:  read_only
        .address_space:  global
        .offset:         16
        .size:           8
        .value_kind:     global_buffer
      - .actual_access:  read_only
        .address_space:  global
        .offset:         24
        .size:           8
        .value_kind:     global_buffer
      - .actual_access:  read_only
        .address_space:  global
        .offset:         32
        .size:           8
        .value_kind:     global_buffer
      - .actual_access:  read_only
        .address_space:  global
        .offset:         40
        .size:           8
        .value_kind:     global_buffer
      - .actual_access:  write_only
        .address_space:  global
        .offset:         48
        .size:           8
        .value_kind:     global_buffer
      - .actual_access:  read_only
        .address_space:  global
        .offset:         56
        .size:           8
        .value_kind:     global_buffer
      - .actual_access:  write_only
        .address_space:  global
        .offset:         64
        .size:           8
        .value_kind:     global_buffer
      - .actual_access:  read_only
        .address_space:  global
        .offset:         72
        .size:           8
        .value_kind:     global_buffer
      - .actual_access:  read_only
        .address_space:  global
        .offset:         80
        .size:           8
        .value_kind:     global_buffer
      - .offset:         88
        .size:           4
        .value_kind:     by_value
      - .offset:         92
        .size:           4
        .value_kind:     by_value
      - .offset:         96
        .size:           4
        .value_kind:     by_value
      - .offset:         100
        .size:           4
        .value_kind:     by_value
      - .offset:         104
        .size:           4
        .value_kind:     by_value
      - .offset:         112
        .size:           8
        .value_kind:     by_value
      - .offset:         120
        .size:           8
        .value_kind:     by_value
      - .offset:         128
        .size:           8
        .value_kind:     by_value
    .group_segment_fixed_size: 40960
    .kernarg_segment_align: 8
    .kernarg_segment_size: 136
    .language:       OpenCL C
    .language_version:
      - 2
      - 0
    .max_flat_workgroup_size: 256
    .name:           _ZN12_GLOBAL__N_139chunk_gated_delta_rule_fwd_h_hip_kernelILi16ELb1ELb1ELb0ELb1ELb0ELb1ELb0ELb0EEEvPK12hip_bfloat16S3_S3_PKfS5_PKvPS1_S8_PvPKiSB_iiiiilll
    .private_segment_fixed_size: 0
    .sgpr_count:     71
    .sgpr_spill_count: 0
    .symbol:         _ZN12_GLOBAL__N_139chunk_gated_delta_rule_fwd_h_hip_kernelILi16ELb1ELb1ELb0ELb1ELb0ELb1ELb0ELb0EEEvPK12hip_bfloat16S3_S3_PKfS5_PKvPS1_S8_PvPKiSB_iiiiilll.kd
    .uniform_work_group_size: 1
    .uses_dynamic_stack: false
    .vgpr_count:     128
    .vgpr_spill_count: 0
    .wavefront_size: 64
  - .agpr_count:     12
    .args:
      - .actual_access:  read_only
        .address_space:  global
        .offset:         0
        .size:           8
        .value_kind:     global_buffer
      - .actual_access:  read_only
        .address_space:  global
        .offset:         8
        .size:           8
        .value_kind:     global_buffer
      - .actual_access:  read_only
        .address_space:  global
        .offset:         16
        .size:           8
        .value_kind:     global_buffer
      - .actual_access:  read_only
        .address_space:  global
        .offset:         24
        .size:           8
        .value_kind:     global_buffer
      - .actual_access:  read_only
        .address_space:  global
        .offset:         32
        .size:           8
        .value_kind:     global_buffer
      - .actual_access:  read_only
        .address_space:  global
        .offset:         40
        .size:           8
        .value_kind:     global_buffer
      - .actual_access:  write_only
        .address_space:  global
        .offset:         48
        .size:           8
        .value_kind:     global_buffer
      - .actual_access:  write_only
        .address_space:  global
        .offset:         56
        .size:           8
        .value_kind:     global_buffer
      - .actual_access:  read_only
        .address_space:  global
        .offset:         64
        .size:           8
        .value_kind:     global_buffer
      - .actual_access:  read_only
        .address_space:  global
        .offset:         72
        .size:           8
        .value_kind:     global_buffer
      - .actual_access:  read_only
        .address_space:  global
        .offset:         80
        .size:           8
        .value_kind:     global_buffer
      - .offset:         88
        .size:           4
        .value_kind:     by_value
      - .offset:         92
        .size:           4
        .value_kind:     by_value
      - .offset:         96
        .size:           4
        .value_kind:     by_value
      - .offset:         100
        .size:           4
        .value_kind:     by_value
      - .offset:         104
        .size:           4
        .value_kind:     by_value
      - .offset:         112
        .size:           8
        .value_kind:     by_value
      - .offset:         120
        .size:           8
        .value_kind:     by_value
      - .offset:         128
        .size:           8
        .value_kind:     by_value
    .group_segment_fixed_size: 40960
    .kernarg_segment_align: 8
    .kernarg_segment_size: 136
    .language:       OpenCL C
    .language_version:
      - 2
      - 0
    .max_flat_workgroup_size: 256
    .name:           _ZN12_GLOBAL__N_139chunk_gated_delta_rule_fwd_h_hip_kernelILi16ELb1ELb0ELb1ELb1ELb0ELb1ELb0ELb0EEEvPK12hip_bfloat16S3_S3_PKfS5_PKvPS1_S8_PvPKiSB_iiiiilll
    .private_segment_fixed_size: 0
    .sgpr_count:     69
    .sgpr_spill_count: 0
    .symbol:         _ZN12_GLOBAL__N_139chunk_gated_delta_rule_fwd_h_hip_kernelILi16ELb1ELb0ELb1ELb1ELb0ELb1ELb0ELb0EEEvPK12hip_bfloat16S3_S3_PKfS5_PKvPS1_S8_PvPKiSB_iiiiilll.kd
    .uniform_work_group_size: 1
    .uses_dynamic_stack: false
    .vgpr_count:     128
    .vgpr_spill_count: 0
    .wavefront_size: 64
  - .agpr_count:     12
    .args:
      - .actual_access:  read_only
        .address_space:  global
        .offset:         0
        .size:           8
        .value_kind:     global_buffer
      - .actual_access:  read_only
        .address_space:  global
        .offset:         8
        .size:           8
        .value_kind:     global_buffer
      - .actual_access:  read_only
        .address_space:  global
        .offset:         16
        .size:           8
        .value_kind:     global_buffer
      - .actual_access:  read_only
        .address_space:  global
        .offset:         24
        .size:           8
        .value_kind:     global_buffer
      - .actual_access:  read_only
        .address_space:  global
        .offset:         32
        .size:           8
        .value_kind:     global_buffer
      - .actual_access:  read_only
        .address_space:  global
        .offset:         40
        .size:           8
        .value_kind:     global_buffer
      - .actual_access:  write_only
        .address_space:  global
        .offset:         48
        .size:           8
        .value_kind:     global_buffer
      - .actual_access:  read_only
        .address_space:  global
        .offset:         56
        .size:           8
        .value_kind:     global_buffer
      - .actual_access:  read_only
        .address_space:  global
        .offset:         64
        .size:           8
        .value_kind:     global_buffer
      - .actual_access:  read_only
        .address_space:  global
        .offset:         72
        .size:           8
        .value_kind:     global_buffer
      - .actual_access:  read_only
        .address_space:  global
        .offset:         80
        .size:           8
        .value_kind:     global_buffer
      - .offset:         88
        .size:           4
        .value_kind:     by_value
      - .offset:         92
        .size:           4
        .value_kind:     by_value
      - .offset:         96
        .size:           4
        .value_kind:     by_value
      - .offset:         100
        .size:           4
        .value_kind:     by_value
      - .offset:         104
        .size:           4
        .value_kind:     by_value
      - .offset:         112
        .size:           8
        .value_kind:     by_value
      - .offset:         120
        .size:           8
        .value_kind:     by_value
      - .offset:         128
        .size:           8
        .value_kind:     by_value
    .group_segment_fixed_size: 40960
    .kernarg_segment_align: 8
    .kernarg_segment_size: 136
    .language:       OpenCL C
    .language_version:
      - 2
      - 0
    .max_flat_workgroup_size: 256
    .name:           _ZN12_GLOBAL__N_139chunk_gated_delta_rule_fwd_h_hip_kernelILi16ELb1ELb0ELb0ELb1ELb0ELb1ELb0ELb0EEEvPK12hip_bfloat16S3_S3_PKfS5_PKvPS1_S8_PvPKiSB_iiiiilll
    .private_segment_fixed_size: 0
    .sgpr_count:     67
    .sgpr_spill_count: 0
    .symbol:         _ZN12_GLOBAL__N_139chunk_gated_delta_rule_fwd_h_hip_kernelILi16ELb1ELb0ELb0ELb1ELb0ELb1ELb0ELb0EEEvPK12hip_bfloat16S3_S3_PKfS5_PKvPS1_S8_PvPKiSB_iiiiilll.kd
    .uniform_work_group_size: 1
    .uses_dynamic_stack: false
    .vgpr_count:     128
    .vgpr_spill_count: 0
    .wavefront_size: 64
  - .agpr_count:     12
    .args:
      - .actual_access:  read_only
        .address_space:  global
        .offset:         0
        .size:           8
        .value_kind:     global_buffer
      - .actual_access:  read_only
        .address_space:  global
        .offset:         8
        .size:           8
        .value_kind:     global_buffer
      - .actual_access:  read_only
        .address_space:  global
        .offset:         16
        .size:           8
        .value_kind:     global_buffer
      - .actual_access:  read_only
        .address_space:  global
        .offset:         24
        .size:           8
        .value_kind:     global_buffer
      - .actual_access:  read_only
        .address_space:  global
        .offset:         32
        .size:           8
        .value_kind:     global_buffer
      - .actual_access:  read_only
        .address_space:  global
        .offset:         40
        .size:           8
        .value_kind:     global_buffer
      - .actual_access:  write_only
        .address_space:  global
        .offset:         48
        .size:           8
        .value_kind:     global_buffer
      - .actual_access:  write_only
        .address_space:  global
        .offset:         56
        .size:           8
        .value_kind:     global_buffer
      - .actual_access:  write_only
        .address_space:  global
        .offset:         64
        .size:           8
        .value_kind:     global_buffer
      - .actual_access:  read_only
        .address_space:  global
        .offset:         72
        .size:           8
        .value_kind:     global_buffer
      - .actual_access:  read_only
        .address_space:  global
        .offset:         80
        .size:           8
        .value_kind:     global_buffer
      - .offset:         88
        .size:           4
        .value_kind:     by_value
      - .offset:         92
        .size:           4
        .value_kind:     by_value
      - .offset:         96
        .size:           4
        .value_kind:     by_value
      - .offset:         100
        .size:           4
        .value_kind:     by_value
      - .offset:         104
        .size:           4
        .value_kind:     by_value
      - .offset:         112
        .size:           8
        .value_kind:     by_value
      - .offset:         120
        .size:           8
        .value_kind:     by_value
      - .offset:         128
        .size:           8
        .value_kind:     by_value
    .group_segment_fixed_size: 40960
    .kernarg_segment_align: 8
    .kernarg_segment_size: 136
    .language:       OpenCL C
    .language_version:
      - 2
      - 0
    .max_flat_workgroup_size: 256
    .name:           _ZN12_GLOBAL__N_139chunk_gated_delta_rule_fwd_h_hip_kernelILi16ELb0ELb1ELb1ELb1ELb0ELb1ELb0ELb0EEEvPK12hip_bfloat16S3_S3_PKfS5_PKvPS1_S8_PvPKiSB_iiiiilll
    .private_segment_fixed_size: 0
    .sgpr_count:     76
    .sgpr_spill_count: 0
    .symbol:         _ZN12_GLOBAL__N_139chunk_gated_delta_rule_fwd_h_hip_kernelILi16ELb0ELb1ELb1ELb1ELb0ELb1ELb0ELb0EEEvPK12hip_bfloat16S3_S3_PKfS5_PKvPS1_S8_PvPKiSB_iiiiilll.kd
    .uniform_work_group_size: 1
    .uses_dynamic_stack: false
    .vgpr_count:     128
    .vgpr_spill_count: 0
    .wavefront_size: 64
  - .agpr_count:     12
    .args:
      - .actual_access:  read_only
        .address_space:  global
        .offset:         0
        .size:           8
        .value_kind:     global_buffer
      - .actual_access:  read_only
        .address_space:  global
        .offset:         8
        .size:           8
        .value_kind:     global_buffer
      - .actual_access:  read_only
        .address_space:  global
        .offset:         16
        .size:           8
        .value_kind:     global_buffer
      - .actual_access:  read_only
        .address_space:  global
        .offset:         24
        .size:           8
        .value_kind:     global_buffer
      - .actual_access:  read_only
        .address_space:  global
        .offset:         32
        .size:           8
        .value_kind:     global_buffer
      - .actual_access:  read_only
        .address_space:  global
        .offset:         40
        .size:           8
        .value_kind:     global_buffer
      - .actual_access:  write_only
        .address_space:  global
        .offset:         48
        .size:           8
        .value_kind:     global_buffer
      - .actual_access:  read_only
        .address_space:  global
        .offset:         56
        .size:           8
        .value_kind:     global_buffer
      - .actual_access:  write_only
        .address_space:  global
        .offset:         64
        .size:           8
        .value_kind:     global_buffer
      - .actual_access:  read_only
        .address_space:  global
        .offset:         72
        .size:           8
        .value_kind:     global_buffer
      - .actual_access:  read_only
        .address_space:  global
        .offset:         80
        .size:           8
        .value_kind:     global_buffer
      - .offset:         88
        .size:           4
        .value_kind:     by_value
      - .offset:         92
        .size:           4
        .value_kind:     by_value
      - .offset:         96
        .size:           4
        .value_kind:     by_value
      - .offset:         100
        .size:           4
        .value_kind:     by_value
      - .offset:         104
        .size:           4
        .value_kind:     by_value
      - .offset:         112
        .size:           8
        .value_kind:     by_value
      - .offset:         120
        .size:           8
        .value_kind:     by_value
      - .offset:         128
        .size:           8
        .value_kind:     by_value
    .group_segment_fixed_size: 40960
    .kernarg_segment_align: 8
    .kernarg_segment_size: 136
    .language:       OpenCL C
    .language_version:
      - 2
      - 0
    .max_flat_workgroup_size: 256
    .name:           _ZN12_GLOBAL__N_139chunk_gated_delta_rule_fwd_h_hip_kernelILi16ELb0ELb1ELb0ELb1ELb0ELb1ELb0ELb0EEEvPK12hip_bfloat16S3_S3_PKfS5_PKvPS1_S8_PvPKiSB_iiiiilll
    .private_segment_fixed_size: 0
    .sgpr_count:     71
    .sgpr_spill_count: 0
    .symbol:         _ZN12_GLOBAL__N_139chunk_gated_delta_rule_fwd_h_hip_kernelILi16ELb0ELb1ELb0ELb1ELb0ELb1ELb0ELb0EEEvPK12hip_bfloat16S3_S3_PKfS5_PKvPS1_S8_PvPKiSB_iiiiilll.kd
    .uniform_work_group_size: 1
    .uses_dynamic_stack: false
    .vgpr_count:     128
    .vgpr_spill_count: 0
    .wavefront_size: 64
  - .agpr_count:     12
    .args:
      - .actual_access:  read_only
        .address_space:  global
        .offset:         0
        .size:           8
        .value_kind:     global_buffer
      - .actual_access:  read_only
        .address_space:  global
        .offset:         8
        .size:           8
        .value_kind:     global_buffer
      - .actual_access:  read_only
        .address_space:  global
        .offset:         16
        .size:           8
        .value_kind:     global_buffer
      - .actual_access:  read_only
        .address_space:  global
        .offset:         24
        .size:           8
        .value_kind:     global_buffer
      - .actual_access:  read_only
        .address_space:  global
        .offset:         32
        .size:           8
        .value_kind:     global_buffer
      - .actual_access:  read_only
        .address_space:  global
        .offset:         40
        .size:           8
        .value_kind:     global_buffer
      - .actual_access:  write_only
        .address_space:  global
        .offset:         48
        .size:           8
        .value_kind:     global_buffer
      - .actual_access:  write_only
        .address_space:  global
        .offset:         56
        .size:           8
        .value_kind:     global_buffer
      - .actual_access:  read_only
        .address_space:  global
        .offset:         64
        .size:           8
        .value_kind:     global_buffer
      - .actual_access:  read_only
        .address_space:  global
        .offset:         72
        .size:           8
        .value_kind:     global_buffer
      - .actual_access:  read_only
        .address_space:  global
        .offset:         80
        .size:           8
        .value_kind:     global_buffer
      - .offset:         88
        .size:           4
        .value_kind:     by_value
      - .offset:         92
        .size:           4
        .value_kind:     by_value
      - .offset:         96
        .size:           4
        .value_kind:     by_value
      - .offset:         100
        .size:           4
        .value_kind:     by_value
      - .offset:         104
        .size:           4
        .value_kind:     by_value
      - .offset:         112
        .size:           8
        .value_kind:     by_value
      - .offset:         120
        .size:           8
        .value_kind:     by_value
      - .offset:         128
        .size:           8
        .value_kind:     by_value
    .group_segment_fixed_size: 40960
    .kernarg_segment_align: 8
    .kernarg_segment_size: 136
    .language:       OpenCL C
    .language_version:
      - 2
      - 0
    .max_flat_workgroup_size: 256
    .name:           _ZN12_GLOBAL__N_139chunk_gated_delta_rule_fwd_h_hip_kernelILi16ELb0ELb0ELb1ELb1ELb0ELb1ELb0ELb0EEEvPK12hip_bfloat16S3_S3_PKfS5_PKvPS1_S8_PvPKiSB_iiiiilll
    .private_segment_fixed_size: 0
    .sgpr_count:     68
    .sgpr_spill_count: 0
    .symbol:         _ZN12_GLOBAL__N_139chunk_gated_delta_rule_fwd_h_hip_kernelILi16ELb0ELb0ELb1ELb1ELb0ELb1ELb0ELb0EEEvPK12hip_bfloat16S3_S3_PKfS5_PKvPS1_S8_PvPKiSB_iiiiilll.kd
    .uniform_work_group_size: 1
    .uses_dynamic_stack: false
    .vgpr_count:     128
    .vgpr_spill_count: 0
    .wavefront_size: 64
  - .agpr_count:     12
    .args:
      - .actual_access:  read_only
        .address_space:  global
        .offset:         0
        .size:           8
        .value_kind:     global_buffer
      - .actual_access:  read_only
        .address_space:  global
        .offset:         8
        .size:           8
        .value_kind:     global_buffer
      - .actual_access:  read_only
        .address_space:  global
        .offset:         16
        .size:           8
        .value_kind:     global_buffer
      - .actual_access:  read_only
        .address_space:  global
        .offset:         24
        .size:           8
        .value_kind:     global_buffer
      - .actual_access:  read_only
        .address_space:  global
        .offset:         32
        .size:           8
        .value_kind:     global_buffer
      - .actual_access:  read_only
        .address_space:  global
        .offset:         40
        .size:           8
        .value_kind:     global_buffer
      - .actual_access:  write_only
        .address_space:  global
        .offset:         48
        .size:           8
        .value_kind:     global_buffer
      - .actual_access:  read_only
        .address_space:  global
        .offset:         56
        .size:           8
        .value_kind:     global_buffer
      - .actual_access:  read_only
        .address_space:  global
        .offset:         64
        .size:           8
        .value_kind:     global_buffer
      - .actual_access:  read_only
        .address_space:  global
        .offset:         72
        .size:           8
        .value_kind:     global_buffer
      - .actual_access:  read_only
        .address_space:  global
        .offset:         80
        .size:           8
        .value_kind:     global_buffer
      - .offset:         88
        .size:           4
        .value_kind:     by_value
      - .offset:         92
        .size:           4
        .value_kind:     by_value
      - .offset:         96
        .size:           4
        .value_kind:     by_value
      - .offset:         100
        .size:           4
        .value_kind:     by_value
      - .offset:         104
        .size:           4
        .value_kind:     by_value
      - .offset:         112
        .size:           8
        .value_kind:     by_value
      - .offset:         120
        .size:           8
        .value_kind:     by_value
      - .offset:         128
        .size:           8
        .value_kind:     by_value
    .group_segment_fixed_size: 40960
    .kernarg_segment_align: 8
    .kernarg_segment_size: 136
    .language:       OpenCL C
    .language_version:
      - 2
      - 0
    .max_flat_workgroup_size: 256
    .name:           _ZN12_GLOBAL__N_139chunk_gated_delta_rule_fwd_h_hip_kernelILi16ELb0ELb0ELb0ELb1ELb0ELb1ELb0ELb0EEEvPK12hip_bfloat16S3_S3_PKfS5_PKvPS1_S8_PvPKiSB_iiiiilll
    .private_segment_fixed_size: 0
    .sgpr_count:     66
    .sgpr_spill_count: 0
    .symbol:         _ZN12_GLOBAL__N_139chunk_gated_delta_rule_fwd_h_hip_kernelILi16ELb0ELb0ELb0ELb1ELb0ELb1ELb0ELb0EEEvPK12hip_bfloat16S3_S3_PKfS5_PKvPS1_S8_PvPKiSB_iiiiilll.kd
    .uniform_work_group_size: 1
    .uses_dynamic_stack: false
    .vgpr_count:     128
    .vgpr_spill_count: 0
    .wavefront_size: 64
  - .agpr_count:     12
    .args:
      - .actual_access:  read_only
        .address_space:  global
        .offset:         0
        .size:           8
        .value_kind:     global_buffer
      - .actual_access:  read_only
        .address_space:  global
        .offset:         8
        .size:           8
        .value_kind:     global_buffer
      - .actual_access:  read_only
        .address_space:  global
        .offset:         16
        .size:           8
        .value_kind:     global_buffer
      - .actual_access:  read_only
        .address_space:  global
        .offset:         24
        .size:           8
        .value_kind:     global_buffer
      - .actual_access:  read_only
        .address_space:  global
        .offset:         32
        .size:           8
        .value_kind:     global_buffer
      - .actual_access:  read_only
        .address_space:  global
        .offset:         40
        .size:           8
        .value_kind:     global_buffer
      - .actual_access:  write_only
        .address_space:  global
        .offset:         48
        .size:           8
        .value_kind:     global_buffer
      - .actual_access:  write_only
        .address_space:  global
        .offset:         56
        .size:           8
        .value_kind:     global_buffer
      - .actual_access:  write_only
        .address_space:  global
        .offset:         64
        .size:           8
        .value_kind:     global_buffer
      - .actual_access:  read_only
        .address_space:  global
        .offset:         72
        .size:           8
        .value_kind:     global_buffer
      - .actual_access:  read_only
        .address_space:  global
        .offset:         80
        .size:           8
        .value_kind:     global_buffer
      - .offset:         88
        .size:           4
        .value_kind:     by_value
      - .offset:         92
        .size:           4
        .value_kind:     by_value
      - .offset:         96
        .size:           4
        .value_kind:     by_value
      - .offset:         100
        .size:           4
        .value_kind:     by_value
      - .offset:         104
        .size:           4
        .value_kind:     by_value
      - .offset:         112
        .size:           8
        .value_kind:     by_value
      - .offset:         120
        .size:           8
        .value_kind:     by_value
      - .offset:         128
        .size:           8
        .value_kind:     by_value
    .group_segment_fixed_size: 40960
    .kernarg_segment_align: 8
    .kernarg_segment_size: 136
    .language:       OpenCL C
    .language_version:
      - 2
      - 0
    .max_flat_workgroup_size: 256
    .name:           _ZN12_GLOBAL__N_139chunk_gated_delta_rule_fwd_h_hip_kernelILi16ELb1ELb1ELb1ELb0ELb0ELb1ELb0ELb0EEEvPK12hip_bfloat16S3_S3_PKfS5_PKvPS1_S8_PvPKiSB_iiiiilll
    .private_segment_fixed_size: 0
    .sgpr_count:     82
    .sgpr_spill_count: 0
    .symbol:         _ZN12_GLOBAL__N_139chunk_gated_delta_rule_fwd_h_hip_kernelILi16ELb1ELb1ELb1ELb0ELb0ELb1ELb0ELb0EEEvPK12hip_bfloat16S3_S3_PKfS5_PKvPS1_S8_PvPKiSB_iiiiilll.kd
    .uniform_work_group_size: 1
    .uses_dynamic_stack: false
    .vgpr_count:     132
    .vgpr_spill_count: 0
    .wavefront_size: 64
  - .agpr_count:     12
    .args:
      - .actual_access:  read_only
        .address_space:  global
        .offset:         0
        .size:           8
        .value_kind:     global_buffer
      - .actual_access:  read_only
        .address_space:  global
        .offset:         8
        .size:           8
        .value_kind:     global_buffer
      - .actual_access:  read_only
        .address_space:  global
        .offset:         16
        .size:           8
        .value_kind:     global_buffer
      - .actual_access:  read_only
        .address_space:  global
        .offset:         24
        .size:           8
        .value_kind:     global_buffer
      - .actual_access:  read_only
        .address_space:  global
        .offset:         32
        .size:           8
        .value_kind:     global_buffer
      - .actual_access:  read_only
        .address_space:  global
        .offset:         40
        .size:           8
        .value_kind:     global_buffer
      - .actual_access:  write_only
        .address_space:  global
        .offset:         48
        .size:           8
        .value_kind:     global_buffer
      - .actual_access:  read_only
        .address_space:  global
        .offset:         56
        .size:           8
        .value_kind:     global_buffer
      - .actual_access:  write_only
        .address_space:  global
        .offset:         64
        .size:           8
        .value_kind:     global_buffer
      - .actual_access:  read_only
        .address_space:  global
        .offset:         72
        .size:           8
        .value_kind:     global_buffer
      - .actual_access:  read_only
        .address_space:  global
        .offset:         80
        .size:           8
        .value_kind:     global_buffer
      - .offset:         88
        .size:           4
        .value_kind:     by_value
      - .offset:         92
        .size:           4
        .value_kind:     by_value
      - .offset:         96
        .size:           4
        .value_kind:     by_value
      - .offset:         100
        .size:           4
        .value_kind:     by_value
      - .offset:         104
        .size:           4
        .value_kind:     by_value
      - .offset:         112
        .size:           8
        .value_kind:     by_value
      - .offset:         120
        .size:           8
        .value_kind:     by_value
      - .offset:         128
        .size:           8
        .value_kind:     by_value
    .group_segment_fixed_size: 40960
    .kernarg_segment_align: 8
    .kernarg_segment_size: 136
    .language:       OpenCL C
    .language_version:
      - 2
      - 0
    .max_flat_workgroup_size: 256
    .name:           _ZN12_GLOBAL__N_139chunk_gated_delta_rule_fwd_h_hip_kernelILi16ELb1ELb1ELb0ELb0ELb0ELb1ELb0ELb0EEEvPK12hip_bfloat16S3_S3_PKfS5_PKvPS1_S8_PvPKiSB_iiiiilll
    .private_segment_fixed_size: 0
    .sgpr_count:     77
    .sgpr_spill_count: 0
    .symbol:         _ZN12_GLOBAL__N_139chunk_gated_delta_rule_fwd_h_hip_kernelILi16ELb1ELb1ELb0ELb0ELb0ELb1ELb0ELb0EEEvPK12hip_bfloat16S3_S3_PKfS5_PKvPS1_S8_PvPKiSB_iiiiilll.kd
    .uniform_work_group_size: 1
    .uses_dynamic_stack: false
    .vgpr_count:     128
    .vgpr_spill_count: 0
    .wavefront_size: 64
  - .agpr_count:     12
    .args:
      - .actual_access:  read_only
        .address_space:  global
        .offset:         0
        .size:           8
        .value_kind:     global_buffer
      - .actual_access:  read_only
        .address_space:  global
        .offset:         8
        .size:           8
        .value_kind:     global_buffer
      - .actual_access:  read_only
        .address_space:  global
        .offset:         16
        .size:           8
        .value_kind:     global_buffer
      - .actual_access:  read_only
        .address_space:  global
        .offset:         24
        .size:           8
        .value_kind:     global_buffer
      - .actual_access:  read_only
        .address_space:  global
        .offset:         32
        .size:           8
        .value_kind:     global_buffer
      - .actual_access:  read_only
        .address_space:  global
        .offset:         40
        .size:           8
        .value_kind:     global_buffer
      - .actual_access:  write_only
        .address_space:  global
        .offset:         48
        .size:           8
        .value_kind:     global_buffer
      - .actual_access:  write_only
        .address_space:  global
        .offset:         56
        .size:           8
        .value_kind:     global_buffer
      - .actual_access:  read_only
        .address_space:  global
        .offset:         64
        .size:           8
        .value_kind:     global_buffer
      - .actual_access:  read_only
        .address_space:  global
        .offset:         72
        .size:           8
        .value_kind:     global_buffer
      - .actual_access:  read_only
        .address_space:  global
        .offset:         80
        .size:           8
        .value_kind:     global_buffer
      - .offset:         88
        .size:           4
        .value_kind:     by_value
      - .offset:         92
        .size:           4
        .value_kind:     by_value
      - .offset:         96
        .size:           4
        .value_kind:     by_value
      - .offset:         100
        .size:           4
        .value_kind:     by_value
      - .offset:         104
        .size:           4
        .value_kind:     by_value
      - .offset:         112
        .size:           8
        .value_kind:     by_value
      - .offset:         120
        .size:           8
        .value_kind:     by_value
      - .offset:         128
        .size:           8
        .value_kind:     by_value
    .group_segment_fixed_size: 40960
    .kernarg_segment_align: 8
    .kernarg_segment_size: 136
    .language:       OpenCL C
    .language_version:
      - 2
      - 0
    .max_flat_workgroup_size: 256
    .name:           _ZN12_GLOBAL__N_139chunk_gated_delta_rule_fwd_h_hip_kernelILi16ELb1ELb0ELb1ELb0ELb0ELb1ELb0ELb0EEEvPK12hip_bfloat16S3_S3_PKfS5_PKvPS1_S8_PvPKiSB_iiiiilll
    .private_segment_fixed_size: 0
    .sgpr_count:     78
    .sgpr_spill_count: 0
    .symbol:         _ZN12_GLOBAL__N_139chunk_gated_delta_rule_fwd_h_hip_kernelILi16ELb1ELb0ELb1ELb0ELb0ELb1ELb0ELb0EEEvPK12hip_bfloat16S3_S3_PKfS5_PKvPS1_S8_PvPKiSB_iiiiilll.kd
    .uniform_work_group_size: 1
    .uses_dynamic_stack: false
    .vgpr_count:     128
    .vgpr_spill_count: 0
    .wavefront_size: 64
  - .agpr_count:     12
    .args:
      - .actual_access:  read_only
        .address_space:  global
        .offset:         0
        .size:           8
        .value_kind:     global_buffer
      - .actual_access:  read_only
        .address_space:  global
        .offset:         8
        .size:           8
        .value_kind:     global_buffer
      - .actual_access:  read_only
        .address_space:  global
        .offset:         16
        .size:           8
        .value_kind:     global_buffer
      - .actual_access:  read_only
        .address_space:  global
        .offset:         24
        .size:           8
        .value_kind:     global_buffer
      - .actual_access:  read_only
        .address_space:  global
        .offset:         32
        .size:           8
        .value_kind:     global_buffer
      - .actual_access:  read_only
        .address_space:  global
        .offset:         40
        .size:           8
        .value_kind:     global_buffer
      - .actual_access:  write_only
        .address_space:  global
        .offset:         48
        .size:           8
        .value_kind:     global_buffer
      - .actual_access:  read_only
        .address_space:  global
        .offset:         56
        .size:           8
        .value_kind:     global_buffer
      - .actual_access:  read_only
        .address_space:  global
        .offset:         64
        .size:           8
        .value_kind:     global_buffer
      - .actual_access:  read_only
        .address_space:  global
        .offset:         72
        .size:           8
        .value_kind:     global_buffer
      - .actual_access:  read_only
        .address_space:  global
        .offset:         80
        .size:           8
        .value_kind:     global_buffer
      - .offset:         88
        .size:           4
        .value_kind:     by_value
      - .offset:         92
        .size:           4
        .value_kind:     by_value
      - .offset:         96
        .size:           4
        .value_kind:     by_value
      - .offset:         100
        .size:           4
        .value_kind:     by_value
      - .offset:         104
        .size:           4
        .value_kind:     by_value
      - .offset:         112
        .size:           8
        .value_kind:     by_value
      - .offset:         120
        .size:           8
        .value_kind:     by_value
      - .offset:         128
        .size:           8
        .value_kind:     by_value
    .group_segment_fixed_size: 40960
    .kernarg_segment_align: 8
    .kernarg_segment_size: 136
    .language:       OpenCL C
    .language_version:
      - 2
      - 0
    .max_flat_workgroup_size: 256
    .name:           _ZN12_GLOBAL__N_139chunk_gated_delta_rule_fwd_h_hip_kernelILi16ELb1ELb0ELb0ELb0ELb0ELb1ELb0ELb0EEEvPK12hip_bfloat16S3_S3_PKfS5_PKvPS1_S8_PvPKiSB_iiiiilll
    .private_segment_fixed_size: 0
    .sgpr_count:     73
    .sgpr_spill_count: 0
    .symbol:         _ZN12_GLOBAL__N_139chunk_gated_delta_rule_fwd_h_hip_kernelILi16ELb1ELb0ELb0ELb0ELb0ELb1ELb0ELb0EEEvPK12hip_bfloat16S3_S3_PKfS5_PKvPS1_S8_PvPKiSB_iiiiilll.kd
    .uniform_work_group_size: 1
    .uses_dynamic_stack: false
    .vgpr_count:     128
    .vgpr_spill_count: 0
    .wavefront_size: 64
  - .agpr_count:     12
    .args:
      - .actual_access:  read_only
        .address_space:  global
        .offset:         0
        .size:           8
        .value_kind:     global_buffer
      - .actual_access:  read_only
        .address_space:  global
        .offset:         8
        .size:           8
        .value_kind:     global_buffer
      - .actual_access:  read_only
        .address_space:  global
        .offset:         16
        .size:           8
        .value_kind:     global_buffer
      - .actual_access:  read_only
        .address_space:  global
        .offset:         24
        .size:           8
        .value_kind:     global_buffer
      - .actual_access:  read_only
        .address_space:  global
        .offset:         32
        .size:           8
        .value_kind:     global_buffer
      - .actual_access:  read_only
        .address_space:  global
        .offset:         40
        .size:           8
        .value_kind:     global_buffer
      - .actual_access:  write_only
        .address_space:  global
        .offset:         48
        .size:           8
        .value_kind:     global_buffer
      - .actual_access:  write_only
        .address_space:  global
        .offset:         56
        .size:           8
        .value_kind:     global_buffer
      - .actual_access:  write_only
        .address_space:  global
        .offset:         64
        .size:           8
        .value_kind:     global_buffer
      - .actual_access:  read_only
        .address_space:  global
        .offset:         72
        .size:           8
        .value_kind:     global_buffer
      - .actual_access:  read_only
        .address_space:  global
        .offset:         80
        .size:           8
        .value_kind:     global_buffer
      - .offset:         88
        .size:           4
        .value_kind:     by_value
      - .offset:         92
        .size:           4
        .value_kind:     by_value
      - .offset:         96
        .size:           4
        .value_kind:     by_value
      - .offset:         100
        .size:           4
        .value_kind:     by_value
      - .offset:         104
        .size:           4
        .value_kind:     by_value
      - .offset:         112
        .size:           8
        .value_kind:     by_value
      - .offset:         120
        .size:           8
        .value_kind:     by_value
      - .offset:         128
        .size:           8
        .value_kind:     by_value
    .group_segment_fixed_size: 40960
    .kernarg_segment_align: 8
    .kernarg_segment_size: 136
    .language:       OpenCL C
    .language_version:
      - 2
      - 0
    .max_flat_workgroup_size: 256
    .name:           _ZN12_GLOBAL__N_139chunk_gated_delta_rule_fwd_h_hip_kernelILi16ELb0ELb1ELb1ELb0ELb0ELb1ELb0ELb0EEEvPK12hip_bfloat16S3_S3_PKfS5_PKvPS1_S8_PvPKiSB_iiiiilll
    .private_segment_fixed_size: 0
    .sgpr_count:     76
    .sgpr_spill_count: 0
    .symbol:         _ZN12_GLOBAL__N_139chunk_gated_delta_rule_fwd_h_hip_kernelILi16ELb0ELb1ELb1ELb0ELb0ELb1ELb0ELb0EEEvPK12hip_bfloat16S3_S3_PKfS5_PKvPS1_S8_PvPKiSB_iiiiilll.kd
    .uniform_work_group_size: 1
    .uses_dynamic_stack: false
    .vgpr_count:     128
    .vgpr_spill_count: 0
    .wavefront_size: 64
  - .agpr_count:     12
    .args:
      - .actual_access:  read_only
        .address_space:  global
        .offset:         0
        .size:           8
        .value_kind:     global_buffer
      - .actual_access:  read_only
        .address_space:  global
        .offset:         8
        .size:           8
        .value_kind:     global_buffer
      - .actual_access:  read_only
        .address_space:  global
        .offset:         16
        .size:           8
        .value_kind:     global_buffer
      - .actual_access:  read_only
        .address_space:  global
        .offset:         24
        .size:           8
        .value_kind:     global_buffer
      - .actual_access:  read_only
        .address_space:  global
        .offset:         32
        .size:           8
        .value_kind:     global_buffer
      - .actual_access:  read_only
        .address_space:  global
        .offset:         40
        .size:           8
        .value_kind:     global_buffer
      - .actual_access:  write_only
        .address_space:  global
        .offset:         48
        .size:           8
        .value_kind:     global_buffer
      - .actual_access:  read_only
        .address_space:  global
        .offset:         56
        .size:           8
        .value_kind:     global_buffer
      - .actual_access:  write_only
        .address_space:  global
        .offset:         64
        .size:           8
        .value_kind:     global_buffer
      - .actual_access:  read_only
        .address_space:  global
        .offset:         72
        .size:           8
        .value_kind:     global_buffer
      - .actual_access:  read_only
        .address_space:  global
        .offset:         80
        .size:           8
        .value_kind:     global_buffer
      - .offset:         88
        .size:           4
        .value_kind:     by_value
      - .offset:         92
        .size:           4
        .value_kind:     by_value
      - .offset:         96
        .size:           4
        .value_kind:     by_value
      - .offset:         100
        .size:           4
        .value_kind:     by_value
      - .offset:         104
        .size:           4
        .value_kind:     by_value
      - .offset:         112
        .size:           8
        .value_kind:     by_value
      - .offset:         120
        .size:           8
        .value_kind:     by_value
      - .offset:         128
        .size:           8
        .value_kind:     by_value
    .group_segment_fixed_size: 40960
    .kernarg_segment_align: 8
    .kernarg_segment_size: 136
    .language:       OpenCL C
    .language_version:
      - 2
      - 0
    .max_flat_workgroup_size: 256
    .name:           _ZN12_GLOBAL__N_139chunk_gated_delta_rule_fwd_h_hip_kernelILi16ELb0ELb1ELb0ELb0ELb0ELb1ELb0ELb0EEEvPK12hip_bfloat16S3_S3_PKfS5_PKvPS1_S8_PvPKiSB_iiiiilll
    .private_segment_fixed_size: 0
    .sgpr_count:     72
    .sgpr_spill_count: 0
    .symbol:         _ZN12_GLOBAL__N_139chunk_gated_delta_rule_fwd_h_hip_kernelILi16ELb0ELb1ELb0ELb0ELb0ELb1ELb0ELb0EEEvPK12hip_bfloat16S3_S3_PKfS5_PKvPS1_S8_PvPKiSB_iiiiilll.kd
    .uniform_work_group_size: 1
    .uses_dynamic_stack: false
    .vgpr_count:     128
    .vgpr_spill_count: 0
    .wavefront_size: 64
  - .agpr_count:     12
    .args:
      - .actual_access:  read_only
        .address_space:  global
        .offset:         0
        .size:           8
        .value_kind:     global_buffer
      - .actual_access:  read_only
        .address_space:  global
        .offset:         8
        .size:           8
        .value_kind:     global_buffer
      - .actual_access:  read_only
        .address_space:  global
        .offset:         16
        .size:           8
        .value_kind:     global_buffer
      - .actual_access:  read_only
        .address_space:  global
        .offset:         24
        .size:           8
        .value_kind:     global_buffer
      - .actual_access:  read_only
        .address_space:  global
        .offset:         32
        .size:           8
        .value_kind:     global_buffer
      - .actual_access:  read_only
        .address_space:  global
        .offset:         40
        .size:           8
        .value_kind:     global_buffer
      - .actual_access:  write_only
        .address_space:  global
        .offset:         48
        .size:           8
        .value_kind:     global_buffer
      - .actual_access:  write_only
        .address_space:  global
        .offset:         56
        .size:           8
        .value_kind:     global_buffer
      - .actual_access:  read_only
        .address_space:  global
        .offset:         64
        .size:           8
        .value_kind:     global_buffer
      - .actual_access:  read_only
        .address_space:  global
        .offset:         72
        .size:           8
        .value_kind:     global_buffer
      - .actual_access:  read_only
        .address_space:  global
        .offset:         80
        .size:           8
        .value_kind:     global_buffer
      - .offset:         88
        .size:           4
        .value_kind:     by_value
      - .offset:         92
        .size:           4
        .value_kind:     by_value
      - .offset:         96
        .size:           4
        .value_kind:     by_value
      - .offset:         100
        .size:           4
        .value_kind:     by_value
      - .offset:         104
        .size:           4
        .value_kind:     by_value
      - .offset:         112
        .size:           8
        .value_kind:     by_value
      - .offset:         120
        .size:           8
        .value_kind:     by_value
      - .offset:         128
        .size:           8
        .value_kind:     by_value
    .group_segment_fixed_size: 40960
    .kernarg_segment_align: 8
    .kernarg_segment_size: 136
    .language:       OpenCL C
    .language_version:
      - 2
      - 0
    .max_flat_workgroup_size: 256
    .name:           _ZN12_GLOBAL__N_139chunk_gated_delta_rule_fwd_h_hip_kernelILi16ELb0ELb0ELb1ELb0ELb0ELb1ELb0ELb0EEEvPK12hip_bfloat16S3_S3_PKfS5_PKvPS1_S8_PvPKiSB_iiiiilll
    .private_segment_fixed_size: 0
    .sgpr_count:     74
    .sgpr_spill_count: 0
    .symbol:         _ZN12_GLOBAL__N_139chunk_gated_delta_rule_fwd_h_hip_kernelILi16ELb0ELb0ELb1ELb0ELb0ELb1ELb0ELb0EEEvPK12hip_bfloat16S3_S3_PKfS5_PKvPS1_S8_PvPKiSB_iiiiilll.kd
    .uniform_work_group_size: 1
    .uses_dynamic_stack: false
    .vgpr_count:     128
    .vgpr_spill_count: 0
    .wavefront_size: 64
  - .agpr_count:     12
    .args:
      - .actual_access:  read_only
        .address_space:  global
        .offset:         0
        .size:           8
        .value_kind:     global_buffer
      - .actual_access:  read_only
        .address_space:  global
        .offset:         8
        .size:           8
        .value_kind:     global_buffer
      - .actual_access:  read_only
        .address_space:  global
        .offset:         16
        .size:           8
        .value_kind:     global_buffer
      - .actual_access:  read_only
        .address_space:  global
        .offset:         24
        .size:           8
        .value_kind:     global_buffer
      - .actual_access:  read_only
        .address_space:  global
        .offset:         32
        .size:           8
        .value_kind:     global_buffer
      - .actual_access:  read_only
        .address_space:  global
        .offset:         40
        .size:           8
        .value_kind:     global_buffer
      - .actual_access:  write_only
        .address_space:  global
        .offset:         48
        .size:           8
        .value_kind:     global_buffer
      - .actual_access:  read_only
        .address_space:  global
        .offset:         56
        .size:           8
        .value_kind:     global_buffer
      - .actual_access:  read_only
        .address_space:  global
        .offset:         64
        .size:           8
        .value_kind:     global_buffer
      - .actual_access:  read_only
        .address_space:  global
        .offset:         72
        .size:           8
        .value_kind:     global_buffer
      - .actual_access:  read_only
        .address_space:  global
        .offset:         80
        .size:           8
        .value_kind:     global_buffer
      - .offset:         88
        .size:           4
        .value_kind:     by_value
      - .offset:         92
        .size:           4
        .value_kind:     by_value
      - .offset:         96
        .size:           4
        .value_kind:     by_value
      - .offset:         100
        .size:           4
        .value_kind:     by_value
      - .offset:         104
        .size:           4
        .value_kind:     by_value
      - .offset:         112
        .size:           8
        .value_kind:     by_value
      - .offset:         120
        .size:           8
        .value_kind:     by_value
      - .offset:         128
        .size:           8
        .value_kind:     by_value
    .group_segment_fixed_size: 40960
    .kernarg_segment_align: 8
    .kernarg_segment_size: 136
    .language:       OpenCL C
    .language_version:
      - 2
      - 0
    .max_flat_workgroup_size: 256
    .name:           _ZN12_GLOBAL__N_139chunk_gated_delta_rule_fwd_h_hip_kernelILi16ELb0ELb0ELb0ELb0ELb0ELb1ELb0ELb0EEEvPK12hip_bfloat16S3_S3_PKfS5_PKvPS1_S8_PvPKiSB_iiiiilll
    .private_segment_fixed_size: 0
    .sgpr_count:     70
    .sgpr_spill_count: 0
    .symbol:         _ZN12_GLOBAL__N_139chunk_gated_delta_rule_fwd_h_hip_kernelILi16ELb0ELb0ELb0ELb0ELb0ELb1ELb0ELb0EEEvPK12hip_bfloat16S3_S3_PKfS5_PKvPS1_S8_PvPKiSB_iiiiilll.kd
    .uniform_work_group_size: 1
    .uses_dynamic_stack: false
    .vgpr_count:     128
    .vgpr_spill_count: 0
    .wavefront_size: 64
  - .agpr_count:     8
    .args:
      - .actual_access:  read_only
        .address_space:  global
        .offset:         0
        .size:           8
        .value_kind:     global_buffer
      - .actual_access:  read_only
        .address_space:  global
        .offset:         8
        .size:           8
        .value_kind:     global_buffer
      - .actual_access:  read_only
        .address_space:  global
        .offset:         16
        .size:           8
        .value_kind:     global_buffer
      - .actual_access:  read_only
        .address_space:  global
        .offset:         24
        .size:           8
        .value_kind:     global_buffer
      - .actual_access:  read_only
        .address_space:  global
        .offset:         32
        .size:           8
        .value_kind:     global_buffer
      - .actual_access:  read_only
        .address_space:  global
        .offset:         40
        .size:           8
        .value_kind:     global_buffer
      - .actual_access:  write_only
        .address_space:  global
        .offset:         48
        .size:           8
        .value_kind:     global_buffer
      - .actual_access:  write_only
        .address_space:  global
        .offset:         56
        .size:           8
        .value_kind:     global_buffer
      - .actual_access:  write_only
        .address_space:  global
        .offset:         64
        .size:           8
        .value_kind:     global_buffer
      - .actual_access:  read_only
        .address_space:  global
        .offset:         72
        .size:           8
        .value_kind:     global_buffer
      - .actual_access:  read_only
        .address_space:  global
        .offset:         80
        .size:           8
        .value_kind:     global_buffer
      - .offset:         88
        .size:           4
        .value_kind:     by_value
      - .offset:         92
        .size:           4
        .value_kind:     by_value
      - .offset:         96
        .size:           4
        .value_kind:     by_value
      - .offset:         100
        .size:           4
        .value_kind:     by_value
      - .offset:         104
        .size:           4
        .value_kind:     by_value
      - .offset:         112
        .size:           8
        .value_kind:     by_value
      - .offset:         120
        .size:           8
        .value_kind:     by_value
      - .offset:         128
        .size:           8
        .value_kind:     by_value
    .group_segment_fixed_size: 40960
    .kernarg_segment_align: 8
    .kernarg_segment_size: 136
    .language:       OpenCL C
    .language_version:
      - 2
      - 0
    .max_flat_workgroup_size: 256
    .name:           _ZN12_GLOBAL__N_139chunk_gated_delta_rule_fwd_h_hip_kernelILi16ELb1ELb1ELb1ELb1ELb0ELb0ELb1ELb0EEEvPK12hip_bfloat16S3_S3_PKfS5_PKvPS1_S8_PvPKiSB_iiiiilll
    .private_segment_fixed_size: 0
    .sgpr_count:     74
    .sgpr_spill_count: 0
    .symbol:         _ZN12_GLOBAL__N_139chunk_gated_delta_rule_fwd_h_hip_kernelILi16ELb1ELb1ELb1ELb1ELb0ELb0ELb1ELb0EEEvPK12hip_bfloat16S3_S3_PKfS5_PKvPS1_S8_PvPKiSB_iiiiilll.kd
    .uniform_work_group_size: 1
    .uses_dynamic_stack: false
    .vgpr_count:     120
    .vgpr_spill_count: 0
    .wavefront_size: 64
  - .agpr_count:     8
    .args:
      - .actual_access:  read_only
        .address_space:  global
        .offset:         0
        .size:           8
        .value_kind:     global_buffer
      - .actual_access:  read_only
        .address_space:  global
        .offset:         8
        .size:           8
        .value_kind:     global_buffer
      - .actual_access:  read_only
        .address_space:  global
        .offset:         16
        .size:           8
        .value_kind:     global_buffer
      - .actual_access:  read_only
        .address_space:  global
        .offset:         24
        .size:           8
        .value_kind:     global_buffer
      - .actual_access:  read_only
        .address_space:  global
        .offset:         32
        .size:           8
        .value_kind:     global_buffer
      - .actual_access:  read_only
        .address_space:  global
        .offset:         40
        .size:           8
        .value_kind:     global_buffer
      - .actual_access:  write_only
        .address_space:  global
        .offset:         48
        .size:           8
        .value_kind:     global_buffer
      - .actual_access:  read_only
        .address_space:  global
        .offset:         56
        .size:           8
        .value_kind:     global_buffer
      - .actual_access:  write_only
        .address_space:  global
        .offset:         64
        .size:           8
        .value_kind:     global_buffer
      - .actual_access:  read_only
        .address_space:  global
        .offset:         72
        .size:           8
        .value_kind:     global_buffer
      - .actual_access:  read_only
        .address_space:  global
        .offset:         80
        .size:           8
        .value_kind:     global_buffer
      - .offset:         88
        .size:           4
        .value_kind:     by_value
      - .offset:         92
        .size:           4
        .value_kind:     by_value
      - .offset:         96
        .size:           4
        .value_kind:     by_value
      - .offset:         100
        .size:           4
        .value_kind:     by_value
      - .offset:         104
        .size:           4
        .value_kind:     by_value
      - .offset:         112
        .size:           8
        .value_kind:     by_value
      - .offset:         120
        .size:           8
        .value_kind:     by_value
      - .offset:         128
        .size:           8
        .value_kind:     by_value
    .group_segment_fixed_size: 40960
    .kernarg_segment_align: 8
    .kernarg_segment_size: 136
    .language:       OpenCL C
    .language_version:
      - 2
      - 0
    .max_flat_workgroup_size: 256
    .name:           _ZN12_GLOBAL__N_139chunk_gated_delta_rule_fwd_h_hip_kernelILi16ELb1ELb1ELb0ELb1ELb0ELb0ELb1ELb0EEEvPK12hip_bfloat16S3_S3_PKfS5_PKvPS1_S8_PvPKiSB_iiiiilll
    .private_segment_fixed_size: 0
    .sgpr_count:     69
    .sgpr_spill_count: 0
    .symbol:         _ZN12_GLOBAL__N_139chunk_gated_delta_rule_fwd_h_hip_kernelILi16ELb1ELb1ELb0ELb1ELb0ELb0ELb1ELb0EEEvPK12hip_bfloat16S3_S3_PKfS5_PKvPS1_S8_PvPKiSB_iiiiilll.kd
    .uniform_work_group_size: 1
    .uses_dynamic_stack: false
    .vgpr_count:     120
    .vgpr_spill_count: 0
    .wavefront_size: 64
  - .agpr_count:     8
    .args:
      - .actual_access:  read_only
        .address_space:  global
        .offset:         0
        .size:           8
        .value_kind:     global_buffer
      - .actual_access:  read_only
        .address_space:  global
        .offset:         8
        .size:           8
        .value_kind:     global_buffer
      - .actual_access:  read_only
        .address_space:  global
        .offset:         16
        .size:           8
        .value_kind:     global_buffer
      - .actual_access:  read_only
        .address_space:  global
        .offset:         24
        .size:           8
        .value_kind:     global_buffer
      - .actual_access:  read_only
        .address_space:  global
        .offset:         32
        .size:           8
        .value_kind:     global_buffer
      - .actual_access:  read_only
        .address_space:  global
        .offset:         40
        .size:           8
        .value_kind:     global_buffer
      - .actual_access:  write_only
        .address_space:  global
        .offset:         48
        .size:           8
        .value_kind:     global_buffer
      - .actual_access:  write_only
        .address_space:  global
        .offset:         56
        .size:           8
        .value_kind:     global_buffer
      - .actual_access:  read_only
        .address_space:  global
        .offset:         64
        .size:           8
        .value_kind:     global_buffer
      - .actual_access:  read_only
        .address_space:  global
        .offset:         72
        .size:           8
        .value_kind:     global_buffer
      - .actual_access:  read_only
        .address_space:  global
        .offset:         80
        .size:           8
        .value_kind:     global_buffer
      - .offset:         88
        .size:           4
        .value_kind:     by_value
      - .offset:         92
        .size:           4
        .value_kind:     by_value
      - .offset:         96
        .size:           4
        .value_kind:     by_value
      - .offset:         100
        .size:           4
        .value_kind:     by_value
      - .offset:         104
        .size:           4
        .value_kind:     by_value
      - .offset:         112
        .size:           8
        .value_kind:     by_value
      - .offset:         120
        .size:           8
        .value_kind:     by_value
      - .offset:         128
        .size:           8
        .value_kind:     by_value
    .group_segment_fixed_size: 40960
    .kernarg_segment_align: 8
    .kernarg_segment_size: 136
    .language:       OpenCL C
    .language_version:
      - 2
      - 0
    .max_flat_workgroup_size: 256
    .name:           _ZN12_GLOBAL__N_139chunk_gated_delta_rule_fwd_h_hip_kernelILi16ELb1ELb0ELb1ELb1ELb0ELb0ELb1ELb0EEEvPK12hip_bfloat16S3_S3_PKfS5_PKvPS1_S8_PvPKiSB_iiiiilll
    .private_segment_fixed_size: 0
    .sgpr_count:     70
    .sgpr_spill_count: 0
    .symbol:         _ZN12_GLOBAL__N_139chunk_gated_delta_rule_fwd_h_hip_kernelILi16ELb1ELb0ELb1ELb1ELb0ELb0ELb1ELb0EEEvPK12hip_bfloat16S3_S3_PKfS5_PKvPS1_S8_PvPKiSB_iiiiilll.kd
    .uniform_work_group_size: 1
    .uses_dynamic_stack: false
    .vgpr_count:     116
    .vgpr_spill_count: 0
    .wavefront_size: 64
  - .agpr_count:     8
    .args:
      - .actual_access:  read_only
        .address_space:  global
        .offset:         0
        .size:           8
        .value_kind:     global_buffer
      - .actual_access:  read_only
        .address_space:  global
        .offset:         8
        .size:           8
        .value_kind:     global_buffer
      - .actual_access:  read_only
        .address_space:  global
        .offset:         16
        .size:           8
        .value_kind:     global_buffer
      - .actual_access:  read_only
        .address_space:  global
        .offset:         24
        .size:           8
        .value_kind:     global_buffer
      - .actual_access:  read_only
        .address_space:  global
        .offset:         32
        .size:           8
        .value_kind:     global_buffer
      - .actual_access:  read_only
        .address_space:  global
        .offset:         40
        .size:           8
        .value_kind:     global_buffer
      - .actual_access:  write_only
        .address_space:  global
        .offset:         48
        .size:           8
        .value_kind:     global_buffer
      - .actual_access:  read_only
        .address_space:  global
        .offset:         56
        .size:           8
        .value_kind:     global_buffer
      - .actual_access:  read_only
        .address_space:  global
        .offset:         64
        .size:           8
        .value_kind:     global_buffer
      - .actual_access:  read_only
        .address_space:  global
        .offset:         72
        .size:           8
        .value_kind:     global_buffer
      - .actual_access:  read_only
        .address_space:  global
        .offset:         80
        .size:           8
        .value_kind:     global_buffer
      - .offset:         88
        .size:           4
        .value_kind:     by_value
      - .offset:         92
        .size:           4
        .value_kind:     by_value
      - .offset:         96
        .size:           4
        .value_kind:     by_value
      - .offset:         100
        .size:           4
        .value_kind:     by_value
      - .offset:         104
        .size:           4
        .value_kind:     by_value
      - .offset:         112
        .size:           8
        .value_kind:     by_value
      - .offset:         120
        .size:           8
        .value_kind:     by_value
      - .offset:         128
        .size:           8
        .value_kind:     by_value
    .group_segment_fixed_size: 40960
    .kernarg_segment_align: 8
    .kernarg_segment_size: 136
    .language:       OpenCL C
    .language_version:
      - 2
      - 0
    .max_flat_workgroup_size: 256
    .name:           _ZN12_GLOBAL__N_139chunk_gated_delta_rule_fwd_h_hip_kernelILi16ELb1ELb0ELb0ELb1ELb0ELb0ELb1ELb0EEEvPK12hip_bfloat16S3_S3_PKfS5_PKvPS1_S8_PvPKiSB_iiiiilll
    .private_segment_fixed_size: 0
    .sgpr_count:     65
    .sgpr_spill_count: 0
    .symbol:         _ZN12_GLOBAL__N_139chunk_gated_delta_rule_fwd_h_hip_kernelILi16ELb1ELb0ELb0ELb1ELb0ELb0ELb1ELb0EEEvPK12hip_bfloat16S3_S3_PKfS5_PKvPS1_S8_PvPKiSB_iiiiilll.kd
    .uniform_work_group_size: 1
    .uses_dynamic_stack: false
    .vgpr_count:     116
    .vgpr_spill_count: 0
    .wavefront_size: 64
  - .agpr_count:     8
    .args:
      - .actual_access:  read_only
        .address_space:  global
        .offset:         0
        .size:           8
        .value_kind:     global_buffer
      - .actual_access:  read_only
        .address_space:  global
        .offset:         8
        .size:           8
        .value_kind:     global_buffer
      - .actual_access:  read_only
        .address_space:  global
        .offset:         16
        .size:           8
        .value_kind:     global_buffer
      - .actual_access:  read_only
        .address_space:  global
        .offset:         24
        .size:           8
        .value_kind:     global_buffer
      - .actual_access:  read_only
        .address_space:  global
        .offset:         32
        .size:           8
        .value_kind:     global_buffer
      - .actual_access:  read_only
        .address_space:  global
        .offset:         40
        .size:           8
        .value_kind:     global_buffer
      - .actual_access:  write_only
        .address_space:  global
        .offset:         48
        .size:           8
        .value_kind:     global_buffer
      - .actual_access:  write_only
        .address_space:  global
        .offset:         56
        .size:           8
        .value_kind:     global_buffer
      - .actual_access:  write_only
        .address_space:  global
        .offset:         64
        .size:           8
        .value_kind:     global_buffer
      - .actual_access:  read_only
        .address_space:  global
        .offset:         72
        .size:           8
        .value_kind:     global_buffer
      - .actual_access:  read_only
        .address_space:  global
        .offset:         80
        .size:           8
        .value_kind:     global_buffer
      - .offset:         88
        .size:           4
        .value_kind:     by_value
      - .offset:         92
        .size:           4
        .value_kind:     by_value
      - .offset:         96
        .size:           4
        .value_kind:     by_value
      - .offset:         100
        .size:           4
        .value_kind:     by_value
      - .offset:         104
        .size:           4
        .value_kind:     by_value
      - .offset:         112
        .size:           8
        .value_kind:     by_value
      - .offset:         120
        .size:           8
        .value_kind:     by_value
      - .offset:         128
        .size:           8
        .value_kind:     by_value
    .group_segment_fixed_size: 40960
    .kernarg_segment_align: 8
    .kernarg_segment_size: 136
    .language:       OpenCL C
    .language_version:
      - 2
      - 0
    .max_flat_workgroup_size: 256
    .name:           _ZN12_GLOBAL__N_139chunk_gated_delta_rule_fwd_h_hip_kernelILi16ELb0ELb1ELb1ELb1ELb0ELb0ELb1ELb0EEEvPK12hip_bfloat16S3_S3_PKfS5_PKvPS1_S8_PvPKiSB_iiiiilll
    .private_segment_fixed_size: 0
    .sgpr_count:     72
    .sgpr_spill_count: 0
    .symbol:         _ZN12_GLOBAL__N_139chunk_gated_delta_rule_fwd_h_hip_kernelILi16ELb0ELb1ELb1ELb1ELb0ELb0ELb1ELb0EEEvPK12hip_bfloat16S3_S3_PKfS5_PKvPS1_S8_PvPKiSB_iiiiilll.kd
    .uniform_work_group_size: 1
    .uses_dynamic_stack: false
    .vgpr_count:     116
    .vgpr_spill_count: 0
    .wavefront_size: 64
  - .agpr_count:     8
    .args:
      - .actual_access:  read_only
        .address_space:  global
        .offset:         0
        .size:           8
        .value_kind:     global_buffer
      - .actual_access:  read_only
        .address_space:  global
        .offset:         8
        .size:           8
        .value_kind:     global_buffer
      - .actual_access:  read_only
        .address_space:  global
        .offset:         16
        .size:           8
        .value_kind:     global_buffer
      - .actual_access:  read_only
        .address_space:  global
        .offset:         24
        .size:           8
        .value_kind:     global_buffer
      - .actual_access:  read_only
        .address_space:  global
        .offset:         32
        .size:           8
        .value_kind:     global_buffer
      - .actual_access:  read_only
        .address_space:  global
        .offset:         40
        .size:           8
        .value_kind:     global_buffer
      - .actual_access:  write_only
        .address_space:  global
        .offset:         48
        .size:           8
        .value_kind:     global_buffer
      - .actual_access:  read_only
        .address_space:  global
        .offset:         56
        .size:           8
        .value_kind:     global_buffer
      - .actual_access:  write_only
        .address_space:  global
        .offset:         64
        .size:           8
        .value_kind:     global_buffer
      - .actual_access:  read_only
        .address_space:  global
        .offset:         72
        .size:           8
        .value_kind:     global_buffer
      - .actual_access:  read_only
        .address_space:  global
        .offset:         80
        .size:           8
        .value_kind:     global_buffer
      - .offset:         88
        .size:           4
        .value_kind:     by_value
      - .offset:         92
        .size:           4
        .value_kind:     by_value
      - .offset:         96
        .size:           4
        .value_kind:     by_value
      - .offset:         100
        .size:           4
        .value_kind:     by_value
      - .offset:         104
        .size:           4
        .value_kind:     by_value
      - .offset:         112
        .size:           8
        .value_kind:     by_value
      - .offset:         120
        .size:           8
        .value_kind:     by_value
      - .offset:         128
        .size:           8
        .value_kind:     by_value
    .group_segment_fixed_size: 40960
    .kernarg_segment_align: 8
    .kernarg_segment_size: 136
    .language:       OpenCL C
    .language_version:
      - 2
      - 0
    .max_flat_workgroup_size: 256
    .name:           _ZN12_GLOBAL__N_139chunk_gated_delta_rule_fwd_h_hip_kernelILi16ELb0ELb1ELb0ELb1ELb0ELb0ELb1ELb0EEEvPK12hip_bfloat16S3_S3_PKfS5_PKvPS1_S8_PvPKiSB_iiiiilll
    .private_segment_fixed_size: 0
    .sgpr_count:     69
    .sgpr_spill_count: 0
    .symbol:         _ZN12_GLOBAL__N_139chunk_gated_delta_rule_fwd_h_hip_kernelILi16ELb0ELb1ELb0ELb1ELb0ELb0ELb1ELb0EEEvPK12hip_bfloat16S3_S3_PKfS5_PKvPS1_S8_PvPKiSB_iiiiilll.kd
    .uniform_work_group_size: 1
    .uses_dynamic_stack: false
    .vgpr_count:     116
    .vgpr_spill_count: 0
    .wavefront_size: 64
  - .agpr_count:     8
    .args:
      - .actual_access:  read_only
        .address_space:  global
        .offset:         0
        .size:           8
        .value_kind:     global_buffer
      - .actual_access:  read_only
        .address_space:  global
        .offset:         8
        .size:           8
        .value_kind:     global_buffer
      - .actual_access:  read_only
        .address_space:  global
        .offset:         16
        .size:           8
        .value_kind:     global_buffer
      - .actual_access:  read_only
        .address_space:  global
        .offset:         24
        .size:           8
        .value_kind:     global_buffer
      - .actual_access:  read_only
        .address_space:  global
        .offset:         32
        .size:           8
        .value_kind:     global_buffer
      - .actual_access:  read_only
        .address_space:  global
        .offset:         40
        .size:           8
        .value_kind:     global_buffer
      - .actual_access:  write_only
        .address_space:  global
        .offset:         48
        .size:           8
        .value_kind:     global_buffer
      - .actual_access:  write_only
        .address_space:  global
        .offset:         56
        .size:           8
        .value_kind:     global_buffer
      - .actual_access:  read_only
        .address_space:  global
        .offset:         64
        .size:           8
        .value_kind:     global_buffer
      - .actual_access:  read_only
        .address_space:  global
        .offset:         72
        .size:           8
        .value_kind:     global_buffer
      - .actual_access:  read_only
        .address_space:  global
        .offset:         80
        .size:           8
        .value_kind:     global_buffer
      - .offset:         88
        .size:           4
        .value_kind:     by_value
      - .offset:         92
        .size:           4
        .value_kind:     by_value
      - .offset:         96
        .size:           4
        .value_kind:     by_value
      - .offset:         100
        .size:           4
        .value_kind:     by_value
      - .offset:         104
        .size:           4
        .value_kind:     by_value
      - .offset:         112
        .size:           8
        .value_kind:     by_value
      - .offset:         120
        .size:           8
        .value_kind:     by_value
      - .offset:         128
        .size:           8
        .value_kind:     by_value
    .group_segment_fixed_size: 40960
    .kernarg_segment_align: 8
    .kernarg_segment_size: 136
    .language:       OpenCL C
    .language_version:
      - 2
      - 0
    .max_flat_workgroup_size: 256
    .name:           _ZN12_GLOBAL__N_139chunk_gated_delta_rule_fwd_h_hip_kernelILi16ELb0ELb0ELb1ELb1ELb0ELb0ELb1ELb0EEEvPK12hip_bfloat16S3_S3_PKfS5_PKvPS1_S8_PvPKiSB_iiiiilll
    .private_segment_fixed_size: 0
    .sgpr_count:     68
    .sgpr_spill_count: 0
    .symbol:         _ZN12_GLOBAL__N_139chunk_gated_delta_rule_fwd_h_hip_kernelILi16ELb0ELb0ELb1ELb1ELb0ELb0ELb1ELb0EEEvPK12hip_bfloat16S3_S3_PKfS5_PKvPS1_S8_PvPKiSB_iiiiilll.kd
    .uniform_work_group_size: 1
    .uses_dynamic_stack: false
    .vgpr_count:     116
    .vgpr_spill_count: 0
    .wavefront_size: 64
  - .agpr_count:     8
    .args:
      - .actual_access:  read_only
        .address_space:  global
        .offset:         0
        .size:           8
        .value_kind:     global_buffer
      - .actual_access:  read_only
        .address_space:  global
        .offset:         8
        .size:           8
        .value_kind:     global_buffer
      - .actual_access:  read_only
        .address_space:  global
        .offset:         16
        .size:           8
        .value_kind:     global_buffer
      - .actual_access:  read_only
        .address_space:  global
        .offset:         24
        .size:           8
        .value_kind:     global_buffer
      - .actual_access:  read_only
        .address_space:  global
        .offset:         32
        .size:           8
        .value_kind:     global_buffer
      - .actual_access:  read_only
        .address_space:  global
        .offset:         40
        .size:           8
        .value_kind:     global_buffer
      - .actual_access:  write_only
        .address_space:  global
        .offset:         48
        .size:           8
        .value_kind:     global_buffer
      - .actual_access:  read_only
        .address_space:  global
        .offset:         56
        .size:           8
        .value_kind:     global_buffer
      - .actual_access:  read_only
        .address_space:  global
        .offset:         64
        .size:           8
        .value_kind:     global_buffer
      - .actual_access:  read_only
        .address_space:  global
        .offset:         72
        .size:           8
        .value_kind:     global_buffer
      - .actual_access:  read_only
        .address_space:  global
        .offset:         80
        .size:           8
        .value_kind:     global_buffer
      - .offset:         88
        .size:           4
        .value_kind:     by_value
      - .offset:         92
        .size:           4
        .value_kind:     by_value
      - .offset:         96
        .size:           4
        .value_kind:     by_value
      - .offset:         100
        .size:           4
        .value_kind:     by_value
      - .offset:         104
        .size:           4
        .value_kind:     by_value
      - .offset:         112
        .size:           8
        .value_kind:     by_value
      - .offset:         120
        .size:           8
        .value_kind:     by_value
      - .offset:         128
        .size:           8
        .value_kind:     by_value
    .group_segment_fixed_size: 40960
    .kernarg_segment_align: 8
    .kernarg_segment_size: 136
    .language:       OpenCL C
    .language_version:
      - 2
      - 0
    .max_flat_workgroup_size: 256
    .name:           _ZN12_GLOBAL__N_139chunk_gated_delta_rule_fwd_h_hip_kernelILi16ELb0ELb0ELb0ELb1ELb0ELb0ELb1ELb0EEEvPK12hip_bfloat16S3_S3_PKfS5_PKvPS1_S8_PvPKiSB_iiiiilll
    .private_segment_fixed_size: 0
    .sgpr_count:     64
    .sgpr_spill_count: 0
    .symbol:         _ZN12_GLOBAL__N_139chunk_gated_delta_rule_fwd_h_hip_kernelILi16ELb0ELb0ELb0ELb1ELb0ELb0ELb1ELb0EEEvPK12hip_bfloat16S3_S3_PKfS5_PKvPS1_S8_PvPKiSB_iiiiilll.kd
    .uniform_work_group_size: 1
    .uses_dynamic_stack: false
    .vgpr_count:     116
    .vgpr_spill_count: 0
    .wavefront_size: 64
  - .agpr_count:     8
    .args:
      - .actual_access:  read_only
        .address_space:  global
        .offset:         0
        .size:           8
        .value_kind:     global_buffer
      - .actual_access:  read_only
        .address_space:  global
        .offset:         8
        .size:           8
        .value_kind:     global_buffer
      - .actual_access:  read_only
        .address_space:  global
        .offset:         16
        .size:           8
        .value_kind:     global_buffer
      - .actual_access:  read_only
        .address_space:  global
        .offset:         24
        .size:           8
        .value_kind:     global_buffer
      - .actual_access:  read_only
        .address_space:  global
        .offset:         32
        .size:           8
        .value_kind:     global_buffer
      - .actual_access:  read_only
        .address_space:  global
        .offset:         40
        .size:           8
        .value_kind:     global_buffer
      - .actual_access:  write_only
        .address_space:  global
        .offset:         48
        .size:           8
        .value_kind:     global_buffer
      - .actual_access:  write_only
        .address_space:  global
        .offset:         56
        .size:           8
        .value_kind:     global_buffer
      - .actual_access:  write_only
        .address_space:  global
        .offset:         64
        .size:           8
        .value_kind:     global_buffer
      - .actual_access:  read_only
        .address_space:  global
        .offset:         72
        .size:           8
        .value_kind:     global_buffer
      - .actual_access:  read_only
        .address_space:  global
        .offset:         80
        .size:           8
        .value_kind:     global_buffer
      - .offset:         88
        .size:           4
        .value_kind:     by_value
      - .offset:         92
        .size:           4
        .value_kind:     by_value
      - .offset:         96
        .size:           4
        .value_kind:     by_value
      - .offset:         100
        .size:           4
        .value_kind:     by_value
      - .offset:         104
        .size:           4
        .value_kind:     by_value
      - .offset:         112
        .size:           8
        .value_kind:     by_value
      - .offset:         120
        .size:           8
        .value_kind:     by_value
      - .offset:         128
        .size:           8
        .value_kind:     by_value
    .group_segment_fixed_size: 40960
    .kernarg_segment_align: 8
    .kernarg_segment_size: 136
    .language:       OpenCL C
    .language_version:
      - 2
      - 0
    .max_flat_workgroup_size: 256
    .name:           _ZN12_GLOBAL__N_139chunk_gated_delta_rule_fwd_h_hip_kernelILi16ELb1ELb1ELb1ELb0ELb0ELb0ELb1ELb0EEEvPK12hip_bfloat16S3_S3_PKfS5_PKvPS1_S8_PvPKiSB_iiiiilll
    .private_segment_fixed_size: 0
    .sgpr_count:     78
    .sgpr_spill_count: 0
    .symbol:         _ZN12_GLOBAL__N_139chunk_gated_delta_rule_fwd_h_hip_kernelILi16ELb1ELb1ELb1ELb0ELb0ELb0ELb1ELb0EEEvPK12hip_bfloat16S3_S3_PKfS5_PKvPS1_S8_PvPKiSB_iiiiilll.kd
    .uniform_work_group_size: 1
    .uses_dynamic_stack: false
    .vgpr_count:     120
    .vgpr_spill_count: 0
    .wavefront_size: 64
  - .agpr_count:     8
    .args:
      - .actual_access:  read_only
        .address_space:  global
        .offset:         0
        .size:           8
        .value_kind:     global_buffer
      - .actual_access:  read_only
        .address_space:  global
        .offset:         8
        .size:           8
        .value_kind:     global_buffer
      - .actual_access:  read_only
        .address_space:  global
        .offset:         16
        .size:           8
        .value_kind:     global_buffer
      - .actual_access:  read_only
        .address_space:  global
        .offset:         24
        .size:           8
        .value_kind:     global_buffer
      - .actual_access:  read_only
        .address_space:  global
        .offset:         32
        .size:           8
        .value_kind:     global_buffer
      - .actual_access:  read_only
        .address_space:  global
        .offset:         40
        .size:           8
        .value_kind:     global_buffer
      - .actual_access:  write_only
        .address_space:  global
        .offset:         48
        .size:           8
        .value_kind:     global_buffer
      - .actual_access:  read_only
        .address_space:  global
        .offset:         56
        .size:           8
        .value_kind:     global_buffer
      - .actual_access:  write_only
        .address_space:  global
        .offset:         64
        .size:           8
        .value_kind:     global_buffer
      - .actual_access:  read_only
        .address_space:  global
        .offset:         72
        .size:           8
        .value_kind:     global_buffer
      - .actual_access:  read_only
        .address_space:  global
        .offset:         80
        .size:           8
        .value_kind:     global_buffer
      - .offset:         88
        .size:           4
        .value_kind:     by_value
      - .offset:         92
        .size:           4
        .value_kind:     by_value
      - .offset:         96
        .size:           4
        .value_kind:     by_value
      - .offset:         100
        .size:           4
        .value_kind:     by_value
      - .offset:         104
        .size:           4
        .value_kind:     by_value
      - .offset:         112
        .size:           8
        .value_kind:     by_value
      - .offset:         120
        .size:           8
        .value_kind:     by_value
      - .offset:         128
        .size:           8
        .value_kind:     by_value
    .group_segment_fixed_size: 40960
    .kernarg_segment_align: 8
    .kernarg_segment_size: 136
    .language:       OpenCL C
    .language_version:
      - 2
      - 0
    .max_flat_workgroup_size: 256
    .name:           _ZN12_GLOBAL__N_139chunk_gated_delta_rule_fwd_h_hip_kernelILi16ELb1ELb1ELb0ELb0ELb0ELb0ELb1ELb0EEEvPK12hip_bfloat16S3_S3_PKfS5_PKvPS1_S8_PvPKiSB_iiiiilll
    .private_segment_fixed_size: 0
    .sgpr_count:     74
    .sgpr_spill_count: 0
    .symbol:         _ZN12_GLOBAL__N_139chunk_gated_delta_rule_fwd_h_hip_kernelILi16ELb1ELb1ELb0ELb0ELb0ELb0ELb1ELb0EEEvPK12hip_bfloat16S3_S3_PKfS5_PKvPS1_S8_PvPKiSB_iiiiilll.kd
    .uniform_work_group_size: 1
    .uses_dynamic_stack: false
    .vgpr_count:     120
    .vgpr_spill_count: 0
    .wavefront_size: 64
  - .agpr_count:     8
    .args:
      - .actual_access:  read_only
        .address_space:  global
        .offset:         0
        .size:           8
        .value_kind:     global_buffer
      - .actual_access:  read_only
        .address_space:  global
        .offset:         8
        .size:           8
        .value_kind:     global_buffer
      - .actual_access:  read_only
        .address_space:  global
        .offset:         16
        .size:           8
        .value_kind:     global_buffer
      - .actual_access:  read_only
        .address_space:  global
        .offset:         24
        .size:           8
        .value_kind:     global_buffer
      - .actual_access:  read_only
        .address_space:  global
        .offset:         32
        .size:           8
        .value_kind:     global_buffer
      - .actual_access:  read_only
        .address_space:  global
        .offset:         40
        .size:           8
        .value_kind:     global_buffer
      - .actual_access:  write_only
        .address_space:  global
        .offset:         48
        .size:           8
        .value_kind:     global_buffer
      - .actual_access:  write_only
        .address_space:  global
        .offset:         56
        .size:           8
        .value_kind:     global_buffer
      - .actual_access:  read_only
        .address_space:  global
        .offset:         64
        .size:           8
        .value_kind:     global_buffer
      - .actual_access:  read_only
        .address_space:  global
        .offset:         72
        .size:           8
        .value_kind:     global_buffer
      - .actual_access:  read_only
        .address_space:  global
        .offset:         80
        .size:           8
        .value_kind:     global_buffer
      - .offset:         88
        .size:           4
        .value_kind:     by_value
      - .offset:         92
        .size:           4
        .value_kind:     by_value
      - .offset:         96
        .size:           4
        .value_kind:     by_value
      - .offset:         100
        .size:           4
        .value_kind:     by_value
      - .offset:         104
        .size:           4
        .value_kind:     by_value
      - .offset:         112
        .size:           8
        .value_kind:     by_value
      - .offset:         120
        .size:           8
        .value_kind:     by_value
      - .offset:         128
        .size:           8
        .value_kind:     by_value
    .group_segment_fixed_size: 40960
    .kernarg_segment_align: 8
    .kernarg_segment_size: 136
    .language:       OpenCL C
    .language_version:
      - 2
      - 0
    .max_flat_workgroup_size: 256
    .name:           _ZN12_GLOBAL__N_139chunk_gated_delta_rule_fwd_h_hip_kernelILi16ELb1ELb0ELb1ELb0ELb0ELb0ELb1ELb0EEEvPK12hip_bfloat16S3_S3_PKfS5_PKvPS1_S8_PvPKiSB_iiiiilll
    .private_segment_fixed_size: 0
    .sgpr_count:     74
    .sgpr_spill_count: 0
    .symbol:         _ZN12_GLOBAL__N_139chunk_gated_delta_rule_fwd_h_hip_kernelILi16ELb1ELb0ELb1ELb0ELb0ELb0ELb1ELb0EEEvPK12hip_bfloat16S3_S3_PKfS5_PKvPS1_S8_PvPKiSB_iiiiilll.kd
    .uniform_work_group_size: 1
    .uses_dynamic_stack: false
    .vgpr_count:     116
    .vgpr_spill_count: 0
    .wavefront_size: 64
  - .agpr_count:     8
    .args:
      - .actual_access:  read_only
        .address_space:  global
        .offset:         0
        .size:           8
        .value_kind:     global_buffer
      - .actual_access:  read_only
        .address_space:  global
        .offset:         8
        .size:           8
        .value_kind:     global_buffer
      - .actual_access:  read_only
        .address_space:  global
        .offset:         16
        .size:           8
        .value_kind:     global_buffer
      - .actual_access:  read_only
        .address_space:  global
        .offset:         24
        .size:           8
        .value_kind:     global_buffer
      - .actual_access:  read_only
        .address_space:  global
        .offset:         32
        .size:           8
        .value_kind:     global_buffer
      - .actual_access:  read_only
        .address_space:  global
        .offset:         40
        .size:           8
        .value_kind:     global_buffer
      - .actual_access:  write_only
        .address_space:  global
        .offset:         48
        .size:           8
        .value_kind:     global_buffer
      - .actual_access:  read_only
        .address_space:  global
        .offset:         56
        .size:           8
        .value_kind:     global_buffer
      - .actual_access:  read_only
        .address_space:  global
        .offset:         64
        .size:           8
        .value_kind:     global_buffer
      - .actual_access:  read_only
        .address_space:  global
        .offset:         72
        .size:           8
        .value_kind:     global_buffer
      - .actual_access:  read_only
        .address_space:  global
        .offset:         80
        .size:           8
        .value_kind:     global_buffer
      - .offset:         88
        .size:           4
        .value_kind:     by_value
      - .offset:         92
        .size:           4
        .value_kind:     by_value
      - .offset:         96
        .size:           4
        .value_kind:     by_value
      - .offset:         100
        .size:           4
        .value_kind:     by_value
      - .offset:         104
        .size:           4
        .value_kind:     by_value
      - .offset:         112
        .size:           8
        .value_kind:     by_value
      - .offset:         120
        .size:           8
        .value_kind:     by_value
      - .offset:         128
        .size:           8
        .value_kind:     by_value
    .group_segment_fixed_size: 40960
    .kernarg_segment_align: 8
    .kernarg_segment_size: 136
    .language:       OpenCL C
    .language_version:
      - 2
      - 0
    .max_flat_workgroup_size: 256
    .name:           _ZN12_GLOBAL__N_139chunk_gated_delta_rule_fwd_h_hip_kernelILi16ELb1ELb0ELb0ELb0ELb0ELb0ELb1ELb0EEEvPK12hip_bfloat16S3_S3_PKfS5_PKvPS1_S8_PvPKiSB_iiiiilll
    .private_segment_fixed_size: 0
    .sgpr_count:     70
    .sgpr_spill_count: 0
    .symbol:         _ZN12_GLOBAL__N_139chunk_gated_delta_rule_fwd_h_hip_kernelILi16ELb1ELb0ELb0ELb0ELb0ELb0ELb1ELb0EEEvPK12hip_bfloat16S3_S3_PKfS5_PKvPS1_S8_PvPKiSB_iiiiilll.kd
    .uniform_work_group_size: 1
    .uses_dynamic_stack: false
    .vgpr_count:     116
    .vgpr_spill_count: 0
    .wavefront_size: 64
  - .agpr_count:     8
    .args:
      - .actual_access:  read_only
        .address_space:  global
        .offset:         0
        .size:           8
        .value_kind:     global_buffer
      - .actual_access:  read_only
        .address_space:  global
        .offset:         8
        .size:           8
        .value_kind:     global_buffer
      - .actual_access:  read_only
        .address_space:  global
        .offset:         16
        .size:           8
        .value_kind:     global_buffer
      - .actual_access:  read_only
        .address_space:  global
        .offset:         24
        .size:           8
        .value_kind:     global_buffer
      - .actual_access:  read_only
        .address_space:  global
        .offset:         32
        .size:           8
        .value_kind:     global_buffer
      - .actual_access:  read_only
        .address_space:  global
        .offset:         40
        .size:           8
        .value_kind:     global_buffer
      - .actual_access:  write_only
        .address_space:  global
        .offset:         48
        .size:           8
        .value_kind:     global_buffer
      - .actual_access:  write_only
        .address_space:  global
        .offset:         56
        .size:           8
        .value_kind:     global_buffer
      - .actual_access:  write_only
        .address_space:  global
        .offset:         64
        .size:           8
        .value_kind:     global_buffer
      - .actual_access:  read_only
        .address_space:  global
        .offset:         72
        .size:           8
        .value_kind:     global_buffer
      - .actual_access:  read_only
        .address_space:  global
        .offset:         80
        .size:           8
        .value_kind:     global_buffer
      - .offset:         88
        .size:           4
        .value_kind:     by_value
      - .offset:         92
        .size:           4
        .value_kind:     by_value
      - .offset:         96
        .size:           4
        .value_kind:     by_value
      - .offset:         100
        .size:           4
        .value_kind:     by_value
      - .offset:         104
        .size:           4
        .value_kind:     by_value
      - .offset:         112
        .size:           8
        .value_kind:     by_value
      - .offset:         120
        .size:           8
        .value_kind:     by_value
      - .offset:         128
        .size:           8
        .value_kind:     by_value
    .group_segment_fixed_size: 40960
    .kernarg_segment_align: 8
    .kernarg_segment_size: 136
    .language:       OpenCL C
    .language_version:
      - 2
      - 0
    .max_flat_workgroup_size: 256
    .name:           _ZN12_GLOBAL__N_139chunk_gated_delta_rule_fwd_h_hip_kernelILi16ELb0ELb1ELb1ELb0ELb0ELb0ELb1ELb0EEEvPK12hip_bfloat16S3_S3_PKfS5_PKvPS1_S8_PvPKiSB_iiiiilll
    .private_segment_fixed_size: 0
    .sgpr_count:     74
    .sgpr_spill_count: 0
    .symbol:         _ZN12_GLOBAL__N_139chunk_gated_delta_rule_fwd_h_hip_kernelILi16ELb0ELb1ELb1ELb0ELb0ELb0ELb1ELb0EEEvPK12hip_bfloat16S3_S3_PKfS5_PKvPS1_S8_PvPKiSB_iiiiilll.kd
    .uniform_work_group_size: 1
    .uses_dynamic_stack: false
    .vgpr_count:     116
    .vgpr_spill_count: 0
    .wavefront_size: 64
  - .agpr_count:     8
    .args:
      - .actual_access:  read_only
        .address_space:  global
        .offset:         0
        .size:           8
        .value_kind:     global_buffer
      - .actual_access:  read_only
        .address_space:  global
        .offset:         8
        .size:           8
        .value_kind:     global_buffer
      - .actual_access:  read_only
        .address_space:  global
        .offset:         16
        .size:           8
        .value_kind:     global_buffer
      - .actual_access:  read_only
        .address_space:  global
        .offset:         24
        .size:           8
        .value_kind:     global_buffer
      - .actual_access:  read_only
        .address_space:  global
        .offset:         32
        .size:           8
        .value_kind:     global_buffer
      - .actual_access:  read_only
        .address_space:  global
        .offset:         40
        .size:           8
        .value_kind:     global_buffer
      - .actual_access:  write_only
        .address_space:  global
        .offset:         48
        .size:           8
        .value_kind:     global_buffer
      - .actual_access:  read_only
        .address_space:  global
        .offset:         56
        .size:           8
        .value_kind:     global_buffer
      - .actual_access:  write_only
        .address_space:  global
        .offset:         64
        .size:           8
        .value_kind:     global_buffer
      - .actual_access:  read_only
        .address_space:  global
        .offset:         72
        .size:           8
        .value_kind:     global_buffer
      - .actual_access:  read_only
        .address_space:  global
        .offset:         80
        .size:           8
        .value_kind:     global_buffer
      - .offset:         88
        .size:           4
        .value_kind:     by_value
      - .offset:         92
        .size:           4
        .value_kind:     by_value
      - .offset:         96
        .size:           4
        .value_kind:     by_value
      - .offset:         100
        .size:           4
        .value_kind:     by_value
      - .offset:         104
        .size:           4
        .value_kind:     by_value
      - .offset:         112
        .size:           8
        .value_kind:     by_value
      - .offset:         120
        .size:           8
        .value_kind:     by_value
      - .offset:         128
        .size:           8
        .value_kind:     by_value
    .group_segment_fixed_size: 40960
    .kernarg_segment_align: 8
    .kernarg_segment_size: 136
    .language:       OpenCL C
    .language_version:
      - 2
      - 0
    .max_flat_workgroup_size: 256
    .name:           _ZN12_GLOBAL__N_139chunk_gated_delta_rule_fwd_h_hip_kernelILi16ELb0ELb1ELb0ELb0ELb0ELb0ELb1ELb0EEEvPK12hip_bfloat16S3_S3_PKfS5_PKvPS1_S8_PvPKiSB_iiiiilll
    .private_segment_fixed_size: 0
    .sgpr_count:     69
    .sgpr_spill_count: 0
    .symbol:         _ZN12_GLOBAL__N_139chunk_gated_delta_rule_fwd_h_hip_kernelILi16ELb0ELb1ELb0ELb0ELb0ELb0ELb1ELb0EEEvPK12hip_bfloat16S3_S3_PKfS5_PKvPS1_S8_PvPKiSB_iiiiilll.kd
    .uniform_work_group_size: 1
    .uses_dynamic_stack: false
    .vgpr_count:     116
    .vgpr_spill_count: 0
    .wavefront_size: 64
  - .agpr_count:     8
    .args:
      - .actual_access:  read_only
        .address_space:  global
        .offset:         0
        .size:           8
        .value_kind:     global_buffer
      - .actual_access:  read_only
        .address_space:  global
        .offset:         8
        .size:           8
        .value_kind:     global_buffer
      - .actual_access:  read_only
        .address_space:  global
        .offset:         16
        .size:           8
        .value_kind:     global_buffer
      - .actual_access:  read_only
        .address_space:  global
        .offset:         24
        .size:           8
        .value_kind:     global_buffer
      - .actual_access:  read_only
        .address_space:  global
        .offset:         32
        .size:           8
        .value_kind:     global_buffer
      - .actual_access:  read_only
        .address_space:  global
        .offset:         40
        .size:           8
        .value_kind:     global_buffer
      - .actual_access:  write_only
        .address_space:  global
        .offset:         48
        .size:           8
        .value_kind:     global_buffer
      - .actual_access:  write_only
        .address_space:  global
        .offset:         56
        .size:           8
        .value_kind:     global_buffer
      - .actual_access:  read_only
        .address_space:  global
        .offset:         64
        .size:           8
        .value_kind:     global_buffer
      - .actual_access:  read_only
        .address_space:  global
        .offset:         72
        .size:           8
        .value_kind:     global_buffer
      - .actual_access:  read_only
        .address_space:  global
        .offset:         80
        .size:           8
        .value_kind:     global_buffer
      - .offset:         88
        .size:           4
        .value_kind:     by_value
      - .offset:         92
        .size:           4
        .value_kind:     by_value
      - .offset:         96
        .size:           4
        .value_kind:     by_value
      - .offset:         100
        .size:           4
        .value_kind:     by_value
      - .offset:         104
        .size:           4
        .value_kind:     by_value
      - .offset:         112
        .size:           8
        .value_kind:     by_value
      - .offset:         120
        .size:           8
        .value_kind:     by_value
      - .offset:         128
        .size:           8
        .value_kind:     by_value
    .group_segment_fixed_size: 40960
    .kernarg_segment_align: 8
    .kernarg_segment_size: 136
    .language:       OpenCL C
    .language_version:
      - 2
      - 0
    .max_flat_workgroup_size: 256
    .name:           _ZN12_GLOBAL__N_139chunk_gated_delta_rule_fwd_h_hip_kernelILi16ELb0ELb0ELb1ELb0ELb0ELb0ELb1ELb0EEEvPK12hip_bfloat16S3_S3_PKfS5_PKvPS1_S8_PvPKiSB_iiiiilll
    .private_segment_fixed_size: 0
    .sgpr_count:     72
    .sgpr_spill_count: 0
    .symbol:         _ZN12_GLOBAL__N_139chunk_gated_delta_rule_fwd_h_hip_kernelILi16ELb0ELb0ELb1ELb0ELb0ELb0ELb1ELb0EEEvPK12hip_bfloat16S3_S3_PKfS5_PKvPS1_S8_PvPKiSB_iiiiilll.kd
    .uniform_work_group_size: 1
    .uses_dynamic_stack: false
    .vgpr_count:     116
    .vgpr_spill_count: 0
    .wavefront_size: 64
  - .agpr_count:     8
    .args:
      - .actual_access:  read_only
        .address_space:  global
        .offset:         0
        .size:           8
        .value_kind:     global_buffer
      - .actual_access:  read_only
        .address_space:  global
        .offset:         8
        .size:           8
        .value_kind:     global_buffer
      - .actual_access:  read_only
        .address_space:  global
        .offset:         16
        .size:           8
        .value_kind:     global_buffer
      - .actual_access:  read_only
        .address_space:  global
        .offset:         24
        .size:           8
        .value_kind:     global_buffer
      - .actual_access:  read_only
        .address_space:  global
        .offset:         32
        .size:           8
        .value_kind:     global_buffer
      - .actual_access:  read_only
        .address_space:  global
        .offset:         40
        .size:           8
        .value_kind:     global_buffer
      - .actual_access:  write_only
        .address_space:  global
        .offset:         48
        .size:           8
        .value_kind:     global_buffer
      - .actual_access:  read_only
        .address_space:  global
        .offset:         56
        .size:           8
        .value_kind:     global_buffer
      - .actual_access:  read_only
        .address_space:  global
        .offset:         64
        .size:           8
        .value_kind:     global_buffer
      - .actual_access:  read_only
        .address_space:  global
        .offset:         72
        .size:           8
        .value_kind:     global_buffer
      - .actual_access:  read_only
        .address_space:  global
        .offset:         80
        .size:           8
        .value_kind:     global_buffer
      - .offset:         88
        .size:           4
        .value_kind:     by_value
      - .offset:         92
        .size:           4
        .value_kind:     by_value
      - .offset:         96
        .size:           4
        .value_kind:     by_value
      - .offset:         100
        .size:           4
        .value_kind:     by_value
      - .offset:         104
        .size:           4
        .value_kind:     by_value
      - .offset:         112
        .size:           8
        .value_kind:     by_value
      - .offset:         120
        .size:           8
        .value_kind:     by_value
      - .offset:         128
        .size:           8
        .value_kind:     by_value
    .group_segment_fixed_size: 40960
    .kernarg_segment_align: 8
    .kernarg_segment_size: 136
    .language:       OpenCL C
    .language_version:
      - 2
      - 0
    .max_flat_workgroup_size: 256
    .name:           _ZN12_GLOBAL__N_139chunk_gated_delta_rule_fwd_h_hip_kernelILi16ELb0ELb0ELb0ELb0ELb0ELb0ELb1ELb0EEEvPK12hip_bfloat16S3_S3_PKfS5_PKvPS1_S8_PvPKiSB_iiiiilll
    .private_segment_fixed_size: 0
    .sgpr_count:     67
    .sgpr_spill_count: 0
    .symbol:         _ZN12_GLOBAL__N_139chunk_gated_delta_rule_fwd_h_hip_kernelILi16ELb0ELb0ELb0ELb0ELb0ELb0ELb1ELb0EEEvPK12hip_bfloat16S3_S3_PKfS5_PKvPS1_S8_PvPKiSB_iiiiilll.kd
    .uniform_work_group_size: 1
    .uses_dynamic_stack: false
    .vgpr_count:     116
    .vgpr_spill_count: 0
    .wavefront_size: 64
  - .agpr_count:     8
    .args:
      - .actual_access:  read_only
        .address_space:  global
        .offset:         0
        .size:           8
        .value_kind:     global_buffer
      - .actual_access:  read_only
        .address_space:  global
        .offset:         8
        .size:           8
        .value_kind:     global_buffer
      - .actual_access:  read_only
        .address_space:  global
        .offset:         16
        .size:           8
        .value_kind:     global_buffer
      - .actual_access:  read_only
        .address_space:  global
        .offset:         24
        .size:           8
        .value_kind:     global_buffer
      - .actual_access:  read_only
        .address_space:  global
        .offset:         32
        .size:           8
        .value_kind:     global_buffer
      - .actual_access:  read_only
        .address_space:  global
        .offset:         40
        .size:           8
        .value_kind:     global_buffer
      - .actual_access:  write_only
        .address_space:  global
        .offset:         48
        .size:           8
        .value_kind:     global_buffer
      - .actual_access:  write_only
        .address_space:  global
        .offset:         56
        .size:           8
        .value_kind:     global_buffer
      - .actual_access:  write_only
        .address_space:  global
        .offset:         64
        .size:           8
        .value_kind:     global_buffer
      - .actual_access:  read_only
        .address_space:  global
        .offset:         72
        .size:           8
        .value_kind:     global_buffer
      - .actual_access:  read_only
        .address_space:  global
        .offset:         80
        .size:           8
        .value_kind:     global_buffer
      - .offset:         88
        .size:           4
        .value_kind:     by_value
      - .offset:         92
        .size:           4
        .value_kind:     by_value
      - .offset:         96
        .size:           4
        .value_kind:     by_value
      - .offset:         100
        .size:           4
        .value_kind:     by_value
      - .offset:         104
        .size:           4
        .value_kind:     by_value
      - .offset:         112
        .size:           8
        .value_kind:     by_value
      - .offset:         120
        .size:           8
        .value_kind:     by_value
      - .offset:         128
        .size:           8
        .value_kind:     by_value
    .group_segment_fixed_size: 40960
    .kernarg_segment_align: 8
    .kernarg_segment_size: 136
    .language:       OpenCL C
    .language_version:
      - 2
      - 0
    .max_flat_workgroup_size: 256
    .name:           _ZN12_GLOBAL__N_139chunk_gated_delta_rule_fwd_h_hip_kernelILi16ELb1ELb1ELb1ELb1ELb0ELb0ELb0ELb0EEEvPK12hip_bfloat16S3_S3_PKfS5_PKvPS1_S8_PvPKiSB_iiiiilll
    .private_segment_fixed_size: 0
    .sgpr_count:     74
    .sgpr_spill_count: 0
    .symbol:         _ZN12_GLOBAL__N_139chunk_gated_delta_rule_fwd_h_hip_kernelILi16ELb1ELb1ELb1ELb1ELb0ELb0ELb0ELb0EEEvPK12hip_bfloat16S3_S3_PKfS5_PKvPS1_S8_PvPKiSB_iiiiilll.kd
    .uniform_work_group_size: 1
    .uses_dynamic_stack: false
    .vgpr_count:     120
    .vgpr_spill_count: 0
    .wavefront_size: 64
  - .agpr_count:     8
    .args:
      - .actual_access:  read_only
        .address_space:  global
        .offset:         0
        .size:           8
        .value_kind:     global_buffer
      - .actual_access:  read_only
        .address_space:  global
        .offset:         8
        .size:           8
        .value_kind:     global_buffer
      - .actual_access:  read_only
        .address_space:  global
        .offset:         16
        .size:           8
        .value_kind:     global_buffer
      - .actual_access:  read_only
        .address_space:  global
        .offset:         24
        .size:           8
        .value_kind:     global_buffer
      - .actual_access:  read_only
        .address_space:  global
        .offset:         32
        .size:           8
        .value_kind:     global_buffer
      - .actual_access:  read_only
        .address_space:  global
        .offset:         40
        .size:           8
        .value_kind:     global_buffer
      - .actual_access:  write_only
        .address_space:  global
        .offset:         48
        .size:           8
        .value_kind:     global_buffer
      - .actual_access:  read_only
        .address_space:  global
        .offset:         56
        .size:           8
        .value_kind:     global_buffer
      - .actual_access:  write_only
        .address_space:  global
        .offset:         64
        .size:           8
        .value_kind:     global_buffer
      - .actual_access:  read_only
        .address_space:  global
        .offset:         72
        .size:           8
        .value_kind:     global_buffer
      - .actual_access:  read_only
        .address_space:  global
        .offset:         80
        .size:           8
        .value_kind:     global_buffer
      - .offset:         88
        .size:           4
        .value_kind:     by_value
      - .offset:         92
        .size:           4
        .value_kind:     by_value
      - .offset:         96
        .size:           4
        .value_kind:     by_value
      - .offset:         100
        .size:           4
        .value_kind:     by_value
      - .offset:         104
        .size:           4
        .value_kind:     by_value
      - .offset:         112
        .size:           8
        .value_kind:     by_value
      - .offset:         120
        .size:           8
        .value_kind:     by_value
      - .offset:         128
        .size:           8
        .value_kind:     by_value
    .group_segment_fixed_size: 40960
    .kernarg_segment_align: 8
    .kernarg_segment_size: 136
    .language:       OpenCL C
    .language_version:
      - 2
      - 0
    .max_flat_workgroup_size: 256
    .name:           _ZN12_GLOBAL__N_139chunk_gated_delta_rule_fwd_h_hip_kernelILi16ELb1ELb1ELb0ELb1ELb0ELb0ELb0ELb0EEEvPK12hip_bfloat16S3_S3_PKfS5_PKvPS1_S8_PvPKiSB_iiiiilll
    .private_segment_fixed_size: 0
    .sgpr_count:     69
    .sgpr_spill_count: 0
    .symbol:         _ZN12_GLOBAL__N_139chunk_gated_delta_rule_fwd_h_hip_kernelILi16ELb1ELb1ELb0ELb1ELb0ELb0ELb0ELb0EEEvPK12hip_bfloat16S3_S3_PKfS5_PKvPS1_S8_PvPKiSB_iiiiilll.kd
    .uniform_work_group_size: 1
    .uses_dynamic_stack: false
    .vgpr_count:     120
    .vgpr_spill_count: 0
    .wavefront_size: 64
  - .agpr_count:     8
    .args:
      - .actual_access:  read_only
        .address_space:  global
        .offset:         0
        .size:           8
        .value_kind:     global_buffer
      - .actual_access:  read_only
        .address_space:  global
        .offset:         8
        .size:           8
        .value_kind:     global_buffer
      - .actual_access:  read_only
        .address_space:  global
        .offset:         16
        .size:           8
        .value_kind:     global_buffer
      - .actual_access:  read_only
        .address_space:  global
        .offset:         24
        .size:           8
        .value_kind:     global_buffer
      - .actual_access:  read_only
        .address_space:  global
        .offset:         32
        .size:           8
        .value_kind:     global_buffer
      - .actual_access:  read_only
        .address_space:  global
        .offset:         40
        .size:           8
        .value_kind:     global_buffer
      - .actual_access:  write_only
        .address_space:  global
        .offset:         48
        .size:           8
        .value_kind:     global_buffer
      - .actual_access:  write_only
        .address_space:  global
        .offset:         56
        .size:           8
        .value_kind:     global_buffer
      - .actual_access:  read_only
        .address_space:  global
        .offset:         64
        .size:           8
        .value_kind:     global_buffer
      - .actual_access:  read_only
        .address_space:  global
        .offset:         72
        .size:           8
        .value_kind:     global_buffer
      - .actual_access:  read_only
        .address_space:  global
        .offset:         80
        .size:           8
        .value_kind:     global_buffer
      - .offset:         88
        .size:           4
        .value_kind:     by_value
      - .offset:         92
        .size:           4
        .value_kind:     by_value
      - .offset:         96
        .size:           4
        .value_kind:     by_value
      - .offset:         100
        .size:           4
        .value_kind:     by_value
      - .offset:         104
        .size:           4
        .value_kind:     by_value
      - .offset:         112
        .size:           8
        .value_kind:     by_value
      - .offset:         120
        .size:           8
        .value_kind:     by_value
      - .offset:         128
        .size:           8
        .value_kind:     by_value
    .group_segment_fixed_size: 40960
    .kernarg_segment_align: 8
    .kernarg_segment_size: 136
    .language:       OpenCL C
    .language_version:
      - 2
      - 0
    .max_flat_workgroup_size: 256
    .name:           _ZN12_GLOBAL__N_139chunk_gated_delta_rule_fwd_h_hip_kernelILi16ELb1ELb0ELb1ELb1ELb0ELb0ELb0ELb0EEEvPK12hip_bfloat16S3_S3_PKfS5_PKvPS1_S8_PvPKiSB_iiiiilll
    .private_segment_fixed_size: 0
    .sgpr_count:     70
    .sgpr_spill_count: 0
    .symbol:         _ZN12_GLOBAL__N_139chunk_gated_delta_rule_fwd_h_hip_kernelILi16ELb1ELb0ELb1ELb1ELb0ELb0ELb0ELb0EEEvPK12hip_bfloat16S3_S3_PKfS5_PKvPS1_S8_PvPKiSB_iiiiilll.kd
    .uniform_work_group_size: 1
    .uses_dynamic_stack: false
    .vgpr_count:     116
    .vgpr_spill_count: 0
    .wavefront_size: 64
  - .agpr_count:     8
    .args:
      - .actual_access:  read_only
        .address_space:  global
        .offset:         0
        .size:           8
        .value_kind:     global_buffer
      - .actual_access:  read_only
        .address_space:  global
        .offset:         8
        .size:           8
        .value_kind:     global_buffer
      - .actual_access:  read_only
        .address_space:  global
        .offset:         16
        .size:           8
        .value_kind:     global_buffer
      - .actual_access:  read_only
        .address_space:  global
        .offset:         24
        .size:           8
        .value_kind:     global_buffer
      - .actual_access:  read_only
        .address_space:  global
        .offset:         32
        .size:           8
        .value_kind:     global_buffer
      - .actual_access:  read_only
        .address_space:  global
        .offset:         40
        .size:           8
        .value_kind:     global_buffer
      - .actual_access:  write_only
        .address_space:  global
        .offset:         48
        .size:           8
        .value_kind:     global_buffer
      - .actual_access:  read_only
        .address_space:  global
        .offset:         56
        .size:           8
        .value_kind:     global_buffer
      - .actual_access:  read_only
        .address_space:  global
        .offset:         64
        .size:           8
        .value_kind:     global_buffer
      - .actual_access:  read_only
        .address_space:  global
        .offset:         72
        .size:           8
        .value_kind:     global_buffer
      - .actual_access:  read_only
        .address_space:  global
        .offset:         80
        .size:           8
        .value_kind:     global_buffer
      - .offset:         88
        .size:           4
        .value_kind:     by_value
      - .offset:         92
        .size:           4
        .value_kind:     by_value
      - .offset:         96
        .size:           4
        .value_kind:     by_value
      - .offset:         100
        .size:           4
        .value_kind:     by_value
      - .offset:         104
        .size:           4
        .value_kind:     by_value
      - .offset:         112
        .size:           8
        .value_kind:     by_value
      - .offset:         120
        .size:           8
        .value_kind:     by_value
      - .offset:         128
        .size:           8
        .value_kind:     by_value
    .group_segment_fixed_size: 40960
    .kernarg_segment_align: 8
    .kernarg_segment_size: 136
    .language:       OpenCL C
    .language_version:
      - 2
      - 0
    .max_flat_workgroup_size: 256
    .name:           _ZN12_GLOBAL__N_139chunk_gated_delta_rule_fwd_h_hip_kernelILi16ELb1ELb0ELb0ELb1ELb0ELb0ELb0ELb0EEEvPK12hip_bfloat16S3_S3_PKfS5_PKvPS1_S8_PvPKiSB_iiiiilll
    .private_segment_fixed_size: 0
    .sgpr_count:     65
    .sgpr_spill_count: 0
    .symbol:         _ZN12_GLOBAL__N_139chunk_gated_delta_rule_fwd_h_hip_kernelILi16ELb1ELb0ELb0ELb1ELb0ELb0ELb0ELb0EEEvPK12hip_bfloat16S3_S3_PKfS5_PKvPS1_S8_PvPKiSB_iiiiilll.kd
    .uniform_work_group_size: 1
    .uses_dynamic_stack: false
    .vgpr_count:     116
    .vgpr_spill_count: 0
    .wavefront_size: 64
  - .agpr_count:     8
    .args:
      - .actual_access:  read_only
        .address_space:  global
        .offset:         0
        .size:           8
        .value_kind:     global_buffer
      - .actual_access:  read_only
        .address_space:  global
        .offset:         8
        .size:           8
        .value_kind:     global_buffer
      - .actual_access:  read_only
        .address_space:  global
        .offset:         16
        .size:           8
        .value_kind:     global_buffer
      - .actual_access:  read_only
        .address_space:  global
        .offset:         24
        .size:           8
        .value_kind:     global_buffer
      - .actual_access:  read_only
        .address_space:  global
        .offset:         32
        .size:           8
        .value_kind:     global_buffer
      - .actual_access:  read_only
        .address_space:  global
        .offset:         40
        .size:           8
        .value_kind:     global_buffer
      - .actual_access:  write_only
        .address_space:  global
        .offset:         48
        .size:           8
        .value_kind:     global_buffer
      - .actual_access:  write_only
        .address_space:  global
        .offset:         56
        .size:           8
        .value_kind:     global_buffer
      - .actual_access:  write_only
        .address_space:  global
        .offset:         64
        .size:           8
        .value_kind:     global_buffer
      - .actual_access:  read_only
        .address_space:  global
        .offset:         72
        .size:           8
        .value_kind:     global_buffer
      - .actual_access:  read_only
        .address_space:  global
        .offset:         80
        .size:           8
        .value_kind:     global_buffer
      - .offset:         88
        .size:           4
        .value_kind:     by_value
      - .offset:         92
        .size:           4
        .value_kind:     by_value
      - .offset:         96
        .size:           4
        .value_kind:     by_value
      - .offset:         100
        .size:           4
        .value_kind:     by_value
      - .offset:         104
        .size:           4
        .value_kind:     by_value
      - .offset:         112
        .size:           8
        .value_kind:     by_value
      - .offset:         120
        .size:           8
        .value_kind:     by_value
      - .offset:         128
        .size:           8
        .value_kind:     by_value
    .group_segment_fixed_size: 40960
    .kernarg_segment_align: 8
    .kernarg_segment_size: 136
    .language:       OpenCL C
    .language_version:
      - 2
      - 0
    .max_flat_workgroup_size: 256
    .name:           _ZN12_GLOBAL__N_139chunk_gated_delta_rule_fwd_h_hip_kernelILi16ELb0ELb1ELb1ELb1ELb0ELb0ELb0ELb0EEEvPK12hip_bfloat16S3_S3_PKfS5_PKvPS1_S8_PvPKiSB_iiiiilll
    .private_segment_fixed_size: 0
    .sgpr_count:     72
    .sgpr_spill_count: 0
    .symbol:         _ZN12_GLOBAL__N_139chunk_gated_delta_rule_fwd_h_hip_kernelILi16ELb0ELb1ELb1ELb1ELb0ELb0ELb0ELb0EEEvPK12hip_bfloat16S3_S3_PKfS5_PKvPS1_S8_PvPKiSB_iiiiilll.kd
    .uniform_work_group_size: 1
    .uses_dynamic_stack: false
    .vgpr_count:     116
    .vgpr_spill_count: 0
    .wavefront_size: 64
  - .agpr_count:     8
    .args:
      - .actual_access:  read_only
        .address_space:  global
        .offset:         0
        .size:           8
        .value_kind:     global_buffer
      - .actual_access:  read_only
        .address_space:  global
        .offset:         8
        .size:           8
        .value_kind:     global_buffer
      - .actual_access:  read_only
        .address_space:  global
        .offset:         16
        .size:           8
        .value_kind:     global_buffer
      - .actual_access:  read_only
        .address_space:  global
        .offset:         24
        .size:           8
        .value_kind:     global_buffer
      - .actual_access:  read_only
        .address_space:  global
        .offset:         32
        .size:           8
        .value_kind:     global_buffer
      - .actual_access:  read_only
        .address_space:  global
        .offset:         40
        .size:           8
        .value_kind:     global_buffer
      - .actual_access:  write_only
        .address_space:  global
        .offset:         48
        .size:           8
        .value_kind:     global_buffer
      - .actual_access:  read_only
        .address_space:  global
        .offset:         56
        .size:           8
        .value_kind:     global_buffer
      - .actual_access:  write_only
        .address_space:  global
        .offset:         64
        .size:           8
        .value_kind:     global_buffer
      - .actual_access:  read_only
        .address_space:  global
        .offset:         72
        .size:           8
        .value_kind:     global_buffer
      - .actual_access:  read_only
        .address_space:  global
        .offset:         80
        .size:           8
        .value_kind:     global_buffer
      - .offset:         88
        .size:           4
        .value_kind:     by_value
      - .offset:         92
        .size:           4
        .value_kind:     by_value
      - .offset:         96
        .size:           4
        .value_kind:     by_value
      - .offset:         100
        .size:           4
        .value_kind:     by_value
      - .offset:         104
        .size:           4
        .value_kind:     by_value
      - .offset:         112
        .size:           8
        .value_kind:     by_value
      - .offset:         120
        .size:           8
        .value_kind:     by_value
      - .offset:         128
        .size:           8
        .value_kind:     by_value
    .group_segment_fixed_size: 40960
    .kernarg_segment_align: 8
    .kernarg_segment_size: 136
    .language:       OpenCL C
    .language_version:
      - 2
      - 0
    .max_flat_workgroup_size: 256
    .name:           _ZN12_GLOBAL__N_139chunk_gated_delta_rule_fwd_h_hip_kernelILi16ELb0ELb1ELb0ELb1ELb0ELb0ELb0ELb0EEEvPK12hip_bfloat16S3_S3_PKfS5_PKvPS1_S8_PvPKiSB_iiiiilll
    .private_segment_fixed_size: 0
    .sgpr_count:     69
    .sgpr_spill_count: 0
    .symbol:         _ZN12_GLOBAL__N_139chunk_gated_delta_rule_fwd_h_hip_kernelILi16ELb0ELb1ELb0ELb1ELb0ELb0ELb0ELb0EEEvPK12hip_bfloat16S3_S3_PKfS5_PKvPS1_S8_PvPKiSB_iiiiilll.kd
    .uniform_work_group_size: 1
    .uses_dynamic_stack: false
    .vgpr_count:     116
    .vgpr_spill_count: 0
    .wavefront_size: 64
  - .agpr_count:     8
    .args:
      - .actual_access:  read_only
        .address_space:  global
        .offset:         0
        .size:           8
        .value_kind:     global_buffer
      - .actual_access:  read_only
        .address_space:  global
        .offset:         8
        .size:           8
        .value_kind:     global_buffer
      - .actual_access:  read_only
        .address_space:  global
        .offset:         16
        .size:           8
        .value_kind:     global_buffer
      - .actual_access:  read_only
        .address_space:  global
        .offset:         24
        .size:           8
        .value_kind:     global_buffer
      - .actual_access:  read_only
        .address_space:  global
        .offset:         32
        .size:           8
        .value_kind:     global_buffer
      - .actual_access:  read_only
        .address_space:  global
        .offset:         40
        .size:           8
        .value_kind:     global_buffer
      - .actual_access:  write_only
        .address_space:  global
        .offset:         48
        .size:           8
        .value_kind:     global_buffer
      - .actual_access:  write_only
        .address_space:  global
        .offset:         56
        .size:           8
        .value_kind:     global_buffer
      - .actual_access:  read_only
        .address_space:  global
        .offset:         64
        .size:           8
        .value_kind:     global_buffer
      - .actual_access:  read_only
        .address_space:  global
        .offset:         72
        .size:           8
        .value_kind:     global_buffer
      - .actual_access:  read_only
        .address_space:  global
        .offset:         80
        .size:           8
        .value_kind:     global_buffer
      - .offset:         88
        .size:           4
        .value_kind:     by_value
      - .offset:         92
        .size:           4
        .value_kind:     by_value
      - .offset:         96
        .size:           4
        .value_kind:     by_value
      - .offset:         100
        .size:           4
        .value_kind:     by_value
      - .offset:         104
        .size:           4
        .value_kind:     by_value
      - .offset:         112
        .size:           8
        .value_kind:     by_value
      - .offset:         120
        .size:           8
        .value_kind:     by_value
      - .offset:         128
        .size:           8
        .value_kind:     by_value
    .group_segment_fixed_size: 40960
    .kernarg_segment_align: 8
    .kernarg_segment_size: 136
    .language:       OpenCL C
    .language_version:
      - 2
      - 0
    .max_flat_workgroup_size: 256
    .name:           _ZN12_GLOBAL__N_139chunk_gated_delta_rule_fwd_h_hip_kernelILi16ELb0ELb0ELb1ELb1ELb0ELb0ELb0ELb0EEEvPK12hip_bfloat16S3_S3_PKfS5_PKvPS1_S8_PvPKiSB_iiiiilll
    .private_segment_fixed_size: 0
    .sgpr_count:     68
    .sgpr_spill_count: 0
    .symbol:         _ZN12_GLOBAL__N_139chunk_gated_delta_rule_fwd_h_hip_kernelILi16ELb0ELb0ELb1ELb1ELb0ELb0ELb0ELb0EEEvPK12hip_bfloat16S3_S3_PKfS5_PKvPS1_S8_PvPKiSB_iiiiilll.kd
    .uniform_work_group_size: 1
    .uses_dynamic_stack: false
    .vgpr_count:     116
    .vgpr_spill_count: 0
    .wavefront_size: 64
  - .agpr_count:     8
    .args:
      - .actual_access:  read_only
        .address_space:  global
        .offset:         0
        .size:           8
        .value_kind:     global_buffer
      - .actual_access:  read_only
        .address_space:  global
        .offset:         8
        .size:           8
        .value_kind:     global_buffer
      - .actual_access:  read_only
        .address_space:  global
        .offset:         16
        .size:           8
        .value_kind:     global_buffer
      - .actual_access:  read_only
        .address_space:  global
        .offset:         24
        .size:           8
        .value_kind:     global_buffer
      - .actual_access:  read_only
        .address_space:  global
        .offset:         32
        .size:           8
        .value_kind:     global_buffer
      - .actual_access:  read_only
        .address_space:  global
        .offset:         40
        .size:           8
        .value_kind:     global_buffer
      - .actual_access:  write_only
        .address_space:  global
        .offset:         48
        .size:           8
        .value_kind:     global_buffer
      - .actual_access:  read_only
        .address_space:  global
        .offset:         56
        .size:           8
        .value_kind:     global_buffer
      - .actual_access:  read_only
        .address_space:  global
        .offset:         64
        .size:           8
        .value_kind:     global_buffer
      - .actual_access:  read_only
        .address_space:  global
        .offset:         72
        .size:           8
        .value_kind:     global_buffer
      - .actual_access:  read_only
        .address_space:  global
        .offset:         80
        .size:           8
        .value_kind:     global_buffer
      - .offset:         88
        .size:           4
        .value_kind:     by_value
      - .offset:         92
        .size:           4
        .value_kind:     by_value
      - .offset:         96
        .size:           4
        .value_kind:     by_value
      - .offset:         100
        .size:           4
        .value_kind:     by_value
      - .offset:         104
        .size:           4
        .value_kind:     by_value
      - .offset:         112
        .size:           8
        .value_kind:     by_value
      - .offset:         120
        .size:           8
        .value_kind:     by_value
      - .offset:         128
        .size:           8
        .value_kind:     by_value
    .group_segment_fixed_size: 40960
    .kernarg_segment_align: 8
    .kernarg_segment_size: 136
    .language:       OpenCL C
    .language_version:
      - 2
      - 0
    .max_flat_workgroup_size: 256
    .name:           _ZN12_GLOBAL__N_139chunk_gated_delta_rule_fwd_h_hip_kernelILi16ELb0ELb0ELb0ELb1ELb0ELb0ELb0ELb0EEEvPK12hip_bfloat16S3_S3_PKfS5_PKvPS1_S8_PvPKiSB_iiiiilll
    .private_segment_fixed_size: 0
    .sgpr_count:     64
    .sgpr_spill_count: 0
    .symbol:         _ZN12_GLOBAL__N_139chunk_gated_delta_rule_fwd_h_hip_kernelILi16ELb0ELb0ELb0ELb1ELb0ELb0ELb0ELb0EEEvPK12hip_bfloat16S3_S3_PKfS5_PKvPS1_S8_PvPKiSB_iiiiilll.kd
    .uniform_work_group_size: 1
    .uses_dynamic_stack: false
    .vgpr_count:     116
    .vgpr_spill_count: 0
    .wavefront_size: 64
  - .agpr_count:     8
    .args:
      - .actual_access:  read_only
        .address_space:  global
        .offset:         0
        .size:           8
        .value_kind:     global_buffer
      - .actual_access:  read_only
        .address_space:  global
        .offset:         8
        .size:           8
        .value_kind:     global_buffer
      - .actual_access:  read_only
        .address_space:  global
        .offset:         16
        .size:           8
        .value_kind:     global_buffer
      - .actual_access:  read_only
        .address_space:  global
        .offset:         24
        .size:           8
        .value_kind:     global_buffer
      - .actual_access:  read_only
        .address_space:  global
        .offset:         32
        .size:           8
        .value_kind:     global_buffer
      - .actual_access:  read_only
        .address_space:  global
        .offset:         40
        .size:           8
        .value_kind:     global_buffer
      - .actual_access:  write_only
        .address_space:  global
        .offset:         48
        .size:           8
        .value_kind:     global_buffer
      - .actual_access:  write_only
        .address_space:  global
        .offset:         56
        .size:           8
        .value_kind:     global_buffer
      - .actual_access:  write_only
        .address_space:  global
        .offset:         64
        .size:           8
        .value_kind:     global_buffer
      - .actual_access:  read_only
        .address_space:  global
        .offset:         72
        .size:           8
        .value_kind:     global_buffer
      - .actual_access:  read_only
        .address_space:  global
        .offset:         80
        .size:           8
        .value_kind:     global_buffer
      - .offset:         88
        .size:           4
        .value_kind:     by_value
      - .offset:         92
        .size:           4
        .value_kind:     by_value
      - .offset:         96
        .size:           4
        .value_kind:     by_value
      - .offset:         100
        .size:           4
        .value_kind:     by_value
      - .offset:         104
        .size:           4
        .value_kind:     by_value
      - .offset:         112
        .size:           8
        .value_kind:     by_value
      - .offset:         120
        .size:           8
        .value_kind:     by_value
      - .offset:         128
        .size:           8
        .value_kind:     by_value
    .group_segment_fixed_size: 40960
    .kernarg_segment_align: 8
    .kernarg_segment_size: 136
    .language:       OpenCL C
    .language_version:
      - 2
      - 0
    .max_flat_workgroup_size: 256
    .name:           _ZN12_GLOBAL__N_139chunk_gated_delta_rule_fwd_h_hip_kernelILi16ELb1ELb1ELb1ELb0ELb0ELb0ELb0ELb0EEEvPK12hip_bfloat16S3_S3_PKfS5_PKvPS1_S8_PvPKiSB_iiiiilll
    .private_segment_fixed_size: 0
    .sgpr_count:     78
    .sgpr_spill_count: 0
    .symbol:         _ZN12_GLOBAL__N_139chunk_gated_delta_rule_fwd_h_hip_kernelILi16ELb1ELb1ELb1ELb0ELb0ELb0ELb0ELb0EEEvPK12hip_bfloat16S3_S3_PKfS5_PKvPS1_S8_PvPKiSB_iiiiilll.kd
    .uniform_work_group_size: 1
    .uses_dynamic_stack: false
    .vgpr_count:     120
    .vgpr_spill_count: 0
    .wavefront_size: 64
  - .agpr_count:     8
    .args:
      - .actual_access:  read_only
        .address_space:  global
        .offset:         0
        .size:           8
        .value_kind:     global_buffer
      - .actual_access:  read_only
        .address_space:  global
        .offset:         8
        .size:           8
        .value_kind:     global_buffer
      - .actual_access:  read_only
        .address_space:  global
        .offset:         16
        .size:           8
        .value_kind:     global_buffer
      - .actual_access:  read_only
        .address_space:  global
        .offset:         24
        .size:           8
        .value_kind:     global_buffer
      - .actual_access:  read_only
        .address_space:  global
        .offset:         32
        .size:           8
        .value_kind:     global_buffer
      - .actual_access:  read_only
        .address_space:  global
        .offset:         40
        .size:           8
        .value_kind:     global_buffer
      - .actual_access:  write_only
        .address_space:  global
        .offset:         48
        .size:           8
        .value_kind:     global_buffer
      - .actual_access:  read_only
        .address_space:  global
        .offset:         56
        .size:           8
        .value_kind:     global_buffer
      - .actual_access:  write_only
        .address_space:  global
        .offset:         64
        .size:           8
        .value_kind:     global_buffer
      - .actual_access:  read_only
        .address_space:  global
        .offset:         72
        .size:           8
        .value_kind:     global_buffer
      - .actual_access:  read_only
        .address_space:  global
        .offset:         80
        .size:           8
        .value_kind:     global_buffer
      - .offset:         88
        .size:           4
        .value_kind:     by_value
      - .offset:         92
        .size:           4
        .value_kind:     by_value
      - .offset:         96
        .size:           4
        .value_kind:     by_value
      - .offset:         100
        .size:           4
        .value_kind:     by_value
      - .offset:         104
        .size:           4
        .value_kind:     by_value
      - .offset:         112
        .size:           8
        .value_kind:     by_value
      - .offset:         120
        .size:           8
        .value_kind:     by_value
      - .offset:         128
        .size:           8
        .value_kind:     by_value
    .group_segment_fixed_size: 40960
    .kernarg_segment_align: 8
    .kernarg_segment_size: 136
    .language:       OpenCL C
    .language_version:
      - 2
      - 0
    .max_flat_workgroup_size: 256
    .name:           _ZN12_GLOBAL__N_139chunk_gated_delta_rule_fwd_h_hip_kernelILi16ELb1ELb1ELb0ELb0ELb0ELb0ELb0ELb0EEEvPK12hip_bfloat16S3_S3_PKfS5_PKvPS1_S8_PvPKiSB_iiiiilll
    .private_segment_fixed_size: 0
    .sgpr_count:     74
    .sgpr_spill_count: 0
    .symbol:         _ZN12_GLOBAL__N_139chunk_gated_delta_rule_fwd_h_hip_kernelILi16ELb1ELb1ELb0ELb0ELb0ELb0ELb0ELb0EEEvPK12hip_bfloat16S3_S3_PKfS5_PKvPS1_S8_PvPKiSB_iiiiilll.kd
    .uniform_work_group_size: 1
    .uses_dynamic_stack: false
    .vgpr_count:     120
    .vgpr_spill_count: 0
    .wavefront_size: 64
  - .agpr_count:     8
    .args:
      - .actual_access:  read_only
        .address_space:  global
        .offset:         0
        .size:           8
        .value_kind:     global_buffer
      - .actual_access:  read_only
        .address_space:  global
        .offset:         8
        .size:           8
        .value_kind:     global_buffer
      - .actual_access:  read_only
        .address_space:  global
        .offset:         16
        .size:           8
        .value_kind:     global_buffer
      - .actual_access:  read_only
        .address_space:  global
        .offset:         24
        .size:           8
        .value_kind:     global_buffer
      - .actual_access:  read_only
        .address_space:  global
        .offset:         32
        .size:           8
        .value_kind:     global_buffer
      - .actual_access:  read_only
        .address_space:  global
        .offset:         40
        .size:           8
        .value_kind:     global_buffer
      - .actual_access:  write_only
        .address_space:  global
        .offset:         48
        .size:           8
        .value_kind:     global_buffer
      - .actual_access:  write_only
        .address_space:  global
        .offset:         56
        .size:           8
        .value_kind:     global_buffer
      - .actual_access:  read_only
        .address_space:  global
        .offset:         64
        .size:           8
        .value_kind:     global_buffer
      - .actual_access:  read_only
        .address_space:  global
        .offset:         72
        .size:           8
        .value_kind:     global_buffer
      - .actual_access:  read_only
        .address_space:  global
        .offset:         80
        .size:           8
        .value_kind:     global_buffer
      - .offset:         88
        .size:           4
        .value_kind:     by_value
      - .offset:         92
        .size:           4
        .value_kind:     by_value
      - .offset:         96
        .size:           4
        .value_kind:     by_value
      - .offset:         100
        .size:           4
        .value_kind:     by_value
      - .offset:         104
        .size:           4
        .value_kind:     by_value
      - .offset:         112
        .size:           8
        .value_kind:     by_value
      - .offset:         120
        .size:           8
        .value_kind:     by_value
      - .offset:         128
        .size:           8
        .value_kind:     by_value
    .group_segment_fixed_size: 40960
    .kernarg_segment_align: 8
    .kernarg_segment_size: 136
    .language:       OpenCL C
    .language_version:
      - 2
      - 0
    .max_flat_workgroup_size: 256
    .name:           _ZN12_GLOBAL__N_139chunk_gated_delta_rule_fwd_h_hip_kernelILi16ELb1ELb0ELb1ELb0ELb0ELb0ELb0ELb0EEEvPK12hip_bfloat16S3_S3_PKfS5_PKvPS1_S8_PvPKiSB_iiiiilll
    .private_segment_fixed_size: 0
    .sgpr_count:     74
    .sgpr_spill_count: 0
    .symbol:         _ZN12_GLOBAL__N_139chunk_gated_delta_rule_fwd_h_hip_kernelILi16ELb1ELb0ELb1ELb0ELb0ELb0ELb0ELb0EEEvPK12hip_bfloat16S3_S3_PKfS5_PKvPS1_S8_PvPKiSB_iiiiilll.kd
    .uniform_work_group_size: 1
    .uses_dynamic_stack: false
    .vgpr_count:     116
    .vgpr_spill_count: 0
    .wavefront_size: 64
  - .agpr_count:     8
    .args:
      - .actual_access:  read_only
        .address_space:  global
        .offset:         0
        .size:           8
        .value_kind:     global_buffer
      - .actual_access:  read_only
        .address_space:  global
        .offset:         8
        .size:           8
        .value_kind:     global_buffer
      - .actual_access:  read_only
        .address_space:  global
        .offset:         16
        .size:           8
        .value_kind:     global_buffer
      - .actual_access:  read_only
        .address_space:  global
        .offset:         24
        .size:           8
        .value_kind:     global_buffer
      - .actual_access:  read_only
        .address_space:  global
        .offset:         32
        .size:           8
        .value_kind:     global_buffer
      - .actual_access:  read_only
        .address_space:  global
        .offset:         40
        .size:           8
        .value_kind:     global_buffer
      - .actual_access:  write_only
        .address_space:  global
        .offset:         48
        .size:           8
        .value_kind:     global_buffer
      - .actual_access:  read_only
        .address_space:  global
        .offset:         56
        .size:           8
        .value_kind:     global_buffer
      - .actual_access:  read_only
        .address_space:  global
        .offset:         64
        .size:           8
        .value_kind:     global_buffer
      - .actual_access:  read_only
        .address_space:  global
        .offset:         72
        .size:           8
        .value_kind:     global_buffer
      - .actual_access:  read_only
        .address_space:  global
        .offset:         80
        .size:           8
        .value_kind:     global_buffer
      - .offset:         88
        .size:           4
        .value_kind:     by_value
      - .offset:         92
        .size:           4
        .value_kind:     by_value
      - .offset:         96
        .size:           4
        .value_kind:     by_value
      - .offset:         100
        .size:           4
        .value_kind:     by_value
      - .offset:         104
        .size:           4
        .value_kind:     by_value
      - .offset:         112
        .size:           8
        .value_kind:     by_value
      - .offset:         120
        .size:           8
        .value_kind:     by_value
      - .offset:         128
        .size:           8
        .value_kind:     by_value
    .group_segment_fixed_size: 40960
    .kernarg_segment_align: 8
    .kernarg_segment_size: 136
    .language:       OpenCL C
    .language_version:
      - 2
      - 0
    .max_flat_workgroup_size: 256
    .name:           _ZN12_GLOBAL__N_139chunk_gated_delta_rule_fwd_h_hip_kernelILi16ELb1ELb0ELb0ELb0ELb0ELb0ELb0ELb0EEEvPK12hip_bfloat16S3_S3_PKfS5_PKvPS1_S8_PvPKiSB_iiiiilll
    .private_segment_fixed_size: 0
    .sgpr_count:     70
    .sgpr_spill_count: 0
    .symbol:         _ZN12_GLOBAL__N_139chunk_gated_delta_rule_fwd_h_hip_kernelILi16ELb1ELb0ELb0ELb0ELb0ELb0ELb0ELb0EEEvPK12hip_bfloat16S3_S3_PKfS5_PKvPS1_S8_PvPKiSB_iiiiilll.kd
    .uniform_work_group_size: 1
    .uses_dynamic_stack: false
    .vgpr_count:     116
    .vgpr_spill_count: 0
    .wavefront_size: 64
  - .agpr_count:     8
    .args:
      - .actual_access:  read_only
        .address_space:  global
        .offset:         0
        .size:           8
        .value_kind:     global_buffer
      - .actual_access:  read_only
        .address_space:  global
        .offset:         8
        .size:           8
        .value_kind:     global_buffer
      - .actual_access:  read_only
        .address_space:  global
        .offset:         16
        .size:           8
        .value_kind:     global_buffer
      - .actual_access:  read_only
        .address_space:  global
        .offset:         24
        .size:           8
        .value_kind:     global_buffer
      - .actual_access:  read_only
        .address_space:  global
        .offset:         32
        .size:           8
        .value_kind:     global_buffer
      - .actual_access:  read_only
        .address_space:  global
        .offset:         40
        .size:           8
        .value_kind:     global_buffer
      - .actual_access:  write_only
        .address_space:  global
        .offset:         48
        .size:           8
        .value_kind:     global_buffer
      - .actual_access:  write_only
        .address_space:  global
        .offset:         56
        .size:           8
        .value_kind:     global_buffer
      - .actual_access:  write_only
        .address_space:  global
        .offset:         64
        .size:           8
        .value_kind:     global_buffer
      - .actual_access:  read_only
        .address_space:  global
        .offset:         72
        .size:           8
        .value_kind:     global_buffer
      - .actual_access:  read_only
        .address_space:  global
        .offset:         80
        .size:           8
        .value_kind:     global_buffer
      - .offset:         88
        .size:           4
        .value_kind:     by_value
      - .offset:         92
        .size:           4
        .value_kind:     by_value
      - .offset:         96
        .size:           4
        .value_kind:     by_value
      - .offset:         100
        .size:           4
        .value_kind:     by_value
      - .offset:         104
        .size:           4
        .value_kind:     by_value
      - .offset:         112
        .size:           8
        .value_kind:     by_value
      - .offset:         120
        .size:           8
        .value_kind:     by_value
      - .offset:         128
        .size:           8
        .value_kind:     by_value
    .group_segment_fixed_size: 40960
    .kernarg_segment_align: 8
    .kernarg_segment_size: 136
    .language:       OpenCL C
    .language_version:
      - 2
      - 0
    .max_flat_workgroup_size: 256
    .name:           _ZN12_GLOBAL__N_139chunk_gated_delta_rule_fwd_h_hip_kernelILi16ELb0ELb1ELb1ELb0ELb0ELb0ELb0ELb0EEEvPK12hip_bfloat16S3_S3_PKfS5_PKvPS1_S8_PvPKiSB_iiiiilll
    .private_segment_fixed_size: 0
    .sgpr_count:     74
    .sgpr_spill_count: 0
    .symbol:         _ZN12_GLOBAL__N_139chunk_gated_delta_rule_fwd_h_hip_kernelILi16ELb0ELb1ELb1ELb0ELb0ELb0ELb0ELb0EEEvPK12hip_bfloat16S3_S3_PKfS5_PKvPS1_S8_PvPKiSB_iiiiilll.kd
    .uniform_work_group_size: 1
    .uses_dynamic_stack: false
    .vgpr_count:     116
    .vgpr_spill_count: 0
    .wavefront_size: 64
  - .agpr_count:     8
    .args:
      - .actual_access:  read_only
        .address_space:  global
        .offset:         0
        .size:           8
        .value_kind:     global_buffer
      - .actual_access:  read_only
        .address_space:  global
        .offset:         8
        .size:           8
        .value_kind:     global_buffer
      - .actual_access:  read_only
        .address_space:  global
        .offset:         16
        .size:           8
        .value_kind:     global_buffer
      - .actual_access:  read_only
        .address_space:  global
        .offset:         24
        .size:           8
        .value_kind:     global_buffer
      - .actual_access:  read_only
        .address_space:  global
        .offset:         32
        .size:           8
        .value_kind:     global_buffer
      - .actual_access:  read_only
        .address_space:  global
        .offset:         40
        .size:           8
        .value_kind:     global_buffer
      - .actual_access:  write_only
        .address_space:  global
        .offset:         48
        .size:           8
        .value_kind:     global_buffer
      - .actual_access:  read_only
        .address_space:  global
        .offset:         56
        .size:           8
        .value_kind:     global_buffer
      - .actual_access:  write_only
        .address_space:  global
        .offset:         64
        .size:           8
        .value_kind:     global_buffer
      - .actual_access:  read_only
        .address_space:  global
        .offset:         72
        .size:           8
        .value_kind:     global_buffer
      - .actual_access:  read_only
        .address_space:  global
        .offset:         80
        .size:           8
        .value_kind:     global_buffer
      - .offset:         88
        .size:           4
        .value_kind:     by_value
      - .offset:         92
        .size:           4
        .value_kind:     by_value
      - .offset:         96
        .size:           4
        .value_kind:     by_value
      - .offset:         100
        .size:           4
        .value_kind:     by_value
      - .offset:         104
        .size:           4
        .value_kind:     by_value
      - .offset:         112
        .size:           8
        .value_kind:     by_value
      - .offset:         120
        .size:           8
        .value_kind:     by_value
      - .offset:         128
        .size:           8
        .value_kind:     by_value
    .group_segment_fixed_size: 40960
    .kernarg_segment_align: 8
    .kernarg_segment_size: 136
    .language:       OpenCL C
    .language_version:
      - 2
      - 0
    .max_flat_workgroup_size: 256
    .name:           _ZN12_GLOBAL__N_139chunk_gated_delta_rule_fwd_h_hip_kernelILi16ELb0ELb1ELb0ELb0ELb0ELb0ELb0ELb0EEEvPK12hip_bfloat16S3_S3_PKfS5_PKvPS1_S8_PvPKiSB_iiiiilll
    .private_segment_fixed_size: 0
    .sgpr_count:     69
    .sgpr_spill_count: 0
    .symbol:         _ZN12_GLOBAL__N_139chunk_gated_delta_rule_fwd_h_hip_kernelILi16ELb0ELb1ELb0ELb0ELb0ELb0ELb0ELb0EEEvPK12hip_bfloat16S3_S3_PKfS5_PKvPS1_S8_PvPKiSB_iiiiilll.kd
    .uniform_work_group_size: 1
    .uses_dynamic_stack: false
    .vgpr_count:     116
    .vgpr_spill_count: 0
    .wavefront_size: 64
  - .agpr_count:     8
    .args:
      - .actual_access:  read_only
        .address_space:  global
        .offset:         0
        .size:           8
        .value_kind:     global_buffer
      - .actual_access:  read_only
        .address_space:  global
        .offset:         8
        .size:           8
        .value_kind:     global_buffer
      - .actual_access:  read_only
        .address_space:  global
        .offset:         16
        .size:           8
        .value_kind:     global_buffer
      - .actual_access:  read_only
        .address_space:  global
        .offset:         24
        .size:           8
        .value_kind:     global_buffer
      - .actual_access:  read_only
        .address_space:  global
        .offset:         32
        .size:           8
        .value_kind:     global_buffer
      - .actual_access:  read_only
        .address_space:  global
        .offset:         40
        .size:           8
        .value_kind:     global_buffer
      - .actual_access:  write_only
        .address_space:  global
        .offset:         48
        .size:           8
        .value_kind:     global_buffer
      - .actual_access:  write_only
        .address_space:  global
        .offset:         56
        .size:           8
        .value_kind:     global_buffer
      - .actual_access:  read_only
        .address_space:  global
        .offset:         64
        .size:           8
        .value_kind:     global_buffer
      - .actual_access:  read_only
        .address_space:  global
        .offset:         72
        .size:           8
        .value_kind:     global_buffer
      - .actual_access:  read_only
        .address_space:  global
        .offset:         80
        .size:           8
        .value_kind:     global_buffer
      - .offset:         88
        .size:           4
        .value_kind:     by_value
      - .offset:         92
        .size:           4
        .value_kind:     by_value
      - .offset:         96
        .size:           4
        .value_kind:     by_value
      - .offset:         100
        .size:           4
        .value_kind:     by_value
      - .offset:         104
        .size:           4
        .value_kind:     by_value
      - .offset:         112
        .size:           8
        .value_kind:     by_value
      - .offset:         120
        .size:           8
        .value_kind:     by_value
      - .offset:         128
        .size:           8
        .value_kind:     by_value
    .group_segment_fixed_size: 40960
    .kernarg_segment_align: 8
    .kernarg_segment_size: 136
    .language:       OpenCL C
    .language_version:
      - 2
      - 0
    .max_flat_workgroup_size: 256
    .name:           _ZN12_GLOBAL__N_139chunk_gated_delta_rule_fwd_h_hip_kernelILi16ELb0ELb0ELb1ELb0ELb0ELb0ELb0ELb0EEEvPK12hip_bfloat16S3_S3_PKfS5_PKvPS1_S8_PvPKiSB_iiiiilll
    .private_segment_fixed_size: 0
    .sgpr_count:     72
    .sgpr_spill_count: 0
    .symbol:         _ZN12_GLOBAL__N_139chunk_gated_delta_rule_fwd_h_hip_kernelILi16ELb0ELb0ELb1ELb0ELb0ELb0ELb0ELb0EEEvPK12hip_bfloat16S3_S3_PKfS5_PKvPS1_S8_PvPKiSB_iiiiilll.kd
    .uniform_work_group_size: 1
    .uses_dynamic_stack: false
    .vgpr_count:     116
    .vgpr_spill_count: 0
    .wavefront_size: 64
  - .agpr_count:     8
    .args:
      - .actual_access:  read_only
        .address_space:  global
        .offset:         0
        .size:           8
        .value_kind:     global_buffer
      - .actual_access:  read_only
        .address_space:  global
        .offset:         8
        .size:           8
        .value_kind:     global_buffer
      - .actual_access:  read_only
        .address_space:  global
        .offset:         16
        .size:           8
        .value_kind:     global_buffer
      - .actual_access:  read_only
        .address_space:  global
        .offset:         24
        .size:           8
        .value_kind:     global_buffer
      - .actual_access:  read_only
        .address_space:  global
        .offset:         32
        .size:           8
        .value_kind:     global_buffer
      - .actual_access:  read_only
        .address_space:  global
        .offset:         40
        .size:           8
        .value_kind:     global_buffer
      - .actual_access:  write_only
        .address_space:  global
        .offset:         48
        .size:           8
        .value_kind:     global_buffer
      - .actual_access:  read_only
        .address_space:  global
        .offset:         56
        .size:           8
        .value_kind:     global_buffer
      - .actual_access:  read_only
        .address_space:  global
        .offset:         64
        .size:           8
        .value_kind:     global_buffer
      - .actual_access:  read_only
        .address_space:  global
        .offset:         72
        .size:           8
        .value_kind:     global_buffer
      - .actual_access:  read_only
        .address_space:  global
        .offset:         80
        .size:           8
        .value_kind:     global_buffer
      - .offset:         88
        .size:           4
        .value_kind:     by_value
      - .offset:         92
        .size:           4
        .value_kind:     by_value
      - .offset:         96
        .size:           4
        .value_kind:     by_value
      - .offset:         100
        .size:           4
        .value_kind:     by_value
      - .offset:         104
        .size:           4
        .value_kind:     by_value
      - .offset:         112
        .size:           8
        .value_kind:     by_value
      - .offset:         120
        .size:           8
        .value_kind:     by_value
      - .offset:         128
        .size:           8
        .value_kind:     by_value
    .group_segment_fixed_size: 40960
    .kernarg_segment_align: 8
    .kernarg_segment_size: 136
    .language:       OpenCL C
    .language_version:
      - 2
      - 0
    .max_flat_workgroup_size: 256
    .name:           _ZN12_GLOBAL__N_139chunk_gated_delta_rule_fwd_h_hip_kernelILi16ELb0ELb0ELb0ELb0ELb0ELb0ELb0ELb0EEEvPK12hip_bfloat16S3_S3_PKfS5_PKvPS1_S8_PvPKiSB_iiiiilll
    .private_segment_fixed_size: 0
    .sgpr_count:     67
    .sgpr_spill_count: 0
    .symbol:         _ZN12_GLOBAL__N_139chunk_gated_delta_rule_fwd_h_hip_kernelILi16ELb0ELb0ELb0ELb0ELb0ELb0ELb0ELb0EEEvPK12hip_bfloat16S3_S3_PKfS5_PKvPS1_S8_PvPKiSB_iiiiilll.kd
    .uniform_work_group_size: 1
    .uses_dynamic_stack: false
    .vgpr_count:     116
    .vgpr_spill_count: 0
    .wavefront_size: 64
amdhsa.target:   amdgcn-amd-amdhsa--gfx942
amdhsa.version:
  - 1
  - 2
...

	.end_amdgpu_metadata
